;; amdgpu-corpus repo=pytorch/pytorch kind=compiled arch=gfx90a opt=O3
	.text
	.amdgcn_target "amdgcn-amd-amdhsa--gfx90a"
	.amdhsa_code_object_version 6
	.section	.text._ZN2at6native12_GLOBAL__N_129fill_index_and_segment_kernelEP15HIP_vector_typeIiLj2EEiNS_4cuda6detail10IntDividerIjEE,"axG",@progbits,_ZN2at6native12_GLOBAL__N_129fill_index_and_segment_kernelEP15HIP_vector_typeIiLj2EEiNS_4cuda6detail10IntDividerIjEE,comdat
	.globl	_ZN2at6native12_GLOBAL__N_129fill_index_and_segment_kernelEP15HIP_vector_typeIiLj2EEiNS_4cuda6detail10IntDividerIjEE ; -- Begin function _ZN2at6native12_GLOBAL__N_129fill_index_and_segment_kernelEP15HIP_vector_typeIiLj2EEiNS_4cuda6detail10IntDividerIjEE
	.p2align	8
	.type	_ZN2at6native12_GLOBAL__N_129fill_index_and_segment_kernelEP15HIP_vector_typeIiLj2EEiNS_4cuda6detail10IntDividerIjEE,@function
_ZN2at6native12_GLOBAL__N_129fill_index_and_segment_kernelEP15HIP_vector_typeIiLj2EEiNS_4cuda6detail10IntDividerIjEE: ; @_ZN2at6native12_GLOBAL__N_129fill_index_and_segment_kernelEP15HIP_vector_typeIiLj2EEiNS_4cuda6detail10IntDividerIjEE
; %bb.0:
	s_load_dword s0, s[4:5], 0x24
	s_load_dwordx2 s[8:9], s[4:5], 0x8
	s_add_u32 s2, s4, 24
	s_addc_u32 s3, s5, 0
	v_mov_b32_e32 v1, 0
	s_waitcnt lgkmcnt(0)
	s_and_b32 s10, s0, 0xffff
	v_mov_b32_e32 v2, s6
	v_mad_u64_u32 v[4:5], s[0:1], s10, v2, v[0:1]
	s_ashr_i32 s1, s8, 31
	s_mov_b32 s0, s8
	v_cmp_gt_i64_e32 vcc, s[0:1], v[4:5]
	s_and_saveexec_b64 s[12:13], vcc
	s_cbranch_execz .LBB0_3
; %bb.1:
	s_load_dword s12, s[2:3], 0x0
	s_mul_hi_u32 s11, s10, s6
	s_mul_i32 s8, s10, s6
	s_load_dwordx2 s[2:3], s[4:5], 0x0
	s_load_dwordx2 s[6:7], s[4:5], 0x10
	s_mov_b32 s13, 0
	s_waitcnt lgkmcnt(0)
	s_mul_i32 s10, s12, s10
	s_sub_i32 s9, 0, s9
	v_add_u32_e32 v5, s8, v0
	v_mov_b32_e32 v2, v1
	v_mov_b32_e32 v3, v4
	s_mov_b64 s[4:5], 0
	v_mov_b32_e32 v4, s3
	v_mov_b32_e32 v6, s13
	;; [unrolled: 1-line block ×4, first 2 shown]
.LBB0_2:                                ; =>This Inner Loop Header: Depth=1
	v_add_u32_e32 v10, s8, v0
	v_add_co_u32_e32 v0, vcc, s10, v0
	v_addc_co_u32_e32 v1, vcc, v1, v6, vcc
	v_ashrrev_i64 v[12:13], 29, v[2:3]
	v_add_co_u32_e32 v2, vcc, 0, v2
	v_addc_co_u32_e32 v3, vcc, v3, v8, vcc
	v_add_co_u32_e32 v12, vcc, s2, v12
	v_mul_hi_u32 v9, s6, v5
	v_addc_co_u32_e32 v13, vcc, v4, v13, vcc
	v_add_u32_e32 v9, v10, v9
	v_add_co_u32_e32 v14, vcc, s8, v0
	v_addc_co_u32_e32 v15, vcc, v7, v1, vcc
	v_lshrrev_b32_e32 v16, s7, v9
	v_cmp_le_i64_e32 vcc, s[0:1], v[14:15]
	v_mad_u64_u32 v[10:11], s[12:13], s9, v16, v[10:11]
	v_add_u32_e32 v5, s10, v5
	s_or_b64 s[4:5], vcc, s[4:5]
	v_mov_b32_e32 v17, v10
	global_store_dwordx2 v[12:13], v[16:17], off
	s_andn2_b64 exec, exec, s[4:5]
	s_cbranch_execnz .LBB0_2
.LBB0_3:
	s_endpgm
	.section	.rodata,"a",@progbits
	.p2align	6, 0x0
	.amdhsa_kernel _ZN2at6native12_GLOBAL__N_129fill_index_and_segment_kernelEP15HIP_vector_typeIiLj2EEiNS_4cuda6detail10IntDividerIjEE
		.amdhsa_group_segment_fixed_size 0
		.amdhsa_private_segment_fixed_size 0
		.amdhsa_kernarg_size 280
		.amdhsa_user_sgpr_count 6
		.amdhsa_user_sgpr_private_segment_buffer 1
		.amdhsa_user_sgpr_dispatch_ptr 0
		.amdhsa_user_sgpr_queue_ptr 0
		.amdhsa_user_sgpr_kernarg_segment_ptr 1
		.amdhsa_user_sgpr_dispatch_id 0
		.amdhsa_user_sgpr_flat_scratch_init 0
		.amdhsa_user_sgpr_kernarg_preload_length 0
		.amdhsa_user_sgpr_kernarg_preload_offset 0
		.amdhsa_user_sgpr_private_segment_size 0
		.amdhsa_uses_dynamic_stack 0
		.amdhsa_system_sgpr_private_segment_wavefront_offset 0
		.amdhsa_system_sgpr_workgroup_id_x 1
		.amdhsa_system_sgpr_workgroup_id_y 0
		.amdhsa_system_sgpr_workgroup_id_z 0
		.amdhsa_system_sgpr_workgroup_info 0
		.amdhsa_system_vgpr_workitem_id 0
		.amdhsa_next_free_vgpr 18
		.amdhsa_next_free_sgpr 14
		.amdhsa_accum_offset 20
		.amdhsa_reserve_vcc 1
		.amdhsa_reserve_flat_scratch 0
		.amdhsa_float_round_mode_32 0
		.amdhsa_float_round_mode_16_64 0
		.amdhsa_float_denorm_mode_32 3
		.amdhsa_float_denorm_mode_16_64 3
		.amdhsa_dx10_clamp 1
		.amdhsa_ieee_mode 1
		.amdhsa_fp16_overflow 0
		.amdhsa_tg_split 0
		.amdhsa_exception_fp_ieee_invalid_op 0
		.amdhsa_exception_fp_denorm_src 0
		.amdhsa_exception_fp_ieee_div_zero 0
		.amdhsa_exception_fp_ieee_overflow 0
		.amdhsa_exception_fp_ieee_underflow 0
		.amdhsa_exception_fp_ieee_inexact 0
		.amdhsa_exception_int_div_zero 0
	.end_amdhsa_kernel
	.section	.text._ZN2at6native12_GLOBAL__N_129fill_index_and_segment_kernelEP15HIP_vector_typeIiLj2EEiNS_4cuda6detail10IntDividerIjEE,"axG",@progbits,_ZN2at6native12_GLOBAL__N_129fill_index_and_segment_kernelEP15HIP_vector_typeIiLj2EEiNS_4cuda6detail10IntDividerIjEE,comdat
.Lfunc_end0:
	.size	_ZN2at6native12_GLOBAL__N_129fill_index_and_segment_kernelEP15HIP_vector_typeIiLj2EEiNS_4cuda6detail10IntDividerIjEE, .Lfunc_end0-_ZN2at6native12_GLOBAL__N_129fill_index_and_segment_kernelEP15HIP_vector_typeIiLj2EEiNS_4cuda6detail10IntDividerIjEE
                                        ; -- End function
	.section	.AMDGPU.csdata,"",@progbits
; Kernel info:
; codeLenInByte = 256
; NumSgprs: 18
; NumVgprs: 18
; NumAgprs: 0
; TotalNumVgprs: 18
; ScratchSize: 0
; MemoryBound: 0
; FloatMode: 240
; IeeeMode: 1
; LDSByteSize: 0 bytes/workgroup (compile time only)
; SGPRBlocks: 2
; VGPRBlocks: 2
; NumSGPRsForWavesPerEU: 18
; NumVGPRsForWavesPerEU: 18
; AccumOffset: 20
; Occupancy: 8
; WaveLimiterHint : 0
; COMPUTE_PGM_RSRC2:SCRATCH_EN: 0
; COMPUTE_PGM_RSRC2:USER_SGPR: 6
; COMPUTE_PGM_RSRC2:TRAP_HANDLER: 0
; COMPUTE_PGM_RSRC2:TGID_X_EN: 1
; COMPUTE_PGM_RSRC2:TGID_Y_EN: 0
; COMPUTE_PGM_RSRC2:TGID_Z_EN: 0
; COMPUTE_PGM_RSRC2:TIDIG_COMP_CNT: 0
; COMPUTE_PGM_RSRC3_GFX90A:ACCUM_OFFSET: 4
; COMPUTE_PGM_RSRC3_GFX90A:TG_SPLIT: 0
	.section	.text._ZN2at6native12_GLOBAL__N_127fill_reverse_indices_kernelEPliNS_4cuda6detail10IntDividerIjEE,"axG",@progbits,_ZN2at6native12_GLOBAL__N_127fill_reverse_indices_kernelEPliNS_4cuda6detail10IntDividerIjEE,comdat
	.globl	_ZN2at6native12_GLOBAL__N_127fill_reverse_indices_kernelEPliNS_4cuda6detail10IntDividerIjEE ; -- Begin function _ZN2at6native12_GLOBAL__N_127fill_reverse_indices_kernelEPliNS_4cuda6detail10IntDividerIjEE
	.p2align	8
	.type	_ZN2at6native12_GLOBAL__N_127fill_reverse_indices_kernelEPliNS_4cuda6detail10IntDividerIjEE,@function
_ZN2at6native12_GLOBAL__N_127fill_reverse_indices_kernelEPliNS_4cuda6detail10IntDividerIjEE: ; @_ZN2at6native12_GLOBAL__N_127fill_reverse_indices_kernelEPliNS_4cuda6detail10IntDividerIjEE
; %bb.0:
	s_load_dword s0, s[4:5], 0x24
	s_load_dwordx2 s[8:9], s[4:5], 0x8
	s_add_u32 s2, s4, 24
	s_addc_u32 s3, s5, 0
	v_mov_b32_e32 v1, 0
	s_waitcnt lgkmcnt(0)
	s_and_b32 s10, s0, 0xffff
	v_mov_b32_e32 v2, s6
	v_mad_u64_u32 v[4:5], s[0:1], s10, v2, v[0:1]
	s_ashr_i32 s1, s8, 31
	s_mov_b32 s0, s8
	v_cmp_gt_i64_e32 vcc, s[0:1], v[4:5]
	s_and_saveexec_b64 s[12:13], vcc
	s_cbranch_execz .LBB1_3
; %bb.1:
	s_load_dword s12, s[2:3], 0x0
	s_mul_hi_u32 s11, s10, s6
	s_mul_i32 s8, s10, s6
	s_load_dwordx2 s[2:3], s[4:5], 0x0
	s_load_dwordx2 s[6:7], s[4:5], 0x10
	s_mov_b32 s13, 0
	s_waitcnt lgkmcnt(0)
	s_mul_i32 s10, s12, s10
	s_sub_i32 s9, 0, s9
	v_add_u32_e32 v6, s8, v0
	v_mov_b32_e32 v2, v1
	v_mov_b32_e32 v3, v4
	s_mov_b64 s[4:5], 0
	v_mov_b32_e32 v7, s3
	v_mov_b32_e32 v8, s13
	v_mov_b32_e32 v9, s11
	v_mov_b32_e32 v10, s10
	v_pk_mov_b32 v[4:5], v[0:1], v[0:1] op_sel:[0,1]
.LBB1_2:                                ; =>This Inner Loop Header: Depth=1
	v_add_u32_e32 v0, s8, v4
	v_add_co_u32_e32 v4, vcc, s10, v4
	v_addc_co_u32_e32 v5, vcc, v5, v8, vcc
	v_ashrrev_i64 v[12:13], 29, v[2:3]
	v_add_co_u32_e32 v2, vcc, 0, v2
	v_addc_co_u32_e32 v3, vcc, v3, v10, vcc
	v_add_co_u32_e32 v12, vcc, s2, v12
	v_mul_hi_u32 v11, s6, v6
	v_addc_co_u32_e32 v13, vcc, v7, v13, vcc
	v_add_u32_e32 v11, v0, v11
	v_add_co_u32_e32 v14, vcc, s8, v4
	v_addc_co_u32_e32 v15, vcc, v9, v5, vcc
	v_lshrrev_b32_e32 v11, s7, v11
	v_cmp_le_i64_e32 vcc, s[0:1], v[14:15]
	v_mad_u64_u32 v[14:15], s[12:13], s9, v11, v[0:1]
	v_add_u32_e32 v6, s10, v6
	s_or_b64 s[4:5], vcc, s[4:5]
	v_mov_b32_e32 v15, v1
	global_store_dwordx2 v[12:13], v[14:15], off
	s_andn2_b64 exec, exec, s[4:5]
	s_cbranch_execnz .LBB1_2
.LBB1_3:
	s_endpgm
	.section	.rodata,"a",@progbits
	.p2align	6, 0x0
	.amdhsa_kernel _ZN2at6native12_GLOBAL__N_127fill_reverse_indices_kernelEPliNS_4cuda6detail10IntDividerIjEE
		.amdhsa_group_segment_fixed_size 0
		.amdhsa_private_segment_fixed_size 0
		.amdhsa_kernarg_size 280
		.amdhsa_user_sgpr_count 6
		.amdhsa_user_sgpr_private_segment_buffer 1
		.amdhsa_user_sgpr_dispatch_ptr 0
		.amdhsa_user_sgpr_queue_ptr 0
		.amdhsa_user_sgpr_kernarg_segment_ptr 1
		.amdhsa_user_sgpr_dispatch_id 0
		.amdhsa_user_sgpr_flat_scratch_init 0
		.amdhsa_user_sgpr_kernarg_preload_length 0
		.amdhsa_user_sgpr_kernarg_preload_offset 0
		.amdhsa_user_sgpr_private_segment_size 0
		.amdhsa_uses_dynamic_stack 0
		.amdhsa_system_sgpr_private_segment_wavefront_offset 0
		.amdhsa_system_sgpr_workgroup_id_x 1
		.amdhsa_system_sgpr_workgroup_id_y 0
		.amdhsa_system_sgpr_workgroup_id_z 0
		.amdhsa_system_sgpr_workgroup_info 0
		.amdhsa_system_vgpr_workitem_id 0
		.amdhsa_next_free_vgpr 16
		.amdhsa_next_free_sgpr 14
		.amdhsa_accum_offset 16
		.amdhsa_reserve_vcc 1
		.amdhsa_reserve_flat_scratch 0
		.amdhsa_float_round_mode_32 0
		.amdhsa_float_round_mode_16_64 0
		.amdhsa_float_denorm_mode_32 3
		.amdhsa_float_denorm_mode_16_64 3
		.amdhsa_dx10_clamp 1
		.amdhsa_ieee_mode 1
		.amdhsa_fp16_overflow 0
		.amdhsa_tg_split 0
		.amdhsa_exception_fp_ieee_invalid_op 0
		.amdhsa_exception_fp_denorm_src 0
		.amdhsa_exception_fp_ieee_div_zero 0
		.amdhsa_exception_fp_ieee_overflow 0
		.amdhsa_exception_fp_ieee_underflow 0
		.amdhsa_exception_fp_ieee_inexact 0
		.amdhsa_exception_int_div_zero 0
	.end_amdhsa_kernel
	.section	.text._ZN2at6native12_GLOBAL__N_127fill_reverse_indices_kernelEPliNS_4cuda6detail10IntDividerIjEE,"axG",@progbits,_ZN2at6native12_GLOBAL__N_127fill_reverse_indices_kernelEPliNS_4cuda6detail10IntDividerIjEE,comdat
.Lfunc_end1:
	.size	_ZN2at6native12_GLOBAL__N_127fill_reverse_indices_kernelEPliNS_4cuda6detail10IntDividerIjEE, .Lfunc_end1-_ZN2at6native12_GLOBAL__N_127fill_reverse_indices_kernelEPliNS_4cuda6detail10IntDividerIjEE
                                        ; -- End function
	.section	.AMDGPU.csdata,"",@progbits
; Kernel info:
; codeLenInByte = 264
; NumSgprs: 18
; NumVgprs: 16
; NumAgprs: 0
; TotalNumVgprs: 16
; ScratchSize: 0
; MemoryBound: 0
; FloatMode: 240
; IeeeMode: 1
; LDSByteSize: 0 bytes/workgroup (compile time only)
; SGPRBlocks: 2
; VGPRBlocks: 1
; NumSGPRsForWavesPerEU: 18
; NumVGPRsForWavesPerEU: 16
; AccumOffset: 16
; Occupancy: 8
; WaveLimiterHint : 0
; COMPUTE_PGM_RSRC2:SCRATCH_EN: 0
; COMPUTE_PGM_RSRC2:USER_SGPR: 6
; COMPUTE_PGM_RSRC2:TRAP_HANDLER: 0
; COMPUTE_PGM_RSRC2:TGID_X_EN: 1
; COMPUTE_PGM_RSRC2:TGID_Y_EN: 0
; COMPUTE_PGM_RSRC2:TGID_Z_EN: 0
; COMPUTE_PGM_RSRC2:TIDIG_COMP_CNT: 0
; COMPUTE_PGM_RSRC3_GFX90A:ACCUM_OFFSET: 3
; COMPUTE_PGM_RSRC3_GFX90A:TG_SPLIT: 0
	.section	.text._ZN2at6native12_GLOBAL__N_123sort_postprocess_kernelIhEEvPKT_PS3_PlPK15HIP_vector_typeIiLj2EEii,"axG",@progbits,_ZN2at6native12_GLOBAL__N_123sort_postprocess_kernelIhEEvPKT_PS3_PlPK15HIP_vector_typeIiLj2EEii,comdat
	.globl	_ZN2at6native12_GLOBAL__N_123sort_postprocess_kernelIhEEvPKT_PS3_PlPK15HIP_vector_typeIiLj2EEii ; -- Begin function _ZN2at6native12_GLOBAL__N_123sort_postprocess_kernelIhEEvPKT_PS3_PlPK15HIP_vector_typeIiLj2EEii
	.p2align	8
	.type	_ZN2at6native12_GLOBAL__N_123sort_postprocess_kernelIhEEvPKT_PS3_PlPK15HIP_vector_typeIiLj2EEii,@function
_ZN2at6native12_GLOBAL__N_123sort_postprocess_kernelIhEEvPKT_PS3_PlPK15HIP_vector_typeIiLj2EEii: ; @_ZN2at6native12_GLOBAL__N_123sort_postprocess_kernelIhEEvPKT_PS3_PlPK15HIP_vector_typeIiLj2EEii
; %bb.0:
	s_load_dword s0, s[4:5], 0x34
	s_load_dwordx2 s[8:9], s[4:5], 0x20
	s_add_u32 s2, s4, 40
	s_addc_u32 s3, s5, 0
	v_mov_b32_e32 v1, 0
	s_waitcnt lgkmcnt(0)
	s_and_b32 s7, s0, 0xffff
	v_mov_b32_e32 v2, s6
	v_mad_u64_u32 v[0:1], s[0:1], s7, v2, v[0:1]
	s_mul_i32 s0, s9, s8
	s_ashr_i32 s1, s0, 31
	v_cmp_gt_i64_e32 vcc, s[0:1], v[0:1]
	s_and_saveexec_b64 s[10:11], vcc
	s_cbranch_execz .LBB2_3
; %bb.1:
	s_abs_i32 s6, s9
	v_cvt_f32_u32_e32 v2, s6
	s_load_dwordx8 s[8:15], s[4:5], 0x0
	s_load_dword s16, s[2:3], 0x0
	s_sub_i32 s17, 0, s6
	s_mov_b32 s5, 0
	v_rcp_iflag_f32_e32 v2, v2
	s_mov_b64 s[2:3], 0
	s_waitcnt lgkmcnt(0)
	s_mul_i32 s4, s16, s7
	v_mov_b32_e32 v3, s11
	v_mul_f32_e32 v2, 0x4f7ffffe, v2
	v_cvt_u32_f32_e32 v5, v2
	v_mov_b32_e32 v2, s9
	v_mov_b32_e32 v4, s13
	;; [unrolled: 1-line block ×3, first 2 shown]
	v_mul_lo_u32 v6, s17, v5
	v_mul_hi_u32 v6, v5, v6
	v_add_u32_e32 v5, v5, v6
	v_mov_b32_e32 v6, s15
.LBB2_2:                                ; =>This Inner Loop Header: Depth=1
	v_sub_u32_e32 v9, 0, v0
	v_max_i32_e32 v9, v0, v9
	v_mul_hi_u32 v11, v9, v5
	v_mul_lo_u32 v11, v11, s6
	v_sub_u32_e32 v9, v9, v11
	v_subrev_u32_e32 v11, s6, v9
	v_cmp_le_u32_e32 vcc, s6, v9
	v_cndmask_b32_e32 v9, v9, v11, vcc
	v_subrev_u32_e32 v11, s6, v9
	v_cmp_le_u32_e32 vcc, s6, v9
	v_ashrrev_i32_e32 v8, 31, v0
	v_cndmask_b32_e32 v9, v9, v11, vcc
	v_add_u32_e32 v10, v0, v8
	v_xor_b32_e32 v9, v9, v8
	v_sub_u32_e32 v10, v10, v9
	v_ashrrev_i32_e32 v11, 31, v10
	v_sub_u32_e32 v8, v9, v8
	v_lshlrev_b64 v[12:13], 3, v[10:11]
	v_ashrrev_i32_e32 v9, 31, v8
	v_add_co_u32_e32 v16, vcc, s14, v12
	v_lshlrev_b64 v[14:15], 3, v[8:9]
	v_addc_co_u32_e32 v17, vcc, v6, v13, vcc
	v_add_co_u32_e32 v16, vcc, v16, v14
	v_addc_co_u32_e32 v17, vcc, v17, v15, vcc
	global_load_dword v16, v[16:17], off offset:4
	v_add_co_u32_e32 v18, vcc, s8, v10
	v_addc_co_u32_e32 v19, vcc, v2, v11, vcc
	v_add_co_u32_e32 v12, vcc, s12, v12
	v_addc_co_u32_e32 v13, vcc, v4, v13, vcc
	;; [unrolled: 2-line block ×3, first 2 shown]
	s_waitcnt vmcnt(0)
	v_ashrrev_i32_e32 v17, 31, v16
	v_add_co_u32_e32 v14, vcc, v18, v16
	global_store_dwordx2 v[12:13], v[16:17], off
	v_addc_co_u32_e32 v15, vcc, v19, v17, vcc
	global_load_ubyte v12, v[14:15], off
	v_add_co_u32_e32 v0, vcc, s4, v0
	v_addc_co_u32_e32 v1, vcc, v1, v7, vcc
	v_cmp_le_i64_e32 vcc, s[0:1], v[0:1]
	s_or_b64 s[2:3], vcc, s[2:3]
	v_add_co_u32_e32 v10, vcc, s10, v10
	v_addc_co_u32_e32 v11, vcc, v3, v11, vcc
	v_add_co_u32_e32 v8, vcc, v10, v8
	v_addc_co_u32_e32 v9, vcc, v11, v9, vcc
	s_waitcnt vmcnt(0)
	global_store_byte v[8:9], v12, off
	s_andn2_b64 exec, exec, s[2:3]
	s_cbranch_execnz .LBB2_2
.LBB2_3:
	s_endpgm
	.section	.rodata,"a",@progbits
	.p2align	6, 0x0
	.amdhsa_kernel _ZN2at6native12_GLOBAL__N_123sort_postprocess_kernelIhEEvPKT_PS3_PlPK15HIP_vector_typeIiLj2EEii
		.amdhsa_group_segment_fixed_size 0
		.amdhsa_private_segment_fixed_size 0
		.amdhsa_kernarg_size 296
		.amdhsa_user_sgpr_count 6
		.amdhsa_user_sgpr_private_segment_buffer 1
		.amdhsa_user_sgpr_dispatch_ptr 0
		.amdhsa_user_sgpr_queue_ptr 0
		.amdhsa_user_sgpr_kernarg_segment_ptr 1
		.amdhsa_user_sgpr_dispatch_id 0
		.amdhsa_user_sgpr_flat_scratch_init 0
		.amdhsa_user_sgpr_kernarg_preload_length 0
		.amdhsa_user_sgpr_kernarg_preload_offset 0
		.amdhsa_user_sgpr_private_segment_size 0
		.amdhsa_uses_dynamic_stack 0
		.amdhsa_system_sgpr_private_segment_wavefront_offset 0
		.amdhsa_system_sgpr_workgroup_id_x 1
		.amdhsa_system_sgpr_workgroup_id_y 0
		.amdhsa_system_sgpr_workgroup_id_z 0
		.amdhsa_system_sgpr_workgroup_info 0
		.amdhsa_system_vgpr_workitem_id 0
		.amdhsa_next_free_vgpr 20
		.amdhsa_next_free_sgpr 18
		.amdhsa_accum_offset 20
		.amdhsa_reserve_vcc 1
		.amdhsa_reserve_flat_scratch 0
		.amdhsa_float_round_mode_32 0
		.amdhsa_float_round_mode_16_64 0
		.amdhsa_float_denorm_mode_32 3
		.amdhsa_float_denorm_mode_16_64 3
		.amdhsa_dx10_clamp 1
		.amdhsa_ieee_mode 1
		.amdhsa_fp16_overflow 0
		.amdhsa_tg_split 0
		.amdhsa_exception_fp_ieee_invalid_op 0
		.amdhsa_exception_fp_denorm_src 0
		.amdhsa_exception_fp_ieee_div_zero 0
		.amdhsa_exception_fp_ieee_overflow 0
		.amdhsa_exception_fp_ieee_underflow 0
		.amdhsa_exception_fp_ieee_inexact 0
		.amdhsa_exception_int_div_zero 0
	.end_amdhsa_kernel
	.section	.text._ZN2at6native12_GLOBAL__N_123sort_postprocess_kernelIhEEvPKT_PS3_PlPK15HIP_vector_typeIiLj2EEii,"axG",@progbits,_ZN2at6native12_GLOBAL__N_123sort_postprocess_kernelIhEEvPKT_PS3_PlPK15HIP_vector_typeIiLj2EEii,comdat
.Lfunc_end2:
	.size	_ZN2at6native12_GLOBAL__N_123sort_postprocess_kernelIhEEvPKT_PS3_PlPK15HIP_vector_typeIiLj2EEii, .Lfunc_end2-_ZN2at6native12_GLOBAL__N_123sort_postprocess_kernelIhEEvPKT_PS3_PlPK15HIP_vector_typeIiLj2EEii
                                        ; -- End function
	.section	.AMDGPU.csdata,"",@progbits
; Kernel info:
; codeLenInByte = 404
; NumSgprs: 22
; NumVgprs: 20
; NumAgprs: 0
; TotalNumVgprs: 20
; ScratchSize: 0
; MemoryBound: 0
; FloatMode: 240
; IeeeMode: 1
; LDSByteSize: 0 bytes/workgroup (compile time only)
; SGPRBlocks: 2
; VGPRBlocks: 2
; NumSGPRsForWavesPerEU: 22
; NumVGPRsForWavesPerEU: 20
; AccumOffset: 20
; Occupancy: 8
; WaveLimiterHint : 1
; COMPUTE_PGM_RSRC2:SCRATCH_EN: 0
; COMPUTE_PGM_RSRC2:USER_SGPR: 6
; COMPUTE_PGM_RSRC2:TRAP_HANDLER: 0
; COMPUTE_PGM_RSRC2:TGID_X_EN: 1
; COMPUTE_PGM_RSRC2:TGID_Y_EN: 0
; COMPUTE_PGM_RSRC2:TGID_Z_EN: 0
; COMPUTE_PGM_RSRC2:TIDIG_COMP_CNT: 0
; COMPUTE_PGM_RSRC3_GFX90A:ACCUM_OFFSET: 4
; COMPUTE_PGM_RSRC3_GFX90A:TG_SPLIT: 0
	.section	.text._ZN7rocprim17ROCPRIM_400000_NS6detail31init_lookback_scan_state_kernelINS1_19lookback_scan_stateI15HIP_vector_typeIjLj2EELb0ELb1EEENS1_16block_id_wrapperIjLb0EEEEEvT_jT0_jPNS9_10value_typeE,"axG",@progbits,_ZN7rocprim17ROCPRIM_400000_NS6detail31init_lookback_scan_state_kernelINS1_19lookback_scan_stateI15HIP_vector_typeIjLj2EELb0ELb1EEENS1_16block_id_wrapperIjLb0EEEEEvT_jT0_jPNS9_10value_typeE,comdat
	.protected	_ZN7rocprim17ROCPRIM_400000_NS6detail31init_lookback_scan_state_kernelINS1_19lookback_scan_stateI15HIP_vector_typeIjLj2EELb0ELb1EEENS1_16block_id_wrapperIjLb0EEEEEvT_jT0_jPNS9_10value_typeE ; -- Begin function _ZN7rocprim17ROCPRIM_400000_NS6detail31init_lookback_scan_state_kernelINS1_19lookback_scan_stateI15HIP_vector_typeIjLj2EELb0ELb1EEENS1_16block_id_wrapperIjLb0EEEEEvT_jT0_jPNS9_10value_typeE
	.globl	_ZN7rocprim17ROCPRIM_400000_NS6detail31init_lookback_scan_state_kernelINS1_19lookback_scan_stateI15HIP_vector_typeIjLj2EELb0ELb1EEENS1_16block_id_wrapperIjLb0EEEEEvT_jT0_jPNS9_10value_typeE
	.p2align	8
	.type	_ZN7rocprim17ROCPRIM_400000_NS6detail31init_lookback_scan_state_kernelINS1_19lookback_scan_stateI15HIP_vector_typeIjLj2EELb0ELb1EEENS1_16block_id_wrapperIjLb0EEEEEvT_jT0_jPNS9_10value_typeE,@function
_ZN7rocprim17ROCPRIM_400000_NS6detail31init_lookback_scan_state_kernelINS1_19lookback_scan_stateI15HIP_vector_typeIjLj2EELb0ELb1EEENS1_16block_id_wrapperIjLb0EEEEEvT_jT0_jPNS9_10value_typeE: ; @_ZN7rocprim17ROCPRIM_400000_NS6detail31init_lookback_scan_state_kernelINS1_19lookback_scan_stateI15HIP_vector_typeIjLj2EELb0ELb1EEENS1_16block_id_wrapperIjLb0EEEEEvT_jT0_jPNS9_10value_typeE
; %bb.0:
	s_load_dword s7, s[4:5], 0x2c
	s_load_dwordx2 s[2:3], s[4:5], 0x18
	s_load_dwordx2 s[0:1], s[4:5], 0x0
	s_load_dword s12, s[4:5], 0x8
	s_waitcnt lgkmcnt(0)
	s_and_b32 s7, s7, 0xffff
	s_mul_i32 s6, s6, s7
	s_cmp_eq_u64 s[2:3], 0
	v_add_u32_e32 v0, s6, v0
	s_cbranch_scc1 .LBB3_8
; %bb.1:
	s_load_dword s6, s[4:5], 0x10
	s_mov_b32 s7, 0
	s_waitcnt lgkmcnt(0)
	s_cmp_lt_u32 s6, s12
	s_cselect_b32 s4, s6, 0
	v_cmp_eq_u32_e32 vcc, s4, v0
	s_and_saveexec_b64 s[4:5], vcc
	s_cbranch_execz .LBB3_7
; %bb.2:
	s_add_i32 s6, s6, 64
	s_lshl_b64 s[6:7], s[6:7], 4
	s_add_u32 s10, s0, s6
	s_addc_u32 s11, s1, s7
	v_pk_mov_b32 v[2:3], s[10:11], s[10:11] op_sel:[0,1]
	;;#ASMSTART
	global_load_dwordx4 v[2:5], v[2:3] off glc	
s_waitcnt vmcnt(0)
	;;#ASMEND
	v_mov_b32_e32 v7, 0
	v_and_b32_e32 v6, 0xff, v4
	s_mov_b64 s[8:9], 0
	v_cmp_eq_u64_e32 vcc, 0, v[6:7]
	s_and_saveexec_b64 s[6:7], vcc
	s_cbranch_execz .LBB3_6
; %bb.3:
	v_pk_mov_b32 v[8:9], s[10:11], s[10:11] op_sel:[0,1]
.LBB3_4:                                ; =>This Inner Loop Header: Depth=1
	;;#ASMSTART
	global_load_dwordx4 v[2:5], v[8:9] off glc	
s_waitcnt vmcnt(0)
	;;#ASMEND
	v_and_b32_e32 v6, 0xff, v4
	v_cmp_ne_u64_e32 vcc, 0, v[6:7]
	s_or_b64 s[8:9], vcc, s[8:9]
	s_andn2_b64 exec, exec, s[8:9]
	s_cbranch_execnz .LBB3_4
; %bb.5:
	s_or_b64 exec, exec, s[8:9]
.LBB3_6:
	s_or_b64 exec, exec, s[6:7]
	v_mov_b32_e32 v1, 0
	global_store_dwordx2 v1, v[2:3], s[2:3]
.LBB3_7:
	s_or_b64 exec, exec, s[4:5]
.LBB3_8:
	v_cmp_gt_u32_e32 vcc, s12, v0
	s_and_saveexec_b64 s[2:3], vcc
	s_cbranch_execnz .LBB3_11
; %bb.9:
	s_or_b64 exec, exec, s[2:3]
	v_cmp_gt_u32_e32 vcc, 64, v0
	s_and_saveexec_b64 s[2:3], vcc
	s_cbranch_execnz .LBB3_12
.LBB3_10:
	s_endpgm
.LBB3_11:
	v_add_u32_e32 v2, 64, v0
	v_mov_b32_e32 v3, 0
	v_lshlrev_b64 v[4:5], 4, v[2:3]
	v_mov_b32_e32 v1, s1
	v_add_co_u32_e32 v6, vcc, s0, v4
	v_addc_co_u32_e32 v7, vcc, v1, v5, vcc
	v_mov_b32_e32 v2, v3
	v_mov_b32_e32 v4, v3
	v_mov_b32_e32 v5, v3
	global_store_dwordx4 v[6:7], v[2:5], off
	s_or_b64 exec, exec, s[2:3]
	v_cmp_gt_u32_e32 vcc, 64, v0
	s_and_saveexec_b64 s[2:3], vcc
	s_cbranch_execz .LBB3_10
.LBB3_12:
	v_mov_b32_e32 v1, 0
	v_lshlrev_b64 v[2:3], 4, v[0:1]
	v_mov_b32_e32 v0, s1
	v_add_co_u32_e32 v4, vcc, s0, v2
	v_addc_co_u32_e32 v5, vcc, v0, v3, vcc
	v_mov_b32_e32 v2, 0xff
	v_mov_b32_e32 v0, v1
	;; [unrolled: 1-line block ×3, first 2 shown]
	global_store_dwordx4 v[4:5], v[0:3], off
	s_endpgm
	.section	.rodata,"a",@progbits
	.p2align	6, 0x0
	.amdhsa_kernel _ZN7rocprim17ROCPRIM_400000_NS6detail31init_lookback_scan_state_kernelINS1_19lookback_scan_stateI15HIP_vector_typeIjLj2EELb0ELb1EEENS1_16block_id_wrapperIjLb0EEEEEvT_jT0_jPNS9_10value_typeE
		.amdhsa_group_segment_fixed_size 0
		.amdhsa_private_segment_fixed_size 0
		.amdhsa_kernarg_size 288
		.amdhsa_user_sgpr_count 6
		.amdhsa_user_sgpr_private_segment_buffer 1
		.amdhsa_user_sgpr_dispatch_ptr 0
		.amdhsa_user_sgpr_queue_ptr 0
		.amdhsa_user_sgpr_kernarg_segment_ptr 1
		.amdhsa_user_sgpr_dispatch_id 0
		.amdhsa_user_sgpr_flat_scratch_init 0
		.amdhsa_user_sgpr_kernarg_preload_length 0
		.amdhsa_user_sgpr_kernarg_preload_offset 0
		.amdhsa_user_sgpr_private_segment_size 0
		.amdhsa_uses_dynamic_stack 0
		.amdhsa_system_sgpr_private_segment_wavefront_offset 0
		.amdhsa_system_sgpr_workgroup_id_x 1
		.amdhsa_system_sgpr_workgroup_id_y 0
		.amdhsa_system_sgpr_workgroup_id_z 0
		.amdhsa_system_sgpr_workgroup_info 0
		.amdhsa_system_vgpr_workitem_id 0
		.amdhsa_next_free_vgpr 10
		.amdhsa_next_free_sgpr 13
		.amdhsa_accum_offset 12
		.amdhsa_reserve_vcc 1
		.amdhsa_reserve_flat_scratch 0
		.amdhsa_float_round_mode_32 0
		.amdhsa_float_round_mode_16_64 0
		.amdhsa_float_denorm_mode_32 3
		.amdhsa_float_denorm_mode_16_64 3
		.amdhsa_dx10_clamp 1
		.amdhsa_ieee_mode 1
		.amdhsa_fp16_overflow 0
		.amdhsa_tg_split 0
		.amdhsa_exception_fp_ieee_invalid_op 0
		.amdhsa_exception_fp_denorm_src 0
		.amdhsa_exception_fp_ieee_div_zero 0
		.amdhsa_exception_fp_ieee_overflow 0
		.amdhsa_exception_fp_ieee_underflow 0
		.amdhsa_exception_fp_ieee_inexact 0
		.amdhsa_exception_int_div_zero 0
	.end_amdhsa_kernel
	.section	.text._ZN7rocprim17ROCPRIM_400000_NS6detail31init_lookback_scan_state_kernelINS1_19lookback_scan_stateI15HIP_vector_typeIjLj2EELb0ELb1EEENS1_16block_id_wrapperIjLb0EEEEEvT_jT0_jPNS9_10value_typeE,"axG",@progbits,_ZN7rocprim17ROCPRIM_400000_NS6detail31init_lookback_scan_state_kernelINS1_19lookback_scan_stateI15HIP_vector_typeIjLj2EELb0ELb1EEENS1_16block_id_wrapperIjLb0EEEEEvT_jT0_jPNS9_10value_typeE,comdat
.Lfunc_end3:
	.size	_ZN7rocprim17ROCPRIM_400000_NS6detail31init_lookback_scan_state_kernelINS1_19lookback_scan_stateI15HIP_vector_typeIjLj2EELb0ELb1EEENS1_16block_id_wrapperIjLb0EEEEEvT_jT0_jPNS9_10value_typeE, .Lfunc_end3-_ZN7rocprim17ROCPRIM_400000_NS6detail31init_lookback_scan_state_kernelINS1_19lookback_scan_stateI15HIP_vector_typeIjLj2EELb0ELb1EEENS1_16block_id_wrapperIjLb0EEEEEvT_jT0_jPNS9_10value_typeE
                                        ; -- End function
	.section	.AMDGPU.csdata,"",@progbits
; Kernel info:
; codeLenInByte = 384
; NumSgprs: 17
; NumVgprs: 10
; NumAgprs: 0
; TotalNumVgprs: 10
; ScratchSize: 0
; MemoryBound: 0
; FloatMode: 240
; IeeeMode: 1
; LDSByteSize: 0 bytes/workgroup (compile time only)
; SGPRBlocks: 2
; VGPRBlocks: 1
; NumSGPRsForWavesPerEU: 17
; NumVGPRsForWavesPerEU: 10
; AccumOffset: 12
; Occupancy: 8
; WaveLimiterHint : 0
; COMPUTE_PGM_RSRC2:SCRATCH_EN: 0
; COMPUTE_PGM_RSRC2:USER_SGPR: 6
; COMPUTE_PGM_RSRC2:TRAP_HANDLER: 0
; COMPUTE_PGM_RSRC2:TGID_X_EN: 1
; COMPUTE_PGM_RSRC2:TGID_Y_EN: 0
; COMPUTE_PGM_RSRC2:TGID_Z_EN: 0
; COMPUTE_PGM_RSRC2:TIDIG_COMP_CNT: 0
; COMPUTE_PGM_RSRC3_GFX90A:ACCUM_OFFSET: 2
; COMPUTE_PGM_RSRC3_GFX90A:TG_SPLIT: 0
	.section	.text._ZN7rocprim17ROCPRIM_400000_NS6detail17trampoline_kernelINS0_13select_configILj256ELj13ELNS0_17block_load_methodE3ELS4_3ELS4_3ELNS0_20block_scan_algorithmE0ELj4294967295EEENS1_25partition_config_selectorILNS1_17partition_subalgoE4EjNS0_10empty_typeEbEEZZNS1_14partition_implILS8_4ELb0ES6_15HIP_vector_typeIjLj2EENS0_17counting_iteratorIjlEEPS9_SG_NS0_5tupleIJPjSI_NS0_16reverse_iteratorISI_EEEEENSH_IJSG_SG_SG_EEES9_SI_JZNS1_25segmented_radix_sort_implINS0_14default_configELb1EPKhPhPKlPlN2at6native12_GLOBAL__N_18offset_tEEE10hipError_tPvRmT1_PNSt15iterator_traitsIS12_E10value_typeET2_T3_PNS13_IS18_E10value_typeET4_jRbjT5_S1E_jjP12ihipStream_tbEUljE_ZNSN_ISO_Lb1ESQ_SR_ST_SU_SY_EESZ_S10_S11_S12_S16_S17_S18_S1B_S1C_jS1D_jS1E_S1E_jjS1G_bEUljE0_EEESZ_S10_S11_S18_S1C_S1E_T6_T7_T9_mT8_S1G_bDpT10_ENKUlT_T0_E_clISt17integral_constantIbLb0EES1U_EEDaS1P_S1Q_EUlS1P_E_NS1_11comp_targetILNS1_3genE0ELNS1_11target_archE4294967295ELNS1_3gpuE0ELNS1_3repE0EEENS1_30default_config_static_selectorELNS0_4arch9wavefront6targetE1EEEvS12_,"axG",@progbits,_ZN7rocprim17ROCPRIM_400000_NS6detail17trampoline_kernelINS0_13select_configILj256ELj13ELNS0_17block_load_methodE3ELS4_3ELS4_3ELNS0_20block_scan_algorithmE0ELj4294967295EEENS1_25partition_config_selectorILNS1_17partition_subalgoE4EjNS0_10empty_typeEbEEZZNS1_14partition_implILS8_4ELb0ES6_15HIP_vector_typeIjLj2EENS0_17counting_iteratorIjlEEPS9_SG_NS0_5tupleIJPjSI_NS0_16reverse_iteratorISI_EEEEENSH_IJSG_SG_SG_EEES9_SI_JZNS1_25segmented_radix_sort_implINS0_14default_configELb1EPKhPhPKlPlN2at6native12_GLOBAL__N_18offset_tEEE10hipError_tPvRmT1_PNSt15iterator_traitsIS12_E10value_typeET2_T3_PNS13_IS18_E10value_typeET4_jRbjT5_S1E_jjP12ihipStream_tbEUljE_ZNSN_ISO_Lb1ESQ_SR_ST_SU_SY_EESZ_S10_S11_S12_S16_S17_S18_S1B_S1C_jS1D_jS1E_S1E_jjS1G_bEUljE0_EEESZ_S10_S11_S18_S1C_S1E_T6_T7_T9_mT8_S1G_bDpT10_ENKUlT_T0_E_clISt17integral_constantIbLb0EES1U_EEDaS1P_S1Q_EUlS1P_E_NS1_11comp_targetILNS1_3genE0ELNS1_11target_archE4294967295ELNS1_3gpuE0ELNS1_3repE0EEENS1_30default_config_static_selectorELNS0_4arch9wavefront6targetE1EEEvS12_,comdat
	.globl	_ZN7rocprim17ROCPRIM_400000_NS6detail17trampoline_kernelINS0_13select_configILj256ELj13ELNS0_17block_load_methodE3ELS4_3ELS4_3ELNS0_20block_scan_algorithmE0ELj4294967295EEENS1_25partition_config_selectorILNS1_17partition_subalgoE4EjNS0_10empty_typeEbEEZZNS1_14partition_implILS8_4ELb0ES6_15HIP_vector_typeIjLj2EENS0_17counting_iteratorIjlEEPS9_SG_NS0_5tupleIJPjSI_NS0_16reverse_iteratorISI_EEEEENSH_IJSG_SG_SG_EEES9_SI_JZNS1_25segmented_radix_sort_implINS0_14default_configELb1EPKhPhPKlPlN2at6native12_GLOBAL__N_18offset_tEEE10hipError_tPvRmT1_PNSt15iterator_traitsIS12_E10value_typeET2_T3_PNS13_IS18_E10value_typeET4_jRbjT5_S1E_jjP12ihipStream_tbEUljE_ZNSN_ISO_Lb1ESQ_SR_ST_SU_SY_EESZ_S10_S11_S12_S16_S17_S18_S1B_S1C_jS1D_jS1E_S1E_jjS1G_bEUljE0_EEESZ_S10_S11_S18_S1C_S1E_T6_T7_T9_mT8_S1G_bDpT10_ENKUlT_T0_E_clISt17integral_constantIbLb0EES1U_EEDaS1P_S1Q_EUlS1P_E_NS1_11comp_targetILNS1_3genE0ELNS1_11target_archE4294967295ELNS1_3gpuE0ELNS1_3repE0EEENS1_30default_config_static_selectorELNS0_4arch9wavefront6targetE1EEEvS12_ ; -- Begin function _ZN7rocprim17ROCPRIM_400000_NS6detail17trampoline_kernelINS0_13select_configILj256ELj13ELNS0_17block_load_methodE3ELS4_3ELS4_3ELNS0_20block_scan_algorithmE0ELj4294967295EEENS1_25partition_config_selectorILNS1_17partition_subalgoE4EjNS0_10empty_typeEbEEZZNS1_14partition_implILS8_4ELb0ES6_15HIP_vector_typeIjLj2EENS0_17counting_iteratorIjlEEPS9_SG_NS0_5tupleIJPjSI_NS0_16reverse_iteratorISI_EEEEENSH_IJSG_SG_SG_EEES9_SI_JZNS1_25segmented_radix_sort_implINS0_14default_configELb1EPKhPhPKlPlN2at6native12_GLOBAL__N_18offset_tEEE10hipError_tPvRmT1_PNSt15iterator_traitsIS12_E10value_typeET2_T3_PNS13_IS18_E10value_typeET4_jRbjT5_S1E_jjP12ihipStream_tbEUljE_ZNSN_ISO_Lb1ESQ_SR_ST_SU_SY_EESZ_S10_S11_S12_S16_S17_S18_S1B_S1C_jS1D_jS1E_S1E_jjS1G_bEUljE0_EEESZ_S10_S11_S18_S1C_S1E_T6_T7_T9_mT8_S1G_bDpT10_ENKUlT_T0_E_clISt17integral_constantIbLb0EES1U_EEDaS1P_S1Q_EUlS1P_E_NS1_11comp_targetILNS1_3genE0ELNS1_11target_archE4294967295ELNS1_3gpuE0ELNS1_3repE0EEENS1_30default_config_static_selectorELNS0_4arch9wavefront6targetE1EEEvS12_
	.p2align	8
	.type	_ZN7rocprim17ROCPRIM_400000_NS6detail17trampoline_kernelINS0_13select_configILj256ELj13ELNS0_17block_load_methodE3ELS4_3ELS4_3ELNS0_20block_scan_algorithmE0ELj4294967295EEENS1_25partition_config_selectorILNS1_17partition_subalgoE4EjNS0_10empty_typeEbEEZZNS1_14partition_implILS8_4ELb0ES6_15HIP_vector_typeIjLj2EENS0_17counting_iteratorIjlEEPS9_SG_NS0_5tupleIJPjSI_NS0_16reverse_iteratorISI_EEEEENSH_IJSG_SG_SG_EEES9_SI_JZNS1_25segmented_radix_sort_implINS0_14default_configELb1EPKhPhPKlPlN2at6native12_GLOBAL__N_18offset_tEEE10hipError_tPvRmT1_PNSt15iterator_traitsIS12_E10value_typeET2_T3_PNS13_IS18_E10value_typeET4_jRbjT5_S1E_jjP12ihipStream_tbEUljE_ZNSN_ISO_Lb1ESQ_SR_ST_SU_SY_EESZ_S10_S11_S12_S16_S17_S18_S1B_S1C_jS1D_jS1E_S1E_jjS1G_bEUljE0_EEESZ_S10_S11_S18_S1C_S1E_T6_T7_T9_mT8_S1G_bDpT10_ENKUlT_T0_E_clISt17integral_constantIbLb0EES1U_EEDaS1P_S1Q_EUlS1P_E_NS1_11comp_targetILNS1_3genE0ELNS1_11target_archE4294967295ELNS1_3gpuE0ELNS1_3repE0EEENS1_30default_config_static_selectorELNS0_4arch9wavefront6targetE1EEEvS12_,@function
_ZN7rocprim17ROCPRIM_400000_NS6detail17trampoline_kernelINS0_13select_configILj256ELj13ELNS0_17block_load_methodE3ELS4_3ELS4_3ELNS0_20block_scan_algorithmE0ELj4294967295EEENS1_25partition_config_selectorILNS1_17partition_subalgoE4EjNS0_10empty_typeEbEEZZNS1_14partition_implILS8_4ELb0ES6_15HIP_vector_typeIjLj2EENS0_17counting_iteratorIjlEEPS9_SG_NS0_5tupleIJPjSI_NS0_16reverse_iteratorISI_EEEEENSH_IJSG_SG_SG_EEES9_SI_JZNS1_25segmented_radix_sort_implINS0_14default_configELb1EPKhPhPKlPlN2at6native12_GLOBAL__N_18offset_tEEE10hipError_tPvRmT1_PNSt15iterator_traitsIS12_E10value_typeET2_T3_PNS13_IS18_E10value_typeET4_jRbjT5_S1E_jjP12ihipStream_tbEUljE_ZNSN_ISO_Lb1ESQ_SR_ST_SU_SY_EESZ_S10_S11_S12_S16_S17_S18_S1B_S1C_jS1D_jS1E_S1E_jjS1G_bEUljE0_EEESZ_S10_S11_S18_S1C_S1E_T6_T7_T9_mT8_S1G_bDpT10_ENKUlT_T0_E_clISt17integral_constantIbLb0EES1U_EEDaS1P_S1Q_EUlS1P_E_NS1_11comp_targetILNS1_3genE0ELNS1_11target_archE4294967295ELNS1_3gpuE0ELNS1_3repE0EEENS1_30default_config_static_selectorELNS0_4arch9wavefront6targetE1EEEvS12_: ; @_ZN7rocprim17ROCPRIM_400000_NS6detail17trampoline_kernelINS0_13select_configILj256ELj13ELNS0_17block_load_methodE3ELS4_3ELS4_3ELNS0_20block_scan_algorithmE0ELj4294967295EEENS1_25partition_config_selectorILNS1_17partition_subalgoE4EjNS0_10empty_typeEbEEZZNS1_14partition_implILS8_4ELb0ES6_15HIP_vector_typeIjLj2EENS0_17counting_iteratorIjlEEPS9_SG_NS0_5tupleIJPjSI_NS0_16reverse_iteratorISI_EEEEENSH_IJSG_SG_SG_EEES9_SI_JZNS1_25segmented_radix_sort_implINS0_14default_configELb1EPKhPhPKlPlN2at6native12_GLOBAL__N_18offset_tEEE10hipError_tPvRmT1_PNSt15iterator_traitsIS12_E10value_typeET2_T3_PNS13_IS18_E10value_typeET4_jRbjT5_S1E_jjP12ihipStream_tbEUljE_ZNSN_ISO_Lb1ESQ_SR_ST_SU_SY_EESZ_S10_S11_S12_S16_S17_S18_S1B_S1C_jS1D_jS1E_S1E_jjS1G_bEUljE0_EEESZ_S10_S11_S18_S1C_S1E_T6_T7_T9_mT8_S1G_bDpT10_ENKUlT_T0_E_clISt17integral_constantIbLb0EES1U_EEDaS1P_S1Q_EUlS1P_E_NS1_11comp_targetILNS1_3genE0ELNS1_11target_archE4294967295ELNS1_3gpuE0ELNS1_3repE0EEENS1_30default_config_static_selectorELNS0_4arch9wavefront6targetE1EEEvS12_
; %bb.0:
	.section	.rodata,"a",@progbits
	.p2align	6, 0x0
	.amdhsa_kernel _ZN7rocprim17ROCPRIM_400000_NS6detail17trampoline_kernelINS0_13select_configILj256ELj13ELNS0_17block_load_methodE3ELS4_3ELS4_3ELNS0_20block_scan_algorithmE0ELj4294967295EEENS1_25partition_config_selectorILNS1_17partition_subalgoE4EjNS0_10empty_typeEbEEZZNS1_14partition_implILS8_4ELb0ES6_15HIP_vector_typeIjLj2EENS0_17counting_iteratorIjlEEPS9_SG_NS0_5tupleIJPjSI_NS0_16reverse_iteratorISI_EEEEENSH_IJSG_SG_SG_EEES9_SI_JZNS1_25segmented_radix_sort_implINS0_14default_configELb1EPKhPhPKlPlN2at6native12_GLOBAL__N_18offset_tEEE10hipError_tPvRmT1_PNSt15iterator_traitsIS12_E10value_typeET2_T3_PNS13_IS18_E10value_typeET4_jRbjT5_S1E_jjP12ihipStream_tbEUljE_ZNSN_ISO_Lb1ESQ_SR_ST_SU_SY_EESZ_S10_S11_S12_S16_S17_S18_S1B_S1C_jS1D_jS1E_S1E_jjS1G_bEUljE0_EEESZ_S10_S11_S18_S1C_S1E_T6_T7_T9_mT8_S1G_bDpT10_ENKUlT_T0_E_clISt17integral_constantIbLb0EES1U_EEDaS1P_S1Q_EUlS1P_E_NS1_11comp_targetILNS1_3genE0ELNS1_11target_archE4294967295ELNS1_3gpuE0ELNS1_3repE0EEENS1_30default_config_static_selectorELNS0_4arch9wavefront6targetE1EEEvS12_
		.amdhsa_group_segment_fixed_size 0
		.amdhsa_private_segment_fixed_size 0
		.amdhsa_kernarg_size 176
		.amdhsa_user_sgpr_count 6
		.amdhsa_user_sgpr_private_segment_buffer 1
		.amdhsa_user_sgpr_dispatch_ptr 0
		.amdhsa_user_sgpr_queue_ptr 0
		.amdhsa_user_sgpr_kernarg_segment_ptr 1
		.amdhsa_user_sgpr_dispatch_id 0
		.amdhsa_user_sgpr_flat_scratch_init 0
		.amdhsa_user_sgpr_kernarg_preload_length 0
		.amdhsa_user_sgpr_kernarg_preload_offset 0
		.amdhsa_user_sgpr_private_segment_size 0
		.amdhsa_uses_dynamic_stack 0
		.amdhsa_system_sgpr_private_segment_wavefront_offset 0
		.amdhsa_system_sgpr_workgroup_id_x 1
		.amdhsa_system_sgpr_workgroup_id_y 0
		.amdhsa_system_sgpr_workgroup_id_z 0
		.amdhsa_system_sgpr_workgroup_info 0
		.amdhsa_system_vgpr_workitem_id 0
		.amdhsa_next_free_vgpr 1
		.amdhsa_next_free_sgpr 0
		.amdhsa_accum_offset 4
		.amdhsa_reserve_vcc 0
		.amdhsa_reserve_flat_scratch 0
		.amdhsa_float_round_mode_32 0
		.amdhsa_float_round_mode_16_64 0
		.amdhsa_float_denorm_mode_32 3
		.amdhsa_float_denorm_mode_16_64 3
		.amdhsa_dx10_clamp 1
		.amdhsa_ieee_mode 1
		.amdhsa_fp16_overflow 0
		.amdhsa_tg_split 0
		.amdhsa_exception_fp_ieee_invalid_op 0
		.amdhsa_exception_fp_denorm_src 0
		.amdhsa_exception_fp_ieee_div_zero 0
		.amdhsa_exception_fp_ieee_overflow 0
		.amdhsa_exception_fp_ieee_underflow 0
		.amdhsa_exception_fp_ieee_inexact 0
		.amdhsa_exception_int_div_zero 0
	.end_amdhsa_kernel
	.section	.text._ZN7rocprim17ROCPRIM_400000_NS6detail17trampoline_kernelINS0_13select_configILj256ELj13ELNS0_17block_load_methodE3ELS4_3ELS4_3ELNS0_20block_scan_algorithmE0ELj4294967295EEENS1_25partition_config_selectorILNS1_17partition_subalgoE4EjNS0_10empty_typeEbEEZZNS1_14partition_implILS8_4ELb0ES6_15HIP_vector_typeIjLj2EENS0_17counting_iteratorIjlEEPS9_SG_NS0_5tupleIJPjSI_NS0_16reverse_iteratorISI_EEEEENSH_IJSG_SG_SG_EEES9_SI_JZNS1_25segmented_radix_sort_implINS0_14default_configELb1EPKhPhPKlPlN2at6native12_GLOBAL__N_18offset_tEEE10hipError_tPvRmT1_PNSt15iterator_traitsIS12_E10value_typeET2_T3_PNS13_IS18_E10value_typeET4_jRbjT5_S1E_jjP12ihipStream_tbEUljE_ZNSN_ISO_Lb1ESQ_SR_ST_SU_SY_EESZ_S10_S11_S12_S16_S17_S18_S1B_S1C_jS1D_jS1E_S1E_jjS1G_bEUljE0_EEESZ_S10_S11_S18_S1C_S1E_T6_T7_T9_mT8_S1G_bDpT10_ENKUlT_T0_E_clISt17integral_constantIbLb0EES1U_EEDaS1P_S1Q_EUlS1P_E_NS1_11comp_targetILNS1_3genE0ELNS1_11target_archE4294967295ELNS1_3gpuE0ELNS1_3repE0EEENS1_30default_config_static_selectorELNS0_4arch9wavefront6targetE1EEEvS12_,"axG",@progbits,_ZN7rocprim17ROCPRIM_400000_NS6detail17trampoline_kernelINS0_13select_configILj256ELj13ELNS0_17block_load_methodE3ELS4_3ELS4_3ELNS0_20block_scan_algorithmE0ELj4294967295EEENS1_25partition_config_selectorILNS1_17partition_subalgoE4EjNS0_10empty_typeEbEEZZNS1_14partition_implILS8_4ELb0ES6_15HIP_vector_typeIjLj2EENS0_17counting_iteratorIjlEEPS9_SG_NS0_5tupleIJPjSI_NS0_16reverse_iteratorISI_EEEEENSH_IJSG_SG_SG_EEES9_SI_JZNS1_25segmented_radix_sort_implINS0_14default_configELb1EPKhPhPKlPlN2at6native12_GLOBAL__N_18offset_tEEE10hipError_tPvRmT1_PNSt15iterator_traitsIS12_E10value_typeET2_T3_PNS13_IS18_E10value_typeET4_jRbjT5_S1E_jjP12ihipStream_tbEUljE_ZNSN_ISO_Lb1ESQ_SR_ST_SU_SY_EESZ_S10_S11_S12_S16_S17_S18_S1B_S1C_jS1D_jS1E_S1E_jjS1G_bEUljE0_EEESZ_S10_S11_S18_S1C_S1E_T6_T7_T9_mT8_S1G_bDpT10_ENKUlT_T0_E_clISt17integral_constantIbLb0EES1U_EEDaS1P_S1Q_EUlS1P_E_NS1_11comp_targetILNS1_3genE0ELNS1_11target_archE4294967295ELNS1_3gpuE0ELNS1_3repE0EEENS1_30default_config_static_selectorELNS0_4arch9wavefront6targetE1EEEvS12_,comdat
.Lfunc_end4:
	.size	_ZN7rocprim17ROCPRIM_400000_NS6detail17trampoline_kernelINS0_13select_configILj256ELj13ELNS0_17block_load_methodE3ELS4_3ELS4_3ELNS0_20block_scan_algorithmE0ELj4294967295EEENS1_25partition_config_selectorILNS1_17partition_subalgoE4EjNS0_10empty_typeEbEEZZNS1_14partition_implILS8_4ELb0ES6_15HIP_vector_typeIjLj2EENS0_17counting_iteratorIjlEEPS9_SG_NS0_5tupleIJPjSI_NS0_16reverse_iteratorISI_EEEEENSH_IJSG_SG_SG_EEES9_SI_JZNS1_25segmented_radix_sort_implINS0_14default_configELb1EPKhPhPKlPlN2at6native12_GLOBAL__N_18offset_tEEE10hipError_tPvRmT1_PNSt15iterator_traitsIS12_E10value_typeET2_T3_PNS13_IS18_E10value_typeET4_jRbjT5_S1E_jjP12ihipStream_tbEUljE_ZNSN_ISO_Lb1ESQ_SR_ST_SU_SY_EESZ_S10_S11_S12_S16_S17_S18_S1B_S1C_jS1D_jS1E_S1E_jjS1G_bEUljE0_EEESZ_S10_S11_S18_S1C_S1E_T6_T7_T9_mT8_S1G_bDpT10_ENKUlT_T0_E_clISt17integral_constantIbLb0EES1U_EEDaS1P_S1Q_EUlS1P_E_NS1_11comp_targetILNS1_3genE0ELNS1_11target_archE4294967295ELNS1_3gpuE0ELNS1_3repE0EEENS1_30default_config_static_selectorELNS0_4arch9wavefront6targetE1EEEvS12_, .Lfunc_end4-_ZN7rocprim17ROCPRIM_400000_NS6detail17trampoline_kernelINS0_13select_configILj256ELj13ELNS0_17block_load_methodE3ELS4_3ELS4_3ELNS0_20block_scan_algorithmE0ELj4294967295EEENS1_25partition_config_selectorILNS1_17partition_subalgoE4EjNS0_10empty_typeEbEEZZNS1_14partition_implILS8_4ELb0ES6_15HIP_vector_typeIjLj2EENS0_17counting_iteratorIjlEEPS9_SG_NS0_5tupleIJPjSI_NS0_16reverse_iteratorISI_EEEEENSH_IJSG_SG_SG_EEES9_SI_JZNS1_25segmented_radix_sort_implINS0_14default_configELb1EPKhPhPKlPlN2at6native12_GLOBAL__N_18offset_tEEE10hipError_tPvRmT1_PNSt15iterator_traitsIS12_E10value_typeET2_T3_PNS13_IS18_E10value_typeET4_jRbjT5_S1E_jjP12ihipStream_tbEUljE_ZNSN_ISO_Lb1ESQ_SR_ST_SU_SY_EESZ_S10_S11_S12_S16_S17_S18_S1B_S1C_jS1D_jS1E_S1E_jjS1G_bEUljE0_EEESZ_S10_S11_S18_S1C_S1E_T6_T7_T9_mT8_S1G_bDpT10_ENKUlT_T0_E_clISt17integral_constantIbLb0EES1U_EEDaS1P_S1Q_EUlS1P_E_NS1_11comp_targetILNS1_3genE0ELNS1_11target_archE4294967295ELNS1_3gpuE0ELNS1_3repE0EEENS1_30default_config_static_selectorELNS0_4arch9wavefront6targetE1EEEvS12_
                                        ; -- End function
	.section	.AMDGPU.csdata,"",@progbits
; Kernel info:
; codeLenInByte = 0
; NumSgprs: 4
; NumVgprs: 0
; NumAgprs: 0
; TotalNumVgprs: 0
; ScratchSize: 0
; MemoryBound: 0
; FloatMode: 240
; IeeeMode: 1
; LDSByteSize: 0 bytes/workgroup (compile time only)
; SGPRBlocks: 0
; VGPRBlocks: 0
; NumSGPRsForWavesPerEU: 4
; NumVGPRsForWavesPerEU: 1
; AccumOffset: 4
; Occupancy: 8
; WaveLimiterHint : 0
; COMPUTE_PGM_RSRC2:SCRATCH_EN: 0
; COMPUTE_PGM_RSRC2:USER_SGPR: 6
; COMPUTE_PGM_RSRC2:TRAP_HANDLER: 0
; COMPUTE_PGM_RSRC2:TGID_X_EN: 1
; COMPUTE_PGM_RSRC2:TGID_Y_EN: 0
; COMPUTE_PGM_RSRC2:TGID_Z_EN: 0
; COMPUTE_PGM_RSRC2:TIDIG_COMP_CNT: 0
; COMPUTE_PGM_RSRC3_GFX90A:ACCUM_OFFSET: 0
; COMPUTE_PGM_RSRC3_GFX90A:TG_SPLIT: 0
	.section	.text._ZN7rocprim17ROCPRIM_400000_NS6detail17trampoline_kernelINS0_13select_configILj256ELj13ELNS0_17block_load_methodE3ELS4_3ELS4_3ELNS0_20block_scan_algorithmE0ELj4294967295EEENS1_25partition_config_selectorILNS1_17partition_subalgoE4EjNS0_10empty_typeEbEEZZNS1_14partition_implILS8_4ELb0ES6_15HIP_vector_typeIjLj2EENS0_17counting_iteratorIjlEEPS9_SG_NS0_5tupleIJPjSI_NS0_16reverse_iteratorISI_EEEEENSH_IJSG_SG_SG_EEES9_SI_JZNS1_25segmented_radix_sort_implINS0_14default_configELb1EPKhPhPKlPlN2at6native12_GLOBAL__N_18offset_tEEE10hipError_tPvRmT1_PNSt15iterator_traitsIS12_E10value_typeET2_T3_PNS13_IS18_E10value_typeET4_jRbjT5_S1E_jjP12ihipStream_tbEUljE_ZNSN_ISO_Lb1ESQ_SR_ST_SU_SY_EESZ_S10_S11_S12_S16_S17_S18_S1B_S1C_jS1D_jS1E_S1E_jjS1G_bEUljE0_EEESZ_S10_S11_S18_S1C_S1E_T6_T7_T9_mT8_S1G_bDpT10_ENKUlT_T0_E_clISt17integral_constantIbLb0EES1U_EEDaS1P_S1Q_EUlS1P_E_NS1_11comp_targetILNS1_3genE5ELNS1_11target_archE942ELNS1_3gpuE9ELNS1_3repE0EEENS1_30default_config_static_selectorELNS0_4arch9wavefront6targetE1EEEvS12_,"axG",@progbits,_ZN7rocprim17ROCPRIM_400000_NS6detail17trampoline_kernelINS0_13select_configILj256ELj13ELNS0_17block_load_methodE3ELS4_3ELS4_3ELNS0_20block_scan_algorithmE0ELj4294967295EEENS1_25partition_config_selectorILNS1_17partition_subalgoE4EjNS0_10empty_typeEbEEZZNS1_14partition_implILS8_4ELb0ES6_15HIP_vector_typeIjLj2EENS0_17counting_iteratorIjlEEPS9_SG_NS0_5tupleIJPjSI_NS0_16reverse_iteratorISI_EEEEENSH_IJSG_SG_SG_EEES9_SI_JZNS1_25segmented_radix_sort_implINS0_14default_configELb1EPKhPhPKlPlN2at6native12_GLOBAL__N_18offset_tEEE10hipError_tPvRmT1_PNSt15iterator_traitsIS12_E10value_typeET2_T3_PNS13_IS18_E10value_typeET4_jRbjT5_S1E_jjP12ihipStream_tbEUljE_ZNSN_ISO_Lb1ESQ_SR_ST_SU_SY_EESZ_S10_S11_S12_S16_S17_S18_S1B_S1C_jS1D_jS1E_S1E_jjS1G_bEUljE0_EEESZ_S10_S11_S18_S1C_S1E_T6_T7_T9_mT8_S1G_bDpT10_ENKUlT_T0_E_clISt17integral_constantIbLb0EES1U_EEDaS1P_S1Q_EUlS1P_E_NS1_11comp_targetILNS1_3genE5ELNS1_11target_archE942ELNS1_3gpuE9ELNS1_3repE0EEENS1_30default_config_static_selectorELNS0_4arch9wavefront6targetE1EEEvS12_,comdat
	.globl	_ZN7rocprim17ROCPRIM_400000_NS6detail17trampoline_kernelINS0_13select_configILj256ELj13ELNS0_17block_load_methodE3ELS4_3ELS4_3ELNS0_20block_scan_algorithmE0ELj4294967295EEENS1_25partition_config_selectorILNS1_17partition_subalgoE4EjNS0_10empty_typeEbEEZZNS1_14partition_implILS8_4ELb0ES6_15HIP_vector_typeIjLj2EENS0_17counting_iteratorIjlEEPS9_SG_NS0_5tupleIJPjSI_NS0_16reverse_iteratorISI_EEEEENSH_IJSG_SG_SG_EEES9_SI_JZNS1_25segmented_radix_sort_implINS0_14default_configELb1EPKhPhPKlPlN2at6native12_GLOBAL__N_18offset_tEEE10hipError_tPvRmT1_PNSt15iterator_traitsIS12_E10value_typeET2_T3_PNS13_IS18_E10value_typeET4_jRbjT5_S1E_jjP12ihipStream_tbEUljE_ZNSN_ISO_Lb1ESQ_SR_ST_SU_SY_EESZ_S10_S11_S12_S16_S17_S18_S1B_S1C_jS1D_jS1E_S1E_jjS1G_bEUljE0_EEESZ_S10_S11_S18_S1C_S1E_T6_T7_T9_mT8_S1G_bDpT10_ENKUlT_T0_E_clISt17integral_constantIbLb0EES1U_EEDaS1P_S1Q_EUlS1P_E_NS1_11comp_targetILNS1_3genE5ELNS1_11target_archE942ELNS1_3gpuE9ELNS1_3repE0EEENS1_30default_config_static_selectorELNS0_4arch9wavefront6targetE1EEEvS12_ ; -- Begin function _ZN7rocprim17ROCPRIM_400000_NS6detail17trampoline_kernelINS0_13select_configILj256ELj13ELNS0_17block_load_methodE3ELS4_3ELS4_3ELNS0_20block_scan_algorithmE0ELj4294967295EEENS1_25partition_config_selectorILNS1_17partition_subalgoE4EjNS0_10empty_typeEbEEZZNS1_14partition_implILS8_4ELb0ES6_15HIP_vector_typeIjLj2EENS0_17counting_iteratorIjlEEPS9_SG_NS0_5tupleIJPjSI_NS0_16reverse_iteratorISI_EEEEENSH_IJSG_SG_SG_EEES9_SI_JZNS1_25segmented_radix_sort_implINS0_14default_configELb1EPKhPhPKlPlN2at6native12_GLOBAL__N_18offset_tEEE10hipError_tPvRmT1_PNSt15iterator_traitsIS12_E10value_typeET2_T3_PNS13_IS18_E10value_typeET4_jRbjT5_S1E_jjP12ihipStream_tbEUljE_ZNSN_ISO_Lb1ESQ_SR_ST_SU_SY_EESZ_S10_S11_S12_S16_S17_S18_S1B_S1C_jS1D_jS1E_S1E_jjS1G_bEUljE0_EEESZ_S10_S11_S18_S1C_S1E_T6_T7_T9_mT8_S1G_bDpT10_ENKUlT_T0_E_clISt17integral_constantIbLb0EES1U_EEDaS1P_S1Q_EUlS1P_E_NS1_11comp_targetILNS1_3genE5ELNS1_11target_archE942ELNS1_3gpuE9ELNS1_3repE0EEENS1_30default_config_static_selectorELNS0_4arch9wavefront6targetE1EEEvS12_
	.p2align	8
	.type	_ZN7rocprim17ROCPRIM_400000_NS6detail17trampoline_kernelINS0_13select_configILj256ELj13ELNS0_17block_load_methodE3ELS4_3ELS4_3ELNS0_20block_scan_algorithmE0ELj4294967295EEENS1_25partition_config_selectorILNS1_17partition_subalgoE4EjNS0_10empty_typeEbEEZZNS1_14partition_implILS8_4ELb0ES6_15HIP_vector_typeIjLj2EENS0_17counting_iteratorIjlEEPS9_SG_NS0_5tupleIJPjSI_NS0_16reverse_iteratorISI_EEEEENSH_IJSG_SG_SG_EEES9_SI_JZNS1_25segmented_radix_sort_implINS0_14default_configELb1EPKhPhPKlPlN2at6native12_GLOBAL__N_18offset_tEEE10hipError_tPvRmT1_PNSt15iterator_traitsIS12_E10value_typeET2_T3_PNS13_IS18_E10value_typeET4_jRbjT5_S1E_jjP12ihipStream_tbEUljE_ZNSN_ISO_Lb1ESQ_SR_ST_SU_SY_EESZ_S10_S11_S12_S16_S17_S18_S1B_S1C_jS1D_jS1E_S1E_jjS1G_bEUljE0_EEESZ_S10_S11_S18_S1C_S1E_T6_T7_T9_mT8_S1G_bDpT10_ENKUlT_T0_E_clISt17integral_constantIbLb0EES1U_EEDaS1P_S1Q_EUlS1P_E_NS1_11comp_targetILNS1_3genE5ELNS1_11target_archE942ELNS1_3gpuE9ELNS1_3repE0EEENS1_30default_config_static_selectorELNS0_4arch9wavefront6targetE1EEEvS12_,@function
_ZN7rocprim17ROCPRIM_400000_NS6detail17trampoline_kernelINS0_13select_configILj256ELj13ELNS0_17block_load_methodE3ELS4_3ELS4_3ELNS0_20block_scan_algorithmE0ELj4294967295EEENS1_25partition_config_selectorILNS1_17partition_subalgoE4EjNS0_10empty_typeEbEEZZNS1_14partition_implILS8_4ELb0ES6_15HIP_vector_typeIjLj2EENS0_17counting_iteratorIjlEEPS9_SG_NS0_5tupleIJPjSI_NS0_16reverse_iteratorISI_EEEEENSH_IJSG_SG_SG_EEES9_SI_JZNS1_25segmented_radix_sort_implINS0_14default_configELb1EPKhPhPKlPlN2at6native12_GLOBAL__N_18offset_tEEE10hipError_tPvRmT1_PNSt15iterator_traitsIS12_E10value_typeET2_T3_PNS13_IS18_E10value_typeET4_jRbjT5_S1E_jjP12ihipStream_tbEUljE_ZNSN_ISO_Lb1ESQ_SR_ST_SU_SY_EESZ_S10_S11_S12_S16_S17_S18_S1B_S1C_jS1D_jS1E_S1E_jjS1G_bEUljE0_EEESZ_S10_S11_S18_S1C_S1E_T6_T7_T9_mT8_S1G_bDpT10_ENKUlT_T0_E_clISt17integral_constantIbLb0EES1U_EEDaS1P_S1Q_EUlS1P_E_NS1_11comp_targetILNS1_3genE5ELNS1_11target_archE942ELNS1_3gpuE9ELNS1_3repE0EEENS1_30default_config_static_selectorELNS0_4arch9wavefront6targetE1EEEvS12_: ; @_ZN7rocprim17ROCPRIM_400000_NS6detail17trampoline_kernelINS0_13select_configILj256ELj13ELNS0_17block_load_methodE3ELS4_3ELS4_3ELNS0_20block_scan_algorithmE0ELj4294967295EEENS1_25partition_config_selectorILNS1_17partition_subalgoE4EjNS0_10empty_typeEbEEZZNS1_14partition_implILS8_4ELb0ES6_15HIP_vector_typeIjLj2EENS0_17counting_iteratorIjlEEPS9_SG_NS0_5tupleIJPjSI_NS0_16reverse_iteratorISI_EEEEENSH_IJSG_SG_SG_EEES9_SI_JZNS1_25segmented_radix_sort_implINS0_14default_configELb1EPKhPhPKlPlN2at6native12_GLOBAL__N_18offset_tEEE10hipError_tPvRmT1_PNSt15iterator_traitsIS12_E10value_typeET2_T3_PNS13_IS18_E10value_typeET4_jRbjT5_S1E_jjP12ihipStream_tbEUljE_ZNSN_ISO_Lb1ESQ_SR_ST_SU_SY_EESZ_S10_S11_S12_S16_S17_S18_S1B_S1C_jS1D_jS1E_S1E_jjS1G_bEUljE0_EEESZ_S10_S11_S18_S1C_S1E_T6_T7_T9_mT8_S1G_bDpT10_ENKUlT_T0_E_clISt17integral_constantIbLb0EES1U_EEDaS1P_S1Q_EUlS1P_E_NS1_11comp_targetILNS1_3genE5ELNS1_11target_archE942ELNS1_3gpuE9ELNS1_3repE0EEENS1_30default_config_static_selectorELNS0_4arch9wavefront6targetE1EEEvS12_
; %bb.0:
	.section	.rodata,"a",@progbits
	.p2align	6, 0x0
	.amdhsa_kernel _ZN7rocprim17ROCPRIM_400000_NS6detail17trampoline_kernelINS0_13select_configILj256ELj13ELNS0_17block_load_methodE3ELS4_3ELS4_3ELNS0_20block_scan_algorithmE0ELj4294967295EEENS1_25partition_config_selectorILNS1_17partition_subalgoE4EjNS0_10empty_typeEbEEZZNS1_14partition_implILS8_4ELb0ES6_15HIP_vector_typeIjLj2EENS0_17counting_iteratorIjlEEPS9_SG_NS0_5tupleIJPjSI_NS0_16reverse_iteratorISI_EEEEENSH_IJSG_SG_SG_EEES9_SI_JZNS1_25segmented_radix_sort_implINS0_14default_configELb1EPKhPhPKlPlN2at6native12_GLOBAL__N_18offset_tEEE10hipError_tPvRmT1_PNSt15iterator_traitsIS12_E10value_typeET2_T3_PNS13_IS18_E10value_typeET4_jRbjT5_S1E_jjP12ihipStream_tbEUljE_ZNSN_ISO_Lb1ESQ_SR_ST_SU_SY_EESZ_S10_S11_S12_S16_S17_S18_S1B_S1C_jS1D_jS1E_S1E_jjS1G_bEUljE0_EEESZ_S10_S11_S18_S1C_S1E_T6_T7_T9_mT8_S1G_bDpT10_ENKUlT_T0_E_clISt17integral_constantIbLb0EES1U_EEDaS1P_S1Q_EUlS1P_E_NS1_11comp_targetILNS1_3genE5ELNS1_11target_archE942ELNS1_3gpuE9ELNS1_3repE0EEENS1_30default_config_static_selectorELNS0_4arch9wavefront6targetE1EEEvS12_
		.amdhsa_group_segment_fixed_size 0
		.amdhsa_private_segment_fixed_size 0
		.amdhsa_kernarg_size 176
		.amdhsa_user_sgpr_count 6
		.amdhsa_user_sgpr_private_segment_buffer 1
		.amdhsa_user_sgpr_dispatch_ptr 0
		.amdhsa_user_sgpr_queue_ptr 0
		.amdhsa_user_sgpr_kernarg_segment_ptr 1
		.amdhsa_user_sgpr_dispatch_id 0
		.amdhsa_user_sgpr_flat_scratch_init 0
		.amdhsa_user_sgpr_kernarg_preload_length 0
		.amdhsa_user_sgpr_kernarg_preload_offset 0
		.amdhsa_user_sgpr_private_segment_size 0
		.amdhsa_uses_dynamic_stack 0
		.amdhsa_system_sgpr_private_segment_wavefront_offset 0
		.amdhsa_system_sgpr_workgroup_id_x 1
		.amdhsa_system_sgpr_workgroup_id_y 0
		.amdhsa_system_sgpr_workgroup_id_z 0
		.amdhsa_system_sgpr_workgroup_info 0
		.amdhsa_system_vgpr_workitem_id 0
		.amdhsa_next_free_vgpr 1
		.amdhsa_next_free_sgpr 0
		.amdhsa_accum_offset 4
		.amdhsa_reserve_vcc 0
		.amdhsa_reserve_flat_scratch 0
		.amdhsa_float_round_mode_32 0
		.amdhsa_float_round_mode_16_64 0
		.amdhsa_float_denorm_mode_32 3
		.amdhsa_float_denorm_mode_16_64 3
		.amdhsa_dx10_clamp 1
		.amdhsa_ieee_mode 1
		.amdhsa_fp16_overflow 0
		.amdhsa_tg_split 0
		.amdhsa_exception_fp_ieee_invalid_op 0
		.amdhsa_exception_fp_denorm_src 0
		.amdhsa_exception_fp_ieee_div_zero 0
		.amdhsa_exception_fp_ieee_overflow 0
		.amdhsa_exception_fp_ieee_underflow 0
		.amdhsa_exception_fp_ieee_inexact 0
		.amdhsa_exception_int_div_zero 0
	.end_amdhsa_kernel
	.section	.text._ZN7rocprim17ROCPRIM_400000_NS6detail17trampoline_kernelINS0_13select_configILj256ELj13ELNS0_17block_load_methodE3ELS4_3ELS4_3ELNS0_20block_scan_algorithmE0ELj4294967295EEENS1_25partition_config_selectorILNS1_17partition_subalgoE4EjNS0_10empty_typeEbEEZZNS1_14partition_implILS8_4ELb0ES6_15HIP_vector_typeIjLj2EENS0_17counting_iteratorIjlEEPS9_SG_NS0_5tupleIJPjSI_NS0_16reverse_iteratorISI_EEEEENSH_IJSG_SG_SG_EEES9_SI_JZNS1_25segmented_radix_sort_implINS0_14default_configELb1EPKhPhPKlPlN2at6native12_GLOBAL__N_18offset_tEEE10hipError_tPvRmT1_PNSt15iterator_traitsIS12_E10value_typeET2_T3_PNS13_IS18_E10value_typeET4_jRbjT5_S1E_jjP12ihipStream_tbEUljE_ZNSN_ISO_Lb1ESQ_SR_ST_SU_SY_EESZ_S10_S11_S12_S16_S17_S18_S1B_S1C_jS1D_jS1E_S1E_jjS1G_bEUljE0_EEESZ_S10_S11_S18_S1C_S1E_T6_T7_T9_mT8_S1G_bDpT10_ENKUlT_T0_E_clISt17integral_constantIbLb0EES1U_EEDaS1P_S1Q_EUlS1P_E_NS1_11comp_targetILNS1_3genE5ELNS1_11target_archE942ELNS1_3gpuE9ELNS1_3repE0EEENS1_30default_config_static_selectorELNS0_4arch9wavefront6targetE1EEEvS12_,"axG",@progbits,_ZN7rocprim17ROCPRIM_400000_NS6detail17trampoline_kernelINS0_13select_configILj256ELj13ELNS0_17block_load_methodE3ELS4_3ELS4_3ELNS0_20block_scan_algorithmE0ELj4294967295EEENS1_25partition_config_selectorILNS1_17partition_subalgoE4EjNS0_10empty_typeEbEEZZNS1_14partition_implILS8_4ELb0ES6_15HIP_vector_typeIjLj2EENS0_17counting_iteratorIjlEEPS9_SG_NS0_5tupleIJPjSI_NS0_16reverse_iteratorISI_EEEEENSH_IJSG_SG_SG_EEES9_SI_JZNS1_25segmented_radix_sort_implINS0_14default_configELb1EPKhPhPKlPlN2at6native12_GLOBAL__N_18offset_tEEE10hipError_tPvRmT1_PNSt15iterator_traitsIS12_E10value_typeET2_T3_PNS13_IS18_E10value_typeET4_jRbjT5_S1E_jjP12ihipStream_tbEUljE_ZNSN_ISO_Lb1ESQ_SR_ST_SU_SY_EESZ_S10_S11_S12_S16_S17_S18_S1B_S1C_jS1D_jS1E_S1E_jjS1G_bEUljE0_EEESZ_S10_S11_S18_S1C_S1E_T6_T7_T9_mT8_S1G_bDpT10_ENKUlT_T0_E_clISt17integral_constantIbLb0EES1U_EEDaS1P_S1Q_EUlS1P_E_NS1_11comp_targetILNS1_3genE5ELNS1_11target_archE942ELNS1_3gpuE9ELNS1_3repE0EEENS1_30default_config_static_selectorELNS0_4arch9wavefront6targetE1EEEvS12_,comdat
.Lfunc_end5:
	.size	_ZN7rocprim17ROCPRIM_400000_NS6detail17trampoline_kernelINS0_13select_configILj256ELj13ELNS0_17block_load_methodE3ELS4_3ELS4_3ELNS0_20block_scan_algorithmE0ELj4294967295EEENS1_25partition_config_selectorILNS1_17partition_subalgoE4EjNS0_10empty_typeEbEEZZNS1_14partition_implILS8_4ELb0ES6_15HIP_vector_typeIjLj2EENS0_17counting_iteratorIjlEEPS9_SG_NS0_5tupleIJPjSI_NS0_16reverse_iteratorISI_EEEEENSH_IJSG_SG_SG_EEES9_SI_JZNS1_25segmented_radix_sort_implINS0_14default_configELb1EPKhPhPKlPlN2at6native12_GLOBAL__N_18offset_tEEE10hipError_tPvRmT1_PNSt15iterator_traitsIS12_E10value_typeET2_T3_PNS13_IS18_E10value_typeET4_jRbjT5_S1E_jjP12ihipStream_tbEUljE_ZNSN_ISO_Lb1ESQ_SR_ST_SU_SY_EESZ_S10_S11_S12_S16_S17_S18_S1B_S1C_jS1D_jS1E_S1E_jjS1G_bEUljE0_EEESZ_S10_S11_S18_S1C_S1E_T6_T7_T9_mT8_S1G_bDpT10_ENKUlT_T0_E_clISt17integral_constantIbLb0EES1U_EEDaS1P_S1Q_EUlS1P_E_NS1_11comp_targetILNS1_3genE5ELNS1_11target_archE942ELNS1_3gpuE9ELNS1_3repE0EEENS1_30default_config_static_selectorELNS0_4arch9wavefront6targetE1EEEvS12_, .Lfunc_end5-_ZN7rocprim17ROCPRIM_400000_NS6detail17trampoline_kernelINS0_13select_configILj256ELj13ELNS0_17block_load_methodE3ELS4_3ELS4_3ELNS0_20block_scan_algorithmE0ELj4294967295EEENS1_25partition_config_selectorILNS1_17partition_subalgoE4EjNS0_10empty_typeEbEEZZNS1_14partition_implILS8_4ELb0ES6_15HIP_vector_typeIjLj2EENS0_17counting_iteratorIjlEEPS9_SG_NS0_5tupleIJPjSI_NS0_16reverse_iteratorISI_EEEEENSH_IJSG_SG_SG_EEES9_SI_JZNS1_25segmented_radix_sort_implINS0_14default_configELb1EPKhPhPKlPlN2at6native12_GLOBAL__N_18offset_tEEE10hipError_tPvRmT1_PNSt15iterator_traitsIS12_E10value_typeET2_T3_PNS13_IS18_E10value_typeET4_jRbjT5_S1E_jjP12ihipStream_tbEUljE_ZNSN_ISO_Lb1ESQ_SR_ST_SU_SY_EESZ_S10_S11_S12_S16_S17_S18_S1B_S1C_jS1D_jS1E_S1E_jjS1G_bEUljE0_EEESZ_S10_S11_S18_S1C_S1E_T6_T7_T9_mT8_S1G_bDpT10_ENKUlT_T0_E_clISt17integral_constantIbLb0EES1U_EEDaS1P_S1Q_EUlS1P_E_NS1_11comp_targetILNS1_3genE5ELNS1_11target_archE942ELNS1_3gpuE9ELNS1_3repE0EEENS1_30default_config_static_selectorELNS0_4arch9wavefront6targetE1EEEvS12_
                                        ; -- End function
	.section	.AMDGPU.csdata,"",@progbits
; Kernel info:
; codeLenInByte = 0
; NumSgprs: 4
; NumVgprs: 0
; NumAgprs: 0
; TotalNumVgprs: 0
; ScratchSize: 0
; MemoryBound: 0
; FloatMode: 240
; IeeeMode: 1
; LDSByteSize: 0 bytes/workgroup (compile time only)
; SGPRBlocks: 0
; VGPRBlocks: 0
; NumSGPRsForWavesPerEU: 4
; NumVGPRsForWavesPerEU: 1
; AccumOffset: 4
; Occupancy: 8
; WaveLimiterHint : 0
; COMPUTE_PGM_RSRC2:SCRATCH_EN: 0
; COMPUTE_PGM_RSRC2:USER_SGPR: 6
; COMPUTE_PGM_RSRC2:TRAP_HANDLER: 0
; COMPUTE_PGM_RSRC2:TGID_X_EN: 1
; COMPUTE_PGM_RSRC2:TGID_Y_EN: 0
; COMPUTE_PGM_RSRC2:TGID_Z_EN: 0
; COMPUTE_PGM_RSRC2:TIDIG_COMP_CNT: 0
; COMPUTE_PGM_RSRC3_GFX90A:ACCUM_OFFSET: 0
; COMPUTE_PGM_RSRC3_GFX90A:TG_SPLIT: 0
	.section	.text._ZN7rocprim17ROCPRIM_400000_NS6detail17trampoline_kernelINS0_13select_configILj256ELj13ELNS0_17block_load_methodE3ELS4_3ELS4_3ELNS0_20block_scan_algorithmE0ELj4294967295EEENS1_25partition_config_selectorILNS1_17partition_subalgoE4EjNS0_10empty_typeEbEEZZNS1_14partition_implILS8_4ELb0ES6_15HIP_vector_typeIjLj2EENS0_17counting_iteratorIjlEEPS9_SG_NS0_5tupleIJPjSI_NS0_16reverse_iteratorISI_EEEEENSH_IJSG_SG_SG_EEES9_SI_JZNS1_25segmented_radix_sort_implINS0_14default_configELb1EPKhPhPKlPlN2at6native12_GLOBAL__N_18offset_tEEE10hipError_tPvRmT1_PNSt15iterator_traitsIS12_E10value_typeET2_T3_PNS13_IS18_E10value_typeET4_jRbjT5_S1E_jjP12ihipStream_tbEUljE_ZNSN_ISO_Lb1ESQ_SR_ST_SU_SY_EESZ_S10_S11_S12_S16_S17_S18_S1B_S1C_jS1D_jS1E_S1E_jjS1G_bEUljE0_EEESZ_S10_S11_S18_S1C_S1E_T6_T7_T9_mT8_S1G_bDpT10_ENKUlT_T0_E_clISt17integral_constantIbLb0EES1U_EEDaS1P_S1Q_EUlS1P_E_NS1_11comp_targetILNS1_3genE4ELNS1_11target_archE910ELNS1_3gpuE8ELNS1_3repE0EEENS1_30default_config_static_selectorELNS0_4arch9wavefront6targetE1EEEvS12_,"axG",@progbits,_ZN7rocprim17ROCPRIM_400000_NS6detail17trampoline_kernelINS0_13select_configILj256ELj13ELNS0_17block_load_methodE3ELS4_3ELS4_3ELNS0_20block_scan_algorithmE0ELj4294967295EEENS1_25partition_config_selectorILNS1_17partition_subalgoE4EjNS0_10empty_typeEbEEZZNS1_14partition_implILS8_4ELb0ES6_15HIP_vector_typeIjLj2EENS0_17counting_iteratorIjlEEPS9_SG_NS0_5tupleIJPjSI_NS0_16reverse_iteratorISI_EEEEENSH_IJSG_SG_SG_EEES9_SI_JZNS1_25segmented_radix_sort_implINS0_14default_configELb1EPKhPhPKlPlN2at6native12_GLOBAL__N_18offset_tEEE10hipError_tPvRmT1_PNSt15iterator_traitsIS12_E10value_typeET2_T3_PNS13_IS18_E10value_typeET4_jRbjT5_S1E_jjP12ihipStream_tbEUljE_ZNSN_ISO_Lb1ESQ_SR_ST_SU_SY_EESZ_S10_S11_S12_S16_S17_S18_S1B_S1C_jS1D_jS1E_S1E_jjS1G_bEUljE0_EEESZ_S10_S11_S18_S1C_S1E_T6_T7_T9_mT8_S1G_bDpT10_ENKUlT_T0_E_clISt17integral_constantIbLb0EES1U_EEDaS1P_S1Q_EUlS1P_E_NS1_11comp_targetILNS1_3genE4ELNS1_11target_archE910ELNS1_3gpuE8ELNS1_3repE0EEENS1_30default_config_static_selectorELNS0_4arch9wavefront6targetE1EEEvS12_,comdat
	.globl	_ZN7rocprim17ROCPRIM_400000_NS6detail17trampoline_kernelINS0_13select_configILj256ELj13ELNS0_17block_load_methodE3ELS4_3ELS4_3ELNS0_20block_scan_algorithmE0ELj4294967295EEENS1_25partition_config_selectorILNS1_17partition_subalgoE4EjNS0_10empty_typeEbEEZZNS1_14partition_implILS8_4ELb0ES6_15HIP_vector_typeIjLj2EENS0_17counting_iteratorIjlEEPS9_SG_NS0_5tupleIJPjSI_NS0_16reverse_iteratorISI_EEEEENSH_IJSG_SG_SG_EEES9_SI_JZNS1_25segmented_radix_sort_implINS0_14default_configELb1EPKhPhPKlPlN2at6native12_GLOBAL__N_18offset_tEEE10hipError_tPvRmT1_PNSt15iterator_traitsIS12_E10value_typeET2_T3_PNS13_IS18_E10value_typeET4_jRbjT5_S1E_jjP12ihipStream_tbEUljE_ZNSN_ISO_Lb1ESQ_SR_ST_SU_SY_EESZ_S10_S11_S12_S16_S17_S18_S1B_S1C_jS1D_jS1E_S1E_jjS1G_bEUljE0_EEESZ_S10_S11_S18_S1C_S1E_T6_T7_T9_mT8_S1G_bDpT10_ENKUlT_T0_E_clISt17integral_constantIbLb0EES1U_EEDaS1P_S1Q_EUlS1P_E_NS1_11comp_targetILNS1_3genE4ELNS1_11target_archE910ELNS1_3gpuE8ELNS1_3repE0EEENS1_30default_config_static_selectorELNS0_4arch9wavefront6targetE1EEEvS12_ ; -- Begin function _ZN7rocprim17ROCPRIM_400000_NS6detail17trampoline_kernelINS0_13select_configILj256ELj13ELNS0_17block_load_methodE3ELS4_3ELS4_3ELNS0_20block_scan_algorithmE0ELj4294967295EEENS1_25partition_config_selectorILNS1_17partition_subalgoE4EjNS0_10empty_typeEbEEZZNS1_14partition_implILS8_4ELb0ES6_15HIP_vector_typeIjLj2EENS0_17counting_iteratorIjlEEPS9_SG_NS0_5tupleIJPjSI_NS0_16reverse_iteratorISI_EEEEENSH_IJSG_SG_SG_EEES9_SI_JZNS1_25segmented_radix_sort_implINS0_14default_configELb1EPKhPhPKlPlN2at6native12_GLOBAL__N_18offset_tEEE10hipError_tPvRmT1_PNSt15iterator_traitsIS12_E10value_typeET2_T3_PNS13_IS18_E10value_typeET4_jRbjT5_S1E_jjP12ihipStream_tbEUljE_ZNSN_ISO_Lb1ESQ_SR_ST_SU_SY_EESZ_S10_S11_S12_S16_S17_S18_S1B_S1C_jS1D_jS1E_S1E_jjS1G_bEUljE0_EEESZ_S10_S11_S18_S1C_S1E_T6_T7_T9_mT8_S1G_bDpT10_ENKUlT_T0_E_clISt17integral_constantIbLb0EES1U_EEDaS1P_S1Q_EUlS1P_E_NS1_11comp_targetILNS1_3genE4ELNS1_11target_archE910ELNS1_3gpuE8ELNS1_3repE0EEENS1_30default_config_static_selectorELNS0_4arch9wavefront6targetE1EEEvS12_
	.p2align	8
	.type	_ZN7rocprim17ROCPRIM_400000_NS6detail17trampoline_kernelINS0_13select_configILj256ELj13ELNS0_17block_load_methodE3ELS4_3ELS4_3ELNS0_20block_scan_algorithmE0ELj4294967295EEENS1_25partition_config_selectorILNS1_17partition_subalgoE4EjNS0_10empty_typeEbEEZZNS1_14partition_implILS8_4ELb0ES6_15HIP_vector_typeIjLj2EENS0_17counting_iteratorIjlEEPS9_SG_NS0_5tupleIJPjSI_NS0_16reverse_iteratorISI_EEEEENSH_IJSG_SG_SG_EEES9_SI_JZNS1_25segmented_radix_sort_implINS0_14default_configELb1EPKhPhPKlPlN2at6native12_GLOBAL__N_18offset_tEEE10hipError_tPvRmT1_PNSt15iterator_traitsIS12_E10value_typeET2_T3_PNS13_IS18_E10value_typeET4_jRbjT5_S1E_jjP12ihipStream_tbEUljE_ZNSN_ISO_Lb1ESQ_SR_ST_SU_SY_EESZ_S10_S11_S12_S16_S17_S18_S1B_S1C_jS1D_jS1E_S1E_jjS1G_bEUljE0_EEESZ_S10_S11_S18_S1C_S1E_T6_T7_T9_mT8_S1G_bDpT10_ENKUlT_T0_E_clISt17integral_constantIbLb0EES1U_EEDaS1P_S1Q_EUlS1P_E_NS1_11comp_targetILNS1_3genE4ELNS1_11target_archE910ELNS1_3gpuE8ELNS1_3repE0EEENS1_30default_config_static_selectorELNS0_4arch9wavefront6targetE1EEEvS12_,@function
_ZN7rocprim17ROCPRIM_400000_NS6detail17trampoline_kernelINS0_13select_configILj256ELj13ELNS0_17block_load_methodE3ELS4_3ELS4_3ELNS0_20block_scan_algorithmE0ELj4294967295EEENS1_25partition_config_selectorILNS1_17partition_subalgoE4EjNS0_10empty_typeEbEEZZNS1_14partition_implILS8_4ELb0ES6_15HIP_vector_typeIjLj2EENS0_17counting_iteratorIjlEEPS9_SG_NS0_5tupleIJPjSI_NS0_16reverse_iteratorISI_EEEEENSH_IJSG_SG_SG_EEES9_SI_JZNS1_25segmented_radix_sort_implINS0_14default_configELb1EPKhPhPKlPlN2at6native12_GLOBAL__N_18offset_tEEE10hipError_tPvRmT1_PNSt15iterator_traitsIS12_E10value_typeET2_T3_PNS13_IS18_E10value_typeET4_jRbjT5_S1E_jjP12ihipStream_tbEUljE_ZNSN_ISO_Lb1ESQ_SR_ST_SU_SY_EESZ_S10_S11_S12_S16_S17_S18_S1B_S1C_jS1D_jS1E_S1E_jjS1G_bEUljE0_EEESZ_S10_S11_S18_S1C_S1E_T6_T7_T9_mT8_S1G_bDpT10_ENKUlT_T0_E_clISt17integral_constantIbLb0EES1U_EEDaS1P_S1Q_EUlS1P_E_NS1_11comp_targetILNS1_3genE4ELNS1_11target_archE910ELNS1_3gpuE8ELNS1_3repE0EEENS1_30default_config_static_selectorELNS0_4arch9wavefront6targetE1EEEvS12_: ; @_ZN7rocprim17ROCPRIM_400000_NS6detail17trampoline_kernelINS0_13select_configILj256ELj13ELNS0_17block_load_methodE3ELS4_3ELS4_3ELNS0_20block_scan_algorithmE0ELj4294967295EEENS1_25partition_config_selectorILNS1_17partition_subalgoE4EjNS0_10empty_typeEbEEZZNS1_14partition_implILS8_4ELb0ES6_15HIP_vector_typeIjLj2EENS0_17counting_iteratorIjlEEPS9_SG_NS0_5tupleIJPjSI_NS0_16reverse_iteratorISI_EEEEENSH_IJSG_SG_SG_EEES9_SI_JZNS1_25segmented_radix_sort_implINS0_14default_configELb1EPKhPhPKlPlN2at6native12_GLOBAL__N_18offset_tEEE10hipError_tPvRmT1_PNSt15iterator_traitsIS12_E10value_typeET2_T3_PNS13_IS18_E10value_typeET4_jRbjT5_S1E_jjP12ihipStream_tbEUljE_ZNSN_ISO_Lb1ESQ_SR_ST_SU_SY_EESZ_S10_S11_S12_S16_S17_S18_S1B_S1C_jS1D_jS1E_S1E_jjS1G_bEUljE0_EEESZ_S10_S11_S18_S1C_S1E_T6_T7_T9_mT8_S1G_bDpT10_ENKUlT_T0_E_clISt17integral_constantIbLb0EES1U_EEDaS1P_S1Q_EUlS1P_E_NS1_11comp_targetILNS1_3genE4ELNS1_11target_archE910ELNS1_3gpuE8ELNS1_3repE0EEENS1_30default_config_static_selectorELNS0_4arch9wavefront6targetE1EEEvS12_
; %bb.0:
	s_load_dwordx2 s[0:1], s[4:5], 0x68
	s_load_dword s7, s[4:5], 0x8
	s_load_dwordx2 s[56:57], s[4:5], 0x10
	s_load_dwordx4 s[44:47], s[4:5], 0x58
	s_mul_i32 s33, s6, 0xd00
	s_waitcnt lgkmcnt(0)
	v_mov_b32_e32 v3, s1
	v_mov_b32_e32 v2, s0
	s_load_dword s1, s[4:5], 0x80
	s_load_dwordx2 s[60:61], s[4:5], 0xa8
	s_load_dwordx8 s[36:43], s[4:5], 0x88
	s_load_dwordx4 s[48:51], s[46:47], 0x0
	s_waitcnt lgkmcnt(0)
	s_add_i32 s8, s1, -1
	s_mulk_i32 s1, 0xd00
	s_add_u32 s2, s56, s1
	s_addc_u32 s3, s57, 0
	s_cmp_eq_u32 s6, s8
	s_cselect_b64 s[30:31], -1, 0
	s_cmp_lg_u32 s6, s8
	v_cmp_lt_u64_e32 vcc, s[2:3], v[2:3]
	s_cselect_b64 s[2:3], -1, 0
	s_add_i32 s7, s7, s33
	s_or_b64 s[2:3], s[2:3], vcc
	s_add_i32 s7, s7, s56
	v_add_u32_e32 v1, s7, v0
	s_mov_b64 s[8:9], -1
	s_and_b64 vcc, exec, s[2:3]
	s_cbranch_vccz .LBB6_2
; %bb.1:
	v_add_u32_e32 v2, 0x100, v1
	v_lshlrev_b32_e32 v14, 2, v0
	v_add_u32_e32 v3, 0x200, v1
	v_add_u32_e32 v4, 0x300, v1
	;; [unrolled: 1-line block ×11, first 2 shown]
	ds_write2st64_b32 v14, v1, v2 offset1:4
	ds_write2st64_b32 v14, v3, v4 offset0:8 offset1:12
	ds_write2st64_b32 v14, v5, v6 offset0:16 offset1:20
	;; [unrolled: 1-line block ×5, first 2 shown]
	ds_write_b32 v14, v13 offset:12288
	s_waitcnt lgkmcnt(0)
	s_barrier
	s_mov_b64 s[8:9], 0
.LBB6_2:
	s_andn2_b64 vcc, exec, s[8:9]
	s_add_i32 s1, s1, s56
	s_cbranch_vccnz .LBB6_4
; %bb.3:
	v_add_u32_e32 v2, 0x100, v1
	v_lshlrev_b32_e32 v14, 2, v0
	v_add_u32_e32 v3, 0x200, v1
	v_add_u32_e32 v4, 0x300, v1
	;; [unrolled: 1-line block ×11, first 2 shown]
	ds_write2st64_b32 v14, v1, v2 offset1:4
	ds_write2st64_b32 v14, v3, v4 offset0:8 offset1:12
	ds_write2st64_b32 v14, v5, v6 offset0:16 offset1:20
	ds_write2st64_b32 v14, v7, v8 offset0:24 offset1:28
	ds_write2st64_b32 v14, v9, v10 offset0:32 offset1:36
	ds_write2st64_b32 v14, v11, v12 offset0:40 offset1:44
	ds_write_b32 v14, v13 offset:12288
	s_waitcnt lgkmcnt(0)
	s_barrier
.LBB6_4:
	v_mul_u32_u24_e32 v31, 13, v0
	v_lshlrev_b32_e32 v1, 2, v31
	s_load_dwordx4 s[52:55], s[4:5], 0x28
	s_load_dwordx2 s[34:35], s[4:5], 0x38
	s_waitcnt lgkmcnt(0)
	ds_read2_b32 v[18:19], v1 offset1:1
	ds_read2_b32 v[16:17], v1 offset0:2 offset1:3
	ds_read2_b32 v[14:15], v1 offset0:4 offset1:5
	;; [unrolled: 1-line block ×5, first 2 shown]
	ds_read_b32 v30, v1 offset:48
	v_cndmask_b32_e64 v1, 0, 1, s[2:3]
	s_sub_i32 s7, s0, s1
	v_cmp_ne_u32_e64 s[0:1], 1, v1
	s_andn2_b64 vcc, exec, s[2:3]
	s_waitcnt lgkmcnt(0)
	s_barrier
	s_cbranch_vccnz .LBB6_32
; %bb.5:
	v_add_u32_e32 v1, s37, v18
	v_add_u32_e32 v2, s39, v18
	v_mul_lo_u32 v1, v1, s36
	v_mul_lo_u32 v2, v2, s38
	v_sub_u32_e32 v1, v1, v2
	v_cmp_lt_u32_e32 vcc, s40, v1
	v_cmp_ge_u32_e64 s[2:3], s40, v1
	s_mov_b64 s[64:65], 0
	s_mov_b64 s[62:63], 0
	s_and_saveexec_b64 s[8:9], s[2:3]
; %bb.6:
	v_add_u32_e32 v1, s42, v18
	v_add_u32_e32 v2, s60, v18
	v_mul_lo_u32 v1, v1, s41
	v_mul_lo_u32 v2, v2, s43
	v_sub_u32_e32 v1, v1, v2
	v_cmp_lt_u32_e64 s[2:3], s61, v1
	s_and_b64 s[62:63], s[2:3], exec
; %bb.7:
	s_or_b64 exec, exec, s[8:9]
	v_add_u32_e32 v1, s37, v19
	v_add_u32_e32 v2, s39, v19
	v_mul_lo_u32 v1, v1, s36
	v_mul_lo_u32 v2, v2, s38
	v_sub_u32_e32 v1, v1, v2
	v_cmp_lt_u32_e64 s[2:3], s40, v1
	v_cmp_ge_u32_e64 s[8:9], s40, v1
	s_and_saveexec_b64 s[10:11], s[8:9]
; %bb.8:
	v_add_u32_e32 v1, s42, v19
	v_add_u32_e32 v2, s60, v19
	v_mul_lo_u32 v1, v1, s41
	v_mul_lo_u32 v2, v2, s43
	v_sub_u32_e32 v1, v1, v2
	v_cmp_lt_u32_e64 s[8:9], s61, v1
	s_and_b64 s[64:65], s[8:9], exec
; %bb.9:
	s_or_b64 exec, exec, s[10:11]
	v_add_u32_e32 v1, s37, v16
	v_add_u32_e32 v2, s39, v16
	v_mul_lo_u32 v1, v1, s36
	v_mul_lo_u32 v2, v2, s38
	v_sub_u32_e32 v1, v1, v2
	v_cmp_lt_u32_e64 s[26:27], s40, v1
	v_cmp_ge_u32_e64 s[8:9], s40, v1
	s_mov_b64 s[68:69], 0
	s_mov_b64 s[66:67], 0
	s_and_saveexec_b64 s[10:11], s[8:9]
; %bb.10:
	v_add_u32_e32 v1, s42, v16
	v_add_u32_e32 v2, s60, v16
	v_mul_lo_u32 v1, v1, s41
	v_mul_lo_u32 v2, v2, s43
	v_sub_u32_e32 v1, v1, v2
	v_cmp_lt_u32_e64 s[8:9], s61, v1
	s_and_b64 s[66:67], s[8:9], exec
; %bb.11:
	s_or_b64 exec, exec, s[10:11]
	v_add_u32_e32 v1, s37, v17
	v_add_u32_e32 v2, s39, v17
	v_mul_lo_u32 v1, v1, s36
	v_mul_lo_u32 v2, v2, s38
	v_sub_u32_e32 v1, v1, v2
	v_cmp_lt_u32_e64 s[8:9], s40, v1
	v_cmp_ge_u32_e64 s[10:11], s40, v1
	s_and_saveexec_b64 s[12:13], s[10:11]
; %bb.12:
	v_add_u32_e32 v1, s42, v17
	v_add_u32_e32 v2, s60, v17
	v_mul_lo_u32 v1, v1, s41
	v_mul_lo_u32 v2, v2, s43
	v_sub_u32_e32 v1, v1, v2
	v_cmp_lt_u32_e64 s[10:11], s61, v1
	s_and_b64 s[68:69], s[10:11], exec
; %bb.13:
	s_or_b64 exec, exec, s[12:13]
	v_add_u32_e32 v1, s37, v14
	v_add_u32_e32 v2, s39, v14
	v_mul_lo_u32 v1, v1, s36
	v_mul_lo_u32 v2, v2, s38
	v_sub_u32_e32 v1, v1, v2
	v_cmp_lt_u32_e64 s[10:11], s40, v1
	v_cmp_ge_u32_e64 s[12:13], s40, v1
	s_mov_b64 s[72:73], 0
	s_mov_b64 s[70:71], 0
	s_and_saveexec_b64 s[14:15], s[12:13]
; %bb.14:
	v_add_u32_e32 v1, s42, v14
	v_add_u32_e32 v2, s60, v14
	v_mul_lo_u32 v1, v1, s41
	v_mul_lo_u32 v2, v2, s43
	v_sub_u32_e32 v1, v1, v2
	v_cmp_lt_u32_e64 s[12:13], s61, v1
	s_and_b64 s[70:71], s[12:13], exec
; %bb.15:
	s_or_b64 exec, exec, s[14:15]
	v_add_u32_e32 v1, s37, v15
	v_add_u32_e32 v2, s39, v15
	v_mul_lo_u32 v1, v1, s36
	v_mul_lo_u32 v2, v2, s38
	v_sub_u32_e32 v1, v1, v2
	v_cmp_lt_u32_e64 s[12:13], s40, v1
	v_cmp_ge_u32_e64 s[14:15], s40, v1
	s_and_saveexec_b64 s[16:17], s[14:15]
; %bb.16:
	v_add_u32_e32 v1, s42, v15
	v_add_u32_e32 v2, s60, v15
	v_mul_lo_u32 v1, v1, s41
	v_mul_lo_u32 v2, v2, s43
	v_sub_u32_e32 v1, v1, v2
	v_cmp_lt_u32_e64 s[14:15], s61, v1
	s_and_b64 s[72:73], s[14:15], exec
; %bb.17:
	s_or_b64 exec, exec, s[16:17]
	v_add_u32_e32 v1, s37, v12
	v_add_u32_e32 v2, s39, v12
	v_mul_lo_u32 v1, v1, s36
	v_mul_lo_u32 v2, v2, s38
	v_sub_u32_e32 v1, v1, v2
	v_cmp_lt_u32_e64 s[14:15], s40, v1
	v_cmp_ge_u32_e64 s[16:17], s40, v1
	s_mov_b64 s[76:77], 0
	s_mov_b64 s[74:75], 0
	s_and_saveexec_b64 s[18:19], s[16:17]
; %bb.18:
	v_add_u32_e32 v1, s42, v12
	v_add_u32_e32 v2, s60, v12
	v_mul_lo_u32 v1, v1, s41
	v_mul_lo_u32 v2, v2, s43
	v_sub_u32_e32 v1, v1, v2
	v_cmp_lt_u32_e64 s[16:17], s61, v1
	s_and_b64 s[74:75], s[16:17], exec
; %bb.19:
	s_or_b64 exec, exec, s[18:19]
	v_add_u32_e32 v1, s37, v13
	v_add_u32_e32 v2, s39, v13
	v_mul_lo_u32 v1, v1, s36
	v_mul_lo_u32 v2, v2, s38
	v_sub_u32_e32 v1, v1, v2
	v_cmp_lt_u32_e64 s[16:17], s40, v1
	v_cmp_ge_u32_e64 s[18:19], s40, v1
	s_and_saveexec_b64 s[20:21], s[18:19]
; %bb.20:
	v_add_u32_e32 v1, s42, v13
	v_add_u32_e32 v2, s60, v13
	v_mul_lo_u32 v1, v1, s41
	v_mul_lo_u32 v2, v2, s43
	v_sub_u32_e32 v1, v1, v2
	v_cmp_lt_u32_e64 s[18:19], s61, v1
	s_and_b64 s[76:77], s[18:19], exec
; %bb.21:
	s_or_b64 exec, exec, s[20:21]
	v_add_u32_e32 v1, s37, v10
	v_add_u32_e32 v2, s39, v10
	v_mul_lo_u32 v1, v1, s36
	v_mul_lo_u32 v2, v2, s38
	v_sub_u32_e32 v1, v1, v2
	v_cmp_lt_u32_e64 s[18:19], s40, v1
	v_cmp_ge_u32_e64 s[20:21], s40, v1
	s_mov_b64 s[82:83], 0
	s_mov_b64 s[80:81], 0
	s_and_saveexec_b64 s[22:23], s[20:21]
; %bb.22:
	v_add_u32_e32 v1, s42, v10
	v_add_u32_e32 v2, s60, v10
	v_mul_lo_u32 v1, v1, s41
	v_mul_lo_u32 v2, v2, s43
	v_sub_u32_e32 v1, v1, v2
	v_cmp_lt_u32_e64 s[20:21], s61, v1
	s_and_b64 s[80:81], s[20:21], exec
; %bb.23:
	s_or_b64 exec, exec, s[22:23]
	v_add_u32_e32 v1, s37, v11
	v_add_u32_e32 v2, s39, v11
	v_mul_lo_u32 v1, v1, s36
	v_mul_lo_u32 v2, v2, s38
	v_sub_u32_e32 v1, v1, v2
	v_cmp_lt_u32_e64 s[20:21], s40, v1
	v_cmp_ge_u32_e64 s[22:23], s40, v1
	s_and_saveexec_b64 s[24:25], s[22:23]
; %bb.24:
	v_add_u32_e32 v1, s42, v11
	v_add_u32_e32 v2, s60, v11
	v_mul_lo_u32 v1, v1, s41
	v_mul_lo_u32 v2, v2, s43
	v_sub_u32_e32 v1, v1, v2
	v_cmp_lt_u32_e64 s[22:23], s61, v1
	s_and_b64 s[82:83], s[22:23], exec
; %bb.25:
	s_or_b64 exec, exec, s[24:25]
	v_add_u32_e32 v1, s37, v8
	v_add_u32_e32 v2, s39, v8
	v_mul_lo_u32 v1, v1, s36
	v_mul_lo_u32 v2, v2, s38
	v_sub_u32_e32 v1, v1, v2
	v_cmp_lt_u32_e64 s[22:23], s40, v1
	v_cmp_ge_u32_e64 s[24:25], s40, v1
	s_mov_b64 s[84:85], 0
	s_mov_b64 s[86:87], 0
	s_and_saveexec_b64 s[28:29], s[24:25]
; %bb.26:
	v_add_u32_e32 v1, s42, v8
	v_add_u32_e32 v2, s60, v8
	v_mul_lo_u32 v1, v1, s41
	v_mul_lo_u32 v2, v2, s43
	v_sub_u32_e32 v1, v1, v2
	v_cmp_lt_u32_e64 s[24:25], s61, v1
	s_and_b64 s[86:87], s[24:25], exec
; %bb.27:
	s_or_b64 exec, exec, s[28:29]
	v_add_u32_e32 v1, s37, v9
	v_add_u32_e32 v2, s39, v9
	v_mul_lo_u32 v1, v1, s36
	v_mul_lo_u32 v2, v2, s38
	v_sub_u32_e32 v1, v1, v2
	v_cmp_lt_u32_e64 s[24:25], s40, v1
	v_cmp_ge_u32_e64 s[28:29], s40, v1
	s_and_saveexec_b64 s[46:47], s[28:29]
; %bb.28:
	v_add_u32_e32 v1, s42, v9
	v_add_u32_e32 v2, s60, v9
	v_mul_lo_u32 v1, v1, s41
	v_mul_lo_u32 v2, v2, s43
	v_sub_u32_e32 v1, v1, v2
	v_cmp_lt_u32_e64 s[28:29], s61, v1
	s_and_b64 s[84:85], s[28:29], exec
; %bb.29:
	s_or_b64 exec, exec, s[46:47]
	v_add_u32_e32 v1, s37, v30
	v_add_u32_e32 v2, s39, v30
	v_mul_lo_u32 v1, v1, s36
	v_mul_lo_u32 v2, v2, s38
	v_sub_u32_e32 v1, v1, v2
	v_cmp_ge_u32_e64 s[28:29], s40, v1
	s_mov_b64 s[46:47], -1
	s_mov_b64 s[78:79], 0
	s_mov_b64 s[58:59], 0
	s_and_saveexec_b64 s[88:89], s[28:29]
; %bb.30:
	v_add_u32_e32 v1, s42, v30
	v_add_u32_e32 v2, s60, v30
	v_mul_lo_u32 v1, v1, s41
	v_mul_lo_u32 v2, v2, s43
	v_sub_u32_e32 v1, v1, v2
	v_cmp_lt_u32_e64 s[28:29], s61, v1
	s_and_b64 s[58:59], s[28:29], exec
	s_xor_b64 s[46:47], exec, -1
; %bb.31:
	s_or_b64 exec, exec, s[88:89]
	v_cndmask_b32_e64 v52, 0, 1, s[86:87]
	v_cndmask_b32_e64 v55, 0, 1, s[24:25]
	;; [unrolled: 1-line block ×22, first 2 shown]
	v_cndmask_b32_e64 v32, 0, 1, vcc
	v_cndmask_b32_e64 v54, 0, 1, s[84:85]
	s_load_dwordx2 s[12:13], s[4:5], 0x78
	s_add_i32 s18, s7, 0xd00
	s_and_b64 vcc, exec, s[78:79]
	s_cbranch_vccnz .LBB6_33
	s_branch .LBB6_86
.LBB6_32:
                                        ; implicit-def: $sgpr46_sgpr47
                                        ; implicit-def: $sgpr58_sgpr59
                                        ; implicit-def: $vgpr54
                                        ; implicit-def: $vgpr52
                                        ; implicit-def: $vgpr50
                                        ; implicit-def: $vgpr48
                                        ; implicit-def: $vgpr46
                                        ; implicit-def: $vgpr44
                                        ; implicit-def: $vgpr42
                                        ; implicit-def: $vgpr40
                                        ; implicit-def: $vgpr38
                                        ; implicit-def: $vgpr32
                                        ; implicit-def: $vgpr34
                                        ; implicit-def: $vgpr36
                                        ; implicit-def: $vgpr39
                                        ; implicit-def: $vgpr41
                                        ; implicit-def: $vgpr43
                                        ; implicit-def: $vgpr45
                                        ; implicit-def: $vgpr47
                                        ; implicit-def: $vgpr49
                                        ; implicit-def: $vgpr51
                                        ; implicit-def: $vgpr53
                                        ; implicit-def: $vgpr55
                                        ; implicit-def: $vgpr33
                                        ; implicit-def: $vgpr35
                                        ; implicit-def: $vgpr37
	s_load_dwordx2 s[12:13], s[4:5], 0x78
	s_add_i32 s18, s7, 0xd00
	s_cbranch_execz .LBB6_86
.LBB6_33:
	v_cmp_gt_u32_e32 vcc, s18, v31
	v_mov_b32_e32 v33, 0
	v_mov_b32_e32 v32, 0
	s_and_saveexec_b64 s[4:5], vcc
	s_cbranch_execz .LBB6_37
; %bb.34:
	v_add_u32_e32 v1, s37, v18
	v_add_u32_e32 v2, s39, v18
	v_mul_lo_u32 v1, v1, s36
	v_mul_lo_u32 v2, v2, s38
	v_sub_u32_e32 v1, v1, v2
	v_cmp_lt_u32_e32 vcc, s40, v1
	v_cmp_ge_u32_e64 s[2:3], s40, v1
	s_mov_b64 s[10:11], 0
	s_and_saveexec_b64 s[8:9], s[2:3]
; %bb.35:
	v_add_u32_e32 v1, s42, v18
	v_add_u32_e32 v2, s60, v18
	v_mul_lo_u32 v1, v1, s41
	v_mul_lo_u32 v2, v2, s43
	v_sub_u32_e32 v1, v1, v2
	v_cmp_lt_u32_e64 s[2:3], s61, v1
	s_and_b64 s[10:11], s[2:3], exec
; %bb.36:
	s_or_b64 exec, exec, s[8:9]
	v_cndmask_b32_e64 v32, 0, 1, vcc
	v_cndmask_b32_e64 v33, 0, 1, s[10:11]
.LBB6_37:
	s_or_b64 exec, exec, s[4:5]
	v_add_u32_e32 v1, 1, v31
	v_cmp_gt_u32_e32 vcc, s18, v1
	v_mov_b32_e32 v34, 0
	v_mov_b32_e32 v35, 0
	s_and_saveexec_b64 s[4:5], vcc
	s_cbranch_execz .LBB6_41
; %bb.38:
	v_add_u32_e32 v1, s37, v19
	v_add_u32_e32 v2, s39, v19
	v_mul_lo_u32 v1, v1, s36
	v_mul_lo_u32 v2, v2, s38
	v_sub_u32_e32 v1, v1, v2
	v_cmp_lt_u32_e32 vcc, s40, v1
	v_cmp_ge_u32_e64 s[2:3], s40, v1
	s_mov_b64 s[10:11], 0
	s_and_saveexec_b64 s[8:9], s[2:3]
; %bb.39:
	v_add_u32_e32 v1, s42, v19
	v_add_u32_e32 v2, s60, v19
	v_mul_lo_u32 v1, v1, s41
	v_mul_lo_u32 v2, v2, s43
	v_sub_u32_e32 v1, v1, v2
	v_cmp_lt_u32_e64 s[2:3], s61, v1
	s_and_b64 s[10:11], s[2:3], exec
; %bb.40:
	s_or_b64 exec, exec, s[8:9]
	v_cndmask_b32_e64 v34, 0, 1, vcc
	v_cndmask_b32_e64 v35, 0, 1, s[10:11]
.LBB6_41:
	s_or_b64 exec, exec, s[4:5]
	v_add_u32_e32 v1, 2, v31
	v_cmp_gt_u32_e32 vcc, s18, v1
	v_mov_b32_e32 v36, 0
	v_mov_b32_e32 v37, 0
	s_and_saveexec_b64 s[4:5], vcc
	s_cbranch_execz .LBB6_45
; %bb.42:
	v_add_u32_e32 v1, s37, v16
	v_add_u32_e32 v2, s39, v16
	v_mul_lo_u32 v1, v1, s36
	v_mul_lo_u32 v2, v2, s38
	v_sub_u32_e32 v1, v1, v2
	v_cmp_lt_u32_e32 vcc, s40, v1
	v_cmp_ge_u32_e64 s[2:3], s40, v1
	s_mov_b64 s[10:11], 0
	s_and_saveexec_b64 s[8:9], s[2:3]
; %bb.43:
	v_add_u32_e32 v1, s42, v16
	v_add_u32_e32 v2, s60, v16
	v_mul_lo_u32 v1, v1, s41
	v_mul_lo_u32 v2, v2, s43
	v_sub_u32_e32 v1, v1, v2
	v_cmp_lt_u32_e64 s[2:3], s61, v1
	s_and_b64 s[10:11], s[2:3], exec
; %bb.44:
	s_or_b64 exec, exec, s[8:9]
	v_cndmask_b32_e64 v36, 0, 1, vcc
	v_cndmask_b32_e64 v37, 0, 1, s[10:11]
.LBB6_45:
	s_or_b64 exec, exec, s[4:5]
	v_add_u32_e32 v1, 3, v31
	v_cmp_gt_u32_e32 vcc, s18, v1
	v_mov_b32_e32 v38, 0
	v_mov_b32_e32 v39, 0
	s_and_saveexec_b64 s[4:5], vcc
	s_cbranch_execz .LBB6_49
; %bb.46:
	v_add_u32_e32 v1, s37, v17
	v_add_u32_e32 v2, s39, v17
	v_mul_lo_u32 v1, v1, s36
	v_mul_lo_u32 v2, v2, s38
	v_sub_u32_e32 v1, v1, v2
	v_cmp_lt_u32_e32 vcc, s40, v1
	v_cmp_ge_u32_e64 s[2:3], s40, v1
	s_mov_b64 s[10:11], 0
	s_and_saveexec_b64 s[8:9], s[2:3]
; %bb.47:
	v_add_u32_e32 v1, s42, v17
	v_add_u32_e32 v2, s60, v17
	v_mul_lo_u32 v1, v1, s41
	v_mul_lo_u32 v2, v2, s43
	v_sub_u32_e32 v1, v1, v2
	v_cmp_lt_u32_e64 s[2:3], s61, v1
	s_and_b64 s[10:11], s[2:3], exec
; %bb.48:
	s_or_b64 exec, exec, s[8:9]
	v_cndmask_b32_e64 v39, 0, 1, vcc
	v_cndmask_b32_e64 v38, 0, 1, s[10:11]
.LBB6_49:
	s_or_b64 exec, exec, s[4:5]
	v_add_u32_e32 v1, 4, v31
	v_cmp_gt_u32_e32 vcc, s18, v1
	v_mov_b32_e32 v40, 0
	v_mov_b32_e32 v41, 0
	s_and_saveexec_b64 s[4:5], vcc
	s_cbranch_execz .LBB6_53
; %bb.50:
	v_add_u32_e32 v1, s37, v14
	v_add_u32_e32 v2, s39, v14
	v_mul_lo_u32 v1, v1, s36
	v_mul_lo_u32 v2, v2, s38
	v_sub_u32_e32 v1, v1, v2
	v_cmp_lt_u32_e32 vcc, s40, v1
	v_cmp_ge_u32_e64 s[2:3], s40, v1
	s_mov_b64 s[10:11], 0
	s_and_saveexec_b64 s[8:9], s[2:3]
; %bb.51:
	v_add_u32_e32 v1, s42, v14
	v_add_u32_e32 v2, s60, v14
	v_mul_lo_u32 v1, v1, s41
	v_mul_lo_u32 v2, v2, s43
	v_sub_u32_e32 v1, v1, v2
	v_cmp_lt_u32_e64 s[2:3], s61, v1
	s_and_b64 s[10:11], s[2:3], exec
; %bb.52:
	s_or_b64 exec, exec, s[8:9]
	v_cndmask_b32_e64 v41, 0, 1, vcc
	v_cndmask_b32_e64 v40, 0, 1, s[10:11]
.LBB6_53:
	s_or_b64 exec, exec, s[4:5]
	v_add_u32_e32 v1, 5, v31
	v_cmp_gt_u32_e32 vcc, s18, v1
	v_mov_b32_e32 v42, 0
	v_mov_b32_e32 v43, 0
	s_and_saveexec_b64 s[4:5], vcc
	s_cbranch_execz .LBB6_57
; %bb.54:
	v_add_u32_e32 v1, s37, v15
	v_add_u32_e32 v2, s39, v15
	v_mul_lo_u32 v1, v1, s36
	v_mul_lo_u32 v2, v2, s38
	v_sub_u32_e32 v1, v1, v2
	v_cmp_lt_u32_e32 vcc, s40, v1
	v_cmp_ge_u32_e64 s[2:3], s40, v1
	s_mov_b64 s[10:11], 0
	s_and_saveexec_b64 s[8:9], s[2:3]
; %bb.55:
	v_add_u32_e32 v1, s42, v15
	v_add_u32_e32 v2, s60, v15
	v_mul_lo_u32 v1, v1, s41
	v_mul_lo_u32 v2, v2, s43
	v_sub_u32_e32 v1, v1, v2
	v_cmp_lt_u32_e64 s[2:3], s61, v1
	s_and_b64 s[10:11], s[2:3], exec
; %bb.56:
	s_or_b64 exec, exec, s[8:9]
	v_cndmask_b32_e64 v43, 0, 1, vcc
	v_cndmask_b32_e64 v42, 0, 1, s[10:11]
.LBB6_57:
	s_or_b64 exec, exec, s[4:5]
	v_add_u32_e32 v1, 6, v31
	v_cmp_gt_u32_e32 vcc, s18, v1
	v_mov_b32_e32 v44, 0
	v_mov_b32_e32 v45, 0
	s_and_saveexec_b64 s[4:5], vcc
	s_cbranch_execz .LBB6_61
; %bb.58:
	v_add_u32_e32 v1, s37, v12
	v_add_u32_e32 v2, s39, v12
	v_mul_lo_u32 v1, v1, s36
	v_mul_lo_u32 v2, v2, s38
	v_sub_u32_e32 v1, v1, v2
	v_cmp_lt_u32_e32 vcc, s40, v1
	v_cmp_ge_u32_e64 s[2:3], s40, v1
	s_mov_b64 s[10:11], 0
	s_and_saveexec_b64 s[8:9], s[2:3]
; %bb.59:
	v_add_u32_e32 v1, s42, v12
	v_add_u32_e32 v2, s60, v12
	v_mul_lo_u32 v1, v1, s41
	v_mul_lo_u32 v2, v2, s43
	v_sub_u32_e32 v1, v1, v2
	v_cmp_lt_u32_e64 s[2:3], s61, v1
	s_and_b64 s[10:11], s[2:3], exec
; %bb.60:
	s_or_b64 exec, exec, s[8:9]
	v_cndmask_b32_e64 v45, 0, 1, vcc
	v_cndmask_b32_e64 v44, 0, 1, s[10:11]
.LBB6_61:
	s_or_b64 exec, exec, s[4:5]
	v_add_u32_e32 v1, 7, v31
	v_cmp_gt_u32_e32 vcc, s18, v1
	v_mov_b32_e32 v46, 0
	v_mov_b32_e32 v47, 0
	s_and_saveexec_b64 s[4:5], vcc
	s_cbranch_execz .LBB6_65
; %bb.62:
	v_add_u32_e32 v1, s37, v13
	v_add_u32_e32 v2, s39, v13
	v_mul_lo_u32 v1, v1, s36
	v_mul_lo_u32 v2, v2, s38
	v_sub_u32_e32 v1, v1, v2
	v_cmp_lt_u32_e32 vcc, s40, v1
	v_cmp_ge_u32_e64 s[2:3], s40, v1
	s_mov_b64 s[10:11], 0
	s_and_saveexec_b64 s[8:9], s[2:3]
; %bb.63:
	v_add_u32_e32 v1, s42, v13
	v_add_u32_e32 v2, s60, v13
	v_mul_lo_u32 v1, v1, s41
	v_mul_lo_u32 v2, v2, s43
	v_sub_u32_e32 v1, v1, v2
	v_cmp_lt_u32_e64 s[2:3], s61, v1
	s_and_b64 s[10:11], s[2:3], exec
; %bb.64:
	s_or_b64 exec, exec, s[8:9]
	v_cndmask_b32_e64 v47, 0, 1, vcc
	v_cndmask_b32_e64 v46, 0, 1, s[10:11]
.LBB6_65:
	s_or_b64 exec, exec, s[4:5]
	v_add_u32_e32 v1, 8, v31
	v_cmp_gt_u32_e32 vcc, s18, v1
	v_mov_b32_e32 v48, 0
	v_mov_b32_e32 v49, 0
	s_and_saveexec_b64 s[4:5], vcc
	s_cbranch_execz .LBB6_69
; %bb.66:
	v_add_u32_e32 v1, s37, v10
	v_add_u32_e32 v2, s39, v10
	v_mul_lo_u32 v1, v1, s36
	v_mul_lo_u32 v2, v2, s38
	v_sub_u32_e32 v1, v1, v2
	v_cmp_lt_u32_e32 vcc, s40, v1
	v_cmp_ge_u32_e64 s[2:3], s40, v1
	s_mov_b64 s[10:11], 0
	s_and_saveexec_b64 s[8:9], s[2:3]
; %bb.67:
	v_add_u32_e32 v1, s42, v10
	v_add_u32_e32 v2, s60, v10
	v_mul_lo_u32 v1, v1, s41
	v_mul_lo_u32 v2, v2, s43
	v_sub_u32_e32 v1, v1, v2
	v_cmp_lt_u32_e64 s[2:3], s61, v1
	s_and_b64 s[10:11], s[2:3], exec
; %bb.68:
	s_or_b64 exec, exec, s[8:9]
	v_cndmask_b32_e64 v49, 0, 1, vcc
	v_cndmask_b32_e64 v48, 0, 1, s[10:11]
.LBB6_69:
	s_or_b64 exec, exec, s[4:5]
	v_add_u32_e32 v1, 9, v31
	v_cmp_gt_u32_e32 vcc, s18, v1
	v_mov_b32_e32 v50, 0
	v_mov_b32_e32 v51, 0
	s_and_saveexec_b64 s[4:5], vcc
	s_cbranch_execz .LBB6_73
; %bb.70:
	v_add_u32_e32 v1, s37, v11
	v_add_u32_e32 v2, s39, v11
	v_mul_lo_u32 v1, v1, s36
	v_mul_lo_u32 v2, v2, s38
	v_sub_u32_e32 v1, v1, v2
	v_cmp_lt_u32_e32 vcc, s40, v1
	v_cmp_ge_u32_e64 s[2:3], s40, v1
	s_mov_b64 s[10:11], 0
	s_and_saveexec_b64 s[8:9], s[2:3]
; %bb.71:
	v_add_u32_e32 v1, s42, v11
	v_add_u32_e32 v2, s60, v11
	v_mul_lo_u32 v1, v1, s41
	v_mul_lo_u32 v2, v2, s43
	v_sub_u32_e32 v1, v1, v2
	v_cmp_lt_u32_e64 s[2:3], s61, v1
	s_and_b64 s[10:11], s[2:3], exec
; %bb.72:
	s_or_b64 exec, exec, s[8:9]
	v_cndmask_b32_e64 v51, 0, 1, vcc
	v_cndmask_b32_e64 v50, 0, 1, s[10:11]
.LBB6_73:
	s_or_b64 exec, exec, s[4:5]
	v_add_u32_e32 v1, 10, v31
	v_cmp_gt_u32_e32 vcc, s18, v1
	v_mov_b32_e32 v52, 0
	v_mov_b32_e32 v53, 0
	s_and_saveexec_b64 s[4:5], vcc
	s_cbranch_execz .LBB6_77
; %bb.74:
	v_add_u32_e32 v1, s37, v8
	v_add_u32_e32 v2, s39, v8
	v_mul_lo_u32 v1, v1, s36
	v_mul_lo_u32 v2, v2, s38
	v_sub_u32_e32 v1, v1, v2
	v_cmp_lt_u32_e32 vcc, s40, v1
	v_cmp_ge_u32_e64 s[2:3], s40, v1
	s_mov_b64 s[10:11], 0
	s_and_saveexec_b64 s[8:9], s[2:3]
; %bb.75:
	v_add_u32_e32 v1, s42, v8
	v_add_u32_e32 v2, s60, v8
	v_mul_lo_u32 v1, v1, s41
	v_mul_lo_u32 v2, v2, s43
	v_sub_u32_e32 v1, v1, v2
	v_cmp_lt_u32_e64 s[2:3], s61, v1
	s_and_b64 s[10:11], s[2:3], exec
; %bb.76:
	s_or_b64 exec, exec, s[8:9]
	v_cndmask_b32_e64 v53, 0, 1, vcc
	v_cndmask_b32_e64 v52, 0, 1, s[10:11]
.LBB6_77:
	s_or_b64 exec, exec, s[4:5]
	v_add_u32_e32 v1, 11, v31
	v_cmp_gt_u32_e32 vcc, s18, v1
	v_mov_b32_e32 v54, 0
	v_mov_b32_e32 v55, 0
	s_and_saveexec_b64 s[4:5], vcc
	s_cbranch_execz .LBB6_81
; %bb.78:
	v_add_u32_e32 v1, s37, v9
	v_add_u32_e32 v2, s39, v9
	v_mul_lo_u32 v1, v1, s36
	v_mul_lo_u32 v2, v2, s38
	v_sub_u32_e32 v1, v1, v2
	v_cmp_lt_u32_e32 vcc, s40, v1
	v_cmp_ge_u32_e64 s[2:3], s40, v1
	s_mov_b64 s[10:11], 0
	s_and_saveexec_b64 s[8:9], s[2:3]
; %bb.79:
	v_add_u32_e32 v1, s42, v9
	v_add_u32_e32 v2, s60, v9
	v_mul_lo_u32 v1, v1, s41
	v_mul_lo_u32 v2, v2, s43
	v_sub_u32_e32 v1, v1, v2
	v_cmp_lt_u32_e64 s[2:3], s61, v1
	s_and_b64 s[10:11], s[2:3], exec
; %bb.80:
	s_or_b64 exec, exec, s[8:9]
	v_cndmask_b32_e64 v55, 0, 1, vcc
	v_cndmask_b32_e64 v54, 0, 1, s[10:11]
.LBB6_81:
	s_or_b64 exec, exec, s[4:5]
	v_add_u32_e32 v1, 12, v31
	v_cmp_gt_u32_e32 vcc, s18, v1
	s_mov_b64 s[46:47], 0
	s_mov_b64 s[58:59], 0
	s_and_saveexec_b64 s[2:3], vcc
	s_cbranch_execz .LBB6_85
; %bb.82:
	v_add_u32_e32 v1, s37, v30
	v_add_u32_e32 v2, s39, v30
	v_mul_lo_u32 v1, v1, s36
	v_mul_lo_u32 v2, v2, s38
	v_sub_u32_e32 v1, v1, v2
	v_cmp_ge_u32_e32 vcc, s40, v1
	s_mov_b64 s[8:9], -1
	s_mov_b64 s[10:11], 0
	s_and_saveexec_b64 s[4:5], vcc
; %bb.83:
	v_add_u32_e32 v1, s42, v30
	v_add_u32_e32 v2, s60, v30
	v_mul_lo_u32 v1, v1, s41
	v_mul_lo_u32 v2, v2, s43
	v_sub_u32_e32 v1, v1, v2
	v_cmp_lt_u32_e32 vcc, s61, v1
	s_and_b64 s[10:11], vcc, exec
	s_xor_b64 s[8:9], exec, -1
; %bb.84:
	s_or_b64 exec, exec, s[4:5]
	s_and_b64 s[58:59], s[10:11], exec
	s_and_b64 s[46:47], s[8:9], exec
.LBB6_85:
	s_or_b64 exec, exec, s[2:3]
.LBB6_86:
	v_and_b32_e32 v63, 0xff, v33
	v_and_b32_e32 v74, 0xff, v35
	v_and_b32_e32 v65, 0xff, v37
	v_and_b32_e32 v75, 0xff, v38
	v_and_b32_e32 v67, 0xff, v40
	v_add3_u32 v2, v74, v65, v63
	v_and_b32_e32 v76, 0xff, v42
	v_and_b32_e32 v69, 0xff, v44
	v_add3_u32 v2, v2, v75, v67
	v_and_b32_e32 v62, 0xff, v32
	v_and_b32_e32 v56, 0xff, v34
	;; [unrolled: 1-line block ×5, first 2 shown]
	v_add3_u32 v2, v2, v76, v69
	v_and_b32_e32 v57, 0xff, v39
	v_and_b32_e32 v66, 0xff, v41
	;; [unrolled: 1-line block ×4, first 2 shown]
	v_add3_u32 v3, v56, v64, v62
	v_add3_u32 v2, v2, v77, v71
	v_and_b32_e32 v58, 0xff, v43
	v_and_b32_e32 v68, 0xff, v45
	;; [unrolled: 1-line block ×3, first 2 shown]
	v_cndmask_b32_e64 v1, 0, 1, s[58:59]
	v_add3_u32 v3, v3, v57, v66
	v_add3_u32 v2, v2, v78, v73
	v_and_b32_e32 v59, 0xff, v47
	v_and_b32_e32 v70, 0xff, v49
	v_add3_u32 v3, v3, v58, v68
	v_add3_u32 v86, v2, v79, v1
	v_mbcnt_lo_u32_b32 v1, -1, 0
	v_and_b32_e32 v60, 0xff, v51
	v_and_b32_e32 v72, 0xff, v53
	v_add3_u32 v3, v3, v59, v70
	v_mbcnt_hi_u32_b32 v80, -1, v1
	v_and_b32_e32 v61, 0xff, v55
	v_add3_u32 v3, v3, v60, v72
	v_cndmask_b32_e64 v4, 0, 1, s[46:47]
	v_and_b32_e32 v84, 15, v80
	s_cmp_lg_u32 s6, 0
	v_add3_u32 v85, v3, v61, v4
	v_cmp_eq_u32_e64 s[4:5], 0, v84
	v_cmp_lt_u32_e64 s[2:3], 1, v84
	v_cmp_lt_u32_e64 s[8:9], 3, v84
	;; [unrolled: 1-line block ×3, first 2 shown]
	v_and_b32_e32 v83, 16, v80
	v_cmp_lt_u32_e32 vcc, 31, v80
	v_lshrrev_b32_e32 v81, 6, v0
	v_or_b32_e32 v82, 63, v0
	s_cbranch_scc0 .LBB6_115
; %bb.87:
	v_mov_b32_dpp v1, v85 row_shr:1 row_mask:0xf bank_mask:0xf
	v_mov_b32_dpp v2, v86 row_shr:1 row_mask:0xf bank_mask:0xf
	v_add_u32_e32 v1, v1, v85
	v_add_u32_e32 v2, v2, v86
	v_cndmask_b32_e64 v2, v2, v86, s[4:5]
	v_cndmask_b32_e64 v1, v1, v85, s[4:5]
	s_nop 0
	v_mov_b32_dpp v4, v2 row_shr:2 row_mask:0xf bank_mask:0xf
	v_mov_b32_dpp v3, v1 row_shr:2 row_mask:0xf bank_mask:0xf
	v_add_u32_e32 v3, v1, v3
	v_add_u32_e32 v4, v2, v4
	v_cndmask_b32_e64 v2, v2, v4, s[2:3]
	v_cndmask_b32_e64 v1, v1, v3, s[2:3]
	s_nop 0
	v_mov_b32_dpp v4, v2 row_shr:4 row_mask:0xf bank_mask:0xf
	v_mov_b32_dpp v3, v1 row_shr:4 row_mask:0xf bank_mask:0xf
	v_add_u32_e32 v3, v1, v3
	v_add_u32_e32 v4, v2, v4
	v_cndmask_b32_e64 v2, v2, v4, s[8:9]
	v_cndmask_b32_e64 v1, v1, v3, s[8:9]
	v_cmp_eq_u32_e64 s[8:9], 0, v83
	v_mov_b32_dpp v4, v2 row_shr:8 row_mask:0xf bank_mask:0xf
	v_mov_b32_dpp v3, v1 row_shr:8 row_mask:0xf bank_mask:0xf
	v_add_u32_e32 v3, v1, v3
	v_add_u32_e32 v4, v2, v4
	v_cndmask_b32_e64 v2, v2, v4, s[10:11]
	v_cndmask_b32_e64 v1, v1, v3, s[10:11]
	s_nop 0
	v_mov_b32_dpp v4, v2 row_bcast:15 row_mask:0xf bank_mask:0xf
	v_mov_b32_dpp v3, v1 row_bcast:15 row_mask:0xf bank_mask:0xf
	v_add_u32_e32 v3, v1, v3
	v_add_u32_e32 v4, v2, v4
	v_cndmask_b32_e64 v2, v4, v2, s[8:9]
	v_cndmask_b32_e64 v1, v3, v1, s[8:9]
	s_nop 0
	v_mov_b32_dpp v4, v2 row_bcast:31 row_mask:0xf bank_mask:0xf
	v_mov_b32_dpp v3, v1 row_bcast:31 row_mask:0xf bank_mask:0xf
	v_add_u32_e32 v4, v2, v4
	v_add_u32_e32 v5, v1, v3
	v_cndmask_b32_e32 v3, v2, v4, vcc
	v_cndmask_b32_e32 v2, v1, v5, vcc
	v_cmp_eq_u32_e32 vcc, v82, v0
	s_and_saveexec_b64 s[8:9], vcc
	s_cbranch_execz .LBB6_89
; %bb.88:
	v_lshlrev_b32_e32 v1, 3, v81
	ds_write_b64 v1, v[2:3]
.LBB6_89:
	s_or_b64 exec, exec, s[8:9]
	v_cmp_gt_u32_e32 vcc, 4, v0
	s_waitcnt lgkmcnt(0)
	s_barrier
	s_and_saveexec_b64 s[8:9], vcc
	s_cbranch_execz .LBB6_91
; %bb.90:
	v_lshlrev_b32_e32 v1, 3, v0
	ds_read_b64 v[4:5], v1
	v_and_b32_e32 v6, 3, v80
	v_cmp_eq_u32_e32 vcc, 0, v6
	s_waitcnt lgkmcnt(0)
	v_mov_b32_dpp v7, v4 row_shr:1 row_mask:0xf bank_mask:0xf
	v_mov_b32_dpp v20, v5 row_shr:1 row_mask:0xf bank_mask:0xf
	v_add_u32_e32 v7, v7, v4
	v_add_u32_e32 v20, v20, v5
	v_cndmask_b32_e32 v5, v20, v5, vcc
	v_cndmask_b32_e32 v4, v7, v4, vcc
	v_cmp_lt_u32_e32 vcc, 1, v6
	v_mov_b32_dpp v20, v5 row_shr:2 row_mask:0xf bank_mask:0xf
	v_mov_b32_dpp v7, v4 row_shr:2 row_mask:0xf bank_mask:0xf
	v_cndmask_b32_e32 v6, 0, v7, vcc
	v_cndmask_b32_e32 v7, 0, v20, vcc
	v_add_u32_e32 v5, v7, v5
	v_add_u32_e32 v4, v6, v4
	ds_write_b64 v1, v[4:5]
.LBB6_91:
	s_or_b64 exec, exec, s[8:9]
	v_cmp_gt_u32_e32 vcc, 64, v0
	v_cmp_lt_u32_e64 s[8:9], 63, v0
	s_waitcnt lgkmcnt(0)
	s_barrier
	s_waitcnt lgkmcnt(0)
                                        ; implicit-def: $vgpr21
	s_and_saveexec_b64 s[10:11], s[8:9]
	s_xor_b64 s[8:9], exec, s[10:11]
	s_cbranch_execz .LBB6_93
; %bb.92:
	v_lshl_add_u32 v1, v81, 3, -8
	ds_read_b64 v[20:21], v1
	s_waitcnt lgkmcnt(0)
	v_add_u32_e32 v3, v21, v3
	v_add_u32_e32 v2, v20, v2
.LBB6_93:
	s_andn2_saveexec_b64 s[8:9], s[8:9]
; %bb.94:
                                        ; implicit-def: $vgpr20
; %bb.95:
	s_or_b64 exec, exec, s[8:9]
	v_add_u32_e32 v1, -1, v80
	v_and_b32_e32 v4, 64, v80
	v_cmp_lt_i32_e64 s[8:9], v1, v4
	v_cndmask_b32_e64 v1, v1, v80, s[8:9]
	v_lshlrev_b32_e32 v4, 2, v1
	ds_bpermute_b32 v1, v4, v2
	ds_bpermute_b32 v87, v4, v3
	v_cmp_eq_u32_e64 s[8:9], 0, v80
	s_and_saveexec_b64 s[10:11], vcc
	s_cbranch_execz .LBB6_114
; %bb.96:
	v_mov_b32_e32 v7, 0
	ds_read_b64 v[22:23], v7 offset:24
	s_and_saveexec_b64 s[14:15], s[8:9]
	s_cbranch_execz .LBB6_98
; %bb.97:
	s_add_i32 s16, s6, 64
	s_mov_b32 s17, 0
	s_lshl_b64 s[16:17], s[16:17], 4
	s_waitcnt lgkmcnt(0)
	v_and_b32_e32 v2, 0xff000000, v23
	v_and_b32_e32 v3, 0xff0000, v23
	s_add_u32 s16, s12, s16
	v_or_b32_e32 v2, v3, v2
	v_and_b32_e32 v3, 0xff00, v23
	s_addc_u32 s17, s13, s17
	v_or_b32_e32 v2, v2, v3
	v_or_b32_sdwa v5, v2, v23 dst_sel:DWORD dst_unused:UNUSED_PAD src0_sel:DWORD src1_sel:BYTE_0
	v_mov_b32_e32 v6, 1
	v_mov_b32_e32 v4, v22
	v_pk_mov_b32 v[2:3], s[16:17], s[16:17] op_sel:[0,1]
	;;#ASMSTART
	global_store_dwordx4 v[2:3], v[4:7] off	
s_waitcnt vmcnt(0)
	;;#ASMEND
.LBB6_98:
	s_or_b64 exec, exec, s[14:15]
	v_xad_u32 v24, v80, -1, s6
	v_add_u32_e32 v6, 64, v24
	v_lshlrev_b64 v[2:3], 4, v[6:7]
	v_mov_b32_e32 v4, s13
	v_add_co_u32_e32 v26, vcc, s12, v2
	v_addc_co_u32_e32 v27, vcc, v4, v3, vcc
	;;#ASMSTART
	global_load_dwordx4 v[2:5], v[26:27] off glc	
s_waitcnt vmcnt(0)
	;;#ASMEND
	v_and_b32_e32 v5, 0xff, v3
	v_and_b32_e32 v6, 0xff00, v3
	v_or3_b32 v5, 0, v5, v6
	v_or3_b32 v2, v2, 0, 0
	v_and_b32_e32 v6, 0xff000000, v3
	v_and_b32_e32 v3, 0xff0000, v3
	v_or3_b32 v3, v5, v3, v6
	v_or3_b32 v2, v2, 0, 0
	v_cmp_eq_u16_sdwa s[16:17], v4, v7 src0_sel:BYTE_0 src1_sel:DWORD
	s_and_saveexec_b64 s[14:15], s[16:17]
	s_cbranch_execz .LBB6_102
; %bb.99:
	s_mov_b64 s[16:17], 0
	v_mov_b32_e32 v6, 0
.LBB6_100:                              ; =>This Inner Loop Header: Depth=1
	;;#ASMSTART
	global_load_dwordx4 v[2:5], v[26:27] off glc	
s_waitcnt vmcnt(0)
	;;#ASMEND
	v_cmp_ne_u16_sdwa s[20:21], v4, v6 src0_sel:BYTE_0 src1_sel:DWORD
	s_or_b64 s[16:17], s[20:21], s[16:17]
	s_andn2_b64 exec, exec, s[16:17]
	s_cbranch_execnz .LBB6_100
; %bb.101:
	s_or_b64 exec, exec, s[16:17]
.LBB6_102:
	s_or_b64 exec, exec, s[14:15]
	v_and_b32_e32 v89, 63, v80
	v_cmp_ne_u32_e32 vcc, 63, v89
	v_mov_b32_e32 v88, 2
	v_addc_co_u32_e32 v26, vcc, 0, v80, vcc
	v_cmp_eq_u16_sdwa s[14:15], v4, v88 src0_sel:BYTE_0 src1_sel:DWORD
	v_lshlrev_b64 v[6:7], v80, -1
	v_lshlrev_b32_e32 v90, 2, v26
	v_and_b32_e32 v5, s15, v7
	ds_bpermute_b32 v26, v90, v2
	ds_bpermute_b32 v27, v90, v3
	v_or_b32_e32 v5, 0x80000000, v5
	v_and_b32_e32 v25, s14, v6
	v_ffbl_b32_e32 v5, v5
	v_add_u32_e32 v5, 32, v5
	v_ffbl_b32_e32 v25, v25
	v_min_u32_e32 v5, v25, v5
	s_waitcnt lgkmcnt(1)
	v_add_u32_e32 v25, v26, v2
	s_waitcnt lgkmcnt(0)
	v_add_u32_e32 v26, v27, v3
	v_cmp_lt_u32_e32 vcc, v89, v5
	v_cndmask_b32_e32 v3, v3, v26, vcc
	v_cndmask_b32_e32 v2, v2, v25, vcc
	v_cmp_gt_u32_e32 vcc, 62, v89
	v_cndmask_b32_e64 v25, 0, 1, vcc
	v_lshlrev_b32_e32 v25, 1, v25
	v_add_lshl_u32 v91, v25, v80, 2
	ds_bpermute_b32 v25, v91, v2
	ds_bpermute_b32 v26, v91, v3
	v_add_u32_e32 v92, 2, v89
	v_cmp_gt_u32_e32 vcc, v92, v5
	v_add_u32_e32 v94, 4, v89
	s_waitcnt lgkmcnt(1)
	v_add_u32_e32 v25, v2, v25
	s_waitcnt lgkmcnt(0)
	v_add_u32_e32 v26, v3, v26
	v_cndmask_b32_e32 v3, v26, v3, vcc
	v_cndmask_b32_e32 v2, v25, v2, vcc
	v_cmp_gt_u32_e32 vcc, 60, v89
	v_cndmask_b32_e64 v25, 0, 1, vcc
	v_lshlrev_b32_e32 v25, 2, v25
	v_add_lshl_u32 v93, v25, v80, 2
	ds_bpermute_b32 v25, v93, v2
	ds_bpermute_b32 v26, v93, v3
	v_cmp_gt_u32_e32 vcc, v94, v5
	v_add_u32_e32 v96, 8, v89
	v_add_u32_e32 v98, 16, v89
	s_waitcnt lgkmcnt(1)
	v_add_u32_e32 v25, v2, v25
	s_waitcnt lgkmcnt(0)
	v_add_u32_e32 v26, v3, v26
	v_cndmask_b32_e32 v3, v26, v3, vcc
	v_cndmask_b32_e32 v2, v25, v2, vcc
	v_cmp_gt_u32_e32 vcc, 56, v89
	v_cndmask_b32_e64 v25, 0, 1, vcc
	v_lshlrev_b32_e32 v25, 3, v25
	v_add_lshl_u32 v95, v25, v80, 2
	ds_bpermute_b32 v25, v95, v2
	ds_bpermute_b32 v26, v95, v3
	v_cmp_gt_u32_e32 vcc, v96, v5
	v_add_u32_e32 v100, 32, v89
	s_waitcnt lgkmcnt(1)
	v_add_u32_e32 v25, v2, v25
	s_waitcnt lgkmcnt(0)
	v_add_u32_e32 v26, v3, v26
	v_cndmask_b32_e32 v3, v26, v3, vcc
	v_cndmask_b32_e32 v2, v25, v2, vcc
	v_cmp_gt_u32_e32 vcc, 48, v89
	v_cndmask_b32_e64 v25, 0, 1, vcc
	v_lshlrev_b32_e32 v25, 4, v25
	v_add_lshl_u32 v97, v25, v80, 2
	ds_bpermute_b32 v25, v97, v2
	ds_bpermute_b32 v26, v97, v3
	v_cmp_gt_u32_e32 vcc, v98, v5
	s_waitcnt lgkmcnt(1)
	v_add_u32_e32 v25, v2, v25
	s_waitcnt lgkmcnt(0)
	v_add_u32_e32 v26, v3, v26
	v_cndmask_b32_e32 v3, v26, v3, vcc
	v_cndmask_b32_e32 v2, v25, v2, vcc
	v_cmp_gt_u32_e32 vcc, 32, v89
	v_cndmask_b32_e64 v25, 0, 1, vcc
	v_lshlrev_b32_e32 v25, 5, v25
	v_add_lshl_u32 v99, v25, v80, 2
	ds_bpermute_b32 v25, v99, v2
	ds_bpermute_b32 v26, v99, v3
	v_cmp_le_u32_e32 vcc, v100, v5
	s_waitcnt lgkmcnt(1)
	v_cndmask_b32_e32 v5, 0, v25, vcc
	s_waitcnt lgkmcnt(0)
	v_cndmask_b32_e32 v25, 0, v26, vcc
	v_add_u32_e32 v3, v3, v25
	v_add_u32_e32 v2, v2, v5
	v_mov_b32_e32 v25, 0
	s_branch .LBB6_104
.LBB6_103:                              ;   in Loop: Header=BB6_104 Depth=1
	s_or_b64 exec, exec, s[14:15]
	v_cmp_eq_u16_sdwa s[14:15], v4, v88 src0_sel:BYTE_0 src1_sel:DWORD
	v_and_b32_e32 v5, s15, v7
	ds_bpermute_b32 v29, v90, v2
	ds_bpermute_b32 v101, v90, v3
	v_or_b32_e32 v5, 0x80000000, v5
	v_and_b32_e32 v28, s14, v6
	v_ffbl_b32_e32 v5, v5
	v_add_u32_e32 v5, 32, v5
	v_ffbl_b32_e32 v28, v28
	v_min_u32_e32 v5, v28, v5
	s_waitcnt lgkmcnt(1)
	v_add_u32_e32 v28, v29, v2
	s_waitcnt lgkmcnt(0)
	v_add_u32_e32 v29, v101, v3
	v_cmp_lt_u32_e32 vcc, v89, v5
	v_cndmask_b32_e32 v3, v3, v29, vcc
	v_cndmask_b32_e32 v2, v2, v28, vcc
	ds_bpermute_b32 v28, v91, v2
	ds_bpermute_b32 v29, v91, v3
	v_cmp_gt_u32_e32 vcc, v92, v5
	v_subrev_u32_e32 v24, 64, v24
	s_waitcnt lgkmcnt(1)
	v_add_u32_e32 v28, v2, v28
	s_waitcnt lgkmcnt(0)
	v_add_u32_e32 v29, v3, v29
	v_cndmask_b32_e32 v3, v29, v3, vcc
	v_cndmask_b32_e32 v2, v28, v2, vcc
	ds_bpermute_b32 v28, v93, v2
	ds_bpermute_b32 v29, v93, v3
	v_cmp_gt_u32_e32 vcc, v94, v5
	s_waitcnt lgkmcnt(1)
	v_add_u32_e32 v28, v2, v28
	s_waitcnt lgkmcnt(0)
	v_add_u32_e32 v29, v3, v29
	v_cndmask_b32_e32 v3, v29, v3, vcc
	v_cndmask_b32_e32 v2, v28, v2, vcc
	ds_bpermute_b32 v28, v95, v2
	ds_bpermute_b32 v29, v95, v3
	v_cmp_gt_u32_e32 vcc, v96, v5
	;; [unrolled: 9-line block ×3, first 2 shown]
	s_waitcnt lgkmcnt(1)
	v_add_u32_e32 v28, v2, v28
	s_waitcnt lgkmcnt(0)
	v_add_u32_e32 v29, v3, v29
	v_cndmask_b32_e32 v3, v29, v3, vcc
	v_cndmask_b32_e32 v2, v28, v2, vcc
	ds_bpermute_b32 v28, v99, v2
	ds_bpermute_b32 v29, v99, v3
	v_cmp_le_u32_e32 vcc, v100, v5
	s_waitcnt lgkmcnt(1)
	v_cndmask_b32_e32 v5, 0, v28, vcc
	s_waitcnt lgkmcnt(0)
	v_cndmask_b32_e32 v28, 0, v29, vcc
	v_add3_u32 v3, v28, v27, v3
	v_add3_u32 v2, v5, v26, v2
.LBB6_104:                              ; =>This Loop Header: Depth=1
                                        ;     Child Loop BB6_107 Depth 2
	v_cmp_ne_u16_sdwa s[14:15], v4, v88 src0_sel:BYTE_0 src1_sel:DWORD
	v_cndmask_b32_e64 v4, 0, 1, s[14:15]
	;;#ASMSTART
	;;#ASMEND
	v_cmp_ne_u32_e32 vcc, 0, v4
	s_cmp_lg_u64 vcc, exec
	v_pk_mov_b32 v[26:27], v[2:3], v[2:3] op_sel:[0,1]
	s_cbranch_scc1 .LBB6_109
; %bb.105:                              ;   in Loop: Header=BB6_104 Depth=1
	v_lshlrev_b64 v[2:3], 4, v[24:25]
	v_mov_b32_e32 v4, s13
	v_add_co_u32_e32 v28, vcc, s12, v2
	v_addc_co_u32_e32 v29, vcc, v4, v3, vcc
	;;#ASMSTART
	global_load_dwordx4 v[2:5], v[28:29] off glc	
s_waitcnt vmcnt(0)
	;;#ASMEND
	v_and_b32_e32 v5, 0xff, v3
	v_and_b32_e32 v101, 0xff00, v3
	v_or3_b32 v5, 0, v5, v101
	v_or3_b32 v2, v2, 0, 0
	v_and_b32_e32 v101, 0xff000000, v3
	v_and_b32_e32 v3, 0xff0000, v3
	v_or3_b32 v3, v5, v3, v101
	v_or3_b32 v2, v2, 0, 0
	v_cmp_eq_u16_sdwa s[16:17], v4, v25 src0_sel:BYTE_0 src1_sel:DWORD
	s_and_saveexec_b64 s[14:15], s[16:17]
	s_cbranch_execz .LBB6_103
; %bb.106:                              ;   in Loop: Header=BB6_104 Depth=1
	s_mov_b64 s[16:17], 0
.LBB6_107:                              ;   Parent Loop BB6_104 Depth=1
                                        ; =>  This Inner Loop Header: Depth=2
	;;#ASMSTART
	global_load_dwordx4 v[2:5], v[28:29] off glc	
s_waitcnt vmcnt(0)
	;;#ASMEND
	v_cmp_ne_u16_sdwa s[20:21], v4, v25 src0_sel:BYTE_0 src1_sel:DWORD
	s_or_b64 s[16:17], s[20:21], s[16:17]
	s_andn2_b64 exec, exec, s[16:17]
	s_cbranch_execnz .LBB6_107
; %bb.108:                              ;   in Loop: Header=BB6_104 Depth=1
	s_or_b64 exec, exec, s[16:17]
	s_branch .LBB6_103
.LBB6_109:                              ;   in Loop: Header=BB6_104 Depth=1
                                        ; implicit-def: $vgpr4
                                        ; implicit-def: $vgpr2_vgpr3
	s_cbranch_execz .LBB6_104
; %bb.110:
	s_and_saveexec_b64 s[14:15], s[8:9]
	s_cbranch_execz .LBB6_112
; %bb.111:
	s_add_i32 s6, s6, 64
	s_mov_b32 s7, 0
	v_add_u32_e32 v3, v27, v23
	s_lshl_b64 s[6:7], s[6:7], 4
	s_add_u32 s6, s12, s6
	v_and_b32_e32 v4, 0xff000000, v3
	v_and_b32_e32 v6, 0xff0000, v3
	s_addc_u32 s7, s13, s7
	v_or_b32_e32 v4, v6, v4
	v_and_b32_e32 v6, 0xff00, v3
	v_and_b32_e32 v3, 0xff, v3
	v_add_u32_e32 v2, v26, v22
	v_mov_b32_e32 v5, 0
	v_or3_b32 v3, v4, v6, v3
	v_mov_b32_e32 v4, 2
	v_pk_mov_b32 v[6:7], s[6:7], s[6:7] op_sel:[0,1]
	;;#ASMSTART
	global_store_dwordx4 v[6:7], v[2:5] off	
s_waitcnt vmcnt(0)
	;;#ASMEND
	s_movk_i32 s6, 0x3400
	v_add_u32_e64 v2, s6, 0
	ds_write2_b32 v2, v22, v23 offset1:2
	ds_write2_b32 v2, v26, v27 offset0:4 offset1:6
.LBB6_112:
	s_or_b64 exec, exec, s[14:15]
	v_cmp_eq_u32_e32 vcc, 0, v0
	s_and_b64 exec, exec, vcc
	s_cbranch_execz .LBB6_114
; %bb.113:
	v_mov_b32_e32 v2, 0
	ds_write_b64 v2, v[26:27] offset:24
.LBB6_114:
	s_or_b64 exec, exec, s[10:11]
	v_mov_b32_e32 v2, 0
	s_waitcnt lgkmcnt(0)
	s_barrier
	ds_read_b64 v[6:7], v2 offset:24
	s_movk_i32 s6, 0x3400
	v_cndmask_b32_e64 v2, v87, v21, s[8:9]
	v_cndmask_b32_e64 v1, v1, v20, s[8:9]
	v_add_u32_e64 v4, s6, 0
	s_waitcnt lgkmcnt(0)
	v_add_u32_e32 v20, v6, v1
	v_add_u32_e32 v1, v7, v2
	s_barrier
	ds_read2_b32 v[2:3], v4 offset1:2
	ds_read2_b32 v[4:5], v4 offset0:4 offset1:6
	v_cmp_eq_u32_e32 vcc, 0, v0
	v_cndmask_b32_e32 v1, v1, v7, vcc
	v_cndmask_b32_e32 v20, v20, v6, vcc
	s_branch .LBB6_125
.LBB6_115:
                                        ; implicit-def: $vgpr1
                                        ; implicit-def: $vgpr4
                                        ; implicit-def: $vgpr2
                                        ; implicit-def: $vgpr20_vgpr21
	s_cbranch_execz .LBB6_125
; %bb.116:
	s_nop 0
	v_mov_b32_dpp v1, v85 row_shr:1 row_mask:0xf bank_mask:0xf
	s_waitcnt lgkmcnt(0)
	v_mov_b32_dpp v2, v86 row_shr:1 row_mask:0xf bank_mask:0xf
	v_add_u32_e32 v1, v1, v85
	v_add_u32_e32 v2, v2, v86
	v_cndmask_b32_e64 v2, v2, v86, s[4:5]
	v_cndmask_b32_e64 v1, v1, v85, s[4:5]
	v_cmp_lt_u32_e32 vcc, 3, v84
	v_mov_b32_dpp v4, v2 row_shr:2 row_mask:0xf bank_mask:0xf
	v_mov_b32_dpp v3, v1 row_shr:2 row_mask:0xf bank_mask:0xf
	v_add_u32_e32 v3, v1, v3
	v_add_u32_e32 v4, v2, v4
	v_cndmask_b32_e64 v2, v2, v4, s[2:3]
	v_cndmask_b32_e64 v1, v1, v3, s[2:3]
	s_nop 0
	v_mov_b32_dpp v4, v2 row_shr:4 row_mask:0xf bank_mask:0xf
	v_mov_b32_dpp v3, v1 row_shr:4 row_mask:0xf bank_mask:0xf
	v_add_u32_e32 v3, v1, v3
	v_add_u32_e32 v4, v2, v4
	v_cndmask_b32_e32 v2, v2, v4, vcc
	v_cndmask_b32_e32 v1, v1, v3, vcc
	v_cmp_lt_u32_e32 vcc, 7, v84
	v_mov_b32_dpp v4, v2 row_shr:8 row_mask:0xf bank_mask:0xf
	v_mov_b32_dpp v3, v1 row_shr:8 row_mask:0xf bank_mask:0xf
	v_add_u32_e32 v3, v1, v3
	v_add_u32_e32 v4, v2, v4
	v_cndmask_b32_e32 v2, v2, v4, vcc
	v_cndmask_b32_e32 v1, v1, v3, vcc
	v_cmp_eq_u32_e32 vcc, 0, v83
	v_mov_b32_dpp v4, v2 row_bcast:15 row_mask:0xf bank_mask:0xf
	v_mov_b32_dpp v3, v1 row_bcast:15 row_mask:0xf bank_mask:0xf
	v_add_u32_e32 v3, v1, v3
	v_add_u32_e32 v4, v2, v4
	v_cndmask_b32_e32 v2, v4, v2, vcc
	v_cndmask_b32_e32 v1, v3, v1, vcc
	v_cmp_lt_u32_e32 vcc, 31, v80
	v_mov_b32_dpp v4, v2 row_bcast:31 row_mask:0xf bank_mask:0xf
	v_mov_b32_dpp v3, v1 row_bcast:31 row_mask:0xf bank_mask:0xf
	v_add_u32_e32 v4, v2, v4
	v_add_u32_e32 v5, v1, v3
	v_cndmask_b32_e32 v3, v2, v4, vcc
	v_cndmask_b32_e32 v2, v1, v5, vcc
	v_cmp_eq_u32_e32 vcc, v82, v0
	s_and_saveexec_b64 s[2:3], vcc
	s_cbranch_execz .LBB6_118
; %bb.117:
	v_lshlrev_b32_e32 v1, 3, v81
	ds_write_b64 v1, v[2:3]
.LBB6_118:
	s_or_b64 exec, exec, s[2:3]
	v_cmp_gt_u32_e32 vcc, 4, v0
	s_waitcnt lgkmcnt(0)
	s_barrier
	s_and_saveexec_b64 s[2:3], vcc
	s_cbranch_execz .LBB6_120
; %bb.119:
	v_lshlrev_b32_e32 v1, 3, v0
	ds_read_b64 v[4:5], v1
	v_and_b32_e32 v6, 3, v80
	v_cmp_eq_u32_e32 vcc, 0, v6
	s_waitcnt lgkmcnt(0)
	v_mov_b32_dpp v7, v4 row_shr:1 row_mask:0xf bank_mask:0xf
	v_mov_b32_dpp v20, v5 row_shr:1 row_mask:0xf bank_mask:0xf
	v_add_u32_e32 v7, v7, v4
	v_add_u32_e32 v20, v20, v5
	v_cndmask_b32_e32 v5, v20, v5, vcc
	v_cndmask_b32_e32 v4, v7, v4, vcc
	v_cmp_lt_u32_e32 vcc, 1, v6
	v_mov_b32_dpp v20, v5 row_shr:2 row_mask:0xf bank_mask:0xf
	v_mov_b32_dpp v7, v4 row_shr:2 row_mask:0xf bank_mask:0xf
	v_cndmask_b32_e32 v6, 0, v7, vcc
	v_cndmask_b32_e32 v7, 0, v20, vcc
	v_add_u32_e32 v5, v7, v5
	v_add_u32_e32 v4, v6, v4
	ds_write_b64 v1, v[4:5]
.LBB6_120:
	s_or_b64 exec, exec, s[2:3]
	v_cmp_lt_u32_e32 vcc, 63, v0
	v_mov_b32_e32 v4, 0
	v_mov_b32_e32 v6, 0
	;; [unrolled: 1-line block ×3, first 2 shown]
	s_waitcnt lgkmcnt(0)
	s_barrier
	s_and_saveexec_b64 s[2:3], vcc
	s_cbranch_execz .LBB6_122
; %bb.121:
	v_lshl_add_u32 v1, v81, 3, -8
	ds_read_b64 v[6:7], v1
.LBB6_122:
	s_or_b64 exec, exec, s[2:3]
	s_waitcnt lgkmcnt(0)
	v_add_u32_e32 v5, v7, v3
	v_add_u32_e32 v1, v6, v2
	v_add_u32_e32 v2, -1, v80
	v_and_b32_e32 v3, 64, v80
	v_cmp_lt_i32_e32 vcc, v2, v3
	v_cndmask_b32_e32 v2, v2, v80, vcc
	v_lshlrev_b32_e32 v20, 2, v2
	ds_read_b64 v[2:3], v4 offset:24
	ds_bpermute_b32 v1, v20, v1
	ds_bpermute_b32 v20, v20, v5
	v_cmp_eq_u32_e32 vcc, 0, v0
	s_waitcnt lgkmcnt(2)
	v_readfirstlane_b32 s4, v3
	s_and_saveexec_b64 s[2:3], vcc
	s_cbranch_execz .LBB6_124
; %bb.123:
	s_add_u32 s6, s12, 0x400
	s_mov_b32 s8, 0
	s_addc_u32 s7, s13, 0
	s_and_b32 s9, s4, 0xff000000
	s_and_b32 s11, s4, 0xff0000
	s_mov_b32 s10, s8
	s_or_b64 s[10:11], s[10:11], s[8:9]
	s_and_b32 s9, s4, 0xff00
	s_or_b64 s[10:11], s[10:11], s[8:9]
	s_and_b32 s9, s4, 0xff
	s_or_b64 s[8:9], s[10:11], s[8:9]
	v_mov_b32_e32 v3, s9
	v_mov_b32_e32 v4, 2
	;; [unrolled: 1-line block ×3, first 2 shown]
	v_pk_mov_b32 v[22:23], s[6:7], s[6:7] op_sel:[0,1]
	;;#ASMSTART
	global_store_dwordx4 v[22:23], v[2:5] off	
s_waitcnt vmcnt(0)
	;;#ASMEND
.LBB6_124:
	s_or_b64 exec, exec, s[2:3]
	v_cmp_eq_u32_e64 s[2:3], 0, v80
	s_waitcnt lgkmcnt(1)
	v_cndmask_b32_e64 v3, v1, v6, s[2:3]
	s_waitcnt lgkmcnt(0)
	v_cndmask_b32_e64 v1, v20, v7, s[2:3]
	v_mov_b32_e32 v4, 0
	v_cndmask_b32_e64 v1, v1, 0, vcc
	v_cndmask_b32_e64 v20, v3, 0, vcc
	s_barrier
	v_mov_b32_e32 v3, s4
	v_mov_b32_e32 v5, 0
.LBB6_125:
	v_add_u32_e32 v24, v1, v63
	v_add_u32_e32 v25, v24, v74
	;; [unrolled: 1-line block ×14, first 2 shown]
	v_mov_b32_e32 v7, s49
	s_waitcnt lgkmcnt(0)
	v_add_co_u32_e32 v6, vcc, s48, v4
	v_add_u32_e32 v64, v58, v68
	v_add_u32_e32 v68, v66, v71
	v_addc_co_u32_e32 v7, vcc, 0, v7, vcc
	v_add_u32_e32 v69, v68, v78
	v_mov_b32_e32 v22, s51
	v_sub_co_u32_e32 v23, vcc, s50, v2
	v_add_u32_e32 v71, v69, v73
	v_subbrev_co_u32_e32 v73, vcc, 0, v22, vcc
	v_add_co_u32_e32 v22, vcc, v23, v5
	v_addc_co_u32_e32 v23, vcc, 0, v73, vcc
	v_lshlrev_b32_e32 v73, 1, v2
	v_sub_u32_e32 v1, v1, v5
	v_add_u32_e32 v74, v73, v3
	v_sub_u32_e32 v20, v20, v4
	v_add_u32_e32 v1, v1, v2
	v_add_u32_e32 v31, v74, v31
	v_and_b32_e32 v33, 1, v33
	v_add_u32_e32 v74, v20, v1
	v_and_b32_e32 v32, 1, v32
	v_sub_u32_e32 v74, v31, v74
	v_cmp_eq_u32_e32 vcc, 1, v33
	v_cndmask_b32_e32 v1, v74, v1, vcc
	v_cmp_eq_u32_e32 vcc, 1, v32
	v_cndmask_b32_e32 v1, v1, v20, vcc
	v_lshlrev_b32_e32 v1, 2, v1
	v_sub_u32_e32 v20, v24, v5
	ds_write_b32 v1, v18
	v_sub_u32_e32 v1, v21, v4
	v_add_u32_e32 v20, v20, v2
	v_add_u32_e32 v24, v20, v1
	v_and_b32_e32 v21, 1, v35
	v_sub_u32_e32 v24, v31, v24
	v_and_b32_e32 v18, 1, v34
	v_add_u32_e32 v24, 1, v24
	v_cmp_eq_u32_e32 vcc, 1, v21
	v_cndmask_b32_e32 v20, v24, v20, vcc
	v_cmp_eq_u32_e32 vcc, 1, v18
	v_cndmask_b32_e32 v1, v20, v1, vcc
	v_lshlrev_b32_e32 v1, 2, v1
	ds_write_b32 v1, v19
	v_sub_u32_e32 v19, v25, v5
	v_sub_u32_e32 v1, v26, v4
	v_add_u32_e32 v19, v19, v2
	v_add_u32_e32 v21, v19, v1
	v_and_b32_e32 v20, 1, v37
	v_sub_u32_e32 v21, v31, v21
	v_and_b32_e32 v18, 1, v36
	v_add_u32_e32 v21, 2, v21
	v_cmp_eq_u32_e32 vcc, 1, v20
	v_cndmask_b32_e32 v19, v21, v19, vcc
	v_cmp_eq_u32_e32 vcc, 1, v18
	v_cndmask_b32_e32 v1, v19, v1, vcc
	v_lshlrev_b32_e32 v1, 2, v1
	v_sub_u32_e32 v18, v28, v5
	ds_write_b32 v1, v16
	v_sub_u32_e32 v1, v27, v4
	v_add_u32_e32 v18, v18, v2
	v_add_u32_e32 v20, v1, v18
	v_and_b32_e32 v19, 1, v38
	v_sub_u32_e32 v20, v31, v20
	v_and_b32_e32 v16, 1, v39
	v_add_u32_e32 v20, 3, v20
	v_cmp_eq_u32_e32 vcc, 1, v19
	v_cndmask_b32_e32 v18, v20, v18, vcc
	v_cmp_eq_u32_e32 vcc, 1, v16
	v_cndmask_b32_e32 v1, v18, v1, vcc
	v_lshlrev_b32_e32 v1, 2, v1
	ds_write_b32 v1, v17
	v_sub_u32_e32 v17, v29, v5
	v_sub_u32_e32 v1, v56, v4
	v_add_u32_e32 v17, v17, v2
	v_add_u32_e32 v19, v1, v17
	v_and_b32_e32 v18, 1, v40
	v_sub_u32_e32 v19, v31, v19
	v_and_b32_e32 v16, 1, v41
	v_add_u32_e32 v19, 4, v19
	;; [unrolled: 28-line block ×3, first 2 shown]
	v_cmp_eq_u32_e32 vcc, 1, v16
	v_cndmask_b32_e32 v15, v17, v15, vcc
	v_cmp_eq_u32_e32 vcc, 1, v14
	v_cndmask_b32_e32 v1, v15, v1, vcc
	v_lshlrev_b32_e32 v1, 2, v1
	v_sub_u32_e32 v14, v65, v5
	ds_write_b32 v1, v12
	v_sub_u32_e32 v1, v64, v4
	v_add_u32_e32 v14, v14, v2
	v_add_u32_e32 v16, v1, v14
	v_and_b32_e32 v15, 1, v46
	v_sub_u32_e32 v16, v31, v16
	v_and_b32_e32 v12, 1, v47
	v_add_u32_e32 v16, 7, v16
	v_cmp_eq_u32_e32 vcc, 1, v15
	v_cndmask_b32_e32 v14, v16, v14, vcc
	v_cmp_eq_u32_e32 vcc, 1, v12
	v_cndmask_b32_e32 v1, v14, v1, vcc
	v_lshlrev_b32_e32 v1, 2, v1
	v_add_u32_e32 v59, v64, v59
	ds_write_b32 v1, v13
	v_sub_u32_e32 v13, v66, v5
	v_sub_u32_e32 v1, v59, v4
	v_add_u32_e32 v13, v13, v2
	v_add_u32_e32 v15, v1, v13
	v_and_b32_e32 v14, 1, v48
	v_sub_u32_e32 v15, v31, v15
	v_and_b32_e32 v12, 1, v49
	v_add_u32_e32 v15, 8, v15
	v_cmp_eq_u32_e32 vcc, 1, v14
	v_cndmask_b32_e32 v13, v15, v13, vcc
	v_cmp_eq_u32_e32 vcc, 1, v12
	v_cndmask_b32_e32 v1, v13, v1, vcc
	v_add_u32_e32 v67, v59, v70
	v_lshlrev_b32_e32 v1, 2, v1
	v_sub_u32_e32 v12, v68, v5
	ds_write_b32 v1, v10
	v_sub_u32_e32 v1, v67, v4
	v_add_u32_e32 v12, v12, v2
	v_add_u32_e32 v14, v1, v12
	v_and_b32_e32 v13, 1, v50
	v_sub_u32_e32 v14, v31, v14
	v_and_b32_e32 v10, 1, v51
	v_add_u32_e32 v14, 9, v14
	v_cmp_eq_u32_e32 vcc, 1, v13
	v_cndmask_b32_e32 v12, v14, v12, vcc
	v_cmp_eq_u32_e32 vcc, 1, v10
	v_cndmask_b32_e32 v1, v12, v1, vcc
	v_lshlrev_b32_e32 v1, 2, v1
	v_add_u32_e32 v60, v67, v60
	ds_write_b32 v1, v11
	v_sub_u32_e32 v11, v69, v5
	v_sub_u32_e32 v1, v60, v4
	v_add_u32_e32 v11, v11, v2
	v_add_u32_e32 v13, v1, v11
	v_and_b32_e32 v12, 1, v52
	v_sub_u32_e32 v13, v31, v13
	v_and_b32_e32 v10, 1, v53
	v_add_u32_e32 v13, 10, v13
	v_cmp_eq_u32_e32 vcc, 1, v12
	v_cndmask_b32_e32 v11, v13, v11, vcc
	v_cmp_eq_u32_e32 vcc, 1, v10
	v_cndmask_b32_e32 v1, v11, v1, vcc
	v_add_u32_e32 v70, v60, v72
	v_lshlrev_b32_e32 v1, 2, v1
	v_sub_u32_e32 v10, v71, v5
	ds_write_b32 v1, v8
	v_sub_u32_e32 v1, v70, v4
	v_add_u32_e32 v10, v10, v2
	v_add_u32_e32 v12, v1, v10
	v_and_b32_e32 v11, 1, v54
	v_sub_u32_e32 v12, v31, v12
	v_and_b32_e32 v8, 1, v55
	v_add_u32_e32 v12, 11, v12
	v_cmp_eq_u32_e32 vcc, 1, v11
	v_cndmask_b32_e32 v10, v12, v10, vcc
	v_cmp_eq_u32_e32 vcc, 1, v8
	v_cndmask_b32_e32 v1, v10, v1, vcc
	v_add_u32_e32 v72, v71, v79
	v_add_u32_e32 v61, v70, v61
	v_lshlrev_b32_e32 v1, 2, v1
	ds_write_b32 v1, v9
	v_sub_u32_e32 v1, v61, v4
	v_sub_u32_e32 v4, v72, v5
	v_add_u32_e32 v4, v4, v2
	v_add_u32_e32 v8, v1, v4
	v_sub_u32_e32 v8, v31, v8
	v_add_u32_e32 v8, 12, v8
	v_cndmask_b32_e64 v4, v8, v4, s[58:59]
	v_cndmask_b32_e64 v1, v4, v1, s[46:47]
	v_lshlrev_b32_e32 v1, 2, v1
	ds_write_b32 v1, v30
	v_add_co_u32_e32 v1, vcc, v3, v73
	v_addc_co_u32_e64 v4, s[2:3], 0, 0, vcc
	v_add_co_u32_e32 v1, vcc, v1, v22
	v_addc_co_u32_e32 v4, vcc, v4, v23, vcc
	s_add_u32 s4, s56, s33
	v_add_co_u32_e32 v1, vcc, v1, v6
	s_addc_u32 s5, s57, 0
	v_addc_co_u32_e32 v4, vcc, v4, v7, vcc
	v_mov_b32_e32 v8, s5
	v_sub_co_u32_e32 v1, vcc, s4, v1
	v_subb_co_u32_e32 v4, vcc, v8, v4, vcc
	v_lshlrev_b64 v[8:9], 2, v[22:23]
	v_mov_b32_e32 v10, s55
	v_add_co_u32_e32 v8, vcc, s54, v8
	v_addc_co_u32_e32 v9, vcc, v10, v9, vcc
	v_lshlrev_b64 v[10:11], 2, v[6:7]
	v_mov_b32_e32 v13, s53
	v_add_co_u32_e32 v10, vcc, s52, v10
	s_add_u32 s6, s34, -4
	v_addc_co_u32_e32 v11, vcc, v13, v11, vcc
	s_addc_u32 s7, s35, -1
	v_add_u32_e32 v12, v2, v3
	s_and_b64 vcc, exec, s[0:1]
	s_mov_b64 s[0:1], -1
	s_waitcnt lgkmcnt(0)
	s_barrier
	s_cbranch_vccz .LBB6_129
; %bb.126:
	s_and_b64 vcc, exec, s[0:1]
	s_cbranch_vccnz .LBB6_234
.LBB6_127:
	v_cmp_eq_u32_e32 vcc, 0, v0
	s_and_b64 s[0:1], vcc, s[30:31]
	s_and_saveexec_b64 s[2:3], s[0:1]
	s_cbranch_execnz .LBB6_352
.LBB6_128:
	s_endpgm
.LBB6_129:
	v_cmp_le_u32_e32 vcc, v2, v0
	s_and_saveexec_b64 s[0:1], vcc
	s_xor_b64 s[0:1], exec, s[0:1]
	s_cbranch_execz .LBB6_135
; %bb.130:
	v_cmp_le_u32_e32 vcc, v12, v0
	s_and_saveexec_b64 s[2:3], vcc
	s_xor_b64 s[2:3], exec, s[2:3]
	s_cbranch_execz .LBB6_132
; %bb.131:
	v_lshlrev_b32_e32 v13, 2, v0
	v_add_co_u32_e32 v14, vcc, v1, v0
	ds_read_b32 v13, v13
	v_addc_co_u32_e32 v15, vcc, 0, v4, vcc
	v_lshlrev_b64 v[14:15], 2, v[14:15]
	v_mov_b32_e32 v16, s35
	v_sub_co_u32_e32 v14, vcc, s34, v14
	v_subb_co_u32_e32 v15, vcc, v16, v15, vcc
	s_waitcnt lgkmcnt(0)
	global_store_dword v[14:15], v13, off offset:-4
.LBB6_132:
	s_andn2_saveexec_b64 s[2:3], s[2:3]
	s_cbranch_execz .LBB6_134
; %bb.133:
	v_lshlrev_b32_e32 v13, 2, v0
	ds_read_b32 v14, v13
	v_readfirstlane_b32 s4, v8
	v_readfirstlane_b32 s5, v9
	s_waitcnt lgkmcnt(0)
	s_nop 3
	global_store_dword v13, v14, s[4:5]
.LBB6_134:
	s_or_b64 exec, exec, s[2:3]
.LBB6_135:
	s_andn2_saveexec_b64 s[0:1], s[0:1]
	s_cbranch_execz .LBB6_137
; %bb.136:
	v_lshlrev_b32_e32 v13, 2, v0
	ds_read_b32 v14, v13
	v_readfirstlane_b32 s2, v10
	v_readfirstlane_b32 s3, v11
	s_waitcnt lgkmcnt(0)
	s_nop 3
	global_store_dword v13, v14, s[2:3]
.LBB6_137:
	s_or_b64 exec, exec, s[0:1]
	v_or_b32_e32 v13, 0x100, v0
	v_cmp_le_u32_e32 vcc, v2, v13
	s_and_saveexec_b64 s[0:1], vcc
	s_xor_b64 s[0:1], exec, s[0:1]
	s_cbranch_execz .LBB6_143
; %bb.138:
	v_cmp_le_u32_e32 vcc, v12, v13
	s_and_saveexec_b64 s[2:3], vcc
	s_xor_b64 s[2:3], exec, s[2:3]
	s_cbranch_execz .LBB6_140
; %bb.139:
	v_lshlrev_b32_e32 v13, 2, v0
	ds_read_b32 v13, v13 offset:1024
	v_add_co_u32_e32 v14, vcc, v1, v0
	v_addc_co_u32_e32 v15, vcc, 0, v4, vcc
	v_lshlrev_b64 v[14:15], 2, v[14:15]
	v_mov_b32_e32 v16, s7
	v_sub_co_u32_e32 v14, vcc, s6, v14
	v_subb_co_u32_e32 v15, vcc, v16, v15, vcc
	s_waitcnt lgkmcnt(0)
	global_store_dword v[14:15], v13, off offset:-1024
.LBB6_140:
	s_andn2_saveexec_b64 s[2:3], s[2:3]
	s_cbranch_execz .LBB6_142
; %bb.141:
	v_lshlrev_b32_e32 v13, 2, v0
	ds_read_b32 v14, v13 offset:1024
	v_readfirstlane_b32 s4, v8
	v_readfirstlane_b32 s5, v9
	s_waitcnt lgkmcnt(0)
	s_nop 3
	global_store_dword v13, v14, s[4:5] offset:1024
.LBB6_142:
	s_or_b64 exec, exec, s[2:3]
.LBB6_143:
	s_andn2_saveexec_b64 s[0:1], s[0:1]
	s_cbranch_execz .LBB6_145
; %bb.144:
	v_lshlrev_b32_e32 v13, 2, v0
	ds_read_b32 v14, v13 offset:1024
	v_readfirstlane_b32 s2, v10
	v_readfirstlane_b32 s3, v11
	s_waitcnt lgkmcnt(0)
	s_nop 3
	global_store_dword v13, v14, s[2:3] offset:1024
.LBB6_145:
	s_or_b64 exec, exec, s[0:1]
	v_or_b32_e32 v13, 0x200, v0
	v_cmp_le_u32_e32 vcc, v2, v13
	s_and_saveexec_b64 s[0:1], vcc
	s_xor_b64 s[0:1], exec, s[0:1]
	s_cbranch_execz .LBB6_151
; %bb.146:
	v_cmp_le_u32_e32 vcc, v12, v13
	s_and_saveexec_b64 s[2:3], vcc
	s_xor_b64 s[2:3], exec, s[2:3]
	s_cbranch_execz .LBB6_148
; %bb.147:
	v_lshlrev_b32_e32 v13, 2, v0
	ds_read_b32 v13, v13 offset:2048
	v_add_co_u32_e32 v14, vcc, v1, v0
	v_addc_co_u32_e32 v15, vcc, 0, v4, vcc
	v_lshlrev_b64 v[14:15], 2, v[14:15]
	v_mov_b32_e32 v16, s7
	v_sub_co_u32_e32 v14, vcc, s6, v14
	v_subb_co_u32_e32 v15, vcc, v16, v15, vcc
	s_waitcnt lgkmcnt(0)
	global_store_dword v[14:15], v13, off offset:-2048
.LBB6_148:
	s_andn2_saveexec_b64 s[2:3], s[2:3]
	s_cbranch_execz .LBB6_150
; %bb.149:
	v_lshlrev_b32_e32 v13, 2, v0
	ds_read_b32 v14, v13 offset:2048
	v_readfirstlane_b32 s4, v8
	v_readfirstlane_b32 s5, v9
	s_waitcnt lgkmcnt(0)
	s_nop 3
	global_store_dword v13, v14, s[4:5] offset:2048
.LBB6_150:
	s_or_b64 exec, exec, s[2:3]
.LBB6_151:
	s_andn2_saveexec_b64 s[0:1], s[0:1]
	s_cbranch_execz .LBB6_153
; %bb.152:
	v_lshlrev_b32_e32 v13, 2, v0
	ds_read_b32 v14, v13 offset:2048
	v_readfirstlane_b32 s2, v10
	v_readfirstlane_b32 s3, v11
	s_waitcnt lgkmcnt(0)
	s_nop 3
	global_store_dword v13, v14, s[2:3] offset:2048
.LBB6_153:
	;; [unrolled: 47-line block ×3, first 2 shown]
	s_or_b64 exec, exec, s[0:1]
	v_or_b32_e32 v13, 0x400, v0
	v_cmp_le_u32_e32 vcc, v2, v13
	s_and_saveexec_b64 s[0:1], vcc
	s_xor_b64 s[0:1], exec, s[0:1]
	s_cbranch_execz .LBB6_167
; %bb.162:
	v_cmp_le_u32_e32 vcc, v12, v13
	s_and_saveexec_b64 s[2:3], vcc
	s_xor_b64 s[2:3], exec, s[2:3]
	s_cbranch_execz .LBB6_164
; %bb.163:
	v_lshlrev_b32_e32 v13, 2, v0
	ds_read_b32 v13, v13 offset:4096
	v_add_co_u32_e32 v14, vcc, v1, v0
	v_addc_co_u32_e32 v15, vcc, 0, v4, vcc
	v_lshlrev_b64 v[14:15], 2, v[14:15]
	v_mov_b32_e32 v16, s7
	v_sub_co_u32_e32 v14, vcc, s6, v14
	v_subb_co_u32_e32 v15, vcc, v16, v15, vcc
	s_waitcnt lgkmcnt(0)
	global_store_dword v[14:15], v13, off offset:-4096
                                        ; implicit-def: $vgpr13
.LBB6_164:
	s_andn2_saveexec_b64 s[2:3], s[2:3]
	s_cbranch_execz .LBB6_166
; %bb.165:
	v_lshlrev_b32_e32 v14, 2, v0
	ds_read_b32 v14, v14 offset:4096
	v_lshlrev_b32_e32 v13, 2, v13
	v_readfirstlane_b32 s4, v8
	v_readfirstlane_b32 s5, v9
	s_waitcnt lgkmcnt(0)
	s_nop 3
	global_store_dword v13, v14, s[4:5]
.LBB6_166:
	s_or_b64 exec, exec, s[2:3]
                                        ; implicit-def: $vgpr13
.LBB6_167:
	s_andn2_saveexec_b64 s[0:1], s[0:1]
	s_cbranch_execz .LBB6_169
; %bb.168:
	v_lshlrev_b32_e32 v14, 2, v0
	ds_read_b32 v14, v14 offset:4096
	v_lshlrev_b32_e32 v13, 2, v13
	v_readfirstlane_b32 s2, v10
	v_readfirstlane_b32 s3, v11
	s_waitcnt lgkmcnt(0)
	s_nop 3
	global_store_dword v13, v14, s[2:3]
.LBB6_169:
	s_or_b64 exec, exec, s[0:1]
	v_or_b32_e32 v13, 0x500, v0
	v_cmp_le_u32_e32 vcc, v2, v13
	s_and_saveexec_b64 s[0:1], vcc
	s_xor_b64 s[0:1], exec, s[0:1]
	s_cbranch_execz .LBB6_175
; %bb.170:
	v_cmp_le_u32_e32 vcc, v12, v13
	s_and_saveexec_b64 s[2:3], vcc
	s_xor_b64 s[2:3], exec, s[2:3]
	s_cbranch_execz .LBB6_172
; %bb.171:
	v_add_co_u32_e32 v14, vcc, v1, v13
	v_lshlrev_b32_e32 v13, 2, v0
	ds_read_b32 v13, v13 offset:5120
	v_addc_co_u32_e32 v15, vcc, 0, v4, vcc
	v_lshlrev_b64 v[14:15], 2, v[14:15]
	v_mov_b32_e32 v16, s7
	v_sub_co_u32_e32 v14, vcc, s6, v14
	v_subb_co_u32_e32 v15, vcc, v16, v15, vcc
	s_waitcnt lgkmcnt(0)
	global_store_dword v[14:15], v13, off
                                        ; implicit-def: $vgpr13
.LBB6_172:
	s_andn2_saveexec_b64 s[2:3], s[2:3]
	s_cbranch_execz .LBB6_174
; %bb.173:
	v_lshlrev_b32_e32 v14, 2, v0
	ds_read_b32 v14, v14 offset:5120
	v_lshlrev_b32_e32 v13, 2, v13
	v_readfirstlane_b32 s4, v8
	v_readfirstlane_b32 s5, v9
	s_waitcnt lgkmcnt(0)
	s_nop 3
	global_store_dword v13, v14, s[4:5]
.LBB6_174:
	s_or_b64 exec, exec, s[2:3]
                                        ; implicit-def: $vgpr13
.LBB6_175:
	s_andn2_saveexec_b64 s[0:1], s[0:1]
	s_cbranch_execz .LBB6_177
; %bb.176:
	v_lshlrev_b32_e32 v14, 2, v0
	ds_read_b32 v14, v14 offset:5120
	v_lshlrev_b32_e32 v13, 2, v13
	v_readfirstlane_b32 s2, v10
	v_readfirstlane_b32 s3, v11
	s_waitcnt lgkmcnt(0)
	s_nop 3
	global_store_dword v13, v14, s[2:3]
.LBB6_177:
	s_or_b64 exec, exec, s[0:1]
	v_or_b32_e32 v13, 0x600, v0
	v_cmp_le_u32_e32 vcc, v2, v13
	s_and_saveexec_b64 s[0:1], vcc
	s_xor_b64 s[0:1], exec, s[0:1]
	s_cbranch_execz .LBB6_183
; %bb.178:
	v_cmp_le_u32_e32 vcc, v12, v13
	s_and_saveexec_b64 s[2:3], vcc
	s_xor_b64 s[2:3], exec, s[2:3]
	s_cbranch_execz .LBB6_180
; %bb.179:
	v_add_co_u32_e32 v14, vcc, v1, v13
	v_lshlrev_b32_e32 v13, 2, v0
	ds_read_b32 v13, v13 offset:6144
	v_addc_co_u32_e32 v15, vcc, 0, v4, vcc
	v_lshlrev_b64 v[14:15], 2, v[14:15]
	v_mov_b32_e32 v16, s7
	v_sub_co_u32_e32 v14, vcc, s6, v14
	v_subb_co_u32_e32 v15, vcc, v16, v15, vcc
	s_waitcnt lgkmcnt(0)
	global_store_dword v[14:15], v13, off
                                        ; implicit-def: $vgpr13
.LBB6_180:
	s_andn2_saveexec_b64 s[2:3], s[2:3]
	s_cbranch_execz .LBB6_182
; %bb.181:
	v_lshlrev_b32_e32 v14, 2, v0
	ds_read_b32 v14, v14 offset:6144
	v_lshlrev_b32_e32 v13, 2, v13
	v_readfirstlane_b32 s4, v8
	v_readfirstlane_b32 s5, v9
	s_waitcnt lgkmcnt(0)
	s_nop 3
	global_store_dword v13, v14, s[4:5]
.LBB6_182:
	s_or_b64 exec, exec, s[2:3]
                                        ; implicit-def: $vgpr13
.LBB6_183:
	;; [unrolled: 51-line block ×8, first 2 shown]
	s_andn2_saveexec_b64 s[0:1], s[0:1]
	s_cbranch_execz .LBB6_233
; %bb.232:
	v_lshlrev_b32_e32 v14, 2, v0
	ds_read_b32 v14, v14 offset:12288
	v_lshlrev_b32_e32 v13, 2, v13
	v_readfirstlane_b32 s2, v10
	v_readfirstlane_b32 s3, v11
	s_waitcnt lgkmcnt(0)
	s_nop 3
	global_store_dword v13, v14, s[2:3]
.LBB6_233:
	s_or_b64 exec, exec, s[0:1]
	s_branch .LBB6_127
.LBB6_234:
	v_cmp_gt_u32_e32 vcc, s18, v0
	s_and_saveexec_b64 s[0:1], vcc
	s_cbranch_execz .LBB6_243
; %bb.235:
	v_cmp_le_u32_e32 vcc, v2, v0
	s_and_saveexec_b64 s[2:3], vcc
	s_xor_b64 s[2:3], exec, s[2:3]
	s_cbranch_execz .LBB6_241
; %bb.236:
	v_cmp_le_u32_e32 vcc, v12, v0
	s_and_saveexec_b64 s[4:5], vcc
	s_xor_b64 s[4:5], exec, s[4:5]
	s_cbranch_execz .LBB6_238
; %bb.237:
	v_lshlrev_b32_e32 v13, 2, v0
	v_add_co_u32_e32 v14, vcc, v1, v0
	ds_read_b32 v13, v13
	v_addc_co_u32_e32 v15, vcc, 0, v4, vcc
	v_lshlrev_b64 v[14:15], 2, v[14:15]
	v_mov_b32_e32 v16, s35
	v_sub_co_u32_e32 v14, vcc, s34, v14
	v_subb_co_u32_e32 v15, vcc, v16, v15, vcc
	s_waitcnt lgkmcnt(0)
	global_store_dword v[14:15], v13, off offset:-4
.LBB6_238:
	s_andn2_saveexec_b64 s[4:5], s[4:5]
	s_cbranch_execz .LBB6_240
; %bb.239:
	v_lshlrev_b32_e32 v13, 2, v0
	ds_read_b32 v14, v13
	v_readfirstlane_b32 s8, v8
	v_readfirstlane_b32 s9, v9
	s_waitcnt lgkmcnt(0)
	s_nop 3
	global_store_dword v13, v14, s[8:9]
.LBB6_240:
	s_or_b64 exec, exec, s[4:5]
.LBB6_241:
	s_andn2_saveexec_b64 s[2:3], s[2:3]
	s_cbranch_execz .LBB6_243
; %bb.242:
	v_lshlrev_b32_e32 v13, 2, v0
	ds_read_b32 v14, v13
	v_readfirstlane_b32 s2, v10
	v_readfirstlane_b32 s3, v11
	s_waitcnt lgkmcnt(0)
	s_nop 3
	global_store_dword v13, v14, s[2:3]
.LBB6_243:
	s_or_b64 exec, exec, s[0:1]
	v_or_b32_e32 v13, 0x100, v0
	v_cmp_gt_u32_e32 vcc, s18, v13
	s_and_saveexec_b64 s[0:1], vcc
	s_cbranch_execz .LBB6_252
; %bb.244:
	v_cmp_le_u32_e32 vcc, v2, v13
	s_and_saveexec_b64 s[2:3], vcc
	s_xor_b64 s[2:3], exec, s[2:3]
	s_cbranch_execz .LBB6_250
; %bb.245:
	v_cmp_le_u32_e32 vcc, v12, v13
	s_and_saveexec_b64 s[4:5], vcc
	s_xor_b64 s[4:5], exec, s[4:5]
	s_cbranch_execz .LBB6_247
; %bb.246:
	v_lshlrev_b32_e32 v13, 2, v0
	ds_read_b32 v13, v13 offset:1024
	v_add_co_u32_e32 v14, vcc, v1, v0
	v_addc_co_u32_e32 v15, vcc, 0, v4, vcc
	v_lshlrev_b64 v[14:15], 2, v[14:15]
	v_mov_b32_e32 v16, s7
	v_sub_co_u32_e32 v14, vcc, s6, v14
	v_subb_co_u32_e32 v15, vcc, v16, v15, vcc
	s_waitcnt lgkmcnt(0)
	global_store_dword v[14:15], v13, off offset:-1024
.LBB6_247:
	s_andn2_saveexec_b64 s[4:5], s[4:5]
	s_cbranch_execz .LBB6_249
; %bb.248:
	v_lshlrev_b32_e32 v13, 2, v0
	ds_read_b32 v14, v13 offset:1024
	v_readfirstlane_b32 s8, v8
	v_readfirstlane_b32 s9, v9
	s_waitcnt lgkmcnt(0)
	s_nop 3
	global_store_dword v13, v14, s[8:9] offset:1024
.LBB6_249:
	s_or_b64 exec, exec, s[4:5]
.LBB6_250:
	s_andn2_saveexec_b64 s[2:3], s[2:3]
	s_cbranch_execz .LBB6_252
; %bb.251:
	v_lshlrev_b32_e32 v13, 2, v0
	ds_read_b32 v14, v13 offset:1024
	v_readfirstlane_b32 s2, v10
	v_readfirstlane_b32 s3, v11
	s_waitcnt lgkmcnt(0)
	s_nop 3
	global_store_dword v13, v14, s[2:3] offset:1024
.LBB6_252:
	s_or_b64 exec, exec, s[0:1]
	v_or_b32_e32 v13, 0x200, v0
	v_cmp_gt_u32_e32 vcc, s18, v13
	s_and_saveexec_b64 s[0:1], vcc
	s_cbranch_execz .LBB6_261
; %bb.253:
	v_cmp_le_u32_e32 vcc, v2, v13
	s_and_saveexec_b64 s[2:3], vcc
	s_xor_b64 s[2:3], exec, s[2:3]
	s_cbranch_execz .LBB6_259
; %bb.254:
	v_cmp_le_u32_e32 vcc, v12, v13
	s_and_saveexec_b64 s[4:5], vcc
	s_xor_b64 s[4:5], exec, s[4:5]
	s_cbranch_execz .LBB6_256
; %bb.255:
	v_lshlrev_b32_e32 v13, 2, v0
	ds_read_b32 v13, v13 offset:2048
	v_add_co_u32_e32 v14, vcc, v1, v0
	v_addc_co_u32_e32 v15, vcc, 0, v4, vcc
	v_lshlrev_b64 v[14:15], 2, v[14:15]
	v_mov_b32_e32 v16, s7
	v_sub_co_u32_e32 v14, vcc, s6, v14
	v_subb_co_u32_e32 v15, vcc, v16, v15, vcc
	s_waitcnt lgkmcnt(0)
	global_store_dword v[14:15], v13, off offset:-2048
.LBB6_256:
	s_andn2_saveexec_b64 s[4:5], s[4:5]
	s_cbranch_execz .LBB6_258
; %bb.257:
	v_lshlrev_b32_e32 v13, 2, v0
	ds_read_b32 v14, v13 offset:2048
	v_readfirstlane_b32 s8, v8
	v_readfirstlane_b32 s9, v9
	s_waitcnt lgkmcnt(0)
	s_nop 3
	global_store_dword v13, v14, s[8:9] offset:2048
.LBB6_258:
	s_or_b64 exec, exec, s[4:5]
.LBB6_259:
	s_andn2_saveexec_b64 s[2:3], s[2:3]
	s_cbranch_execz .LBB6_261
; %bb.260:
	v_lshlrev_b32_e32 v13, 2, v0
	ds_read_b32 v14, v13 offset:2048
	v_readfirstlane_b32 s2, v10
	v_readfirstlane_b32 s3, v11
	s_waitcnt lgkmcnt(0)
	s_nop 3
	global_store_dword v13, v14, s[2:3] offset:2048
.LBB6_261:
	;; [unrolled: 51-line block ×3, first 2 shown]
	s_or_b64 exec, exec, s[0:1]
	v_or_b32_e32 v13, 0x400, v0
	v_cmp_gt_u32_e32 vcc, s18, v13
	s_and_saveexec_b64 s[0:1], vcc
	s_cbranch_execz .LBB6_279
; %bb.271:
	v_cmp_le_u32_e32 vcc, v2, v13
	s_and_saveexec_b64 s[2:3], vcc
	s_xor_b64 s[2:3], exec, s[2:3]
	s_cbranch_execz .LBB6_277
; %bb.272:
	v_cmp_le_u32_e32 vcc, v12, v13
	s_and_saveexec_b64 s[4:5], vcc
	s_xor_b64 s[4:5], exec, s[4:5]
	s_cbranch_execz .LBB6_274
; %bb.273:
	v_lshlrev_b32_e32 v13, 2, v0
	ds_read_b32 v13, v13 offset:4096
	v_add_co_u32_e32 v14, vcc, v1, v0
	v_addc_co_u32_e32 v15, vcc, 0, v4, vcc
	v_lshlrev_b64 v[14:15], 2, v[14:15]
	v_mov_b32_e32 v16, s7
	v_sub_co_u32_e32 v14, vcc, s6, v14
	v_subb_co_u32_e32 v15, vcc, v16, v15, vcc
	s_waitcnt lgkmcnt(0)
	global_store_dword v[14:15], v13, off offset:-4096
                                        ; implicit-def: $vgpr13
.LBB6_274:
	s_andn2_saveexec_b64 s[4:5], s[4:5]
	s_cbranch_execz .LBB6_276
; %bb.275:
	v_lshlrev_b32_e32 v14, 2, v0
	ds_read_b32 v14, v14 offset:4096
	v_lshlrev_b32_e32 v13, 2, v13
	v_readfirstlane_b32 s8, v8
	v_readfirstlane_b32 s9, v9
	s_waitcnt lgkmcnt(0)
	s_nop 3
	global_store_dword v13, v14, s[8:9]
.LBB6_276:
	s_or_b64 exec, exec, s[4:5]
                                        ; implicit-def: $vgpr13
.LBB6_277:
	s_andn2_saveexec_b64 s[2:3], s[2:3]
	s_cbranch_execz .LBB6_279
; %bb.278:
	v_lshlrev_b32_e32 v14, 2, v0
	ds_read_b32 v14, v14 offset:4096
	v_lshlrev_b32_e32 v13, 2, v13
	v_readfirstlane_b32 s2, v10
	v_readfirstlane_b32 s3, v11
	s_waitcnt lgkmcnt(0)
	s_nop 3
	global_store_dword v13, v14, s[2:3]
.LBB6_279:
	s_or_b64 exec, exec, s[0:1]
	v_or_b32_e32 v13, 0x500, v0
	v_cmp_gt_u32_e32 vcc, s18, v13
	s_and_saveexec_b64 s[0:1], vcc
	s_cbranch_execz .LBB6_288
; %bb.280:
	v_cmp_le_u32_e32 vcc, v2, v13
	s_and_saveexec_b64 s[2:3], vcc
	s_xor_b64 s[2:3], exec, s[2:3]
	s_cbranch_execz .LBB6_286
; %bb.281:
	v_cmp_le_u32_e32 vcc, v12, v13
	s_and_saveexec_b64 s[4:5], vcc
	s_xor_b64 s[4:5], exec, s[4:5]
	s_cbranch_execz .LBB6_283
; %bb.282:
	v_add_co_u32_e32 v14, vcc, v1, v13
	v_lshlrev_b32_e32 v13, 2, v0
	ds_read_b32 v13, v13 offset:5120
	v_addc_co_u32_e32 v15, vcc, 0, v4, vcc
	v_lshlrev_b64 v[14:15], 2, v[14:15]
	v_mov_b32_e32 v16, s7
	v_sub_co_u32_e32 v14, vcc, s6, v14
	v_subb_co_u32_e32 v15, vcc, v16, v15, vcc
	s_waitcnt lgkmcnt(0)
	global_store_dword v[14:15], v13, off
                                        ; implicit-def: $vgpr13
.LBB6_283:
	s_andn2_saveexec_b64 s[4:5], s[4:5]
	s_cbranch_execz .LBB6_285
; %bb.284:
	v_lshlrev_b32_e32 v14, 2, v0
	ds_read_b32 v14, v14 offset:5120
	v_lshlrev_b32_e32 v13, 2, v13
	v_readfirstlane_b32 s8, v8
	v_readfirstlane_b32 s9, v9
	s_waitcnt lgkmcnt(0)
	s_nop 3
	global_store_dword v13, v14, s[8:9]
.LBB6_285:
	s_or_b64 exec, exec, s[4:5]
                                        ; implicit-def: $vgpr13
.LBB6_286:
	s_andn2_saveexec_b64 s[2:3], s[2:3]
	s_cbranch_execz .LBB6_288
; %bb.287:
	v_lshlrev_b32_e32 v14, 2, v0
	ds_read_b32 v14, v14 offset:5120
	v_lshlrev_b32_e32 v13, 2, v13
	v_readfirstlane_b32 s2, v10
	v_readfirstlane_b32 s3, v11
	s_waitcnt lgkmcnt(0)
	s_nop 3
	global_store_dword v13, v14, s[2:3]
.LBB6_288:
	s_or_b64 exec, exec, s[0:1]
	v_or_b32_e32 v13, 0x600, v0
	v_cmp_gt_u32_e32 vcc, s18, v13
	s_and_saveexec_b64 s[0:1], vcc
	s_cbranch_execz .LBB6_297
; %bb.289:
	v_cmp_le_u32_e32 vcc, v2, v13
	s_and_saveexec_b64 s[2:3], vcc
	s_xor_b64 s[2:3], exec, s[2:3]
	s_cbranch_execz .LBB6_295
; %bb.290:
	v_cmp_le_u32_e32 vcc, v12, v13
	s_and_saveexec_b64 s[4:5], vcc
	s_xor_b64 s[4:5], exec, s[4:5]
	s_cbranch_execz .LBB6_292
; %bb.291:
	v_add_co_u32_e32 v14, vcc, v1, v13
	v_lshlrev_b32_e32 v13, 2, v0
	ds_read_b32 v13, v13 offset:6144
	v_addc_co_u32_e32 v15, vcc, 0, v4, vcc
	v_lshlrev_b64 v[14:15], 2, v[14:15]
	v_mov_b32_e32 v16, s7
	v_sub_co_u32_e32 v14, vcc, s6, v14
	v_subb_co_u32_e32 v15, vcc, v16, v15, vcc
	s_waitcnt lgkmcnt(0)
	global_store_dword v[14:15], v13, off
                                        ; implicit-def: $vgpr13
.LBB6_292:
	s_andn2_saveexec_b64 s[4:5], s[4:5]
	s_cbranch_execz .LBB6_294
; %bb.293:
	v_lshlrev_b32_e32 v14, 2, v0
	ds_read_b32 v14, v14 offset:6144
	v_lshlrev_b32_e32 v13, 2, v13
	v_readfirstlane_b32 s8, v8
	v_readfirstlane_b32 s9, v9
	s_waitcnt lgkmcnt(0)
	s_nop 3
	global_store_dword v13, v14, s[8:9]
.LBB6_294:
	s_or_b64 exec, exec, s[4:5]
                                        ; implicit-def: $vgpr13
.LBB6_295:
	s_andn2_saveexec_b64 s[2:3], s[2:3]
	s_cbranch_execz .LBB6_297
; %bb.296:
	v_lshlrev_b32_e32 v14, 2, v0
	ds_read_b32 v14, v14 offset:6144
	v_lshlrev_b32_e32 v13, 2, v13
	v_readfirstlane_b32 s2, v10
	v_readfirstlane_b32 s3, v11
	s_waitcnt lgkmcnt(0)
	s_nop 3
	global_store_dword v13, v14, s[2:3]
.LBB6_297:
	;; [unrolled: 55-line block ×7, first 2 shown]
	s_or_b64 exec, exec, s[0:1]
	v_or_b32_e32 v13, 0xc00, v0
	v_cmp_gt_u32_e32 vcc, s18, v13
	s_and_saveexec_b64 s[0:1], vcc
	s_cbranch_execz .LBB6_351
; %bb.343:
	v_cmp_le_u32_e32 vcc, v2, v13
	s_and_saveexec_b64 s[2:3], vcc
	s_xor_b64 s[2:3], exec, s[2:3]
	s_cbranch_execz .LBB6_349
; %bb.344:
	v_cmp_le_u32_e32 vcc, v12, v13
	s_and_saveexec_b64 s[4:5], vcc
	s_xor_b64 s[4:5], exec, s[4:5]
	s_cbranch_execz .LBB6_346
; %bb.345:
	v_add_co_u32_e32 v8, vcc, v1, v13
	v_lshlrev_b32_e32 v1, 2, v0
	ds_read_b32 v1, v1 offset:12288
	v_addc_co_u32_e32 v9, vcc, 0, v4, vcc
	v_lshlrev_b64 v[8:9], 2, v[8:9]
	v_mov_b32_e32 v4, s7
	v_sub_co_u32_e32 v8, vcc, s6, v8
	v_subb_co_u32_e32 v9, vcc, v4, v9, vcc
	s_waitcnt lgkmcnt(0)
	global_store_dword v[8:9], v1, off
                                        ; implicit-def: $vgpr13
                                        ; implicit-def: $vgpr8_vgpr9
.LBB6_346:
	s_andn2_saveexec_b64 s[4:5], s[4:5]
	s_cbranch_execz .LBB6_348
; %bb.347:
	v_lshlrev_b32_e32 v1, 2, v0
	ds_read_b32 v1, v1 offset:12288
	v_lshlrev_b32_e32 v4, 2, v13
	v_readfirstlane_b32 s6, v8
	v_readfirstlane_b32 s7, v9
	s_waitcnt lgkmcnt(0)
	s_nop 3
	global_store_dword v4, v1, s[6:7]
.LBB6_348:
	s_or_b64 exec, exec, s[4:5]
                                        ; implicit-def: $vgpr13
                                        ; implicit-def: $vgpr10_vgpr11
.LBB6_349:
	s_andn2_saveexec_b64 s[2:3], s[2:3]
	s_cbranch_execz .LBB6_351
; %bb.350:
	v_lshlrev_b32_e32 v1, 2, v0
	ds_read_b32 v1, v1 offset:12288
	v_lshlrev_b32_e32 v4, 2, v13
	v_readfirstlane_b32 s2, v10
	v_readfirstlane_b32 s3, v11
	s_waitcnt lgkmcnt(0)
	s_nop 3
	global_store_dword v4, v1, s[2:3]
.LBB6_351:
	s_or_b64 exec, exec, s[0:1]
	v_cmp_eq_u32_e32 vcc, 0, v0
	s_and_b64 s[0:1], vcc, s[30:31]
	s_and_saveexec_b64 s[2:3], s[0:1]
	s_cbranch_execz .LBB6_128
.LBB6_352:
	v_add_co_u32_e32 v0, vcc, v6, v2
	v_addc_co_u32_e32 v1, vcc, 0, v7, vcc
	v_mov_b32_e32 v2, s51
	v_add_co_u32_e32 v3, vcc, s50, v3
	v_addc_co_u32_e32 v6, vcc, 0, v2, vcc
	v_add_co_u32_e32 v2, vcc, v3, v5
	v_mov_b32_e32 v4, 0
	v_addc_co_u32_e32 v3, vcc, 0, v6, vcc
	global_store_dwordx4 v4, v[0:3], s[44:45]
	s_endpgm
	.section	.rodata,"a",@progbits
	.p2align	6, 0x0
	.amdhsa_kernel _ZN7rocprim17ROCPRIM_400000_NS6detail17trampoline_kernelINS0_13select_configILj256ELj13ELNS0_17block_load_methodE3ELS4_3ELS4_3ELNS0_20block_scan_algorithmE0ELj4294967295EEENS1_25partition_config_selectorILNS1_17partition_subalgoE4EjNS0_10empty_typeEbEEZZNS1_14partition_implILS8_4ELb0ES6_15HIP_vector_typeIjLj2EENS0_17counting_iteratorIjlEEPS9_SG_NS0_5tupleIJPjSI_NS0_16reverse_iteratorISI_EEEEENSH_IJSG_SG_SG_EEES9_SI_JZNS1_25segmented_radix_sort_implINS0_14default_configELb1EPKhPhPKlPlN2at6native12_GLOBAL__N_18offset_tEEE10hipError_tPvRmT1_PNSt15iterator_traitsIS12_E10value_typeET2_T3_PNS13_IS18_E10value_typeET4_jRbjT5_S1E_jjP12ihipStream_tbEUljE_ZNSN_ISO_Lb1ESQ_SR_ST_SU_SY_EESZ_S10_S11_S12_S16_S17_S18_S1B_S1C_jS1D_jS1E_S1E_jjS1G_bEUljE0_EEESZ_S10_S11_S18_S1C_S1E_T6_T7_T9_mT8_S1G_bDpT10_ENKUlT_T0_E_clISt17integral_constantIbLb0EES1U_EEDaS1P_S1Q_EUlS1P_E_NS1_11comp_targetILNS1_3genE4ELNS1_11target_archE910ELNS1_3gpuE8ELNS1_3repE0EEENS1_30default_config_static_selectorELNS0_4arch9wavefront6targetE1EEEvS12_
		.amdhsa_group_segment_fixed_size 13340
		.amdhsa_private_segment_fixed_size 0
		.amdhsa_kernarg_size 176
		.amdhsa_user_sgpr_count 6
		.amdhsa_user_sgpr_private_segment_buffer 1
		.amdhsa_user_sgpr_dispatch_ptr 0
		.amdhsa_user_sgpr_queue_ptr 0
		.amdhsa_user_sgpr_kernarg_segment_ptr 1
		.amdhsa_user_sgpr_dispatch_id 0
		.amdhsa_user_sgpr_flat_scratch_init 0
		.amdhsa_user_sgpr_kernarg_preload_length 0
		.amdhsa_user_sgpr_kernarg_preload_offset 0
		.amdhsa_user_sgpr_private_segment_size 0
		.amdhsa_uses_dynamic_stack 0
		.amdhsa_system_sgpr_private_segment_wavefront_offset 0
		.amdhsa_system_sgpr_workgroup_id_x 1
		.amdhsa_system_sgpr_workgroup_id_y 0
		.amdhsa_system_sgpr_workgroup_id_z 0
		.amdhsa_system_sgpr_workgroup_info 0
		.amdhsa_system_vgpr_workitem_id 0
		.amdhsa_next_free_vgpr 102
		.amdhsa_next_free_sgpr 90
		.amdhsa_accum_offset 104
		.amdhsa_reserve_vcc 1
		.amdhsa_reserve_flat_scratch 0
		.amdhsa_float_round_mode_32 0
		.amdhsa_float_round_mode_16_64 0
		.amdhsa_float_denorm_mode_32 3
		.amdhsa_float_denorm_mode_16_64 3
		.amdhsa_dx10_clamp 1
		.amdhsa_ieee_mode 1
		.amdhsa_fp16_overflow 0
		.amdhsa_tg_split 0
		.amdhsa_exception_fp_ieee_invalid_op 0
		.amdhsa_exception_fp_denorm_src 0
		.amdhsa_exception_fp_ieee_div_zero 0
		.amdhsa_exception_fp_ieee_overflow 0
		.amdhsa_exception_fp_ieee_underflow 0
		.amdhsa_exception_fp_ieee_inexact 0
		.amdhsa_exception_int_div_zero 0
	.end_amdhsa_kernel
	.section	.text._ZN7rocprim17ROCPRIM_400000_NS6detail17trampoline_kernelINS0_13select_configILj256ELj13ELNS0_17block_load_methodE3ELS4_3ELS4_3ELNS0_20block_scan_algorithmE0ELj4294967295EEENS1_25partition_config_selectorILNS1_17partition_subalgoE4EjNS0_10empty_typeEbEEZZNS1_14partition_implILS8_4ELb0ES6_15HIP_vector_typeIjLj2EENS0_17counting_iteratorIjlEEPS9_SG_NS0_5tupleIJPjSI_NS0_16reverse_iteratorISI_EEEEENSH_IJSG_SG_SG_EEES9_SI_JZNS1_25segmented_radix_sort_implINS0_14default_configELb1EPKhPhPKlPlN2at6native12_GLOBAL__N_18offset_tEEE10hipError_tPvRmT1_PNSt15iterator_traitsIS12_E10value_typeET2_T3_PNS13_IS18_E10value_typeET4_jRbjT5_S1E_jjP12ihipStream_tbEUljE_ZNSN_ISO_Lb1ESQ_SR_ST_SU_SY_EESZ_S10_S11_S12_S16_S17_S18_S1B_S1C_jS1D_jS1E_S1E_jjS1G_bEUljE0_EEESZ_S10_S11_S18_S1C_S1E_T6_T7_T9_mT8_S1G_bDpT10_ENKUlT_T0_E_clISt17integral_constantIbLb0EES1U_EEDaS1P_S1Q_EUlS1P_E_NS1_11comp_targetILNS1_3genE4ELNS1_11target_archE910ELNS1_3gpuE8ELNS1_3repE0EEENS1_30default_config_static_selectorELNS0_4arch9wavefront6targetE1EEEvS12_,"axG",@progbits,_ZN7rocprim17ROCPRIM_400000_NS6detail17trampoline_kernelINS0_13select_configILj256ELj13ELNS0_17block_load_methodE3ELS4_3ELS4_3ELNS0_20block_scan_algorithmE0ELj4294967295EEENS1_25partition_config_selectorILNS1_17partition_subalgoE4EjNS0_10empty_typeEbEEZZNS1_14partition_implILS8_4ELb0ES6_15HIP_vector_typeIjLj2EENS0_17counting_iteratorIjlEEPS9_SG_NS0_5tupleIJPjSI_NS0_16reverse_iteratorISI_EEEEENSH_IJSG_SG_SG_EEES9_SI_JZNS1_25segmented_radix_sort_implINS0_14default_configELb1EPKhPhPKlPlN2at6native12_GLOBAL__N_18offset_tEEE10hipError_tPvRmT1_PNSt15iterator_traitsIS12_E10value_typeET2_T3_PNS13_IS18_E10value_typeET4_jRbjT5_S1E_jjP12ihipStream_tbEUljE_ZNSN_ISO_Lb1ESQ_SR_ST_SU_SY_EESZ_S10_S11_S12_S16_S17_S18_S1B_S1C_jS1D_jS1E_S1E_jjS1G_bEUljE0_EEESZ_S10_S11_S18_S1C_S1E_T6_T7_T9_mT8_S1G_bDpT10_ENKUlT_T0_E_clISt17integral_constantIbLb0EES1U_EEDaS1P_S1Q_EUlS1P_E_NS1_11comp_targetILNS1_3genE4ELNS1_11target_archE910ELNS1_3gpuE8ELNS1_3repE0EEENS1_30default_config_static_selectorELNS0_4arch9wavefront6targetE1EEEvS12_,comdat
.Lfunc_end6:
	.size	_ZN7rocprim17ROCPRIM_400000_NS6detail17trampoline_kernelINS0_13select_configILj256ELj13ELNS0_17block_load_methodE3ELS4_3ELS4_3ELNS0_20block_scan_algorithmE0ELj4294967295EEENS1_25partition_config_selectorILNS1_17partition_subalgoE4EjNS0_10empty_typeEbEEZZNS1_14partition_implILS8_4ELb0ES6_15HIP_vector_typeIjLj2EENS0_17counting_iteratorIjlEEPS9_SG_NS0_5tupleIJPjSI_NS0_16reverse_iteratorISI_EEEEENSH_IJSG_SG_SG_EEES9_SI_JZNS1_25segmented_radix_sort_implINS0_14default_configELb1EPKhPhPKlPlN2at6native12_GLOBAL__N_18offset_tEEE10hipError_tPvRmT1_PNSt15iterator_traitsIS12_E10value_typeET2_T3_PNS13_IS18_E10value_typeET4_jRbjT5_S1E_jjP12ihipStream_tbEUljE_ZNSN_ISO_Lb1ESQ_SR_ST_SU_SY_EESZ_S10_S11_S12_S16_S17_S18_S1B_S1C_jS1D_jS1E_S1E_jjS1G_bEUljE0_EEESZ_S10_S11_S18_S1C_S1E_T6_T7_T9_mT8_S1G_bDpT10_ENKUlT_T0_E_clISt17integral_constantIbLb0EES1U_EEDaS1P_S1Q_EUlS1P_E_NS1_11comp_targetILNS1_3genE4ELNS1_11target_archE910ELNS1_3gpuE8ELNS1_3repE0EEENS1_30default_config_static_selectorELNS0_4arch9wavefront6targetE1EEEvS12_, .Lfunc_end6-_ZN7rocprim17ROCPRIM_400000_NS6detail17trampoline_kernelINS0_13select_configILj256ELj13ELNS0_17block_load_methodE3ELS4_3ELS4_3ELNS0_20block_scan_algorithmE0ELj4294967295EEENS1_25partition_config_selectorILNS1_17partition_subalgoE4EjNS0_10empty_typeEbEEZZNS1_14partition_implILS8_4ELb0ES6_15HIP_vector_typeIjLj2EENS0_17counting_iteratorIjlEEPS9_SG_NS0_5tupleIJPjSI_NS0_16reverse_iteratorISI_EEEEENSH_IJSG_SG_SG_EEES9_SI_JZNS1_25segmented_radix_sort_implINS0_14default_configELb1EPKhPhPKlPlN2at6native12_GLOBAL__N_18offset_tEEE10hipError_tPvRmT1_PNSt15iterator_traitsIS12_E10value_typeET2_T3_PNS13_IS18_E10value_typeET4_jRbjT5_S1E_jjP12ihipStream_tbEUljE_ZNSN_ISO_Lb1ESQ_SR_ST_SU_SY_EESZ_S10_S11_S12_S16_S17_S18_S1B_S1C_jS1D_jS1E_S1E_jjS1G_bEUljE0_EEESZ_S10_S11_S18_S1C_S1E_T6_T7_T9_mT8_S1G_bDpT10_ENKUlT_T0_E_clISt17integral_constantIbLb0EES1U_EEDaS1P_S1Q_EUlS1P_E_NS1_11comp_targetILNS1_3genE4ELNS1_11target_archE910ELNS1_3gpuE8ELNS1_3repE0EEENS1_30default_config_static_selectorELNS0_4arch9wavefront6targetE1EEEvS12_
                                        ; -- End function
	.section	.AMDGPU.csdata,"",@progbits
; Kernel info:
; codeLenInByte = 13332
; NumSgprs: 94
; NumVgprs: 102
; NumAgprs: 0
; TotalNumVgprs: 102
; ScratchSize: 0
; MemoryBound: 0
; FloatMode: 240
; IeeeMode: 1
; LDSByteSize: 13340 bytes/workgroup (compile time only)
; SGPRBlocks: 11
; VGPRBlocks: 12
; NumSGPRsForWavesPerEU: 94
; NumVGPRsForWavesPerEU: 102
; AccumOffset: 104
; Occupancy: 4
; WaveLimiterHint : 1
; COMPUTE_PGM_RSRC2:SCRATCH_EN: 0
; COMPUTE_PGM_RSRC2:USER_SGPR: 6
; COMPUTE_PGM_RSRC2:TRAP_HANDLER: 0
; COMPUTE_PGM_RSRC2:TGID_X_EN: 1
; COMPUTE_PGM_RSRC2:TGID_Y_EN: 0
; COMPUTE_PGM_RSRC2:TGID_Z_EN: 0
; COMPUTE_PGM_RSRC2:TIDIG_COMP_CNT: 0
; COMPUTE_PGM_RSRC3_GFX90A:ACCUM_OFFSET: 25
; COMPUTE_PGM_RSRC3_GFX90A:TG_SPLIT: 0
	.section	.text._ZN7rocprim17ROCPRIM_400000_NS6detail17trampoline_kernelINS0_13select_configILj256ELj13ELNS0_17block_load_methodE3ELS4_3ELS4_3ELNS0_20block_scan_algorithmE0ELj4294967295EEENS1_25partition_config_selectorILNS1_17partition_subalgoE4EjNS0_10empty_typeEbEEZZNS1_14partition_implILS8_4ELb0ES6_15HIP_vector_typeIjLj2EENS0_17counting_iteratorIjlEEPS9_SG_NS0_5tupleIJPjSI_NS0_16reverse_iteratorISI_EEEEENSH_IJSG_SG_SG_EEES9_SI_JZNS1_25segmented_radix_sort_implINS0_14default_configELb1EPKhPhPKlPlN2at6native12_GLOBAL__N_18offset_tEEE10hipError_tPvRmT1_PNSt15iterator_traitsIS12_E10value_typeET2_T3_PNS13_IS18_E10value_typeET4_jRbjT5_S1E_jjP12ihipStream_tbEUljE_ZNSN_ISO_Lb1ESQ_SR_ST_SU_SY_EESZ_S10_S11_S12_S16_S17_S18_S1B_S1C_jS1D_jS1E_S1E_jjS1G_bEUljE0_EEESZ_S10_S11_S18_S1C_S1E_T6_T7_T9_mT8_S1G_bDpT10_ENKUlT_T0_E_clISt17integral_constantIbLb0EES1U_EEDaS1P_S1Q_EUlS1P_E_NS1_11comp_targetILNS1_3genE3ELNS1_11target_archE908ELNS1_3gpuE7ELNS1_3repE0EEENS1_30default_config_static_selectorELNS0_4arch9wavefront6targetE1EEEvS12_,"axG",@progbits,_ZN7rocprim17ROCPRIM_400000_NS6detail17trampoline_kernelINS0_13select_configILj256ELj13ELNS0_17block_load_methodE3ELS4_3ELS4_3ELNS0_20block_scan_algorithmE0ELj4294967295EEENS1_25partition_config_selectorILNS1_17partition_subalgoE4EjNS0_10empty_typeEbEEZZNS1_14partition_implILS8_4ELb0ES6_15HIP_vector_typeIjLj2EENS0_17counting_iteratorIjlEEPS9_SG_NS0_5tupleIJPjSI_NS0_16reverse_iteratorISI_EEEEENSH_IJSG_SG_SG_EEES9_SI_JZNS1_25segmented_radix_sort_implINS0_14default_configELb1EPKhPhPKlPlN2at6native12_GLOBAL__N_18offset_tEEE10hipError_tPvRmT1_PNSt15iterator_traitsIS12_E10value_typeET2_T3_PNS13_IS18_E10value_typeET4_jRbjT5_S1E_jjP12ihipStream_tbEUljE_ZNSN_ISO_Lb1ESQ_SR_ST_SU_SY_EESZ_S10_S11_S12_S16_S17_S18_S1B_S1C_jS1D_jS1E_S1E_jjS1G_bEUljE0_EEESZ_S10_S11_S18_S1C_S1E_T6_T7_T9_mT8_S1G_bDpT10_ENKUlT_T0_E_clISt17integral_constantIbLb0EES1U_EEDaS1P_S1Q_EUlS1P_E_NS1_11comp_targetILNS1_3genE3ELNS1_11target_archE908ELNS1_3gpuE7ELNS1_3repE0EEENS1_30default_config_static_selectorELNS0_4arch9wavefront6targetE1EEEvS12_,comdat
	.globl	_ZN7rocprim17ROCPRIM_400000_NS6detail17trampoline_kernelINS0_13select_configILj256ELj13ELNS0_17block_load_methodE3ELS4_3ELS4_3ELNS0_20block_scan_algorithmE0ELj4294967295EEENS1_25partition_config_selectorILNS1_17partition_subalgoE4EjNS0_10empty_typeEbEEZZNS1_14partition_implILS8_4ELb0ES6_15HIP_vector_typeIjLj2EENS0_17counting_iteratorIjlEEPS9_SG_NS0_5tupleIJPjSI_NS0_16reverse_iteratorISI_EEEEENSH_IJSG_SG_SG_EEES9_SI_JZNS1_25segmented_radix_sort_implINS0_14default_configELb1EPKhPhPKlPlN2at6native12_GLOBAL__N_18offset_tEEE10hipError_tPvRmT1_PNSt15iterator_traitsIS12_E10value_typeET2_T3_PNS13_IS18_E10value_typeET4_jRbjT5_S1E_jjP12ihipStream_tbEUljE_ZNSN_ISO_Lb1ESQ_SR_ST_SU_SY_EESZ_S10_S11_S12_S16_S17_S18_S1B_S1C_jS1D_jS1E_S1E_jjS1G_bEUljE0_EEESZ_S10_S11_S18_S1C_S1E_T6_T7_T9_mT8_S1G_bDpT10_ENKUlT_T0_E_clISt17integral_constantIbLb0EES1U_EEDaS1P_S1Q_EUlS1P_E_NS1_11comp_targetILNS1_3genE3ELNS1_11target_archE908ELNS1_3gpuE7ELNS1_3repE0EEENS1_30default_config_static_selectorELNS0_4arch9wavefront6targetE1EEEvS12_ ; -- Begin function _ZN7rocprim17ROCPRIM_400000_NS6detail17trampoline_kernelINS0_13select_configILj256ELj13ELNS0_17block_load_methodE3ELS4_3ELS4_3ELNS0_20block_scan_algorithmE0ELj4294967295EEENS1_25partition_config_selectorILNS1_17partition_subalgoE4EjNS0_10empty_typeEbEEZZNS1_14partition_implILS8_4ELb0ES6_15HIP_vector_typeIjLj2EENS0_17counting_iteratorIjlEEPS9_SG_NS0_5tupleIJPjSI_NS0_16reverse_iteratorISI_EEEEENSH_IJSG_SG_SG_EEES9_SI_JZNS1_25segmented_radix_sort_implINS0_14default_configELb1EPKhPhPKlPlN2at6native12_GLOBAL__N_18offset_tEEE10hipError_tPvRmT1_PNSt15iterator_traitsIS12_E10value_typeET2_T3_PNS13_IS18_E10value_typeET4_jRbjT5_S1E_jjP12ihipStream_tbEUljE_ZNSN_ISO_Lb1ESQ_SR_ST_SU_SY_EESZ_S10_S11_S12_S16_S17_S18_S1B_S1C_jS1D_jS1E_S1E_jjS1G_bEUljE0_EEESZ_S10_S11_S18_S1C_S1E_T6_T7_T9_mT8_S1G_bDpT10_ENKUlT_T0_E_clISt17integral_constantIbLb0EES1U_EEDaS1P_S1Q_EUlS1P_E_NS1_11comp_targetILNS1_3genE3ELNS1_11target_archE908ELNS1_3gpuE7ELNS1_3repE0EEENS1_30default_config_static_selectorELNS0_4arch9wavefront6targetE1EEEvS12_
	.p2align	8
	.type	_ZN7rocprim17ROCPRIM_400000_NS6detail17trampoline_kernelINS0_13select_configILj256ELj13ELNS0_17block_load_methodE3ELS4_3ELS4_3ELNS0_20block_scan_algorithmE0ELj4294967295EEENS1_25partition_config_selectorILNS1_17partition_subalgoE4EjNS0_10empty_typeEbEEZZNS1_14partition_implILS8_4ELb0ES6_15HIP_vector_typeIjLj2EENS0_17counting_iteratorIjlEEPS9_SG_NS0_5tupleIJPjSI_NS0_16reverse_iteratorISI_EEEEENSH_IJSG_SG_SG_EEES9_SI_JZNS1_25segmented_radix_sort_implINS0_14default_configELb1EPKhPhPKlPlN2at6native12_GLOBAL__N_18offset_tEEE10hipError_tPvRmT1_PNSt15iterator_traitsIS12_E10value_typeET2_T3_PNS13_IS18_E10value_typeET4_jRbjT5_S1E_jjP12ihipStream_tbEUljE_ZNSN_ISO_Lb1ESQ_SR_ST_SU_SY_EESZ_S10_S11_S12_S16_S17_S18_S1B_S1C_jS1D_jS1E_S1E_jjS1G_bEUljE0_EEESZ_S10_S11_S18_S1C_S1E_T6_T7_T9_mT8_S1G_bDpT10_ENKUlT_T0_E_clISt17integral_constantIbLb0EES1U_EEDaS1P_S1Q_EUlS1P_E_NS1_11comp_targetILNS1_3genE3ELNS1_11target_archE908ELNS1_3gpuE7ELNS1_3repE0EEENS1_30default_config_static_selectorELNS0_4arch9wavefront6targetE1EEEvS12_,@function
_ZN7rocprim17ROCPRIM_400000_NS6detail17trampoline_kernelINS0_13select_configILj256ELj13ELNS0_17block_load_methodE3ELS4_3ELS4_3ELNS0_20block_scan_algorithmE0ELj4294967295EEENS1_25partition_config_selectorILNS1_17partition_subalgoE4EjNS0_10empty_typeEbEEZZNS1_14partition_implILS8_4ELb0ES6_15HIP_vector_typeIjLj2EENS0_17counting_iteratorIjlEEPS9_SG_NS0_5tupleIJPjSI_NS0_16reverse_iteratorISI_EEEEENSH_IJSG_SG_SG_EEES9_SI_JZNS1_25segmented_radix_sort_implINS0_14default_configELb1EPKhPhPKlPlN2at6native12_GLOBAL__N_18offset_tEEE10hipError_tPvRmT1_PNSt15iterator_traitsIS12_E10value_typeET2_T3_PNS13_IS18_E10value_typeET4_jRbjT5_S1E_jjP12ihipStream_tbEUljE_ZNSN_ISO_Lb1ESQ_SR_ST_SU_SY_EESZ_S10_S11_S12_S16_S17_S18_S1B_S1C_jS1D_jS1E_S1E_jjS1G_bEUljE0_EEESZ_S10_S11_S18_S1C_S1E_T6_T7_T9_mT8_S1G_bDpT10_ENKUlT_T0_E_clISt17integral_constantIbLb0EES1U_EEDaS1P_S1Q_EUlS1P_E_NS1_11comp_targetILNS1_3genE3ELNS1_11target_archE908ELNS1_3gpuE7ELNS1_3repE0EEENS1_30default_config_static_selectorELNS0_4arch9wavefront6targetE1EEEvS12_: ; @_ZN7rocprim17ROCPRIM_400000_NS6detail17trampoline_kernelINS0_13select_configILj256ELj13ELNS0_17block_load_methodE3ELS4_3ELS4_3ELNS0_20block_scan_algorithmE0ELj4294967295EEENS1_25partition_config_selectorILNS1_17partition_subalgoE4EjNS0_10empty_typeEbEEZZNS1_14partition_implILS8_4ELb0ES6_15HIP_vector_typeIjLj2EENS0_17counting_iteratorIjlEEPS9_SG_NS0_5tupleIJPjSI_NS0_16reverse_iteratorISI_EEEEENSH_IJSG_SG_SG_EEES9_SI_JZNS1_25segmented_radix_sort_implINS0_14default_configELb1EPKhPhPKlPlN2at6native12_GLOBAL__N_18offset_tEEE10hipError_tPvRmT1_PNSt15iterator_traitsIS12_E10value_typeET2_T3_PNS13_IS18_E10value_typeET4_jRbjT5_S1E_jjP12ihipStream_tbEUljE_ZNSN_ISO_Lb1ESQ_SR_ST_SU_SY_EESZ_S10_S11_S12_S16_S17_S18_S1B_S1C_jS1D_jS1E_S1E_jjS1G_bEUljE0_EEESZ_S10_S11_S18_S1C_S1E_T6_T7_T9_mT8_S1G_bDpT10_ENKUlT_T0_E_clISt17integral_constantIbLb0EES1U_EEDaS1P_S1Q_EUlS1P_E_NS1_11comp_targetILNS1_3genE3ELNS1_11target_archE908ELNS1_3gpuE7ELNS1_3repE0EEENS1_30default_config_static_selectorELNS0_4arch9wavefront6targetE1EEEvS12_
; %bb.0:
	.section	.rodata,"a",@progbits
	.p2align	6, 0x0
	.amdhsa_kernel _ZN7rocprim17ROCPRIM_400000_NS6detail17trampoline_kernelINS0_13select_configILj256ELj13ELNS0_17block_load_methodE3ELS4_3ELS4_3ELNS0_20block_scan_algorithmE0ELj4294967295EEENS1_25partition_config_selectorILNS1_17partition_subalgoE4EjNS0_10empty_typeEbEEZZNS1_14partition_implILS8_4ELb0ES6_15HIP_vector_typeIjLj2EENS0_17counting_iteratorIjlEEPS9_SG_NS0_5tupleIJPjSI_NS0_16reverse_iteratorISI_EEEEENSH_IJSG_SG_SG_EEES9_SI_JZNS1_25segmented_radix_sort_implINS0_14default_configELb1EPKhPhPKlPlN2at6native12_GLOBAL__N_18offset_tEEE10hipError_tPvRmT1_PNSt15iterator_traitsIS12_E10value_typeET2_T3_PNS13_IS18_E10value_typeET4_jRbjT5_S1E_jjP12ihipStream_tbEUljE_ZNSN_ISO_Lb1ESQ_SR_ST_SU_SY_EESZ_S10_S11_S12_S16_S17_S18_S1B_S1C_jS1D_jS1E_S1E_jjS1G_bEUljE0_EEESZ_S10_S11_S18_S1C_S1E_T6_T7_T9_mT8_S1G_bDpT10_ENKUlT_T0_E_clISt17integral_constantIbLb0EES1U_EEDaS1P_S1Q_EUlS1P_E_NS1_11comp_targetILNS1_3genE3ELNS1_11target_archE908ELNS1_3gpuE7ELNS1_3repE0EEENS1_30default_config_static_selectorELNS0_4arch9wavefront6targetE1EEEvS12_
		.amdhsa_group_segment_fixed_size 0
		.amdhsa_private_segment_fixed_size 0
		.amdhsa_kernarg_size 176
		.amdhsa_user_sgpr_count 6
		.amdhsa_user_sgpr_private_segment_buffer 1
		.amdhsa_user_sgpr_dispatch_ptr 0
		.amdhsa_user_sgpr_queue_ptr 0
		.amdhsa_user_sgpr_kernarg_segment_ptr 1
		.amdhsa_user_sgpr_dispatch_id 0
		.amdhsa_user_sgpr_flat_scratch_init 0
		.amdhsa_user_sgpr_kernarg_preload_length 0
		.amdhsa_user_sgpr_kernarg_preload_offset 0
		.amdhsa_user_sgpr_private_segment_size 0
		.amdhsa_uses_dynamic_stack 0
		.amdhsa_system_sgpr_private_segment_wavefront_offset 0
		.amdhsa_system_sgpr_workgroup_id_x 1
		.amdhsa_system_sgpr_workgroup_id_y 0
		.amdhsa_system_sgpr_workgroup_id_z 0
		.amdhsa_system_sgpr_workgroup_info 0
		.amdhsa_system_vgpr_workitem_id 0
		.amdhsa_next_free_vgpr 1
		.amdhsa_next_free_sgpr 0
		.amdhsa_accum_offset 4
		.amdhsa_reserve_vcc 0
		.amdhsa_reserve_flat_scratch 0
		.amdhsa_float_round_mode_32 0
		.amdhsa_float_round_mode_16_64 0
		.amdhsa_float_denorm_mode_32 3
		.amdhsa_float_denorm_mode_16_64 3
		.amdhsa_dx10_clamp 1
		.amdhsa_ieee_mode 1
		.amdhsa_fp16_overflow 0
		.amdhsa_tg_split 0
		.amdhsa_exception_fp_ieee_invalid_op 0
		.amdhsa_exception_fp_denorm_src 0
		.amdhsa_exception_fp_ieee_div_zero 0
		.amdhsa_exception_fp_ieee_overflow 0
		.amdhsa_exception_fp_ieee_underflow 0
		.amdhsa_exception_fp_ieee_inexact 0
		.amdhsa_exception_int_div_zero 0
	.end_amdhsa_kernel
	.section	.text._ZN7rocprim17ROCPRIM_400000_NS6detail17trampoline_kernelINS0_13select_configILj256ELj13ELNS0_17block_load_methodE3ELS4_3ELS4_3ELNS0_20block_scan_algorithmE0ELj4294967295EEENS1_25partition_config_selectorILNS1_17partition_subalgoE4EjNS0_10empty_typeEbEEZZNS1_14partition_implILS8_4ELb0ES6_15HIP_vector_typeIjLj2EENS0_17counting_iteratorIjlEEPS9_SG_NS0_5tupleIJPjSI_NS0_16reverse_iteratorISI_EEEEENSH_IJSG_SG_SG_EEES9_SI_JZNS1_25segmented_radix_sort_implINS0_14default_configELb1EPKhPhPKlPlN2at6native12_GLOBAL__N_18offset_tEEE10hipError_tPvRmT1_PNSt15iterator_traitsIS12_E10value_typeET2_T3_PNS13_IS18_E10value_typeET4_jRbjT5_S1E_jjP12ihipStream_tbEUljE_ZNSN_ISO_Lb1ESQ_SR_ST_SU_SY_EESZ_S10_S11_S12_S16_S17_S18_S1B_S1C_jS1D_jS1E_S1E_jjS1G_bEUljE0_EEESZ_S10_S11_S18_S1C_S1E_T6_T7_T9_mT8_S1G_bDpT10_ENKUlT_T0_E_clISt17integral_constantIbLb0EES1U_EEDaS1P_S1Q_EUlS1P_E_NS1_11comp_targetILNS1_3genE3ELNS1_11target_archE908ELNS1_3gpuE7ELNS1_3repE0EEENS1_30default_config_static_selectorELNS0_4arch9wavefront6targetE1EEEvS12_,"axG",@progbits,_ZN7rocprim17ROCPRIM_400000_NS6detail17trampoline_kernelINS0_13select_configILj256ELj13ELNS0_17block_load_methodE3ELS4_3ELS4_3ELNS0_20block_scan_algorithmE0ELj4294967295EEENS1_25partition_config_selectorILNS1_17partition_subalgoE4EjNS0_10empty_typeEbEEZZNS1_14partition_implILS8_4ELb0ES6_15HIP_vector_typeIjLj2EENS0_17counting_iteratorIjlEEPS9_SG_NS0_5tupleIJPjSI_NS0_16reverse_iteratorISI_EEEEENSH_IJSG_SG_SG_EEES9_SI_JZNS1_25segmented_radix_sort_implINS0_14default_configELb1EPKhPhPKlPlN2at6native12_GLOBAL__N_18offset_tEEE10hipError_tPvRmT1_PNSt15iterator_traitsIS12_E10value_typeET2_T3_PNS13_IS18_E10value_typeET4_jRbjT5_S1E_jjP12ihipStream_tbEUljE_ZNSN_ISO_Lb1ESQ_SR_ST_SU_SY_EESZ_S10_S11_S12_S16_S17_S18_S1B_S1C_jS1D_jS1E_S1E_jjS1G_bEUljE0_EEESZ_S10_S11_S18_S1C_S1E_T6_T7_T9_mT8_S1G_bDpT10_ENKUlT_T0_E_clISt17integral_constantIbLb0EES1U_EEDaS1P_S1Q_EUlS1P_E_NS1_11comp_targetILNS1_3genE3ELNS1_11target_archE908ELNS1_3gpuE7ELNS1_3repE0EEENS1_30default_config_static_selectorELNS0_4arch9wavefront6targetE1EEEvS12_,comdat
.Lfunc_end7:
	.size	_ZN7rocprim17ROCPRIM_400000_NS6detail17trampoline_kernelINS0_13select_configILj256ELj13ELNS0_17block_load_methodE3ELS4_3ELS4_3ELNS0_20block_scan_algorithmE0ELj4294967295EEENS1_25partition_config_selectorILNS1_17partition_subalgoE4EjNS0_10empty_typeEbEEZZNS1_14partition_implILS8_4ELb0ES6_15HIP_vector_typeIjLj2EENS0_17counting_iteratorIjlEEPS9_SG_NS0_5tupleIJPjSI_NS0_16reverse_iteratorISI_EEEEENSH_IJSG_SG_SG_EEES9_SI_JZNS1_25segmented_radix_sort_implINS0_14default_configELb1EPKhPhPKlPlN2at6native12_GLOBAL__N_18offset_tEEE10hipError_tPvRmT1_PNSt15iterator_traitsIS12_E10value_typeET2_T3_PNS13_IS18_E10value_typeET4_jRbjT5_S1E_jjP12ihipStream_tbEUljE_ZNSN_ISO_Lb1ESQ_SR_ST_SU_SY_EESZ_S10_S11_S12_S16_S17_S18_S1B_S1C_jS1D_jS1E_S1E_jjS1G_bEUljE0_EEESZ_S10_S11_S18_S1C_S1E_T6_T7_T9_mT8_S1G_bDpT10_ENKUlT_T0_E_clISt17integral_constantIbLb0EES1U_EEDaS1P_S1Q_EUlS1P_E_NS1_11comp_targetILNS1_3genE3ELNS1_11target_archE908ELNS1_3gpuE7ELNS1_3repE0EEENS1_30default_config_static_selectorELNS0_4arch9wavefront6targetE1EEEvS12_, .Lfunc_end7-_ZN7rocprim17ROCPRIM_400000_NS6detail17trampoline_kernelINS0_13select_configILj256ELj13ELNS0_17block_load_methodE3ELS4_3ELS4_3ELNS0_20block_scan_algorithmE0ELj4294967295EEENS1_25partition_config_selectorILNS1_17partition_subalgoE4EjNS0_10empty_typeEbEEZZNS1_14partition_implILS8_4ELb0ES6_15HIP_vector_typeIjLj2EENS0_17counting_iteratorIjlEEPS9_SG_NS0_5tupleIJPjSI_NS0_16reverse_iteratorISI_EEEEENSH_IJSG_SG_SG_EEES9_SI_JZNS1_25segmented_radix_sort_implINS0_14default_configELb1EPKhPhPKlPlN2at6native12_GLOBAL__N_18offset_tEEE10hipError_tPvRmT1_PNSt15iterator_traitsIS12_E10value_typeET2_T3_PNS13_IS18_E10value_typeET4_jRbjT5_S1E_jjP12ihipStream_tbEUljE_ZNSN_ISO_Lb1ESQ_SR_ST_SU_SY_EESZ_S10_S11_S12_S16_S17_S18_S1B_S1C_jS1D_jS1E_S1E_jjS1G_bEUljE0_EEESZ_S10_S11_S18_S1C_S1E_T6_T7_T9_mT8_S1G_bDpT10_ENKUlT_T0_E_clISt17integral_constantIbLb0EES1U_EEDaS1P_S1Q_EUlS1P_E_NS1_11comp_targetILNS1_3genE3ELNS1_11target_archE908ELNS1_3gpuE7ELNS1_3repE0EEENS1_30default_config_static_selectorELNS0_4arch9wavefront6targetE1EEEvS12_
                                        ; -- End function
	.section	.AMDGPU.csdata,"",@progbits
; Kernel info:
; codeLenInByte = 0
; NumSgprs: 4
; NumVgprs: 0
; NumAgprs: 0
; TotalNumVgprs: 0
; ScratchSize: 0
; MemoryBound: 0
; FloatMode: 240
; IeeeMode: 1
; LDSByteSize: 0 bytes/workgroup (compile time only)
; SGPRBlocks: 0
; VGPRBlocks: 0
; NumSGPRsForWavesPerEU: 4
; NumVGPRsForWavesPerEU: 1
; AccumOffset: 4
; Occupancy: 8
; WaveLimiterHint : 0
; COMPUTE_PGM_RSRC2:SCRATCH_EN: 0
; COMPUTE_PGM_RSRC2:USER_SGPR: 6
; COMPUTE_PGM_RSRC2:TRAP_HANDLER: 0
; COMPUTE_PGM_RSRC2:TGID_X_EN: 1
; COMPUTE_PGM_RSRC2:TGID_Y_EN: 0
; COMPUTE_PGM_RSRC2:TGID_Z_EN: 0
; COMPUTE_PGM_RSRC2:TIDIG_COMP_CNT: 0
; COMPUTE_PGM_RSRC3_GFX90A:ACCUM_OFFSET: 0
; COMPUTE_PGM_RSRC3_GFX90A:TG_SPLIT: 0
	.section	.text._ZN7rocprim17ROCPRIM_400000_NS6detail17trampoline_kernelINS0_13select_configILj256ELj13ELNS0_17block_load_methodE3ELS4_3ELS4_3ELNS0_20block_scan_algorithmE0ELj4294967295EEENS1_25partition_config_selectorILNS1_17partition_subalgoE4EjNS0_10empty_typeEbEEZZNS1_14partition_implILS8_4ELb0ES6_15HIP_vector_typeIjLj2EENS0_17counting_iteratorIjlEEPS9_SG_NS0_5tupleIJPjSI_NS0_16reverse_iteratorISI_EEEEENSH_IJSG_SG_SG_EEES9_SI_JZNS1_25segmented_radix_sort_implINS0_14default_configELb1EPKhPhPKlPlN2at6native12_GLOBAL__N_18offset_tEEE10hipError_tPvRmT1_PNSt15iterator_traitsIS12_E10value_typeET2_T3_PNS13_IS18_E10value_typeET4_jRbjT5_S1E_jjP12ihipStream_tbEUljE_ZNSN_ISO_Lb1ESQ_SR_ST_SU_SY_EESZ_S10_S11_S12_S16_S17_S18_S1B_S1C_jS1D_jS1E_S1E_jjS1G_bEUljE0_EEESZ_S10_S11_S18_S1C_S1E_T6_T7_T9_mT8_S1G_bDpT10_ENKUlT_T0_E_clISt17integral_constantIbLb0EES1U_EEDaS1P_S1Q_EUlS1P_E_NS1_11comp_targetILNS1_3genE2ELNS1_11target_archE906ELNS1_3gpuE6ELNS1_3repE0EEENS1_30default_config_static_selectorELNS0_4arch9wavefront6targetE1EEEvS12_,"axG",@progbits,_ZN7rocprim17ROCPRIM_400000_NS6detail17trampoline_kernelINS0_13select_configILj256ELj13ELNS0_17block_load_methodE3ELS4_3ELS4_3ELNS0_20block_scan_algorithmE0ELj4294967295EEENS1_25partition_config_selectorILNS1_17partition_subalgoE4EjNS0_10empty_typeEbEEZZNS1_14partition_implILS8_4ELb0ES6_15HIP_vector_typeIjLj2EENS0_17counting_iteratorIjlEEPS9_SG_NS0_5tupleIJPjSI_NS0_16reverse_iteratorISI_EEEEENSH_IJSG_SG_SG_EEES9_SI_JZNS1_25segmented_radix_sort_implINS0_14default_configELb1EPKhPhPKlPlN2at6native12_GLOBAL__N_18offset_tEEE10hipError_tPvRmT1_PNSt15iterator_traitsIS12_E10value_typeET2_T3_PNS13_IS18_E10value_typeET4_jRbjT5_S1E_jjP12ihipStream_tbEUljE_ZNSN_ISO_Lb1ESQ_SR_ST_SU_SY_EESZ_S10_S11_S12_S16_S17_S18_S1B_S1C_jS1D_jS1E_S1E_jjS1G_bEUljE0_EEESZ_S10_S11_S18_S1C_S1E_T6_T7_T9_mT8_S1G_bDpT10_ENKUlT_T0_E_clISt17integral_constantIbLb0EES1U_EEDaS1P_S1Q_EUlS1P_E_NS1_11comp_targetILNS1_3genE2ELNS1_11target_archE906ELNS1_3gpuE6ELNS1_3repE0EEENS1_30default_config_static_selectorELNS0_4arch9wavefront6targetE1EEEvS12_,comdat
	.globl	_ZN7rocprim17ROCPRIM_400000_NS6detail17trampoline_kernelINS0_13select_configILj256ELj13ELNS0_17block_load_methodE3ELS4_3ELS4_3ELNS0_20block_scan_algorithmE0ELj4294967295EEENS1_25partition_config_selectorILNS1_17partition_subalgoE4EjNS0_10empty_typeEbEEZZNS1_14partition_implILS8_4ELb0ES6_15HIP_vector_typeIjLj2EENS0_17counting_iteratorIjlEEPS9_SG_NS0_5tupleIJPjSI_NS0_16reverse_iteratorISI_EEEEENSH_IJSG_SG_SG_EEES9_SI_JZNS1_25segmented_radix_sort_implINS0_14default_configELb1EPKhPhPKlPlN2at6native12_GLOBAL__N_18offset_tEEE10hipError_tPvRmT1_PNSt15iterator_traitsIS12_E10value_typeET2_T3_PNS13_IS18_E10value_typeET4_jRbjT5_S1E_jjP12ihipStream_tbEUljE_ZNSN_ISO_Lb1ESQ_SR_ST_SU_SY_EESZ_S10_S11_S12_S16_S17_S18_S1B_S1C_jS1D_jS1E_S1E_jjS1G_bEUljE0_EEESZ_S10_S11_S18_S1C_S1E_T6_T7_T9_mT8_S1G_bDpT10_ENKUlT_T0_E_clISt17integral_constantIbLb0EES1U_EEDaS1P_S1Q_EUlS1P_E_NS1_11comp_targetILNS1_3genE2ELNS1_11target_archE906ELNS1_3gpuE6ELNS1_3repE0EEENS1_30default_config_static_selectorELNS0_4arch9wavefront6targetE1EEEvS12_ ; -- Begin function _ZN7rocprim17ROCPRIM_400000_NS6detail17trampoline_kernelINS0_13select_configILj256ELj13ELNS0_17block_load_methodE3ELS4_3ELS4_3ELNS0_20block_scan_algorithmE0ELj4294967295EEENS1_25partition_config_selectorILNS1_17partition_subalgoE4EjNS0_10empty_typeEbEEZZNS1_14partition_implILS8_4ELb0ES6_15HIP_vector_typeIjLj2EENS0_17counting_iteratorIjlEEPS9_SG_NS0_5tupleIJPjSI_NS0_16reverse_iteratorISI_EEEEENSH_IJSG_SG_SG_EEES9_SI_JZNS1_25segmented_radix_sort_implINS0_14default_configELb1EPKhPhPKlPlN2at6native12_GLOBAL__N_18offset_tEEE10hipError_tPvRmT1_PNSt15iterator_traitsIS12_E10value_typeET2_T3_PNS13_IS18_E10value_typeET4_jRbjT5_S1E_jjP12ihipStream_tbEUljE_ZNSN_ISO_Lb1ESQ_SR_ST_SU_SY_EESZ_S10_S11_S12_S16_S17_S18_S1B_S1C_jS1D_jS1E_S1E_jjS1G_bEUljE0_EEESZ_S10_S11_S18_S1C_S1E_T6_T7_T9_mT8_S1G_bDpT10_ENKUlT_T0_E_clISt17integral_constantIbLb0EES1U_EEDaS1P_S1Q_EUlS1P_E_NS1_11comp_targetILNS1_3genE2ELNS1_11target_archE906ELNS1_3gpuE6ELNS1_3repE0EEENS1_30default_config_static_selectorELNS0_4arch9wavefront6targetE1EEEvS12_
	.p2align	8
	.type	_ZN7rocprim17ROCPRIM_400000_NS6detail17trampoline_kernelINS0_13select_configILj256ELj13ELNS0_17block_load_methodE3ELS4_3ELS4_3ELNS0_20block_scan_algorithmE0ELj4294967295EEENS1_25partition_config_selectorILNS1_17partition_subalgoE4EjNS0_10empty_typeEbEEZZNS1_14partition_implILS8_4ELb0ES6_15HIP_vector_typeIjLj2EENS0_17counting_iteratorIjlEEPS9_SG_NS0_5tupleIJPjSI_NS0_16reverse_iteratorISI_EEEEENSH_IJSG_SG_SG_EEES9_SI_JZNS1_25segmented_radix_sort_implINS0_14default_configELb1EPKhPhPKlPlN2at6native12_GLOBAL__N_18offset_tEEE10hipError_tPvRmT1_PNSt15iterator_traitsIS12_E10value_typeET2_T3_PNS13_IS18_E10value_typeET4_jRbjT5_S1E_jjP12ihipStream_tbEUljE_ZNSN_ISO_Lb1ESQ_SR_ST_SU_SY_EESZ_S10_S11_S12_S16_S17_S18_S1B_S1C_jS1D_jS1E_S1E_jjS1G_bEUljE0_EEESZ_S10_S11_S18_S1C_S1E_T6_T7_T9_mT8_S1G_bDpT10_ENKUlT_T0_E_clISt17integral_constantIbLb0EES1U_EEDaS1P_S1Q_EUlS1P_E_NS1_11comp_targetILNS1_3genE2ELNS1_11target_archE906ELNS1_3gpuE6ELNS1_3repE0EEENS1_30default_config_static_selectorELNS0_4arch9wavefront6targetE1EEEvS12_,@function
_ZN7rocprim17ROCPRIM_400000_NS6detail17trampoline_kernelINS0_13select_configILj256ELj13ELNS0_17block_load_methodE3ELS4_3ELS4_3ELNS0_20block_scan_algorithmE0ELj4294967295EEENS1_25partition_config_selectorILNS1_17partition_subalgoE4EjNS0_10empty_typeEbEEZZNS1_14partition_implILS8_4ELb0ES6_15HIP_vector_typeIjLj2EENS0_17counting_iteratorIjlEEPS9_SG_NS0_5tupleIJPjSI_NS0_16reverse_iteratorISI_EEEEENSH_IJSG_SG_SG_EEES9_SI_JZNS1_25segmented_radix_sort_implINS0_14default_configELb1EPKhPhPKlPlN2at6native12_GLOBAL__N_18offset_tEEE10hipError_tPvRmT1_PNSt15iterator_traitsIS12_E10value_typeET2_T3_PNS13_IS18_E10value_typeET4_jRbjT5_S1E_jjP12ihipStream_tbEUljE_ZNSN_ISO_Lb1ESQ_SR_ST_SU_SY_EESZ_S10_S11_S12_S16_S17_S18_S1B_S1C_jS1D_jS1E_S1E_jjS1G_bEUljE0_EEESZ_S10_S11_S18_S1C_S1E_T6_T7_T9_mT8_S1G_bDpT10_ENKUlT_T0_E_clISt17integral_constantIbLb0EES1U_EEDaS1P_S1Q_EUlS1P_E_NS1_11comp_targetILNS1_3genE2ELNS1_11target_archE906ELNS1_3gpuE6ELNS1_3repE0EEENS1_30default_config_static_selectorELNS0_4arch9wavefront6targetE1EEEvS12_: ; @_ZN7rocprim17ROCPRIM_400000_NS6detail17trampoline_kernelINS0_13select_configILj256ELj13ELNS0_17block_load_methodE3ELS4_3ELS4_3ELNS0_20block_scan_algorithmE0ELj4294967295EEENS1_25partition_config_selectorILNS1_17partition_subalgoE4EjNS0_10empty_typeEbEEZZNS1_14partition_implILS8_4ELb0ES6_15HIP_vector_typeIjLj2EENS0_17counting_iteratorIjlEEPS9_SG_NS0_5tupleIJPjSI_NS0_16reverse_iteratorISI_EEEEENSH_IJSG_SG_SG_EEES9_SI_JZNS1_25segmented_radix_sort_implINS0_14default_configELb1EPKhPhPKlPlN2at6native12_GLOBAL__N_18offset_tEEE10hipError_tPvRmT1_PNSt15iterator_traitsIS12_E10value_typeET2_T3_PNS13_IS18_E10value_typeET4_jRbjT5_S1E_jjP12ihipStream_tbEUljE_ZNSN_ISO_Lb1ESQ_SR_ST_SU_SY_EESZ_S10_S11_S12_S16_S17_S18_S1B_S1C_jS1D_jS1E_S1E_jjS1G_bEUljE0_EEESZ_S10_S11_S18_S1C_S1E_T6_T7_T9_mT8_S1G_bDpT10_ENKUlT_T0_E_clISt17integral_constantIbLb0EES1U_EEDaS1P_S1Q_EUlS1P_E_NS1_11comp_targetILNS1_3genE2ELNS1_11target_archE906ELNS1_3gpuE6ELNS1_3repE0EEENS1_30default_config_static_selectorELNS0_4arch9wavefront6targetE1EEEvS12_
; %bb.0:
	.section	.rodata,"a",@progbits
	.p2align	6, 0x0
	.amdhsa_kernel _ZN7rocprim17ROCPRIM_400000_NS6detail17trampoline_kernelINS0_13select_configILj256ELj13ELNS0_17block_load_methodE3ELS4_3ELS4_3ELNS0_20block_scan_algorithmE0ELj4294967295EEENS1_25partition_config_selectorILNS1_17partition_subalgoE4EjNS0_10empty_typeEbEEZZNS1_14partition_implILS8_4ELb0ES6_15HIP_vector_typeIjLj2EENS0_17counting_iteratorIjlEEPS9_SG_NS0_5tupleIJPjSI_NS0_16reverse_iteratorISI_EEEEENSH_IJSG_SG_SG_EEES9_SI_JZNS1_25segmented_radix_sort_implINS0_14default_configELb1EPKhPhPKlPlN2at6native12_GLOBAL__N_18offset_tEEE10hipError_tPvRmT1_PNSt15iterator_traitsIS12_E10value_typeET2_T3_PNS13_IS18_E10value_typeET4_jRbjT5_S1E_jjP12ihipStream_tbEUljE_ZNSN_ISO_Lb1ESQ_SR_ST_SU_SY_EESZ_S10_S11_S12_S16_S17_S18_S1B_S1C_jS1D_jS1E_S1E_jjS1G_bEUljE0_EEESZ_S10_S11_S18_S1C_S1E_T6_T7_T9_mT8_S1G_bDpT10_ENKUlT_T0_E_clISt17integral_constantIbLb0EES1U_EEDaS1P_S1Q_EUlS1P_E_NS1_11comp_targetILNS1_3genE2ELNS1_11target_archE906ELNS1_3gpuE6ELNS1_3repE0EEENS1_30default_config_static_selectorELNS0_4arch9wavefront6targetE1EEEvS12_
		.amdhsa_group_segment_fixed_size 0
		.amdhsa_private_segment_fixed_size 0
		.amdhsa_kernarg_size 176
		.amdhsa_user_sgpr_count 6
		.amdhsa_user_sgpr_private_segment_buffer 1
		.amdhsa_user_sgpr_dispatch_ptr 0
		.amdhsa_user_sgpr_queue_ptr 0
		.amdhsa_user_sgpr_kernarg_segment_ptr 1
		.amdhsa_user_sgpr_dispatch_id 0
		.amdhsa_user_sgpr_flat_scratch_init 0
		.amdhsa_user_sgpr_kernarg_preload_length 0
		.amdhsa_user_sgpr_kernarg_preload_offset 0
		.amdhsa_user_sgpr_private_segment_size 0
		.amdhsa_uses_dynamic_stack 0
		.amdhsa_system_sgpr_private_segment_wavefront_offset 0
		.amdhsa_system_sgpr_workgroup_id_x 1
		.amdhsa_system_sgpr_workgroup_id_y 0
		.amdhsa_system_sgpr_workgroup_id_z 0
		.amdhsa_system_sgpr_workgroup_info 0
		.amdhsa_system_vgpr_workitem_id 0
		.amdhsa_next_free_vgpr 1
		.amdhsa_next_free_sgpr 0
		.amdhsa_accum_offset 4
		.amdhsa_reserve_vcc 0
		.amdhsa_reserve_flat_scratch 0
		.amdhsa_float_round_mode_32 0
		.amdhsa_float_round_mode_16_64 0
		.amdhsa_float_denorm_mode_32 3
		.amdhsa_float_denorm_mode_16_64 3
		.amdhsa_dx10_clamp 1
		.amdhsa_ieee_mode 1
		.amdhsa_fp16_overflow 0
		.amdhsa_tg_split 0
		.amdhsa_exception_fp_ieee_invalid_op 0
		.amdhsa_exception_fp_denorm_src 0
		.amdhsa_exception_fp_ieee_div_zero 0
		.amdhsa_exception_fp_ieee_overflow 0
		.amdhsa_exception_fp_ieee_underflow 0
		.amdhsa_exception_fp_ieee_inexact 0
		.amdhsa_exception_int_div_zero 0
	.end_amdhsa_kernel
	.section	.text._ZN7rocprim17ROCPRIM_400000_NS6detail17trampoline_kernelINS0_13select_configILj256ELj13ELNS0_17block_load_methodE3ELS4_3ELS4_3ELNS0_20block_scan_algorithmE0ELj4294967295EEENS1_25partition_config_selectorILNS1_17partition_subalgoE4EjNS0_10empty_typeEbEEZZNS1_14partition_implILS8_4ELb0ES6_15HIP_vector_typeIjLj2EENS0_17counting_iteratorIjlEEPS9_SG_NS0_5tupleIJPjSI_NS0_16reverse_iteratorISI_EEEEENSH_IJSG_SG_SG_EEES9_SI_JZNS1_25segmented_radix_sort_implINS0_14default_configELb1EPKhPhPKlPlN2at6native12_GLOBAL__N_18offset_tEEE10hipError_tPvRmT1_PNSt15iterator_traitsIS12_E10value_typeET2_T3_PNS13_IS18_E10value_typeET4_jRbjT5_S1E_jjP12ihipStream_tbEUljE_ZNSN_ISO_Lb1ESQ_SR_ST_SU_SY_EESZ_S10_S11_S12_S16_S17_S18_S1B_S1C_jS1D_jS1E_S1E_jjS1G_bEUljE0_EEESZ_S10_S11_S18_S1C_S1E_T6_T7_T9_mT8_S1G_bDpT10_ENKUlT_T0_E_clISt17integral_constantIbLb0EES1U_EEDaS1P_S1Q_EUlS1P_E_NS1_11comp_targetILNS1_3genE2ELNS1_11target_archE906ELNS1_3gpuE6ELNS1_3repE0EEENS1_30default_config_static_selectorELNS0_4arch9wavefront6targetE1EEEvS12_,"axG",@progbits,_ZN7rocprim17ROCPRIM_400000_NS6detail17trampoline_kernelINS0_13select_configILj256ELj13ELNS0_17block_load_methodE3ELS4_3ELS4_3ELNS0_20block_scan_algorithmE0ELj4294967295EEENS1_25partition_config_selectorILNS1_17partition_subalgoE4EjNS0_10empty_typeEbEEZZNS1_14partition_implILS8_4ELb0ES6_15HIP_vector_typeIjLj2EENS0_17counting_iteratorIjlEEPS9_SG_NS0_5tupleIJPjSI_NS0_16reverse_iteratorISI_EEEEENSH_IJSG_SG_SG_EEES9_SI_JZNS1_25segmented_radix_sort_implINS0_14default_configELb1EPKhPhPKlPlN2at6native12_GLOBAL__N_18offset_tEEE10hipError_tPvRmT1_PNSt15iterator_traitsIS12_E10value_typeET2_T3_PNS13_IS18_E10value_typeET4_jRbjT5_S1E_jjP12ihipStream_tbEUljE_ZNSN_ISO_Lb1ESQ_SR_ST_SU_SY_EESZ_S10_S11_S12_S16_S17_S18_S1B_S1C_jS1D_jS1E_S1E_jjS1G_bEUljE0_EEESZ_S10_S11_S18_S1C_S1E_T6_T7_T9_mT8_S1G_bDpT10_ENKUlT_T0_E_clISt17integral_constantIbLb0EES1U_EEDaS1P_S1Q_EUlS1P_E_NS1_11comp_targetILNS1_3genE2ELNS1_11target_archE906ELNS1_3gpuE6ELNS1_3repE0EEENS1_30default_config_static_selectorELNS0_4arch9wavefront6targetE1EEEvS12_,comdat
.Lfunc_end8:
	.size	_ZN7rocprim17ROCPRIM_400000_NS6detail17trampoline_kernelINS0_13select_configILj256ELj13ELNS0_17block_load_methodE3ELS4_3ELS4_3ELNS0_20block_scan_algorithmE0ELj4294967295EEENS1_25partition_config_selectorILNS1_17partition_subalgoE4EjNS0_10empty_typeEbEEZZNS1_14partition_implILS8_4ELb0ES6_15HIP_vector_typeIjLj2EENS0_17counting_iteratorIjlEEPS9_SG_NS0_5tupleIJPjSI_NS0_16reverse_iteratorISI_EEEEENSH_IJSG_SG_SG_EEES9_SI_JZNS1_25segmented_radix_sort_implINS0_14default_configELb1EPKhPhPKlPlN2at6native12_GLOBAL__N_18offset_tEEE10hipError_tPvRmT1_PNSt15iterator_traitsIS12_E10value_typeET2_T3_PNS13_IS18_E10value_typeET4_jRbjT5_S1E_jjP12ihipStream_tbEUljE_ZNSN_ISO_Lb1ESQ_SR_ST_SU_SY_EESZ_S10_S11_S12_S16_S17_S18_S1B_S1C_jS1D_jS1E_S1E_jjS1G_bEUljE0_EEESZ_S10_S11_S18_S1C_S1E_T6_T7_T9_mT8_S1G_bDpT10_ENKUlT_T0_E_clISt17integral_constantIbLb0EES1U_EEDaS1P_S1Q_EUlS1P_E_NS1_11comp_targetILNS1_3genE2ELNS1_11target_archE906ELNS1_3gpuE6ELNS1_3repE0EEENS1_30default_config_static_selectorELNS0_4arch9wavefront6targetE1EEEvS12_, .Lfunc_end8-_ZN7rocprim17ROCPRIM_400000_NS6detail17trampoline_kernelINS0_13select_configILj256ELj13ELNS0_17block_load_methodE3ELS4_3ELS4_3ELNS0_20block_scan_algorithmE0ELj4294967295EEENS1_25partition_config_selectorILNS1_17partition_subalgoE4EjNS0_10empty_typeEbEEZZNS1_14partition_implILS8_4ELb0ES6_15HIP_vector_typeIjLj2EENS0_17counting_iteratorIjlEEPS9_SG_NS0_5tupleIJPjSI_NS0_16reverse_iteratorISI_EEEEENSH_IJSG_SG_SG_EEES9_SI_JZNS1_25segmented_radix_sort_implINS0_14default_configELb1EPKhPhPKlPlN2at6native12_GLOBAL__N_18offset_tEEE10hipError_tPvRmT1_PNSt15iterator_traitsIS12_E10value_typeET2_T3_PNS13_IS18_E10value_typeET4_jRbjT5_S1E_jjP12ihipStream_tbEUljE_ZNSN_ISO_Lb1ESQ_SR_ST_SU_SY_EESZ_S10_S11_S12_S16_S17_S18_S1B_S1C_jS1D_jS1E_S1E_jjS1G_bEUljE0_EEESZ_S10_S11_S18_S1C_S1E_T6_T7_T9_mT8_S1G_bDpT10_ENKUlT_T0_E_clISt17integral_constantIbLb0EES1U_EEDaS1P_S1Q_EUlS1P_E_NS1_11comp_targetILNS1_3genE2ELNS1_11target_archE906ELNS1_3gpuE6ELNS1_3repE0EEENS1_30default_config_static_selectorELNS0_4arch9wavefront6targetE1EEEvS12_
                                        ; -- End function
	.section	.AMDGPU.csdata,"",@progbits
; Kernel info:
; codeLenInByte = 0
; NumSgprs: 4
; NumVgprs: 0
; NumAgprs: 0
; TotalNumVgprs: 0
; ScratchSize: 0
; MemoryBound: 0
; FloatMode: 240
; IeeeMode: 1
; LDSByteSize: 0 bytes/workgroup (compile time only)
; SGPRBlocks: 0
; VGPRBlocks: 0
; NumSGPRsForWavesPerEU: 4
; NumVGPRsForWavesPerEU: 1
; AccumOffset: 4
; Occupancy: 8
; WaveLimiterHint : 0
; COMPUTE_PGM_RSRC2:SCRATCH_EN: 0
; COMPUTE_PGM_RSRC2:USER_SGPR: 6
; COMPUTE_PGM_RSRC2:TRAP_HANDLER: 0
; COMPUTE_PGM_RSRC2:TGID_X_EN: 1
; COMPUTE_PGM_RSRC2:TGID_Y_EN: 0
; COMPUTE_PGM_RSRC2:TGID_Z_EN: 0
; COMPUTE_PGM_RSRC2:TIDIG_COMP_CNT: 0
; COMPUTE_PGM_RSRC3_GFX90A:ACCUM_OFFSET: 0
; COMPUTE_PGM_RSRC3_GFX90A:TG_SPLIT: 0
	.section	.text._ZN7rocprim17ROCPRIM_400000_NS6detail17trampoline_kernelINS0_13select_configILj256ELj13ELNS0_17block_load_methodE3ELS4_3ELS4_3ELNS0_20block_scan_algorithmE0ELj4294967295EEENS1_25partition_config_selectorILNS1_17partition_subalgoE4EjNS0_10empty_typeEbEEZZNS1_14partition_implILS8_4ELb0ES6_15HIP_vector_typeIjLj2EENS0_17counting_iteratorIjlEEPS9_SG_NS0_5tupleIJPjSI_NS0_16reverse_iteratorISI_EEEEENSH_IJSG_SG_SG_EEES9_SI_JZNS1_25segmented_radix_sort_implINS0_14default_configELb1EPKhPhPKlPlN2at6native12_GLOBAL__N_18offset_tEEE10hipError_tPvRmT1_PNSt15iterator_traitsIS12_E10value_typeET2_T3_PNS13_IS18_E10value_typeET4_jRbjT5_S1E_jjP12ihipStream_tbEUljE_ZNSN_ISO_Lb1ESQ_SR_ST_SU_SY_EESZ_S10_S11_S12_S16_S17_S18_S1B_S1C_jS1D_jS1E_S1E_jjS1G_bEUljE0_EEESZ_S10_S11_S18_S1C_S1E_T6_T7_T9_mT8_S1G_bDpT10_ENKUlT_T0_E_clISt17integral_constantIbLb0EES1U_EEDaS1P_S1Q_EUlS1P_E_NS1_11comp_targetILNS1_3genE10ELNS1_11target_archE1200ELNS1_3gpuE4ELNS1_3repE0EEENS1_30default_config_static_selectorELNS0_4arch9wavefront6targetE1EEEvS12_,"axG",@progbits,_ZN7rocprim17ROCPRIM_400000_NS6detail17trampoline_kernelINS0_13select_configILj256ELj13ELNS0_17block_load_methodE3ELS4_3ELS4_3ELNS0_20block_scan_algorithmE0ELj4294967295EEENS1_25partition_config_selectorILNS1_17partition_subalgoE4EjNS0_10empty_typeEbEEZZNS1_14partition_implILS8_4ELb0ES6_15HIP_vector_typeIjLj2EENS0_17counting_iteratorIjlEEPS9_SG_NS0_5tupleIJPjSI_NS0_16reverse_iteratorISI_EEEEENSH_IJSG_SG_SG_EEES9_SI_JZNS1_25segmented_radix_sort_implINS0_14default_configELb1EPKhPhPKlPlN2at6native12_GLOBAL__N_18offset_tEEE10hipError_tPvRmT1_PNSt15iterator_traitsIS12_E10value_typeET2_T3_PNS13_IS18_E10value_typeET4_jRbjT5_S1E_jjP12ihipStream_tbEUljE_ZNSN_ISO_Lb1ESQ_SR_ST_SU_SY_EESZ_S10_S11_S12_S16_S17_S18_S1B_S1C_jS1D_jS1E_S1E_jjS1G_bEUljE0_EEESZ_S10_S11_S18_S1C_S1E_T6_T7_T9_mT8_S1G_bDpT10_ENKUlT_T0_E_clISt17integral_constantIbLb0EES1U_EEDaS1P_S1Q_EUlS1P_E_NS1_11comp_targetILNS1_3genE10ELNS1_11target_archE1200ELNS1_3gpuE4ELNS1_3repE0EEENS1_30default_config_static_selectorELNS0_4arch9wavefront6targetE1EEEvS12_,comdat
	.globl	_ZN7rocprim17ROCPRIM_400000_NS6detail17trampoline_kernelINS0_13select_configILj256ELj13ELNS0_17block_load_methodE3ELS4_3ELS4_3ELNS0_20block_scan_algorithmE0ELj4294967295EEENS1_25partition_config_selectorILNS1_17partition_subalgoE4EjNS0_10empty_typeEbEEZZNS1_14partition_implILS8_4ELb0ES6_15HIP_vector_typeIjLj2EENS0_17counting_iteratorIjlEEPS9_SG_NS0_5tupleIJPjSI_NS0_16reverse_iteratorISI_EEEEENSH_IJSG_SG_SG_EEES9_SI_JZNS1_25segmented_radix_sort_implINS0_14default_configELb1EPKhPhPKlPlN2at6native12_GLOBAL__N_18offset_tEEE10hipError_tPvRmT1_PNSt15iterator_traitsIS12_E10value_typeET2_T3_PNS13_IS18_E10value_typeET4_jRbjT5_S1E_jjP12ihipStream_tbEUljE_ZNSN_ISO_Lb1ESQ_SR_ST_SU_SY_EESZ_S10_S11_S12_S16_S17_S18_S1B_S1C_jS1D_jS1E_S1E_jjS1G_bEUljE0_EEESZ_S10_S11_S18_S1C_S1E_T6_T7_T9_mT8_S1G_bDpT10_ENKUlT_T0_E_clISt17integral_constantIbLb0EES1U_EEDaS1P_S1Q_EUlS1P_E_NS1_11comp_targetILNS1_3genE10ELNS1_11target_archE1200ELNS1_3gpuE4ELNS1_3repE0EEENS1_30default_config_static_selectorELNS0_4arch9wavefront6targetE1EEEvS12_ ; -- Begin function _ZN7rocprim17ROCPRIM_400000_NS6detail17trampoline_kernelINS0_13select_configILj256ELj13ELNS0_17block_load_methodE3ELS4_3ELS4_3ELNS0_20block_scan_algorithmE0ELj4294967295EEENS1_25partition_config_selectorILNS1_17partition_subalgoE4EjNS0_10empty_typeEbEEZZNS1_14partition_implILS8_4ELb0ES6_15HIP_vector_typeIjLj2EENS0_17counting_iteratorIjlEEPS9_SG_NS0_5tupleIJPjSI_NS0_16reverse_iteratorISI_EEEEENSH_IJSG_SG_SG_EEES9_SI_JZNS1_25segmented_radix_sort_implINS0_14default_configELb1EPKhPhPKlPlN2at6native12_GLOBAL__N_18offset_tEEE10hipError_tPvRmT1_PNSt15iterator_traitsIS12_E10value_typeET2_T3_PNS13_IS18_E10value_typeET4_jRbjT5_S1E_jjP12ihipStream_tbEUljE_ZNSN_ISO_Lb1ESQ_SR_ST_SU_SY_EESZ_S10_S11_S12_S16_S17_S18_S1B_S1C_jS1D_jS1E_S1E_jjS1G_bEUljE0_EEESZ_S10_S11_S18_S1C_S1E_T6_T7_T9_mT8_S1G_bDpT10_ENKUlT_T0_E_clISt17integral_constantIbLb0EES1U_EEDaS1P_S1Q_EUlS1P_E_NS1_11comp_targetILNS1_3genE10ELNS1_11target_archE1200ELNS1_3gpuE4ELNS1_3repE0EEENS1_30default_config_static_selectorELNS0_4arch9wavefront6targetE1EEEvS12_
	.p2align	8
	.type	_ZN7rocprim17ROCPRIM_400000_NS6detail17trampoline_kernelINS0_13select_configILj256ELj13ELNS0_17block_load_methodE3ELS4_3ELS4_3ELNS0_20block_scan_algorithmE0ELj4294967295EEENS1_25partition_config_selectorILNS1_17partition_subalgoE4EjNS0_10empty_typeEbEEZZNS1_14partition_implILS8_4ELb0ES6_15HIP_vector_typeIjLj2EENS0_17counting_iteratorIjlEEPS9_SG_NS0_5tupleIJPjSI_NS0_16reverse_iteratorISI_EEEEENSH_IJSG_SG_SG_EEES9_SI_JZNS1_25segmented_radix_sort_implINS0_14default_configELb1EPKhPhPKlPlN2at6native12_GLOBAL__N_18offset_tEEE10hipError_tPvRmT1_PNSt15iterator_traitsIS12_E10value_typeET2_T3_PNS13_IS18_E10value_typeET4_jRbjT5_S1E_jjP12ihipStream_tbEUljE_ZNSN_ISO_Lb1ESQ_SR_ST_SU_SY_EESZ_S10_S11_S12_S16_S17_S18_S1B_S1C_jS1D_jS1E_S1E_jjS1G_bEUljE0_EEESZ_S10_S11_S18_S1C_S1E_T6_T7_T9_mT8_S1G_bDpT10_ENKUlT_T0_E_clISt17integral_constantIbLb0EES1U_EEDaS1P_S1Q_EUlS1P_E_NS1_11comp_targetILNS1_3genE10ELNS1_11target_archE1200ELNS1_3gpuE4ELNS1_3repE0EEENS1_30default_config_static_selectorELNS0_4arch9wavefront6targetE1EEEvS12_,@function
_ZN7rocprim17ROCPRIM_400000_NS6detail17trampoline_kernelINS0_13select_configILj256ELj13ELNS0_17block_load_methodE3ELS4_3ELS4_3ELNS0_20block_scan_algorithmE0ELj4294967295EEENS1_25partition_config_selectorILNS1_17partition_subalgoE4EjNS0_10empty_typeEbEEZZNS1_14partition_implILS8_4ELb0ES6_15HIP_vector_typeIjLj2EENS0_17counting_iteratorIjlEEPS9_SG_NS0_5tupleIJPjSI_NS0_16reverse_iteratorISI_EEEEENSH_IJSG_SG_SG_EEES9_SI_JZNS1_25segmented_radix_sort_implINS0_14default_configELb1EPKhPhPKlPlN2at6native12_GLOBAL__N_18offset_tEEE10hipError_tPvRmT1_PNSt15iterator_traitsIS12_E10value_typeET2_T3_PNS13_IS18_E10value_typeET4_jRbjT5_S1E_jjP12ihipStream_tbEUljE_ZNSN_ISO_Lb1ESQ_SR_ST_SU_SY_EESZ_S10_S11_S12_S16_S17_S18_S1B_S1C_jS1D_jS1E_S1E_jjS1G_bEUljE0_EEESZ_S10_S11_S18_S1C_S1E_T6_T7_T9_mT8_S1G_bDpT10_ENKUlT_T0_E_clISt17integral_constantIbLb0EES1U_EEDaS1P_S1Q_EUlS1P_E_NS1_11comp_targetILNS1_3genE10ELNS1_11target_archE1200ELNS1_3gpuE4ELNS1_3repE0EEENS1_30default_config_static_selectorELNS0_4arch9wavefront6targetE1EEEvS12_: ; @_ZN7rocprim17ROCPRIM_400000_NS6detail17trampoline_kernelINS0_13select_configILj256ELj13ELNS0_17block_load_methodE3ELS4_3ELS4_3ELNS0_20block_scan_algorithmE0ELj4294967295EEENS1_25partition_config_selectorILNS1_17partition_subalgoE4EjNS0_10empty_typeEbEEZZNS1_14partition_implILS8_4ELb0ES6_15HIP_vector_typeIjLj2EENS0_17counting_iteratorIjlEEPS9_SG_NS0_5tupleIJPjSI_NS0_16reverse_iteratorISI_EEEEENSH_IJSG_SG_SG_EEES9_SI_JZNS1_25segmented_radix_sort_implINS0_14default_configELb1EPKhPhPKlPlN2at6native12_GLOBAL__N_18offset_tEEE10hipError_tPvRmT1_PNSt15iterator_traitsIS12_E10value_typeET2_T3_PNS13_IS18_E10value_typeET4_jRbjT5_S1E_jjP12ihipStream_tbEUljE_ZNSN_ISO_Lb1ESQ_SR_ST_SU_SY_EESZ_S10_S11_S12_S16_S17_S18_S1B_S1C_jS1D_jS1E_S1E_jjS1G_bEUljE0_EEESZ_S10_S11_S18_S1C_S1E_T6_T7_T9_mT8_S1G_bDpT10_ENKUlT_T0_E_clISt17integral_constantIbLb0EES1U_EEDaS1P_S1Q_EUlS1P_E_NS1_11comp_targetILNS1_3genE10ELNS1_11target_archE1200ELNS1_3gpuE4ELNS1_3repE0EEENS1_30default_config_static_selectorELNS0_4arch9wavefront6targetE1EEEvS12_
; %bb.0:
	.section	.rodata,"a",@progbits
	.p2align	6, 0x0
	.amdhsa_kernel _ZN7rocprim17ROCPRIM_400000_NS6detail17trampoline_kernelINS0_13select_configILj256ELj13ELNS0_17block_load_methodE3ELS4_3ELS4_3ELNS0_20block_scan_algorithmE0ELj4294967295EEENS1_25partition_config_selectorILNS1_17partition_subalgoE4EjNS0_10empty_typeEbEEZZNS1_14partition_implILS8_4ELb0ES6_15HIP_vector_typeIjLj2EENS0_17counting_iteratorIjlEEPS9_SG_NS0_5tupleIJPjSI_NS0_16reverse_iteratorISI_EEEEENSH_IJSG_SG_SG_EEES9_SI_JZNS1_25segmented_radix_sort_implINS0_14default_configELb1EPKhPhPKlPlN2at6native12_GLOBAL__N_18offset_tEEE10hipError_tPvRmT1_PNSt15iterator_traitsIS12_E10value_typeET2_T3_PNS13_IS18_E10value_typeET4_jRbjT5_S1E_jjP12ihipStream_tbEUljE_ZNSN_ISO_Lb1ESQ_SR_ST_SU_SY_EESZ_S10_S11_S12_S16_S17_S18_S1B_S1C_jS1D_jS1E_S1E_jjS1G_bEUljE0_EEESZ_S10_S11_S18_S1C_S1E_T6_T7_T9_mT8_S1G_bDpT10_ENKUlT_T0_E_clISt17integral_constantIbLb0EES1U_EEDaS1P_S1Q_EUlS1P_E_NS1_11comp_targetILNS1_3genE10ELNS1_11target_archE1200ELNS1_3gpuE4ELNS1_3repE0EEENS1_30default_config_static_selectorELNS0_4arch9wavefront6targetE1EEEvS12_
		.amdhsa_group_segment_fixed_size 0
		.amdhsa_private_segment_fixed_size 0
		.amdhsa_kernarg_size 176
		.amdhsa_user_sgpr_count 6
		.amdhsa_user_sgpr_private_segment_buffer 1
		.amdhsa_user_sgpr_dispatch_ptr 0
		.amdhsa_user_sgpr_queue_ptr 0
		.amdhsa_user_sgpr_kernarg_segment_ptr 1
		.amdhsa_user_sgpr_dispatch_id 0
		.amdhsa_user_sgpr_flat_scratch_init 0
		.amdhsa_user_sgpr_kernarg_preload_length 0
		.amdhsa_user_sgpr_kernarg_preload_offset 0
		.amdhsa_user_sgpr_private_segment_size 0
		.amdhsa_uses_dynamic_stack 0
		.amdhsa_system_sgpr_private_segment_wavefront_offset 0
		.amdhsa_system_sgpr_workgroup_id_x 1
		.amdhsa_system_sgpr_workgroup_id_y 0
		.amdhsa_system_sgpr_workgroup_id_z 0
		.amdhsa_system_sgpr_workgroup_info 0
		.amdhsa_system_vgpr_workitem_id 0
		.amdhsa_next_free_vgpr 1
		.amdhsa_next_free_sgpr 0
		.amdhsa_accum_offset 4
		.amdhsa_reserve_vcc 0
		.amdhsa_reserve_flat_scratch 0
		.amdhsa_float_round_mode_32 0
		.amdhsa_float_round_mode_16_64 0
		.amdhsa_float_denorm_mode_32 3
		.amdhsa_float_denorm_mode_16_64 3
		.amdhsa_dx10_clamp 1
		.amdhsa_ieee_mode 1
		.amdhsa_fp16_overflow 0
		.amdhsa_tg_split 0
		.amdhsa_exception_fp_ieee_invalid_op 0
		.amdhsa_exception_fp_denorm_src 0
		.amdhsa_exception_fp_ieee_div_zero 0
		.amdhsa_exception_fp_ieee_overflow 0
		.amdhsa_exception_fp_ieee_underflow 0
		.amdhsa_exception_fp_ieee_inexact 0
		.amdhsa_exception_int_div_zero 0
	.end_amdhsa_kernel
	.section	.text._ZN7rocprim17ROCPRIM_400000_NS6detail17trampoline_kernelINS0_13select_configILj256ELj13ELNS0_17block_load_methodE3ELS4_3ELS4_3ELNS0_20block_scan_algorithmE0ELj4294967295EEENS1_25partition_config_selectorILNS1_17partition_subalgoE4EjNS0_10empty_typeEbEEZZNS1_14partition_implILS8_4ELb0ES6_15HIP_vector_typeIjLj2EENS0_17counting_iteratorIjlEEPS9_SG_NS0_5tupleIJPjSI_NS0_16reverse_iteratorISI_EEEEENSH_IJSG_SG_SG_EEES9_SI_JZNS1_25segmented_radix_sort_implINS0_14default_configELb1EPKhPhPKlPlN2at6native12_GLOBAL__N_18offset_tEEE10hipError_tPvRmT1_PNSt15iterator_traitsIS12_E10value_typeET2_T3_PNS13_IS18_E10value_typeET4_jRbjT5_S1E_jjP12ihipStream_tbEUljE_ZNSN_ISO_Lb1ESQ_SR_ST_SU_SY_EESZ_S10_S11_S12_S16_S17_S18_S1B_S1C_jS1D_jS1E_S1E_jjS1G_bEUljE0_EEESZ_S10_S11_S18_S1C_S1E_T6_T7_T9_mT8_S1G_bDpT10_ENKUlT_T0_E_clISt17integral_constantIbLb0EES1U_EEDaS1P_S1Q_EUlS1P_E_NS1_11comp_targetILNS1_3genE10ELNS1_11target_archE1200ELNS1_3gpuE4ELNS1_3repE0EEENS1_30default_config_static_selectorELNS0_4arch9wavefront6targetE1EEEvS12_,"axG",@progbits,_ZN7rocprim17ROCPRIM_400000_NS6detail17trampoline_kernelINS0_13select_configILj256ELj13ELNS0_17block_load_methodE3ELS4_3ELS4_3ELNS0_20block_scan_algorithmE0ELj4294967295EEENS1_25partition_config_selectorILNS1_17partition_subalgoE4EjNS0_10empty_typeEbEEZZNS1_14partition_implILS8_4ELb0ES6_15HIP_vector_typeIjLj2EENS0_17counting_iteratorIjlEEPS9_SG_NS0_5tupleIJPjSI_NS0_16reverse_iteratorISI_EEEEENSH_IJSG_SG_SG_EEES9_SI_JZNS1_25segmented_radix_sort_implINS0_14default_configELb1EPKhPhPKlPlN2at6native12_GLOBAL__N_18offset_tEEE10hipError_tPvRmT1_PNSt15iterator_traitsIS12_E10value_typeET2_T3_PNS13_IS18_E10value_typeET4_jRbjT5_S1E_jjP12ihipStream_tbEUljE_ZNSN_ISO_Lb1ESQ_SR_ST_SU_SY_EESZ_S10_S11_S12_S16_S17_S18_S1B_S1C_jS1D_jS1E_S1E_jjS1G_bEUljE0_EEESZ_S10_S11_S18_S1C_S1E_T6_T7_T9_mT8_S1G_bDpT10_ENKUlT_T0_E_clISt17integral_constantIbLb0EES1U_EEDaS1P_S1Q_EUlS1P_E_NS1_11comp_targetILNS1_3genE10ELNS1_11target_archE1200ELNS1_3gpuE4ELNS1_3repE0EEENS1_30default_config_static_selectorELNS0_4arch9wavefront6targetE1EEEvS12_,comdat
.Lfunc_end9:
	.size	_ZN7rocprim17ROCPRIM_400000_NS6detail17trampoline_kernelINS0_13select_configILj256ELj13ELNS0_17block_load_methodE3ELS4_3ELS4_3ELNS0_20block_scan_algorithmE0ELj4294967295EEENS1_25partition_config_selectorILNS1_17partition_subalgoE4EjNS0_10empty_typeEbEEZZNS1_14partition_implILS8_4ELb0ES6_15HIP_vector_typeIjLj2EENS0_17counting_iteratorIjlEEPS9_SG_NS0_5tupleIJPjSI_NS0_16reverse_iteratorISI_EEEEENSH_IJSG_SG_SG_EEES9_SI_JZNS1_25segmented_radix_sort_implINS0_14default_configELb1EPKhPhPKlPlN2at6native12_GLOBAL__N_18offset_tEEE10hipError_tPvRmT1_PNSt15iterator_traitsIS12_E10value_typeET2_T3_PNS13_IS18_E10value_typeET4_jRbjT5_S1E_jjP12ihipStream_tbEUljE_ZNSN_ISO_Lb1ESQ_SR_ST_SU_SY_EESZ_S10_S11_S12_S16_S17_S18_S1B_S1C_jS1D_jS1E_S1E_jjS1G_bEUljE0_EEESZ_S10_S11_S18_S1C_S1E_T6_T7_T9_mT8_S1G_bDpT10_ENKUlT_T0_E_clISt17integral_constantIbLb0EES1U_EEDaS1P_S1Q_EUlS1P_E_NS1_11comp_targetILNS1_3genE10ELNS1_11target_archE1200ELNS1_3gpuE4ELNS1_3repE0EEENS1_30default_config_static_selectorELNS0_4arch9wavefront6targetE1EEEvS12_, .Lfunc_end9-_ZN7rocprim17ROCPRIM_400000_NS6detail17trampoline_kernelINS0_13select_configILj256ELj13ELNS0_17block_load_methodE3ELS4_3ELS4_3ELNS0_20block_scan_algorithmE0ELj4294967295EEENS1_25partition_config_selectorILNS1_17partition_subalgoE4EjNS0_10empty_typeEbEEZZNS1_14partition_implILS8_4ELb0ES6_15HIP_vector_typeIjLj2EENS0_17counting_iteratorIjlEEPS9_SG_NS0_5tupleIJPjSI_NS0_16reverse_iteratorISI_EEEEENSH_IJSG_SG_SG_EEES9_SI_JZNS1_25segmented_radix_sort_implINS0_14default_configELb1EPKhPhPKlPlN2at6native12_GLOBAL__N_18offset_tEEE10hipError_tPvRmT1_PNSt15iterator_traitsIS12_E10value_typeET2_T3_PNS13_IS18_E10value_typeET4_jRbjT5_S1E_jjP12ihipStream_tbEUljE_ZNSN_ISO_Lb1ESQ_SR_ST_SU_SY_EESZ_S10_S11_S12_S16_S17_S18_S1B_S1C_jS1D_jS1E_S1E_jjS1G_bEUljE0_EEESZ_S10_S11_S18_S1C_S1E_T6_T7_T9_mT8_S1G_bDpT10_ENKUlT_T0_E_clISt17integral_constantIbLb0EES1U_EEDaS1P_S1Q_EUlS1P_E_NS1_11comp_targetILNS1_3genE10ELNS1_11target_archE1200ELNS1_3gpuE4ELNS1_3repE0EEENS1_30default_config_static_selectorELNS0_4arch9wavefront6targetE1EEEvS12_
                                        ; -- End function
	.section	.AMDGPU.csdata,"",@progbits
; Kernel info:
; codeLenInByte = 0
; NumSgprs: 4
; NumVgprs: 0
; NumAgprs: 0
; TotalNumVgprs: 0
; ScratchSize: 0
; MemoryBound: 0
; FloatMode: 240
; IeeeMode: 1
; LDSByteSize: 0 bytes/workgroup (compile time only)
; SGPRBlocks: 0
; VGPRBlocks: 0
; NumSGPRsForWavesPerEU: 4
; NumVGPRsForWavesPerEU: 1
; AccumOffset: 4
; Occupancy: 8
; WaveLimiterHint : 0
; COMPUTE_PGM_RSRC2:SCRATCH_EN: 0
; COMPUTE_PGM_RSRC2:USER_SGPR: 6
; COMPUTE_PGM_RSRC2:TRAP_HANDLER: 0
; COMPUTE_PGM_RSRC2:TGID_X_EN: 1
; COMPUTE_PGM_RSRC2:TGID_Y_EN: 0
; COMPUTE_PGM_RSRC2:TGID_Z_EN: 0
; COMPUTE_PGM_RSRC2:TIDIG_COMP_CNT: 0
; COMPUTE_PGM_RSRC3_GFX90A:ACCUM_OFFSET: 0
; COMPUTE_PGM_RSRC3_GFX90A:TG_SPLIT: 0
	.section	.text._ZN7rocprim17ROCPRIM_400000_NS6detail17trampoline_kernelINS0_13select_configILj256ELj13ELNS0_17block_load_methodE3ELS4_3ELS4_3ELNS0_20block_scan_algorithmE0ELj4294967295EEENS1_25partition_config_selectorILNS1_17partition_subalgoE4EjNS0_10empty_typeEbEEZZNS1_14partition_implILS8_4ELb0ES6_15HIP_vector_typeIjLj2EENS0_17counting_iteratorIjlEEPS9_SG_NS0_5tupleIJPjSI_NS0_16reverse_iteratorISI_EEEEENSH_IJSG_SG_SG_EEES9_SI_JZNS1_25segmented_radix_sort_implINS0_14default_configELb1EPKhPhPKlPlN2at6native12_GLOBAL__N_18offset_tEEE10hipError_tPvRmT1_PNSt15iterator_traitsIS12_E10value_typeET2_T3_PNS13_IS18_E10value_typeET4_jRbjT5_S1E_jjP12ihipStream_tbEUljE_ZNSN_ISO_Lb1ESQ_SR_ST_SU_SY_EESZ_S10_S11_S12_S16_S17_S18_S1B_S1C_jS1D_jS1E_S1E_jjS1G_bEUljE0_EEESZ_S10_S11_S18_S1C_S1E_T6_T7_T9_mT8_S1G_bDpT10_ENKUlT_T0_E_clISt17integral_constantIbLb0EES1U_EEDaS1P_S1Q_EUlS1P_E_NS1_11comp_targetILNS1_3genE9ELNS1_11target_archE1100ELNS1_3gpuE3ELNS1_3repE0EEENS1_30default_config_static_selectorELNS0_4arch9wavefront6targetE1EEEvS12_,"axG",@progbits,_ZN7rocprim17ROCPRIM_400000_NS6detail17trampoline_kernelINS0_13select_configILj256ELj13ELNS0_17block_load_methodE3ELS4_3ELS4_3ELNS0_20block_scan_algorithmE0ELj4294967295EEENS1_25partition_config_selectorILNS1_17partition_subalgoE4EjNS0_10empty_typeEbEEZZNS1_14partition_implILS8_4ELb0ES6_15HIP_vector_typeIjLj2EENS0_17counting_iteratorIjlEEPS9_SG_NS0_5tupleIJPjSI_NS0_16reverse_iteratorISI_EEEEENSH_IJSG_SG_SG_EEES9_SI_JZNS1_25segmented_radix_sort_implINS0_14default_configELb1EPKhPhPKlPlN2at6native12_GLOBAL__N_18offset_tEEE10hipError_tPvRmT1_PNSt15iterator_traitsIS12_E10value_typeET2_T3_PNS13_IS18_E10value_typeET4_jRbjT5_S1E_jjP12ihipStream_tbEUljE_ZNSN_ISO_Lb1ESQ_SR_ST_SU_SY_EESZ_S10_S11_S12_S16_S17_S18_S1B_S1C_jS1D_jS1E_S1E_jjS1G_bEUljE0_EEESZ_S10_S11_S18_S1C_S1E_T6_T7_T9_mT8_S1G_bDpT10_ENKUlT_T0_E_clISt17integral_constantIbLb0EES1U_EEDaS1P_S1Q_EUlS1P_E_NS1_11comp_targetILNS1_3genE9ELNS1_11target_archE1100ELNS1_3gpuE3ELNS1_3repE0EEENS1_30default_config_static_selectorELNS0_4arch9wavefront6targetE1EEEvS12_,comdat
	.globl	_ZN7rocprim17ROCPRIM_400000_NS6detail17trampoline_kernelINS0_13select_configILj256ELj13ELNS0_17block_load_methodE3ELS4_3ELS4_3ELNS0_20block_scan_algorithmE0ELj4294967295EEENS1_25partition_config_selectorILNS1_17partition_subalgoE4EjNS0_10empty_typeEbEEZZNS1_14partition_implILS8_4ELb0ES6_15HIP_vector_typeIjLj2EENS0_17counting_iteratorIjlEEPS9_SG_NS0_5tupleIJPjSI_NS0_16reverse_iteratorISI_EEEEENSH_IJSG_SG_SG_EEES9_SI_JZNS1_25segmented_radix_sort_implINS0_14default_configELb1EPKhPhPKlPlN2at6native12_GLOBAL__N_18offset_tEEE10hipError_tPvRmT1_PNSt15iterator_traitsIS12_E10value_typeET2_T3_PNS13_IS18_E10value_typeET4_jRbjT5_S1E_jjP12ihipStream_tbEUljE_ZNSN_ISO_Lb1ESQ_SR_ST_SU_SY_EESZ_S10_S11_S12_S16_S17_S18_S1B_S1C_jS1D_jS1E_S1E_jjS1G_bEUljE0_EEESZ_S10_S11_S18_S1C_S1E_T6_T7_T9_mT8_S1G_bDpT10_ENKUlT_T0_E_clISt17integral_constantIbLb0EES1U_EEDaS1P_S1Q_EUlS1P_E_NS1_11comp_targetILNS1_3genE9ELNS1_11target_archE1100ELNS1_3gpuE3ELNS1_3repE0EEENS1_30default_config_static_selectorELNS0_4arch9wavefront6targetE1EEEvS12_ ; -- Begin function _ZN7rocprim17ROCPRIM_400000_NS6detail17trampoline_kernelINS0_13select_configILj256ELj13ELNS0_17block_load_methodE3ELS4_3ELS4_3ELNS0_20block_scan_algorithmE0ELj4294967295EEENS1_25partition_config_selectorILNS1_17partition_subalgoE4EjNS0_10empty_typeEbEEZZNS1_14partition_implILS8_4ELb0ES6_15HIP_vector_typeIjLj2EENS0_17counting_iteratorIjlEEPS9_SG_NS0_5tupleIJPjSI_NS0_16reverse_iteratorISI_EEEEENSH_IJSG_SG_SG_EEES9_SI_JZNS1_25segmented_radix_sort_implINS0_14default_configELb1EPKhPhPKlPlN2at6native12_GLOBAL__N_18offset_tEEE10hipError_tPvRmT1_PNSt15iterator_traitsIS12_E10value_typeET2_T3_PNS13_IS18_E10value_typeET4_jRbjT5_S1E_jjP12ihipStream_tbEUljE_ZNSN_ISO_Lb1ESQ_SR_ST_SU_SY_EESZ_S10_S11_S12_S16_S17_S18_S1B_S1C_jS1D_jS1E_S1E_jjS1G_bEUljE0_EEESZ_S10_S11_S18_S1C_S1E_T6_T7_T9_mT8_S1G_bDpT10_ENKUlT_T0_E_clISt17integral_constantIbLb0EES1U_EEDaS1P_S1Q_EUlS1P_E_NS1_11comp_targetILNS1_3genE9ELNS1_11target_archE1100ELNS1_3gpuE3ELNS1_3repE0EEENS1_30default_config_static_selectorELNS0_4arch9wavefront6targetE1EEEvS12_
	.p2align	8
	.type	_ZN7rocprim17ROCPRIM_400000_NS6detail17trampoline_kernelINS0_13select_configILj256ELj13ELNS0_17block_load_methodE3ELS4_3ELS4_3ELNS0_20block_scan_algorithmE0ELj4294967295EEENS1_25partition_config_selectorILNS1_17partition_subalgoE4EjNS0_10empty_typeEbEEZZNS1_14partition_implILS8_4ELb0ES6_15HIP_vector_typeIjLj2EENS0_17counting_iteratorIjlEEPS9_SG_NS0_5tupleIJPjSI_NS0_16reverse_iteratorISI_EEEEENSH_IJSG_SG_SG_EEES9_SI_JZNS1_25segmented_radix_sort_implINS0_14default_configELb1EPKhPhPKlPlN2at6native12_GLOBAL__N_18offset_tEEE10hipError_tPvRmT1_PNSt15iterator_traitsIS12_E10value_typeET2_T3_PNS13_IS18_E10value_typeET4_jRbjT5_S1E_jjP12ihipStream_tbEUljE_ZNSN_ISO_Lb1ESQ_SR_ST_SU_SY_EESZ_S10_S11_S12_S16_S17_S18_S1B_S1C_jS1D_jS1E_S1E_jjS1G_bEUljE0_EEESZ_S10_S11_S18_S1C_S1E_T6_T7_T9_mT8_S1G_bDpT10_ENKUlT_T0_E_clISt17integral_constantIbLb0EES1U_EEDaS1P_S1Q_EUlS1P_E_NS1_11comp_targetILNS1_3genE9ELNS1_11target_archE1100ELNS1_3gpuE3ELNS1_3repE0EEENS1_30default_config_static_selectorELNS0_4arch9wavefront6targetE1EEEvS12_,@function
_ZN7rocprim17ROCPRIM_400000_NS6detail17trampoline_kernelINS0_13select_configILj256ELj13ELNS0_17block_load_methodE3ELS4_3ELS4_3ELNS0_20block_scan_algorithmE0ELj4294967295EEENS1_25partition_config_selectorILNS1_17partition_subalgoE4EjNS0_10empty_typeEbEEZZNS1_14partition_implILS8_4ELb0ES6_15HIP_vector_typeIjLj2EENS0_17counting_iteratorIjlEEPS9_SG_NS0_5tupleIJPjSI_NS0_16reverse_iteratorISI_EEEEENSH_IJSG_SG_SG_EEES9_SI_JZNS1_25segmented_radix_sort_implINS0_14default_configELb1EPKhPhPKlPlN2at6native12_GLOBAL__N_18offset_tEEE10hipError_tPvRmT1_PNSt15iterator_traitsIS12_E10value_typeET2_T3_PNS13_IS18_E10value_typeET4_jRbjT5_S1E_jjP12ihipStream_tbEUljE_ZNSN_ISO_Lb1ESQ_SR_ST_SU_SY_EESZ_S10_S11_S12_S16_S17_S18_S1B_S1C_jS1D_jS1E_S1E_jjS1G_bEUljE0_EEESZ_S10_S11_S18_S1C_S1E_T6_T7_T9_mT8_S1G_bDpT10_ENKUlT_T0_E_clISt17integral_constantIbLb0EES1U_EEDaS1P_S1Q_EUlS1P_E_NS1_11comp_targetILNS1_3genE9ELNS1_11target_archE1100ELNS1_3gpuE3ELNS1_3repE0EEENS1_30default_config_static_selectorELNS0_4arch9wavefront6targetE1EEEvS12_: ; @_ZN7rocprim17ROCPRIM_400000_NS6detail17trampoline_kernelINS0_13select_configILj256ELj13ELNS0_17block_load_methodE3ELS4_3ELS4_3ELNS0_20block_scan_algorithmE0ELj4294967295EEENS1_25partition_config_selectorILNS1_17partition_subalgoE4EjNS0_10empty_typeEbEEZZNS1_14partition_implILS8_4ELb0ES6_15HIP_vector_typeIjLj2EENS0_17counting_iteratorIjlEEPS9_SG_NS0_5tupleIJPjSI_NS0_16reverse_iteratorISI_EEEEENSH_IJSG_SG_SG_EEES9_SI_JZNS1_25segmented_radix_sort_implINS0_14default_configELb1EPKhPhPKlPlN2at6native12_GLOBAL__N_18offset_tEEE10hipError_tPvRmT1_PNSt15iterator_traitsIS12_E10value_typeET2_T3_PNS13_IS18_E10value_typeET4_jRbjT5_S1E_jjP12ihipStream_tbEUljE_ZNSN_ISO_Lb1ESQ_SR_ST_SU_SY_EESZ_S10_S11_S12_S16_S17_S18_S1B_S1C_jS1D_jS1E_S1E_jjS1G_bEUljE0_EEESZ_S10_S11_S18_S1C_S1E_T6_T7_T9_mT8_S1G_bDpT10_ENKUlT_T0_E_clISt17integral_constantIbLb0EES1U_EEDaS1P_S1Q_EUlS1P_E_NS1_11comp_targetILNS1_3genE9ELNS1_11target_archE1100ELNS1_3gpuE3ELNS1_3repE0EEENS1_30default_config_static_selectorELNS0_4arch9wavefront6targetE1EEEvS12_
; %bb.0:
	.section	.rodata,"a",@progbits
	.p2align	6, 0x0
	.amdhsa_kernel _ZN7rocprim17ROCPRIM_400000_NS6detail17trampoline_kernelINS0_13select_configILj256ELj13ELNS0_17block_load_methodE3ELS4_3ELS4_3ELNS0_20block_scan_algorithmE0ELj4294967295EEENS1_25partition_config_selectorILNS1_17partition_subalgoE4EjNS0_10empty_typeEbEEZZNS1_14partition_implILS8_4ELb0ES6_15HIP_vector_typeIjLj2EENS0_17counting_iteratorIjlEEPS9_SG_NS0_5tupleIJPjSI_NS0_16reverse_iteratorISI_EEEEENSH_IJSG_SG_SG_EEES9_SI_JZNS1_25segmented_radix_sort_implINS0_14default_configELb1EPKhPhPKlPlN2at6native12_GLOBAL__N_18offset_tEEE10hipError_tPvRmT1_PNSt15iterator_traitsIS12_E10value_typeET2_T3_PNS13_IS18_E10value_typeET4_jRbjT5_S1E_jjP12ihipStream_tbEUljE_ZNSN_ISO_Lb1ESQ_SR_ST_SU_SY_EESZ_S10_S11_S12_S16_S17_S18_S1B_S1C_jS1D_jS1E_S1E_jjS1G_bEUljE0_EEESZ_S10_S11_S18_S1C_S1E_T6_T7_T9_mT8_S1G_bDpT10_ENKUlT_T0_E_clISt17integral_constantIbLb0EES1U_EEDaS1P_S1Q_EUlS1P_E_NS1_11comp_targetILNS1_3genE9ELNS1_11target_archE1100ELNS1_3gpuE3ELNS1_3repE0EEENS1_30default_config_static_selectorELNS0_4arch9wavefront6targetE1EEEvS12_
		.amdhsa_group_segment_fixed_size 0
		.amdhsa_private_segment_fixed_size 0
		.amdhsa_kernarg_size 176
		.amdhsa_user_sgpr_count 6
		.amdhsa_user_sgpr_private_segment_buffer 1
		.amdhsa_user_sgpr_dispatch_ptr 0
		.amdhsa_user_sgpr_queue_ptr 0
		.amdhsa_user_sgpr_kernarg_segment_ptr 1
		.amdhsa_user_sgpr_dispatch_id 0
		.amdhsa_user_sgpr_flat_scratch_init 0
		.amdhsa_user_sgpr_kernarg_preload_length 0
		.amdhsa_user_sgpr_kernarg_preload_offset 0
		.amdhsa_user_sgpr_private_segment_size 0
		.amdhsa_uses_dynamic_stack 0
		.amdhsa_system_sgpr_private_segment_wavefront_offset 0
		.amdhsa_system_sgpr_workgroup_id_x 1
		.amdhsa_system_sgpr_workgroup_id_y 0
		.amdhsa_system_sgpr_workgroup_id_z 0
		.amdhsa_system_sgpr_workgroup_info 0
		.amdhsa_system_vgpr_workitem_id 0
		.amdhsa_next_free_vgpr 1
		.amdhsa_next_free_sgpr 0
		.amdhsa_accum_offset 4
		.amdhsa_reserve_vcc 0
		.amdhsa_reserve_flat_scratch 0
		.amdhsa_float_round_mode_32 0
		.amdhsa_float_round_mode_16_64 0
		.amdhsa_float_denorm_mode_32 3
		.amdhsa_float_denorm_mode_16_64 3
		.amdhsa_dx10_clamp 1
		.amdhsa_ieee_mode 1
		.amdhsa_fp16_overflow 0
		.amdhsa_tg_split 0
		.amdhsa_exception_fp_ieee_invalid_op 0
		.amdhsa_exception_fp_denorm_src 0
		.amdhsa_exception_fp_ieee_div_zero 0
		.amdhsa_exception_fp_ieee_overflow 0
		.amdhsa_exception_fp_ieee_underflow 0
		.amdhsa_exception_fp_ieee_inexact 0
		.amdhsa_exception_int_div_zero 0
	.end_amdhsa_kernel
	.section	.text._ZN7rocprim17ROCPRIM_400000_NS6detail17trampoline_kernelINS0_13select_configILj256ELj13ELNS0_17block_load_methodE3ELS4_3ELS4_3ELNS0_20block_scan_algorithmE0ELj4294967295EEENS1_25partition_config_selectorILNS1_17partition_subalgoE4EjNS0_10empty_typeEbEEZZNS1_14partition_implILS8_4ELb0ES6_15HIP_vector_typeIjLj2EENS0_17counting_iteratorIjlEEPS9_SG_NS0_5tupleIJPjSI_NS0_16reverse_iteratorISI_EEEEENSH_IJSG_SG_SG_EEES9_SI_JZNS1_25segmented_radix_sort_implINS0_14default_configELb1EPKhPhPKlPlN2at6native12_GLOBAL__N_18offset_tEEE10hipError_tPvRmT1_PNSt15iterator_traitsIS12_E10value_typeET2_T3_PNS13_IS18_E10value_typeET4_jRbjT5_S1E_jjP12ihipStream_tbEUljE_ZNSN_ISO_Lb1ESQ_SR_ST_SU_SY_EESZ_S10_S11_S12_S16_S17_S18_S1B_S1C_jS1D_jS1E_S1E_jjS1G_bEUljE0_EEESZ_S10_S11_S18_S1C_S1E_T6_T7_T9_mT8_S1G_bDpT10_ENKUlT_T0_E_clISt17integral_constantIbLb0EES1U_EEDaS1P_S1Q_EUlS1P_E_NS1_11comp_targetILNS1_3genE9ELNS1_11target_archE1100ELNS1_3gpuE3ELNS1_3repE0EEENS1_30default_config_static_selectorELNS0_4arch9wavefront6targetE1EEEvS12_,"axG",@progbits,_ZN7rocprim17ROCPRIM_400000_NS6detail17trampoline_kernelINS0_13select_configILj256ELj13ELNS0_17block_load_methodE3ELS4_3ELS4_3ELNS0_20block_scan_algorithmE0ELj4294967295EEENS1_25partition_config_selectorILNS1_17partition_subalgoE4EjNS0_10empty_typeEbEEZZNS1_14partition_implILS8_4ELb0ES6_15HIP_vector_typeIjLj2EENS0_17counting_iteratorIjlEEPS9_SG_NS0_5tupleIJPjSI_NS0_16reverse_iteratorISI_EEEEENSH_IJSG_SG_SG_EEES9_SI_JZNS1_25segmented_radix_sort_implINS0_14default_configELb1EPKhPhPKlPlN2at6native12_GLOBAL__N_18offset_tEEE10hipError_tPvRmT1_PNSt15iterator_traitsIS12_E10value_typeET2_T3_PNS13_IS18_E10value_typeET4_jRbjT5_S1E_jjP12ihipStream_tbEUljE_ZNSN_ISO_Lb1ESQ_SR_ST_SU_SY_EESZ_S10_S11_S12_S16_S17_S18_S1B_S1C_jS1D_jS1E_S1E_jjS1G_bEUljE0_EEESZ_S10_S11_S18_S1C_S1E_T6_T7_T9_mT8_S1G_bDpT10_ENKUlT_T0_E_clISt17integral_constantIbLb0EES1U_EEDaS1P_S1Q_EUlS1P_E_NS1_11comp_targetILNS1_3genE9ELNS1_11target_archE1100ELNS1_3gpuE3ELNS1_3repE0EEENS1_30default_config_static_selectorELNS0_4arch9wavefront6targetE1EEEvS12_,comdat
.Lfunc_end10:
	.size	_ZN7rocprim17ROCPRIM_400000_NS6detail17trampoline_kernelINS0_13select_configILj256ELj13ELNS0_17block_load_methodE3ELS4_3ELS4_3ELNS0_20block_scan_algorithmE0ELj4294967295EEENS1_25partition_config_selectorILNS1_17partition_subalgoE4EjNS0_10empty_typeEbEEZZNS1_14partition_implILS8_4ELb0ES6_15HIP_vector_typeIjLj2EENS0_17counting_iteratorIjlEEPS9_SG_NS0_5tupleIJPjSI_NS0_16reverse_iteratorISI_EEEEENSH_IJSG_SG_SG_EEES9_SI_JZNS1_25segmented_radix_sort_implINS0_14default_configELb1EPKhPhPKlPlN2at6native12_GLOBAL__N_18offset_tEEE10hipError_tPvRmT1_PNSt15iterator_traitsIS12_E10value_typeET2_T3_PNS13_IS18_E10value_typeET4_jRbjT5_S1E_jjP12ihipStream_tbEUljE_ZNSN_ISO_Lb1ESQ_SR_ST_SU_SY_EESZ_S10_S11_S12_S16_S17_S18_S1B_S1C_jS1D_jS1E_S1E_jjS1G_bEUljE0_EEESZ_S10_S11_S18_S1C_S1E_T6_T7_T9_mT8_S1G_bDpT10_ENKUlT_T0_E_clISt17integral_constantIbLb0EES1U_EEDaS1P_S1Q_EUlS1P_E_NS1_11comp_targetILNS1_3genE9ELNS1_11target_archE1100ELNS1_3gpuE3ELNS1_3repE0EEENS1_30default_config_static_selectorELNS0_4arch9wavefront6targetE1EEEvS12_, .Lfunc_end10-_ZN7rocprim17ROCPRIM_400000_NS6detail17trampoline_kernelINS0_13select_configILj256ELj13ELNS0_17block_load_methodE3ELS4_3ELS4_3ELNS0_20block_scan_algorithmE0ELj4294967295EEENS1_25partition_config_selectorILNS1_17partition_subalgoE4EjNS0_10empty_typeEbEEZZNS1_14partition_implILS8_4ELb0ES6_15HIP_vector_typeIjLj2EENS0_17counting_iteratorIjlEEPS9_SG_NS0_5tupleIJPjSI_NS0_16reverse_iteratorISI_EEEEENSH_IJSG_SG_SG_EEES9_SI_JZNS1_25segmented_radix_sort_implINS0_14default_configELb1EPKhPhPKlPlN2at6native12_GLOBAL__N_18offset_tEEE10hipError_tPvRmT1_PNSt15iterator_traitsIS12_E10value_typeET2_T3_PNS13_IS18_E10value_typeET4_jRbjT5_S1E_jjP12ihipStream_tbEUljE_ZNSN_ISO_Lb1ESQ_SR_ST_SU_SY_EESZ_S10_S11_S12_S16_S17_S18_S1B_S1C_jS1D_jS1E_S1E_jjS1G_bEUljE0_EEESZ_S10_S11_S18_S1C_S1E_T6_T7_T9_mT8_S1G_bDpT10_ENKUlT_T0_E_clISt17integral_constantIbLb0EES1U_EEDaS1P_S1Q_EUlS1P_E_NS1_11comp_targetILNS1_3genE9ELNS1_11target_archE1100ELNS1_3gpuE3ELNS1_3repE0EEENS1_30default_config_static_selectorELNS0_4arch9wavefront6targetE1EEEvS12_
                                        ; -- End function
	.section	.AMDGPU.csdata,"",@progbits
; Kernel info:
; codeLenInByte = 0
; NumSgprs: 4
; NumVgprs: 0
; NumAgprs: 0
; TotalNumVgprs: 0
; ScratchSize: 0
; MemoryBound: 0
; FloatMode: 240
; IeeeMode: 1
; LDSByteSize: 0 bytes/workgroup (compile time only)
; SGPRBlocks: 0
; VGPRBlocks: 0
; NumSGPRsForWavesPerEU: 4
; NumVGPRsForWavesPerEU: 1
; AccumOffset: 4
; Occupancy: 8
; WaveLimiterHint : 0
; COMPUTE_PGM_RSRC2:SCRATCH_EN: 0
; COMPUTE_PGM_RSRC2:USER_SGPR: 6
; COMPUTE_PGM_RSRC2:TRAP_HANDLER: 0
; COMPUTE_PGM_RSRC2:TGID_X_EN: 1
; COMPUTE_PGM_RSRC2:TGID_Y_EN: 0
; COMPUTE_PGM_RSRC2:TGID_Z_EN: 0
; COMPUTE_PGM_RSRC2:TIDIG_COMP_CNT: 0
; COMPUTE_PGM_RSRC3_GFX90A:ACCUM_OFFSET: 0
; COMPUTE_PGM_RSRC3_GFX90A:TG_SPLIT: 0
	.section	.text._ZN7rocprim17ROCPRIM_400000_NS6detail17trampoline_kernelINS0_13select_configILj256ELj13ELNS0_17block_load_methodE3ELS4_3ELS4_3ELNS0_20block_scan_algorithmE0ELj4294967295EEENS1_25partition_config_selectorILNS1_17partition_subalgoE4EjNS0_10empty_typeEbEEZZNS1_14partition_implILS8_4ELb0ES6_15HIP_vector_typeIjLj2EENS0_17counting_iteratorIjlEEPS9_SG_NS0_5tupleIJPjSI_NS0_16reverse_iteratorISI_EEEEENSH_IJSG_SG_SG_EEES9_SI_JZNS1_25segmented_radix_sort_implINS0_14default_configELb1EPKhPhPKlPlN2at6native12_GLOBAL__N_18offset_tEEE10hipError_tPvRmT1_PNSt15iterator_traitsIS12_E10value_typeET2_T3_PNS13_IS18_E10value_typeET4_jRbjT5_S1E_jjP12ihipStream_tbEUljE_ZNSN_ISO_Lb1ESQ_SR_ST_SU_SY_EESZ_S10_S11_S12_S16_S17_S18_S1B_S1C_jS1D_jS1E_S1E_jjS1G_bEUljE0_EEESZ_S10_S11_S18_S1C_S1E_T6_T7_T9_mT8_S1G_bDpT10_ENKUlT_T0_E_clISt17integral_constantIbLb0EES1U_EEDaS1P_S1Q_EUlS1P_E_NS1_11comp_targetILNS1_3genE8ELNS1_11target_archE1030ELNS1_3gpuE2ELNS1_3repE0EEENS1_30default_config_static_selectorELNS0_4arch9wavefront6targetE1EEEvS12_,"axG",@progbits,_ZN7rocprim17ROCPRIM_400000_NS6detail17trampoline_kernelINS0_13select_configILj256ELj13ELNS0_17block_load_methodE3ELS4_3ELS4_3ELNS0_20block_scan_algorithmE0ELj4294967295EEENS1_25partition_config_selectorILNS1_17partition_subalgoE4EjNS0_10empty_typeEbEEZZNS1_14partition_implILS8_4ELb0ES6_15HIP_vector_typeIjLj2EENS0_17counting_iteratorIjlEEPS9_SG_NS0_5tupleIJPjSI_NS0_16reverse_iteratorISI_EEEEENSH_IJSG_SG_SG_EEES9_SI_JZNS1_25segmented_radix_sort_implINS0_14default_configELb1EPKhPhPKlPlN2at6native12_GLOBAL__N_18offset_tEEE10hipError_tPvRmT1_PNSt15iterator_traitsIS12_E10value_typeET2_T3_PNS13_IS18_E10value_typeET4_jRbjT5_S1E_jjP12ihipStream_tbEUljE_ZNSN_ISO_Lb1ESQ_SR_ST_SU_SY_EESZ_S10_S11_S12_S16_S17_S18_S1B_S1C_jS1D_jS1E_S1E_jjS1G_bEUljE0_EEESZ_S10_S11_S18_S1C_S1E_T6_T7_T9_mT8_S1G_bDpT10_ENKUlT_T0_E_clISt17integral_constantIbLb0EES1U_EEDaS1P_S1Q_EUlS1P_E_NS1_11comp_targetILNS1_3genE8ELNS1_11target_archE1030ELNS1_3gpuE2ELNS1_3repE0EEENS1_30default_config_static_selectorELNS0_4arch9wavefront6targetE1EEEvS12_,comdat
	.globl	_ZN7rocprim17ROCPRIM_400000_NS6detail17trampoline_kernelINS0_13select_configILj256ELj13ELNS0_17block_load_methodE3ELS4_3ELS4_3ELNS0_20block_scan_algorithmE0ELj4294967295EEENS1_25partition_config_selectorILNS1_17partition_subalgoE4EjNS0_10empty_typeEbEEZZNS1_14partition_implILS8_4ELb0ES6_15HIP_vector_typeIjLj2EENS0_17counting_iteratorIjlEEPS9_SG_NS0_5tupleIJPjSI_NS0_16reverse_iteratorISI_EEEEENSH_IJSG_SG_SG_EEES9_SI_JZNS1_25segmented_radix_sort_implINS0_14default_configELb1EPKhPhPKlPlN2at6native12_GLOBAL__N_18offset_tEEE10hipError_tPvRmT1_PNSt15iterator_traitsIS12_E10value_typeET2_T3_PNS13_IS18_E10value_typeET4_jRbjT5_S1E_jjP12ihipStream_tbEUljE_ZNSN_ISO_Lb1ESQ_SR_ST_SU_SY_EESZ_S10_S11_S12_S16_S17_S18_S1B_S1C_jS1D_jS1E_S1E_jjS1G_bEUljE0_EEESZ_S10_S11_S18_S1C_S1E_T6_T7_T9_mT8_S1G_bDpT10_ENKUlT_T0_E_clISt17integral_constantIbLb0EES1U_EEDaS1P_S1Q_EUlS1P_E_NS1_11comp_targetILNS1_3genE8ELNS1_11target_archE1030ELNS1_3gpuE2ELNS1_3repE0EEENS1_30default_config_static_selectorELNS0_4arch9wavefront6targetE1EEEvS12_ ; -- Begin function _ZN7rocprim17ROCPRIM_400000_NS6detail17trampoline_kernelINS0_13select_configILj256ELj13ELNS0_17block_load_methodE3ELS4_3ELS4_3ELNS0_20block_scan_algorithmE0ELj4294967295EEENS1_25partition_config_selectorILNS1_17partition_subalgoE4EjNS0_10empty_typeEbEEZZNS1_14partition_implILS8_4ELb0ES6_15HIP_vector_typeIjLj2EENS0_17counting_iteratorIjlEEPS9_SG_NS0_5tupleIJPjSI_NS0_16reverse_iteratorISI_EEEEENSH_IJSG_SG_SG_EEES9_SI_JZNS1_25segmented_radix_sort_implINS0_14default_configELb1EPKhPhPKlPlN2at6native12_GLOBAL__N_18offset_tEEE10hipError_tPvRmT1_PNSt15iterator_traitsIS12_E10value_typeET2_T3_PNS13_IS18_E10value_typeET4_jRbjT5_S1E_jjP12ihipStream_tbEUljE_ZNSN_ISO_Lb1ESQ_SR_ST_SU_SY_EESZ_S10_S11_S12_S16_S17_S18_S1B_S1C_jS1D_jS1E_S1E_jjS1G_bEUljE0_EEESZ_S10_S11_S18_S1C_S1E_T6_T7_T9_mT8_S1G_bDpT10_ENKUlT_T0_E_clISt17integral_constantIbLb0EES1U_EEDaS1P_S1Q_EUlS1P_E_NS1_11comp_targetILNS1_3genE8ELNS1_11target_archE1030ELNS1_3gpuE2ELNS1_3repE0EEENS1_30default_config_static_selectorELNS0_4arch9wavefront6targetE1EEEvS12_
	.p2align	8
	.type	_ZN7rocprim17ROCPRIM_400000_NS6detail17trampoline_kernelINS0_13select_configILj256ELj13ELNS0_17block_load_methodE3ELS4_3ELS4_3ELNS0_20block_scan_algorithmE0ELj4294967295EEENS1_25partition_config_selectorILNS1_17partition_subalgoE4EjNS0_10empty_typeEbEEZZNS1_14partition_implILS8_4ELb0ES6_15HIP_vector_typeIjLj2EENS0_17counting_iteratorIjlEEPS9_SG_NS0_5tupleIJPjSI_NS0_16reverse_iteratorISI_EEEEENSH_IJSG_SG_SG_EEES9_SI_JZNS1_25segmented_radix_sort_implINS0_14default_configELb1EPKhPhPKlPlN2at6native12_GLOBAL__N_18offset_tEEE10hipError_tPvRmT1_PNSt15iterator_traitsIS12_E10value_typeET2_T3_PNS13_IS18_E10value_typeET4_jRbjT5_S1E_jjP12ihipStream_tbEUljE_ZNSN_ISO_Lb1ESQ_SR_ST_SU_SY_EESZ_S10_S11_S12_S16_S17_S18_S1B_S1C_jS1D_jS1E_S1E_jjS1G_bEUljE0_EEESZ_S10_S11_S18_S1C_S1E_T6_T7_T9_mT8_S1G_bDpT10_ENKUlT_T0_E_clISt17integral_constantIbLb0EES1U_EEDaS1P_S1Q_EUlS1P_E_NS1_11comp_targetILNS1_3genE8ELNS1_11target_archE1030ELNS1_3gpuE2ELNS1_3repE0EEENS1_30default_config_static_selectorELNS0_4arch9wavefront6targetE1EEEvS12_,@function
_ZN7rocprim17ROCPRIM_400000_NS6detail17trampoline_kernelINS0_13select_configILj256ELj13ELNS0_17block_load_methodE3ELS4_3ELS4_3ELNS0_20block_scan_algorithmE0ELj4294967295EEENS1_25partition_config_selectorILNS1_17partition_subalgoE4EjNS0_10empty_typeEbEEZZNS1_14partition_implILS8_4ELb0ES6_15HIP_vector_typeIjLj2EENS0_17counting_iteratorIjlEEPS9_SG_NS0_5tupleIJPjSI_NS0_16reverse_iteratorISI_EEEEENSH_IJSG_SG_SG_EEES9_SI_JZNS1_25segmented_radix_sort_implINS0_14default_configELb1EPKhPhPKlPlN2at6native12_GLOBAL__N_18offset_tEEE10hipError_tPvRmT1_PNSt15iterator_traitsIS12_E10value_typeET2_T3_PNS13_IS18_E10value_typeET4_jRbjT5_S1E_jjP12ihipStream_tbEUljE_ZNSN_ISO_Lb1ESQ_SR_ST_SU_SY_EESZ_S10_S11_S12_S16_S17_S18_S1B_S1C_jS1D_jS1E_S1E_jjS1G_bEUljE0_EEESZ_S10_S11_S18_S1C_S1E_T6_T7_T9_mT8_S1G_bDpT10_ENKUlT_T0_E_clISt17integral_constantIbLb0EES1U_EEDaS1P_S1Q_EUlS1P_E_NS1_11comp_targetILNS1_3genE8ELNS1_11target_archE1030ELNS1_3gpuE2ELNS1_3repE0EEENS1_30default_config_static_selectorELNS0_4arch9wavefront6targetE1EEEvS12_: ; @_ZN7rocprim17ROCPRIM_400000_NS6detail17trampoline_kernelINS0_13select_configILj256ELj13ELNS0_17block_load_methodE3ELS4_3ELS4_3ELNS0_20block_scan_algorithmE0ELj4294967295EEENS1_25partition_config_selectorILNS1_17partition_subalgoE4EjNS0_10empty_typeEbEEZZNS1_14partition_implILS8_4ELb0ES6_15HIP_vector_typeIjLj2EENS0_17counting_iteratorIjlEEPS9_SG_NS0_5tupleIJPjSI_NS0_16reverse_iteratorISI_EEEEENSH_IJSG_SG_SG_EEES9_SI_JZNS1_25segmented_radix_sort_implINS0_14default_configELb1EPKhPhPKlPlN2at6native12_GLOBAL__N_18offset_tEEE10hipError_tPvRmT1_PNSt15iterator_traitsIS12_E10value_typeET2_T3_PNS13_IS18_E10value_typeET4_jRbjT5_S1E_jjP12ihipStream_tbEUljE_ZNSN_ISO_Lb1ESQ_SR_ST_SU_SY_EESZ_S10_S11_S12_S16_S17_S18_S1B_S1C_jS1D_jS1E_S1E_jjS1G_bEUljE0_EEESZ_S10_S11_S18_S1C_S1E_T6_T7_T9_mT8_S1G_bDpT10_ENKUlT_T0_E_clISt17integral_constantIbLb0EES1U_EEDaS1P_S1Q_EUlS1P_E_NS1_11comp_targetILNS1_3genE8ELNS1_11target_archE1030ELNS1_3gpuE2ELNS1_3repE0EEENS1_30default_config_static_selectorELNS0_4arch9wavefront6targetE1EEEvS12_
; %bb.0:
	.section	.rodata,"a",@progbits
	.p2align	6, 0x0
	.amdhsa_kernel _ZN7rocprim17ROCPRIM_400000_NS6detail17trampoline_kernelINS0_13select_configILj256ELj13ELNS0_17block_load_methodE3ELS4_3ELS4_3ELNS0_20block_scan_algorithmE0ELj4294967295EEENS1_25partition_config_selectorILNS1_17partition_subalgoE4EjNS0_10empty_typeEbEEZZNS1_14partition_implILS8_4ELb0ES6_15HIP_vector_typeIjLj2EENS0_17counting_iteratorIjlEEPS9_SG_NS0_5tupleIJPjSI_NS0_16reverse_iteratorISI_EEEEENSH_IJSG_SG_SG_EEES9_SI_JZNS1_25segmented_radix_sort_implINS0_14default_configELb1EPKhPhPKlPlN2at6native12_GLOBAL__N_18offset_tEEE10hipError_tPvRmT1_PNSt15iterator_traitsIS12_E10value_typeET2_T3_PNS13_IS18_E10value_typeET4_jRbjT5_S1E_jjP12ihipStream_tbEUljE_ZNSN_ISO_Lb1ESQ_SR_ST_SU_SY_EESZ_S10_S11_S12_S16_S17_S18_S1B_S1C_jS1D_jS1E_S1E_jjS1G_bEUljE0_EEESZ_S10_S11_S18_S1C_S1E_T6_T7_T9_mT8_S1G_bDpT10_ENKUlT_T0_E_clISt17integral_constantIbLb0EES1U_EEDaS1P_S1Q_EUlS1P_E_NS1_11comp_targetILNS1_3genE8ELNS1_11target_archE1030ELNS1_3gpuE2ELNS1_3repE0EEENS1_30default_config_static_selectorELNS0_4arch9wavefront6targetE1EEEvS12_
		.amdhsa_group_segment_fixed_size 0
		.amdhsa_private_segment_fixed_size 0
		.amdhsa_kernarg_size 176
		.amdhsa_user_sgpr_count 6
		.amdhsa_user_sgpr_private_segment_buffer 1
		.amdhsa_user_sgpr_dispatch_ptr 0
		.amdhsa_user_sgpr_queue_ptr 0
		.amdhsa_user_sgpr_kernarg_segment_ptr 1
		.amdhsa_user_sgpr_dispatch_id 0
		.amdhsa_user_sgpr_flat_scratch_init 0
		.amdhsa_user_sgpr_kernarg_preload_length 0
		.amdhsa_user_sgpr_kernarg_preload_offset 0
		.amdhsa_user_sgpr_private_segment_size 0
		.amdhsa_uses_dynamic_stack 0
		.amdhsa_system_sgpr_private_segment_wavefront_offset 0
		.amdhsa_system_sgpr_workgroup_id_x 1
		.amdhsa_system_sgpr_workgroup_id_y 0
		.amdhsa_system_sgpr_workgroup_id_z 0
		.amdhsa_system_sgpr_workgroup_info 0
		.amdhsa_system_vgpr_workitem_id 0
		.amdhsa_next_free_vgpr 1
		.amdhsa_next_free_sgpr 0
		.amdhsa_accum_offset 4
		.amdhsa_reserve_vcc 0
		.amdhsa_reserve_flat_scratch 0
		.amdhsa_float_round_mode_32 0
		.amdhsa_float_round_mode_16_64 0
		.amdhsa_float_denorm_mode_32 3
		.amdhsa_float_denorm_mode_16_64 3
		.amdhsa_dx10_clamp 1
		.amdhsa_ieee_mode 1
		.amdhsa_fp16_overflow 0
		.amdhsa_tg_split 0
		.amdhsa_exception_fp_ieee_invalid_op 0
		.amdhsa_exception_fp_denorm_src 0
		.amdhsa_exception_fp_ieee_div_zero 0
		.amdhsa_exception_fp_ieee_overflow 0
		.amdhsa_exception_fp_ieee_underflow 0
		.amdhsa_exception_fp_ieee_inexact 0
		.amdhsa_exception_int_div_zero 0
	.end_amdhsa_kernel
	.section	.text._ZN7rocprim17ROCPRIM_400000_NS6detail17trampoline_kernelINS0_13select_configILj256ELj13ELNS0_17block_load_methodE3ELS4_3ELS4_3ELNS0_20block_scan_algorithmE0ELj4294967295EEENS1_25partition_config_selectorILNS1_17partition_subalgoE4EjNS0_10empty_typeEbEEZZNS1_14partition_implILS8_4ELb0ES6_15HIP_vector_typeIjLj2EENS0_17counting_iteratorIjlEEPS9_SG_NS0_5tupleIJPjSI_NS0_16reverse_iteratorISI_EEEEENSH_IJSG_SG_SG_EEES9_SI_JZNS1_25segmented_radix_sort_implINS0_14default_configELb1EPKhPhPKlPlN2at6native12_GLOBAL__N_18offset_tEEE10hipError_tPvRmT1_PNSt15iterator_traitsIS12_E10value_typeET2_T3_PNS13_IS18_E10value_typeET4_jRbjT5_S1E_jjP12ihipStream_tbEUljE_ZNSN_ISO_Lb1ESQ_SR_ST_SU_SY_EESZ_S10_S11_S12_S16_S17_S18_S1B_S1C_jS1D_jS1E_S1E_jjS1G_bEUljE0_EEESZ_S10_S11_S18_S1C_S1E_T6_T7_T9_mT8_S1G_bDpT10_ENKUlT_T0_E_clISt17integral_constantIbLb0EES1U_EEDaS1P_S1Q_EUlS1P_E_NS1_11comp_targetILNS1_3genE8ELNS1_11target_archE1030ELNS1_3gpuE2ELNS1_3repE0EEENS1_30default_config_static_selectorELNS0_4arch9wavefront6targetE1EEEvS12_,"axG",@progbits,_ZN7rocprim17ROCPRIM_400000_NS6detail17trampoline_kernelINS0_13select_configILj256ELj13ELNS0_17block_load_methodE3ELS4_3ELS4_3ELNS0_20block_scan_algorithmE0ELj4294967295EEENS1_25partition_config_selectorILNS1_17partition_subalgoE4EjNS0_10empty_typeEbEEZZNS1_14partition_implILS8_4ELb0ES6_15HIP_vector_typeIjLj2EENS0_17counting_iteratorIjlEEPS9_SG_NS0_5tupleIJPjSI_NS0_16reverse_iteratorISI_EEEEENSH_IJSG_SG_SG_EEES9_SI_JZNS1_25segmented_radix_sort_implINS0_14default_configELb1EPKhPhPKlPlN2at6native12_GLOBAL__N_18offset_tEEE10hipError_tPvRmT1_PNSt15iterator_traitsIS12_E10value_typeET2_T3_PNS13_IS18_E10value_typeET4_jRbjT5_S1E_jjP12ihipStream_tbEUljE_ZNSN_ISO_Lb1ESQ_SR_ST_SU_SY_EESZ_S10_S11_S12_S16_S17_S18_S1B_S1C_jS1D_jS1E_S1E_jjS1G_bEUljE0_EEESZ_S10_S11_S18_S1C_S1E_T6_T7_T9_mT8_S1G_bDpT10_ENKUlT_T0_E_clISt17integral_constantIbLb0EES1U_EEDaS1P_S1Q_EUlS1P_E_NS1_11comp_targetILNS1_3genE8ELNS1_11target_archE1030ELNS1_3gpuE2ELNS1_3repE0EEENS1_30default_config_static_selectorELNS0_4arch9wavefront6targetE1EEEvS12_,comdat
.Lfunc_end11:
	.size	_ZN7rocprim17ROCPRIM_400000_NS6detail17trampoline_kernelINS0_13select_configILj256ELj13ELNS0_17block_load_methodE3ELS4_3ELS4_3ELNS0_20block_scan_algorithmE0ELj4294967295EEENS1_25partition_config_selectorILNS1_17partition_subalgoE4EjNS0_10empty_typeEbEEZZNS1_14partition_implILS8_4ELb0ES6_15HIP_vector_typeIjLj2EENS0_17counting_iteratorIjlEEPS9_SG_NS0_5tupleIJPjSI_NS0_16reverse_iteratorISI_EEEEENSH_IJSG_SG_SG_EEES9_SI_JZNS1_25segmented_radix_sort_implINS0_14default_configELb1EPKhPhPKlPlN2at6native12_GLOBAL__N_18offset_tEEE10hipError_tPvRmT1_PNSt15iterator_traitsIS12_E10value_typeET2_T3_PNS13_IS18_E10value_typeET4_jRbjT5_S1E_jjP12ihipStream_tbEUljE_ZNSN_ISO_Lb1ESQ_SR_ST_SU_SY_EESZ_S10_S11_S12_S16_S17_S18_S1B_S1C_jS1D_jS1E_S1E_jjS1G_bEUljE0_EEESZ_S10_S11_S18_S1C_S1E_T6_T7_T9_mT8_S1G_bDpT10_ENKUlT_T0_E_clISt17integral_constantIbLb0EES1U_EEDaS1P_S1Q_EUlS1P_E_NS1_11comp_targetILNS1_3genE8ELNS1_11target_archE1030ELNS1_3gpuE2ELNS1_3repE0EEENS1_30default_config_static_selectorELNS0_4arch9wavefront6targetE1EEEvS12_, .Lfunc_end11-_ZN7rocprim17ROCPRIM_400000_NS6detail17trampoline_kernelINS0_13select_configILj256ELj13ELNS0_17block_load_methodE3ELS4_3ELS4_3ELNS0_20block_scan_algorithmE0ELj4294967295EEENS1_25partition_config_selectorILNS1_17partition_subalgoE4EjNS0_10empty_typeEbEEZZNS1_14partition_implILS8_4ELb0ES6_15HIP_vector_typeIjLj2EENS0_17counting_iteratorIjlEEPS9_SG_NS0_5tupleIJPjSI_NS0_16reverse_iteratorISI_EEEEENSH_IJSG_SG_SG_EEES9_SI_JZNS1_25segmented_radix_sort_implINS0_14default_configELb1EPKhPhPKlPlN2at6native12_GLOBAL__N_18offset_tEEE10hipError_tPvRmT1_PNSt15iterator_traitsIS12_E10value_typeET2_T3_PNS13_IS18_E10value_typeET4_jRbjT5_S1E_jjP12ihipStream_tbEUljE_ZNSN_ISO_Lb1ESQ_SR_ST_SU_SY_EESZ_S10_S11_S12_S16_S17_S18_S1B_S1C_jS1D_jS1E_S1E_jjS1G_bEUljE0_EEESZ_S10_S11_S18_S1C_S1E_T6_T7_T9_mT8_S1G_bDpT10_ENKUlT_T0_E_clISt17integral_constantIbLb0EES1U_EEDaS1P_S1Q_EUlS1P_E_NS1_11comp_targetILNS1_3genE8ELNS1_11target_archE1030ELNS1_3gpuE2ELNS1_3repE0EEENS1_30default_config_static_selectorELNS0_4arch9wavefront6targetE1EEEvS12_
                                        ; -- End function
	.section	.AMDGPU.csdata,"",@progbits
; Kernel info:
; codeLenInByte = 0
; NumSgprs: 4
; NumVgprs: 0
; NumAgprs: 0
; TotalNumVgprs: 0
; ScratchSize: 0
; MemoryBound: 0
; FloatMode: 240
; IeeeMode: 1
; LDSByteSize: 0 bytes/workgroup (compile time only)
; SGPRBlocks: 0
; VGPRBlocks: 0
; NumSGPRsForWavesPerEU: 4
; NumVGPRsForWavesPerEU: 1
; AccumOffset: 4
; Occupancy: 8
; WaveLimiterHint : 0
; COMPUTE_PGM_RSRC2:SCRATCH_EN: 0
; COMPUTE_PGM_RSRC2:USER_SGPR: 6
; COMPUTE_PGM_RSRC2:TRAP_HANDLER: 0
; COMPUTE_PGM_RSRC2:TGID_X_EN: 1
; COMPUTE_PGM_RSRC2:TGID_Y_EN: 0
; COMPUTE_PGM_RSRC2:TGID_Z_EN: 0
; COMPUTE_PGM_RSRC2:TIDIG_COMP_CNT: 0
; COMPUTE_PGM_RSRC3_GFX90A:ACCUM_OFFSET: 0
; COMPUTE_PGM_RSRC3_GFX90A:TG_SPLIT: 0
	.section	.text._ZN7rocprim17ROCPRIM_400000_NS6detail17trampoline_kernelINS0_14default_configENS1_25transform_config_selectorImLb1EEEZNS1_14transform_implILb1ES3_S5_PmPjNS0_8identityIvEEEE10hipError_tT2_T3_mT4_P12ihipStream_tbEUlT_E_NS1_11comp_targetILNS1_3genE0ELNS1_11target_archE4294967295ELNS1_3gpuE0ELNS1_3repE0EEENS1_30default_config_static_selectorELNS0_4arch9wavefront6targetE1EEEvT1_,"axG",@progbits,_ZN7rocprim17ROCPRIM_400000_NS6detail17trampoline_kernelINS0_14default_configENS1_25transform_config_selectorImLb1EEEZNS1_14transform_implILb1ES3_S5_PmPjNS0_8identityIvEEEE10hipError_tT2_T3_mT4_P12ihipStream_tbEUlT_E_NS1_11comp_targetILNS1_3genE0ELNS1_11target_archE4294967295ELNS1_3gpuE0ELNS1_3repE0EEENS1_30default_config_static_selectorELNS0_4arch9wavefront6targetE1EEEvT1_,comdat
	.protected	_ZN7rocprim17ROCPRIM_400000_NS6detail17trampoline_kernelINS0_14default_configENS1_25transform_config_selectorImLb1EEEZNS1_14transform_implILb1ES3_S5_PmPjNS0_8identityIvEEEE10hipError_tT2_T3_mT4_P12ihipStream_tbEUlT_E_NS1_11comp_targetILNS1_3genE0ELNS1_11target_archE4294967295ELNS1_3gpuE0ELNS1_3repE0EEENS1_30default_config_static_selectorELNS0_4arch9wavefront6targetE1EEEvT1_ ; -- Begin function _ZN7rocprim17ROCPRIM_400000_NS6detail17trampoline_kernelINS0_14default_configENS1_25transform_config_selectorImLb1EEEZNS1_14transform_implILb1ES3_S5_PmPjNS0_8identityIvEEEE10hipError_tT2_T3_mT4_P12ihipStream_tbEUlT_E_NS1_11comp_targetILNS1_3genE0ELNS1_11target_archE4294967295ELNS1_3gpuE0ELNS1_3repE0EEENS1_30default_config_static_selectorELNS0_4arch9wavefront6targetE1EEEvT1_
	.globl	_ZN7rocprim17ROCPRIM_400000_NS6detail17trampoline_kernelINS0_14default_configENS1_25transform_config_selectorImLb1EEEZNS1_14transform_implILb1ES3_S5_PmPjNS0_8identityIvEEEE10hipError_tT2_T3_mT4_P12ihipStream_tbEUlT_E_NS1_11comp_targetILNS1_3genE0ELNS1_11target_archE4294967295ELNS1_3gpuE0ELNS1_3repE0EEENS1_30default_config_static_selectorELNS0_4arch9wavefront6targetE1EEEvT1_
	.p2align	8
	.type	_ZN7rocprim17ROCPRIM_400000_NS6detail17trampoline_kernelINS0_14default_configENS1_25transform_config_selectorImLb1EEEZNS1_14transform_implILb1ES3_S5_PmPjNS0_8identityIvEEEE10hipError_tT2_T3_mT4_P12ihipStream_tbEUlT_E_NS1_11comp_targetILNS1_3genE0ELNS1_11target_archE4294967295ELNS1_3gpuE0ELNS1_3repE0EEENS1_30default_config_static_selectorELNS0_4arch9wavefront6targetE1EEEvT1_,@function
_ZN7rocprim17ROCPRIM_400000_NS6detail17trampoline_kernelINS0_14default_configENS1_25transform_config_selectorImLb1EEEZNS1_14transform_implILb1ES3_S5_PmPjNS0_8identityIvEEEE10hipError_tT2_T3_mT4_P12ihipStream_tbEUlT_E_NS1_11comp_targetILNS1_3genE0ELNS1_11target_archE4294967295ELNS1_3gpuE0ELNS1_3repE0EEENS1_30default_config_static_selectorELNS0_4arch9wavefront6targetE1EEEvT1_: ; @_ZN7rocprim17ROCPRIM_400000_NS6detail17trampoline_kernelINS0_14default_configENS1_25transform_config_selectorImLb1EEEZNS1_14transform_implILb1ES3_S5_PmPjNS0_8identityIvEEEE10hipError_tT2_T3_mT4_P12ihipStream_tbEUlT_E_NS1_11comp_targetILNS1_3genE0ELNS1_11target_archE4294967295ELNS1_3gpuE0ELNS1_3repE0EEENS1_30default_config_static_selectorELNS0_4arch9wavefront6targetE1EEEvT1_
; %bb.0:
	.section	.rodata,"a",@progbits
	.p2align	6, 0x0
	.amdhsa_kernel _ZN7rocprim17ROCPRIM_400000_NS6detail17trampoline_kernelINS0_14default_configENS1_25transform_config_selectorImLb1EEEZNS1_14transform_implILb1ES3_S5_PmPjNS0_8identityIvEEEE10hipError_tT2_T3_mT4_P12ihipStream_tbEUlT_E_NS1_11comp_targetILNS1_3genE0ELNS1_11target_archE4294967295ELNS1_3gpuE0ELNS1_3repE0EEENS1_30default_config_static_selectorELNS0_4arch9wavefront6targetE1EEEvT1_
		.amdhsa_group_segment_fixed_size 0
		.amdhsa_private_segment_fixed_size 0
		.amdhsa_kernarg_size 40
		.amdhsa_user_sgpr_count 6
		.amdhsa_user_sgpr_private_segment_buffer 1
		.amdhsa_user_sgpr_dispatch_ptr 0
		.amdhsa_user_sgpr_queue_ptr 0
		.amdhsa_user_sgpr_kernarg_segment_ptr 1
		.amdhsa_user_sgpr_dispatch_id 0
		.amdhsa_user_sgpr_flat_scratch_init 0
		.amdhsa_user_sgpr_kernarg_preload_length 0
		.amdhsa_user_sgpr_kernarg_preload_offset 0
		.amdhsa_user_sgpr_private_segment_size 0
		.amdhsa_uses_dynamic_stack 0
		.amdhsa_system_sgpr_private_segment_wavefront_offset 0
		.amdhsa_system_sgpr_workgroup_id_x 1
		.amdhsa_system_sgpr_workgroup_id_y 0
		.amdhsa_system_sgpr_workgroup_id_z 0
		.amdhsa_system_sgpr_workgroup_info 0
		.amdhsa_system_vgpr_workitem_id 0
		.amdhsa_next_free_vgpr 1
		.amdhsa_next_free_sgpr 0
		.amdhsa_accum_offset 4
		.amdhsa_reserve_vcc 0
		.amdhsa_reserve_flat_scratch 0
		.amdhsa_float_round_mode_32 0
		.amdhsa_float_round_mode_16_64 0
		.amdhsa_float_denorm_mode_32 3
		.amdhsa_float_denorm_mode_16_64 3
		.amdhsa_dx10_clamp 1
		.amdhsa_ieee_mode 1
		.amdhsa_fp16_overflow 0
		.amdhsa_tg_split 0
		.amdhsa_exception_fp_ieee_invalid_op 0
		.amdhsa_exception_fp_denorm_src 0
		.amdhsa_exception_fp_ieee_div_zero 0
		.amdhsa_exception_fp_ieee_overflow 0
		.amdhsa_exception_fp_ieee_underflow 0
		.amdhsa_exception_fp_ieee_inexact 0
		.amdhsa_exception_int_div_zero 0
	.end_amdhsa_kernel
	.section	.text._ZN7rocprim17ROCPRIM_400000_NS6detail17trampoline_kernelINS0_14default_configENS1_25transform_config_selectorImLb1EEEZNS1_14transform_implILb1ES3_S5_PmPjNS0_8identityIvEEEE10hipError_tT2_T3_mT4_P12ihipStream_tbEUlT_E_NS1_11comp_targetILNS1_3genE0ELNS1_11target_archE4294967295ELNS1_3gpuE0ELNS1_3repE0EEENS1_30default_config_static_selectorELNS0_4arch9wavefront6targetE1EEEvT1_,"axG",@progbits,_ZN7rocprim17ROCPRIM_400000_NS6detail17trampoline_kernelINS0_14default_configENS1_25transform_config_selectorImLb1EEEZNS1_14transform_implILb1ES3_S5_PmPjNS0_8identityIvEEEE10hipError_tT2_T3_mT4_P12ihipStream_tbEUlT_E_NS1_11comp_targetILNS1_3genE0ELNS1_11target_archE4294967295ELNS1_3gpuE0ELNS1_3repE0EEENS1_30default_config_static_selectorELNS0_4arch9wavefront6targetE1EEEvT1_,comdat
.Lfunc_end12:
	.size	_ZN7rocprim17ROCPRIM_400000_NS6detail17trampoline_kernelINS0_14default_configENS1_25transform_config_selectorImLb1EEEZNS1_14transform_implILb1ES3_S5_PmPjNS0_8identityIvEEEE10hipError_tT2_T3_mT4_P12ihipStream_tbEUlT_E_NS1_11comp_targetILNS1_3genE0ELNS1_11target_archE4294967295ELNS1_3gpuE0ELNS1_3repE0EEENS1_30default_config_static_selectorELNS0_4arch9wavefront6targetE1EEEvT1_, .Lfunc_end12-_ZN7rocprim17ROCPRIM_400000_NS6detail17trampoline_kernelINS0_14default_configENS1_25transform_config_selectorImLb1EEEZNS1_14transform_implILb1ES3_S5_PmPjNS0_8identityIvEEEE10hipError_tT2_T3_mT4_P12ihipStream_tbEUlT_E_NS1_11comp_targetILNS1_3genE0ELNS1_11target_archE4294967295ELNS1_3gpuE0ELNS1_3repE0EEENS1_30default_config_static_selectorELNS0_4arch9wavefront6targetE1EEEvT1_
                                        ; -- End function
	.section	.AMDGPU.csdata,"",@progbits
; Kernel info:
; codeLenInByte = 0
; NumSgprs: 4
; NumVgprs: 0
; NumAgprs: 0
; TotalNumVgprs: 0
; ScratchSize: 0
; MemoryBound: 0
; FloatMode: 240
; IeeeMode: 1
; LDSByteSize: 0 bytes/workgroup (compile time only)
; SGPRBlocks: 0
; VGPRBlocks: 0
; NumSGPRsForWavesPerEU: 4
; NumVGPRsForWavesPerEU: 1
; AccumOffset: 4
; Occupancy: 8
; WaveLimiterHint : 0
; COMPUTE_PGM_RSRC2:SCRATCH_EN: 0
; COMPUTE_PGM_RSRC2:USER_SGPR: 6
; COMPUTE_PGM_RSRC2:TRAP_HANDLER: 0
; COMPUTE_PGM_RSRC2:TGID_X_EN: 1
; COMPUTE_PGM_RSRC2:TGID_Y_EN: 0
; COMPUTE_PGM_RSRC2:TGID_Z_EN: 0
; COMPUTE_PGM_RSRC2:TIDIG_COMP_CNT: 0
; COMPUTE_PGM_RSRC3_GFX90A:ACCUM_OFFSET: 0
; COMPUTE_PGM_RSRC3_GFX90A:TG_SPLIT: 0
	.section	.text._ZN7rocprim17ROCPRIM_400000_NS6detail17trampoline_kernelINS0_14default_configENS1_25transform_config_selectorImLb1EEEZNS1_14transform_implILb1ES3_S5_PmPjNS0_8identityIvEEEE10hipError_tT2_T3_mT4_P12ihipStream_tbEUlT_E_NS1_11comp_targetILNS1_3genE10ELNS1_11target_archE1201ELNS1_3gpuE5ELNS1_3repE0EEENS1_30default_config_static_selectorELNS0_4arch9wavefront6targetE1EEEvT1_,"axG",@progbits,_ZN7rocprim17ROCPRIM_400000_NS6detail17trampoline_kernelINS0_14default_configENS1_25transform_config_selectorImLb1EEEZNS1_14transform_implILb1ES3_S5_PmPjNS0_8identityIvEEEE10hipError_tT2_T3_mT4_P12ihipStream_tbEUlT_E_NS1_11comp_targetILNS1_3genE10ELNS1_11target_archE1201ELNS1_3gpuE5ELNS1_3repE0EEENS1_30default_config_static_selectorELNS0_4arch9wavefront6targetE1EEEvT1_,comdat
	.protected	_ZN7rocprim17ROCPRIM_400000_NS6detail17trampoline_kernelINS0_14default_configENS1_25transform_config_selectorImLb1EEEZNS1_14transform_implILb1ES3_S5_PmPjNS0_8identityIvEEEE10hipError_tT2_T3_mT4_P12ihipStream_tbEUlT_E_NS1_11comp_targetILNS1_3genE10ELNS1_11target_archE1201ELNS1_3gpuE5ELNS1_3repE0EEENS1_30default_config_static_selectorELNS0_4arch9wavefront6targetE1EEEvT1_ ; -- Begin function _ZN7rocprim17ROCPRIM_400000_NS6detail17trampoline_kernelINS0_14default_configENS1_25transform_config_selectorImLb1EEEZNS1_14transform_implILb1ES3_S5_PmPjNS0_8identityIvEEEE10hipError_tT2_T3_mT4_P12ihipStream_tbEUlT_E_NS1_11comp_targetILNS1_3genE10ELNS1_11target_archE1201ELNS1_3gpuE5ELNS1_3repE0EEENS1_30default_config_static_selectorELNS0_4arch9wavefront6targetE1EEEvT1_
	.globl	_ZN7rocprim17ROCPRIM_400000_NS6detail17trampoline_kernelINS0_14default_configENS1_25transform_config_selectorImLb1EEEZNS1_14transform_implILb1ES3_S5_PmPjNS0_8identityIvEEEE10hipError_tT2_T3_mT4_P12ihipStream_tbEUlT_E_NS1_11comp_targetILNS1_3genE10ELNS1_11target_archE1201ELNS1_3gpuE5ELNS1_3repE0EEENS1_30default_config_static_selectorELNS0_4arch9wavefront6targetE1EEEvT1_
	.p2align	8
	.type	_ZN7rocprim17ROCPRIM_400000_NS6detail17trampoline_kernelINS0_14default_configENS1_25transform_config_selectorImLb1EEEZNS1_14transform_implILb1ES3_S5_PmPjNS0_8identityIvEEEE10hipError_tT2_T3_mT4_P12ihipStream_tbEUlT_E_NS1_11comp_targetILNS1_3genE10ELNS1_11target_archE1201ELNS1_3gpuE5ELNS1_3repE0EEENS1_30default_config_static_selectorELNS0_4arch9wavefront6targetE1EEEvT1_,@function
_ZN7rocprim17ROCPRIM_400000_NS6detail17trampoline_kernelINS0_14default_configENS1_25transform_config_selectorImLb1EEEZNS1_14transform_implILb1ES3_S5_PmPjNS0_8identityIvEEEE10hipError_tT2_T3_mT4_P12ihipStream_tbEUlT_E_NS1_11comp_targetILNS1_3genE10ELNS1_11target_archE1201ELNS1_3gpuE5ELNS1_3repE0EEENS1_30default_config_static_selectorELNS0_4arch9wavefront6targetE1EEEvT1_: ; @_ZN7rocprim17ROCPRIM_400000_NS6detail17trampoline_kernelINS0_14default_configENS1_25transform_config_selectorImLb1EEEZNS1_14transform_implILb1ES3_S5_PmPjNS0_8identityIvEEEE10hipError_tT2_T3_mT4_P12ihipStream_tbEUlT_E_NS1_11comp_targetILNS1_3genE10ELNS1_11target_archE1201ELNS1_3gpuE5ELNS1_3repE0EEENS1_30default_config_static_selectorELNS0_4arch9wavefront6targetE1EEEvT1_
; %bb.0:
	.section	.rodata,"a",@progbits
	.p2align	6, 0x0
	.amdhsa_kernel _ZN7rocprim17ROCPRIM_400000_NS6detail17trampoline_kernelINS0_14default_configENS1_25transform_config_selectorImLb1EEEZNS1_14transform_implILb1ES3_S5_PmPjNS0_8identityIvEEEE10hipError_tT2_T3_mT4_P12ihipStream_tbEUlT_E_NS1_11comp_targetILNS1_3genE10ELNS1_11target_archE1201ELNS1_3gpuE5ELNS1_3repE0EEENS1_30default_config_static_selectorELNS0_4arch9wavefront6targetE1EEEvT1_
		.amdhsa_group_segment_fixed_size 0
		.amdhsa_private_segment_fixed_size 0
		.amdhsa_kernarg_size 40
		.amdhsa_user_sgpr_count 6
		.amdhsa_user_sgpr_private_segment_buffer 1
		.amdhsa_user_sgpr_dispatch_ptr 0
		.amdhsa_user_sgpr_queue_ptr 0
		.amdhsa_user_sgpr_kernarg_segment_ptr 1
		.amdhsa_user_sgpr_dispatch_id 0
		.amdhsa_user_sgpr_flat_scratch_init 0
		.amdhsa_user_sgpr_kernarg_preload_length 0
		.amdhsa_user_sgpr_kernarg_preload_offset 0
		.amdhsa_user_sgpr_private_segment_size 0
		.amdhsa_uses_dynamic_stack 0
		.amdhsa_system_sgpr_private_segment_wavefront_offset 0
		.amdhsa_system_sgpr_workgroup_id_x 1
		.amdhsa_system_sgpr_workgroup_id_y 0
		.amdhsa_system_sgpr_workgroup_id_z 0
		.amdhsa_system_sgpr_workgroup_info 0
		.amdhsa_system_vgpr_workitem_id 0
		.amdhsa_next_free_vgpr 1
		.amdhsa_next_free_sgpr 0
		.amdhsa_accum_offset 4
		.amdhsa_reserve_vcc 0
		.amdhsa_reserve_flat_scratch 0
		.amdhsa_float_round_mode_32 0
		.amdhsa_float_round_mode_16_64 0
		.amdhsa_float_denorm_mode_32 3
		.amdhsa_float_denorm_mode_16_64 3
		.amdhsa_dx10_clamp 1
		.amdhsa_ieee_mode 1
		.amdhsa_fp16_overflow 0
		.amdhsa_tg_split 0
		.amdhsa_exception_fp_ieee_invalid_op 0
		.amdhsa_exception_fp_denorm_src 0
		.amdhsa_exception_fp_ieee_div_zero 0
		.amdhsa_exception_fp_ieee_overflow 0
		.amdhsa_exception_fp_ieee_underflow 0
		.amdhsa_exception_fp_ieee_inexact 0
		.amdhsa_exception_int_div_zero 0
	.end_amdhsa_kernel
	.section	.text._ZN7rocprim17ROCPRIM_400000_NS6detail17trampoline_kernelINS0_14default_configENS1_25transform_config_selectorImLb1EEEZNS1_14transform_implILb1ES3_S5_PmPjNS0_8identityIvEEEE10hipError_tT2_T3_mT4_P12ihipStream_tbEUlT_E_NS1_11comp_targetILNS1_3genE10ELNS1_11target_archE1201ELNS1_3gpuE5ELNS1_3repE0EEENS1_30default_config_static_selectorELNS0_4arch9wavefront6targetE1EEEvT1_,"axG",@progbits,_ZN7rocprim17ROCPRIM_400000_NS6detail17trampoline_kernelINS0_14default_configENS1_25transform_config_selectorImLb1EEEZNS1_14transform_implILb1ES3_S5_PmPjNS0_8identityIvEEEE10hipError_tT2_T3_mT4_P12ihipStream_tbEUlT_E_NS1_11comp_targetILNS1_3genE10ELNS1_11target_archE1201ELNS1_3gpuE5ELNS1_3repE0EEENS1_30default_config_static_selectorELNS0_4arch9wavefront6targetE1EEEvT1_,comdat
.Lfunc_end13:
	.size	_ZN7rocprim17ROCPRIM_400000_NS6detail17trampoline_kernelINS0_14default_configENS1_25transform_config_selectorImLb1EEEZNS1_14transform_implILb1ES3_S5_PmPjNS0_8identityIvEEEE10hipError_tT2_T3_mT4_P12ihipStream_tbEUlT_E_NS1_11comp_targetILNS1_3genE10ELNS1_11target_archE1201ELNS1_3gpuE5ELNS1_3repE0EEENS1_30default_config_static_selectorELNS0_4arch9wavefront6targetE1EEEvT1_, .Lfunc_end13-_ZN7rocprim17ROCPRIM_400000_NS6detail17trampoline_kernelINS0_14default_configENS1_25transform_config_selectorImLb1EEEZNS1_14transform_implILb1ES3_S5_PmPjNS0_8identityIvEEEE10hipError_tT2_T3_mT4_P12ihipStream_tbEUlT_E_NS1_11comp_targetILNS1_3genE10ELNS1_11target_archE1201ELNS1_3gpuE5ELNS1_3repE0EEENS1_30default_config_static_selectorELNS0_4arch9wavefront6targetE1EEEvT1_
                                        ; -- End function
	.section	.AMDGPU.csdata,"",@progbits
; Kernel info:
; codeLenInByte = 0
; NumSgprs: 4
; NumVgprs: 0
; NumAgprs: 0
; TotalNumVgprs: 0
; ScratchSize: 0
; MemoryBound: 0
; FloatMode: 240
; IeeeMode: 1
; LDSByteSize: 0 bytes/workgroup (compile time only)
; SGPRBlocks: 0
; VGPRBlocks: 0
; NumSGPRsForWavesPerEU: 4
; NumVGPRsForWavesPerEU: 1
; AccumOffset: 4
; Occupancy: 8
; WaveLimiterHint : 0
; COMPUTE_PGM_RSRC2:SCRATCH_EN: 0
; COMPUTE_PGM_RSRC2:USER_SGPR: 6
; COMPUTE_PGM_RSRC2:TRAP_HANDLER: 0
; COMPUTE_PGM_RSRC2:TGID_X_EN: 1
; COMPUTE_PGM_RSRC2:TGID_Y_EN: 0
; COMPUTE_PGM_RSRC2:TGID_Z_EN: 0
; COMPUTE_PGM_RSRC2:TIDIG_COMP_CNT: 0
; COMPUTE_PGM_RSRC3_GFX90A:ACCUM_OFFSET: 0
; COMPUTE_PGM_RSRC3_GFX90A:TG_SPLIT: 0
	.section	.text._ZN7rocprim17ROCPRIM_400000_NS6detail17trampoline_kernelINS0_14default_configENS1_25transform_config_selectorImLb1EEEZNS1_14transform_implILb1ES3_S5_PmPjNS0_8identityIvEEEE10hipError_tT2_T3_mT4_P12ihipStream_tbEUlT_E_NS1_11comp_targetILNS1_3genE5ELNS1_11target_archE942ELNS1_3gpuE9ELNS1_3repE0EEENS1_30default_config_static_selectorELNS0_4arch9wavefront6targetE1EEEvT1_,"axG",@progbits,_ZN7rocprim17ROCPRIM_400000_NS6detail17trampoline_kernelINS0_14default_configENS1_25transform_config_selectorImLb1EEEZNS1_14transform_implILb1ES3_S5_PmPjNS0_8identityIvEEEE10hipError_tT2_T3_mT4_P12ihipStream_tbEUlT_E_NS1_11comp_targetILNS1_3genE5ELNS1_11target_archE942ELNS1_3gpuE9ELNS1_3repE0EEENS1_30default_config_static_selectorELNS0_4arch9wavefront6targetE1EEEvT1_,comdat
	.protected	_ZN7rocprim17ROCPRIM_400000_NS6detail17trampoline_kernelINS0_14default_configENS1_25transform_config_selectorImLb1EEEZNS1_14transform_implILb1ES3_S5_PmPjNS0_8identityIvEEEE10hipError_tT2_T3_mT4_P12ihipStream_tbEUlT_E_NS1_11comp_targetILNS1_3genE5ELNS1_11target_archE942ELNS1_3gpuE9ELNS1_3repE0EEENS1_30default_config_static_selectorELNS0_4arch9wavefront6targetE1EEEvT1_ ; -- Begin function _ZN7rocprim17ROCPRIM_400000_NS6detail17trampoline_kernelINS0_14default_configENS1_25transform_config_selectorImLb1EEEZNS1_14transform_implILb1ES3_S5_PmPjNS0_8identityIvEEEE10hipError_tT2_T3_mT4_P12ihipStream_tbEUlT_E_NS1_11comp_targetILNS1_3genE5ELNS1_11target_archE942ELNS1_3gpuE9ELNS1_3repE0EEENS1_30default_config_static_selectorELNS0_4arch9wavefront6targetE1EEEvT1_
	.globl	_ZN7rocprim17ROCPRIM_400000_NS6detail17trampoline_kernelINS0_14default_configENS1_25transform_config_selectorImLb1EEEZNS1_14transform_implILb1ES3_S5_PmPjNS0_8identityIvEEEE10hipError_tT2_T3_mT4_P12ihipStream_tbEUlT_E_NS1_11comp_targetILNS1_3genE5ELNS1_11target_archE942ELNS1_3gpuE9ELNS1_3repE0EEENS1_30default_config_static_selectorELNS0_4arch9wavefront6targetE1EEEvT1_
	.p2align	8
	.type	_ZN7rocprim17ROCPRIM_400000_NS6detail17trampoline_kernelINS0_14default_configENS1_25transform_config_selectorImLb1EEEZNS1_14transform_implILb1ES3_S5_PmPjNS0_8identityIvEEEE10hipError_tT2_T3_mT4_P12ihipStream_tbEUlT_E_NS1_11comp_targetILNS1_3genE5ELNS1_11target_archE942ELNS1_3gpuE9ELNS1_3repE0EEENS1_30default_config_static_selectorELNS0_4arch9wavefront6targetE1EEEvT1_,@function
_ZN7rocprim17ROCPRIM_400000_NS6detail17trampoline_kernelINS0_14default_configENS1_25transform_config_selectorImLb1EEEZNS1_14transform_implILb1ES3_S5_PmPjNS0_8identityIvEEEE10hipError_tT2_T3_mT4_P12ihipStream_tbEUlT_E_NS1_11comp_targetILNS1_3genE5ELNS1_11target_archE942ELNS1_3gpuE9ELNS1_3repE0EEENS1_30default_config_static_selectorELNS0_4arch9wavefront6targetE1EEEvT1_: ; @_ZN7rocprim17ROCPRIM_400000_NS6detail17trampoline_kernelINS0_14default_configENS1_25transform_config_selectorImLb1EEEZNS1_14transform_implILb1ES3_S5_PmPjNS0_8identityIvEEEE10hipError_tT2_T3_mT4_P12ihipStream_tbEUlT_E_NS1_11comp_targetILNS1_3genE5ELNS1_11target_archE942ELNS1_3gpuE9ELNS1_3repE0EEENS1_30default_config_static_selectorELNS0_4arch9wavefront6targetE1EEEvT1_
; %bb.0:
	.section	.rodata,"a",@progbits
	.p2align	6, 0x0
	.amdhsa_kernel _ZN7rocprim17ROCPRIM_400000_NS6detail17trampoline_kernelINS0_14default_configENS1_25transform_config_selectorImLb1EEEZNS1_14transform_implILb1ES3_S5_PmPjNS0_8identityIvEEEE10hipError_tT2_T3_mT4_P12ihipStream_tbEUlT_E_NS1_11comp_targetILNS1_3genE5ELNS1_11target_archE942ELNS1_3gpuE9ELNS1_3repE0EEENS1_30default_config_static_selectorELNS0_4arch9wavefront6targetE1EEEvT1_
		.amdhsa_group_segment_fixed_size 0
		.amdhsa_private_segment_fixed_size 0
		.amdhsa_kernarg_size 40
		.amdhsa_user_sgpr_count 6
		.amdhsa_user_sgpr_private_segment_buffer 1
		.amdhsa_user_sgpr_dispatch_ptr 0
		.amdhsa_user_sgpr_queue_ptr 0
		.amdhsa_user_sgpr_kernarg_segment_ptr 1
		.amdhsa_user_sgpr_dispatch_id 0
		.amdhsa_user_sgpr_flat_scratch_init 0
		.amdhsa_user_sgpr_kernarg_preload_length 0
		.amdhsa_user_sgpr_kernarg_preload_offset 0
		.amdhsa_user_sgpr_private_segment_size 0
		.amdhsa_uses_dynamic_stack 0
		.amdhsa_system_sgpr_private_segment_wavefront_offset 0
		.amdhsa_system_sgpr_workgroup_id_x 1
		.amdhsa_system_sgpr_workgroup_id_y 0
		.amdhsa_system_sgpr_workgroup_id_z 0
		.amdhsa_system_sgpr_workgroup_info 0
		.amdhsa_system_vgpr_workitem_id 0
		.amdhsa_next_free_vgpr 1
		.amdhsa_next_free_sgpr 0
		.amdhsa_accum_offset 4
		.amdhsa_reserve_vcc 0
		.amdhsa_reserve_flat_scratch 0
		.amdhsa_float_round_mode_32 0
		.amdhsa_float_round_mode_16_64 0
		.amdhsa_float_denorm_mode_32 3
		.amdhsa_float_denorm_mode_16_64 3
		.amdhsa_dx10_clamp 1
		.amdhsa_ieee_mode 1
		.amdhsa_fp16_overflow 0
		.amdhsa_tg_split 0
		.amdhsa_exception_fp_ieee_invalid_op 0
		.amdhsa_exception_fp_denorm_src 0
		.amdhsa_exception_fp_ieee_div_zero 0
		.amdhsa_exception_fp_ieee_overflow 0
		.amdhsa_exception_fp_ieee_underflow 0
		.amdhsa_exception_fp_ieee_inexact 0
		.amdhsa_exception_int_div_zero 0
	.end_amdhsa_kernel
	.section	.text._ZN7rocprim17ROCPRIM_400000_NS6detail17trampoline_kernelINS0_14default_configENS1_25transform_config_selectorImLb1EEEZNS1_14transform_implILb1ES3_S5_PmPjNS0_8identityIvEEEE10hipError_tT2_T3_mT4_P12ihipStream_tbEUlT_E_NS1_11comp_targetILNS1_3genE5ELNS1_11target_archE942ELNS1_3gpuE9ELNS1_3repE0EEENS1_30default_config_static_selectorELNS0_4arch9wavefront6targetE1EEEvT1_,"axG",@progbits,_ZN7rocprim17ROCPRIM_400000_NS6detail17trampoline_kernelINS0_14default_configENS1_25transform_config_selectorImLb1EEEZNS1_14transform_implILb1ES3_S5_PmPjNS0_8identityIvEEEE10hipError_tT2_T3_mT4_P12ihipStream_tbEUlT_E_NS1_11comp_targetILNS1_3genE5ELNS1_11target_archE942ELNS1_3gpuE9ELNS1_3repE0EEENS1_30default_config_static_selectorELNS0_4arch9wavefront6targetE1EEEvT1_,comdat
.Lfunc_end14:
	.size	_ZN7rocprim17ROCPRIM_400000_NS6detail17trampoline_kernelINS0_14default_configENS1_25transform_config_selectorImLb1EEEZNS1_14transform_implILb1ES3_S5_PmPjNS0_8identityIvEEEE10hipError_tT2_T3_mT4_P12ihipStream_tbEUlT_E_NS1_11comp_targetILNS1_3genE5ELNS1_11target_archE942ELNS1_3gpuE9ELNS1_3repE0EEENS1_30default_config_static_selectorELNS0_4arch9wavefront6targetE1EEEvT1_, .Lfunc_end14-_ZN7rocprim17ROCPRIM_400000_NS6detail17trampoline_kernelINS0_14default_configENS1_25transform_config_selectorImLb1EEEZNS1_14transform_implILb1ES3_S5_PmPjNS0_8identityIvEEEE10hipError_tT2_T3_mT4_P12ihipStream_tbEUlT_E_NS1_11comp_targetILNS1_3genE5ELNS1_11target_archE942ELNS1_3gpuE9ELNS1_3repE0EEENS1_30default_config_static_selectorELNS0_4arch9wavefront6targetE1EEEvT1_
                                        ; -- End function
	.section	.AMDGPU.csdata,"",@progbits
; Kernel info:
; codeLenInByte = 0
; NumSgprs: 4
; NumVgprs: 0
; NumAgprs: 0
; TotalNumVgprs: 0
; ScratchSize: 0
; MemoryBound: 0
; FloatMode: 240
; IeeeMode: 1
; LDSByteSize: 0 bytes/workgroup (compile time only)
; SGPRBlocks: 0
; VGPRBlocks: 0
; NumSGPRsForWavesPerEU: 4
; NumVGPRsForWavesPerEU: 1
; AccumOffset: 4
; Occupancy: 8
; WaveLimiterHint : 0
; COMPUTE_PGM_RSRC2:SCRATCH_EN: 0
; COMPUTE_PGM_RSRC2:USER_SGPR: 6
; COMPUTE_PGM_RSRC2:TRAP_HANDLER: 0
; COMPUTE_PGM_RSRC2:TGID_X_EN: 1
; COMPUTE_PGM_RSRC2:TGID_Y_EN: 0
; COMPUTE_PGM_RSRC2:TGID_Z_EN: 0
; COMPUTE_PGM_RSRC2:TIDIG_COMP_CNT: 0
; COMPUTE_PGM_RSRC3_GFX90A:ACCUM_OFFSET: 0
; COMPUTE_PGM_RSRC3_GFX90A:TG_SPLIT: 0
	.section	.text._ZN7rocprim17ROCPRIM_400000_NS6detail17trampoline_kernelINS0_14default_configENS1_25transform_config_selectorImLb1EEEZNS1_14transform_implILb1ES3_S5_PmPjNS0_8identityIvEEEE10hipError_tT2_T3_mT4_P12ihipStream_tbEUlT_E_NS1_11comp_targetILNS1_3genE4ELNS1_11target_archE910ELNS1_3gpuE8ELNS1_3repE0EEENS1_30default_config_static_selectorELNS0_4arch9wavefront6targetE1EEEvT1_,"axG",@progbits,_ZN7rocprim17ROCPRIM_400000_NS6detail17trampoline_kernelINS0_14default_configENS1_25transform_config_selectorImLb1EEEZNS1_14transform_implILb1ES3_S5_PmPjNS0_8identityIvEEEE10hipError_tT2_T3_mT4_P12ihipStream_tbEUlT_E_NS1_11comp_targetILNS1_3genE4ELNS1_11target_archE910ELNS1_3gpuE8ELNS1_3repE0EEENS1_30default_config_static_selectorELNS0_4arch9wavefront6targetE1EEEvT1_,comdat
	.protected	_ZN7rocprim17ROCPRIM_400000_NS6detail17trampoline_kernelINS0_14default_configENS1_25transform_config_selectorImLb1EEEZNS1_14transform_implILb1ES3_S5_PmPjNS0_8identityIvEEEE10hipError_tT2_T3_mT4_P12ihipStream_tbEUlT_E_NS1_11comp_targetILNS1_3genE4ELNS1_11target_archE910ELNS1_3gpuE8ELNS1_3repE0EEENS1_30default_config_static_selectorELNS0_4arch9wavefront6targetE1EEEvT1_ ; -- Begin function _ZN7rocprim17ROCPRIM_400000_NS6detail17trampoline_kernelINS0_14default_configENS1_25transform_config_selectorImLb1EEEZNS1_14transform_implILb1ES3_S5_PmPjNS0_8identityIvEEEE10hipError_tT2_T3_mT4_P12ihipStream_tbEUlT_E_NS1_11comp_targetILNS1_3genE4ELNS1_11target_archE910ELNS1_3gpuE8ELNS1_3repE0EEENS1_30default_config_static_selectorELNS0_4arch9wavefront6targetE1EEEvT1_
	.globl	_ZN7rocprim17ROCPRIM_400000_NS6detail17trampoline_kernelINS0_14default_configENS1_25transform_config_selectorImLb1EEEZNS1_14transform_implILb1ES3_S5_PmPjNS0_8identityIvEEEE10hipError_tT2_T3_mT4_P12ihipStream_tbEUlT_E_NS1_11comp_targetILNS1_3genE4ELNS1_11target_archE910ELNS1_3gpuE8ELNS1_3repE0EEENS1_30default_config_static_selectorELNS0_4arch9wavefront6targetE1EEEvT1_
	.p2align	8
	.type	_ZN7rocprim17ROCPRIM_400000_NS6detail17trampoline_kernelINS0_14default_configENS1_25transform_config_selectorImLb1EEEZNS1_14transform_implILb1ES3_S5_PmPjNS0_8identityIvEEEE10hipError_tT2_T3_mT4_P12ihipStream_tbEUlT_E_NS1_11comp_targetILNS1_3genE4ELNS1_11target_archE910ELNS1_3gpuE8ELNS1_3repE0EEENS1_30default_config_static_selectorELNS0_4arch9wavefront6targetE1EEEvT1_,@function
_ZN7rocprim17ROCPRIM_400000_NS6detail17trampoline_kernelINS0_14default_configENS1_25transform_config_selectorImLb1EEEZNS1_14transform_implILb1ES3_S5_PmPjNS0_8identityIvEEEE10hipError_tT2_T3_mT4_P12ihipStream_tbEUlT_E_NS1_11comp_targetILNS1_3genE4ELNS1_11target_archE910ELNS1_3gpuE8ELNS1_3repE0EEENS1_30default_config_static_selectorELNS0_4arch9wavefront6targetE1EEEvT1_: ; @_ZN7rocprim17ROCPRIM_400000_NS6detail17trampoline_kernelINS0_14default_configENS1_25transform_config_selectorImLb1EEEZNS1_14transform_implILb1ES3_S5_PmPjNS0_8identityIvEEEE10hipError_tT2_T3_mT4_P12ihipStream_tbEUlT_E_NS1_11comp_targetILNS1_3genE4ELNS1_11target_archE910ELNS1_3gpuE8ELNS1_3repE0EEENS1_30default_config_static_selectorELNS0_4arch9wavefront6targetE1EEEvT1_
; %bb.0:
	s_load_dwordx8 s[8:15], s[4:5], 0x0
	s_load_dword s7, s[4:5], 0x28
	s_mov_b32 s3, 0
	s_waitcnt lgkmcnt(0)
	s_lshl_b64 s[0:1], s[10:11], 3
	s_add_u32 s4, s8, s0
	s_addc_u32 s5, s9, s1
	s_lshl_b64 s[0:1], s[10:11], 2
	s_add_u32 s8, s14, s0
	s_addc_u32 s9, s15, s1
	s_lshl_b32 s2, s6, 11
	s_add_i32 s7, s7, -1
	s_lshl_b64 s[0:1], s[2:3], 3
	s_add_u32 s4, s4, s0
	s_addc_u32 s5, s5, s1
	s_cmp_lg_u32 s6, s7
	s_mov_b64 s[0:1], -1
	s_cbranch_scc0 .LBB15_2
; %bb.1:
	v_lshlrev_b32_e32 v1, 4, v0
	global_load_dwordx4 v[2:5], v1, s[4:5]
	s_lshl_b64 s[0:1], s[2:3], 2
	s_add_u32 s0, s8, s0
	v_lshlrev_b32_e32 v1, 3, v0
	s_addc_u32 s1, s9, s1
	s_waitcnt vmcnt(0)
	v_mov_b32_e32 v3, v4
	global_store_dwordx2 v1, v[2:3], s[0:1]
	s_mov_b64 s[0:1], 0
.LBB15_2:
	s_andn2_b64 vcc, exec, s[0:1]
	s_cbranch_vccnz .LBB15_11
; %bb.3:
	s_sub_i32 s6, s12, s2
	v_cmp_gt_u32_e32 vcc, s6, v0
                                        ; implicit-def: $vgpr2_vgpr3_vgpr4_vgpr5
	s_and_saveexec_b64 s[0:1], vcc
	s_cbranch_execz .LBB15_5
; %bb.4:
	v_lshlrev_b32_e32 v1, 3, v0
	global_load_dwordx2 v[2:3], v1, s[4:5]
.LBB15_5:
	s_or_b64 exec, exec, s[0:1]
	v_or_b32_e32 v1, 0x400, v0
	v_cmp_gt_u32_e64 s[0:1], s6, v1
	s_and_saveexec_b64 s[6:7], s[0:1]
	s_cbranch_execz .LBB15_7
; %bb.6:
	v_lshlrev_b32_e32 v1, 3, v1
	global_load_dwordx2 v[4:5], v1, s[4:5]
.LBB15_7:
	s_or_b64 exec, exec, s[6:7]
	s_lshl_b64 s[2:3], s[2:3], 2
	s_add_u32 s2, s8, s2
	s_addc_u32 s3, s9, s3
	v_lshlrev_b32_e32 v0, 2, v0
	v_mov_b32_e32 v1, s3
	v_add_co_u32_e64 v0, s[2:3], s2, v0
	v_addc_co_u32_e64 v1, s[2:3], 0, v1, s[2:3]
	s_and_saveexec_b64 s[2:3], vcc
	s_cbranch_execz .LBB15_9
; %bb.8:
	s_waitcnt vmcnt(0)
	global_store_dword v[0:1], v2, off
.LBB15_9:
	s_or_b64 exec, exec, s[2:3]
	s_and_saveexec_b64 s[2:3], s[0:1]
	s_cbranch_execz .LBB15_11
; %bb.10:
	v_add_co_u32_e32 v0, vcc, 0x1000, v0
	v_addc_co_u32_e32 v1, vcc, 0, v1, vcc
	s_waitcnt vmcnt(0)
	global_store_dword v[0:1], v4, off
.LBB15_11:
	s_endpgm
	.section	.rodata,"a",@progbits
	.p2align	6, 0x0
	.amdhsa_kernel _ZN7rocprim17ROCPRIM_400000_NS6detail17trampoline_kernelINS0_14default_configENS1_25transform_config_selectorImLb1EEEZNS1_14transform_implILb1ES3_S5_PmPjNS0_8identityIvEEEE10hipError_tT2_T3_mT4_P12ihipStream_tbEUlT_E_NS1_11comp_targetILNS1_3genE4ELNS1_11target_archE910ELNS1_3gpuE8ELNS1_3repE0EEENS1_30default_config_static_selectorELNS0_4arch9wavefront6targetE1EEEvT1_
		.amdhsa_group_segment_fixed_size 0
		.amdhsa_private_segment_fixed_size 0
		.amdhsa_kernarg_size 296
		.amdhsa_user_sgpr_count 6
		.amdhsa_user_sgpr_private_segment_buffer 1
		.amdhsa_user_sgpr_dispatch_ptr 0
		.amdhsa_user_sgpr_queue_ptr 0
		.amdhsa_user_sgpr_kernarg_segment_ptr 1
		.amdhsa_user_sgpr_dispatch_id 0
		.amdhsa_user_sgpr_flat_scratch_init 0
		.amdhsa_user_sgpr_kernarg_preload_length 0
		.amdhsa_user_sgpr_kernarg_preload_offset 0
		.amdhsa_user_sgpr_private_segment_size 0
		.amdhsa_uses_dynamic_stack 0
		.amdhsa_system_sgpr_private_segment_wavefront_offset 0
		.amdhsa_system_sgpr_workgroup_id_x 1
		.amdhsa_system_sgpr_workgroup_id_y 0
		.amdhsa_system_sgpr_workgroup_id_z 0
		.amdhsa_system_sgpr_workgroup_info 0
		.amdhsa_system_vgpr_workitem_id 0
		.amdhsa_next_free_vgpr 6
		.amdhsa_next_free_sgpr 16
		.amdhsa_accum_offset 8
		.amdhsa_reserve_vcc 1
		.amdhsa_reserve_flat_scratch 0
		.amdhsa_float_round_mode_32 0
		.amdhsa_float_round_mode_16_64 0
		.amdhsa_float_denorm_mode_32 3
		.amdhsa_float_denorm_mode_16_64 3
		.amdhsa_dx10_clamp 1
		.amdhsa_ieee_mode 1
		.amdhsa_fp16_overflow 0
		.amdhsa_tg_split 0
		.amdhsa_exception_fp_ieee_invalid_op 0
		.amdhsa_exception_fp_denorm_src 0
		.amdhsa_exception_fp_ieee_div_zero 0
		.amdhsa_exception_fp_ieee_overflow 0
		.amdhsa_exception_fp_ieee_underflow 0
		.amdhsa_exception_fp_ieee_inexact 0
		.amdhsa_exception_int_div_zero 0
	.end_amdhsa_kernel
	.section	.text._ZN7rocprim17ROCPRIM_400000_NS6detail17trampoline_kernelINS0_14default_configENS1_25transform_config_selectorImLb1EEEZNS1_14transform_implILb1ES3_S5_PmPjNS0_8identityIvEEEE10hipError_tT2_T3_mT4_P12ihipStream_tbEUlT_E_NS1_11comp_targetILNS1_3genE4ELNS1_11target_archE910ELNS1_3gpuE8ELNS1_3repE0EEENS1_30default_config_static_selectorELNS0_4arch9wavefront6targetE1EEEvT1_,"axG",@progbits,_ZN7rocprim17ROCPRIM_400000_NS6detail17trampoline_kernelINS0_14default_configENS1_25transform_config_selectorImLb1EEEZNS1_14transform_implILb1ES3_S5_PmPjNS0_8identityIvEEEE10hipError_tT2_T3_mT4_P12ihipStream_tbEUlT_E_NS1_11comp_targetILNS1_3genE4ELNS1_11target_archE910ELNS1_3gpuE8ELNS1_3repE0EEENS1_30default_config_static_selectorELNS0_4arch9wavefront6targetE1EEEvT1_,comdat
.Lfunc_end15:
	.size	_ZN7rocprim17ROCPRIM_400000_NS6detail17trampoline_kernelINS0_14default_configENS1_25transform_config_selectorImLb1EEEZNS1_14transform_implILb1ES3_S5_PmPjNS0_8identityIvEEEE10hipError_tT2_T3_mT4_P12ihipStream_tbEUlT_E_NS1_11comp_targetILNS1_3genE4ELNS1_11target_archE910ELNS1_3gpuE8ELNS1_3repE0EEENS1_30default_config_static_selectorELNS0_4arch9wavefront6targetE1EEEvT1_, .Lfunc_end15-_ZN7rocprim17ROCPRIM_400000_NS6detail17trampoline_kernelINS0_14default_configENS1_25transform_config_selectorImLb1EEEZNS1_14transform_implILb1ES3_S5_PmPjNS0_8identityIvEEEE10hipError_tT2_T3_mT4_P12ihipStream_tbEUlT_E_NS1_11comp_targetILNS1_3genE4ELNS1_11target_archE910ELNS1_3gpuE8ELNS1_3repE0EEENS1_30default_config_static_selectorELNS0_4arch9wavefront6targetE1EEEvT1_
                                        ; -- End function
	.section	.AMDGPU.csdata,"",@progbits
; Kernel info:
; codeLenInByte = 304
; NumSgprs: 20
; NumVgprs: 6
; NumAgprs: 0
; TotalNumVgprs: 6
; ScratchSize: 0
; MemoryBound: 0
; FloatMode: 240
; IeeeMode: 1
; LDSByteSize: 0 bytes/workgroup (compile time only)
; SGPRBlocks: 2
; VGPRBlocks: 0
; NumSGPRsForWavesPerEU: 20
; NumVGPRsForWavesPerEU: 6
; AccumOffset: 8
; Occupancy: 8
; WaveLimiterHint : 0
; COMPUTE_PGM_RSRC2:SCRATCH_EN: 0
; COMPUTE_PGM_RSRC2:USER_SGPR: 6
; COMPUTE_PGM_RSRC2:TRAP_HANDLER: 0
; COMPUTE_PGM_RSRC2:TGID_X_EN: 1
; COMPUTE_PGM_RSRC2:TGID_Y_EN: 0
; COMPUTE_PGM_RSRC2:TGID_Z_EN: 0
; COMPUTE_PGM_RSRC2:TIDIG_COMP_CNT: 0
; COMPUTE_PGM_RSRC3_GFX90A:ACCUM_OFFSET: 1
; COMPUTE_PGM_RSRC3_GFX90A:TG_SPLIT: 0
	.section	.text._ZN7rocprim17ROCPRIM_400000_NS6detail17trampoline_kernelINS0_14default_configENS1_25transform_config_selectorImLb1EEEZNS1_14transform_implILb1ES3_S5_PmPjNS0_8identityIvEEEE10hipError_tT2_T3_mT4_P12ihipStream_tbEUlT_E_NS1_11comp_targetILNS1_3genE3ELNS1_11target_archE908ELNS1_3gpuE7ELNS1_3repE0EEENS1_30default_config_static_selectorELNS0_4arch9wavefront6targetE1EEEvT1_,"axG",@progbits,_ZN7rocprim17ROCPRIM_400000_NS6detail17trampoline_kernelINS0_14default_configENS1_25transform_config_selectorImLb1EEEZNS1_14transform_implILb1ES3_S5_PmPjNS0_8identityIvEEEE10hipError_tT2_T3_mT4_P12ihipStream_tbEUlT_E_NS1_11comp_targetILNS1_3genE3ELNS1_11target_archE908ELNS1_3gpuE7ELNS1_3repE0EEENS1_30default_config_static_selectorELNS0_4arch9wavefront6targetE1EEEvT1_,comdat
	.protected	_ZN7rocprim17ROCPRIM_400000_NS6detail17trampoline_kernelINS0_14default_configENS1_25transform_config_selectorImLb1EEEZNS1_14transform_implILb1ES3_S5_PmPjNS0_8identityIvEEEE10hipError_tT2_T3_mT4_P12ihipStream_tbEUlT_E_NS1_11comp_targetILNS1_3genE3ELNS1_11target_archE908ELNS1_3gpuE7ELNS1_3repE0EEENS1_30default_config_static_selectorELNS0_4arch9wavefront6targetE1EEEvT1_ ; -- Begin function _ZN7rocprim17ROCPRIM_400000_NS6detail17trampoline_kernelINS0_14default_configENS1_25transform_config_selectorImLb1EEEZNS1_14transform_implILb1ES3_S5_PmPjNS0_8identityIvEEEE10hipError_tT2_T3_mT4_P12ihipStream_tbEUlT_E_NS1_11comp_targetILNS1_3genE3ELNS1_11target_archE908ELNS1_3gpuE7ELNS1_3repE0EEENS1_30default_config_static_selectorELNS0_4arch9wavefront6targetE1EEEvT1_
	.globl	_ZN7rocprim17ROCPRIM_400000_NS6detail17trampoline_kernelINS0_14default_configENS1_25transform_config_selectorImLb1EEEZNS1_14transform_implILb1ES3_S5_PmPjNS0_8identityIvEEEE10hipError_tT2_T3_mT4_P12ihipStream_tbEUlT_E_NS1_11comp_targetILNS1_3genE3ELNS1_11target_archE908ELNS1_3gpuE7ELNS1_3repE0EEENS1_30default_config_static_selectorELNS0_4arch9wavefront6targetE1EEEvT1_
	.p2align	8
	.type	_ZN7rocprim17ROCPRIM_400000_NS6detail17trampoline_kernelINS0_14default_configENS1_25transform_config_selectorImLb1EEEZNS1_14transform_implILb1ES3_S5_PmPjNS0_8identityIvEEEE10hipError_tT2_T3_mT4_P12ihipStream_tbEUlT_E_NS1_11comp_targetILNS1_3genE3ELNS1_11target_archE908ELNS1_3gpuE7ELNS1_3repE0EEENS1_30default_config_static_selectorELNS0_4arch9wavefront6targetE1EEEvT1_,@function
_ZN7rocprim17ROCPRIM_400000_NS6detail17trampoline_kernelINS0_14default_configENS1_25transform_config_selectorImLb1EEEZNS1_14transform_implILb1ES3_S5_PmPjNS0_8identityIvEEEE10hipError_tT2_T3_mT4_P12ihipStream_tbEUlT_E_NS1_11comp_targetILNS1_3genE3ELNS1_11target_archE908ELNS1_3gpuE7ELNS1_3repE0EEENS1_30default_config_static_selectorELNS0_4arch9wavefront6targetE1EEEvT1_: ; @_ZN7rocprim17ROCPRIM_400000_NS6detail17trampoline_kernelINS0_14default_configENS1_25transform_config_selectorImLb1EEEZNS1_14transform_implILb1ES3_S5_PmPjNS0_8identityIvEEEE10hipError_tT2_T3_mT4_P12ihipStream_tbEUlT_E_NS1_11comp_targetILNS1_3genE3ELNS1_11target_archE908ELNS1_3gpuE7ELNS1_3repE0EEENS1_30default_config_static_selectorELNS0_4arch9wavefront6targetE1EEEvT1_
; %bb.0:
	.section	.rodata,"a",@progbits
	.p2align	6, 0x0
	.amdhsa_kernel _ZN7rocprim17ROCPRIM_400000_NS6detail17trampoline_kernelINS0_14default_configENS1_25transform_config_selectorImLb1EEEZNS1_14transform_implILb1ES3_S5_PmPjNS0_8identityIvEEEE10hipError_tT2_T3_mT4_P12ihipStream_tbEUlT_E_NS1_11comp_targetILNS1_3genE3ELNS1_11target_archE908ELNS1_3gpuE7ELNS1_3repE0EEENS1_30default_config_static_selectorELNS0_4arch9wavefront6targetE1EEEvT1_
		.amdhsa_group_segment_fixed_size 0
		.amdhsa_private_segment_fixed_size 0
		.amdhsa_kernarg_size 40
		.amdhsa_user_sgpr_count 6
		.amdhsa_user_sgpr_private_segment_buffer 1
		.amdhsa_user_sgpr_dispatch_ptr 0
		.amdhsa_user_sgpr_queue_ptr 0
		.amdhsa_user_sgpr_kernarg_segment_ptr 1
		.amdhsa_user_sgpr_dispatch_id 0
		.amdhsa_user_sgpr_flat_scratch_init 0
		.amdhsa_user_sgpr_kernarg_preload_length 0
		.amdhsa_user_sgpr_kernarg_preload_offset 0
		.amdhsa_user_sgpr_private_segment_size 0
		.amdhsa_uses_dynamic_stack 0
		.amdhsa_system_sgpr_private_segment_wavefront_offset 0
		.amdhsa_system_sgpr_workgroup_id_x 1
		.amdhsa_system_sgpr_workgroup_id_y 0
		.amdhsa_system_sgpr_workgroup_id_z 0
		.amdhsa_system_sgpr_workgroup_info 0
		.amdhsa_system_vgpr_workitem_id 0
		.amdhsa_next_free_vgpr 1
		.amdhsa_next_free_sgpr 0
		.amdhsa_accum_offset 4
		.amdhsa_reserve_vcc 0
		.amdhsa_reserve_flat_scratch 0
		.amdhsa_float_round_mode_32 0
		.amdhsa_float_round_mode_16_64 0
		.amdhsa_float_denorm_mode_32 3
		.amdhsa_float_denorm_mode_16_64 3
		.amdhsa_dx10_clamp 1
		.amdhsa_ieee_mode 1
		.amdhsa_fp16_overflow 0
		.amdhsa_tg_split 0
		.amdhsa_exception_fp_ieee_invalid_op 0
		.amdhsa_exception_fp_denorm_src 0
		.amdhsa_exception_fp_ieee_div_zero 0
		.amdhsa_exception_fp_ieee_overflow 0
		.amdhsa_exception_fp_ieee_underflow 0
		.amdhsa_exception_fp_ieee_inexact 0
		.amdhsa_exception_int_div_zero 0
	.end_amdhsa_kernel
	.section	.text._ZN7rocprim17ROCPRIM_400000_NS6detail17trampoline_kernelINS0_14default_configENS1_25transform_config_selectorImLb1EEEZNS1_14transform_implILb1ES3_S5_PmPjNS0_8identityIvEEEE10hipError_tT2_T3_mT4_P12ihipStream_tbEUlT_E_NS1_11comp_targetILNS1_3genE3ELNS1_11target_archE908ELNS1_3gpuE7ELNS1_3repE0EEENS1_30default_config_static_selectorELNS0_4arch9wavefront6targetE1EEEvT1_,"axG",@progbits,_ZN7rocprim17ROCPRIM_400000_NS6detail17trampoline_kernelINS0_14default_configENS1_25transform_config_selectorImLb1EEEZNS1_14transform_implILb1ES3_S5_PmPjNS0_8identityIvEEEE10hipError_tT2_T3_mT4_P12ihipStream_tbEUlT_E_NS1_11comp_targetILNS1_3genE3ELNS1_11target_archE908ELNS1_3gpuE7ELNS1_3repE0EEENS1_30default_config_static_selectorELNS0_4arch9wavefront6targetE1EEEvT1_,comdat
.Lfunc_end16:
	.size	_ZN7rocprim17ROCPRIM_400000_NS6detail17trampoline_kernelINS0_14default_configENS1_25transform_config_selectorImLb1EEEZNS1_14transform_implILb1ES3_S5_PmPjNS0_8identityIvEEEE10hipError_tT2_T3_mT4_P12ihipStream_tbEUlT_E_NS1_11comp_targetILNS1_3genE3ELNS1_11target_archE908ELNS1_3gpuE7ELNS1_3repE0EEENS1_30default_config_static_selectorELNS0_4arch9wavefront6targetE1EEEvT1_, .Lfunc_end16-_ZN7rocprim17ROCPRIM_400000_NS6detail17trampoline_kernelINS0_14default_configENS1_25transform_config_selectorImLb1EEEZNS1_14transform_implILb1ES3_S5_PmPjNS0_8identityIvEEEE10hipError_tT2_T3_mT4_P12ihipStream_tbEUlT_E_NS1_11comp_targetILNS1_3genE3ELNS1_11target_archE908ELNS1_3gpuE7ELNS1_3repE0EEENS1_30default_config_static_selectorELNS0_4arch9wavefront6targetE1EEEvT1_
                                        ; -- End function
	.section	.AMDGPU.csdata,"",@progbits
; Kernel info:
; codeLenInByte = 0
; NumSgprs: 4
; NumVgprs: 0
; NumAgprs: 0
; TotalNumVgprs: 0
; ScratchSize: 0
; MemoryBound: 0
; FloatMode: 240
; IeeeMode: 1
; LDSByteSize: 0 bytes/workgroup (compile time only)
; SGPRBlocks: 0
; VGPRBlocks: 0
; NumSGPRsForWavesPerEU: 4
; NumVGPRsForWavesPerEU: 1
; AccumOffset: 4
; Occupancy: 8
; WaveLimiterHint : 0
; COMPUTE_PGM_RSRC2:SCRATCH_EN: 0
; COMPUTE_PGM_RSRC2:USER_SGPR: 6
; COMPUTE_PGM_RSRC2:TRAP_HANDLER: 0
; COMPUTE_PGM_RSRC2:TGID_X_EN: 1
; COMPUTE_PGM_RSRC2:TGID_Y_EN: 0
; COMPUTE_PGM_RSRC2:TGID_Z_EN: 0
; COMPUTE_PGM_RSRC2:TIDIG_COMP_CNT: 0
; COMPUTE_PGM_RSRC3_GFX90A:ACCUM_OFFSET: 0
; COMPUTE_PGM_RSRC3_GFX90A:TG_SPLIT: 0
	.section	.text._ZN7rocprim17ROCPRIM_400000_NS6detail17trampoline_kernelINS0_14default_configENS1_25transform_config_selectorImLb1EEEZNS1_14transform_implILb1ES3_S5_PmPjNS0_8identityIvEEEE10hipError_tT2_T3_mT4_P12ihipStream_tbEUlT_E_NS1_11comp_targetILNS1_3genE2ELNS1_11target_archE906ELNS1_3gpuE6ELNS1_3repE0EEENS1_30default_config_static_selectorELNS0_4arch9wavefront6targetE1EEEvT1_,"axG",@progbits,_ZN7rocprim17ROCPRIM_400000_NS6detail17trampoline_kernelINS0_14default_configENS1_25transform_config_selectorImLb1EEEZNS1_14transform_implILb1ES3_S5_PmPjNS0_8identityIvEEEE10hipError_tT2_T3_mT4_P12ihipStream_tbEUlT_E_NS1_11comp_targetILNS1_3genE2ELNS1_11target_archE906ELNS1_3gpuE6ELNS1_3repE0EEENS1_30default_config_static_selectorELNS0_4arch9wavefront6targetE1EEEvT1_,comdat
	.protected	_ZN7rocprim17ROCPRIM_400000_NS6detail17trampoline_kernelINS0_14default_configENS1_25transform_config_selectorImLb1EEEZNS1_14transform_implILb1ES3_S5_PmPjNS0_8identityIvEEEE10hipError_tT2_T3_mT4_P12ihipStream_tbEUlT_E_NS1_11comp_targetILNS1_3genE2ELNS1_11target_archE906ELNS1_3gpuE6ELNS1_3repE0EEENS1_30default_config_static_selectorELNS0_4arch9wavefront6targetE1EEEvT1_ ; -- Begin function _ZN7rocprim17ROCPRIM_400000_NS6detail17trampoline_kernelINS0_14default_configENS1_25transform_config_selectorImLb1EEEZNS1_14transform_implILb1ES3_S5_PmPjNS0_8identityIvEEEE10hipError_tT2_T3_mT4_P12ihipStream_tbEUlT_E_NS1_11comp_targetILNS1_3genE2ELNS1_11target_archE906ELNS1_3gpuE6ELNS1_3repE0EEENS1_30default_config_static_selectorELNS0_4arch9wavefront6targetE1EEEvT1_
	.globl	_ZN7rocprim17ROCPRIM_400000_NS6detail17trampoline_kernelINS0_14default_configENS1_25transform_config_selectorImLb1EEEZNS1_14transform_implILb1ES3_S5_PmPjNS0_8identityIvEEEE10hipError_tT2_T3_mT4_P12ihipStream_tbEUlT_E_NS1_11comp_targetILNS1_3genE2ELNS1_11target_archE906ELNS1_3gpuE6ELNS1_3repE0EEENS1_30default_config_static_selectorELNS0_4arch9wavefront6targetE1EEEvT1_
	.p2align	8
	.type	_ZN7rocprim17ROCPRIM_400000_NS6detail17trampoline_kernelINS0_14default_configENS1_25transform_config_selectorImLb1EEEZNS1_14transform_implILb1ES3_S5_PmPjNS0_8identityIvEEEE10hipError_tT2_T3_mT4_P12ihipStream_tbEUlT_E_NS1_11comp_targetILNS1_3genE2ELNS1_11target_archE906ELNS1_3gpuE6ELNS1_3repE0EEENS1_30default_config_static_selectorELNS0_4arch9wavefront6targetE1EEEvT1_,@function
_ZN7rocprim17ROCPRIM_400000_NS6detail17trampoline_kernelINS0_14default_configENS1_25transform_config_selectorImLb1EEEZNS1_14transform_implILb1ES3_S5_PmPjNS0_8identityIvEEEE10hipError_tT2_T3_mT4_P12ihipStream_tbEUlT_E_NS1_11comp_targetILNS1_3genE2ELNS1_11target_archE906ELNS1_3gpuE6ELNS1_3repE0EEENS1_30default_config_static_selectorELNS0_4arch9wavefront6targetE1EEEvT1_: ; @_ZN7rocprim17ROCPRIM_400000_NS6detail17trampoline_kernelINS0_14default_configENS1_25transform_config_selectorImLb1EEEZNS1_14transform_implILb1ES3_S5_PmPjNS0_8identityIvEEEE10hipError_tT2_T3_mT4_P12ihipStream_tbEUlT_E_NS1_11comp_targetILNS1_3genE2ELNS1_11target_archE906ELNS1_3gpuE6ELNS1_3repE0EEENS1_30default_config_static_selectorELNS0_4arch9wavefront6targetE1EEEvT1_
; %bb.0:
	.section	.rodata,"a",@progbits
	.p2align	6, 0x0
	.amdhsa_kernel _ZN7rocprim17ROCPRIM_400000_NS6detail17trampoline_kernelINS0_14default_configENS1_25transform_config_selectorImLb1EEEZNS1_14transform_implILb1ES3_S5_PmPjNS0_8identityIvEEEE10hipError_tT2_T3_mT4_P12ihipStream_tbEUlT_E_NS1_11comp_targetILNS1_3genE2ELNS1_11target_archE906ELNS1_3gpuE6ELNS1_3repE0EEENS1_30default_config_static_selectorELNS0_4arch9wavefront6targetE1EEEvT1_
		.amdhsa_group_segment_fixed_size 0
		.amdhsa_private_segment_fixed_size 0
		.amdhsa_kernarg_size 40
		.amdhsa_user_sgpr_count 6
		.amdhsa_user_sgpr_private_segment_buffer 1
		.amdhsa_user_sgpr_dispatch_ptr 0
		.amdhsa_user_sgpr_queue_ptr 0
		.amdhsa_user_sgpr_kernarg_segment_ptr 1
		.amdhsa_user_sgpr_dispatch_id 0
		.amdhsa_user_sgpr_flat_scratch_init 0
		.amdhsa_user_sgpr_kernarg_preload_length 0
		.amdhsa_user_sgpr_kernarg_preload_offset 0
		.amdhsa_user_sgpr_private_segment_size 0
		.amdhsa_uses_dynamic_stack 0
		.amdhsa_system_sgpr_private_segment_wavefront_offset 0
		.amdhsa_system_sgpr_workgroup_id_x 1
		.amdhsa_system_sgpr_workgroup_id_y 0
		.amdhsa_system_sgpr_workgroup_id_z 0
		.amdhsa_system_sgpr_workgroup_info 0
		.amdhsa_system_vgpr_workitem_id 0
		.amdhsa_next_free_vgpr 1
		.amdhsa_next_free_sgpr 0
		.amdhsa_accum_offset 4
		.amdhsa_reserve_vcc 0
		.amdhsa_reserve_flat_scratch 0
		.amdhsa_float_round_mode_32 0
		.amdhsa_float_round_mode_16_64 0
		.amdhsa_float_denorm_mode_32 3
		.amdhsa_float_denorm_mode_16_64 3
		.amdhsa_dx10_clamp 1
		.amdhsa_ieee_mode 1
		.amdhsa_fp16_overflow 0
		.amdhsa_tg_split 0
		.amdhsa_exception_fp_ieee_invalid_op 0
		.amdhsa_exception_fp_denorm_src 0
		.amdhsa_exception_fp_ieee_div_zero 0
		.amdhsa_exception_fp_ieee_overflow 0
		.amdhsa_exception_fp_ieee_underflow 0
		.amdhsa_exception_fp_ieee_inexact 0
		.amdhsa_exception_int_div_zero 0
	.end_amdhsa_kernel
	.section	.text._ZN7rocprim17ROCPRIM_400000_NS6detail17trampoline_kernelINS0_14default_configENS1_25transform_config_selectorImLb1EEEZNS1_14transform_implILb1ES3_S5_PmPjNS0_8identityIvEEEE10hipError_tT2_T3_mT4_P12ihipStream_tbEUlT_E_NS1_11comp_targetILNS1_3genE2ELNS1_11target_archE906ELNS1_3gpuE6ELNS1_3repE0EEENS1_30default_config_static_selectorELNS0_4arch9wavefront6targetE1EEEvT1_,"axG",@progbits,_ZN7rocprim17ROCPRIM_400000_NS6detail17trampoline_kernelINS0_14default_configENS1_25transform_config_selectorImLb1EEEZNS1_14transform_implILb1ES3_S5_PmPjNS0_8identityIvEEEE10hipError_tT2_T3_mT4_P12ihipStream_tbEUlT_E_NS1_11comp_targetILNS1_3genE2ELNS1_11target_archE906ELNS1_3gpuE6ELNS1_3repE0EEENS1_30default_config_static_selectorELNS0_4arch9wavefront6targetE1EEEvT1_,comdat
.Lfunc_end17:
	.size	_ZN7rocprim17ROCPRIM_400000_NS6detail17trampoline_kernelINS0_14default_configENS1_25transform_config_selectorImLb1EEEZNS1_14transform_implILb1ES3_S5_PmPjNS0_8identityIvEEEE10hipError_tT2_T3_mT4_P12ihipStream_tbEUlT_E_NS1_11comp_targetILNS1_3genE2ELNS1_11target_archE906ELNS1_3gpuE6ELNS1_3repE0EEENS1_30default_config_static_selectorELNS0_4arch9wavefront6targetE1EEEvT1_, .Lfunc_end17-_ZN7rocprim17ROCPRIM_400000_NS6detail17trampoline_kernelINS0_14default_configENS1_25transform_config_selectorImLb1EEEZNS1_14transform_implILb1ES3_S5_PmPjNS0_8identityIvEEEE10hipError_tT2_T3_mT4_P12ihipStream_tbEUlT_E_NS1_11comp_targetILNS1_3genE2ELNS1_11target_archE906ELNS1_3gpuE6ELNS1_3repE0EEENS1_30default_config_static_selectorELNS0_4arch9wavefront6targetE1EEEvT1_
                                        ; -- End function
	.section	.AMDGPU.csdata,"",@progbits
; Kernel info:
; codeLenInByte = 0
; NumSgprs: 4
; NumVgprs: 0
; NumAgprs: 0
; TotalNumVgprs: 0
; ScratchSize: 0
; MemoryBound: 0
; FloatMode: 240
; IeeeMode: 1
; LDSByteSize: 0 bytes/workgroup (compile time only)
; SGPRBlocks: 0
; VGPRBlocks: 0
; NumSGPRsForWavesPerEU: 4
; NumVGPRsForWavesPerEU: 1
; AccumOffset: 4
; Occupancy: 8
; WaveLimiterHint : 0
; COMPUTE_PGM_RSRC2:SCRATCH_EN: 0
; COMPUTE_PGM_RSRC2:USER_SGPR: 6
; COMPUTE_PGM_RSRC2:TRAP_HANDLER: 0
; COMPUTE_PGM_RSRC2:TGID_X_EN: 1
; COMPUTE_PGM_RSRC2:TGID_Y_EN: 0
; COMPUTE_PGM_RSRC2:TGID_Z_EN: 0
; COMPUTE_PGM_RSRC2:TIDIG_COMP_CNT: 0
; COMPUTE_PGM_RSRC3_GFX90A:ACCUM_OFFSET: 0
; COMPUTE_PGM_RSRC3_GFX90A:TG_SPLIT: 0
	.section	.text._ZN7rocprim17ROCPRIM_400000_NS6detail17trampoline_kernelINS0_14default_configENS1_25transform_config_selectorImLb1EEEZNS1_14transform_implILb1ES3_S5_PmPjNS0_8identityIvEEEE10hipError_tT2_T3_mT4_P12ihipStream_tbEUlT_E_NS1_11comp_targetILNS1_3genE9ELNS1_11target_archE1100ELNS1_3gpuE3ELNS1_3repE0EEENS1_30default_config_static_selectorELNS0_4arch9wavefront6targetE1EEEvT1_,"axG",@progbits,_ZN7rocprim17ROCPRIM_400000_NS6detail17trampoline_kernelINS0_14default_configENS1_25transform_config_selectorImLb1EEEZNS1_14transform_implILb1ES3_S5_PmPjNS0_8identityIvEEEE10hipError_tT2_T3_mT4_P12ihipStream_tbEUlT_E_NS1_11comp_targetILNS1_3genE9ELNS1_11target_archE1100ELNS1_3gpuE3ELNS1_3repE0EEENS1_30default_config_static_selectorELNS0_4arch9wavefront6targetE1EEEvT1_,comdat
	.protected	_ZN7rocprim17ROCPRIM_400000_NS6detail17trampoline_kernelINS0_14default_configENS1_25transform_config_selectorImLb1EEEZNS1_14transform_implILb1ES3_S5_PmPjNS0_8identityIvEEEE10hipError_tT2_T3_mT4_P12ihipStream_tbEUlT_E_NS1_11comp_targetILNS1_3genE9ELNS1_11target_archE1100ELNS1_3gpuE3ELNS1_3repE0EEENS1_30default_config_static_selectorELNS0_4arch9wavefront6targetE1EEEvT1_ ; -- Begin function _ZN7rocprim17ROCPRIM_400000_NS6detail17trampoline_kernelINS0_14default_configENS1_25transform_config_selectorImLb1EEEZNS1_14transform_implILb1ES3_S5_PmPjNS0_8identityIvEEEE10hipError_tT2_T3_mT4_P12ihipStream_tbEUlT_E_NS1_11comp_targetILNS1_3genE9ELNS1_11target_archE1100ELNS1_3gpuE3ELNS1_3repE0EEENS1_30default_config_static_selectorELNS0_4arch9wavefront6targetE1EEEvT1_
	.globl	_ZN7rocprim17ROCPRIM_400000_NS6detail17trampoline_kernelINS0_14default_configENS1_25transform_config_selectorImLb1EEEZNS1_14transform_implILb1ES3_S5_PmPjNS0_8identityIvEEEE10hipError_tT2_T3_mT4_P12ihipStream_tbEUlT_E_NS1_11comp_targetILNS1_3genE9ELNS1_11target_archE1100ELNS1_3gpuE3ELNS1_3repE0EEENS1_30default_config_static_selectorELNS0_4arch9wavefront6targetE1EEEvT1_
	.p2align	8
	.type	_ZN7rocprim17ROCPRIM_400000_NS6detail17trampoline_kernelINS0_14default_configENS1_25transform_config_selectorImLb1EEEZNS1_14transform_implILb1ES3_S5_PmPjNS0_8identityIvEEEE10hipError_tT2_T3_mT4_P12ihipStream_tbEUlT_E_NS1_11comp_targetILNS1_3genE9ELNS1_11target_archE1100ELNS1_3gpuE3ELNS1_3repE0EEENS1_30default_config_static_selectorELNS0_4arch9wavefront6targetE1EEEvT1_,@function
_ZN7rocprim17ROCPRIM_400000_NS6detail17trampoline_kernelINS0_14default_configENS1_25transform_config_selectorImLb1EEEZNS1_14transform_implILb1ES3_S5_PmPjNS0_8identityIvEEEE10hipError_tT2_T3_mT4_P12ihipStream_tbEUlT_E_NS1_11comp_targetILNS1_3genE9ELNS1_11target_archE1100ELNS1_3gpuE3ELNS1_3repE0EEENS1_30default_config_static_selectorELNS0_4arch9wavefront6targetE1EEEvT1_: ; @_ZN7rocprim17ROCPRIM_400000_NS6detail17trampoline_kernelINS0_14default_configENS1_25transform_config_selectorImLb1EEEZNS1_14transform_implILb1ES3_S5_PmPjNS0_8identityIvEEEE10hipError_tT2_T3_mT4_P12ihipStream_tbEUlT_E_NS1_11comp_targetILNS1_3genE9ELNS1_11target_archE1100ELNS1_3gpuE3ELNS1_3repE0EEENS1_30default_config_static_selectorELNS0_4arch9wavefront6targetE1EEEvT1_
; %bb.0:
	.section	.rodata,"a",@progbits
	.p2align	6, 0x0
	.amdhsa_kernel _ZN7rocprim17ROCPRIM_400000_NS6detail17trampoline_kernelINS0_14default_configENS1_25transform_config_selectorImLb1EEEZNS1_14transform_implILb1ES3_S5_PmPjNS0_8identityIvEEEE10hipError_tT2_T3_mT4_P12ihipStream_tbEUlT_E_NS1_11comp_targetILNS1_3genE9ELNS1_11target_archE1100ELNS1_3gpuE3ELNS1_3repE0EEENS1_30default_config_static_selectorELNS0_4arch9wavefront6targetE1EEEvT1_
		.amdhsa_group_segment_fixed_size 0
		.amdhsa_private_segment_fixed_size 0
		.amdhsa_kernarg_size 40
		.amdhsa_user_sgpr_count 6
		.amdhsa_user_sgpr_private_segment_buffer 1
		.amdhsa_user_sgpr_dispatch_ptr 0
		.amdhsa_user_sgpr_queue_ptr 0
		.amdhsa_user_sgpr_kernarg_segment_ptr 1
		.amdhsa_user_sgpr_dispatch_id 0
		.amdhsa_user_sgpr_flat_scratch_init 0
		.amdhsa_user_sgpr_kernarg_preload_length 0
		.amdhsa_user_sgpr_kernarg_preload_offset 0
		.amdhsa_user_sgpr_private_segment_size 0
		.amdhsa_uses_dynamic_stack 0
		.amdhsa_system_sgpr_private_segment_wavefront_offset 0
		.amdhsa_system_sgpr_workgroup_id_x 1
		.amdhsa_system_sgpr_workgroup_id_y 0
		.amdhsa_system_sgpr_workgroup_id_z 0
		.amdhsa_system_sgpr_workgroup_info 0
		.amdhsa_system_vgpr_workitem_id 0
		.amdhsa_next_free_vgpr 1
		.amdhsa_next_free_sgpr 0
		.amdhsa_accum_offset 4
		.amdhsa_reserve_vcc 0
		.amdhsa_reserve_flat_scratch 0
		.amdhsa_float_round_mode_32 0
		.amdhsa_float_round_mode_16_64 0
		.amdhsa_float_denorm_mode_32 3
		.amdhsa_float_denorm_mode_16_64 3
		.amdhsa_dx10_clamp 1
		.amdhsa_ieee_mode 1
		.amdhsa_fp16_overflow 0
		.amdhsa_tg_split 0
		.amdhsa_exception_fp_ieee_invalid_op 0
		.amdhsa_exception_fp_denorm_src 0
		.amdhsa_exception_fp_ieee_div_zero 0
		.amdhsa_exception_fp_ieee_overflow 0
		.amdhsa_exception_fp_ieee_underflow 0
		.amdhsa_exception_fp_ieee_inexact 0
		.amdhsa_exception_int_div_zero 0
	.end_amdhsa_kernel
	.section	.text._ZN7rocprim17ROCPRIM_400000_NS6detail17trampoline_kernelINS0_14default_configENS1_25transform_config_selectorImLb1EEEZNS1_14transform_implILb1ES3_S5_PmPjNS0_8identityIvEEEE10hipError_tT2_T3_mT4_P12ihipStream_tbEUlT_E_NS1_11comp_targetILNS1_3genE9ELNS1_11target_archE1100ELNS1_3gpuE3ELNS1_3repE0EEENS1_30default_config_static_selectorELNS0_4arch9wavefront6targetE1EEEvT1_,"axG",@progbits,_ZN7rocprim17ROCPRIM_400000_NS6detail17trampoline_kernelINS0_14default_configENS1_25transform_config_selectorImLb1EEEZNS1_14transform_implILb1ES3_S5_PmPjNS0_8identityIvEEEE10hipError_tT2_T3_mT4_P12ihipStream_tbEUlT_E_NS1_11comp_targetILNS1_3genE9ELNS1_11target_archE1100ELNS1_3gpuE3ELNS1_3repE0EEENS1_30default_config_static_selectorELNS0_4arch9wavefront6targetE1EEEvT1_,comdat
.Lfunc_end18:
	.size	_ZN7rocprim17ROCPRIM_400000_NS6detail17trampoline_kernelINS0_14default_configENS1_25transform_config_selectorImLb1EEEZNS1_14transform_implILb1ES3_S5_PmPjNS0_8identityIvEEEE10hipError_tT2_T3_mT4_P12ihipStream_tbEUlT_E_NS1_11comp_targetILNS1_3genE9ELNS1_11target_archE1100ELNS1_3gpuE3ELNS1_3repE0EEENS1_30default_config_static_selectorELNS0_4arch9wavefront6targetE1EEEvT1_, .Lfunc_end18-_ZN7rocprim17ROCPRIM_400000_NS6detail17trampoline_kernelINS0_14default_configENS1_25transform_config_selectorImLb1EEEZNS1_14transform_implILb1ES3_S5_PmPjNS0_8identityIvEEEE10hipError_tT2_T3_mT4_P12ihipStream_tbEUlT_E_NS1_11comp_targetILNS1_3genE9ELNS1_11target_archE1100ELNS1_3gpuE3ELNS1_3repE0EEENS1_30default_config_static_selectorELNS0_4arch9wavefront6targetE1EEEvT1_
                                        ; -- End function
	.section	.AMDGPU.csdata,"",@progbits
; Kernel info:
; codeLenInByte = 0
; NumSgprs: 4
; NumVgprs: 0
; NumAgprs: 0
; TotalNumVgprs: 0
; ScratchSize: 0
; MemoryBound: 0
; FloatMode: 240
; IeeeMode: 1
; LDSByteSize: 0 bytes/workgroup (compile time only)
; SGPRBlocks: 0
; VGPRBlocks: 0
; NumSGPRsForWavesPerEU: 4
; NumVGPRsForWavesPerEU: 1
; AccumOffset: 4
; Occupancy: 8
; WaveLimiterHint : 0
; COMPUTE_PGM_RSRC2:SCRATCH_EN: 0
; COMPUTE_PGM_RSRC2:USER_SGPR: 6
; COMPUTE_PGM_RSRC2:TRAP_HANDLER: 0
; COMPUTE_PGM_RSRC2:TGID_X_EN: 1
; COMPUTE_PGM_RSRC2:TGID_Y_EN: 0
; COMPUTE_PGM_RSRC2:TGID_Z_EN: 0
; COMPUTE_PGM_RSRC2:TIDIG_COMP_CNT: 0
; COMPUTE_PGM_RSRC3_GFX90A:ACCUM_OFFSET: 0
; COMPUTE_PGM_RSRC3_GFX90A:TG_SPLIT: 0
	.section	.text._ZN7rocprim17ROCPRIM_400000_NS6detail17trampoline_kernelINS0_14default_configENS1_25transform_config_selectorImLb1EEEZNS1_14transform_implILb1ES3_S5_PmPjNS0_8identityIvEEEE10hipError_tT2_T3_mT4_P12ihipStream_tbEUlT_E_NS1_11comp_targetILNS1_3genE8ELNS1_11target_archE1030ELNS1_3gpuE2ELNS1_3repE0EEENS1_30default_config_static_selectorELNS0_4arch9wavefront6targetE1EEEvT1_,"axG",@progbits,_ZN7rocprim17ROCPRIM_400000_NS6detail17trampoline_kernelINS0_14default_configENS1_25transform_config_selectorImLb1EEEZNS1_14transform_implILb1ES3_S5_PmPjNS0_8identityIvEEEE10hipError_tT2_T3_mT4_P12ihipStream_tbEUlT_E_NS1_11comp_targetILNS1_3genE8ELNS1_11target_archE1030ELNS1_3gpuE2ELNS1_3repE0EEENS1_30default_config_static_selectorELNS0_4arch9wavefront6targetE1EEEvT1_,comdat
	.protected	_ZN7rocprim17ROCPRIM_400000_NS6detail17trampoline_kernelINS0_14default_configENS1_25transform_config_selectorImLb1EEEZNS1_14transform_implILb1ES3_S5_PmPjNS0_8identityIvEEEE10hipError_tT2_T3_mT4_P12ihipStream_tbEUlT_E_NS1_11comp_targetILNS1_3genE8ELNS1_11target_archE1030ELNS1_3gpuE2ELNS1_3repE0EEENS1_30default_config_static_selectorELNS0_4arch9wavefront6targetE1EEEvT1_ ; -- Begin function _ZN7rocprim17ROCPRIM_400000_NS6detail17trampoline_kernelINS0_14default_configENS1_25transform_config_selectorImLb1EEEZNS1_14transform_implILb1ES3_S5_PmPjNS0_8identityIvEEEE10hipError_tT2_T3_mT4_P12ihipStream_tbEUlT_E_NS1_11comp_targetILNS1_3genE8ELNS1_11target_archE1030ELNS1_3gpuE2ELNS1_3repE0EEENS1_30default_config_static_selectorELNS0_4arch9wavefront6targetE1EEEvT1_
	.globl	_ZN7rocprim17ROCPRIM_400000_NS6detail17trampoline_kernelINS0_14default_configENS1_25transform_config_selectorImLb1EEEZNS1_14transform_implILb1ES3_S5_PmPjNS0_8identityIvEEEE10hipError_tT2_T3_mT4_P12ihipStream_tbEUlT_E_NS1_11comp_targetILNS1_3genE8ELNS1_11target_archE1030ELNS1_3gpuE2ELNS1_3repE0EEENS1_30default_config_static_selectorELNS0_4arch9wavefront6targetE1EEEvT1_
	.p2align	8
	.type	_ZN7rocprim17ROCPRIM_400000_NS6detail17trampoline_kernelINS0_14default_configENS1_25transform_config_selectorImLb1EEEZNS1_14transform_implILb1ES3_S5_PmPjNS0_8identityIvEEEE10hipError_tT2_T3_mT4_P12ihipStream_tbEUlT_E_NS1_11comp_targetILNS1_3genE8ELNS1_11target_archE1030ELNS1_3gpuE2ELNS1_3repE0EEENS1_30default_config_static_selectorELNS0_4arch9wavefront6targetE1EEEvT1_,@function
_ZN7rocprim17ROCPRIM_400000_NS6detail17trampoline_kernelINS0_14default_configENS1_25transform_config_selectorImLb1EEEZNS1_14transform_implILb1ES3_S5_PmPjNS0_8identityIvEEEE10hipError_tT2_T3_mT4_P12ihipStream_tbEUlT_E_NS1_11comp_targetILNS1_3genE8ELNS1_11target_archE1030ELNS1_3gpuE2ELNS1_3repE0EEENS1_30default_config_static_selectorELNS0_4arch9wavefront6targetE1EEEvT1_: ; @_ZN7rocprim17ROCPRIM_400000_NS6detail17trampoline_kernelINS0_14default_configENS1_25transform_config_selectorImLb1EEEZNS1_14transform_implILb1ES3_S5_PmPjNS0_8identityIvEEEE10hipError_tT2_T3_mT4_P12ihipStream_tbEUlT_E_NS1_11comp_targetILNS1_3genE8ELNS1_11target_archE1030ELNS1_3gpuE2ELNS1_3repE0EEENS1_30default_config_static_selectorELNS0_4arch9wavefront6targetE1EEEvT1_
; %bb.0:
	.section	.rodata,"a",@progbits
	.p2align	6, 0x0
	.amdhsa_kernel _ZN7rocprim17ROCPRIM_400000_NS6detail17trampoline_kernelINS0_14default_configENS1_25transform_config_selectorImLb1EEEZNS1_14transform_implILb1ES3_S5_PmPjNS0_8identityIvEEEE10hipError_tT2_T3_mT4_P12ihipStream_tbEUlT_E_NS1_11comp_targetILNS1_3genE8ELNS1_11target_archE1030ELNS1_3gpuE2ELNS1_3repE0EEENS1_30default_config_static_selectorELNS0_4arch9wavefront6targetE1EEEvT1_
		.amdhsa_group_segment_fixed_size 0
		.amdhsa_private_segment_fixed_size 0
		.amdhsa_kernarg_size 40
		.amdhsa_user_sgpr_count 6
		.amdhsa_user_sgpr_private_segment_buffer 1
		.amdhsa_user_sgpr_dispatch_ptr 0
		.amdhsa_user_sgpr_queue_ptr 0
		.amdhsa_user_sgpr_kernarg_segment_ptr 1
		.amdhsa_user_sgpr_dispatch_id 0
		.amdhsa_user_sgpr_flat_scratch_init 0
		.amdhsa_user_sgpr_kernarg_preload_length 0
		.amdhsa_user_sgpr_kernarg_preload_offset 0
		.amdhsa_user_sgpr_private_segment_size 0
		.amdhsa_uses_dynamic_stack 0
		.amdhsa_system_sgpr_private_segment_wavefront_offset 0
		.amdhsa_system_sgpr_workgroup_id_x 1
		.amdhsa_system_sgpr_workgroup_id_y 0
		.amdhsa_system_sgpr_workgroup_id_z 0
		.amdhsa_system_sgpr_workgroup_info 0
		.amdhsa_system_vgpr_workitem_id 0
		.amdhsa_next_free_vgpr 1
		.amdhsa_next_free_sgpr 0
		.amdhsa_accum_offset 4
		.amdhsa_reserve_vcc 0
		.amdhsa_reserve_flat_scratch 0
		.amdhsa_float_round_mode_32 0
		.amdhsa_float_round_mode_16_64 0
		.amdhsa_float_denorm_mode_32 3
		.amdhsa_float_denorm_mode_16_64 3
		.amdhsa_dx10_clamp 1
		.amdhsa_ieee_mode 1
		.amdhsa_fp16_overflow 0
		.amdhsa_tg_split 0
		.amdhsa_exception_fp_ieee_invalid_op 0
		.amdhsa_exception_fp_denorm_src 0
		.amdhsa_exception_fp_ieee_div_zero 0
		.amdhsa_exception_fp_ieee_overflow 0
		.amdhsa_exception_fp_ieee_underflow 0
		.amdhsa_exception_fp_ieee_inexact 0
		.amdhsa_exception_int_div_zero 0
	.end_amdhsa_kernel
	.section	.text._ZN7rocprim17ROCPRIM_400000_NS6detail17trampoline_kernelINS0_14default_configENS1_25transform_config_selectorImLb1EEEZNS1_14transform_implILb1ES3_S5_PmPjNS0_8identityIvEEEE10hipError_tT2_T3_mT4_P12ihipStream_tbEUlT_E_NS1_11comp_targetILNS1_3genE8ELNS1_11target_archE1030ELNS1_3gpuE2ELNS1_3repE0EEENS1_30default_config_static_selectorELNS0_4arch9wavefront6targetE1EEEvT1_,"axG",@progbits,_ZN7rocprim17ROCPRIM_400000_NS6detail17trampoline_kernelINS0_14default_configENS1_25transform_config_selectorImLb1EEEZNS1_14transform_implILb1ES3_S5_PmPjNS0_8identityIvEEEE10hipError_tT2_T3_mT4_P12ihipStream_tbEUlT_E_NS1_11comp_targetILNS1_3genE8ELNS1_11target_archE1030ELNS1_3gpuE2ELNS1_3repE0EEENS1_30default_config_static_selectorELNS0_4arch9wavefront6targetE1EEEvT1_,comdat
.Lfunc_end19:
	.size	_ZN7rocprim17ROCPRIM_400000_NS6detail17trampoline_kernelINS0_14default_configENS1_25transform_config_selectorImLb1EEEZNS1_14transform_implILb1ES3_S5_PmPjNS0_8identityIvEEEE10hipError_tT2_T3_mT4_P12ihipStream_tbEUlT_E_NS1_11comp_targetILNS1_3genE8ELNS1_11target_archE1030ELNS1_3gpuE2ELNS1_3repE0EEENS1_30default_config_static_selectorELNS0_4arch9wavefront6targetE1EEEvT1_, .Lfunc_end19-_ZN7rocprim17ROCPRIM_400000_NS6detail17trampoline_kernelINS0_14default_configENS1_25transform_config_selectorImLb1EEEZNS1_14transform_implILb1ES3_S5_PmPjNS0_8identityIvEEEE10hipError_tT2_T3_mT4_P12ihipStream_tbEUlT_E_NS1_11comp_targetILNS1_3genE8ELNS1_11target_archE1030ELNS1_3gpuE2ELNS1_3repE0EEENS1_30default_config_static_selectorELNS0_4arch9wavefront6targetE1EEEvT1_
                                        ; -- End function
	.section	.AMDGPU.csdata,"",@progbits
; Kernel info:
; codeLenInByte = 0
; NumSgprs: 4
; NumVgprs: 0
; NumAgprs: 0
; TotalNumVgprs: 0
; ScratchSize: 0
; MemoryBound: 0
; FloatMode: 240
; IeeeMode: 1
; LDSByteSize: 0 bytes/workgroup (compile time only)
; SGPRBlocks: 0
; VGPRBlocks: 0
; NumSGPRsForWavesPerEU: 4
; NumVGPRsForWavesPerEU: 1
; AccumOffset: 4
; Occupancy: 8
; WaveLimiterHint : 0
; COMPUTE_PGM_RSRC2:SCRATCH_EN: 0
; COMPUTE_PGM_RSRC2:USER_SGPR: 6
; COMPUTE_PGM_RSRC2:TRAP_HANDLER: 0
; COMPUTE_PGM_RSRC2:TGID_X_EN: 1
; COMPUTE_PGM_RSRC2:TGID_Y_EN: 0
; COMPUTE_PGM_RSRC2:TGID_Z_EN: 0
; COMPUTE_PGM_RSRC2:TIDIG_COMP_CNT: 0
; COMPUTE_PGM_RSRC3_GFX90A:ACCUM_OFFSET: 0
; COMPUTE_PGM_RSRC3_GFX90A:TG_SPLIT: 0
	.section	.text._ZN7rocprim17ROCPRIM_400000_NS6detail31init_lookback_scan_state_kernelINS1_19lookback_scan_stateI15HIP_vector_typeIjLj2EELb1ELb1EEENS1_16block_id_wrapperIjLb1EEEEEvT_jT0_jPNS9_10value_typeE,"axG",@progbits,_ZN7rocprim17ROCPRIM_400000_NS6detail31init_lookback_scan_state_kernelINS1_19lookback_scan_stateI15HIP_vector_typeIjLj2EELb1ELb1EEENS1_16block_id_wrapperIjLb1EEEEEvT_jT0_jPNS9_10value_typeE,comdat
	.protected	_ZN7rocprim17ROCPRIM_400000_NS6detail31init_lookback_scan_state_kernelINS1_19lookback_scan_stateI15HIP_vector_typeIjLj2EELb1ELb1EEENS1_16block_id_wrapperIjLb1EEEEEvT_jT0_jPNS9_10value_typeE ; -- Begin function _ZN7rocprim17ROCPRIM_400000_NS6detail31init_lookback_scan_state_kernelINS1_19lookback_scan_stateI15HIP_vector_typeIjLj2EELb1ELb1EEENS1_16block_id_wrapperIjLb1EEEEEvT_jT0_jPNS9_10value_typeE
	.globl	_ZN7rocprim17ROCPRIM_400000_NS6detail31init_lookback_scan_state_kernelINS1_19lookback_scan_stateI15HIP_vector_typeIjLj2EELb1ELb1EEENS1_16block_id_wrapperIjLb1EEEEEvT_jT0_jPNS9_10value_typeE
	.p2align	8
	.type	_ZN7rocprim17ROCPRIM_400000_NS6detail31init_lookback_scan_state_kernelINS1_19lookback_scan_stateI15HIP_vector_typeIjLj2EELb1ELb1EEENS1_16block_id_wrapperIjLb1EEEEEvT_jT0_jPNS9_10value_typeE,@function
_ZN7rocprim17ROCPRIM_400000_NS6detail31init_lookback_scan_state_kernelINS1_19lookback_scan_stateI15HIP_vector_typeIjLj2EELb1ELb1EEENS1_16block_id_wrapperIjLb1EEEEEvT_jT0_jPNS9_10value_typeE: ; @_ZN7rocprim17ROCPRIM_400000_NS6detail31init_lookback_scan_state_kernelINS1_19lookback_scan_stateI15HIP_vector_typeIjLj2EELb1ELb1EEENS1_16block_id_wrapperIjLb1EEEEEvT_jT0_jPNS9_10value_typeE
; %bb.0:
	s_load_dword s7, s[4:5], 0x34
	s_load_dwordx2 s[2:3], s[4:5], 0x20
	s_load_dwordx2 s[0:1], s[4:5], 0x0
	s_load_dword s14, s[4:5], 0x8
	s_waitcnt lgkmcnt(0)
	s_and_b32 s7, s7, 0xffff
	s_mul_i32 s6, s6, s7
	s_cmp_eq_u64 s[2:3], 0
	v_add_u32_e32 v0, s6, v0
	s_cbranch_scc1 .LBB20_10
; %bb.1:
	s_load_dword s8, s[4:5], 0x18
	s_mov_b32 s9, 0
	s_waitcnt lgkmcnt(0)
	s_cmp_lt_u32 s8, s14
	s_cselect_b32 s6, s8, 0
	v_cmp_eq_u32_e32 vcc, s6, v0
	s_and_saveexec_b64 s[6:7], vcc
	s_cbranch_execz .LBB20_9
; %bb.2:
	s_add_i32 s8, s8, 64
	s_lshl_b64 s[8:9], s[8:9], 4
	s_add_u32 s12, s0, s8
	s_addc_u32 s13, s1, s9
	v_pk_mov_b32 v[2:3], s[12:13], s[12:13] op_sel:[0,1]
	;;#ASMSTART
	global_load_dwordx4 v[2:5], v[2:3] off glc	
s_waitcnt vmcnt(0)
	;;#ASMEND
	v_mov_b32_e32 v7, 0
	v_and_b32_e32 v6, 0xff, v4
	s_mov_b64 s[10:11], 0
	v_cmp_eq_u64_e32 vcc, 0, v[6:7]
	s_and_saveexec_b64 s[8:9], vcc
	s_cbranch_execz .LBB20_8
; %bb.3:
	s_mov_b32 s15, 1
	v_pk_mov_b32 v[8:9], s[12:13], s[12:13] op_sel:[0,1]
.LBB20_4:                               ; =>This Loop Header: Depth=1
                                        ;     Child Loop BB20_5 Depth 2
	s_max_u32 s12, s15, 1
.LBB20_5:                               ;   Parent Loop BB20_4 Depth=1
                                        ; =>  This Inner Loop Header: Depth=2
	s_add_i32 s12, s12, -1
	s_cmp_eq_u32 s12, 0
	s_sleep 1
	s_cbranch_scc0 .LBB20_5
; %bb.6:                                ;   in Loop: Header=BB20_4 Depth=1
	s_cmp_lt_u32 s15, 32
	s_cselect_b64 s[12:13], -1, 0
	s_cmp_lg_u64 s[12:13], 0
	;;#ASMSTART
	global_load_dwordx4 v[2:5], v[8:9] off glc	
s_waitcnt vmcnt(0)
	;;#ASMEND
	v_and_b32_e32 v6, 0xff, v4
	s_addc_u32 s15, s15, 0
	v_cmp_ne_u64_e32 vcc, 0, v[6:7]
	s_or_b64 s[10:11], vcc, s[10:11]
	s_andn2_b64 exec, exec, s[10:11]
	s_cbranch_execnz .LBB20_4
; %bb.7:
	s_or_b64 exec, exec, s[10:11]
.LBB20_8:
	s_or_b64 exec, exec, s[8:9]
	v_mov_b32_e32 v1, 0
	global_store_dwordx2 v1, v[2:3], s[2:3]
.LBB20_9:
	s_or_b64 exec, exec, s[6:7]
.LBB20_10:
	v_cmp_eq_u32_e32 vcc, 0, v0
	s_and_saveexec_b64 s[2:3], vcc
	s_cbranch_execnz .LBB20_14
; %bb.11:
	s_or_b64 exec, exec, s[2:3]
	v_cmp_gt_u32_e32 vcc, s14, v0
	s_and_saveexec_b64 s[2:3], vcc
	s_cbranch_execnz .LBB20_15
.LBB20_12:
	s_or_b64 exec, exec, s[2:3]
	v_cmp_gt_u32_e32 vcc, 64, v0
	s_and_saveexec_b64 s[2:3], vcc
	s_cbranch_execnz .LBB20_16
.LBB20_13:
	s_endpgm
.LBB20_14:
	s_load_dwordx2 s[4:5], s[4:5], 0x10
	v_mov_b32_e32 v1, 0
	s_waitcnt lgkmcnt(0)
	global_store_dword v1, v1, s[4:5]
	s_or_b64 exec, exec, s[2:3]
	v_cmp_gt_u32_e32 vcc, s14, v0
	s_and_saveexec_b64 s[2:3], vcc
	s_cbranch_execz .LBB20_12
.LBB20_15:
	v_add_u32_e32 v2, 64, v0
	v_mov_b32_e32 v3, 0
	v_lshlrev_b64 v[4:5], 4, v[2:3]
	v_mov_b32_e32 v1, s1
	v_add_co_u32_e32 v6, vcc, s0, v4
	v_addc_co_u32_e32 v7, vcc, v1, v5, vcc
	v_mov_b32_e32 v2, v3
	v_mov_b32_e32 v4, v3
	;; [unrolled: 1-line block ×3, first 2 shown]
	global_store_dwordx4 v[6:7], v[2:5], off
	s_or_b64 exec, exec, s[2:3]
	v_cmp_gt_u32_e32 vcc, 64, v0
	s_and_saveexec_b64 s[2:3], vcc
	s_cbranch_execz .LBB20_13
.LBB20_16:
	v_mov_b32_e32 v1, 0
	v_lshlrev_b64 v[2:3], 4, v[0:1]
	v_mov_b32_e32 v0, s1
	v_add_co_u32_e32 v4, vcc, s0, v2
	v_addc_co_u32_e32 v5, vcc, v0, v3, vcc
	v_mov_b32_e32 v2, 0xff
	v_mov_b32_e32 v0, v1
	v_mov_b32_e32 v3, v1
	global_store_dwordx4 v[4:5], v[0:3], off
	s_endpgm
	.section	.rodata,"a",@progbits
	.p2align	6, 0x0
	.amdhsa_kernel _ZN7rocprim17ROCPRIM_400000_NS6detail31init_lookback_scan_state_kernelINS1_19lookback_scan_stateI15HIP_vector_typeIjLj2EELb1ELb1EEENS1_16block_id_wrapperIjLb1EEEEEvT_jT0_jPNS9_10value_typeE
		.amdhsa_group_segment_fixed_size 0
		.amdhsa_private_segment_fixed_size 0
		.amdhsa_kernarg_size 296
		.amdhsa_user_sgpr_count 6
		.amdhsa_user_sgpr_private_segment_buffer 1
		.amdhsa_user_sgpr_dispatch_ptr 0
		.amdhsa_user_sgpr_queue_ptr 0
		.amdhsa_user_sgpr_kernarg_segment_ptr 1
		.amdhsa_user_sgpr_dispatch_id 0
		.amdhsa_user_sgpr_flat_scratch_init 0
		.amdhsa_user_sgpr_kernarg_preload_length 0
		.amdhsa_user_sgpr_kernarg_preload_offset 0
		.amdhsa_user_sgpr_private_segment_size 0
		.amdhsa_uses_dynamic_stack 0
		.amdhsa_system_sgpr_private_segment_wavefront_offset 0
		.amdhsa_system_sgpr_workgroup_id_x 1
		.amdhsa_system_sgpr_workgroup_id_y 0
		.amdhsa_system_sgpr_workgroup_id_z 0
		.amdhsa_system_sgpr_workgroup_info 0
		.amdhsa_system_vgpr_workitem_id 0
		.amdhsa_next_free_vgpr 10
		.amdhsa_next_free_sgpr 16
		.amdhsa_accum_offset 12
		.amdhsa_reserve_vcc 1
		.amdhsa_reserve_flat_scratch 0
		.amdhsa_float_round_mode_32 0
		.amdhsa_float_round_mode_16_64 0
		.amdhsa_float_denorm_mode_32 3
		.amdhsa_float_denorm_mode_16_64 3
		.amdhsa_dx10_clamp 1
		.amdhsa_ieee_mode 1
		.amdhsa_fp16_overflow 0
		.amdhsa_tg_split 0
		.amdhsa_exception_fp_ieee_invalid_op 0
		.amdhsa_exception_fp_denorm_src 0
		.amdhsa_exception_fp_ieee_div_zero 0
		.amdhsa_exception_fp_ieee_overflow 0
		.amdhsa_exception_fp_ieee_underflow 0
		.amdhsa_exception_fp_ieee_inexact 0
		.amdhsa_exception_int_div_zero 0
	.end_amdhsa_kernel
	.section	.text._ZN7rocprim17ROCPRIM_400000_NS6detail31init_lookback_scan_state_kernelINS1_19lookback_scan_stateI15HIP_vector_typeIjLj2EELb1ELb1EEENS1_16block_id_wrapperIjLb1EEEEEvT_jT0_jPNS9_10value_typeE,"axG",@progbits,_ZN7rocprim17ROCPRIM_400000_NS6detail31init_lookback_scan_state_kernelINS1_19lookback_scan_stateI15HIP_vector_typeIjLj2EELb1ELb1EEENS1_16block_id_wrapperIjLb1EEEEEvT_jT0_jPNS9_10value_typeE,comdat
.Lfunc_end20:
	.size	_ZN7rocprim17ROCPRIM_400000_NS6detail31init_lookback_scan_state_kernelINS1_19lookback_scan_stateI15HIP_vector_typeIjLj2EELb1ELb1EEENS1_16block_id_wrapperIjLb1EEEEEvT_jT0_jPNS9_10value_typeE, .Lfunc_end20-_ZN7rocprim17ROCPRIM_400000_NS6detail31init_lookback_scan_state_kernelINS1_19lookback_scan_stateI15HIP_vector_typeIjLj2EELb1ELb1EEENS1_16block_id_wrapperIjLb1EEEEEvT_jT0_jPNS9_10value_typeE
                                        ; -- End function
	.section	.AMDGPU.csdata,"",@progbits
; Kernel info:
; codeLenInByte = 480
; NumSgprs: 20
; NumVgprs: 10
; NumAgprs: 0
; TotalNumVgprs: 10
; ScratchSize: 0
; MemoryBound: 0
; FloatMode: 240
; IeeeMode: 1
; LDSByteSize: 0 bytes/workgroup (compile time only)
; SGPRBlocks: 2
; VGPRBlocks: 1
; NumSGPRsForWavesPerEU: 20
; NumVGPRsForWavesPerEU: 10
; AccumOffset: 12
; Occupancy: 8
; WaveLimiterHint : 0
; COMPUTE_PGM_RSRC2:SCRATCH_EN: 0
; COMPUTE_PGM_RSRC2:USER_SGPR: 6
; COMPUTE_PGM_RSRC2:TRAP_HANDLER: 0
; COMPUTE_PGM_RSRC2:TGID_X_EN: 1
; COMPUTE_PGM_RSRC2:TGID_Y_EN: 0
; COMPUTE_PGM_RSRC2:TGID_Z_EN: 0
; COMPUTE_PGM_RSRC2:TIDIG_COMP_CNT: 0
; COMPUTE_PGM_RSRC3_GFX90A:ACCUM_OFFSET: 2
; COMPUTE_PGM_RSRC3_GFX90A:TG_SPLIT: 0
	.section	.text._ZN7rocprim17ROCPRIM_400000_NS6detail17trampoline_kernelINS0_13select_configILj256ELj13ELNS0_17block_load_methodE3ELS4_3ELS4_3ELNS0_20block_scan_algorithmE0ELj4294967295EEENS1_25partition_config_selectorILNS1_17partition_subalgoE4EjNS0_10empty_typeEbEEZZNS1_14partition_implILS8_4ELb0ES6_15HIP_vector_typeIjLj2EENS0_17counting_iteratorIjlEEPS9_SG_NS0_5tupleIJPjSI_NS0_16reverse_iteratorISI_EEEEENSH_IJSG_SG_SG_EEES9_SI_JZNS1_25segmented_radix_sort_implINS0_14default_configELb1EPKhPhPKlPlN2at6native12_GLOBAL__N_18offset_tEEE10hipError_tPvRmT1_PNSt15iterator_traitsIS12_E10value_typeET2_T3_PNS13_IS18_E10value_typeET4_jRbjT5_S1E_jjP12ihipStream_tbEUljE_ZNSN_ISO_Lb1ESQ_SR_ST_SU_SY_EESZ_S10_S11_S12_S16_S17_S18_S1B_S1C_jS1D_jS1E_S1E_jjS1G_bEUljE0_EEESZ_S10_S11_S18_S1C_S1E_T6_T7_T9_mT8_S1G_bDpT10_ENKUlT_T0_E_clISt17integral_constantIbLb1EES1U_EEDaS1P_S1Q_EUlS1P_E_NS1_11comp_targetILNS1_3genE0ELNS1_11target_archE4294967295ELNS1_3gpuE0ELNS1_3repE0EEENS1_30default_config_static_selectorELNS0_4arch9wavefront6targetE1EEEvS12_,"axG",@progbits,_ZN7rocprim17ROCPRIM_400000_NS6detail17trampoline_kernelINS0_13select_configILj256ELj13ELNS0_17block_load_methodE3ELS4_3ELS4_3ELNS0_20block_scan_algorithmE0ELj4294967295EEENS1_25partition_config_selectorILNS1_17partition_subalgoE4EjNS0_10empty_typeEbEEZZNS1_14partition_implILS8_4ELb0ES6_15HIP_vector_typeIjLj2EENS0_17counting_iteratorIjlEEPS9_SG_NS0_5tupleIJPjSI_NS0_16reverse_iteratorISI_EEEEENSH_IJSG_SG_SG_EEES9_SI_JZNS1_25segmented_radix_sort_implINS0_14default_configELb1EPKhPhPKlPlN2at6native12_GLOBAL__N_18offset_tEEE10hipError_tPvRmT1_PNSt15iterator_traitsIS12_E10value_typeET2_T3_PNS13_IS18_E10value_typeET4_jRbjT5_S1E_jjP12ihipStream_tbEUljE_ZNSN_ISO_Lb1ESQ_SR_ST_SU_SY_EESZ_S10_S11_S12_S16_S17_S18_S1B_S1C_jS1D_jS1E_S1E_jjS1G_bEUljE0_EEESZ_S10_S11_S18_S1C_S1E_T6_T7_T9_mT8_S1G_bDpT10_ENKUlT_T0_E_clISt17integral_constantIbLb1EES1U_EEDaS1P_S1Q_EUlS1P_E_NS1_11comp_targetILNS1_3genE0ELNS1_11target_archE4294967295ELNS1_3gpuE0ELNS1_3repE0EEENS1_30default_config_static_selectorELNS0_4arch9wavefront6targetE1EEEvS12_,comdat
	.globl	_ZN7rocprim17ROCPRIM_400000_NS6detail17trampoline_kernelINS0_13select_configILj256ELj13ELNS0_17block_load_methodE3ELS4_3ELS4_3ELNS0_20block_scan_algorithmE0ELj4294967295EEENS1_25partition_config_selectorILNS1_17partition_subalgoE4EjNS0_10empty_typeEbEEZZNS1_14partition_implILS8_4ELb0ES6_15HIP_vector_typeIjLj2EENS0_17counting_iteratorIjlEEPS9_SG_NS0_5tupleIJPjSI_NS0_16reverse_iteratorISI_EEEEENSH_IJSG_SG_SG_EEES9_SI_JZNS1_25segmented_radix_sort_implINS0_14default_configELb1EPKhPhPKlPlN2at6native12_GLOBAL__N_18offset_tEEE10hipError_tPvRmT1_PNSt15iterator_traitsIS12_E10value_typeET2_T3_PNS13_IS18_E10value_typeET4_jRbjT5_S1E_jjP12ihipStream_tbEUljE_ZNSN_ISO_Lb1ESQ_SR_ST_SU_SY_EESZ_S10_S11_S12_S16_S17_S18_S1B_S1C_jS1D_jS1E_S1E_jjS1G_bEUljE0_EEESZ_S10_S11_S18_S1C_S1E_T6_T7_T9_mT8_S1G_bDpT10_ENKUlT_T0_E_clISt17integral_constantIbLb1EES1U_EEDaS1P_S1Q_EUlS1P_E_NS1_11comp_targetILNS1_3genE0ELNS1_11target_archE4294967295ELNS1_3gpuE0ELNS1_3repE0EEENS1_30default_config_static_selectorELNS0_4arch9wavefront6targetE1EEEvS12_ ; -- Begin function _ZN7rocprim17ROCPRIM_400000_NS6detail17trampoline_kernelINS0_13select_configILj256ELj13ELNS0_17block_load_methodE3ELS4_3ELS4_3ELNS0_20block_scan_algorithmE0ELj4294967295EEENS1_25partition_config_selectorILNS1_17partition_subalgoE4EjNS0_10empty_typeEbEEZZNS1_14partition_implILS8_4ELb0ES6_15HIP_vector_typeIjLj2EENS0_17counting_iteratorIjlEEPS9_SG_NS0_5tupleIJPjSI_NS0_16reverse_iteratorISI_EEEEENSH_IJSG_SG_SG_EEES9_SI_JZNS1_25segmented_radix_sort_implINS0_14default_configELb1EPKhPhPKlPlN2at6native12_GLOBAL__N_18offset_tEEE10hipError_tPvRmT1_PNSt15iterator_traitsIS12_E10value_typeET2_T3_PNS13_IS18_E10value_typeET4_jRbjT5_S1E_jjP12ihipStream_tbEUljE_ZNSN_ISO_Lb1ESQ_SR_ST_SU_SY_EESZ_S10_S11_S12_S16_S17_S18_S1B_S1C_jS1D_jS1E_S1E_jjS1G_bEUljE0_EEESZ_S10_S11_S18_S1C_S1E_T6_T7_T9_mT8_S1G_bDpT10_ENKUlT_T0_E_clISt17integral_constantIbLb1EES1U_EEDaS1P_S1Q_EUlS1P_E_NS1_11comp_targetILNS1_3genE0ELNS1_11target_archE4294967295ELNS1_3gpuE0ELNS1_3repE0EEENS1_30default_config_static_selectorELNS0_4arch9wavefront6targetE1EEEvS12_
	.p2align	8
	.type	_ZN7rocprim17ROCPRIM_400000_NS6detail17trampoline_kernelINS0_13select_configILj256ELj13ELNS0_17block_load_methodE3ELS4_3ELS4_3ELNS0_20block_scan_algorithmE0ELj4294967295EEENS1_25partition_config_selectorILNS1_17partition_subalgoE4EjNS0_10empty_typeEbEEZZNS1_14partition_implILS8_4ELb0ES6_15HIP_vector_typeIjLj2EENS0_17counting_iteratorIjlEEPS9_SG_NS0_5tupleIJPjSI_NS0_16reverse_iteratorISI_EEEEENSH_IJSG_SG_SG_EEES9_SI_JZNS1_25segmented_radix_sort_implINS0_14default_configELb1EPKhPhPKlPlN2at6native12_GLOBAL__N_18offset_tEEE10hipError_tPvRmT1_PNSt15iterator_traitsIS12_E10value_typeET2_T3_PNS13_IS18_E10value_typeET4_jRbjT5_S1E_jjP12ihipStream_tbEUljE_ZNSN_ISO_Lb1ESQ_SR_ST_SU_SY_EESZ_S10_S11_S12_S16_S17_S18_S1B_S1C_jS1D_jS1E_S1E_jjS1G_bEUljE0_EEESZ_S10_S11_S18_S1C_S1E_T6_T7_T9_mT8_S1G_bDpT10_ENKUlT_T0_E_clISt17integral_constantIbLb1EES1U_EEDaS1P_S1Q_EUlS1P_E_NS1_11comp_targetILNS1_3genE0ELNS1_11target_archE4294967295ELNS1_3gpuE0ELNS1_3repE0EEENS1_30default_config_static_selectorELNS0_4arch9wavefront6targetE1EEEvS12_,@function
_ZN7rocprim17ROCPRIM_400000_NS6detail17trampoline_kernelINS0_13select_configILj256ELj13ELNS0_17block_load_methodE3ELS4_3ELS4_3ELNS0_20block_scan_algorithmE0ELj4294967295EEENS1_25partition_config_selectorILNS1_17partition_subalgoE4EjNS0_10empty_typeEbEEZZNS1_14partition_implILS8_4ELb0ES6_15HIP_vector_typeIjLj2EENS0_17counting_iteratorIjlEEPS9_SG_NS0_5tupleIJPjSI_NS0_16reverse_iteratorISI_EEEEENSH_IJSG_SG_SG_EEES9_SI_JZNS1_25segmented_radix_sort_implINS0_14default_configELb1EPKhPhPKlPlN2at6native12_GLOBAL__N_18offset_tEEE10hipError_tPvRmT1_PNSt15iterator_traitsIS12_E10value_typeET2_T3_PNS13_IS18_E10value_typeET4_jRbjT5_S1E_jjP12ihipStream_tbEUljE_ZNSN_ISO_Lb1ESQ_SR_ST_SU_SY_EESZ_S10_S11_S12_S16_S17_S18_S1B_S1C_jS1D_jS1E_S1E_jjS1G_bEUljE0_EEESZ_S10_S11_S18_S1C_S1E_T6_T7_T9_mT8_S1G_bDpT10_ENKUlT_T0_E_clISt17integral_constantIbLb1EES1U_EEDaS1P_S1Q_EUlS1P_E_NS1_11comp_targetILNS1_3genE0ELNS1_11target_archE4294967295ELNS1_3gpuE0ELNS1_3repE0EEENS1_30default_config_static_selectorELNS0_4arch9wavefront6targetE1EEEvS12_: ; @_ZN7rocprim17ROCPRIM_400000_NS6detail17trampoline_kernelINS0_13select_configILj256ELj13ELNS0_17block_load_methodE3ELS4_3ELS4_3ELNS0_20block_scan_algorithmE0ELj4294967295EEENS1_25partition_config_selectorILNS1_17partition_subalgoE4EjNS0_10empty_typeEbEEZZNS1_14partition_implILS8_4ELb0ES6_15HIP_vector_typeIjLj2EENS0_17counting_iteratorIjlEEPS9_SG_NS0_5tupleIJPjSI_NS0_16reverse_iteratorISI_EEEEENSH_IJSG_SG_SG_EEES9_SI_JZNS1_25segmented_radix_sort_implINS0_14default_configELb1EPKhPhPKlPlN2at6native12_GLOBAL__N_18offset_tEEE10hipError_tPvRmT1_PNSt15iterator_traitsIS12_E10value_typeET2_T3_PNS13_IS18_E10value_typeET4_jRbjT5_S1E_jjP12ihipStream_tbEUljE_ZNSN_ISO_Lb1ESQ_SR_ST_SU_SY_EESZ_S10_S11_S12_S16_S17_S18_S1B_S1C_jS1D_jS1E_S1E_jjS1G_bEUljE0_EEESZ_S10_S11_S18_S1C_S1E_T6_T7_T9_mT8_S1G_bDpT10_ENKUlT_T0_E_clISt17integral_constantIbLb1EES1U_EEDaS1P_S1Q_EUlS1P_E_NS1_11comp_targetILNS1_3genE0ELNS1_11target_archE4294967295ELNS1_3gpuE0ELNS1_3repE0EEENS1_30default_config_static_selectorELNS0_4arch9wavefront6targetE1EEEvS12_
; %bb.0:
	.section	.rodata,"a",@progbits
	.p2align	6, 0x0
	.amdhsa_kernel _ZN7rocprim17ROCPRIM_400000_NS6detail17trampoline_kernelINS0_13select_configILj256ELj13ELNS0_17block_load_methodE3ELS4_3ELS4_3ELNS0_20block_scan_algorithmE0ELj4294967295EEENS1_25partition_config_selectorILNS1_17partition_subalgoE4EjNS0_10empty_typeEbEEZZNS1_14partition_implILS8_4ELb0ES6_15HIP_vector_typeIjLj2EENS0_17counting_iteratorIjlEEPS9_SG_NS0_5tupleIJPjSI_NS0_16reverse_iteratorISI_EEEEENSH_IJSG_SG_SG_EEES9_SI_JZNS1_25segmented_radix_sort_implINS0_14default_configELb1EPKhPhPKlPlN2at6native12_GLOBAL__N_18offset_tEEE10hipError_tPvRmT1_PNSt15iterator_traitsIS12_E10value_typeET2_T3_PNS13_IS18_E10value_typeET4_jRbjT5_S1E_jjP12ihipStream_tbEUljE_ZNSN_ISO_Lb1ESQ_SR_ST_SU_SY_EESZ_S10_S11_S12_S16_S17_S18_S1B_S1C_jS1D_jS1E_S1E_jjS1G_bEUljE0_EEESZ_S10_S11_S18_S1C_S1E_T6_T7_T9_mT8_S1G_bDpT10_ENKUlT_T0_E_clISt17integral_constantIbLb1EES1U_EEDaS1P_S1Q_EUlS1P_E_NS1_11comp_targetILNS1_3genE0ELNS1_11target_archE4294967295ELNS1_3gpuE0ELNS1_3repE0EEENS1_30default_config_static_selectorELNS0_4arch9wavefront6targetE1EEEvS12_
		.amdhsa_group_segment_fixed_size 0
		.amdhsa_private_segment_fixed_size 0
		.amdhsa_kernarg_size 184
		.amdhsa_user_sgpr_count 6
		.amdhsa_user_sgpr_private_segment_buffer 1
		.amdhsa_user_sgpr_dispatch_ptr 0
		.amdhsa_user_sgpr_queue_ptr 0
		.amdhsa_user_sgpr_kernarg_segment_ptr 1
		.amdhsa_user_sgpr_dispatch_id 0
		.amdhsa_user_sgpr_flat_scratch_init 0
		.amdhsa_user_sgpr_kernarg_preload_length 0
		.amdhsa_user_sgpr_kernarg_preload_offset 0
		.amdhsa_user_sgpr_private_segment_size 0
		.amdhsa_uses_dynamic_stack 0
		.amdhsa_system_sgpr_private_segment_wavefront_offset 0
		.amdhsa_system_sgpr_workgroup_id_x 1
		.amdhsa_system_sgpr_workgroup_id_y 0
		.amdhsa_system_sgpr_workgroup_id_z 0
		.amdhsa_system_sgpr_workgroup_info 0
		.amdhsa_system_vgpr_workitem_id 0
		.amdhsa_next_free_vgpr 1
		.amdhsa_next_free_sgpr 0
		.amdhsa_accum_offset 4
		.amdhsa_reserve_vcc 0
		.amdhsa_reserve_flat_scratch 0
		.amdhsa_float_round_mode_32 0
		.amdhsa_float_round_mode_16_64 0
		.amdhsa_float_denorm_mode_32 3
		.amdhsa_float_denorm_mode_16_64 3
		.amdhsa_dx10_clamp 1
		.amdhsa_ieee_mode 1
		.amdhsa_fp16_overflow 0
		.amdhsa_tg_split 0
		.amdhsa_exception_fp_ieee_invalid_op 0
		.amdhsa_exception_fp_denorm_src 0
		.amdhsa_exception_fp_ieee_div_zero 0
		.amdhsa_exception_fp_ieee_overflow 0
		.amdhsa_exception_fp_ieee_underflow 0
		.amdhsa_exception_fp_ieee_inexact 0
		.amdhsa_exception_int_div_zero 0
	.end_amdhsa_kernel
	.section	.text._ZN7rocprim17ROCPRIM_400000_NS6detail17trampoline_kernelINS0_13select_configILj256ELj13ELNS0_17block_load_methodE3ELS4_3ELS4_3ELNS0_20block_scan_algorithmE0ELj4294967295EEENS1_25partition_config_selectorILNS1_17partition_subalgoE4EjNS0_10empty_typeEbEEZZNS1_14partition_implILS8_4ELb0ES6_15HIP_vector_typeIjLj2EENS0_17counting_iteratorIjlEEPS9_SG_NS0_5tupleIJPjSI_NS0_16reverse_iteratorISI_EEEEENSH_IJSG_SG_SG_EEES9_SI_JZNS1_25segmented_radix_sort_implINS0_14default_configELb1EPKhPhPKlPlN2at6native12_GLOBAL__N_18offset_tEEE10hipError_tPvRmT1_PNSt15iterator_traitsIS12_E10value_typeET2_T3_PNS13_IS18_E10value_typeET4_jRbjT5_S1E_jjP12ihipStream_tbEUljE_ZNSN_ISO_Lb1ESQ_SR_ST_SU_SY_EESZ_S10_S11_S12_S16_S17_S18_S1B_S1C_jS1D_jS1E_S1E_jjS1G_bEUljE0_EEESZ_S10_S11_S18_S1C_S1E_T6_T7_T9_mT8_S1G_bDpT10_ENKUlT_T0_E_clISt17integral_constantIbLb1EES1U_EEDaS1P_S1Q_EUlS1P_E_NS1_11comp_targetILNS1_3genE0ELNS1_11target_archE4294967295ELNS1_3gpuE0ELNS1_3repE0EEENS1_30default_config_static_selectorELNS0_4arch9wavefront6targetE1EEEvS12_,"axG",@progbits,_ZN7rocprim17ROCPRIM_400000_NS6detail17trampoline_kernelINS0_13select_configILj256ELj13ELNS0_17block_load_methodE3ELS4_3ELS4_3ELNS0_20block_scan_algorithmE0ELj4294967295EEENS1_25partition_config_selectorILNS1_17partition_subalgoE4EjNS0_10empty_typeEbEEZZNS1_14partition_implILS8_4ELb0ES6_15HIP_vector_typeIjLj2EENS0_17counting_iteratorIjlEEPS9_SG_NS0_5tupleIJPjSI_NS0_16reverse_iteratorISI_EEEEENSH_IJSG_SG_SG_EEES9_SI_JZNS1_25segmented_radix_sort_implINS0_14default_configELb1EPKhPhPKlPlN2at6native12_GLOBAL__N_18offset_tEEE10hipError_tPvRmT1_PNSt15iterator_traitsIS12_E10value_typeET2_T3_PNS13_IS18_E10value_typeET4_jRbjT5_S1E_jjP12ihipStream_tbEUljE_ZNSN_ISO_Lb1ESQ_SR_ST_SU_SY_EESZ_S10_S11_S12_S16_S17_S18_S1B_S1C_jS1D_jS1E_S1E_jjS1G_bEUljE0_EEESZ_S10_S11_S18_S1C_S1E_T6_T7_T9_mT8_S1G_bDpT10_ENKUlT_T0_E_clISt17integral_constantIbLb1EES1U_EEDaS1P_S1Q_EUlS1P_E_NS1_11comp_targetILNS1_3genE0ELNS1_11target_archE4294967295ELNS1_3gpuE0ELNS1_3repE0EEENS1_30default_config_static_selectorELNS0_4arch9wavefront6targetE1EEEvS12_,comdat
.Lfunc_end21:
	.size	_ZN7rocprim17ROCPRIM_400000_NS6detail17trampoline_kernelINS0_13select_configILj256ELj13ELNS0_17block_load_methodE3ELS4_3ELS4_3ELNS0_20block_scan_algorithmE0ELj4294967295EEENS1_25partition_config_selectorILNS1_17partition_subalgoE4EjNS0_10empty_typeEbEEZZNS1_14partition_implILS8_4ELb0ES6_15HIP_vector_typeIjLj2EENS0_17counting_iteratorIjlEEPS9_SG_NS0_5tupleIJPjSI_NS0_16reverse_iteratorISI_EEEEENSH_IJSG_SG_SG_EEES9_SI_JZNS1_25segmented_radix_sort_implINS0_14default_configELb1EPKhPhPKlPlN2at6native12_GLOBAL__N_18offset_tEEE10hipError_tPvRmT1_PNSt15iterator_traitsIS12_E10value_typeET2_T3_PNS13_IS18_E10value_typeET4_jRbjT5_S1E_jjP12ihipStream_tbEUljE_ZNSN_ISO_Lb1ESQ_SR_ST_SU_SY_EESZ_S10_S11_S12_S16_S17_S18_S1B_S1C_jS1D_jS1E_S1E_jjS1G_bEUljE0_EEESZ_S10_S11_S18_S1C_S1E_T6_T7_T9_mT8_S1G_bDpT10_ENKUlT_T0_E_clISt17integral_constantIbLb1EES1U_EEDaS1P_S1Q_EUlS1P_E_NS1_11comp_targetILNS1_3genE0ELNS1_11target_archE4294967295ELNS1_3gpuE0ELNS1_3repE0EEENS1_30default_config_static_selectorELNS0_4arch9wavefront6targetE1EEEvS12_, .Lfunc_end21-_ZN7rocprim17ROCPRIM_400000_NS6detail17trampoline_kernelINS0_13select_configILj256ELj13ELNS0_17block_load_methodE3ELS4_3ELS4_3ELNS0_20block_scan_algorithmE0ELj4294967295EEENS1_25partition_config_selectorILNS1_17partition_subalgoE4EjNS0_10empty_typeEbEEZZNS1_14partition_implILS8_4ELb0ES6_15HIP_vector_typeIjLj2EENS0_17counting_iteratorIjlEEPS9_SG_NS0_5tupleIJPjSI_NS0_16reverse_iteratorISI_EEEEENSH_IJSG_SG_SG_EEES9_SI_JZNS1_25segmented_radix_sort_implINS0_14default_configELb1EPKhPhPKlPlN2at6native12_GLOBAL__N_18offset_tEEE10hipError_tPvRmT1_PNSt15iterator_traitsIS12_E10value_typeET2_T3_PNS13_IS18_E10value_typeET4_jRbjT5_S1E_jjP12ihipStream_tbEUljE_ZNSN_ISO_Lb1ESQ_SR_ST_SU_SY_EESZ_S10_S11_S12_S16_S17_S18_S1B_S1C_jS1D_jS1E_S1E_jjS1G_bEUljE0_EEESZ_S10_S11_S18_S1C_S1E_T6_T7_T9_mT8_S1G_bDpT10_ENKUlT_T0_E_clISt17integral_constantIbLb1EES1U_EEDaS1P_S1Q_EUlS1P_E_NS1_11comp_targetILNS1_3genE0ELNS1_11target_archE4294967295ELNS1_3gpuE0ELNS1_3repE0EEENS1_30default_config_static_selectorELNS0_4arch9wavefront6targetE1EEEvS12_
                                        ; -- End function
	.section	.AMDGPU.csdata,"",@progbits
; Kernel info:
; codeLenInByte = 0
; NumSgprs: 4
; NumVgprs: 0
; NumAgprs: 0
; TotalNumVgprs: 0
; ScratchSize: 0
; MemoryBound: 0
; FloatMode: 240
; IeeeMode: 1
; LDSByteSize: 0 bytes/workgroup (compile time only)
; SGPRBlocks: 0
; VGPRBlocks: 0
; NumSGPRsForWavesPerEU: 4
; NumVGPRsForWavesPerEU: 1
; AccumOffset: 4
; Occupancy: 8
; WaveLimiterHint : 0
; COMPUTE_PGM_RSRC2:SCRATCH_EN: 0
; COMPUTE_PGM_RSRC2:USER_SGPR: 6
; COMPUTE_PGM_RSRC2:TRAP_HANDLER: 0
; COMPUTE_PGM_RSRC2:TGID_X_EN: 1
; COMPUTE_PGM_RSRC2:TGID_Y_EN: 0
; COMPUTE_PGM_RSRC2:TGID_Z_EN: 0
; COMPUTE_PGM_RSRC2:TIDIG_COMP_CNT: 0
; COMPUTE_PGM_RSRC3_GFX90A:ACCUM_OFFSET: 0
; COMPUTE_PGM_RSRC3_GFX90A:TG_SPLIT: 0
	.section	.text._ZN7rocprim17ROCPRIM_400000_NS6detail17trampoline_kernelINS0_13select_configILj256ELj13ELNS0_17block_load_methodE3ELS4_3ELS4_3ELNS0_20block_scan_algorithmE0ELj4294967295EEENS1_25partition_config_selectorILNS1_17partition_subalgoE4EjNS0_10empty_typeEbEEZZNS1_14partition_implILS8_4ELb0ES6_15HIP_vector_typeIjLj2EENS0_17counting_iteratorIjlEEPS9_SG_NS0_5tupleIJPjSI_NS0_16reverse_iteratorISI_EEEEENSH_IJSG_SG_SG_EEES9_SI_JZNS1_25segmented_radix_sort_implINS0_14default_configELb1EPKhPhPKlPlN2at6native12_GLOBAL__N_18offset_tEEE10hipError_tPvRmT1_PNSt15iterator_traitsIS12_E10value_typeET2_T3_PNS13_IS18_E10value_typeET4_jRbjT5_S1E_jjP12ihipStream_tbEUljE_ZNSN_ISO_Lb1ESQ_SR_ST_SU_SY_EESZ_S10_S11_S12_S16_S17_S18_S1B_S1C_jS1D_jS1E_S1E_jjS1G_bEUljE0_EEESZ_S10_S11_S18_S1C_S1E_T6_T7_T9_mT8_S1G_bDpT10_ENKUlT_T0_E_clISt17integral_constantIbLb1EES1U_EEDaS1P_S1Q_EUlS1P_E_NS1_11comp_targetILNS1_3genE5ELNS1_11target_archE942ELNS1_3gpuE9ELNS1_3repE0EEENS1_30default_config_static_selectorELNS0_4arch9wavefront6targetE1EEEvS12_,"axG",@progbits,_ZN7rocprim17ROCPRIM_400000_NS6detail17trampoline_kernelINS0_13select_configILj256ELj13ELNS0_17block_load_methodE3ELS4_3ELS4_3ELNS0_20block_scan_algorithmE0ELj4294967295EEENS1_25partition_config_selectorILNS1_17partition_subalgoE4EjNS0_10empty_typeEbEEZZNS1_14partition_implILS8_4ELb0ES6_15HIP_vector_typeIjLj2EENS0_17counting_iteratorIjlEEPS9_SG_NS0_5tupleIJPjSI_NS0_16reverse_iteratorISI_EEEEENSH_IJSG_SG_SG_EEES9_SI_JZNS1_25segmented_radix_sort_implINS0_14default_configELb1EPKhPhPKlPlN2at6native12_GLOBAL__N_18offset_tEEE10hipError_tPvRmT1_PNSt15iterator_traitsIS12_E10value_typeET2_T3_PNS13_IS18_E10value_typeET4_jRbjT5_S1E_jjP12ihipStream_tbEUljE_ZNSN_ISO_Lb1ESQ_SR_ST_SU_SY_EESZ_S10_S11_S12_S16_S17_S18_S1B_S1C_jS1D_jS1E_S1E_jjS1G_bEUljE0_EEESZ_S10_S11_S18_S1C_S1E_T6_T7_T9_mT8_S1G_bDpT10_ENKUlT_T0_E_clISt17integral_constantIbLb1EES1U_EEDaS1P_S1Q_EUlS1P_E_NS1_11comp_targetILNS1_3genE5ELNS1_11target_archE942ELNS1_3gpuE9ELNS1_3repE0EEENS1_30default_config_static_selectorELNS0_4arch9wavefront6targetE1EEEvS12_,comdat
	.globl	_ZN7rocprim17ROCPRIM_400000_NS6detail17trampoline_kernelINS0_13select_configILj256ELj13ELNS0_17block_load_methodE3ELS4_3ELS4_3ELNS0_20block_scan_algorithmE0ELj4294967295EEENS1_25partition_config_selectorILNS1_17partition_subalgoE4EjNS0_10empty_typeEbEEZZNS1_14partition_implILS8_4ELb0ES6_15HIP_vector_typeIjLj2EENS0_17counting_iteratorIjlEEPS9_SG_NS0_5tupleIJPjSI_NS0_16reverse_iteratorISI_EEEEENSH_IJSG_SG_SG_EEES9_SI_JZNS1_25segmented_radix_sort_implINS0_14default_configELb1EPKhPhPKlPlN2at6native12_GLOBAL__N_18offset_tEEE10hipError_tPvRmT1_PNSt15iterator_traitsIS12_E10value_typeET2_T3_PNS13_IS18_E10value_typeET4_jRbjT5_S1E_jjP12ihipStream_tbEUljE_ZNSN_ISO_Lb1ESQ_SR_ST_SU_SY_EESZ_S10_S11_S12_S16_S17_S18_S1B_S1C_jS1D_jS1E_S1E_jjS1G_bEUljE0_EEESZ_S10_S11_S18_S1C_S1E_T6_T7_T9_mT8_S1G_bDpT10_ENKUlT_T0_E_clISt17integral_constantIbLb1EES1U_EEDaS1P_S1Q_EUlS1P_E_NS1_11comp_targetILNS1_3genE5ELNS1_11target_archE942ELNS1_3gpuE9ELNS1_3repE0EEENS1_30default_config_static_selectorELNS0_4arch9wavefront6targetE1EEEvS12_ ; -- Begin function _ZN7rocprim17ROCPRIM_400000_NS6detail17trampoline_kernelINS0_13select_configILj256ELj13ELNS0_17block_load_methodE3ELS4_3ELS4_3ELNS0_20block_scan_algorithmE0ELj4294967295EEENS1_25partition_config_selectorILNS1_17partition_subalgoE4EjNS0_10empty_typeEbEEZZNS1_14partition_implILS8_4ELb0ES6_15HIP_vector_typeIjLj2EENS0_17counting_iteratorIjlEEPS9_SG_NS0_5tupleIJPjSI_NS0_16reverse_iteratorISI_EEEEENSH_IJSG_SG_SG_EEES9_SI_JZNS1_25segmented_radix_sort_implINS0_14default_configELb1EPKhPhPKlPlN2at6native12_GLOBAL__N_18offset_tEEE10hipError_tPvRmT1_PNSt15iterator_traitsIS12_E10value_typeET2_T3_PNS13_IS18_E10value_typeET4_jRbjT5_S1E_jjP12ihipStream_tbEUljE_ZNSN_ISO_Lb1ESQ_SR_ST_SU_SY_EESZ_S10_S11_S12_S16_S17_S18_S1B_S1C_jS1D_jS1E_S1E_jjS1G_bEUljE0_EEESZ_S10_S11_S18_S1C_S1E_T6_T7_T9_mT8_S1G_bDpT10_ENKUlT_T0_E_clISt17integral_constantIbLb1EES1U_EEDaS1P_S1Q_EUlS1P_E_NS1_11comp_targetILNS1_3genE5ELNS1_11target_archE942ELNS1_3gpuE9ELNS1_3repE0EEENS1_30default_config_static_selectorELNS0_4arch9wavefront6targetE1EEEvS12_
	.p2align	8
	.type	_ZN7rocprim17ROCPRIM_400000_NS6detail17trampoline_kernelINS0_13select_configILj256ELj13ELNS0_17block_load_methodE3ELS4_3ELS4_3ELNS0_20block_scan_algorithmE0ELj4294967295EEENS1_25partition_config_selectorILNS1_17partition_subalgoE4EjNS0_10empty_typeEbEEZZNS1_14partition_implILS8_4ELb0ES6_15HIP_vector_typeIjLj2EENS0_17counting_iteratorIjlEEPS9_SG_NS0_5tupleIJPjSI_NS0_16reverse_iteratorISI_EEEEENSH_IJSG_SG_SG_EEES9_SI_JZNS1_25segmented_radix_sort_implINS0_14default_configELb1EPKhPhPKlPlN2at6native12_GLOBAL__N_18offset_tEEE10hipError_tPvRmT1_PNSt15iterator_traitsIS12_E10value_typeET2_T3_PNS13_IS18_E10value_typeET4_jRbjT5_S1E_jjP12ihipStream_tbEUljE_ZNSN_ISO_Lb1ESQ_SR_ST_SU_SY_EESZ_S10_S11_S12_S16_S17_S18_S1B_S1C_jS1D_jS1E_S1E_jjS1G_bEUljE0_EEESZ_S10_S11_S18_S1C_S1E_T6_T7_T9_mT8_S1G_bDpT10_ENKUlT_T0_E_clISt17integral_constantIbLb1EES1U_EEDaS1P_S1Q_EUlS1P_E_NS1_11comp_targetILNS1_3genE5ELNS1_11target_archE942ELNS1_3gpuE9ELNS1_3repE0EEENS1_30default_config_static_selectorELNS0_4arch9wavefront6targetE1EEEvS12_,@function
_ZN7rocprim17ROCPRIM_400000_NS6detail17trampoline_kernelINS0_13select_configILj256ELj13ELNS0_17block_load_methodE3ELS4_3ELS4_3ELNS0_20block_scan_algorithmE0ELj4294967295EEENS1_25partition_config_selectorILNS1_17partition_subalgoE4EjNS0_10empty_typeEbEEZZNS1_14partition_implILS8_4ELb0ES6_15HIP_vector_typeIjLj2EENS0_17counting_iteratorIjlEEPS9_SG_NS0_5tupleIJPjSI_NS0_16reverse_iteratorISI_EEEEENSH_IJSG_SG_SG_EEES9_SI_JZNS1_25segmented_radix_sort_implINS0_14default_configELb1EPKhPhPKlPlN2at6native12_GLOBAL__N_18offset_tEEE10hipError_tPvRmT1_PNSt15iterator_traitsIS12_E10value_typeET2_T3_PNS13_IS18_E10value_typeET4_jRbjT5_S1E_jjP12ihipStream_tbEUljE_ZNSN_ISO_Lb1ESQ_SR_ST_SU_SY_EESZ_S10_S11_S12_S16_S17_S18_S1B_S1C_jS1D_jS1E_S1E_jjS1G_bEUljE0_EEESZ_S10_S11_S18_S1C_S1E_T6_T7_T9_mT8_S1G_bDpT10_ENKUlT_T0_E_clISt17integral_constantIbLb1EES1U_EEDaS1P_S1Q_EUlS1P_E_NS1_11comp_targetILNS1_3genE5ELNS1_11target_archE942ELNS1_3gpuE9ELNS1_3repE0EEENS1_30default_config_static_selectorELNS0_4arch9wavefront6targetE1EEEvS12_: ; @_ZN7rocprim17ROCPRIM_400000_NS6detail17trampoline_kernelINS0_13select_configILj256ELj13ELNS0_17block_load_methodE3ELS4_3ELS4_3ELNS0_20block_scan_algorithmE0ELj4294967295EEENS1_25partition_config_selectorILNS1_17partition_subalgoE4EjNS0_10empty_typeEbEEZZNS1_14partition_implILS8_4ELb0ES6_15HIP_vector_typeIjLj2EENS0_17counting_iteratorIjlEEPS9_SG_NS0_5tupleIJPjSI_NS0_16reverse_iteratorISI_EEEEENSH_IJSG_SG_SG_EEES9_SI_JZNS1_25segmented_radix_sort_implINS0_14default_configELb1EPKhPhPKlPlN2at6native12_GLOBAL__N_18offset_tEEE10hipError_tPvRmT1_PNSt15iterator_traitsIS12_E10value_typeET2_T3_PNS13_IS18_E10value_typeET4_jRbjT5_S1E_jjP12ihipStream_tbEUljE_ZNSN_ISO_Lb1ESQ_SR_ST_SU_SY_EESZ_S10_S11_S12_S16_S17_S18_S1B_S1C_jS1D_jS1E_S1E_jjS1G_bEUljE0_EEESZ_S10_S11_S18_S1C_S1E_T6_T7_T9_mT8_S1G_bDpT10_ENKUlT_T0_E_clISt17integral_constantIbLb1EES1U_EEDaS1P_S1Q_EUlS1P_E_NS1_11comp_targetILNS1_3genE5ELNS1_11target_archE942ELNS1_3gpuE9ELNS1_3repE0EEENS1_30default_config_static_selectorELNS0_4arch9wavefront6targetE1EEEvS12_
; %bb.0:
	.section	.rodata,"a",@progbits
	.p2align	6, 0x0
	.amdhsa_kernel _ZN7rocprim17ROCPRIM_400000_NS6detail17trampoline_kernelINS0_13select_configILj256ELj13ELNS0_17block_load_methodE3ELS4_3ELS4_3ELNS0_20block_scan_algorithmE0ELj4294967295EEENS1_25partition_config_selectorILNS1_17partition_subalgoE4EjNS0_10empty_typeEbEEZZNS1_14partition_implILS8_4ELb0ES6_15HIP_vector_typeIjLj2EENS0_17counting_iteratorIjlEEPS9_SG_NS0_5tupleIJPjSI_NS0_16reverse_iteratorISI_EEEEENSH_IJSG_SG_SG_EEES9_SI_JZNS1_25segmented_radix_sort_implINS0_14default_configELb1EPKhPhPKlPlN2at6native12_GLOBAL__N_18offset_tEEE10hipError_tPvRmT1_PNSt15iterator_traitsIS12_E10value_typeET2_T3_PNS13_IS18_E10value_typeET4_jRbjT5_S1E_jjP12ihipStream_tbEUljE_ZNSN_ISO_Lb1ESQ_SR_ST_SU_SY_EESZ_S10_S11_S12_S16_S17_S18_S1B_S1C_jS1D_jS1E_S1E_jjS1G_bEUljE0_EEESZ_S10_S11_S18_S1C_S1E_T6_T7_T9_mT8_S1G_bDpT10_ENKUlT_T0_E_clISt17integral_constantIbLb1EES1U_EEDaS1P_S1Q_EUlS1P_E_NS1_11comp_targetILNS1_3genE5ELNS1_11target_archE942ELNS1_3gpuE9ELNS1_3repE0EEENS1_30default_config_static_selectorELNS0_4arch9wavefront6targetE1EEEvS12_
		.amdhsa_group_segment_fixed_size 0
		.amdhsa_private_segment_fixed_size 0
		.amdhsa_kernarg_size 184
		.amdhsa_user_sgpr_count 6
		.amdhsa_user_sgpr_private_segment_buffer 1
		.amdhsa_user_sgpr_dispatch_ptr 0
		.amdhsa_user_sgpr_queue_ptr 0
		.amdhsa_user_sgpr_kernarg_segment_ptr 1
		.amdhsa_user_sgpr_dispatch_id 0
		.amdhsa_user_sgpr_flat_scratch_init 0
		.amdhsa_user_sgpr_kernarg_preload_length 0
		.amdhsa_user_sgpr_kernarg_preload_offset 0
		.amdhsa_user_sgpr_private_segment_size 0
		.amdhsa_uses_dynamic_stack 0
		.amdhsa_system_sgpr_private_segment_wavefront_offset 0
		.amdhsa_system_sgpr_workgroup_id_x 1
		.amdhsa_system_sgpr_workgroup_id_y 0
		.amdhsa_system_sgpr_workgroup_id_z 0
		.amdhsa_system_sgpr_workgroup_info 0
		.amdhsa_system_vgpr_workitem_id 0
		.amdhsa_next_free_vgpr 1
		.amdhsa_next_free_sgpr 0
		.amdhsa_accum_offset 4
		.amdhsa_reserve_vcc 0
		.amdhsa_reserve_flat_scratch 0
		.amdhsa_float_round_mode_32 0
		.amdhsa_float_round_mode_16_64 0
		.amdhsa_float_denorm_mode_32 3
		.amdhsa_float_denorm_mode_16_64 3
		.amdhsa_dx10_clamp 1
		.amdhsa_ieee_mode 1
		.amdhsa_fp16_overflow 0
		.amdhsa_tg_split 0
		.amdhsa_exception_fp_ieee_invalid_op 0
		.amdhsa_exception_fp_denorm_src 0
		.amdhsa_exception_fp_ieee_div_zero 0
		.amdhsa_exception_fp_ieee_overflow 0
		.amdhsa_exception_fp_ieee_underflow 0
		.amdhsa_exception_fp_ieee_inexact 0
		.amdhsa_exception_int_div_zero 0
	.end_amdhsa_kernel
	.section	.text._ZN7rocprim17ROCPRIM_400000_NS6detail17trampoline_kernelINS0_13select_configILj256ELj13ELNS0_17block_load_methodE3ELS4_3ELS4_3ELNS0_20block_scan_algorithmE0ELj4294967295EEENS1_25partition_config_selectorILNS1_17partition_subalgoE4EjNS0_10empty_typeEbEEZZNS1_14partition_implILS8_4ELb0ES6_15HIP_vector_typeIjLj2EENS0_17counting_iteratorIjlEEPS9_SG_NS0_5tupleIJPjSI_NS0_16reverse_iteratorISI_EEEEENSH_IJSG_SG_SG_EEES9_SI_JZNS1_25segmented_radix_sort_implINS0_14default_configELb1EPKhPhPKlPlN2at6native12_GLOBAL__N_18offset_tEEE10hipError_tPvRmT1_PNSt15iterator_traitsIS12_E10value_typeET2_T3_PNS13_IS18_E10value_typeET4_jRbjT5_S1E_jjP12ihipStream_tbEUljE_ZNSN_ISO_Lb1ESQ_SR_ST_SU_SY_EESZ_S10_S11_S12_S16_S17_S18_S1B_S1C_jS1D_jS1E_S1E_jjS1G_bEUljE0_EEESZ_S10_S11_S18_S1C_S1E_T6_T7_T9_mT8_S1G_bDpT10_ENKUlT_T0_E_clISt17integral_constantIbLb1EES1U_EEDaS1P_S1Q_EUlS1P_E_NS1_11comp_targetILNS1_3genE5ELNS1_11target_archE942ELNS1_3gpuE9ELNS1_3repE0EEENS1_30default_config_static_selectorELNS0_4arch9wavefront6targetE1EEEvS12_,"axG",@progbits,_ZN7rocprim17ROCPRIM_400000_NS6detail17trampoline_kernelINS0_13select_configILj256ELj13ELNS0_17block_load_methodE3ELS4_3ELS4_3ELNS0_20block_scan_algorithmE0ELj4294967295EEENS1_25partition_config_selectorILNS1_17partition_subalgoE4EjNS0_10empty_typeEbEEZZNS1_14partition_implILS8_4ELb0ES6_15HIP_vector_typeIjLj2EENS0_17counting_iteratorIjlEEPS9_SG_NS0_5tupleIJPjSI_NS0_16reverse_iteratorISI_EEEEENSH_IJSG_SG_SG_EEES9_SI_JZNS1_25segmented_radix_sort_implINS0_14default_configELb1EPKhPhPKlPlN2at6native12_GLOBAL__N_18offset_tEEE10hipError_tPvRmT1_PNSt15iterator_traitsIS12_E10value_typeET2_T3_PNS13_IS18_E10value_typeET4_jRbjT5_S1E_jjP12ihipStream_tbEUljE_ZNSN_ISO_Lb1ESQ_SR_ST_SU_SY_EESZ_S10_S11_S12_S16_S17_S18_S1B_S1C_jS1D_jS1E_S1E_jjS1G_bEUljE0_EEESZ_S10_S11_S18_S1C_S1E_T6_T7_T9_mT8_S1G_bDpT10_ENKUlT_T0_E_clISt17integral_constantIbLb1EES1U_EEDaS1P_S1Q_EUlS1P_E_NS1_11comp_targetILNS1_3genE5ELNS1_11target_archE942ELNS1_3gpuE9ELNS1_3repE0EEENS1_30default_config_static_selectorELNS0_4arch9wavefront6targetE1EEEvS12_,comdat
.Lfunc_end22:
	.size	_ZN7rocprim17ROCPRIM_400000_NS6detail17trampoline_kernelINS0_13select_configILj256ELj13ELNS0_17block_load_methodE3ELS4_3ELS4_3ELNS0_20block_scan_algorithmE0ELj4294967295EEENS1_25partition_config_selectorILNS1_17partition_subalgoE4EjNS0_10empty_typeEbEEZZNS1_14partition_implILS8_4ELb0ES6_15HIP_vector_typeIjLj2EENS0_17counting_iteratorIjlEEPS9_SG_NS0_5tupleIJPjSI_NS0_16reverse_iteratorISI_EEEEENSH_IJSG_SG_SG_EEES9_SI_JZNS1_25segmented_radix_sort_implINS0_14default_configELb1EPKhPhPKlPlN2at6native12_GLOBAL__N_18offset_tEEE10hipError_tPvRmT1_PNSt15iterator_traitsIS12_E10value_typeET2_T3_PNS13_IS18_E10value_typeET4_jRbjT5_S1E_jjP12ihipStream_tbEUljE_ZNSN_ISO_Lb1ESQ_SR_ST_SU_SY_EESZ_S10_S11_S12_S16_S17_S18_S1B_S1C_jS1D_jS1E_S1E_jjS1G_bEUljE0_EEESZ_S10_S11_S18_S1C_S1E_T6_T7_T9_mT8_S1G_bDpT10_ENKUlT_T0_E_clISt17integral_constantIbLb1EES1U_EEDaS1P_S1Q_EUlS1P_E_NS1_11comp_targetILNS1_3genE5ELNS1_11target_archE942ELNS1_3gpuE9ELNS1_3repE0EEENS1_30default_config_static_selectorELNS0_4arch9wavefront6targetE1EEEvS12_, .Lfunc_end22-_ZN7rocprim17ROCPRIM_400000_NS6detail17trampoline_kernelINS0_13select_configILj256ELj13ELNS0_17block_load_methodE3ELS4_3ELS4_3ELNS0_20block_scan_algorithmE0ELj4294967295EEENS1_25partition_config_selectorILNS1_17partition_subalgoE4EjNS0_10empty_typeEbEEZZNS1_14partition_implILS8_4ELb0ES6_15HIP_vector_typeIjLj2EENS0_17counting_iteratorIjlEEPS9_SG_NS0_5tupleIJPjSI_NS0_16reverse_iteratorISI_EEEEENSH_IJSG_SG_SG_EEES9_SI_JZNS1_25segmented_radix_sort_implINS0_14default_configELb1EPKhPhPKlPlN2at6native12_GLOBAL__N_18offset_tEEE10hipError_tPvRmT1_PNSt15iterator_traitsIS12_E10value_typeET2_T3_PNS13_IS18_E10value_typeET4_jRbjT5_S1E_jjP12ihipStream_tbEUljE_ZNSN_ISO_Lb1ESQ_SR_ST_SU_SY_EESZ_S10_S11_S12_S16_S17_S18_S1B_S1C_jS1D_jS1E_S1E_jjS1G_bEUljE0_EEESZ_S10_S11_S18_S1C_S1E_T6_T7_T9_mT8_S1G_bDpT10_ENKUlT_T0_E_clISt17integral_constantIbLb1EES1U_EEDaS1P_S1Q_EUlS1P_E_NS1_11comp_targetILNS1_3genE5ELNS1_11target_archE942ELNS1_3gpuE9ELNS1_3repE0EEENS1_30default_config_static_selectorELNS0_4arch9wavefront6targetE1EEEvS12_
                                        ; -- End function
	.section	.AMDGPU.csdata,"",@progbits
; Kernel info:
; codeLenInByte = 0
; NumSgprs: 4
; NumVgprs: 0
; NumAgprs: 0
; TotalNumVgprs: 0
; ScratchSize: 0
; MemoryBound: 0
; FloatMode: 240
; IeeeMode: 1
; LDSByteSize: 0 bytes/workgroup (compile time only)
; SGPRBlocks: 0
; VGPRBlocks: 0
; NumSGPRsForWavesPerEU: 4
; NumVGPRsForWavesPerEU: 1
; AccumOffset: 4
; Occupancy: 8
; WaveLimiterHint : 0
; COMPUTE_PGM_RSRC2:SCRATCH_EN: 0
; COMPUTE_PGM_RSRC2:USER_SGPR: 6
; COMPUTE_PGM_RSRC2:TRAP_HANDLER: 0
; COMPUTE_PGM_RSRC2:TGID_X_EN: 1
; COMPUTE_PGM_RSRC2:TGID_Y_EN: 0
; COMPUTE_PGM_RSRC2:TGID_Z_EN: 0
; COMPUTE_PGM_RSRC2:TIDIG_COMP_CNT: 0
; COMPUTE_PGM_RSRC3_GFX90A:ACCUM_OFFSET: 0
; COMPUTE_PGM_RSRC3_GFX90A:TG_SPLIT: 0
	.section	.text._ZN7rocprim17ROCPRIM_400000_NS6detail17trampoline_kernelINS0_13select_configILj256ELj13ELNS0_17block_load_methodE3ELS4_3ELS4_3ELNS0_20block_scan_algorithmE0ELj4294967295EEENS1_25partition_config_selectorILNS1_17partition_subalgoE4EjNS0_10empty_typeEbEEZZNS1_14partition_implILS8_4ELb0ES6_15HIP_vector_typeIjLj2EENS0_17counting_iteratorIjlEEPS9_SG_NS0_5tupleIJPjSI_NS0_16reverse_iteratorISI_EEEEENSH_IJSG_SG_SG_EEES9_SI_JZNS1_25segmented_radix_sort_implINS0_14default_configELb1EPKhPhPKlPlN2at6native12_GLOBAL__N_18offset_tEEE10hipError_tPvRmT1_PNSt15iterator_traitsIS12_E10value_typeET2_T3_PNS13_IS18_E10value_typeET4_jRbjT5_S1E_jjP12ihipStream_tbEUljE_ZNSN_ISO_Lb1ESQ_SR_ST_SU_SY_EESZ_S10_S11_S12_S16_S17_S18_S1B_S1C_jS1D_jS1E_S1E_jjS1G_bEUljE0_EEESZ_S10_S11_S18_S1C_S1E_T6_T7_T9_mT8_S1G_bDpT10_ENKUlT_T0_E_clISt17integral_constantIbLb1EES1U_EEDaS1P_S1Q_EUlS1P_E_NS1_11comp_targetILNS1_3genE4ELNS1_11target_archE910ELNS1_3gpuE8ELNS1_3repE0EEENS1_30default_config_static_selectorELNS0_4arch9wavefront6targetE1EEEvS12_,"axG",@progbits,_ZN7rocprim17ROCPRIM_400000_NS6detail17trampoline_kernelINS0_13select_configILj256ELj13ELNS0_17block_load_methodE3ELS4_3ELS4_3ELNS0_20block_scan_algorithmE0ELj4294967295EEENS1_25partition_config_selectorILNS1_17partition_subalgoE4EjNS0_10empty_typeEbEEZZNS1_14partition_implILS8_4ELb0ES6_15HIP_vector_typeIjLj2EENS0_17counting_iteratorIjlEEPS9_SG_NS0_5tupleIJPjSI_NS0_16reverse_iteratorISI_EEEEENSH_IJSG_SG_SG_EEES9_SI_JZNS1_25segmented_radix_sort_implINS0_14default_configELb1EPKhPhPKlPlN2at6native12_GLOBAL__N_18offset_tEEE10hipError_tPvRmT1_PNSt15iterator_traitsIS12_E10value_typeET2_T3_PNS13_IS18_E10value_typeET4_jRbjT5_S1E_jjP12ihipStream_tbEUljE_ZNSN_ISO_Lb1ESQ_SR_ST_SU_SY_EESZ_S10_S11_S12_S16_S17_S18_S1B_S1C_jS1D_jS1E_S1E_jjS1G_bEUljE0_EEESZ_S10_S11_S18_S1C_S1E_T6_T7_T9_mT8_S1G_bDpT10_ENKUlT_T0_E_clISt17integral_constantIbLb1EES1U_EEDaS1P_S1Q_EUlS1P_E_NS1_11comp_targetILNS1_3genE4ELNS1_11target_archE910ELNS1_3gpuE8ELNS1_3repE0EEENS1_30default_config_static_selectorELNS0_4arch9wavefront6targetE1EEEvS12_,comdat
	.globl	_ZN7rocprim17ROCPRIM_400000_NS6detail17trampoline_kernelINS0_13select_configILj256ELj13ELNS0_17block_load_methodE3ELS4_3ELS4_3ELNS0_20block_scan_algorithmE0ELj4294967295EEENS1_25partition_config_selectorILNS1_17partition_subalgoE4EjNS0_10empty_typeEbEEZZNS1_14partition_implILS8_4ELb0ES6_15HIP_vector_typeIjLj2EENS0_17counting_iteratorIjlEEPS9_SG_NS0_5tupleIJPjSI_NS0_16reverse_iteratorISI_EEEEENSH_IJSG_SG_SG_EEES9_SI_JZNS1_25segmented_radix_sort_implINS0_14default_configELb1EPKhPhPKlPlN2at6native12_GLOBAL__N_18offset_tEEE10hipError_tPvRmT1_PNSt15iterator_traitsIS12_E10value_typeET2_T3_PNS13_IS18_E10value_typeET4_jRbjT5_S1E_jjP12ihipStream_tbEUljE_ZNSN_ISO_Lb1ESQ_SR_ST_SU_SY_EESZ_S10_S11_S12_S16_S17_S18_S1B_S1C_jS1D_jS1E_S1E_jjS1G_bEUljE0_EEESZ_S10_S11_S18_S1C_S1E_T6_T7_T9_mT8_S1G_bDpT10_ENKUlT_T0_E_clISt17integral_constantIbLb1EES1U_EEDaS1P_S1Q_EUlS1P_E_NS1_11comp_targetILNS1_3genE4ELNS1_11target_archE910ELNS1_3gpuE8ELNS1_3repE0EEENS1_30default_config_static_selectorELNS0_4arch9wavefront6targetE1EEEvS12_ ; -- Begin function _ZN7rocprim17ROCPRIM_400000_NS6detail17trampoline_kernelINS0_13select_configILj256ELj13ELNS0_17block_load_methodE3ELS4_3ELS4_3ELNS0_20block_scan_algorithmE0ELj4294967295EEENS1_25partition_config_selectorILNS1_17partition_subalgoE4EjNS0_10empty_typeEbEEZZNS1_14partition_implILS8_4ELb0ES6_15HIP_vector_typeIjLj2EENS0_17counting_iteratorIjlEEPS9_SG_NS0_5tupleIJPjSI_NS0_16reverse_iteratorISI_EEEEENSH_IJSG_SG_SG_EEES9_SI_JZNS1_25segmented_radix_sort_implINS0_14default_configELb1EPKhPhPKlPlN2at6native12_GLOBAL__N_18offset_tEEE10hipError_tPvRmT1_PNSt15iterator_traitsIS12_E10value_typeET2_T3_PNS13_IS18_E10value_typeET4_jRbjT5_S1E_jjP12ihipStream_tbEUljE_ZNSN_ISO_Lb1ESQ_SR_ST_SU_SY_EESZ_S10_S11_S12_S16_S17_S18_S1B_S1C_jS1D_jS1E_S1E_jjS1G_bEUljE0_EEESZ_S10_S11_S18_S1C_S1E_T6_T7_T9_mT8_S1G_bDpT10_ENKUlT_T0_E_clISt17integral_constantIbLb1EES1U_EEDaS1P_S1Q_EUlS1P_E_NS1_11comp_targetILNS1_3genE4ELNS1_11target_archE910ELNS1_3gpuE8ELNS1_3repE0EEENS1_30default_config_static_selectorELNS0_4arch9wavefront6targetE1EEEvS12_
	.p2align	8
	.type	_ZN7rocprim17ROCPRIM_400000_NS6detail17trampoline_kernelINS0_13select_configILj256ELj13ELNS0_17block_load_methodE3ELS4_3ELS4_3ELNS0_20block_scan_algorithmE0ELj4294967295EEENS1_25partition_config_selectorILNS1_17partition_subalgoE4EjNS0_10empty_typeEbEEZZNS1_14partition_implILS8_4ELb0ES6_15HIP_vector_typeIjLj2EENS0_17counting_iteratorIjlEEPS9_SG_NS0_5tupleIJPjSI_NS0_16reverse_iteratorISI_EEEEENSH_IJSG_SG_SG_EEES9_SI_JZNS1_25segmented_radix_sort_implINS0_14default_configELb1EPKhPhPKlPlN2at6native12_GLOBAL__N_18offset_tEEE10hipError_tPvRmT1_PNSt15iterator_traitsIS12_E10value_typeET2_T3_PNS13_IS18_E10value_typeET4_jRbjT5_S1E_jjP12ihipStream_tbEUljE_ZNSN_ISO_Lb1ESQ_SR_ST_SU_SY_EESZ_S10_S11_S12_S16_S17_S18_S1B_S1C_jS1D_jS1E_S1E_jjS1G_bEUljE0_EEESZ_S10_S11_S18_S1C_S1E_T6_T7_T9_mT8_S1G_bDpT10_ENKUlT_T0_E_clISt17integral_constantIbLb1EES1U_EEDaS1P_S1Q_EUlS1P_E_NS1_11comp_targetILNS1_3genE4ELNS1_11target_archE910ELNS1_3gpuE8ELNS1_3repE0EEENS1_30default_config_static_selectorELNS0_4arch9wavefront6targetE1EEEvS12_,@function
_ZN7rocprim17ROCPRIM_400000_NS6detail17trampoline_kernelINS0_13select_configILj256ELj13ELNS0_17block_load_methodE3ELS4_3ELS4_3ELNS0_20block_scan_algorithmE0ELj4294967295EEENS1_25partition_config_selectorILNS1_17partition_subalgoE4EjNS0_10empty_typeEbEEZZNS1_14partition_implILS8_4ELb0ES6_15HIP_vector_typeIjLj2EENS0_17counting_iteratorIjlEEPS9_SG_NS0_5tupleIJPjSI_NS0_16reverse_iteratorISI_EEEEENSH_IJSG_SG_SG_EEES9_SI_JZNS1_25segmented_radix_sort_implINS0_14default_configELb1EPKhPhPKlPlN2at6native12_GLOBAL__N_18offset_tEEE10hipError_tPvRmT1_PNSt15iterator_traitsIS12_E10value_typeET2_T3_PNS13_IS18_E10value_typeET4_jRbjT5_S1E_jjP12ihipStream_tbEUljE_ZNSN_ISO_Lb1ESQ_SR_ST_SU_SY_EESZ_S10_S11_S12_S16_S17_S18_S1B_S1C_jS1D_jS1E_S1E_jjS1G_bEUljE0_EEESZ_S10_S11_S18_S1C_S1E_T6_T7_T9_mT8_S1G_bDpT10_ENKUlT_T0_E_clISt17integral_constantIbLb1EES1U_EEDaS1P_S1Q_EUlS1P_E_NS1_11comp_targetILNS1_3genE4ELNS1_11target_archE910ELNS1_3gpuE8ELNS1_3repE0EEENS1_30default_config_static_selectorELNS0_4arch9wavefront6targetE1EEEvS12_: ; @_ZN7rocprim17ROCPRIM_400000_NS6detail17trampoline_kernelINS0_13select_configILj256ELj13ELNS0_17block_load_methodE3ELS4_3ELS4_3ELNS0_20block_scan_algorithmE0ELj4294967295EEENS1_25partition_config_selectorILNS1_17partition_subalgoE4EjNS0_10empty_typeEbEEZZNS1_14partition_implILS8_4ELb0ES6_15HIP_vector_typeIjLj2EENS0_17counting_iteratorIjlEEPS9_SG_NS0_5tupleIJPjSI_NS0_16reverse_iteratorISI_EEEEENSH_IJSG_SG_SG_EEES9_SI_JZNS1_25segmented_radix_sort_implINS0_14default_configELb1EPKhPhPKlPlN2at6native12_GLOBAL__N_18offset_tEEE10hipError_tPvRmT1_PNSt15iterator_traitsIS12_E10value_typeET2_T3_PNS13_IS18_E10value_typeET4_jRbjT5_S1E_jjP12ihipStream_tbEUljE_ZNSN_ISO_Lb1ESQ_SR_ST_SU_SY_EESZ_S10_S11_S12_S16_S17_S18_S1B_S1C_jS1D_jS1E_S1E_jjS1G_bEUljE0_EEESZ_S10_S11_S18_S1C_S1E_T6_T7_T9_mT8_S1G_bDpT10_ENKUlT_T0_E_clISt17integral_constantIbLb1EES1U_EEDaS1P_S1Q_EUlS1P_E_NS1_11comp_targetILNS1_3genE4ELNS1_11target_archE910ELNS1_3gpuE8ELNS1_3repE0EEENS1_30default_config_static_selectorELNS0_4arch9wavefront6targetE1EEEvS12_
; %bb.0:
	s_load_dwordx2 s[48:49], s[4:5], 0x10
	s_load_dwordx4 s[44:47], s[4:5], 0x28
	s_load_dwordx2 s[34:35], s[4:5], 0x38
	s_load_dwordx4 s[28:31], s[4:5], 0x58
	s_load_dwordx2 s[2:3], s[4:5], 0x68
	s_load_dwordx2 s[50:51], s[4:5], 0x78
	;; [unrolled: 1-line block ×3, first 2 shown]
	s_load_dwordx8 s[36:43], s[4:5], 0x90
	v_cmp_eq_u32_e64 s[0:1], 0, v0
	s_and_saveexec_b64 s[6:7], s[0:1]
	s_cbranch_execz .LBB23_4
; %bb.1:
	s_mov_b64 s[10:11], exec
	v_mbcnt_lo_u32_b32 v1, s10, 0
	v_mbcnt_hi_u32_b32 v1, s11, v1
	v_cmp_eq_u32_e32 vcc, 0, v1
                                        ; implicit-def: $vgpr2
	s_and_saveexec_b64 s[8:9], vcc
	s_cbranch_execz .LBB23_3
; %bb.2:
	s_load_dwordx2 s[12:13], s[4:5], 0x88
	s_bcnt1_i32_b64 s10, s[10:11]
	v_mov_b32_e32 v2, 0
	v_mov_b32_e32 v3, s10
	s_waitcnt lgkmcnt(0)
	global_atomic_add v2, v2, v3, s[12:13] glc
.LBB23_3:
	s_or_b64 exec, exec, s[8:9]
	s_waitcnt vmcnt(0)
	v_readfirstlane_b32 s8, v2
	v_add_u32_e32 v1, s8, v1
	v_mov_b32_e32 v2, 0
	ds_write_b32 v2, v1
.LBB23_4:
	s_or_b64 exec, exec, s[6:7]
	v_mov_b32_e32 v1, 0
	s_load_dword s7, s[4:5], 0x8
	s_load_dword s6, s[4:5], 0x80
	s_waitcnt lgkmcnt(0)
	s_barrier
	ds_read_b32 v8, v1
	s_waitcnt lgkmcnt(0)
	s_barrier
	global_load_dwordx4 v[2:5], v1, s[30:31]
	v_mov_b32_e32 v7, s3
	s_movk_i32 s3, 0xd00
	s_add_i32 s8, s7, s48
	v_mul_lo_u32 v34, v8, s3
	s_add_i32 s7, s6, -1
	s_mul_i32 s3, s6, 0xd00
	s_add_u32 s4, s48, s3
	v_readfirstlane_b32 s33, v8
	s_addc_u32 s5, s49, 0
	s_cmp_eq_u32 s33, s7
	v_mov_b32_e32 v6, s2
	s_cselect_b64 s[30:31], -1, 0
	s_cmp_lg_u32 s33, s7
	v_cmp_lt_u64_e32 vcc, s[4:5], v[6:7]
	s_cselect_b64 s[4:5], -1, 0
	s_or_b64 s[4:5], vcc, s[4:5]
	v_add_u32_e32 v1, s8, v34
	s_mov_b64 s[6:7], -1
	s_and_b64 vcc, exec, s[4:5]
	v_add_u32_e32 v1, v1, v0
	s_cbranch_vccz .LBB23_6
; %bb.5:
	v_add_u32_e32 v6, 0x100, v1
	v_lshlrev_b32_e32 v18, 2, v0
	v_add_u32_e32 v7, 0x200, v1
	v_add_u32_e32 v8, 0x300, v1
	;; [unrolled: 1-line block ×11, first 2 shown]
	ds_write2st64_b32 v18, v1, v6 offset1:4
	ds_write2st64_b32 v18, v7, v8 offset0:8 offset1:12
	ds_write2st64_b32 v18, v9, v10 offset0:16 offset1:20
	;; [unrolled: 1-line block ×5, first 2 shown]
	ds_write_b32 v18, v17 offset:12288
	s_waitcnt lgkmcnt(0)
	s_barrier
	s_mov_b64 s[6:7], 0
.LBB23_6:
	s_andn2_b64 vcc, exec, s[6:7]
	s_add_i32 s3, s3, s48
	s_cbranch_vccnz .LBB23_8
; %bb.7:
	v_add_u32_e32 v6, 0x100, v1
	v_lshlrev_b32_e32 v18, 2, v0
	v_add_u32_e32 v7, 0x200, v1
	v_add_u32_e32 v8, 0x300, v1
	;; [unrolled: 1-line block ×11, first 2 shown]
	ds_write2st64_b32 v18, v1, v6 offset1:4
	ds_write2st64_b32 v18, v7, v8 offset0:8 offset1:12
	ds_write2st64_b32 v18, v9, v10 offset0:16 offset1:20
	;; [unrolled: 1-line block ×5, first 2 shown]
	ds_write_b32 v18, v17 offset:12288
	s_waitcnt lgkmcnt(0)
	s_barrier
.LBB23_8:
	v_mul_u32_u24_e32 v36, 13, v0
	v_lshlrev_b32_e32 v1, 2, v36
	ds_read2_b32 v[22:23], v1 offset1:1
	ds_read2_b32 v[20:21], v1 offset0:2 offset1:3
	ds_read2_b32 v[18:19], v1 offset0:4 offset1:5
	;; [unrolled: 1-line block ×5, first 2 shown]
	ds_read_b32 v35, v1 offset:48
	v_cndmask_b32_e64 v1, 0, 1, s[4:5]
	s_sub_i32 s86, s2, s3
	v_cmp_ne_u32_e64 s[2:3], 1, v1
	s_andn2_b64 vcc, exec, s[4:5]
	s_waitcnt lgkmcnt(0)
	s_barrier
	s_cbranch_vccnz .LBB23_36
; %bb.9:
	v_add_u32_e32 v1, s37, v22
	v_add_u32_e32 v6, s39, v22
	v_mul_lo_u32 v1, v1, s36
	v_mul_lo_u32 v6, v6, s38
	v_sub_u32_e32 v1, v1, v6
	v_cmp_lt_u32_e32 vcc, s40, v1
	v_cmp_ge_u32_e64 s[4:5], s40, v1
	s_mov_b64 s[60:61], 0
	s_mov_b64 s[58:59], 0
	s_and_saveexec_b64 s[6:7], s[4:5]
; %bb.10:
	v_add_u32_e32 v1, s42, v22
	v_add_u32_e32 v6, s56, v22
	v_mul_lo_u32 v1, v1, s41
	v_mul_lo_u32 v6, v6, s43
	v_sub_u32_e32 v1, v1, v6
	v_cmp_lt_u32_e64 s[4:5], s57, v1
	s_and_b64 s[58:59], s[4:5], exec
; %bb.11:
	s_or_b64 exec, exec, s[6:7]
	v_add_u32_e32 v1, s37, v23
	v_add_u32_e32 v6, s39, v23
	v_mul_lo_u32 v1, v1, s36
	v_mul_lo_u32 v6, v6, s38
	v_sub_u32_e32 v1, v1, v6
	v_cmp_lt_u32_e64 s[4:5], s40, v1
	v_cmp_ge_u32_e64 s[6:7], s40, v1
	s_and_saveexec_b64 s[8:9], s[6:7]
; %bb.12:
	v_add_u32_e32 v1, s42, v23
	v_add_u32_e32 v6, s56, v23
	v_mul_lo_u32 v1, v1, s41
	v_mul_lo_u32 v6, v6, s43
	v_sub_u32_e32 v1, v1, v6
	v_cmp_lt_u32_e64 s[6:7], s57, v1
	s_and_b64 s[60:61], s[6:7], exec
; %bb.13:
	s_or_b64 exec, exec, s[8:9]
	v_add_u32_e32 v1, s37, v20
	v_add_u32_e32 v6, s39, v20
	v_mul_lo_u32 v1, v1, s36
	v_mul_lo_u32 v6, v6, s38
	v_sub_u32_e32 v1, v1, v6
	v_cmp_lt_u32_e64 s[6:7], s40, v1
	v_cmp_ge_u32_e64 s[8:9], s40, v1
	s_mov_b64 s[64:65], 0
	s_mov_b64 s[62:63], 0
	s_and_saveexec_b64 s[10:11], s[8:9]
; %bb.14:
	v_add_u32_e32 v1, s42, v20
	v_add_u32_e32 v6, s56, v20
	v_mul_lo_u32 v1, v1, s41
	v_mul_lo_u32 v6, v6, s43
	v_sub_u32_e32 v1, v1, v6
	v_cmp_lt_u32_e64 s[8:9], s57, v1
	s_and_b64 s[62:63], s[8:9], exec
; %bb.15:
	s_or_b64 exec, exec, s[10:11]
	v_add_u32_e32 v1, s37, v21
	v_add_u32_e32 v6, s39, v21
	v_mul_lo_u32 v1, v1, s36
	v_mul_lo_u32 v6, v6, s38
	v_sub_u32_e32 v1, v1, v6
	v_cmp_lt_u32_e64 s[8:9], s40, v1
	v_cmp_ge_u32_e64 s[10:11], s40, v1
	s_and_saveexec_b64 s[12:13], s[10:11]
; %bb.16:
	v_add_u32_e32 v1, s42, v21
	v_add_u32_e32 v6, s56, v21
	v_mul_lo_u32 v1, v1, s41
	v_mul_lo_u32 v6, v6, s43
	v_sub_u32_e32 v1, v1, v6
	v_cmp_lt_u32_e64 s[10:11], s57, v1
	s_and_b64 s[64:65], s[10:11], exec
; %bb.17:
	s_or_b64 exec, exec, s[12:13]
	v_add_u32_e32 v1, s37, v18
	v_add_u32_e32 v6, s39, v18
	v_mul_lo_u32 v1, v1, s36
	v_mul_lo_u32 v6, v6, s38
	v_sub_u32_e32 v1, v1, v6
	v_cmp_lt_u32_e64 s[10:11], s40, v1
	;; [unrolled: 38-line block ×5, first 2 shown]
	v_cmp_ge_u32_e64 s[24:25], s40, v1
	s_mov_b64 s[80:81], 0
	s_mov_b64 s[82:83], 0
	s_and_saveexec_b64 s[26:27], s[24:25]
; %bb.30:
	v_add_u32_e32 v1, s42, v12
	v_add_u32_e32 v6, s56, v12
	v_mul_lo_u32 v1, v1, s41
	v_mul_lo_u32 v6, v6, s43
	v_sub_u32_e32 v1, v1, v6
	v_cmp_lt_u32_e64 s[24:25], s57, v1
	s_and_b64 s[82:83], s[24:25], exec
; %bb.31:
	s_or_b64 exec, exec, s[26:27]
	v_add_u32_e32 v1, s37, v13
	v_add_u32_e32 v6, s39, v13
	v_mul_lo_u32 v1, v1, s36
	v_mul_lo_u32 v6, v6, s38
	v_sub_u32_e32 v1, v1, v6
	v_cmp_lt_u32_e64 s[24:25], s40, v1
	v_cmp_ge_u32_e64 s[26:27], s40, v1
	s_and_saveexec_b64 s[52:53], s[26:27]
; %bb.32:
	v_add_u32_e32 v1, s42, v13
	v_add_u32_e32 v6, s56, v13
	v_mul_lo_u32 v1, v1, s41
	v_mul_lo_u32 v6, v6, s43
	v_sub_u32_e32 v1, v1, v6
	v_cmp_lt_u32_e64 s[26:27], s57, v1
	s_and_b64 s[80:81], s[26:27], exec
; %bb.33:
	s_or_b64 exec, exec, s[52:53]
	v_add_u32_e32 v1, s37, v35
	v_add_u32_e32 v6, s39, v35
	v_mul_lo_u32 v1, v1, s36
	v_mul_lo_u32 v6, v6, s38
	v_sub_u32_e32 v1, v1, v6
	v_cmp_ge_u32_e64 s[26:27], s40, v1
	s_mov_b64 s[52:53], -1
	s_mov_b64 s[74:75], 0
	s_mov_b64 s[54:55], 0
	s_and_saveexec_b64 s[84:85], s[26:27]
; %bb.34:
	v_add_u32_e32 v1, s42, v35
	v_add_u32_e32 v6, s56, v35
	v_mul_lo_u32 v1, v1, s41
	v_mul_lo_u32 v6, v6, s43
	v_sub_u32_e32 v1, v1, v6
	v_cmp_lt_u32_e64 s[26:27], s57, v1
	s_and_b64 s[54:55], s[26:27], exec
	s_xor_b64 s[52:53], exec, -1
; %bb.35:
	s_or_b64 exec, exec, s[84:85]
	v_cndmask_b32_e64 v57, 0, 1, s[82:83]
	v_cndmask_b32_e64 v60, 0, 1, s[24:25]
	;; [unrolled: 1-line block ×22, first 2 shown]
	v_cndmask_b32_e64 v37, 0, 1, vcc
	v_cndmask_b32_e64 v59, 0, 1, s[80:81]
	s_add_i32 s16, s86, 0xd00
	s_and_b64 vcc, exec, s[74:75]
	s_cbranch_vccnz .LBB23_37
	s_branch .LBB23_90
.LBB23_36:
                                        ; implicit-def: $sgpr52_sgpr53
                                        ; implicit-def: $sgpr54_sgpr55
                                        ; implicit-def: $vgpr59
                                        ; implicit-def: $vgpr57
                                        ; implicit-def: $vgpr55
                                        ; implicit-def: $vgpr53
                                        ; implicit-def: $vgpr51
                                        ; implicit-def: $vgpr49
                                        ; implicit-def: $vgpr47
                                        ; implicit-def: $vgpr45
                                        ; implicit-def: $vgpr43
                                        ; implicit-def: $vgpr37
                                        ; implicit-def: $vgpr39
                                        ; implicit-def: $vgpr41
                                        ; implicit-def: $vgpr44
                                        ; implicit-def: $vgpr46
                                        ; implicit-def: $vgpr48
                                        ; implicit-def: $vgpr50
                                        ; implicit-def: $vgpr52
                                        ; implicit-def: $vgpr54
                                        ; implicit-def: $vgpr56
                                        ; implicit-def: $vgpr58
                                        ; implicit-def: $vgpr60
                                        ; implicit-def: $vgpr38
                                        ; implicit-def: $vgpr40
                                        ; implicit-def: $vgpr42
	s_add_i32 s16, s86, 0xd00
	s_cbranch_execz .LBB23_90
.LBB23_37:
	v_cmp_gt_u32_e32 vcc, s16, v36
	v_mov_b32_e32 v38, 0
	v_mov_b32_e32 v37, 0
	s_and_saveexec_b64 s[6:7], vcc
	s_cbranch_execz .LBB23_41
; %bb.38:
	v_add_u32_e32 v1, s37, v22
	v_add_u32_e32 v6, s39, v22
	v_mul_lo_u32 v1, v1, s36
	v_mul_lo_u32 v6, v6, s38
	v_sub_u32_e32 v1, v1, v6
	v_cmp_lt_u32_e32 vcc, s40, v1
	v_cmp_ge_u32_e64 s[4:5], s40, v1
	s_mov_b64 s[10:11], 0
	s_and_saveexec_b64 s[8:9], s[4:5]
; %bb.39:
	v_add_u32_e32 v1, s42, v22
	v_add_u32_e32 v6, s56, v22
	v_mul_lo_u32 v1, v1, s41
	v_mul_lo_u32 v6, v6, s43
	v_sub_u32_e32 v1, v1, v6
	v_cmp_lt_u32_e64 s[4:5], s57, v1
	s_and_b64 s[10:11], s[4:5], exec
; %bb.40:
	s_or_b64 exec, exec, s[8:9]
	v_cndmask_b32_e64 v37, 0, 1, vcc
	v_cndmask_b32_e64 v38, 0, 1, s[10:11]
.LBB23_41:
	s_or_b64 exec, exec, s[6:7]
	v_add_u32_e32 v1, 1, v36
	v_cmp_gt_u32_e32 vcc, s16, v1
	v_mov_b32_e32 v39, 0
	v_mov_b32_e32 v40, 0
	s_and_saveexec_b64 s[6:7], vcc
	s_cbranch_execz .LBB23_45
; %bb.42:
	v_add_u32_e32 v1, s37, v23
	v_add_u32_e32 v6, s39, v23
	v_mul_lo_u32 v1, v1, s36
	v_mul_lo_u32 v6, v6, s38
	v_sub_u32_e32 v1, v1, v6
	v_cmp_lt_u32_e32 vcc, s40, v1
	v_cmp_ge_u32_e64 s[4:5], s40, v1
	s_mov_b64 s[10:11], 0
	s_and_saveexec_b64 s[8:9], s[4:5]
; %bb.43:
	v_add_u32_e32 v1, s42, v23
	v_add_u32_e32 v6, s56, v23
	v_mul_lo_u32 v1, v1, s41
	v_mul_lo_u32 v6, v6, s43
	v_sub_u32_e32 v1, v1, v6
	v_cmp_lt_u32_e64 s[4:5], s57, v1
	s_and_b64 s[10:11], s[4:5], exec
; %bb.44:
	s_or_b64 exec, exec, s[8:9]
	v_cndmask_b32_e64 v39, 0, 1, vcc
	v_cndmask_b32_e64 v40, 0, 1, s[10:11]
.LBB23_45:
	s_or_b64 exec, exec, s[6:7]
	v_add_u32_e32 v1, 2, v36
	;; [unrolled: 30-line block ×12, first 2 shown]
	v_cmp_gt_u32_e32 vcc, s16, v1
	s_mov_b64 s[52:53], 0
	s_mov_b64 s[54:55], 0
	s_and_saveexec_b64 s[4:5], vcc
	s_cbranch_execz .LBB23_89
; %bb.86:
	v_add_u32_e32 v1, s37, v35
	v_add_u32_e32 v6, s39, v35
	v_mul_lo_u32 v1, v1, s36
	v_mul_lo_u32 v6, v6, s38
	v_sub_u32_e32 v1, v1, v6
	v_cmp_ge_u32_e32 vcc, s40, v1
	s_mov_b64 s[8:9], -1
	s_mov_b64 s[10:11], 0
	s_and_saveexec_b64 s[6:7], vcc
; %bb.87:
	v_add_u32_e32 v1, s42, v35
	v_add_u32_e32 v6, s56, v35
	v_mul_lo_u32 v1, v1, s41
	v_mul_lo_u32 v6, v6, s43
	v_sub_u32_e32 v1, v1, v6
	v_cmp_lt_u32_e32 vcc, s57, v1
	s_and_b64 s[10:11], vcc, exec
	s_xor_b64 s[8:9], exec, -1
; %bb.88:
	s_or_b64 exec, exec, s[6:7]
	s_and_b64 s[54:55], s[10:11], exec
	s_and_b64 s[52:53], s[8:9], exec
.LBB23_89:
	s_or_b64 exec, exec, s[4:5]
.LBB23_90:
	v_and_b32_e32 v68, 0xff, v38
	v_and_b32_e32 v79, 0xff, v40
	v_and_b32_e32 v70, 0xff, v42
	v_and_b32_e32 v80, 0xff, v43
	v_and_b32_e32 v72, 0xff, v45
	v_add3_u32 v6, v79, v70, v68
	v_and_b32_e32 v81, 0xff, v47
	v_and_b32_e32 v74, 0xff, v49
	v_add3_u32 v6, v6, v80, v72
	v_and_b32_e32 v67, 0xff, v37
	v_and_b32_e32 v61, 0xff, v39
	;; [unrolled: 1-line block ×5, first 2 shown]
	v_add3_u32 v6, v6, v81, v74
	v_and_b32_e32 v62, 0xff, v44
	v_and_b32_e32 v71, 0xff, v46
	v_and_b32_e32 v83, 0xff, v55
	v_and_b32_e32 v78, 0xff, v57
	v_add3_u32 v7, v61, v69, v67
	v_add3_u32 v6, v6, v82, v76
	v_and_b32_e32 v63, 0xff, v48
	v_and_b32_e32 v73, 0xff, v50
	;; [unrolled: 1-line block ×3, first 2 shown]
	v_cndmask_b32_e64 v1, 0, 1, s[54:55]
	v_add3_u32 v7, v7, v62, v71
	v_add3_u32 v6, v6, v83, v78
	v_and_b32_e32 v64, 0xff, v52
	v_and_b32_e32 v75, 0xff, v54
	v_add3_u32 v7, v7, v63, v73
	v_add3_u32 v91, v6, v84, v1
	v_mbcnt_lo_u32_b32 v1, -1, 0
	v_and_b32_e32 v65, 0xff, v56
	v_and_b32_e32 v77, 0xff, v58
	v_add3_u32 v7, v7, v64, v75
	v_mbcnt_hi_u32_b32 v85, -1, v1
	v_and_b32_e32 v66, 0xff, v60
	v_add3_u32 v7, v7, v65, v77
	v_cndmask_b32_e64 v8, 0, 1, s[52:53]
	v_and_b32_e32 v89, 15, v85
	s_cmp_lg_u32 s33, 0
	v_add3_u32 v90, v7, v66, v8
	v_cmp_eq_u32_e64 s[6:7], 0, v89
	v_cmp_lt_u32_e64 s[4:5], 1, v89
	v_cmp_lt_u32_e64 s[10:11], 3, v89
	v_cmp_lt_u32_e64 s[8:9], 7, v89
	v_and_b32_e32 v88, 16, v85
	v_cmp_lt_u32_e32 vcc, 31, v85
	v_lshrrev_b32_e32 v86, 6, v0
	v_or_b32_e32 v87, 63, v0
	s_cbranch_scc0 .LBB23_123
; %bb.91:
	v_mov_b32_dpp v1, v90 row_shr:1 row_mask:0xf bank_mask:0xf
	v_mov_b32_dpp v6, v91 row_shr:1 row_mask:0xf bank_mask:0xf
	v_add_u32_e32 v1, v1, v90
	v_add_u32_e32 v6, v6, v91
	v_cndmask_b32_e64 v6, v6, v91, s[6:7]
	v_cndmask_b32_e64 v1, v1, v90, s[6:7]
	s_nop 0
	v_mov_b32_dpp v8, v6 row_shr:2 row_mask:0xf bank_mask:0xf
	v_mov_b32_dpp v7, v1 row_shr:2 row_mask:0xf bank_mask:0xf
	v_add_u32_e32 v7, v1, v7
	v_add_u32_e32 v8, v6, v8
	v_cndmask_b32_e64 v6, v6, v8, s[4:5]
	v_cndmask_b32_e64 v1, v1, v7, s[4:5]
	s_nop 0
	;; [unrolled: 7-line block ×3, first 2 shown]
	v_mov_b32_dpp v8, v6 row_shr:8 row_mask:0xf bank_mask:0xf
	v_mov_b32_dpp v7, v1 row_shr:8 row_mask:0xf bank_mask:0xf
	v_add_u32_e32 v7, v1, v7
	v_add_u32_e32 v8, v6, v8
	v_cndmask_b32_e64 v6, v6, v8, s[8:9]
	v_cndmask_b32_e64 v1, v1, v7, s[8:9]
	v_cmp_eq_u32_e64 s[8:9], 0, v88
	v_mov_b32_dpp v8, v6 row_bcast:15 row_mask:0xf bank_mask:0xf
	v_mov_b32_dpp v7, v1 row_bcast:15 row_mask:0xf bank_mask:0xf
	v_add_u32_e32 v7, v1, v7
	v_add_u32_e32 v8, v6, v8
	v_cndmask_b32_e64 v6, v8, v6, s[8:9]
	v_cndmask_b32_e64 v1, v7, v1, s[8:9]
	s_nop 0
	v_mov_b32_dpp v8, v6 row_bcast:31 row_mask:0xf bank_mask:0xf
	v_mov_b32_dpp v7, v1 row_bcast:31 row_mask:0xf bank_mask:0xf
	v_add_u32_e32 v8, v6, v8
	v_add_u32_e32 v9, v1, v7
	v_cndmask_b32_e32 v7, v6, v8, vcc
	v_cndmask_b32_e32 v6, v1, v9, vcc
	v_cmp_eq_u32_e32 vcc, v87, v0
	s_and_saveexec_b64 s[8:9], vcc
	s_cbranch_execz .LBB23_93
; %bb.92:
	v_lshlrev_b32_e32 v1, 3, v86
	ds_write_b64 v1, v[6:7]
.LBB23_93:
	s_or_b64 exec, exec, s[8:9]
	v_cmp_gt_u32_e32 vcc, 4, v0
	s_waitcnt lgkmcnt(0)
	s_barrier
	s_and_saveexec_b64 s[8:9], vcc
	s_cbranch_execz .LBB23_95
; %bb.94:
	v_lshlrev_b32_e32 v1, 3, v0
	ds_read_b64 v[8:9], v1
	v_and_b32_e32 v10, 3, v85
	v_cmp_eq_u32_e32 vcc, 0, v10
	s_waitcnt lgkmcnt(0)
	v_mov_b32_dpp v11, v8 row_shr:1 row_mask:0xf bank_mask:0xf
	v_mov_b32_dpp v24, v9 row_shr:1 row_mask:0xf bank_mask:0xf
	v_add_u32_e32 v11, v11, v8
	v_add_u32_e32 v24, v24, v9
	v_cndmask_b32_e32 v9, v24, v9, vcc
	v_cndmask_b32_e32 v8, v11, v8, vcc
	v_cmp_lt_u32_e32 vcc, 1, v10
	v_mov_b32_dpp v24, v9 row_shr:2 row_mask:0xf bank_mask:0xf
	v_mov_b32_dpp v11, v8 row_shr:2 row_mask:0xf bank_mask:0xf
	v_cndmask_b32_e32 v10, 0, v11, vcc
	v_cndmask_b32_e32 v11, 0, v24, vcc
	v_add_u32_e32 v9, v11, v9
	v_add_u32_e32 v8, v10, v8
	ds_write_b64 v1, v[8:9]
.LBB23_95:
	s_or_b64 exec, exec, s[8:9]
	v_cmp_gt_u32_e32 vcc, 64, v0
	v_cmp_lt_u32_e64 s[8:9], 63, v0
	s_waitcnt lgkmcnt(0)
	s_barrier
	s_waitcnt lgkmcnt(0)
                                        ; implicit-def: $vgpr25
	s_and_saveexec_b64 s[10:11], s[8:9]
	s_xor_b64 s[8:9], exec, s[10:11]
	s_cbranch_execz .LBB23_97
; %bb.96:
	v_lshl_add_u32 v1, v86, 3, -8
	ds_read_b64 v[24:25], v1
	s_waitcnt lgkmcnt(0)
	v_add_u32_e32 v7, v25, v7
	v_add_u32_e32 v6, v24, v6
.LBB23_97:
	s_andn2_saveexec_b64 s[8:9], s[8:9]
; %bb.98:
                                        ; implicit-def: $vgpr24
; %bb.99:
	s_or_b64 exec, exec, s[8:9]
	v_add_u32_e32 v1, -1, v85
	v_and_b32_e32 v8, 64, v85
	v_cmp_lt_i32_e64 s[8:9], v1, v8
	v_cndmask_b32_e64 v1, v1, v85, s[8:9]
	v_lshlrev_b32_e32 v8, 2, v1
	ds_bpermute_b32 v1, v8, v6
	ds_bpermute_b32 v92, v8, v7
	v_cmp_eq_u32_e64 s[8:9], 0, v85
	s_and_saveexec_b64 s[10:11], vcc
	s_cbranch_execz .LBB23_122
; %bb.100:
	v_mov_b32_e32 v11, 0
	ds_read_b64 v[26:27], v11 offset:24
	s_and_saveexec_b64 s[12:13], s[8:9]
	s_cbranch_execz .LBB23_102
; %bb.101:
	s_add_i32 s14, s33, 64
	s_mov_b32 s15, 0
	s_lshl_b64 s[14:15], s[14:15], 4
	s_waitcnt lgkmcnt(0)
	v_and_b32_e32 v6, 0xff000000, v27
	v_and_b32_e32 v7, 0xff0000, v27
	s_add_u32 s14, s50, s14
	v_or_b32_e32 v6, v7, v6
	v_and_b32_e32 v7, 0xff00, v27
	s_addc_u32 s15, s51, s15
	v_or_b32_e32 v6, v6, v7
	v_or_b32_sdwa v9, v6, v27 dst_sel:DWORD dst_unused:UNUSED_PAD src0_sel:DWORD src1_sel:BYTE_0
	v_mov_b32_e32 v10, 1
	v_mov_b32_e32 v8, v26
	v_pk_mov_b32 v[6:7], s[14:15], s[14:15] op_sel:[0,1]
	;;#ASMSTART
	global_store_dwordx4 v[6:7], v[8:11] off	
s_waitcnt vmcnt(0)
	;;#ASMEND
.LBB23_102:
	s_or_b64 exec, exec, s[12:13]
	v_xad_u32 v28, v85, -1, s33
	v_add_u32_e32 v10, 64, v28
	v_lshlrev_b64 v[6:7], 4, v[10:11]
	v_mov_b32_e32 v8, s51
	v_add_co_u32_e32 v30, vcc, s50, v6
	v_addc_co_u32_e32 v31, vcc, v8, v7, vcc
	;;#ASMSTART
	global_load_dwordx4 v[6:9], v[30:31] off glc	
s_waitcnt vmcnt(0)
	;;#ASMEND
	v_and_b32_e32 v9, 0xff, v7
	v_and_b32_e32 v10, 0xff00, v7
	v_or3_b32 v9, 0, v9, v10
	v_or3_b32 v6, v6, 0, 0
	v_and_b32_e32 v10, 0xff000000, v7
	v_and_b32_e32 v7, 0xff0000, v7
	v_or3_b32 v7, v9, v7, v10
	v_or3_b32 v6, v6, 0, 0
	v_cmp_eq_u16_sdwa s[14:15], v8, v11 src0_sel:BYTE_0 src1_sel:DWORD
	s_and_saveexec_b64 s[12:13], s[14:15]
	s_cbranch_execz .LBB23_108
; %bb.103:
	s_mov_b32 s17, 1
	s_mov_b64 s[14:15], 0
	v_mov_b32_e32 v10, 0
.LBB23_104:                             ; =>This Loop Header: Depth=1
                                        ;     Child Loop BB23_105 Depth 2
	s_max_u32 s18, s17, 1
.LBB23_105:                             ;   Parent Loop BB23_104 Depth=1
                                        ; =>  This Inner Loop Header: Depth=2
	s_add_i32 s18, s18, -1
	s_cmp_eq_u32 s18, 0
	s_sleep 1
	s_cbranch_scc0 .LBB23_105
; %bb.106:                              ;   in Loop: Header=BB23_104 Depth=1
	s_cmp_lt_u32 s17, 32
	s_cselect_b64 s[18:19], -1, 0
	s_cmp_lg_u64 s[18:19], 0
	s_addc_u32 s17, s17, 0
	;;#ASMSTART
	global_load_dwordx4 v[6:9], v[30:31] off glc	
s_waitcnt vmcnt(0)
	;;#ASMEND
	v_cmp_ne_u16_sdwa s[18:19], v8, v10 src0_sel:BYTE_0 src1_sel:DWORD
	s_or_b64 s[14:15], s[18:19], s[14:15]
	s_andn2_b64 exec, exec, s[14:15]
	s_cbranch_execnz .LBB23_104
; %bb.107:
	s_or_b64 exec, exec, s[14:15]
.LBB23_108:
	s_or_b64 exec, exec, s[12:13]
	v_and_b32_e32 v94, 63, v85
	v_cmp_ne_u32_e32 vcc, 63, v94
	v_mov_b32_e32 v93, 2
	v_addc_co_u32_e32 v30, vcc, 0, v85, vcc
	v_cmp_eq_u16_sdwa s[12:13], v8, v93 src0_sel:BYTE_0 src1_sel:DWORD
	v_lshlrev_b64 v[10:11], v85, -1
	v_lshlrev_b32_e32 v95, 2, v30
	v_and_b32_e32 v9, s13, v11
	ds_bpermute_b32 v30, v95, v6
	ds_bpermute_b32 v31, v95, v7
	v_or_b32_e32 v9, 0x80000000, v9
	v_and_b32_e32 v29, s12, v10
	v_ffbl_b32_e32 v9, v9
	v_add_u32_e32 v9, 32, v9
	v_ffbl_b32_e32 v29, v29
	v_min_u32_e32 v9, v29, v9
	s_waitcnt lgkmcnt(1)
	v_add_u32_e32 v29, v30, v6
	s_waitcnt lgkmcnt(0)
	v_add_u32_e32 v30, v31, v7
	v_cmp_lt_u32_e32 vcc, v94, v9
	v_cndmask_b32_e32 v7, v7, v30, vcc
	v_cndmask_b32_e32 v6, v6, v29, vcc
	v_cmp_gt_u32_e32 vcc, 62, v94
	v_cndmask_b32_e64 v29, 0, 1, vcc
	v_lshlrev_b32_e32 v29, 1, v29
	v_add_lshl_u32 v96, v29, v85, 2
	ds_bpermute_b32 v29, v96, v6
	ds_bpermute_b32 v30, v96, v7
	v_add_u32_e32 v97, 2, v94
	v_cmp_gt_u32_e32 vcc, v97, v9
	v_add_u32_e32 v99, 4, v94
	s_waitcnt lgkmcnt(1)
	v_add_u32_e32 v29, v6, v29
	s_waitcnt lgkmcnt(0)
	v_add_u32_e32 v30, v7, v30
	v_cndmask_b32_e32 v7, v30, v7, vcc
	v_cndmask_b32_e32 v6, v29, v6, vcc
	v_cmp_gt_u32_e32 vcc, 60, v94
	v_cndmask_b32_e64 v29, 0, 1, vcc
	v_lshlrev_b32_e32 v29, 2, v29
	v_add_lshl_u32 v98, v29, v85, 2
	ds_bpermute_b32 v29, v98, v6
	ds_bpermute_b32 v30, v98, v7
	v_cmp_gt_u32_e32 vcc, v99, v9
	v_add_u32_e32 v101, 8, v94
	v_add_u32_e32 v103, 16, v94
	s_waitcnt lgkmcnt(1)
	v_add_u32_e32 v29, v6, v29
	s_waitcnt lgkmcnt(0)
	v_add_u32_e32 v30, v7, v30
	v_cndmask_b32_e32 v7, v30, v7, vcc
	v_cndmask_b32_e32 v6, v29, v6, vcc
	v_cmp_gt_u32_e32 vcc, 56, v94
	v_cndmask_b32_e64 v29, 0, 1, vcc
	v_lshlrev_b32_e32 v29, 3, v29
	v_add_lshl_u32 v100, v29, v85, 2
	ds_bpermute_b32 v29, v100, v6
	ds_bpermute_b32 v30, v100, v7
	v_cmp_gt_u32_e32 vcc, v101, v9
	v_add_u32_e32 v105, 32, v94
	s_waitcnt lgkmcnt(1)
	v_add_u32_e32 v29, v6, v29
	s_waitcnt lgkmcnt(0)
	v_add_u32_e32 v30, v7, v30
	v_cndmask_b32_e32 v7, v30, v7, vcc
	v_cndmask_b32_e32 v6, v29, v6, vcc
	v_cmp_gt_u32_e32 vcc, 48, v94
	v_cndmask_b32_e64 v29, 0, 1, vcc
	v_lshlrev_b32_e32 v29, 4, v29
	v_add_lshl_u32 v102, v29, v85, 2
	ds_bpermute_b32 v29, v102, v6
	ds_bpermute_b32 v30, v102, v7
	v_cmp_gt_u32_e32 vcc, v103, v9
	s_waitcnt lgkmcnt(1)
	v_add_u32_e32 v29, v6, v29
	s_waitcnt lgkmcnt(0)
	v_add_u32_e32 v30, v7, v30
	v_cndmask_b32_e32 v7, v30, v7, vcc
	v_cndmask_b32_e32 v6, v29, v6, vcc
	v_cmp_gt_u32_e32 vcc, 32, v94
	v_cndmask_b32_e64 v29, 0, 1, vcc
	v_lshlrev_b32_e32 v29, 5, v29
	v_add_lshl_u32 v104, v29, v85, 2
	ds_bpermute_b32 v29, v104, v6
	ds_bpermute_b32 v30, v104, v7
	v_cmp_le_u32_e32 vcc, v105, v9
	s_waitcnt lgkmcnt(1)
	v_cndmask_b32_e32 v9, 0, v29, vcc
	s_waitcnt lgkmcnt(0)
	v_cndmask_b32_e32 v29, 0, v30, vcc
	v_add_u32_e32 v7, v7, v29
	v_add_u32_e32 v6, v6, v9
	v_mov_b32_e32 v29, 0
	s_branch .LBB23_110
.LBB23_109:                             ;   in Loop: Header=BB23_110 Depth=1
	s_or_b64 exec, exec, s[12:13]
	v_cmp_eq_u16_sdwa s[12:13], v8, v93 src0_sel:BYTE_0 src1_sel:DWORD
	v_and_b32_e32 v9, s13, v11
	ds_bpermute_b32 v33, v95, v6
	ds_bpermute_b32 v106, v95, v7
	v_or_b32_e32 v9, 0x80000000, v9
	v_and_b32_e32 v32, s12, v10
	v_ffbl_b32_e32 v9, v9
	v_add_u32_e32 v9, 32, v9
	v_ffbl_b32_e32 v32, v32
	v_min_u32_e32 v9, v32, v9
	s_waitcnt lgkmcnt(1)
	v_add_u32_e32 v32, v33, v6
	s_waitcnt lgkmcnt(0)
	v_add_u32_e32 v33, v106, v7
	v_cmp_lt_u32_e32 vcc, v94, v9
	v_cndmask_b32_e32 v7, v7, v33, vcc
	v_cndmask_b32_e32 v6, v6, v32, vcc
	ds_bpermute_b32 v32, v96, v6
	ds_bpermute_b32 v33, v96, v7
	v_cmp_gt_u32_e32 vcc, v97, v9
	v_subrev_u32_e32 v28, 64, v28
	s_waitcnt lgkmcnt(1)
	v_add_u32_e32 v32, v6, v32
	s_waitcnt lgkmcnt(0)
	v_add_u32_e32 v33, v7, v33
	v_cndmask_b32_e32 v7, v33, v7, vcc
	v_cndmask_b32_e32 v6, v32, v6, vcc
	ds_bpermute_b32 v32, v98, v6
	ds_bpermute_b32 v33, v98, v7
	v_cmp_gt_u32_e32 vcc, v99, v9
	s_waitcnt lgkmcnt(1)
	v_add_u32_e32 v32, v6, v32
	s_waitcnt lgkmcnt(0)
	v_add_u32_e32 v33, v7, v33
	v_cndmask_b32_e32 v7, v33, v7, vcc
	v_cndmask_b32_e32 v6, v32, v6, vcc
	ds_bpermute_b32 v32, v100, v6
	ds_bpermute_b32 v33, v100, v7
	v_cmp_gt_u32_e32 vcc, v101, v9
	;; [unrolled: 9-line block ×3, first 2 shown]
	s_waitcnt lgkmcnt(1)
	v_add_u32_e32 v32, v6, v32
	s_waitcnt lgkmcnt(0)
	v_add_u32_e32 v33, v7, v33
	v_cndmask_b32_e32 v7, v33, v7, vcc
	v_cndmask_b32_e32 v6, v32, v6, vcc
	ds_bpermute_b32 v32, v104, v6
	ds_bpermute_b32 v33, v104, v7
	v_cmp_le_u32_e32 vcc, v105, v9
	s_waitcnt lgkmcnt(1)
	v_cndmask_b32_e32 v9, 0, v32, vcc
	s_waitcnt lgkmcnt(0)
	v_cndmask_b32_e32 v32, 0, v33, vcc
	v_add3_u32 v7, v32, v31, v7
	v_add3_u32 v6, v9, v30, v6
.LBB23_110:                             ; =>This Loop Header: Depth=1
                                        ;     Child Loop BB23_113 Depth 2
                                        ;       Child Loop BB23_114 Depth 3
	v_cmp_ne_u16_sdwa s[12:13], v8, v93 src0_sel:BYTE_0 src1_sel:DWORD
	v_cndmask_b32_e64 v8, 0, 1, s[12:13]
	;;#ASMSTART
	;;#ASMEND
	v_cmp_ne_u32_e32 vcc, 0, v8
	s_cmp_lg_u64 vcc, exec
	v_pk_mov_b32 v[30:31], v[6:7], v[6:7] op_sel:[0,1]
	s_cbranch_scc1 .LBB23_117
; %bb.111:                              ;   in Loop: Header=BB23_110 Depth=1
	v_lshlrev_b64 v[6:7], 4, v[28:29]
	v_mov_b32_e32 v8, s51
	v_add_co_u32_e32 v32, vcc, s50, v6
	v_addc_co_u32_e32 v33, vcc, v8, v7, vcc
	;;#ASMSTART
	global_load_dwordx4 v[6:9], v[32:33] off glc	
s_waitcnt vmcnt(0)
	;;#ASMEND
	v_and_b32_e32 v9, 0xff, v7
	v_and_b32_e32 v106, 0xff00, v7
	v_or3_b32 v9, 0, v9, v106
	v_or3_b32 v6, v6, 0, 0
	v_and_b32_e32 v106, 0xff000000, v7
	v_and_b32_e32 v7, 0xff0000, v7
	v_or3_b32 v7, v9, v7, v106
	v_or3_b32 v6, v6, 0, 0
	v_cmp_eq_u16_sdwa s[14:15], v8, v29 src0_sel:BYTE_0 src1_sel:DWORD
	s_and_saveexec_b64 s[12:13], s[14:15]
	s_cbranch_execz .LBB23_109
; %bb.112:                              ;   in Loop: Header=BB23_110 Depth=1
	s_mov_b32 s17, 1
	s_mov_b64 s[14:15], 0
.LBB23_113:                             ;   Parent Loop BB23_110 Depth=1
                                        ; =>  This Loop Header: Depth=2
                                        ;       Child Loop BB23_114 Depth 3
	s_max_u32 s18, s17, 1
.LBB23_114:                             ;   Parent Loop BB23_110 Depth=1
                                        ;     Parent Loop BB23_113 Depth=2
                                        ; =>    This Inner Loop Header: Depth=3
	s_add_i32 s18, s18, -1
	s_cmp_eq_u32 s18, 0
	s_sleep 1
	s_cbranch_scc0 .LBB23_114
; %bb.115:                              ;   in Loop: Header=BB23_113 Depth=2
	s_cmp_lt_u32 s17, 32
	s_cselect_b64 s[18:19], -1, 0
	s_cmp_lg_u64 s[18:19], 0
	s_addc_u32 s17, s17, 0
	;;#ASMSTART
	global_load_dwordx4 v[6:9], v[32:33] off glc	
s_waitcnt vmcnt(0)
	;;#ASMEND
	v_cmp_ne_u16_sdwa s[18:19], v8, v29 src0_sel:BYTE_0 src1_sel:DWORD
	s_or_b64 s[14:15], s[18:19], s[14:15]
	s_andn2_b64 exec, exec, s[14:15]
	s_cbranch_execnz .LBB23_113
; %bb.116:                              ;   in Loop: Header=BB23_110 Depth=1
	s_or_b64 exec, exec, s[14:15]
	s_branch .LBB23_109
.LBB23_117:                             ;   in Loop: Header=BB23_110 Depth=1
                                        ; implicit-def: $vgpr8
                                        ; implicit-def: $vgpr6_vgpr7
	s_cbranch_execz .LBB23_110
; %bb.118:
	s_and_saveexec_b64 s[12:13], s[8:9]
	s_cbranch_execz .LBB23_120
; %bb.119:
	s_add_i32 s14, s33, 64
	s_mov_b32 s15, 0
	v_add_u32_e32 v7, v31, v27
	s_lshl_b64 s[14:15], s[14:15], 4
	s_add_u32 s14, s50, s14
	v_and_b32_e32 v8, 0xff000000, v7
	v_and_b32_e32 v10, 0xff0000, v7
	s_addc_u32 s15, s51, s15
	v_or_b32_e32 v8, v10, v8
	v_and_b32_e32 v10, 0xff00, v7
	v_and_b32_e32 v7, 0xff, v7
	v_add_u32_e32 v6, v30, v26
	v_mov_b32_e32 v9, 0
	v_or3_b32 v7, v8, v10, v7
	v_mov_b32_e32 v8, 2
	v_pk_mov_b32 v[10:11], s[14:15], s[14:15] op_sel:[0,1]
	;;#ASMSTART
	global_store_dwordx4 v[10:11], v[6:9] off	
s_waitcnt vmcnt(0)
	;;#ASMEND
	s_movk_i32 s14, 0x3400
	v_add_u32_e64 v6, s14, 0
	ds_write2_b32 v6, v26, v27 offset1:2
	ds_write2_b32 v6, v30, v31 offset0:4 offset1:6
.LBB23_120:
	s_or_b64 exec, exec, s[12:13]
	s_and_b64 exec, exec, s[0:1]
	s_cbranch_execz .LBB23_122
; %bb.121:
	v_mov_b32_e32 v6, 0
	ds_write_b64 v6, v[30:31] offset:24
.LBB23_122:
	s_or_b64 exec, exec, s[10:11]
	v_mov_b32_e32 v6, 0
	s_waitcnt lgkmcnt(0)
	s_barrier
	ds_read_b64 v[10:11], v6 offset:24
	v_cndmask_b32_e64 v25, v92, v25, s[8:9]
	v_cndmask_b32_e64 v1, v1, v24, s[8:9]
	s_movk_i32 s8, 0x3400
	s_waitcnt lgkmcnt(0)
	v_add_u32_e32 v24, v10, v1
	v_add_u32_e64 v1, s8, 0
	s_barrier
	ds_read2_b32 v[6:7], v1 offset1:2
	ds_read2_b32 v[8:9], v1 offset0:4 offset1:6
	v_add_u32_e32 v1, v11, v25
	v_cndmask_b32_e64 v1, v1, v11, s[0:1]
	v_cndmask_b32_e64 v10, v24, v10, s[0:1]
	s_branch .LBB23_133
.LBB23_123:
                                        ; implicit-def: $vgpr1
                                        ; implicit-def: $vgpr8
                                        ; implicit-def: $vgpr6
                                        ; implicit-def: $vgpr10_vgpr11
	s_cbranch_execz .LBB23_133
; %bb.124:
	s_nop 0
	v_mov_b32_dpp v1, v90 row_shr:1 row_mask:0xf bank_mask:0xf
	s_waitcnt lgkmcnt(1)
	v_mov_b32_dpp v6, v91 row_shr:1 row_mask:0xf bank_mask:0xf
	v_add_u32_e32 v1, v1, v90
	v_add_u32_e32 v6, v6, v91
	v_cndmask_b32_e64 v6, v6, v91, s[6:7]
	v_cndmask_b32_e64 v1, v1, v90, s[6:7]
	v_cmp_lt_u32_e32 vcc, 3, v89
	s_waitcnt lgkmcnt(0)
	v_mov_b32_dpp v8, v6 row_shr:2 row_mask:0xf bank_mask:0xf
	v_mov_b32_dpp v7, v1 row_shr:2 row_mask:0xf bank_mask:0xf
	v_add_u32_e32 v7, v1, v7
	v_add_u32_e32 v8, v6, v8
	v_cndmask_b32_e64 v6, v6, v8, s[4:5]
	v_cndmask_b32_e64 v1, v1, v7, s[4:5]
	s_nop 0
	v_mov_b32_dpp v8, v6 row_shr:4 row_mask:0xf bank_mask:0xf
	v_mov_b32_dpp v7, v1 row_shr:4 row_mask:0xf bank_mask:0xf
	v_add_u32_e32 v7, v1, v7
	v_add_u32_e32 v8, v6, v8
	v_cndmask_b32_e32 v6, v6, v8, vcc
	v_cndmask_b32_e32 v1, v1, v7, vcc
	v_cmp_lt_u32_e32 vcc, 7, v89
	v_mov_b32_dpp v8, v6 row_shr:8 row_mask:0xf bank_mask:0xf
	v_mov_b32_dpp v7, v1 row_shr:8 row_mask:0xf bank_mask:0xf
	v_add_u32_e32 v7, v1, v7
	v_add_u32_e32 v8, v6, v8
	v_cndmask_b32_e32 v6, v6, v8, vcc
	v_cndmask_b32_e32 v1, v1, v7, vcc
	v_cmp_eq_u32_e32 vcc, 0, v88
	v_mov_b32_dpp v8, v6 row_bcast:15 row_mask:0xf bank_mask:0xf
	v_mov_b32_dpp v7, v1 row_bcast:15 row_mask:0xf bank_mask:0xf
	v_add_u32_e32 v7, v1, v7
	v_add_u32_e32 v8, v6, v8
	v_cndmask_b32_e32 v6, v8, v6, vcc
	v_cndmask_b32_e32 v1, v7, v1, vcc
	v_cmp_lt_u32_e32 vcc, 31, v85
	v_mov_b32_dpp v8, v6 row_bcast:31 row_mask:0xf bank_mask:0xf
	v_mov_b32_dpp v7, v1 row_bcast:31 row_mask:0xf bank_mask:0xf
	v_add_u32_e32 v8, v6, v8
	v_add_u32_e32 v9, v1, v7
	v_cndmask_b32_e32 v7, v6, v8, vcc
	v_cndmask_b32_e32 v6, v1, v9, vcc
	v_cmp_eq_u32_e32 vcc, v87, v0
	s_and_saveexec_b64 s[4:5], vcc
	s_cbranch_execz .LBB23_126
; %bb.125:
	v_lshlrev_b32_e32 v1, 3, v86
	ds_write_b64 v1, v[6:7]
.LBB23_126:
	s_or_b64 exec, exec, s[4:5]
	v_cmp_gt_u32_e32 vcc, 4, v0
	s_waitcnt lgkmcnt(0)
	s_barrier
	s_and_saveexec_b64 s[4:5], vcc
	s_cbranch_execz .LBB23_128
; %bb.127:
	v_lshlrev_b32_e32 v1, 3, v0
	ds_read_b64 v[8:9], v1
	v_and_b32_e32 v10, 3, v85
	v_cmp_eq_u32_e32 vcc, 0, v10
	s_waitcnt lgkmcnt(0)
	v_mov_b32_dpp v11, v8 row_shr:1 row_mask:0xf bank_mask:0xf
	v_mov_b32_dpp v24, v9 row_shr:1 row_mask:0xf bank_mask:0xf
	v_add_u32_e32 v11, v11, v8
	v_add_u32_e32 v24, v24, v9
	v_cndmask_b32_e32 v9, v24, v9, vcc
	v_cndmask_b32_e32 v8, v11, v8, vcc
	v_cmp_lt_u32_e32 vcc, 1, v10
	v_mov_b32_dpp v24, v9 row_shr:2 row_mask:0xf bank_mask:0xf
	v_mov_b32_dpp v11, v8 row_shr:2 row_mask:0xf bank_mask:0xf
	v_cndmask_b32_e32 v10, 0, v11, vcc
	v_cndmask_b32_e32 v11, 0, v24, vcc
	v_add_u32_e32 v9, v11, v9
	v_add_u32_e32 v8, v10, v8
	ds_write_b64 v1, v[8:9]
.LBB23_128:
	s_or_b64 exec, exec, s[4:5]
	v_cmp_lt_u32_e32 vcc, 63, v0
	v_mov_b32_e32 v8, 0
	v_mov_b32_e32 v10, 0
	;; [unrolled: 1-line block ×3, first 2 shown]
	s_waitcnt lgkmcnt(0)
	s_barrier
	s_and_saveexec_b64 s[4:5], vcc
	s_cbranch_execz .LBB23_130
; %bb.129:
	v_lshl_add_u32 v1, v86, 3, -8
	ds_read_b64 v[10:11], v1
.LBB23_130:
	s_or_b64 exec, exec, s[4:5]
	s_waitcnt lgkmcnt(0)
	v_add_u32_e32 v9, v11, v7
	v_add_u32_e32 v1, v10, v6
	v_add_u32_e32 v6, -1, v85
	v_and_b32_e32 v7, 64, v85
	v_cmp_lt_i32_e32 vcc, v6, v7
	v_cndmask_b32_e32 v6, v6, v85, vcc
	v_lshlrev_b32_e32 v24, 2, v6
	ds_read_b64 v[6:7], v8 offset:24
	ds_bpermute_b32 v1, v24, v1
	ds_bpermute_b32 v24, v24, v9
	s_waitcnt lgkmcnt(2)
	v_readfirstlane_b32 s6, v7
	s_and_saveexec_b64 s[4:5], s[0:1]
	s_cbranch_execz .LBB23_132
; %bb.131:
	s_add_u32 s8, s50, 0x400
	s_mov_b32 s10, 0
	s_addc_u32 s9, s51, 0
	s_and_b32 s11, s6, 0xff000000
	s_and_b32 s13, s6, 0xff0000
	s_mov_b32 s12, s10
	s_or_b64 s[12:13], s[12:13], s[10:11]
	s_and_b32 s11, s6, 0xff00
	s_or_b64 s[12:13], s[12:13], s[10:11]
	s_and_b32 s11, s6, 0xff
	s_or_b64 s[10:11], s[12:13], s[10:11]
	v_mov_b32_e32 v7, s11
	v_mov_b32_e32 v8, 2
	;; [unrolled: 1-line block ×3, first 2 shown]
	v_pk_mov_b32 v[26:27], s[8:9], s[8:9] op_sel:[0,1]
	;;#ASMSTART
	global_store_dwordx4 v[26:27], v[6:9] off	
s_waitcnt vmcnt(0)
	;;#ASMEND
.LBB23_132:
	s_or_b64 exec, exec, s[4:5]
	v_cmp_eq_u32_e32 vcc, 0, v85
	s_waitcnt lgkmcnt(1)
	v_cndmask_b32_e32 v7, v1, v10, vcc
	s_waitcnt lgkmcnt(0)
	v_cndmask_b32_e32 v1, v24, v11, vcc
	v_mov_b32_e32 v8, 0
	v_cndmask_b32_e64 v1, v1, 0, s[0:1]
	v_cndmask_b32_e64 v10, v7, 0, s[0:1]
	s_barrier
	v_mov_b32_e32 v7, s6
	v_mov_b32_e32 v9, 0
.LBB23_133:
	v_add_u32_e32 v11, v10, v67
	v_add_u32_e32 v26, v1, v68
	;; [unrolled: 1-line block ×13, first 2 shown]
	s_waitcnt vmcnt(0) lgkmcnt(0)
	v_add_co_u32_e32 v2, vcc, v2, v8
	v_add_u32_e32 v68, v62, v74
	v_add_u32_e32 v64, v67, v64
	v_addc_co_u32_e32 v3, vcc, 0, v3, vcc
	v_add_u32_e32 v69, v68, v82
	v_add_u32_e32 v70, v64, v75
	v_sub_co_u32_e32 v24, vcc, v4, v6
	v_add_u32_e32 v71, v69, v76
	v_add_u32_e32 v65, v70, v65
	v_subbrev_co_u32_e32 v25, vcc, 0, v5, vcc
	v_lshlrev_b32_e32 v76, 1, v6
	v_sub_u32_e32 v1, v1, v9
	v_add_u32_e32 v73, v65, v77
	v_add_co_u32_e32 v24, vcc, v24, v9
	v_add_u32_e32 v77, v76, v7
	v_sub_u32_e32 v10, v10, v8
	v_add_u32_e32 v1, v1, v6
	v_addc_co_u32_e32 v25, vcc, 0, v25, vcc
	v_add_u32_e32 v36, v77, v36
	v_and_b32_e32 v38, 1, v38
	v_add_u32_e32 v77, v10, v1
	v_and_b32_e32 v37, 1, v37
	v_sub_u32_e32 v77, v36, v77
	v_cmp_eq_u32_e32 vcc, 1, v38
	v_cndmask_b32_e32 v1, v77, v1, vcc
	v_cmp_eq_u32_e32 vcc, 1, v37
	v_cndmask_b32_e32 v1, v1, v10, vcc
	v_lshlrev_b32_e32 v1, 2, v1
	ds_write_b32 v1, v22
	v_sub_u32_e32 v1, v11, v8
	v_sub_u32_e32 v11, v26, v9
	v_add_u32_e32 v11, v11, v6
	v_add_u32_e32 v26, v11, v1
	v_and_b32_e32 v22, 1, v40
	v_sub_u32_e32 v26, v36, v26
	v_and_b32_e32 v10, 1, v39
	v_add_u32_e32 v26, 1, v26
	v_cmp_eq_u32_e32 vcc, 1, v22
	v_cndmask_b32_e32 v11, v26, v11, vcc
	v_cmp_eq_u32_e32 vcc, 1, v10
	v_cndmask_b32_e32 v1, v11, v1, vcc
	v_lshlrev_b32_e32 v1, 2, v1
	v_sub_u32_e32 v11, v27, v9
	ds_write_b32 v1, v23
	v_sub_u32_e32 v1, v28, v8
	v_add_u32_e32 v11, v11, v6
	v_add_u32_e32 v23, v11, v1
	v_and_b32_e32 v22, 1, v42
	v_sub_u32_e32 v23, v36, v23
	v_and_b32_e32 v10, 1, v41
	v_add_u32_e32 v23, 2, v23
	v_cmp_eq_u32_e32 vcc, 1, v22
	v_cndmask_b32_e32 v11, v23, v11, vcc
	v_cmp_eq_u32_e32 vcc, 1, v10
	v_cndmask_b32_e32 v1, v11, v1, vcc
	v_lshlrev_b32_e32 v1, 2, v1
	v_sub_u32_e32 v11, v30, v9
	ds_write_b32 v1, v20
	;; [unrolled: 14-line block ×8, first 2 shown]
	v_sub_u32_e32 v1, v70, v8
	v_add_u32_e32 v11, v11, v6
	v_add_u32_e32 v16, v1, v11
	v_and_b32_e32 v14, 1, v55
	v_sub_u32_e32 v16, v36, v16
	v_and_b32_e32 v10, 1, v56
	v_add_u32_e32 v16, 9, v16
	v_cmp_eq_u32_e32 vcc, 1, v14
	v_cndmask_b32_e32 v11, v16, v11, vcc
	v_cmp_eq_u32_e32 vcc, 1, v10
	v_add_u32_e32 v72, v71, v83
	v_cndmask_b32_e32 v1, v11, v1, vcc
	v_lshlrev_b32_e32 v1, 2, v1
	v_sub_u32_e32 v11, v72, v9
	ds_write_b32 v1, v15
	v_sub_u32_e32 v1, v65, v8
	v_add_u32_e32 v11, v11, v6
	v_add_u32_e32 v15, v1, v11
	v_and_b32_e32 v14, 1, v57
	v_sub_u32_e32 v15, v36, v15
	v_and_b32_e32 v10, 1, v58
	v_add_u32_e32 v15, 10, v15
	v_cmp_eq_u32_e32 vcc, 1, v14
	v_cndmask_b32_e32 v11, v15, v11, vcc
	v_cmp_eq_u32_e32 vcc, 1, v10
	v_add_u32_e32 v74, v72, v78
	v_cndmask_b32_e32 v1, v11, v1, vcc
	v_lshlrev_b32_e32 v1, 2, v1
	v_sub_u32_e32 v11, v74, v9
	ds_write_b32 v1, v12
	v_sub_u32_e32 v1, v73, v8
	v_add_u32_e32 v11, v11, v6
	v_add_u32_e32 v14, v1, v11
	v_and_b32_e32 v12, 1, v59
	v_sub_u32_e32 v14, v36, v14
	v_and_b32_e32 v10, 1, v60
	v_add_u32_e32 v14, 11, v14
	v_cmp_eq_u32_e32 vcc, 1, v12
	v_cndmask_b32_e32 v11, v14, v11, vcc
	v_cmp_eq_u32_e32 vcc, 1, v10
	v_cndmask_b32_e32 v1, v11, v1, vcc
	v_add_u32_e32 v75, v74, v84
	v_add_u32_e32 v66, v73, v66
	v_lshlrev_b32_e32 v1, 2, v1
	ds_write_b32 v1, v13
	v_sub_u32_e32 v1, v66, v8
	v_sub_u32_e32 v8, v75, v9
	v_add_u32_e32 v8, v8, v6
	v_add_u32_e32 v10, v1, v8
	v_sub_u32_e32 v10, v36, v10
	v_add_u32_e32 v10, 12, v10
	v_cndmask_b32_e64 v8, v10, v8, s[54:55]
	v_cndmask_b32_e64 v1, v8, v1, s[52:53]
	v_lshlrev_b32_e32 v1, 2, v1
	ds_write_b32 v1, v35
	v_mov_b32_e32 v1, s49
	v_add_co_u32_e32 v8, vcc, s48, v34
	v_addc_co_u32_e32 v10, vcc, 0, v1, vcc
	v_add_co_u32_e32 v1, vcc, v7, v76
	v_addc_co_u32_e64 v11, s[4:5], 0, 0, vcc
	v_add_co_u32_e32 v1, vcc, v1, v24
	v_addc_co_u32_e32 v11, vcc, v11, v25, vcc
	v_add_co_u32_e32 v1, vcc, v1, v2
	v_addc_co_u32_e32 v11, vcc, v11, v3, vcc
	v_sub_co_u32_e32 v1, vcc, v8, v1
	v_subb_co_u32_e32 v8, vcc, v10, v11, vcc
	v_lshlrev_b64 v[10:11], 2, v[24:25]
	v_mov_b32_e32 v12, s47
	v_add_co_u32_e32 v10, vcc, s46, v10
	v_addc_co_u32_e32 v11, vcc, v12, v11, vcc
	v_lshlrev_b64 v[12:13], 2, v[2:3]
	v_mov_b32_e32 v15, s45
	v_add_co_u32_e32 v12, vcc, s44, v12
	s_add_u32 s8, s34, -4
	v_addc_co_u32_e32 v13, vcc, v15, v13, vcc
	s_addc_u32 s9, s35, -1
	v_add_u32_e32 v14, v6, v7
	s_and_b64 vcc, exec, s[2:3]
	s_mov_b64 s[2:3], -1
	s_waitcnt lgkmcnt(0)
	s_barrier
	s_cbranch_vccz .LBB23_137
; %bb.134:
	s_and_b64 vcc, exec, s[2:3]
	s_cbranch_vccnz .LBB23_242
.LBB23_135:
	s_and_b64 s[0:1], s[0:1], s[30:31]
	s_and_saveexec_b64 s[2:3], s[0:1]
	s_cbranch_execnz .LBB23_360
.LBB23_136:
	s_endpgm
.LBB23_137:
	v_cmp_le_u32_e32 vcc, v6, v0
	s_and_saveexec_b64 s[2:3], vcc
	s_xor_b64 s[2:3], exec, s[2:3]
	s_cbranch_execz .LBB23_143
; %bb.138:
	v_cmp_le_u32_e32 vcc, v14, v0
	s_and_saveexec_b64 s[4:5], vcc
	s_xor_b64 s[4:5], exec, s[4:5]
	s_cbranch_execz .LBB23_140
; %bb.139:
	v_lshlrev_b32_e32 v15, 2, v0
	v_add_co_u32_e32 v16, vcc, v1, v0
	ds_read_b32 v15, v15
	v_addc_co_u32_e32 v17, vcc, 0, v8, vcc
	v_lshlrev_b64 v[16:17], 2, v[16:17]
	v_mov_b32_e32 v18, s35
	v_sub_co_u32_e32 v16, vcc, s34, v16
	v_subb_co_u32_e32 v17, vcc, v18, v17, vcc
	s_waitcnt lgkmcnt(0)
	global_store_dword v[16:17], v15, off offset:-4
.LBB23_140:
	s_andn2_saveexec_b64 s[4:5], s[4:5]
	s_cbranch_execz .LBB23_142
; %bb.141:
	v_lshlrev_b32_e32 v15, 2, v0
	ds_read_b32 v16, v15
	v_readfirstlane_b32 s6, v10
	v_readfirstlane_b32 s7, v11
	s_waitcnt lgkmcnt(0)
	s_nop 3
	global_store_dword v15, v16, s[6:7]
.LBB23_142:
	s_or_b64 exec, exec, s[4:5]
.LBB23_143:
	s_andn2_saveexec_b64 s[2:3], s[2:3]
	s_cbranch_execz .LBB23_145
; %bb.144:
	v_lshlrev_b32_e32 v15, 2, v0
	ds_read_b32 v16, v15
	v_readfirstlane_b32 s4, v12
	v_readfirstlane_b32 s5, v13
	s_waitcnt lgkmcnt(0)
	s_nop 3
	global_store_dword v15, v16, s[4:5]
.LBB23_145:
	s_or_b64 exec, exec, s[2:3]
	v_or_b32_e32 v15, 0x100, v0
	v_cmp_le_u32_e32 vcc, v6, v15
	s_and_saveexec_b64 s[2:3], vcc
	s_xor_b64 s[2:3], exec, s[2:3]
	s_cbranch_execz .LBB23_151
; %bb.146:
	v_cmp_le_u32_e32 vcc, v14, v15
	s_and_saveexec_b64 s[4:5], vcc
	s_xor_b64 s[4:5], exec, s[4:5]
	s_cbranch_execz .LBB23_148
; %bb.147:
	v_lshlrev_b32_e32 v15, 2, v0
	ds_read_b32 v15, v15 offset:1024
	v_add_co_u32_e32 v16, vcc, v1, v0
	v_addc_co_u32_e32 v17, vcc, 0, v8, vcc
	v_lshlrev_b64 v[16:17], 2, v[16:17]
	v_mov_b32_e32 v18, s9
	v_sub_co_u32_e32 v16, vcc, s8, v16
	v_subb_co_u32_e32 v17, vcc, v18, v17, vcc
	s_waitcnt lgkmcnt(0)
	global_store_dword v[16:17], v15, off offset:-1024
.LBB23_148:
	s_andn2_saveexec_b64 s[4:5], s[4:5]
	s_cbranch_execz .LBB23_150
; %bb.149:
	v_lshlrev_b32_e32 v15, 2, v0
	ds_read_b32 v16, v15 offset:1024
	v_readfirstlane_b32 s6, v10
	v_readfirstlane_b32 s7, v11
	s_waitcnt lgkmcnt(0)
	s_nop 3
	global_store_dword v15, v16, s[6:7] offset:1024
.LBB23_150:
	s_or_b64 exec, exec, s[4:5]
.LBB23_151:
	s_andn2_saveexec_b64 s[2:3], s[2:3]
	s_cbranch_execz .LBB23_153
; %bb.152:
	v_lshlrev_b32_e32 v15, 2, v0
	ds_read_b32 v16, v15 offset:1024
	v_readfirstlane_b32 s4, v12
	v_readfirstlane_b32 s5, v13
	s_waitcnt lgkmcnt(0)
	s_nop 3
	global_store_dword v15, v16, s[4:5] offset:1024
.LBB23_153:
	s_or_b64 exec, exec, s[2:3]
	v_or_b32_e32 v15, 0x200, v0
	v_cmp_le_u32_e32 vcc, v6, v15
	s_and_saveexec_b64 s[2:3], vcc
	s_xor_b64 s[2:3], exec, s[2:3]
	s_cbranch_execz .LBB23_159
; %bb.154:
	v_cmp_le_u32_e32 vcc, v14, v15
	s_and_saveexec_b64 s[4:5], vcc
	s_xor_b64 s[4:5], exec, s[4:5]
	s_cbranch_execz .LBB23_156
; %bb.155:
	v_lshlrev_b32_e32 v15, 2, v0
	ds_read_b32 v15, v15 offset:2048
	v_add_co_u32_e32 v16, vcc, v1, v0
	v_addc_co_u32_e32 v17, vcc, 0, v8, vcc
	v_lshlrev_b64 v[16:17], 2, v[16:17]
	v_mov_b32_e32 v18, s9
	v_sub_co_u32_e32 v16, vcc, s8, v16
	v_subb_co_u32_e32 v17, vcc, v18, v17, vcc
	s_waitcnt lgkmcnt(0)
	global_store_dword v[16:17], v15, off offset:-2048
.LBB23_156:
	s_andn2_saveexec_b64 s[4:5], s[4:5]
	s_cbranch_execz .LBB23_158
; %bb.157:
	v_lshlrev_b32_e32 v15, 2, v0
	ds_read_b32 v16, v15 offset:2048
	v_readfirstlane_b32 s6, v10
	v_readfirstlane_b32 s7, v11
	s_waitcnt lgkmcnt(0)
	s_nop 3
	global_store_dword v15, v16, s[6:7] offset:2048
.LBB23_158:
	s_or_b64 exec, exec, s[4:5]
.LBB23_159:
	s_andn2_saveexec_b64 s[2:3], s[2:3]
	s_cbranch_execz .LBB23_161
; %bb.160:
	v_lshlrev_b32_e32 v15, 2, v0
	ds_read_b32 v16, v15 offset:2048
	v_readfirstlane_b32 s4, v12
	v_readfirstlane_b32 s5, v13
	s_waitcnt lgkmcnt(0)
	s_nop 3
	global_store_dword v15, v16, s[4:5] offset:2048
.LBB23_161:
	;; [unrolled: 47-line block ×3, first 2 shown]
	s_or_b64 exec, exec, s[2:3]
	v_or_b32_e32 v15, 0x400, v0
	v_cmp_le_u32_e32 vcc, v6, v15
	s_and_saveexec_b64 s[2:3], vcc
	s_xor_b64 s[2:3], exec, s[2:3]
	s_cbranch_execz .LBB23_175
; %bb.170:
	v_cmp_le_u32_e32 vcc, v14, v15
	s_and_saveexec_b64 s[4:5], vcc
	s_xor_b64 s[4:5], exec, s[4:5]
	s_cbranch_execz .LBB23_172
; %bb.171:
	v_lshlrev_b32_e32 v15, 2, v0
	ds_read_b32 v15, v15 offset:4096
	v_add_co_u32_e32 v16, vcc, v1, v0
	v_addc_co_u32_e32 v17, vcc, 0, v8, vcc
	v_lshlrev_b64 v[16:17], 2, v[16:17]
	v_mov_b32_e32 v18, s9
	v_sub_co_u32_e32 v16, vcc, s8, v16
	v_subb_co_u32_e32 v17, vcc, v18, v17, vcc
	s_waitcnt lgkmcnt(0)
	global_store_dword v[16:17], v15, off offset:-4096
                                        ; implicit-def: $vgpr15
.LBB23_172:
	s_andn2_saveexec_b64 s[4:5], s[4:5]
	s_cbranch_execz .LBB23_174
; %bb.173:
	v_lshlrev_b32_e32 v16, 2, v0
	ds_read_b32 v16, v16 offset:4096
	v_lshlrev_b32_e32 v15, 2, v15
	v_readfirstlane_b32 s6, v10
	v_readfirstlane_b32 s7, v11
	s_waitcnt lgkmcnt(0)
	s_nop 3
	global_store_dword v15, v16, s[6:7]
.LBB23_174:
	s_or_b64 exec, exec, s[4:5]
                                        ; implicit-def: $vgpr15
.LBB23_175:
	s_andn2_saveexec_b64 s[2:3], s[2:3]
	s_cbranch_execz .LBB23_177
; %bb.176:
	v_lshlrev_b32_e32 v16, 2, v0
	ds_read_b32 v16, v16 offset:4096
	v_lshlrev_b32_e32 v15, 2, v15
	v_readfirstlane_b32 s4, v12
	v_readfirstlane_b32 s5, v13
	s_waitcnt lgkmcnt(0)
	s_nop 3
	global_store_dword v15, v16, s[4:5]
.LBB23_177:
	s_or_b64 exec, exec, s[2:3]
	v_or_b32_e32 v15, 0x500, v0
	v_cmp_le_u32_e32 vcc, v6, v15
	s_and_saveexec_b64 s[2:3], vcc
	s_xor_b64 s[2:3], exec, s[2:3]
	s_cbranch_execz .LBB23_183
; %bb.178:
	v_cmp_le_u32_e32 vcc, v14, v15
	s_and_saveexec_b64 s[4:5], vcc
	s_xor_b64 s[4:5], exec, s[4:5]
	s_cbranch_execz .LBB23_180
; %bb.179:
	v_add_co_u32_e32 v16, vcc, v1, v15
	v_lshlrev_b32_e32 v15, 2, v0
	ds_read_b32 v15, v15 offset:5120
	v_addc_co_u32_e32 v17, vcc, 0, v8, vcc
	v_lshlrev_b64 v[16:17], 2, v[16:17]
	v_mov_b32_e32 v18, s9
	v_sub_co_u32_e32 v16, vcc, s8, v16
	v_subb_co_u32_e32 v17, vcc, v18, v17, vcc
	s_waitcnt lgkmcnt(0)
	global_store_dword v[16:17], v15, off
                                        ; implicit-def: $vgpr15
.LBB23_180:
	s_andn2_saveexec_b64 s[4:5], s[4:5]
	s_cbranch_execz .LBB23_182
; %bb.181:
	v_lshlrev_b32_e32 v16, 2, v0
	ds_read_b32 v16, v16 offset:5120
	v_lshlrev_b32_e32 v15, 2, v15
	v_readfirstlane_b32 s6, v10
	v_readfirstlane_b32 s7, v11
	s_waitcnt lgkmcnt(0)
	s_nop 3
	global_store_dword v15, v16, s[6:7]
.LBB23_182:
	s_or_b64 exec, exec, s[4:5]
                                        ; implicit-def: $vgpr15
.LBB23_183:
	s_andn2_saveexec_b64 s[2:3], s[2:3]
	s_cbranch_execz .LBB23_185
; %bb.184:
	v_lshlrev_b32_e32 v16, 2, v0
	ds_read_b32 v16, v16 offset:5120
	v_lshlrev_b32_e32 v15, 2, v15
	v_readfirstlane_b32 s4, v12
	v_readfirstlane_b32 s5, v13
	s_waitcnt lgkmcnt(0)
	s_nop 3
	global_store_dword v15, v16, s[4:5]
.LBB23_185:
	s_or_b64 exec, exec, s[2:3]
	v_or_b32_e32 v15, 0x600, v0
	v_cmp_le_u32_e32 vcc, v6, v15
	s_and_saveexec_b64 s[2:3], vcc
	s_xor_b64 s[2:3], exec, s[2:3]
	s_cbranch_execz .LBB23_191
; %bb.186:
	v_cmp_le_u32_e32 vcc, v14, v15
	s_and_saveexec_b64 s[4:5], vcc
	s_xor_b64 s[4:5], exec, s[4:5]
	s_cbranch_execz .LBB23_188
; %bb.187:
	v_add_co_u32_e32 v16, vcc, v1, v15
	v_lshlrev_b32_e32 v15, 2, v0
	ds_read_b32 v15, v15 offset:6144
	v_addc_co_u32_e32 v17, vcc, 0, v8, vcc
	v_lshlrev_b64 v[16:17], 2, v[16:17]
	v_mov_b32_e32 v18, s9
	v_sub_co_u32_e32 v16, vcc, s8, v16
	v_subb_co_u32_e32 v17, vcc, v18, v17, vcc
	s_waitcnt lgkmcnt(0)
	global_store_dword v[16:17], v15, off
                                        ; implicit-def: $vgpr15
.LBB23_188:
	s_andn2_saveexec_b64 s[4:5], s[4:5]
	s_cbranch_execz .LBB23_190
; %bb.189:
	v_lshlrev_b32_e32 v16, 2, v0
	ds_read_b32 v16, v16 offset:6144
	v_lshlrev_b32_e32 v15, 2, v15
	v_readfirstlane_b32 s6, v10
	v_readfirstlane_b32 s7, v11
	s_waitcnt lgkmcnt(0)
	s_nop 3
	global_store_dword v15, v16, s[6:7]
.LBB23_190:
	s_or_b64 exec, exec, s[4:5]
                                        ; implicit-def: $vgpr15
.LBB23_191:
	;; [unrolled: 51-line block ×8, first 2 shown]
	s_andn2_saveexec_b64 s[2:3], s[2:3]
	s_cbranch_execz .LBB23_241
; %bb.240:
	v_lshlrev_b32_e32 v16, 2, v0
	ds_read_b32 v16, v16 offset:12288
	v_lshlrev_b32_e32 v15, 2, v15
	v_readfirstlane_b32 s4, v12
	v_readfirstlane_b32 s5, v13
	s_waitcnt lgkmcnt(0)
	s_nop 3
	global_store_dword v15, v16, s[4:5]
.LBB23_241:
	s_or_b64 exec, exec, s[2:3]
	s_branch .LBB23_135
.LBB23_242:
	v_cmp_gt_u32_e32 vcc, s16, v0
	s_and_saveexec_b64 s[2:3], vcc
	s_cbranch_execz .LBB23_251
; %bb.243:
	v_cmp_le_u32_e32 vcc, v6, v0
	s_and_saveexec_b64 s[4:5], vcc
	s_xor_b64 s[4:5], exec, s[4:5]
	s_cbranch_execz .LBB23_249
; %bb.244:
	v_cmp_le_u32_e32 vcc, v14, v0
	s_and_saveexec_b64 s[6:7], vcc
	s_xor_b64 s[6:7], exec, s[6:7]
	s_cbranch_execz .LBB23_246
; %bb.245:
	v_lshlrev_b32_e32 v15, 2, v0
	v_add_co_u32_e32 v16, vcc, v1, v0
	ds_read_b32 v15, v15
	v_addc_co_u32_e32 v17, vcc, 0, v8, vcc
	v_lshlrev_b64 v[16:17], 2, v[16:17]
	v_mov_b32_e32 v18, s35
	v_sub_co_u32_e32 v16, vcc, s34, v16
	v_subb_co_u32_e32 v17, vcc, v18, v17, vcc
	s_waitcnt lgkmcnt(0)
	global_store_dword v[16:17], v15, off offset:-4
.LBB23_246:
	s_andn2_saveexec_b64 s[6:7], s[6:7]
	s_cbranch_execz .LBB23_248
; %bb.247:
	v_lshlrev_b32_e32 v15, 2, v0
	ds_read_b32 v16, v15
	v_readfirstlane_b32 s10, v10
	v_readfirstlane_b32 s11, v11
	s_waitcnt lgkmcnt(0)
	s_nop 3
	global_store_dword v15, v16, s[10:11]
.LBB23_248:
	s_or_b64 exec, exec, s[6:7]
.LBB23_249:
	s_andn2_saveexec_b64 s[4:5], s[4:5]
	s_cbranch_execz .LBB23_251
; %bb.250:
	v_lshlrev_b32_e32 v15, 2, v0
	ds_read_b32 v16, v15
	v_readfirstlane_b32 s4, v12
	v_readfirstlane_b32 s5, v13
	s_waitcnt lgkmcnt(0)
	s_nop 3
	global_store_dword v15, v16, s[4:5]
.LBB23_251:
	s_or_b64 exec, exec, s[2:3]
	v_or_b32_e32 v15, 0x100, v0
	v_cmp_gt_u32_e32 vcc, s16, v15
	s_and_saveexec_b64 s[2:3], vcc
	s_cbranch_execz .LBB23_260
; %bb.252:
	v_cmp_le_u32_e32 vcc, v6, v15
	s_and_saveexec_b64 s[4:5], vcc
	s_xor_b64 s[4:5], exec, s[4:5]
	s_cbranch_execz .LBB23_258
; %bb.253:
	v_cmp_le_u32_e32 vcc, v14, v15
	s_and_saveexec_b64 s[6:7], vcc
	s_xor_b64 s[6:7], exec, s[6:7]
	s_cbranch_execz .LBB23_255
; %bb.254:
	v_lshlrev_b32_e32 v15, 2, v0
	ds_read_b32 v15, v15 offset:1024
	v_add_co_u32_e32 v16, vcc, v1, v0
	v_addc_co_u32_e32 v17, vcc, 0, v8, vcc
	v_lshlrev_b64 v[16:17], 2, v[16:17]
	v_mov_b32_e32 v18, s9
	v_sub_co_u32_e32 v16, vcc, s8, v16
	v_subb_co_u32_e32 v17, vcc, v18, v17, vcc
	s_waitcnt lgkmcnt(0)
	global_store_dword v[16:17], v15, off offset:-1024
.LBB23_255:
	s_andn2_saveexec_b64 s[6:7], s[6:7]
	s_cbranch_execz .LBB23_257
; %bb.256:
	v_lshlrev_b32_e32 v15, 2, v0
	ds_read_b32 v16, v15 offset:1024
	v_readfirstlane_b32 s10, v10
	v_readfirstlane_b32 s11, v11
	s_waitcnt lgkmcnt(0)
	s_nop 3
	global_store_dword v15, v16, s[10:11] offset:1024
.LBB23_257:
	s_or_b64 exec, exec, s[6:7]
.LBB23_258:
	s_andn2_saveexec_b64 s[4:5], s[4:5]
	s_cbranch_execz .LBB23_260
; %bb.259:
	v_lshlrev_b32_e32 v15, 2, v0
	ds_read_b32 v16, v15 offset:1024
	v_readfirstlane_b32 s4, v12
	v_readfirstlane_b32 s5, v13
	s_waitcnt lgkmcnt(0)
	s_nop 3
	global_store_dword v15, v16, s[4:5] offset:1024
.LBB23_260:
	s_or_b64 exec, exec, s[2:3]
	v_or_b32_e32 v15, 0x200, v0
	v_cmp_gt_u32_e32 vcc, s16, v15
	s_and_saveexec_b64 s[2:3], vcc
	s_cbranch_execz .LBB23_269
; %bb.261:
	v_cmp_le_u32_e32 vcc, v6, v15
	s_and_saveexec_b64 s[4:5], vcc
	s_xor_b64 s[4:5], exec, s[4:5]
	s_cbranch_execz .LBB23_267
; %bb.262:
	v_cmp_le_u32_e32 vcc, v14, v15
	s_and_saveexec_b64 s[6:7], vcc
	s_xor_b64 s[6:7], exec, s[6:7]
	s_cbranch_execz .LBB23_264
; %bb.263:
	v_lshlrev_b32_e32 v15, 2, v0
	ds_read_b32 v15, v15 offset:2048
	v_add_co_u32_e32 v16, vcc, v1, v0
	v_addc_co_u32_e32 v17, vcc, 0, v8, vcc
	v_lshlrev_b64 v[16:17], 2, v[16:17]
	v_mov_b32_e32 v18, s9
	v_sub_co_u32_e32 v16, vcc, s8, v16
	v_subb_co_u32_e32 v17, vcc, v18, v17, vcc
	s_waitcnt lgkmcnt(0)
	global_store_dword v[16:17], v15, off offset:-2048
.LBB23_264:
	s_andn2_saveexec_b64 s[6:7], s[6:7]
	s_cbranch_execz .LBB23_266
; %bb.265:
	v_lshlrev_b32_e32 v15, 2, v0
	ds_read_b32 v16, v15 offset:2048
	v_readfirstlane_b32 s10, v10
	v_readfirstlane_b32 s11, v11
	s_waitcnt lgkmcnt(0)
	s_nop 3
	global_store_dword v15, v16, s[10:11] offset:2048
.LBB23_266:
	s_or_b64 exec, exec, s[6:7]
.LBB23_267:
	s_andn2_saveexec_b64 s[4:5], s[4:5]
	s_cbranch_execz .LBB23_269
; %bb.268:
	v_lshlrev_b32_e32 v15, 2, v0
	ds_read_b32 v16, v15 offset:2048
	v_readfirstlane_b32 s4, v12
	v_readfirstlane_b32 s5, v13
	s_waitcnt lgkmcnt(0)
	s_nop 3
	global_store_dword v15, v16, s[4:5] offset:2048
.LBB23_269:
	;; [unrolled: 51-line block ×3, first 2 shown]
	s_or_b64 exec, exec, s[2:3]
	v_or_b32_e32 v15, 0x400, v0
	v_cmp_gt_u32_e32 vcc, s16, v15
	s_and_saveexec_b64 s[2:3], vcc
	s_cbranch_execz .LBB23_287
; %bb.279:
	v_cmp_le_u32_e32 vcc, v6, v15
	s_and_saveexec_b64 s[4:5], vcc
	s_xor_b64 s[4:5], exec, s[4:5]
	s_cbranch_execz .LBB23_285
; %bb.280:
	v_cmp_le_u32_e32 vcc, v14, v15
	s_and_saveexec_b64 s[6:7], vcc
	s_xor_b64 s[6:7], exec, s[6:7]
	s_cbranch_execz .LBB23_282
; %bb.281:
	v_lshlrev_b32_e32 v15, 2, v0
	ds_read_b32 v15, v15 offset:4096
	v_add_co_u32_e32 v16, vcc, v1, v0
	v_addc_co_u32_e32 v17, vcc, 0, v8, vcc
	v_lshlrev_b64 v[16:17], 2, v[16:17]
	v_mov_b32_e32 v18, s9
	v_sub_co_u32_e32 v16, vcc, s8, v16
	v_subb_co_u32_e32 v17, vcc, v18, v17, vcc
	s_waitcnt lgkmcnt(0)
	global_store_dword v[16:17], v15, off offset:-4096
                                        ; implicit-def: $vgpr15
.LBB23_282:
	s_andn2_saveexec_b64 s[6:7], s[6:7]
	s_cbranch_execz .LBB23_284
; %bb.283:
	v_lshlrev_b32_e32 v16, 2, v0
	ds_read_b32 v16, v16 offset:4096
	v_lshlrev_b32_e32 v15, 2, v15
	v_readfirstlane_b32 s10, v10
	v_readfirstlane_b32 s11, v11
	s_waitcnt lgkmcnt(0)
	s_nop 3
	global_store_dword v15, v16, s[10:11]
.LBB23_284:
	s_or_b64 exec, exec, s[6:7]
                                        ; implicit-def: $vgpr15
.LBB23_285:
	s_andn2_saveexec_b64 s[4:5], s[4:5]
	s_cbranch_execz .LBB23_287
; %bb.286:
	v_lshlrev_b32_e32 v16, 2, v0
	ds_read_b32 v16, v16 offset:4096
	v_lshlrev_b32_e32 v15, 2, v15
	v_readfirstlane_b32 s4, v12
	v_readfirstlane_b32 s5, v13
	s_waitcnt lgkmcnt(0)
	s_nop 3
	global_store_dword v15, v16, s[4:5]
.LBB23_287:
	s_or_b64 exec, exec, s[2:3]
	v_or_b32_e32 v15, 0x500, v0
	v_cmp_gt_u32_e32 vcc, s16, v15
	s_and_saveexec_b64 s[2:3], vcc
	s_cbranch_execz .LBB23_296
; %bb.288:
	v_cmp_le_u32_e32 vcc, v6, v15
	s_and_saveexec_b64 s[4:5], vcc
	s_xor_b64 s[4:5], exec, s[4:5]
	s_cbranch_execz .LBB23_294
; %bb.289:
	v_cmp_le_u32_e32 vcc, v14, v15
	s_and_saveexec_b64 s[6:7], vcc
	s_xor_b64 s[6:7], exec, s[6:7]
	s_cbranch_execz .LBB23_291
; %bb.290:
	v_add_co_u32_e32 v16, vcc, v1, v15
	v_lshlrev_b32_e32 v15, 2, v0
	ds_read_b32 v15, v15 offset:5120
	v_addc_co_u32_e32 v17, vcc, 0, v8, vcc
	v_lshlrev_b64 v[16:17], 2, v[16:17]
	v_mov_b32_e32 v18, s9
	v_sub_co_u32_e32 v16, vcc, s8, v16
	v_subb_co_u32_e32 v17, vcc, v18, v17, vcc
	s_waitcnt lgkmcnt(0)
	global_store_dword v[16:17], v15, off
                                        ; implicit-def: $vgpr15
.LBB23_291:
	s_andn2_saveexec_b64 s[6:7], s[6:7]
	s_cbranch_execz .LBB23_293
; %bb.292:
	v_lshlrev_b32_e32 v16, 2, v0
	ds_read_b32 v16, v16 offset:5120
	v_lshlrev_b32_e32 v15, 2, v15
	v_readfirstlane_b32 s10, v10
	v_readfirstlane_b32 s11, v11
	s_waitcnt lgkmcnt(0)
	s_nop 3
	global_store_dword v15, v16, s[10:11]
.LBB23_293:
	s_or_b64 exec, exec, s[6:7]
                                        ; implicit-def: $vgpr15
.LBB23_294:
	s_andn2_saveexec_b64 s[4:5], s[4:5]
	s_cbranch_execz .LBB23_296
; %bb.295:
	v_lshlrev_b32_e32 v16, 2, v0
	ds_read_b32 v16, v16 offset:5120
	v_lshlrev_b32_e32 v15, 2, v15
	v_readfirstlane_b32 s4, v12
	v_readfirstlane_b32 s5, v13
	s_waitcnt lgkmcnt(0)
	s_nop 3
	global_store_dword v15, v16, s[4:5]
.LBB23_296:
	s_or_b64 exec, exec, s[2:3]
	v_or_b32_e32 v15, 0x600, v0
	v_cmp_gt_u32_e32 vcc, s16, v15
	s_and_saveexec_b64 s[2:3], vcc
	s_cbranch_execz .LBB23_305
; %bb.297:
	v_cmp_le_u32_e32 vcc, v6, v15
	s_and_saveexec_b64 s[4:5], vcc
	s_xor_b64 s[4:5], exec, s[4:5]
	s_cbranch_execz .LBB23_303
; %bb.298:
	v_cmp_le_u32_e32 vcc, v14, v15
	s_and_saveexec_b64 s[6:7], vcc
	s_xor_b64 s[6:7], exec, s[6:7]
	s_cbranch_execz .LBB23_300
; %bb.299:
	v_add_co_u32_e32 v16, vcc, v1, v15
	v_lshlrev_b32_e32 v15, 2, v0
	ds_read_b32 v15, v15 offset:6144
	v_addc_co_u32_e32 v17, vcc, 0, v8, vcc
	v_lshlrev_b64 v[16:17], 2, v[16:17]
	v_mov_b32_e32 v18, s9
	v_sub_co_u32_e32 v16, vcc, s8, v16
	v_subb_co_u32_e32 v17, vcc, v18, v17, vcc
	s_waitcnt lgkmcnt(0)
	global_store_dword v[16:17], v15, off
                                        ; implicit-def: $vgpr15
.LBB23_300:
	s_andn2_saveexec_b64 s[6:7], s[6:7]
	s_cbranch_execz .LBB23_302
; %bb.301:
	v_lshlrev_b32_e32 v16, 2, v0
	ds_read_b32 v16, v16 offset:6144
	v_lshlrev_b32_e32 v15, 2, v15
	v_readfirstlane_b32 s10, v10
	v_readfirstlane_b32 s11, v11
	s_waitcnt lgkmcnt(0)
	s_nop 3
	global_store_dword v15, v16, s[10:11]
.LBB23_302:
	s_or_b64 exec, exec, s[6:7]
                                        ; implicit-def: $vgpr15
.LBB23_303:
	s_andn2_saveexec_b64 s[4:5], s[4:5]
	s_cbranch_execz .LBB23_305
; %bb.304:
	v_lshlrev_b32_e32 v16, 2, v0
	ds_read_b32 v16, v16 offset:6144
	v_lshlrev_b32_e32 v15, 2, v15
	v_readfirstlane_b32 s4, v12
	v_readfirstlane_b32 s5, v13
	s_waitcnt lgkmcnt(0)
	s_nop 3
	global_store_dword v15, v16, s[4:5]
.LBB23_305:
	;; [unrolled: 55-line block ×7, first 2 shown]
	s_or_b64 exec, exec, s[2:3]
	v_or_b32_e32 v15, 0xc00, v0
	v_cmp_gt_u32_e32 vcc, s16, v15
	s_and_saveexec_b64 s[2:3], vcc
	s_cbranch_execz .LBB23_359
; %bb.351:
	v_cmp_le_u32_e32 vcc, v6, v15
	s_and_saveexec_b64 s[4:5], vcc
	s_xor_b64 s[4:5], exec, s[4:5]
	s_cbranch_execz .LBB23_357
; %bb.352:
	v_cmp_le_u32_e32 vcc, v14, v15
	s_and_saveexec_b64 s[6:7], vcc
	s_xor_b64 s[6:7], exec, s[6:7]
	s_cbranch_execz .LBB23_354
; %bb.353:
	v_add_co_u32_e32 v10, vcc, v1, v15
	v_lshlrev_b32_e32 v0, 2, v0
	v_addc_co_u32_e32 v11, vcc, 0, v8, vcc
	ds_read_b32 v8, v0 offset:12288
	v_lshlrev_b64 v[0:1], 2, v[10:11]
	v_mov_b32_e32 v10, s9
	v_sub_co_u32_e32 v0, vcc, s8, v0
	v_subb_co_u32_e32 v1, vcc, v10, v1, vcc
	s_waitcnt lgkmcnt(0)
	global_store_dword v[0:1], v8, off
                                        ; implicit-def: $vgpr0
                                        ; implicit-def: $vgpr15
                                        ; implicit-def: $vgpr10_vgpr11
.LBB23_354:
	s_andn2_saveexec_b64 s[6:7], s[6:7]
	s_cbranch_execz .LBB23_356
; %bb.355:
	v_lshlrev_b32_e32 v0, 2, v0
	ds_read_b32 v0, v0 offset:12288
	v_lshlrev_b32_e32 v1, 2, v15
	v_readfirstlane_b32 s8, v10
	v_readfirstlane_b32 s9, v11
	s_waitcnt lgkmcnt(0)
	s_nop 3
	global_store_dword v1, v0, s[8:9]
.LBB23_356:
	s_or_b64 exec, exec, s[6:7]
                                        ; implicit-def: $vgpr0
                                        ; implicit-def: $vgpr15
                                        ; implicit-def: $vgpr12_vgpr13
.LBB23_357:
	s_andn2_saveexec_b64 s[4:5], s[4:5]
	s_cbranch_execz .LBB23_359
; %bb.358:
	v_lshlrev_b32_e32 v0, 2, v0
	ds_read_b32 v0, v0 offset:12288
	v_lshlrev_b32_e32 v1, 2, v15
	v_readfirstlane_b32 s4, v12
	v_readfirstlane_b32 s5, v13
	s_waitcnt lgkmcnt(0)
	s_nop 3
	global_store_dword v1, v0, s[4:5]
.LBB23_359:
	s_or_b64 exec, exec, s[2:3]
	s_and_b64 s[0:1], s[0:1], s[30:31]
	s_and_saveexec_b64 s[2:3], s[0:1]
	s_cbranch_execz .LBB23_136
.LBB23_360:
	v_add_co_u32_e32 v0, vcc, v2, v6
	v_addc_co_u32_e32 v1, vcc, 0, v3, vcc
	v_add_co_u32_e32 v2, vcc, v4, v7
	v_addc_co_u32_e32 v3, vcc, 0, v5, vcc
	v_add_co_u32_e32 v2, vcc, v2, v9
	v_mov_b32_e32 v8, 0
	v_addc_co_u32_e32 v3, vcc, 0, v3, vcc
	global_store_dwordx4 v8, v[0:3], s[28:29]
	s_endpgm
	.section	.rodata,"a",@progbits
	.p2align	6, 0x0
	.amdhsa_kernel _ZN7rocprim17ROCPRIM_400000_NS6detail17trampoline_kernelINS0_13select_configILj256ELj13ELNS0_17block_load_methodE3ELS4_3ELS4_3ELNS0_20block_scan_algorithmE0ELj4294967295EEENS1_25partition_config_selectorILNS1_17partition_subalgoE4EjNS0_10empty_typeEbEEZZNS1_14partition_implILS8_4ELb0ES6_15HIP_vector_typeIjLj2EENS0_17counting_iteratorIjlEEPS9_SG_NS0_5tupleIJPjSI_NS0_16reverse_iteratorISI_EEEEENSH_IJSG_SG_SG_EEES9_SI_JZNS1_25segmented_radix_sort_implINS0_14default_configELb1EPKhPhPKlPlN2at6native12_GLOBAL__N_18offset_tEEE10hipError_tPvRmT1_PNSt15iterator_traitsIS12_E10value_typeET2_T3_PNS13_IS18_E10value_typeET4_jRbjT5_S1E_jjP12ihipStream_tbEUljE_ZNSN_ISO_Lb1ESQ_SR_ST_SU_SY_EESZ_S10_S11_S12_S16_S17_S18_S1B_S1C_jS1D_jS1E_S1E_jjS1G_bEUljE0_EEESZ_S10_S11_S18_S1C_S1E_T6_T7_T9_mT8_S1G_bDpT10_ENKUlT_T0_E_clISt17integral_constantIbLb1EES1U_EEDaS1P_S1Q_EUlS1P_E_NS1_11comp_targetILNS1_3genE4ELNS1_11target_archE910ELNS1_3gpuE8ELNS1_3repE0EEENS1_30default_config_static_selectorELNS0_4arch9wavefront6targetE1EEEvS12_
		.amdhsa_group_segment_fixed_size 13340
		.amdhsa_private_segment_fixed_size 0
		.amdhsa_kernarg_size 184
		.amdhsa_user_sgpr_count 6
		.amdhsa_user_sgpr_private_segment_buffer 1
		.amdhsa_user_sgpr_dispatch_ptr 0
		.amdhsa_user_sgpr_queue_ptr 0
		.amdhsa_user_sgpr_kernarg_segment_ptr 1
		.amdhsa_user_sgpr_dispatch_id 0
		.amdhsa_user_sgpr_flat_scratch_init 0
		.amdhsa_user_sgpr_kernarg_preload_length 0
		.amdhsa_user_sgpr_kernarg_preload_offset 0
		.amdhsa_user_sgpr_private_segment_size 0
		.amdhsa_uses_dynamic_stack 0
		.amdhsa_system_sgpr_private_segment_wavefront_offset 0
		.amdhsa_system_sgpr_workgroup_id_x 1
		.amdhsa_system_sgpr_workgroup_id_y 0
		.amdhsa_system_sgpr_workgroup_id_z 0
		.amdhsa_system_sgpr_workgroup_info 0
		.amdhsa_system_vgpr_workitem_id 0
		.amdhsa_next_free_vgpr 107
		.amdhsa_next_free_sgpr 87
		.amdhsa_accum_offset 108
		.amdhsa_reserve_vcc 1
		.amdhsa_reserve_flat_scratch 0
		.amdhsa_float_round_mode_32 0
		.amdhsa_float_round_mode_16_64 0
		.amdhsa_float_denorm_mode_32 3
		.amdhsa_float_denorm_mode_16_64 3
		.amdhsa_dx10_clamp 1
		.amdhsa_ieee_mode 1
		.amdhsa_fp16_overflow 0
		.amdhsa_tg_split 0
		.amdhsa_exception_fp_ieee_invalid_op 0
		.amdhsa_exception_fp_denorm_src 0
		.amdhsa_exception_fp_ieee_div_zero 0
		.amdhsa_exception_fp_ieee_overflow 0
		.amdhsa_exception_fp_ieee_underflow 0
		.amdhsa_exception_fp_ieee_inexact 0
		.amdhsa_exception_int_div_zero 0
	.end_amdhsa_kernel
	.section	.text._ZN7rocprim17ROCPRIM_400000_NS6detail17trampoline_kernelINS0_13select_configILj256ELj13ELNS0_17block_load_methodE3ELS4_3ELS4_3ELNS0_20block_scan_algorithmE0ELj4294967295EEENS1_25partition_config_selectorILNS1_17partition_subalgoE4EjNS0_10empty_typeEbEEZZNS1_14partition_implILS8_4ELb0ES6_15HIP_vector_typeIjLj2EENS0_17counting_iteratorIjlEEPS9_SG_NS0_5tupleIJPjSI_NS0_16reverse_iteratorISI_EEEEENSH_IJSG_SG_SG_EEES9_SI_JZNS1_25segmented_radix_sort_implINS0_14default_configELb1EPKhPhPKlPlN2at6native12_GLOBAL__N_18offset_tEEE10hipError_tPvRmT1_PNSt15iterator_traitsIS12_E10value_typeET2_T3_PNS13_IS18_E10value_typeET4_jRbjT5_S1E_jjP12ihipStream_tbEUljE_ZNSN_ISO_Lb1ESQ_SR_ST_SU_SY_EESZ_S10_S11_S12_S16_S17_S18_S1B_S1C_jS1D_jS1E_S1E_jjS1G_bEUljE0_EEESZ_S10_S11_S18_S1C_S1E_T6_T7_T9_mT8_S1G_bDpT10_ENKUlT_T0_E_clISt17integral_constantIbLb1EES1U_EEDaS1P_S1Q_EUlS1P_E_NS1_11comp_targetILNS1_3genE4ELNS1_11target_archE910ELNS1_3gpuE8ELNS1_3repE0EEENS1_30default_config_static_selectorELNS0_4arch9wavefront6targetE1EEEvS12_,"axG",@progbits,_ZN7rocprim17ROCPRIM_400000_NS6detail17trampoline_kernelINS0_13select_configILj256ELj13ELNS0_17block_load_methodE3ELS4_3ELS4_3ELNS0_20block_scan_algorithmE0ELj4294967295EEENS1_25partition_config_selectorILNS1_17partition_subalgoE4EjNS0_10empty_typeEbEEZZNS1_14partition_implILS8_4ELb0ES6_15HIP_vector_typeIjLj2EENS0_17counting_iteratorIjlEEPS9_SG_NS0_5tupleIJPjSI_NS0_16reverse_iteratorISI_EEEEENSH_IJSG_SG_SG_EEES9_SI_JZNS1_25segmented_radix_sort_implINS0_14default_configELb1EPKhPhPKlPlN2at6native12_GLOBAL__N_18offset_tEEE10hipError_tPvRmT1_PNSt15iterator_traitsIS12_E10value_typeET2_T3_PNS13_IS18_E10value_typeET4_jRbjT5_S1E_jjP12ihipStream_tbEUljE_ZNSN_ISO_Lb1ESQ_SR_ST_SU_SY_EESZ_S10_S11_S12_S16_S17_S18_S1B_S1C_jS1D_jS1E_S1E_jjS1G_bEUljE0_EEESZ_S10_S11_S18_S1C_S1E_T6_T7_T9_mT8_S1G_bDpT10_ENKUlT_T0_E_clISt17integral_constantIbLb1EES1U_EEDaS1P_S1Q_EUlS1P_E_NS1_11comp_targetILNS1_3genE4ELNS1_11target_archE910ELNS1_3gpuE8ELNS1_3repE0EEENS1_30default_config_static_selectorELNS0_4arch9wavefront6targetE1EEEvS12_,comdat
.Lfunc_end23:
	.size	_ZN7rocprim17ROCPRIM_400000_NS6detail17trampoline_kernelINS0_13select_configILj256ELj13ELNS0_17block_load_methodE3ELS4_3ELS4_3ELNS0_20block_scan_algorithmE0ELj4294967295EEENS1_25partition_config_selectorILNS1_17partition_subalgoE4EjNS0_10empty_typeEbEEZZNS1_14partition_implILS8_4ELb0ES6_15HIP_vector_typeIjLj2EENS0_17counting_iteratorIjlEEPS9_SG_NS0_5tupleIJPjSI_NS0_16reverse_iteratorISI_EEEEENSH_IJSG_SG_SG_EEES9_SI_JZNS1_25segmented_radix_sort_implINS0_14default_configELb1EPKhPhPKlPlN2at6native12_GLOBAL__N_18offset_tEEE10hipError_tPvRmT1_PNSt15iterator_traitsIS12_E10value_typeET2_T3_PNS13_IS18_E10value_typeET4_jRbjT5_S1E_jjP12ihipStream_tbEUljE_ZNSN_ISO_Lb1ESQ_SR_ST_SU_SY_EESZ_S10_S11_S12_S16_S17_S18_S1B_S1C_jS1D_jS1E_S1E_jjS1G_bEUljE0_EEESZ_S10_S11_S18_S1C_S1E_T6_T7_T9_mT8_S1G_bDpT10_ENKUlT_T0_E_clISt17integral_constantIbLb1EES1U_EEDaS1P_S1Q_EUlS1P_E_NS1_11comp_targetILNS1_3genE4ELNS1_11target_archE910ELNS1_3gpuE8ELNS1_3repE0EEENS1_30default_config_static_selectorELNS0_4arch9wavefront6targetE1EEEvS12_, .Lfunc_end23-_ZN7rocprim17ROCPRIM_400000_NS6detail17trampoline_kernelINS0_13select_configILj256ELj13ELNS0_17block_load_methodE3ELS4_3ELS4_3ELNS0_20block_scan_algorithmE0ELj4294967295EEENS1_25partition_config_selectorILNS1_17partition_subalgoE4EjNS0_10empty_typeEbEEZZNS1_14partition_implILS8_4ELb0ES6_15HIP_vector_typeIjLj2EENS0_17counting_iteratorIjlEEPS9_SG_NS0_5tupleIJPjSI_NS0_16reverse_iteratorISI_EEEEENSH_IJSG_SG_SG_EEES9_SI_JZNS1_25segmented_radix_sort_implINS0_14default_configELb1EPKhPhPKlPlN2at6native12_GLOBAL__N_18offset_tEEE10hipError_tPvRmT1_PNSt15iterator_traitsIS12_E10value_typeET2_T3_PNS13_IS18_E10value_typeET4_jRbjT5_S1E_jjP12ihipStream_tbEUljE_ZNSN_ISO_Lb1ESQ_SR_ST_SU_SY_EESZ_S10_S11_S12_S16_S17_S18_S1B_S1C_jS1D_jS1E_S1E_jjS1G_bEUljE0_EEESZ_S10_S11_S18_S1C_S1E_T6_T7_T9_mT8_S1G_bDpT10_ENKUlT_T0_E_clISt17integral_constantIbLb1EES1U_EEDaS1P_S1Q_EUlS1P_E_NS1_11comp_targetILNS1_3genE4ELNS1_11target_archE910ELNS1_3gpuE8ELNS1_3repE0EEENS1_30default_config_static_selectorELNS0_4arch9wavefront6targetE1EEEvS12_
                                        ; -- End function
	.section	.AMDGPU.csdata,"",@progbits
; Kernel info:
; codeLenInByte = 13512
; NumSgprs: 91
; NumVgprs: 107
; NumAgprs: 0
; TotalNumVgprs: 107
; ScratchSize: 0
; MemoryBound: 0
; FloatMode: 240
; IeeeMode: 1
; LDSByteSize: 13340 bytes/workgroup (compile time only)
; SGPRBlocks: 11
; VGPRBlocks: 13
; NumSGPRsForWavesPerEU: 91
; NumVGPRsForWavesPerEU: 107
; AccumOffset: 108
; Occupancy: 4
; WaveLimiterHint : 1
; COMPUTE_PGM_RSRC2:SCRATCH_EN: 0
; COMPUTE_PGM_RSRC2:USER_SGPR: 6
; COMPUTE_PGM_RSRC2:TRAP_HANDLER: 0
; COMPUTE_PGM_RSRC2:TGID_X_EN: 1
; COMPUTE_PGM_RSRC2:TGID_Y_EN: 0
; COMPUTE_PGM_RSRC2:TGID_Z_EN: 0
; COMPUTE_PGM_RSRC2:TIDIG_COMP_CNT: 0
; COMPUTE_PGM_RSRC3_GFX90A:ACCUM_OFFSET: 26
; COMPUTE_PGM_RSRC3_GFX90A:TG_SPLIT: 0
	.section	.text._ZN7rocprim17ROCPRIM_400000_NS6detail17trampoline_kernelINS0_13select_configILj256ELj13ELNS0_17block_load_methodE3ELS4_3ELS4_3ELNS0_20block_scan_algorithmE0ELj4294967295EEENS1_25partition_config_selectorILNS1_17partition_subalgoE4EjNS0_10empty_typeEbEEZZNS1_14partition_implILS8_4ELb0ES6_15HIP_vector_typeIjLj2EENS0_17counting_iteratorIjlEEPS9_SG_NS0_5tupleIJPjSI_NS0_16reverse_iteratorISI_EEEEENSH_IJSG_SG_SG_EEES9_SI_JZNS1_25segmented_radix_sort_implINS0_14default_configELb1EPKhPhPKlPlN2at6native12_GLOBAL__N_18offset_tEEE10hipError_tPvRmT1_PNSt15iterator_traitsIS12_E10value_typeET2_T3_PNS13_IS18_E10value_typeET4_jRbjT5_S1E_jjP12ihipStream_tbEUljE_ZNSN_ISO_Lb1ESQ_SR_ST_SU_SY_EESZ_S10_S11_S12_S16_S17_S18_S1B_S1C_jS1D_jS1E_S1E_jjS1G_bEUljE0_EEESZ_S10_S11_S18_S1C_S1E_T6_T7_T9_mT8_S1G_bDpT10_ENKUlT_T0_E_clISt17integral_constantIbLb1EES1U_EEDaS1P_S1Q_EUlS1P_E_NS1_11comp_targetILNS1_3genE3ELNS1_11target_archE908ELNS1_3gpuE7ELNS1_3repE0EEENS1_30default_config_static_selectorELNS0_4arch9wavefront6targetE1EEEvS12_,"axG",@progbits,_ZN7rocprim17ROCPRIM_400000_NS6detail17trampoline_kernelINS0_13select_configILj256ELj13ELNS0_17block_load_methodE3ELS4_3ELS4_3ELNS0_20block_scan_algorithmE0ELj4294967295EEENS1_25partition_config_selectorILNS1_17partition_subalgoE4EjNS0_10empty_typeEbEEZZNS1_14partition_implILS8_4ELb0ES6_15HIP_vector_typeIjLj2EENS0_17counting_iteratorIjlEEPS9_SG_NS0_5tupleIJPjSI_NS0_16reverse_iteratorISI_EEEEENSH_IJSG_SG_SG_EEES9_SI_JZNS1_25segmented_radix_sort_implINS0_14default_configELb1EPKhPhPKlPlN2at6native12_GLOBAL__N_18offset_tEEE10hipError_tPvRmT1_PNSt15iterator_traitsIS12_E10value_typeET2_T3_PNS13_IS18_E10value_typeET4_jRbjT5_S1E_jjP12ihipStream_tbEUljE_ZNSN_ISO_Lb1ESQ_SR_ST_SU_SY_EESZ_S10_S11_S12_S16_S17_S18_S1B_S1C_jS1D_jS1E_S1E_jjS1G_bEUljE0_EEESZ_S10_S11_S18_S1C_S1E_T6_T7_T9_mT8_S1G_bDpT10_ENKUlT_T0_E_clISt17integral_constantIbLb1EES1U_EEDaS1P_S1Q_EUlS1P_E_NS1_11comp_targetILNS1_3genE3ELNS1_11target_archE908ELNS1_3gpuE7ELNS1_3repE0EEENS1_30default_config_static_selectorELNS0_4arch9wavefront6targetE1EEEvS12_,comdat
	.globl	_ZN7rocprim17ROCPRIM_400000_NS6detail17trampoline_kernelINS0_13select_configILj256ELj13ELNS0_17block_load_methodE3ELS4_3ELS4_3ELNS0_20block_scan_algorithmE0ELj4294967295EEENS1_25partition_config_selectorILNS1_17partition_subalgoE4EjNS0_10empty_typeEbEEZZNS1_14partition_implILS8_4ELb0ES6_15HIP_vector_typeIjLj2EENS0_17counting_iteratorIjlEEPS9_SG_NS0_5tupleIJPjSI_NS0_16reverse_iteratorISI_EEEEENSH_IJSG_SG_SG_EEES9_SI_JZNS1_25segmented_radix_sort_implINS0_14default_configELb1EPKhPhPKlPlN2at6native12_GLOBAL__N_18offset_tEEE10hipError_tPvRmT1_PNSt15iterator_traitsIS12_E10value_typeET2_T3_PNS13_IS18_E10value_typeET4_jRbjT5_S1E_jjP12ihipStream_tbEUljE_ZNSN_ISO_Lb1ESQ_SR_ST_SU_SY_EESZ_S10_S11_S12_S16_S17_S18_S1B_S1C_jS1D_jS1E_S1E_jjS1G_bEUljE0_EEESZ_S10_S11_S18_S1C_S1E_T6_T7_T9_mT8_S1G_bDpT10_ENKUlT_T0_E_clISt17integral_constantIbLb1EES1U_EEDaS1P_S1Q_EUlS1P_E_NS1_11comp_targetILNS1_3genE3ELNS1_11target_archE908ELNS1_3gpuE7ELNS1_3repE0EEENS1_30default_config_static_selectorELNS0_4arch9wavefront6targetE1EEEvS12_ ; -- Begin function _ZN7rocprim17ROCPRIM_400000_NS6detail17trampoline_kernelINS0_13select_configILj256ELj13ELNS0_17block_load_methodE3ELS4_3ELS4_3ELNS0_20block_scan_algorithmE0ELj4294967295EEENS1_25partition_config_selectorILNS1_17partition_subalgoE4EjNS0_10empty_typeEbEEZZNS1_14partition_implILS8_4ELb0ES6_15HIP_vector_typeIjLj2EENS0_17counting_iteratorIjlEEPS9_SG_NS0_5tupleIJPjSI_NS0_16reverse_iteratorISI_EEEEENSH_IJSG_SG_SG_EEES9_SI_JZNS1_25segmented_radix_sort_implINS0_14default_configELb1EPKhPhPKlPlN2at6native12_GLOBAL__N_18offset_tEEE10hipError_tPvRmT1_PNSt15iterator_traitsIS12_E10value_typeET2_T3_PNS13_IS18_E10value_typeET4_jRbjT5_S1E_jjP12ihipStream_tbEUljE_ZNSN_ISO_Lb1ESQ_SR_ST_SU_SY_EESZ_S10_S11_S12_S16_S17_S18_S1B_S1C_jS1D_jS1E_S1E_jjS1G_bEUljE0_EEESZ_S10_S11_S18_S1C_S1E_T6_T7_T9_mT8_S1G_bDpT10_ENKUlT_T0_E_clISt17integral_constantIbLb1EES1U_EEDaS1P_S1Q_EUlS1P_E_NS1_11comp_targetILNS1_3genE3ELNS1_11target_archE908ELNS1_3gpuE7ELNS1_3repE0EEENS1_30default_config_static_selectorELNS0_4arch9wavefront6targetE1EEEvS12_
	.p2align	8
	.type	_ZN7rocprim17ROCPRIM_400000_NS6detail17trampoline_kernelINS0_13select_configILj256ELj13ELNS0_17block_load_methodE3ELS4_3ELS4_3ELNS0_20block_scan_algorithmE0ELj4294967295EEENS1_25partition_config_selectorILNS1_17partition_subalgoE4EjNS0_10empty_typeEbEEZZNS1_14partition_implILS8_4ELb0ES6_15HIP_vector_typeIjLj2EENS0_17counting_iteratorIjlEEPS9_SG_NS0_5tupleIJPjSI_NS0_16reverse_iteratorISI_EEEEENSH_IJSG_SG_SG_EEES9_SI_JZNS1_25segmented_radix_sort_implINS0_14default_configELb1EPKhPhPKlPlN2at6native12_GLOBAL__N_18offset_tEEE10hipError_tPvRmT1_PNSt15iterator_traitsIS12_E10value_typeET2_T3_PNS13_IS18_E10value_typeET4_jRbjT5_S1E_jjP12ihipStream_tbEUljE_ZNSN_ISO_Lb1ESQ_SR_ST_SU_SY_EESZ_S10_S11_S12_S16_S17_S18_S1B_S1C_jS1D_jS1E_S1E_jjS1G_bEUljE0_EEESZ_S10_S11_S18_S1C_S1E_T6_T7_T9_mT8_S1G_bDpT10_ENKUlT_T0_E_clISt17integral_constantIbLb1EES1U_EEDaS1P_S1Q_EUlS1P_E_NS1_11comp_targetILNS1_3genE3ELNS1_11target_archE908ELNS1_3gpuE7ELNS1_3repE0EEENS1_30default_config_static_selectorELNS0_4arch9wavefront6targetE1EEEvS12_,@function
_ZN7rocprim17ROCPRIM_400000_NS6detail17trampoline_kernelINS0_13select_configILj256ELj13ELNS0_17block_load_methodE3ELS4_3ELS4_3ELNS0_20block_scan_algorithmE0ELj4294967295EEENS1_25partition_config_selectorILNS1_17partition_subalgoE4EjNS0_10empty_typeEbEEZZNS1_14partition_implILS8_4ELb0ES6_15HIP_vector_typeIjLj2EENS0_17counting_iteratorIjlEEPS9_SG_NS0_5tupleIJPjSI_NS0_16reverse_iteratorISI_EEEEENSH_IJSG_SG_SG_EEES9_SI_JZNS1_25segmented_radix_sort_implINS0_14default_configELb1EPKhPhPKlPlN2at6native12_GLOBAL__N_18offset_tEEE10hipError_tPvRmT1_PNSt15iterator_traitsIS12_E10value_typeET2_T3_PNS13_IS18_E10value_typeET4_jRbjT5_S1E_jjP12ihipStream_tbEUljE_ZNSN_ISO_Lb1ESQ_SR_ST_SU_SY_EESZ_S10_S11_S12_S16_S17_S18_S1B_S1C_jS1D_jS1E_S1E_jjS1G_bEUljE0_EEESZ_S10_S11_S18_S1C_S1E_T6_T7_T9_mT8_S1G_bDpT10_ENKUlT_T0_E_clISt17integral_constantIbLb1EES1U_EEDaS1P_S1Q_EUlS1P_E_NS1_11comp_targetILNS1_3genE3ELNS1_11target_archE908ELNS1_3gpuE7ELNS1_3repE0EEENS1_30default_config_static_selectorELNS0_4arch9wavefront6targetE1EEEvS12_: ; @_ZN7rocprim17ROCPRIM_400000_NS6detail17trampoline_kernelINS0_13select_configILj256ELj13ELNS0_17block_load_methodE3ELS4_3ELS4_3ELNS0_20block_scan_algorithmE0ELj4294967295EEENS1_25partition_config_selectorILNS1_17partition_subalgoE4EjNS0_10empty_typeEbEEZZNS1_14partition_implILS8_4ELb0ES6_15HIP_vector_typeIjLj2EENS0_17counting_iteratorIjlEEPS9_SG_NS0_5tupleIJPjSI_NS0_16reverse_iteratorISI_EEEEENSH_IJSG_SG_SG_EEES9_SI_JZNS1_25segmented_radix_sort_implINS0_14default_configELb1EPKhPhPKlPlN2at6native12_GLOBAL__N_18offset_tEEE10hipError_tPvRmT1_PNSt15iterator_traitsIS12_E10value_typeET2_T3_PNS13_IS18_E10value_typeET4_jRbjT5_S1E_jjP12ihipStream_tbEUljE_ZNSN_ISO_Lb1ESQ_SR_ST_SU_SY_EESZ_S10_S11_S12_S16_S17_S18_S1B_S1C_jS1D_jS1E_S1E_jjS1G_bEUljE0_EEESZ_S10_S11_S18_S1C_S1E_T6_T7_T9_mT8_S1G_bDpT10_ENKUlT_T0_E_clISt17integral_constantIbLb1EES1U_EEDaS1P_S1Q_EUlS1P_E_NS1_11comp_targetILNS1_3genE3ELNS1_11target_archE908ELNS1_3gpuE7ELNS1_3repE0EEENS1_30default_config_static_selectorELNS0_4arch9wavefront6targetE1EEEvS12_
; %bb.0:
	.section	.rodata,"a",@progbits
	.p2align	6, 0x0
	.amdhsa_kernel _ZN7rocprim17ROCPRIM_400000_NS6detail17trampoline_kernelINS0_13select_configILj256ELj13ELNS0_17block_load_methodE3ELS4_3ELS4_3ELNS0_20block_scan_algorithmE0ELj4294967295EEENS1_25partition_config_selectorILNS1_17partition_subalgoE4EjNS0_10empty_typeEbEEZZNS1_14partition_implILS8_4ELb0ES6_15HIP_vector_typeIjLj2EENS0_17counting_iteratorIjlEEPS9_SG_NS0_5tupleIJPjSI_NS0_16reverse_iteratorISI_EEEEENSH_IJSG_SG_SG_EEES9_SI_JZNS1_25segmented_radix_sort_implINS0_14default_configELb1EPKhPhPKlPlN2at6native12_GLOBAL__N_18offset_tEEE10hipError_tPvRmT1_PNSt15iterator_traitsIS12_E10value_typeET2_T3_PNS13_IS18_E10value_typeET4_jRbjT5_S1E_jjP12ihipStream_tbEUljE_ZNSN_ISO_Lb1ESQ_SR_ST_SU_SY_EESZ_S10_S11_S12_S16_S17_S18_S1B_S1C_jS1D_jS1E_S1E_jjS1G_bEUljE0_EEESZ_S10_S11_S18_S1C_S1E_T6_T7_T9_mT8_S1G_bDpT10_ENKUlT_T0_E_clISt17integral_constantIbLb1EES1U_EEDaS1P_S1Q_EUlS1P_E_NS1_11comp_targetILNS1_3genE3ELNS1_11target_archE908ELNS1_3gpuE7ELNS1_3repE0EEENS1_30default_config_static_selectorELNS0_4arch9wavefront6targetE1EEEvS12_
		.amdhsa_group_segment_fixed_size 0
		.amdhsa_private_segment_fixed_size 0
		.amdhsa_kernarg_size 184
		.amdhsa_user_sgpr_count 6
		.amdhsa_user_sgpr_private_segment_buffer 1
		.amdhsa_user_sgpr_dispatch_ptr 0
		.amdhsa_user_sgpr_queue_ptr 0
		.amdhsa_user_sgpr_kernarg_segment_ptr 1
		.amdhsa_user_sgpr_dispatch_id 0
		.amdhsa_user_sgpr_flat_scratch_init 0
		.amdhsa_user_sgpr_kernarg_preload_length 0
		.amdhsa_user_sgpr_kernarg_preload_offset 0
		.amdhsa_user_sgpr_private_segment_size 0
		.amdhsa_uses_dynamic_stack 0
		.amdhsa_system_sgpr_private_segment_wavefront_offset 0
		.amdhsa_system_sgpr_workgroup_id_x 1
		.amdhsa_system_sgpr_workgroup_id_y 0
		.amdhsa_system_sgpr_workgroup_id_z 0
		.amdhsa_system_sgpr_workgroup_info 0
		.amdhsa_system_vgpr_workitem_id 0
		.amdhsa_next_free_vgpr 1
		.amdhsa_next_free_sgpr 0
		.amdhsa_accum_offset 4
		.amdhsa_reserve_vcc 0
		.amdhsa_reserve_flat_scratch 0
		.amdhsa_float_round_mode_32 0
		.amdhsa_float_round_mode_16_64 0
		.amdhsa_float_denorm_mode_32 3
		.amdhsa_float_denorm_mode_16_64 3
		.amdhsa_dx10_clamp 1
		.amdhsa_ieee_mode 1
		.amdhsa_fp16_overflow 0
		.amdhsa_tg_split 0
		.amdhsa_exception_fp_ieee_invalid_op 0
		.amdhsa_exception_fp_denorm_src 0
		.amdhsa_exception_fp_ieee_div_zero 0
		.amdhsa_exception_fp_ieee_overflow 0
		.amdhsa_exception_fp_ieee_underflow 0
		.amdhsa_exception_fp_ieee_inexact 0
		.amdhsa_exception_int_div_zero 0
	.end_amdhsa_kernel
	.section	.text._ZN7rocprim17ROCPRIM_400000_NS6detail17trampoline_kernelINS0_13select_configILj256ELj13ELNS0_17block_load_methodE3ELS4_3ELS4_3ELNS0_20block_scan_algorithmE0ELj4294967295EEENS1_25partition_config_selectorILNS1_17partition_subalgoE4EjNS0_10empty_typeEbEEZZNS1_14partition_implILS8_4ELb0ES6_15HIP_vector_typeIjLj2EENS0_17counting_iteratorIjlEEPS9_SG_NS0_5tupleIJPjSI_NS0_16reverse_iteratorISI_EEEEENSH_IJSG_SG_SG_EEES9_SI_JZNS1_25segmented_radix_sort_implINS0_14default_configELb1EPKhPhPKlPlN2at6native12_GLOBAL__N_18offset_tEEE10hipError_tPvRmT1_PNSt15iterator_traitsIS12_E10value_typeET2_T3_PNS13_IS18_E10value_typeET4_jRbjT5_S1E_jjP12ihipStream_tbEUljE_ZNSN_ISO_Lb1ESQ_SR_ST_SU_SY_EESZ_S10_S11_S12_S16_S17_S18_S1B_S1C_jS1D_jS1E_S1E_jjS1G_bEUljE0_EEESZ_S10_S11_S18_S1C_S1E_T6_T7_T9_mT8_S1G_bDpT10_ENKUlT_T0_E_clISt17integral_constantIbLb1EES1U_EEDaS1P_S1Q_EUlS1P_E_NS1_11comp_targetILNS1_3genE3ELNS1_11target_archE908ELNS1_3gpuE7ELNS1_3repE0EEENS1_30default_config_static_selectorELNS0_4arch9wavefront6targetE1EEEvS12_,"axG",@progbits,_ZN7rocprim17ROCPRIM_400000_NS6detail17trampoline_kernelINS0_13select_configILj256ELj13ELNS0_17block_load_methodE3ELS4_3ELS4_3ELNS0_20block_scan_algorithmE0ELj4294967295EEENS1_25partition_config_selectorILNS1_17partition_subalgoE4EjNS0_10empty_typeEbEEZZNS1_14partition_implILS8_4ELb0ES6_15HIP_vector_typeIjLj2EENS0_17counting_iteratorIjlEEPS9_SG_NS0_5tupleIJPjSI_NS0_16reverse_iteratorISI_EEEEENSH_IJSG_SG_SG_EEES9_SI_JZNS1_25segmented_radix_sort_implINS0_14default_configELb1EPKhPhPKlPlN2at6native12_GLOBAL__N_18offset_tEEE10hipError_tPvRmT1_PNSt15iterator_traitsIS12_E10value_typeET2_T3_PNS13_IS18_E10value_typeET4_jRbjT5_S1E_jjP12ihipStream_tbEUljE_ZNSN_ISO_Lb1ESQ_SR_ST_SU_SY_EESZ_S10_S11_S12_S16_S17_S18_S1B_S1C_jS1D_jS1E_S1E_jjS1G_bEUljE0_EEESZ_S10_S11_S18_S1C_S1E_T6_T7_T9_mT8_S1G_bDpT10_ENKUlT_T0_E_clISt17integral_constantIbLb1EES1U_EEDaS1P_S1Q_EUlS1P_E_NS1_11comp_targetILNS1_3genE3ELNS1_11target_archE908ELNS1_3gpuE7ELNS1_3repE0EEENS1_30default_config_static_selectorELNS0_4arch9wavefront6targetE1EEEvS12_,comdat
.Lfunc_end24:
	.size	_ZN7rocprim17ROCPRIM_400000_NS6detail17trampoline_kernelINS0_13select_configILj256ELj13ELNS0_17block_load_methodE3ELS4_3ELS4_3ELNS0_20block_scan_algorithmE0ELj4294967295EEENS1_25partition_config_selectorILNS1_17partition_subalgoE4EjNS0_10empty_typeEbEEZZNS1_14partition_implILS8_4ELb0ES6_15HIP_vector_typeIjLj2EENS0_17counting_iteratorIjlEEPS9_SG_NS0_5tupleIJPjSI_NS0_16reverse_iteratorISI_EEEEENSH_IJSG_SG_SG_EEES9_SI_JZNS1_25segmented_radix_sort_implINS0_14default_configELb1EPKhPhPKlPlN2at6native12_GLOBAL__N_18offset_tEEE10hipError_tPvRmT1_PNSt15iterator_traitsIS12_E10value_typeET2_T3_PNS13_IS18_E10value_typeET4_jRbjT5_S1E_jjP12ihipStream_tbEUljE_ZNSN_ISO_Lb1ESQ_SR_ST_SU_SY_EESZ_S10_S11_S12_S16_S17_S18_S1B_S1C_jS1D_jS1E_S1E_jjS1G_bEUljE0_EEESZ_S10_S11_S18_S1C_S1E_T6_T7_T9_mT8_S1G_bDpT10_ENKUlT_T0_E_clISt17integral_constantIbLb1EES1U_EEDaS1P_S1Q_EUlS1P_E_NS1_11comp_targetILNS1_3genE3ELNS1_11target_archE908ELNS1_3gpuE7ELNS1_3repE0EEENS1_30default_config_static_selectorELNS0_4arch9wavefront6targetE1EEEvS12_, .Lfunc_end24-_ZN7rocprim17ROCPRIM_400000_NS6detail17trampoline_kernelINS0_13select_configILj256ELj13ELNS0_17block_load_methodE3ELS4_3ELS4_3ELNS0_20block_scan_algorithmE0ELj4294967295EEENS1_25partition_config_selectorILNS1_17partition_subalgoE4EjNS0_10empty_typeEbEEZZNS1_14partition_implILS8_4ELb0ES6_15HIP_vector_typeIjLj2EENS0_17counting_iteratorIjlEEPS9_SG_NS0_5tupleIJPjSI_NS0_16reverse_iteratorISI_EEEEENSH_IJSG_SG_SG_EEES9_SI_JZNS1_25segmented_radix_sort_implINS0_14default_configELb1EPKhPhPKlPlN2at6native12_GLOBAL__N_18offset_tEEE10hipError_tPvRmT1_PNSt15iterator_traitsIS12_E10value_typeET2_T3_PNS13_IS18_E10value_typeET4_jRbjT5_S1E_jjP12ihipStream_tbEUljE_ZNSN_ISO_Lb1ESQ_SR_ST_SU_SY_EESZ_S10_S11_S12_S16_S17_S18_S1B_S1C_jS1D_jS1E_S1E_jjS1G_bEUljE0_EEESZ_S10_S11_S18_S1C_S1E_T6_T7_T9_mT8_S1G_bDpT10_ENKUlT_T0_E_clISt17integral_constantIbLb1EES1U_EEDaS1P_S1Q_EUlS1P_E_NS1_11comp_targetILNS1_3genE3ELNS1_11target_archE908ELNS1_3gpuE7ELNS1_3repE0EEENS1_30default_config_static_selectorELNS0_4arch9wavefront6targetE1EEEvS12_
                                        ; -- End function
	.section	.AMDGPU.csdata,"",@progbits
; Kernel info:
; codeLenInByte = 0
; NumSgprs: 4
; NumVgprs: 0
; NumAgprs: 0
; TotalNumVgprs: 0
; ScratchSize: 0
; MemoryBound: 0
; FloatMode: 240
; IeeeMode: 1
; LDSByteSize: 0 bytes/workgroup (compile time only)
; SGPRBlocks: 0
; VGPRBlocks: 0
; NumSGPRsForWavesPerEU: 4
; NumVGPRsForWavesPerEU: 1
; AccumOffset: 4
; Occupancy: 8
; WaveLimiterHint : 0
; COMPUTE_PGM_RSRC2:SCRATCH_EN: 0
; COMPUTE_PGM_RSRC2:USER_SGPR: 6
; COMPUTE_PGM_RSRC2:TRAP_HANDLER: 0
; COMPUTE_PGM_RSRC2:TGID_X_EN: 1
; COMPUTE_PGM_RSRC2:TGID_Y_EN: 0
; COMPUTE_PGM_RSRC2:TGID_Z_EN: 0
; COMPUTE_PGM_RSRC2:TIDIG_COMP_CNT: 0
; COMPUTE_PGM_RSRC3_GFX90A:ACCUM_OFFSET: 0
; COMPUTE_PGM_RSRC3_GFX90A:TG_SPLIT: 0
	.section	.text._ZN7rocprim17ROCPRIM_400000_NS6detail17trampoline_kernelINS0_13select_configILj256ELj13ELNS0_17block_load_methodE3ELS4_3ELS4_3ELNS0_20block_scan_algorithmE0ELj4294967295EEENS1_25partition_config_selectorILNS1_17partition_subalgoE4EjNS0_10empty_typeEbEEZZNS1_14partition_implILS8_4ELb0ES6_15HIP_vector_typeIjLj2EENS0_17counting_iteratorIjlEEPS9_SG_NS0_5tupleIJPjSI_NS0_16reverse_iteratorISI_EEEEENSH_IJSG_SG_SG_EEES9_SI_JZNS1_25segmented_radix_sort_implINS0_14default_configELb1EPKhPhPKlPlN2at6native12_GLOBAL__N_18offset_tEEE10hipError_tPvRmT1_PNSt15iterator_traitsIS12_E10value_typeET2_T3_PNS13_IS18_E10value_typeET4_jRbjT5_S1E_jjP12ihipStream_tbEUljE_ZNSN_ISO_Lb1ESQ_SR_ST_SU_SY_EESZ_S10_S11_S12_S16_S17_S18_S1B_S1C_jS1D_jS1E_S1E_jjS1G_bEUljE0_EEESZ_S10_S11_S18_S1C_S1E_T6_T7_T9_mT8_S1G_bDpT10_ENKUlT_T0_E_clISt17integral_constantIbLb1EES1U_EEDaS1P_S1Q_EUlS1P_E_NS1_11comp_targetILNS1_3genE2ELNS1_11target_archE906ELNS1_3gpuE6ELNS1_3repE0EEENS1_30default_config_static_selectorELNS0_4arch9wavefront6targetE1EEEvS12_,"axG",@progbits,_ZN7rocprim17ROCPRIM_400000_NS6detail17trampoline_kernelINS0_13select_configILj256ELj13ELNS0_17block_load_methodE3ELS4_3ELS4_3ELNS0_20block_scan_algorithmE0ELj4294967295EEENS1_25partition_config_selectorILNS1_17partition_subalgoE4EjNS0_10empty_typeEbEEZZNS1_14partition_implILS8_4ELb0ES6_15HIP_vector_typeIjLj2EENS0_17counting_iteratorIjlEEPS9_SG_NS0_5tupleIJPjSI_NS0_16reverse_iteratorISI_EEEEENSH_IJSG_SG_SG_EEES9_SI_JZNS1_25segmented_radix_sort_implINS0_14default_configELb1EPKhPhPKlPlN2at6native12_GLOBAL__N_18offset_tEEE10hipError_tPvRmT1_PNSt15iterator_traitsIS12_E10value_typeET2_T3_PNS13_IS18_E10value_typeET4_jRbjT5_S1E_jjP12ihipStream_tbEUljE_ZNSN_ISO_Lb1ESQ_SR_ST_SU_SY_EESZ_S10_S11_S12_S16_S17_S18_S1B_S1C_jS1D_jS1E_S1E_jjS1G_bEUljE0_EEESZ_S10_S11_S18_S1C_S1E_T6_T7_T9_mT8_S1G_bDpT10_ENKUlT_T0_E_clISt17integral_constantIbLb1EES1U_EEDaS1P_S1Q_EUlS1P_E_NS1_11comp_targetILNS1_3genE2ELNS1_11target_archE906ELNS1_3gpuE6ELNS1_3repE0EEENS1_30default_config_static_selectorELNS0_4arch9wavefront6targetE1EEEvS12_,comdat
	.globl	_ZN7rocprim17ROCPRIM_400000_NS6detail17trampoline_kernelINS0_13select_configILj256ELj13ELNS0_17block_load_methodE3ELS4_3ELS4_3ELNS0_20block_scan_algorithmE0ELj4294967295EEENS1_25partition_config_selectorILNS1_17partition_subalgoE4EjNS0_10empty_typeEbEEZZNS1_14partition_implILS8_4ELb0ES6_15HIP_vector_typeIjLj2EENS0_17counting_iteratorIjlEEPS9_SG_NS0_5tupleIJPjSI_NS0_16reverse_iteratorISI_EEEEENSH_IJSG_SG_SG_EEES9_SI_JZNS1_25segmented_radix_sort_implINS0_14default_configELb1EPKhPhPKlPlN2at6native12_GLOBAL__N_18offset_tEEE10hipError_tPvRmT1_PNSt15iterator_traitsIS12_E10value_typeET2_T3_PNS13_IS18_E10value_typeET4_jRbjT5_S1E_jjP12ihipStream_tbEUljE_ZNSN_ISO_Lb1ESQ_SR_ST_SU_SY_EESZ_S10_S11_S12_S16_S17_S18_S1B_S1C_jS1D_jS1E_S1E_jjS1G_bEUljE0_EEESZ_S10_S11_S18_S1C_S1E_T6_T7_T9_mT8_S1G_bDpT10_ENKUlT_T0_E_clISt17integral_constantIbLb1EES1U_EEDaS1P_S1Q_EUlS1P_E_NS1_11comp_targetILNS1_3genE2ELNS1_11target_archE906ELNS1_3gpuE6ELNS1_3repE0EEENS1_30default_config_static_selectorELNS0_4arch9wavefront6targetE1EEEvS12_ ; -- Begin function _ZN7rocprim17ROCPRIM_400000_NS6detail17trampoline_kernelINS0_13select_configILj256ELj13ELNS0_17block_load_methodE3ELS4_3ELS4_3ELNS0_20block_scan_algorithmE0ELj4294967295EEENS1_25partition_config_selectorILNS1_17partition_subalgoE4EjNS0_10empty_typeEbEEZZNS1_14partition_implILS8_4ELb0ES6_15HIP_vector_typeIjLj2EENS0_17counting_iteratorIjlEEPS9_SG_NS0_5tupleIJPjSI_NS0_16reverse_iteratorISI_EEEEENSH_IJSG_SG_SG_EEES9_SI_JZNS1_25segmented_radix_sort_implINS0_14default_configELb1EPKhPhPKlPlN2at6native12_GLOBAL__N_18offset_tEEE10hipError_tPvRmT1_PNSt15iterator_traitsIS12_E10value_typeET2_T3_PNS13_IS18_E10value_typeET4_jRbjT5_S1E_jjP12ihipStream_tbEUljE_ZNSN_ISO_Lb1ESQ_SR_ST_SU_SY_EESZ_S10_S11_S12_S16_S17_S18_S1B_S1C_jS1D_jS1E_S1E_jjS1G_bEUljE0_EEESZ_S10_S11_S18_S1C_S1E_T6_T7_T9_mT8_S1G_bDpT10_ENKUlT_T0_E_clISt17integral_constantIbLb1EES1U_EEDaS1P_S1Q_EUlS1P_E_NS1_11comp_targetILNS1_3genE2ELNS1_11target_archE906ELNS1_3gpuE6ELNS1_3repE0EEENS1_30default_config_static_selectorELNS0_4arch9wavefront6targetE1EEEvS12_
	.p2align	8
	.type	_ZN7rocprim17ROCPRIM_400000_NS6detail17trampoline_kernelINS0_13select_configILj256ELj13ELNS0_17block_load_methodE3ELS4_3ELS4_3ELNS0_20block_scan_algorithmE0ELj4294967295EEENS1_25partition_config_selectorILNS1_17partition_subalgoE4EjNS0_10empty_typeEbEEZZNS1_14partition_implILS8_4ELb0ES6_15HIP_vector_typeIjLj2EENS0_17counting_iteratorIjlEEPS9_SG_NS0_5tupleIJPjSI_NS0_16reverse_iteratorISI_EEEEENSH_IJSG_SG_SG_EEES9_SI_JZNS1_25segmented_radix_sort_implINS0_14default_configELb1EPKhPhPKlPlN2at6native12_GLOBAL__N_18offset_tEEE10hipError_tPvRmT1_PNSt15iterator_traitsIS12_E10value_typeET2_T3_PNS13_IS18_E10value_typeET4_jRbjT5_S1E_jjP12ihipStream_tbEUljE_ZNSN_ISO_Lb1ESQ_SR_ST_SU_SY_EESZ_S10_S11_S12_S16_S17_S18_S1B_S1C_jS1D_jS1E_S1E_jjS1G_bEUljE0_EEESZ_S10_S11_S18_S1C_S1E_T6_T7_T9_mT8_S1G_bDpT10_ENKUlT_T0_E_clISt17integral_constantIbLb1EES1U_EEDaS1P_S1Q_EUlS1P_E_NS1_11comp_targetILNS1_3genE2ELNS1_11target_archE906ELNS1_3gpuE6ELNS1_3repE0EEENS1_30default_config_static_selectorELNS0_4arch9wavefront6targetE1EEEvS12_,@function
_ZN7rocprim17ROCPRIM_400000_NS6detail17trampoline_kernelINS0_13select_configILj256ELj13ELNS0_17block_load_methodE3ELS4_3ELS4_3ELNS0_20block_scan_algorithmE0ELj4294967295EEENS1_25partition_config_selectorILNS1_17partition_subalgoE4EjNS0_10empty_typeEbEEZZNS1_14partition_implILS8_4ELb0ES6_15HIP_vector_typeIjLj2EENS0_17counting_iteratorIjlEEPS9_SG_NS0_5tupleIJPjSI_NS0_16reverse_iteratorISI_EEEEENSH_IJSG_SG_SG_EEES9_SI_JZNS1_25segmented_radix_sort_implINS0_14default_configELb1EPKhPhPKlPlN2at6native12_GLOBAL__N_18offset_tEEE10hipError_tPvRmT1_PNSt15iterator_traitsIS12_E10value_typeET2_T3_PNS13_IS18_E10value_typeET4_jRbjT5_S1E_jjP12ihipStream_tbEUljE_ZNSN_ISO_Lb1ESQ_SR_ST_SU_SY_EESZ_S10_S11_S12_S16_S17_S18_S1B_S1C_jS1D_jS1E_S1E_jjS1G_bEUljE0_EEESZ_S10_S11_S18_S1C_S1E_T6_T7_T9_mT8_S1G_bDpT10_ENKUlT_T0_E_clISt17integral_constantIbLb1EES1U_EEDaS1P_S1Q_EUlS1P_E_NS1_11comp_targetILNS1_3genE2ELNS1_11target_archE906ELNS1_3gpuE6ELNS1_3repE0EEENS1_30default_config_static_selectorELNS0_4arch9wavefront6targetE1EEEvS12_: ; @_ZN7rocprim17ROCPRIM_400000_NS6detail17trampoline_kernelINS0_13select_configILj256ELj13ELNS0_17block_load_methodE3ELS4_3ELS4_3ELNS0_20block_scan_algorithmE0ELj4294967295EEENS1_25partition_config_selectorILNS1_17partition_subalgoE4EjNS0_10empty_typeEbEEZZNS1_14partition_implILS8_4ELb0ES6_15HIP_vector_typeIjLj2EENS0_17counting_iteratorIjlEEPS9_SG_NS0_5tupleIJPjSI_NS0_16reverse_iteratorISI_EEEEENSH_IJSG_SG_SG_EEES9_SI_JZNS1_25segmented_radix_sort_implINS0_14default_configELb1EPKhPhPKlPlN2at6native12_GLOBAL__N_18offset_tEEE10hipError_tPvRmT1_PNSt15iterator_traitsIS12_E10value_typeET2_T3_PNS13_IS18_E10value_typeET4_jRbjT5_S1E_jjP12ihipStream_tbEUljE_ZNSN_ISO_Lb1ESQ_SR_ST_SU_SY_EESZ_S10_S11_S12_S16_S17_S18_S1B_S1C_jS1D_jS1E_S1E_jjS1G_bEUljE0_EEESZ_S10_S11_S18_S1C_S1E_T6_T7_T9_mT8_S1G_bDpT10_ENKUlT_T0_E_clISt17integral_constantIbLb1EES1U_EEDaS1P_S1Q_EUlS1P_E_NS1_11comp_targetILNS1_3genE2ELNS1_11target_archE906ELNS1_3gpuE6ELNS1_3repE0EEENS1_30default_config_static_selectorELNS0_4arch9wavefront6targetE1EEEvS12_
; %bb.0:
	.section	.rodata,"a",@progbits
	.p2align	6, 0x0
	.amdhsa_kernel _ZN7rocprim17ROCPRIM_400000_NS6detail17trampoline_kernelINS0_13select_configILj256ELj13ELNS0_17block_load_methodE3ELS4_3ELS4_3ELNS0_20block_scan_algorithmE0ELj4294967295EEENS1_25partition_config_selectorILNS1_17partition_subalgoE4EjNS0_10empty_typeEbEEZZNS1_14partition_implILS8_4ELb0ES6_15HIP_vector_typeIjLj2EENS0_17counting_iteratorIjlEEPS9_SG_NS0_5tupleIJPjSI_NS0_16reverse_iteratorISI_EEEEENSH_IJSG_SG_SG_EEES9_SI_JZNS1_25segmented_radix_sort_implINS0_14default_configELb1EPKhPhPKlPlN2at6native12_GLOBAL__N_18offset_tEEE10hipError_tPvRmT1_PNSt15iterator_traitsIS12_E10value_typeET2_T3_PNS13_IS18_E10value_typeET4_jRbjT5_S1E_jjP12ihipStream_tbEUljE_ZNSN_ISO_Lb1ESQ_SR_ST_SU_SY_EESZ_S10_S11_S12_S16_S17_S18_S1B_S1C_jS1D_jS1E_S1E_jjS1G_bEUljE0_EEESZ_S10_S11_S18_S1C_S1E_T6_T7_T9_mT8_S1G_bDpT10_ENKUlT_T0_E_clISt17integral_constantIbLb1EES1U_EEDaS1P_S1Q_EUlS1P_E_NS1_11comp_targetILNS1_3genE2ELNS1_11target_archE906ELNS1_3gpuE6ELNS1_3repE0EEENS1_30default_config_static_selectorELNS0_4arch9wavefront6targetE1EEEvS12_
		.amdhsa_group_segment_fixed_size 0
		.amdhsa_private_segment_fixed_size 0
		.amdhsa_kernarg_size 184
		.amdhsa_user_sgpr_count 6
		.amdhsa_user_sgpr_private_segment_buffer 1
		.amdhsa_user_sgpr_dispatch_ptr 0
		.amdhsa_user_sgpr_queue_ptr 0
		.amdhsa_user_sgpr_kernarg_segment_ptr 1
		.amdhsa_user_sgpr_dispatch_id 0
		.amdhsa_user_sgpr_flat_scratch_init 0
		.amdhsa_user_sgpr_kernarg_preload_length 0
		.amdhsa_user_sgpr_kernarg_preload_offset 0
		.amdhsa_user_sgpr_private_segment_size 0
		.amdhsa_uses_dynamic_stack 0
		.amdhsa_system_sgpr_private_segment_wavefront_offset 0
		.amdhsa_system_sgpr_workgroup_id_x 1
		.amdhsa_system_sgpr_workgroup_id_y 0
		.amdhsa_system_sgpr_workgroup_id_z 0
		.amdhsa_system_sgpr_workgroup_info 0
		.amdhsa_system_vgpr_workitem_id 0
		.amdhsa_next_free_vgpr 1
		.amdhsa_next_free_sgpr 0
		.amdhsa_accum_offset 4
		.amdhsa_reserve_vcc 0
		.amdhsa_reserve_flat_scratch 0
		.amdhsa_float_round_mode_32 0
		.amdhsa_float_round_mode_16_64 0
		.amdhsa_float_denorm_mode_32 3
		.amdhsa_float_denorm_mode_16_64 3
		.amdhsa_dx10_clamp 1
		.amdhsa_ieee_mode 1
		.amdhsa_fp16_overflow 0
		.amdhsa_tg_split 0
		.amdhsa_exception_fp_ieee_invalid_op 0
		.amdhsa_exception_fp_denorm_src 0
		.amdhsa_exception_fp_ieee_div_zero 0
		.amdhsa_exception_fp_ieee_overflow 0
		.amdhsa_exception_fp_ieee_underflow 0
		.amdhsa_exception_fp_ieee_inexact 0
		.amdhsa_exception_int_div_zero 0
	.end_amdhsa_kernel
	.section	.text._ZN7rocprim17ROCPRIM_400000_NS6detail17trampoline_kernelINS0_13select_configILj256ELj13ELNS0_17block_load_methodE3ELS4_3ELS4_3ELNS0_20block_scan_algorithmE0ELj4294967295EEENS1_25partition_config_selectorILNS1_17partition_subalgoE4EjNS0_10empty_typeEbEEZZNS1_14partition_implILS8_4ELb0ES6_15HIP_vector_typeIjLj2EENS0_17counting_iteratorIjlEEPS9_SG_NS0_5tupleIJPjSI_NS0_16reverse_iteratorISI_EEEEENSH_IJSG_SG_SG_EEES9_SI_JZNS1_25segmented_radix_sort_implINS0_14default_configELb1EPKhPhPKlPlN2at6native12_GLOBAL__N_18offset_tEEE10hipError_tPvRmT1_PNSt15iterator_traitsIS12_E10value_typeET2_T3_PNS13_IS18_E10value_typeET4_jRbjT5_S1E_jjP12ihipStream_tbEUljE_ZNSN_ISO_Lb1ESQ_SR_ST_SU_SY_EESZ_S10_S11_S12_S16_S17_S18_S1B_S1C_jS1D_jS1E_S1E_jjS1G_bEUljE0_EEESZ_S10_S11_S18_S1C_S1E_T6_T7_T9_mT8_S1G_bDpT10_ENKUlT_T0_E_clISt17integral_constantIbLb1EES1U_EEDaS1P_S1Q_EUlS1P_E_NS1_11comp_targetILNS1_3genE2ELNS1_11target_archE906ELNS1_3gpuE6ELNS1_3repE0EEENS1_30default_config_static_selectorELNS0_4arch9wavefront6targetE1EEEvS12_,"axG",@progbits,_ZN7rocprim17ROCPRIM_400000_NS6detail17trampoline_kernelINS0_13select_configILj256ELj13ELNS0_17block_load_methodE3ELS4_3ELS4_3ELNS0_20block_scan_algorithmE0ELj4294967295EEENS1_25partition_config_selectorILNS1_17partition_subalgoE4EjNS0_10empty_typeEbEEZZNS1_14partition_implILS8_4ELb0ES6_15HIP_vector_typeIjLj2EENS0_17counting_iteratorIjlEEPS9_SG_NS0_5tupleIJPjSI_NS0_16reverse_iteratorISI_EEEEENSH_IJSG_SG_SG_EEES9_SI_JZNS1_25segmented_radix_sort_implINS0_14default_configELb1EPKhPhPKlPlN2at6native12_GLOBAL__N_18offset_tEEE10hipError_tPvRmT1_PNSt15iterator_traitsIS12_E10value_typeET2_T3_PNS13_IS18_E10value_typeET4_jRbjT5_S1E_jjP12ihipStream_tbEUljE_ZNSN_ISO_Lb1ESQ_SR_ST_SU_SY_EESZ_S10_S11_S12_S16_S17_S18_S1B_S1C_jS1D_jS1E_S1E_jjS1G_bEUljE0_EEESZ_S10_S11_S18_S1C_S1E_T6_T7_T9_mT8_S1G_bDpT10_ENKUlT_T0_E_clISt17integral_constantIbLb1EES1U_EEDaS1P_S1Q_EUlS1P_E_NS1_11comp_targetILNS1_3genE2ELNS1_11target_archE906ELNS1_3gpuE6ELNS1_3repE0EEENS1_30default_config_static_selectorELNS0_4arch9wavefront6targetE1EEEvS12_,comdat
.Lfunc_end25:
	.size	_ZN7rocprim17ROCPRIM_400000_NS6detail17trampoline_kernelINS0_13select_configILj256ELj13ELNS0_17block_load_methodE3ELS4_3ELS4_3ELNS0_20block_scan_algorithmE0ELj4294967295EEENS1_25partition_config_selectorILNS1_17partition_subalgoE4EjNS0_10empty_typeEbEEZZNS1_14partition_implILS8_4ELb0ES6_15HIP_vector_typeIjLj2EENS0_17counting_iteratorIjlEEPS9_SG_NS0_5tupleIJPjSI_NS0_16reverse_iteratorISI_EEEEENSH_IJSG_SG_SG_EEES9_SI_JZNS1_25segmented_radix_sort_implINS0_14default_configELb1EPKhPhPKlPlN2at6native12_GLOBAL__N_18offset_tEEE10hipError_tPvRmT1_PNSt15iterator_traitsIS12_E10value_typeET2_T3_PNS13_IS18_E10value_typeET4_jRbjT5_S1E_jjP12ihipStream_tbEUljE_ZNSN_ISO_Lb1ESQ_SR_ST_SU_SY_EESZ_S10_S11_S12_S16_S17_S18_S1B_S1C_jS1D_jS1E_S1E_jjS1G_bEUljE0_EEESZ_S10_S11_S18_S1C_S1E_T6_T7_T9_mT8_S1G_bDpT10_ENKUlT_T0_E_clISt17integral_constantIbLb1EES1U_EEDaS1P_S1Q_EUlS1P_E_NS1_11comp_targetILNS1_3genE2ELNS1_11target_archE906ELNS1_3gpuE6ELNS1_3repE0EEENS1_30default_config_static_selectorELNS0_4arch9wavefront6targetE1EEEvS12_, .Lfunc_end25-_ZN7rocprim17ROCPRIM_400000_NS6detail17trampoline_kernelINS0_13select_configILj256ELj13ELNS0_17block_load_methodE3ELS4_3ELS4_3ELNS0_20block_scan_algorithmE0ELj4294967295EEENS1_25partition_config_selectorILNS1_17partition_subalgoE4EjNS0_10empty_typeEbEEZZNS1_14partition_implILS8_4ELb0ES6_15HIP_vector_typeIjLj2EENS0_17counting_iteratorIjlEEPS9_SG_NS0_5tupleIJPjSI_NS0_16reverse_iteratorISI_EEEEENSH_IJSG_SG_SG_EEES9_SI_JZNS1_25segmented_radix_sort_implINS0_14default_configELb1EPKhPhPKlPlN2at6native12_GLOBAL__N_18offset_tEEE10hipError_tPvRmT1_PNSt15iterator_traitsIS12_E10value_typeET2_T3_PNS13_IS18_E10value_typeET4_jRbjT5_S1E_jjP12ihipStream_tbEUljE_ZNSN_ISO_Lb1ESQ_SR_ST_SU_SY_EESZ_S10_S11_S12_S16_S17_S18_S1B_S1C_jS1D_jS1E_S1E_jjS1G_bEUljE0_EEESZ_S10_S11_S18_S1C_S1E_T6_T7_T9_mT8_S1G_bDpT10_ENKUlT_T0_E_clISt17integral_constantIbLb1EES1U_EEDaS1P_S1Q_EUlS1P_E_NS1_11comp_targetILNS1_3genE2ELNS1_11target_archE906ELNS1_3gpuE6ELNS1_3repE0EEENS1_30default_config_static_selectorELNS0_4arch9wavefront6targetE1EEEvS12_
                                        ; -- End function
	.section	.AMDGPU.csdata,"",@progbits
; Kernel info:
; codeLenInByte = 0
; NumSgprs: 4
; NumVgprs: 0
; NumAgprs: 0
; TotalNumVgprs: 0
; ScratchSize: 0
; MemoryBound: 0
; FloatMode: 240
; IeeeMode: 1
; LDSByteSize: 0 bytes/workgroup (compile time only)
; SGPRBlocks: 0
; VGPRBlocks: 0
; NumSGPRsForWavesPerEU: 4
; NumVGPRsForWavesPerEU: 1
; AccumOffset: 4
; Occupancy: 8
; WaveLimiterHint : 0
; COMPUTE_PGM_RSRC2:SCRATCH_EN: 0
; COMPUTE_PGM_RSRC2:USER_SGPR: 6
; COMPUTE_PGM_RSRC2:TRAP_HANDLER: 0
; COMPUTE_PGM_RSRC2:TGID_X_EN: 1
; COMPUTE_PGM_RSRC2:TGID_Y_EN: 0
; COMPUTE_PGM_RSRC2:TGID_Z_EN: 0
; COMPUTE_PGM_RSRC2:TIDIG_COMP_CNT: 0
; COMPUTE_PGM_RSRC3_GFX90A:ACCUM_OFFSET: 0
; COMPUTE_PGM_RSRC3_GFX90A:TG_SPLIT: 0
	.section	.text._ZN7rocprim17ROCPRIM_400000_NS6detail17trampoline_kernelINS0_13select_configILj256ELj13ELNS0_17block_load_methodE3ELS4_3ELS4_3ELNS0_20block_scan_algorithmE0ELj4294967295EEENS1_25partition_config_selectorILNS1_17partition_subalgoE4EjNS0_10empty_typeEbEEZZNS1_14partition_implILS8_4ELb0ES6_15HIP_vector_typeIjLj2EENS0_17counting_iteratorIjlEEPS9_SG_NS0_5tupleIJPjSI_NS0_16reverse_iteratorISI_EEEEENSH_IJSG_SG_SG_EEES9_SI_JZNS1_25segmented_radix_sort_implINS0_14default_configELb1EPKhPhPKlPlN2at6native12_GLOBAL__N_18offset_tEEE10hipError_tPvRmT1_PNSt15iterator_traitsIS12_E10value_typeET2_T3_PNS13_IS18_E10value_typeET4_jRbjT5_S1E_jjP12ihipStream_tbEUljE_ZNSN_ISO_Lb1ESQ_SR_ST_SU_SY_EESZ_S10_S11_S12_S16_S17_S18_S1B_S1C_jS1D_jS1E_S1E_jjS1G_bEUljE0_EEESZ_S10_S11_S18_S1C_S1E_T6_T7_T9_mT8_S1G_bDpT10_ENKUlT_T0_E_clISt17integral_constantIbLb1EES1U_EEDaS1P_S1Q_EUlS1P_E_NS1_11comp_targetILNS1_3genE10ELNS1_11target_archE1200ELNS1_3gpuE4ELNS1_3repE0EEENS1_30default_config_static_selectorELNS0_4arch9wavefront6targetE1EEEvS12_,"axG",@progbits,_ZN7rocprim17ROCPRIM_400000_NS6detail17trampoline_kernelINS0_13select_configILj256ELj13ELNS0_17block_load_methodE3ELS4_3ELS4_3ELNS0_20block_scan_algorithmE0ELj4294967295EEENS1_25partition_config_selectorILNS1_17partition_subalgoE4EjNS0_10empty_typeEbEEZZNS1_14partition_implILS8_4ELb0ES6_15HIP_vector_typeIjLj2EENS0_17counting_iteratorIjlEEPS9_SG_NS0_5tupleIJPjSI_NS0_16reverse_iteratorISI_EEEEENSH_IJSG_SG_SG_EEES9_SI_JZNS1_25segmented_radix_sort_implINS0_14default_configELb1EPKhPhPKlPlN2at6native12_GLOBAL__N_18offset_tEEE10hipError_tPvRmT1_PNSt15iterator_traitsIS12_E10value_typeET2_T3_PNS13_IS18_E10value_typeET4_jRbjT5_S1E_jjP12ihipStream_tbEUljE_ZNSN_ISO_Lb1ESQ_SR_ST_SU_SY_EESZ_S10_S11_S12_S16_S17_S18_S1B_S1C_jS1D_jS1E_S1E_jjS1G_bEUljE0_EEESZ_S10_S11_S18_S1C_S1E_T6_T7_T9_mT8_S1G_bDpT10_ENKUlT_T0_E_clISt17integral_constantIbLb1EES1U_EEDaS1P_S1Q_EUlS1P_E_NS1_11comp_targetILNS1_3genE10ELNS1_11target_archE1200ELNS1_3gpuE4ELNS1_3repE0EEENS1_30default_config_static_selectorELNS0_4arch9wavefront6targetE1EEEvS12_,comdat
	.globl	_ZN7rocprim17ROCPRIM_400000_NS6detail17trampoline_kernelINS0_13select_configILj256ELj13ELNS0_17block_load_methodE3ELS4_3ELS4_3ELNS0_20block_scan_algorithmE0ELj4294967295EEENS1_25partition_config_selectorILNS1_17partition_subalgoE4EjNS0_10empty_typeEbEEZZNS1_14partition_implILS8_4ELb0ES6_15HIP_vector_typeIjLj2EENS0_17counting_iteratorIjlEEPS9_SG_NS0_5tupleIJPjSI_NS0_16reverse_iteratorISI_EEEEENSH_IJSG_SG_SG_EEES9_SI_JZNS1_25segmented_radix_sort_implINS0_14default_configELb1EPKhPhPKlPlN2at6native12_GLOBAL__N_18offset_tEEE10hipError_tPvRmT1_PNSt15iterator_traitsIS12_E10value_typeET2_T3_PNS13_IS18_E10value_typeET4_jRbjT5_S1E_jjP12ihipStream_tbEUljE_ZNSN_ISO_Lb1ESQ_SR_ST_SU_SY_EESZ_S10_S11_S12_S16_S17_S18_S1B_S1C_jS1D_jS1E_S1E_jjS1G_bEUljE0_EEESZ_S10_S11_S18_S1C_S1E_T6_T7_T9_mT8_S1G_bDpT10_ENKUlT_T0_E_clISt17integral_constantIbLb1EES1U_EEDaS1P_S1Q_EUlS1P_E_NS1_11comp_targetILNS1_3genE10ELNS1_11target_archE1200ELNS1_3gpuE4ELNS1_3repE0EEENS1_30default_config_static_selectorELNS0_4arch9wavefront6targetE1EEEvS12_ ; -- Begin function _ZN7rocprim17ROCPRIM_400000_NS6detail17trampoline_kernelINS0_13select_configILj256ELj13ELNS0_17block_load_methodE3ELS4_3ELS4_3ELNS0_20block_scan_algorithmE0ELj4294967295EEENS1_25partition_config_selectorILNS1_17partition_subalgoE4EjNS0_10empty_typeEbEEZZNS1_14partition_implILS8_4ELb0ES6_15HIP_vector_typeIjLj2EENS0_17counting_iteratorIjlEEPS9_SG_NS0_5tupleIJPjSI_NS0_16reverse_iteratorISI_EEEEENSH_IJSG_SG_SG_EEES9_SI_JZNS1_25segmented_radix_sort_implINS0_14default_configELb1EPKhPhPKlPlN2at6native12_GLOBAL__N_18offset_tEEE10hipError_tPvRmT1_PNSt15iterator_traitsIS12_E10value_typeET2_T3_PNS13_IS18_E10value_typeET4_jRbjT5_S1E_jjP12ihipStream_tbEUljE_ZNSN_ISO_Lb1ESQ_SR_ST_SU_SY_EESZ_S10_S11_S12_S16_S17_S18_S1B_S1C_jS1D_jS1E_S1E_jjS1G_bEUljE0_EEESZ_S10_S11_S18_S1C_S1E_T6_T7_T9_mT8_S1G_bDpT10_ENKUlT_T0_E_clISt17integral_constantIbLb1EES1U_EEDaS1P_S1Q_EUlS1P_E_NS1_11comp_targetILNS1_3genE10ELNS1_11target_archE1200ELNS1_3gpuE4ELNS1_3repE0EEENS1_30default_config_static_selectorELNS0_4arch9wavefront6targetE1EEEvS12_
	.p2align	8
	.type	_ZN7rocprim17ROCPRIM_400000_NS6detail17trampoline_kernelINS0_13select_configILj256ELj13ELNS0_17block_load_methodE3ELS4_3ELS4_3ELNS0_20block_scan_algorithmE0ELj4294967295EEENS1_25partition_config_selectorILNS1_17partition_subalgoE4EjNS0_10empty_typeEbEEZZNS1_14partition_implILS8_4ELb0ES6_15HIP_vector_typeIjLj2EENS0_17counting_iteratorIjlEEPS9_SG_NS0_5tupleIJPjSI_NS0_16reverse_iteratorISI_EEEEENSH_IJSG_SG_SG_EEES9_SI_JZNS1_25segmented_radix_sort_implINS0_14default_configELb1EPKhPhPKlPlN2at6native12_GLOBAL__N_18offset_tEEE10hipError_tPvRmT1_PNSt15iterator_traitsIS12_E10value_typeET2_T3_PNS13_IS18_E10value_typeET4_jRbjT5_S1E_jjP12ihipStream_tbEUljE_ZNSN_ISO_Lb1ESQ_SR_ST_SU_SY_EESZ_S10_S11_S12_S16_S17_S18_S1B_S1C_jS1D_jS1E_S1E_jjS1G_bEUljE0_EEESZ_S10_S11_S18_S1C_S1E_T6_T7_T9_mT8_S1G_bDpT10_ENKUlT_T0_E_clISt17integral_constantIbLb1EES1U_EEDaS1P_S1Q_EUlS1P_E_NS1_11comp_targetILNS1_3genE10ELNS1_11target_archE1200ELNS1_3gpuE4ELNS1_3repE0EEENS1_30default_config_static_selectorELNS0_4arch9wavefront6targetE1EEEvS12_,@function
_ZN7rocprim17ROCPRIM_400000_NS6detail17trampoline_kernelINS0_13select_configILj256ELj13ELNS0_17block_load_methodE3ELS4_3ELS4_3ELNS0_20block_scan_algorithmE0ELj4294967295EEENS1_25partition_config_selectorILNS1_17partition_subalgoE4EjNS0_10empty_typeEbEEZZNS1_14partition_implILS8_4ELb0ES6_15HIP_vector_typeIjLj2EENS0_17counting_iteratorIjlEEPS9_SG_NS0_5tupleIJPjSI_NS0_16reverse_iteratorISI_EEEEENSH_IJSG_SG_SG_EEES9_SI_JZNS1_25segmented_radix_sort_implINS0_14default_configELb1EPKhPhPKlPlN2at6native12_GLOBAL__N_18offset_tEEE10hipError_tPvRmT1_PNSt15iterator_traitsIS12_E10value_typeET2_T3_PNS13_IS18_E10value_typeET4_jRbjT5_S1E_jjP12ihipStream_tbEUljE_ZNSN_ISO_Lb1ESQ_SR_ST_SU_SY_EESZ_S10_S11_S12_S16_S17_S18_S1B_S1C_jS1D_jS1E_S1E_jjS1G_bEUljE0_EEESZ_S10_S11_S18_S1C_S1E_T6_T7_T9_mT8_S1G_bDpT10_ENKUlT_T0_E_clISt17integral_constantIbLb1EES1U_EEDaS1P_S1Q_EUlS1P_E_NS1_11comp_targetILNS1_3genE10ELNS1_11target_archE1200ELNS1_3gpuE4ELNS1_3repE0EEENS1_30default_config_static_selectorELNS0_4arch9wavefront6targetE1EEEvS12_: ; @_ZN7rocprim17ROCPRIM_400000_NS6detail17trampoline_kernelINS0_13select_configILj256ELj13ELNS0_17block_load_methodE3ELS4_3ELS4_3ELNS0_20block_scan_algorithmE0ELj4294967295EEENS1_25partition_config_selectorILNS1_17partition_subalgoE4EjNS0_10empty_typeEbEEZZNS1_14partition_implILS8_4ELb0ES6_15HIP_vector_typeIjLj2EENS0_17counting_iteratorIjlEEPS9_SG_NS0_5tupleIJPjSI_NS0_16reverse_iteratorISI_EEEEENSH_IJSG_SG_SG_EEES9_SI_JZNS1_25segmented_radix_sort_implINS0_14default_configELb1EPKhPhPKlPlN2at6native12_GLOBAL__N_18offset_tEEE10hipError_tPvRmT1_PNSt15iterator_traitsIS12_E10value_typeET2_T3_PNS13_IS18_E10value_typeET4_jRbjT5_S1E_jjP12ihipStream_tbEUljE_ZNSN_ISO_Lb1ESQ_SR_ST_SU_SY_EESZ_S10_S11_S12_S16_S17_S18_S1B_S1C_jS1D_jS1E_S1E_jjS1G_bEUljE0_EEESZ_S10_S11_S18_S1C_S1E_T6_T7_T9_mT8_S1G_bDpT10_ENKUlT_T0_E_clISt17integral_constantIbLb1EES1U_EEDaS1P_S1Q_EUlS1P_E_NS1_11comp_targetILNS1_3genE10ELNS1_11target_archE1200ELNS1_3gpuE4ELNS1_3repE0EEENS1_30default_config_static_selectorELNS0_4arch9wavefront6targetE1EEEvS12_
; %bb.0:
	.section	.rodata,"a",@progbits
	.p2align	6, 0x0
	.amdhsa_kernel _ZN7rocprim17ROCPRIM_400000_NS6detail17trampoline_kernelINS0_13select_configILj256ELj13ELNS0_17block_load_methodE3ELS4_3ELS4_3ELNS0_20block_scan_algorithmE0ELj4294967295EEENS1_25partition_config_selectorILNS1_17partition_subalgoE4EjNS0_10empty_typeEbEEZZNS1_14partition_implILS8_4ELb0ES6_15HIP_vector_typeIjLj2EENS0_17counting_iteratorIjlEEPS9_SG_NS0_5tupleIJPjSI_NS0_16reverse_iteratorISI_EEEEENSH_IJSG_SG_SG_EEES9_SI_JZNS1_25segmented_radix_sort_implINS0_14default_configELb1EPKhPhPKlPlN2at6native12_GLOBAL__N_18offset_tEEE10hipError_tPvRmT1_PNSt15iterator_traitsIS12_E10value_typeET2_T3_PNS13_IS18_E10value_typeET4_jRbjT5_S1E_jjP12ihipStream_tbEUljE_ZNSN_ISO_Lb1ESQ_SR_ST_SU_SY_EESZ_S10_S11_S12_S16_S17_S18_S1B_S1C_jS1D_jS1E_S1E_jjS1G_bEUljE0_EEESZ_S10_S11_S18_S1C_S1E_T6_T7_T9_mT8_S1G_bDpT10_ENKUlT_T0_E_clISt17integral_constantIbLb1EES1U_EEDaS1P_S1Q_EUlS1P_E_NS1_11comp_targetILNS1_3genE10ELNS1_11target_archE1200ELNS1_3gpuE4ELNS1_3repE0EEENS1_30default_config_static_selectorELNS0_4arch9wavefront6targetE1EEEvS12_
		.amdhsa_group_segment_fixed_size 0
		.amdhsa_private_segment_fixed_size 0
		.amdhsa_kernarg_size 184
		.amdhsa_user_sgpr_count 6
		.amdhsa_user_sgpr_private_segment_buffer 1
		.amdhsa_user_sgpr_dispatch_ptr 0
		.amdhsa_user_sgpr_queue_ptr 0
		.amdhsa_user_sgpr_kernarg_segment_ptr 1
		.amdhsa_user_sgpr_dispatch_id 0
		.amdhsa_user_sgpr_flat_scratch_init 0
		.amdhsa_user_sgpr_kernarg_preload_length 0
		.amdhsa_user_sgpr_kernarg_preload_offset 0
		.amdhsa_user_sgpr_private_segment_size 0
		.amdhsa_uses_dynamic_stack 0
		.amdhsa_system_sgpr_private_segment_wavefront_offset 0
		.amdhsa_system_sgpr_workgroup_id_x 1
		.amdhsa_system_sgpr_workgroup_id_y 0
		.amdhsa_system_sgpr_workgroup_id_z 0
		.amdhsa_system_sgpr_workgroup_info 0
		.amdhsa_system_vgpr_workitem_id 0
		.amdhsa_next_free_vgpr 1
		.amdhsa_next_free_sgpr 0
		.amdhsa_accum_offset 4
		.amdhsa_reserve_vcc 0
		.amdhsa_reserve_flat_scratch 0
		.amdhsa_float_round_mode_32 0
		.amdhsa_float_round_mode_16_64 0
		.amdhsa_float_denorm_mode_32 3
		.amdhsa_float_denorm_mode_16_64 3
		.amdhsa_dx10_clamp 1
		.amdhsa_ieee_mode 1
		.amdhsa_fp16_overflow 0
		.amdhsa_tg_split 0
		.amdhsa_exception_fp_ieee_invalid_op 0
		.amdhsa_exception_fp_denorm_src 0
		.amdhsa_exception_fp_ieee_div_zero 0
		.amdhsa_exception_fp_ieee_overflow 0
		.amdhsa_exception_fp_ieee_underflow 0
		.amdhsa_exception_fp_ieee_inexact 0
		.amdhsa_exception_int_div_zero 0
	.end_amdhsa_kernel
	.section	.text._ZN7rocprim17ROCPRIM_400000_NS6detail17trampoline_kernelINS0_13select_configILj256ELj13ELNS0_17block_load_methodE3ELS4_3ELS4_3ELNS0_20block_scan_algorithmE0ELj4294967295EEENS1_25partition_config_selectorILNS1_17partition_subalgoE4EjNS0_10empty_typeEbEEZZNS1_14partition_implILS8_4ELb0ES6_15HIP_vector_typeIjLj2EENS0_17counting_iteratorIjlEEPS9_SG_NS0_5tupleIJPjSI_NS0_16reverse_iteratorISI_EEEEENSH_IJSG_SG_SG_EEES9_SI_JZNS1_25segmented_radix_sort_implINS0_14default_configELb1EPKhPhPKlPlN2at6native12_GLOBAL__N_18offset_tEEE10hipError_tPvRmT1_PNSt15iterator_traitsIS12_E10value_typeET2_T3_PNS13_IS18_E10value_typeET4_jRbjT5_S1E_jjP12ihipStream_tbEUljE_ZNSN_ISO_Lb1ESQ_SR_ST_SU_SY_EESZ_S10_S11_S12_S16_S17_S18_S1B_S1C_jS1D_jS1E_S1E_jjS1G_bEUljE0_EEESZ_S10_S11_S18_S1C_S1E_T6_T7_T9_mT8_S1G_bDpT10_ENKUlT_T0_E_clISt17integral_constantIbLb1EES1U_EEDaS1P_S1Q_EUlS1P_E_NS1_11comp_targetILNS1_3genE10ELNS1_11target_archE1200ELNS1_3gpuE4ELNS1_3repE0EEENS1_30default_config_static_selectorELNS0_4arch9wavefront6targetE1EEEvS12_,"axG",@progbits,_ZN7rocprim17ROCPRIM_400000_NS6detail17trampoline_kernelINS0_13select_configILj256ELj13ELNS0_17block_load_methodE3ELS4_3ELS4_3ELNS0_20block_scan_algorithmE0ELj4294967295EEENS1_25partition_config_selectorILNS1_17partition_subalgoE4EjNS0_10empty_typeEbEEZZNS1_14partition_implILS8_4ELb0ES6_15HIP_vector_typeIjLj2EENS0_17counting_iteratorIjlEEPS9_SG_NS0_5tupleIJPjSI_NS0_16reverse_iteratorISI_EEEEENSH_IJSG_SG_SG_EEES9_SI_JZNS1_25segmented_radix_sort_implINS0_14default_configELb1EPKhPhPKlPlN2at6native12_GLOBAL__N_18offset_tEEE10hipError_tPvRmT1_PNSt15iterator_traitsIS12_E10value_typeET2_T3_PNS13_IS18_E10value_typeET4_jRbjT5_S1E_jjP12ihipStream_tbEUljE_ZNSN_ISO_Lb1ESQ_SR_ST_SU_SY_EESZ_S10_S11_S12_S16_S17_S18_S1B_S1C_jS1D_jS1E_S1E_jjS1G_bEUljE0_EEESZ_S10_S11_S18_S1C_S1E_T6_T7_T9_mT8_S1G_bDpT10_ENKUlT_T0_E_clISt17integral_constantIbLb1EES1U_EEDaS1P_S1Q_EUlS1P_E_NS1_11comp_targetILNS1_3genE10ELNS1_11target_archE1200ELNS1_3gpuE4ELNS1_3repE0EEENS1_30default_config_static_selectorELNS0_4arch9wavefront6targetE1EEEvS12_,comdat
.Lfunc_end26:
	.size	_ZN7rocprim17ROCPRIM_400000_NS6detail17trampoline_kernelINS0_13select_configILj256ELj13ELNS0_17block_load_methodE3ELS4_3ELS4_3ELNS0_20block_scan_algorithmE0ELj4294967295EEENS1_25partition_config_selectorILNS1_17partition_subalgoE4EjNS0_10empty_typeEbEEZZNS1_14partition_implILS8_4ELb0ES6_15HIP_vector_typeIjLj2EENS0_17counting_iteratorIjlEEPS9_SG_NS0_5tupleIJPjSI_NS0_16reverse_iteratorISI_EEEEENSH_IJSG_SG_SG_EEES9_SI_JZNS1_25segmented_radix_sort_implINS0_14default_configELb1EPKhPhPKlPlN2at6native12_GLOBAL__N_18offset_tEEE10hipError_tPvRmT1_PNSt15iterator_traitsIS12_E10value_typeET2_T3_PNS13_IS18_E10value_typeET4_jRbjT5_S1E_jjP12ihipStream_tbEUljE_ZNSN_ISO_Lb1ESQ_SR_ST_SU_SY_EESZ_S10_S11_S12_S16_S17_S18_S1B_S1C_jS1D_jS1E_S1E_jjS1G_bEUljE0_EEESZ_S10_S11_S18_S1C_S1E_T6_T7_T9_mT8_S1G_bDpT10_ENKUlT_T0_E_clISt17integral_constantIbLb1EES1U_EEDaS1P_S1Q_EUlS1P_E_NS1_11comp_targetILNS1_3genE10ELNS1_11target_archE1200ELNS1_3gpuE4ELNS1_3repE0EEENS1_30default_config_static_selectorELNS0_4arch9wavefront6targetE1EEEvS12_, .Lfunc_end26-_ZN7rocprim17ROCPRIM_400000_NS6detail17trampoline_kernelINS0_13select_configILj256ELj13ELNS0_17block_load_methodE3ELS4_3ELS4_3ELNS0_20block_scan_algorithmE0ELj4294967295EEENS1_25partition_config_selectorILNS1_17partition_subalgoE4EjNS0_10empty_typeEbEEZZNS1_14partition_implILS8_4ELb0ES6_15HIP_vector_typeIjLj2EENS0_17counting_iteratorIjlEEPS9_SG_NS0_5tupleIJPjSI_NS0_16reverse_iteratorISI_EEEEENSH_IJSG_SG_SG_EEES9_SI_JZNS1_25segmented_radix_sort_implINS0_14default_configELb1EPKhPhPKlPlN2at6native12_GLOBAL__N_18offset_tEEE10hipError_tPvRmT1_PNSt15iterator_traitsIS12_E10value_typeET2_T3_PNS13_IS18_E10value_typeET4_jRbjT5_S1E_jjP12ihipStream_tbEUljE_ZNSN_ISO_Lb1ESQ_SR_ST_SU_SY_EESZ_S10_S11_S12_S16_S17_S18_S1B_S1C_jS1D_jS1E_S1E_jjS1G_bEUljE0_EEESZ_S10_S11_S18_S1C_S1E_T6_T7_T9_mT8_S1G_bDpT10_ENKUlT_T0_E_clISt17integral_constantIbLb1EES1U_EEDaS1P_S1Q_EUlS1P_E_NS1_11comp_targetILNS1_3genE10ELNS1_11target_archE1200ELNS1_3gpuE4ELNS1_3repE0EEENS1_30default_config_static_selectorELNS0_4arch9wavefront6targetE1EEEvS12_
                                        ; -- End function
	.section	.AMDGPU.csdata,"",@progbits
; Kernel info:
; codeLenInByte = 0
; NumSgprs: 4
; NumVgprs: 0
; NumAgprs: 0
; TotalNumVgprs: 0
; ScratchSize: 0
; MemoryBound: 0
; FloatMode: 240
; IeeeMode: 1
; LDSByteSize: 0 bytes/workgroup (compile time only)
; SGPRBlocks: 0
; VGPRBlocks: 0
; NumSGPRsForWavesPerEU: 4
; NumVGPRsForWavesPerEU: 1
; AccumOffset: 4
; Occupancy: 8
; WaveLimiterHint : 0
; COMPUTE_PGM_RSRC2:SCRATCH_EN: 0
; COMPUTE_PGM_RSRC2:USER_SGPR: 6
; COMPUTE_PGM_RSRC2:TRAP_HANDLER: 0
; COMPUTE_PGM_RSRC2:TGID_X_EN: 1
; COMPUTE_PGM_RSRC2:TGID_Y_EN: 0
; COMPUTE_PGM_RSRC2:TGID_Z_EN: 0
; COMPUTE_PGM_RSRC2:TIDIG_COMP_CNT: 0
; COMPUTE_PGM_RSRC3_GFX90A:ACCUM_OFFSET: 0
; COMPUTE_PGM_RSRC3_GFX90A:TG_SPLIT: 0
	.section	.text._ZN7rocprim17ROCPRIM_400000_NS6detail17trampoline_kernelINS0_13select_configILj256ELj13ELNS0_17block_load_methodE3ELS4_3ELS4_3ELNS0_20block_scan_algorithmE0ELj4294967295EEENS1_25partition_config_selectorILNS1_17partition_subalgoE4EjNS0_10empty_typeEbEEZZNS1_14partition_implILS8_4ELb0ES6_15HIP_vector_typeIjLj2EENS0_17counting_iteratorIjlEEPS9_SG_NS0_5tupleIJPjSI_NS0_16reverse_iteratorISI_EEEEENSH_IJSG_SG_SG_EEES9_SI_JZNS1_25segmented_radix_sort_implINS0_14default_configELb1EPKhPhPKlPlN2at6native12_GLOBAL__N_18offset_tEEE10hipError_tPvRmT1_PNSt15iterator_traitsIS12_E10value_typeET2_T3_PNS13_IS18_E10value_typeET4_jRbjT5_S1E_jjP12ihipStream_tbEUljE_ZNSN_ISO_Lb1ESQ_SR_ST_SU_SY_EESZ_S10_S11_S12_S16_S17_S18_S1B_S1C_jS1D_jS1E_S1E_jjS1G_bEUljE0_EEESZ_S10_S11_S18_S1C_S1E_T6_T7_T9_mT8_S1G_bDpT10_ENKUlT_T0_E_clISt17integral_constantIbLb1EES1U_EEDaS1P_S1Q_EUlS1P_E_NS1_11comp_targetILNS1_3genE9ELNS1_11target_archE1100ELNS1_3gpuE3ELNS1_3repE0EEENS1_30default_config_static_selectorELNS0_4arch9wavefront6targetE1EEEvS12_,"axG",@progbits,_ZN7rocprim17ROCPRIM_400000_NS6detail17trampoline_kernelINS0_13select_configILj256ELj13ELNS0_17block_load_methodE3ELS4_3ELS4_3ELNS0_20block_scan_algorithmE0ELj4294967295EEENS1_25partition_config_selectorILNS1_17partition_subalgoE4EjNS0_10empty_typeEbEEZZNS1_14partition_implILS8_4ELb0ES6_15HIP_vector_typeIjLj2EENS0_17counting_iteratorIjlEEPS9_SG_NS0_5tupleIJPjSI_NS0_16reverse_iteratorISI_EEEEENSH_IJSG_SG_SG_EEES9_SI_JZNS1_25segmented_radix_sort_implINS0_14default_configELb1EPKhPhPKlPlN2at6native12_GLOBAL__N_18offset_tEEE10hipError_tPvRmT1_PNSt15iterator_traitsIS12_E10value_typeET2_T3_PNS13_IS18_E10value_typeET4_jRbjT5_S1E_jjP12ihipStream_tbEUljE_ZNSN_ISO_Lb1ESQ_SR_ST_SU_SY_EESZ_S10_S11_S12_S16_S17_S18_S1B_S1C_jS1D_jS1E_S1E_jjS1G_bEUljE0_EEESZ_S10_S11_S18_S1C_S1E_T6_T7_T9_mT8_S1G_bDpT10_ENKUlT_T0_E_clISt17integral_constantIbLb1EES1U_EEDaS1P_S1Q_EUlS1P_E_NS1_11comp_targetILNS1_3genE9ELNS1_11target_archE1100ELNS1_3gpuE3ELNS1_3repE0EEENS1_30default_config_static_selectorELNS0_4arch9wavefront6targetE1EEEvS12_,comdat
	.globl	_ZN7rocprim17ROCPRIM_400000_NS6detail17trampoline_kernelINS0_13select_configILj256ELj13ELNS0_17block_load_methodE3ELS4_3ELS4_3ELNS0_20block_scan_algorithmE0ELj4294967295EEENS1_25partition_config_selectorILNS1_17partition_subalgoE4EjNS0_10empty_typeEbEEZZNS1_14partition_implILS8_4ELb0ES6_15HIP_vector_typeIjLj2EENS0_17counting_iteratorIjlEEPS9_SG_NS0_5tupleIJPjSI_NS0_16reverse_iteratorISI_EEEEENSH_IJSG_SG_SG_EEES9_SI_JZNS1_25segmented_radix_sort_implINS0_14default_configELb1EPKhPhPKlPlN2at6native12_GLOBAL__N_18offset_tEEE10hipError_tPvRmT1_PNSt15iterator_traitsIS12_E10value_typeET2_T3_PNS13_IS18_E10value_typeET4_jRbjT5_S1E_jjP12ihipStream_tbEUljE_ZNSN_ISO_Lb1ESQ_SR_ST_SU_SY_EESZ_S10_S11_S12_S16_S17_S18_S1B_S1C_jS1D_jS1E_S1E_jjS1G_bEUljE0_EEESZ_S10_S11_S18_S1C_S1E_T6_T7_T9_mT8_S1G_bDpT10_ENKUlT_T0_E_clISt17integral_constantIbLb1EES1U_EEDaS1P_S1Q_EUlS1P_E_NS1_11comp_targetILNS1_3genE9ELNS1_11target_archE1100ELNS1_3gpuE3ELNS1_3repE0EEENS1_30default_config_static_selectorELNS0_4arch9wavefront6targetE1EEEvS12_ ; -- Begin function _ZN7rocprim17ROCPRIM_400000_NS6detail17trampoline_kernelINS0_13select_configILj256ELj13ELNS0_17block_load_methodE3ELS4_3ELS4_3ELNS0_20block_scan_algorithmE0ELj4294967295EEENS1_25partition_config_selectorILNS1_17partition_subalgoE4EjNS0_10empty_typeEbEEZZNS1_14partition_implILS8_4ELb0ES6_15HIP_vector_typeIjLj2EENS0_17counting_iteratorIjlEEPS9_SG_NS0_5tupleIJPjSI_NS0_16reverse_iteratorISI_EEEEENSH_IJSG_SG_SG_EEES9_SI_JZNS1_25segmented_radix_sort_implINS0_14default_configELb1EPKhPhPKlPlN2at6native12_GLOBAL__N_18offset_tEEE10hipError_tPvRmT1_PNSt15iterator_traitsIS12_E10value_typeET2_T3_PNS13_IS18_E10value_typeET4_jRbjT5_S1E_jjP12ihipStream_tbEUljE_ZNSN_ISO_Lb1ESQ_SR_ST_SU_SY_EESZ_S10_S11_S12_S16_S17_S18_S1B_S1C_jS1D_jS1E_S1E_jjS1G_bEUljE0_EEESZ_S10_S11_S18_S1C_S1E_T6_T7_T9_mT8_S1G_bDpT10_ENKUlT_T0_E_clISt17integral_constantIbLb1EES1U_EEDaS1P_S1Q_EUlS1P_E_NS1_11comp_targetILNS1_3genE9ELNS1_11target_archE1100ELNS1_3gpuE3ELNS1_3repE0EEENS1_30default_config_static_selectorELNS0_4arch9wavefront6targetE1EEEvS12_
	.p2align	8
	.type	_ZN7rocprim17ROCPRIM_400000_NS6detail17trampoline_kernelINS0_13select_configILj256ELj13ELNS0_17block_load_methodE3ELS4_3ELS4_3ELNS0_20block_scan_algorithmE0ELj4294967295EEENS1_25partition_config_selectorILNS1_17partition_subalgoE4EjNS0_10empty_typeEbEEZZNS1_14partition_implILS8_4ELb0ES6_15HIP_vector_typeIjLj2EENS0_17counting_iteratorIjlEEPS9_SG_NS0_5tupleIJPjSI_NS0_16reverse_iteratorISI_EEEEENSH_IJSG_SG_SG_EEES9_SI_JZNS1_25segmented_radix_sort_implINS0_14default_configELb1EPKhPhPKlPlN2at6native12_GLOBAL__N_18offset_tEEE10hipError_tPvRmT1_PNSt15iterator_traitsIS12_E10value_typeET2_T3_PNS13_IS18_E10value_typeET4_jRbjT5_S1E_jjP12ihipStream_tbEUljE_ZNSN_ISO_Lb1ESQ_SR_ST_SU_SY_EESZ_S10_S11_S12_S16_S17_S18_S1B_S1C_jS1D_jS1E_S1E_jjS1G_bEUljE0_EEESZ_S10_S11_S18_S1C_S1E_T6_T7_T9_mT8_S1G_bDpT10_ENKUlT_T0_E_clISt17integral_constantIbLb1EES1U_EEDaS1P_S1Q_EUlS1P_E_NS1_11comp_targetILNS1_3genE9ELNS1_11target_archE1100ELNS1_3gpuE3ELNS1_3repE0EEENS1_30default_config_static_selectorELNS0_4arch9wavefront6targetE1EEEvS12_,@function
_ZN7rocprim17ROCPRIM_400000_NS6detail17trampoline_kernelINS0_13select_configILj256ELj13ELNS0_17block_load_methodE3ELS4_3ELS4_3ELNS0_20block_scan_algorithmE0ELj4294967295EEENS1_25partition_config_selectorILNS1_17partition_subalgoE4EjNS0_10empty_typeEbEEZZNS1_14partition_implILS8_4ELb0ES6_15HIP_vector_typeIjLj2EENS0_17counting_iteratorIjlEEPS9_SG_NS0_5tupleIJPjSI_NS0_16reverse_iteratorISI_EEEEENSH_IJSG_SG_SG_EEES9_SI_JZNS1_25segmented_radix_sort_implINS0_14default_configELb1EPKhPhPKlPlN2at6native12_GLOBAL__N_18offset_tEEE10hipError_tPvRmT1_PNSt15iterator_traitsIS12_E10value_typeET2_T3_PNS13_IS18_E10value_typeET4_jRbjT5_S1E_jjP12ihipStream_tbEUljE_ZNSN_ISO_Lb1ESQ_SR_ST_SU_SY_EESZ_S10_S11_S12_S16_S17_S18_S1B_S1C_jS1D_jS1E_S1E_jjS1G_bEUljE0_EEESZ_S10_S11_S18_S1C_S1E_T6_T7_T9_mT8_S1G_bDpT10_ENKUlT_T0_E_clISt17integral_constantIbLb1EES1U_EEDaS1P_S1Q_EUlS1P_E_NS1_11comp_targetILNS1_3genE9ELNS1_11target_archE1100ELNS1_3gpuE3ELNS1_3repE0EEENS1_30default_config_static_selectorELNS0_4arch9wavefront6targetE1EEEvS12_: ; @_ZN7rocprim17ROCPRIM_400000_NS6detail17trampoline_kernelINS0_13select_configILj256ELj13ELNS0_17block_load_methodE3ELS4_3ELS4_3ELNS0_20block_scan_algorithmE0ELj4294967295EEENS1_25partition_config_selectorILNS1_17partition_subalgoE4EjNS0_10empty_typeEbEEZZNS1_14partition_implILS8_4ELb0ES6_15HIP_vector_typeIjLj2EENS0_17counting_iteratorIjlEEPS9_SG_NS0_5tupleIJPjSI_NS0_16reverse_iteratorISI_EEEEENSH_IJSG_SG_SG_EEES9_SI_JZNS1_25segmented_radix_sort_implINS0_14default_configELb1EPKhPhPKlPlN2at6native12_GLOBAL__N_18offset_tEEE10hipError_tPvRmT1_PNSt15iterator_traitsIS12_E10value_typeET2_T3_PNS13_IS18_E10value_typeET4_jRbjT5_S1E_jjP12ihipStream_tbEUljE_ZNSN_ISO_Lb1ESQ_SR_ST_SU_SY_EESZ_S10_S11_S12_S16_S17_S18_S1B_S1C_jS1D_jS1E_S1E_jjS1G_bEUljE0_EEESZ_S10_S11_S18_S1C_S1E_T6_T7_T9_mT8_S1G_bDpT10_ENKUlT_T0_E_clISt17integral_constantIbLb1EES1U_EEDaS1P_S1Q_EUlS1P_E_NS1_11comp_targetILNS1_3genE9ELNS1_11target_archE1100ELNS1_3gpuE3ELNS1_3repE0EEENS1_30default_config_static_selectorELNS0_4arch9wavefront6targetE1EEEvS12_
; %bb.0:
	.section	.rodata,"a",@progbits
	.p2align	6, 0x0
	.amdhsa_kernel _ZN7rocprim17ROCPRIM_400000_NS6detail17trampoline_kernelINS0_13select_configILj256ELj13ELNS0_17block_load_methodE3ELS4_3ELS4_3ELNS0_20block_scan_algorithmE0ELj4294967295EEENS1_25partition_config_selectorILNS1_17partition_subalgoE4EjNS0_10empty_typeEbEEZZNS1_14partition_implILS8_4ELb0ES6_15HIP_vector_typeIjLj2EENS0_17counting_iteratorIjlEEPS9_SG_NS0_5tupleIJPjSI_NS0_16reverse_iteratorISI_EEEEENSH_IJSG_SG_SG_EEES9_SI_JZNS1_25segmented_radix_sort_implINS0_14default_configELb1EPKhPhPKlPlN2at6native12_GLOBAL__N_18offset_tEEE10hipError_tPvRmT1_PNSt15iterator_traitsIS12_E10value_typeET2_T3_PNS13_IS18_E10value_typeET4_jRbjT5_S1E_jjP12ihipStream_tbEUljE_ZNSN_ISO_Lb1ESQ_SR_ST_SU_SY_EESZ_S10_S11_S12_S16_S17_S18_S1B_S1C_jS1D_jS1E_S1E_jjS1G_bEUljE0_EEESZ_S10_S11_S18_S1C_S1E_T6_T7_T9_mT8_S1G_bDpT10_ENKUlT_T0_E_clISt17integral_constantIbLb1EES1U_EEDaS1P_S1Q_EUlS1P_E_NS1_11comp_targetILNS1_3genE9ELNS1_11target_archE1100ELNS1_3gpuE3ELNS1_3repE0EEENS1_30default_config_static_selectorELNS0_4arch9wavefront6targetE1EEEvS12_
		.amdhsa_group_segment_fixed_size 0
		.amdhsa_private_segment_fixed_size 0
		.amdhsa_kernarg_size 184
		.amdhsa_user_sgpr_count 6
		.amdhsa_user_sgpr_private_segment_buffer 1
		.amdhsa_user_sgpr_dispatch_ptr 0
		.amdhsa_user_sgpr_queue_ptr 0
		.amdhsa_user_sgpr_kernarg_segment_ptr 1
		.amdhsa_user_sgpr_dispatch_id 0
		.amdhsa_user_sgpr_flat_scratch_init 0
		.amdhsa_user_sgpr_kernarg_preload_length 0
		.amdhsa_user_sgpr_kernarg_preload_offset 0
		.amdhsa_user_sgpr_private_segment_size 0
		.amdhsa_uses_dynamic_stack 0
		.amdhsa_system_sgpr_private_segment_wavefront_offset 0
		.amdhsa_system_sgpr_workgroup_id_x 1
		.amdhsa_system_sgpr_workgroup_id_y 0
		.amdhsa_system_sgpr_workgroup_id_z 0
		.amdhsa_system_sgpr_workgroup_info 0
		.amdhsa_system_vgpr_workitem_id 0
		.amdhsa_next_free_vgpr 1
		.amdhsa_next_free_sgpr 0
		.amdhsa_accum_offset 4
		.amdhsa_reserve_vcc 0
		.amdhsa_reserve_flat_scratch 0
		.amdhsa_float_round_mode_32 0
		.amdhsa_float_round_mode_16_64 0
		.amdhsa_float_denorm_mode_32 3
		.amdhsa_float_denorm_mode_16_64 3
		.amdhsa_dx10_clamp 1
		.amdhsa_ieee_mode 1
		.amdhsa_fp16_overflow 0
		.amdhsa_tg_split 0
		.amdhsa_exception_fp_ieee_invalid_op 0
		.amdhsa_exception_fp_denorm_src 0
		.amdhsa_exception_fp_ieee_div_zero 0
		.amdhsa_exception_fp_ieee_overflow 0
		.amdhsa_exception_fp_ieee_underflow 0
		.amdhsa_exception_fp_ieee_inexact 0
		.amdhsa_exception_int_div_zero 0
	.end_amdhsa_kernel
	.section	.text._ZN7rocprim17ROCPRIM_400000_NS6detail17trampoline_kernelINS0_13select_configILj256ELj13ELNS0_17block_load_methodE3ELS4_3ELS4_3ELNS0_20block_scan_algorithmE0ELj4294967295EEENS1_25partition_config_selectorILNS1_17partition_subalgoE4EjNS0_10empty_typeEbEEZZNS1_14partition_implILS8_4ELb0ES6_15HIP_vector_typeIjLj2EENS0_17counting_iteratorIjlEEPS9_SG_NS0_5tupleIJPjSI_NS0_16reverse_iteratorISI_EEEEENSH_IJSG_SG_SG_EEES9_SI_JZNS1_25segmented_radix_sort_implINS0_14default_configELb1EPKhPhPKlPlN2at6native12_GLOBAL__N_18offset_tEEE10hipError_tPvRmT1_PNSt15iterator_traitsIS12_E10value_typeET2_T3_PNS13_IS18_E10value_typeET4_jRbjT5_S1E_jjP12ihipStream_tbEUljE_ZNSN_ISO_Lb1ESQ_SR_ST_SU_SY_EESZ_S10_S11_S12_S16_S17_S18_S1B_S1C_jS1D_jS1E_S1E_jjS1G_bEUljE0_EEESZ_S10_S11_S18_S1C_S1E_T6_T7_T9_mT8_S1G_bDpT10_ENKUlT_T0_E_clISt17integral_constantIbLb1EES1U_EEDaS1P_S1Q_EUlS1P_E_NS1_11comp_targetILNS1_3genE9ELNS1_11target_archE1100ELNS1_3gpuE3ELNS1_3repE0EEENS1_30default_config_static_selectorELNS0_4arch9wavefront6targetE1EEEvS12_,"axG",@progbits,_ZN7rocprim17ROCPRIM_400000_NS6detail17trampoline_kernelINS0_13select_configILj256ELj13ELNS0_17block_load_methodE3ELS4_3ELS4_3ELNS0_20block_scan_algorithmE0ELj4294967295EEENS1_25partition_config_selectorILNS1_17partition_subalgoE4EjNS0_10empty_typeEbEEZZNS1_14partition_implILS8_4ELb0ES6_15HIP_vector_typeIjLj2EENS0_17counting_iteratorIjlEEPS9_SG_NS0_5tupleIJPjSI_NS0_16reverse_iteratorISI_EEEEENSH_IJSG_SG_SG_EEES9_SI_JZNS1_25segmented_radix_sort_implINS0_14default_configELb1EPKhPhPKlPlN2at6native12_GLOBAL__N_18offset_tEEE10hipError_tPvRmT1_PNSt15iterator_traitsIS12_E10value_typeET2_T3_PNS13_IS18_E10value_typeET4_jRbjT5_S1E_jjP12ihipStream_tbEUljE_ZNSN_ISO_Lb1ESQ_SR_ST_SU_SY_EESZ_S10_S11_S12_S16_S17_S18_S1B_S1C_jS1D_jS1E_S1E_jjS1G_bEUljE0_EEESZ_S10_S11_S18_S1C_S1E_T6_T7_T9_mT8_S1G_bDpT10_ENKUlT_T0_E_clISt17integral_constantIbLb1EES1U_EEDaS1P_S1Q_EUlS1P_E_NS1_11comp_targetILNS1_3genE9ELNS1_11target_archE1100ELNS1_3gpuE3ELNS1_3repE0EEENS1_30default_config_static_selectorELNS0_4arch9wavefront6targetE1EEEvS12_,comdat
.Lfunc_end27:
	.size	_ZN7rocprim17ROCPRIM_400000_NS6detail17trampoline_kernelINS0_13select_configILj256ELj13ELNS0_17block_load_methodE3ELS4_3ELS4_3ELNS0_20block_scan_algorithmE0ELj4294967295EEENS1_25partition_config_selectorILNS1_17partition_subalgoE4EjNS0_10empty_typeEbEEZZNS1_14partition_implILS8_4ELb0ES6_15HIP_vector_typeIjLj2EENS0_17counting_iteratorIjlEEPS9_SG_NS0_5tupleIJPjSI_NS0_16reverse_iteratorISI_EEEEENSH_IJSG_SG_SG_EEES9_SI_JZNS1_25segmented_radix_sort_implINS0_14default_configELb1EPKhPhPKlPlN2at6native12_GLOBAL__N_18offset_tEEE10hipError_tPvRmT1_PNSt15iterator_traitsIS12_E10value_typeET2_T3_PNS13_IS18_E10value_typeET4_jRbjT5_S1E_jjP12ihipStream_tbEUljE_ZNSN_ISO_Lb1ESQ_SR_ST_SU_SY_EESZ_S10_S11_S12_S16_S17_S18_S1B_S1C_jS1D_jS1E_S1E_jjS1G_bEUljE0_EEESZ_S10_S11_S18_S1C_S1E_T6_T7_T9_mT8_S1G_bDpT10_ENKUlT_T0_E_clISt17integral_constantIbLb1EES1U_EEDaS1P_S1Q_EUlS1P_E_NS1_11comp_targetILNS1_3genE9ELNS1_11target_archE1100ELNS1_3gpuE3ELNS1_3repE0EEENS1_30default_config_static_selectorELNS0_4arch9wavefront6targetE1EEEvS12_, .Lfunc_end27-_ZN7rocprim17ROCPRIM_400000_NS6detail17trampoline_kernelINS0_13select_configILj256ELj13ELNS0_17block_load_methodE3ELS4_3ELS4_3ELNS0_20block_scan_algorithmE0ELj4294967295EEENS1_25partition_config_selectorILNS1_17partition_subalgoE4EjNS0_10empty_typeEbEEZZNS1_14partition_implILS8_4ELb0ES6_15HIP_vector_typeIjLj2EENS0_17counting_iteratorIjlEEPS9_SG_NS0_5tupleIJPjSI_NS0_16reverse_iteratorISI_EEEEENSH_IJSG_SG_SG_EEES9_SI_JZNS1_25segmented_radix_sort_implINS0_14default_configELb1EPKhPhPKlPlN2at6native12_GLOBAL__N_18offset_tEEE10hipError_tPvRmT1_PNSt15iterator_traitsIS12_E10value_typeET2_T3_PNS13_IS18_E10value_typeET4_jRbjT5_S1E_jjP12ihipStream_tbEUljE_ZNSN_ISO_Lb1ESQ_SR_ST_SU_SY_EESZ_S10_S11_S12_S16_S17_S18_S1B_S1C_jS1D_jS1E_S1E_jjS1G_bEUljE0_EEESZ_S10_S11_S18_S1C_S1E_T6_T7_T9_mT8_S1G_bDpT10_ENKUlT_T0_E_clISt17integral_constantIbLb1EES1U_EEDaS1P_S1Q_EUlS1P_E_NS1_11comp_targetILNS1_3genE9ELNS1_11target_archE1100ELNS1_3gpuE3ELNS1_3repE0EEENS1_30default_config_static_selectorELNS0_4arch9wavefront6targetE1EEEvS12_
                                        ; -- End function
	.section	.AMDGPU.csdata,"",@progbits
; Kernel info:
; codeLenInByte = 0
; NumSgprs: 4
; NumVgprs: 0
; NumAgprs: 0
; TotalNumVgprs: 0
; ScratchSize: 0
; MemoryBound: 0
; FloatMode: 240
; IeeeMode: 1
; LDSByteSize: 0 bytes/workgroup (compile time only)
; SGPRBlocks: 0
; VGPRBlocks: 0
; NumSGPRsForWavesPerEU: 4
; NumVGPRsForWavesPerEU: 1
; AccumOffset: 4
; Occupancy: 8
; WaveLimiterHint : 0
; COMPUTE_PGM_RSRC2:SCRATCH_EN: 0
; COMPUTE_PGM_RSRC2:USER_SGPR: 6
; COMPUTE_PGM_RSRC2:TRAP_HANDLER: 0
; COMPUTE_PGM_RSRC2:TGID_X_EN: 1
; COMPUTE_PGM_RSRC2:TGID_Y_EN: 0
; COMPUTE_PGM_RSRC2:TGID_Z_EN: 0
; COMPUTE_PGM_RSRC2:TIDIG_COMP_CNT: 0
; COMPUTE_PGM_RSRC3_GFX90A:ACCUM_OFFSET: 0
; COMPUTE_PGM_RSRC3_GFX90A:TG_SPLIT: 0
	.section	.text._ZN7rocprim17ROCPRIM_400000_NS6detail17trampoline_kernelINS0_13select_configILj256ELj13ELNS0_17block_load_methodE3ELS4_3ELS4_3ELNS0_20block_scan_algorithmE0ELj4294967295EEENS1_25partition_config_selectorILNS1_17partition_subalgoE4EjNS0_10empty_typeEbEEZZNS1_14partition_implILS8_4ELb0ES6_15HIP_vector_typeIjLj2EENS0_17counting_iteratorIjlEEPS9_SG_NS0_5tupleIJPjSI_NS0_16reverse_iteratorISI_EEEEENSH_IJSG_SG_SG_EEES9_SI_JZNS1_25segmented_radix_sort_implINS0_14default_configELb1EPKhPhPKlPlN2at6native12_GLOBAL__N_18offset_tEEE10hipError_tPvRmT1_PNSt15iterator_traitsIS12_E10value_typeET2_T3_PNS13_IS18_E10value_typeET4_jRbjT5_S1E_jjP12ihipStream_tbEUljE_ZNSN_ISO_Lb1ESQ_SR_ST_SU_SY_EESZ_S10_S11_S12_S16_S17_S18_S1B_S1C_jS1D_jS1E_S1E_jjS1G_bEUljE0_EEESZ_S10_S11_S18_S1C_S1E_T6_T7_T9_mT8_S1G_bDpT10_ENKUlT_T0_E_clISt17integral_constantIbLb1EES1U_EEDaS1P_S1Q_EUlS1P_E_NS1_11comp_targetILNS1_3genE8ELNS1_11target_archE1030ELNS1_3gpuE2ELNS1_3repE0EEENS1_30default_config_static_selectorELNS0_4arch9wavefront6targetE1EEEvS12_,"axG",@progbits,_ZN7rocprim17ROCPRIM_400000_NS6detail17trampoline_kernelINS0_13select_configILj256ELj13ELNS0_17block_load_methodE3ELS4_3ELS4_3ELNS0_20block_scan_algorithmE0ELj4294967295EEENS1_25partition_config_selectorILNS1_17partition_subalgoE4EjNS0_10empty_typeEbEEZZNS1_14partition_implILS8_4ELb0ES6_15HIP_vector_typeIjLj2EENS0_17counting_iteratorIjlEEPS9_SG_NS0_5tupleIJPjSI_NS0_16reverse_iteratorISI_EEEEENSH_IJSG_SG_SG_EEES9_SI_JZNS1_25segmented_radix_sort_implINS0_14default_configELb1EPKhPhPKlPlN2at6native12_GLOBAL__N_18offset_tEEE10hipError_tPvRmT1_PNSt15iterator_traitsIS12_E10value_typeET2_T3_PNS13_IS18_E10value_typeET4_jRbjT5_S1E_jjP12ihipStream_tbEUljE_ZNSN_ISO_Lb1ESQ_SR_ST_SU_SY_EESZ_S10_S11_S12_S16_S17_S18_S1B_S1C_jS1D_jS1E_S1E_jjS1G_bEUljE0_EEESZ_S10_S11_S18_S1C_S1E_T6_T7_T9_mT8_S1G_bDpT10_ENKUlT_T0_E_clISt17integral_constantIbLb1EES1U_EEDaS1P_S1Q_EUlS1P_E_NS1_11comp_targetILNS1_3genE8ELNS1_11target_archE1030ELNS1_3gpuE2ELNS1_3repE0EEENS1_30default_config_static_selectorELNS0_4arch9wavefront6targetE1EEEvS12_,comdat
	.globl	_ZN7rocprim17ROCPRIM_400000_NS6detail17trampoline_kernelINS0_13select_configILj256ELj13ELNS0_17block_load_methodE3ELS4_3ELS4_3ELNS0_20block_scan_algorithmE0ELj4294967295EEENS1_25partition_config_selectorILNS1_17partition_subalgoE4EjNS0_10empty_typeEbEEZZNS1_14partition_implILS8_4ELb0ES6_15HIP_vector_typeIjLj2EENS0_17counting_iteratorIjlEEPS9_SG_NS0_5tupleIJPjSI_NS0_16reverse_iteratorISI_EEEEENSH_IJSG_SG_SG_EEES9_SI_JZNS1_25segmented_radix_sort_implINS0_14default_configELb1EPKhPhPKlPlN2at6native12_GLOBAL__N_18offset_tEEE10hipError_tPvRmT1_PNSt15iterator_traitsIS12_E10value_typeET2_T3_PNS13_IS18_E10value_typeET4_jRbjT5_S1E_jjP12ihipStream_tbEUljE_ZNSN_ISO_Lb1ESQ_SR_ST_SU_SY_EESZ_S10_S11_S12_S16_S17_S18_S1B_S1C_jS1D_jS1E_S1E_jjS1G_bEUljE0_EEESZ_S10_S11_S18_S1C_S1E_T6_T7_T9_mT8_S1G_bDpT10_ENKUlT_T0_E_clISt17integral_constantIbLb1EES1U_EEDaS1P_S1Q_EUlS1P_E_NS1_11comp_targetILNS1_3genE8ELNS1_11target_archE1030ELNS1_3gpuE2ELNS1_3repE0EEENS1_30default_config_static_selectorELNS0_4arch9wavefront6targetE1EEEvS12_ ; -- Begin function _ZN7rocprim17ROCPRIM_400000_NS6detail17trampoline_kernelINS0_13select_configILj256ELj13ELNS0_17block_load_methodE3ELS4_3ELS4_3ELNS0_20block_scan_algorithmE0ELj4294967295EEENS1_25partition_config_selectorILNS1_17partition_subalgoE4EjNS0_10empty_typeEbEEZZNS1_14partition_implILS8_4ELb0ES6_15HIP_vector_typeIjLj2EENS0_17counting_iteratorIjlEEPS9_SG_NS0_5tupleIJPjSI_NS0_16reverse_iteratorISI_EEEEENSH_IJSG_SG_SG_EEES9_SI_JZNS1_25segmented_radix_sort_implINS0_14default_configELb1EPKhPhPKlPlN2at6native12_GLOBAL__N_18offset_tEEE10hipError_tPvRmT1_PNSt15iterator_traitsIS12_E10value_typeET2_T3_PNS13_IS18_E10value_typeET4_jRbjT5_S1E_jjP12ihipStream_tbEUljE_ZNSN_ISO_Lb1ESQ_SR_ST_SU_SY_EESZ_S10_S11_S12_S16_S17_S18_S1B_S1C_jS1D_jS1E_S1E_jjS1G_bEUljE0_EEESZ_S10_S11_S18_S1C_S1E_T6_T7_T9_mT8_S1G_bDpT10_ENKUlT_T0_E_clISt17integral_constantIbLb1EES1U_EEDaS1P_S1Q_EUlS1P_E_NS1_11comp_targetILNS1_3genE8ELNS1_11target_archE1030ELNS1_3gpuE2ELNS1_3repE0EEENS1_30default_config_static_selectorELNS0_4arch9wavefront6targetE1EEEvS12_
	.p2align	8
	.type	_ZN7rocprim17ROCPRIM_400000_NS6detail17trampoline_kernelINS0_13select_configILj256ELj13ELNS0_17block_load_methodE3ELS4_3ELS4_3ELNS0_20block_scan_algorithmE0ELj4294967295EEENS1_25partition_config_selectorILNS1_17partition_subalgoE4EjNS0_10empty_typeEbEEZZNS1_14partition_implILS8_4ELb0ES6_15HIP_vector_typeIjLj2EENS0_17counting_iteratorIjlEEPS9_SG_NS0_5tupleIJPjSI_NS0_16reverse_iteratorISI_EEEEENSH_IJSG_SG_SG_EEES9_SI_JZNS1_25segmented_radix_sort_implINS0_14default_configELb1EPKhPhPKlPlN2at6native12_GLOBAL__N_18offset_tEEE10hipError_tPvRmT1_PNSt15iterator_traitsIS12_E10value_typeET2_T3_PNS13_IS18_E10value_typeET4_jRbjT5_S1E_jjP12ihipStream_tbEUljE_ZNSN_ISO_Lb1ESQ_SR_ST_SU_SY_EESZ_S10_S11_S12_S16_S17_S18_S1B_S1C_jS1D_jS1E_S1E_jjS1G_bEUljE0_EEESZ_S10_S11_S18_S1C_S1E_T6_T7_T9_mT8_S1G_bDpT10_ENKUlT_T0_E_clISt17integral_constantIbLb1EES1U_EEDaS1P_S1Q_EUlS1P_E_NS1_11comp_targetILNS1_3genE8ELNS1_11target_archE1030ELNS1_3gpuE2ELNS1_3repE0EEENS1_30default_config_static_selectorELNS0_4arch9wavefront6targetE1EEEvS12_,@function
_ZN7rocprim17ROCPRIM_400000_NS6detail17trampoline_kernelINS0_13select_configILj256ELj13ELNS0_17block_load_methodE3ELS4_3ELS4_3ELNS0_20block_scan_algorithmE0ELj4294967295EEENS1_25partition_config_selectorILNS1_17partition_subalgoE4EjNS0_10empty_typeEbEEZZNS1_14partition_implILS8_4ELb0ES6_15HIP_vector_typeIjLj2EENS0_17counting_iteratorIjlEEPS9_SG_NS0_5tupleIJPjSI_NS0_16reverse_iteratorISI_EEEEENSH_IJSG_SG_SG_EEES9_SI_JZNS1_25segmented_radix_sort_implINS0_14default_configELb1EPKhPhPKlPlN2at6native12_GLOBAL__N_18offset_tEEE10hipError_tPvRmT1_PNSt15iterator_traitsIS12_E10value_typeET2_T3_PNS13_IS18_E10value_typeET4_jRbjT5_S1E_jjP12ihipStream_tbEUljE_ZNSN_ISO_Lb1ESQ_SR_ST_SU_SY_EESZ_S10_S11_S12_S16_S17_S18_S1B_S1C_jS1D_jS1E_S1E_jjS1G_bEUljE0_EEESZ_S10_S11_S18_S1C_S1E_T6_T7_T9_mT8_S1G_bDpT10_ENKUlT_T0_E_clISt17integral_constantIbLb1EES1U_EEDaS1P_S1Q_EUlS1P_E_NS1_11comp_targetILNS1_3genE8ELNS1_11target_archE1030ELNS1_3gpuE2ELNS1_3repE0EEENS1_30default_config_static_selectorELNS0_4arch9wavefront6targetE1EEEvS12_: ; @_ZN7rocprim17ROCPRIM_400000_NS6detail17trampoline_kernelINS0_13select_configILj256ELj13ELNS0_17block_load_methodE3ELS4_3ELS4_3ELNS0_20block_scan_algorithmE0ELj4294967295EEENS1_25partition_config_selectorILNS1_17partition_subalgoE4EjNS0_10empty_typeEbEEZZNS1_14partition_implILS8_4ELb0ES6_15HIP_vector_typeIjLj2EENS0_17counting_iteratorIjlEEPS9_SG_NS0_5tupleIJPjSI_NS0_16reverse_iteratorISI_EEEEENSH_IJSG_SG_SG_EEES9_SI_JZNS1_25segmented_radix_sort_implINS0_14default_configELb1EPKhPhPKlPlN2at6native12_GLOBAL__N_18offset_tEEE10hipError_tPvRmT1_PNSt15iterator_traitsIS12_E10value_typeET2_T3_PNS13_IS18_E10value_typeET4_jRbjT5_S1E_jjP12ihipStream_tbEUljE_ZNSN_ISO_Lb1ESQ_SR_ST_SU_SY_EESZ_S10_S11_S12_S16_S17_S18_S1B_S1C_jS1D_jS1E_S1E_jjS1G_bEUljE0_EEESZ_S10_S11_S18_S1C_S1E_T6_T7_T9_mT8_S1G_bDpT10_ENKUlT_T0_E_clISt17integral_constantIbLb1EES1U_EEDaS1P_S1Q_EUlS1P_E_NS1_11comp_targetILNS1_3genE8ELNS1_11target_archE1030ELNS1_3gpuE2ELNS1_3repE0EEENS1_30default_config_static_selectorELNS0_4arch9wavefront6targetE1EEEvS12_
; %bb.0:
	.section	.rodata,"a",@progbits
	.p2align	6, 0x0
	.amdhsa_kernel _ZN7rocprim17ROCPRIM_400000_NS6detail17trampoline_kernelINS0_13select_configILj256ELj13ELNS0_17block_load_methodE3ELS4_3ELS4_3ELNS0_20block_scan_algorithmE0ELj4294967295EEENS1_25partition_config_selectorILNS1_17partition_subalgoE4EjNS0_10empty_typeEbEEZZNS1_14partition_implILS8_4ELb0ES6_15HIP_vector_typeIjLj2EENS0_17counting_iteratorIjlEEPS9_SG_NS0_5tupleIJPjSI_NS0_16reverse_iteratorISI_EEEEENSH_IJSG_SG_SG_EEES9_SI_JZNS1_25segmented_radix_sort_implINS0_14default_configELb1EPKhPhPKlPlN2at6native12_GLOBAL__N_18offset_tEEE10hipError_tPvRmT1_PNSt15iterator_traitsIS12_E10value_typeET2_T3_PNS13_IS18_E10value_typeET4_jRbjT5_S1E_jjP12ihipStream_tbEUljE_ZNSN_ISO_Lb1ESQ_SR_ST_SU_SY_EESZ_S10_S11_S12_S16_S17_S18_S1B_S1C_jS1D_jS1E_S1E_jjS1G_bEUljE0_EEESZ_S10_S11_S18_S1C_S1E_T6_T7_T9_mT8_S1G_bDpT10_ENKUlT_T0_E_clISt17integral_constantIbLb1EES1U_EEDaS1P_S1Q_EUlS1P_E_NS1_11comp_targetILNS1_3genE8ELNS1_11target_archE1030ELNS1_3gpuE2ELNS1_3repE0EEENS1_30default_config_static_selectorELNS0_4arch9wavefront6targetE1EEEvS12_
		.amdhsa_group_segment_fixed_size 0
		.amdhsa_private_segment_fixed_size 0
		.amdhsa_kernarg_size 184
		.amdhsa_user_sgpr_count 6
		.amdhsa_user_sgpr_private_segment_buffer 1
		.amdhsa_user_sgpr_dispatch_ptr 0
		.amdhsa_user_sgpr_queue_ptr 0
		.amdhsa_user_sgpr_kernarg_segment_ptr 1
		.amdhsa_user_sgpr_dispatch_id 0
		.amdhsa_user_sgpr_flat_scratch_init 0
		.amdhsa_user_sgpr_kernarg_preload_length 0
		.amdhsa_user_sgpr_kernarg_preload_offset 0
		.amdhsa_user_sgpr_private_segment_size 0
		.amdhsa_uses_dynamic_stack 0
		.amdhsa_system_sgpr_private_segment_wavefront_offset 0
		.amdhsa_system_sgpr_workgroup_id_x 1
		.amdhsa_system_sgpr_workgroup_id_y 0
		.amdhsa_system_sgpr_workgroup_id_z 0
		.amdhsa_system_sgpr_workgroup_info 0
		.amdhsa_system_vgpr_workitem_id 0
		.amdhsa_next_free_vgpr 1
		.amdhsa_next_free_sgpr 0
		.amdhsa_accum_offset 4
		.amdhsa_reserve_vcc 0
		.amdhsa_reserve_flat_scratch 0
		.amdhsa_float_round_mode_32 0
		.amdhsa_float_round_mode_16_64 0
		.amdhsa_float_denorm_mode_32 3
		.amdhsa_float_denorm_mode_16_64 3
		.amdhsa_dx10_clamp 1
		.amdhsa_ieee_mode 1
		.amdhsa_fp16_overflow 0
		.amdhsa_tg_split 0
		.amdhsa_exception_fp_ieee_invalid_op 0
		.amdhsa_exception_fp_denorm_src 0
		.amdhsa_exception_fp_ieee_div_zero 0
		.amdhsa_exception_fp_ieee_overflow 0
		.amdhsa_exception_fp_ieee_underflow 0
		.amdhsa_exception_fp_ieee_inexact 0
		.amdhsa_exception_int_div_zero 0
	.end_amdhsa_kernel
	.section	.text._ZN7rocprim17ROCPRIM_400000_NS6detail17trampoline_kernelINS0_13select_configILj256ELj13ELNS0_17block_load_methodE3ELS4_3ELS4_3ELNS0_20block_scan_algorithmE0ELj4294967295EEENS1_25partition_config_selectorILNS1_17partition_subalgoE4EjNS0_10empty_typeEbEEZZNS1_14partition_implILS8_4ELb0ES6_15HIP_vector_typeIjLj2EENS0_17counting_iteratorIjlEEPS9_SG_NS0_5tupleIJPjSI_NS0_16reverse_iteratorISI_EEEEENSH_IJSG_SG_SG_EEES9_SI_JZNS1_25segmented_radix_sort_implINS0_14default_configELb1EPKhPhPKlPlN2at6native12_GLOBAL__N_18offset_tEEE10hipError_tPvRmT1_PNSt15iterator_traitsIS12_E10value_typeET2_T3_PNS13_IS18_E10value_typeET4_jRbjT5_S1E_jjP12ihipStream_tbEUljE_ZNSN_ISO_Lb1ESQ_SR_ST_SU_SY_EESZ_S10_S11_S12_S16_S17_S18_S1B_S1C_jS1D_jS1E_S1E_jjS1G_bEUljE0_EEESZ_S10_S11_S18_S1C_S1E_T6_T7_T9_mT8_S1G_bDpT10_ENKUlT_T0_E_clISt17integral_constantIbLb1EES1U_EEDaS1P_S1Q_EUlS1P_E_NS1_11comp_targetILNS1_3genE8ELNS1_11target_archE1030ELNS1_3gpuE2ELNS1_3repE0EEENS1_30default_config_static_selectorELNS0_4arch9wavefront6targetE1EEEvS12_,"axG",@progbits,_ZN7rocprim17ROCPRIM_400000_NS6detail17trampoline_kernelINS0_13select_configILj256ELj13ELNS0_17block_load_methodE3ELS4_3ELS4_3ELNS0_20block_scan_algorithmE0ELj4294967295EEENS1_25partition_config_selectorILNS1_17partition_subalgoE4EjNS0_10empty_typeEbEEZZNS1_14partition_implILS8_4ELb0ES6_15HIP_vector_typeIjLj2EENS0_17counting_iteratorIjlEEPS9_SG_NS0_5tupleIJPjSI_NS0_16reverse_iteratorISI_EEEEENSH_IJSG_SG_SG_EEES9_SI_JZNS1_25segmented_radix_sort_implINS0_14default_configELb1EPKhPhPKlPlN2at6native12_GLOBAL__N_18offset_tEEE10hipError_tPvRmT1_PNSt15iterator_traitsIS12_E10value_typeET2_T3_PNS13_IS18_E10value_typeET4_jRbjT5_S1E_jjP12ihipStream_tbEUljE_ZNSN_ISO_Lb1ESQ_SR_ST_SU_SY_EESZ_S10_S11_S12_S16_S17_S18_S1B_S1C_jS1D_jS1E_S1E_jjS1G_bEUljE0_EEESZ_S10_S11_S18_S1C_S1E_T6_T7_T9_mT8_S1G_bDpT10_ENKUlT_T0_E_clISt17integral_constantIbLb1EES1U_EEDaS1P_S1Q_EUlS1P_E_NS1_11comp_targetILNS1_3genE8ELNS1_11target_archE1030ELNS1_3gpuE2ELNS1_3repE0EEENS1_30default_config_static_selectorELNS0_4arch9wavefront6targetE1EEEvS12_,comdat
.Lfunc_end28:
	.size	_ZN7rocprim17ROCPRIM_400000_NS6detail17trampoline_kernelINS0_13select_configILj256ELj13ELNS0_17block_load_methodE3ELS4_3ELS4_3ELNS0_20block_scan_algorithmE0ELj4294967295EEENS1_25partition_config_selectorILNS1_17partition_subalgoE4EjNS0_10empty_typeEbEEZZNS1_14partition_implILS8_4ELb0ES6_15HIP_vector_typeIjLj2EENS0_17counting_iteratorIjlEEPS9_SG_NS0_5tupleIJPjSI_NS0_16reverse_iteratorISI_EEEEENSH_IJSG_SG_SG_EEES9_SI_JZNS1_25segmented_radix_sort_implINS0_14default_configELb1EPKhPhPKlPlN2at6native12_GLOBAL__N_18offset_tEEE10hipError_tPvRmT1_PNSt15iterator_traitsIS12_E10value_typeET2_T3_PNS13_IS18_E10value_typeET4_jRbjT5_S1E_jjP12ihipStream_tbEUljE_ZNSN_ISO_Lb1ESQ_SR_ST_SU_SY_EESZ_S10_S11_S12_S16_S17_S18_S1B_S1C_jS1D_jS1E_S1E_jjS1G_bEUljE0_EEESZ_S10_S11_S18_S1C_S1E_T6_T7_T9_mT8_S1G_bDpT10_ENKUlT_T0_E_clISt17integral_constantIbLb1EES1U_EEDaS1P_S1Q_EUlS1P_E_NS1_11comp_targetILNS1_3genE8ELNS1_11target_archE1030ELNS1_3gpuE2ELNS1_3repE0EEENS1_30default_config_static_selectorELNS0_4arch9wavefront6targetE1EEEvS12_, .Lfunc_end28-_ZN7rocprim17ROCPRIM_400000_NS6detail17trampoline_kernelINS0_13select_configILj256ELj13ELNS0_17block_load_methodE3ELS4_3ELS4_3ELNS0_20block_scan_algorithmE0ELj4294967295EEENS1_25partition_config_selectorILNS1_17partition_subalgoE4EjNS0_10empty_typeEbEEZZNS1_14partition_implILS8_4ELb0ES6_15HIP_vector_typeIjLj2EENS0_17counting_iteratorIjlEEPS9_SG_NS0_5tupleIJPjSI_NS0_16reverse_iteratorISI_EEEEENSH_IJSG_SG_SG_EEES9_SI_JZNS1_25segmented_radix_sort_implINS0_14default_configELb1EPKhPhPKlPlN2at6native12_GLOBAL__N_18offset_tEEE10hipError_tPvRmT1_PNSt15iterator_traitsIS12_E10value_typeET2_T3_PNS13_IS18_E10value_typeET4_jRbjT5_S1E_jjP12ihipStream_tbEUljE_ZNSN_ISO_Lb1ESQ_SR_ST_SU_SY_EESZ_S10_S11_S12_S16_S17_S18_S1B_S1C_jS1D_jS1E_S1E_jjS1G_bEUljE0_EEESZ_S10_S11_S18_S1C_S1E_T6_T7_T9_mT8_S1G_bDpT10_ENKUlT_T0_E_clISt17integral_constantIbLb1EES1U_EEDaS1P_S1Q_EUlS1P_E_NS1_11comp_targetILNS1_3genE8ELNS1_11target_archE1030ELNS1_3gpuE2ELNS1_3repE0EEENS1_30default_config_static_selectorELNS0_4arch9wavefront6targetE1EEEvS12_
                                        ; -- End function
	.section	.AMDGPU.csdata,"",@progbits
; Kernel info:
; codeLenInByte = 0
; NumSgprs: 4
; NumVgprs: 0
; NumAgprs: 0
; TotalNumVgprs: 0
; ScratchSize: 0
; MemoryBound: 0
; FloatMode: 240
; IeeeMode: 1
; LDSByteSize: 0 bytes/workgroup (compile time only)
; SGPRBlocks: 0
; VGPRBlocks: 0
; NumSGPRsForWavesPerEU: 4
; NumVGPRsForWavesPerEU: 1
; AccumOffset: 4
; Occupancy: 8
; WaveLimiterHint : 0
; COMPUTE_PGM_RSRC2:SCRATCH_EN: 0
; COMPUTE_PGM_RSRC2:USER_SGPR: 6
; COMPUTE_PGM_RSRC2:TRAP_HANDLER: 0
; COMPUTE_PGM_RSRC2:TGID_X_EN: 1
; COMPUTE_PGM_RSRC2:TGID_Y_EN: 0
; COMPUTE_PGM_RSRC2:TGID_Z_EN: 0
; COMPUTE_PGM_RSRC2:TIDIG_COMP_CNT: 0
; COMPUTE_PGM_RSRC3_GFX90A:ACCUM_OFFSET: 0
; COMPUTE_PGM_RSRC3_GFX90A:TG_SPLIT: 0
	.section	.text._ZN7rocprim17ROCPRIM_400000_NS6detail31init_lookback_scan_state_kernelINS1_19lookback_scan_stateI15HIP_vector_typeIjLj2EELb1ELb1EEENS1_16block_id_wrapperIjLb0EEEEEvT_jT0_jPNS9_10value_typeE,"axG",@progbits,_ZN7rocprim17ROCPRIM_400000_NS6detail31init_lookback_scan_state_kernelINS1_19lookback_scan_stateI15HIP_vector_typeIjLj2EELb1ELb1EEENS1_16block_id_wrapperIjLb0EEEEEvT_jT0_jPNS9_10value_typeE,comdat
	.protected	_ZN7rocprim17ROCPRIM_400000_NS6detail31init_lookback_scan_state_kernelINS1_19lookback_scan_stateI15HIP_vector_typeIjLj2EELb1ELb1EEENS1_16block_id_wrapperIjLb0EEEEEvT_jT0_jPNS9_10value_typeE ; -- Begin function _ZN7rocprim17ROCPRIM_400000_NS6detail31init_lookback_scan_state_kernelINS1_19lookback_scan_stateI15HIP_vector_typeIjLj2EELb1ELb1EEENS1_16block_id_wrapperIjLb0EEEEEvT_jT0_jPNS9_10value_typeE
	.globl	_ZN7rocprim17ROCPRIM_400000_NS6detail31init_lookback_scan_state_kernelINS1_19lookback_scan_stateI15HIP_vector_typeIjLj2EELb1ELb1EEENS1_16block_id_wrapperIjLb0EEEEEvT_jT0_jPNS9_10value_typeE
	.p2align	8
	.type	_ZN7rocprim17ROCPRIM_400000_NS6detail31init_lookback_scan_state_kernelINS1_19lookback_scan_stateI15HIP_vector_typeIjLj2EELb1ELb1EEENS1_16block_id_wrapperIjLb0EEEEEvT_jT0_jPNS9_10value_typeE,@function
_ZN7rocprim17ROCPRIM_400000_NS6detail31init_lookback_scan_state_kernelINS1_19lookback_scan_stateI15HIP_vector_typeIjLj2EELb1ELb1EEENS1_16block_id_wrapperIjLb0EEEEEvT_jT0_jPNS9_10value_typeE: ; @_ZN7rocprim17ROCPRIM_400000_NS6detail31init_lookback_scan_state_kernelINS1_19lookback_scan_stateI15HIP_vector_typeIjLj2EELb1ELb1EEENS1_16block_id_wrapperIjLb0EEEEEvT_jT0_jPNS9_10value_typeE
; %bb.0:
	s_load_dword s7, s[4:5], 0x2c
	s_load_dwordx2 s[2:3], s[4:5], 0x18
	s_load_dwordx2 s[0:1], s[4:5], 0x0
	s_load_dword s12, s[4:5], 0x8
	s_waitcnt lgkmcnt(0)
	s_and_b32 s7, s7, 0xffff
	s_mul_i32 s6, s6, s7
	s_cmp_eq_u64 s[2:3], 0
	v_add_u32_e32 v0, s6, v0
	s_cbranch_scc1 .LBB29_10
; %bb.1:
	s_load_dword s6, s[4:5], 0x10
	s_mov_b32 s7, 0
	s_waitcnt lgkmcnt(0)
	s_cmp_lt_u32 s6, s12
	s_cselect_b32 s4, s6, 0
	v_cmp_eq_u32_e32 vcc, s4, v0
	s_and_saveexec_b64 s[4:5], vcc
	s_cbranch_execz .LBB29_9
; %bb.2:
	s_add_i32 s6, s6, 64
	s_lshl_b64 s[6:7], s[6:7], 4
	s_add_u32 s10, s0, s6
	s_addc_u32 s11, s1, s7
	v_pk_mov_b32 v[2:3], s[10:11], s[10:11] op_sel:[0,1]
	;;#ASMSTART
	global_load_dwordx4 v[2:5], v[2:3] off glc	
s_waitcnt vmcnt(0)
	;;#ASMEND
	v_mov_b32_e32 v7, 0
	v_and_b32_e32 v6, 0xff, v4
	s_mov_b64 s[8:9], 0
	v_cmp_eq_u64_e32 vcc, 0, v[6:7]
	s_and_saveexec_b64 s[6:7], vcc
	s_cbranch_execz .LBB29_8
; %bb.3:
	s_mov_b32 s13, 1
	v_pk_mov_b32 v[8:9], s[10:11], s[10:11] op_sel:[0,1]
.LBB29_4:                               ; =>This Loop Header: Depth=1
                                        ;     Child Loop BB29_5 Depth 2
	s_max_u32 s10, s13, 1
.LBB29_5:                               ;   Parent Loop BB29_4 Depth=1
                                        ; =>  This Inner Loop Header: Depth=2
	s_add_i32 s10, s10, -1
	s_cmp_eq_u32 s10, 0
	s_sleep 1
	s_cbranch_scc0 .LBB29_5
; %bb.6:                                ;   in Loop: Header=BB29_4 Depth=1
	s_cmp_lt_u32 s13, 32
	s_cselect_b64 s[10:11], -1, 0
	s_cmp_lg_u64 s[10:11], 0
	;;#ASMSTART
	global_load_dwordx4 v[2:5], v[8:9] off glc	
s_waitcnt vmcnt(0)
	;;#ASMEND
	v_and_b32_e32 v6, 0xff, v4
	s_addc_u32 s13, s13, 0
	v_cmp_ne_u64_e32 vcc, 0, v[6:7]
	s_or_b64 s[8:9], vcc, s[8:9]
	s_andn2_b64 exec, exec, s[8:9]
	s_cbranch_execnz .LBB29_4
; %bb.7:
	s_or_b64 exec, exec, s[8:9]
.LBB29_8:
	s_or_b64 exec, exec, s[6:7]
	v_mov_b32_e32 v1, 0
	global_store_dwordx2 v1, v[2:3], s[2:3]
.LBB29_9:
	s_or_b64 exec, exec, s[4:5]
.LBB29_10:
	v_cmp_gt_u32_e32 vcc, s12, v0
	s_and_saveexec_b64 s[2:3], vcc
	s_cbranch_execnz .LBB29_13
; %bb.11:
	s_or_b64 exec, exec, s[2:3]
	v_cmp_gt_u32_e32 vcc, 64, v0
	s_and_saveexec_b64 s[2:3], vcc
	s_cbranch_execnz .LBB29_14
.LBB29_12:
	s_endpgm
.LBB29_13:
	v_add_u32_e32 v2, 64, v0
	v_mov_b32_e32 v3, 0
	v_lshlrev_b64 v[4:5], 4, v[2:3]
	v_mov_b32_e32 v1, s1
	v_add_co_u32_e32 v6, vcc, s0, v4
	v_addc_co_u32_e32 v7, vcc, v1, v5, vcc
	v_mov_b32_e32 v2, v3
	v_mov_b32_e32 v4, v3
	;; [unrolled: 1-line block ×3, first 2 shown]
	global_store_dwordx4 v[6:7], v[2:5], off
	s_or_b64 exec, exec, s[2:3]
	v_cmp_gt_u32_e32 vcc, 64, v0
	s_and_saveexec_b64 s[2:3], vcc
	s_cbranch_execz .LBB29_12
.LBB29_14:
	v_mov_b32_e32 v1, 0
	v_lshlrev_b64 v[2:3], 4, v[0:1]
	v_mov_b32_e32 v0, s1
	v_add_co_u32_e32 v4, vcc, s0, v2
	v_addc_co_u32_e32 v5, vcc, v0, v3, vcc
	v_mov_b32_e32 v2, 0xff
	v_mov_b32_e32 v0, v1
	;; [unrolled: 1-line block ×3, first 2 shown]
	global_store_dwordx4 v[4:5], v[0:3], off
	s_endpgm
	.section	.rodata,"a",@progbits
	.p2align	6, 0x0
	.amdhsa_kernel _ZN7rocprim17ROCPRIM_400000_NS6detail31init_lookback_scan_state_kernelINS1_19lookback_scan_stateI15HIP_vector_typeIjLj2EELb1ELb1EEENS1_16block_id_wrapperIjLb0EEEEEvT_jT0_jPNS9_10value_typeE
		.amdhsa_group_segment_fixed_size 0
		.amdhsa_private_segment_fixed_size 0
		.amdhsa_kernarg_size 288
		.amdhsa_user_sgpr_count 6
		.amdhsa_user_sgpr_private_segment_buffer 1
		.amdhsa_user_sgpr_dispatch_ptr 0
		.amdhsa_user_sgpr_queue_ptr 0
		.amdhsa_user_sgpr_kernarg_segment_ptr 1
		.amdhsa_user_sgpr_dispatch_id 0
		.amdhsa_user_sgpr_flat_scratch_init 0
		.amdhsa_user_sgpr_kernarg_preload_length 0
		.amdhsa_user_sgpr_kernarg_preload_offset 0
		.amdhsa_user_sgpr_private_segment_size 0
		.amdhsa_uses_dynamic_stack 0
		.amdhsa_system_sgpr_private_segment_wavefront_offset 0
		.amdhsa_system_sgpr_workgroup_id_x 1
		.amdhsa_system_sgpr_workgroup_id_y 0
		.amdhsa_system_sgpr_workgroup_id_z 0
		.amdhsa_system_sgpr_workgroup_info 0
		.amdhsa_system_vgpr_workitem_id 0
		.amdhsa_next_free_vgpr 10
		.amdhsa_next_free_sgpr 14
		.amdhsa_accum_offset 12
		.amdhsa_reserve_vcc 1
		.amdhsa_reserve_flat_scratch 0
		.amdhsa_float_round_mode_32 0
		.amdhsa_float_round_mode_16_64 0
		.amdhsa_float_denorm_mode_32 3
		.amdhsa_float_denorm_mode_16_64 3
		.amdhsa_dx10_clamp 1
		.amdhsa_ieee_mode 1
		.amdhsa_fp16_overflow 0
		.amdhsa_tg_split 0
		.amdhsa_exception_fp_ieee_invalid_op 0
		.amdhsa_exception_fp_denorm_src 0
		.amdhsa_exception_fp_ieee_div_zero 0
		.amdhsa_exception_fp_ieee_overflow 0
		.amdhsa_exception_fp_ieee_underflow 0
		.amdhsa_exception_fp_ieee_inexact 0
		.amdhsa_exception_int_div_zero 0
	.end_amdhsa_kernel
	.section	.text._ZN7rocprim17ROCPRIM_400000_NS6detail31init_lookback_scan_state_kernelINS1_19lookback_scan_stateI15HIP_vector_typeIjLj2EELb1ELb1EEENS1_16block_id_wrapperIjLb0EEEEEvT_jT0_jPNS9_10value_typeE,"axG",@progbits,_ZN7rocprim17ROCPRIM_400000_NS6detail31init_lookback_scan_state_kernelINS1_19lookback_scan_stateI15HIP_vector_typeIjLj2EELb1ELb1EEENS1_16block_id_wrapperIjLb0EEEEEvT_jT0_jPNS9_10value_typeE,comdat
.Lfunc_end29:
	.size	_ZN7rocprim17ROCPRIM_400000_NS6detail31init_lookback_scan_state_kernelINS1_19lookback_scan_stateI15HIP_vector_typeIjLj2EELb1ELb1EEENS1_16block_id_wrapperIjLb0EEEEEvT_jT0_jPNS9_10value_typeE, .Lfunc_end29-_ZN7rocprim17ROCPRIM_400000_NS6detail31init_lookback_scan_state_kernelINS1_19lookback_scan_stateI15HIP_vector_typeIjLj2EELb1ELb1EEENS1_16block_id_wrapperIjLb0EEEEEvT_jT0_jPNS9_10value_typeE
                                        ; -- End function
	.section	.AMDGPU.csdata,"",@progbits
; Kernel info:
; codeLenInByte = 424
; NumSgprs: 18
; NumVgprs: 10
; NumAgprs: 0
; TotalNumVgprs: 10
; ScratchSize: 0
; MemoryBound: 0
; FloatMode: 240
; IeeeMode: 1
; LDSByteSize: 0 bytes/workgroup (compile time only)
; SGPRBlocks: 2
; VGPRBlocks: 1
; NumSGPRsForWavesPerEU: 18
; NumVGPRsForWavesPerEU: 10
; AccumOffset: 12
; Occupancy: 8
; WaveLimiterHint : 0
; COMPUTE_PGM_RSRC2:SCRATCH_EN: 0
; COMPUTE_PGM_RSRC2:USER_SGPR: 6
; COMPUTE_PGM_RSRC2:TRAP_HANDLER: 0
; COMPUTE_PGM_RSRC2:TGID_X_EN: 1
; COMPUTE_PGM_RSRC2:TGID_Y_EN: 0
; COMPUTE_PGM_RSRC2:TGID_Z_EN: 0
; COMPUTE_PGM_RSRC2:TIDIG_COMP_CNT: 0
; COMPUTE_PGM_RSRC3_GFX90A:ACCUM_OFFSET: 2
; COMPUTE_PGM_RSRC3_GFX90A:TG_SPLIT: 0
	.section	.text._ZN7rocprim17ROCPRIM_400000_NS6detail17trampoline_kernelINS0_13select_configILj256ELj13ELNS0_17block_load_methodE3ELS4_3ELS4_3ELNS0_20block_scan_algorithmE0ELj4294967295EEENS1_25partition_config_selectorILNS1_17partition_subalgoE4EjNS0_10empty_typeEbEEZZNS1_14partition_implILS8_4ELb0ES6_15HIP_vector_typeIjLj2EENS0_17counting_iteratorIjlEEPS9_SG_NS0_5tupleIJPjSI_NS0_16reverse_iteratorISI_EEEEENSH_IJSG_SG_SG_EEES9_SI_JZNS1_25segmented_radix_sort_implINS0_14default_configELb1EPKhPhPKlPlN2at6native12_GLOBAL__N_18offset_tEEE10hipError_tPvRmT1_PNSt15iterator_traitsIS12_E10value_typeET2_T3_PNS13_IS18_E10value_typeET4_jRbjT5_S1E_jjP12ihipStream_tbEUljE_ZNSN_ISO_Lb1ESQ_SR_ST_SU_SY_EESZ_S10_S11_S12_S16_S17_S18_S1B_S1C_jS1D_jS1E_S1E_jjS1G_bEUljE0_EEESZ_S10_S11_S18_S1C_S1E_T6_T7_T9_mT8_S1G_bDpT10_ENKUlT_T0_E_clISt17integral_constantIbLb1EES1T_IbLb0EEEEDaS1P_S1Q_EUlS1P_E_NS1_11comp_targetILNS1_3genE0ELNS1_11target_archE4294967295ELNS1_3gpuE0ELNS1_3repE0EEENS1_30default_config_static_selectorELNS0_4arch9wavefront6targetE1EEEvS12_,"axG",@progbits,_ZN7rocprim17ROCPRIM_400000_NS6detail17trampoline_kernelINS0_13select_configILj256ELj13ELNS0_17block_load_methodE3ELS4_3ELS4_3ELNS0_20block_scan_algorithmE0ELj4294967295EEENS1_25partition_config_selectorILNS1_17partition_subalgoE4EjNS0_10empty_typeEbEEZZNS1_14partition_implILS8_4ELb0ES6_15HIP_vector_typeIjLj2EENS0_17counting_iteratorIjlEEPS9_SG_NS0_5tupleIJPjSI_NS0_16reverse_iteratorISI_EEEEENSH_IJSG_SG_SG_EEES9_SI_JZNS1_25segmented_radix_sort_implINS0_14default_configELb1EPKhPhPKlPlN2at6native12_GLOBAL__N_18offset_tEEE10hipError_tPvRmT1_PNSt15iterator_traitsIS12_E10value_typeET2_T3_PNS13_IS18_E10value_typeET4_jRbjT5_S1E_jjP12ihipStream_tbEUljE_ZNSN_ISO_Lb1ESQ_SR_ST_SU_SY_EESZ_S10_S11_S12_S16_S17_S18_S1B_S1C_jS1D_jS1E_S1E_jjS1G_bEUljE0_EEESZ_S10_S11_S18_S1C_S1E_T6_T7_T9_mT8_S1G_bDpT10_ENKUlT_T0_E_clISt17integral_constantIbLb1EES1T_IbLb0EEEEDaS1P_S1Q_EUlS1P_E_NS1_11comp_targetILNS1_3genE0ELNS1_11target_archE4294967295ELNS1_3gpuE0ELNS1_3repE0EEENS1_30default_config_static_selectorELNS0_4arch9wavefront6targetE1EEEvS12_,comdat
	.globl	_ZN7rocprim17ROCPRIM_400000_NS6detail17trampoline_kernelINS0_13select_configILj256ELj13ELNS0_17block_load_methodE3ELS4_3ELS4_3ELNS0_20block_scan_algorithmE0ELj4294967295EEENS1_25partition_config_selectorILNS1_17partition_subalgoE4EjNS0_10empty_typeEbEEZZNS1_14partition_implILS8_4ELb0ES6_15HIP_vector_typeIjLj2EENS0_17counting_iteratorIjlEEPS9_SG_NS0_5tupleIJPjSI_NS0_16reverse_iteratorISI_EEEEENSH_IJSG_SG_SG_EEES9_SI_JZNS1_25segmented_radix_sort_implINS0_14default_configELb1EPKhPhPKlPlN2at6native12_GLOBAL__N_18offset_tEEE10hipError_tPvRmT1_PNSt15iterator_traitsIS12_E10value_typeET2_T3_PNS13_IS18_E10value_typeET4_jRbjT5_S1E_jjP12ihipStream_tbEUljE_ZNSN_ISO_Lb1ESQ_SR_ST_SU_SY_EESZ_S10_S11_S12_S16_S17_S18_S1B_S1C_jS1D_jS1E_S1E_jjS1G_bEUljE0_EEESZ_S10_S11_S18_S1C_S1E_T6_T7_T9_mT8_S1G_bDpT10_ENKUlT_T0_E_clISt17integral_constantIbLb1EES1T_IbLb0EEEEDaS1P_S1Q_EUlS1P_E_NS1_11comp_targetILNS1_3genE0ELNS1_11target_archE4294967295ELNS1_3gpuE0ELNS1_3repE0EEENS1_30default_config_static_selectorELNS0_4arch9wavefront6targetE1EEEvS12_ ; -- Begin function _ZN7rocprim17ROCPRIM_400000_NS6detail17trampoline_kernelINS0_13select_configILj256ELj13ELNS0_17block_load_methodE3ELS4_3ELS4_3ELNS0_20block_scan_algorithmE0ELj4294967295EEENS1_25partition_config_selectorILNS1_17partition_subalgoE4EjNS0_10empty_typeEbEEZZNS1_14partition_implILS8_4ELb0ES6_15HIP_vector_typeIjLj2EENS0_17counting_iteratorIjlEEPS9_SG_NS0_5tupleIJPjSI_NS0_16reverse_iteratorISI_EEEEENSH_IJSG_SG_SG_EEES9_SI_JZNS1_25segmented_radix_sort_implINS0_14default_configELb1EPKhPhPKlPlN2at6native12_GLOBAL__N_18offset_tEEE10hipError_tPvRmT1_PNSt15iterator_traitsIS12_E10value_typeET2_T3_PNS13_IS18_E10value_typeET4_jRbjT5_S1E_jjP12ihipStream_tbEUljE_ZNSN_ISO_Lb1ESQ_SR_ST_SU_SY_EESZ_S10_S11_S12_S16_S17_S18_S1B_S1C_jS1D_jS1E_S1E_jjS1G_bEUljE0_EEESZ_S10_S11_S18_S1C_S1E_T6_T7_T9_mT8_S1G_bDpT10_ENKUlT_T0_E_clISt17integral_constantIbLb1EES1T_IbLb0EEEEDaS1P_S1Q_EUlS1P_E_NS1_11comp_targetILNS1_3genE0ELNS1_11target_archE4294967295ELNS1_3gpuE0ELNS1_3repE0EEENS1_30default_config_static_selectorELNS0_4arch9wavefront6targetE1EEEvS12_
	.p2align	8
	.type	_ZN7rocprim17ROCPRIM_400000_NS6detail17trampoline_kernelINS0_13select_configILj256ELj13ELNS0_17block_load_methodE3ELS4_3ELS4_3ELNS0_20block_scan_algorithmE0ELj4294967295EEENS1_25partition_config_selectorILNS1_17partition_subalgoE4EjNS0_10empty_typeEbEEZZNS1_14partition_implILS8_4ELb0ES6_15HIP_vector_typeIjLj2EENS0_17counting_iteratorIjlEEPS9_SG_NS0_5tupleIJPjSI_NS0_16reverse_iteratorISI_EEEEENSH_IJSG_SG_SG_EEES9_SI_JZNS1_25segmented_radix_sort_implINS0_14default_configELb1EPKhPhPKlPlN2at6native12_GLOBAL__N_18offset_tEEE10hipError_tPvRmT1_PNSt15iterator_traitsIS12_E10value_typeET2_T3_PNS13_IS18_E10value_typeET4_jRbjT5_S1E_jjP12ihipStream_tbEUljE_ZNSN_ISO_Lb1ESQ_SR_ST_SU_SY_EESZ_S10_S11_S12_S16_S17_S18_S1B_S1C_jS1D_jS1E_S1E_jjS1G_bEUljE0_EEESZ_S10_S11_S18_S1C_S1E_T6_T7_T9_mT8_S1G_bDpT10_ENKUlT_T0_E_clISt17integral_constantIbLb1EES1T_IbLb0EEEEDaS1P_S1Q_EUlS1P_E_NS1_11comp_targetILNS1_3genE0ELNS1_11target_archE4294967295ELNS1_3gpuE0ELNS1_3repE0EEENS1_30default_config_static_selectorELNS0_4arch9wavefront6targetE1EEEvS12_,@function
_ZN7rocprim17ROCPRIM_400000_NS6detail17trampoline_kernelINS0_13select_configILj256ELj13ELNS0_17block_load_methodE3ELS4_3ELS4_3ELNS0_20block_scan_algorithmE0ELj4294967295EEENS1_25partition_config_selectorILNS1_17partition_subalgoE4EjNS0_10empty_typeEbEEZZNS1_14partition_implILS8_4ELb0ES6_15HIP_vector_typeIjLj2EENS0_17counting_iteratorIjlEEPS9_SG_NS0_5tupleIJPjSI_NS0_16reverse_iteratorISI_EEEEENSH_IJSG_SG_SG_EEES9_SI_JZNS1_25segmented_radix_sort_implINS0_14default_configELb1EPKhPhPKlPlN2at6native12_GLOBAL__N_18offset_tEEE10hipError_tPvRmT1_PNSt15iterator_traitsIS12_E10value_typeET2_T3_PNS13_IS18_E10value_typeET4_jRbjT5_S1E_jjP12ihipStream_tbEUljE_ZNSN_ISO_Lb1ESQ_SR_ST_SU_SY_EESZ_S10_S11_S12_S16_S17_S18_S1B_S1C_jS1D_jS1E_S1E_jjS1G_bEUljE0_EEESZ_S10_S11_S18_S1C_S1E_T6_T7_T9_mT8_S1G_bDpT10_ENKUlT_T0_E_clISt17integral_constantIbLb1EES1T_IbLb0EEEEDaS1P_S1Q_EUlS1P_E_NS1_11comp_targetILNS1_3genE0ELNS1_11target_archE4294967295ELNS1_3gpuE0ELNS1_3repE0EEENS1_30default_config_static_selectorELNS0_4arch9wavefront6targetE1EEEvS12_: ; @_ZN7rocprim17ROCPRIM_400000_NS6detail17trampoline_kernelINS0_13select_configILj256ELj13ELNS0_17block_load_methodE3ELS4_3ELS4_3ELNS0_20block_scan_algorithmE0ELj4294967295EEENS1_25partition_config_selectorILNS1_17partition_subalgoE4EjNS0_10empty_typeEbEEZZNS1_14partition_implILS8_4ELb0ES6_15HIP_vector_typeIjLj2EENS0_17counting_iteratorIjlEEPS9_SG_NS0_5tupleIJPjSI_NS0_16reverse_iteratorISI_EEEEENSH_IJSG_SG_SG_EEES9_SI_JZNS1_25segmented_radix_sort_implINS0_14default_configELb1EPKhPhPKlPlN2at6native12_GLOBAL__N_18offset_tEEE10hipError_tPvRmT1_PNSt15iterator_traitsIS12_E10value_typeET2_T3_PNS13_IS18_E10value_typeET4_jRbjT5_S1E_jjP12ihipStream_tbEUljE_ZNSN_ISO_Lb1ESQ_SR_ST_SU_SY_EESZ_S10_S11_S12_S16_S17_S18_S1B_S1C_jS1D_jS1E_S1E_jjS1G_bEUljE0_EEESZ_S10_S11_S18_S1C_S1E_T6_T7_T9_mT8_S1G_bDpT10_ENKUlT_T0_E_clISt17integral_constantIbLb1EES1T_IbLb0EEEEDaS1P_S1Q_EUlS1P_E_NS1_11comp_targetILNS1_3genE0ELNS1_11target_archE4294967295ELNS1_3gpuE0ELNS1_3repE0EEENS1_30default_config_static_selectorELNS0_4arch9wavefront6targetE1EEEvS12_
; %bb.0:
	.section	.rodata,"a",@progbits
	.p2align	6, 0x0
	.amdhsa_kernel _ZN7rocprim17ROCPRIM_400000_NS6detail17trampoline_kernelINS0_13select_configILj256ELj13ELNS0_17block_load_methodE3ELS4_3ELS4_3ELNS0_20block_scan_algorithmE0ELj4294967295EEENS1_25partition_config_selectorILNS1_17partition_subalgoE4EjNS0_10empty_typeEbEEZZNS1_14partition_implILS8_4ELb0ES6_15HIP_vector_typeIjLj2EENS0_17counting_iteratorIjlEEPS9_SG_NS0_5tupleIJPjSI_NS0_16reverse_iteratorISI_EEEEENSH_IJSG_SG_SG_EEES9_SI_JZNS1_25segmented_radix_sort_implINS0_14default_configELb1EPKhPhPKlPlN2at6native12_GLOBAL__N_18offset_tEEE10hipError_tPvRmT1_PNSt15iterator_traitsIS12_E10value_typeET2_T3_PNS13_IS18_E10value_typeET4_jRbjT5_S1E_jjP12ihipStream_tbEUljE_ZNSN_ISO_Lb1ESQ_SR_ST_SU_SY_EESZ_S10_S11_S12_S16_S17_S18_S1B_S1C_jS1D_jS1E_S1E_jjS1G_bEUljE0_EEESZ_S10_S11_S18_S1C_S1E_T6_T7_T9_mT8_S1G_bDpT10_ENKUlT_T0_E_clISt17integral_constantIbLb1EES1T_IbLb0EEEEDaS1P_S1Q_EUlS1P_E_NS1_11comp_targetILNS1_3genE0ELNS1_11target_archE4294967295ELNS1_3gpuE0ELNS1_3repE0EEENS1_30default_config_static_selectorELNS0_4arch9wavefront6targetE1EEEvS12_
		.amdhsa_group_segment_fixed_size 0
		.amdhsa_private_segment_fixed_size 0
		.amdhsa_kernarg_size 176
		.amdhsa_user_sgpr_count 6
		.amdhsa_user_sgpr_private_segment_buffer 1
		.amdhsa_user_sgpr_dispatch_ptr 0
		.amdhsa_user_sgpr_queue_ptr 0
		.amdhsa_user_sgpr_kernarg_segment_ptr 1
		.amdhsa_user_sgpr_dispatch_id 0
		.amdhsa_user_sgpr_flat_scratch_init 0
		.amdhsa_user_sgpr_kernarg_preload_length 0
		.amdhsa_user_sgpr_kernarg_preload_offset 0
		.amdhsa_user_sgpr_private_segment_size 0
		.amdhsa_uses_dynamic_stack 0
		.amdhsa_system_sgpr_private_segment_wavefront_offset 0
		.amdhsa_system_sgpr_workgroup_id_x 1
		.amdhsa_system_sgpr_workgroup_id_y 0
		.amdhsa_system_sgpr_workgroup_id_z 0
		.amdhsa_system_sgpr_workgroup_info 0
		.amdhsa_system_vgpr_workitem_id 0
		.amdhsa_next_free_vgpr 1
		.amdhsa_next_free_sgpr 0
		.amdhsa_accum_offset 4
		.amdhsa_reserve_vcc 0
		.amdhsa_reserve_flat_scratch 0
		.amdhsa_float_round_mode_32 0
		.amdhsa_float_round_mode_16_64 0
		.amdhsa_float_denorm_mode_32 3
		.amdhsa_float_denorm_mode_16_64 3
		.amdhsa_dx10_clamp 1
		.amdhsa_ieee_mode 1
		.amdhsa_fp16_overflow 0
		.amdhsa_tg_split 0
		.amdhsa_exception_fp_ieee_invalid_op 0
		.amdhsa_exception_fp_denorm_src 0
		.amdhsa_exception_fp_ieee_div_zero 0
		.amdhsa_exception_fp_ieee_overflow 0
		.amdhsa_exception_fp_ieee_underflow 0
		.amdhsa_exception_fp_ieee_inexact 0
		.amdhsa_exception_int_div_zero 0
	.end_amdhsa_kernel
	.section	.text._ZN7rocprim17ROCPRIM_400000_NS6detail17trampoline_kernelINS0_13select_configILj256ELj13ELNS0_17block_load_methodE3ELS4_3ELS4_3ELNS0_20block_scan_algorithmE0ELj4294967295EEENS1_25partition_config_selectorILNS1_17partition_subalgoE4EjNS0_10empty_typeEbEEZZNS1_14partition_implILS8_4ELb0ES6_15HIP_vector_typeIjLj2EENS0_17counting_iteratorIjlEEPS9_SG_NS0_5tupleIJPjSI_NS0_16reverse_iteratorISI_EEEEENSH_IJSG_SG_SG_EEES9_SI_JZNS1_25segmented_radix_sort_implINS0_14default_configELb1EPKhPhPKlPlN2at6native12_GLOBAL__N_18offset_tEEE10hipError_tPvRmT1_PNSt15iterator_traitsIS12_E10value_typeET2_T3_PNS13_IS18_E10value_typeET4_jRbjT5_S1E_jjP12ihipStream_tbEUljE_ZNSN_ISO_Lb1ESQ_SR_ST_SU_SY_EESZ_S10_S11_S12_S16_S17_S18_S1B_S1C_jS1D_jS1E_S1E_jjS1G_bEUljE0_EEESZ_S10_S11_S18_S1C_S1E_T6_T7_T9_mT8_S1G_bDpT10_ENKUlT_T0_E_clISt17integral_constantIbLb1EES1T_IbLb0EEEEDaS1P_S1Q_EUlS1P_E_NS1_11comp_targetILNS1_3genE0ELNS1_11target_archE4294967295ELNS1_3gpuE0ELNS1_3repE0EEENS1_30default_config_static_selectorELNS0_4arch9wavefront6targetE1EEEvS12_,"axG",@progbits,_ZN7rocprim17ROCPRIM_400000_NS6detail17trampoline_kernelINS0_13select_configILj256ELj13ELNS0_17block_load_methodE3ELS4_3ELS4_3ELNS0_20block_scan_algorithmE0ELj4294967295EEENS1_25partition_config_selectorILNS1_17partition_subalgoE4EjNS0_10empty_typeEbEEZZNS1_14partition_implILS8_4ELb0ES6_15HIP_vector_typeIjLj2EENS0_17counting_iteratorIjlEEPS9_SG_NS0_5tupleIJPjSI_NS0_16reverse_iteratorISI_EEEEENSH_IJSG_SG_SG_EEES9_SI_JZNS1_25segmented_radix_sort_implINS0_14default_configELb1EPKhPhPKlPlN2at6native12_GLOBAL__N_18offset_tEEE10hipError_tPvRmT1_PNSt15iterator_traitsIS12_E10value_typeET2_T3_PNS13_IS18_E10value_typeET4_jRbjT5_S1E_jjP12ihipStream_tbEUljE_ZNSN_ISO_Lb1ESQ_SR_ST_SU_SY_EESZ_S10_S11_S12_S16_S17_S18_S1B_S1C_jS1D_jS1E_S1E_jjS1G_bEUljE0_EEESZ_S10_S11_S18_S1C_S1E_T6_T7_T9_mT8_S1G_bDpT10_ENKUlT_T0_E_clISt17integral_constantIbLb1EES1T_IbLb0EEEEDaS1P_S1Q_EUlS1P_E_NS1_11comp_targetILNS1_3genE0ELNS1_11target_archE4294967295ELNS1_3gpuE0ELNS1_3repE0EEENS1_30default_config_static_selectorELNS0_4arch9wavefront6targetE1EEEvS12_,comdat
.Lfunc_end30:
	.size	_ZN7rocprim17ROCPRIM_400000_NS6detail17trampoline_kernelINS0_13select_configILj256ELj13ELNS0_17block_load_methodE3ELS4_3ELS4_3ELNS0_20block_scan_algorithmE0ELj4294967295EEENS1_25partition_config_selectorILNS1_17partition_subalgoE4EjNS0_10empty_typeEbEEZZNS1_14partition_implILS8_4ELb0ES6_15HIP_vector_typeIjLj2EENS0_17counting_iteratorIjlEEPS9_SG_NS0_5tupleIJPjSI_NS0_16reverse_iteratorISI_EEEEENSH_IJSG_SG_SG_EEES9_SI_JZNS1_25segmented_radix_sort_implINS0_14default_configELb1EPKhPhPKlPlN2at6native12_GLOBAL__N_18offset_tEEE10hipError_tPvRmT1_PNSt15iterator_traitsIS12_E10value_typeET2_T3_PNS13_IS18_E10value_typeET4_jRbjT5_S1E_jjP12ihipStream_tbEUljE_ZNSN_ISO_Lb1ESQ_SR_ST_SU_SY_EESZ_S10_S11_S12_S16_S17_S18_S1B_S1C_jS1D_jS1E_S1E_jjS1G_bEUljE0_EEESZ_S10_S11_S18_S1C_S1E_T6_T7_T9_mT8_S1G_bDpT10_ENKUlT_T0_E_clISt17integral_constantIbLb1EES1T_IbLb0EEEEDaS1P_S1Q_EUlS1P_E_NS1_11comp_targetILNS1_3genE0ELNS1_11target_archE4294967295ELNS1_3gpuE0ELNS1_3repE0EEENS1_30default_config_static_selectorELNS0_4arch9wavefront6targetE1EEEvS12_, .Lfunc_end30-_ZN7rocprim17ROCPRIM_400000_NS6detail17trampoline_kernelINS0_13select_configILj256ELj13ELNS0_17block_load_methodE3ELS4_3ELS4_3ELNS0_20block_scan_algorithmE0ELj4294967295EEENS1_25partition_config_selectorILNS1_17partition_subalgoE4EjNS0_10empty_typeEbEEZZNS1_14partition_implILS8_4ELb0ES6_15HIP_vector_typeIjLj2EENS0_17counting_iteratorIjlEEPS9_SG_NS0_5tupleIJPjSI_NS0_16reverse_iteratorISI_EEEEENSH_IJSG_SG_SG_EEES9_SI_JZNS1_25segmented_radix_sort_implINS0_14default_configELb1EPKhPhPKlPlN2at6native12_GLOBAL__N_18offset_tEEE10hipError_tPvRmT1_PNSt15iterator_traitsIS12_E10value_typeET2_T3_PNS13_IS18_E10value_typeET4_jRbjT5_S1E_jjP12ihipStream_tbEUljE_ZNSN_ISO_Lb1ESQ_SR_ST_SU_SY_EESZ_S10_S11_S12_S16_S17_S18_S1B_S1C_jS1D_jS1E_S1E_jjS1G_bEUljE0_EEESZ_S10_S11_S18_S1C_S1E_T6_T7_T9_mT8_S1G_bDpT10_ENKUlT_T0_E_clISt17integral_constantIbLb1EES1T_IbLb0EEEEDaS1P_S1Q_EUlS1P_E_NS1_11comp_targetILNS1_3genE0ELNS1_11target_archE4294967295ELNS1_3gpuE0ELNS1_3repE0EEENS1_30default_config_static_selectorELNS0_4arch9wavefront6targetE1EEEvS12_
                                        ; -- End function
	.section	.AMDGPU.csdata,"",@progbits
; Kernel info:
; codeLenInByte = 0
; NumSgprs: 4
; NumVgprs: 0
; NumAgprs: 0
; TotalNumVgprs: 0
; ScratchSize: 0
; MemoryBound: 0
; FloatMode: 240
; IeeeMode: 1
; LDSByteSize: 0 bytes/workgroup (compile time only)
; SGPRBlocks: 0
; VGPRBlocks: 0
; NumSGPRsForWavesPerEU: 4
; NumVGPRsForWavesPerEU: 1
; AccumOffset: 4
; Occupancy: 8
; WaveLimiterHint : 0
; COMPUTE_PGM_RSRC2:SCRATCH_EN: 0
; COMPUTE_PGM_RSRC2:USER_SGPR: 6
; COMPUTE_PGM_RSRC2:TRAP_HANDLER: 0
; COMPUTE_PGM_RSRC2:TGID_X_EN: 1
; COMPUTE_PGM_RSRC2:TGID_Y_EN: 0
; COMPUTE_PGM_RSRC2:TGID_Z_EN: 0
; COMPUTE_PGM_RSRC2:TIDIG_COMP_CNT: 0
; COMPUTE_PGM_RSRC3_GFX90A:ACCUM_OFFSET: 0
; COMPUTE_PGM_RSRC3_GFX90A:TG_SPLIT: 0
	.section	.text._ZN7rocprim17ROCPRIM_400000_NS6detail17trampoline_kernelINS0_13select_configILj256ELj13ELNS0_17block_load_methodE3ELS4_3ELS4_3ELNS0_20block_scan_algorithmE0ELj4294967295EEENS1_25partition_config_selectorILNS1_17partition_subalgoE4EjNS0_10empty_typeEbEEZZNS1_14partition_implILS8_4ELb0ES6_15HIP_vector_typeIjLj2EENS0_17counting_iteratorIjlEEPS9_SG_NS0_5tupleIJPjSI_NS0_16reverse_iteratorISI_EEEEENSH_IJSG_SG_SG_EEES9_SI_JZNS1_25segmented_radix_sort_implINS0_14default_configELb1EPKhPhPKlPlN2at6native12_GLOBAL__N_18offset_tEEE10hipError_tPvRmT1_PNSt15iterator_traitsIS12_E10value_typeET2_T3_PNS13_IS18_E10value_typeET4_jRbjT5_S1E_jjP12ihipStream_tbEUljE_ZNSN_ISO_Lb1ESQ_SR_ST_SU_SY_EESZ_S10_S11_S12_S16_S17_S18_S1B_S1C_jS1D_jS1E_S1E_jjS1G_bEUljE0_EEESZ_S10_S11_S18_S1C_S1E_T6_T7_T9_mT8_S1G_bDpT10_ENKUlT_T0_E_clISt17integral_constantIbLb1EES1T_IbLb0EEEEDaS1P_S1Q_EUlS1P_E_NS1_11comp_targetILNS1_3genE5ELNS1_11target_archE942ELNS1_3gpuE9ELNS1_3repE0EEENS1_30default_config_static_selectorELNS0_4arch9wavefront6targetE1EEEvS12_,"axG",@progbits,_ZN7rocprim17ROCPRIM_400000_NS6detail17trampoline_kernelINS0_13select_configILj256ELj13ELNS0_17block_load_methodE3ELS4_3ELS4_3ELNS0_20block_scan_algorithmE0ELj4294967295EEENS1_25partition_config_selectorILNS1_17partition_subalgoE4EjNS0_10empty_typeEbEEZZNS1_14partition_implILS8_4ELb0ES6_15HIP_vector_typeIjLj2EENS0_17counting_iteratorIjlEEPS9_SG_NS0_5tupleIJPjSI_NS0_16reverse_iteratorISI_EEEEENSH_IJSG_SG_SG_EEES9_SI_JZNS1_25segmented_radix_sort_implINS0_14default_configELb1EPKhPhPKlPlN2at6native12_GLOBAL__N_18offset_tEEE10hipError_tPvRmT1_PNSt15iterator_traitsIS12_E10value_typeET2_T3_PNS13_IS18_E10value_typeET4_jRbjT5_S1E_jjP12ihipStream_tbEUljE_ZNSN_ISO_Lb1ESQ_SR_ST_SU_SY_EESZ_S10_S11_S12_S16_S17_S18_S1B_S1C_jS1D_jS1E_S1E_jjS1G_bEUljE0_EEESZ_S10_S11_S18_S1C_S1E_T6_T7_T9_mT8_S1G_bDpT10_ENKUlT_T0_E_clISt17integral_constantIbLb1EES1T_IbLb0EEEEDaS1P_S1Q_EUlS1P_E_NS1_11comp_targetILNS1_3genE5ELNS1_11target_archE942ELNS1_3gpuE9ELNS1_3repE0EEENS1_30default_config_static_selectorELNS0_4arch9wavefront6targetE1EEEvS12_,comdat
	.globl	_ZN7rocprim17ROCPRIM_400000_NS6detail17trampoline_kernelINS0_13select_configILj256ELj13ELNS0_17block_load_methodE3ELS4_3ELS4_3ELNS0_20block_scan_algorithmE0ELj4294967295EEENS1_25partition_config_selectorILNS1_17partition_subalgoE4EjNS0_10empty_typeEbEEZZNS1_14partition_implILS8_4ELb0ES6_15HIP_vector_typeIjLj2EENS0_17counting_iteratorIjlEEPS9_SG_NS0_5tupleIJPjSI_NS0_16reverse_iteratorISI_EEEEENSH_IJSG_SG_SG_EEES9_SI_JZNS1_25segmented_radix_sort_implINS0_14default_configELb1EPKhPhPKlPlN2at6native12_GLOBAL__N_18offset_tEEE10hipError_tPvRmT1_PNSt15iterator_traitsIS12_E10value_typeET2_T3_PNS13_IS18_E10value_typeET4_jRbjT5_S1E_jjP12ihipStream_tbEUljE_ZNSN_ISO_Lb1ESQ_SR_ST_SU_SY_EESZ_S10_S11_S12_S16_S17_S18_S1B_S1C_jS1D_jS1E_S1E_jjS1G_bEUljE0_EEESZ_S10_S11_S18_S1C_S1E_T6_T7_T9_mT8_S1G_bDpT10_ENKUlT_T0_E_clISt17integral_constantIbLb1EES1T_IbLb0EEEEDaS1P_S1Q_EUlS1P_E_NS1_11comp_targetILNS1_3genE5ELNS1_11target_archE942ELNS1_3gpuE9ELNS1_3repE0EEENS1_30default_config_static_selectorELNS0_4arch9wavefront6targetE1EEEvS12_ ; -- Begin function _ZN7rocprim17ROCPRIM_400000_NS6detail17trampoline_kernelINS0_13select_configILj256ELj13ELNS0_17block_load_methodE3ELS4_3ELS4_3ELNS0_20block_scan_algorithmE0ELj4294967295EEENS1_25partition_config_selectorILNS1_17partition_subalgoE4EjNS0_10empty_typeEbEEZZNS1_14partition_implILS8_4ELb0ES6_15HIP_vector_typeIjLj2EENS0_17counting_iteratorIjlEEPS9_SG_NS0_5tupleIJPjSI_NS0_16reverse_iteratorISI_EEEEENSH_IJSG_SG_SG_EEES9_SI_JZNS1_25segmented_radix_sort_implINS0_14default_configELb1EPKhPhPKlPlN2at6native12_GLOBAL__N_18offset_tEEE10hipError_tPvRmT1_PNSt15iterator_traitsIS12_E10value_typeET2_T3_PNS13_IS18_E10value_typeET4_jRbjT5_S1E_jjP12ihipStream_tbEUljE_ZNSN_ISO_Lb1ESQ_SR_ST_SU_SY_EESZ_S10_S11_S12_S16_S17_S18_S1B_S1C_jS1D_jS1E_S1E_jjS1G_bEUljE0_EEESZ_S10_S11_S18_S1C_S1E_T6_T7_T9_mT8_S1G_bDpT10_ENKUlT_T0_E_clISt17integral_constantIbLb1EES1T_IbLb0EEEEDaS1P_S1Q_EUlS1P_E_NS1_11comp_targetILNS1_3genE5ELNS1_11target_archE942ELNS1_3gpuE9ELNS1_3repE0EEENS1_30default_config_static_selectorELNS0_4arch9wavefront6targetE1EEEvS12_
	.p2align	8
	.type	_ZN7rocprim17ROCPRIM_400000_NS6detail17trampoline_kernelINS0_13select_configILj256ELj13ELNS0_17block_load_methodE3ELS4_3ELS4_3ELNS0_20block_scan_algorithmE0ELj4294967295EEENS1_25partition_config_selectorILNS1_17partition_subalgoE4EjNS0_10empty_typeEbEEZZNS1_14partition_implILS8_4ELb0ES6_15HIP_vector_typeIjLj2EENS0_17counting_iteratorIjlEEPS9_SG_NS0_5tupleIJPjSI_NS0_16reverse_iteratorISI_EEEEENSH_IJSG_SG_SG_EEES9_SI_JZNS1_25segmented_radix_sort_implINS0_14default_configELb1EPKhPhPKlPlN2at6native12_GLOBAL__N_18offset_tEEE10hipError_tPvRmT1_PNSt15iterator_traitsIS12_E10value_typeET2_T3_PNS13_IS18_E10value_typeET4_jRbjT5_S1E_jjP12ihipStream_tbEUljE_ZNSN_ISO_Lb1ESQ_SR_ST_SU_SY_EESZ_S10_S11_S12_S16_S17_S18_S1B_S1C_jS1D_jS1E_S1E_jjS1G_bEUljE0_EEESZ_S10_S11_S18_S1C_S1E_T6_T7_T9_mT8_S1G_bDpT10_ENKUlT_T0_E_clISt17integral_constantIbLb1EES1T_IbLb0EEEEDaS1P_S1Q_EUlS1P_E_NS1_11comp_targetILNS1_3genE5ELNS1_11target_archE942ELNS1_3gpuE9ELNS1_3repE0EEENS1_30default_config_static_selectorELNS0_4arch9wavefront6targetE1EEEvS12_,@function
_ZN7rocprim17ROCPRIM_400000_NS6detail17trampoline_kernelINS0_13select_configILj256ELj13ELNS0_17block_load_methodE3ELS4_3ELS4_3ELNS0_20block_scan_algorithmE0ELj4294967295EEENS1_25partition_config_selectorILNS1_17partition_subalgoE4EjNS0_10empty_typeEbEEZZNS1_14partition_implILS8_4ELb0ES6_15HIP_vector_typeIjLj2EENS0_17counting_iteratorIjlEEPS9_SG_NS0_5tupleIJPjSI_NS0_16reverse_iteratorISI_EEEEENSH_IJSG_SG_SG_EEES9_SI_JZNS1_25segmented_radix_sort_implINS0_14default_configELb1EPKhPhPKlPlN2at6native12_GLOBAL__N_18offset_tEEE10hipError_tPvRmT1_PNSt15iterator_traitsIS12_E10value_typeET2_T3_PNS13_IS18_E10value_typeET4_jRbjT5_S1E_jjP12ihipStream_tbEUljE_ZNSN_ISO_Lb1ESQ_SR_ST_SU_SY_EESZ_S10_S11_S12_S16_S17_S18_S1B_S1C_jS1D_jS1E_S1E_jjS1G_bEUljE0_EEESZ_S10_S11_S18_S1C_S1E_T6_T7_T9_mT8_S1G_bDpT10_ENKUlT_T0_E_clISt17integral_constantIbLb1EES1T_IbLb0EEEEDaS1P_S1Q_EUlS1P_E_NS1_11comp_targetILNS1_3genE5ELNS1_11target_archE942ELNS1_3gpuE9ELNS1_3repE0EEENS1_30default_config_static_selectorELNS0_4arch9wavefront6targetE1EEEvS12_: ; @_ZN7rocprim17ROCPRIM_400000_NS6detail17trampoline_kernelINS0_13select_configILj256ELj13ELNS0_17block_load_methodE3ELS4_3ELS4_3ELNS0_20block_scan_algorithmE0ELj4294967295EEENS1_25partition_config_selectorILNS1_17partition_subalgoE4EjNS0_10empty_typeEbEEZZNS1_14partition_implILS8_4ELb0ES6_15HIP_vector_typeIjLj2EENS0_17counting_iteratorIjlEEPS9_SG_NS0_5tupleIJPjSI_NS0_16reverse_iteratorISI_EEEEENSH_IJSG_SG_SG_EEES9_SI_JZNS1_25segmented_radix_sort_implINS0_14default_configELb1EPKhPhPKlPlN2at6native12_GLOBAL__N_18offset_tEEE10hipError_tPvRmT1_PNSt15iterator_traitsIS12_E10value_typeET2_T3_PNS13_IS18_E10value_typeET4_jRbjT5_S1E_jjP12ihipStream_tbEUljE_ZNSN_ISO_Lb1ESQ_SR_ST_SU_SY_EESZ_S10_S11_S12_S16_S17_S18_S1B_S1C_jS1D_jS1E_S1E_jjS1G_bEUljE0_EEESZ_S10_S11_S18_S1C_S1E_T6_T7_T9_mT8_S1G_bDpT10_ENKUlT_T0_E_clISt17integral_constantIbLb1EES1T_IbLb0EEEEDaS1P_S1Q_EUlS1P_E_NS1_11comp_targetILNS1_3genE5ELNS1_11target_archE942ELNS1_3gpuE9ELNS1_3repE0EEENS1_30default_config_static_selectorELNS0_4arch9wavefront6targetE1EEEvS12_
; %bb.0:
	.section	.rodata,"a",@progbits
	.p2align	6, 0x0
	.amdhsa_kernel _ZN7rocprim17ROCPRIM_400000_NS6detail17trampoline_kernelINS0_13select_configILj256ELj13ELNS0_17block_load_methodE3ELS4_3ELS4_3ELNS0_20block_scan_algorithmE0ELj4294967295EEENS1_25partition_config_selectorILNS1_17partition_subalgoE4EjNS0_10empty_typeEbEEZZNS1_14partition_implILS8_4ELb0ES6_15HIP_vector_typeIjLj2EENS0_17counting_iteratorIjlEEPS9_SG_NS0_5tupleIJPjSI_NS0_16reverse_iteratorISI_EEEEENSH_IJSG_SG_SG_EEES9_SI_JZNS1_25segmented_radix_sort_implINS0_14default_configELb1EPKhPhPKlPlN2at6native12_GLOBAL__N_18offset_tEEE10hipError_tPvRmT1_PNSt15iterator_traitsIS12_E10value_typeET2_T3_PNS13_IS18_E10value_typeET4_jRbjT5_S1E_jjP12ihipStream_tbEUljE_ZNSN_ISO_Lb1ESQ_SR_ST_SU_SY_EESZ_S10_S11_S12_S16_S17_S18_S1B_S1C_jS1D_jS1E_S1E_jjS1G_bEUljE0_EEESZ_S10_S11_S18_S1C_S1E_T6_T7_T9_mT8_S1G_bDpT10_ENKUlT_T0_E_clISt17integral_constantIbLb1EES1T_IbLb0EEEEDaS1P_S1Q_EUlS1P_E_NS1_11comp_targetILNS1_3genE5ELNS1_11target_archE942ELNS1_3gpuE9ELNS1_3repE0EEENS1_30default_config_static_selectorELNS0_4arch9wavefront6targetE1EEEvS12_
		.amdhsa_group_segment_fixed_size 0
		.amdhsa_private_segment_fixed_size 0
		.amdhsa_kernarg_size 176
		.amdhsa_user_sgpr_count 6
		.amdhsa_user_sgpr_private_segment_buffer 1
		.amdhsa_user_sgpr_dispatch_ptr 0
		.amdhsa_user_sgpr_queue_ptr 0
		.amdhsa_user_sgpr_kernarg_segment_ptr 1
		.amdhsa_user_sgpr_dispatch_id 0
		.amdhsa_user_sgpr_flat_scratch_init 0
		.amdhsa_user_sgpr_kernarg_preload_length 0
		.amdhsa_user_sgpr_kernarg_preload_offset 0
		.amdhsa_user_sgpr_private_segment_size 0
		.amdhsa_uses_dynamic_stack 0
		.amdhsa_system_sgpr_private_segment_wavefront_offset 0
		.amdhsa_system_sgpr_workgroup_id_x 1
		.amdhsa_system_sgpr_workgroup_id_y 0
		.amdhsa_system_sgpr_workgroup_id_z 0
		.amdhsa_system_sgpr_workgroup_info 0
		.amdhsa_system_vgpr_workitem_id 0
		.amdhsa_next_free_vgpr 1
		.amdhsa_next_free_sgpr 0
		.amdhsa_accum_offset 4
		.amdhsa_reserve_vcc 0
		.amdhsa_reserve_flat_scratch 0
		.amdhsa_float_round_mode_32 0
		.amdhsa_float_round_mode_16_64 0
		.amdhsa_float_denorm_mode_32 3
		.amdhsa_float_denorm_mode_16_64 3
		.amdhsa_dx10_clamp 1
		.amdhsa_ieee_mode 1
		.amdhsa_fp16_overflow 0
		.amdhsa_tg_split 0
		.amdhsa_exception_fp_ieee_invalid_op 0
		.amdhsa_exception_fp_denorm_src 0
		.amdhsa_exception_fp_ieee_div_zero 0
		.amdhsa_exception_fp_ieee_overflow 0
		.amdhsa_exception_fp_ieee_underflow 0
		.amdhsa_exception_fp_ieee_inexact 0
		.amdhsa_exception_int_div_zero 0
	.end_amdhsa_kernel
	.section	.text._ZN7rocprim17ROCPRIM_400000_NS6detail17trampoline_kernelINS0_13select_configILj256ELj13ELNS0_17block_load_methodE3ELS4_3ELS4_3ELNS0_20block_scan_algorithmE0ELj4294967295EEENS1_25partition_config_selectorILNS1_17partition_subalgoE4EjNS0_10empty_typeEbEEZZNS1_14partition_implILS8_4ELb0ES6_15HIP_vector_typeIjLj2EENS0_17counting_iteratorIjlEEPS9_SG_NS0_5tupleIJPjSI_NS0_16reverse_iteratorISI_EEEEENSH_IJSG_SG_SG_EEES9_SI_JZNS1_25segmented_radix_sort_implINS0_14default_configELb1EPKhPhPKlPlN2at6native12_GLOBAL__N_18offset_tEEE10hipError_tPvRmT1_PNSt15iterator_traitsIS12_E10value_typeET2_T3_PNS13_IS18_E10value_typeET4_jRbjT5_S1E_jjP12ihipStream_tbEUljE_ZNSN_ISO_Lb1ESQ_SR_ST_SU_SY_EESZ_S10_S11_S12_S16_S17_S18_S1B_S1C_jS1D_jS1E_S1E_jjS1G_bEUljE0_EEESZ_S10_S11_S18_S1C_S1E_T6_T7_T9_mT8_S1G_bDpT10_ENKUlT_T0_E_clISt17integral_constantIbLb1EES1T_IbLb0EEEEDaS1P_S1Q_EUlS1P_E_NS1_11comp_targetILNS1_3genE5ELNS1_11target_archE942ELNS1_3gpuE9ELNS1_3repE0EEENS1_30default_config_static_selectorELNS0_4arch9wavefront6targetE1EEEvS12_,"axG",@progbits,_ZN7rocprim17ROCPRIM_400000_NS6detail17trampoline_kernelINS0_13select_configILj256ELj13ELNS0_17block_load_methodE3ELS4_3ELS4_3ELNS0_20block_scan_algorithmE0ELj4294967295EEENS1_25partition_config_selectorILNS1_17partition_subalgoE4EjNS0_10empty_typeEbEEZZNS1_14partition_implILS8_4ELb0ES6_15HIP_vector_typeIjLj2EENS0_17counting_iteratorIjlEEPS9_SG_NS0_5tupleIJPjSI_NS0_16reverse_iteratorISI_EEEEENSH_IJSG_SG_SG_EEES9_SI_JZNS1_25segmented_radix_sort_implINS0_14default_configELb1EPKhPhPKlPlN2at6native12_GLOBAL__N_18offset_tEEE10hipError_tPvRmT1_PNSt15iterator_traitsIS12_E10value_typeET2_T3_PNS13_IS18_E10value_typeET4_jRbjT5_S1E_jjP12ihipStream_tbEUljE_ZNSN_ISO_Lb1ESQ_SR_ST_SU_SY_EESZ_S10_S11_S12_S16_S17_S18_S1B_S1C_jS1D_jS1E_S1E_jjS1G_bEUljE0_EEESZ_S10_S11_S18_S1C_S1E_T6_T7_T9_mT8_S1G_bDpT10_ENKUlT_T0_E_clISt17integral_constantIbLb1EES1T_IbLb0EEEEDaS1P_S1Q_EUlS1P_E_NS1_11comp_targetILNS1_3genE5ELNS1_11target_archE942ELNS1_3gpuE9ELNS1_3repE0EEENS1_30default_config_static_selectorELNS0_4arch9wavefront6targetE1EEEvS12_,comdat
.Lfunc_end31:
	.size	_ZN7rocprim17ROCPRIM_400000_NS6detail17trampoline_kernelINS0_13select_configILj256ELj13ELNS0_17block_load_methodE3ELS4_3ELS4_3ELNS0_20block_scan_algorithmE0ELj4294967295EEENS1_25partition_config_selectorILNS1_17partition_subalgoE4EjNS0_10empty_typeEbEEZZNS1_14partition_implILS8_4ELb0ES6_15HIP_vector_typeIjLj2EENS0_17counting_iteratorIjlEEPS9_SG_NS0_5tupleIJPjSI_NS0_16reverse_iteratorISI_EEEEENSH_IJSG_SG_SG_EEES9_SI_JZNS1_25segmented_radix_sort_implINS0_14default_configELb1EPKhPhPKlPlN2at6native12_GLOBAL__N_18offset_tEEE10hipError_tPvRmT1_PNSt15iterator_traitsIS12_E10value_typeET2_T3_PNS13_IS18_E10value_typeET4_jRbjT5_S1E_jjP12ihipStream_tbEUljE_ZNSN_ISO_Lb1ESQ_SR_ST_SU_SY_EESZ_S10_S11_S12_S16_S17_S18_S1B_S1C_jS1D_jS1E_S1E_jjS1G_bEUljE0_EEESZ_S10_S11_S18_S1C_S1E_T6_T7_T9_mT8_S1G_bDpT10_ENKUlT_T0_E_clISt17integral_constantIbLb1EES1T_IbLb0EEEEDaS1P_S1Q_EUlS1P_E_NS1_11comp_targetILNS1_3genE5ELNS1_11target_archE942ELNS1_3gpuE9ELNS1_3repE0EEENS1_30default_config_static_selectorELNS0_4arch9wavefront6targetE1EEEvS12_, .Lfunc_end31-_ZN7rocprim17ROCPRIM_400000_NS6detail17trampoline_kernelINS0_13select_configILj256ELj13ELNS0_17block_load_methodE3ELS4_3ELS4_3ELNS0_20block_scan_algorithmE0ELj4294967295EEENS1_25partition_config_selectorILNS1_17partition_subalgoE4EjNS0_10empty_typeEbEEZZNS1_14partition_implILS8_4ELb0ES6_15HIP_vector_typeIjLj2EENS0_17counting_iteratorIjlEEPS9_SG_NS0_5tupleIJPjSI_NS0_16reverse_iteratorISI_EEEEENSH_IJSG_SG_SG_EEES9_SI_JZNS1_25segmented_radix_sort_implINS0_14default_configELb1EPKhPhPKlPlN2at6native12_GLOBAL__N_18offset_tEEE10hipError_tPvRmT1_PNSt15iterator_traitsIS12_E10value_typeET2_T3_PNS13_IS18_E10value_typeET4_jRbjT5_S1E_jjP12ihipStream_tbEUljE_ZNSN_ISO_Lb1ESQ_SR_ST_SU_SY_EESZ_S10_S11_S12_S16_S17_S18_S1B_S1C_jS1D_jS1E_S1E_jjS1G_bEUljE0_EEESZ_S10_S11_S18_S1C_S1E_T6_T7_T9_mT8_S1G_bDpT10_ENKUlT_T0_E_clISt17integral_constantIbLb1EES1T_IbLb0EEEEDaS1P_S1Q_EUlS1P_E_NS1_11comp_targetILNS1_3genE5ELNS1_11target_archE942ELNS1_3gpuE9ELNS1_3repE0EEENS1_30default_config_static_selectorELNS0_4arch9wavefront6targetE1EEEvS12_
                                        ; -- End function
	.section	.AMDGPU.csdata,"",@progbits
; Kernel info:
; codeLenInByte = 0
; NumSgprs: 4
; NumVgprs: 0
; NumAgprs: 0
; TotalNumVgprs: 0
; ScratchSize: 0
; MemoryBound: 0
; FloatMode: 240
; IeeeMode: 1
; LDSByteSize: 0 bytes/workgroup (compile time only)
; SGPRBlocks: 0
; VGPRBlocks: 0
; NumSGPRsForWavesPerEU: 4
; NumVGPRsForWavesPerEU: 1
; AccumOffset: 4
; Occupancy: 8
; WaveLimiterHint : 0
; COMPUTE_PGM_RSRC2:SCRATCH_EN: 0
; COMPUTE_PGM_RSRC2:USER_SGPR: 6
; COMPUTE_PGM_RSRC2:TRAP_HANDLER: 0
; COMPUTE_PGM_RSRC2:TGID_X_EN: 1
; COMPUTE_PGM_RSRC2:TGID_Y_EN: 0
; COMPUTE_PGM_RSRC2:TGID_Z_EN: 0
; COMPUTE_PGM_RSRC2:TIDIG_COMP_CNT: 0
; COMPUTE_PGM_RSRC3_GFX90A:ACCUM_OFFSET: 0
; COMPUTE_PGM_RSRC3_GFX90A:TG_SPLIT: 0
	.section	.text._ZN7rocprim17ROCPRIM_400000_NS6detail17trampoline_kernelINS0_13select_configILj256ELj13ELNS0_17block_load_methodE3ELS4_3ELS4_3ELNS0_20block_scan_algorithmE0ELj4294967295EEENS1_25partition_config_selectorILNS1_17partition_subalgoE4EjNS0_10empty_typeEbEEZZNS1_14partition_implILS8_4ELb0ES6_15HIP_vector_typeIjLj2EENS0_17counting_iteratorIjlEEPS9_SG_NS0_5tupleIJPjSI_NS0_16reverse_iteratorISI_EEEEENSH_IJSG_SG_SG_EEES9_SI_JZNS1_25segmented_radix_sort_implINS0_14default_configELb1EPKhPhPKlPlN2at6native12_GLOBAL__N_18offset_tEEE10hipError_tPvRmT1_PNSt15iterator_traitsIS12_E10value_typeET2_T3_PNS13_IS18_E10value_typeET4_jRbjT5_S1E_jjP12ihipStream_tbEUljE_ZNSN_ISO_Lb1ESQ_SR_ST_SU_SY_EESZ_S10_S11_S12_S16_S17_S18_S1B_S1C_jS1D_jS1E_S1E_jjS1G_bEUljE0_EEESZ_S10_S11_S18_S1C_S1E_T6_T7_T9_mT8_S1G_bDpT10_ENKUlT_T0_E_clISt17integral_constantIbLb1EES1T_IbLb0EEEEDaS1P_S1Q_EUlS1P_E_NS1_11comp_targetILNS1_3genE4ELNS1_11target_archE910ELNS1_3gpuE8ELNS1_3repE0EEENS1_30default_config_static_selectorELNS0_4arch9wavefront6targetE1EEEvS12_,"axG",@progbits,_ZN7rocprim17ROCPRIM_400000_NS6detail17trampoline_kernelINS0_13select_configILj256ELj13ELNS0_17block_load_methodE3ELS4_3ELS4_3ELNS0_20block_scan_algorithmE0ELj4294967295EEENS1_25partition_config_selectorILNS1_17partition_subalgoE4EjNS0_10empty_typeEbEEZZNS1_14partition_implILS8_4ELb0ES6_15HIP_vector_typeIjLj2EENS0_17counting_iteratorIjlEEPS9_SG_NS0_5tupleIJPjSI_NS0_16reverse_iteratorISI_EEEEENSH_IJSG_SG_SG_EEES9_SI_JZNS1_25segmented_radix_sort_implINS0_14default_configELb1EPKhPhPKlPlN2at6native12_GLOBAL__N_18offset_tEEE10hipError_tPvRmT1_PNSt15iterator_traitsIS12_E10value_typeET2_T3_PNS13_IS18_E10value_typeET4_jRbjT5_S1E_jjP12ihipStream_tbEUljE_ZNSN_ISO_Lb1ESQ_SR_ST_SU_SY_EESZ_S10_S11_S12_S16_S17_S18_S1B_S1C_jS1D_jS1E_S1E_jjS1G_bEUljE0_EEESZ_S10_S11_S18_S1C_S1E_T6_T7_T9_mT8_S1G_bDpT10_ENKUlT_T0_E_clISt17integral_constantIbLb1EES1T_IbLb0EEEEDaS1P_S1Q_EUlS1P_E_NS1_11comp_targetILNS1_3genE4ELNS1_11target_archE910ELNS1_3gpuE8ELNS1_3repE0EEENS1_30default_config_static_selectorELNS0_4arch9wavefront6targetE1EEEvS12_,comdat
	.globl	_ZN7rocprim17ROCPRIM_400000_NS6detail17trampoline_kernelINS0_13select_configILj256ELj13ELNS0_17block_load_methodE3ELS4_3ELS4_3ELNS0_20block_scan_algorithmE0ELj4294967295EEENS1_25partition_config_selectorILNS1_17partition_subalgoE4EjNS0_10empty_typeEbEEZZNS1_14partition_implILS8_4ELb0ES6_15HIP_vector_typeIjLj2EENS0_17counting_iteratorIjlEEPS9_SG_NS0_5tupleIJPjSI_NS0_16reverse_iteratorISI_EEEEENSH_IJSG_SG_SG_EEES9_SI_JZNS1_25segmented_radix_sort_implINS0_14default_configELb1EPKhPhPKlPlN2at6native12_GLOBAL__N_18offset_tEEE10hipError_tPvRmT1_PNSt15iterator_traitsIS12_E10value_typeET2_T3_PNS13_IS18_E10value_typeET4_jRbjT5_S1E_jjP12ihipStream_tbEUljE_ZNSN_ISO_Lb1ESQ_SR_ST_SU_SY_EESZ_S10_S11_S12_S16_S17_S18_S1B_S1C_jS1D_jS1E_S1E_jjS1G_bEUljE0_EEESZ_S10_S11_S18_S1C_S1E_T6_T7_T9_mT8_S1G_bDpT10_ENKUlT_T0_E_clISt17integral_constantIbLb1EES1T_IbLb0EEEEDaS1P_S1Q_EUlS1P_E_NS1_11comp_targetILNS1_3genE4ELNS1_11target_archE910ELNS1_3gpuE8ELNS1_3repE0EEENS1_30default_config_static_selectorELNS0_4arch9wavefront6targetE1EEEvS12_ ; -- Begin function _ZN7rocprim17ROCPRIM_400000_NS6detail17trampoline_kernelINS0_13select_configILj256ELj13ELNS0_17block_load_methodE3ELS4_3ELS4_3ELNS0_20block_scan_algorithmE0ELj4294967295EEENS1_25partition_config_selectorILNS1_17partition_subalgoE4EjNS0_10empty_typeEbEEZZNS1_14partition_implILS8_4ELb0ES6_15HIP_vector_typeIjLj2EENS0_17counting_iteratorIjlEEPS9_SG_NS0_5tupleIJPjSI_NS0_16reverse_iteratorISI_EEEEENSH_IJSG_SG_SG_EEES9_SI_JZNS1_25segmented_radix_sort_implINS0_14default_configELb1EPKhPhPKlPlN2at6native12_GLOBAL__N_18offset_tEEE10hipError_tPvRmT1_PNSt15iterator_traitsIS12_E10value_typeET2_T3_PNS13_IS18_E10value_typeET4_jRbjT5_S1E_jjP12ihipStream_tbEUljE_ZNSN_ISO_Lb1ESQ_SR_ST_SU_SY_EESZ_S10_S11_S12_S16_S17_S18_S1B_S1C_jS1D_jS1E_S1E_jjS1G_bEUljE0_EEESZ_S10_S11_S18_S1C_S1E_T6_T7_T9_mT8_S1G_bDpT10_ENKUlT_T0_E_clISt17integral_constantIbLb1EES1T_IbLb0EEEEDaS1P_S1Q_EUlS1P_E_NS1_11comp_targetILNS1_3genE4ELNS1_11target_archE910ELNS1_3gpuE8ELNS1_3repE0EEENS1_30default_config_static_selectorELNS0_4arch9wavefront6targetE1EEEvS12_
	.p2align	8
	.type	_ZN7rocprim17ROCPRIM_400000_NS6detail17trampoline_kernelINS0_13select_configILj256ELj13ELNS0_17block_load_methodE3ELS4_3ELS4_3ELNS0_20block_scan_algorithmE0ELj4294967295EEENS1_25partition_config_selectorILNS1_17partition_subalgoE4EjNS0_10empty_typeEbEEZZNS1_14partition_implILS8_4ELb0ES6_15HIP_vector_typeIjLj2EENS0_17counting_iteratorIjlEEPS9_SG_NS0_5tupleIJPjSI_NS0_16reverse_iteratorISI_EEEEENSH_IJSG_SG_SG_EEES9_SI_JZNS1_25segmented_radix_sort_implINS0_14default_configELb1EPKhPhPKlPlN2at6native12_GLOBAL__N_18offset_tEEE10hipError_tPvRmT1_PNSt15iterator_traitsIS12_E10value_typeET2_T3_PNS13_IS18_E10value_typeET4_jRbjT5_S1E_jjP12ihipStream_tbEUljE_ZNSN_ISO_Lb1ESQ_SR_ST_SU_SY_EESZ_S10_S11_S12_S16_S17_S18_S1B_S1C_jS1D_jS1E_S1E_jjS1G_bEUljE0_EEESZ_S10_S11_S18_S1C_S1E_T6_T7_T9_mT8_S1G_bDpT10_ENKUlT_T0_E_clISt17integral_constantIbLb1EES1T_IbLb0EEEEDaS1P_S1Q_EUlS1P_E_NS1_11comp_targetILNS1_3genE4ELNS1_11target_archE910ELNS1_3gpuE8ELNS1_3repE0EEENS1_30default_config_static_selectorELNS0_4arch9wavefront6targetE1EEEvS12_,@function
_ZN7rocprim17ROCPRIM_400000_NS6detail17trampoline_kernelINS0_13select_configILj256ELj13ELNS0_17block_load_methodE3ELS4_3ELS4_3ELNS0_20block_scan_algorithmE0ELj4294967295EEENS1_25partition_config_selectorILNS1_17partition_subalgoE4EjNS0_10empty_typeEbEEZZNS1_14partition_implILS8_4ELb0ES6_15HIP_vector_typeIjLj2EENS0_17counting_iteratorIjlEEPS9_SG_NS0_5tupleIJPjSI_NS0_16reverse_iteratorISI_EEEEENSH_IJSG_SG_SG_EEES9_SI_JZNS1_25segmented_radix_sort_implINS0_14default_configELb1EPKhPhPKlPlN2at6native12_GLOBAL__N_18offset_tEEE10hipError_tPvRmT1_PNSt15iterator_traitsIS12_E10value_typeET2_T3_PNS13_IS18_E10value_typeET4_jRbjT5_S1E_jjP12ihipStream_tbEUljE_ZNSN_ISO_Lb1ESQ_SR_ST_SU_SY_EESZ_S10_S11_S12_S16_S17_S18_S1B_S1C_jS1D_jS1E_S1E_jjS1G_bEUljE0_EEESZ_S10_S11_S18_S1C_S1E_T6_T7_T9_mT8_S1G_bDpT10_ENKUlT_T0_E_clISt17integral_constantIbLb1EES1T_IbLb0EEEEDaS1P_S1Q_EUlS1P_E_NS1_11comp_targetILNS1_3genE4ELNS1_11target_archE910ELNS1_3gpuE8ELNS1_3repE0EEENS1_30default_config_static_selectorELNS0_4arch9wavefront6targetE1EEEvS12_: ; @_ZN7rocprim17ROCPRIM_400000_NS6detail17trampoline_kernelINS0_13select_configILj256ELj13ELNS0_17block_load_methodE3ELS4_3ELS4_3ELNS0_20block_scan_algorithmE0ELj4294967295EEENS1_25partition_config_selectorILNS1_17partition_subalgoE4EjNS0_10empty_typeEbEEZZNS1_14partition_implILS8_4ELb0ES6_15HIP_vector_typeIjLj2EENS0_17counting_iteratorIjlEEPS9_SG_NS0_5tupleIJPjSI_NS0_16reverse_iteratorISI_EEEEENSH_IJSG_SG_SG_EEES9_SI_JZNS1_25segmented_radix_sort_implINS0_14default_configELb1EPKhPhPKlPlN2at6native12_GLOBAL__N_18offset_tEEE10hipError_tPvRmT1_PNSt15iterator_traitsIS12_E10value_typeET2_T3_PNS13_IS18_E10value_typeET4_jRbjT5_S1E_jjP12ihipStream_tbEUljE_ZNSN_ISO_Lb1ESQ_SR_ST_SU_SY_EESZ_S10_S11_S12_S16_S17_S18_S1B_S1C_jS1D_jS1E_S1E_jjS1G_bEUljE0_EEESZ_S10_S11_S18_S1C_S1E_T6_T7_T9_mT8_S1G_bDpT10_ENKUlT_T0_E_clISt17integral_constantIbLb1EES1T_IbLb0EEEEDaS1P_S1Q_EUlS1P_E_NS1_11comp_targetILNS1_3genE4ELNS1_11target_archE910ELNS1_3gpuE8ELNS1_3repE0EEENS1_30default_config_static_selectorELNS0_4arch9wavefront6targetE1EEEvS12_
; %bb.0:
	s_load_dwordx2 s[0:1], s[4:5], 0x68
	s_load_dword s7, s[4:5], 0x8
	s_load_dwordx2 s[56:57], s[4:5], 0x10
	s_load_dwordx4 s[44:47], s[4:5], 0x58
	s_mul_i32 s33, s6, 0xd00
	s_waitcnt lgkmcnt(0)
	v_mov_b32_e32 v3, s1
	v_mov_b32_e32 v2, s0
	s_load_dword s1, s[4:5], 0x80
	s_load_dwordx2 s[60:61], s[4:5], 0xa8
	s_load_dwordx8 s[36:43], s[4:5], 0x88
	s_load_dwordx4 s[48:51], s[46:47], 0x0
	s_waitcnt lgkmcnt(0)
	s_add_i32 s8, s1, -1
	s_mulk_i32 s1, 0xd00
	s_add_u32 s2, s56, s1
	s_addc_u32 s3, s57, 0
	s_cmp_eq_u32 s6, s8
	s_cselect_b64 s[30:31], -1, 0
	s_cmp_lg_u32 s6, s8
	v_cmp_lt_u64_e32 vcc, s[2:3], v[2:3]
	s_cselect_b64 s[2:3], -1, 0
	s_add_i32 s7, s7, s33
	s_or_b64 s[2:3], s[2:3], vcc
	s_add_i32 s7, s7, s56
	v_add_u32_e32 v1, s7, v0
	s_mov_b64 s[8:9], -1
	s_and_b64 vcc, exec, s[2:3]
	s_cbranch_vccz .LBB32_2
; %bb.1:
	v_add_u32_e32 v2, 0x100, v1
	v_lshlrev_b32_e32 v14, 2, v0
	v_add_u32_e32 v3, 0x200, v1
	v_add_u32_e32 v4, 0x300, v1
	;; [unrolled: 1-line block ×11, first 2 shown]
	ds_write2st64_b32 v14, v1, v2 offset1:4
	ds_write2st64_b32 v14, v3, v4 offset0:8 offset1:12
	ds_write2st64_b32 v14, v5, v6 offset0:16 offset1:20
	;; [unrolled: 1-line block ×5, first 2 shown]
	ds_write_b32 v14, v13 offset:12288
	s_waitcnt lgkmcnt(0)
	s_barrier
	s_mov_b64 s[8:9], 0
.LBB32_2:
	s_andn2_b64 vcc, exec, s[8:9]
	s_add_i32 s1, s1, s56
	s_cbranch_vccnz .LBB32_4
; %bb.3:
	v_add_u32_e32 v2, 0x100, v1
	v_lshlrev_b32_e32 v14, 2, v0
	v_add_u32_e32 v3, 0x200, v1
	v_add_u32_e32 v4, 0x300, v1
	v_add_u32_e32 v5, 0x400, v1
	v_add_u32_e32 v6, 0x500, v1
	v_add_u32_e32 v7, 0x600, v1
	v_add_u32_e32 v8, 0x700, v1
	v_add_u32_e32 v9, 0x800, v1
	v_add_u32_e32 v10, 0x900, v1
	v_add_u32_e32 v11, 0xa00, v1
	v_add_u32_e32 v12, 0xb00, v1
	v_add_u32_e32 v13, 0xc00, v1
	ds_write2st64_b32 v14, v1, v2 offset1:4
	ds_write2st64_b32 v14, v3, v4 offset0:8 offset1:12
	ds_write2st64_b32 v14, v5, v6 offset0:16 offset1:20
	;; [unrolled: 1-line block ×5, first 2 shown]
	ds_write_b32 v14, v13 offset:12288
	s_waitcnt lgkmcnt(0)
	s_barrier
.LBB32_4:
	v_mul_u32_u24_e32 v31, 13, v0
	v_lshlrev_b32_e32 v1, 2, v31
	s_load_dwordx4 s[52:55], s[4:5], 0x28
	s_load_dwordx2 s[34:35], s[4:5], 0x38
	s_waitcnt lgkmcnt(0)
	ds_read2_b32 v[18:19], v1 offset1:1
	ds_read2_b32 v[16:17], v1 offset0:2 offset1:3
	ds_read2_b32 v[14:15], v1 offset0:4 offset1:5
	;; [unrolled: 1-line block ×5, first 2 shown]
	ds_read_b32 v30, v1 offset:48
	v_cndmask_b32_e64 v1, 0, 1, s[2:3]
	s_sub_i32 s7, s0, s1
	v_cmp_ne_u32_e64 s[0:1], 1, v1
	s_andn2_b64 vcc, exec, s[2:3]
	s_waitcnt lgkmcnt(0)
	s_barrier
	s_cbranch_vccnz .LBB32_32
; %bb.5:
	v_add_u32_e32 v1, s37, v18
	v_add_u32_e32 v2, s39, v18
	v_mul_lo_u32 v1, v1, s36
	v_mul_lo_u32 v2, v2, s38
	v_sub_u32_e32 v1, v1, v2
	v_cmp_lt_u32_e32 vcc, s40, v1
	v_cmp_ge_u32_e64 s[2:3], s40, v1
	s_mov_b64 s[64:65], 0
	s_mov_b64 s[62:63], 0
	s_and_saveexec_b64 s[8:9], s[2:3]
; %bb.6:
	v_add_u32_e32 v1, s42, v18
	v_add_u32_e32 v2, s60, v18
	v_mul_lo_u32 v1, v1, s41
	v_mul_lo_u32 v2, v2, s43
	v_sub_u32_e32 v1, v1, v2
	v_cmp_lt_u32_e64 s[2:3], s61, v1
	s_and_b64 s[62:63], s[2:3], exec
; %bb.7:
	s_or_b64 exec, exec, s[8:9]
	v_add_u32_e32 v1, s37, v19
	v_add_u32_e32 v2, s39, v19
	v_mul_lo_u32 v1, v1, s36
	v_mul_lo_u32 v2, v2, s38
	v_sub_u32_e32 v1, v1, v2
	v_cmp_lt_u32_e64 s[2:3], s40, v1
	v_cmp_ge_u32_e64 s[8:9], s40, v1
	s_and_saveexec_b64 s[10:11], s[8:9]
; %bb.8:
	v_add_u32_e32 v1, s42, v19
	v_add_u32_e32 v2, s60, v19
	v_mul_lo_u32 v1, v1, s41
	v_mul_lo_u32 v2, v2, s43
	v_sub_u32_e32 v1, v1, v2
	v_cmp_lt_u32_e64 s[8:9], s61, v1
	s_and_b64 s[64:65], s[8:9], exec
; %bb.9:
	s_or_b64 exec, exec, s[10:11]
	v_add_u32_e32 v1, s37, v16
	v_add_u32_e32 v2, s39, v16
	v_mul_lo_u32 v1, v1, s36
	v_mul_lo_u32 v2, v2, s38
	v_sub_u32_e32 v1, v1, v2
	v_cmp_lt_u32_e64 s[26:27], s40, v1
	v_cmp_ge_u32_e64 s[8:9], s40, v1
	s_mov_b64 s[68:69], 0
	s_mov_b64 s[66:67], 0
	s_and_saveexec_b64 s[10:11], s[8:9]
; %bb.10:
	v_add_u32_e32 v1, s42, v16
	v_add_u32_e32 v2, s60, v16
	v_mul_lo_u32 v1, v1, s41
	v_mul_lo_u32 v2, v2, s43
	v_sub_u32_e32 v1, v1, v2
	v_cmp_lt_u32_e64 s[8:9], s61, v1
	s_and_b64 s[66:67], s[8:9], exec
; %bb.11:
	s_or_b64 exec, exec, s[10:11]
	v_add_u32_e32 v1, s37, v17
	v_add_u32_e32 v2, s39, v17
	v_mul_lo_u32 v1, v1, s36
	v_mul_lo_u32 v2, v2, s38
	v_sub_u32_e32 v1, v1, v2
	v_cmp_lt_u32_e64 s[8:9], s40, v1
	v_cmp_ge_u32_e64 s[10:11], s40, v1
	s_and_saveexec_b64 s[12:13], s[10:11]
; %bb.12:
	v_add_u32_e32 v1, s42, v17
	v_add_u32_e32 v2, s60, v17
	v_mul_lo_u32 v1, v1, s41
	v_mul_lo_u32 v2, v2, s43
	v_sub_u32_e32 v1, v1, v2
	v_cmp_lt_u32_e64 s[10:11], s61, v1
	s_and_b64 s[68:69], s[10:11], exec
; %bb.13:
	s_or_b64 exec, exec, s[12:13]
	v_add_u32_e32 v1, s37, v14
	v_add_u32_e32 v2, s39, v14
	v_mul_lo_u32 v1, v1, s36
	v_mul_lo_u32 v2, v2, s38
	v_sub_u32_e32 v1, v1, v2
	v_cmp_lt_u32_e64 s[10:11], s40, v1
	v_cmp_ge_u32_e64 s[12:13], s40, v1
	s_mov_b64 s[72:73], 0
	s_mov_b64 s[70:71], 0
	s_and_saveexec_b64 s[14:15], s[12:13]
; %bb.14:
	v_add_u32_e32 v1, s42, v14
	v_add_u32_e32 v2, s60, v14
	v_mul_lo_u32 v1, v1, s41
	v_mul_lo_u32 v2, v2, s43
	v_sub_u32_e32 v1, v1, v2
	v_cmp_lt_u32_e64 s[12:13], s61, v1
	s_and_b64 s[70:71], s[12:13], exec
; %bb.15:
	s_or_b64 exec, exec, s[14:15]
	v_add_u32_e32 v1, s37, v15
	v_add_u32_e32 v2, s39, v15
	v_mul_lo_u32 v1, v1, s36
	v_mul_lo_u32 v2, v2, s38
	v_sub_u32_e32 v1, v1, v2
	v_cmp_lt_u32_e64 s[12:13], s40, v1
	v_cmp_ge_u32_e64 s[14:15], s40, v1
	s_and_saveexec_b64 s[16:17], s[14:15]
; %bb.16:
	v_add_u32_e32 v1, s42, v15
	v_add_u32_e32 v2, s60, v15
	v_mul_lo_u32 v1, v1, s41
	v_mul_lo_u32 v2, v2, s43
	v_sub_u32_e32 v1, v1, v2
	v_cmp_lt_u32_e64 s[14:15], s61, v1
	s_and_b64 s[72:73], s[14:15], exec
; %bb.17:
	s_or_b64 exec, exec, s[16:17]
	v_add_u32_e32 v1, s37, v12
	v_add_u32_e32 v2, s39, v12
	v_mul_lo_u32 v1, v1, s36
	v_mul_lo_u32 v2, v2, s38
	v_sub_u32_e32 v1, v1, v2
	v_cmp_lt_u32_e64 s[14:15], s40, v1
	v_cmp_ge_u32_e64 s[16:17], s40, v1
	s_mov_b64 s[76:77], 0
	s_mov_b64 s[74:75], 0
	s_and_saveexec_b64 s[18:19], s[16:17]
; %bb.18:
	v_add_u32_e32 v1, s42, v12
	v_add_u32_e32 v2, s60, v12
	v_mul_lo_u32 v1, v1, s41
	v_mul_lo_u32 v2, v2, s43
	v_sub_u32_e32 v1, v1, v2
	v_cmp_lt_u32_e64 s[16:17], s61, v1
	s_and_b64 s[74:75], s[16:17], exec
; %bb.19:
	s_or_b64 exec, exec, s[18:19]
	v_add_u32_e32 v1, s37, v13
	v_add_u32_e32 v2, s39, v13
	v_mul_lo_u32 v1, v1, s36
	v_mul_lo_u32 v2, v2, s38
	v_sub_u32_e32 v1, v1, v2
	v_cmp_lt_u32_e64 s[16:17], s40, v1
	v_cmp_ge_u32_e64 s[18:19], s40, v1
	s_and_saveexec_b64 s[20:21], s[18:19]
; %bb.20:
	v_add_u32_e32 v1, s42, v13
	v_add_u32_e32 v2, s60, v13
	v_mul_lo_u32 v1, v1, s41
	v_mul_lo_u32 v2, v2, s43
	v_sub_u32_e32 v1, v1, v2
	v_cmp_lt_u32_e64 s[18:19], s61, v1
	s_and_b64 s[76:77], s[18:19], exec
; %bb.21:
	s_or_b64 exec, exec, s[20:21]
	v_add_u32_e32 v1, s37, v10
	v_add_u32_e32 v2, s39, v10
	v_mul_lo_u32 v1, v1, s36
	v_mul_lo_u32 v2, v2, s38
	v_sub_u32_e32 v1, v1, v2
	v_cmp_lt_u32_e64 s[18:19], s40, v1
	v_cmp_ge_u32_e64 s[20:21], s40, v1
	s_mov_b64 s[82:83], 0
	s_mov_b64 s[80:81], 0
	s_and_saveexec_b64 s[22:23], s[20:21]
; %bb.22:
	v_add_u32_e32 v1, s42, v10
	v_add_u32_e32 v2, s60, v10
	v_mul_lo_u32 v1, v1, s41
	v_mul_lo_u32 v2, v2, s43
	v_sub_u32_e32 v1, v1, v2
	v_cmp_lt_u32_e64 s[20:21], s61, v1
	s_and_b64 s[80:81], s[20:21], exec
; %bb.23:
	s_or_b64 exec, exec, s[22:23]
	v_add_u32_e32 v1, s37, v11
	v_add_u32_e32 v2, s39, v11
	v_mul_lo_u32 v1, v1, s36
	v_mul_lo_u32 v2, v2, s38
	v_sub_u32_e32 v1, v1, v2
	v_cmp_lt_u32_e64 s[20:21], s40, v1
	v_cmp_ge_u32_e64 s[22:23], s40, v1
	s_and_saveexec_b64 s[24:25], s[22:23]
; %bb.24:
	v_add_u32_e32 v1, s42, v11
	v_add_u32_e32 v2, s60, v11
	v_mul_lo_u32 v1, v1, s41
	v_mul_lo_u32 v2, v2, s43
	v_sub_u32_e32 v1, v1, v2
	v_cmp_lt_u32_e64 s[22:23], s61, v1
	s_and_b64 s[82:83], s[22:23], exec
; %bb.25:
	s_or_b64 exec, exec, s[24:25]
	v_add_u32_e32 v1, s37, v8
	v_add_u32_e32 v2, s39, v8
	v_mul_lo_u32 v1, v1, s36
	v_mul_lo_u32 v2, v2, s38
	v_sub_u32_e32 v1, v1, v2
	v_cmp_lt_u32_e64 s[22:23], s40, v1
	v_cmp_ge_u32_e64 s[24:25], s40, v1
	s_mov_b64 s[84:85], 0
	s_mov_b64 s[86:87], 0
	s_and_saveexec_b64 s[28:29], s[24:25]
; %bb.26:
	v_add_u32_e32 v1, s42, v8
	v_add_u32_e32 v2, s60, v8
	v_mul_lo_u32 v1, v1, s41
	v_mul_lo_u32 v2, v2, s43
	v_sub_u32_e32 v1, v1, v2
	v_cmp_lt_u32_e64 s[24:25], s61, v1
	s_and_b64 s[86:87], s[24:25], exec
; %bb.27:
	s_or_b64 exec, exec, s[28:29]
	v_add_u32_e32 v1, s37, v9
	v_add_u32_e32 v2, s39, v9
	v_mul_lo_u32 v1, v1, s36
	v_mul_lo_u32 v2, v2, s38
	v_sub_u32_e32 v1, v1, v2
	v_cmp_lt_u32_e64 s[24:25], s40, v1
	v_cmp_ge_u32_e64 s[28:29], s40, v1
	s_and_saveexec_b64 s[46:47], s[28:29]
; %bb.28:
	v_add_u32_e32 v1, s42, v9
	v_add_u32_e32 v2, s60, v9
	v_mul_lo_u32 v1, v1, s41
	v_mul_lo_u32 v2, v2, s43
	v_sub_u32_e32 v1, v1, v2
	v_cmp_lt_u32_e64 s[28:29], s61, v1
	s_and_b64 s[84:85], s[28:29], exec
; %bb.29:
	s_or_b64 exec, exec, s[46:47]
	v_add_u32_e32 v1, s37, v30
	v_add_u32_e32 v2, s39, v30
	v_mul_lo_u32 v1, v1, s36
	v_mul_lo_u32 v2, v2, s38
	v_sub_u32_e32 v1, v1, v2
	v_cmp_ge_u32_e64 s[28:29], s40, v1
	s_mov_b64 s[46:47], -1
	s_mov_b64 s[78:79], 0
	s_mov_b64 s[58:59], 0
	s_and_saveexec_b64 s[88:89], s[28:29]
; %bb.30:
	v_add_u32_e32 v1, s42, v30
	v_add_u32_e32 v2, s60, v30
	v_mul_lo_u32 v1, v1, s41
	v_mul_lo_u32 v2, v2, s43
	v_sub_u32_e32 v1, v1, v2
	v_cmp_lt_u32_e64 s[28:29], s61, v1
	s_and_b64 s[58:59], s[28:29], exec
	s_xor_b64 s[46:47], exec, -1
; %bb.31:
	s_or_b64 exec, exec, s[88:89]
	v_cndmask_b32_e64 v52, 0, 1, s[86:87]
	v_cndmask_b32_e64 v55, 0, 1, s[24:25]
	;; [unrolled: 1-line block ×22, first 2 shown]
	v_cndmask_b32_e64 v32, 0, 1, vcc
	v_cndmask_b32_e64 v54, 0, 1, s[84:85]
	s_load_dwordx2 s[12:13], s[4:5], 0x78
	s_add_i32 s18, s7, 0xd00
	s_and_b64 vcc, exec, s[78:79]
	s_cbranch_vccnz .LBB32_33
	s_branch .LBB32_86
.LBB32_32:
                                        ; implicit-def: $sgpr46_sgpr47
                                        ; implicit-def: $sgpr58_sgpr59
                                        ; implicit-def: $vgpr54
                                        ; implicit-def: $vgpr52
                                        ; implicit-def: $vgpr50
                                        ; implicit-def: $vgpr48
                                        ; implicit-def: $vgpr46
                                        ; implicit-def: $vgpr44
                                        ; implicit-def: $vgpr42
                                        ; implicit-def: $vgpr40
                                        ; implicit-def: $vgpr38
                                        ; implicit-def: $vgpr32
                                        ; implicit-def: $vgpr34
                                        ; implicit-def: $vgpr36
                                        ; implicit-def: $vgpr39
                                        ; implicit-def: $vgpr41
                                        ; implicit-def: $vgpr43
                                        ; implicit-def: $vgpr45
                                        ; implicit-def: $vgpr47
                                        ; implicit-def: $vgpr49
                                        ; implicit-def: $vgpr51
                                        ; implicit-def: $vgpr53
                                        ; implicit-def: $vgpr55
                                        ; implicit-def: $vgpr33
                                        ; implicit-def: $vgpr35
                                        ; implicit-def: $vgpr37
	s_load_dwordx2 s[12:13], s[4:5], 0x78
	s_add_i32 s18, s7, 0xd00
	s_cbranch_execz .LBB32_86
.LBB32_33:
	v_cmp_gt_u32_e32 vcc, s18, v31
	v_mov_b32_e32 v33, 0
	v_mov_b32_e32 v32, 0
	s_and_saveexec_b64 s[4:5], vcc
	s_cbranch_execz .LBB32_37
; %bb.34:
	v_add_u32_e32 v1, s37, v18
	v_add_u32_e32 v2, s39, v18
	v_mul_lo_u32 v1, v1, s36
	v_mul_lo_u32 v2, v2, s38
	v_sub_u32_e32 v1, v1, v2
	v_cmp_lt_u32_e32 vcc, s40, v1
	v_cmp_ge_u32_e64 s[2:3], s40, v1
	s_mov_b64 s[10:11], 0
	s_and_saveexec_b64 s[8:9], s[2:3]
; %bb.35:
	v_add_u32_e32 v1, s42, v18
	v_add_u32_e32 v2, s60, v18
	v_mul_lo_u32 v1, v1, s41
	v_mul_lo_u32 v2, v2, s43
	v_sub_u32_e32 v1, v1, v2
	v_cmp_lt_u32_e64 s[2:3], s61, v1
	s_and_b64 s[10:11], s[2:3], exec
; %bb.36:
	s_or_b64 exec, exec, s[8:9]
	v_cndmask_b32_e64 v32, 0, 1, vcc
	v_cndmask_b32_e64 v33, 0, 1, s[10:11]
.LBB32_37:
	s_or_b64 exec, exec, s[4:5]
	v_add_u32_e32 v1, 1, v31
	v_cmp_gt_u32_e32 vcc, s18, v1
	v_mov_b32_e32 v34, 0
	v_mov_b32_e32 v35, 0
	s_and_saveexec_b64 s[4:5], vcc
	s_cbranch_execz .LBB32_41
; %bb.38:
	v_add_u32_e32 v1, s37, v19
	v_add_u32_e32 v2, s39, v19
	v_mul_lo_u32 v1, v1, s36
	v_mul_lo_u32 v2, v2, s38
	v_sub_u32_e32 v1, v1, v2
	v_cmp_lt_u32_e32 vcc, s40, v1
	v_cmp_ge_u32_e64 s[2:3], s40, v1
	s_mov_b64 s[10:11], 0
	s_and_saveexec_b64 s[8:9], s[2:3]
; %bb.39:
	v_add_u32_e32 v1, s42, v19
	v_add_u32_e32 v2, s60, v19
	v_mul_lo_u32 v1, v1, s41
	v_mul_lo_u32 v2, v2, s43
	v_sub_u32_e32 v1, v1, v2
	v_cmp_lt_u32_e64 s[2:3], s61, v1
	s_and_b64 s[10:11], s[2:3], exec
; %bb.40:
	s_or_b64 exec, exec, s[8:9]
	v_cndmask_b32_e64 v34, 0, 1, vcc
	v_cndmask_b32_e64 v35, 0, 1, s[10:11]
.LBB32_41:
	s_or_b64 exec, exec, s[4:5]
	v_add_u32_e32 v1, 2, v31
	v_cmp_gt_u32_e32 vcc, s18, v1
	v_mov_b32_e32 v36, 0
	v_mov_b32_e32 v37, 0
	s_and_saveexec_b64 s[4:5], vcc
	s_cbranch_execz .LBB32_45
; %bb.42:
	v_add_u32_e32 v1, s37, v16
	v_add_u32_e32 v2, s39, v16
	v_mul_lo_u32 v1, v1, s36
	v_mul_lo_u32 v2, v2, s38
	v_sub_u32_e32 v1, v1, v2
	v_cmp_lt_u32_e32 vcc, s40, v1
	v_cmp_ge_u32_e64 s[2:3], s40, v1
	s_mov_b64 s[10:11], 0
	s_and_saveexec_b64 s[8:9], s[2:3]
; %bb.43:
	v_add_u32_e32 v1, s42, v16
	v_add_u32_e32 v2, s60, v16
	v_mul_lo_u32 v1, v1, s41
	v_mul_lo_u32 v2, v2, s43
	v_sub_u32_e32 v1, v1, v2
	v_cmp_lt_u32_e64 s[2:3], s61, v1
	s_and_b64 s[10:11], s[2:3], exec
; %bb.44:
	s_or_b64 exec, exec, s[8:9]
	v_cndmask_b32_e64 v36, 0, 1, vcc
	v_cndmask_b32_e64 v37, 0, 1, s[10:11]
.LBB32_45:
	s_or_b64 exec, exec, s[4:5]
	v_add_u32_e32 v1, 3, v31
	v_cmp_gt_u32_e32 vcc, s18, v1
	v_mov_b32_e32 v38, 0
	v_mov_b32_e32 v39, 0
	s_and_saveexec_b64 s[4:5], vcc
	s_cbranch_execz .LBB32_49
; %bb.46:
	v_add_u32_e32 v1, s37, v17
	v_add_u32_e32 v2, s39, v17
	v_mul_lo_u32 v1, v1, s36
	v_mul_lo_u32 v2, v2, s38
	v_sub_u32_e32 v1, v1, v2
	v_cmp_lt_u32_e32 vcc, s40, v1
	v_cmp_ge_u32_e64 s[2:3], s40, v1
	s_mov_b64 s[10:11], 0
	s_and_saveexec_b64 s[8:9], s[2:3]
; %bb.47:
	v_add_u32_e32 v1, s42, v17
	v_add_u32_e32 v2, s60, v17
	v_mul_lo_u32 v1, v1, s41
	v_mul_lo_u32 v2, v2, s43
	v_sub_u32_e32 v1, v1, v2
	v_cmp_lt_u32_e64 s[2:3], s61, v1
	s_and_b64 s[10:11], s[2:3], exec
; %bb.48:
	s_or_b64 exec, exec, s[8:9]
	v_cndmask_b32_e64 v39, 0, 1, vcc
	v_cndmask_b32_e64 v38, 0, 1, s[10:11]
.LBB32_49:
	s_or_b64 exec, exec, s[4:5]
	v_add_u32_e32 v1, 4, v31
	v_cmp_gt_u32_e32 vcc, s18, v1
	v_mov_b32_e32 v40, 0
	v_mov_b32_e32 v41, 0
	s_and_saveexec_b64 s[4:5], vcc
	s_cbranch_execz .LBB32_53
; %bb.50:
	v_add_u32_e32 v1, s37, v14
	v_add_u32_e32 v2, s39, v14
	v_mul_lo_u32 v1, v1, s36
	v_mul_lo_u32 v2, v2, s38
	v_sub_u32_e32 v1, v1, v2
	v_cmp_lt_u32_e32 vcc, s40, v1
	v_cmp_ge_u32_e64 s[2:3], s40, v1
	s_mov_b64 s[10:11], 0
	s_and_saveexec_b64 s[8:9], s[2:3]
; %bb.51:
	v_add_u32_e32 v1, s42, v14
	v_add_u32_e32 v2, s60, v14
	v_mul_lo_u32 v1, v1, s41
	v_mul_lo_u32 v2, v2, s43
	v_sub_u32_e32 v1, v1, v2
	v_cmp_lt_u32_e64 s[2:3], s61, v1
	s_and_b64 s[10:11], s[2:3], exec
; %bb.52:
	s_or_b64 exec, exec, s[8:9]
	v_cndmask_b32_e64 v41, 0, 1, vcc
	v_cndmask_b32_e64 v40, 0, 1, s[10:11]
.LBB32_53:
	s_or_b64 exec, exec, s[4:5]
	v_add_u32_e32 v1, 5, v31
	v_cmp_gt_u32_e32 vcc, s18, v1
	v_mov_b32_e32 v42, 0
	v_mov_b32_e32 v43, 0
	s_and_saveexec_b64 s[4:5], vcc
	s_cbranch_execz .LBB32_57
; %bb.54:
	v_add_u32_e32 v1, s37, v15
	v_add_u32_e32 v2, s39, v15
	v_mul_lo_u32 v1, v1, s36
	v_mul_lo_u32 v2, v2, s38
	v_sub_u32_e32 v1, v1, v2
	v_cmp_lt_u32_e32 vcc, s40, v1
	v_cmp_ge_u32_e64 s[2:3], s40, v1
	s_mov_b64 s[10:11], 0
	s_and_saveexec_b64 s[8:9], s[2:3]
; %bb.55:
	v_add_u32_e32 v1, s42, v15
	v_add_u32_e32 v2, s60, v15
	v_mul_lo_u32 v1, v1, s41
	v_mul_lo_u32 v2, v2, s43
	v_sub_u32_e32 v1, v1, v2
	v_cmp_lt_u32_e64 s[2:3], s61, v1
	s_and_b64 s[10:11], s[2:3], exec
; %bb.56:
	s_or_b64 exec, exec, s[8:9]
	v_cndmask_b32_e64 v43, 0, 1, vcc
	v_cndmask_b32_e64 v42, 0, 1, s[10:11]
.LBB32_57:
	s_or_b64 exec, exec, s[4:5]
	v_add_u32_e32 v1, 6, v31
	v_cmp_gt_u32_e32 vcc, s18, v1
	v_mov_b32_e32 v44, 0
	v_mov_b32_e32 v45, 0
	s_and_saveexec_b64 s[4:5], vcc
	s_cbranch_execz .LBB32_61
; %bb.58:
	v_add_u32_e32 v1, s37, v12
	v_add_u32_e32 v2, s39, v12
	v_mul_lo_u32 v1, v1, s36
	v_mul_lo_u32 v2, v2, s38
	v_sub_u32_e32 v1, v1, v2
	v_cmp_lt_u32_e32 vcc, s40, v1
	v_cmp_ge_u32_e64 s[2:3], s40, v1
	s_mov_b64 s[10:11], 0
	s_and_saveexec_b64 s[8:9], s[2:3]
; %bb.59:
	v_add_u32_e32 v1, s42, v12
	v_add_u32_e32 v2, s60, v12
	v_mul_lo_u32 v1, v1, s41
	v_mul_lo_u32 v2, v2, s43
	v_sub_u32_e32 v1, v1, v2
	v_cmp_lt_u32_e64 s[2:3], s61, v1
	s_and_b64 s[10:11], s[2:3], exec
; %bb.60:
	s_or_b64 exec, exec, s[8:9]
	v_cndmask_b32_e64 v45, 0, 1, vcc
	v_cndmask_b32_e64 v44, 0, 1, s[10:11]
.LBB32_61:
	s_or_b64 exec, exec, s[4:5]
	v_add_u32_e32 v1, 7, v31
	v_cmp_gt_u32_e32 vcc, s18, v1
	v_mov_b32_e32 v46, 0
	v_mov_b32_e32 v47, 0
	s_and_saveexec_b64 s[4:5], vcc
	s_cbranch_execz .LBB32_65
; %bb.62:
	v_add_u32_e32 v1, s37, v13
	v_add_u32_e32 v2, s39, v13
	v_mul_lo_u32 v1, v1, s36
	v_mul_lo_u32 v2, v2, s38
	v_sub_u32_e32 v1, v1, v2
	v_cmp_lt_u32_e32 vcc, s40, v1
	v_cmp_ge_u32_e64 s[2:3], s40, v1
	s_mov_b64 s[10:11], 0
	s_and_saveexec_b64 s[8:9], s[2:3]
; %bb.63:
	v_add_u32_e32 v1, s42, v13
	v_add_u32_e32 v2, s60, v13
	v_mul_lo_u32 v1, v1, s41
	v_mul_lo_u32 v2, v2, s43
	v_sub_u32_e32 v1, v1, v2
	v_cmp_lt_u32_e64 s[2:3], s61, v1
	s_and_b64 s[10:11], s[2:3], exec
; %bb.64:
	s_or_b64 exec, exec, s[8:9]
	v_cndmask_b32_e64 v47, 0, 1, vcc
	v_cndmask_b32_e64 v46, 0, 1, s[10:11]
.LBB32_65:
	s_or_b64 exec, exec, s[4:5]
	v_add_u32_e32 v1, 8, v31
	v_cmp_gt_u32_e32 vcc, s18, v1
	v_mov_b32_e32 v48, 0
	v_mov_b32_e32 v49, 0
	s_and_saveexec_b64 s[4:5], vcc
	s_cbranch_execz .LBB32_69
; %bb.66:
	v_add_u32_e32 v1, s37, v10
	v_add_u32_e32 v2, s39, v10
	v_mul_lo_u32 v1, v1, s36
	v_mul_lo_u32 v2, v2, s38
	v_sub_u32_e32 v1, v1, v2
	v_cmp_lt_u32_e32 vcc, s40, v1
	v_cmp_ge_u32_e64 s[2:3], s40, v1
	s_mov_b64 s[10:11], 0
	s_and_saveexec_b64 s[8:9], s[2:3]
; %bb.67:
	v_add_u32_e32 v1, s42, v10
	v_add_u32_e32 v2, s60, v10
	v_mul_lo_u32 v1, v1, s41
	v_mul_lo_u32 v2, v2, s43
	v_sub_u32_e32 v1, v1, v2
	v_cmp_lt_u32_e64 s[2:3], s61, v1
	s_and_b64 s[10:11], s[2:3], exec
; %bb.68:
	s_or_b64 exec, exec, s[8:9]
	v_cndmask_b32_e64 v49, 0, 1, vcc
	v_cndmask_b32_e64 v48, 0, 1, s[10:11]
.LBB32_69:
	s_or_b64 exec, exec, s[4:5]
	v_add_u32_e32 v1, 9, v31
	v_cmp_gt_u32_e32 vcc, s18, v1
	v_mov_b32_e32 v50, 0
	v_mov_b32_e32 v51, 0
	s_and_saveexec_b64 s[4:5], vcc
	s_cbranch_execz .LBB32_73
; %bb.70:
	v_add_u32_e32 v1, s37, v11
	v_add_u32_e32 v2, s39, v11
	v_mul_lo_u32 v1, v1, s36
	v_mul_lo_u32 v2, v2, s38
	v_sub_u32_e32 v1, v1, v2
	v_cmp_lt_u32_e32 vcc, s40, v1
	v_cmp_ge_u32_e64 s[2:3], s40, v1
	s_mov_b64 s[10:11], 0
	s_and_saveexec_b64 s[8:9], s[2:3]
; %bb.71:
	v_add_u32_e32 v1, s42, v11
	v_add_u32_e32 v2, s60, v11
	v_mul_lo_u32 v1, v1, s41
	v_mul_lo_u32 v2, v2, s43
	v_sub_u32_e32 v1, v1, v2
	v_cmp_lt_u32_e64 s[2:3], s61, v1
	s_and_b64 s[10:11], s[2:3], exec
; %bb.72:
	s_or_b64 exec, exec, s[8:9]
	v_cndmask_b32_e64 v51, 0, 1, vcc
	v_cndmask_b32_e64 v50, 0, 1, s[10:11]
.LBB32_73:
	s_or_b64 exec, exec, s[4:5]
	v_add_u32_e32 v1, 10, v31
	v_cmp_gt_u32_e32 vcc, s18, v1
	v_mov_b32_e32 v52, 0
	v_mov_b32_e32 v53, 0
	s_and_saveexec_b64 s[4:5], vcc
	s_cbranch_execz .LBB32_77
; %bb.74:
	v_add_u32_e32 v1, s37, v8
	v_add_u32_e32 v2, s39, v8
	v_mul_lo_u32 v1, v1, s36
	v_mul_lo_u32 v2, v2, s38
	v_sub_u32_e32 v1, v1, v2
	v_cmp_lt_u32_e32 vcc, s40, v1
	v_cmp_ge_u32_e64 s[2:3], s40, v1
	s_mov_b64 s[10:11], 0
	s_and_saveexec_b64 s[8:9], s[2:3]
; %bb.75:
	v_add_u32_e32 v1, s42, v8
	v_add_u32_e32 v2, s60, v8
	v_mul_lo_u32 v1, v1, s41
	v_mul_lo_u32 v2, v2, s43
	v_sub_u32_e32 v1, v1, v2
	v_cmp_lt_u32_e64 s[2:3], s61, v1
	s_and_b64 s[10:11], s[2:3], exec
; %bb.76:
	s_or_b64 exec, exec, s[8:9]
	v_cndmask_b32_e64 v53, 0, 1, vcc
	v_cndmask_b32_e64 v52, 0, 1, s[10:11]
.LBB32_77:
	s_or_b64 exec, exec, s[4:5]
	v_add_u32_e32 v1, 11, v31
	v_cmp_gt_u32_e32 vcc, s18, v1
	v_mov_b32_e32 v54, 0
	v_mov_b32_e32 v55, 0
	s_and_saveexec_b64 s[4:5], vcc
	s_cbranch_execz .LBB32_81
; %bb.78:
	v_add_u32_e32 v1, s37, v9
	v_add_u32_e32 v2, s39, v9
	v_mul_lo_u32 v1, v1, s36
	v_mul_lo_u32 v2, v2, s38
	v_sub_u32_e32 v1, v1, v2
	v_cmp_lt_u32_e32 vcc, s40, v1
	v_cmp_ge_u32_e64 s[2:3], s40, v1
	s_mov_b64 s[10:11], 0
	s_and_saveexec_b64 s[8:9], s[2:3]
; %bb.79:
	v_add_u32_e32 v1, s42, v9
	v_add_u32_e32 v2, s60, v9
	v_mul_lo_u32 v1, v1, s41
	v_mul_lo_u32 v2, v2, s43
	v_sub_u32_e32 v1, v1, v2
	v_cmp_lt_u32_e64 s[2:3], s61, v1
	s_and_b64 s[10:11], s[2:3], exec
; %bb.80:
	s_or_b64 exec, exec, s[8:9]
	v_cndmask_b32_e64 v55, 0, 1, vcc
	v_cndmask_b32_e64 v54, 0, 1, s[10:11]
.LBB32_81:
	s_or_b64 exec, exec, s[4:5]
	v_add_u32_e32 v1, 12, v31
	v_cmp_gt_u32_e32 vcc, s18, v1
	s_mov_b64 s[46:47], 0
	s_mov_b64 s[58:59], 0
	s_and_saveexec_b64 s[2:3], vcc
	s_cbranch_execz .LBB32_85
; %bb.82:
	v_add_u32_e32 v1, s37, v30
	v_add_u32_e32 v2, s39, v30
	v_mul_lo_u32 v1, v1, s36
	v_mul_lo_u32 v2, v2, s38
	v_sub_u32_e32 v1, v1, v2
	v_cmp_ge_u32_e32 vcc, s40, v1
	s_mov_b64 s[8:9], -1
	s_mov_b64 s[10:11], 0
	s_and_saveexec_b64 s[4:5], vcc
; %bb.83:
	v_add_u32_e32 v1, s42, v30
	v_add_u32_e32 v2, s60, v30
	v_mul_lo_u32 v1, v1, s41
	v_mul_lo_u32 v2, v2, s43
	v_sub_u32_e32 v1, v1, v2
	v_cmp_lt_u32_e32 vcc, s61, v1
	s_and_b64 s[10:11], vcc, exec
	s_xor_b64 s[8:9], exec, -1
; %bb.84:
	s_or_b64 exec, exec, s[4:5]
	s_and_b64 s[58:59], s[10:11], exec
	s_and_b64 s[46:47], s[8:9], exec
.LBB32_85:
	s_or_b64 exec, exec, s[2:3]
.LBB32_86:
	v_and_b32_e32 v63, 0xff, v33
	v_and_b32_e32 v74, 0xff, v35
	v_and_b32_e32 v65, 0xff, v37
	v_and_b32_e32 v75, 0xff, v38
	v_and_b32_e32 v67, 0xff, v40
	v_add3_u32 v2, v74, v65, v63
	v_and_b32_e32 v76, 0xff, v42
	v_and_b32_e32 v69, 0xff, v44
	v_add3_u32 v2, v2, v75, v67
	v_and_b32_e32 v62, 0xff, v32
	v_and_b32_e32 v56, 0xff, v34
	v_and_b32_e32 v64, 0xff, v36
	v_and_b32_e32 v77, 0xff, v46
	v_and_b32_e32 v71, 0xff, v48
	v_add3_u32 v2, v2, v76, v69
	v_and_b32_e32 v57, 0xff, v39
	v_and_b32_e32 v66, 0xff, v41
	;; [unrolled: 1-line block ×4, first 2 shown]
	v_add3_u32 v3, v56, v64, v62
	v_add3_u32 v2, v2, v77, v71
	v_and_b32_e32 v58, 0xff, v43
	v_and_b32_e32 v68, 0xff, v45
	;; [unrolled: 1-line block ×3, first 2 shown]
	v_cndmask_b32_e64 v1, 0, 1, s[58:59]
	v_add3_u32 v3, v3, v57, v66
	v_add3_u32 v2, v2, v78, v73
	v_and_b32_e32 v59, 0xff, v47
	v_and_b32_e32 v70, 0xff, v49
	v_add3_u32 v3, v3, v58, v68
	v_add3_u32 v86, v2, v79, v1
	v_mbcnt_lo_u32_b32 v1, -1, 0
	v_and_b32_e32 v60, 0xff, v51
	v_and_b32_e32 v72, 0xff, v53
	v_add3_u32 v3, v3, v59, v70
	v_mbcnt_hi_u32_b32 v80, -1, v1
	v_and_b32_e32 v61, 0xff, v55
	v_add3_u32 v3, v3, v60, v72
	v_cndmask_b32_e64 v4, 0, 1, s[46:47]
	v_and_b32_e32 v84, 15, v80
	s_cmp_lg_u32 s6, 0
	v_add3_u32 v85, v3, v61, v4
	v_cmp_eq_u32_e64 s[4:5], 0, v84
	v_cmp_lt_u32_e64 s[2:3], 1, v84
	v_cmp_lt_u32_e64 s[8:9], 3, v84
	;; [unrolled: 1-line block ×3, first 2 shown]
	v_and_b32_e32 v83, 16, v80
	v_cmp_lt_u32_e32 vcc, 31, v80
	v_lshrrev_b32_e32 v81, 6, v0
	v_or_b32_e32 v82, 63, v0
	s_cbranch_scc0 .LBB32_119
; %bb.87:
	v_mov_b32_dpp v1, v85 row_shr:1 row_mask:0xf bank_mask:0xf
	v_mov_b32_dpp v2, v86 row_shr:1 row_mask:0xf bank_mask:0xf
	v_add_u32_e32 v1, v1, v85
	v_add_u32_e32 v2, v2, v86
	v_cndmask_b32_e64 v2, v2, v86, s[4:5]
	v_cndmask_b32_e64 v1, v1, v85, s[4:5]
	s_nop 0
	v_mov_b32_dpp v4, v2 row_shr:2 row_mask:0xf bank_mask:0xf
	v_mov_b32_dpp v3, v1 row_shr:2 row_mask:0xf bank_mask:0xf
	v_add_u32_e32 v3, v1, v3
	v_add_u32_e32 v4, v2, v4
	v_cndmask_b32_e64 v2, v2, v4, s[2:3]
	v_cndmask_b32_e64 v1, v1, v3, s[2:3]
	s_nop 0
	v_mov_b32_dpp v4, v2 row_shr:4 row_mask:0xf bank_mask:0xf
	v_mov_b32_dpp v3, v1 row_shr:4 row_mask:0xf bank_mask:0xf
	v_add_u32_e32 v3, v1, v3
	v_add_u32_e32 v4, v2, v4
	v_cndmask_b32_e64 v2, v2, v4, s[8:9]
	v_cndmask_b32_e64 v1, v1, v3, s[8:9]
	v_cmp_eq_u32_e64 s[8:9], 0, v83
	v_mov_b32_dpp v4, v2 row_shr:8 row_mask:0xf bank_mask:0xf
	v_mov_b32_dpp v3, v1 row_shr:8 row_mask:0xf bank_mask:0xf
	v_add_u32_e32 v3, v1, v3
	v_add_u32_e32 v4, v2, v4
	v_cndmask_b32_e64 v2, v2, v4, s[10:11]
	v_cndmask_b32_e64 v1, v1, v3, s[10:11]
	s_nop 0
	v_mov_b32_dpp v4, v2 row_bcast:15 row_mask:0xf bank_mask:0xf
	v_mov_b32_dpp v3, v1 row_bcast:15 row_mask:0xf bank_mask:0xf
	v_add_u32_e32 v3, v1, v3
	v_add_u32_e32 v4, v2, v4
	v_cndmask_b32_e64 v2, v4, v2, s[8:9]
	v_cndmask_b32_e64 v1, v3, v1, s[8:9]
	s_nop 0
	v_mov_b32_dpp v4, v2 row_bcast:31 row_mask:0xf bank_mask:0xf
	v_mov_b32_dpp v3, v1 row_bcast:31 row_mask:0xf bank_mask:0xf
	v_add_u32_e32 v4, v2, v4
	v_add_u32_e32 v5, v1, v3
	v_cndmask_b32_e32 v3, v2, v4, vcc
	v_cndmask_b32_e32 v2, v1, v5, vcc
	v_cmp_eq_u32_e32 vcc, v82, v0
	s_and_saveexec_b64 s[8:9], vcc
	s_cbranch_execz .LBB32_89
; %bb.88:
	v_lshlrev_b32_e32 v1, 3, v81
	ds_write_b64 v1, v[2:3]
.LBB32_89:
	s_or_b64 exec, exec, s[8:9]
	v_cmp_gt_u32_e32 vcc, 4, v0
	s_waitcnt lgkmcnt(0)
	s_barrier
	s_and_saveexec_b64 s[8:9], vcc
	s_cbranch_execz .LBB32_91
; %bb.90:
	v_lshlrev_b32_e32 v1, 3, v0
	ds_read_b64 v[4:5], v1
	v_and_b32_e32 v6, 3, v80
	v_cmp_eq_u32_e32 vcc, 0, v6
	s_waitcnt lgkmcnt(0)
	v_mov_b32_dpp v7, v4 row_shr:1 row_mask:0xf bank_mask:0xf
	v_mov_b32_dpp v20, v5 row_shr:1 row_mask:0xf bank_mask:0xf
	v_add_u32_e32 v7, v7, v4
	v_add_u32_e32 v20, v20, v5
	v_cndmask_b32_e32 v5, v20, v5, vcc
	v_cndmask_b32_e32 v4, v7, v4, vcc
	v_cmp_lt_u32_e32 vcc, 1, v6
	v_mov_b32_dpp v20, v5 row_shr:2 row_mask:0xf bank_mask:0xf
	v_mov_b32_dpp v7, v4 row_shr:2 row_mask:0xf bank_mask:0xf
	v_cndmask_b32_e32 v6, 0, v7, vcc
	v_cndmask_b32_e32 v7, 0, v20, vcc
	v_add_u32_e32 v5, v7, v5
	v_add_u32_e32 v4, v6, v4
	ds_write_b64 v1, v[4:5]
.LBB32_91:
	s_or_b64 exec, exec, s[8:9]
	v_cmp_gt_u32_e32 vcc, 64, v0
	v_cmp_lt_u32_e64 s[8:9], 63, v0
	s_waitcnt lgkmcnt(0)
	s_barrier
	s_waitcnt lgkmcnt(0)
                                        ; implicit-def: $vgpr21
	s_and_saveexec_b64 s[10:11], s[8:9]
	s_xor_b64 s[8:9], exec, s[10:11]
	s_cbranch_execz .LBB32_93
; %bb.92:
	v_lshl_add_u32 v1, v81, 3, -8
	ds_read_b64 v[20:21], v1
	s_waitcnt lgkmcnt(0)
	v_add_u32_e32 v3, v21, v3
	v_add_u32_e32 v2, v20, v2
.LBB32_93:
	s_andn2_saveexec_b64 s[8:9], s[8:9]
; %bb.94:
                                        ; implicit-def: $vgpr20
; %bb.95:
	s_or_b64 exec, exec, s[8:9]
	v_add_u32_e32 v1, -1, v80
	v_and_b32_e32 v4, 64, v80
	v_cmp_lt_i32_e64 s[8:9], v1, v4
	v_cndmask_b32_e64 v1, v1, v80, s[8:9]
	v_lshlrev_b32_e32 v4, 2, v1
	ds_bpermute_b32 v1, v4, v2
	ds_bpermute_b32 v87, v4, v3
	v_cmp_eq_u32_e64 s[8:9], 0, v80
	s_and_saveexec_b64 s[10:11], vcc
	s_cbranch_execz .LBB32_118
; %bb.96:
	v_mov_b32_e32 v7, 0
	ds_read_b64 v[22:23], v7 offset:24
	s_and_saveexec_b64 s[14:15], s[8:9]
	s_cbranch_execz .LBB32_98
; %bb.97:
	s_add_i32 s16, s6, 64
	s_mov_b32 s17, 0
	s_lshl_b64 s[16:17], s[16:17], 4
	s_waitcnt lgkmcnt(0)
	v_and_b32_e32 v2, 0xff000000, v23
	v_and_b32_e32 v3, 0xff0000, v23
	s_add_u32 s16, s12, s16
	v_or_b32_e32 v2, v3, v2
	v_and_b32_e32 v3, 0xff00, v23
	s_addc_u32 s17, s13, s17
	v_or_b32_e32 v2, v2, v3
	v_or_b32_sdwa v5, v2, v23 dst_sel:DWORD dst_unused:UNUSED_PAD src0_sel:DWORD src1_sel:BYTE_0
	v_mov_b32_e32 v6, 1
	v_mov_b32_e32 v4, v22
	v_pk_mov_b32 v[2:3], s[16:17], s[16:17] op_sel:[0,1]
	;;#ASMSTART
	global_store_dwordx4 v[2:3], v[4:7] off	
s_waitcnt vmcnt(0)
	;;#ASMEND
.LBB32_98:
	s_or_b64 exec, exec, s[14:15]
	v_xad_u32 v24, v80, -1, s6
	v_add_u32_e32 v6, 64, v24
	v_lshlrev_b64 v[2:3], 4, v[6:7]
	v_mov_b32_e32 v4, s13
	v_add_co_u32_e32 v26, vcc, s12, v2
	v_addc_co_u32_e32 v27, vcc, v4, v3, vcc
	;;#ASMSTART
	global_load_dwordx4 v[2:5], v[26:27] off glc	
s_waitcnt vmcnt(0)
	;;#ASMEND
	v_and_b32_e32 v5, 0xff, v3
	v_and_b32_e32 v6, 0xff00, v3
	v_or3_b32 v5, 0, v5, v6
	v_or3_b32 v2, v2, 0, 0
	v_and_b32_e32 v6, 0xff000000, v3
	v_and_b32_e32 v3, 0xff0000, v3
	v_or3_b32 v3, v5, v3, v6
	v_or3_b32 v2, v2, 0, 0
	v_cmp_eq_u16_sdwa s[16:17], v4, v7 src0_sel:BYTE_0 src1_sel:DWORD
	s_and_saveexec_b64 s[14:15], s[16:17]
	s_cbranch_execz .LBB32_104
; %bb.99:
	s_mov_b32 s7, 1
	s_mov_b64 s[16:17], 0
	v_mov_b32_e32 v6, 0
.LBB32_100:                             ; =>This Loop Header: Depth=1
                                        ;     Child Loop BB32_101 Depth 2
	s_max_u32 s19, s7, 1
.LBB32_101:                             ;   Parent Loop BB32_100 Depth=1
                                        ; =>  This Inner Loop Header: Depth=2
	s_add_i32 s19, s19, -1
	s_cmp_eq_u32 s19, 0
	s_sleep 1
	s_cbranch_scc0 .LBB32_101
; %bb.102:                              ;   in Loop: Header=BB32_100 Depth=1
	s_cmp_lt_u32 s7, 32
	s_cselect_b64 s[20:21], -1, 0
	s_cmp_lg_u64 s[20:21], 0
	s_addc_u32 s7, s7, 0
	;;#ASMSTART
	global_load_dwordx4 v[2:5], v[26:27] off glc	
s_waitcnt vmcnt(0)
	;;#ASMEND
	v_cmp_ne_u16_sdwa s[20:21], v4, v6 src0_sel:BYTE_0 src1_sel:DWORD
	s_or_b64 s[16:17], s[20:21], s[16:17]
	s_andn2_b64 exec, exec, s[16:17]
	s_cbranch_execnz .LBB32_100
; %bb.103:
	s_or_b64 exec, exec, s[16:17]
.LBB32_104:
	s_or_b64 exec, exec, s[14:15]
	v_and_b32_e32 v89, 63, v80
	v_cmp_ne_u32_e32 vcc, 63, v89
	v_mov_b32_e32 v88, 2
	v_addc_co_u32_e32 v26, vcc, 0, v80, vcc
	v_cmp_eq_u16_sdwa s[14:15], v4, v88 src0_sel:BYTE_0 src1_sel:DWORD
	v_lshlrev_b64 v[6:7], v80, -1
	v_lshlrev_b32_e32 v90, 2, v26
	v_and_b32_e32 v5, s15, v7
	ds_bpermute_b32 v26, v90, v2
	ds_bpermute_b32 v27, v90, v3
	v_or_b32_e32 v5, 0x80000000, v5
	v_and_b32_e32 v25, s14, v6
	v_ffbl_b32_e32 v5, v5
	v_add_u32_e32 v5, 32, v5
	v_ffbl_b32_e32 v25, v25
	v_min_u32_e32 v5, v25, v5
	s_waitcnt lgkmcnt(1)
	v_add_u32_e32 v25, v26, v2
	s_waitcnt lgkmcnt(0)
	v_add_u32_e32 v26, v27, v3
	v_cmp_lt_u32_e32 vcc, v89, v5
	v_cndmask_b32_e32 v3, v3, v26, vcc
	v_cndmask_b32_e32 v2, v2, v25, vcc
	v_cmp_gt_u32_e32 vcc, 62, v89
	v_cndmask_b32_e64 v25, 0, 1, vcc
	v_lshlrev_b32_e32 v25, 1, v25
	v_add_lshl_u32 v91, v25, v80, 2
	ds_bpermute_b32 v25, v91, v2
	ds_bpermute_b32 v26, v91, v3
	v_add_u32_e32 v92, 2, v89
	v_cmp_gt_u32_e32 vcc, v92, v5
	v_add_u32_e32 v94, 4, v89
	s_waitcnt lgkmcnt(1)
	v_add_u32_e32 v25, v2, v25
	s_waitcnt lgkmcnt(0)
	v_add_u32_e32 v26, v3, v26
	v_cndmask_b32_e32 v3, v26, v3, vcc
	v_cndmask_b32_e32 v2, v25, v2, vcc
	v_cmp_gt_u32_e32 vcc, 60, v89
	v_cndmask_b32_e64 v25, 0, 1, vcc
	v_lshlrev_b32_e32 v25, 2, v25
	v_add_lshl_u32 v93, v25, v80, 2
	ds_bpermute_b32 v25, v93, v2
	ds_bpermute_b32 v26, v93, v3
	v_cmp_gt_u32_e32 vcc, v94, v5
	v_add_u32_e32 v96, 8, v89
	v_add_u32_e32 v98, 16, v89
	s_waitcnt lgkmcnt(1)
	v_add_u32_e32 v25, v2, v25
	s_waitcnt lgkmcnt(0)
	v_add_u32_e32 v26, v3, v26
	v_cndmask_b32_e32 v3, v26, v3, vcc
	v_cndmask_b32_e32 v2, v25, v2, vcc
	v_cmp_gt_u32_e32 vcc, 56, v89
	v_cndmask_b32_e64 v25, 0, 1, vcc
	v_lshlrev_b32_e32 v25, 3, v25
	v_add_lshl_u32 v95, v25, v80, 2
	ds_bpermute_b32 v25, v95, v2
	ds_bpermute_b32 v26, v95, v3
	v_cmp_gt_u32_e32 vcc, v96, v5
	v_add_u32_e32 v100, 32, v89
	s_waitcnt lgkmcnt(1)
	v_add_u32_e32 v25, v2, v25
	s_waitcnt lgkmcnt(0)
	v_add_u32_e32 v26, v3, v26
	v_cndmask_b32_e32 v3, v26, v3, vcc
	v_cndmask_b32_e32 v2, v25, v2, vcc
	v_cmp_gt_u32_e32 vcc, 48, v89
	v_cndmask_b32_e64 v25, 0, 1, vcc
	v_lshlrev_b32_e32 v25, 4, v25
	v_add_lshl_u32 v97, v25, v80, 2
	ds_bpermute_b32 v25, v97, v2
	ds_bpermute_b32 v26, v97, v3
	v_cmp_gt_u32_e32 vcc, v98, v5
	s_waitcnt lgkmcnt(1)
	v_add_u32_e32 v25, v2, v25
	s_waitcnt lgkmcnt(0)
	v_add_u32_e32 v26, v3, v26
	v_cndmask_b32_e32 v3, v26, v3, vcc
	v_cndmask_b32_e32 v2, v25, v2, vcc
	v_cmp_gt_u32_e32 vcc, 32, v89
	v_cndmask_b32_e64 v25, 0, 1, vcc
	v_lshlrev_b32_e32 v25, 5, v25
	v_add_lshl_u32 v99, v25, v80, 2
	ds_bpermute_b32 v25, v99, v2
	ds_bpermute_b32 v26, v99, v3
	v_cmp_le_u32_e32 vcc, v100, v5
	s_waitcnt lgkmcnt(1)
	v_cndmask_b32_e32 v5, 0, v25, vcc
	s_waitcnt lgkmcnt(0)
	v_cndmask_b32_e32 v25, 0, v26, vcc
	v_add_u32_e32 v3, v3, v25
	v_add_u32_e32 v2, v2, v5
	v_mov_b32_e32 v25, 0
	s_branch .LBB32_106
.LBB32_105:                             ;   in Loop: Header=BB32_106 Depth=1
	s_or_b64 exec, exec, s[14:15]
	v_cmp_eq_u16_sdwa s[14:15], v4, v88 src0_sel:BYTE_0 src1_sel:DWORD
	v_and_b32_e32 v5, s15, v7
	ds_bpermute_b32 v29, v90, v2
	ds_bpermute_b32 v101, v90, v3
	v_or_b32_e32 v5, 0x80000000, v5
	v_and_b32_e32 v28, s14, v6
	v_ffbl_b32_e32 v5, v5
	v_add_u32_e32 v5, 32, v5
	v_ffbl_b32_e32 v28, v28
	v_min_u32_e32 v5, v28, v5
	s_waitcnt lgkmcnt(1)
	v_add_u32_e32 v28, v29, v2
	s_waitcnt lgkmcnt(0)
	v_add_u32_e32 v29, v101, v3
	v_cmp_lt_u32_e32 vcc, v89, v5
	v_cndmask_b32_e32 v3, v3, v29, vcc
	v_cndmask_b32_e32 v2, v2, v28, vcc
	ds_bpermute_b32 v28, v91, v2
	ds_bpermute_b32 v29, v91, v3
	v_cmp_gt_u32_e32 vcc, v92, v5
	v_subrev_u32_e32 v24, 64, v24
	s_waitcnt lgkmcnt(1)
	v_add_u32_e32 v28, v2, v28
	s_waitcnt lgkmcnt(0)
	v_add_u32_e32 v29, v3, v29
	v_cndmask_b32_e32 v3, v29, v3, vcc
	v_cndmask_b32_e32 v2, v28, v2, vcc
	ds_bpermute_b32 v28, v93, v2
	ds_bpermute_b32 v29, v93, v3
	v_cmp_gt_u32_e32 vcc, v94, v5
	s_waitcnt lgkmcnt(1)
	v_add_u32_e32 v28, v2, v28
	s_waitcnt lgkmcnt(0)
	v_add_u32_e32 v29, v3, v29
	v_cndmask_b32_e32 v3, v29, v3, vcc
	v_cndmask_b32_e32 v2, v28, v2, vcc
	ds_bpermute_b32 v28, v95, v2
	ds_bpermute_b32 v29, v95, v3
	v_cmp_gt_u32_e32 vcc, v96, v5
	;; [unrolled: 9-line block ×3, first 2 shown]
	s_waitcnt lgkmcnt(1)
	v_add_u32_e32 v28, v2, v28
	s_waitcnt lgkmcnt(0)
	v_add_u32_e32 v29, v3, v29
	v_cndmask_b32_e32 v3, v29, v3, vcc
	v_cndmask_b32_e32 v2, v28, v2, vcc
	ds_bpermute_b32 v28, v99, v2
	ds_bpermute_b32 v29, v99, v3
	v_cmp_le_u32_e32 vcc, v100, v5
	s_waitcnt lgkmcnt(1)
	v_cndmask_b32_e32 v5, 0, v28, vcc
	s_waitcnt lgkmcnt(0)
	v_cndmask_b32_e32 v28, 0, v29, vcc
	v_add3_u32 v3, v28, v27, v3
	v_add3_u32 v2, v5, v26, v2
.LBB32_106:                             ; =>This Loop Header: Depth=1
                                        ;     Child Loop BB32_109 Depth 2
                                        ;       Child Loop BB32_110 Depth 3
	v_cmp_ne_u16_sdwa s[14:15], v4, v88 src0_sel:BYTE_0 src1_sel:DWORD
	v_cndmask_b32_e64 v4, 0, 1, s[14:15]
	;;#ASMSTART
	;;#ASMEND
	v_cmp_ne_u32_e32 vcc, 0, v4
	s_cmp_lg_u64 vcc, exec
	v_pk_mov_b32 v[26:27], v[2:3], v[2:3] op_sel:[0,1]
	s_cbranch_scc1 .LBB32_113
; %bb.107:                              ;   in Loop: Header=BB32_106 Depth=1
	v_lshlrev_b64 v[2:3], 4, v[24:25]
	v_mov_b32_e32 v4, s13
	v_add_co_u32_e32 v28, vcc, s12, v2
	v_addc_co_u32_e32 v29, vcc, v4, v3, vcc
	;;#ASMSTART
	global_load_dwordx4 v[2:5], v[28:29] off glc	
s_waitcnt vmcnt(0)
	;;#ASMEND
	v_and_b32_e32 v5, 0xff, v3
	v_and_b32_e32 v101, 0xff00, v3
	v_or3_b32 v5, 0, v5, v101
	v_or3_b32 v2, v2, 0, 0
	v_and_b32_e32 v101, 0xff000000, v3
	v_and_b32_e32 v3, 0xff0000, v3
	v_or3_b32 v3, v5, v3, v101
	v_or3_b32 v2, v2, 0, 0
	v_cmp_eq_u16_sdwa s[16:17], v4, v25 src0_sel:BYTE_0 src1_sel:DWORD
	s_and_saveexec_b64 s[14:15], s[16:17]
	s_cbranch_execz .LBB32_105
; %bb.108:                              ;   in Loop: Header=BB32_106 Depth=1
	s_mov_b32 s7, 1
	s_mov_b64 s[16:17], 0
.LBB32_109:                             ;   Parent Loop BB32_106 Depth=1
                                        ; =>  This Loop Header: Depth=2
                                        ;       Child Loop BB32_110 Depth 3
	s_max_u32 s19, s7, 1
.LBB32_110:                             ;   Parent Loop BB32_106 Depth=1
                                        ;     Parent Loop BB32_109 Depth=2
                                        ; =>    This Inner Loop Header: Depth=3
	s_add_i32 s19, s19, -1
	s_cmp_eq_u32 s19, 0
	s_sleep 1
	s_cbranch_scc0 .LBB32_110
; %bb.111:                              ;   in Loop: Header=BB32_109 Depth=2
	s_cmp_lt_u32 s7, 32
	s_cselect_b64 s[20:21], -1, 0
	s_cmp_lg_u64 s[20:21], 0
	s_addc_u32 s7, s7, 0
	;;#ASMSTART
	global_load_dwordx4 v[2:5], v[28:29] off glc	
s_waitcnt vmcnt(0)
	;;#ASMEND
	v_cmp_ne_u16_sdwa s[20:21], v4, v25 src0_sel:BYTE_0 src1_sel:DWORD
	s_or_b64 s[16:17], s[20:21], s[16:17]
	s_andn2_b64 exec, exec, s[16:17]
	s_cbranch_execnz .LBB32_109
; %bb.112:                              ;   in Loop: Header=BB32_106 Depth=1
	s_or_b64 exec, exec, s[16:17]
	s_branch .LBB32_105
.LBB32_113:                             ;   in Loop: Header=BB32_106 Depth=1
                                        ; implicit-def: $vgpr4
                                        ; implicit-def: $vgpr2_vgpr3
	s_cbranch_execz .LBB32_106
; %bb.114:
	s_and_saveexec_b64 s[14:15], s[8:9]
	s_cbranch_execz .LBB32_116
; %bb.115:
	s_add_i32 s6, s6, 64
	s_mov_b32 s7, 0
	v_add_u32_e32 v3, v27, v23
	s_lshl_b64 s[6:7], s[6:7], 4
	s_add_u32 s6, s12, s6
	v_and_b32_e32 v4, 0xff000000, v3
	v_and_b32_e32 v6, 0xff0000, v3
	s_addc_u32 s7, s13, s7
	v_or_b32_e32 v4, v6, v4
	v_and_b32_e32 v6, 0xff00, v3
	v_and_b32_e32 v3, 0xff, v3
	v_add_u32_e32 v2, v26, v22
	v_mov_b32_e32 v5, 0
	v_or3_b32 v3, v4, v6, v3
	v_mov_b32_e32 v4, 2
	v_pk_mov_b32 v[6:7], s[6:7], s[6:7] op_sel:[0,1]
	;;#ASMSTART
	global_store_dwordx4 v[6:7], v[2:5] off	
s_waitcnt vmcnt(0)
	;;#ASMEND
	s_movk_i32 s6, 0x3400
	v_add_u32_e64 v2, s6, 0
	ds_write2_b32 v2, v22, v23 offset1:2
	ds_write2_b32 v2, v26, v27 offset0:4 offset1:6
.LBB32_116:
	s_or_b64 exec, exec, s[14:15]
	v_cmp_eq_u32_e32 vcc, 0, v0
	s_and_b64 exec, exec, vcc
	s_cbranch_execz .LBB32_118
; %bb.117:
	v_mov_b32_e32 v2, 0
	ds_write_b64 v2, v[26:27] offset:24
.LBB32_118:
	s_or_b64 exec, exec, s[10:11]
	v_mov_b32_e32 v2, 0
	s_waitcnt lgkmcnt(0)
	s_barrier
	ds_read_b64 v[6:7], v2 offset:24
	s_movk_i32 s6, 0x3400
	v_cndmask_b32_e64 v2, v87, v21, s[8:9]
	v_cndmask_b32_e64 v1, v1, v20, s[8:9]
	v_add_u32_e64 v4, s6, 0
	s_waitcnt lgkmcnt(0)
	v_add_u32_e32 v20, v6, v1
	v_add_u32_e32 v1, v7, v2
	s_barrier
	ds_read2_b32 v[2:3], v4 offset1:2
	ds_read2_b32 v[4:5], v4 offset0:4 offset1:6
	v_cmp_eq_u32_e32 vcc, 0, v0
	v_cndmask_b32_e32 v1, v1, v7, vcc
	v_cndmask_b32_e32 v20, v20, v6, vcc
	s_branch .LBB32_129
.LBB32_119:
                                        ; implicit-def: $vgpr1
                                        ; implicit-def: $vgpr4
                                        ; implicit-def: $vgpr2
                                        ; implicit-def: $vgpr20_vgpr21
	s_cbranch_execz .LBB32_129
; %bb.120:
	s_nop 0
	v_mov_b32_dpp v1, v85 row_shr:1 row_mask:0xf bank_mask:0xf
	s_waitcnt lgkmcnt(0)
	v_mov_b32_dpp v2, v86 row_shr:1 row_mask:0xf bank_mask:0xf
	v_add_u32_e32 v1, v1, v85
	v_add_u32_e32 v2, v2, v86
	v_cndmask_b32_e64 v2, v2, v86, s[4:5]
	v_cndmask_b32_e64 v1, v1, v85, s[4:5]
	v_cmp_lt_u32_e32 vcc, 3, v84
	v_mov_b32_dpp v4, v2 row_shr:2 row_mask:0xf bank_mask:0xf
	v_mov_b32_dpp v3, v1 row_shr:2 row_mask:0xf bank_mask:0xf
	v_add_u32_e32 v3, v1, v3
	v_add_u32_e32 v4, v2, v4
	v_cndmask_b32_e64 v2, v2, v4, s[2:3]
	v_cndmask_b32_e64 v1, v1, v3, s[2:3]
	s_nop 0
	v_mov_b32_dpp v4, v2 row_shr:4 row_mask:0xf bank_mask:0xf
	v_mov_b32_dpp v3, v1 row_shr:4 row_mask:0xf bank_mask:0xf
	v_add_u32_e32 v3, v1, v3
	v_add_u32_e32 v4, v2, v4
	v_cndmask_b32_e32 v2, v2, v4, vcc
	v_cndmask_b32_e32 v1, v1, v3, vcc
	v_cmp_lt_u32_e32 vcc, 7, v84
	v_mov_b32_dpp v4, v2 row_shr:8 row_mask:0xf bank_mask:0xf
	v_mov_b32_dpp v3, v1 row_shr:8 row_mask:0xf bank_mask:0xf
	v_add_u32_e32 v3, v1, v3
	v_add_u32_e32 v4, v2, v4
	v_cndmask_b32_e32 v2, v2, v4, vcc
	v_cndmask_b32_e32 v1, v1, v3, vcc
	v_cmp_eq_u32_e32 vcc, 0, v83
	v_mov_b32_dpp v4, v2 row_bcast:15 row_mask:0xf bank_mask:0xf
	v_mov_b32_dpp v3, v1 row_bcast:15 row_mask:0xf bank_mask:0xf
	v_add_u32_e32 v3, v1, v3
	v_add_u32_e32 v4, v2, v4
	v_cndmask_b32_e32 v2, v4, v2, vcc
	v_cndmask_b32_e32 v1, v3, v1, vcc
	v_cmp_lt_u32_e32 vcc, 31, v80
	v_mov_b32_dpp v4, v2 row_bcast:31 row_mask:0xf bank_mask:0xf
	v_mov_b32_dpp v3, v1 row_bcast:31 row_mask:0xf bank_mask:0xf
	v_add_u32_e32 v4, v2, v4
	v_add_u32_e32 v5, v1, v3
	v_cndmask_b32_e32 v3, v2, v4, vcc
	v_cndmask_b32_e32 v2, v1, v5, vcc
	v_cmp_eq_u32_e32 vcc, v82, v0
	s_and_saveexec_b64 s[2:3], vcc
	s_cbranch_execz .LBB32_122
; %bb.121:
	v_lshlrev_b32_e32 v1, 3, v81
	ds_write_b64 v1, v[2:3]
.LBB32_122:
	s_or_b64 exec, exec, s[2:3]
	v_cmp_gt_u32_e32 vcc, 4, v0
	s_waitcnt lgkmcnt(0)
	s_barrier
	s_and_saveexec_b64 s[2:3], vcc
	s_cbranch_execz .LBB32_124
; %bb.123:
	v_lshlrev_b32_e32 v1, 3, v0
	ds_read_b64 v[4:5], v1
	v_and_b32_e32 v6, 3, v80
	v_cmp_eq_u32_e32 vcc, 0, v6
	s_waitcnt lgkmcnt(0)
	v_mov_b32_dpp v7, v4 row_shr:1 row_mask:0xf bank_mask:0xf
	v_mov_b32_dpp v20, v5 row_shr:1 row_mask:0xf bank_mask:0xf
	v_add_u32_e32 v7, v7, v4
	v_add_u32_e32 v20, v20, v5
	v_cndmask_b32_e32 v5, v20, v5, vcc
	v_cndmask_b32_e32 v4, v7, v4, vcc
	v_cmp_lt_u32_e32 vcc, 1, v6
	v_mov_b32_dpp v20, v5 row_shr:2 row_mask:0xf bank_mask:0xf
	v_mov_b32_dpp v7, v4 row_shr:2 row_mask:0xf bank_mask:0xf
	v_cndmask_b32_e32 v6, 0, v7, vcc
	v_cndmask_b32_e32 v7, 0, v20, vcc
	v_add_u32_e32 v5, v7, v5
	v_add_u32_e32 v4, v6, v4
	ds_write_b64 v1, v[4:5]
.LBB32_124:
	s_or_b64 exec, exec, s[2:3]
	v_cmp_lt_u32_e32 vcc, 63, v0
	v_mov_b32_e32 v4, 0
	v_mov_b32_e32 v6, 0
	;; [unrolled: 1-line block ×3, first 2 shown]
	s_waitcnt lgkmcnt(0)
	s_barrier
	s_and_saveexec_b64 s[2:3], vcc
	s_cbranch_execz .LBB32_126
; %bb.125:
	v_lshl_add_u32 v1, v81, 3, -8
	ds_read_b64 v[6:7], v1
.LBB32_126:
	s_or_b64 exec, exec, s[2:3]
	s_waitcnt lgkmcnt(0)
	v_add_u32_e32 v5, v7, v3
	v_add_u32_e32 v1, v6, v2
	v_add_u32_e32 v2, -1, v80
	v_and_b32_e32 v3, 64, v80
	v_cmp_lt_i32_e32 vcc, v2, v3
	v_cndmask_b32_e32 v2, v2, v80, vcc
	v_lshlrev_b32_e32 v20, 2, v2
	ds_read_b64 v[2:3], v4 offset:24
	ds_bpermute_b32 v1, v20, v1
	ds_bpermute_b32 v20, v20, v5
	v_cmp_eq_u32_e32 vcc, 0, v0
	s_waitcnt lgkmcnt(2)
	v_readfirstlane_b32 s4, v3
	s_and_saveexec_b64 s[2:3], vcc
	s_cbranch_execz .LBB32_128
; %bb.127:
	s_add_u32 s6, s12, 0x400
	s_mov_b32 s8, 0
	s_addc_u32 s7, s13, 0
	s_and_b32 s9, s4, 0xff000000
	s_and_b32 s11, s4, 0xff0000
	s_mov_b32 s10, s8
	s_or_b64 s[10:11], s[10:11], s[8:9]
	s_and_b32 s9, s4, 0xff00
	s_or_b64 s[10:11], s[10:11], s[8:9]
	s_and_b32 s9, s4, 0xff
	s_or_b64 s[8:9], s[10:11], s[8:9]
	v_mov_b32_e32 v3, s9
	v_mov_b32_e32 v4, 2
	;; [unrolled: 1-line block ×3, first 2 shown]
	v_pk_mov_b32 v[22:23], s[6:7], s[6:7] op_sel:[0,1]
	;;#ASMSTART
	global_store_dwordx4 v[22:23], v[2:5] off	
s_waitcnt vmcnt(0)
	;;#ASMEND
.LBB32_128:
	s_or_b64 exec, exec, s[2:3]
	v_cmp_eq_u32_e64 s[2:3], 0, v80
	s_waitcnt lgkmcnt(1)
	v_cndmask_b32_e64 v3, v1, v6, s[2:3]
	s_waitcnt lgkmcnt(0)
	v_cndmask_b32_e64 v1, v20, v7, s[2:3]
	v_mov_b32_e32 v4, 0
	v_cndmask_b32_e64 v1, v1, 0, vcc
	v_cndmask_b32_e64 v20, v3, 0, vcc
	s_barrier
	v_mov_b32_e32 v3, s4
	v_mov_b32_e32 v5, 0
.LBB32_129:
	v_add_u32_e32 v24, v1, v63
	v_add_u32_e32 v25, v24, v74
	;; [unrolled: 1-line block ×14, first 2 shown]
	v_mov_b32_e32 v7, s49
	s_waitcnt lgkmcnt(0)
	v_add_co_u32_e32 v6, vcc, s48, v4
	v_add_u32_e32 v64, v58, v68
	v_add_u32_e32 v68, v66, v71
	v_addc_co_u32_e32 v7, vcc, 0, v7, vcc
	v_add_u32_e32 v69, v68, v78
	v_mov_b32_e32 v22, s51
	v_sub_co_u32_e32 v23, vcc, s50, v2
	v_add_u32_e32 v71, v69, v73
	v_subbrev_co_u32_e32 v73, vcc, 0, v22, vcc
	v_add_co_u32_e32 v22, vcc, v23, v5
	v_addc_co_u32_e32 v23, vcc, 0, v73, vcc
	v_lshlrev_b32_e32 v73, 1, v2
	v_sub_u32_e32 v1, v1, v5
	v_add_u32_e32 v74, v73, v3
	v_sub_u32_e32 v20, v20, v4
	v_add_u32_e32 v1, v1, v2
	v_add_u32_e32 v31, v74, v31
	v_and_b32_e32 v33, 1, v33
	v_add_u32_e32 v74, v20, v1
	v_and_b32_e32 v32, 1, v32
	v_sub_u32_e32 v74, v31, v74
	v_cmp_eq_u32_e32 vcc, 1, v33
	v_cndmask_b32_e32 v1, v74, v1, vcc
	v_cmp_eq_u32_e32 vcc, 1, v32
	v_cndmask_b32_e32 v1, v1, v20, vcc
	v_lshlrev_b32_e32 v1, 2, v1
	v_sub_u32_e32 v20, v24, v5
	ds_write_b32 v1, v18
	v_sub_u32_e32 v1, v21, v4
	v_add_u32_e32 v20, v20, v2
	v_add_u32_e32 v24, v20, v1
	v_and_b32_e32 v21, 1, v35
	v_sub_u32_e32 v24, v31, v24
	v_and_b32_e32 v18, 1, v34
	v_add_u32_e32 v24, 1, v24
	v_cmp_eq_u32_e32 vcc, 1, v21
	v_cndmask_b32_e32 v20, v24, v20, vcc
	v_cmp_eq_u32_e32 vcc, 1, v18
	v_cndmask_b32_e32 v1, v20, v1, vcc
	v_lshlrev_b32_e32 v1, 2, v1
	ds_write_b32 v1, v19
	v_sub_u32_e32 v19, v25, v5
	v_sub_u32_e32 v1, v26, v4
	v_add_u32_e32 v19, v19, v2
	v_add_u32_e32 v21, v19, v1
	v_and_b32_e32 v20, 1, v37
	v_sub_u32_e32 v21, v31, v21
	v_and_b32_e32 v18, 1, v36
	v_add_u32_e32 v21, 2, v21
	v_cmp_eq_u32_e32 vcc, 1, v20
	v_cndmask_b32_e32 v19, v21, v19, vcc
	v_cmp_eq_u32_e32 vcc, 1, v18
	v_cndmask_b32_e32 v1, v19, v1, vcc
	v_lshlrev_b32_e32 v1, 2, v1
	v_sub_u32_e32 v18, v28, v5
	ds_write_b32 v1, v16
	v_sub_u32_e32 v1, v27, v4
	v_add_u32_e32 v18, v18, v2
	v_add_u32_e32 v20, v1, v18
	v_and_b32_e32 v19, 1, v38
	v_sub_u32_e32 v20, v31, v20
	v_and_b32_e32 v16, 1, v39
	v_add_u32_e32 v20, 3, v20
	v_cmp_eq_u32_e32 vcc, 1, v19
	v_cndmask_b32_e32 v18, v20, v18, vcc
	v_cmp_eq_u32_e32 vcc, 1, v16
	v_cndmask_b32_e32 v1, v18, v1, vcc
	v_lshlrev_b32_e32 v1, 2, v1
	ds_write_b32 v1, v17
	v_sub_u32_e32 v17, v29, v5
	v_sub_u32_e32 v1, v56, v4
	v_add_u32_e32 v17, v17, v2
	v_add_u32_e32 v19, v1, v17
	v_and_b32_e32 v18, 1, v40
	v_sub_u32_e32 v19, v31, v19
	v_and_b32_e32 v16, 1, v41
	v_add_u32_e32 v19, 4, v19
	;; [unrolled: 28-line block ×3, first 2 shown]
	v_cmp_eq_u32_e32 vcc, 1, v16
	v_cndmask_b32_e32 v15, v17, v15, vcc
	v_cmp_eq_u32_e32 vcc, 1, v14
	v_cndmask_b32_e32 v1, v15, v1, vcc
	v_lshlrev_b32_e32 v1, 2, v1
	v_sub_u32_e32 v14, v65, v5
	ds_write_b32 v1, v12
	v_sub_u32_e32 v1, v64, v4
	v_add_u32_e32 v14, v14, v2
	v_add_u32_e32 v16, v1, v14
	v_and_b32_e32 v15, 1, v46
	v_sub_u32_e32 v16, v31, v16
	v_and_b32_e32 v12, 1, v47
	v_add_u32_e32 v16, 7, v16
	v_cmp_eq_u32_e32 vcc, 1, v15
	v_cndmask_b32_e32 v14, v16, v14, vcc
	v_cmp_eq_u32_e32 vcc, 1, v12
	v_cndmask_b32_e32 v1, v14, v1, vcc
	v_lshlrev_b32_e32 v1, 2, v1
	v_add_u32_e32 v59, v64, v59
	ds_write_b32 v1, v13
	v_sub_u32_e32 v13, v66, v5
	v_sub_u32_e32 v1, v59, v4
	v_add_u32_e32 v13, v13, v2
	v_add_u32_e32 v15, v1, v13
	v_and_b32_e32 v14, 1, v48
	v_sub_u32_e32 v15, v31, v15
	v_and_b32_e32 v12, 1, v49
	v_add_u32_e32 v15, 8, v15
	v_cmp_eq_u32_e32 vcc, 1, v14
	v_cndmask_b32_e32 v13, v15, v13, vcc
	v_cmp_eq_u32_e32 vcc, 1, v12
	v_cndmask_b32_e32 v1, v13, v1, vcc
	v_add_u32_e32 v67, v59, v70
	v_lshlrev_b32_e32 v1, 2, v1
	v_sub_u32_e32 v12, v68, v5
	ds_write_b32 v1, v10
	v_sub_u32_e32 v1, v67, v4
	v_add_u32_e32 v12, v12, v2
	v_add_u32_e32 v14, v1, v12
	v_and_b32_e32 v13, 1, v50
	v_sub_u32_e32 v14, v31, v14
	v_and_b32_e32 v10, 1, v51
	v_add_u32_e32 v14, 9, v14
	v_cmp_eq_u32_e32 vcc, 1, v13
	v_cndmask_b32_e32 v12, v14, v12, vcc
	v_cmp_eq_u32_e32 vcc, 1, v10
	v_cndmask_b32_e32 v1, v12, v1, vcc
	v_lshlrev_b32_e32 v1, 2, v1
	v_add_u32_e32 v60, v67, v60
	ds_write_b32 v1, v11
	v_sub_u32_e32 v11, v69, v5
	v_sub_u32_e32 v1, v60, v4
	v_add_u32_e32 v11, v11, v2
	v_add_u32_e32 v13, v1, v11
	v_and_b32_e32 v12, 1, v52
	v_sub_u32_e32 v13, v31, v13
	v_and_b32_e32 v10, 1, v53
	v_add_u32_e32 v13, 10, v13
	v_cmp_eq_u32_e32 vcc, 1, v12
	v_cndmask_b32_e32 v11, v13, v11, vcc
	v_cmp_eq_u32_e32 vcc, 1, v10
	v_cndmask_b32_e32 v1, v11, v1, vcc
	v_add_u32_e32 v70, v60, v72
	v_lshlrev_b32_e32 v1, 2, v1
	v_sub_u32_e32 v10, v71, v5
	ds_write_b32 v1, v8
	v_sub_u32_e32 v1, v70, v4
	v_add_u32_e32 v10, v10, v2
	v_add_u32_e32 v12, v1, v10
	v_and_b32_e32 v11, 1, v54
	v_sub_u32_e32 v12, v31, v12
	v_and_b32_e32 v8, 1, v55
	v_add_u32_e32 v12, 11, v12
	v_cmp_eq_u32_e32 vcc, 1, v11
	v_cndmask_b32_e32 v10, v12, v10, vcc
	v_cmp_eq_u32_e32 vcc, 1, v8
	v_cndmask_b32_e32 v1, v10, v1, vcc
	v_add_u32_e32 v72, v71, v79
	v_add_u32_e32 v61, v70, v61
	v_lshlrev_b32_e32 v1, 2, v1
	ds_write_b32 v1, v9
	v_sub_u32_e32 v1, v61, v4
	v_sub_u32_e32 v4, v72, v5
	v_add_u32_e32 v4, v4, v2
	v_add_u32_e32 v8, v1, v4
	v_sub_u32_e32 v8, v31, v8
	v_add_u32_e32 v8, 12, v8
	v_cndmask_b32_e64 v4, v8, v4, s[58:59]
	v_cndmask_b32_e64 v1, v4, v1, s[46:47]
	v_lshlrev_b32_e32 v1, 2, v1
	ds_write_b32 v1, v30
	v_add_co_u32_e32 v1, vcc, v3, v73
	v_addc_co_u32_e64 v4, s[2:3], 0, 0, vcc
	v_add_co_u32_e32 v1, vcc, v1, v22
	v_addc_co_u32_e32 v4, vcc, v4, v23, vcc
	s_add_u32 s4, s56, s33
	v_add_co_u32_e32 v1, vcc, v1, v6
	s_addc_u32 s5, s57, 0
	v_addc_co_u32_e32 v4, vcc, v4, v7, vcc
	v_mov_b32_e32 v8, s5
	v_sub_co_u32_e32 v1, vcc, s4, v1
	v_subb_co_u32_e32 v4, vcc, v8, v4, vcc
	v_lshlrev_b64 v[8:9], 2, v[22:23]
	v_mov_b32_e32 v10, s55
	v_add_co_u32_e32 v8, vcc, s54, v8
	v_addc_co_u32_e32 v9, vcc, v10, v9, vcc
	v_lshlrev_b64 v[10:11], 2, v[6:7]
	v_mov_b32_e32 v13, s53
	v_add_co_u32_e32 v10, vcc, s52, v10
	s_add_u32 s6, s34, -4
	v_addc_co_u32_e32 v11, vcc, v13, v11, vcc
	s_addc_u32 s7, s35, -1
	v_add_u32_e32 v12, v2, v3
	s_and_b64 vcc, exec, s[0:1]
	s_mov_b64 s[0:1], -1
	s_waitcnt lgkmcnt(0)
	s_barrier
	s_cbranch_vccz .LBB32_133
; %bb.130:
	s_and_b64 vcc, exec, s[0:1]
	s_cbranch_vccnz .LBB32_238
.LBB32_131:
	v_cmp_eq_u32_e32 vcc, 0, v0
	s_and_b64 s[0:1], vcc, s[30:31]
	s_and_saveexec_b64 s[2:3], s[0:1]
	s_cbranch_execnz .LBB32_356
.LBB32_132:
	s_endpgm
.LBB32_133:
	v_cmp_le_u32_e32 vcc, v2, v0
	s_and_saveexec_b64 s[0:1], vcc
	s_xor_b64 s[0:1], exec, s[0:1]
	s_cbranch_execz .LBB32_139
; %bb.134:
	v_cmp_le_u32_e32 vcc, v12, v0
	s_and_saveexec_b64 s[2:3], vcc
	s_xor_b64 s[2:3], exec, s[2:3]
	s_cbranch_execz .LBB32_136
; %bb.135:
	v_lshlrev_b32_e32 v13, 2, v0
	v_add_co_u32_e32 v14, vcc, v1, v0
	ds_read_b32 v13, v13
	v_addc_co_u32_e32 v15, vcc, 0, v4, vcc
	v_lshlrev_b64 v[14:15], 2, v[14:15]
	v_mov_b32_e32 v16, s35
	v_sub_co_u32_e32 v14, vcc, s34, v14
	v_subb_co_u32_e32 v15, vcc, v16, v15, vcc
	s_waitcnt lgkmcnt(0)
	global_store_dword v[14:15], v13, off offset:-4
.LBB32_136:
	s_andn2_saveexec_b64 s[2:3], s[2:3]
	s_cbranch_execz .LBB32_138
; %bb.137:
	v_lshlrev_b32_e32 v13, 2, v0
	ds_read_b32 v14, v13
	v_readfirstlane_b32 s4, v8
	v_readfirstlane_b32 s5, v9
	s_waitcnt lgkmcnt(0)
	s_nop 3
	global_store_dword v13, v14, s[4:5]
.LBB32_138:
	s_or_b64 exec, exec, s[2:3]
.LBB32_139:
	s_andn2_saveexec_b64 s[0:1], s[0:1]
	s_cbranch_execz .LBB32_141
; %bb.140:
	v_lshlrev_b32_e32 v13, 2, v0
	ds_read_b32 v14, v13
	v_readfirstlane_b32 s2, v10
	v_readfirstlane_b32 s3, v11
	s_waitcnt lgkmcnt(0)
	s_nop 3
	global_store_dword v13, v14, s[2:3]
.LBB32_141:
	s_or_b64 exec, exec, s[0:1]
	v_or_b32_e32 v13, 0x100, v0
	v_cmp_le_u32_e32 vcc, v2, v13
	s_and_saveexec_b64 s[0:1], vcc
	s_xor_b64 s[0:1], exec, s[0:1]
	s_cbranch_execz .LBB32_147
; %bb.142:
	v_cmp_le_u32_e32 vcc, v12, v13
	s_and_saveexec_b64 s[2:3], vcc
	s_xor_b64 s[2:3], exec, s[2:3]
	s_cbranch_execz .LBB32_144
; %bb.143:
	v_lshlrev_b32_e32 v13, 2, v0
	ds_read_b32 v13, v13 offset:1024
	v_add_co_u32_e32 v14, vcc, v1, v0
	v_addc_co_u32_e32 v15, vcc, 0, v4, vcc
	v_lshlrev_b64 v[14:15], 2, v[14:15]
	v_mov_b32_e32 v16, s7
	v_sub_co_u32_e32 v14, vcc, s6, v14
	v_subb_co_u32_e32 v15, vcc, v16, v15, vcc
	s_waitcnt lgkmcnt(0)
	global_store_dword v[14:15], v13, off offset:-1024
.LBB32_144:
	s_andn2_saveexec_b64 s[2:3], s[2:3]
	s_cbranch_execz .LBB32_146
; %bb.145:
	v_lshlrev_b32_e32 v13, 2, v0
	ds_read_b32 v14, v13 offset:1024
	v_readfirstlane_b32 s4, v8
	v_readfirstlane_b32 s5, v9
	s_waitcnt lgkmcnt(0)
	s_nop 3
	global_store_dword v13, v14, s[4:5] offset:1024
.LBB32_146:
	s_or_b64 exec, exec, s[2:3]
.LBB32_147:
	s_andn2_saveexec_b64 s[0:1], s[0:1]
	s_cbranch_execz .LBB32_149
; %bb.148:
	v_lshlrev_b32_e32 v13, 2, v0
	ds_read_b32 v14, v13 offset:1024
	v_readfirstlane_b32 s2, v10
	v_readfirstlane_b32 s3, v11
	s_waitcnt lgkmcnt(0)
	s_nop 3
	global_store_dword v13, v14, s[2:3] offset:1024
.LBB32_149:
	s_or_b64 exec, exec, s[0:1]
	v_or_b32_e32 v13, 0x200, v0
	v_cmp_le_u32_e32 vcc, v2, v13
	s_and_saveexec_b64 s[0:1], vcc
	s_xor_b64 s[0:1], exec, s[0:1]
	s_cbranch_execz .LBB32_155
; %bb.150:
	v_cmp_le_u32_e32 vcc, v12, v13
	s_and_saveexec_b64 s[2:3], vcc
	s_xor_b64 s[2:3], exec, s[2:3]
	s_cbranch_execz .LBB32_152
; %bb.151:
	v_lshlrev_b32_e32 v13, 2, v0
	ds_read_b32 v13, v13 offset:2048
	v_add_co_u32_e32 v14, vcc, v1, v0
	v_addc_co_u32_e32 v15, vcc, 0, v4, vcc
	v_lshlrev_b64 v[14:15], 2, v[14:15]
	v_mov_b32_e32 v16, s7
	v_sub_co_u32_e32 v14, vcc, s6, v14
	v_subb_co_u32_e32 v15, vcc, v16, v15, vcc
	s_waitcnt lgkmcnt(0)
	global_store_dword v[14:15], v13, off offset:-2048
.LBB32_152:
	s_andn2_saveexec_b64 s[2:3], s[2:3]
	s_cbranch_execz .LBB32_154
; %bb.153:
	v_lshlrev_b32_e32 v13, 2, v0
	ds_read_b32 v14, v13 offset:2048
	v_readfirstlane_b32 s4, v8
	v_readfirstlane_b32 s5, v9
	s_waitcnt lgkmcnt(0)
	s_nop 3
	global_store_dword v13, v14, s[4:5] offset:2048
.LBB32_154:
	s_or_b64 exec, exec, s[2:3]
.LBB32_155:
	s_andn2_saveexec_b64 s[0:1], s[0:1]
	s_cbranch_execz .LBB32_157
; %bb.156:
	v_lshlrev_b32_e32 v13, 2, v0
	ds_read_b32 v14, v13 offset:2048
	v_readfirstlane_b32 s2, v10
	v_readfirstlane_b32 s3, v11
	s_waitcnt lgkmcnt(0)
	s_nop 3
	global_store_dword v13, v14, s[2:3] offset:2048
.LBB32_157:
	;; [unrolled: 47-line block ×3, first 2 shown]
	s_or_b64 exec, exec, s[0:1]
	v_or_b32_e32 v13, 0x400, v0
	v_cmp_le_u32_e32 vcc, v2, v13
	s_and_saveexec_b64 s[0:1], vcc
	s_xor_b64 s[0:1], exec, s[0:1]
	s_cbranch_execz .LBB32_171
; %bb.166:
	v_cmp_le_u32_e32 vcc, v12, v13
	s_and_saveexec_b64 s[2:3], vcc
	s_xor_b64 s[2:3], exec, s[2:3]
	s_cbranch_execz .LBB32_168
; %bb.167:
	v_lshlrev_b32_e32 v13, 2, v0
	ds_read_b32 v13, v13 offset:4096
	v_add_co_u32_e32 v14, vcc, v1, v0
	v_addc_co_u32_e32 v15, vcc, 0, v4, vcc
	v_lshlrev_b64 v[14:15], 2, v[14:15]
	v_mov_b32_e32 v16, s7
	v_sub_co_u32_e32 v14, vcc, s6, v14
	v_subb_co_u32_e32 v15, vcc, v16, v15, vcc
	s_waitcnt lgkmcnt(0)
	global_store_dword v[14:15], v13, off offset:-4096
                                        ; implicit-def: $vgpr13
.LBB32_168:
	s_andn2_saveexec_b64 s[2:3], s[2:3]
	s_cbranch_execz .LBB32_170
; %bb.169:
	v_lshlrev_b32_e32 v14, 2, v0
	ds_read_b32 v14, v14 offset:4096
	v_lshlrev_b32_e32 v13, 2, v13
	v_readfirstlane_b32 s4, v8
	v_readfirstlane_b32 s5, v9
	s_waitcnt lgkmcnt(0)
	s_nop 3
	global_store_dword v13, v14, s[4:5]
.LBB32_170:
	s_or_b64 exec, exec, s[2:3]
                                        ; implicit-def: $vgpr13
.LBB32_171:
	s_andn2_saveexec_b64 s[0:1], s[0:1]
	s_cbranch_execz .LBB32_173
; %bb.172:
	v_lshlrev_b32_e32 v14, 2, v0
	ds_read_b32 v14, v14 offset:4096
	v_lshlrev_b32_e32 v13, 2, v13
	v_readfirstlane_b32 s2, v10
	v_readfirstlane_b32 s3, v11
	s_waitcnt lgkmcnt(0)
	s_nop 3
	global_store_dword v13, v14, s[2:3]
.LBB32_173:
	s_or_b64 exec, exec, s[0:1]
	v_or_b32_e32 v13, 0x500, v0
	v_cmp_le_u32_e32 vcc, v2, v13
	s_and_saveexec_b64 s[0:1], vcc
	s_xor_b64 s[0:1], exec, s[0:1]
	s_cbranch_execz .LBB32_179
; %bb.174:
	v_cmp_le_u32_e32 vcc, v12, v13
	s_and_saveexec_b64 s[2:3], vcc
	s_xor_b64 s[2:3], exec, s[2:3]
	s_cbranch_execz .LBB32_176
; %bb.175:
	v_add_co_u32_e32 v14, vcc, v1, v13
	v_lshlrev_b32_e32 v13, 2, v0
	ds_read_b32 v13, v13 offset:5120
	v_addc_co_u32_e32 v15, vcc, 0, v4, vcc
	v_lshlrev_b64 v[14:15], 2, v[14:15]
	v_mov_b32_e32 v16, s7
	v_sub_co_u32_e32 v14, vcc, s6, v14
	v_subb_co_u32_e32 v15, vcc, v16, v15, vcc
	s_waitcnt lgkmcnt(0)
	global_store_dword v[14:15], v13, off
                                        ; implicit-def: $vgpr13
.LBB32_176:
	s_andn2_saveexec_b64 s[2:3], s[2:3]
	s_cbranch_execz .LBB32_178
; %bb.177:
	v_lshlrev_b32_e32 v14, 2, v0
	ds_read_b32 v14, v14 offset:5120
	v_lshlrev_b32_e32 v13, 2, v13
	v_readfirstlane_b32 s4, v8
	v_readfirstlane_b32 s5, v9
	s_waitcnt lgkmcnt(0)
	s_nop 3
	global_store_dword v13, v14, s[4:5]
.LBB32_178:
	s_or_b64 exec, exec, s[2:3]
                                        ; implicit-def: $vgpr13
.LBB32_179:
	s_andn2_saveexec_b64 s[0:1], s[0:1]
	s_cbranch_execz .LBB32_181
; %bb.180:
	v_lshlrev_b32_e32 v14, 2, v0
	ds_read_b32 v14, v14 offset:5120
	v_lshlrev_b32_e32 v13, 2, v13
	v_readfirstlane_b32 s2, v10
	v_readfirstlane_b32 s3, v11
	s_waitcnt lgkmcnt(0)
	s_nop 3
	global_store_dword v13, v14, s[2:3]
.LBB32_181:
	s_or_b64 exec, exec, s[0:1]
	v_or_b32_e32 v13, 0x600, v0
	v_cmp_le_u32_e32 vcc, v2, v13
	s_and_saveexec_b64 s[0:1], vcc
	s_xor_b64 s[0:1], exec, s[0:1]
	s_cbranch_execz .LBB32_187
; %bb.182:
	v_cmp_le_u32_e32 vcc, v12, v13
	s_and_saveexec_b64 s[2:3], vcc
	s_xor_b64 s[2:3], exec, s[2:3]
	s_cbranch_execz .LBB32_184
; %bb.183:
	v_add_co_u32_e32 v14, vcc, v1, v13
	v_lshlrev_b32_e32 v13, 2, v0
	ds_read_b32 v13, v13 offset:6144
	v_addc_co_u32_e32 v15, vcc, 0, v4, vcc
	v_lshlrev_b64 v[14:15], 2, v[14:15]
	v_mov_b32_e32 v16, s7
	v_sub_co_u32_e32 v14, vcc, s6, v14
	v_subb_co_u32_e32 v15, vcc, v16, v15, vcc
	s_waitcnt lgkmcnt(0)
	global_store_dword v[14:15], v13, off
                                        ; implicit-def: $vgpr13
.LBB32_184:
	s_andn2_saveexec_b64 s[2:3], s[2:3]
	s_cbranch_execz .LBB32_186
; %bb.185:
	v_lshlrev_b32_e32 v14, 2, v0
	ds_read_b32 v14, v14 offset:6144
	v_lshlrev_b32_e32 v13, 2, v13
	v_readfirstlane_b32 s4, v8
	v_readfirstlane_b32 s5, v9
	s_waitcnt lgkmcnt(0)
	s_nop 3
	global_store_dword v13, v14, s[4:5]
.LBB32_186:
	s_or_b64 exec, exec, s[2:3]
                                        ; implicit-def: $vgpr13
.LBB32_187:
	;; [unrolled: 51-line block ×8, first 2 shown]
	s_andn2_saveexec_b64 s[0:1], s[0:1]
	s_cbranch_execz .LBB32_237
; %bb.236:
	v_lshlrev_b32_e32 v14, 2, v0
	ds_read_b32 v14, v14 offset:12288
	v_lshlrev_b32_e32 v13, 2, v13
	v_readfirstlane_b32 s2, v10
	v_readfirstlane_b32 s3, v11
	s_waitcnt lgkmcnt(0)
	s_nop 3
	global_store_dword v13, v14, s[2:3]
.LBB32_237:
	s_or_b64 exec, exec, s[0:1]
	s_branch .LBB32_131
.LBB32_238:
	v_cmp_gt_u32_e32 vcc, s18, v0
	s_and_saveexec_b64 s[0:1], vcc
	s_cbranch_execz .LBB32_247
; %bb.239:
	v_cmp_le_u32_e32 vcc, v2, v0
	s_and_saveexec_b64 s[2:3], vcc
	s_xor_b64 s[2:3], exec, s[2:3]
	s_cbranch_execz .LBB32_245
; %bb.240:
	v_cmp_le_u32_e32 vcc, v12, v0
	s_and_saveexec_b64 s[4:5], vcc
	s_xor_b64 s[4:5], exec, s[4:5]
	s_cbranch_execz .LBB32_242
; %bb.241:
	v_lshlrev_b32_e32 v13, 2, v0
	v_add_co_u32_e32 v14, vcc, v1, v0
	ds_read_b32 v13, v13
	v_addc_co_u32_e32 v15, vcc, 0, v4, vcc
	v_lshlrev_b64 v[14:15], 2, v[14:15]
	v_mov_b32_e32 v16, s35
	v_sub_co_u32_e32 v14, vcc, s34, v14
	v_subb_co_u32_e32 v15, vcc, v16, v15, vcc
	s_waitcnt lgkmcnt(0)
	global_store_dword v[14:15], v13, off offset:-4
.LBB32_242:
	s_andn2_saveexec_b64 s[4:5], s[4:5]
	s_cbranch_execz .LBB32_244
; %bb.243:
	v_lshlrev_b32_e32 v13, 2, v0
	ds_read_b32 v14, v13
	v_readfirstlane_b32 s8, v8
	v_readfirstlane_b32 s9, v9
	s_waitcnt lgkmcnt(0)
	s_nop 3
	global_store_dword v13, v14, s[8:9]
.LBB32_244:
	s_or_b64 exec, exec, s[4:5]
.LBB32_245:
	s_andn2_saveexec_b64 s[2:3], s[2:3]
	s_cbranch_execz .LBB32_247
; %bb.246:
	v_lshlrev_b32_e32 v13, 2, v0
	ds_read_b32 v14, v13
	v_readfirstlane_b32 s2, v10
	v_readfirstlane_b32 s3, v11
	s_waitcnt lgkmcnt(0)
	s_nop 3
	global_store_dword v13, v14, s[2:3]
.LBB32_247:
	s_or_b64 exec, exec, s[0:1]
	v_or_b32_e32 v13, 0x100, v0
	v_cmp_gt_u32_e32 vcc, s18, v13
	s_and_saveexec_b64 s[0:1], vcc
	s_cbranch_execz .LBB32_256
; %bb.248:
	v_cmp_le_u32_e32 vcc, v2, v13
	s_and_saveexec_b64 s[2:3], vcc
	s_xor_b64 s[2:3], exec, s[2:3]
	s_cbranch_execz .LBB32_254
; %bb.249:
	v_cmp_le_u32_e32 vcc, v12, v13
	s_and_saveexec_b64 s[4:5], vcc
	s_xor_b64 s[4:5], exec, s[4:5]
	s_cbranch_execz .LBB32_251
; %bb.250:
	v_lshlrev_b32_e32 v13, 2, v0
	ds_read_b32 v13, v13 offset:1024
	v_add_co_u32_e32 v14, vcc, v1, v0
	v_addc_co_u32_e32 v15, vcc, 0, v4, vcc
	v_lshlrev_b64 v[14:15], 2, v[14:15]
	v_mov_b32_e32 v16, s7
	v_sub_co_u32_e32 v14, vcc, s6, v14
	v_subb_co_u32_e32 v15, vcc, v16, v15, vcc
	s_waitcnt lgkmcnt(0)
	global_store_dword v[14:15], v13, off offset:-1024
.LBB32_251:
	s_andn2_saveexec_b64 s[4:5], s[4:5]
	s_cbranch_execz .LBB32_253
; %bb.252:
	v_lshlrev_b32_e32 v13, 2, v0
	ds_read_b32 v14, v13 offset:1024
	v_readfirstlane_b32 s8, v8
	v_readfirstlane_b32 s9, v9
	s_waitcnt lgkmcnt(0)
	s_nop 3
	global_store_dword v13, v14, s[8:9] offset:1024
.LBB32_253:
	s_or_b64 exec, exec, s[4:5]
.LBB32_254:
	s_andn2_saveexec_b64 s[2:3], s[2:3]
	s_cbranch_execz .LBB32_256
; %bb.255:
	v_lshlrev_b32_e32 v13, 2, v0
	ds_read_b32 v14, v13 offset:1024
	v_readfirstlane_b32 s2, v10
	v_readfirstlane_b32 s3, v11
	s_waitcnt lgkmcnt(0)
	s_nop 3
	global_store_dword v13, v14, s[2:3] offset:1024
.LBB32_256:
	s_or_b64 exec, exec, s[0:1]
	v_or_b32_e32 v13, 0x200, v0
	v_cmp_gt_u32_e32 vcc, s18, v13
	s_and_saveexec_b64 s[0:1], vcc
	s_cbranch_execz .LBB32_265
; %bb.257:
	v_cmp_le_u32_e32 vcc, v2, v13
	s_and_saveexec_b64 s[2:3], vcc
	s_xor_b64 s[2:3], exec, s[2:3]
	s_cbranch_execz .LBB32_263
; %bb.258:
	v_cmp_le_u32_e32 vcc, v12, v13
	s_and_saveexec_b64 s[4:5], vcc
	s_xor_b64 s[4:5], exec, s[4:5]
	s_cbranch_execz .LBB32_260
; %bb.259:
	v_lshlrev_b32_e32 v13, 2, v0
	ds_read_b32 v13, v13 offset:2048
	v_add_co_u32_e32 v14, vcc, v1, v0
	v_addc_co_u32_e32 v15, vcc, 0, v4, vcc
	v_lshlrev_b64 v[14:15], 2, v[14:15]
	v_mov_b32_e32 v16, s7
	v_sub_co_u32_e32 v14, vcc, s6, v14
	v_subb_co_u32_e32 v15, vcc, v16, v15, vcc
	s_waitcnt lgkmcnt(0)
	global_store_dword v[14:15], v13, off offset:-2048
.LBB32_260:
	s_andn2_saveexec_b64 s[4:5], s[4:5]
	s_cbranch_execz .LBB32_262
; %bb.261:
	v_lshlrev_b32_e32 v13, 2, v0
	ds_read_b32 v14, v13 offset:2048
	v_readfirstlane_b32 s8, v8
	v_readfirstlane_b32 s9, v9
	s_waitcnt lgkmcnt(0)
	s_nop 3
	global_store_dword v13, v14, s[8:9] offset:2048
.LBB32_262:
	s_or_b64 exec, exec, s[4:5]
.LBB32_263:
	s_andn2_saveexec_b64 s[2:3], s[2:3]
	s_cbranch_execz .LBB32_265
; %bb.264:
	v_lshlrev_b32_e32 v13, 2, v0
	ds_read_b32 v14, v13 offset:2048
	v_readfirstlane_b32 s2, v10
	v_readfirstlane_b32 s3, v11
	s_waitcnt lgkmcnt(0)
	s_nop 3
	global_store_dword v13, v14, s[2:3] offset:2048
.LBB32_265:
	s_or_b64 exec, exec, s[0:1]
	v_or_b32_e32 v13, 0x300, v0
	v_cmp_gt_u32_e32 vcc, s18, v13
	s_and_saveexec_b64 s[0:1], vcc
	s_cbranch_execz .LBB32_274
; %bb.266:
	v_cmp_le_u32_e32 vcc, v2, v13
	s_and_saveexec_b64 s[2:3], vcc
	s_xor_b64 s[2:3], exec, s[2:3]
	s_cbranch_execz .LBB32_272
; %bb.267:
	v_cmp_le_u32_e32 vcc, v12, v13
	s_and_saveexec_b64 s[4:5], vcc
	s_xor_b64 s[4:5], exec, s[4:5]
	s_cbranch_execz .LBB32_269
; %bb.268:
	v_lshlrev_b32_e32 v13, 2, v0
	ds_read_b32 v13, v13 offset:3072
	v_add_co_u32_e32 v14, vcc, v1, v0
	v_addc_co_u32_e32 v15, vcc, 0, v4, vcc
	v_lshlrev_b64 v[14:15], 2, v[14:15]
	v_mov_b32_e32 v16, s7
	v_sub_co_u32_e32 v14, vcc, s6, v14
	v_subb_co_u32_e32 v15, vcc, v16, v15, vcc
	s_waitcnt lgkmcnt(0)
	global_store_dword v[14:15], v13, off offset:-3072
.LBB32_269:
	s_andn2_saveexec_b64 s[4:5], s[4:5]
	s_cbranch_execz .LBB32_271
; %bb.270:
	v_lshlrev_b32_e32 v13, 2, v0
	ds_read_b32 v14, v13 offset:3072
	v_readfirstlane_b32 s8, v8
	v_readfirstlane_b32 s9, v9
	s_waitcnt lgkmcnt(0)
	s_nop 3
	global_store_dword v13, v14, s[8:9] offset:3072
.LBB32_271:
	s_or_b64 exec, exec, s[4:5]
.LBB32_272:
	s_andn2_saveexec_b64 s[2:3], s[2:3]
	s_cbranch_execz .LBB32_274
; %bb.273:
	v_lshlrev_b32_e32 v13, 2, v0
	ds_read_b32 v14, v13 offset:3072
	v_readfirstlane_b32 s2, v10
	v_readfirstlane_b32 s3, v11
	s_waitcnt lgkmcnt(0)
	s_nop 3
	global_store_dword v13, v14, s[2:3] offset:3072
.LBB32_274:
	s_or_b64 exec, exec, s[0:1]
	v_or_b32_e32 v13, 0x400, v0
	v_cmp_gt_u32_e32 vcc, s18, v13
	s_and_saveexec_b64 s[0:1], vcc
	s_cbranch_execz .LBB32_283
; %bb.275:
	v_cmp_le_u32_e32 vcc, v2, v13
	s_and_saveexec_b64 s[2:3], vcc
	s_xor_b64 s[2:3], exec, s[2:3]
	s_cbranch_execz .LBB32_281
; %bb.276:
	v_cmp_le_u32_e32 vcc, v12, v13
	s_and_saveexec_b64 s[4:5], vcc
	s_xor_b64 s[4:5], exec, s[4:5]
	s_cbranch_execz .LBB32_278
; %bb.277:
	v_lshlrev_b32_e32 v13, 2, v0
	ds_read_b32 v13, v13 offset:4096
	v_add_co_u32_e32 v14, vcc, v1, v0
	v_addc_co_u32_e32 v15, vcc, 0, v4, vcc
	v_lshlrev_b64 v[14:15], 2, v[14:15]
	v_mov_b32_e32 v16, s7
	v_sub_co_u32_e32 v14, vcc, s6, v14
	v_subb_co_u32_e32 v15, vcc, v16, v15, vcc
	s_waitcnt lgkmcnt(0)
	global_store_dword v[14:15], v13, off offset:-4096
                                        ; implicit-def: $vgpr13
.LBB32_278:
	s_andn2_saveexec_b64 s[4:5], s[4:5]
	s_cbranch_execz .LBB32_280
; %bb.279:
	v_lshlrev_b32_e32 v14, 2, v0
	ds_read_b32 v14, v14 offset:4096
	v_lshlrev_b32_e32 v13, 2, v13
	v_readfirstlane_b32 s8, v8
	v_readfirstlane_b32 s9, v9
	s_waitcnt lgkmcnt(0)
	s_nop 3
	global_store_dword v13, v14, s[8:9]
.LBB32_280:
	s_or_b64 exec, exec, s[4:5]
                                        ; implicit-def: $vgpr13
.LBB32_281:
	s_andn2_saveexec_b64 s[2:3], s[2:3]
	s_cbranch_execz .LBB32_283
; %bb.282:
	v_lshlrev_b32_e32 v14, 2, v0
	ds_read_b32 v14, v14 offset:4096
	v_lshlrev_b32_e32 v13, 2, v13
	v_readfirstlane_b32 s2, v10
	v_readfirstlane_b32 s3, v11
	s_waitcnt lgkmcnt(0)
	s_nop 3
	global_store_dword v13, v14, s[2:3]
.LBB32_283:
	s_or_b64 exec, exec, s[0:1]
	v_or_b32_e32 v13, 0x500, v0
	v_cmp_gt_u32_e32 vcc, s18, v13
	s_and_saveexec_b64 s[0:1], vcc
	s_cbranch_execz .LBB32_292
; %bb.284:
	v_cmp_le_u32_e32 vcc, v2, v13
	s_and_saveexec_b64 s[2:3], vcc
	s_xor_b64 s[2:3], exec, s[2:3]
	s_cbranch_execz .LBB32_290
; %bb.285:
	v_cmp_le_u32_e32 vcc, v12, v13
	s_and_saveexec_b64 s[4:5], vcc
	s_xor_b64 s[4:5], exec, s[4:5]
	s_cbranch_execz .LBB32_287
; %bb.286:
	v_add_co_u32_e32 v14, vcc, v1, v13
	v_lshlrev_b32_e32 v13, 2, v0
	ds_read_b32 v13, v13 offset:5120
	v_addc_co_u32_e32 v15, vcc, 0, v4, vcc
	v_lshlrev_b64 v[14:15], 2, v[14:15]
	v_mov_b32_e32 v16, s7
	v_sub_co_u32_e32 v14, vcc, s6, v14
	v_subb_co_u32_e32 v15, vcc, v16, v15, vcc
	s_waitcnt lgkmcnt(0)
	global_store_dword v[14:15], v13, off
                                        ; implicit-def: $vgpr13
.LBB32_287:
	s_andn2_saveexec_b64 s[4:5], s[4:5]
	s_cbranch_execz .LBB32_289
; %bb.288:
	v_lshlrev_b32_e32 v14, 2, v0
	ds_read_b32 v14, v14 offset:5120
	v_lshlrev_b32_e32 v13, 2, v13
	v_readfirstlane_b32 s8, v8
	v_readfirstlane_b32 s9, v9
	s_waitcnt lgkmcnt(0)
	s_nop 3
	global_store_dword v13, v14, s[8:9]
.LBB32_289:
	s_or_b64 exec, exec, s[4:5]
                                        ; implicit-def: $vgpr13
.LBB32_290:
	s_andn2_saveexec_b64 s[2:3], s[2:3]
	s_cbranch_execz .LBB32_292
; %bb.291:
	v_lshlrev_b32_e32 v14, 2, v0
	ds_read_b32 v14, v14 offset:5120
	v_lshlrev_b32_e32 v13, 2, v13
	v_readfirstlane_b32 s2, v10
	v_readfirstlane_b32 s3, v11
	s_waitcnt lgkmcnt(0)
	s_nop 3
	global_store_dword v13, v14, s[2:3]
.LBB32_292:
	s_or_b64 exec, exec, s[0:1]
	v_or_b32_e32 v13, 0x600, v0
	v_cmp_gt_u32_e32 vcc, s18, v13
	s_and_saveexec_b64 s[0:1], vcc
	s_cbranch_execz .LBB32_301
; %bb.293:
	v_cmp_le_u32_e32 vcc, v2, v13
	s_and_saveexec_b64 s[2:3], vcc
	s_xor_b64 s[2:3], exec, s[2:3]
	s_cbranch_execz .LBB32_299
; %bb.294:
	v_cmp_le_u32_e32 vcc, v12, v13
	s_and_saveexec_b64 s[4:5], vcc
	s_xor_b64 s[4:5], exec, s[4:5]
	s_cbranch_execz .LBB32_296
; %bb.295:
	v_add_co_u32_e32 v14, vcc, v1, v13
	v_lshlrev_b32_e32 v13, 2, v0
	ds_read_b32 v13, v13 offset:6144
	v_addc_co_u32_e32 v15, vcc, 0, v4, vcc
	v_lshlrev_b64 v[14:15], 2, v[14:15]
	v_mov_b32_e32 v16, s7
	v_sub_co_u32_e32 v14, vcc, s6, v14
	v_subb_co_u32_e32 v15, vcc, v16, v15, vcc
	s_waitcnt lgkmcnt(0)
	global_store_dword v[14:15], v13, off
                                        ; implicit-def: $vgpr13
.LBB32_296:
	s_andn2_saveexec_b64 s[4:5], s[4:5]
	s_cbranch_execz .LBB32_298
; %bb.297:
	v_lshlrev_b32_e32 v14, 2, v0
	ds_read_b32 v14, v14 offset:6144
	v_lshlrev_b32_e32 v13, 2, v13
	v_readfirstlane_b32 s8, v8
	v_readfirstlane_b32 s9, v9
	s_waitcnt lgkmcnt(0)
	s_nop 3
	global_store_dword v13, v14, s[8:9]
.LBB32_298:
	s_or_b64 exec, exec, s[4:5]
                                        ; implicit-def: $vgpr13
.LBB32_299:
	s_andn2_saveexec_b64 s[2:3], s[2:3]
	s_cbranch_execz .LBB32_301
; %bb.300:
	v_lshlrev_b32_e32 v14, 2, v0
	ds_read_b32 v14, v14 offset:6144
	v_lshlrev_b32_e32 v13, 2, v13
	v_readfirstlane_b32 s2, v10
	v_readfirstlane_b32 s3, v11
	s_waitcnt lgkmcnt(0)
	s_nop 3
	global_store_dword v13, v14, s[2:3]
.LBB32_301:
	;; [unrolled: 55-line block ×7, first 2 shown]
	s_or_b64 exec, exec, s[0:1]
	v_or_b32_e32 v13, 0xc00, v0
	v_cmp_gt_u32_e32 vcc, s18, v13
	s_and_saveexec_b64 s[0:1], vcc
	s_cbranch_execz .LBB32_355
; %bb.347:
	v_cmp_le_u32_e32 vcc, v2, v13
	s_and_saveexec_b64 s[2:3], vcc
	s_xor_b64 s[2:3], exec, s[2:3]
	s_cbranch_execz .LBB32_353
; %bb.348:
	v_cmp_le_u32_e32 vcc, v12, v13
	s_and_saveexec_b64 s[4:5], vcc
	s_xor_b64 s[4:5], exec, s[4:5]
	s_cbranch_execz .LBB32_350
; %bb.349:
	v_add_co_u32_e32 v8, vcc, v1, v13
	v_lshlrev_b32_e32 v1, 2, v0
	ds_read_b32 v1, v1 offset:12288
	v_addc_co_u32_e32 v9, vcc, 0, v4, vcc
	v_lshlrev_b64 v[8:9], 2, v[8:9]
	v_mov_b32_e32 v4, s7
	v_sub_co_u32_e32 v8, vcc, s6, v8
	v_subb_co_u32_e32 v9, vcc, v4, v9, vcc
	s_waitcnt lgkmcnt(0)
	global_store_dword v[8:9], v1, off
                                        ; implicit-def: $vgpr13
                                        ; implicit-def: $vgpr8_vgpr9
.LBB32_350:
	s_andn2_saveexec_b64 s[4:5], s[4:5]
	s_cbranch_execz .LBB32_352
; %bb.351:
	v_lshlrev_b32_e32 v1, 2, v0
	ds_read_b32 v1, v1 offset:12288
	v_lshlrev_b32_e32 v4, 2, v13
	v_readfirstlane_b32 s6, v8
	v_readfirstlane_b32 s7, v9
	s_waitcnt lgkmcnt(0)
	s_nop 3
	global_store_dword v4, v1, s[6:7]
.LBB32_352:
	s_or_b64 exec, exec, s[4:5]
                                        ; implicit-def: $vgpr13
                                        ; implicit-def: $vgpr10_vgpr11
.LBB32_353:
	s_andn2_saveexec_b64 s[2:3], s[2:3]
	s_cbranch_execz .LBB32_355
; %bb.354:
	v_lshlrev_b32_e32 v1, 2, v0
	ds_read_b32 v1, v1 offset:12288
	v_lshlrev_b32_e32 v4, 2, v13
	v_readfirstlane_b32 s2, v10
	v_readfirstlane_b32 s3, v11
	s_waitcnt lgkmcnt(0)
	s_nop 3
	global_store_dword v4, v1, s[2:3]
.LBB32_355:
	s_or_b64 exec, exec, s[0:1]
	v_cmp_eq_u32_e32 vcc, 0, v0
	s_and_b64 s[0:1], vcc, s[30:31]
	s_and_saveexec_b64 s[2:3], s[0:1]
	s_cbranch_execz .LBB32_132
.LBB32_356:
	v_add_co_u32_e32 v0, vcc, v6, v2
	v_addc_co_u32_e32 v1, vcc, 0, v7, vcc
	v_mov_b32_e32 v2, s51
	v_add_co_u32_e32 v3, vcc, s50, v3
	v_addc_co_u32_e32 v6, vcc, 0, v2, vcc
	v_add_co_u32_e32 v2, vcc, v3, v5
	v_mov_b32_e32 v4, 0
	v_addc_co_u32_e32 v3, vcc, 0, v6, vcc
	global_store_dwordx4 v4, v[0:3], s[44:45]
	s_endpgm
	.section	.rodata,"a",@progbits
	.p2align	6, 0x0
	.amdhsa_kernel _ZN7rocprim17ROCPRIM_400000_NS6detail17trampoline_kernelINS0_13select_configILj256ELj13ELNS0_17block_load_methodE3ELS4_3ELS4_3ELNS0_20block_scan_algorithmE0ELj4294967295EEENS1_25partition_config_selectorILNS1_17partition_subalgoE4EjNS0_10empty_typeEbEEZZNS1_14partition_implILS8_4ELb0ES6_15HIP_vector_typeIjLj2EENS0_17counting_iteratorIjlEEPS9_SG_NS0_5tupleIJPjSI_NS0_16reverse_iteratorISI_EEEEENSH_IJSG_SG_SG_EEES9_SI_JZNS1_25segmented_radix_sort_implINS0_14default_configELb1EPKhPhPKlPlN2at6native12_GLOBAL__N_18offset_tEEE10hipError_tPvRmT1_PNSt15iterator_traitsIS12_E10value_typeET2_T3_PNS13_IS18_E10value_typeET4_jRbjT5_S1E_jjP12ihipStream_tbEUljE_ZNSN_ISO_Lb1ESQ_SR_ST_SU_SY_EESZ_S10_S11_S12_S16_S17_S18_S1B_S1C_jS1D_jS1E_S1E_jjS1G_bEUljE0_EEESZ_S10_S11_S18_S1C_S1E_T6_T7_T9_mT8_S1G_bDpT10_ENKUlT_T0_E_clISt17integral_constantIbLb1EES1T_IbLb0EEEEDaS1P_S1Q_EUlS1P_E_NS1_11comp_targetILNS1_3genE4ELNS1_11target_archE910ELNS1_3gpuE8ELNS1_3repE0EEENS1_30default_config_static_selectorELNS0_4arch9wavefront6targetE1EEEvS12_
		.amdhsa_group_segment_fixed_size 13340
		.amdhsa_private_segment_fixed_size 0
		.amdhsa_kernarg_size 176
		.amdhsa_user_sgpr_count 6
		.amdhsa_user_sgpr_private_segment_buffer 1
		.amdhsa_user_sgpr_dispatch_ptr 0
		.amdhsa_user_sgpr_queue_ptr 0
		.amdhsa_user_sgpr_kernarg_segment_ptr 1
		.amdhsa_user_sgpr_dispatch_id 0
		.amdhsa_user_sgpr_flat_scratch_init 0
		.amdhsa_user_sgpr_kernarg_preload_length 0
		.amdhsa_user_sgpr_kernarg_preload_offset 0
		.amdhsa_user_sgpr_private_segment_size 0
		.amdhsa_uses_dynamic_stack 0
		.amdhsa_system_sgpr_private_segment_wavefront_offset 0
		.amdhsa_system_sgpr_workgroup_id_x 1
		.amdhsa_system_sgpr_workgroup_id_y 0
		.amdhsa_system_sgpr_workgroup_id_z 0
		.amdhsa_system_sgpr_workgroup_info 0
		.amdhsa_system_vgpr_workitem_id 0
		.amdhsa_next_free_vgpr 102
		.amdhsa_next_free_sgpr 90
		.amdhsa_accum_offset 104
		.amdhsa_reserve_vcc 1
		.amdhsa_reserve_flat_scratch 0
		.amdhsa_float_round_mode_32 0
		.amdhsa_float_round_mode_16_64 0
		.amdhsa_float_denorm_mode_32 3
		.amdhsa_float_denorm_mode_16_64 3
		.amdhsa_dx10_clamp 1
		.amdhsa_ieee_mode 1
		.amdhsa_fp16_overflow 0
		.amdhsa_tg_split 0
		.amdhsa_exception_fp_ieee_invalid_op 0
		.amdhsa_exception_fp_denorm_src 0
		.amdhsa_exception_fp_ieee_div_zero 0
		.amdhsa_exception_fp_ieee_overflow 0
		.amdhsa_exception_fp_ieee_underflow 0
		.amdhsa_exception_fp_ieee_inexact 0
		.amdhsa_exception_int_div_zero 0
	.end_amdhsa_kernel
	.section	.text._ZN7rocprim17ROCPRIM_400000_NS6detail17trampoline_kernelINS0_13select_configILj256ELj13ELNS0_17block_load_methodE3ELS4_3ELS4_3ELNS0_20block_scan_algorithmE0ELj4294967295EEENS1_25partition_config_selectorILNS1_17partition_subalgoE4EjNS0_10empty_typeEbEEZZNS1_14partition_implILS8_4ELb0ES6_15HIP_vector_typeIjLj2EENS0_17counting_iteratorIjlEEPS9_SG_NS0_5tupleIJPjSI_NS0_16reverse_iteratorISI_EEEEENSH_IJSG_SG_SG_EEES9_SI_JZNS1_25segmented_radix_sort_implINS0_14default_configELb1EPKhPhPKlPlN2at6native12_GLOBAL__N_18offset_tEEE10hipError_tPvRmT1_PNSt15iterator_traitsIS12_E10value_typeET2_T3_PNS13_IS18_E10value_typeET4_jRbjT5_S1E_jjP12ihipStream_tbEUljE_ZNSN_ISO_Lb1ESQ_SR_ST_SU_SY_EESZ_S10_S11_S12_S16_S17_S18_S1B_S1C_jS1D_jS1E_S1E_jjS1G_bEUljE0_EEESZ_S10_S11_S18_S1C_S1E_T6_T7_T9_mT8_S1G_bDpT10_ENKUlT_T0_E_clISt17integral_constantIbLb1EES1T_IbLb0EEEEDaS1P_S1Q_EUlS1P_E_NS1_11comp_targetILNS1_3genE4ELNS1_11target_archE910ELNS1_3gpuE8ELNS1_3repE0EEENS1_30default_config_static_selectorELNS0_4arch9wavefront6targetE1EEEvS12_,"axG",@progbits,_ZN7rocprim17ROCPRIM_400000_NS6detail17trampoline_kernelINS0_13select_configILj256ELj13ELNS0_17block_load_methodE3ELS4_3ELS4_3ELNS0_20block_scan_algorithmE0ELj4294967295EEENS1_25partition_config_selectorILNS1_17partition_subalgoE4EjNS0_10empty_typeEbEEZZNS1_14partition_implILS8_4ELb0ES6_15HIP_vector_typeIjLj2EENS0_17counting_iteratorIjlEEPS9_SG_NS0_5tupleIJPjSI_NS0_16reverse_iteratorISI_EEEEENSH_IJSG_SG_SG_EEES9_SI_JZNS1_25segmented_radix_sort_implINS0_14default_configELb1EPKhPhPKlPlN2at6native12_GLOBAL__N_18offset_tEEE10hipError_tPvRmT1_PNSt15iterator_traitsIS12_E10value_typeET2_T3_PNS13_IS18_E10value_typeET4_jRbjT5_S1E_jjP12ihipStream_tbEUljE_ZNSN_ISO_Lb1ESQ_SR_ST_SU_SY_EESZ_S10_S11_S12_S16_S17_S18_S1B_S1C_jS1D_jS1E_S1E_jjS1G_bEUljE0_EEESZ_S10_S11_S18_S1C_S1E_T6_T7_T9_mT8_S1G_bDpT10_ENKUlT_T0_E_clISt17integral_constantIbLb1EES1T_IbLb0EEEEDaS1P_S1Q_EUlS1P_E_NS1_11comp_targetILNS1_3genE4ELNS1_11target_archE910ELNS1_3gpuE8ELNS1_3repE0EEENS1_30default_config_static_selectorELNS0_4arch9wavefront6targetE1EEEvS12_,comdat
.Lfunc_end32:
	.size	_ZN7rocprim17ROCPRIM_400000_NS6detail17trampoline_kernelINS0_13select_configILj256ELj13ELNS0_17block_load_methodE3ELS4_3ELS4_3ELNS0_20block_scan_algorithmE0ELj4294967295EEENS1_25partition_config_selectorILNS1_17partition_subalgoE4EjNS0_10empty_typeEbEEZZNS1_14partition_implILS8_4ELb0ES6_15HIP_vector_typeIjLj2EENS0_17counting_iteratorIjlEEPS9_SG_NS0_5tupleIJPjSI_NS0_16reverse_iteratorISI_EEEEENSH_IJSG_SG_SG_EEES9_SI_JZNS1_25segmented_radix_sort_implINS0_14default_configELb1EPKhPhPKlPlN2at6native12_GLOBAL__N_18offset_tEEE10hipError_tPvRmT1_PNSt15iterator_traitsIS12_E10value_typeET2_T3_PNS13_IS18_E10value_typeET4_jRbjT5_S1E_jjP12ihipStream_tbEUljE_ZNSN_ISO_Lb1ESQ_SR_ST_SU_SY_EESZ_S10_S11_S12_S16_S17_S18_S1B_S1C_jS1D_jS1E_S1E_jjS1G_bEUljE0_EEESZ_S10_S11_S18_S1C_S1E_T6_T7_T9_mT8_S1G_bDpT10_ENKUlT_T0_E_clISt17integral_constantIbLb1EES1T_IbLb0EEEEDaS1P_S1Q_EUlS1P_E_NS1_11comp_targetILNS1_3genE4ELNS1_11target_archE910ELNS1_3gpuE8ELNS1_3repE0EEENS1_30default_config_static_selectorELNS0_4arch9wavefront6targetE1EEEvS12_, .Lfunc_end32-_ZN7rocprim17ROCPRIM_400000_NS6detail17trampoline_kernelINS0_13select_configILj256ELj13ELNS0_17block_load_methodE3ELS4_3ELS4_3ELNS0_20block_scan_algorithmE0ELj4294967295EEENS1_25partition_config_selectorILNS1_17partition_subalgoE4EjNS0_10empty_typeEbEEZZNS1_14partition_implILS8_4ELb0ES6_15HIP_vector_typeIjLj2EENS0_17counting_iteratorIjlEEPS9_SG_NS0_5tupleIJPjSI_NS0_16reverse_iteratorISI_EEEEENSH_IJSG_SG_SG_EEES9_SI_JZNS1_25segmented_radix_sort_implINS0_14default_configELb1EPKhPhPKlPlN2at6native12_GLOBAL__N_18offset_tEEE10hipError_tPvRmT1_PNSt15iterator_traitsIS12_E10value_typeET2_T3_PNS13_IS18_E10value_typeET4_jRbjT5_S1E_jjP12ihipStream_tbEUljE_ZNSN_ISO_Lb1ESQ_SR_ST_SU_SY_EESZ_S10_S11_S12_S16_S17_S18_S1B_S1C_jS1D_jS1E_S1E_jjS1G_bEUljE0_EEESZ_S10_S11_S18_S1C_S1E_T6_T7_T9_mT8_S1G_bDpT10_ENKUlT_T0_E_clISt17integral_constantIbLb1EES1T_IbLb0EEEEDaS1P_S1Q_EUlS1P_E_NS1_11comp_targetILNS1_3genE4ELNS1_11target_archE910ELNS1_3gpuE8ELNS1_3repE0EEENS1_30default_config_static_selectorELNS0_4arch9wavefront6targetE1EEEvS12_
                                        ; -- End function
	.section	.AMDGPU.csdata,"",@progbits
; Kernel info:
; codeLenInByte = 13412
; NumSgprs: 94
; NumVgprs: 102
; NumAgprs: 0
; TotalNumVgprs: 102
; ScratchSize: 0
; MemoryBound: 0
; FloatMode: 240
; IeeeMode: 1
; LDSByteSize: 13340 bytes/workgroup (compile time only)
; SGPRBlocks: 11
; VGPRBlocks: 12
; NumSGPRsForWavesPerEU: 94
; NumVGPRsForWavesPerEU: 102
; AccumOffset: 104
; Occupancy: 4
; WaveLimiterHint : 1
; COMPUTE_PGM_RSRC2:SCRATCH_EN: 0
; COMPUTE_PGM_RSRC2:USER_SGPR: 6
; COMPUTE_PGM_RSRC2:TRAP_HANDLER: 0
; COMPUTE_PGM_RSRC2:TGID_X_EN: 1
; COMPUTE_PGM_RSRC2:TGID_Y_EN: 0
; COMPUTE_PGM_RSRC2:TGID_Z_EN: 0
; COMPUTE_PGM_RSRC2:TIDIG_COMP_CNT: 0
; COMPUTE_PGM_RSRC3_GFX90A:ACCUM_OFFSET: 25
; COMPUTE_PGM_RSRC3_GFX90A:TG_SPLIT: 0
	.section	.text._ZN7rocprim17ROCPRIM_400000_NS6detail17trampoline_kernelINS0_13select_configILj256ELj13ELNS0_17block_load_methodE3ELS4_3ELS4_3ELNS0_20block_scan_algorithmE0ELj4294967295EEENS1_25partition_config_selectorILNS1_17partition_subalgoE4EjNS0_10empty_typeEbEEZZNS1_14partition_implILS8_4ELb0ES6_15HIP_vector_typeIjLj2EENS0_17counting_iteratorIjlEEPS9_SG_NS0_5tupleIJPjSI_NS0_16reverse_iteratorISI_EEEEENSH_IJSG_SG_SG_EEES9_SI_JZNS1_25segmented_radix_sort_implINS0_14default_configELb1EPKhPhPKlPlN2at6native12_GLOBAL__N_18offset_tEEE10hipError_tPvRmT1_PNSt15iterator_traitsIS12_E10value_typeET2_T3_PNS13_IS18_E10value_typeET4_jRbjT5_S1E_jjP12ihipStream_tbEUljE_ZNSN_ISO_Lb1ESQ_SR_ST_SU_SY_EESZ_S10_S11_S12_S16_S17_S18_S1B_S1C_jS1D_jS1E_S1E_jjS1G_bEUljE0_EEESZ_S10_S11_S18_S1C_S1E_T6_T7_T9_mT8_S1G_bDpT10_ENKUlT_T0_E_clISt17integral_constantIbLb1EES1T_IbLb0EEEEDaS1P_S1Q_EUlS1P_E_NS1_11comp_targetILNS1_3genE3ELNS1_11target_archE908ELNS1_3gpuE7ELNS1_3repE0EEENS1_30default_config_static_selectorELNS0_4arch9wavefront6targetE1EEEvS12_,"axG",@progbits,_ZN7rocprim17ROCPRIM_400000_NS6detail17trampoline_kernelINS0_13select_configILj256ELj13ELNS0_17block_load_methodE3ELS4_3ELS4_3ELNS0_20block_scan_algorithmE0ELj4294967295EEENS1_25partition_config_selectorILNS1_17partition_subalgoE4EjNS0_10empty_typeEbEEZZNS1_14partition_implILS8_4ELb0ES6_15HIP_vector_typeIjLj2EENS0_17counting_iteratorIjlEEPS9_SG_NS0_5tupleIJPjSI_NS0_16reverse_iteratorISI_EEEEENSH_IJSG_SG_SG_EEES9_SI_JZNS1_25segmented_radix_sort_implINS0_14default_configELb1EPKhPhPKlPlN2at6native12_GLOBAL__N_18offset_tEEE10hipError_tPvRmT1_PNSt15iterator_traitsIS12_E10value_typeET2_T3_PNS13_IS18_E10value_typeET4_jRbjT5_S1E_jjP12ihipStream_tbEUljE_ZNSN_ISO_Lb1ESQ_SR_ST_SU_SY_EESZ_S10_S11_S12_S16_S17_S18_S1B_S1C_jS1D_jS1E_S1E_jjS1G_bEUljE0_EEESZ_S10_S11_S18_S1C_S1E_T6_T7_T9_mT8_S1G_bDpT10_ENKUlT_T0_E_clISt17integral_constantIbLb1EES1T_IbLb0EEEEDaS1P_S1Q_EUlS1P_E_NS1_11comp_targetILNS1_3genE3ELNS1_11target_archE908ELNS1_3gpuE7ELNS1_3repE0EEENS1_30default_config_static_selectorELNS0_4arch9wavefront6targetE1EEEvS12_,comdat
	.globl	_ZN7rocprim17ROCPRIM_400000_NS6detail17trampoline_kernelINS0_13select_configILj256ELj13ELNS0_17block_load_methodE3ELS4_3ELS4_3ELNS0_20block_scan_algorithmE0ELj4294967295EEENS1_25partition_config_selectorILNS1_17partition_subalgoE4EjNS0_10empty_typeEbEEZZNS1_14partition_implILS8_4ELb0ES6_15HIP_vector_typeIjLj2EENS0_17counting_iteratorIjlEEPS9_SG_NS0_5tupleIJPjSI_NS0_16reverse_iteratorISI_EEEEENSH_IJSG_SG_SG_EEES9_SI_JZNS1_25segmented_radix_sort_implINS0_14default_configELb1EPKhPhPKlPlN2at6native12_GLOBAL__N_18offset_tEEE10hipError_tPvRmT1_PNSt15iterator_traitsIS12_E10value_typeET2_T3_PNS13_IS18_E10value_typeET4_jRbjT5_S1E_jjP12ihipStream_tbEUljE_ZNSN_ISO_Lb1ESQ_SR_ST_SU_SY_EESZ_S10_S11_S12_S16_S17_S18_S1B_S1C_jS1D_jS1E_S1E_jjS1G_bEUljE0_EEESZ_S10_S11_S18_S1C_S1E_T6_T7_T9_mT8_S1G_bDpT10_ENKUlT_T0_E_clISt17integral_constantIbLb1EES1T_IbLb0EEEEDaS1P_S1Q_EUlS1P_E_NS1_11comp_targetILNS1_3genE3ELNS1_11target_archE908ELNS1_3gpuE7ELNS1_3repE0EEENS1_30default_config_static_selectorELNS0_4arch9wavefront6targetE1EEEvS12_ ; -- Begin function _ZN7rocprim17ROCPRIM_400000_NS6detail17trampoline_kernelINS0_13select_configILj256ELj13ELNS0_17block_load_methodE3ELS4_3ELS4_3ELNS0_20block_scan_algorithmE0ELj4294967295EEENS1_25partition_config_selectorILNS1_17partition_subalgoE4EjNS0_10empty_typeEbEEZZNS1_14partition_implILS8_4ELb0ES6_15HIP_vector_typeIjLj2EENS0_17counting_iteratorIjlEEPS9_SG_NS0_5tupleIJPjSI_NS0_16reverse_iteratorISI_EEEEENSH_IJSG_SG_SG_EEES9_SI_JZNS1_25segmented_radix_sort_implINS0_14default_configELb1EPKhPhPKlPlN2at6native12_GLOBAL__N_18offset_tEEE10hipError_tPvRmT1_PNSt15iterator_traitsIS12_E10value_typeET2_T3_PNS13_IS18_E10value_typeET4_jRbjT5_S1E_jjP12ihipStream_tbEUljE_ZNSN_ISO_Lb1ESQ_SR_ST_SU_SY_EESZ_S10_S11_S12_S16_S17_S18_S1B_S1C_jS1D_jS1E_S1E_jjS1G_bEUljE0_EEESZ_S10_S11_S18_S1C_S1E_T6_T7_T9_mT8_S1G_bDpT10_ENKUlT_T0_E_clISt17integral_constantIbLb1EES1T_IbLb0EEEEDaS1P_S1Q_EUlS1P_E_NS1_11comp_targetILNS1_3genE3ELNS1_11target_archE908ELNS1_3gpuE7ELNS1_3repE0EEENS1_30default_config_static_selectorELNS0_4arch9wavefront6targetE1EEEvS12_
	.p2align	8
	.type	_ZN7rocprim17ROCPRIM_400000_NS6detail17trampoline_kernelINS0_13select_configILj256ELj13ELNS0_17block_load_methodE3ELS4_3ELS4_3ELNS0_20block_scan_algorithmE0ELj4294967295EEENS1_25partition_config_selectorILNS1_17partition_subalgoE4EjNS0_10empty_typeEbEEZZNS1_14partition_implILS8_4ELb0ES6_15HIP_vector_typeIjLj2EENS0_17counting_iteratorIjlEEPS9_SG_NS0_5tupleIJPjSI_NS0_16reverse_iteratorISI_EEEEENSH_IJSG_SG_SG_EEES9_SI_JZNS1_25segmented_radix_sort_implINS0_14default_configELb1EPKhPhPKlPlN2at6native12_GLOBAL__N_18offset_tEEE10hipError_tPvRmT1_PNSt15iterator_traitsIS12_E10value_typeET2_T3_PNS13_IS18_E10value_typeET4_jRbjT5_S1E_jjP12ihipStream_tbEUljE_ZNSN_ISO_Lb1ESQ_SR_ST_SU_SY_EESZ_S10_S11_S12_S16_S17_S18_S1B_S1C_jS1D_jS1E_S1E_jjS1G_bEUljE0_EEESZ_S10_S11_S18_S1C_S1E_T6_T7_T9_mT8_S1G_bDpT10_ENKUlT_T0_E_clISt17integral_constantIbLb1EES1T_IbLb0EEEEDaS1P_S1Q_EUlS1P_E_NS1_11comp_targetILNS1_3genE3ELNS1_11target_archE908ELNS1_3gpuE7ELNS1_3repE0EEENS1_30default_config_static_selectorELNS0_4arch9wavefront6targetE1EEEvS12_,@function
_ZN7rocprim17ROCPRIM_400000_NS6detail17trampoline_kernelINS0_13select_configILj256ELj13ELNS0_17block_load_methodE3ELS4_3ELS4_3ELNS0_20block_scan_algorithmE0ELj4294967295EEENS1_25partition_config_selectorILNS1_17partition_subalgoE4EjNS0_10empty_typeEbEEZZNS1_14partition_implILS8_4ELb0ES6_15HIP_vector_typeIjLj2EENS0_17counting_iteratorIjlEEPS9_SG_NS0_5tupleIJPjSI_NS0_16reverse_iteratorISI_EEEEENSH_IJSG_SG_SG_EEES9_SI_JZNS1_25segmented_radix_sort_implINS0_14default_configELb1EPKhPhPKlPlN2at6native12_GLOBAL__N_18offset_tEEE10hipError_tPvRmT1_PNSt15iterator_traitsIS12_E10value_typeET2_T3_PNS13_IS18_E10value_typeET4_jRbjT5_S1E_jjP12ihipStream_tbEUljE_ZNSN_ISO_Lb1ESQ_SR_ST_SU_SY_EESZ_S10_S11_S12_S16_S17_S18_S1B_S1C_jS1D_jS1E_S1E_jjS1G_bEUljE0_EEESZ_S10_S11_S18_S1C_S1E_T6_T7_T9_mT8_S1G_bDpT10_ENKUlT_T0_E_clISt17integral_constantIbLb1EES1T_IbLb0EEEEDaS1P_S1Q_EUlS1P_E_NS1_11comp_targetILNS1_3genE3ELNS1_11target_archE908ELNS1_3gpuE7ELNS1_3repE0EEENS1_30default_config_static_selectorELNS0_4arch9wavefront6targetE1EEEvS12_: ; @_ZN7rocprim17ROCPRIM_400000_NS6detail17trampoline_kernelINS0_13select_configILj256ELj13ELNS0_17block_load_methodE3ELS4_3ELS4_3ELNS0_20block_scan_algorithmE0ELj4294967295EEENS1_25partition_config_selectorILNS1_17partition_subalgoE4EjNS0_10empty_typeEbEEZZNS1_14partition_implILS8_4ELb0ES6_15HIP_vector_typeIjLj2EENS0_17counting_iteratorIjlEEPS9_SG_NS0_5tupleIJPjSI_NS0_16reverse_iteratorISI_EEEEENSH_IJSG_SG_SG_EEES9_SI_JZNS1_25segmented_radix_sort_implINS0_14default_configELb1EPKhPhPKlPlN2at6native12_GLOBAL__N_18offset_tEEE10hipError_tPvRmT1_PNSt15iterator_traitsIS12_E10value_typeET2_T3_PNS13_IS18_E10value_typeET4_jRbjT5_S1E_jjP12ihipStream_tbEUljE_ZNSN_ISO_Lb1ESQ_SR_ST_SU_SY_EESZ_S10_S11_S12_S16_S17_S18_S1B_S1C_jS1D_jS1E_S1E_jjS1G_bEUljE0_EEESZ_S10_S11_S18_S1C_S1E_T6_T7_T9_mT8_S1G_bDpT10_ENKUlT_T0_E_clISt17integral_constantIbLb1EES1T_IbLb0EEEEDaS1P_S1Q_EUlS1P_E_NS1_11comp_targetILNS1_3genE3ELNS1_11target_archE908ELNS1_3gpuE7ELNS1_3repE0EEENS1_30default_config_static_selectorELNS0_4arch9wavefront6targetE1EEEvS12_
; %bb.0:
	.section	.rodata,"a",@progbits
	.p2align	6, 0x0
	.amdhsa_kernel _ZN7rocprim17ROCPRIM_400000_NS6detail17trampoline_kernelINS0_13select_configILj256ELj13ELNS0_17block_load_methodE3ELS4_3ELS4_3ELNS0_20block_scan_algorithmE0ELj4294967295EEENS1_25partition_config_selectorILNS1_17partition_subalgoE4EjNS0_10empty_typeEbEEZZNS1_14partition_implILS8_4ELb0ES6_15HIP_vector_typeIjLj2EENS0_17counting_iteratorIjlEEPS9_SG_NS0_5tupleIJPjSI_NS0_16reverse_iteratorISI_EEEEENSH_IJSG_SG_SG_EEES9_SI_JZNS1_25segmented_radix_sort_implINS0_14default_configELb1EPKhPhPKlPlN2at6native12_GLOBAL__N_18offset_tEEE10hipError_tPvRmT1_PNSt15iterator_traitsIS12_E10value_typeET2_T3_PNS13_IS18_E10value_typeET4_jRbjT5_S1E_jjP12ihipStream_tbEUljE_ZNSN_ISO_Lb1ESQ_SR_ST_SU_SY_EESZ_S10_S11_S12_S16_S17_S18_S1B_S1C_jS1D_jS1E_S1E_jjS1G_bEUljE0_EEESZ_S10_S11_S18_S1C_S1E_T6_T7_T9_mT8_S1G_bDpT10_ENKUlT_T0_E_clISt17integral_constantIbLb1EES1T_IbLb0EEEEDaS1P_S1Q_EUlS1P_E_NS1_11comp_targetILNS1_3genE3ELNS1_11target_archE908ELNS1_3gpuE7ELNS1_3repE0EEENS1_30default_config_static_selectorELNS0_4arch9wavefront6targetE1EEEvS12_
		.amdhsa_group_segment_fixed_size 0
		.amdhsa_private_segment_fixed_size 0
		.amdhsa_kernarg_size 176
		.amdhsa_user_sgpr_count 6
		.amdhsa_user_sgpr_private_segment_buffer 1
		.amdhsa_user_sgpr_dispatch_ptr 0
		.amdhsa_user_sgpr_queue_ptr 0
		.amdhsa_user_sgpr_kernarg_segment_ptr 1
		.amdhsa_user_sgpr_dispatch_id 0
		.amdhsa_user_sgpr_flat_scratch_init 0
		.amdhsa_user_sgpr_kernarg_preload_length 0
		.amdhsa_user_sgpr_kernarg_preload_offset 0
		.amdhsa_user_sgpr_private_segment_size 0
		.amdhsa_uses_dynamic_stack 0
		.amdhsa_system_sgpr_private_segment_wavefront_offset 0
		.amdhsa_system_sgpr_workgroup_id_x 1
		.amdhsa_system_sgpr_workgroup_id_y 0
		.amdhsa_system_sgpr_workgroup_id_z 0
		.amdhsa_system_sgpr_workgroup_info 0
		.amdhsa_system_vgpr_workitem_id 0
		.amdhsa_next_free_vgpr 1
		.amdhsa_next_free_sgpr 0
		.amdhsa_accum_offset 4
		.amdhsa_reserve_vcc 0
		.amdhsa_reserve_flat_scratch 0
		.amdhsa_float_round_mode_32 0
		.amdhsa_float_round_mode_16_64 0
		.amdhsa_float_denorm_mode_32 3
		.amdhsa_float_denorm_mode_16_64 3
		.amdhsa_dx10_clamp 1
		.amdhsa_ieee_mode 1
		.amdhsa_fp16_overflow 0
		.amdhsa_tg_split 0
		.amdhsa_exception_fp_ieee_invalid_op 0
		.amdhsa_exception_fp_denorm_src 0
		.amdhsa_exception_fp_ieee_div_zero 0
		.amdhsa_exception_fp_ieee_overflow 0
		.amdhsa_exception_fp_ieee_underflow 0
		.amdhsa_exception_fp_ieee_inexact 0
		.amdhsa_exception_int_div_zero 0
	.end_amdhsa_kernel
	.section	.text._ZN7rocprim17ROCPRIM_400000_NS6detail17trampoline_kernelINS0_13select_configILj256ELj13ELNS0_17block_load_methodE3ELS4_3ELS4_3ELNS0_20block_scan_algorithmE0ELj4294967295EEENS1_25partition_config_selectorILNS1_17partition_subalgoE4EjNS0_10empty_typeEbEEZZNS1_14partition_implILS8_4ELb0ES6_15HIP_vector_typeIjLj2EENS0_17counting_iteratorIjlEEPS9_SG_NS0_5tupleIJPjSI_NS0_16reverse_iteratorISI_EEEEENSH_IJSG_SG_SG_EEES9_SI_JZNS1_25segmented_radix_sort_implINS0_14default_configELb1EPKhPhPKlPlN2at6native12_GLOBAL__N_18offset_tEEE10hipError_tPvRmT1_PNSt15iterator_traitsIS12_E10value_typeET2_T3_PNS13_IS18_E10value_typeET4_jRbjT5_S1E_jjP12ihipStream_tbEUljE_ZNSN_ISO_Lb1ESQ_SR_ST_SU_SY_EESZ_S10_S11_S12_S16_S17_S18_S1B_S1C_jS1D_jS1E_S1E_jjS1G_bEUljE0_EEESZ_S10_S11_S18_S1C_S1E_T6_T7_T9_mT8_S1G_bDpT10_ENKUlT_T0_E_clISt17integral_constantIbLb1EES1T_IbLb0EEEEDaS1P_S1Q_EUlS1P_E_NS1_11comp_targetILNS1_3genE3ELNS1_11target_archE908ELNS1_3gpuE7ELNS1_3repE0EEENS1_30default_config_static_selectorELNS0_4arch9wavefront6targetE1EEEvS12_,"axG",@progbits,_ZN7rocprim17ROCPRIM_400000_NS6detail17trampoline_kernelINS0_13select_configILj256ELj13ELNS0_17block_load_methodE3ELS4_3ELS4_3ELNS0_20block_scan_algorithmE0ELj4294967295EEENS1_25partition_config_selectorILNS1_17partition_subalgoE4EjNS0_10empty_typeEbEEZZNS1_14partition_implILS8_4ELb0ES6_15HIP_vector_typeIjLj2EENS0_17counting_iteratorIjlEEPS9_SG_NS0_5tupleIJPjSI_NS0_16reverse_iteratorISI_EEEEENSH_IJSG_SG_SG_EEES9_SI_JZNS1_25segmented_radix_sort_implINS0_14default_configELb1EPKhPhPKlPlN2at6native12_GLOBAL__N_18offset_tEEE10hipError_tPvRmT1_PNSt15iterator_traitsIS12_E10value_typeET2_T3_PNS13_IS18_E10value_typeET4_jRbjT5_S1E_jjP12ihipStream_tbEUljE_ZNSN_ISO_Lb1ESQ_SR_ST_SU_SY_EESZ_S10_S11_S12_S16_S17_S18_S1B_S1C_jS1D_jS1E_S1E_jjS1G_bEUljE0_EEESZ_S10_S11_S18_S1C_S1E_T6_T7_T9_mT8_S1G_bDpT10_ENKUlT_T0_E_clISt17integral_constantIbLb1EES1T_IbLb0EEEEDaS1P_S1Q_EUlS1P_E_NS1_11comp_targetILNS1_3genE3ELNS1_11target_archE908ELNS1_3gpuE7ELNS1_3repE0EEENS1_30default_config_static_selectorELNS0_4arch9wavefront6targetE1EEEvS12_,comdat
.Lfunc_end33:
	.size	_ZN7rocprim17ROCPRIM_400000_NS6detail17trampoline_kernelINS0_13select_configILj256ELj13ELNS0_17block_load_methodE3ELS4_3ELS4_3ELNS0_20block_scan_algorithmE0ELj4294967295EEENS1_25partition_config_selectorILNS1_17partition_subalgoE4EjNS0_10empty_typeEbEEZZNS1_14partition_implILS8_4ELb0ES6_15HIP_vector_typeIjLj2EENS0_17counting_iteratorIjlEEPS9_SG_NS0_5tupleIJPjSI_NS0_16reverse_iteratorISI_EEEEENSH_IJSG_SG_SG_EEES9_SI_JZNS1_25segmented_radix_sort_implINS0_14default_configELb1EPKhPhPKlPlN2at6native12_GLOBAL__N_18offset_tEEE10hipError_tPvRmT1_PNSt15iterator_traitsIS12_E10value_typeET2_T3_PNS13_IS18_E10value_typeET4_jRbjT5_S1E_jjP12ihipStream_tbEUljE_ZNSN_ISO_Lb1ESQ_SR_ST_SU_SY_EESZ_S10_S11_S12_S16_S17_S18_S1B_S1C_jS1D_jS1E_S1E_jjS1G_bEUljE0_EEESZ_S10_S11_S18_S1C_S1E_T6_T7_T9_mT8_S1G_bDpT10_ENKUlT_T0_E_clISt17integral_constantIbLb1EES1T_IbLb0EEEEDaS1P_S1Q_EUlS1P_E_NS1_11comp_targetILNS1_3genE3ELNS1_11target_archE908ELNS1_3gpuE7ELNS1_3repE0EEENS1_30default_config_static_selectorELNS0_4arch9wavefront6targetE1EEEvS12_, .Lfunc_end33-_ZN7rocprim17ROCPRIM_400000_NS6detail17trampoline_kernelINS0_13select_configILj256ELj13ELNS0_17block_load_methodE3ELS4_3ELS4_3ELNS0_20block_scan_algorithmE0ELj4294967295EEENS1_25partition_config_selectorILNS1_17partition_subalgoE4EjNS0_10empty_typeEbEEZZNS1_14partition_implILS8_4ELb0ES6_15HIP_vector_typeIjLj2EENS0_17counting_iteratorIjlEEPS9_SG_NS0_5tupleIJPjSI_NS0_16reverse_iteratorISI_EEEEENSH_IJSG_SG_SG_EEES9_SI_JZNS1_25segmented_radix_sort_implINS0_14default_configELb1EPKhPhPKlPlN2at6native12_GLOBAL__N_18offset_tEEE10hipError_tPvRmT1_PNSt15iterator_traitsIS12_E10value_typeET2_T3_PNS13_IS18_E10value_typeET4_jRbjT5_S1E_jjP12ihipStream_tbEUljE_ZNSN_ISO_Lb1ESQ_SR_ST_SU_SY_EESZ_S10_S11_S12_S16_S17_S18_S1B_S1C_jS1D_jS1E_S1E_jjS1G_bEUljE0_EEESZ_S10_S11_S18_S1C_S1E_T6_T7_T9_mT8_S1G_bDpT10_ENKUlT_T0_E_clISt17integral_constantIbLb1EES1T_IbLb0EEEEDaS1P_S1Q_EUlS1P_E_NS1_11comp_targetILNS1_3genE3ELNS1_11target_archE908ELNS1_3gpuE7ELNS1_3repE0EEENS1_30default_config_static_selectorELNS0_4arch9wavefront6targetE1EEEvS12_
                                        ; -- End function
	.section	.AMDGPU.csdata,"",@progbits
; Kernel info:
; codeLenInByte = 0
; NumSgprs: 4
; NumVgprs: 0
; NumAgprs: 0
; TotalNumVgprs: 0
; ScratchSize: 0
; MemoryBound: 0
; FloatMode: 240
; IeeeMode: 1
; LDSByteSize: 0 bytes/workgroup (compile time only)
; SGPRBlocks: 0
; VGPRBlocks: 0
; NumSGPRsForWavesPerEU: 4
; NumVGPRsForWavesPerEU: 1
; AccumOffset: 4
; Occupancy: 8
; WaveLimiterHint : 0
; COMPUTE_PGM_RSRC2:SCRATCH_EN: 0
; COMPUTE_PGM_RSRC2:USER_SGPR: 6
; COMPUTE_PGM_RSRC2:TRAP_HANDLER: 0
; COMPUTE_PGM_RSRC2:TGID_X_EN: 1
; COMPUTE_PGM_RSRC2:TGID_Y_EN: 0
; COMPUTE_PGM_RSRC2:TGID_Z_EN: 0
; COMPUTE_PGM_RSRC2:TIDIG_COMP_CNT: 0
; COMPUTE_PGM_RSRC3_GFX90A:ACCUM_OFFSET: 0
; COMPUTE_PGM_RSRC3_GFX90A:TG_SPLIT: 0
	.section	.text._ZN7rocprim17ROCPRIM_400000_NS6detail17trampoline_kernelINS0_13select_configILj256ELj13ELNS0_17block_load_methodE3ELS4_3ELS4_3ELNS0_20block_scan_algorithmE0ELj4294967295EEENS1_25partition_config_selectorILNS1_17partition_subalgoE4EjNS0_10empty_typeEbEEZZNS1_14partition_implILS8_4ELb0ES6_15HIP_vector_typeIjLj2EENS0_17counting_iteratorIjlEEPS9_SG_NS0_5tupleIJPjSI_NS0_16reverse_iteratorISI_EEEEENSH_IJSG_SG_SG_EEES9_SI_JZNS1_25segmented_radix_sort_implINS0_14default_configELb1EPKhPhPKlPlN2at6native12_GLOBAL__N_18offset_tEEE10hipError_tPvRmT1_PNSt15iterator_traitsIS12_E10value_typeET2_T3_PNS13_IS18_E10value_typeET4_jRbjT5_S1E_jjP12ihipStream_tbEUljE_ZNSN_ISO_Lb1ESQ_SR_ST_SU_SY_EESZ_S10_S11_S12_S16_S17_S18_S1B_S1C_jS1D_jS1E_S1E_jjS1G_bEUljE0_EEESZ_S10_S11_S18_S1C_S1E_T6_T7_T9_mT8_S1G_bDpT10_ENKUlT_T0_E_clISt17integral_constantIbLb1EES1T_IbLb0EEEEDaS1P_S1Q_EUlS1P_E_NS1_11comp_targetILNS1_3genE2ELNS1_11target_archE906ELNS1_3gpuE6ELNS1_3repE0EEENS1_30default_config_static_selectorELNS0_4arch9wavefront6targetE1EEEvS12_,"axG",@progbits,_ZN7rocprim17ROCPRIM_400000_NS6detail17trampoline_kernelINS0_13select_configILj256ELj13ELNS0_17block_load_methodE3ELS4_3ELS4_3ELNS0_20block_scan_algorithmE0ELj4294967295EEENS1_25partition_config_selectorILNS1_17partition_subalgoE4EjNS0_10empty_typeEbEEZZNS1_14partition_implILS8_4ELb0ES6_15HIP_vector_typeIjLj2EENS0_17counting_iteratorIjlEEPS9_SG_NS0_5tupleIJPjSI_NS0_16reverse_iteratorISI_EEEEENSH_IJSG_SG_SG_EEES9_SI_JZNS1_25segmented_radix_sort_implINS0_14default_configELb1EPKhPhPKlPlN2at6native12_GLOBAL__N_18offset_tEEE10hipError_tPvRmT1_PNSt15iterator_traitsIS12_E10value_typeET2_T3_PNS13_IS18_E10value_typeET4_jRbjT5_S1E_jjP12ihipStream_tbEUljE_ZNSN_ISO_Lb1ESQ_SR_ST_SU_SY_EESZ_S10_S11_S12_S16_S17_S18_S1B_S1C_jS1D_jS1E_S1E_jjS1G_bEUljE0_EEESZ_S10_S11_S18_S1C_S1E_T6_T7_T9_mT8_S1G_bDpT10_ENKUlT_T0_E_clISt17integral_constantIbLb1EES1T_IbLb0EEEEDaS1P_S1Q_EUlS1P_E_NS1_11comp_targetILNS1_3genE2ELNS1_11target_archE906ELNS1_3gpuE6ELNS1_3repE0EEENS1_30default_config_static_selectorELNS0_4arch9wavefront6targetE1EEEvS12_,comdat
	.globl	_ZN7rocprim17ROCPRIM_400000_NS6detail17trampoline_kernelINS0_13select_configILj256ELj13ELNS0_17block_load_methodE3ELS4_3ELS4_3ELNS0_20block_scan_algorithmE0ELj4294967295EEENS1_25partition_config_selectorILNS1_17partition_subalgoE4EjNS0_10empty_typeEbEEZZNS1_14partition_implILS8_4ELb0ES6_15HIP_vector_typeIjLj2EENS0_17counting_iteratorIjlEEPS9_SG_NS0_5tupleIJPjSI_NS0_16reverse_iteratorISI_EEEEENSH_IJSG_SG_SG_EEES9_SI_JZNS1_25segmented_radix_sort_implINS0_14default_configELb1EPKhPhPKlPlN2at6native12_GLOBAL__N_18offset_tEEE10hipError_tPvRmT1_PNSt15iterator_traitsIS12_E10value_typeET2_T3_PNS13_IS18_E10value_typeET4_jRbjT5_S1E_jjP12ihipStream_tbEUljE_ZNSN_ISO_Lb1ESQ_SR_ST_SU_SY_EESZ_S10_S11_S12_S16_S17_S18_S1B_S1C_jS1D_jS1E_S1E_jjS1G_bEUljE0_EEESZ_S10_S11_S18_S1C_S1E_T6_T7_T9_mT8_S1G_bDpT10_ENKUlT_T0_E_clISt17integral_constantIbLb1EES1T_IbLb0EEEEDaS1P_S1Q_EUlS1P_E_NS1_11comp_targetILNS1_3genE2ELNS1_11target_archE906ELNS1_3gpuE6ELNS1_3repE0EEENS1_30default_config_static_selectorELNS0_4arch9wavefront6targetE1EEEvS12_ ; -- Begin function _ZN7rocprim17ROCPRIM_400000_NS6detail17trampoline_kernelINS0_13select_configILj256ELj13ELNS0_17block_load_methodE3ELS4_3ELS4_3ELNS0_20block_scan_algorithmE0ELj4294967295EEENS1_25partition_config_selectorILNS1_17partition_subalgoE4EjNS0_10empty_typeEbEEZZNS1_14partition_implILS8_4ELb0ES6_15HIP_vector_typeIjLj2EENS0_17counting_iteratorIjlEEPS9_SG_NS0_5tupleIJPjSI_NS0_16reverse_iteratorISI_EEEEENSH_IJSG_SG_SG_EEES9_SI_JZNS1_25segmented_radix_sort_implINS0_14default_configELb1EPKhPhPKlPlN2at6native12_GLOBAL__N_18offset_tEEE10hipError_tPvRmT1_PNSt15iterator_traitsIS12_E10value_typeET2_T3_PNS13_IS18_E10value_typeET4_jRbjT5_S1E_jjP12ihipStream_tbEUljE_ZNSN_ISO_Lb1ESQ_SR_ST_SU_SY_EESZ_S10_S11_S12_S16_S17_S18_S1B_S1C_jS1D_jS1E_S1E_jjS1G_bEUljE0_EEESZ_S10_S11_S18_S1C_S1E_T6_T7_T9_mT8_S1G_bDpT10_ENKUlT_T0_E_clISt17integral_constantIbLb1EES1T_IbLb0EEEEDaS1P_S1Q_EUlS1P_E_NS1_11comp_targetILNS1_3genE2ELNS1_11target_archE906ELNS1_3gpuE6ELNS1_3repE0EEENS1_30default_config_static_selectorELNS0_4arch9wavefront6targetE1EEEvS12_
	.p2align	8
	.type	_ZN7rocprim17ROCPRIM_400000_NS6detail17trampoline_kernelINS0_13select_configILj256ELj13ELNS0_17block_load_methodE3ELS4_3ELS4_3ELNS0_20block_scan_algorithmE0ELj4294967295EEENS1_25partition_config_selectorILNS1_17partition_subalgoE4EjNS0_10empty_typeEbEEZZNS1_14partition_implILS8_4ELb0ES6_15HIP_vector_typeIjLj2EENS0_17counting_iteratorIjlEEPS9_SG_NS0_5tupleIJPjSI_NS0_16reverse_iteratorISI_EEEEENSH_IJSG_SG_SG_EEES9_SI_JZNS1_25segmented_radix_sort_implINS0_14default_configELb1EPKhPhPKlPlN2at6native12_GLOBAL__N_18offset_tEEE10hipError_tPvRmT1_PNSt15iterator_traitsIS12_E10value_typeET2_T3_PNS13_IS18_E10value_typeET4_jRbjT5_S1E_jjP12ihipStream_tbEUljE_ZNSN_ISO_Lb1ESQ_SR_ST_SU_SY_EESZ_S10_S11_S12_S16_S17_S18_S1B_S1C_jS1D_jS1E_S1E_jjS1G_bEUljE0_EEESZ_S10_S11_S18_S1C_S1E_T6_T7_T9_mT8_S1G_bDpT10_ENKUlT_T0_E_clISt17integral_constantIbLb1EES1T_IbLb0EEEEDaS1P_S1Q_EUlS1P_E_NS1_11comp_targetILNS1_3genE2ELNS1_11target_archE906ELNS1_3gpuE6ELNS1_3repE0EEENS1_30default_config_static_selectorELNS0_4arch9wavefront6targetE1EEEvS12_,@function
_ZN7rocprim17ROCPRIM_400000_NS6detail17trampoline_kernelINS0_13select_configILj256ELj13ELNS0_17block_load_methodE3ELS4_3ELS4_3ELNS0_20block_scan_algorithmE0ELj4294967295EEENS1_25partition_config_selectorILNS1_17partition_subalgoE4EjNS0_10empty_typeEbEEZZNS1_14partition_implILS8_4ELb0ES6_15HIP_vector_typeIjLj2EENS0_17counting_iteratorIjlEEPS9_SG_NS0_5tupleIJPjSI_NS0_16reverse_iteratorISI_EEEEENSH_IJSG_SG_SG_EEES9_SI_JZNS1_25segmented_radix_sort_implINS0_14default_configELb1EPKhPhPKlPlN2at6native12_GLOBAL__N_18offset_tEEE10hipError_tPvRmT1_PNSt15iterator_traitsIS12_E10value_typeET2_T3_PNS13_IS18_E10value_typeET4_jRbjT5_S1E_jjP12ihipStream_tbEUljE_ZNSN_ISO_Lb1ESQ_SR_ST_SU_SY_EESZ_S10_S11_S12_S16_S17_S18_S1B_S1C_jS1D_jS1E_S1E_jjS1G_bEUljE0_EEESZ_S10_S11_S18_S1C_S1E_T6_T7_T9_mT8_S1G_bDpT10_ENKUlT_T0_E_clISt17integral_constantIbLb1EES1T_IbLb0EEEEDaS1P_S1Q_EUlS1P_E_NS1_11comp_targetILNS1_3genE2ELNS1_11target_archE906ELNS1_3gpuE6ELNS1_3repE0EEENS1_30default_config_static_selectorELNS0_4arch9wavefront6targetE1EEEvS12_: ; @_ZN7rocprim17ROCPRIM_400000_NS6detail17trampoline_kernelINS0_13select_configILj256ELj13ELNS0_17block_load_methodE3ELS4_3ELS4_3ELNS0_20block_scan_algorithmE0ELj4294967295EEENS1_25partition_config_selectorILNS1_17partition_subalgoE4EjNS0_10empty_typeEbEEZZNS1_14partition_implILS8_4ELb0ES6_15HIP_vector_typeIjLj2EENS0_17counting_iteratorIjlEEPS9_SG_NS0_5tupleIJPjSI_NS0_16reverse_iteratorISI_EEEEENSH_IJSG_SG_SG_EEES9_SI_JZNS1_25segmented_radix_sort_implINS0_14default_configELb1EPKhPhPKlPlN2at6native12_GLOBAL__N_18offset_tEEE10hipError_tPvRmT1_PNSt15iterator_traitsIS12_E10value_typeET2_T3_PNS13_IS18_E10value_typeET4_jRbjT5_S1E_jjP12ihipStream_tbEUljE_ZNSN_ISO_Lb1ESQ_SR_ST_SU_SY_EESZ_S10_S11_S12_S16_S17_S18_S1B_S1C_jS1D_jS1E_S1E_jjS1G_bEUljE0_EEESZ_S10_S11_S18_S1C_S1E_T6_T7_T9_mT8_S1G_bDpT10_ENKUlT_T0_E_clISt17integral_constantIbLb1EES1T_IbLb0EEEEDaS1P_S1Q_EUlS1P_E_NS1_11comp_targetILNS1_3genE2ELNS1_11target_archE906ELNS1_3gpuE6ELNS1_3repE0EEENS1_30default_config_static_selectorELNS0_4arch9wavefront6targetE1EEEvS12_
; %bb.0:
	.section	.rodata,"a",@progbits
	.p2align	6, 0x0
	.amdhsa_kernel _ZN7rocprim17ROCPRIM_400000_NS6detail17trampoline_kernelINS0_13select_configILj256ELj13ELNS0_17block_load_methodE3ELS4_3ELS4_3ELNS0_20block_scan_algorithmE0ELj4294967295EEENS1_25partition_config_selectorILNS1_17partition_subalgoE4EjNS0_10empty_typeEbEEZZNS1_14partition_implILS8_4ELb0ES6_15HIP_vector_typeIjLj2EENS0_17counting_iteratorIjlEEPS9_SG_NS0_5tupleIJPjSI_NS0_16reverse_iteratorISI_EEEEENSH_IJSG_SG_SG_EEES9_SI_JZNS1_25segmented_radix_sort_implINS0_14default_configELb1EPKhPhPKlPlN2at6native12_GLOBAL__N_18offset_tEEE10hipError_tPvRmT1_PNSt15iterator_traitsIS12_E10value_typeET2_T3_PNS13_IS18_E10value_typeET4_jRbjT5_S1E_jjP12ihipStream_tbEUljE_ZNSN_ISO_Lb1ESQ_SR_ST_SU_SY_EESZ_S10_S11_S12_S16_S17_S18_S1B_S1C_jS1D_jS1E_S1E_jjS1G_bEUljE0_EEESZ_S10_S11_S18_S1C_S1E_T6_T7_T9_mT8_S1G_bDpT10_ENKUlT_T0_E_clISt17integral_constantIbLb1EES1T_IbLb0EEEEDaS1P_S1Q_EUlS1P_E_NS1_11comp_targetILNS1_3genE2ELNS1_11target_archE906ELNS1_3gpuE6ELNS1_3repE0EEENS1_30default_config_static_selectorELNS0_4arch9wavefront6targetE1EEEvS12_
		.amdhsa_group_segment_fixed_size 0
		.amdhsa_private_segment_fixed_size 0
		.amdhsa_kernarg_size 176
		.amdhsa_user_sgpr_count 6
		.amdhsa_user_sgpr_private_segment_buffer 1
		.amdhsa_user_sgpr_dispatch_ptr 0
		.amdhsa_user_sgpr_queue_ptr 0
		.amdhsa_user_sgpr_kernarg_segment_ptr 1
		.amdhsa_user_sgpr_dispatch_id 0
		.amdhsa_user_sgpr_flat_scratch_init 0
		.amdhsa_user_sgpr_kernarg_preload_length 0
		.amdhsa_user_sgpr_kernarg_preload_offset 0
		.amdhsa_user_sgpr_private_segment_size 0
		.amdhsa_uses_dynamic_stack 0
		.amdhsa_system_sgpr_private_segment_wavefront_offset 0
		.amdhsa_system_sgpr_workgroup_id_x 1
		.amdhsa_system_sgpr_workgroup_id_y 0
		.amdhsa_system_sgpr_workgroup_id_z 0
		.amdhsa_system_sgpr_workgroup_info 0
		.amdhsa_system_vgpr_workitem_id 0
		.amdhsa_next_free_vgpr 1
		.amdhsa_next_free_sgpr 0
		.amdhsa_accum_offset 4
		.amdhsa_reserve_vcc 0
		.amdhsa_reserve_flat_scratch 0
		.amdhsa_float_round_mode_32 0
		.amdhsa_float_round_mode_16_64 0
		.amdhsa_float_denorm_mode_32 3
		.amdhsa_float_denorm_mode_16_64 3
		.amdhsa_dx10_clamp 1
		.amdhsa_ieee_mode 1
		.amdhsa_fp16_overflow 0
		.amdhsa_tg_split 0
		.amdhsa_exception_fp_ieee_invalid_op 0
		.amdhsa_exception_fp_denorm_src 0
		.amdhsa_exception_fp_ieee_div_zero 0
		.amdhsa_exception_fp_ieee_overflow 0
		.amdhsa_exception_fp_ieee_underflow 0
		.amdhsa_exception_fp_ieee_inexact 0
		.amdhsa_exception_int_div_zero 0
	.end_amdhsa_kernel
	.section	.text._ZN7rocprim17ROCPRIM_400000_NS6detail17trampoline_kernelINS0_13select_configILj256ELj13ELNS0_17block_load_methodE3ELS4_3ELS4_3ELNS0_20block_scan_algorithmE0ELj4294967295EEENS1_25partition_config_selectorILNS1_17partition_subalgoE4EjNS0_10empty_typeEbEEZZNS1_14partition_implILS8_4ELb0ES6_15HIP_vector_typeIjLj2EENS0_17counting_iteratorIjlEEPS9_SG_NS0_5tupleIJPjSI_NS0_16reverse_iteratorISI_EEEEENSH_IJSG_SG_SG_EEES9_SI_JZNS1_25segmented_radix_sort_implINS0_14default_configELb1EPKhPhPKlPlN2at6native12_GLOBAL__N_18offset_tEEE10hipError_tPvRmT1_PNSt15iterator_traitsIS12_E10value_typeET2_T3_PNS13_IS18_E10value_typeET4_jRbjT5_S1E_jjP12ihipStream_tbEUljE_ZNSN_ISO_Lb1ESQ_SR_ST_SU_SY_EESZ_S10_S11_S12_S16_S17_S18_S1B_S1C_jS1D_jS1E_S1E_jjS1G_bEUljE0_EEESZ_S10_S11_S18_S1C_S1E_T6_T7_T9_mT8_S1G_bDpT10_ENKUlT_T0_E_clISt17integral_constantIbLb1EES1T_IbLb0EEEEDaS1P_S1Q_EUlS1P_E_NS1_11comp_targetILNS1_3genE2ELNS1_11target_archE906ELNS1_3gpuE6ELNS1_3repE0EEENS1_30default_config_static_selectorELNS0_4arch9wavefront6targetE1EEEvS12_,"axG",@progbits,_ZN7rocprim17ROCPRIM_400000_NS6detail17trampoline_kernelINS0_13select_configILj256ELj13ELNS0_17block_load_methodE3ELS4_3ELS4_3ELNS0_20block_scan_algorithmE0ELj4294967295EEENS1_25partition_config_selectorILNS1_17partition_subalgoE4EjNS0_10empty_typeEbEEZZNS1_14partition_implILS8_4ELb0ES6_15HIP_vector_typeIjLj2EENS0_17counting_iteratorIjlEEPS9_SG_NS0_5tupleIJPjSI_NS0_16reverse_iteratorISI_EEEEENSH_IJSG_SG_SG_EEES9_SI_JZNS1_25segmented_radix_sort_implINS0_14default_configELb1EPKhPhPKlPlN2at6native12_GLOBAL__N_18offset_tEEE10hipError_tPvRmT1_PNSt15iterator_traitsIS12_E10value_typeET2_T3_PNS13_IS18_E10value_typeET4_jRbjT5_S1E_jjP12ihipStream_tbEUljE_ZNSN_ISO_Lb1ESQ_SR_ST_SU_SY_EESZ_S10_S11_S12_S16_S17_S18_S1B_S1C_jS1D_jS1E_S1E_jjS1G_bEUljE0_EEESZ_S10_S11_S18_S1C_S1E_T6_T7_T9_mT8_S1G_bDpT10_ENKUlT_T0_E_clISt17integral_constantIbLb1EES1T_IbLb0EEEEDaS1P_S1Q_EUlS1P_E_NS1_11comp_targetILNS1_3genE2ELNS1_11target_archE906ELNS1_3gpuE6ELNS1_3repE0EEENS1_30default_config_static_selectorELNS0_4arch9wavefront6targetE1EEEvS12_,comdat
.Lfunc_end34:
	.size	_ZN7rocprim17ROCPRIM_400000_NS6detail17trampoline_kernelINS0_13select_configILj256ELj13ELNS0_17block_load_methodE3ELS4_3ELS4_3ELNS0_20block_scan_algorithmE0ELj4294967295EEENS1_25partition_config_selectorILNS1_17partition_subalgoE4EjNS0_10empty_typeEbEEZZNS1_14partition_implILS8_4ELb0ES6_15HIP_vector_typeIjLj2EENS0_17counting_iteratorIjlEEPS9_SG_NS0_5tupleIJPjSI_NS0_16reverse_iteratorISI_EEEEENSH_IJSG_SG_SG_EEES9_SI_JZNS1_25segmented_radix_sort_implINS0_14default_configELb1EPKhPhPKlPlN2at6native12_GLOBAL__N_18offset_tEEE10hipError_tPvRmT1_PNSt15iterator_traitsIS12_E10value_typeET2_T3_PNS13_IS18_E10value_typeET4_jRbjT5_S1E_jjP12ihipStream_tbEUljE_ZNSN_ISO_Lb1ESQ_SR_ST_SU_SY_EESZ_S10_S11_S12_S16_S17_S18_S1B_S1C_jS1D_jS1E_S1E_jjS1G_bEUljE0_EEESZ_S10_S11_S18_S1C_S1E_T6_T7_T9_mT8_S1G_bDpT10_ENKUlT_T0_E_clISt17integral_constantIbLb1EES1T_IbLb0EEEEDaS1P_S1Q_EUlS1P_E_NS1_11comp_targetILNS1_3genE2ELNS1_11target_archE906ELNS1_3gpuE6ELNS1_3repE0EEENS1_30default_config_static_selectorELNS0_4arch9wavefront6targetE1EEEvS12_, .Lfunc_end34-_ZN7rocprim17ROCPRIM_400000_NS6detail17trampoline_kernelINS0_13select_configILj256ELj13ELNS0_17block_load_methodE3ELS4_3ELS4_3ELNS0_20block_scan_algorithmE0ELj4294967295EEENS1_25partition_config_selectorILNS1_17partition_subalgoE4EjNS0_10empty_typeEbEEZZNS1_14partition_implILS8_4ELb0ES6_15HIP_vector_typeIjLj2EENS0_17counting_iteratorIjlEEPS9_SG_NS0_5tupleIJPjSI_NS0_16reverse_iteratorISI_EEEEENSH_IJSG_SG_SG_EEES9_SI_JZNS1_25segmented_radix_sort_implINS0_14default_configELb1EPKhPhPKlPlN2at6native12_GLOBAL__N_18offset_tEEE10hipError_tPvRmT1_PNSt15iterator_traitsIS12_E10value_typeET2_T3_PNS13_IS18_E10value_typeET4_jRbjT5_S1E_jjP12ihipStream_tbEUljE_ZNSN_ISO_Lb1ESQ_SR_ST_SU_SY_EESZ_S10_S11_S12_S16_S17_S18_S1B_S1C_jS1D_jS1E_S1E_jjS1G_bEUljE0_EEESZ_S10_S11_S18_S1C_S1E_T6_T7_T9_mT8_S1G_bDpT10_ENKUlT_T0_E_clISt17integral_constantIbLb1EES1T_IbLb0EEEEDaS1P_S1Q_EUlS1P_E_NS1_11comp_targetILNS1_3genE2ELNS1_11target_archE906ELNS1_3gpuE6ELNS1_3repE0EEENS1_30default_config_static_selectorELNS0_4arch9wavefront6targetE1EEEvS12_
                                        ; -- End function
	.section	.AMDGPU.csdata,"",@progbits
; Kernel info:
; codeLenInByte = 0
; NumSgprs: 4
; NumVgprs: 0
; NumAgprs: 0
; TotalNumVgprs: 0
; ScratchSize: 0
; MemoryBound: 0
; FloatMode: 240
; IeeeMode: 1
; LDSByteSize: 0 bytes/workgroup (compile time only)
; SGPRBlocks: 0
; VGPRBlocks: 0
; NumSGPRsForWavesPerEU: 4
; NumVGPRsForWavesPerEU: 1
; AccumOffset: 4
; Occupancy: 8
; WaveLimiterHint : 0
; COMPUTE_PGM_RSRC2:SCRATCH_EN: 0
; COMPUTE_PGM_RSRC2:USER_SGPR: 6
; COMPUTE_PGM_RSRC2:TRAP_HANDLER: 0
; COMPUTE_PGM_RSRC2:TGID_X_EN: 1
; COMPUTE_PGM_RSRC2:TGID_Y_EN: 0
; COMPUTE_PGM_RSRC2:TGID_Z_EN: 0
; COMPUTE_PGM_RSRC2:TIDIG_COMP_CNT: 0
; COMPUTE_PGM_RSRC3_GFX90A:ACCUM_OFFSET: 0
; COMPUTE_PGM_RSRC3_GFX90A:TG_SPLIT: 0
	.section	.text._ZN7rocprim17ROCPRIM_400000_NS6detail17trampoline_kernelINS0_13select_configILj256ELj13ELNS0_17block_load_methodE3ELS4_3ELS4_3ELNS0_20block_scan_algorithmE0ELj4294967295EEENS1_25partition_config_selectorILNS1_17partition_subalgoE4EjNS0_10empty_typeEbEEZZNS1_14partition_implILS8_4ELb0ES6_15HIP_vector_typeIjLj2EENS0_17counting_iteratorIjlEEPS9_SG_NS0_5tupleIJPjSI_NS0_16reverse_iteratorISI_EEEEENSH_IJSG_SG_SG_EEES9_SI_JZNS1_25segmented_radix_sort_implINS0_14default_configELb1EPKhPhPKlPlN2at6native12_GLOBAL__N_18offset_tEEE10hipError_tPvRmT1_PNSt15iterator_traitsIS12_E10value_typeET2_T3_PNS13_IS18_E10value_typeET4_jRbjT5_S1E_jjP12ihipStream_tbEUljE_ZNSN_ISO_Lb1ESQ_SR_ST_SU_SY_EESZ_S10_S11_S12_S16_S17_S18_S1B_S1C_jS1D_jS1E_S1E_jjS1G_bEUljE0_EEESZ_S10_S11_S18_S1C_S1E_T6_T7_T9_mT8_S1G_bDpT10_ENKUlT_T0_E_clISt17integral_constantIbLb1EES1T_IbLb0EEEEDaS1P_S1Q_EUlS1P_E_NS1_11comp_targetILNS1_3genE10ELNS1_11target_archE1200ELNS1_3gpuE4ELNS1_3repE0EEENS1_30default_config_static_selectorELNS0_4arch9wavefront6targetE1EEEvS12_,"axG",@progbits,_ZN7rocprim17ROCPRIM_400000_NS6detail17trampoline_kernelINS0_13select_configILj256ELj13ELNS0_17block_load_methodE3ELS4_3ELS4_3ELNS0_20block_scan_algorithmE0ELj4294967295EEENS1_25partition_config_selectorILNS1_17partition_subalgoE4EjNS0_10empty_typeEbEEZZNS1_14partition_implILS8_4ELb0ES6_15HIP_vector_typeIjLj2EENS0_17counting_iteratorIjlEEPS9_SG_NS0_5tupleIJPjSI_NS0_16reverse_iteratorISI_EEEEENSH_IJSG_SG_SG_EEES9_SI_JZNS1_25segmented_radix_sort_implINS0_14default_configELb1EPKhPhPKlPlN2at6native12_GLOBAL__N_18offset_tEEE10hipError_tPvRmT1_PNSt15iterator_traitsIS12_E10value_typeET2_T3_PNS13_IS18_E10value_typeET4_jRbjT5_S1E_jjP12ihipStream_tbEUljE_ZNSN_ISO_Lb1ESQ_SR_ST_SU_SY_EESZ_S10_S11_S12_S16_S17_S18_S1B_S1C_jS1D_jS1E_S1E_jjS1G_bEUljE0_EEESZ_S10_S11_S18_S1C_S1E_T6_T7_T9_mT8_S1G_bDpT10_ENKUlT_T0_E_clISt17integral_constantIbLb1EES1T_IbLb0EEEEDaS1P_S1Q_EUlS1P_E_NS1_11comp_targetILNS1_3genE10ELNS1_11target_archE1200ELNS1_3gpuE4ELNS1_3repE0EEENS1_30default_config_static_selectorELNS0_4arch9wavefront6targetE1EEEvS12_,comdat
	.globl	_ZN7rocprim17ROCPRIM_400000_NS6detail17trampoline_kernelINS0_13select_configILj256ELj13ELNS0_17block_load_methodE3ELS4_3ELS4_3ELNS0_20block_scan_algorithmE0ELj4294967295EEENS1_25partition_config_selectorILNS1_17partition_subalgoE4EjNS0_10empty_typeEbEEZZNS1_14partition_implILS8_4ELb0ES6_15HIP_vector_typeIjLj2EENS0_17counting_iteratorIjlEEPS9_SG_NS0_5tupleIJPjSI_NS0_16reverse_iteratorISI_EEEEENSH_IJSG_SG_SG_EEES9_SI_JZNS1_25segmented_radix_sort_implINS0_14default_configELb1EPKhPhPKlPlN2at6native12_GLOBAL__N_18offset_tEEE10hipError_tPvRmT1_PNSt15iterator_traitsIS12_E10value_typeET2_T3_PNS13_IS18_E10value_typeET4_jRbjT5_S1E_jjP12ihipStream_tbEUljE_ZNSN_ISO_Lb1ESQ_SR_ST_SU_SY_EESZ_S10_S11_S12_S16_S17_S18_S1B_S1C_jS1D_jS1E_S1E_jjS1G_bEUljE0_EEESZ_S10_S11_S18_S1C_S1E_T6_T7_T9_mT8_S1G_bDpT10_ENKUlT_T0_E_clISt17integral_constantIbLb1EES1T_IbLb0EEEEDaS1P_S1Q_EUlS1P_E_NS1_11comp_targetILNS1_3genE10ELNS1_11target_archE1200ELNS1_3gpuE4ELNS1_3repE0EEENS1_30default_config_static_selectorELNS0_4arch9wavefront6targetE1EEEvS12_ ; -- Begin function _ZN7rocprim17ROCPRIM_400000_NS6detail17trampoline_kernelINS0_13select_configILj256ELj13ELNS0_17block_load_methodE3ELS4_3ELS4_3ELNS0_20block_scan_algorithmE0ELj4294967295EEENS1_25partition_config_selectorILNS1_17partition_subalgoE4EjNS0_10empty_typeEbEEZZNS1_14partition_implILS8_4ELb0ES6_15HIP_vector_typeIjLj2EENS0_17counting_iteratorIjlEEPS9_SG_NS0_5tupleIJPjSI_NS0_16reverse_iteratorISI_EEEEENSH_IJSG_SG_SG_EEES9_SI_JZNS1_25segmented_radix_sort_implINS0_14default_configELb1EPKhPhPKlPlN2at6native12_GLOBAL__N_18offset_tEEE10hipError_tPvRmT1_PNSt15iterator_traitsIS12_E10value_typeET2_T3_PNS13_IS18_E10value_typeET4_jRbjT5_S1E_jjP12ihipStream_tbEUljE_ZNSN_ISO_Lb1ESQ_SR_ST_SU_SY_EESZ_S10_S11_S12_S16_S17_S18_S1B_S1C_jS1D_jS1E_S1E_jjS1G_bEUljE0_EEESZ_S10_S11_S18_S1C_S1E_T6_T7_T9_mT8_S1G_bDpT10_ENKUlT_T0_E_clISt17integral_constantIbLb1EES1T_IbLb0EEEEDaS1P_S1Q_EUlS1P_E_NS1_11comp_targetILNS1_3genE10ELNS1_11target_archE1200ELNS1_3gpuE4ELNS1_3repE0EEENS1_30default_config_static_selectorELNS0_4arch9wavefront6targetE1EEEvS12_
	.p2align	8
	.type	_ZN7rocprim17ROCPRIM_400000_NS6detail17trampoline_kernelINS0_13select_configILj256ELj13ELNS0_17block_load_methodE3ELS4_3ELS4_3ELNS0_20block_scan_algorithmE0ELj4294967295EEENS1_25partition_config_selectorILNS1_17partition_subalgoE4EjNS0_10empty_typeEbEEZZNS1_14partition_implILS8_4ELb0ES6_15HIP_vector_typeIjLj2EENS0_17counting_iteratorIjlEEPS9_SG_NS0_5tupleIJPjSI_NS0_16reverse_iteratorISI_EEEEENSH_IJSG_SG_SG_EEES9_SI_JZNS1_25segmented_radix_sort_implINS0_14default_configELb1EPKhPhPKlPlN2at6native12_GLOBAL__N_18offset_tEEE10hipError_tPvRmT1_PNSt15iterator_traitsIS12_E10value_typeET2_T3_PNS13_IS18_E10value_typeET4_jRbjT5_S1E_jjP12ihipStream_tbEUljE_ZNSN_ISO_Lb1ESQ_SR_ST_SU_SY_EESZ_S10_S11_S12_S16_S17_S18_S1B_S1C_jS1D_jS1E_S1E_jjS1G_bEUljE0_EEESZ_S10_S11_S18_S1C_S1E_T6_T7_T9_mT8_S1G_bDpT10_ENKUlT_T0_E_clISt17integral_constantIbLb1EES1T_IbLb0EEEEDaS1P_S1Q_EUlS1P_E_NS1_11comp_targetILNS1_3genE10ELNS1_11target_archE1200ELNS1_3gpuE4ELNS1_3repE0EEENS1_30default_config_static_selectorELNS0_4arch9wavefront6targetE1EEEvS12_,@function
_ZN7rocprim17ROCPRIM_400000_NS6detail17trampoline_kernelINS0_13select_configILj256ELj13ELNS0_17block_load_methodE3ELS4_3ELS4_3ELNS0_20block_scan_algorithmE0ELj4294967295EEENS1_25partition_config_selectorILNS1_17partition_subalgoE4EjNS0_10empty_typeEbEEZZNS1_14partition_implILS8_4ELb0ES6_15HIP_vector_typeIjLj2EENS0_17counting_iteratorIjlEEPS9_SG_NS0_5tupleIJPjSI_NS0_16reverse_iteratorISI_EEEEENSH_IJSG_SG_SG_EEES9_SI_JZNS1_25segmented_radix_sort_implINS0_14default_configELb1EPKhPhPKlPlN2at6native12_GLOBAL__N_18offset_tEEE10hipError_tPvRmT1_PNSt15iterator_traitsIS12_E10value_typeET2_T3_PNS13_IS18_E10value_typeET4_jRbjT5_S1E_jjP12ihipStream_tbEUljE_ZNSN_ISO_Lb1ESQ_SR_ST_SU_SY_EESZ_S10_S11_S12_S16_S17_S18_S1B_S1C_jS1D_jS1E_S1E_jjS1G_bEUljE0_EEESZ_S10_S11_S18_S1C_S1E_T6_T7_T9_mT8_S1G_bDpT10_ENKUlT_T0_E_clISt17integral_constantIbLb1EES1T_IbLb0EEEEDaS1P_S1Q_EUlS1P_E_NS1_11comp_targetILNS1_3genE10ELNS1_11target_archE1200ELNS1_3gpuE4ELNS1_3repE0EEENS1_30default_config_static_selectorELNS0_4arch9wavefront6targetE1EEEvS12_: ; @_ZN7rocprim17ROCPRIM_400000_NS6detail17trampoline_kernelINS0_13select_configILj256ELj13ELNS0_17block_load_methodE3ELS4_3ELS4_3ELNS0_20block_scan_algorithmE0ELj4294967295EEENS1_25partition_config_selectorILNS1_17partition_subalgoE4EjNS0_10empty_typeEbEEZZNS1_14partition_implILS8_4ELb0ES6_15HIP_vector_typeIjLj2EENS0_17counting_iteratorIjlEEPS9_SG_NS0_5tupleIJPjSI_NS0_16reverse_iteratorISI_EEEEENSH_IJSG_SG_SG_EEES9_SI_JZNS1_25segmented_radix_sort_implINS0_14default_configELb1EPKhPhPKlPlN2at6native12_GLOBAL__N_18offset_tEEE10hipError_tPvRmT1_PNSt15iterator_traitsIS12_E10value_typeET2_T3_PNS13_IS18_E10value_typeET4_jRbjT5_S1E_jjP12ihipStream_tbEUljE_ZNSN_ISO_Lb1ESQ_SR_ST_SU_SY_EESZ_S10_S11_S12_S16_S17_S18_S1B_S1C_jS1D_jS1E_S1E_jjS1G_bEUljE0_EEESZ_S10_S11_S18_S1C_S1E_T6_T7_T9_mT8_S1G_bDpT10_ENKUlT_T0_E_clISt17integral_constantIbLb1EES1T_IbLb0EEEEDaS1P_S1Q_EUlS1P_E_NS1_11comp_targetILNS1_3genE10ELNS1_11target_archE1200ELNS1_3gpuE4ELNS1_3repE0EEENS1_30default_config_static_selectorELNS0_4arch9wavefront6targetE1EEEvS12_
; %bb.0:
	.section	.rodata,"a",@progbits
	.p2align	6, 0x0
	.amdhsa_kernel _ZN7rocprim17ROCPRIM_400000_NS6detail17trampoline_kernelINS0_13select_configILj256ELj13ELNS0_17block_load_methodE3ELS4_3ELS4_3ELNS0_20block_scan_algorithmE0ELj4294967295EEENS1_25partition_config_selectorILNS1_17partition_subalgoE4EjNS0_10empty_typeEbEEZZNS1_14partition_implILS8_4ELb0ES6_15HIP_vector_typeIjLj2EENS0_17counting_iteratorIjlEEPS9_SG_NS0_5tupleIJPjSI_NS0_16reverse_iteratorISI_EEEEENSH_IJSG_SG_SG_EEES9_SI_JZNS1_25segmented_radix_sort_implINS0_14default_configELb1EPKhPhPKlPlN2at6native12_GLOBAL__N_18offset_tEEE10hipError_tPvRmT1_PNSt15iterator_traitsIS12_E10value_typeET2_T3_PNS13_IS18_E10value_typeET4_jRbjT5_S1E_jjP12ihipStream_tbEUljE_ZNSN_ISO_Lb1ESQ_SR_ST_SU_SY_EESZ_S10_S11_S12_S16_S17_S18_S1B_S1C_jS1D_jS1E_S1E_jjS1G_bEUljE0_EEESZ_S10_S11_S18_S1C_S1E_T6_T7_T9_mT8_S1G_bDpT10_ENKUlT_T0_E_clISt17integral_constantIbLb1EES1T_IbLb0EEEEDaS1P_S1Q_EUlS1P_E_NS1_11comp_targetILNS1_3genE10ELNS1_11target_archE1200ELNS1_3gpuE4ELNS1_3repE0EEENS1_30default_config_static_selectorELNS0_4arch9wavefront6targetE1EEEvS12_
		.amdhsa_group_segment_fixed_size 0
		.amdhsa_private_segment_fixed_size 0
		.amdhsa_kernarg_size 176
		.amdhsa_user_sgpr_count 6
		.amdhsa_user_sgpr_private_segment_buffer 1
		.amdhsa_user_sgpr_dispatch_ptr 0
		.amdhsa_user_sgpr_queue_ptr 0
		.amdhsa_user_sgpr_kernarg_segment_ptr 1
		.amdhsa_user_sgpr_dispatch_id 0
		.amdhsa_user_sgpr_flat_scratch_init 0
		.amdhsa_user_sgpr_kernarg_preload_length 0
		.amdhsa_user_sgpr_kernarg_preload_offset 0
		.amdhsa_user_sgpr_private_segment_size 0
		.amdhsa_uses_dynamic_stack 0
		.amdhsa_system_sgpr_private_segment_wavefront_offset 0
		.amdhsa_system_sgpr_workgroup_id_x 1
		.amdhsa_system_sgpr_workgroup_id_y 0
		.amdhsa_system_sgpr_workgroup_id_z 0
		.amdhsa_system_sgpr_workgroup_info 0
		.amdhsa_system_vgpr_workitem_id 0
		.amdhsa_next_free_vgpr 1
		.amdhsa_next_free_sgpr 0
		.amdhsa_accum_offset 4
		.amdhsa_reserve_vcc 0
		.amdhsa_reserve_flat_scratch 0
		.amdhsa_float_round_mode_32 0
		.amdhsa_float_round_mode_16_64 0
		.amdhsa_float_denorm_mode_32 3
		.amdhsa_float_denorm_mode_16_64 3
		.amdhsa_dx10_clamp 1
		.amdhsa_ieee_mode 1
		.amdhsa_fp16_overflow 0
		.amdhsa_tg_split 0
		.amdhsa_exception_fp_ieee_invalid_op 0
		.amdhsa_exception_fp_denorm_src 0
		.amdhsa_exception_fp_ieee_div_zero 0
		.amdhsa_exception_fp_ieee_overflow 0
		.amdhsa_exception_fp_ieee_underflow 0
		.amdhsa_exception_fp_ieee_inexact 0
		.amdhsa_exception_int_div_zero 0
	.end_amdhsa_kernel
	.section	.text._ZN7rocprim17ROCPRIM_400000_NS6detail17trampoline_kernelINS0_13select_configILj256ELj13ELNS0_17block_load_methodE3ELS4_3ELS4_3ELNS0_20block_scan_algorithmE0ELj4294967295EEENS1_25partition_config_selectorILNS1_17partition_subalgoE4EjNS0_10empty_typeEbEEZZNS1_14partition_implILS8_4ELb0ES6_15HIP_vector_typeIjLj2EENS0_17counting_iteratorIjlEEPS9_SG_NS0_5tupleIJPjSI_NS0_16reverse_iteratorISI_EEEEENSH_IJSG_SG_SG_EEES9_SI_JZNS1_25segmented_radix_sort_implINS0_14default_configELb1EPKhPhPKlPlN2at6native12_GLOBAL__N_18offset_tEEE10hipError_tPvRmT1_PNSt15iterator_traitsIS12_E10value_typeET2_T3_PNS13_IS18_E10value_typeET4_jRbjT5_S1E_jjP12ihipStream_tbEUljE_ZNSN_ISO_Lb1ESQ_SR_ST_SU_SY_EESZ_S10_S11_S12_S16_S17_S18_S1B_S1C_jS1D_jS1E_S1E_jjS1G_bEUljE0_EEESZ_S10_S11_S18_S1C_S1E_T6_T7_T9_mT8_S1G_bDpT10_ENKUlT_T0_E_clISt17integral_constantIbLb1EES1T_IbLb0EEEEDaS1P_S1Q_EUlS1P_E_NS1_11comp_targetILNS1_3genE10ELNS1_11target_archE1200ELNS1_3gpuE4ELNS1_3repE0EEENS1_30default_config_static_selectorELNS0_4arch9wavefront6targetE1EEEvS12_,"axG",@progbits,_ZN7rocprim17ROCPRIM_400000_NS6detail17trampoline_kernelINS0_13select_configILj256ELj13ELNS0_17block_load_methodE3ELS4_3ELS4_3ELNS0_20block_scan_algorithmE0ELj4294967295EEENS1_25partition_config_selectorILNS1_17partition_subalgoE4EjNS0_10empty_typeEbEEZZNS1_14partition_implILS8_4ELb0ES6_15HIP_vector_typeIjLj2EENS0_17counting_iteratorIjlEEPS9_SG_NS0_5tupleIJPjSI_NS0_16reverse_iteratorISI_EEEEENSH_IJSG_SG_SG_EEES9_SI_JZNS1_25segmented_radix_sort_implINS0_14default_configELb1EPKhPhPKlPlN2at6native12_GLOBAL__N_18offset_tEEE10hipError_tPvRmT1_PNSt15iterator_traitsIS12_E10value_typeET2_T3_PNS13_IS18_E10value_typeET4_jRbjT5_S1E_jjP12ihipStream_tbEUljE_ZNSN_ISO_Lb1ESQ_SR_ST_SU_SY_EESZ_S10_S11_S12_S16_S17_S18_S1B_S1C_jS1D_jS1E_S1E_jjS1G_bEUljE0_EEESZ_S10_S11_S18_S1C_S1E_T6_T7_T9_mT8_S1G_bDpT10_ENKUlT_T0_E_clISt17integral_constantIbLb1EES1T_IbLb0EEEEDaS1P_S1Q_EUlS1P_E_NS1_11comp_targetILNS1_3genE10ELNS1_11target_archE1200ELNS1_3gpuE4ELNS1_3repE0EEENS1_30default_config_static_selectorELNS0_4arch9wavefront6targetE1EEEvS12_,comdat
.Lfunc_end35:
	.size	_ZN7rocprim17ROCPRIM_400000_NS6detail17trampoline_kernelINS0_13select_configILj256ELj13ELNS0_17block_load_methodE3ELS4_3ELS4_3ELNS0_20block_scan_algorithmE0ELj4294967295EEENS1_25partition_config_selectorILNS1_17partition_subalgoE4EjNS0_10empty_typeEbEEZZNS1_14partition_implILS8_4ELb0ES6_15HIP_vector_typeIjLj2EENS0_17counting_iteratorIjlEEPS9_SG_NS0_5tupleIJPjSI_NS0_16reverse_iteratorISI_EEEEENSH_IJSG_SG_SG_EEES9_SI_JZNS1_25segmented_radix_sort_implINS0_14default_configELb1EPKhPhPKlPlN2at6native12_GLOBAL__N_18offset_tEEE10hipError_tPvRmT1_PNSt15iterator_traitsIS12_E10value_typeET2_T3_PNS13_IS18_E10value_typeET4_jRbjT5_S1E_jjP12ihipStream_tbEUljE_ZNSN_ISO_Lb1ESQ_SR_ST_SU_SY_EESZ_S10_S11_S12_S16_S17_S18_S1B_S1C_jS1D_jS1E_S1E_jjS1G_bEUljE0_EEESZ_S10_S11_S18_S1C_S1E_T6_T7_T9_mT8_S1G_bDpT10_ENKUlT_T0_E_clISt17integral_constantIbLb1EES1T_IbLb0EEEEDaS1P_S1Q_EUlS1P_E_NS1_11comp_targetILNS1_3genE10ELNS1_11target_archE1200ELNS1_3gpuE4ELNS1_3repE0EEENS1_30default_config_static_selectorELNS0_4arch9wavefront6targetE1EEEvS12_, .Lfunc_end35-_ZN7rocprim17ROCPRIM_400000_NS6detail17trampoline_kernelINS0_13select_configILj256ELj13ELNS0_17block_load_methodE3ELS4_3ELS4_3ELNS0_20block_scan_algorithmE0ELj4294967295EEENS1_25partition_config_selectorILNS1_17partition_subalgoE4EjNS0_10empty_typeEbEEZZNS1_14partition_implILS8_4ELb0ES6_15HIP_vector_typeIjLj2EENS0_17counting_iteratorIjlEEPS9_SG_NS0_5tupleIJPjSI_NS0_16reverse_iteratorISI_EEEEENSH_IJSG_SG_SG_EEES9_SI_JZNS1_25segmented_radix_sort_implINS0_14default_configELb1EPKhPhPKlPlN2at6native12_GLOBAL__N_18offset_tEEE10hipError_tPvRmT1_PNSt15iterator_traitsIS12_E10value_typeET2_T3_PNS13_IS18_E10value_typeET4_jRbjT5_S1E_jjP12ihipStream_tbEUljE_ZNSN_ISO_Lb1ESQ_SR_ST_SU_SY_EESZ_S10_S11_S12_S16_S17_S18_S1B_S1C_jS1D_jS1E_S1E_jjS1G_bEUljE0_EEESZ_S10_S11_S18_S1C_S1E_T6_T7_T9_mT8_S1G_bDpT10_ENKUlT_T0_E_clISt17integral_constantIbLb1EES1T_IbLb0EEEEDaS1P_S1Q_EUlS1P_E_NS1_11comp_targetILNS1_3genE10ELNS1_11target_archE1200ELNS1_3gpuE4ELNS1_3repE0EEENS1_30default_config_static_selectorELNS0_4arch9wavefront6targetE1EEEvS12_
                                        ; -- End function
	.section	.AMDGPU.csdata,"",@progbits
; Kernel info:
; codeLenInByte = 0
; NumSgprs: 4
; NumVgprs: 0
; NumAgprs: 0
; TotalNumVgprs: 0
; ScratchSize: 0
; MemoryBound: 0
; FloatMode: 240
; IeeeMode: 1
; LDSByteSize: 0 bytes/workgroup (compile time only)
; SGPRBlocks: 0
; VGPRBlocks: 0
; NumSGPRsForWavesPerEU: 4
; NumVGPRsForWavesPerEU: 1
; AccumOffset: 4
; Occupancy: 8
; WaveLimiterHint : 0
; COMPUTE_PGM_RSRC2:SCRATCH_EN: 0
; COMPUTE_PGM_RSRC2:USER_SGPR: 6
; COMPUTE_PGM_RSRC2:TRAP_HANDLER: 0
; COMPUTE_PGM_RSRC2:TGID_X_EN: 1
; COMPUTE_PGM_RSRC2:TGID_Y_EN: 0
; COMPUTE_PGM_RSRC2:TGID_Z_EN: 0
; COMPUTE_PGM_RSRC2:TIDIG_COMP_CNT: 0
; COMPUTE_PGM_RSRC3_GFX90A:ACCUM_OFFSET: 0
; COMPUTE_PGM_RSRC3_GFX90A:TG_SPLIT: 0
	.section	.text._ZN7rocprim17ROCPRIM_400000_NS6detail17trampoline_kernelINS0_13select_configILj256ELj13ELNS0_17block_load_methodE3ELS4_3ELS4_3ELNS0_20block_scan_algorithmE0ELj4294967295EEENS1_25partition_config_selectorILNS1_17partition_subalgoE4EjNS0_10empty_typeEbEEZZNS1_14partition_implILS8_4ELb0ES6_15HIP_vector_typeIjLj2EENS0_17counting_iteratorIjlEEPS9_SG_NS0_5tupleIJPjSI_NS0_16reverse_iteratorISI_EEEEENSH_IJSG_SG_SG_EEES9_SI_JZNS1_25segmented_radix_sort_implINS0_14default_configELb1EPKhPhPKlPlN2at6native12_GLOBAL__N_18offset_tEEE10hipError_tPvRmT1_PNSt15iterator_traitsIS12_E10value_typeET2_T3_PNS13_IS18_E10value_typeET4_jRbjT5_S1E_jjP12ihipStream_tbEUljE_ZNSN_ISO_Lb1ESQ_SR_ST_SU_SY_EESZ_S10_S11_S12_S16_S17_S18_S1B_S1C_jS1D_jS1E_S1E_jjS1G_bEUljE0_EEESZ_S10_S11_S18_S1C_S1E_T6_T7_T9_mT8_S1G_bDpT10_ENKUlT_T0_E_clISt17integral_constantIbLb1EES1T_IbLb0EEEEDaS1P_S1Q_EUlS1P_E_NS1_11comp_targetILNS1_3genE9ELNS1_11target_archE1100ELNS1_3gpuE3ELNS1_3repE0EEENS1_30default_config_static_selectorELNS0_4arch9wavefront6targetE1EEEvS12_,"axG",@progbits,_ZN7rocprim17ROCPRIM_400000_NS6detail17trampoline_kernelINS0_13select_configILj256ELj13ELNS0_17block_load_methodE3ELS4_3ELS4_3ELNS0_20block_scan_algorithmE0ELj4294967295EEENS1_25partition_config_selectorILNS1_17partition_subalgoE4EjNS0_10empty_typeEbEEZZNS1_14partition_implILS8_4ELb0ES6_15HIP_vector_typeIjLj2EENS0_17counting_iteratorIjlEEPS9_SG_NS0_5tupleIJPjSI_NS0_16reverse_iteratorISI_EEEEENSH_IJSG_SG_SG_EEES9_SI_JZNS1_25segmented_radix_sort_implINS0_14default_configELb1EPKhPhPKlPlN2at6native12_GLOBAL__N_18offset_tEEE10hipError_tPvRmT1_PNSt15iterator_traitsIS12_E10value_typeET2_T3_PNS13_IS18_E10value_typeET4_jRbjT5_S1E_jjP12ihipStream_tbEUljE_ZNSN_ISO_Lb1ESQ_SR_ST_SU_SY_EESZ_S10_S11_S12_S16_S17_S18_S1B_S1C_jS1D_jS1E_S1E_jjS1G_bEUljE0_EEESZ_S10_S11_S18_S1C_S1E_T6_T7_T9_mT8_S1G_bDpT10_ENKUlT_T0_E_clISt17integral_constantIbLb1EES1T_IbLb0EEEEDaS1P_S1Q_EUlS1P_E_NS1_11comp_targetILNS1_3genE9ELNS1_11target_archE1100ELNS1_3gpuE3ELNS1_3repE0EEENS1_30default_config_static_selectorELNS0_4arch9wavefront6targetE1EEEvS12_,comdat
	.globl	_ZN7rocprim17ROCPRIM_400000_NS6detail17trampoline_kernelINS0_13select_configILj256ELj13ELNS0_17block_load_methodE3ELS4_3ELS4_3ELNS0_20block_scan_algorithmE0ELj4294967295EEENS1_25partition_config_selectorILNS1_17partition_subalgoE4EjNS0_10empty_typeEbEEZZNS1_14partition_implILS8_4ELb0ES6_15HIP_vector_typeIjLj2EENS0_17counting_iteratorIjlEEPS9_SG_NS0_5tupleIJPjSI_NS0_16reverse_iteratorISI_EEEEENSH_IJSG_SG_SG_EEES9_SI_JZNS1_25segmented_radix_sort_implINS0_14default_configELb1EPKhPhPKlPlN2at6native12_GLOBAL__N_18offset_tEEE10hipError_tPvRmT1_PNSt15iterator_traitsIS12_E10value_typeET2_T3_PNS13_IS18_E10value_typeET4_jRbjT5_S1E_jjP12ihipStream_tbEUljE_ZNSN_ISO_Lb1ESQ_SR_ST_SU_SY_EESZ_S10_S11_S12_S16_S17_S18_S1B_S1C_jS1D_jS1E_S1E_jjS1G_bEUljE0_EEESZ_S10_S11_S18_S1C_S1E_T6_T7_T9_mT8_S1G_bDpT10_ENKUlT_T0_E_clISt17integral_constantIbLb1EES1T_IbLb0EEEEDaS1P_S1Q_EUlS1P_E_NS1_11comp_targetILNS1_3genE9ELNS1_11target_archE1100ELNS1_3gpuE3ELNS1_3repE0EEENS1_30default_config_static_selectorELNS0_4arch9wavefront6targetE1EEEvS12_ ; -- Begin function _ZN7rocprim17ROCPRIM_400000_NS6detail17trampoline_kernelINS0_13select_configILj256ELj13ELNS0_17block_load_methodE3ELS4_3ELS4_3ELNS0_20block_scan_algorithmE0ELj4294967295EEENS1_25partition_config_selectorILNS1_17partition_subalgoE4EjNS0_10empty_typeEbEEZZNS1_14partition_implILS8_4ELb0ES6_15HIP_vector_typeIjLj2EENS0_17counting_iteratorIjlEEPS9_SG_NS0_5tupleIJPjSI_NS0_16reverse_iteratorISI_EEEEENSH_IJSG_SG_SG_EEES9_SI_JZNS1_25segmented_radix_sort_implINS0_14default_configELb1EPKhPhPKlPlN2at6native12_GLOBAL__N_18offset_tEEE10hipError_tPvRmT1_PNSt15iterator_traitsIS12_E10value_typeET2_T3_PNS13_IS18_E10value_typeET4_jRbjT5_S1E_jjP12ihipStream_tbEUljE_ZNSN_ISO_Lb1ESQ_SR_ST_SU_SY_EESZ_S10_S11_S12_S16_S17_S18_S1B_S1C_jS1D_jS1E_S1E_jjS1G_bEUljE0_EEESZ_S10_S11_S18_S1C_S1E_T6_T7_T9_mT8_S1G_bDpT10_ENKUlT_T0_E_clISt17integral_constantIbLb1EES1T_IbLb0EEEEDaS1P_S1Q_EUlS1P_E_NS1_11comp_targetILNS1_3genE9ELNS1_11target_archE1100ELNS1_3gpuE3ELNS1_3repE0EEENS1_30default_config_static_selectorELNS0_4arch9wavefront6targetE1EEEvS12_
	.p2align	8
	.type	_ZN7rocprim17ROCPRIM_400000_NS6detail17trampoline_kernelINS0_13select_configILj256ELj13ELNS0_17block_load_methodE3ELS4_3ELS4_3ELNS0_20block_scan_algorithmE0ELj4294967295EEENS1_25partition_config_selectorILNS1_17partition_subalgoE4EjNS0_10empty_typeEbEEZZNS1_14partition_implILS8_4ELb0ES6_15HIP_vector_typeIjLj2EENS0_17counting_iteratorIjlEEPS9_SG_NS0_5tupleIJPjSI_NS0_16reverse_iteratorISI_EEEEENSH_IJSG_SG_SG_EEES9_SI_JZNS1_25segmented_radix_sort_implINS0_14default_configELb1EPKhPhPKlPlN2at6native12_GLOBAL__N_18offset_tEEE10hipError_tPvRmT1_PNSt15iterator_traitsIS12_E10value_typeET2_T3_PNS13_IS18_E10value_typeET4_jRbjT5_S1E_jjP12ihipStream_tbEUljE_ZNSN_ISO_Lb1ESQ_SR_ST_SU_SY_EESZ_S10_S11_S12_S16_S17_S18_S1B_S1C_jS1D_jS1E_S1E_jjS1G_bEUljE0_EEESZ_S10_S11_S18_S1C_S1E_T6_T7_T9_mT8_S1G_bDpT10_ENKUlT_T0_E_clISt17integral_constantIbLb1EES1T_IbLb0EEEEDaS1P_S1Q_EUlS1P_E_NS1_11comp_targetILNS1_3genE9ELNS1_11target_archE1100ELNS1_3gpuE3ELNS1_3repE0EEENS1_30default_config_static_selectorELNS0_4arch9wavefront6targetE1EEEvS12_,@function
_ZN7rocprim17ROCPRIM_400000_NS6detail17trampoline_kernelINS0_13select_configILj256ELj13ELNS0_17block_load_methodE3ELS4_3ELS4_3ELNS0_20block_scan_algorithmE0ELj4294967295EEENS1_25partition_config_selectorILNS1_17partition_subalgoE4EjNS0_10empty_typeEbEEZZNS1_14partition_implILS8_4ELb0ES6_15HIP_vector_typeIjLj2EENS0_17counting_iteratorIjlEEPS9_SG_NS0_5tupleIJPjSI_NS0_16reverse_iteratorISI_EEEEENSH_IJSG_SG_SG_EEES9_SI_JZNS1_25segmented_radix_sort_implINS0_14default_configELb1EPKhPhPKlPlN2at6native12_GLOBAL__N_18offset_tEEE10hipError_tPvRmT1_PNSt15iterator_traitsIS12_E10value_typeET2_T3_PNS13_IS18_E10value_typeET4_jRbjT5_S1E_jjP12ihipStream_tbEUljE_ZNSN_ISO_Lb1ESQ_SR_ST_SU_SY_EESZ_S10_S11_S12_S16_S17_S18_S1B_S1C_jS1D_jS1E_S1E_jjS1G_bEUljE0_EEESZ_S10_S11_S18_S1C_S1E_T6_T7_T9_mT8_S1G_bDpT10_ENKUlT_T0_E_clISt17integral_constantIbLb1EES1T_IbLb0EEEEDaS1P_S1Q_EUlS1P_E_NS1_11comp_targetILNS1_3genE9ELNS1_11target_archE1100ELNS1_3gpuE3ELNS1_3repE0EEENS1_30default_config_static_selectorELNS0_4arch9wavefront6targetE1EEEvS12_: ; @_ZN7rocprim17ROCPRIM_400000_NS6detail17trampoline_kernelINS0_13select_configILj256ELj13ELNS0_17block_load_methodE3ELS4_3ELS4_3ELNS0_20block_scan_algorithmE0ELj4294967295EEENS1_25partition_config_selectorILNS1_17partition_subalgoE4EjNS0_10empty_typeEbEEZZNS1_14partition_implILS8_4ELb0ES6_15HIP_vector_typeIjLj2EENS0_17counting_iteratorIjlEEPS9_SG_NS0_5tupleIJPjSI_NS0_16reverse_iteratorISI_EEEEENSH_IJSG_SG_SG_EEES9_SI_JZNS1_25segmented_radix_sort_implINS0_14default_configELb1EPKhPhPKlPlN2at6native12_GLOBAL__N_18offset_tEEE10hipError_tPvRmT1_PNSt15iterator_traitsIS12_E10value_typeET2_T3_PNS13_IS18_E10value_typeET4_jRbjT5_S1E_jjP12ihipStream_tbEUljE_ZNSN_ISO_Lb1ESQ_SR_ST_SU_SY_EESZ_S10_S11_S12_S16_S17_S18_S1B_S1C_jS1D_jS1E_S1E_jjS1G_bEUljE0_EEESZ_S10_S11_S18_S1C_S1E_T6_T7_T9_mT8_S1G_bDpT10_ENKUlT_T0_E_clISt17integral_constantIbLb1EES1T_IbLb0EEEEDaS1P_S1Q_EUlS1P_E_NS1_11comp_targetILNS1_3genE9ELNS1_11target_archE1100ELNS1_3gpuE3ELNS1_3repE0EEENS1_30default_config_static_selectorELNS0_4arch9wavefront6targetE1EEEvS12_
; %bb.0:
	.section	.rodata,"a",@progbits
	.p2align	6, 0x0
	.amdhsa_kernel _ZN7rocprim17ROCPRIM_400000_NS6detail17trampoline_kernelINS0_13select_configILj256ELj13ELNS0_17block_load_methodE3ELS4_3ELS4_3ELNS0_20block_scan_algorithmE0ELj4294967295EEENS1_25partition_config_selectorILNS1_17partition_subalgoE4EjNS0_10empty_typeEbEEZZNS1_14partition_implILS8_4ELb0ES6_15HIP_vector_typeIjLj2EENS0_17counting_iteratorIjlEEPS9_SG_NS0_5tupleIJPjSI_NS0_16reverse_iteratorISI_EEEEENSH_IJSG_SG_SG_EEES9_SI_JZNS1_25segmented_radix_sort_implINS0_14default_configELb1EPKhPhPKlPlN2at6native12_GLOBAL__N_18offset_tEEE10hipError_tPvRmT1_PNSt15iterator_traitsIS12_E10value_typeET2_T3_PNS13_IS18_E10value_typeET4_jRbjT5_S1E_jjP12ihipStream_tbEUljE_ZNSN_ISO_Lb1ESQ_SR_ST_SU_SY_EESZ_S10_S11_S12_S16_S17_S18_S1B_S1C_jS1D_jS1E_S1E_jjS1G_bEUljE0_EEESZ_S10_S11_S18_S1C_S1E_T6_T7_T9_mT8_S1G_bDpT10_ENKUlT_T0_E_clISt17integral_constantIbLb1EES1T_IbLb0EEEEDaS1P_S1Q_EUlS1P_E_NS1_11comp_targetILNS1_3genE9ELNS1_11target_archE1100ELNS1_3gpuE3ELNS1_3repE0EEENS1_30default_config_static_selectorELNS0_4arch9wavefront6targetE1EEEvS12_
		.amdhsa_group_segment_fixed_size 0
		.amdhsa_private_segment_fixed_size 0
		.amdhsa_kernarg_size 176
		.amdhsa_user_sgpr_count 6
		.amdhsa_user_sgpr_private_segment_buffer 1
		.amdhsa_user_sgpr_dispatch_ptr 0
		.amdhsa_user_sgpr_queue_ptr 0
		.amdhsa_user_sgpr_kernarg_segment_ptr 1
		.amdhsa_user_sgpr_dispatch_id 0
		.amdhsa_user_sgpr_flat_scratch_init 0
		.amdhsa_user_sgpr_kernarg_preload_length 0
		.amdhsa_user_sgpr_kernarg_preload_offset 0
		.amdhsa_user_sgpr_private_segment_size 0
		.amdhsa_uses_dynamic_stack 0
		.amdhsa_system_sgpr_private_segment_wavefront_offset 0
		.amdhsa_system_sgpr_workgroup_id_x 1
		.amdhsa_system_sgpr_workgroup_id_y 0
		.amdhsa_system_sgpr_workgroup_id_z 0
		.amdhsa_system_sgpr_workgroup_info 0
		.amdhsa_system_vgpr_workitem_id 0
		.amdhsa_next_free_vgpr 1
		.amdhsa_next_free_sgpr 0
		.amdhsa_accum_offset 4
		.amdhsa_reserve_vcc 0
		.amdhsa_reserve_flat_scratch 0
		.amdhsa_float_round_mode_32 0
		.amdhsa_float_round_mode_16_64 0
		.amdhsa_float_denorm_mode_32 3
		.amdhsa_float_denorm_mode_16_64 3
		.amdhsa_dx10_clamp 1
		.amdhsa_ieee_mode 1
		.amdhsa_fp16_overflow 0
		.amdhsa_tg_split 0
		.amdhsa_exception_fp_ieee_invalid_op 0
		.amdhsa_exception_fp_denorm_src 0
		.amdhsa_exception_fp_ieee_div_zero 0
		.amdhsa_exception_fp_ieee_overflow 0
		.amdhsa_exception_fp_ieee_underflow 0
		.amdhsa_exception_fp_ieee_inexact 0
		.amdhsa_exception_int_div_zero 0
	.end_amdhsa_kernel
	.section	.text._ZN7rocprim17ROCPRIM_400000_NS6detail17trampoline_kernelINS0_13select_configILj256ELj13ELNS0_17block_load_methodE3ELS4_3ELS4_3ELNS0_20block_scan_algorithmE0ELj4294967295EEENS1_25partition_config_selectorILNS1_17partition_subalgoE4EjNS0_10empty_typeEbEEZZNS1_14partition_implILS8_4ELb0ES6_15HIP_vector_typeIjLj2EENS0_17counting_iteratorIjlEEPS9_SG_NS0_5tupleIJPjSI_NS0_16reverse_iteratorISI_EEEEENSH_IJSG_SG_SG_EEES9_SI_JZNS1_25segmented_radix_sort_implINS0_14default_configELb1EPKhPhPKlPlN2at6native12_GLOBAL__N_18offset_tEEE10hipError_tPvRmT1_PNSt15iterator_traitsIS12_E10value_typeET2_T3_PNS13_IS18_E10value_typeET4_jRbjT5_S1E_jjP12ihipStream_tbEUljE_ZNSN_ISO_Lb1ESQ_SR_ST_SU_SY_EESZ_S10_S11_S12_S16_S17_S18_S1B_S1C_jS1D_jS1E_S1E_jjS1G_bEUljE0_EEESZ_S10_S11_S18_S1C_S1E_T6_T7_T9_mT8_S1G_bDpT10_ENKUlT_T0_E_clISt17integral_constantIbLb1EES1T_IbLb0EEEEDaS1P_S1Q_EUlS1P_E_NS1_11comp_targetILNS1_3genE9ELNS1_11target_archE1100ELNS1_3gpuE3ELNS1_3repE0EEENS1_30default_config_static_selectorELNS0_4arch9wavefront6targetE1EEEvS12_,"axG",@progbits,_ZN7rocprim17ROCPRIM_400000_NS6detail17trampoline_kernelINS0_13select_configILj256ELj13ELNS0_17block_load_methodE3ELS4_3ELS4_3ELNS0_20block_scan_algorithmE0ELj4294967295EEENS1_25partition_config_selectorILNS1_17partition_subalgoE4EjNS0_10empty_typeEbEEZZNS1_14partition_implILS8_4ELb0ES6_15HIP_vector_typeIjLj2EENS0_17counting_iteratorIjlEEPS9_SG_NS0_5tupleIJPjSI_NS0_16reverse_iteratorISI_EEEEENSH_IJSG_SG_SG_EEES9_SI_JZNS1_25segmented_radix_sort_implINS0_14default_configELb1EPKhPhPKlPlN2at6native12_GLOBAL__N_18offset_tEEE10hipError_tPvRmT1_PNSt15iterator_traitsIS12_E10value_typeET2_T3_PNS13_IS18_E10value_typeET4_jRbjT5_S1E_jjP12ihipStream_tbEUljE_ZNSN_ISO_Lb1ESQ_SR_ST_SU_SY_EESZ_S10_S11_S12_S16_S17_S18_S1B_S1C_jS1D_jS1E_S1E_jjS1G_bEUljE0_EEESZ_S10_S11_S18_S1C_S1E_T6_T7_T9_mT8_S1G_bDpT10_ENKUlT_T0_E_clISt17integral_constantIbLb1EES1T_IbLb0EEEEDaS1P_S1Q_EUlS1P_E_NS1_11comp_targetILNS1_3genE9ELNS1_11target_archE1100ELNS1_3gpuE3ELNS1_3repE0EEENS1_30default_config_static_selectorELNS0_4arch9wavefront6targetE1EEEvS12_,comdat
.Lfunc_end36:
	.size	_ZN7rocprim17ROCPRIM_400000_NS6detail17trampoline_kernelINS0_13select_configILj256ELj13ELNS0_17block_load_methodE3ELS4_3ELS4_3ELNS0_20block_scan_algorithmE0ELj4294967295EEENS1_25partition_config_selectorILNS1_17partition_subalgoE4EjNS0_10empty_typeEbEEZZNS1_14partition_implILS8_4ELb0ES6_15HIP_vector_typeIjLj2EENS0_17counting_iteratorIjlEEPS9_SG_NS0_5tupleIJPjSI_NS0_16reverse_iteratorISI_EEEEENSH_IJSG_SG_SG_EEES9_SI_JZNS1_25segmented_radix_sort_implINS0_14default_configELb1EPKhPhPKlPlN2at6native12_GLOBAL__N_18offset_tEEE10hipError_tPvRmT1_PNSt15iterator_traitsIS12_E10value_typeET2_T3_PNS13_IS18_E10value_typeET4_jRbjT5_S1E_jjP12ihipStream_tbEUljE_ZNSN_ISO_Lb1ESQ_SR_ST_SU_SY_EESZ_S10_S11_S12_S16_S17_S18_S1B_S1C_jS1D_jS1E_S1E_jjS1G_bEUljE0_EEESZ_S10_S11_S18_S1C_S1E_T6_T7_T9_mT8_S1G_bDpT10_ENKUlT_T0_E_clISt17integral_constantIbLb1EES1T_IbLb0EEEEDaS1P_S1Q_EUlS1P_E_NS1_11comp_targetILNS1_3genE9ELNS1_11target_archE1100ELNS1_3gpuE3ELNS1_3repE0EEENS1_30default_config_static_selectorELNS0_4arch9wavefront6targetE1EEEvS12_, .Lfunc_end36-_ZN7rocprim17ROCPRIM_400000_NS6detail17trampoline_kernelINS0_13select_configILj256ELj13ELNS0_17block_load_methodE3ELS4_3ELS4_3ELNS0_20block_scan_algorithmE0ELj4294967295EEENS1_25partition_config_selectorILNS1_17partition_subalgoE4EjNS0_10empty_typeEbEEZZNS1_14partition_implILS8_4ELb0ES6_15HIP_vector_typeIjLj2EENS0_17counting_iteratorIjlEEPS9_SG_NS0_5tupleIJPjSI_NS0_16reverse_iteratorISI_EEEEENSH_IJSG_SG_SG_EEES9_SI_JZNS1_25segmented_radix_sort_implINS0_14default_configELb1EPKhPhPKlPlN2at6native12_GLOBAL__N_18offset_tEEE10hipError_tPvRmT1_PNSt15iterator_traitsIS12_E10value_typeET2_T3_PNS13_IS18_E10value_typeET4_jRbjT5_S1E_jjP12ihipStream_tbEUljE_ZNSN_ISO_Lb1ESQ_SR_ST_SU_SY_EESZ_S10_S11_S12_S16_S17_S18_S1B_S1C_jS1D_jS1E_S1E_jjS1G_bEUljE0_EEESZ_S10_S11_S18_S1C_S1E_T6_T7_T9_mT8_S1G_bDpT10_ENKUlT_T0_E_clISt17integral_constantIbLb1EES1T_IbLb0EEEEDaS1P_S1Q_EUlS1P_E_NS1_11comp_targetILNS1_3genE9ELNS1_11target_archE1100ELNS1_3gpuE3ELNS1_3repE0EEENS1_30default_config_static_selectorELNS0_4arch9wavefront6targetE1EEEvS12_
                                        ; -- End function
	.section	.AMDGPU.csdata,"",@progbits
; Kernel info:
; codeLenInByte = 0
; NumSgprs: 4
; NumVgprs: 0
; NumAgprs: 0
; TotalNumVgprs: 0
; ScratchSize: 0
; MemoryBound: 0
; FloatMode: 240
; IeeeMode: 1
; LDSByteSize: 0 bytes/workgroup (compile time only)
; SGPRBlocks: 0
; VGPRBlocks: 0
; NumSGPRsForWavesPerEU: 4
; NumVGPRsForWavesPerEU: 1
; AccumOffset: 4
; Occupancy: 8
; WaveLimiterHint : 0
; COMPUTE_PGM_RSRC2:SCRATCH_EN: 0
; COMPUTE_PGM_RSRC2:USER_SGPR: 6
; COMPUTE_PGM_RSRC2:TRAP_HANDLER: 0
; COMPUTE_PGM_RSRC2:TGID_X_EN: 1
; COMPUTE_PGM_RSRC2:TGID_Y_EN: 0
; COMPUTE_PGM_RSRC2:TGID_Z_EN: 0
; COMPUTE_PGM_RSRC2:TIDIG_COMP_CNT: 0
; COMPUTE_PGM_RSRC3_GFX90A:ACCUM_OFFSET: 0
; COMPUTE_PGM_RSRC3_GFX90A:TG_SPLIT: 0
	.section	.text._ZN7rocprim17ROCPRIM_400000_NS6detail17trampoline_kernelINS0_13select_configILj256ELj13ELNS0_17block_load_methodE3ELS4_3ELS4_3ELNS0_20block_scan_algorithmE0ELj4294967295EEENS1_25partition_config_selectorILNS1_17partition_subalgoE4EjNS0_10empty_typeEbEEZZNS1_14partition_implILS8_4ELb0ES6_15HIP_vector_typeIjLj2EENS0_17counting_iteratorIjlEEPS9_SG_NS0_5tupleIJPjSI_NS0_16reverse_iteratorISI_EEEEENSH_IJSG_SG_SG_EEES9_SI_JZNS1_25segmented_radix_sort_implINS0_14default_configELb1EPKhPhPKlPlN2at6native12_GLOBAL__N_18offset_tEEE10hipError_tPvRmT1_PNSt15iterator_traitsIS12_E10value_typeET2_T3_PNS13_IS18_E10value_typeET4_jRbjT5_S1E_jjP12ihipStream_tbEUljE_ZNSN_ISO_Lb1ESQ_SR_ST_SU_SY_EESZ_S10_S11_S12_S16_S17_S18_S1B_S1C_jS1D_jS1E_S1E_jjS1G_bEUljE0_EEESZ_S10_S11_S18_S1C_S1E_T6_T7_T9_mT8_S1G_bDpT10_ENKUlT_T0_E_clISt17integral_constantIbLb1EES1T_IbLb0EEEEDaS1P_S1Q_EUlS1P_E_NS1_11comp_targetILNS1_3genE8ELNS1_11target_archE1030ELNS1_3gpuE2ELNS1_3repE0EEENS1_30default_config_static_selectorELNS0_4arch9wavefront6targetE1EEEvS12_,"axG",@progbits,_ZN7rocprim17ROCPRIM_400000_NS6detail17trampoline_kernelINS0_13select_configILj256ELj13ELNS0_17block_load_methodE3ELS4_3ELS4_3ELNS0_20block_scan_algorithmE0ELj4294967295EEENS1_25partition_config_selectorILNS1_17partition_subalgoE4EjNS0_10empty_typeEbEEZZNS1_14partition_implILS8_4ELb0ES6_15HIP_vector_typeIjLj2EENS0_17counting_iteratorIjlEEPS9_SG_NS0_5tupleIJPjSI_NS0_16reverse_iteratorISI_EEEEENSH_IJSG_SG_SG_EEES9_SI_JZNS1_25segmented_radix_sort_implINS0_14default_configELb1EPKhPhPKlPlN2at6native12_GLOBAL__N_18offset_tEEE10hipError_tPvRmT1_PNSt15iterator_traitsIS12_E10value_typeET2_T3_PNS13_IS18_E10value_typeET4_jRbjT5_S1E_jjP12ihipStream_tbEUljE_ZNSN_ISO_Lb1ESQ_SR_ST_SU_SY_EESZ_S10_S11_S12_S16_S17_S18_S1B_S1C_jS1D_jS1E_S1E_jjS1G_bEUljE0_EEESZ_S10_S11_S18_S1C_S1E_T6_T7_T9_mT8_S1G_bDpT10_ENKUlT_T0_E_clISt17integral_constantIbLb1EES1T_IbLb0EEEEDaS1P_S1Q_EUlS1P_E_NS1_11comp_targetILNS1_3genE8ELNS1_11target_archE1030ELNS1_3gpuE2ELNS1_3repE0EEENS1_30default_config_static_selectorELNS0_4arch9wavefront6targetE1EEEvS12_,comdat
	.globl	_ZN7rocprim17ROCPRIM_400000_NS6detail17trampoline_kernelINS0_13select_configILj256ELj13ELNS0_17block_load_methodE3ELS4_3ELS4_3ELNS0_20block_scan_algorithmE0ELj4294967295EEENS1_25partition_config_selectorILNS1_17partition_subalgoE4EjNS0_10empty_typeEbEEZZNS1_14partition_implILS8_4ELb0ES6_15HIP_vector_typeIjLj2EENS0_17counting_iteratorIjlEEPS9_SG_NS0_5tupleIJPjSI_NS0_16reverse_iteratorISI_EEEEENSH_IJSG_SG_SG_EEES9_SI_JZNS1_25segmented_radix_sort_implINS0_14default_configELb1EPKhPhPKlPlN2at6native12_GLOBAL__N_18offset_tEEE10hipError_tPvRmT1_PNSt15iterator_traitsIS12_E10value_typeET2_T3_PNS13_IS18_E10value_typeET4_jRbjT5_S1E_jjP12ihipStream_tbEUljE_ZNSN_ISO_Lb1ESQ_SR_ST_SU_SY_EESZ_S10_S11_S12_S16_S17_S18_S1B_S1C_jS1D_jS1E_S1E_jjS1G_bEUljE0_EEESZ_S10_S11_S18_S1C_S1E_T6_T7_T9_mT8_S1G_bDpT10_ENKUlT_T0_E_clISt17integral_constantIbLb1EES1T_IbLb0EEEEDaS1P_S1Q_EUlS1P_E_NS1_11comp_targetILNS1_3genE8ELNS1_11target_archE1030ELNS1_3gpuE2ELNS1_3repE0EEENS1_30default_config_static_selectorELNS0_4arch9wavefront6targetE1EEEvS12_ ; -- Begin function _ZN7rocprim17ROCPRIM_400000_NS6detail17trampoline_kernelINS0_13select_configILj256ELj13ELNS0_17block_load_methodE3ELS4_3ELS4_3ELNS0_20block_scan_algorithmE0ELj4294967295EEENS1_25partition_config_selectorILNS1_17partition_subalgoE4EjNS0_10empty_typeEbEEZZNS1_14partition_implILS8_4ELb0ES6_15HIP_vector_typeIjLj2EENS0_17counting_iteratorIjlEEPS9_SG_NS0_5tupleIJPjSI_NS0_16reverse_iteratorISI_EEEEENSH_IJSG_SG_SG_EEES9_SI_JZNS1_25segmented_radix_sort_implINS0_14default_configELb1EPKhPhPKlPlN2at6native12_GLOBAL__N_18offset_tEEE10hipError_tPvRmT1_PNSt15iterator_traitsIS12_E10value_typeET2_T3_PNS13_IS18_E10value_typeET4_jRbjT5_S1E_jjP12ihipStream_tbEUljE_ZNSN_ISO_Lb1ESQ_SR_ST_SU_SY_EESZ_S10_S11_S12_S16_S17_S18_S1B_S1C_jS1D_jS1E_S1E_jjS1G_bEUljE0_EEESZ_S10_S11_S18_S1C_S1E_T6_T7_T9_mT8_S1G_bDpT10_ENKUlT_T0_E_clISt17integral_constantIbLb1EES1T_IbLb0EEEEDaS1P_S1Q_EUlS1P_E_NS1_11comp_targetILNS1_3genE8ELNS1_11target_archE1030ELNS1_3gpuE2ELNS1_3repE0EEENS1_30default_config_static_selectorELNS0_4arch9wavefront6targetE1EEEvS12_
	.p2align	8
	.type	_ZN7rocprim17ROCPRIM_400000_NS6detail17trampoline_kernelINS0_13select_configILj256ELj13ELNS0_17block_load_methodE3ELS4_3ELS4_3ELNS0_20block_scan_algorithmE0ELj4294967295EEENS1_25partition_config_selectorILNS1_17partition_subalgoE4EjNS0_10empty_typeEbEEZZNS1_14partition_implILS8_4ELb0ES6_15HIP_vector_typeIjLj2EENS0_17counting_iteratorIjlEEPS9_SG_NS0_5tupleIJPjSI_NS0_16reverse_iteratorISI_EEEEENSH_IJSG_SG_SG_EEES9_SI_JZNS1_25segmented_radix_sort_implINS0_14default_configELb1EPKhPhPKlPlN2at6native12_GLOBAL__N_18offset_tEEE10hipError_tPvRmT1_PNSt15iterator_traitsIS12_E10value_typeET2_T3_PNS13_IS18_E10value_typeET4_jRbjT5_S1E_jjP12ihipStream_tbEUljE_ZNSN_ISO_Lb1ESQ_SR_ST_SU_SY_EESZ_S10_S11_S12_S16_S17_S18_S1B_S1C_jS1D_jS1E_S1E_jjS1G_bEUljE0_EEESZ_S10_S11_S18_S1C_S1E_T6_T7_T9_mT8_S1G_bDpT10_ENKUlT_T0_E_clISt17integral_constantIbLb1EES1T_IbLb0EEEEDaS1P_S1Q_EUlS1P_E_NS1_11comp_targetILNS1_3genE8ELNS1_11target_archE1030ELNS1_3gpuE2ELNS1_3repE0EEENS1_30default_config_static_selectorELNS0_4arch9wavefront6targetE1EEEvS12_,@function
_ZN7rocprim17ROCPRIM_400000_NS6detail17trampoline_kernelINS0_13select_configILj256ELj13ELNS0_17block_load_methodE3ELS4_3ELS4_3ELNS0_20block_scan_algorithmE0ELj4294967295EEENS1_25partition_config_selectorILNS1_17partition_subalgoE4EjNS0_10empty_typeEbEEZZNS1_14partition_implILS8_4ELb0ES6_15HIP_vector_typeIjLj2EENS0_17counting_iteratorIjlEEPS9_SG_NS0_5tupleIJPjSI_NS0_16reverse_iteratorISI_EEEEENSH_IJSG_SG_SG_EEES9_SI_JZNS1_25segmented_radix_sort_implINS0_14default_configELb1EPKhPhPKlPlN2at6native12_GLOBAL__N_18offset_tEEE10hipError_tPvRmT1_PNSt15iterator_traitsIS12_E10value_typeET2_T3_PNS13_IS18_E10value_typeET4_jRbjT5_S1E_jjP12ihipStream_tbEUljE_ZNSN_ISO_Lb1ESQ_SR_ST_SU_SY_EESZ_S10_S11_S12_S16_S17_S18_S1B_S1C_jS1D_jS1E_S1E_jjS1G_bEUljE0_EEESZ_S10_S11_S18_S1C_S1E_T6_T7_T9_mT8_S1G_bDpT10_ENKUlT_T0_E_clISt17integral_constantIbLb1EES1T_IbLb0EEEEDaS1P_S1Q_EUlS1P_E_NS1_11comp_targetILNS1_3genE8ELNS1_11target_archE1030ELNS1_3gpuE2ELNS1_3repE0EEENS1_30default_config_static_selectorELNS0_4arch9wavefront6targetE1EEEvS12_: ; @_ZN7rocprim17ROCPRIM_400000_NS6detail17trampoline_kernelINS0_13select_configILj256ELj13ELNS0_17block_load_methodE3ELS4_3ELS4_3ELNS0_20block_scan_algorithmE0ELj4294967295EEENS1_25partition_config_selectorILNS1_17partition_subalgoE4EjNS0_10empty_typeEbEEZZNS1_14partition_implILS8_4ELb0ES6_15HIP_vector_typeIjLj2EENS0_17counting_iteratorIjlEEPS9_SG_NS0_5tupleIJPjSI_NS0_16reverse_iteratorISI_EEEEENSH_IJSG_SG_SG_EEES9_SI_JZNS1_25segmented_radix_sort_implINS0_14default_configELb1EPKhPhPKlPlN2at6native12_GLOBAL__N_18offset_tEEE10hipError_tPvRmT1_PNSt15iterator_traitsIS12_E10value_typeET2_T3_PNS13_IS18_E10value_typeET4_jRbjT5_S1E_jjP12ihipStream_tbEUljE_ZNSN_ISO_Lb1ESQ_SR_ST_SU_SY_EESZ_S10_S11_S12_S16_S17_S18_S1B_S1C_jS1D_jS1E_S1E_jjS1G_bEUljE0_EEESZ_S10_S11_S18_S1C_S1E_T6_T7_T9_mT8_S1G_bDpT10_ENKUlT_T0_E_clISt17integral_constantIbLb1EES1T_IbLb0EEEEDaS1P_S1Q_EUlS1P_E_NS1_11comp_targetILNS1_3genE8ELNS1_11target_archE1030ELNS1_3gpuE2ELNS1_3repE0EEENS1_30default_config_static_selectorELNS0_4arch9wavefront6targetE1EEEvS12_
; %bb.0:
	.section	.rodata,"a",@progbits
	.p2align	6, 0x0
	.amdhsa_kernel _ZN7rocprim17ROCPRIM_400000_NS6detail17trampoline_kernelINS0_13select_configILj256ELj13ELNS0_17block_load_methodE3ELS4_3ELS4_3ELNS0_20block_scan_algorithmE0ELj4294967295EEENS1_25partition_config_selectorILNS1_17partition_subalgoE4EjNS0_10empty_typeEbEEZZNS1_14partition_implILS8_4ELb0ES6_15HIP_vector_typeIjLj2EENS0_17counting_iteratorIjlEEPS9_SG_NS0_5tupleIJPjSI_NS0_16reverse_iteratorISI_EEEEENSH_IJSG_SG_SG_EEES9_SI_JZNS1_25segmented_radix_sort_implINS0_14default_configELb1EPKhPhPKlPlN2at6native12_GLOBAL__N_18offset_tEEE10hipError_tPvRmT1_PNSt15iterator_traitsIS12_E10value_typeET2_T3_PNS13_IS18_E10value_typeET4_jRbjT5_S1E_jjP12ihipStream_tbEUljE_ZNSN_ISO_Lb1ESQ_SR_ST_SU_SY_EESZ_S10_S11_S12_S16_S17_S18_S1B_S1C_jS1D_jS1E_S1E_jjS1G_bEUljE0_EEESZ_S10_S11_S18_S1C_S1E_T6_T7_T9_mT8_S1G_bDpT10_ENKUlT_T0_E_clISt17integral_constantIbLb1EES1T_IbLb0EEEEDaS1P_S1Q_EUlS1P_E_NS1_11comp_targetILNS1_3genE8ELNS1_11target_archE1030ELNS1_3gpuE2ELNS1_3repE0EEENS1_30default_config_static_selectorELNS0_4arch9wavefront6targetE1EEEvS12_
		.amdhsa_group_segment_fixed_size 0
		.amdhsa_private_segment_fixed_size 0
		.amdhsa_kernarg_size 176
		.amdhsa_user_sgpr_count 6
		.amdhsa_user_sgpr_private_segment_buffer 1
		.amdhsa_user_sgpr_dispatch_ptr 0
		.amdhsa_user_sgpr_queue_ptr 0
		.amdhsa_user_sgpr_kernarg_segment_ptr 1
		.amdhsa_user_sgpr_dispatch_id 0
		.amdhsa_user_sgpr_flat_scratch_init 0
		.amdhsa_user_sgpr_kernarg_preload_length 0
		.amdhsa_user_sgpr_kernarg_preload_offset 0
		.amdhsa_user_sgpr_private_segment_size 0
		.amdhsa_uses_dynamic_stack 0
		.amdhsa_system_sgpr_private_segment_wavefront_offset 0
		.amdhsa_system_sgpr_workgroup_id_x 1
		.amdhsa_system_sgpr_workgroup_id_y 0
		.amdhsa_system_sgpr_workgroup_id_z 0
		.amdhsa_system_sgpr_workgroup_info 0
		.amdhsa_system_vgpr_workitem_id 0
		.amdhsa_next_free_vgpr 1
		.amdhsa_next_free_sgpr 0
		.amdhsa_accum_offset 4
		.amdhsa_reserve_vcc 0
		.amdhsa_reserve_flat_scratch 0
		.amdhsa_float_round_mode_32 0
		.amdhsa_float_round_mode_16_64 0
		.amdhsa_float_denorm_mode_32 3
		.amdhsa_float_denorm_mode_16_64 3
		.amdhsa_dx10_clamp 1
		.amdhsa_ieee_mode 1
		.amdhsa_fp16_overflow 0
		.amdhsa_tg_split 0
		.amdhsa_exception_fp_ieee_invalid_op 0
		.amdhsa_exception_fp_denorm_src 0
		.amdhsa_exception_fp_ieee_div_zero 0
		.amdhsa_exception_fp_ieee_overflow 0
		.amdhsa_exception_fp_ieee_underflow 0
		.amdhsa_exception_fp_ieee_inexact 0
		.amdhsa_exception_int_div_zero 0
	.end_amdhsa_kernel
	.section	.text._ZN7rocprim17ROCPRIM_400000_NS6detail17trampoline_kernelINS0_13select_configILj256ELj13ELNS0_17block_load_methodE3ELS4_3ELS4_3ELNS0_20block_scan_algorithmE0ELj4294967295EEENS1_25partition_config_selectorILNS1_17partition_subalgoE4EjNS0_10empty_typeEbEEZZNS1_14partition_implILS8_4ELb0ES6_15HIP_vector_typeIjLj2EENS0_17counting_iteratorIjlEEPS9_SG_NS0_5tupleIJPjSI_NS0_16reverse_iteratorISI_EEEEENSH_IJSG_SG_SG_EEES9_SI_JZNS1_25segmented_radix_sort_implINS0_14default_configELb1EPKhPhPKlPlN2at6native12_GLOBAL__N_18offset_tEEE10hipError_tPvRmT1_PNSt15iterator_traitsIS12_E10value_typeET2_T3_PNS13_IS18_E10value_typeET4_jRbjT5_S1E_jjP12ihipStream_tbEUljE_ZNSN_ISO_Lb1ESQ_SR_ST_SU_SY_EESZ_S10_S11_S12_S16_S17_S18_S1B_S1C_jS1D_jS1E_S1E_jjS1G_bEUljE0_EEESZ_S10_S11_S18_S1C_S1E_T6_T7_T9_mT8_S1G_bDpT10_ENKUlT_T0_E_clISt17integral_constantIbLb1EES1T_IbLb0EEEEDaS1P_S1Q_EUlS1P_E_NS1_11comp_targetILNS1_3genE8ELNS1_11target_archE1030ELNS1_3gpuE2ELNS1_3repE0EEENS1_30default_config_static_selectorELNS0_4arch9wavefront6targetE1EEEvS12_,"axG",@progbits,_ZN7rocprim17ROCPRIM_400000_NS6detail17trampoline_kernelINS0_13select_configILj256ELj13ELNS0_17block_load_methodE3ELS4_3ELS4_3ELNS0_20block_scan_algorithmE0ELj4294967295EEENS1_25partition_config_selectorILNS1_17partition_subalgoE4EjNS0_10empty_typeEbEEZZNS1_14partition_implILS8_4ELb0ES6_15HIP_vector_typeIjLj2EENS0_17counting_iteratorIjlEEPS9_SG_NS0_5tupleIJPjSI_NS0_16reverse_iteratorISI_EEEEENSH_IJSG_SG_SG_EEES9_SI_JZNS1_25segmented_radix_sort_implINS0_14default_configELb1EPKhPhPKlPlN2at6native12_GLOBAL__N_18offset_tEEE10hipError_tPvRmT1_PNSt15iterator_traitsIS12_E10value_typeET2_T3_PNS13_IS18_E10value_typeET4_jRbjT5_S1E_jjP12ihipStream_tbEUljE_ZNSN_ISO_Lb1ESQ_SR_ST_SU_SY_EESZ_S10_S11_S12_S16_S17_S18_S1B_S1C_jS1D_jS1E_S1E_jjS1G_bEUljE0_EEESZ_S10_S11_S18_S1C_S1E_T6_T7_T9_mT8_S1G_bDpT10_ENKUlT_T0_E_clISt17integral_constantIbLb1EES1T_IbLb0EEEEDaS1P_S1Q_EUlS1P_E_NS1_11comp_targetILNS1_3genE8ELNS1_11target_archE1030ELNS1_3gpuE2ELNS1_3repE0EEENS1_30default_config_static_selectorELNS0_4arch9wavefront6targetE1EEEvS12_,comdat
.Lfunc_end37:
	.size	_ZN7rocprim17ROCPRIM_400000_NS6detail17trampoline_kernelINS0_13select_configILj256ELj13ELNS0_17block_load_methodE3ELS4_3ELS4_3ELNS0_20block_scan_algorithmE0ELj4294967295EEENS1_25partition_config_selectorILNS1_17partition_subalgoE4EjNS0_10empty_typeEbEEZZNS1_14partition_implILS8_4ELb0ES6_15HIP_vector_typeIjLj2EENS0_17counting_iteratorIjlEEPS9_SG_NS0_5tupleIJPjSI_NS0_16reverse_iteratorISI_EEEEENSH_IJSG_SG_SG_EEES9_SI_JZNS1_25segmented_radix_sort_implINS0_14default_configELb1EPKhPhPKlPlN2at6native12_GLOBAL__N_18offset_tEEE10hipError_tPvRmT1_PNSt15iterator_traitsIS12_E10value_typeET2_T3_PNS13_IS18_E10value_typeET4_jRbjT5_S1E_jjP12ihipStream_tbEUljE_ZNSN_ISO_Lb1ESQ_SR_ST_SU_SY_EESZ_S10_S11_S12_S16_S17_S18_S1B_S1C_jS1D_jS1E_S1E_jjS1G_bEUljE0_EEESZ_S10_S11_S18_S1C_S1E_T6_T7_T9_mT8_S1G_bDpT10_ENKUlT_T0_E_clISt17integral_constantIbLb1EES1T_IbLb0EEEEDaS1P_S1Q_EUlS1P_E_NS1_11comp_targetILNS1_3genE8ELNS1_11target_archE1030ELNS1_3gpuE2ELNS1_3repE0EEENS1_30default_config_static_selectorELNS0_4arch9wavefront6targetE1EEEvS12_, .Lfunc_end37-_ZN7rocprim17ROCPRIM_400000_NS6detail17trampoline_kernelINS0_13select_configILj256ELj13ELNS0_17block_load_methodE3ELS4_3ELS4_3ELNS0_20block_scan_algorithmE0ELj4294967295EEENS1_25partition_config_selectorILNS1_17partition_subalgoE4EjNS0_10empty_typeEbEEZZNS1_14partition_implILS8_4ELb0ES6_15HIP_vector_typeIjLj2EENS0_17counting_iteratorIjlEEPS9_SG_NS0_5tupleIJPjSI_NS0_16reverse_iteratorISI_EEEEENSH_IJSG_SG_SG_EEES9_SI_JZNS1_25segmented_radix_sort_implINS0_14default_configELb1EPKhPhPKlPlN2at6native12_GLOBAL__N_18offset_tEEE10hipError_tPvRmT1_PNSt15iterator_traitsIS12_E10value_typeET2_T3_PNS13_IS18_E10value_typeET4_jRbjT5_S1E_jjP12ihipStream_tbEUljE_ZNSN_ISO_Lb1ESQ_SR_ST_SU_SY_EESZ_S10_S11_S12_S16_S17_S18_S1B_S1C_jS1D_jS1E_S1E_jjS1G_bEUljE0_EEESZ_S10_S11_S18_S1C_S1E_T6_T7_T9_mT8_S1G_bDpT10_ENKUlT_T0_E_clISt17integral_constantIbLb1EES1T_IbLb0EEEEDaS1P_S1Q_EUlS1P_E_NS1_11comp_targetILNS1_3genE8ELNS1_11target_archE1030ELNS1_3gpuE2ELNS1_3repE0EEENS1_30default_config_static_selectorELNS0_4arch9wavefront6targetE1EEEvS12_
                                        ; -- End function
	.section	.AMDGPU.csdata,"",@progbits
; Kernel info:
; codeLenInByte = 0
; NumSgprs: 4
; NumVgprs: 0
; NumAgprs: 0
; TotalNumVgprs: 0
; ScratchSize: 0
; MemoryBound: 0
; FloatMode: 240
; IeeeMode: 1
; LDSByteSize: 0 bytes/workgroup (compile time only)
; SGPRBlocks: 0
; VGPRBlocks: 0
; NumSGPRsForWavesPerEU: 4
; NumVGPRsForWavesPerEU: 1
; AccumOffset: 4
; Occupancy: 8
; WaveLimiterHint : 0
; COMPUTE_PGM_RSRC2:SCRATCH_EN: 0
; COMPUTE_PGM_RSRC2:USER_SGPR: 6
; COMPUTE_PGM_RSRC2:TRAP_HANDLER: 0
; COMPUTE_PGM_RSRC2:TGID_X_EN: 1
; COMPUTE_PGM_RSRC2:TGID_Y_EN: 0
; COMPUTE_PGM_RSRC2:TGID_Z_EN: 0
; COMPUTE_PGM_RSRC2:TIDIG_COMP_CNT: 0
; COMPUTE_PGM_RSRC3_GFX90A:ACCUM_OFFSET: 0
; COMPUTE_PGM_RSRC3_GFX90A:TG_SPLIT: 0
	.section	.text._ZN7rocprim17ROCPRIM_400000_NS6detail31init_lookback_scan_state_kernelINS1_19lookback_scan_stateI15HIP_vector_typeIjLj2EELb0ELb1EEENS1_16block_id_wrapperIjLb1EEEEEvT_jT0_jPNS9_10value_typeE,"axG",@progbits,_ZN7rocprim17ROCPRIM_400000_NS6detail31init_lookback_scan_state_kernelINS1_19lookback_scan_stateI15HIP_vector_typeIjLj2EELb0ELb1EEENS1_16block_id_wrapperIjLb1EEEEEvT_jT0_jPNS9_10value_typeE,comdat
	.protected	_ZN7rocprim17ROCPRIM_400000_NS6detail31init_lookback_scan_state_kernelINS1_19lookback_scan_stateI15HIP_vector_typeIjLj2EELb0ELb1EEENS1_16block_id_wrapperIjLb1EEEEEvT_jT0_jPNS9_10value_typeE ; -- Begin function _ZN7rocprim17ROCPRIM_400000_NS6detail31init_lookback_scan_state_kernelINS1_19lookback_scan_stateI15HIP_vector_typeIjLj2EELb0ELb1EEENS1_16block_id_wrapperIjLb1EEEEEvT_jT0_jPNS9_10value_typeE
	.globl	_ZN7rocprim17ROCPRIM_400000_NS6detail31init_lookback_scan_state_kernelINS1_19lookback_scan_stateI15HIP_vector_typeIjLj2EELb0ELb1EEENS1_16block_id_wrapperIjLb1EEEEEvT_jT0_jPNS9_10value_typeE
	.p2align	8
	.type	_ZN7rocprim17ROCPRIM_400000_NS6detail31init_lookback_scan_state_kernelINS1_19lookback_scan_stateI15HIP_vector_typeIjLj2EELb0ELb1EEENS1_16block_id_wrapperIjLb1EEEEEvT_jT0_jPNS9_10value_typeE,@function
_ZN7rocprim17ROCPRIM_400000_NS6detail31init_lookback_scan_state_kernelINS1_19lookback_scan_stateI15HIP_vector_typeIjLj2EELb0ELb1EEENS1_16block_id_wrapperIjLb1EEEEEvT_jT0_jPNS9_10value_typeE: ; @_ZN7rocprim17ROCPRIM_400000_NS6detail31init_lookback_scan_state_kernelINS1_19lookback_scan_stateI15HIP_vector_typeIjLj2EELb0ELb1EEENS1_16block_id_wrapperIjLb1EEEEEvT_jT0_jPNS9_10value_typeE
; %bb.0:
	s_load_dword s7, s[4:5], 0x34
	s_load_dwordx2 s[2:3], s[4:5], 0x20
	s_load_dwordx2 s[0:1], s[4:5], 0x0
	s_load_dword s14, s[4:5], 0x8
	s_waitcnt lgkmcnt(0)
	s_and_b32 s7, s7, 0xffff
	s_mul_i32 s6, s6, s7
	s_cmp_eq_u64 s[2:3], 0
	v_add_u32_e32 v0, s6, v0
	s_cbranch_scc1 .LBB38_8
; %bb.1:
	s_load_dword s8, s[4:5], 0x18
	s_mov_b32 s9, 0
	s_waitcnt lgkmcnt(0)
	s_cmp_lt_u32 s8, s14
	s_cselect_b32 s6, s8, 0
	v_cmp_eq_u32_e32 vcc, s6, v0
	s_and_saveexec_b64 s[6:7], vcc
	s_cbranch_execz .LBB38_7
; %bb.2:
	s_add_i32 s8, s8, 64
	s_lshl_b64 s[8:9], s[8:9], 4
	s_add_u32 s12, s0, s8
	s_addc_u32 s13, s1, s9
	v_pk_mov_b32 v[2:3], s[12:13], s[12:13] op_sel:[0,1]
	;;#ASMSTART
	global_load_dwordx4 v[2:5], v[2:3] off glc	
s_waitcnt vmcnt(0)
	;;#ASMEND
	v_mov_b32_e32 v7, 0
	v_and_b32_e32 v6, 0xff, v4
	s_mov_b64 s[10:11], 0
	v_cmp_eq_u64_e32 vcc, 0, v[6:7]
	s_and_saveexec_b64 s[8:9], vcc
	s_cbranch_execz .LBB38_6
; %bb.3:
	v_pk_mov_b32 v[8:9], s[12:13], s[12:13] op_sel:[0,1]
.LBB38_4:                               ; =>This Inner Loop Header: Depth=1
	;;#ASMSTART
	global_load_dwordx4 v[2:5], v[8:9] off glc	
s_waitcnt vmcnt(0)
	;;#ASMEND
	v_and_b32_e32 v6, 0xff, v4
	v_cmp_ne_u64_e32 vcc, 0, v[6:7]
	s_or_b64 s[10:11], vcc, s[10:11]
	s_andn2_b64 exec, exec, s[10:11]
	s_cbranch_execnz .LBB38_4
; %bb.5:
	s_or_b64 exec, exec, s[10:11]
.LBB38_6:
	s_or_b64 exec, exec, s[8:9]
	v_mov_b32_e32 v1, 0
	global_store_dwordx2 v1, v[2:3], s[2:3]
.LBB38_7:
	s_or_b64 exec, exec, s[6:7]
.LBB38_8:
	v_cmp_eq_u32_e32 vcc, 0, v0
	s_and_saveexec_b64 s[2:3], vcc
	s_cbranch_execnz .LBB38_12
; %bb.9:
	s_or_b64 exec, exec, s[2:3]
	v_cmp_gt_u32_e32 vcc, s14, v0
	s_and_saveexec_b64 s[2:3], vcc
	s_cbranch_execnz .LBB38_13
.LBB38_10:
	s_or_b64 exec, exec, s[2:3]
	v_cmp_gt_u32_e32 vcc, 64, v0
	s_and_saveexec_b64 s[2:3], vcc
	s_cbranch_execnz .LBB38_14
.LBB38_11:
	s_endpgm
.LBB38_12:
	s_load_dwordx2 s[4:5], s[4:5], 0x10
	v_mov_b32_e32 v1, 0
	s_waitcnt lgkmcnt(0)
	global_store_dword v1, v1, s[4:5]
	s_or_b64 exec, exec, s[2:3]
	v_cmp_gt_u32_e32 vcc, s14, v0
	s_and_saveexec_b64 s[2:3], vcc
	s_cbranch_execz .LBB38_10
.LBB38_13:
	v_add_u32_e32 v2, 64, v0
	v_mov_b32_e32 v3, 0
	v_lshlrev_b64 v[4:5], 4, v[2:3]
	v_mov_b32_e32 v1, s1
	v_add_co_u32_e32 v6, vcc, s0, v4
	v_addc_co_u32_e32 v7, vcc, v1, v5, vcc
	v_mov_b32_e32 v2, v3
	v_mov_b32_e32 v4, v3
	;; [unrolled: 1-line block ×3, first 2 shown]
	global_store_dwordx4 v[6:7], v[2:5], off
	s_or_b64 exec, exec, s[2:3]
	v_cmp_gt_u32_e32 vcc, 64, v0
	s_and_saveexec_b64 s[2:3], vcc
	s_cbranch_execz .LBB38_11
.LBB38_14:
	v_mov_b32_e32 v1, 0
	v_lshlrev_b64 v[2:3], 4, v[0:1]
	v_mov_b32_e32 v0, s1
	v_add_co_u32_e32 v4, vcc, s0, v2
	v_addc_co_u32_e32 v5, vcc, v0, v3, vcc
	v_mov_b32_e32 v2, 0xff
	v_mov_b32_e32 v0, v1
	;; [unrolled: 1-line block ×3, first 2 shown]
	global_store_dwordx4 v[4:5], v[0:3], off
	s_endpgm
	.section	.rodata,"a",@progbits
	.p2align	6, 0x0
	.amdhsa_kernel _ZN7rocprim17ROCPRIM_400000_NS6detail31init_lookback_scan_state_kernelINS1_19lookback_scan_stateI15HIP_vector_typeIjLj2EELb0ELb1EEENS1_16block_id_wrapperIjLb1EEEEEvT_jT0_jPNS9_10value_typeE
		.amdhsa_group_segment_fixed_size 0
		.amdhsa_private_segment_fixed_size 0
		.amdhsa_kernarg_size 296
		.amdhsa_user_sgpr_count 6
		.amdhsa_user_sgpr_private_segment_buffer 1
		.amdhsa_user_sgpr_dispatch_ptr 0
		.amdhsa_user_sgpr_queue_ptr 0
		.amdhsa_user_sgpr_kernarg_segment_ptr 1
		.amdhsa_user_sgpr_dispatch_id 0
		.amdhsa_user_sgpr_flat_scratch_init 0
		.amdhsa_user_sgpr_kernarg_preload_length 0
		.amdhsa_user_sgpr_kernarg_preload_offset 0
		.amdhsa_user_sgpr_private_segment_size 0
		.amdhsa_uses_dynamic_stack 0
		.amdhsa_system_sgpr_private_segment_wavefront_offset 0
		.amdhsa_system_sgpr_workgroup_id_x 1
		.amdhsa_system_sgpr_workgroup_id_y 0
		.amdhsa_system_sgpr_workgroup_id_z 0
		.amdhsa_system_sgpr_workgroup_info 0
		.amdhsa_system_vgpr_workitem_id 0
		.amdhsa_next_free_vgpr 10
		.amdhsa_next_free_sgpr 15
		.amdhsa_accum_offset 12
		.amdhsa_reserve_vcc 1
		.amdhsa_reserve_flat_scratch 0
		.amdhsa_float_round_mode_32 0
		.amdhsa_float_round_mode_16_64 0
		.amdhsa_float_denorm_mode_32 3
		.amdhsa_float_denorm_mode_16_64 3
		.amdhsa_dx10_clamp 1
		.amdhsa_ieee_mode 1
		.amdhsa_fp16_overflow 0
		.amdhsa_tg_split 0
		.amdhsa_exception_fp_ieee_invalid_op 0
		.amdhsa_exception_fp_denorm_src 0
		.amdhsa_exception_fp_ieee_div_zero 0
		.amdhsa_exception_fp_ieee_overflow 0
		.amdhsa_exception_fp_ieee_underflow 0
		.amdhsa_exception_fp_ieee_inexact 0
		.amdhsa_exception_int_div_zero 0
	.end_amdhsa_kernel
	.section	.text._ZN7rocprim17ROCPRIM_400000_NS6detail31init_lookback_scan_state_kernelINS1_19lookback_scan_stateI15HIP_vector_typeIjLj2EELb0ELb1EEENS1_16block_id_wrapperIjLb1EEEEEvT_jT0_jPNS9_10value_typeE,"axG",@progbits,_ZN7rocprim17ROCPRIM_400000_NS6detail31init_lookback_scan_state_kernelINS1_19lookback_scan_stateI15HIP_vector_typeIjLj2EELb0ELb1EEENS1_16block_id_wrapperIjLb1EEEEEvT_jT0_jPNS9_10value_typeE,comdat
.Lfunc_end38:
	.size	_ZN7rocprim17ROCPRIM_400000_NS6detail31init_lookback_scan_state_kernelINS1_19lookback_scan_stateI15HIP_vector_typeIjLj2EELb0ELb1EEENS1_16block_id_wrapperIjLb1EEEEEvT_jT0_jPNS9_10value_typeE, .Lfunc_end38-_ZN7rocprim17ROCPRIM_400000_NS6detail31init_lookback_scan_state_kernelINS1_19lookback_scan_stateI15HIP_vector_typeIjLj2EELb0ELb1EEENS1_16block_id_wrapperIjLb1EEEEEvT_jT0_jPNS9_10value_typeE
                                        ; -- End function
	.section	.AMDGPU.csdata,"",@progbits
; Kernel info:
; codeLenInByte = 440
; NumSgprs: 19
; NumVgprs: 10
; NumAgprs: 0
; TotalNumVgprs: 10
; ScratchSize: 0
; MemoryBound: 0
; FloatMode: 240
; IeeeMode: 1
; LDSByteSize: 0 bytes/workgroup (compile time only)
; SGPRBlocks: 2
; VGPRBlocks: 1
; NumSGPRsForWavesPerEU: 19
; NumVGPRsForWavesPerEU: 10
; AccumOffset: 12
; Occupancy: 8
; WaveLimiterHint : 0
; COMPUTE_PGM_RSRC2:SCRATCH_EN: 0
; COMPUTE_PGM_RSRC2:USER_SGPR: 6
; COMPUTE_PGM_RSRC2:TRAP_HANDLER: 0
; COMPUTE_PGM_RSRC2:TGID_X_EN: 1
; COMPUTE_PGM_RSRC2:TGID_Y_EN: 0
; COMPUTE_PGM_RSRC2:TGID_Z_EN: 0
; COMPUTE_PGM_RSRC2:TIDIG_COMP_CNT: 0
; COMPUTE_PGM_RSRC3_GFX90A:ACCUM_OFFSET: 2
; COMPUTE_PGM_RSRC3_GFX90A:TG_SPLIT: 0
	.section	.text._ZN7rocprim17ROCPRIM_400000_NS6detail17trampoline_kernelINS0_13select_configILj256ELj13ELNS0_17block_load_methodE3ELS4_3ELS4_3ELNS0_20block_scan_algorithmE0ELj4294967295EEENS1_25partition_config_selectorILNS1_17partition_subalgoE4EjNS0_10empty_typeEbEEZZNS1_14partition_implILS8_4ELb0ES6_15HIP_vector_typeIjLj2EENS0_17counting_iteratorIjlEEPS9_SG_NS0_5tupleIJPjSI_NS0_16reverse_iteratorISI_EEEEENSH_IJSG_SG_SG_EEES9_SI_JZNS1_25segmented_radix_sort_implINS0_14default_configELb1EPKhPhPKlPlN2at6native12_GLOBAL__N_18offset_tEEE10hipError_tPvRmT1_PNSt15iterator_traitsIS12_E10value_typeET2_T3_PNS13_IS18_E10value_typeET4_jRbjT5_S1E_jjP12ihipStream_tbEUljE_ZNSN_ISO_Lb1ESQ_SR_ST_SU_SY_EESZ_S10_S11_S12_S16_S17_S18_S1B_S1C_jS1D_jS1E_S1E_jjS1G_bEUljE0_EEESZ_S10_S11_S18_S1C_S1E_T6_T7_T9_mT8_S1G_bDpT10_ENKUlT_T0_E_clISt17integral_constantIbLb0EES1T_IbLb1EEEEDaS1P_S1Q_EUlS1P_E_NS1_11comp_targetILNS1_3genE0ELNS1_11target_archE4294967295ELNS1_3gpuE0ELNS1_3repE0EEENS1_30default_config_static_selectorELNS0_4arch9wavefront6targetE1EEEvS12_,"axG",@progbits,_ZN7rocprim17ROCPRIM_400000_NS6detail17trampoline_kernelINS0_13select_configILj256ELj13ELNS0_17block_load_methodE3ELS4_3ELS4_3ELNS0_20block_scan_algorithmE0ELj4294967295EEENS1_25partition_config_selectorILNS1_17partition_subalgoE4EjNS0_10empty_typeEbEEZZNS1_14partition_implILS8_4ELb0ES6_15HIP_vector_typeIjLj2EENS0_17counting_iteratorIjlEEPS9_SG_NS0_5tupleIJPjSI_NS0_16reverse_iteratorISI_EEEEENSH_IJSG_SG_SG_EEES9_SI_JZNS1_25segmented_radix_sort_implINS0_14default_configELb1EPKhPhPKlPlN2at6native12_GLOBAL__N_18offset_tEEE10hipError_tPvRmT1_PNSt15iterator_traitsIS12_E10value_typeET2_T3_PNS13_IS18_E10value_typeET4_jRbjT5_S1E_jjP12ihipStream_tbEUljE_ZNSN_ISO_Lb1ESQ_SR_ST_SU_SY_EESZ_S10_S11_S12_S16_S17_S18_S1B_S1C_jS1D_jS1E_S1E_jjS1G_bEUljE0_EEESZ_S10_S11_S18_S1C_S1E_T6_T7_T9_mT8_S1G_bDpT10_ENKUlT_T0_E_clISt17integral_constantIbLb0EES1T_IbLb1EEEEDaS1P_S1Q_EUlS1P_E_NS1_11comp_targetILNS1_3genE0ELNS1_11target_archE4294967295ELNS1_3gpuE0ELNS1_3repE0EEENS1_30default_config_static_selectorELNS0_4arch9wavefront6targetE1EEEvS12_,comdat
	.globl	_ZN7rocprim17ROCPRIM_400000_NS6detail17trampoline_kernelINS0_13select_configILj256ELj13ELNS0_17block_load_methodE3ELS4_3ELS4_3ELNS0_20block_scan_algorithmE0ELj4294967295EEENS1_25partition_config_selectorILNS1_17partition_subalgoE4EjNS0_10empty_typeEbEEZZNS1_14partition_implILS8_4ELb0ES6_15HIP_vector_typeIjLj2EENS0_17counting_iteratorIjlEEPS9_SG_NS0_5tupleIJPjSI_NS0_16reverse_iteratorISI_EEEEENSH_IJSG_SG_SG_EEES9_SI_JZNS1_25segmented_radix_sort_implINS0_14default_configELb1EPKhPhPKlPlN2at6native12_GLOBAL__N_18offset_tEEE10hipError_tPvRmT1_PNSt15iterator_traitsIS12_E10value_typeET2_T3_PNS13_IS18_E10value_typeET4_jRbjT5_S1E_jjP12ihipStream_tbEUljE_ZNSN_ISO_Lb1ESQ_SR_ST_SU_SY_EESZ_S10_S11_S12_S16_S17_S18_S1B_S1C_jS1D_jS1E_S1E_jjS1G_bEUljE0_EEESZ_S10_S11_S18_S1C_S1E_T6_T7_T9_mT8_S1G_bDpT10_ENKUlT_T0_E_clISt17integral_constantIbLb0EES1T_IbLb1EEEEDaS1P_S1Q_EUlS1P_E_NS1_11comp_targetILNS1_3genE0ELNS1_11target_archE4294967295ELNS1_3gpuE0ELNS1_3repE0EEENS1_30default_config_static_selectorELNS0_4arch9wavefront6targetE1EEEvS12_ ; -- Begin function _ZN7rocprim17ROCPRIM_400000_NS6detail17trampoline_kernelINS0_13select_configILj256ELj13ELNS0_17block_load_methodE3ELS4_3ELS4_3ELNS0_20block_scan_algorithmE0ELj4294967295EEENS1_25partition_config_selectorILNS1_17partition_subalgoE4EjNS0_10empty_typeEbEEZZNS1_14partition_implILS8_4ELb0ES6_15HIP_vector_typeIjLj2EENS0_17counting_iteratorIjlEEPS9_SG_NS0_5tupleIJPjSI_NS0_16reverse_iteratorISI_EEEEENSH_IJSG_SG_SG_EEES9_SI_JZNS1_25segmented_radix_sort_implINS0_14default_configELb1EPKhPhPKlPlN2at6native12_GLOBAL__N_18offset_tEEE10hipError_tPvRmT1_PNSt15iterator_traitsIS12_E10value_typeET2_T3_PNS13_IS18_E10value_typeET4_jRbjT5_S1E_jjP12ihipStream_tbEUljE_ZNSN_ISO_Lb1ESQ_SR_ST_SU_SY_EESZ_S10_S11_S12_S16_S17_S18_S1B_S1C_jS1D_jS1E_S1E_jjS1G_bEUljE0_EEESZ_S10_S11_S18_S1C_S1E_T6_T7_T9_mT8_S1G_bDpT10_ENKUlT_T0_E_clISt17integral_constantIbLb0EES1T_IbLb1EEEEDaS1P_S1Q_EUlS1P_E_NS1_11comp_targetILNS1_3genE0ELNS1_11target_archE4294967295ELNS1_3gpuE0ELNS1_3repE0EEENS1_30default_config_static_selectorELNS0_4arch9wavefront6targetE1EEEvS12_
	.p2align	8
	.type	_ZN7rocprim17ROCPRIM_400000_NS6detail17trampoline_kernelINS0_13select_configILj256ELj13ELNS0_17block_load_methodE3ELS4_3ELS4_3ELNS0_20block_scan_algorithmE0ELj4294967295EEENS1_25partition_config_selectorILNS1_17partition_subalgoE4EjNS0_10empty_typeEbEEZZNS1_14partition_implILS8_4ELb0ES6_15HIP_vector_typeIjLj2EENS0_17counting_iteratorIjlEEPS9_SG_NS0_5tupleIJPjSI_NS0_16reverse_iteratorISI_EEEEENSH_IJSG_SG_SG_EEES9_SI_JZNS1_25segmented_radix_sort_implINS0_14default_configELb1EPKhPhPKlPlN2at6native12_GLOBAL__N_18offset_tEEE10hipError_tPvRmT1_PNSt15iterator_traitsIS12_E10value_typeET2_T3_PNS13_IS18_E10value_typeET4_jRbjT5_S1E_jjP12ihipStream_tbEUljE_ZNSN_ISO_Lb1ESQ_SR_ST_SU_SY_EESZ_S10_S11_S12_S16_S17_S18_S1B_S1C_jS1D_jS1E_S1E_jjS1G_bEUljE0_EEESZ_S10_S11_S18_S1C_S1E_T6_T7_T9_mT8_S1G_bDpT10_ENKUlT_T0_E_clISt17integral_constantIbLb0EES1T_IbLb1EEEEDaS1P_S1Q_EUlS1P_E_NS1_11comp_targetILNS1_3genE0ELNS1_11target_archE4294967295ELNS1_3gpuE0ELNS1_3repE0EEENS1_30default_config_static_selectorELNS0_4arch9wavefront6targetE1EEEvS12_,@function
_ZN7rocprim17ROCPRIM_400000_NS6detail17trampoline_kernelINS0_13select_configILj256ELj13ELNS0_17block_load_methodE3ELS4_3ELS4_3ELNS0_20block_scan_algorithmE0ELj4294967295EEENS1_25partition_config_selectorILNS1_17partition_subalgoE4EjNS0_10empty_typeEbEEZZNS1_14partition_implILS8_4ELb0ES6_15HIP_vector_typeIjLj2EENS0_17counting_iteratorIjlEEPS9_SG_NS0_5tupleIJPjSI_NS0_16reverse_iteratorISI_EEEEENSH_IJSG_SG_SG_EEES9_SI_JZNS1_25segmented_radix_sort_implINS0_14default_configELb1EPKhPhPKlPlN2at6native12_GLOBAL__N_18offset_tEEE10hipError_tPvRmT1_PNSt15iterator_traitsIS12_E10value_typeET2_T3_PNS13_IS18_E10value_typeET4_jRbjT5_S1E_jjP12ihipStream_tbEUljE_ZNSN_ISO_Lb1ESQ_SR_ST_SU_SY_EESZ_S10_S11_S12_S16_S17_S18_S1B_S1C_jS1D_jS1E_S1E_jjS1G_bEUljE0_EEESZ_S10_S11_S18_S1C_S1E_T6_T7_T9_mT8_S1G_bDpT10_ENKUlT_T0_E_clISt17integral_constantIbLb0EES1T_IbLb1EEEEDaS1P_S1Q_EUlS1P_E_NS1_11comp_targetILNS1_3genE0ELNS1_11target_archE4294967295ELNS1_3gpuE0ELNS1_3repE0EEENS1_30default_config_static_selectorELNS0_4arch9wavefront6targetE1EEEvS12_: ; @_ZN7rocprim17ROCPRIM_400000_NS6detail17trampoline_kernelINS0_13select_configILj256ELj13ELNS0_17block_load_methodE3ELS4_3ELS4_3ELNS0_20block_scan_algorithmE0ELj4294967295EEENS1_25partition_config_selectorILNS1_17partition_subalgoE4EjNS0_10empty_typeEbEEZZNS1_14partition_implILS8_4ELb0ES6_15HIP_vector_typeIjLj2EENS0_17counting_iteratorIjlEEPS9_SG_NS0_5tupleIJPjSI_NS0_16reverse_iteratorISI_EEEEENSH_IJSG_SG_SG_EEES9_SI_JZNS1_25segmented_radix_sort_implINS0_14default_configELb1EPKhPhPKlPlN2at6native12_GLOBAL__N_18offset_tEEE10hipError_tPvRmT1_PNSt15iterator_traitsIS12_E10value_typeET2_T3_PNS13_IS18_E10value_typeET4_jRbjT5_S1E_jjP12ihipStream_tbEUljE_ZNSN_ISO_Lb1ESQ_SR_ST_SU_SY_EESZ_S10_S11_S12_S16_S17_S18_S1B_S1C_jS1D_jS1E_S1E_jjS1G_bEUljE0_EEESZ_S10_S11_S18_S1C_S1E_T6_T7_T9_mT8_S1G_bDpT10_ENKUlT_T0_E_clISt17integral_constantIbLb0EES1T_IbLb1EEEEDaS1P_S1Q_EUlS1P_E_NS1_11comp_targetILNS1_3genE0ELNS1_11target_archE4294967295ELNS1_3gpuE0ELNS1_3repE0EEENS1_30default_config_static_selectorELNS0_4arch9wavefront6targetE1EEEvS12_
; %bb.0:
	.section	.rodata,"a",@progbits
	.p2align	6, 0x0
	.amdhsa_kernel _ZN7rocprim17ROCPRIM_400000_NS6detail17trampoline_kernelINS0_13select_configILj256ELj13ELNS0_17block_load_methodE3ELS4_3ELS4_3ELNS0_20block_scan_algorithmE0ELj4294967295EEENS1_25partition_config_selectorILNS1_17partition_subalgoE4EjNS0_10empty_typeEbEEZZNS1_14partition_implILS8_4ELb0ES6_15HIP_vector_typeIjLj2EENS0_17counting_iteratorIjlEEPS9_SG_NS0_5tupleIJPjSI_NS0_16reverse_iteratorISI_EEEEENSH_IJSG_SG_SG_EEES9_SI_JZNS1_25segmented_radix_sort_implINS0_14default_configELb1EPKhPhPKlPlN2at6native12_GLOBAL__N_18offset_tEEE10hipError_tPvRmT1_PNSt15iterator_traitsIS12_E10value_typeET2_T3_PNS13_IS18_E10value_typeET4_jRbjT5_S1E_jjP12ihipStream_tbEUljE_ZNSN_ISO_Lb1ESQ_SR_ST_SU_SY_EESZ_S10_S11_S12_S16_S17_S18_S1B_S1C_jS1D_jS1E_S1E_jjS1G_bEUljE0_EEESZ_S10_S11_S18_S1C_S1E_T6_T7_T9_mT8_S1G_bDpT10_ENKUlT_T0_E_clISt17integral_constantIbLb0EES1T_IbLb1EEEEDaS1P_S1Q_EUlS1P_E_NS1_11comp_targetILNS1_3genE0ELNS1_11target_archE4294967295ELNS1_3gpuE0ELNS1_3repE0EEENS1_30default_config_static_selectorELNS0_4arch9wavefront6targetE1EEEvS12_
		.amdhsa_group_segment_fixed_size 0
		.amdhsa_private_segment_fixed_size 0
		.amdhsa_kernarg_size 184
		.amdhsa_user_sgpr_count 6
		.amdhsa_user_sgpr_private_segment_buffer 1
		.amdhsa_user_sgpr_dispatch_ptr 0
		.amdhsa_user_sgpr_queue_ptr 0
		.amdhsa_user_sgpr_kernarg_segment_ptr 1
		.amdhsa_user_sgpr_dispatch_id 0
		.amdhsa_user_sgpr_flat_scratch_init 0
		.amdhsa_user_sgpr_kernarg_preload_length 0
		.amdhsa_user_sgpr_kernarg_preload_offset 0
		.amdhsa_user_sgpr_private_segment_size 0
		.amdhsa_uses_dynamic_stack 0
		.amdhsa_system_sgpr_private_segment_wavefront_offset 0
		.amdhsa_system_sgpr_workgroup_id_x 1
		.amdhsa_system_sgpr_workgroup_id_y 0
		.amdhsa_system_sgpr_workgroup_id_z 0
		.amdhsa_system_sgpr_workgroup_info 0
		.amdhsa_system_vgpr_workitem_id 0
		.amdhsa_next_free_vgpr 1
		.amdhsa_next_free_sgpr 0
		.amdhsa_accum_offset 4
		.amdhsa_reserve_vcc 0
		.amdhsa_reserve_flat_scratch 0
		.amdhsa_float_round_mode_32 0
		.amdhsa_float_round_mode_16_64 0
		.amdhsa_float_denorm_mode_32 3
		.amdhsa_float_denorm_mode_16_64 3
		.amdhsa_dx10_clamp 1
		.amdhsa_ieee_mode 1
		.amdhsa_fp16_overflow 0
		.amdhsa_tg_split 0
		.amdhsa_exception_fp_ieee_invalid_op 0
		.amdhsa_exception_fp_denorm_src 0
		.amdhsa_exception_fp_ieee_div_zero 0
		.amdhsa_exception_fp_ieee_overflow 0
		.amdhsa_exception_fp_ieee_underflow 0
		.amdhsa_exception_fp_ieee_inexact 0
		.amdhsa_exception_int_div_zero 0
	.end_amdhsa_kernel
	.section	.text._ZN7rocprim17ROCPRIM_400000_NS6detail17trampoline_kernelINS0_13select_configILj256ELj13ELNS0_17block_load_methodE3ELS4_3ELS4_3ELNS0_20block_scan_algorithmE0ELj4294967295EEENS1_25partition_config_selectorILNS1_17partition_subalgoE4EjNS0_10empty_typeEbEEZZNS1_14partition_implILS8_4ELb0ES6_15HIP_vector_typeIjLj2EENS0_17counting_iteratorIjlEEPS9_SG_NS0_5tupleIJPjSI_NS0_16reverse_iteratorISI_EEEEENSH_IJSG_SG_SG_EEES9_SI_JZNS1_25segmented_radix_sort_implINS0_14default_configELb1EPKhPhPKlPlN2at6native12_GLOBAL__N_18offset_tEEE10hipError_tPvRmT1_PNSt15iterator_traitsIS12_E10value_typeET2_T3_PNS13_IS18_E10value_typeET4_jRbjT5_S1E_jjP12ihipStream_tbEUljE_ZNSN_ISO_Lb1ESQ_SR_ST_SU_SY_EESZ_S10_S11_S12_S16_S17_S18_S1B_S1C_jS1D_jS1E_S1E_jjS1G_bEUljE0_EEESZ_S10_S11_S18_S1C_S1E_T6_T7_T9_mT8_S1G_bDpT10_ENKUlT_T0_E_clISt17integral_constantIbLb0EES1T_IbLb1EEEEDaS1P_S1Q_EUlS1P_E_NS1_11comp_targetILNS1_3genE0ELNS1_11target_archE4294967295ELNS1_3gpuE0ELNS1_3repE0EEENS1_30default_config_static_selectorELNS0_4arch9wavefront6targetE1EEEvS12_,"axG",@progbits,_ZN7rocprim17ROCPRIM_400000_NS6detail17trampoline_kernelINS0_13select_configILj256ELj13ELNS0_17block_load_methodE3ELS4_3ELS4_3ELNS0_20block_scan_algorithmE0ELj4294967295EEENS1_25partition_config_selectorILNS1_17partition_subalgoE4EjNS0_10empty_typeEbEEZZNS1_14partition_implILS8_4ELb0ES6_15HIP_vector_typeIjLj2EENS0_17counting_iteratorIjlEEPS9_SG_NS0_5tupleIJPjSI_NS0_16reverse_iteratorISI_EEEEENSH_IJSG_SG_SG_EEES9_SI_JZNS1_25segmented_radix_sort_implINS0_14default_configELb1EPKhPhPKlPlN2at6native12_GLOBAL__N_18offset_tEEE10hipError_tPvRmT1_PNSt15iterator_traitsIS12_E10value_typeET2_T3_PNS13_IS18_E10value_typeET4_jRbjT5_S1E_jjP12ihipStream_tbEUljE_ZNSN_ISO_Lb1ESQ_SR_ST_SU_SY_EESZ_S10_S11_S12_S16_S17_S18_S1B_S1C_jS1D_jS1E_S1E_jjS1G_bEUljE0_EEESZ_S10_S11_S18_S1C_S1E_T6_T7_T9_mT8_S1G_bDpT10_ENKUlT_T0_E_clISt17integral_constantIbLb0EES1T_IbLb1EEEEDaS1P_S1Q_EUlS1P_E_NS1_11comp_targetILNS1_3genE0ELNS1_11target_archE4294967295ELNS1_3gpuE0ELNS1_3repE0EEENS1_30default_config_static_selectorELNS0_4arch9wavefront6targetE1EEEvS12_,comdat
.Lfunc_end39:
	.size	_ZN7rocprim17ROCPRIM_400000_NS6detail17trampoline_kernelINS0_13select_configILj256ELj13ELNS0_17block_load_methodE3ELS4_3ELS4_3ELNS0_20block_scan_algorithmE0ELj4294967295EEENS1_25partition_config_selectorILNS1_17partition_subalgoE4EjNS0_10empty_typeEbEEZZNS1_14partition_implILS8_4ELb0ES6_15HIP_vector_typeIjLj2EENS0_17counting_iteratorIjlEEPS9_SG_NS0_5tupleIJPjSI_NS0_16reverse_iteratorISI_EEEEENSH_IJSG_SG_SG_EEES9_SI_JZNS1_25segmented_radix_sort_implINS0_14default_configELb1EPKhPhPKlPlN2at6native12_GLOBAL__N_18offset_tEEE10hipError_tPvRmT1_PNSt15iterator_traitsIS12_E10value_typeET2_T3_PNS13_IS18_E10value_typeET4_jRbjT5_S1E_jjP12ihipStream_tbEUljE_ZNSN_ISO_Lb1ESQ_SR_ST_SU_SY_EESZ_S10_S11_S12_S16_S17_S18_S1B_S1C_jS1D_jS1E_S1E_jjS1G_bEUljE0_EEESZ_S10_S11_S18_S1C_S1E_T6_T7_T9_mT8_S1G_bDpT10_ENKUlT_T0_E_clISt17integral_constantIbLb0EES1T_IbLb1EEEEDaS1P_S1Q_EUlS1P_E_NS1_11comp_targetILNS1_3genE0ELNS1_11target_archE4294967295ELNS1_3gpuE0ELNS1_3repE0EEENS1_30default_config_static_selectorELNS0_4arch9wavefront6targetE1EEEvS12_, .Lfunc_end39-_ZN7rocprim17ROCPRIM_400000_NS6detail17trampoline_kernelINS0_13select_configILj256ELj13ELNS0_17block_load_methodE3ELS4_3ELS4_3ELNS0_20block_scan_algorithmE0ELj4294967295EEENS1_25partition_config_selectorILNS1_17partition_subalgoE4EjNS0_10empty_typeEbEEZZNS1_14partition_implILS8_4ELb0ES6_15HIP_vector_typeIjLj2EENS0_17counting_iteratorIjlEEPS9_SG_NS0_5tupleIJPjSI_NS0_16reverse_iteratorISI_EEEEENSH_IJSG_SG_SG_EEES9_SI_JZNS1_25segmented_radix_sort_implINS0_14default_configELb1EPKhPhPKlPlN2at6native12_GLOBAL__N_18offset_tEEE10hipError_tPvRmT1_PNSt15iterator_traitsIS12_E10value_typeET2_T3_PNS13_IS18_E10value_typeET4_jRbjT5_S1E_jjP12ihipStream_tbEUljE_ZNSN_ISO_Lb1ESQ_SR_ST_SU_SY_EESZ_S10_S11_S12_S16_S17_S18_S1B_S1C_jS1D_jS1E_S1E_jjS1G_bEUljE0_EEESZ_S10_S11_S18_S1C_S1E_T6_T7_T9_mT8_S1G_bDpT10_ENKUlT_T0_E_clISt17integral_constantIbLb0EES1T_IbLb1EEEEDaS1P_S1Q_EUlS1P_E_NS1_11comp_targetILNS1_3genE0ELNS1_11target_archE4294967295ELNS1_3gpuE0ELNS1_3repE0EEENS1_30default_config_static_selectorELNS0_4arch9wavefront6targetE1EEEvS12_
                                        ; -- End function
	.section	.AMDGPU.csdata,"",@progbits
; Kernel info:
; codeLenInByte = 0
; NumSgprs: 4
; NumVgprs: 0
; NumAgprs: 0
; TotalNumVgprs: 0
; ScratchSize: 0
; MemoryBound: 0
; FloatMode: 240
; IeeeMode: 1
; LDSByteSize: 0 bytes/workgroup (compile time only)
; SGPRBlocks: 0
; VGPRBlocks: 0
; NumSGPRsForWavesPerEU: 4
; NumVGPRsForWavesPerEU: 1
; AccumOffset: 4
; Occupancy: 8
; WaveLimiterHint : 0
; COMPUTE_PGM_RSRC2:SCRATCH_EN: 0
; COMPUTE_PGM_RSRC2:USER_SGPR: 6
; COMPUTE_PGM_RSRC2:TRAP_HANDLER: 0
; COMPUTE_PGM_RSRC2:TGID_X_EN: 1
; COMPUTE_PGM_RSRC2:TGID_Y_EN: 0
; COMPUTE_PGM_RSRC2:TGID_Z_EN: 0
; COMPUTE_PGM_RSRC2:TIDIG_COMP_CNT: 0
; COMPUTE_PGM_RSRC3_GFX90A:ACCUM_OFFSET: 0
; COMPUTE_PGM_RSRC3_GFX90A:TG_SPLIT: 0
	.section	.text._ZN7rocprim17ROCPRIM_400000_NS6detail17trampoline_kernelINS0_13select_configILj256ELj13ELNS0_17block_load_methodE3ELS4_3ELS4_3ELNS0_20block_scan_algorithmE0ELj4294967295EEENS1_25partition_config_selectorILNS1_17partition_subalgoE4EjNS0_10empty_typeEbEEZZNS1_14partition_implILS8_4ELb0ES6_15HIP_vector_typeIjLj2EENS0_17counting_iteratorIjlEEPS9_SG_NS0_5tupleIJPjSI_NS0_16reverse_iteratorISI_EEEEENSH_IJSG_SG_SG_EEES9_SI_JZNS1_25segmented_radix_sort_implINS0_14default_configELb1EPKhPhPKlPlN2at6native12_GLOBAL__N_18offset_tEEE10hipError_tPvRmT1_PNSt15iterator_traitsIS12_E10value_typeET2_T3_PNS13_IS18_E10value_typeET4_jRbjT5_S1E_jjP12ihipStream_tbEUljE_ZNSN_ISO_Lb1ESQ_SR_ST_SU_SY_EESZ_S10_S11_S12_S16_S17_S18_S1B_S1C_jS1D_jS1E_S1E_jjS1G_bEUljE0_EEESZ_S10_S11_S18_S1C_S1E_T6_T7_T9_mT8_S1G_bDpT10_ENKUlT_T0_E_clISt17integral_constantIbLb0EES1T_IbLb1EEEEDaS1P_S1Q_EUlS1P_E_NS1_11comp_targetILNS1_3genE5ELNS1_11target_archE942ELNS1_3gpuE9ELNS1_3repE0EEENS1_30default_config_static_selectorELNS0_4arch9wavefront6targetE1EEEvS12_,"axG",@progbits,_ZN7rocprim17ROCPRIM_400000_NS6detail17trampoline_kernelINS0_13select_configILj256ELj13ELNS0_17block_load_methodE3ELS4_3ELS4_3ELNS0_20block_scan_algorithmE0ELj4294967295EEENS1_25partition_config_selectorILNS1_17partition_subalgoE4EjNS0_10empty_typeEbEEZZNS1_14partition_implILS8_4ELb0ES6_15HIP_vector_typeIjLj2EENS0_17counting_iteratorIjlEEPS9_SG_NS0_5tupleIJPjSI_NS0_16reverse_iteratorISI_EEEEENSH_IJSG_SG_SG_EEES9_SI_JZNS1_25segmented_radix_sort_implINS0_14default_configELb1EPKhPhPKlPlN2at6native12_GLOBAL__N_18offset_tEEE10hipError_tPvRmT1_PNSt15iterator_traitsIS12_E10value_typeET2_T3_PNS13_IS18_E10value_typeET4_jRbjT5_S1E_jjP12ihipStream_tbEUljE_ZNSN_ISO_Lb1ESQ_SR_ST_SU_SY_EESZ_S10_S11_S12_S16_S17_S18_S1B_S1C_jS1D_jS1E_S1E_jjS1G_bEUljE0_EEESZ_S10_S11_S18_S1C_S1E_T6_T7_T9_mT8_S1G_bDpT10_ENKUlT_T0_E_clISt17integral_constantIbLb0EES1T_IbLb1EEEEDaS1P_S1Q_EUlS1P_E_NS1_11comp_targetILNS1_3genE5ELNS1_11target_archE942ELNS1_3gpuE9ELNS1_3repE0EEENS1_30default_config_static_selectorELNS0_4arch9wavefront6targetE1EEEvS12_,comdat
	.globl	_ZN7rocprim17ROCPRIM_400000_NS6detail17trampoline_kernelINS0_13select_configILj256ELj13ELNS0_17block_load_methodE3ELS4_3ELS4_3ELNS0_20block_scan_algorithmE0ELj4294967295EEENS1_25partition_config_selectorILNS1_17partition_subalgoE4EjNS0_10empty_typeEbEEZZNS1_14partition_implILS8_4ELb0ES6_15HIP_vector_typeIjLj2EENS0_17counting_iteratorIjlEEPS9_SG_NS0_5tupleIJPjSI_NS0_16reverse_iteratorISI_EEEEENSH_IJSG_SG_SG_EEES9_SI_JZNS1_25segmented_radix_sort_implINS0_14default_configELb1EPKhPhPKlPlN2at6native12_GLOBAL__N_18offset_tEEE10hipError_tPvRmT1_PNSt15iterator_traitsIS12_E10value_typeET2_T3_PNS13_IS18_E10value_typeET4_jRbjT5_S1E_jjP12ihipStream_tbEUljE_ZNSN_ISO_Lb1ESQ_SR_ST_SU_SY_EESZ_S10_S11_S12_S16_S17_S18_S1B_S1C_jS1D_jS1E_S1E_jjS1G_bEUljE0_EEESZ_S10_S11_S18_S1C_S1E_T6_T7_T9_mT8_S1G_bDpT10_ENKUlT_T0_E_clISt17integral_constantIbLb0EES1T_IbLb1EEEEDaS1P_S1Q_EUlS1P_E_NS1_11comp_targetILNS1_3genE5ELNS1_11target_archE942ELNS1_3gpuE9ELNS1_3repE0EEENS1_30default_config_static_selectorELNS0_4arch9wavefront6targetE1EEEvS12_ ; -- Begin function _ZN7rocprim17ROCPRIM_400000_NS6detail17trampoline_kernelINS0_13select_configILj256ELj13ELNS0_17block_load_methodE3ELS4_3ELS4_3ELNS0_20block_scan_algorithmE0ELj4294967295EEENS1_25partition_config_selectorILNS1_17partition_subalgoE4EjNS0_10empty_typeEbEEZZNS1_14partition_implILS8_4ELb0ES6_15HIP_vector_typeIjLj2EENS0_17counting_iteratorIjlEEPS9_SG_NS0_5tupleIJPjSI_NS0_16reverse_iteratorISI_EEEEENSH_IJSG_SG_SG_EEES9_SI_JZNS1_25segmented_radix_sort_implINS0_14default_configELb1EPKhPhPKlPlN2at6native12_GLOBAL__N_18offset_tEEE10hipError_tPvRmT1_PNSt15iterator_traitsIS12_E10value_typeET2_T3_PNS13_IS18_E10value_typeET4_jRbjT5_S1E_jjP12ihipStream_tbEUljE_ZNSN_ISO_Lb1ESQ_SR_ST_SU_SY_EESZ_S10_S11_S12_S16_S17_S18_S1B_S1C_jS1D_jS1E_S1E_jjS1G_bEUljE0_EEESZ_S10_S11_S18_S1C_S1E_T6_T7_T9_mT8_S1G_bDpT10_ENKUlT_T0_E_clISt17integral_constantIbLb0EES1T_IbLb1EEEEDaS1P_S1Q_EUlS1P_E_NS1_11comp_targetILNS1_3genE5ELNS1_11target_archE942ELNS1_3gpuE9ELNS1_3repE0EEENS1_30default_config_static_selectorELNS0_4arch9wavefront6targetE1EEEvS12_
	.p2align	8
	.type	_ZN7rocprim17ROCPRIM_400000_NS6detail17trampoline_kernelINS0_13select_configILj256ELj13ELNS0_17block_load_methodE3ELS4_3ELS4_3ELNS0_20block_scan_algorithmE0ELj4294967295EEENS1_25partition_config_selectorILNS1_17partition_subalgoE4EjNS0_10empty_typeEbEEZZNS1_14partition_implILS8_4ELb0ES6_15HIP_vector_typeIjLj2EENS0_17counting_iteratorIjlEEPS9_SG_NS0_5tupleIJPjSI_NS0_16reverse_iteratorISI_EEEEENSH_IJSG_SG_SG_EEES9_SI_JZNS1_25segmented_radix_sort_implINS0_14default_configELb1EPKhPhPKlPlN2at6native12_GLOBAL__N_18offset_tEEE10hipError_tPvRmT1_PNSt15iterator_traitsIS12_E10value_typeET2_T3_PNS13_IS18_E10value_typeET4_jRbjT5_S1E_jjP12ihipStream_tbEUljE_ZNSN_ISO_Lb1ESQ_SR_ST_SU_SY_EESZ_S10_S11_S12_S16_S17_S18_S1B_S1C_jS1D_jS1E_S1E_jjS1G_bEUljE0_EEESZ_S10_S11_S18_S1C_S1E_T6_T7_T9_mT8_S1G_bDpT10_ENKUlT_T0_E_clISt17integral_constantIbLb0EES1T_IbLb1EEEEDaS1P_S1Q_EUlS1P_E_NS1_11comp_targetILNS1_3genE5ELNS1_11target_archE942ELNS1_3gpuE9ELNS1_3repE0EEENS1_30default_config_static_selectorELNS0_4arch9wavefront6targetE1EEEvS12_,@function
_ZN7rocprim17ROCPRIM_400000_NS6detail17trampoline_kernelINS0_13select_configILj256ELj13ELNS0_17block_load_methodE3ELS4_3ELS4_3ELNS0_20block_scan_algorithmE0ELj4294967295EEENS1_25partition_config_selectorILNS1_17partition_subalgoE4EjNS0_10empty_typeEbEEZZNS1_14partition_implILS8_4ELb0ES6_15HIP_vector_typeIjLj2EENS0_17counting_iteratorIjlEEPS9_SG_NS0_5tupleIJPjSI_NS0_16reverse_iteratorISI_EEEEENSH_IJSG_SG_SG_EEES9_SI_JZNS1_25segmented_radix_sort_implINS0_14default_configELb1EPKhPhPKlPlN2at6native12_GLOBAL__N_18offset_tEEE10hipError_tPvRmT1_PNSt15iterator_traitsIS12_E10value_typeET2_T3_PNS13_IS18_E10value_typeET4_jRbjT5_S1E_jjP12ihipStream_tbEUljE_ZNSN_ISO_Lb1ESQ_SR_ST_SU_SY_EESZ_S10_S11_S12_S16_S17_S18_S1B_S1C_jS1D_jS1E_S1E_jjS1G_bEUljE0_EEESZ_S10_S11_S18_S1C_S1E_T6_T7_T9_mT8_S1G_bDpT10_ENKUlT_T0_E_clISt17integral_constantIbLb0EES1T_IbLb1EEEEDaS1P_S1Q_EUlS1P_E_NS1_11comp_targetILNS1_3genE5ELNS1_11target_archE942ELNS1_3gpuE9ELNS1_3repE0EEENS1_30default_config_static_selectorELNS0_4arch9wavefront6targetE1EEEvS12_: ; @_ZN7rocprim17ROCPRIM_400000_NS6detail17trampoline_kernelINS0_13select_configILj256ELj13ELNS0_17block_load_methodE3ELS4_3ELS4_3ELNS0_20block_scan_algorithmE0ELj4294967295EEENS1_25partition_config_selectorILNS1_17partition_subalgoE4EjNS0_10empty_typeEbEEZZNS1_14partition_implILS8_4ELb0ES6_15HIP_vector_typeIjLj2EENS0_17counting_iteratorIjlEEPS9_SG_NS0_5tupleIJPjSI_NS0_16reverse_iteratorISI_EEEEENSH_IJSG_SG_SG_EEES9_SI_JZNS1_25segmented_radix_sort_implINS0_14default_configELb1EPKhPhPKlPlN2at6native12_GLOBAL__N_18offset_tEEE10hipError_tPvRmT1_PNSt15iterator_traitsIS12_E10value_typeET2_T3_PNS13_IS18_E10value_typeET4_jRbjT5_S1E_jjP12ihipStream_tbEUljE_ZNSN_ISO_Lb1ESQ_SR_ST_SU_SY_EESZ_S10_S11_S12_S16_S17_S18_S1B_S1C_jS1D_jS1E_S1E_jjS1G_bEUljE0_EEESZ_S10_S11_S18_S1C_S1E_T6_T7_T9_mT8_S1G_bDpT10_ENKUlT_T0_E_clISt17integral_constantIbLb0EES1T_IbLb1EEEEDaS1P_S1Q_EUlS1P_E_NS1_11comp_targetILNS1_3genE5ELNS1_11target_archE942ELNS1_3gpuE9ELNS1_3repE0EEENS1_30default_config_static_selectorELNS0_4arch9wavefront6targetE1EEEvS12_
; %bb.0:
	.section	.rodata,"a",@progbits
	.p2align	6, 0x0
	.amdhsa_kernel _ZN7rocprim17ROCPRIM_400000_NS6detail17trampoline_kernelINS0_13select_configILj256ELj13ELNS0_17block_load_methodE3ELS4_3ELS4_3ELNS0_20block_scan_algorithmE0ELj4294967295EEENS1_25partition_config_selectorILNS1_17partition_subalgoE4EjNS0_10empty_typeEbEEZZNS1_14partition_implILS8_4ELb0ES6_15HIP_vector_typeIjLj2EENS0_17counting_iteratorIjlEEPS9_SG_NS0_5tupleIJPjSI_NS0_16reverse_iteratorISI_EEEEENSH_IJSG_SG_SG_EEES9_SI_JZNS1_25segmented_radix_sort_implINS0_14default_configELb1EPKhPhPKlPlN2at6native12_GLOBAL__N_18offset_tEEE10hipError_tPvRmT1_PNSt15iterator_traitsIS12_E10value_typeET2_T3_PNS13_IS18_E10value_typeET4_jRbjT5_S1E_jjP12ihipStream_tbEUljE_ZNSN_ISO_Lb1ESQ_SR_ST_SU_SY_EESZ_S10_S11_S12_S16_S17_S18_S1B_S1C_jS1D_jS1E_S1E_jjS1G_bEUljE0_EEESZ_S10_S11_S18_S1C_S1E_T6_T7_T9_mT8_S1G_bDpT10_ENKUlT_T0_E_clISt17integral_constantIbLb0EES1T_IbLb1EEEEDaS1P_S1Q_EUlS1P_E_NS1_11comp_targetILNS1_3genE5ELNS1_11target_archE942ELNS1_3gpuE9ELNS1_3repE0EEENS1_30default_config_static_selectorELNS0_4arch9wavefront6targetE1EEEvS12_
		.amdhsa_group_segment_fixed_size 0
		.amdhsa_private_segment_fixed_size 0
		.amdhsa_kernarg_size 184
		.amdhsa_user_sgpr_count 6
		.amdhsa_user_sgpr_private_segment_buffer 1
		.amdhsa_user_sgpr_dispatch_ptr 0
		.amdhsa_user_sgpr_queue_ptr 0
		.amdhsa_user_sgpr_kernarg_segment_ptr 1
		.amdhsa_user_sgpr_dispatch_id 0
		.amdhsa_user_sgpr_flat_scratch_init 0
		.amdhsa_user_sgpr_kernarg_preload_length 0
		.amdhsa_user_sgpr_kernarg_preload_offset 0
		.amdhsa_user_sgpr_private_segment_size 0
		.amdhsa_uses_dynamic_stack 0
		.amdhsa_system_sgpr_private_segment_wavefront_offset 0
		.amdhsa_system_sgpr_workgroup_id_x 1
		.amdhsa_system_sgpr_workgroup_id_y 0
		.amdhsa_system_sgpr_workgroup_id_z 0
		.amdhsa_system_sgpr_workgroup_info 0
		.amdhsa_system_vgpr_workitem_id 0
		.amdhsa_next_free_vgpr 1
		.amdhsa_next_free_sgpr 0
		.amdhsa_accum_offset 4
		.amdhsa_reserve_vcc 0
		.amdhsa_reserve_flat_scratch 0
		.amdhsa_float_round_mode_32 0
		.amdhsa_float_round_mode_16_64 0
		.amdhsa_float_denorm_mode_32 3
		.amdhsa_float_denorm_mode_16_64 3
		.amdhsa_dx10_clamp 1
		.amdhsa_ieee_mode 1
		.amdhsa_fp16_overflow 0
		.amdhsa_tg_split 0
		.amdhsa_exception_fp_ieee_invalid_op 0
		.amdhsa_exception_fp_denorm_src 0
		.amdhsa_exception_fp_ieee_div_zero 0
		.amdhsa_exception_fp_ieee_overflow 0
		.amdhsa_exception_fp_ieee_underflow 0
		.amdhsa_exception_fp_ieee_inexact 0
		.amdhsa_exception_int_div_zero 0
	.end_amdhsa_kernel
	.section	.text._ZN7rocprim17ROCPRIM_400000_NS6detail17trampoline_kernelINS0_13select_configILj256ELj13ELNS0_17block_load_methodE3ELS4_3ELS4_3ELNS0_20block_scan_algorithmE0ELj4294967295EEENS1_25partition_config_selectorILNS1_17partition_subalgoE4EjNS0_10empty_typeEbEEZZNS1_14partition_implILS8_4ELb0ES6_15HIP_vector_typeIjLj2EENS0_17counting_iteratorIjlEEPS9_SG_NS0_5tupleIJPjSI_NS0_16reverse_iteratorISI_EEEEENSH_IJSG_SG_SG_EEES9_SI_JZNS1_25segmented_radix_sort_implINS0_14default_configELb1EPKhPhPKlPlN2at6native12_GLOBAL__N_18offset_tEEE10hipError_tPvRmT1_PNSt15iterator_traitsIS12_E10value_typeET2_T3_PNS13_IS18_E10value_typeET4_jRbjT5_S1E_jjP12ihipStream_tbEUljE_ZNSN_ISO_Lb1ESQ_SR_ST_SU_SY_EESZ_S10_S11_S12_S16_S17_S18_S1B_S1C_jS1D_jS1E_S1E_jjS1G_bEUljE0_EEESZ_S10_S11_S18_S1C_S1E_T6_T7_T9_mT8_S1G_bDpT10_ENKUlT_T0_E_clISt17integral_constantIbLb0EES1T_IbLb1EEEEDaS1P_S1Q_EUlS1P_E_NS1_11comp_targetILNS1_3genE5ELNS1_11target_archE942ELNS1_3gpuE9ELNS1_3repE0EEENS1_30default_config_static_selectorELNS0_4arch9wavefront6targetE1EEEvS12_,"axG",@progbits,_ZN7rocprim17ROCPRIM_400000_NS6detail17trampoline_kernelINS0_13select_configILj256ELj13ELNS0_17block_load_methodE3ELS4_3ELS4_3ELNS0_20block_scan_algorithmE0ELj4294967295EEENS1_25partition_config_selectorILNS1_17partition_subalgoE4EjNS0_10empty_typeEbEEZZNS1_14partition_implILS8_4ELb0ES6_15HIP_vector_typeIjLj2EENS0_17counting_iteratorIjlEEPS9_SG_NS0_5tupleIJPjSI_NS0_16reverse_iteratorISI_EEEEENSH_IJSG_SG_SG_EEES9_SI_JZNS1_25segmented_radix_sort_implINS0_14default_configELb1EPKhPhPKlPlN2at6native12_GLOBAL__N_18offset_tEEE10hipError_tPvRmT1_PNSt15iterator_traitsIS12_E10value_typeET2_T3_PNS13_IS18_E10value_typeET4_jRbjT5_S1E_jjP12ihipStream_tbEUljE_ZNSN_ISO_Lb1ESQ_SR_ST_SU_SY_EESZ_S10_S11_S12_S16_S17_S18_S1B_S1C_jS1D_jS1E_S1E_jjS1G_bEUljE0_EEESZ_S10_S11_S18_S1C_S1E_T6_T7_T9_mT8_S1G_bDpT10_ENKUlT_T0_E_clISt17integral_constantIbLb0EES1T_IbLb1EEEEDaS1P_S1Q_EUlS1P_E_NS1_11comp_targetILNS1_3genE5ELNS1_11target_archE942ELNS1_3gpuE9ELNS1_3repE0EEENS1_30default_config_static_selectorELNS0_4arch9wavefront6targetE1EEEvS12_,comdat
.Lfunc_end40:
	.size	_ZN7rocprim17ROCPRIM_400000_NS6detail17trampoline_kernelINS0_13select_configILj256ELj13ELNS0_17block_load_methodE3ELS4_3ELS4_3ELNS0_20block_scan_algorithmE0ELj4294967295EEENS1_25partition_config_selectorILNS1_17partition_subalgoE4EjNS0_10empty_typeEbEEZZNS1_14partition_implILS8_4ELb0ES6_15HIP_vector_typeIjLj2EENS0_17counting_iteratorIjlEEPS9_SG_NS0_5tupleIJPjSI_NS0_16reverse_iteratorISI_EEEEENSH_IJSG_SG_SG_EEES9_SI_JZNS1_25segmented_radix_sort_implINS0_14default_configELb1EPKhPhPKlPlN2at6native12_GLOBAL__N_18offset_tEEE10hipError_tPvRmT1_PNSt15iterator_traitsIS12_E10value_typeET2_T3_PNS13_IS18_E10value_typeET4_jRbjT5_S1E_jjP12ihipStream_tbEUljE_ZNSN_ISO_Lb1ESQ_SR_ST_SU_SY_EESZ_S10_S11_S12_S16_S17_S18_S1B_S1C_jS1D_jS1E_S1E_jjS1G_bEUljE0_EEESZ_S10_S11_S18_S1C_S1E_T6_T7_T9_mT8_S1G_bDpT10_ENKUlT_T0_E_clISt17integral_constantIbLb0EES1T_IbLb1EEEEDaS1P_S1Q_EUlS1P_E_NS1_11comp_targetILNS1_3genE5ELNS1_11target_archE942ELNS1_3gpuE9ELNS1_3repE0EEENS1_30default_config_static_selectorELNS0_4arch9wavefront6targetE1EEEvS12_, .Lfunc_end40-_ZN7rocprim17ROCPRIM_400000_NS6detail17trampoline_kernelINS0_13select_configILj256ELj13ELNS0_17block_load_methodE3ELS4_3ELS4_3ELNS0_20block_scan_algorithmE0ELj4294967295EEENS1_25partition_config_selectorILNS1_17partition_subalgoE4EjNS0_10empty_typeEbEEZZNS1_14partition_implILS8_4ELb0ES6_15HIP_vector_typeIjLj2EENS0_17counting_iteratorIjlEEPS9_SG_NS0_5tupleIJPjSI_NS0_16reverse_iteratorISI_EEEEENSH_IJSG_SG_SG_EEES9_SI_JZNS1_25segmented_radix_sort_implINS0_14default_configELb1EPKhPhPKlPlN2at6native12_GLOBAL__N_18offset_tEEE10hipError_tPvRmT1_PNSt15iterator_traitsIS12_E10value_typeET2_T3_PNS13_IS18_E10value_typeET4_jRbjT5_S1E_jjP12ihipStream_tbEUljE_ZNSN_ISO_Lb1ESQ_SR_ST_SU_SY_EESZ_S10_S11_S12_S16_S17_S18_S1B_S1C_jS1D_jS1E_S1E_jjS1G_bEUljE0_EEESZ_S10_S11_S18_S1C_S1E_T6_T7_T9_mT8_S1G_bDpT10_ENKUlT_T0_E_clISt17integral_constantIbLb0EES1T_IbLb1EEEEDaS1P_S1Q_EUlS1P_E_NS1_11comp_targetILNS1_3genE5ELNS1_11target_archE942ELNS1_3gpuE9ELNS1_3repE0EEENS1_30default_config_static_selectorELNS0_4arch9wavefront6targetE1EEEvS12_
                                        ; -- End function
	.section	.AMDGPU.csdata,"",@progbits
; Kernel info:
; codeLenInByte = 0
; NumSgprs: 4
; NumVgprs: 0
; NumAgprs: 0
; TotalNumVgprs: 0
; ScratchSize: 0
; MemoryBound: 0
; FloatMode: 240
; IeeeMode: 1
; LDSByteSize: 0 bytes/workgroup (compile time only)
; SGPRBlocks: 0
; VGPRBlocks: 0
; NumSGPRsForWavesPerEU: 4
; NumVGPRsForWavesPerEU: 1
; AccumOffset: 4
; Occupancy: 8
; WaveLimiterHint : 0
; COMPUTE_PGM_RSRC2:SCRATCH_EN: 0
; COMPUTE_PGM_RSRC2:USER_SGPR: 6
; COMPUTE_PGM_RSRC2:TRAP_HANDLER: 0
; COMPUTE_PGM_RSRC2:TGID_X_EN: 1
; COMPUTE_PGM_RSRC2:TGID_Y_EN: 0
; COMPUTE_PGM_RSRC2:TGID_Z_EN: 0
; COMPUTE_PGM_RSRC2:TIDIG_COMP_CNT: 0
; COMPUTE_PGM_RSRC3_GFX90A:ACCUM_OFFSET: 0
; COMPUTE_PGM_RSRC3_GFX90A:TG_SPLIT: 0
	.section	.text._ZN7rocprim17ROCPRIM_400000_NS6detail17trampoline_kernelINS0_13select_configILj256ELj13ELNS0_17block_load_methodE3ELS4_3ELS4_3ELNS0_20block_scan_algorithmE0ELj4294967295EEENS1_25partition_config_selectorILNS1_17partition_subalgoE4EjNS0_10empty_typeEbEEZZNS1_14partition_implILS8_4ELb0ES6_15HIP_vector_typeIjLj2EENS0_17counting_iteratorIjlEEPS9_SG_NS0_5tupleIJPjSI_NS0_16reverse_iteratorISI_EEEEENSH_IJSG_SG_SG_EEES9_SI_JZNS1_25segmented_radix_sort_implINS0_14default_configELb1EPKhPhPKlPlN2at6native12_GLOBAL__N_18offset_tEEE10hipError_tPvRmT1_PNSt15iterator_traitsIS12_E10value_typeET2_T3_PNS13_IS18_E10value_typeET4_jRbjT5_S1E_jjP12ihipStream_tbEUljE_ZNSN_ISO_Lb1ESQ_SR_ST_SU_SY_EESZ_S10_S11_S12_S16_S17_S18_S1B_S1C_jS1D_jS1E_S1E_jjS1G_bEUljE0_EEESZ_S10_S11_S18_S1C_S1E_T6_T7_T9_mT8_S1G_bDpT10_ENKUlT_T0_E_clISt17integral_constantIbLb0EES1T_IbLb1EEEEDaS1P_S1Q_EUlS1P_E_NS1_11comp_targetILNS1_3genE4ELNS1_11target_archE910ELNS1_3gpuE8ELNS1_3repE0EEENS1_30default_config_static_selectorELNS0_4arch9wavefront6targetE1EEEvS12_,"axG",@progbits,_ZN7rocprim17ROCPRIM_400000_NS6detail17trampoline_kernelINS0_13select_configILj256ELj13ELNS0_17block_load_methodE3ELS4_3ELS4_3ELNS0_20block_scan_algorithmE0ELj4294967295EEENS1_25partition_config_selectorILNS1_17partition_subalgoE4EjNS0_10empty_typeEbEEZZNS1_14partition_implILS8_4ELb0ES6_15HIP_vector_typeIjLj2EENS0_17counting_iteratorIjlEEPS9_SG_NS0_5tupleIJPjSI_NS0_16reverse_iteratorISI_EEEEENSH_IJSG_SG_SG_EEES9_SI_JZNS1_25segmented_radix_sort_implINS0_14default_configELb1EPKhPhPKlPlN2at6native12_GLOBAL__N_18offset_tEEE10hipError_tPvRmT1_PNSt15iterator_traitsIS12_E10value_typeET2_T3_PNS13_IS18_E10value_typeET4_jRbjT5_S1E_jjP12ihipStream_tbEUljE_ZNSN_ISO_Lb1ESQ_SR_ST_SU_SY_EESZ_S10_S11_S12_S16_S17_S18_S1B_S1C_jS1D_jS1E_S1E_jjS1G_bEUljE0_EEESZ_S10_S11_S18_S1C_S1E_T6_T7_T9_mT8_S1G_bDpT10_ENKUlT_T0_E_clISt17integral_constantIbLb0EES1T_IbLb1EEEEDaS1P_S1Q_EUlS1P_E_NS1_11comp_targetILNS1_3genE4ELNS1_11target_archE910ELNS1_3gpuE8ELNS1_3repE0EEENS1_30default_config_static_selectorELNS0_4arch9wavefront6targetE1EEEvS12_,comdat
	.globl	_ZN7rocprim17ROCPRIM_400000_NS6detail17trampoline_kernelINS0_13select_configILj256ELj13ELNS0_17block_load_methodE3ELS4_3ELS4_3ELNS0_20block_scan_algorithmE0ELj4294967295EEENS1_25partition_config_selectorILNS1_17partition_subalgoE4EjNS0_10empty_typeEbEEZZNS1_14partition_implILS8_4ELb0ES6_15HIP_vector_typeIjLj2EENS0_17counting_iteratorIjlEEPS9_SG_NS0_5tupleIJPjSI_NS0_16reverse_iteratorISI_EEEEENSH_IJSG_SG_SG_EEES9_SI_JZNS1_25segmented_radix_sort_implINS0_14default_configELb1EPKhPhPKlPlN2at6native12_GLOBAL__N_18offset_tEEE10hipError_tPvRmT1_PNSt15iterator_traitsIS12_E10value_typeET2_T3_PNS13_IS18_E10value_typeET4_jRbjT5_S1E_jjP12ihipStream_tbEUljE_ZNSN_ISO_Lb1ESQ_SR_ST_SU_SY_EESZ_S10_S11_S12_S16_S17_S18_S1B_S1C_jS1D_jS1E_S1E_jjS1G_bEUljE0_EEESZ_S10_S11_S18_S1C_S1E_T6_T7_T9_mT8_S1G_bDpT10_ENKUlT_T0_E_clISt17integral_constantIbLb0EES1T_IbLb1EEEEDaS1P_S1Q_EUlS1P_E_NS1_11comp_targetILNS1_3genE4ELNS1_11target_archE910ELNS1_3gpuE8ELNS1_3repE0EEENS1_30default_config_static_selectorELNS0_4arch9wavefront6targetE1EEEvS12_ ; -- Begin function _ZN7rocprim17ROCPRIM_400000_NS6detail17trampoline_kernelINS0_13select_configILj256ELj13ELNS0_17block_load_methodE3ELS4_3ELS4_3ELNS0_20block_scan_algorithmE0ELj4294967295EEENS1_25partition_config_selectorILNS1_17partition_subalgoE4EjNS0_10empty_typeEbEEZZNS1_14partition_implILS8_4ELb0ES6_15HIP_vector_typeIjLj2EENS0_17counting_iteratorIjlEEPS9_SG_NS0_5tupleIJPjSI_NS0_16reverse_iteratorISI_EEEEENSH_IJSG_SG_SG_EEES9_SI_JZNS1_25segmented_radix_sort_implINS0_14default_configELb1EPKhPhPKlPlN2at6native12_GLOBAL__N_18offset_tEEE10hipError_tPvRmT1_PNSt15iterator_traitsIS12_E10value_typeET2_T3_PNS13_IS18_E10value_typeET4_jRbjT5_S1E_jjP12ihipStream_tbEUljE_ZNSN_ISO_Lb1ESQ_SR_ST_SU_SY_EESZ_S10_S11_S12_S16_S17_S18_S1B_S1C_jS1D_jS1E_S1E_jjS1G_bEUljE0_EEESZ_S10_S11_S18_S1C_S1E_T6_T7_T9_mT8_S1G_bDpT10_ENKUlT_T0_E_clISt17integral_constantIbLb0EES1T_IbLb1EEEEDaS1P_S1Q_EUlS1P_E_NS1_11comp_targetILNS1_3genE4ELNS1_11target_archE910ELNS1_3gpuE8ELNS1_3repE0EEENS1_30default_config_static_selectorELNS0_4arch9wavefront6targetE1EEEvS12_
	.p2align	8
	.type	_ZN7rocprim17ROCPRIM_400000_NS6detail17trampoline_kernelINS0_13select_configILj256ELj13ELNS0_17block_load_methodE3ELS4_3ELS4_3ELNS0_20block_scan_algorithmE0ELj4294967295EEENS1_25partition_config_selectorILNS1_17partition_subalgoE4EjNS0_10empty_typeEbEEZZNS1_14partition_implILS8_4ELb0ES6_15HIP_vector_typeIjLj2EENS0_17counting_iteratorIjlEEPS9_SG_NS0_5tupleIJPjSI_NS0_16reverse_iteratorISI_EEEEENSH_IJSG_SG_SG_EEES9_SI_JZNS1_25segmented_radix_sort_implINS0_14default_configELb1EPKhPhPKlPlN2at6native12_GLOBAL__N_18offset_tEEE10hipError_tPvRmT1_PNSt15iterator_traitsIS12_E10value_typeET2_T3_PNS13_IS18_E10value_typeET4_jRbjT5_S1E_jjP12ihipStream_tbEUljE_ZNSN_ISO_Lb1ESQ_SR_ST_SU_SY_EESZ_S10_S11_S12_S16_S17_S18_S1B_S1C_jS1D_jS1E_S1E_jjS1G_bEUljE0_EEESZ_S10_S11_S18_S1C_S1E_T6_T7_T9_mT8_S1G_bDpT10_ENKUlT_T0_E_clISt17integral_constantIbLb0EES1T_IbLb1EEEEDaS1P_S1Q_EUlS1P_E_NS1_11comp_targetILNS1_3genE4ELNS1_11target_archE910ELNS1_3gpuE8ELNS1_3repE0EEENS1_30default_config_static_selectorELNS0_4arch9wavefront6targetE1EEEvS12_,@function
_ZN7rocprim17ROCPRIM_400000_NS6detail17trampoline_kernelINS0_13select_configILj256ELj13ELNS0_17block_load_methodE3ELS4_3ELS4_3ELNS0_20block_scan_algorithmE0ELj4294967295EEENS1_25partition_config_selectorILNS1_17partition_subalgoE4EjNS0_10empty_typeEbEEZZNS1_14partition_implILS8_4ELb0ES6_15HIP_vector_typeIjLj2EENS0_17counting_iteratorIjlEEPS9_SG_NS0_5tupleIJPjSI_NS0_16reverse_iteratorISI_EEEEENSH_IJSG_SG_SG_EEES9_SI_JZNS1_25segmented_radix_sort_implINS0_14default_configELb1EPKhPhPKlPlN2at6native12_GLOBAL__N_18offset_tEEE10hipError_tPvRmT1_PNSt15iterator_traitsIS12_E10value_typeET2_T3_PNS13_IS18_E10value_typeET4_jRbjT5_S1E_jjP12ihipStream_tbEUljE_ZNSN_ISO_Lb1ESQ_SR_ST_SU_SY_EESZ_S10_S11_S12_S16_S17_S18_S1B_S1C_jS1D_jS1E_S1E_jjS1G_bEUljE0_EEESZ_S10_S11_S18_S1C_S1E_T6_T7_T9_mT8_S1G_bDpT10_ENKUlT_T0_E_clISt17integral_constantIbLb0EES1T_IbLb1EEEEDaS1P_S1Q_EUlS1P_E_NS1_11comp_targetILNS1_3genE4ELNS1_11target_archE910ELNS1_3gpuE8ELNS1_3repE0EEENS1_30default_config_static_selectorELNS0_4arch9wavefront6targetE1EEEvS12_: ; @_ZN7rocprim17ROCPRIM_400000_NS6detail17trampoline_kernelINS0_13select_configILj256ELj13ELNS0_17block_load_methodE3ELS4_3ELS4_3ELNS0_20block_scan_algorithmE0ELj4294967295EEENS1_25partition_config_selectorILNS1_17partition_subalgoE4EjNS0_10empty_typeEbEEZZNS1_14partition_implILS8_4ELb0ES6_15HIP_vector_typeIjLj2EENS0_17counting_iteratorIjlEEPS9_SG_NS0_5tupleIJPjSI_NS0_16reverse_iteratorISI_EEEEENSH_IJSG_SG_SG_EEES9_SI_JZNS1_25segmented_radix_sort_implINS0_14default_configELb1EPKhPhPKlPlN2at6native12_GLOBAL__N_18offset_tEEE10hipError_tPvRmT1_PNSt15iterator_traitsIS12_E10value_typeET2_T3_PNS13_IS18_E10value_typeET4_jRbjT5_S1E_jjP12ihipStream_tbEUljE_ZNSN_ISO_Lb1ESQ_SR_ST_SU_SY_EESZ_S10_S11_S12_S16_S17_S18_S1B_S1C_jS1D_jS1E_S1E_jjS1G_bEUljE0_EEESZ_S10_S11_S18_S1C_S1E_T6_T7_T9_mT8_S1G_bDpT10_ENKUlT_T0_E_clISt17integral_constantIbLb0EES1T_IbLb1EEEEDaS1P_S1Q_EUlS1P_E_NS1_11comp_targetILNS1_3genE4ELNS1_11target_archE910ELNS1_3gpuE8ELNS1_3repE0EEENS1_30default_config_static_selectorELNS0_4arch9wavefront6targetE1EEEvS12_
; %bb.0:
	s_load_dwordx2 s[48:49], s[4:5], 0x10
	s_load_dwordx4 s[44:47], s[4:5], 0x28
	s_load_dwordx2 s[34:35], s[4:5], 0x38
	s_load_dwordx4 s[28:31], s[4:5], 0x58
	s_load_dwordx2 s[2:3], s[4:5], 0x68
	s_load_dwordx2 s[50:51], s[4:5], 0x78
	;; [unrolled: 1-line block ×3, first 2 shown]
	s_load_dwordx8 s[36:43], s[4:5], 0x90
	v_cmp_eq_u32_e64 s[0:1], 0, v0
	s_and_saveexec_b64 s[6:7], s[0:1]
	s_cbranch_execz .LBB41_4
; %bb.1:
	s_mov_b64 s[10:11], exec
	v_mbcnt_lo_u32_b32 v1, s10, 0
	v_mbcnt_hi_u32_b32 v1, s11, v1
	v_cmp_eq_u32_e32 vcc, 0, v1
                                        ; implicit-def: $vgpr2
	s_and_saveexec_b64 s[8:9], vcc
	s_cbranch_execz .LBB41_3
; %bb.2:
	s_load_dwordx2 s[12:13], s[4:5], 0x88
	s_bcnt1_i32_b64 s10, s[10:11]
	v_mov_b32_e32 v2, 0
	v_mov_b32_e32 v3, s10
	s_waitcnt lgkmcnt(0)
	global_atomic_add v2, v2, v3, s[12:13] glc
.LBB41_3:
	s_or_b64 exec, exec, s[8:9]
	s_waitcnt vmcnt(0)
	v_readfirstlane_b32 s8, v2
	v_add_u32_e32 v1, s8, v1
	v_mov_b32_e32 v2, 0
	ds_write_b32 v2, v1
.LBB41_4:
	s_or_b64 exec, exec, s[6:7]
	v_mov_b32_e32 v1, 0
	s_load_dword s7, s[4:5], 0x8
	s_load_dword s6, s[4:5], 0x80
	s_waitcnt lgkmcnt(0)
	s_barrier
	ds_read_b32 v8, v1
	s_waitcnt lgkmcnt(0)
	s_barrier
	global_load_dwordx4 v[2:5], v1, s[30:31]
	v_mov_b32_e32 v7, s3
	s_movk_i32 s3, 0xd00
	s_add_i32 s8, s7, s48
	v_mul_lo_u32 v34, v8, s3
	s_add_i32 s7, s6, -1
	s_mul_i32 s3, s6, 0xd00
	s_add_u32 s4, s48, s3
	v_readfirstlane_b32 s33, v8
	s_addc_u32 s5, s49, 0
	s_cmp_eq_u32 s33, s7
	v_mov_b32_e32 v6, s2
	s_cselect_b64 s[30:31], -1, 0
	s_cmp_lg_u32 s33, s7
	v_cmp_lt_u64_e32 vcc, s[4:5], v[6:7]
	s_cselect_b64 s[4:5], -1, 0
	s_or_b64 s[4:5], vcc, s[4:5]
	v_add_u32_e32 v1, s8, v34
	s_mov_b64 s[6:7], -1
	s_and_b64 vcc, exec, s[4:5]
	v_add_u32_e32 v1, v1, v0
	s_cbranch_vccz .LBB41_6
; %bb.5:
	v_add_u32_e32 v6, 0x100, v1
	v_lshlrev_b32_e32 v18, 2, v0
	v_add_u32_e32 v7, 0x200, v1
	v_add_u32_e32 v8, 0x300, v1
	;; [unrolled: 1-line block ×11, first 2 shown]
	ds_write2st64_b32 v18, v1, v6 offset1:4
	ds_write2st64_b32 v18, v7, v8 offset0:8 offset1:12
	ds_write2st64_b32 v18, v9, v10 offset0:16 offset1:20
	;; [unrolled: 1-line block ×5, first 2 shown]
	ds_write_b32 v18, v17 offset:12288
	s_waitcnt lgkmcnt(0)
	s_barrier
	s_mov_b64 s[6:7], 0
.LBB41_6:
	s_andn2_b64 vcc, exec, s[6:7]
	s_add_i32 s3, s3, s48
	s_cbranch_vccnz .LBB41_8
; %bb.7:
	v_add_u32_e32 v6, 0x100, v1
	v_lshlrev_b32_e32 v18, 2, v0
	v_add_u32_e32 v7, 0x200, v1
	v_add_u32_e32 v8, 0x300, v1
	;; [unrolled: 1-line block ×11, first 2 shown]
	ds_write2st64_b32 v18, v1, v6 offset1:4
	ds_write2st64_b32 v18, v7, v8 offset0:8 offset1:12
	ds_write2st64_b32 v18, v9, v10 offset0:16 offset1:20
	;; [unrolled: 1-line block ×5, first 2 shown]
	ds_write_b32 v18, v17 offset:12288
	s_waitcnt lgkmcnt(0)
	s_barrier
.LBB41_8:
	v_mul_u32_u24_e32 v36, 13, v0
	v_lshlrev_b32_e32 v1, 2, v36
	ds_read2_b32 v[22:23], v1 offset1:1
	ds_read2_b32 v[20:21], v1 offset0:2 offset1:3
	ds_read2_b32 v[18:19], v1 offset0:4 offset1:5
	;; [unrolled: 1-line block ×5, first 2 shown]
	ds_read_b32 v35, v1 offset:48
	v_cndmask_b32_e64 v1, 0, 1, s[4:5]
	s_sub_i32 s86, s2, s3
	v_cmp_ne_u32_e64 s[2:3], 1, v1
	s_andn2_b64 vcc, exec, s[4:5]
	s_waitcnt lgkmcnt(0)
	s_barrier
	s_cbranch_vccnz .LBB41_36
; %bb.9:
	v_add_u32_e32 v1, s37, v22
	v_add_u32_e32 v6, s39, v22
	v_mul_lo_u32 v1, v1, s36
	v_mul_lo_u32 v6, v6, s38
	v_sub_u32_e32 v1, v1, v6
	v_cmp_lt_u32_e32 vcc, s40, v1
	v_cmp_ge_u32_e64 s[4:5], s40, v1
	s_mov_b64 s[60:61], 0
	s_mov_b64 s[58:59], 0
	s_and_saveexec_b64 s[6:7], s[4:5]
; %bb.10:
	v_add_u32_e32 v1, s42, v22
	v_add_u32_e32 v6, s56, v22
	v_mul_lo_u32 v1, v1, s41
	v_mul_lo_u32 v6, v6, s43
	v_sub_u32_e32 v1, v1, v6
	v_cmp_lt_u32_e64 s[4:5], s57, v1
	s_and_b64 s[58:59], s[4:5], exec
; %bb.11:
	s_or_b64 exec, exec, s[6:7]
	v_add_u32_e32 v1, s37, v23
	v_add_u32_e32 v6, s39, v23
	v_mul_lo_u32 v1, v1, s36
	v_mul_lo_u32 v6, v6, s38
	v_sub_u32_e32 v1, v1, v6
	v_cmp_lt_u32_e64 s[4:5], s40, v1
	v_cmp_ge_u32_e64 s[6:7], s40, v1
	s_and_saveexec_b64 s[8:9], s[6:7]
; %bb.12:
	v_add_u32_e32 v1, s42, v23
	v_add_u32_e32 v6, s56, v23
	v_mul_lo_u32 v1, v1, s41
	v_mul_lo_u32 v6, v6, s43
	v_sub_u32_e32 v1, v1, v6
	v_cmp_lt_u32_e64 s[6:7], s57, v1
	s_and_b64 s[60:61], s[6:7], exec
; %bb.13:
	s_or_b64 exec, exec, s[8:9]
	v_add_u32_e32 v1, s37, v20
	v_add_u32_e32 v6, s39, v20
	v_mul_lo_u32 v1, v1, s36
	v_mul_lo_u32 v6, v6, s38
	v_sub_u32_e32 v1, v1, v6
	v_cmp_lt_u32_e64 s[6:7], s40, v1
	v_cmp_ge_u32_e64 s[8:9], s40, v1
	s_mov_b64 s[64:65], 0
	s_mov_b64 s[62:63], 0
	s_and_saveexec_b64 s[10:11], s[8:9]
; %bb.14:
	v_add_u32_e32 v1, s42, v20
	v_add_u32_e32 v6, s56, v20
	v_mul_lo_u32 v1, v1, s41
	v_mul_lo_u32 v6, v6, s43
	v_sub_u32_e32 v1, v1, v6
	v_cmp_lt_u32_e64 s[8:9], s57, v1
	s_and_b64 s[62:63], s[8:9], exec
; %bb.15:
	s_or_b64 exec, exec, s[10:11]
	v_add_u32_e32 v1, s37, v21
	v_add_u32_e32 v6, s39, v21
	v_mul_lo_u32 v1, v1, s36
	v_mul_lo_u32 v6, v6, s38
	v_sub_u32_e32 v1, v1, v6
	v_cmp_lt_u32_e64 s[8:9], s40, v1
	v_cmp_ge_u32_e64 s[10:11], s40, v1
	s_and_saveexec_b64 s[12:13], s[10:11]
; %bb.16:
	v_add_u32_e32 v1, s42, v21
	v_add_u32_e32 v6, s56, v21
	v_mul_lo_u32 v1, v1, s41
	v_mul_lo_u32 v6, v6, s43
	v_sub_u32_e32 v1, v1, v6
	v_cmp_lt_u32_e64 s[10:11], s57, v1
	s_and_b64 s[64:65], s[10:11], exec
; %bb.17:
	s_or_b64 exec, exec, s[12:13]
	v_add_u32_e32 v1, s37, v18
	v_add_u32_e32 v6, s39, v18
	v_mul_lo_u32 v1, v1, s36
	v_mul_lo_u32 v6, v6, s38
	v_sub_u32_e32 v1, v1, v6
	v_cmp_lt_u32_e64 s[10:11], s40, v1
	;; [unrolled: 38-line block ×5, first 2 shown]
	v_cmp_ge_u32_e64 s[24:25], s40, v1
	s_mov_b64 s[80:81], 0
	s_mov_b64 s[82:83], 0
	s_and_saveexec_b64 s[26:27], s[24:25]
; %bb.30:
	v_add_u32_e32 v1, s42, v12
	v_add_u32_e32 v6, s56, v12
	v_mul_lo_u32 v1, v1, s41
	v_mul_lo_u32 v6, v6, s43
	v_sub_u32_e32 v1, v1, v6
	v_cmp_lt_u32_e64 s[24:25], s57, v1
	s_and_b64 s[82:83], s[24:25], exec
; %bb.31:
	s_or_b64 exec, exec, s[26:27]
	v_add_u32_e32 v1, s37, v13
	v_add_u32_e32 v6, s39, v13
	v_mul_lo_u32 v1, v1, s36
	v_mul_lo_u32 v6, v6, s38
	v_sub_u32_e32 v1, v1, v6
	v_cmp_lt_u32_e64 s[24:25], s40, v1
	v_cmp_ge_u32_e64 s[26:27], s40, v1
	s_and_saveexec_b64 s[52:53], s[26:27]
; %bb.32:
	v_add_u32_e32 v1, s42, v13
	v_add_u32_e32 v6, s56, v13
	v_mul_lo_u32 v1, v1, s41
	v_mul_lo_u32 v6, v6, s43
	v_sub_u32_e32 v1, v1, v6
	v_cmp_lt_u32_e64 s[26:27], s57, v1
	s_and_b64 s[80:81], s[26:27], exec
; %bb.33:
	s_or_b64 exec, exec, s[52:53]
	v_add_u32_e32 v1, s37, v35
	v_add_u32_e32 v6, s39, v35
	v_mul_lo_u32 v1, v1, s36
	v_mul_lo_u32 v6, v6, s38
	v_sub_u32_e32 v1, v1, v6
	v_cmp_ge_u32_e64 s[26:27], s40, v1
	s_mov_b64 s[52:53], -1
	s_mov_b64 s[74:75], 0
	s_mov_b64 s[54:55], 0
	s_and_saveexec_b64 s[84:85], s[26:27]
; %bb.34:
	v_add_u32_e32 v1, s42, v35
	v_add_u32_e32 v6, s56, v35
	v_mul_lo_u32 v1, v1, s41
	v_mul_lo_u32 v6, v6, s43
	v_sub_u32_e32 v1, v1, v6
	v_cmp_lt_u32_e64 s[26:27], s57, v1
	s_and_b64 s[54:55], s[26:27], exec
	s_xor_b64 s[52:53], exec, -1
; %bb.35:
	s_or_b64 exec, exec, s[84:85]
	v_cndmask_b32_e64 v57, 0, 1, s[82:83]
	v_cndmask_b32_e64 v60, 0, 1, s[24:25]
	;; [unrolled: 1-line block ×22, first 2 shown]
	v_cndmask_b32_e64 v37, 0, 1, vcc
	v_cndmask_b32_e64 v59, 0, 1, s[80:81]
	s_add_i32 s16, s86, 0xd00
	s_and_b64 vcc, exec, s[74:75]
	s_cbranch_vccnz .LBB41_37
	s_branch .LBB41_90
.LBB41_36:
                                        ; implicit-def: $sgpr52_sgpr53
                                        ; implicit-def: $sgpr54_sgpr55
                                        ; implicit-def: $vgpr59
                                        ; implicit-def: $vgpr57
                                        ; implicit-def: $vgpr55
                                        ; implicit-def: $vgpr53
                                        ; implicit-def: $vgpr51
                                        ; implicit-def: $vgpr49
                                        ; implicit-def: $vgpr47
                                        ; implicit-def: $vgpr45
                                        ; implicit-def: $vgpr43
                                        ; implicit-def: $vgpr37
                                        ; implicit-def: $vgpr39
                                        ; implicit-def: $vgpr41
                                        ; implicit-def: $vgpr44
                                        ; implicit-def: $vgpr46
                                        ; implicit-def: $vgpr48
                                        ; implicit-def: $vgpr50
                                        ; implicit-def: $vgpr52
                                        ; implicit-def: $vgpr54
                                        ; implicit-def: $vgpr56
                                        ; implicit-def: $vgpr58
                                        ; implicit-def: $vgpr60
                                        ; implicit-def: $vgpr38
                                        ; implicit-def: $vgpr40
                                        ; implicit-def: $vgpr42
	s_add_i32 s16, s86, 0xd00
	s_cbranch_execz .LBB41_90
.LBB41_37:
	v_cmp_gt_u32_e32 vcc, s16, v36
	v_mov_b32_e32 v38, 0
	v_mov_b32_e32 v37, 0
	s_and_saveexec_b64 s[6:7], vcc
	s_cbranch_execz .LBB41_41
; %bb.38:
	v_add_u32_e32 v1, s37, v22
	v_add_u32_e32 v6, s39, v22
	v_mul_lo_u32 v1, v1, s36
	v_mul_lo_u32 v6, v6, s38
	v_sub_u32_e32 v1, v1, v6
	v_cmp_lt_u32_e32 vcc, s40, v1
	v_cmp_ge_u32_e64 s[4:5], s40, v1
	s_mov_b64 s[10:11], 0
	s_and_saveexec_b64 s[8:9], s[4:5]
; %bb.39:
	v_add_u32_e32 v1, s42, v22
	v_add_u32_e32 v6, s56, v22
	v_mul_lo_u32 v1, v1, s41
	v_mul_lo_u32 v6, v6, s43
	v_sub_u32_e32 v1, v1, v6
	v_cmp_lt_u32_e64 s[4:5], s57, v1
	s_and_b64 s[10:11], s[4:5], exec
; %bb.40:
	s_or_b64 exec, exec, s[8:9]
	v_cndmask_b32_e64 v37, 0, 1, vcc
	v_cndmask_b32_e64 v38, 0, 1, s[10:11]
.LBB41_41:
	s_or_b64 exec, exec, s[6:7]
	v_add_u32_e32 v1, 1, v36
	v_cmp_gt_u32_e32 vcc, s16, v1
	v_mov_b32_e32 v39, 0
	v_mov_b32_e32 v40, 0
	s_and_saveexec_b64 s[6:7], vcc
	s_cbranch_execz .LBB41_45
; %bb.42:
	v_add_u32_e32 v1, s37, v23
	v_add_u32_e32 v6, s39, v23
	v_mul_lo_u32 v1, v1, s36
	v_mul_lo_u32 v6, v6, s38
	v_sub_u32_e32 v1, v1, v6
	v_cmp_lt_u32_e32 vcc, s40, v1
	v_cmp_ge_u32_e64 s[4:5], s40, v1
	s_mov_b64 s[10:11], 0
	s_and_saveexec_b64 s[8:9], s[4:5]
; %bb.43:
	v_add_u32_e32 v1, s42, v23
	v_add_u32_e32 v6, s56, v23
	v_mul_lo_u32 v1, v1, s41
	v_mul_lo_u32 v6, v6, s43
	v_sub_u32_e32 v1, v1, v6
	v_cmp_lt_u32_e64 s[4:5], s57, v1
	s_and_b64 s[10:11], s[4:5], exec
; %bb.44:
	s_or_b64 exec, exec, s[8:9]
	v_cndmask_b32_e64 v39, 0, 1, vcc
	v_cndmask_b32_e64 v40, 0, 1, s[10:11]
.LBB41_45:
	s_or_b64 exec, exec, s[6:7]
	v_add_u32_e32 v1, 2, v36
	;; [unrolled: 30-line block ×12, first 2 shown]
	v_cmp_gt_u32_e32 vcc, s16, v1
	s_mov_b64 s[52:53], 0
	s_mov_b64 s[54:55], 0
	s_and_saveexec_b64 s[4:5], vcc
	s_cbranch_execz .LBB41_89
; %bb.86:
	v_add_u32_e32 v1, s37, v35
	v_add_u32_e32 v6, s39, v35
	v_mul_lo_u32 v1, v1, s36
	v_mul_lo_u32 v6, v6, s38
	v_sub_u32_e32 v1, v1, v6
	v_cmp_ge_u32_e32 vcc, s40, v1
	s_mov_b64 s[8:9], -1
	s_mov_b64 s[10:11], 0
	s_and_saveexec_b64 s[6:7], vcc
; %bb.87:
	v_add_u32_e32 v1, s42, v35
	v_add_u32_e32 v6, s56, v35
	v_mul_lo_u32 v1, v1, s41
	v_mul_lo_u32 v6, v6, s43
	v_sub_u32_e32 v1, v1, v6
	v_cmp_lt_u32_e32 vcc, s57, v1
	s_and_b64 s[10:11], vcc, exec
	s_xor_b64 s[8:9], exec, -1
; %bb.88:
	s_or_b64 exec, exec, s[6:7]
	s_and_b64 s[54:55], s[10:11], exec
	s_and_b64 s[52:53], s[8:9], exec
.LBB41_89:
	s_or_b64 exec, exec, s[4:5]
.LBB41_90:
	v_and_b32_e32 v68, 0xff, v38
	v_and_b32_e32 v79, 0xff, v40
	;; [unrolled: 1-line block ×5, first 2 shown]
	v_add3_u32 v6, v79, v70, v68
	v_and_b32_e32 v81, 0xff, v47
	v_and_b32_e32 v74, 0xff, v49
	v_add3_u32 v6, v6, v80, v72
	v_and_b32_e32 v67, 0xff, v37
	v_and_b32_e32 v61, 0xff, v39
	;; [unrolled: 1-line block ×5, first 2 shown]
	v_add3_u32 v6, v6, v81, v74
	v_and_b32_e32 v62, 0xff, v44
	v_and_b32_e32 v71, 0xff, v46
	v_and_b32_e32 v83, 0xff, v55
	v_and_b32_e32 v78, 0xff, v57
	v_add3_u32 v7, v61, v69, v67
	v_add3_u32 v6, v6, v82, v76
	v_and_b32_e32 v63, 0xff, v48
	v_and_b32_e32 v73, 0xff, v50
	;; [unrolled: 1-line block ×3, first 2 shown]
	v_cndmask_b32_e64 v1, 0, 1, s[54:55]
	v_add3_u32 v7, v7, v62, v71
	v_add3_u32 v6, v6, v83, v78
	v_and_b32_e32 v64, 0xff, v52
	v_and_b32_e32 v75, 0xff, v54
	v_add3_u32 v7, v7, v63, v73
	v_add3_u32 v91, v6, v84, v1
	v_mbcnt_lo_u32_b32 v1, -1, 0
	v_and_b32_e32 v65, 0xff, v56
	v_and_b32_e32 v77, 0xff, v58
	v_add3_u32 v7, v7, v64, v75
	v_mbcnt_hi_u32_b32 v85, -1, v1
	v_and_b32_e32 v66, 0xff, v60
	v_add3_u32 v7, v7, v65, v77
	v_cndmask_b32_e64 v8, 0, 1, s[52:53]
	v_and_b32_e32 v89, 15, v85
	s_cmp_lg_u32 s33, 0
	v_add3_u32 v90, v7, v66, v8
	v_cmp_eq_u32_e64 s[6:7], 0, v89
	v_cmp_lt_u32_e64 s[4:5], 1, v89
	v_cmp_lt_u32_e64 s[10:11], 3, v89
	;; [unrolled: 1-line block ×3, first 2 shown]
	v_and_b32_e32 v88, 16, v85
	v_cmp_lt_u32_e32 vcc, 31, v85
	v_lshrrev_b32_e32 v86, 6, v0
	v_or_b32_e32 v87, 63, v0
	s_cbranch_scc0 .LBB41_119
; %bb.91:
	v_mov_b32_dpp v1, v90 row_shr:1 row_mask:0xf bank_mask:0xf
	v_mov_b32_dpp v6, v91 row_shr:1 row_mask:0xf bank_mask:0xf
	v_add_u32_e32 v1, v1, v90
	v_add_u32_e32 v6, v6, v91
	v_cndmask_b32_e64 v6, v6, v91, s[6:7]
	v_cndmask_b32_e64 v1, v1, v90, s[6:7]
	s_nop 0
	v_mov_b32_dpp v8, v6 row_shr:2 row_mask:0xf bank_mask:0xf
	v_mov_b32_dpp v7, v1 row_shr:2 row_mask:0xf bank_mask:0xf
	v_add_u32_e32 v7, v1, v7
	v_add_u32_e32 v8, v6, v8
	v_cndmask_b32_e64 v6, v6, v8, s[4:5]
	v_cndmask_b32_e64 v1, v1, v7, s[4:5]
	s_nop 0
	;; [unrolled: 7-line block ×3, first 2 shown]
	v_mov_b32_dpp v8, v6 row_shr:8 row_mask:0xf bank_mask:0xf
	v_mov_b32_dpp v7, v1 row_shr:8 row_mask:0xf bank_mask:0xf
	v_add_u32_e32 v7, v1, v7
	v_add_u32_e32 v8, v6, v8
	v_cndmask_b32_e64 v6, v6, v8, s[8:9]
	v_cndmask_b32_e64 v1, v1, v7, s[8:9]
	v_cmp_eq_u32_e64 s[8:9], 0, v88
	v_mov_b32_dpp v8, v6 row_bcast:15 row_mask:0xf bank_mask:0xf
	v_mov_b32_dpp v7, v1 row_bcast:15 row_mask:0xf bank_mask:0xf
	v_add_u32_e32 v7, v1, v7
	v_add_u32_e32 v8, v6, v8
	v_cndmask_b32_e64 v6, v8, v6, s[8:9]
	v_cndmask_b32_e64 v1, v7, v1, s[8:9]
	s_nop 0
	v_mov_b32_dpp v8, v6 row_bcast:31 row_mask:0xf bank_mask:0xf
	v_mov_b32_dpp v7, v1 row_bcast:31 row_mask:0xf bank_mask:0xf
	v_add_u32_e32 v8, v6, v8
	v_add_u32_e32 v9, v1, v7
	v_cndmask_b32_e32 v7, v6, v8, vcc
	v_cndmask_b32_e32 v6, v1, v9, vcc
	v_cmp_eq_u32_e32 vcc, v87, v0
	s_and_saveexec_b64 s[8:9], vcc
	s_cbranch_execz .LBB41_93
; %bb.92:
	v_lshlrev_b32_e32 v1, 3, v86
	ds_write_b64 v1, v[6:7]
.LBB41_93:
	s_or_b64 exec, exec, s[8:9]
	v_cmp_gt_u32_e32 vcc, 4, v0
	s_waitcnt lgkmcnt(0)
	s_barrier
	s_and_saveexec_b64 s[8:9], vcc
	s_cbranch_execz .LBB41_95
; %bb.94:
	v_lshlrev_b32_e32 v1, 3, v0
	ds_read_b64 v[8:9], v1
	v_and_b32_e32 v10, 3, v85
	v_cmp_eq_u32_e32 vcc, 0, v10
	s_waitcnt lgkmcnt(0)
	v_mov_b32_dpp v11, v8 row_shr:1 row_mask:0xf bank_mask:0xf
	v_mov_b32_dpp v24, v9 row_shr:1 row_mask:0xf bank_mask:0xf
	v_add_u32_e32 v11, v11, v8
	v_add_u32_e32 v24, v24, v9
	v_cndmask_b32_e32 v9, v24, v9, vcc
	v_cndmask_b32_e32 v8, v11, v8, vcc
	v_cmp_lt_u32_e32 vcc, 1, v10
	v_mov_b32_dpp v24, v9 row_shr:2 row_mask:0xf bank_mask:0xf
	v_mov_b32_dpp v11, v8 row_shr:2 row_mask:0xf bank_mask:0xf
	v_cndmask_b32_e32 v10, 0, v11, vcc
	v_cndmask_b32_e32 v11, 0, v24, vcc
	v_add_u32_e32 v9, v11, v9
	v_add_u32_e32 v8, v10, v8
	ds_write_b64 v1, v[8:9]
.LBB41_95:
	s_or_b64 exec, exec, s[8:9]
	v_cmp_gt_u32_e32 vcc, 64, v0
	v_cmp_lt_u32_e64 s[8:9], 63, v0
	s_waitcnt lgkmcnt(0)
	s_barrier
	s_waitcnt lgkmcnt(0)
                                        ; implicit-def: $vgpr25
	s_and_saveexec_b64 s[10:11], s[8:9]
	s_xor_b64 s[8:9], exec, s[10:11]
	s_cbranch_execz .LBB41_97
; %bb.96:
	v_lshl_add_u32 v1, v86, 3, -8
	ds_read_b64 v[24:25], v1
	s_waitcnt lgkmcnt(0)
	v_add_u32_e32 v7, v25, v7
	v_add_u32_e32 v6, v24, v6
.LBB41_97:
	s_andn2_saveexec_b64 s[8:9], s[8:9]
; %bb.98:
                                        ; implicit-def: $vgpr24
; %bb.99:
	s_or_b64 exec, exec, s[8:9]
	v_add_u32_e32 v1, -1, v85
	v_and_b32_e32 v8, 64, v85
	v_cmp_lt_i32_e64 s[8:9], v1, v8
	v_cndmask_b32_e64 v1, v1, v85, s[8:9]
	v_lshlrev_b32_e32 v8, 2, v1
	ds_bpermute_b32 v1, v8, v6
	ds_bpermute_b32 v92, v8, v7
	v_cmp_eq_u32_e64 s[8:9], 0, v85
	s_and_saveexec_b64 s[10:11], vcc
	s_cbranch_execz .LBB41_118
; %bb.100:
	v_mov_b32_e32 v11, 0
	ds_read_b64 v[26:27], v11 offset:24
	s_and_saveexec_b64 s[12:13], s[8:9]
	s_cbranch_execz .LBB41_102
; %bb.101:
	s_add_i32 s14, s33, 64
	s_mov_b32 s15, 0
	s_lshl_b64 s[14:15], s[14:15], 4
	s_waitcnt lgkmcnt(0)
	v_and_b32_e32 v6, 0xff000000, v27
	v_and_b32_e32 v7, 0xff0000, v27
	s_add_u32 s14, s50, s14
	v_or_b32_e32 v6, v7, v6
	v_and_b32_e32 v7, 0xff00, v27
	s_addc_u32 s15, s51, s15
	v_or_b32_e32 v6, v6, v7
	v_or_b32_sdwa v9, v6, v27 dst_sel:DWORD dst_unused:UNUSED_PAD src0_sel:DWORD src1_sel:BYTE_0
	v_mov_b32_e32 v10, 1
	v_mov_b32_e32 v8, v26
	v_pk_mov_b32 v[6:7], s[14:15], s[14:15] op_sel:[0,1]
	;;#ASMSTART
	global_store_dwordx4 v[6:7], v[8:11] off	
s_waitcnt vmcnt(0)
	;;#ASMEND
.LBB41_102:
	s_or_b64 exec, exec, s[12:13]
	v_xad_u32 v28, v85, -1, s33
	v_add_u32_e32 v10, 64, v28
	v_lshlrev_b64 v[6:7], 4, v[10:11]
	v_mov_b32_e32 v8, s51
	v_add_co_u32_e32 v30, vcc, s50, v6
	v_addc_co_u32_e32 v31, vcc, v8, v7, vcc
	;;#ASMSTART
	global_load_dwordx4 v[6:9], v[30:31] off glc	
s_waitcnt vmcnt(0)
	;;#ASMEND
	v_and_b32_e32 v9, 0xff, v7
	v_and_b32_e32 v10, 0xff00, v7
	v_or3_b32 v9, 0, v9, v10
	v_or3_b32 v6, v6, 0, 0
	v_and_b32_e32 v10, 0xff000000, v7
	v_and_b32_e32 v7, 0xff0000, v7
	v_or3_b32 v7, v9, v7, v10
	v_or3_b32 v6, v6, 0, 0
	v_cmp_eq_u16_sdwa s[14:15], v8, v11 src0_sel:BYTE_0 src1_sel:DWORD
	s_and_saveexec_b64 s[12:13], s[14:15]
	s_cbranch_execz .LBB41_106
; %bb.103:
	s_mov_b64 s[14:15], 0
	v_mov_b32_e32 v10, 0
.LBB41_104:                             ; =>This Inner Loop Header: Depth=1
	;;#ASMSTART
	global_load_dwordx4 v[6:9], v[30:31] off glc	
s_waitcnt vmcnt(0)
	;;#ASMEND
	v_cmp_ne_u16_sdwa s[18:19], v8, v10 src0_sel:BYTE_0 src1_sel:DWORD
	s_or_b64 s[14:15], s[18:19], s[14:15]
	s_andn2_b64 exec, exec, s[14:15]
	s_cbranch_execnz .LBB41_104
; %bb.105:
	s_or_b64 exec, exec, s[14:15]
.LBB41_106:
	s_or_b64 exec, exec, s[12:13]
	v_and_b32_e32 v94, 63, v85
	v_cmp_ne_u32_e32 vcc, 63, v94
	v_mov_b32_e32 v93, 2
	v_addc_co_u32_e32 v30, vcc, 0, v85, vcc
	v_cmp_eq_u16_sdwa s[12:13], v8, v93 src0_sel:BYTE_0 src1_sel:DWORD
	v_lshlrev_b64 v[10:11], v85, -1
	v_lshlrev_b32_e32 v95, 2, v30
	v_and_b32_e32 v9, s13, v11
	ds_bpermute_b32 v30, v95, v6
	ds_bpermute_b32 v31, v95, v7
	v_or_b32_e32 v9, 0x80000000, v9
	v_and_b32_e32 v29, s12, v10
	v_ffbl_b32_e32 v9, v9
	v_add_u32_e32 v9, 32, v9
	v_ffbl_b32_e32 v29, v29
	v_min_u32_e32 v9, v29, v9
	s_waitcnt lgkmcnt(1)
	v_add_u32_e32 v29, v30, v6
	s_waitcnt lgkmcnt(0)
	v_add_u32_e32 v30, v31, v7
	v_cmp_lt_u32_e32 vcc, v94, v9
	v_cndmask_b32_e32 v7, v7, v30, vcc
	v_cndmask_b32_e32 v6, v6, v29, vcc
	v_cmp_gt_u32_e32 vcc, 62, v94
	v_cndmask_b32_e64 v29, 0, 1, vcc
	v_lshlrev_b32_e32 v29, 1, v29
	v_add_lshl_u32 v96, v29, v85, 2
	ds_bpermute_b32 v29, v96, v6
	ds_bpermute_b32 v30, v96, v7
	v_add_u32_e32 v97, 2, v94
	v_cmp_gt_u32_e32 vcc, v97, v9
	v_add_u32_e32 v99, 4, v94
	s_waitcnt lgkmcnt(1)
	v_add_u32_e32 v29, v6, v29
	s_waitcnt lgkmcnt(0)
	v_add_u32_e32 v30, v7, v30
	v_cndmask_b32_e32 v7, v30, v7, vcc
	v_cndmask_b32_e32 v6, v29, v6, vcc
	v_cmp_gt_u32_e32 vcc, 60, v94
	v_cndmask_b32_e64 v29, 0, 1, vcc
	v_lshlrev_b32_e32 v29, 2, v29
	v_add_lshl_u32 v98, v29, v85, 2
	ds_bpermute_b32 v29, v98, v6
	ds_bpermute_b32 v30, v98, v7
	v_cmp_gt_u32_e32 vcc, v99, v9
	v_add_u32_e32 v101, 8, v94
	v_add_u32_e32 v103, 16, v94
	s_waitcnt lgkmcnt(1)
	v_add_u32_e32 v29, v6, v29
	s_waitcnt lgkmcnt(0)
	v_add_u32_e32 v30, v7, v30
	v_cndmask_b32_e32 v7, v30, v7, vcc
	v_cndmask_b32_e32 v6, v29, v6, vcc
	v_cmp_gt_u32_e32 vcc, 56, v94
	v_cndmask_b32_e64 v29, 0, 1, vcc
	v_lshlrev_b32_e32 v29, 3, v29
	v_add_lshl_u32 v100, v29, v85, 2
	ds_bpermute_b32 v29, v100, v6
	ds_bpermute_b32 v30, v100, v7
	v_cmp_gt_u32_e32 vcc, v101, v9
	v_add_u32_e32 v105, 32, v94
	s_waitcnt lgkmcnt(1)
	v_add_u32_e32 v29, v6, v29
	s_waitcnt lgkmcnt(0)
	v_add_u32_e32 v30, v7, v30
	v_cndmask_b32_e32 v7, v30, v7, vcc
	v_cndmask_b32_e32 v6, v29, v6, vcc
	v_cmp_gt_u32_e32 vcc, 48, v94
	v_cndmask_b32_e64 v29, 0, 1, vcc
	v_lshlrev_b32_e32 v29, 4, v29
	v_add_lshl_u32 v102, v29, v85, 2
	ds_bpermute_b32 v29, v102, v6
	ds_bpermute_b32 v30, v102, v7
	v_cmp_gt_u32_e32 vcc, v103, v9
	s_waitcnt lgkmcnt(1)
	v_add_u32_e32 v29, v6, v29
	s_waitcnt lgkmcnt(0)
	v_add_u32_e32 v30, v7, v30
	v_cndmask_b32_e32 v7, v30, v7, vcc
	v_cndmask_b32_e32 v6, v29, v6, vcc
	v_cmp_gt_u32_e32 vcc, 32, v94
	v_cndmask_b32_e64 v29, 0, 1, vcc
	v_lshlrev_b32_e32 v29, 5, v29
	v_add_lshl_u32 v104, v29, v85, 2
	ds_bpermute_b32 v29, v104, v6
	ds_bpermute_b32 v30, v104, v7
	v_cmp_le_u32_e32 vcc, v105, v9
	s_waitcnt lgkmcnt(1)
	v_cndmask_b32_e32 v9, 0, v29, vcc
	s_waitcnt lgkmcnt(0)
	v_cndmask_b32_e32 v29, 0, v30, vcc
	v_add_u32_e32 v7, v7, v29
	v_add_u32_e32 v6, v6, v9
	v_mov_b32_e32 v29, 0
	s_branch .LBB41_108
.LBB41_107:                             ;   in Loop: Header=BB41_108 Depth=1
	s_or_b64 exec, exec, s[12:13]
	v_cmp_eq_u16_sdwa s[12:13], v8, v93 src0_sel:BYTE_0 src1_sel:DWORD
	v_and_b32_e32 v9, s13, v11
	ds_bpermute_b32 v33, v95, v6
	ds_bpermute_b32 v106, v95, v7
	v_or_b32_e32 v9, 0x80000000, v9
	v_and_b32_e32 v32, s12, v10
	v_ffbl_b32_e32 v9, v9
	v_add_u32_e32 v9, 32, v9
	v_ffbl_b32_e32 v32, v32
	v_min_u32_e32 v9, v32, v9
	s_waitcnt lgkmcnt(1)
	v_add_u32_e32 v32, v33, v6
	s_waitcnt lgkmcnt(0)
	v_add_u32_e32 v33, v106, v7
	v_cmp_lt_u32_e32 vcc, v94, v9
	v_cndmask_b32_e32 v7, v7, v33, vcc
	v_cndmask_b32_e32 v6, v6, v32, vcc
	ds_bpermute_b32 v32, v96, v6
	ds_bpermute_b32 v33, v96, v7
	v_cmp_gt_u32_e32 vcc, v97, v9
	v_subrev_u32_e32 v28, 64, v28
	s_waitcnt lgkmcnt(1)
	v_add_u32_e32 v32, v6, v32
	s_waitcnt lgkmcnt(0)
	v_add_u32_e32 v33, v7, v33
	v_cndmask_b32_e32 v7, v33, v7, vcc
	v_cndmask_b32_e32 v6, v32, v6, vcc
	ds_bpermute_b32 v32, v98, v6
	ds_bpermute_b32 v33, v98, v7
	v_cmp_gt_u32_e32 vcc, v99, v9
	s_waitcnt lgkmcnt(1)
	v_add_u32_e32 v32, v6, v32
	s_waitcnt lgkmcnt(0)
	v_add_u32_e32 v33, v7, v33
	v_cndmask_b32_e32 v7, v33, v7, vcc
	v_cndmask_b32_e32 v6, v32, v6, vcc
	ds_bpermute_b32 v32, v100, v6
	ds_bpermute_b32 v33, v100, v7
	v_cmp_gt_u32_e32 vcc, v101, v9
	;; [unrolled: 9-line block ×3, first 2 shown]
	s_waitcnt lgkmcnt(1)
	v_add_u32_e32 v32, v6, v32
	s_waitcnt lgkmcnt(0)
	v_add_u32_e32 v33, v7, v33
	v_cndmask_b32_e32 v7, v33, v7, vcc
	v_cndmask_b32_e32 v6, v32, v6, vcc
	ds_bpermute_b32 v32, v104, v6
	ds_bpermute_b32 v33, v104, v7
	v_cmp_le_u32_e32 vcc, v105, v9
	s_waitcnt lgkmcnt(1)
	v_cndmask_b32_e32 v9, 0, v32, vcc
	s_waitcnt lgkmcnt(0)
	v_cndmask_b32_e32 v32, 0, v33, vcc
	v_add3_u32 v7, v32, v31, v7
	v_add3_u32 v6, v9, v30, v6
.LBB41_108:                             ; =>This Loop Header: Depth=1
                                        ;     Child Loop BB41_111 Depth 2
	v_cmp_ne_u16_sdwa s[12:13], v8, v93 src0_sel:BYTE_0 src1_sel:DWORD
	v_cndmask_b32_e64 v8, 0, 1, s[12:13]
	;;#ASMSTART
	;;#ASMEND
	v_cmp_ne_u32_e32 vcc, 0, v8
	s_cmp_lg_u64 vcc, exec
	v_pk_mov_b32 v[30:31], v[6:7], v[6:7] op_sel:[0,1]
	s_cbranch_scc1 .LBB41_113
; %bb.109:                              ;   in Loop: Header=BB41_108 Depth=1
	v_lshlrev_b64 v[6:7], 4, v[28:29]
	v_mov_b32_e32 v8, s51
	v_add_co_u32_e32 v32, vcc, s50, v6
	v_addc_co_u32_e32 v33, vcc, v8, v7, vcc
	;;#ASMSTART
	global_load_dwordx4 v[6:9], v[32:33] off glc	
s_waitcnt vmcnt(0)
	;;#ASMEND
	v_and_b32_e32 v9, 0xff, v7
	v_and_b32_e32 v106, 0xff00, v7
	v_or3_b32 v9, 0, v9, v106
	v_or3_b32 v6, v6, 0, 0
	v_and_b32_e32 v106, 0xff000000, v7
	v_and_b32_e32 v7, 0xff0000, v7
	v_or3_b32 v7, v9, v7, v106
	v_or3_b32 v6, v6, 0, 0
	v_cmp_eq_u16_sdwa s[14:15], v8, v29 src0_sel:BYTE_0 src1_sel:DWORD
	s_and_saveexec_b64 s[12:13], s[14:15]
	s_cbranch_execz .LBB41_107
; %bb.110:                              ;   in Loop: Header=BB41_108 Depth=1
	s_mov_b64 s[14:15], 0
.LBB41_111:                             ;   Parent Loop BB41_108 Depth=1
                                        ; =>  This Inner Loop Header: Depth=2
	;;#ASMSTART
	global_load_dwordx4 v[6:9], v[32:33] off glc	
s_waitcnt vmcnt(0)
	;;#ASMEND
	v_cmp_ne_u16_sdwa s[18:19], v8, v29 src0_sel:BYTE_0 src1_sel:DWORD
	s_or_b64 s[14:15], s[18:19], s[14:15]
	s_andn2_b64 exec, exec, s[14:15]
	s_cbranch_execnz .LBB41_111
; %bb.112:                              ;   in Loop: Header=BB41_108 Depth=1
	s_or_b64 exec, exec, s[14:15]
	s_branch .LBB41_107
.LBB41_113:                             ;   in Loop: Header=BB41_108 Depth=1
                                        ; implicit-def: $vgpr8
                                        ; implicit-def: $vgpr6_vgpr7
	s_cbranch_execz .LBB41_108
; %bb.114:
	s_and_saveexec_b64 s[12:13], s[8:9]
	s_cbranch_execz .LBB41_116
; %bb.115:
	s_add_i32 s14, s33, 64
	s_mov_b32 s15, 0
	v_add_u32_e32 v7, v31, v27
	s_lshl_b64 s[14:15], s[14:15], 4
	s_add_u32 s14, s50, s14
	v_and_b32_e32 v8, 0xff000000, v7
	v_and_b32_e32 v10, 0xff0000, v7
	s_addc_u32 s15, s51, s15
	v_or_b32_e32 v8, v10, v8
	v_and_b32_e32 v10, 0xff00, v7
	v_and_b32_e32 v7, 0xff, v7
	v_add_u32_e32 v6, v30, v26
	v_mov_b32_e32 v9, 0
	v_or3_b32 v7, v8, v10, v7
	v_mov_b32_e32 v8, 2
	v_pk_mov_b32 v[10:11], s[14:15], s[14:15] op_sel:[0,1]
	;;#ASMSTART
	global_store_dwordx4 v[10:11], v[6:9] off	
s_waitcnt vmcnt(0)
	;;#ASMEND
	s_movk_i32 s14, 0x3400
	v_add_u32_e64 v6, s14, 0
	ds_write2_b32 v6, v26, v27 offset1:2
	ds_write2_b32 v6, v30, v31 offset0:4 offset1:6
.LBB41_116:
	s_or_b64 exec, exec, s[12:13]
	s_and_b64 exec, exec, s[0:1]
	s_cbranch_execz .LBB41_118
; %bb.117:
	v_mov_b32_e32 v6, 0
	ds_write_b64 v6, v[30:31] offset:24
.LBB41_118:
	s_or_b64 exec, exec, s[10:11]
	v_mov_b32_e32 v6, 0
	s_waitcnt lgkmcnt(0)
	s_barrier
	ds_read_b64 v[10:11], v6 offset:24
	v_cndmask_b32_e64 v25, v92, v25, s[8:9]
	v_cndmask_b32_e64 v1, v1, v24, s[8:9]
	s_movk_i32 s8, 0x3400
	s_waitcnt lgkmcnt(0)
	v_add_u32_e32 v24, v10, v1
	v_add_u32_e64 v1, s8, 0
	s_barrier
	ds_read2_b32 v[6:7], v1 offset1:2
	ds_read2_b32 v[8:9], v1 offset0:4 offset1:6
	v_add_u32_e32 v1, v11, v25
	v_cndmask_b32_e64 v1, v1, v11, s[0:1]
	v_cndmask_b32_e64 v10, v24, v10, s[0:1]
	s_branch .LBB41_129
.LBB41_119:
                                        ; implicit-def: $vgpr1
                                        ; implicit-def: $vgpr8
                                        ; implicit-def: $vgpr6
                                        ; implicit-def: $vgpr10_vgpr11
	s_cbranch_execz .LBB41_129
; %bb.120:
	s_nop 0
	v_mov_b32_dpp v1, v90 row_shr:1 row_mask:0xf bank_mask:0xf
	s_waitcnt lgkmcnt(1)
	v_mov_b32_dpp v6, v91 row_shr:1 row_mask:0xf bank_mask:0xf
	v_add_u32_e32 v1, v1, v90
	v_add_u32_e32 v6, v6, v91
	v_cndmask_b32_e64 v6, v6, v91, s[6:7]
	v_cndmask_b32_e64 v1, v1, v90, s[6:7]
	v_cmp_lt_u32_e32 vcc, 3, v89
	s_waitcnt lgkmcnt(0)
	v_mov_b32_dpp v8, v6 row_shr:2 row_mask:0xf bank_mask:0xf
	v_mov_b32_dpp v7, v1 row_shr:2 row_mask:0xf bank_mask:0xf
	v_add_u32_e32 v7, v1, v7
	v_add_u32_e32 v8, v6, v8
	v_cndmask_b32_e64 v6, v6, v8, s[4:5]
	v_cndmask_b32_e64 v1, v1, v7, s[4:5]
	s_nop 0
	v_mov_b32_dpp v8, v6 row_shr:4 row_mask:0xf bank_mask:0xf
	v_mov_b32_dpp v7, v1 row_shr:4 row_mask:0xf bank_mask:0xf
	v_add_u32_e32 v7, v1, v7
	v_add_u32_e32 v8, v6, v8
	v_cndmask_b32_e32 v6, v6, v8, vcc
	v_cndmask_b32_e32 v1, v1, v7, vcc
	v_cmp_lt_u32_e32 vcc, 7, v89
	v_mov_b32_dpp v8, v6 row_shr:8 row_mask:0xf bank_mask:0xf
	v_mov_b32_dpp v7, v1 row_shr:8 row_mask:0xf bank_mask:0xf
	v_add_u32_e32 v7, v1, v7
	v_add_u32_e32 v8, v6, v8
	v_cndmask_b32_e32 v6, v6, v8, vcc
	v_cndmask_b32_e32 v1, v1, v7, vcc
	v_cmp_eq_u32_e32 vcc, 0, v88
	v_mov_b32_dpp v8, v6 row_bcast:15 row_mask:0xf bank_mask:0xf
	v_mov_b32_dpp v7, v1 row_bcast:15 row_mask:0xf bank_mask:0xf
	v_add_u32_e32 v7, v1, v7
	v_add_u32_e32 v8, v6, v8
	v_cndmask_b32_e32 v6, v8, v6, vcc
	v_cndmask_b32_e32 v1, v7, v1, vcc
	v_cmp_lt_u32_e32 vcc, 31, v85
	v_mov_b32_dpp v8, v6 row_bcast:31 row_mask:0xf bank_mask:0xf
	v_mov_b32_dpp v7, v1 row_bcast:31 row_mask:0xf bank_mask:0xf
	v_add_u32_e32 v8, v6, v8
	v_add_u32_e32 v9, v1, v7
	v_cndmask_b32_e32 v7, v6, v8, vcc
	v_cndmask_b32_e32 v6, v1, v9, vcc
	v_cmp_eq_u32_e32 vcc, v87, v0
	s_and_saveexec_b64 s[4:5], vcc
	s_cbranch_execz .LBB41_122
; %bb.121:
	v_lshlrev_b32_e32 v1, 3, v86
	ds_write_b64 v1, v[6:7]
.LBB41_122:
	s_or_b64 exec, exec, s[4:5]
	v_cmp_gt_u32_e32 vcc, 4, v0
	s_waitcnt lgkmcnt(0)
	s_barrier
	s_and_saveexec_b64 s[4:5], vcc
	s_cbranch_execz .LBB41_124
; %bb.123:
	v_lshlrev_b32_e32 v1, 3, v0
	ds_read_b64 v[8:9], v1
	v_and_b32_e32 v10, 3, v85
	v_cmp_eq_u32_e32 vcc, 0, v10
	s_waitcnt lgkmcnt(0)
	v_mov_b32_dpp v11, v8 row_shr:1 row_mask:0xf bank_mask:0xf
	v_mov_b32_dpp v24, v9 row_shr:1 row_mask:0xf bank_mask:0xf
	v_add_u32_e32 v11, v11, v8
	v_add_u32_e32 v24, v24, v9
	v_cndmask_b32_e32 v9, v24, v9, vcc
	v_cndmask_b32_e32 v8, v11, v8, vcc
	v_cmp_lt_u32_e32 vcc, 1, v10
	v_mov_b32_dpp v24, v9 row_shr:2 row_mask:0xf bank_mask:0xf
	v_mov_b32_dpp v11, v8 row_shr:2 row_mask:0xf bank_mask:0xf
	v_cndmask_b32_e32 v10, 0, v11, vcc
	v_cndmask_b32_e32 v11, 0, v24, vcc
	v_add_u32_e32 v9, v11, v9
	v_add_u32_e32 v8, v10, v8
	ds_write_b64 v1, v[8:9]
.LBB41_124:
	s_or_b64 exec, exec, s[4:5]
	v_cmp_lt_u32_e32 vcc, 63, v0
	v_mov_b32_e32 v8, 0
	v_mov_b32_e32 v10, 0
	;; [unrolled: 1-line block ×3, first 2 shown]
	s_waitcnt lgkmcnt(0)
	s_barrier
	s_and_saveexec_b64 s[4:5], vcc
	s_cbranch_execz .LBB41_126
; %bb.125:
	v_lshl_add_u32 v1, v86, 3, -8
	ds_read_b64 v[10:11], v1
.LBB41_126:
	s_or_b64 exec, exec, s[4:5]
	s_waitcnt lgkmcnt(0)
	v_add_u32_e32 v9, v11, v7
	v_add_u32_e32 v1, v10, v6
	v_add_u32_e32 v6, -1, v85
	v_and_b32_e32 v7, 64, v85
	v_cmp_lt_i32_e32 vcc, v6, v7
	v_cndmask_b32_e32 v6, v6, v85, vcc
	v_lshlrev_b32_e32 v24, 2, v6
	ds_read_b64 v[6:7], v8 offset:24
	ds_bpermute_b32 v1, v24, v1
	ds_bpermute_b32 v24, v24, v9
	s_waitcnt lgkmcnt(2)
	v_readfirstlane_b32 s6, v7
	s_and_saveexec_b64 s[4:5], s[0:1]
	s_cbranch_execz .LBB41_128
; %bb.127:
	s_add_u32 s8, s50, 0x400
	s_mov_b32 s10, 0
	s_addc_u32 s9, s51, 0
	s_and_b32 s11, s6, 0xff000000
	s_and_b32 s13, s6, 0xff0000
	s_mov_b32 s12, s10
	s_or_b64 s[12:13], s[12:13], s[10:11]
	s_and_b32 s11, s6, 0xff00
	s_or_b64 s[12:13], s[12:13], s[10:11]
	s_and_b32 s11, s6, 0xff
	s_or_b64 s[10:11], s[12:13], s[10:11]
	v_mov_b32_e32 v7, s11
	v_mov_b32_e32 v8, 2
	;; [unrolled: 1-line block ×3, first 2 shown]
	v_pk_mov_b32 v[26:27], s[8:9], s[8:9] op_sel:[0,1]
	;;#ASMSTART
	global_store_dwordx4 v[26:27], v[6:9] off	
s_waitcnt vmcnt(0)
	;;#ASMEND
.LBB41_128:
	s_or_b64 exec, exec, s[4:5]
	v_cmp_eq_u32_e32 vcc, 0, v85
	s_waitcnt lgkmcnt(1)
	v_cndmask_b32_e32 v7, v1, v10, vcc
	s_waitcnt lgkmcnt(0)
	v_cndmask_b32_e32 v1, v24, v11, vcc
	v_mov_b32_e32 v8, 0
	v_cndmask_b32_e64 v1, v1, 0, s[0:1]
	v_cndmask_b32_e64 v10, v7, 0, s[0:1]
	s_barrier
	v_mov_b32_e32 v7, s6
	v_mov_b32_e32 v9, 0
.LBB41_129:
	v_add_u32_e32 v11, v10, v67
	v_add_u32_e32 v26, v1, v68
	;; [unrolled: 1-line block ×13, first 2 shown]
	s_waitcnt vmcnt(0) lgkmcnt(0)
	v_add_co_u32_e32 v2, vcc, v2, v8
	v_add_u32_e32 v68, v62, v74
	v_add_u32_e32 v64, v67, v64
	v_addc_co_u32_e32 v3, vcc, 0, v3, vcc
	v_add_u32_e32 v69, v68, v82
	v_add_u32_e32 v70, v64, v75
	v_sub_co_u32_e32 v24, vcc, v4, v6
	v_add_u32_e32 v71, v69, v76
	v_add_u32_e32 v65, v70, v65
	v_subbrev_co_u32_e32 v25, vcc, 0, v5, vcc
	v_lshlrev_b32_e32 v76, 1, v6
	v_sub_u32_e32 v1, v1, v9
	v_add_u32_e32 v73, v65, v77
	v_add_co_u32_e32 v24, vcc, v24, v9
	v_add_u32_e32 v77, v76, v7
	v_sub_u32_e32 v10, v10, v8
	v_add_u32_e32 v1, v1, v6
	v_addc_co_u32_e32 v25, vcc, 0, v25, vcc
	v_add_u32_e32 v36, v77, v36
	v_and_b32_e32 v38, 1, v38
	v_add_u32_e32 v77, v10, v1
	v_and_b32_e32 v37, 1, v37
	v_sub_u32_e32 v77, v36, v77
	v_cmp_eq_u32_e32 vcc, 1, v38
	v_cndmask_b32_e32 v1, v77, v1, vcc
	v_cmp_eq_u32_e32 vcc, 1, v37
	v_cndmask_b32_e32 v1, v1, v10, vcc
	v_lshlrev_b32_e32 v1, 2, v1
	ds_write_b32 v1, v22
	v_sub_u32_e32 v1, v11, v8
	v_sub_u32_e32 v11, v26, v9
	v_add_u32_e32 v11, v11, v6
	v_add_u32_e32 v26, v11, v1
	v_and_b32_e32 v22, 1, v40
	v_sub_u32_e32 v26, v36, v26
	v_and_b32_e32 v10, 1, v39
	v_add_u32_e32 v26, 1, v26
	v_cmp_eq_u32_e32 vcc, 1, v22
	v_cndmask_b32_e32 v11, v26, v11, vcc
	v_cmp_eq_u32_e32 vcc, 1, v10
	v_cndmask_b32_e32 v1, v11, v1, vcc
	v_lshlrev_b32_e32 v1, 2, v1
	v_sub_u32_e32 v11, v27, v9
	ds_write_b32 v1, v23
	v_sub_u32_e32 v1, v28, v8
	v_add_u32_e32 v11, v11, v6
	v_add_u32_e32 v23, v11, v1
	v_and_b32_e32 v22, 1, v42
	v_sub_u32_e32 v23, v36, v23
	v_and_b32_e32 v10, 1, v41
	v_add_u32_e32 v23, 2, v23
	v_cmp_eq_u32_e32 vcc, 1, v22
	v_cndmask_b32_e32 v11, v23, v11, vcc
	v_cmp_eq_u32_e32 vcc, 1, v10
	v_cndmask_b32_e32 v1, v11, v1, vcc
	v_lshlrev_b32_e32 v1, 2, v1
	v_sub_u32_e32 v11, v30, v9
	ds_write_b32 v1, v20
	;; [unrolled: 14-line block ×8, first 2 shown]
	v_sub_u32_e32 v1, v70, v8
	v_add_u32_e32 v11, v11, v6
	v_add_u32_e32 v16, v1, v11
	v_and_b32_e32 v14, 1, v55
	v_sub_u32_e32 v16, v36, v16
	v_and_b32_e32 v10, 1, v56
	v_add_u32_e32 v16, 9, v16
	v_cmp_eq_u32_e32 vcc, 1, v14
	v_cndmask_b32_e32 v11, v16, v11, vcc
	v_cmp_eq_u32_e32 vcc, 1, v10
	v_add_u32_e32 v72, v71, v83
	v_cndmask_b32_e32 v1, v11, v1, vcc
	v_lshlrev_b32_e32 v1, 2, v1
	v_sub_u32_e32 v11, v72, v9
	ds_write_b32 v1, v15
	v_sub_u32_e32 v1, v65, v8
	v_add_u32_e32 v11, v11, v6
	v_add_u32_e32 v15, v1, v11
	v_and_b32_e32 v14, 1, v57
	v_sub_u32_e32 v15, v36, v15
	v_and_b32_e32 v10, 1, v58
	v_add_u32_e32 v15, 10, v15
	v_cmp_eq_u32_e32 vcc, 1, v14
	v_cndmask_b32_e32 v11, v15, v11, vcc
	v_cmp_eq_u32_e32 vcc, 1, v10
	v_add_u32_e32 v74, v72, v78
	v_cndmask_b32_e32 v1, v11, v1, vcc
	v_lshlrev_b32_e32 v1, 2, v1
	v_sub_u32_e32 v11, v74, v9
	ds_write_b32 v1, v12
	v_sub_u32_e32 v1, v73, v8
	v_add_u32_e32 v11, v11, v6
	v_add_u32_e32 v14, v1, v11
	v_and_b32_e32 v12, 1, v59
	v_sub_u32_e32 v14, v36, v14
	v_and_b32_e32 v10, 1, v60
	v_add_u32_e32 v14, 11, v14
	v_cmp_eq_u32_e32 vcc, 1, v12
	v_cndmask_b32_e32 v11, v14, v11, vcc
	v_cmp_eq_u32_e32 vcc, 1, v10
	v_cndmask_b32_e32 v1, v11, v1, vcc
	v_add_u32_e32 v75, v74, v84
	v_add_u32_e32 v66, v73, v66
	v_lshlrev_b32_e32 v1, 2, v1
	ds_write_b32 v1, v13
	v_sub_u32_e32 v1, v66, v8
	v_sub_u32_e32 v8, v75, v9
	v_add_u32_e32 v8, v8, v6
	v_add_u32_e32 v10, v1, v8
	v_sub_u32_e32 v10, v36, v10
	v_add_u32_e32 v10, 12, v10
	v_cndmask_b32_e64 v8, v10, v8, s[54:55]
	v_cndmask_b32_e64 v1, v8, v1, s[52:53]
	v_lshlrev_b32_e32 v1, 2, v1
	ds_write_b32 v1, v35
	v_mov_b32_e32 v1, s49
	v_add_co_u32_e32 v8, vcc, s48, v34
	v_addc_co_u32_e32 v10, vcc, 0, v1, vcc
	v_add_co_u32_e32 v1, vcc, v7, v76
	v_addc_co_u32_e64 v11, s[4:5], 0, 0, vcc
	v_add_co_u32_e32 v1, vcc, v1, v24
	v_addc_co_u32_e32 v11, vcc, v11, v25, vcc
	v_add_co_u32_e32 v1, vcc, v1, v2
	v_addc_co_u32_e32 v11, vcc, v11, v3, vcc
	v_sub_co_u32_e32 v1, vcc, v8, v1
	v_subb_co_u32_e32 v8, vcc, v10, v11, vcc
	v_lshlrev_b64 v[10:11], 2, v[24:25]
	v_mov_b32_e32 v12, s47
	v_add_co_u32_e32 v10, vcc, s46, v10
	v_addc_co_u32_e32 v11, vcc, v12, v11, vcc
	v_lshlrev_b64 v[12:13], 2, v[2:3]
	v_mov_b32_e32 v15, s45
	v_add_co_u32_e32 v12, vcc, s44, v12
	s_add_u32 s8, s34, -4
	v_addc_co_u32_e32 v13, vcc, v15, v13, vcc
	s_addc_u32 s9, s35, -1
	v_add_u32_e32 v14, v6, v7
	s_and_b64 vcc, exec, s[2:3]
	s_mov_b64 s[2:3], -1
	s_waitcnt lgkmcnt(0)
	s_barrier
	s_cbranch_vccz .LBB41_133
; %bb.130:
	s_and_b64 vcc, exec, s[2:3]
	s_cbranch_vccnz .LBB41_238
.LBB41_131:
	s_and_b64 s[0:1], s[0:1], s[30:31]
	s_and_saveexec_b64 s[2:3], s[0:1]
	s_cbranch_execnz .LBB41_356
.LBB41_132:
	s_endpgm
.LBB41_133:
	v_cmp_le_u32_e32 vcc, v6, v0
	s_and_saveexec_b64 s[2:3], vcc
	s_xor_b64 s[2:3], exec, s[2:3]
	s_cbranch_execz .LBB41_139
; %bb.134:
	v_cmp_le_u32_e32 vcc, v14, v0
	s_and_saveexec_b64 s[4:5], vcc
	s_xor_b64 s[4:5], exec, s[4:5]
	s_cbranch_execz .LBB41_136
; %bb.135:
	v_lshlrev_b32_e32 v15, 2, v0
	v_add_co_u32_e32 v16, vcc, v1, v0
	ds_read_b32 v15, v15
	v_addc_co_u32_e32 v17, vcc, 0, v8, vcc
	v_lshlrev_b64 v[16:17], 2, v[16:17]
	v_mov_b32_e32 v18, s35
	v_sub_co_u32_e32 v16, vcc, s34, v16
	v_subb_co_u32_e32 v17, vcc, v18, v17, vcc
	s_waitcnt lgkmcnt(0)
	global_store_dword v[16:17], v15, off offset:-4
.LBB41_136:
	s_andn2_saveexec_b64 s[4:5], s[4:5]
	s_cbranch_execz .LBB41_138
; %bb.137:
	v_lshlrev_b32_e32 v15, 2, v0
	ds_read_b32 v16, v15
	v_readfirstlane_b32 s6, v10
	v_readfirstlane_b32 s7, v11
	s_waitcnt lgkmcnt(0)
	s_nop 3
	global_store_dword v15, v16, s[6:7]
.LBB41_138:
	s_or_b64 exec, exec, s[4:5]
.LBB41_139:
	s_andn2_saveexec_b64 s[2:3], s[2:3]
	s_cbranch_execz .LBB41_141
; %bb.140:
	v_lshlrev_b32_e32 v15, 2, v0
	ds_read_b32 v16, v15
	v_readfirstlane_b32 s4, v12
	v_readfirstlane_b32 s5, v13
	s_waitcnt lgkmcnt(0)
	s_nop 3
	global_store_dword v15, v16, s[4:5]
.LBB41_141:
	s_or_b64 exec, exec, s[2:3]
	v_or_b32_e32 v15, 0x100, v0
	v_cmp_le_u32_e32 vcc, v6, v15
	s_and_saveexec_b64 s[2:3], vcc
	s_xor_b64 s[2:3], exec, s[2:3]
	s_cbranch_execz .LBB41_147
; %bb.142:
	v_cmp_le_u32_e32 vcc, v14, v15
	s_and_saveexec_b64 s[4:5], vcc
	s_xor_b64 s[4:5], exec, s[4:5]
	s_cbranch_execz .LBB41_144
; %bb.143:
	v_lshlrev_b32_e32 v15, 2, v0
	ds_read_b32 v15, v15 offset:1024
	v_add_co_u32_e32 v16, vcc, v1, v0
	v_addc_co_u32_e32 v17, vcc, 0, v8, vcc
	v_lshlrev_b64 v[16:17], 2, v[16:17]
	v_mov_b32_e32 v18, s9
	v_sub_co_u32_e32 v16, vcc, s8, v16
	v_subb_co_u32_e32 v17, vcc, v18, v17, vcc
	s_waitcnt lgkmcnt(0)
	global_store_dword v[16:17], v15, off offset:-1024
.LBB41_144:
	s_andn2_saveexec_b64 s[4:5], s[4:5]
	s_cbranch_execz .LBB41_146
; %bb.145:
	v_lshlrev_b32_e32 v15, 2, v0
	ds_read_b32 v16, v15 offset:1024
	v_readfirstlane_b32 s6, v10
	v_readfirstlane_b32 s7, v11
	s_waitcnt lgkmcnt(0)
	s_nop 3
	global_store_dword v15, v16, s[6:7] offset:1024
.LBB41_146:
	s_or_b64 exec, exec, s[4:5]
.LBB41_147:
	s_andn2_saveexec_b64 s[2:3], s[2:3]
	s_cbranch_execz .LBB41_149
; %bb.148:
	v_lshlrev_b32_e32 v15, 2, v0
	ds_read_b32 v16, v15 offset:1024
	v_readfirstlane_b32 s4, v12
	v_readfirstlane_b32 s5, v13
	s_waitcnt lgkmcnt(0)
	s_nop 3
	global_store_dword v15, v16, s[4:5] offset:1024
.LBB41_149:
	s_or_b64 exec, exec, s[2:3]
	v_or_b32_e32 v15, 0x200, v0
	v_cmp_le_u32_e32 vcc, v6, v15
	s_and_saveexec_b64 s[2:3], vcc
	s_xor_b64 s[2:3], exec, s[2:3]
	s_cbranch_execz .LBB41_155
; %bb.150:
	v_cmp_le_u32_e32 vcc, v14, v15
	s_and_saveexec_b64 s[4:5], vcc
	s_xor_b64 s[4:5], exec, s[4:5]
	s_cbranch_execz .LBB41_152
; %bb.151:
	v_lshlrev_b32_e32 v15, 2, v0
	ds_read_b32 v15, v15 offset:2048
	v_add_co_u32_e32 v16, vcc, v1, v0
	v_addc_co_u32_e32 v17, vcc, 0, v8, vcc
	v_lshlrev_b64 v[16:17], 2, v[16:17]
	v_mov_b32_e32 v18, s9
	v_sub_co_u32_e32 v16, vcc, s8, v16
	v_subb_co_u32_e32 v17, vcc, v18, v17, vcc
	s_waitcnt lgkmcnt(0)
	global_store_dword v[16:17], v15, off offset:-2048
.LBB41_152:
	s_andn2_saveexec_b64 s[4:5], s[4:5]
	s_cbranch_execz .LBB41_154
; %bb.153:
	v_lshlrev_b32_e32 v15, 2, v0
	ds_read_b32 v16, v15 offset:2048
	v_readfirstlane_b32 s6, v10
	v_readfirstlane_b32 s7, v11
	s_waitcnt lgkmcnt(0)
	s_nop 3
	global_store_dword v15, v16, s[6:7] offset:2048
.LBB41_154:
	s_or_b64 exec, exec, s[4:5]
.LBB41_155:
	s_andn2_saveexec_b64 s[2:3], s[2:3]
	s_cbranch_execz .LBB41_157
; %bb.156:
	v_lshlrev_b32_e32 v15, 2, v0
	ds_read_b32 v16, v15 offset:2048
	v_readfirstlane_b32 s4, v12
	v_readfirstlane_b32 s5, v13
	s_waitcnt lgkmcnt(0)
	s_nop 3
	global_store_dword v15, v16, s[4:5] offset:2048
.LBB41_157:
	;; [unrolled: 47-line block ×3, first 2 shown]
	s_or_b64 exec, exec, s[2:3]
	v_or_b32_e32 v15, 0x400, v0
	v_cmp_le_u32_e32 vcc, v6, v15
	s_and_saveexec_b64 s[2:3], vcc
	s_xor_b64 s[2:3], exec, s[2:3]
	s_cbranch_execz .LBB41_171
; %bb.166:
	v_cmp_le_u32_e32 vcc, v14, v15
	s_and_saveexec_b64 s[4:5], vcc
	s_xor_b64 s[4:5], exec, s[4:5]
	s_cbranch_execz .LBB41_168
; %bb.167:
	v_lshlrev_b32_e32 v15, 2, v0
	ds_read_b32 v15, v15 offset:4096
	v_add_co_u32_e32 v16, vcc, v1, v0
	v_addc_co_u32_e32 v17, vcc, 0, v8, vcc
	v_lshlrev_b64 v[16:17], 2, v[16:17]
	v_mov_b32_e32 v18, s9
	v_sub_co_u32_e32 v16, vcc, s8, v16
	v_subb_co_u32_e32 v17, vcc, v18, v17, vcc
	s_waitcnt lgkmcnt(0)
	global_store_dword v[16:17], v15, off offset:-4096
                                        ; implicit-def: $vgpr15
.LBB41_168:
	s_andn2_saveexec_b64 s[4:5], s[4:5]
	s_cbranch_execz .LBB41_170
; %bb.169:
	v_lshlrev_b32_e32 v16, 2, v0
	ds_read_b32 v16, v16 offset:4096
	v_lshlrev_b32_e32 v15, 2, v15
	v_readfirstlane_b32 s6, v10
	v_readfirstlane_b32 s7, v11
	s_waitcnt lgkmcnt(0)
	s_nop 3
	global_store_dword v15, v16, s[6:7]
.LBB41_170:
	s_or_b64 exec, exec, s[4:5]
                                        ; implicit-def: $vgpr15
.LBB41_171:
	s_andn2_saveexec_b64 s[2:3], s[2:3]
	s_cbranch_execz .LBB41_173
; %bb.172:
	v_lshlrev_b32_e32 v16, 2, v0
	ds_read_b32 v16, v16 offset:4096
	v_lshlrev_b32_e32 v15, 2, v15
	v_readfirstlane_b32 s4, v12
	v_readfirstlane_b32 s5, v13
	s_waitcnt lgkmcnt(0)
	s_nop 3
	global_store_dword v15, v16, s[4:5]
.LBB41_173:
	s_or_b64 exec, exec, s[2:3]
	v_or_b32_e32 v15, 0x500, v0
	v_cmp_le_u32_e32 vcc, v6, v15
	s_and_saveexec_b64 s[2:3], vcc
	s_xor_b64 s[2:3], exec, s[2:3]
	s_cbranch_execz .LBB41_179
; %bb.174:
	v_cmp_le_u32_e32 vcc, v14, v15
	s_and_saveexec_b64 s[4:5], vcc
	s_xor_b64 s[4:5], exec, s[4:5]
	s_cbranch_execz .LBB41_176
; %bb.175:
	v_add_co_u32_e32 v16, vcc, v1, v15
	v_lshlrev_b32_e32 v15, 2, v0
	ds_read_b32 v15, v15 offset:5120
	v_addc_co_u32_e32 v17, vcc, 0, v8, vcc
	v_lshlrev_b64 v[16:17], 2, v[16:17]
	v_mov_b32_e32 v18, s9
	v_sub_co_u32_e32 v16, vcc, s8, v16
	v_subb_co_u32_e32 v17, vcc, v18, v17, vcc
	s_waitcnt lgkmcnt(0)
	global_store_dword v[16:17], v15, off
                                        ; implicit-def: $vgpr15
.LBB41_176:
	s_andn2_saveexec_b64 s[4:5], s[4:5]
	s_cbranch_execz .LBB41_178
; %bb.177:
	v_lshlrev_b32_e32 v16, 2, v0
	ds_read_b32 v16, v16 offset:5120
	v_lshlrev_b32_e32 v15, 2, v15
	v_readfirstlane_b32 s6, v10
	v_readfirstlane_b32 s7, v11
	s_waitcnt lgkmcnt(0)
	s_nop 3
	global_store_dword v15, v16, s[6:7]
.LBB41_178:
	s_or_b64 exec, exec, s[4:5]
                                        ; implicit-def: $vgpr15
.LBB41_179:
	s_andn2_saveexec_b64 s[2:3], s[2:3]
	s_cbranch_execz .LBB41_181
; %bb.180:
	v_lshlrev_b32_e32 v16, 2, v0
	ds_read_b32 v16, v16 offset:5120
	v_lshlrev_b32_e32 v15, 2, v15
	v_readfirstlane_b32 s4, v12
	v_readfirstlane_b32 s5, v13
	s_waitcnt lgkmcnt(0)
	s_nop 3
	global_store_dword v15, v16, s[4:5]
.LBB41_181:
	s_or_b64 exec, exec, s[2:3]
	v_or_b32_e32 v15, 0x600, v0
	v_cmp_le_u32_e32 vcc, v6, v15
	s_and_saveexec_b64 s[2:3], vcc
	s_xor_b64 s[2:3], exec, s[2:3]
	s_cbranch_execz .LBB41_187
; %bb.182:
	v_cmp_le_u32_e32 vcc, v14, v15
	s_and_saveexec_b64 s[4:5], vcc
	s_xor_b64 s[4:5], exec, s[4:5]
	s_cbranch_execz .LBB41_184
; %bb.183:
	v_add_co_u32_e32 v16, vcc, v1, v15
	v_lshlrev_b32_e32 v15, 2, v0
	ds_read_b32 v15, v15 offset:6144
	v_addc_co_u32_e32 v17, vcc, 0, v8, vcc
	v_lshlrev_b64 v[16:17], 2, v[16:17]
	v_mov_b32_e32 v18, s9
	v_sub_co_u32_e32 v16, vcc, s8, v16
	v_subb_co_u32_e32 v17, vcc, v18, v17, vcc
	s_waitcnt lgkmcnt(0)
	global_store_dword v[16:17], v15, off
                                        ; implicit-def: $vgpr15
.LBB41_184:
	s_andn2_saveexec_b64 s[4:5], s[4:5]
	s_cbranch_execz .LBB41_186
; %bb.185:
	v_lshlrev_b32_e32 v16, 2, v0
	ds_read_b32 v16, v16 offset:6144
	v_lshlrev_b32_e32 v15, 2, v15
	v_readfirstlane_b32 s6, v10
	v_readfirstlane_b32 s7, v11
	s_waitcnt lgkmcnt(0)
	s_nop 3
	global_store_dword v15, v16, s[6:7]
.LBB41_186:
	s_or_b64 exec, exec, s[4:5]
                                        ; implicit-def: $vgpr15
.LBB41_187:
	;; [unrolled: 51-line block ×8, first 2 shown]
	s_andn2_saveexec_b64 s[2:3], s[2:3]
	s_cbranch_execz .LBB41_237
; %bb.236:
	v_lshlrev_b32_e32 v16, 2, v0
	ds_read_b32 v16, v16 offset:12288
	v_lshlrev_b32_e32 v15, 2, v15
	v_readfirstlane_b32 s4, v12
	v_readfirstlane_b32 s5, v13
	s_waitcnt lgkmcnt(0)
	s_nop 3
	global_store_dword v15, v16, s[4:5]
.LBB41_237:
	s_or_b64 exec, exec, s[2:3]
	s_branch .LBB41_131
.LBB41_238:
	v_cmp_gt_u32_e32 vcc, s16, v0
	s_and_saveexec_b64 s[2:3], vcc
	s_cbranch_execz .LBB41_247
; %bb.239:
	v_cmp_le_u32_e32 vcc, v6, v0
	s_and_saveexec_b64 s[4:5], vcc
	s_xor_b64 s[4:5], exec, s[4:5]
	s_cbranch_execz .LBB41_245
; %bb.240:
	v_cmp_le_u32_e32 vcc, v14, v0
	s_and_saveexec_b64 s[6:7], vcc
	s_xor_b64 s[6:7], exec, s[6:7]
	s_cbranch_execz .LBB41_242
; %bb.241:
	v_lshlrev_b32_e32 v15, 2, v0
	v_add_co_u32_e32 v16, vcc, v1, v0
	ds_read_b32 v15, v15
	v_addc_co_u32_e32 v17, vcc, 0, v8, vcc
	v_lshlrev_b64 v[16:17], 2, v[16:17]
	v_mov_b32_e32 v18, s35
	v_sub_co_u32_e32 v16, vcc, s34, v16
	v_subb_co_u32_e32 v17, vcc, v18, v17, vcc
	s_waitcnt lgkmcnt(0)
	global_store_dword v[16:17], v15, off offset:-4
.LBB41_242:
	s_andn2_saveexec_b64 s[6:7], s[6:7]
	s_cbranch_execz .LBB41_244
; %bb.243:
	v_lshlrev_b32_e32 v15, 2, v0
	ds_read_b32 v16, v15
	v_readfirstlane_b32 s10, v10
	v_readfirstlane_b32 s11, v11
	s_waitcnt lgkmcnt(0)
	s_nop 3
	global_store_dword v15, v16, s[10:11]
.LBB41_244:
	s_or_b64 exec, exec, s[6:7]
.LBB41_245:
	s_andn2_saveexec_b64 s[4:5], s[4:5]
	s_cbranch_execz .LBB41_247
; %bb.246:
	v_lshlrev_b32_e32 v15, 2, v0
	ds_read_b32 v16, v15
	v_readfirstlane_b32 s4, v12
	v_readfirstlane_b32 s5, v13
	s_waitcnt lgkmcnt(0)
	s_nop 3
	global_store_dword v15, v16, s[4:5]
.LBB41_247:
	s_or_b64 exec, exec, s[2:3]
	v_or_b32_e32 v15, 0x100, v0
	v_cmp_gt_u32_e32 vcc, s16, v15
	s_and_saveexec_b64 s[2:3], vcc
	s_cbranch_execz .LBB41_256
; %bb.248:
	v_cmp_le_u32_e32 vcc, v6, v15
	s_and_saveexec_b64 s[4:5], vcc
	s_xor_b64 s[4:5], exec, s[4:5]
	s_cbranch_execz .LBB41_254
; %bb.249:
	v_cmp_le_u32_e32 vcc, v14, v15
	s_and_saveexec_b64 s[6:7], vcc
	s_xor_b64 s[6:7], exec, s[6:7]
	s_cbranch_execz .LBB41_251
; %bb.250:
	v_lshlrev_b32_e32 v15, 2, v0
	ds_read_b32 v15, v15 offset:1024
	v_add_co_u32_e32 v16, vcc, v1, v0
	v_addc_co_u32_e32 v17, vcc, 0, v8, vcc
	v_lshlrev_b64 v[16:17], 2, v[16:17]
	v_mov_b32_e32 v18, s9
	v_sub_co_u32_e32 v16, vcc, s8, v16
	v_subb_co_u32_e32 v17, vcc, v18, v17, vcc
	s_waitcnt lgkmcnt(0)
	global_store_dword v[16:17], v15, off offset:-1024
.LBB41_251:
	s_andn2_saveexec_b64 s[6:7], s[6:7]
	s_cbranch_execz .LBB41_253
; %bb.252:
	v_lshlrev_b32_e32 v15, 2, v0
	ds_read_b32 v16, v15 offset:1024
	v_readfirstlane_b32 s10, v10
	v_readfirstlane_b32 s11, v11
	s_waitcnt lgkmcnt(0)
	s_nop 3
	global_store_dword v15, v16, s[10:11] offset:1024
.LBB41_253:
	s_or_b64 exec, exec, s[6:7]
.LBB41_254:
	s_andn2_saveexec_b64 s[4:5], s[4:5]
	s_cbranch_execz .LBB41_256
; %bb.255:
	v_lshlrev_b32_e32 v15, 2, v0
	ds_read_b32 v16, v15 offset:1024
	v_readfirstlane_b32 s4, v12
	v_readfirstlane_b32 s5, v13
	s_waitcnt lgkmcnt(0)
	s_nop 3
	global_store_dword v15, v16, s[4:5] offset:1024
.LBB41_256:
	s_or_b64 exec, exec, s[2:3]
	v_or_b32_e32 v15, 0x200, v0
	v_cmp_gt_u32_e32 vcc, s16, v15
	s_and_saveexec_b64 s[2:3], vcc
	s_cbranch_execz .LBB41_265
; %bb.257:
	v_cmp_le_u32_e32 vcc, v6, v15
	s_and_saveexec_b64 s[4:5], vcc
	s_xor_b64 s[4:5], exec, s[4:5]
	s_cbranch_execz .LBB41_263
; %bb.258:
	v_cmp_le_u32_e32 vcc, v14, v15
	s_and_saveexec_b64 s[6:7], vcc
	s_xor_b64 s[6:7], exec, s[6:7]
	s_cbranch_execz .LBB41_260
; %bb.259:
	v_lshlrev_b32_e32 v15, 2, v0
	ds_read_b32 v15, v15 offset:2048
	v_add_co_u32_e32 v16, vcc, v1, v0
	v_addc_co_u32_e32 v17, vcc, 0, v8, vcc
	v_lshlrev_b64 v[16:17], 2, v[16:17]
	v_mov_b32_e32 v18, s9
	v_sub_co_u32_e32 v16, vcc, s8, v16
	v_subb_co_u32_e32 v17, vcc, v18, v17, vcc
	s_waitcnt lgkmcnt(0)
	global_store_dword v[16:17], v15, off offset:-2048
.LBB41_260:
	s_andn2_saveexec_b64 s[6:7], s[6:7]
	s_cbranch_execz .LBB41_262
; %bb.261:
	v_lshlrev_b32_e32 v15, 2, v0
	ds_read_b32 v16, v15 offset:2048
	v_readfirstlane_b32 s10, v10
	v_readfirstlane_b32 s11, v11
	s_waitcnt lgkmcnt(0)
	s_nop 3
	global_store_dword v15, v16, s[10:11] offset:2048
.LBB41_262:
	s_or_b64 exec, exec, s[6:7]
.LBB41_263:
	s_andn2_saveexec_b64 s[4:5], s[4:5]
	s_cbranch_execz .LBB41_265
; %bb.264:
	v_lshlrev_b32_e32 v15, 2, v0
	ds_read_b32 v16, v15 offset:2048
	v_readfirstlane_b32 s4, v12
	v_readfirstlane_b32 s5, v13
	s_waitcnt lgkmcnt(0)
	s_nop 3
	global_store_dword v15, v16, s[4:5] offset:2048
.LBB41_265:
	;; [unrolled: 51-line block ×3, first 2 shown]
	s_or_b64 exec, exec, s[2:3]
	v_or_b32_e32 v15, 0x400, v0
	v_cmp_gt_u32_e32 vcc, s16, v15
	s_and_saveexec_b64 s[2:3], vcc
	s_cbranch_execz .LBB41_283
; %bb.275:
	v_cmp_le_u32_e32 vcc, v6, v15
	s_and_saveexec_b64 s[4:5], vcc
	s_xor_b64 s[4:5], exec, s[4:5]
	s_cbranch_execz .LBB41_281
; %bb.276:
	v_cmp_le_u32_e32 vcc, v14, v15
	s_and_saveexec_b64 s[6:7], vcc
	s_xor_b64 s[6:7], exec, s[6:7]
	s_cbranch_execz .LBB41_278
; %bb.277:
	v_lshlrev_b32_e32 v15, 2, v0
	ds_read_b32 v15, v15 offset:4096
	v_add_co_u32_e32 v16, vcc, v1, v0
	v_addc_co_u32_e32 v17, vcc, 0, v8, vcc
	v_lshlrev_b64 v[16:17], 2, v[16:17]
	v_mov_b32_e32 v18, s9
	v_sub_co_u32_e32 v16, vcc, s8, v16
	v_subb_co_u32_e32 v17, vcc, v18, v17, vcc
	s_waitcnt lgkmcnt(0)
	global_store_dword v[16:17], v15, off offset:-4096
                                        ; implicit-def: $vgpr15
.LBB41_278:
	s_andn2_saveexec_b64 s[6:7], s[6:7]
	s_cbranch_execz .LBB41_280
; %bb.279:
	v_lshlrev_b32_e32 v16, 2, v0
	ds_read_b32 v16, v16 offset:4096
	v_lshlrev_b32_e32 v15, 2, v15
	v_readfirstlane_b32 s10, v10
	v_readfirstlane_b32 s11, v11
	s_waitcnt lgkmcnt(0)
	s_nop 3
	global_store_dword v15, v16, s[10:11]
.LBB41_280:
	s_or_b64 exec, exec, s[6:7]
                                        ; implicit-def: $vgpr15
.LBB41_281:
	s_andn2_saveexec_b64 s[4:5], s[4:5]
	s_cbranch_execz .LBB41_283
; %bb.282:
	v_lshlrev_b32_e32 v16, 2, v0
	ds_read_b32 v16, v16 offset:4096
	v_lshlrev_b32_e32 v15, 2, v15
	v_readfirstlane_b32 s4, v12
	v_readfirstlane_b32 s5, v13
	s_waitcnt lgkmcnt(0)
	s_nop 3
	global_store_dword v15, v16, s[4:5]
.LBB41_283:
	s_or_b64 exec, exec, s[2:3]
	v_or_b32_e32 v15, 0x500, v0
	v_cmp_gt_u32_e32 vcc, s16, v15
	s_and_saveexec_b64 s[2:3], vcc
	s_cbranch_execz .LBB41_292
; %bb.284:
	v_cmp_le_u32_e32 vcc, v6, v15
	s_and_saveexec_b64 s[4:5], vcc
	s_xor_b64 s[4:5], exec, s[4:5]
	s_cbranch_execz .LBB41_290
; %bb.285:
	v_cmp_le_u32_e32 vcc, v14, v15
	s_and_saveexec_b64 s[6:7], vcc
	s_xor_b64 s[6:7], exec, s[6:7]
	s_cbranch_execz .LBB41_287
; %bb.286:
	v_add_co_u32_e32 v16, vcc, v1, v15
	v_lshlrev_b32_e32 v15, 2, v0
	ds_read_b32 v15, v15 offset:5120
	v_addc_co_u32_e32 v17, vcc, 0, v8, vcc
	v_lshlrev_b64 v[16:17], 2, v[16:17]
	v_mov_b32_e32 v18, s9
	v_sub_co_u32_e32 v16, vcc, s8, v16
	v_subb_co_u32_e32 v17, vcc, v18, v17, vcc
	s_waitcnt lgkmcnt(0)
	global_store_dword v[16:17], v15, off
                                        ; implicit-def: $vgpr15
.LBB41_287:
	s_andn2_saveexec_b64 s[6:7], s[6:7]
	s_cbranch_execz .LBB41_289
; %bb.288:
	v_lshlrev_b32_e32 v16, 2, v0
	ds_read_b32 v16, v16 offset:5120
	v_lshlrev_b32_e32 v15, 2, v15
	v_readfirstlane_b32 s10, v10
	v_readfirstlane_b32 s11, v11
	s_waitcnt lgkmcnt(0)
	s_nop 3
	global_store_dword v15, v16, s[10:11]
.LBB41_289:
	s_or_b64 exec, exec, s[6:7]
                                        ; implicit-def: $vgpr15
.LBB41_290:
	s_andn2_saveexec_b64 s[4:5], s[4:5]
	s_cbranch_execz .LBB41_292
; %bb.291:
	v_lshlrev_b32_e32 v16, 2, v0
	ds_read_b32 v16, v16 offset:5120
	v_lshlrev_b32_e32 v15, 2, v15
	v_readfirstlane_b32 s4, v12
	v_readfirstlane_b32 s5, v13
	s_waitcnt lgkmcnt(0)
	s_nop 3
	global_store_dword v15, v16, s[4:5]
.LBB41_292:
	s_or_b64 exec, exec, s[2:3]
	v_or_b32_e32 v15, 0x600, v0
	v_cmp_gt_u32_e32 vcc, s16, v15
	s_and_saveexec_b64 s[2:3], vcc
	s_cbranch_execz .LBB41_301
; %bb.293:
	v_cmp_le_u32_e32 vcc, v6, v15
	s_and_saveexec_b64 s[4:5], vcc
	s_xor_b64 s[4:5], exec, s[4:5]
	s_cbranch_execz .LBB41_299
; %bb.294:
	v_cmp_le_u32_e32 vcc, v14, v15
	s_and_saveexec_b64 s[6:7], vcc
	s_xor_b64 s[6:7], exec, s[6:7]
	s_cbranch_execz .LBB41_296
; %bb.295:
	v_add_co_u32_e32 v16, vcc, v1, v15
	v_lshlrev_b32_e32 v15, 2, v0
	ds_read_b32 v15, v15 offset:6144
	v_addc_co_u32_e32 v17, vcc, 0, v8, vcc
	v_lshlrev_b64 v[16:17], 2, v[16:17]
	v_mov_b32_e32 v18, s9
	v_sub_co_u32_e32 v16, vcc, s8, v16
	v_subb_co_u32_e32 v17, vcc, v18, v17, vcc
	s_waitcnt lgkmcnt(0)
	global_store_dword v[16:17], v15, off
                                        ; implicit-def: $vgpr15
.LBB41_296:
	s_andn2_saveexec_b64 s[6:7], s[6:7]
	s_cbranch_execz .LBB41_298
; %bb.297:
	v_lshlrev_b32_e32 v16, 2, v0
	ds_read_b32 v16, v16 offset:6144
	v_lshlrev_b32_e32 v15, 2, v15
	v_readfirstlane_b32 s10, v10
	v_readfirstlane_b32 s11, v11
	s_waitcnt lgkmcnt(0)
	s_nop 3
	global_store_dword v15, v16, s[10:11]
.LBB41_298:
	s_or_b64 exec, exec, s[6:7]
                                        ; implicit-def: $vgpr15
.LBB41_299:
	s_andn2_saveexec_b64 s[4:5], s[4:5]
	s_cbranch_execz .LBB41_301
; %bb.300:
	v_lshlrev_b32_e32 v16, 2, v0
	ds_read_b32 v16, v16 offset:6144
	v_lshlrev_b32_e32 v15, 2, v15
	v_readfirstlane_b32 s4, v12
	v_readfirstlane_b32 s5, v13
	s_waitcnt lgkmcnt(0)
	s_nop 3
	global_store_dword v15, v16, s[4:5]
.LBB41_301:
	;; [unrolled: 55-line block ×7, first 2 shown]
	s_or_b64 exec, exec, s[2:3]
	v_or_b32_e32 v15, 0xc00, v0
	v_cmp_gt_u32_e32 vcc, s16, v15
	s_and_saveexec_b64 s[2:3], vcc
	s_cbranch_execz .LBB41_355
; %bb.347:
	v_cmp_le_u32_e32 vcc, v6, v15
	s_and_saveexec_b64 s[4:5], vcc
	s_xor_b64 s[4:5], exec, s[4:5]
	s_cbranch_execz .LBB41_353
; %bb.348:
	v_cmp_le_u32_e32 vcc, v14, v15
	s_and_saveexec_b64 s[6:7], vcc
	s_xor_b64 s[6:7], exec, s[6:7]
	s_cbranch_execz .LBB41_350
; %bb.349:
	v_add_co_u32_e32 v10, vcc, v1, v15
	v_lshlrev_b32_e32 v0, 2, v0
	v_addc_co_u32_e32 v11, vcc, 0, v8, vcc
	ds_read_b32 v8, v0 offset:12288
	v_lshlrev_b64 v[0:1], 2, v[10:11]
	v_mov_b32_e32 v10, s9
	v_sub_co_u32_e32 v0, vcc, s8, v0
	v_subb_co_u32_e32 v1, vcc, v10, v1, vcc
	s_waitcnt lgkmcnt(0)
	global_store_dword v[0:1], v8, off
                                        ; implicit-def: $vgpr0
                                        ; implicit-def: $vgpr15
                                        ; implicit-def: $vgpr10_vgpr11
.LBB41_350:
	s_andn2_saveexec_b64 s[6:7], s[6:7]
	s_cbranch_execz .LBB41_352
; %bb.351:
	v_lshlrev_b32_e32 v0, 2, v0
	ds_read_b32 v0, v0 offset:12288
	v_lshlrev_b32_e32 v1, 2, v15
	v_readfirstlane_b32 s8, v10
	v_readfirstlane_b32 s9, v11
	s_waitcnt lgkmcnt(0)
	s_nop 3
	global_store_dword v1, v0, s[8:9]
.LBB41_352:
	s_or_b64 exec, exec, s[6:7]
                                        ; implicit-def: $vgpr0
                                        ; implicit-def: $vgpr15
                                        ; implicit-def: $vgpr12_vgpr13
.LBB41_353:
	s_andn2_saveexec_b64 s[4:5], s[4:5]
	s_cbranch_execz .LBB41_355
; %bb.354:
	v_lshlrev_b32_e32 v0, 2, v0
	ds_read_b32 v0, v0 offset:12288
	v_lshlrev_b32_e32 v1, 2, v15
	v_readfirstlane_b32 s4, v12
	v_readfirstlane_b32 s5, v13
	s_waitcnt lgkmcnt(0)
	s_nop 3
	global_store_dword v1, v0, s[4:5]
.LBB41_355:
	s_or_b64 exec, exec, s[2:3]
	s_and_b64 s[0:1], s[0:1], s[30:31]
	s_and_saveexec_b64 s[2:3], s[0:1]
	s_cbranch_execz .LBB41_132
.LBB41_356:
	v_add_co_u32_e32 v0, vcc, v2, v6
	v_addc_co_u32_e32 v1, vcc, 0, v3, vcc
	v_add_co_u32_e32 v2, vcc, v4, v7
	v_addc_co_u32_e32 v3, vcc, 0, v5, vcc
	v_add_co_u32_e32 v2, vcc, v2, v9
	v_mov_b32_e32 v8, 0
	v_addc_co_u32_e32 v3, vcc, 0, v3, vcc
	global_store_dwordx4 v8, v[0:3], s[28:29]
	s_endpgm
	.section	.rodata,"a",@progbits
	.p2align	6, 0x0
	.amdhsa_kernel _ZN7rocprim17ROCPRIM_400000_NS6detail17trampoline_kernelINS0_13select_configILj256ELj13ELNS0_17block_load_methodE3ELS4_3ELS4_3ELNS0_20block_scan_algorithmE0ELj4294967295EEENS1_25partition_config_selectorILNS1_17partition_subalgoE4EjNS0_10empty_typeEbEEZZNS1_14partition_implILS8_4ELb0ES6_15HIP_vector_typeIjLj2EENS0_17counting_iteratorIjlEEPS9_SG_NS0_5tupleIJPjSI_NS0_16reverse_iteratorISI_EEEEENSH_IJSG_SG_SG_EEES9_SI_JZNS1_25segmented_radix_sort_implINS0_14default_configELb1EPKhPhPKlPlN2at6native12_GLOBAL__N_18offset_tEEE10hipError_tPvRmT1_PNSt15iterator_traitsIS12_E10value_typeET2_T3_PNS13_IS18_E10value_typeET4_jRbjT5_S1E_jjP12ihipStream_tbEUljE_ZNSN_ISO_Lb1ESQ_SR_ST_SU_SY_EESZ_S10_S11_S12_S16_S17_S18_S1B_S1C_jS1D_jS1E_S1E_jjS1G_bEUljE0_EEESZ_S10_S11_S18_S1C_S1E_T6_T7_T9_mT8_S1G_bDpT10_ENKUlT_T0_E_clISt17integral_constantIbLb0EES1T_IbLb1EEEEDaS1P_S1Q_EUlS1P_E_NS1_11comp_targetILNS1_3genE4ELNS1_11target_archE910ELNS1_3gpuE8ELNS1_3repE0EEENS1_30default_config_static_selectorELNS0_4arch9wavefront6targetE1EEEvS12_
		.amdhsa_group_segment_fixed_size 13340
		.amdhsa_private_segment_fixed_size 0
		.amdhsa_kernarg_size 184
		.amdhsa_user_sgpr_count 6
		.amdhsa_user_sgpr_private_segment_buffer 1
		.amdhsa_user_sgpr_dispatch_ptr 0
		.amdhsa_user_sgpr_queue_ptr 0
		.amdhsa_user_sgpr_kernarg_segment_ptr 1
		.amdhsa_user_sgpr_dispatch_id 0
		.amdhsa_user_sgpr_flat_scratch_init 0
		.amdhsa_user_sgpr_kernarg_preload_length 0
		.amdhsa_user_sgpr_kernarg_preload_offset 0
		.amdhsa_user_sgpr_private_segment_size 0
		.amdhsa_uses_dynamic_stack 0
		.amdhsa_system_sgpr_private_segment_wavefront_offset 0
		.amdhsa_system_sgpr_workgroup_id_x 1
		.amdhsa_system_sgpr_workgroup_id_y 0
		.amdhsa_system_sgpr_workgroup_id_z 0
		.amdhsa_system_sgpr_workgroup_info 0
		.amdhsa_system_vgpr_workitem_id 0
		.amdhsa_next_free_vgpr 107
		.amdhsa_next_free_sgpr 87
		.amdhsa_accum_offset 108
		.amdhsa_reserve_vcc 1
		.amdhsa_reserve_flat_scratch 0
		.amdhsa_float_round_mode_32 0
		.amdhsa_float_round_mode_16_64 0
		.amdhsa_float_denorm_mode_32 3
		.amdhsa_float_denorm_mode_16_64 3
		.amdhsa_dx10_clamp 1
		.amdhsa_ieee_mode 1
		.amdhsa_fp16_overflow 0
		.amdhsa_tg_split 0
		.amdhsa_exception_fp_ieee_invalid_op 0
		.amdhsa_exception_fp_denorm_src 0
		.amdhsa_exception_fp_ieee_div_zero 0
		.amdhsa_exception_fp_ieee_overflow 0
		.amdhsa_exception_fp_ieee_underflow 0
		.amdhsa_exception_fp_ieee_inexact 0
		.amdhsa_exception_int_div_zero 0
	.end_amdhsa_kernel
	.section	.text._ZN7rocprim17ROCPRIM_400000_NS6detail17trampoline_kernelINS0_13select_configILj256ELj13ELNS0_17block_load_methodE3ELS4_3ELS4_3ELNS0_20block_scan_algorithmE0ELj4294967295EEENS1_25partition_config_selectorILNS1_17partition_subalgoE4EjNS0_10empty_typeEbEEZZNS1_14partition_implILS8_4ELb0ES6_15HIP_vector_typeIjLj2EENS0_17counting_iteratorIjlEEPS9_SG_NS0_5tupleIJPjSI_NS0_16reverse_iteratorISI_EEEEENSH_IJSG_SG_SG_EEES9_SI_JZNS1_25segmented_radix_sort_implINS0_14default_configELb1EPKhPhPKlPlN2at6native12_GLOBAL__N_18offset_tEEE10hipError_tPvRmT1_PNSt15iterator_traitsIS12_E10value_typeET2_T3_PNS13_IS18_E10value_typeET4_jRbjT5_S1E_jjP12ihipStream_tbEUljE_ZNSN_ISO_Lb1ESQ_SR_ST_SU_SY_EESZ_S10_S11_S12_S16_S17_S18_S1B_S1C_jS1D_jS1E_S1E_jjS1G_bEUljE0_EEESZ_S10_S11_S18_S1C_S1E_T6_T7_T9_mT8_S1G_bDpT10_ENKUlT_T0_E_clISt17integral_constantIbLb0EES1T_IbLb1EEEEDaS1P_S1Q_EUlS1P_E_NS1_11comp_targetILNS1_3genE4ELNS1_11target_archE910ELNS1_3gpuE8ELNS1_3repE0EEENS1_30default_config_static_selectorELNS0_4arch9wavefront6targetE1EEEvS12_,"axG",@progbits,_ZN7rocprim17ROCPRIM_400000_NS6detail17trampoline_kernelINS0_13select_configILj256ELj13ELNS0_17block_load_methodE3ELS4_3ELS4_3ELNS0_20block_scan_algorithmE0ELj4294967295EEENS1_25partition_config_selectorILNS1_17partition_subalgoE4EjNS0_10empty_typeEbEEZZNS1_14partition_implILS8_4ELb0ES6_15HIP_vector_typeIjLj2EENS0_17counting_iteratorIjlEEPS9_SG_NS0_5tupleIJPjSI_NS0_16reverse_iteratorISI_EEEEENSH_IJSG_SG_SG_EEES9_SI_JZNS1_25segmented_radix_sort_implINS0_14default_configELb1EPKhPhPKlPlN2at6native12_GLOBAL__N_18offset_tEEE10hipError_tPvRmT1_PNSt15iterator_traitsIS12_E10value_typeET2_T3_PNS13_IS18_E10value_typeET4_jRbjT5_S1E_jjP12ihipStream_tbEUljE_ZNSN_ISO_Lb1ESQ_SR_ST_SU_SY_EESZ_S10_S11_S12_S16_S17_S18_S1B_S1C_jS1D_jS1E_S1E_jjS1G_bEUljE0_EEESZ_S10_S11_S18_S1C_S1E_T6_T7_T9_mT8_S1G_bDpT10_ENKUlT_T0_E_clISt17integral_constantIbLb0EES1T_IbLb1EEEEDaS1P_S1Q_EUlS1P_E_NS1_11comp_targetILNS1_3genE4ELNS1_11target_archE910ELNS1_3gpuE8ELNS1_3repE0EEENS1_30default_config_static_selectorELNS0_4arch9wavefront6targetE1EEEvS12_,comdat
.Lfunc_end41:
	.size	_ZN7rocprim17ROCPRIM_400000_NS6detail17trampoline_kernelINS0_13select_configILj256ELj13ELNS0_17block_load_methodE3ELS4_3ELS4_3ELNS0_20block_scan_algorithmE0ELj4294967295EEENS1_25partition_config_selectorILNS1_17partition_subalgoE4EjNS0_10empty_typeEbEEZZNS1_14partition_implILS8_4ELb0ES6_15HIP_vector_typeIjLj2EENS0_17counting_iteratorIjlEEPS9_SG_NS0_5tupleIJPjSI_NS0_16reverse_iteratorISI_EEEEENSH_IJSG_SG_SG_EEES9_SI_JZNS1_25segmented_radix_sort_implINS0_14default_configELb1EPKhPhPKlPlN2at6native12_GLOBAL__N_18offset_tEEE10hipError_tPvRmT1_PNSt15iterator_traitsIS12_E10value_typeET2_T3_PNS13_IS18_E10value_typeET4_jRbjT5_S1E_jjP12ihipStream_tbEUljE_ZNSN_ISO_Lb1ESQ_SR_ST_SU_SY_EESZ_S10_S11_S12_S16_S17_S18_S1B_S1C_jS1D_jS1E_S1E_jjS1G_bEUljE0_EEESZ_S10_S11_S18_S1C_S1E_T6_T7_T9_mT8_S1G_bDpT10_ENKUlT_T0_E_clISt17integral_constantIbLb0EES1T_IbLb1EEEEDaS1P_S1Q_EUlS1P_E_NS1_11comp_targetILNS1_3genE4ELNS1_11target_archE910ELNS1_3gpuE8ELNS1_3repE0EEENS1_30default_config_static_selectorELNS0_4arch9wavefront6targetE1EEEvS12_, .Lfunc_end41-_ZN7rocprim17ROCPRIM_400000_NS6detail17trampoline_kernelINS0_13select_configILj256ELj13ELNS0_17block_load_methodE3ELS4_3ELS4_3ELNS0_20block_scan_algorithmE0ELj4294967295EEENS1_25partition_config_selectorILNS1_17partition_subalgoE4EjNS0_10empty_typeEbEEZZNS1_14partition_implILS8_4ELb0ES6_15HIP_vector_typeIjLj2EENS0_17counting_iteratorIjlEEPS9_SG_NS0_5tupleIJPjSI_NS0_16reverse_iteratorISI_EEEEENSH_IJSG_SG_SG_EEES9_SI_JZNS1_25segmented_radix_sort_implINS0_14default_configELb1EPKhPhPKlPlN2at6native12_GLOBAL__N_18offset_tEEE10hipError_tPvRmT1_PNSt15iterator_traitsIS12_E10value_typeET2_T3_PNS13_IS18_E10value_typeET4_jRbjT5_S1E_jjP12ihipStream_tbEUljE_ZNSN_ISO_Lb1ESQ_SR_ST_SU_SY_EESZ_S10_S11_S12_S16_S17_S18_S1B_S1C_jS1D_jS1E_S1E_jjS1G_bEUljE0_EEESZ_S10_S11_S18_S1C_S1E_T6_T7_T9_mT8_S1G_bDpT10_ENKUlT_T0_E_clISt17integral_constantIbLb0EES1T_IbLb1EEEEDaS1P_S1Q_EUlS1P_E_NS1_11comp_targetILNS1_3genE4ELNS1_11target_archE910ELNS1_3gpuE8ELNS1_3repE0EEENS1_30default_config_static_selectorELNS0_4arch9wavefront6targetE1EEEvS12_
                                        ; -- End function
	.section	.AMDGPU.csdata,"",@progbits
; Kernel info:
; codeLenInByte = 13432
; NumSgprs: 91
; NumVgprs: 107
; NumAgprs: 0
; TotalNumVgprs: 107
; ScratchSize: 0
; MemoryBound: 0
; FloatMode: 240
; IeeeMode: 1
; LDSByteSize: 13340 bytes/workgroup (compile time only)
; SGPRBlocks: 11
; VGPRBlocks: 13
; NumSGPRsForWavesPerEU: 91
; NumVGPRsForWavesPerEU: 107
; AccumOffset: 108
; Occupancy: 4
; WaveLimiterHint : 1
; COMPUTE_PGM_RSRC2:SCRATCH_EN: 0
; COMPUTE_PGM_RSRC2:USER_SGPR: 6
; COMPUTE_PGM_RSRC2:TRAP_HANDLER: 0
; COMPUTE_PGM_RSRC2:TGID_X_EN: 1
; COMPUTE_PGM_RSRC2:TGID_Y_EN: 0
; COMPUTE_PGM_RSRC2:TGID_Z_EN: 0
; COMPUTE_PGM_RSRC2:TIDIG_COMP_CNT: 0
; COMPUTE_PGM_RSRC3_GFX90A:ACCUM_OFFSET: 26
; COMPUTE_PGM_RSRC3_GFX90A:TG_SPLIT: 0
	.section	.text._ZN7rocprim17ROCPRIM_400000_NS6detail17trampoline_kernelINS0_13select_configILj256ELj13ELNS0_17block_load_methodE3ELS4_3ELS4_3ELNS0_20block_scan_algorithmE0ELj4294967295EEENS1_25partition_config_selectorILNS1_17partition_subalgoE4EjNS0_10empty_typeEbEEZZNS1_14partition_implILS8_4ELb0ES6_15HIP_vector_typeIjLj2EENS0_17counting_iteratorIjlEEPS9_SG_NS0_5tupleIJPjSI_NS0_16reverse_iteratorISI_EEEEENSH_IJSG_SG_SG_EEES9_SI_JZNS1_25segmented_radix_sort_implINS0_14default_configELb1EPKhPhPKlPlN2at6native12_GLOBAL__N_18offset_tEEE10hipError_tPvRmT1_PNSt15iterator_traitsIS12_E10value_typeET2_T3_PNS13_IS18_E10value_typeET4_jRbjT5_S1E_jjP12ihipStream_tbEUljE_ZNSN_ISO_Lb1ESQ_SR_ST_SU_SY_EESZ_S10_S11_S12_S16_S17_S18_S1B_S1C_jS1D_jS1E_S1E_jjS1G_bEUljE0_EEESZ_S10_S11_S18_S1C_S1E_T6_T7_T9_mT8_S1G_bDpT10_ENKUlT_T0_E_clISt17integral_constantIbLb0EES1T_IbLb1EEEEDaS1P_S1Q_EUlS1P_E_NS1_11comp_targetILNS1_3genE3ELNS1_11target_archE908ELNS1_3gpuE7ELNS1_3repE0EEENS1_30default_config_static_selectorELNS0_4arch9wavefront6targetE1EEEvS12_,"axG",@progbits,_ZN7rocprim17ROCPRIM_400000_NS6detail17trampoline_kernelINS0_13select_configILj256ELj13ELNS0_17block_load_methodE3ELS4_3ELS4_3ELNS0_20block_scan_algorithmE0ELj4294967295EEENS1_25partition_config_selectorILNS1_17partition_subalgoE4EjNS0_10empty_typeEbEEZZNS1_14partition_implILS8_4ELb0ES6_15HIP_vector_typeIjLj2EENS0_17counting_iteratorIjlEEPS9_SG_NS0_5tupleIJPjSI_NS0_16reverse_iteratorISI_EEEEENSH_IJSG_SG_SG_EEES9_SI_JZNS1_25segmented_radix_sort_implINS0_14default_configELb1EPKhPhPKlPlN2at6native12_GLOBAL__N_18offset_tEEE10hipError_tPvRmT1_PNSt15iterator_traitsIS12_E10value_typeET2_T3_PNS13_IS18_E10value_typeET4_jRbjT5_S1E_jjP12ihipStream_tbEUljE_ZNSN_ISO_Lb1ESQ_SR_ST_SU_SY_EESZ_S10_S11_S12_S16_S17_S18_S1B_S1C_jS1D_jS1E_S1E_jjS1G_bEUljE0_EEESZ_S10_S11_S18_S1C_S1E_T6_T7_T9_mT8_S1G_bDpT10_ENKUlT_T0_E_clISt17integral_constantIbLb0EES1T_IbLb1EEEEDaS1P_S1Q_EUlS1P_E_NS1_11comp_targetILNS1_3genE3ELNS1_11target_archE908ELNS1_3gpuE7ELNS1_3repE0EEENS1_30default_config_static_selectorELNS0_4arch9wavefront6targetE1EEEvS12_,comdat
	.globl	_ZN7rocprim17ROCPRIM_400000_NS6detail17trampoline_kernelINS0_13select_configILj256ELj13ELNS0_17block_load_methodE3ELS4_3ELS4_3ELNS0_20block_scan_algorithmE0ELj4294967295EEENS1_25partition_config_selectorILNS1_17partition_subalgoE4EjNS0_10empty_typeEbEEZZNS1_14partition_implILS8_4ELb0ES6_15HIP_vector_typeIjLj2EENS0_17counting_iteratorIjlEEPS9_SG_NS0_5tupleIJPjSI_NS0_16reverse_iteratorISI_EEEEENSH_IJSG_SG_SG_EEES9_SI_JZNS1_25segmented_radix_sort_implINS0_14default_configELb1EPKhPhPKlPlN2at6native12_GLOBAL__N_18offset_tEEE10hipError_tPvRmT1_PNSt15iterator_traitsIS12_E10value_typeET2_T3_PNS13_IS18_E10value_typeET4_jRbjT5_S1E_jjP12ihipStream_tbEUljE_ZNSN_ISO_Lb1ESQ_SR_ST_SU_SY_EESZ_S10_S11_S12_S16_S17_S18_S1B_S1C_jS1D_jS1E_S1E_jjS1G_bEUljE0_EEESZ_S10_S11_S18_S1C_S1E_T6_T7_T9_mT8_S1G_bDpT10_ENKUlT_T0_E_clISt17integral_constantIbLb0EES1T_IbLb1EEEEDaS1P_S1Q_EUlS1P_E_NS1_11comp_targetILNS1_3genE3ELNS1_11target_archE908ELNS1_3gpuE7ELNS1_3repE0EEENS1_30default_config_static_selectorELNS0_4arch9wavefront6targetE1EEEvS12_ ; -- Begin function _ZN7rocprim17ROCPRIM_400000_NS6detail17trampoline_kernelINS0_13select_configILj256ELj13ELNS0_17block_load_methodE3ELS4_3ELS4_3ELNS0_20block_scan_algorithmE0ELj4294967295EEENS1_25partition_config_selectorILNS1_17partition_subalgoE4EjNS0_10empty_typeEbEEZZNS1_14partition_implILS8_4ELb0ES6_15HIP_vector_typeIjLj2EENS0_17counting_iteratorIjlEEPS9_SG_NS0_5tupleIJPjSI_NS0_16reverse_iteratorISI_EEEEENSH_IJSG_SG_SG_EEES9_SI_JZNS1_25segmented_radix_sort_implINS0_14default_configELb1EPKhPhPKlPlN2at6native12_GLOBAL__N_18offset_tEEE10hipError_tPvRmT1_PNSt15iterator_traitsIS12_E10value_typeET2_T3_PNS13_IS18_E10value_typeET4_jRbjT5_S1E_jjP12ihipStream_tbEUljE_ZNSN_ISO_Lb1ESQ_SR_ST_SU_SY_EESZ_S10_S11_S12_S16_S17_S18_S1B_S1C_jS1D_jS1E_S1E_jjS1G_bEUljE0_EEESZ_S10_S11_S18_S1C_S1E_T6_T7_T9_mT8_S1G_bDpT10_ENKUlT_T0_E_clISt17integral_constantIbLb0EES1T_IbLb1EEEEDaS1P_S1Q_EUlS1P_E_NS1_11comp_targetILNS1_3genE3ELNS1_11target_archE908ELNS1_3gpuE7ELNS1_3repE0EEENS1_30default_config_static_selectorELNS0_4arch9wavefront6targetE1EEEvS12_
	.p2align	8
	.type	_ZN7rocprim17ROCPRIM_400000_NS6detail17trampoline_kernelINS0_13select_configILj256ELj13ELNS0_17block_load_methodE3ELS4_3ELS4_3ELNS0_20block_scan_algorithmE0ELj4294967295EEENS1_25partition_config_selectorILNS1_17partition_subalgoE4EjNS0_10empty_typeEbEEZZNS1_14partition_implILS8_4ELb0ES6_15HIP_vector_typeIjLj2EENS0_17counting_iteratorIjlEEPS9_SG_NS0_5tupleIJPjSI_NS0_16reverse_iteratorISI_EEEEENSH_IJSG_SG_SG_EEES9_SI_JZNS1_25segmented_radix_sort_implINS0_14default_configELb1EPKhPhPKlPlN2at6native12_GLOBAL__N_18offset_tEEE10hipError_tPvRmT1_PNSt15iterator_traitsIS12_E10value_typeET2_T3_PNS13_IS18_E10value_typeET4_jRbjT5_S1E_jjP12ihipStream_tbEUljE_ZNSN_ISO_Lb1ESQ_SR_ST_SU_SY_EESZ_S10_S11_S12_S16_S17_S18_S1B_S1C_jS1D_jS1E_S1E_jjS1G_bEUljE0_EEESZ_S10_S11_S18_S1C_S1E_T6_T7_T9_mT8_S1G_bDpT10_ENKUlT_T0_E_clISt17integral_constantIbLb0EES1T_IbLb1EEEEDaS1P_S1Q_EUlS1P_E_NS1_11comp_targetILNS1_3genE3ELNS1_11target_archE908ELNS1_3gpuE7ELNS1_3repE0EEENS1_30default_config_static_selectorELNS0_4arch9wavefront6targetE1EEEvS12_,@function
_ZN7rocprim17ROCPRIM_400000_NS6detail17trampoline_kernelINS0_13select_configILj256ELj13ELNS0_17block_load_methodE3ELS4_3ELS4_3ELNS0_20block_scan_algorithmE0ELj4294967295EEENS1_25partition_config_selectorILNS1_17partition_subalgoE4EjNS0_10empty_typeEbEEZZNS1_14partition_implILS8_4ELb0ES6_15HIP_vector_typeIjLj2EENS0_17counting_iteratorIjlEEPS9_SG_NS0_5tupleIJPjSI_NS0_16reverse_iteratorISI_EEEEENSH_IJSG_SG_SG_EEES9_SI_JZNS1_25segmented_radix_sort_implINS0_14default_configELb1EPKhPhPKlPlN2at6native12_GLOBAL__N_18offset_tEEE10hipError_tPvRmT1_PNSt15iterator_traitsIS12_E10value_typeET2_T3_PNS13_IS18_E10value_typeET4_jRbjT5_S1E_jjP12ihipStream_tbEUljE_ZNSN_ISO_Lb1ESQ_SR_ST_SU_SY_EESZ_S10_S11_S12_S16_S17_S18_S1B_S1C_jS1D_jS1E_S1E_jjS1G_bEUljE0_EEESZ_S10_S11_S18_S1C_S1E_T6_T7_T9_mT8_S1G_bDpT10_ENKUlT_T0_E_clISt17integral_constantIbLb0EES1T_IbLb1EEEEDaS1P_S1Q_EUlS1P_E_NS1_11comp_targetILNS1_3genE3ELNS1_11target_archE908ELNS1_3gpuE7ELNS1_3repE0EEENS1_30default_config_static_selectorELNS0_4arch9wavefront6targetE1EEEvS12_: ; @_ZN7rocprim17ROCPRIM_400000_NS6detail17trampoline_kernelINS0_13select_configILj256ELj13ELNS0_17block_load_methodE3ELS4_3ELS4_3ELNS0_20block_scan_algorithmE0ELj4294967295EEENS1_25partition_config_selectorILNS1_17partition_subalgoE4EjNS0_10empty_typeEbEEZZNS1_14partition_implILS8_4ELb0ES6_15HIP_vector_typeIjLj2EENS0_17counting_iteratorIjlEEPS9_SG_NS0_5tupleIJPjSI_NS0_16reverse_iteratorISI_EEEEENSH_IJSG_SG_SG_EEES9_SI_JZNS1_25segmented_radix_sort_implINS0_14default_configELb1EPKhPhPKlPlN2at6native12_GLOBAL__N_18offset_tEEE10hipError_tPvRmT1_PNSt15iterator_traitsIS12_E10value_typeET2_T3_PNS13_IS18_E10value_typeET4_jRbjT5_S1E_jjP12ihipStream_tbEUljE_ZNSN_ISO_Lb1ESQ_SR_ST_SU_SY_EESZ_S10_S11_S12_S16_S17_S18_S1B_S1C_jS1D_jS1E_S1E_jjS1G_bEUljE0_EEESZ_S10_S11_S18_S1C_S1E_T6_T7_T9_mT8_S1G_bDpT10_ENKUlT_T0_E_clISt17integral_constantIbLb0EES1T_IbLb1EEEEDaS1P_S1Q_EUlS1P_E_NS1_11comp_targetILNS1_3genE3ELNS1_11target_archE908ELNS1_3gpuE7ELNS1_3repE0EEENS1_30default_config_static_selectorELNS0_4arch9wavefront6targetE1EEEvS12_
; %bb.0:
	.section	.rodata,"a",@progbits
	.p2align	6, 0x0
	.amdhsa_kernel _ZN7rocprim17ROCPRIM_400000_NS6detail17trampoline_kernelINS0_13select_configILj256ELj13ELNS0_17block_load_methodE3ELS4_3ELS4_3ELNS0_20block_scan_algorithmE0ELj4294967295EEENS1_25partition_config_selectorILNS1_17partition_subalgoE4EjNS0_10empty_typeEbEEZZNS1_14partition_implILS8_4ELb0ES6_15HIP_vector_typeIjLj2EENS0_17counting_iteratorIjlEEPS9_SG_NS0_5tupleIJPjSI_NS0_16reverse_iteratorISI_EEEEENSH_IJSG_SG_SG_EEES9_SI_JZNS1_25segmented_radix_sort_implINS0_14default_configELb1EPKhPhPKlPlN2at6native12_GLOBAL__N_18offset_tEEE10hipError_tPvRmT1_PNSt15iterator_traitsIS12_E10value_typeET2_T3_PNS13_IS18_E10value_typeET4_jRbjT5_S1E_jjP12ihipStream_tbEUljE_ZNSN_ISO_Lb1ESQ_SR_ST_SU_SY_EESZ_S10_S11_S12_S16_S17_S18_S1B_S1C_jS1D_jS1E_S1E_jjS1G_bEUljE0_EEESZ_S10_S11_S18_S1C_S1E_T6_T7_T9_mT8_S1G_bDpT10_ENKUlT_T0_E_clISt17integral_constantIbLb0EES1T_IbLb1EEEEDaS1P_S1Q_EUlS1P_E_NS1_11comp_targetILNS1_3genE3ELNS1_11target_archE908ELNS1_3gpuE7ELNS1_3repE0EEENS1_30default_config_static_selectorELNS0_4arch9wavefront6targetE1EEEvS12_
		.amdhsa_group_segment_fixed_size 0
		.amdhsa_private_segment_fixed_size 0
		.amdhsa_kernarg_size 184
		.amdhsa_user_sgpr_count 6
		.amdhsa_user_sgpr_private_segment_buffer 1
		.amdhsa_user_sgpr_dispatch_ptr 0
		.amdhsa_user_sgpr_queue_ptr 0
		.amdhsa_user_sgpr_kernarg_segment_ptr 1
		.amdhsa_user_sgpr_dispatch_id 0
		.amdhsa_user_sgpr_flat_scratch_init 0
		.amdhsa_user_sgpr_kernarg_preload_length 0
		.amdhsa_user_sgpr_kernarg_preload_offset 0
		.amdhsa_user_sgpr_private_segment_size 0
		.amdhsa_uses_dynamic_stack 0
		.amdhsa_system_sgpr_private_segment_wavefront_offset 0
		.amdhsa_system_sgpr_workgroup_id_x 1
		.amdhsa_system_sgpr_workgroup_id_y 0
		.amdhsa_system_sgpr_workgroup_id_z 0
		.amdhsa_system_sgpr_workgroup_info 0
		.amdhsa_system_vgpr_workitem_id 0
		.amdhsa_next_free_vgpr 1
		.amdhsa_next_free_sgpr 0
		.amdhsa_accum_offset 4
		.amdhsa_reserve_vcc 0
		.amdhsa_reserve_flat_scratch 0
		.amdhsa_float_round_mode_32 0
		.amdhsa_float_round_mode_16_64 0
		.amdhsa_float_denorm_mode_32 3
		.amdhsa_float_denorm_mode_16_64 3
		.amdhsa_dx10_clamp 1
		.amdhsa_ieee_mode 1
		.amdhsa_fp16_overflow 0
		.amdhsa_tg_split 0
		.amdhsa_exception_fp_ieee_invalid_op 0
		.amdhsa_exception_fp_denorm_src 0
		.amdhsa_exception_fp_ieee_div_zero 0
		.amdhsa_exception_fp_ieee_overflow 0
		.amdhsa_exception_fp_ieee_underflow 0
		.amdhsa_exception_fp_ieee_inexact 0
		.amdhsa_exception_int_div_zero 0
	.end_amdhsa_kernel
	.section	.text._ZN7rocprim17ROCPRIM_400000_NS6detail17trampoline_kernelINS0_13select_configILj256ELj13ELNS0_17block_load_methodE3ELS4_3ELS4_3ELNS0_20block_scan_algorithmE0ELj4294967295EEENS1_25partition_config_selectorILNS1_17partition_subalgoE4EjNS0_10empty_typeEbEEZZNS1_14partition_implILS8_4ELb0ES6_15HIP_vector_typeIjLj2EENS0_17counting_iteratorIjlEEPS9_SG_NS0_5tupleIJPjSI_NS0_16reverse_iteratorISI_EEEEENSH_IJSG_SG_SG_EEES9_SI_JZNS1_25segmented_radix_sort_implINS0_14default_configELb1EPKhPhPKlPlN2at6native12_GLOBAL__N_18offset_tEEE10hipError_tPvRmT1_PNSt15iterator_traitsIS12_E10value_typeET2_T3_PNS13_IS18_E10value_typeET4_jRbjT5_S1E_jjP12ihipStream_tbEUljE_ZNSN_ISO_Lb1ESQ_SR_ST_SU_SY_EESZ_S10_S11_S12_S16_S17_S18_S1B_S1C_jS1D_jS1E_S1E_jjS1G_bEUljE0_EEESZ_S10_S11_S18_S1C_S1E_T6_T7_T9_mT8_S1G_bDpT10_ENKUlT_T0_E_clISt17integral_constantIbLb0EES1T_IbLb1EEEEDaS1P_S1Q_EUlS1P_E_NS1_11comp_targetILNS1_3genE3ELNS1_11target_archE908ELNS1_3gpuE7ELNS1_3repE0EEENS1_30default_config_static_selectorELNS0_4arch9wavefront6targetE1EEEvS12_,"axG",@progbits,_ZN7rocprim17ROCPRIM_400000_NS6detail17trampoline_kernelINS0_13select_configILj256ELj13ELNS0_17block_load_methodE3ELS4_3ELS4_3ELNS0_20block_scan_algorithmE0ELj4294967295EEENS1_25partition_config_selectorILNS1_17partition_subalgoE4EjNS0_10empty_typeEbEEZZNS1_14partition_implILS8_4ELb0ES6_15HIP_vector_typeIjLj2EENS0_17counting_iteratorIjlEEPS9_SG_NS0_5tupleIJPjSI_NS0_16reverse_iteratorISI_EEEEENSH_IJSG_SG_SG_EEES9_SI_JZNS1_25segmented_radix_sort_implINS0_14default_configELb1EPKhPhPKlPlN2at6native12_GLOBAL__N_18offset_tEEE10hipError_tPvRmT1_PNSt15iterator_traitsIS12_E10value_typeET2_T3_PNS13_IS18_E10value_typeET4_jRbjT5_S1E_jjP12ihipStream_tbEUljE_ZNSN_ISO_Lb1ESQ_SR_ST_SU_SY_EESZ_S10_S11_S12_S16_S17_S18_S1B_S1C_jS1D_jS1E_S1E_jjS1G_bEUljE0_EEESZ_S10_S11_S18_S1C_S1E_T6_T7_T9_mT8_S1G_bDpT10_ENKUlT_T0_E_clISt17integral_constantIbLb0EES1T_IbLb1EEEEDaS1P_S1Q_EUlS1P_E_NS1_11comp_targetILNS1_3genE3ELNS1_11target_archE908ELNS1_3gpuE7ELNS1_3repE0EEENS1_30default_config_static_selectorELNS0_4arch9wavefront6targetE1EEEvS12_,comdat
.Lfunc_end42:
	.size	_ZN7rocprim17ROCPRIM_400000_NS6detail17trampoline_kernelINS0_13select_configILj256ELj13ELNS0_17block_load_methodE3ELS4_3ELS4_3ELNS0_20block_scan_algorithmE0ELj4294967295EEENS1_25partition_config_selectorILNS1_17partition_subalgoE4EjNS0_10empty_typeEbEEZZNS1_14partition_implILS8_4ELb0ES6_15HIP_vector_typeIjLj2EENS0_17counting_iteratorIjlEEPS9_SG_NS0_5tupleIJPjSI_NS0_16reverse_iteratorISI_EEEEENSH_IJSG_SG_SG_EEES9_SI_JZNS1_25segmented_radix_sort_implINS0_14default_configELb1EPKhPhPKlPlN2at6native12_GLOBAL__N_18offset_tEEE10hipError_tPvRmT1_PNSt15iterator_traitsIS12_E10value_typeET2_T3_PNS13_IS18_E10value_typeET4_jRbjT5_S1E_jjP12ihipStream_tbEUljE_ZNSN_ISO_Lb1ESQ_SR_ST_SU_SY_EESZ_S10_S11_S12_S16_S17_S18_S1B_S1C_jS1D_jS1E_S1E_jjS1G_bEUljE0_EEESZ_S10_S11_S18_S1C_S1E_T6_T7_T9_mT8_S1G_bDpT10_ENKUlT_T0_E_clISt17integral_constantIbLb0EES1T_IbLb1EEEEDaS1P_S1Q_EUlS1P_E_NS1_11comp_targetILNS1_3genE3ELNS1_11target_archE908ELNS1_3gpuE7ELNS1_3repE0EEENS1_30default_config_static_selectorELNS0_4arch9wavefront6targetE1EEEvS12_, .Lfunc_end42-_ZN7rocprim17ROCPRIM_400000_NS6detail17trampoline_kernelINS0_13select_configILj256ELj13ELNS0_17block_load_methodE3ELS4_3ELS4_3ELNS0_20block_scan_algorithmE0ELj4294967295EEENS1_25partition_config_selectorILNS1_17partition_subalgoE4EjNS0_10empty_typeEbEEZZNS1_14partition_implILS8_4ELb0ES6_15HIP_vector_typeIjLj2EENS0_17counting_iteratorIjlEEPS9_SG_NS0_5tupleIJPjSI_NS0_16reverse_iteratorISI_EEEEENSH_IJSG_SG_SG_EEES9_SI_JZNS1_25segmented_radix_sort_implINS0_14default_configELb1EPKhPhPKlPlN2at6native12_GLOBAL__N_18offset_tEEE10hipError_tPvRmT1_PNSt15iterator_traitsIS12_E10value_typeET2_T3_PNS13_IS18_E10value_typeET4_jRbjT5_S1E_jjP12ihipStream_tbEUljE_ZNSN_ISO_Lb1ESQ_SR_ST_SU_SY_EESZ_S10_S11_S12_S16_S17_S18_S1B_S1C_jS1D_jS1E_S1E_jjS1G_bEUljE0_EEESZ_S10_S11_S18_S1C_S1E_T6_T7_T9_mT8_S1G_bDpT10_ENKUlT_T0_E_clISt17integral_constantIbLb0EES1T_IbLb1EEEEDaS1P_S1Q_EUlS1P_E_NS1_11comp_targetILNS1_3genE3ELNS1_11target_archE908ELNS1_3gpuE7ELNS1_3repE0EEENS1_30default_config_static_selectorELNS0_4arch9wavefront6targetE1EEEvS12_
                                        ; -- End function
	.section	.AMDGPU.csdata,"",@progbits
; Kernel info:
; codeLenInByte = 0
; NumSgprs: 4
; NumVgprs: 0
; NumAgprs: 0
; TotalNumVgprs: 0
; ScratchSize: 0
; MemoryBound: 0
; FloatMode: 240
; IeeeMode: 1
; LDSByteSize: 0 bytes/workgroup (compile time only)
; SGPRBlocks: 0
; VGPRBlocks: 0
; NumSGPRsForWavesPerEU: 4
; NumVGPRsForWavesPerEU: 1
; AccumOffset: 4
; Occupancy: 8
; WaveLimiterHint : 0
; COMPUTE_PGM_RSRC2:SCRATCH_EN: 0
; COMPUTE_PGM_RSRC2:USER_SGPR: 6
; COMPUTE_PGM_RSRC2:TRAP_HANDLER: 0
; COMPUTE_PGM_RSRC2:TGID_X_EN: 1
; COMPUTE_PGM_RSRC2:TGID_Y_EN: 0
; COMPUTE_PGM_RSRC2:TGID_Z_EN: 0
; COMPUTE_PGM_RSRC2:TIDIG_COMP_CNT: 0
; COMPUTE_PGM_RSRC3_GFX90A:ACCUM_OFFSET: 0
; COMPUTE_PGM_RSRC3_GFX90A:TG_SPLIT: 0
	.section	.text._ZN7rocprim17ROCPRIM_400000_NS6detail17trampoline_kernelINS0_13select_configILj256ELj13ELNS0_17block_load_methodE3ELS4_3ELS4_3ELNS0_20block_scan_algorithmE0ELj4294967295EEENS1_25partition_config_selectorILNS1_17partition_subalgoE4EjNS0_10empty_typeEbEEZZNS1_14partition_implILS8_4ELb0ES6_15HIP_vector_typeIjLj2EENS0_17counting_iteratorIjlEEPS9_SG_NS0_5tupleIJPjSI_NS0_16reverse_iteratorISI_EEEEENSH_IJSG_SG_SG_EEES9_SI_JZNS1_25segmented_radix_sort_implINS0_14default_configELb1EPKhPhPKlPlN2at6native12_GLOBAL__N_18offset_tEEE10hipError_tPvRmT1_PNSt15iterator_traitsIS12_E10value_typeET2_T3_PNS13_IS18_E10value_typeET4_jRbjT5_S1E_jjP12ihipStream_tbEUljE_ZNSN_ISO_Lb1ESQ_SR_ST_SU_SY_EESZ_S10_S11_S12_S16_S17_S18_S1B_S1C_jS1D_jS1E_S1E_jjS1G_bEUljE0_EEESZ_S10_S11_S18_S1C_S1E_T6_T7_T9_mT8_S1G_bDpT10_ENKUlT_T0_E_clISt17integral_constantIbLb0EES1T_IbLb1EEEEDaS1P_S1Q_EUlS1P_E_NS1_11comp_targetILNS1_3genE2ELNS1_11target_archE906ELNS1_3gpuE6ELNS1_3repE0EEENS1_30default_config_static_selectorELNS0_4arch9wavefront6targetE1EEEvS12_,"axG",@progbits,_ZN7rocprim17ROCPRIM_400000_NS6detail17trampoline_kernelINS0_13select_configILj256ELj13ELNS0_17block_load_methodE3ELS4_3ELS4_3ELNS0_20block_scan_algorithmE0ELj4294967295EEENS1_25partition_config_selectorILNS1_17partition_subalgoE4EjNS0_10empty_typeEbEEZZNS1_14partition_implILS8_4ELb0ES6_15HIP_vector_typeIjLj2EENS0_17counting_iteratorIjlEEPS9_SG_NS0_5tupleIJPjSI_NS0_16reverse_iteratorISI_EEEEENSH_IJSG_SG_SG_EEES9_SI_JZNS1_25segmented_radix_sort_implINS0_14default_configELb1EPKhPhPKlPlN2at6native12_GLOBAL__N_18offset_tEEE10hipError_tPvRmT1_PNSt15iterator_traitsIS12_E10value_typeET2_T3_PNS13_IS18_E10value_typeET4_jRbjT5_S1E_jjP12ihipStream_tbEUljE_ZNSN_ISO_Lb1ESQ_SR_ST_SU_SY_EESZ_S10_S11_S12_S16_S17_S18_S1B_S1C_jS1D_jS1E_S1E_jjS1G_bEUljE0_EEESZ_S10_S11_S18_S1C_S1E_T6_T7_T9_mT8_S1G_bDpT10_ENKUlT_T0_E_clISt17integral_constantIbLb0EES1T_IbLb1EEEEDaS1P_S1Q_EUlS1P_E_NS1_11comp_targetILNS1_3genE2ELNS1_11target_archE906ELNS1_3gpuE6ELNS1_3repE0EEENS1_30default_config_static_selectorELNS0_4arch9wavefront6targetE1EEEvS12_,comdat
	.globl	_ZN7rocprim17ROCPRIM_400000_NS6detail17trampoline_kernelINS0_13select_configILj256ELj13ELNS0_17block_load_methodE3ELS4_3ELS4_3ELNS0_20block_scan_algorithmE0ELj4294967295EEENS1_25partition_config_selectorILNS1_17partition_subalgoE4EjNS0_10empty_typeEbEEZZNS1_14partition_implILS8_4ELb0ES6_15HIP_vector_typeIjLj2EENS0_17counting_iteratorIjlEEPS9_SG_NS0_5tupleIJPjSI_NS0_16reverse_iteratorISI_EEEEENSH_IJSG_SG_SG_EEES9_SI_JZNS1_25segmented_radix_sort_implINS0_14default_configELb1EPKhPhPKlPlN2at6native12_GLOBAL__N_18offset_tEEE10hipError_tPvRmT1_PNSt15iterator_traitsIS12_E10value_typeET2_T3_PNS13_IS18_E10value_typeET4_jRbjT5_S1E_jjP12ihipStream_tbEUljE_ZNSN_ISO_Lb1ESQ_SR_ST_SU_SY_EESZ_S10_S11_S12_S16_S17_S18_S1B_S1C_jS1D_jS1E_S1E_jjS1G_bEUljE0_EEESZ_S10_S11_S18_S1C_S1E_T6_T7_T9_mT8_S1G_bDpT10_ENKUlT_T0_E_clISt17integral_constantIbLb0EES1T_IbLb1EEEEDaS1P_S1Q_EUlS1P_E_NS1_11comp_targetILNS1_3genE2ELNS1_11target_archE906ELNS1_3gpuE6ELNS1_3repE0EEENS1_30default_config_static_selectorELNS0_4arch9wavefront6targetE1EEEvS12_ ; -- Begin function _ZN7rocprim17ROCPRIM_400000_NS6detail17trampoline_kernelINS0_13select_configILj256ELj13ELNS0_17block_load_methodE3ELS4_3ELS4_3ELNS0_20block_scan_algorithmE0ELj4294967295EEENS1_25partition_config_selectorILNS1_17partition_subalgoE4EjNS0_10empty_typeEbEEZZNS1_14partition_implILS8_4ELb0ES6_15HIP_vector_typeIjLj2EENS0_17counting_iteratorIjlEEPS9_SG_NS0_5tupleIJPjSI_NS0_16reverse_iteratorISI_EEEEENSH_IJSG_SG_SG_EEES9_SI_JZNS1_25segmented_radix_sort_implINS0_14default_configELb1EPKhPhPKlPlN2at6native12_GLOBAL__N_18offset_tEEE10hipError_tPvRmT1_PNSt15iterator_traitsIS12_E10value_typeET2_T3_PNS13_IS18_E10value_typeET4_jRbjT5_S1E_jjP12ihipStream_tbEUljE_ZNSN_ISO_Lb1ESQ_SR_ST_SU_SY_EESZ_S10_S11_S12_S16_S17_S18_S1B_S1C_jS1D_jS1E_S1E_jjS1G_bEUljE0_EEESZ_S10_S11_S18_S1C_S1E_T6_T7_T9_mT8_S1G_bDpT10_ENKUlT_T0_E_clISt17integral_constantIbLb0EES1T_IbLb1EEEEDaS1P_S1Q_EUlS1P_E_NS1_11comp_targetILNS1_3genE2ELNS1_11target_archE906ELNS1_3gpuE6ELNS1_3repE0EEENS1_30default_config_static_selectorELNS0_4arch9wavefront6targetE1EEEvS12_
	.p2align	8
	.type	_ZN7rocprim17ROCPRIM_400000_NS6detail17trampoline_kernelINS0_13select_configILj256ELj13ELNS0_17block_load_methodE3ELS4_3ELS4_3ELNS0_20block_scan_algorithmE0ELj4294967295EEENS1_25partition_config_selectorILNS1_17partition_subalgoE4EjNS0_10empty_typeEbEEZZNS1_14partition_implILS8_4ELb0ES6_15HIP_vector_typeIjLj2EENS0_17counting_iteratorIjlEEPS9_SG_NS0_5tupleIJPjSI_NS0_16reverse_iteratorISI_EEEEENSH_IJSG_SG_SG_EEES9_SI_JZNS1_25segmented_radix_sort_implINS0_14default_configELb1EPKhPhPKlPlN2at6native12_GLOBAL__N_18offset_tEEE10hipError_tPvRmT1_PNSt15iterator_traitsIS12_E10value_typeET2_T3_PNS13_IS18_E10value_typeET4_jRbjT5_S1E_jjP12ihipStream_tbEUljE_ZNSN_ISO_Lb1ESQ_SR_ST_SU_SY_EESZ_S10_S11_S12_S16_S17_S18_S1B_S1C_jS1D_jS1E_S1E_jjS1G_bEUljE0_EEESZ_S10_S11_S18_S1C_S1E_T6_T7_T9_mT8_S1G_bDpT10_ENKUlT_T0_E_clISt17integral_constantIbLb0EES1T_IbLb1EEEEDaS1P_S1Q_EUlS1P_E_NS1_11comp_targetILNS1_3genE2ELNS1_11target_archE906ELNS1_3gpuE6ELNS1_3repE0EEENS1_30default_config_static_selectorELNS0_4arch9wavefront6targetE1EEEvS12_,@function
_ZN7rocprim17ROCPRIM_400000_NS6detail17trampoline_kernelINS0_13select_configILj256ELj13ELNS0_17block_load_methodE3ELS4_3ELS4_3ELNS0_20block_scan_algorithmE0ELj4294967295EEENS1_25partition_config_selectorILNS1_17partition_subalgoE4EjNS0_10empty_typeEbEEZZNS1_14partition_implILS8_4ELb0ES6_15HIP_vector_typeIjLj2EENS0_17counting_iteratorIjlEEPS9_SG_NS0_5tupleIJPjSI_NS0_16reverse_iteratorISI_EEEEENSH_IJSG_SG_SG_EEES9_SI_JZNS1_25segmented_radix_sort_implINS0_14default_configELb1EPKhPhPKlPlN2at6native12_GLOBAL__N_18offset_tEEE10hipError_tPvRmT1_PNSt15iterator_traitsIS12_E10value_typeET2_T3_PNS13_IS18_E10value_typeET4_jRbjT5_S1E_jjP12ihipStream_tbEUljE_ZNSN_ISO_Lb1ESQ_SR_ST_SU_SY_EESZ_S10_S11_S12_S16_S17_S18_S1B_S1C_jS1D_jS1E_S1E_jjS1G_bEUljE0_EEESZ_S10_S11_S18_S1C_S1E_T6_T7_T9_mT8_S1G_bDpT10_ENKUlT_T0_E_clISt17integral_constantIbLb0EES1T_IbLb1EEEEDaS1P_S1Q_EUlS1P_E_NS1_11comp_targetILNS1_3genE2ELNS1_11target_archE906ELNS1_3gpuE6ELNS1_3repE0EEENS1_30default_config_static_selectorELNS0_4arch9wavefront6targetE1EEEvS12_: ; @_ZN7rocprim17ROCPRIM_400000_NS6detail17trampoline_kernelINS0_13select_configILj256ELj13ELNS0_17block_load_methodE3ELS4_3ELS4_3ELNS0_20block_scan_algorithmE0ELj4294967295EEENS1_25partition_config_selectorILNS1_17partition_subalgoE4EjNS0_10empty_typeEbEEZZNS1_14partition_implILS8_4ELb0ES6_15HIP_vector_typeIjLj2EENS0_17counting_iteratorIjlEEPS9_SG_NS0_5tupleIJPjSI_NS0_16reverse_iteratorISI_EEEEENSH_IJSG_SG_SG_EEES9_SI_JZNS1_25segmented_radix_sort_implINS0_14default_configELb1EPKhPhPKlPlN2at6native12_GLOBAL__N_18offset_tEEE10hipError_tPvRmT1_PNSt15iterator_traitsIS12_E10value_typeET2_T3_PNS13_IS18_E10value_typeET4_jRbjT5_S1E_jjP12ihipStream_tbEUljE_ZNSN_ISO_Lb1ESQ_SR_ST_SU_SY_EESZ_S10_S11_S12_S16_S17_S18_S1B_S1C_jS1D_jS1E_S1E_jjS1G_bEUljE0_EEESZ_S10_S11_S18_S1C_S1E_T6_T7_T9_mT8_S1G_bDpT10_ENKUlT_T0_E_clISt17integral_constantIbLb0EES1T_IbLb1EEEEDaS1P_S1Q_EUlS1P_E_NS1_11comp_targetILNS1_3genE2ELNS1_11target_archE906ELNS1_3gpuE6ELNS1_3repE0EEENS1_30default_config_static_selectorELNS0_4arch9wavefront6targetE1EEEvS12_
; %bb.0:
	.section	.rodata,"a",@progbits
	.p2align	6, 0x0
	.amdhsa_kernel _ZN7rocprim17ROCPRIM_400000_NS6detail17trampoline_kernelINS0_13select_configILj256ELj13ELNS0_17block_load_methodE3ELS4_3ELS4_3ELNS0_20block_scan_algorithmE0ELj4294967295EEENS1_25partition_config_selectorILNS1_17partition_subalgoE4EjNS0_10empty_typeEbEEZZNS1_14partition_implILS8_4ELb0ES6_15HIP_vector_typeIjLj2EENS0_17counting_iteratorIjlEEPS9_SG_NS0_5tupleIJPjSI_NS0_16reverse_iteratorISI_EEEEENSH_IJSG_SG_SG_EEES9_SI_JZNS1_25segmented_radix_sort_implINS0_14default_configELb1EPKhPhPKlPlN2at6native12_GLOBAL__N_18offset_tEEE10hipError_tPvRmT1_PNSt15iterator_traitsIS12_E10value_typeET2_T3_PNS13_IS18_E10value_typeET4_jRbjT5_S1E_jjP12ihipStream_tbEUljE_ZNSN_ISO_Lb1ESQ_SR_ST_SU_SY_EESZ_S10_S11_S12_S16_S17_S18_S1B_S1C_jS1D_jS1E_S1E_jjS1G_bEUljE0_EEESZ_S10_S11_S18_S1C_S1E_T6_T7_T9_mT8_S1G_bDpT10_ENKUlT_T0_E_clISt17integral_constantIbLb0EES1T_IbLb1EEEEDaS1P_S1Q_EUlS1P_E_NS1_11comp_targetILNS1_3genE2ELNS1_11target_archE906ELNS1_3gpuE6ELNS1_3repE0EEENS1_30default_config_static_selectorELNS0_4arch9wavefront6targetE1EEEvS12_
		.amdhsa_group_segment_fixed_size 0
		.amdhsa_private_segment_fixed_size 0
		.amdhsa_kernarg_size 184
		.amdhsa_user_sgpr_count 6
		.amdhsa_user_sgpr_private_segment_buffer 1
		.amdhsa_user_sgpr_dispatch_ptr 0
		.amdhsa_user_sgpr_queue_ptr 0
		.amdhsa_user_sgpr_kernarg_segment_ptr 1
		.amdhsa_user_sgpr_dispatch_id 0
		.amdhsa_user_sgpr_flat_scratch_init 0
		.amdhsa_user_sgpr_kernarg_preload_length 0
		.amdhsa_user_sgpr_kernarg_preload_offset 0
		.amdhsa_user_sgpr_private_segment_size 0
		.amdhsa_uses_dynamic_stack 0
		.amdhsa_system_sgpr_private_segment_wavefront_offset 0
		.amdhsa_system_sgpr_workgroup_id_x 1
		.amdhsa_system_sgpr_workgroup_id_y 0
		.amdhsa_system_sgpr_workgroup_id_z 0
		.amdhsa_system_sgpr_workgroup_info 0
		.amdhsa_system_vgpr_workitem_id 0
		.amdhsa_next_free_vgpr 1
		.amdhsa_next_free_sgpr 0
		.amdhsa_accum_offset 4
		.amdhsa_reserve_vcc 0
		.amdhsa_reserve_flat_scratch 0
		.amdhsa_float_round_mode_32 0
		.amdhsa_float_round_mode_16_64 0
		.amdhsa_float_denorm_mode_32 3
		.amdhsa_float_denorm_mode_16_64 3
		.amdhsa_dx10_clamp 1
		.amdhsa_ieee_mode 1
		.amdhsa_fp16_overflow 0
		.amdhsa_tg_split 0
		.amdhsa_exception_fp_ieee_invalid_op 0
		.amdhsa_exception_fp_denorm_src 0
		.amdhsa_exception_fp_ieee_div_zero 0
		.amdhsa_exception_fp_ieee_overflow 0
		.amdhsa_exception_fp_ieee_underflow 0
		.amdhsa_exception_fp_ieee_inexact 0
		.amdhsa_exception_int_div_zero 0
	.end_amdhsa_kernel
	.section	.text._ZN7rocprim17ROCPRIM_400000_NS6detail17trampoline_kernelINS0_13select_configILj256ELj13ELNS0_17block_load_methodE3ELS4_3ELS4_3ELNS0_20block_scan_algorithmE0ELj4294967295EEENS1_25partition_config_selectorILNS1_17partition_subalgoE4EjNS0_10empty_typeEbEEZZNS1_14partition_implILS8_4ELb0ES6_15HIP_vector_typeIjLj2EENS0_17counting_iteratorIjlEEPS9_SG_NS0_5tupleIJPjSI_NS0_16reverse_iteratorISI_EEEEENSH_IJSG_SG_SG_EEES9_SI_JZNS1_25segmented_radix_sort_implINS0_14default_configELb1EPKhPhPKlPlN2at6native12_GLOBAL__N_18offset_tEEE10hipError_tPvRmT1_PNSt15iterator_traitsIS12_E10value_typeET2_T3_PNS13_IS18_E10value_typeET4_jRbjT5_S1E_jjP12ihipStream_tbEUljE_ZNSN_ISO_Lb1ESQ_SR_ST_SU_SY_EESZ_S10_S11_S12_S16_S17_S18_S1B_S1C_jS1D_jS1E_S1E_jjS1G_bEUljE0_EEESZ_S10_S11_S18_S1C_S1E_T6_T7_T9_mT8_S1G_bDpT10_ENKUlT_T0_E_clISt17integral_constantIbLb0EES1T_IbLb1EEEEDaS1P_S1Q_EUlS1P_E_NS1_11comp_targetILNS1_3genE2ELNS1_11target_archE906ELNS1_3gpuE6ELNS1_3repE0EEENS1_30default_config_static_selectorELNS0_4arch9wavefront6targetE1EEEvS12_,"axG",@progbits,_ZN7rocprim17ROCPRIM_400000_NS6detail17trampoline_kernelINS0_13select_configILj256ELj13ELNS0_17block_load_methodE3ELS4_3ELS4_3ELNS0_20block_scan_algorithmE0ELj4294967295EEENS1_25partition_config_selectorILNS1_17partition_subalgoE4EjNS0_10empty_typeEbEEZZNS1_14partition_implILS8_4ELb0ES6_15HIP_vector_typeIjLj2EENS0_17counting_iteratorIjlEEPS9_SG_NS0_5tupleIJPjSI_NS0_16reverse_iteratorISI_EEEEENSH_IJSG_SG_SG_EEES9_SI_JZNS1_25segmented_radix_sort_implINS0_14default_configELb1EPKhPhPKlPlN2at6native12_GLOBAL__N_18offset_tEEE10hipError_tPvRmT1_PNSt15iterator_traitsIS12_E10value_typeET2_T3_PNS13_IS18_E10value_typeET4_jRbjT5_S1E_jjP12ihipStream_tbEUljE_ZNSN_ISO_Lb1ESQ_SR_ST_SU_SY_EESZ_S10_S11_S12_S16_S17_S18_S1B_S1C_jS1D_jS1E_S1E_jjS1G_bEUljE0_EEESZ_S10_S11_S18_S1C_S1E_T6_T7_T9_mT8_S1G_bDpT10_ENKUlT_T0_E_clISt17integral_constantIbLb0EES1T_IbLb1EEEEDaS1P_S1Q_EUlS1P_E_NS1_11comp_targetILNS1_3genE2ELNS1_11target_archE906ELNS1_3gpuE6ELNS1_3repE0EEENS1_30default_config_static_selectorELNS0_4arch9wavefront6targetE1EEEvS12_,comdat
.Lfunc_end43:
	.size	_ZN7rocprim17ROCPRIM_400000_NS6detail17trampoline_kernelINS0_13select_configILj256ELj13ELNS0_17block_load_methodE3ELS4_3ELS4_3ELNS0_20block_scan_algorithmE0ELj4294967295EEENS1_25partition_config_selectorILNS1_17partition_subalgoE4EjNS0_10empty_typeEbEEZZNS1_14partition_implILS8_4ELb0ES6_15HIP_vector_typeIjLj2EENS0_17counting_iteratorIjlEEPS9_SG_NS0_5tupleIJPjSI_NS0_16reverse_iteratorISI_EEEEENSH_IJSG_SG_SG_EEES9_SI_JZNS1_25segmented_radix_sort_implINS0_14default_configELb1EPKhPhPKlPlN2at6native12_GLOBAL__N_18offset_tEEE10hipError_tPvRmT1_PNSt15iterator_traitsIS12_E10value_typeET2_T3_PNS13_IS18_E10value_typeET4_jRbjT5_S1E_jjP12ihipStream_tbEUljE_ZNSN_ISO_Lb1ESQ_SR_ST_SU_SY_EESZ_S10_S11_S12_S16_S17_S18_S1B_S1C_jS1D_jS1E_S1E_jjS1G_bEUljE0_EEESZ_S10_S11_S18_S1C_S1E_T6_T7_T9_mT8_S1G_bDpT10_ENKUlT_T0_E_clISt17integral_constantIbLb0EES1T_IbLb1EEEEDaS1P_S1Q_EUlS1P_E_NS1_11comp_targetILNS1_3genE2ELNS1_11target_archE906ELNS1_3gpuE6ELNS1_3repE0EEENS1_30default_config_static_selectorELNS0_4arch9wavefront6targetE1EEEvS12_, .Lfunc_end43-_ZN7rocprim17ROCPRIM_400000_NS6detail17trampoline_kernelINS0_13select_configILj256ELj13ELNS0_17block_load_methodE3ELS4_3ELS4_3ELNS0_20block_scan_algorithmE0ELj4294967295EEENS1_25partition_config_selectorILNS1_17partition_subalgoE4EjNS0_10empty_typeEbEEZZNS1_14partition_implILS8_4ELb0ES6_15HIP_vector_typeIjLj2EENS0_17counting_iteratorIjlEEPS9_SG_NS0_5tupleIJPjSI_NS0_16reverse_iteratorISI_EEEEENSH_IJSG_SG_SG_EEES9_SI_JZNS1_25segmented_radix_sort_implINS0_14default_configELb1EPKhPhPKlPlN2at6native12_GLOBAL__N_18offset_tEEE10hipError_tPvRmT1_PNSt15iterator_traitsIS12_E10value_typeET2_T3_PNS13_IS18_E10value_typeET4_jRbjT5_S1E_jjP12ihipStream_tbEUljE_ZNSN_ISO_Lb1ESQ_SR_ST_SU_SY_EESZ_S10_S11_S12_S16_S17_S18_S1B_S1C_jS1D_jS1E_S1E_jjS1G_bEUljE0_EEESZ_S10_S11_S18_S1C_S1E_T6_T7_T9_mT8_S1G_bDpT10_ENKUlT_T0_E_clISt17integral_constantIbLb0EES1T_IbLb1EEEEDaS1P_S1Q_EUlS1P_E_NS1_11comp_targetILNS1_3genE2ELNS1_11target_archE906ELNS1_3gpuE6ELNS1_3repE0EEENS1_30default_config_static_selectorELNS0_4arch9wavefront6targetE1EEEvS12_
                                        ; -- End function
	.section	.AMDGPU.csdata,"",@progbits
; Kernel info:
; codeLenInByte = 0
; NumSgprs: 4
; NumVgprs: 0
; NumAgprs: 0
; TotalNumVgprs: 0
; ScratchSize: 0
; MemoryBound: 0
; FloatMode: 240
; IeeeMode: 1
; LDSByteSize: 0 bytes/workgroup (compile time only)
; SGPRBlocks: 0
; VGPRBlocks: 0
; NumSGPRsForWavesPerEU: 4
; NumVGPRsForWavesPerEU: 1
; AccumOffset: 4
; Occupancy: 8
; WaveLimiterHint : 0
; COMPUTE_PGM_RSRC2:SCRATCH_EN: 0
; COMPUTE_PGM_RSRC2:USER_SGPR: 6
; COMPUTE_PGM_RSRC2:TRAP_HANDLER: 0
; COMPUTE_PGM_RSRC2:TGID_X_EN: 1
; COMPUTE_PGM_RSRC2:TGID_Y_EN: 0
; COMPUTE_PGM_RSRC2:TGID_Z_EN: 0
; COMPUTE_PGM_RSRC2:TIDIG_COMP_CNT: 0
; COMPUTE_PGM_RSRC3_GFX90A:ACCUM_OFFSET: 0
; COMPUTE_PGM_RSRC3_GFX90A:TG_SPLIT: 0
	.section	.text._ZN7rocprim17ROCPRIM_400000_NS6detail17trampoline_kernelINS0_13select_configILj256ELj13ELNS0_17block_load_methodE3ELS4_3ELS4_3ELNS0_20block_scan_algorithmE0ELj4294967295EEENS1_25partition_config_selectorILNS1_17partition_subalgoE4EjNS0_10empty_typeEbEEZZNS1_14partition_implILS8_4ELb0ES6_15HIP_vector_typeIjLj2EENS0_17counting_iteratorIjlEEPS9_SG_NS0_5tupleIJPjSI_NS0_16reverse_iteratorISI_EEEEENSH_IJSG_SG_SG_EEES9_SI_JZNS1_25segmented_radix_sort_implINS0_14default_configELb1EPKhPhPKlPlN2at6native12_GLOBAL__N_18offset_tEEE10hipError_tPvRmT1_PNSt15iterator_traitsIS12_E10value_typeET2_T3_PNS13_IS18_E10value_typeET4_jRbjT5_S1E_jjP12ihipStream_tbEUljE_ZNSN_ISO_Lb1ESQ_SR_ST_SU_SY_EESZ_S10_S11_S12_S16_S17_S18_S1B_S1C_jS1D_jS1E_S1E_jjS1G_bEUljE0_EEESZ_S10_S11_S18_S1C_S1E_T6_T7_T9_mT8_S1G_bDpT10_ENKUlT_T0_E_clISt17integral_constantIbLb0EES1T_IbLb1EEEEDaS1P_S1Q_EUlS1P_E_NS1_11comp_targetILNS1_3genE10ELNS1_11target_archE1200ELNS1_3gpuE4ELNS1_3repE0EEENS1_30default_config_static_selectorELNS0_4arch9wavefront6targetE1EEEvS12_,"axG",@progbits,_ZN7rocprim17ROCPRIM_400000_NS6detail17trampoline_kernelINS0_13select_configILj256ELj13ELNS0_17block_load_methodE3ELS4_3ELS4_3ELNS0_20block_scan_algorithmE0ELj4294967295EEENS1_25partition_config_selectorILNS1_17partition_subalgoE4EjNS0_10empty_typeEbEEZZNS1_14partition_implILS8_4ELb0ES6_15HIP_vector_typeIjLj2EENS0_17counting_iteratorIjlEEPS9_SG_NS0_5tupleIJPjSI_NS0_16reverse_iteratorISI_EEEEENSH_IJSG_SG_SG_EEES9_SI_JZNS1_25segmented_radix_sort_implINS0_14default_configELb1EPKhPhPKlPlN2at6native12_GLOBAL__N_18offset_tEEE10hipError_tPvRmT1_PNSt15iterator_traitsIS12_E10value_typeET2_T3_PNS13_IS18_E10value_typeET4_jRbjT5_S1E_jjP12ihipStream_tbEUljE_ZNSN_ISO_Lb1ESQ_SR_ST_SU_SY_EESZ_S10_S11_S12_S16_S17_S18_S1B_S1C_jS1D_jS1E_S1E_jjS1G_bEUljE0_EEESZ_S10_S11_S18_S1C_S1E_T6_T7_T9_mT8_S1G_bDpT10_ENKUlT_T0_E_clISt17integral_constantIbLb0EES1T_IbLb1EEEEDaS1P_S1Q_EUlS1P_E_NS1_11comp_targetILNS1_3genE10ELNS1_11target_archE1200ELNS1_3gpuE4ELNS1_3repE0EEENS1_30default_config_static_selectorELNS0_4arch9wavefront6targetE1EEEvS12_,comdat
	.globl	_ZN7rocprim17ROCPRIM_400000_NS6detail17trampoline_kernelINS0_13select_configILj256ELj13ELNS0_17block_load_methodE3ELS4_3ELS4_3ELNS0_20block_scan_algorithmE0ELj4294967295EEENS1_25partition_config_selectorILNS1_17partition_subalgoE4EjNS0_10empty_typeEbEEZZNS1_14partition_implILS8_4ELb0ES6_15HIP_vector_typeIjLj2EENS0_17counting_iteratorIjlEEPS9_SG_NS0_5tupleIJPjSI_NS0_16reverse_iteratorISI_EEEEENSH_IJSG_SG_SG_EEES9_SI_JZNS1_25segmented_radix_sort_implINS0_14default_configELb1EPKhPhPKlPlN2at6native12_GLOBAL__N_18offset_tEEE10hipError_tPvRmT1_PNSt15iterator_traitsIS12_E10value_typeET2_T3_PNS13_IS18_E10value_typeET4_jRbjT5_S1E_jjP12ihipStream_tbEUljE_ZNSN_ISO_Lb1ESQ_SR_ST_SU_SY_EESZ_S10_S11_S12_S16_S17_S18_S1B_S1C_jS1D_jS1E_S1E_jjS1G_bEUljE0_EEESZ_S10_S11_S18_S1C_S1E_T6_T7_T9_mT8_S1G_bDpT10_ENKUlT_T0_E_clISt17integral_constantIbLb0EES1T_IbLb1EEEEDaS1P_S1Q_EUlS1P_E_NS1_11comp_targetILNS1_3genE10ELNS1_11target_archE1200ELNS1_3gpuE4ELNS1_3repE0EEENS1_30default_config_static_selectorELNS0_4arch9wavefront6targetE1EEEvS12_ ; -- Begin function _ZN7rocprim17ROCPRIM_400000_NS6detail17trampoline_kernelINS0_13select_configILj256ELj13ELNS0_17block_load_methodE3ELS4_3ELS4_3ELNS0_20block_scan_algorithmE0ELj4294967295EEENS1_25partition_config_selectorILNS1_17partition_subalgoE4EjNS0_10empty_typeEbEEZZNS1_14partition_implILS8_4ELb0ES6_15HIP_vector_typeIjLj2EENS0_17counting_iteratorIjlEEPS9_SG_NS0_5tupleIJPjSI_NS0_16reverse_iteratorISI_EEEEENSH_IJSG_SG_SG_EEES9_SI_JZNS1_25segmented_radix_sort_implINS0_14default_configELb1EPKhPhPKlPlN2at6native12_GLOBAL__N_18offset_tEEE10hipError_tPvRmT1_PNSt15iterator_traitsIS12_E10value_typeET2_T3_PNS13_IS18_E10value_typeET4_jRbjT5_S1E_jjP12ihipStream_tbEUljE_ZNSN_ISO_Lb1ESQ_SR_ST_SU_SY_EESZ_S10_S11_S12_S16_S17_S18_S1B_S1C_jS1D_jS1E_S1E_jjS1G_bEUljE0_EEESZ_S10_S11_S18_S1C_S1E_T6_T7_T9_mT8_S1G_bDpT10_ENKUlT_T0_E_clISt17integral_constantIbLb0EES1T_IbLb1EEEEDaS1P_S1Q_EUlS1P_E_NS1_11comp_targetILNS1_3genE10ELNS1_11target_archE1200ELNS1_3gpuE4ELNS1_3repE0EEENS1_30default_config_static_selectorELNS0_4arch9wavefront6targetE1EEEvS12_
	.p2align	8
	.type	_ZN7rocprim17ROCPRIM_400000_NS6detail17trampoline_kernelINS0_13select_configILj256ELj13ELNS0_17block_load_methodE3ELS4_3ELS4_3ELNS0_20block_scan_algorithmE0ELj4294967295EEENS1_25partition_config_selectorILNS1_17partition_subalgoE4EjNS0_10empty_typeEbEEZZNS1_14partition_implILS8_4ELb0ES6_15HIP_vector_typeIjLj2EENS0_17counting_iteratorIjlEEPS9_SG_NS0_5tupleIJPjSI_NS0_16reverse_iteratorISI_EEEEENSH_IJSG_SG_SG_EEES9_SI_JZNS1_25segmented_radix_sort_implINS0_14default_configELb1EPKhPhPKlPlN2at6native12_GLOBAL__N_18offset_tEEE10hipError_tPvRmT1_PNSt15iterator_traitsIS12_E10value_typeET2_T3_PNS13_IS18_E10value_typeET4_jRbjT5_S1E_jjP12ihipStream_tbEUljE_ZNSN_ISO_Lb1ESQ_SR_ST_SU_SY_EESZ_S10_S11_S12_S16_S17_S18_S1B_S1C_jS1D_jS1E_S1E_jjS1G_bEUljE0_EEESZ_S10_S11_S18_S1C_S1E_T6_T7_T9_mT8_S1G_bDpT10_ENKUlT_T0_E_clISt17integral_constantIbLb0EES1T_IbLb1EEEEDaS1P_S1Q_EUlS1P_E_NS1_11comp_targetILNS1_3genE10ELNS1_11target_archE1200ELNS1_3gpuE4ELNS1_3repE0EEENS1_30default_config_static_selectorELNS0_4arch9wavefront6targetE1EEEvS12_,@function
_ZN7rocprim17ROCPRIM_400000_NS6detail17trampoline_kernelINS0_13select_configILj256ELj13ELNS0_17block_load_methodE3ELS4_3ELS4_3ELNS0_20block_scan_algorithmE0ELj4294967295EEENS1_25partition_config_selectorILNS1_17partition_subalgoE4EjNS0_10empty_typeEbEEZZNS1_14partition_implILS8_4ELb0ES6_15HIP_vector_typeIjLj2EENS0_17counting_iteratorIjlEEPS9_SG_NS0_5tupleIJPjSI_NS0_16reverse_iteratorISI_EEEEENSH_IJSG_SG_SG_EEES9_SI_JZNS1_25segmented_radix_sort_implINS0_14default_configELb1EPKhPhPKlPlN2at6native12_GLOBAL__N_18offset_tEEE10hipError_tPvRmT1_PNSt15iterator_traitsIS12_E10value_typeET2_T3_PNS13_IS18_E10value_typeET4_jRbjT5_S1E_jjP12ihipStream_tbEUljE_ZNSN_ISO_Lb1ESQ_SR_ST_SU_SY_EESZ_S10_S11_S12_S16_S17_S18_S1B_S1C_jS1D_jS1E_S1E_jjS1G_bEUljE0_EEESZ_S10_S11_S18_S1C_S1E_T6_T7_T9_mT8_S1G_bDpT10_ENKUlT_T0_E_clISt17integral_constantIbLb0EES1T_IbLb1EEEEDaS1P_S1Q_EUlS1P_E_NS1_11comp_targetILNS1_3genE10ELNS1_11target_archE1200ELNS1_3gpuE4ELNS1_3repE0EEENS1_30default_config_static_selectorELNS0_4arch9wavefront6targetE1EEEvS12_: ; @_ZN7rocprim17ROCPRIM_400000_NS6detail17trampoline_kernelINS0_13select_configILj256ELj13ELNS0_17block_load_methodE3ELS4_3ELS4_3ELNS0_20block_scan_algorithmE0ELj4294967295EEENS1_25partition_config_selectorILNS1_17partition_subalgoE4EjNS0_10empty_typeEbEEZZNS1_14partition_implILS8_4ELb0ES6_15HIP_vector_typeIjLj2EENS0_17counting_iteratorIjlEEPS9_SG_NS0_5tupleIJPjSI_NS0_16reverse_iteratorISI_EEEEENSH_IJSG_SG_SG_EEES9_SI_JZNS1_25segmented_radix_sort_implINS0_14default_configELb1EPKhPhPKlPlN2at6native12_GLOBAL__N_18offset_tEEE10hipError_tPvRmT1_PNSt15iterator_traitsIS12_E10value_typeET2_T3_PNS13_IS18_E10value_typeET4_jRbjT5_S1E_jjP12ihipStream_tbEUljE_ZNSN_ISO_Lb1ESQ_SR_ST_SU_SY_EESZ_S10_S11_S12_S16_S17_S18_S1B_S1C_jS1D_jS1E_S1E_jjS1G_bEUljE0_EEESZ_S10_S11_S18_S1C_S1E_T6_T7_T9_mT8_S1G_bDpT10_ENKUlT_T0_E_clISt17integral_constantIbLb0EES1T_IbLb1EEEEDaS1P_S1Q_EUlS1P_E_NS1_11comp_targetILNS1_3genE10ELNS1_11target_archE1200ELNS1_3gpuE4ELNS1_3repE0EEENS1_30default_config_static_selectorELNS0_4arch9wavefront6targetE1EEEvS12_
; %bb.0:
	.section	.rodata,"a",@progbits
	.p2align	6, 0x0
	.amdhsa_kernel _ZN7rocprim17ROCPRIM_400000_NS6detail17trampoline_kernelINS0_13select_configILj256ELj13ELNS0_17block_load_methodE3ELS4_3ELS4_3ELNS0_20block_scan_algorithmE0ELj4294967295EEENS1_25partition_config_selectorILNS1_17partition_subalgoE4EjNS0_10empty_typeEbEEZZNS1_14partition_implILS8_4ELb0ES6_15HIP_vector_typeIjLj2EENS0_17counting_iteratorIjlEEPS9_SG_NS0_5tupleIJPjSI_NS0_16reverse_iteratorISI_EEEEENSH_IJSG_SG_SG_EEES9_SI_JZNS1_25segmented_radix_sort_implINS0_14default_configELb1EPKhPhPKlPlN2at6native12_GLOBAL__N_18offset_tEEE10hipError_tPvRmT1_PNSt15iterator_traitsIS12_E10value_typeET2_T3_PNS13_IS18_E10value_typeET4_jRbjT5_S1E_jjP12ihipStream_tbEUljE_ZNSN_ISO_Lb1ESQ_SR_ST_SU_SY_EESZ_S10_S11_S12_S16_S17_S18_S1B_S1C_jS1D_jS1E_S1E_jjS1G_bEUljE0_EEESZ_S10_S11_S18_S1C_S1E_T6_T7_T9_mT8_S1G_bDpT10_ENKUlT_T0_E_clISt17integral_constantIbLb0EES1T_IbLb1EEEEDaS1P_S1Q_EUlS1P_E_NS1_11comp_targetILNS1_3genE10ELNS1_11target_archE1200ELNS1_3gpuE4ELNS1_3repE0EEENS1_30default_config_static_selectorELNS0_4arch9wavefront6targetE1EEEvS12_
		.amdhsa_group_segment_fixed_size 0
		.amdhsa_private_segment_fixed_size 0
		.amdhsa_kernarg_size 184
		.amdhsa_user_sgpr_count 6
		.amdhsa_user_sgpr_private_segment_buffer 1
		.amdhsa_user_sgpr_dispatch_ptr 0
		.amdhsa_user_sgpr_queue_ptr 0
		.amdhsa_user_sgpr_kernarg_segment_ptr 1
		.amdhsa_user_sgpr_dispatch_id 0
		.amdhsa_user_sgpr_flat_scratch_init 0
		.amdhsa_user_sgpr_kernarg_preload_length 0
		.amdhsa_user_sgpr_kernarg_preload_offset 0
		.amdhsa_user_sgpr_private_segment_size 0
		.amdhsa_uses_dynamic_stack 0
		.amdhsa_system_sgpr_private_segment_wavefront_offset 0
		.amdhsa_system_sgpr_workgroup_id_x 1
		.amdhsa_system_sgpr_workgroup_id_y 0
		.amdhsa_system_sgpr_workgroup_id_z 0
		.amdhsa_system_sgpr_workgroup_info 0
		.amdhsa_system_vgpr_workitem_id 0
		.amdhsa_next_free_vgpr 1
		.amdhsa_next_free_sgpr 0
		.amdhsa_accum_offset 4
		.amdhsa_reserve_vcc 0
		.amdhsa_reserve_flat_scratch 0
		.amdhsa_float_round_mode_32 0
		.amdhsa_float_round_mode_16_64 0
		.amdhsa_float_denorm_mode_32 3
		.amdhsa_float_denorm_mode_16_64 3
		.amdhsa_dx10_clamp 1
		.amdhsa_ieee_mode 1
		.amdhsa_fp16_overflow 0
		.amdhsa_tg_split 0
		.amdhsa_exception_fp_ieee_invalid_op 0
		.amdhsa_exception_fp_denorm_src 0
		.amdhsa_exception_fp_ieee_div_zero 0
		.amdhsa_exception_fp_ieee_overflow 0
		.amdhsa_exception_fp_ieee_underflow 0
		.amdhsa_exception_fp_ieee_inexact 0
		.amdhsa_exception_int_div_zero 0
	.end_amdhsa_kernel
	.section	.text._ZN7rocprim17ROCPRIM_400000_NS6detail17trampoline_kernelINS0_13select_configILj256ELj13ELNS0_17block_load_methodE3ELS4_3ELS4_3ELNS0_20block_scan_algorithmE0ELj4294967295EEENS1_25partition_config_selectorILNS1_17partition_subalgoE4EjNS0_10empty_typeEbEEZZNS1_14partition_implILS8_4ELb0ES6_15HIP_vector_typeIjLj2EENS0_17counting_iteratorIjlEEPS9_SG_NS0_5tupleIJPjSI_NS0_16reverse_iteratorISI_EEEEENSH_IJSG_SG_SG_EEES9_SI_JZNS1_25segmented_radix_sort_implINS0_14default_configELb1EPKhPhPKlPlN2at6native12_GLOBAL__N_18offset_tEEE10hipError_tPvRmT1_PNSt15iterator_traitsIS12_E10value_typeET2_T3_PNS13_IS18_E10value_typeET4_jRbjT5_S1E_jjP12ihipStream_tbEUljE_ZNSN_ISO_Lb1ESQ_SR_ST_SU_SY_EESZ_S10_S11_S12_S16_S17_S18_S1B_S1C_jS1D_jS1E_S1E_jjS1G_bEUljE0_EEESZ_S10_S11_S18_S1C_S1E_T6_T7_T9_mT8_S1G_bDpT10_ENKUlT_T0_E_clISt17integral_constantIbLb0EES1T_IbLb1EEEEDaS1P_S1Q_EUlS1P_E_NS1_11comp_targetILNS1_3genE10ELNS1_11target_archE1200ELNS1_3gpuE4ELNS1_3repE0EEENS1_30default_config_static_selectorELNS0_4arch9wavefront6targetE1EEEvS12_,"axG",@progbits,_ZN7rocprim17ROCPRIM_400000_NS6detail17trampoline_kernelINS0_13select_configILj256ELj13ELNS0_17block_load_methodE3ELS4_3ELS4_3ELNS0_20block_scan_algorithmE0ELj4294967295EEENS1_25partition_config_selectorILNS1_17partition_subalgoE4EjNS0_10empty_typeEbEEZZNS1_14partition_implILS8_4ELb0ES6_15HIP_vector_typeIjLj2EENS0_17counting_iteratorIjlEEPS9_SG_NS0_5tupleIJPjSI_NS0_16reverse_iteratorISI_EEEEENSH_IJSG_SG_SG_EEES9_SI_JZNS1_25segmented_radix_sort_implINS0_14default_configELb1EPKhPhPKlPlN2at6native12_GLOBAL__N_18offset_tEEE10hipError_tPvRmT1_PNSt15iterator_traitsIS12_E10value_typeET2_T3_PNS13_IS18_E10value_typeET4_jRbjT5_S1E_jjP12ihipStream_tbEUljE_ZNSN_ISO_Lb1ESQ_SR_ST_SU_SY_EESZ_S10_S11_S12_S16_S17_S18_S1B_S1C_jS1D_jS1E_S1E_jjS1G_bEUljE0_EEESZ_S10_S11_S18_S1C_S1E_T6_T7_T9_mT8_S1G_bDpT10_ENKUlT_T0_E_clISt17integral_constantIbLb0EES1T_IbLb1EEEEDaS1P_S1Q_EUlS1P_E_NS1_11comp_targetILNS1_3genE10ELNS1_11target_archE1200ELNS1_3gpuE4ELNS1_3repE0EEENS1_30default_config_static_selectorELNS0_4arch9wavefront6targetE1EEEvS12_,comdat
.Lfunc_end44:
	.size	_ZN7rocprim17ROCPRIM_400000_NS6detail17trampoline_kernelINS0_13select_configILj256ELj13ELNS0_17block_load_methodE3ELS4_3ELS4_3ELNS0_20block_scan_algorithmE0ELj4294967295EEENS1_25partition_config_selectorILNS1_17partition_subalgoE4EjNS0_10empty_typeEbEEZZNS1_14partition_implILS8_4ELb0ES6_15HIP_vector_typeIjLj2EENS0_17counting_iteratorIjlEEPS9_SG_NS0_5tupleIJPjSI_NS0_16reverse_iteratorISI_EEEEENSH_IJSG_SG_SG_EEES9_SI_JZNS1_25segmented_radix_sort_implINS0_14default_configELb1EPKhPhPKlPlN2at6native12_GLOBAL__N_18offset_tEEE10hipError_tPvRmT1_PNSt15iterator_traitsIS12_E10value_typeET2_T3_PNS13_IS18_E10value_typeET4_jRbjT5_S1E_jjP12ihipStream_tbEUljE_ZNSN_ISO_Lb1ESQ_SR_ST_SU_SY_EESZ_S10_S11_S12_S16_S17_S18_S1B_S1C_jS1D_jS1E_S1E_jjS1G_bEUljE0_EEESZ_S10_S11_S18_S1C_S1E_T6_T7_T9_mT8_S1G_bDpT10_ENKUlT_T0_E_clISt17integral_constantIbLb0EES1T_IbLb1EEEEDaS1P_S1Q_EUlS1P_E_NS1_11comp_targetILNS1_3genE10ELNS1_11target_archE1200ELNS1_3gpuE4ELNS1_3repE0EEENS1_30default_config_static_selectorELNS0_4arch9wavefront6targetE1EEEvS12_, .Lfunc_end44-_ZN7rocprim17ROCPRIM_400000_NS6detail17trampoline_kernelINS0_13select_configILj256ELj13ELNS0_17block_load_methodE3ELS4_3ELS4_3ELNS0_20block_scan_algorithmE0ELj4294967295EEENS1_25partition_config_selectorILNS1_17partition_subalgoE4EjNS0_10empty_typeEbEEZZNS1_14partition_implILS8_4ELb0ES6_15HIP_vector_typeIjLj2EENS0_17counting_iteratorIjlEEPS9_SG_NS0_5tupleIJPjSI_NS0_16reverse_iteratorISI_EEEEENSH_IJSG_SG_SG_EEES9_SI_JZNS1_25segmented_radix_sort_implINS0_14default_configELb1EPKhPhPKlPlN2at6native12_GLOBAL__N_18offset_tEEE10hipError_tPvRmT1_PNSt15iterator_traitsIS12_E10value_typeET2_T3_PNS13_IS18_E10value_typeET4_jRbjT5_S1E_jjP12ihipStream_tbEUljE_ZNSN_ISO_Lb1ESQ_SR_ST_SU_SY_EESZ_S10_S11_S12_S16_S17_S18_S1B_S1C_jS1D_jS1E_S1E_jjS1G_bEUljE0_EEESZ_S10_S11_S18_S1C_S1E_T6_T7_T9_mT8_S1G_bDpT10_ENKUlT_T0_E_clISt17integral_constantIbLb0EES1T_IbLb1EEEEDaS1P_S1Q_EUlS1P_E_NS1_11comp_targetILNS1_3genE10ELNS1_11target_archE1200ELNS1_3gpuE4ELNS1_3repE0EEENS1_30default_config_static_selectorELNS0_4arch9wavefront6targetE1EEEvS12_
                                        ; -- End function
	.section	.AMDGPU.csdata,"",@progbits
; Kernel info:
; codeLenInByte = 0
; NumSgprs: 4
; NumVgprs: 0
; NumAgprs: 0
; TotalNumVgprs: 0
; ScratchSize: 0
; MemoryBound: 0
; FloatMode: 240
; IeeeMode: 1
; LDSByteSize: 0 bytes/workgroup (compile time only)
; SGPRBlocks: 0
; VGPRBlocks: 0
; NumSGPRsForWavesPerEU: 4
; NumVGPRsForWavesPerEU: 1
; AccumOffset: 4
; Occupancy: 8
; WaveLimiterHint : 0
; COMPUTE_PGM_RSRC2:SCRATCH_EN: 0
; COMPUTE_PGM_RSRC2:USER_SGPR: 6
; COMPUTE_PGM_RSRC2:TRAP_HANDLER: 0
; COMPUTE_PGM_RSRC2:TGID_X_EN: 1
; COMPUTE_PGM_RSRC2:TGID_Y_EN: 0
; COMPUTE_PGM_RSRC2:TGID_Z_EN: 0
; COMPUTE_PGM_RSRC2:TIDIG_COMP_CNT: 0
; COMPUTE_PGM_RSRC3_GFX90A:ACCUM_OFFSET: 0
; COMPUTE_PGM_RSRC3_GFX90A:TG_SPLIT: 0
	.section	.text._ZN7rocprim17ROCPRIM_400000_NS6detail17trampoline_kernelINS0_13select_configILj256ELj13ELNS0_17block_load_methodE3ELS4_3ELS4_3ELNS0_20block_scan_algorithmE0ELj4294967295EEENS1_25partition_config_selectorILNS1_17partition_subalgoE4EjNS0_10empty_typeEbEEZZNS1_14partition_implILS8_4ELb0ES6_15HIP_vector_typeIjLj2EENS0_17counting_iteratorIjlEEPS9_SG_NS0_5tupleIJPjSI_NS0_16reverse_iteratorISI_EEEEENSH_IJSG_SG_SG_EEES9_SI_JZNS1_25segmented_radix_sort_implINS0_14default_configELb1EPKhPhPKlPlN2at6native12_GLOBAL__N_18offset_tEEE10hipError_tPvRmT1_PNSt15iterator_traitsIS12_E10value_typeET2_T3_PNS13_IS18_E10value_typeET4_jRbjT5_S1E_jjP12ihipStream_tbEUljE_ZNSN_ISO_Lb1ESQ_SR_ST_SU_SY_EESZ_S10_S11_S12_S16_S17_S18_S1B_S1C_jS1D_jS1E_S1E_jjS1G_bEUljE0_EEESZ_S10_S11_S18_S1C_S1E_T6_T7_T9_mT8_S1G_bDpT10_ENKUlT_T0_E_clISt17integral_constantIbLb0EES1T_IbLb1EEEEDaS1P_S1Q_EUlS1P_E_NS1_11comp_targetILNS1_3genE9ELNS1_11target_archE1100ELNS1_3gpuE3ELNS1_3repE0EEENS1_30default_config_static_selectorELNS0_4arch9wavefront6targetE1EEEvS12_,"axG",@progbits,_ZN7rocprim17ROCPRIM_400000_NS6detail17trampoline_kernelINS0_13select_configILj256ELj13ELNS0_17block_load_methodE3ELS4_3ELS4_3ELNS0_20block_scan_algorithmE0ELj4294967295EEENS1_25partition_config_selectorILNS1_17partition_subalgoE4EjNS0_10empty_typeEbEEZZNS1_14partition_implILS8_4ELb0ES6_15HIP_vector_typeIjLj2EENS0_17counting_iteratorIjlEEPS9_SG_NS0_5tupleIJPjSI_NS0_16reverse_iteratorISI_EEEEENSH_IJSG_SG_SG_EEES9_SI_JZNS1_25segmented_radix_sort_implINS0_14default_configELb1EPKhPhPKlPlN2at6native12_GLOBAL__N_18offset_tEEE10hipError_tPvRmT1_PNSt15iterator_traitsIS12_E10value_typeET2_T3_PNS13_IS18_E10value_typeET4_jRbjT5_S1E_jjP12ihipStream_tbEUljE_ZNSN_ISO_Lb1ESQ_SR_ST_SU_SY_EESZ_S10_S11_S12_S16_S17_S18_S1B_S1C_jS1D_jS1E_S1E_jjS1G_bEUljE0_EEESZ_S10_S11_S18_S1C_S1E_T6_T7_T9_mT8_S1G_bDpT10_ENKUlT_T0_E_clISt17integral_constantIbLb0EES1T_IbLb1EEEEDaS1P_S1Q_EUlS1P_E_NS1_11comp_targetILNS1_3genE9ELNS1_11target_archE1100ELNS1_3gpuE3ELNS1_3repE0EEENS1_30default_config_static_selectorELNS0_4arch9wavefront6targetE1EEEvS12_,comdat
	.globl	_ZN7rocprim17ROCPRIM_400000_NS6detail17trampoline_kernelINS0_13select_configILj256ELj13ELNS0_17block_load_methodE3ELS4_3ELS4_3ELNS0_20block_scan_algorithmE0ELj4294967295EEENS1_25partition_config_selectorILNS1_17partition_subalgoE4EjNS0_10empty_typeEbEEZZNS1_14partition_implILS8_4ELb0ES6_15HIP_vector_typeIjLj2EENS0_17counting_iteratorIjlEEPS9_SG_NS0_5tupleIJPjSI_NS0_16reverse_iteratorISI_EEEEENSH_IJSG_SG_SG_EEES9_SI_JZNS1_25segmented_radix_sort_implINS0_14default_configELb1EPKhPhPKlPlN2at6native12_GLOBAL__N_18offset_tEEE10hipError_tPvRmT1_PNSt15iterator_traitsIS12_E10value_typeET2_T3_PNS13_IS18_E10value_typeET4_jRbjT5_S1E_jjP12ihipStream_tbEUljE_ZNSN_ISO_Lb1ESQ_SR_ST_SU_SY_EESZ_S10_S11_S12_S16_S17_S18_S1B_S1C_jS1D_jS1E_S1E_jjS1G_bEUljE0_EEESZ_S10_S11_S18_S1C_S1E_T6_T7_T9_mT8_S1G_bDpT10_ENKUlT_T0_E_clISt17integral_constantIbLb0EES1T_IbLb1EEEEDaS1P_S1Q_EUlS1P_E_NS1_11comp_targetILNS1_3genE9ELNS1_11target_archE1100ELNS1_3gpuE3ELNS1_3repE0EEENS1_30default_config_static_selectorELNS0_4arch9wavefront6targetE1EEEvS12_ ; -- Begin function _ZN7rocprim17ROCPRIM_400000_NS6detail17trampoline_kernelINS0_13select_configILj256ELj13ELNS0_17block_load_methodE3ELS4_3ELS4_3ELNS0_20block_scan_algorithmE0ELj4294967295EEENS1_25partition_config_selectorILNS1_17partition_subalgoE4EjNS0_10empty_typeEbEEZZNS1_14partition_implILS8_4ELb0ES6_15HIP_vector_typeIjLj2EENS0_17counting_iteratorIjlEEPS9_SG_NS0_5tupleIJPjSI_NS0_16reverse_iteratorISI_EEEEENSH_IJSG_SG_SG_EEES9_SI_JZNS1_25segmented_radix_sort_implINS0_14default_configELb1EPKhPhPKlPlN2at6native12_GLOBAL__N_18offset_tEEE10hipError_tPvRmT1_PNSt15iterator_traitsIS12_E10value_typeET2_T3_PNS13_IS18_E10value_typeET4_jRbjT5_S1E_jjP12ihipStream_tbEUljE_ZNSN_ISO_Lb1ESQ_SR_ST_SU_SY_EESZ_S10_S11_S12_S16_S17_S18_S1B_S1C_jS1D_jS1E_S1E_jjS1G_bEUljE0_EEESZ_S10_S11_S18_S1C_S1E_T6_T7_T9_mT8_S1G_bDpT10_ENKUlT_T0_E_clISt17integral_constantIbLb0EES1T_IbLb1EEEEDaS1P_S1Q_EUlS1P_E_NS1_11comp_targetILNS1_3genE9ELNS1_11target_archE1100ELNS1_3gpuE3ELNS1_3repE0EEENS1_30default_config_static_selectorELNS0_4arch9wavefront6targetE1EEEvS12_
	.p2align	8
	.type	_ZN7rocprim17ROCPRIM_400000_NS6detail17trampoline_kernelINS0_13select_configILj256ELj13ELNS0_17block_load_methodE3ELS4_3ELS4_3ELNS0_20block_scan_algorithmE0ELj4294967295EEENS1_25partition_config_selectorILNS1_17partition_subalgoE4EjNS0_10empty_typeEbEEZZNS1_14partition_implILS8_4ELb0ES6_15HIP_vector_typeIjLj2EENS0_17counting_iteratorIjlEEPS9_SG_NS0_5tupleIJPjSI_NS0_16reverse_iteratorISI_EEEEENSH_IJSG_SG_SG_EEES9_SI_JZNS1_25segmented_radix_sort_implINS0_14default_configELb1EPKhPhPKlPlN2at6native12_GLOBAL__N_18offset_tEEE10hipError_tPvRmT1_PNSt15iterator_traitsIS12_E10value_typeET2_T3_PNS13_IS18_E10value_typeET4_jRbjT5_S1E_jjP12ihipStream_tbEUljE_ZNSN_ISO_Lb1ESQ_SR_ST_SU_SY_EESZ_S10_S11_S12_S16_S17_S18_S1B_S1C_jS1D_jS1E_S1E_jjS1G_bEUljE0_EEESZ_S10_S11_S18_S1C_S1E_T6_T7_T9_mT8_S1G_bDpT10_ENKUlT_T0_E_clISt17integral_constantIbLb0EES1T_IbLb1EEEEDaS1P_S1Q_EUlS1P_E_NS1_11comp_targetILNS1_3genE9ELNS1_11target_archE1100ELNS1_3gpuE3ELNS1_3repE0EEENS1_30default_config_static_selectorELNS0_4arch9wavefront6targetE1EEEvS12_,@function
_ZN7rocprim17ROCPRIM_400000_NS6detail17trampoline_kernelINS0_13select_configILj256ELj13ELNS0_17block_load_methodE3ELS4_3ELS4_3ELNS0_20block_scan_algorithmE0ELj4294967295EEENS1_25partition_config_selectorILNS1_17partition_subalgoE4EjNS0_10empty_typeEbEEZZNS1_14partition_implILS8_4ELb0ES6_15HIP_vector_typeIjLj2EENS0_17counting_iteratorIjlEEPS9_SG_NS0_5tupleIJPjSI_NS0_16reverse_iteratorISI_EEEEENSH_IJSG_SG_SG_EEES9_SI_JZNS1_25segmented_radix_sort_implINS0_14default_configELb1EPKhPhPKlPlN2at6native12_GLOBAL__N_18offset_tEEE10hipError_tPvRmT1_PNSt15iterator_traitsIS12_E10value_typeET2_T3_PNS13_IS18_E10value_typeET4_jRbjT5_S1E_jjP12ihipStream_tbEUljE_ZNSN_ISO_Lb1ESQ_SR_ST_SU_SY_EESZ_S10_S11_S12_S16_S17_S18_S1B_S1C_jS1D_jS1E_S1E_jjS1G_bEUljE0_EEESZ_S10_S11_S18_S1C_S1E_T6_T7_T9_mT8_S1G_bDpT10_ENKUlT_T0_E_clISt17integral_constantIbLb0EES1T_IbLb1EEEEDaS1P_S1Q_EUlS1P_E_NS1_11comp_targetILNS1_3genE9ELNS1_11target_archE1100ELNS1_3gpuE3ELNS1_3repE0EEENS1_30default_config_static_selectorELNS0_4arch9wavefront6targetE1EEEvS12_: ; @_ZN7rocprim17ROCPRIM_400000_NS6detail17trampoline_kernelINS0_13select_configILj256ELj13ELNS0_17block_load_methodE3ELS4_3ELS4_3ELNS0_20block_scan_algorithmE0ELj4294967295EEENS1_25partition_config_selectorILNS1_17partition_subalgoE4EjNS0_10empty_typeEbEEZZNS1_14partition_implILS8_4ELb0ES6_15HIP_vector_typeIjLj2EENS0_17counting_iteratorIjlEEPS9_SG_NS0_5tupleIJPjSI_NS0_16reverse_iteratorISI_EEEEENSH_IJSG_SG_SG_EEES9_SI_JZNS1_25segmented_radix_sort_implINS0_14default_configELb1EPKhPhPKlPlN2at6native12_GLOBAL__N_18offset_tEEE10hipError_tPvRmT1_PNSt15iterator_traitsIS12_E10value_typeET2_T3_PNS13_IS18_E10value_typeET4_jRbjT5_S1E_jjP12ihipStream_tbEUljE_ZNSN_ISO_Lb1ESQ_SR_ST_SU_SY_EESZ_S10_S11_S12_S16_S17_S18_S1B_S1C_jS1D_jS1E_S1E_jjS1G_bEUljE0_EEESZ_S10_S11_S18_S1C_S1E_T6_T7_T9_mT8_S1G_bDpT10_ENKUlT_T0_E_clISt17integral_constantIbLb0EES1T_IbLb1EEEEDaS1P_S1Q_EUlS1P_E_NS1_11comp_targetILNS1_3genE9ELNS1_11target_archE1100ELNS1_3gpuE3ELNS1_3repE0EEENS1_30default_config_static_selectorELNS0_4arch9wavefront6targetE1EEEvS12_
; %bb.0:
	.section	.rodata,"a",@progbits
	.p2align	6, 0x0
	.amdhsa_kernel _ZN7rocprim17ROCPRIM_400000_NS6detail17trampoline_kernelINS0_13select_configILj256ELj13ELNS0_17block_load_methodE3ELS4_3ELS4_3ELNS0_20block_scan_algorithmE0ELj4294967295EEENS1_25partition_config_selectorILNS1_17partition_subalgoE4EjNS0_10empty_typeEbEEZZNS1_14partition_implILS8_4ELb0ES6_15HIP_vector_typeIjLj2EENS0_17counting_iteratorIjlEEPS9_SG_NS0_5tupleIJPjSI_NS0_16reverse_iteratorISI_EEEEENSH_IJSG_SG_SG_EEES9_SI_JZNS1_25segmented_radix_sort_implINS0_14default_configELb1EPKhPhPKlPlN2at6native12_GLOBAL__N_18offset_tEEE10hipError_tPvRmT1_PNSt15iterator_traitsIS12_E10value_typeET2_T3_PNS13_IS18_E10value_typeET4_jRbjT5_S1E_jjP12ihipStream_tbEUljE_ZNSN_ISO_Lb1ESQ_SR_ST_SU_SY_EESZ_S10_S11_S12_S16_S17_S18_S1B_S1C_jS1D_jS1E_S1E_jjS1G_bEUljE0_EEESZ_S10_S11_S18_S1C_S1E_T6_T7_T9_mT8_S1G_bDpT10_ENKUlT_T0_E_clISt17integral_constantIbLb0EES1T_IbLb1EEEEDaS1P_S1Q_EUlS1P_E_NS1_11comp_targetILNS1_3genE9ELNS1_11target_archE1100ELNS1_3gpuE3ELNS1_3repE0EEENS1_30default_config_static_selectorELNS0_4arch9wavefront6targetE1EEEvS12_
		.amdhsa_group_segment_fixed_size 0
		.amdhsa_private_segment_fixed_size 0
		.amdhsa_kernarg_size 184
		.amdhsa_user_sgpr_count 6
		.amdhsa_user_sgpr_private_segment_buffer 1
		.amdhsa_user_sgpr_dispatch_ptr 0
		.amdhsa_user_sgpr_queue_ptr 0
		.amdhsa_user_sgpr_kernarg_segment_ptr 1
		.amdhsa_user_sgpr_dispatch_id 0
		.amdhsa_user_sgpr_flat_scratch_init 0
		.amdhsa_user_sgpr_kernarg_preload_length 0
		.amdhsa_user_sgpr_kernarg_preload_offset 0
		.amdhsa_user_sgpr_private_segment_size 0
		.amdhsa_uses_dynamic_stack 0
		.amdhsa_system_sgpr_private_segment_wavefront_offset 0
		.amdhsa_system_sgpr_workgroup_id_x 1
		.amdhsa_system_sgpr_workgroup_id_y 0
		.amdhsa_system_sgpr_workgroup_id_z 0
		.amdhsa_system_sgpr_workgroup_info 0
		.amdhsa_system_vgpr_workitem_id 0
		.amdhsa_next_free_vgpr 1
		.amdhsa_next_free_sgpr 0
		.amdhsa_accum_offset 4
		.amdhsa_reserve_vcc 0
		.amdhsa_reserve_flat_scratch 0
		.amdhsa_float_round_mode_32 0
		.amdhsa_float_round_mode_16_64 0
		.amdhsa_float_denorm_mode_32 3
		.amdhsa_float_denorm_mode_16_64 3
		.amdhsa_dx10_clamp 1
		.amdhsa_ieee_mode 1
		.amdhsa_fp16_overflow 0
		.amdhsa_tg_split 0
		.amdhsa_exception_fp_ieee_invalid_op 0
		.amdhsa_exception_fp_denorm_src 0
		.amdhsa_exception_fp_ieee_div_zero 0
		.amdhsa_exception_fp_ieee_overflow 0
		.amdhsa_exception_fp_ieee_underflow 0
		.amdhsa_exception_fp_ieee_inexact 0
		.amdhsa_exception_int_div_zero 0
	.end_amdhsa_kernel
	.section	.text._ZN7rocprim17ROCPRIM_400000_NS6detail17trampoline_kernelINS0_13select_configILj256ELj13ELNS0_17block_load_methodE3ELS4_3ELS4_3ELNS0_20block_scan_algorithmE0ELj4294967295EEENS1_25partition_config_selectorILNS1_17partition_subalgoE4EjNS0_10empty_typeEbEEZZNS1_14partition_implILS8_4ELb0ES6_15HIP_vector_typeIjLj2EENS0_17counting_iteratorIjlEEPS9_SG_NS0_5tupleIJPjSI_NS0_16reverse_iteratorISI_EEEEENSH_IJSG_SG_SG_EEES9_SI_JZNS1_25segmented_radix_sort_implINS0_14default_configELb1EPKhPhPKlPlN2at6native12_GLOBAL__N_18offset_tEEE10hipError_tPvRmT1_PNSt15iterator_traitsIS12_E10value_typeET2_T3_PNS13_IS18_E10value_typeET4_jRbjT5_S1E_jjP12ihipStream_tbEUljE_ZNSN_ISO_Lb1ESQ_SR_ST_SU_SY_EESZ_S10_S11_S12_S16_S17_S18_S1B_S1C_jS1D_jS1E_S1E_jjS1G_bEUljE0_EEESZ_S10_S11_S18_S1C_S1E_T6_T7_T9_mT8_S1G_bDpT10_ENKUlT_T0_E_clISt17integral_constantIbLb0EES1T_IbLb1EEEEDaS1P_S1Q_EUlS1P_E_NS1_11comp_targetILNS1_3genE9ELNS1_11target_archE1100ELNS1_3gpuE3ELNS1_3repE0EEENS1_30default_config_static_selectorELNS0_4arch9wavefront6targetE1EEEvS12_,"axG",@progbits,_ZN7rocprim17ROCPRIM_400000_NS6detail17trampoline_kernelINS0_13select_configILj256ELj13ELNS0_17block_load_methodE3ELS4_3ELS4_3ELNS0_20block_scan_algorithmE0ELj4294967295EEENS1_25partition_config_selectorILNS1_17partition_subalgoE4EjNS0_10empty_typeEbEEZZNS1_14partition_implILS8_4ELb0ES6_15HIP_vector_typeIjLj2EENS0_17counting_iteratorIjlEEPS9_SG_NS0_5tupleIJPjSI_NS0_16reverse_iteratorISI_EEEEENSH_IJSG_SG_SG_EEES9_SI_JZNS1_25segmented_radix_sort_implINS0_14default_configELb1EPKhPhPKlPlN2at6native12_GLOBAL__N_18offset_tEEE10hipError_tPvRmT1_PNSt15iterator_traitsIS12_E10value_typeET2_T3_PNS13_IS18_E10value_typeET4_jRbjT5_S1E_jjP12ihipStream_tbEUljE_ZNSN_ISO_Lb1ESQ_SR_ST_SU_SY_EESZ_S10_S11_S12_S16_S17_S18_S1B_S1C_jS1D_jS1E_S1E_jjS1G_bEUljE0_EEESZ_S10_S11_S18_S1C_S1E_T6_T7_T9_mT8_S1G_bDpT10_ENKUlT_T0_E_clISt17integral_constantIbLb0EES1T_IbLb1EEEEDaS1P_S1Q_EUlS1P_E_NS1_11comp_targetILNS1_3genE9ELNS1_11target_archE1100ELNS1_3gpuE3ELNS1_3repE0EEENS1_30default_config_static_selectorELNS0_4arch9wavefront6targetE1EEEvS12_,comdat
.Lfunc_end45:
	.size	_ZN7rocprim17ROCPRIM_400000_NS6detail17trampoline_kernelINS0_13select_configILj256ELj13ELNS0_17block_load_methodE3ELS4_3ELS4_3ELNS0_20block_scan_algorithmE0ELj4294967295EEENS1_25partition_config_selectorILNS1_17partition_subalgoE4EjNS0_10empty_typeEbEEZZNS1_14partition_implILS8_4ELb0ES6_15HIP_vector_typeIjLj2EENS0_17counting_iteratorIjlEEPS9_SG_NS0_5tupleIJPjSI_NS0_16reverse_iteratorISI_EEEEENSH_IJSG_SG_SG_EEES9_SI_JZNS1_25segmented_radix_sort_implINS0_14default_configELb1EPKhPhPKlPlN2at6native12_GLOBAL__N_18offset_tEEE10hipError_tPvRmT1_PNSt15iterator_traitsIS12_E10value_typeET2_T3_PNS13_IS18_E10value_typeET4_jRbjT5_S1E_jjP12ihipStream_tbEUljE_ZNSN_ISO_Lb1ESQ_SR_ST_SU_SY_EESZ_S10_S11_S12_S16_S17_S18_S1B_S1C_jS1D_jS1E_S1E_jjS1G_bEUljE0_EEESZ_S10_S11_S18_S1C_S1E_T6_T7_T9_mT8_S1G_bDpT10_ENKUlT_T0_E_clISt17integral_constantIbLb0EES1T_IbLb1EEEEDaS1P_S1Q_EUlS1P_E_NS1_11comp_targetILNS1_3genE9ELNS1_11target_archE1100ELNS1_3gpuE3ELNS1_3repE0EEENS1_30default_config_static_selectorELNS0_4arch9wavefront6targetE1EEEvS12_, .Lfunc_end45-_ZN7rocprim17ROCPRIM_400000_NS6detail17trampoline_kernelINS0_13select_configILj256ELj13ELNS0_17block_load_methodE3ELS4_3ELS4_3ELNS0_20block_scan_algorithmE0ELj4294967295EEENS1_25partition_config_selectorILNS1_17partition_subalgoE4EjNS0_10empty_typeEbEEZZNS1_14partition_implILS8_4ELb0ES6_15HIP_vector_typeIjLj2EENS0_17counting_iteratorIjlEEPS9_SG_NS0_5tupleIJPjSI_NS0_16reverse_iteratorISI_EEEEENSH_IJSG_SG_SG_EEES9_SI_JZNS1_25segmented_radix_sort_implINS0_14default_configELb1EPKhPhPKlPlN2at6native12_GLOBAL__N_18offset_tEEE10hipError_tPvRmT1_PNSt15iterator_traitsIS12_E10value_typeET2_T3_PNS13_IS18_E10value_typeET4_jRbjT5_S1E_jjP12ihipStream_tbEUljE_ZNSN_ISO_Lb1ESQ_SR_ST_SU_SY_EESZ_S10_S11_S12_S16_S17_S18_S1B_S1C_jS1D_jS1E_S1E_jjS1G_bEUljE0_EEESZ_S10_S11_S18_S1C_S1E_T6_T7_T9_mT8_S1G_bDpT10_ENKUlT_T0_E_clISt17integral_constantIbLb0EES1T_IbLb1EEEEDaS1P_S1Q_EUlS1P_E_NS1_11comp_targetILNS1_3genE9ELNS1_11target_archE1100ELNS1_3gpuE3ELNS1_3repE0EEENS1_30default_config_static_selectorELNS0_4arch9wavefront6targetE1EEEvS12_
                                        ; -- End function
	.section	.AMDGPU.csdata,"",@progbits
; Kernel info:
; codeLenInByte = 0
; NumSgprs: 4
; NumVgprs: 0
; NumAgprs: 0
; TotalNumVgprs: 0
; ScratchSize: 0
; MemoryBound: 0
; FloatMode: 240
; IeeeMode: 1
; LDSByteSize: 0 bytes/workgroup (compile time only)
; SGPRBlocks: 0
; VGPRBlocks: 0
; NumSGPRsForWavesPerEU: 4
; NumVGPRsForWavesPerEU: 1
; AccumOffset: 4
; Occupancy: 8
; WaveLimiterHint : 0
; COMPUTE_PGM_RSRC2:SCRATCH_EN: 0
; COMPUTE_PGM_RSRC2:USER_SGPR: 6
; COMPUTE_PGM_RSRC2:TRAP_HANDLER: 0
; COMPUTE_PGM_RSRC2:TGID_X_EN: 1
; COMPUTE_PGM_RSRC2:TGID_Y_EN: 0
; COMPUTE_PGM_RSRC2:TGID_Z_EN: 0
; COMPUTE_PGM_RSRC2:TIDIG_COMP_CNT: 0
; COMPUTE_PGM_RSRC3_GFX90A:ACCUM_OFFSET: 0
; COMPUTE_PGM_RSRC3_GFX90A:TG_SPLIT: 0
	.section	.text._ZN7rocprim17ROCPRIM_400000_NS6detail17trampoline_kernelINS0_13select_configILj256ELj13ELNS0_17block_load_methodE3ELS4_3ELS4_3ELNS0_20block_scan_algorithmE0ELj4294967295EEENS1_25partition_config_selectorILNS1_17partition_subalgoE4EjNS0_10empty_typeEbEEZZNS1_14partition_implILS8_4ELb0ES6_15HIP_vector_typeIjLj2EENS0_17counting_iteratorIjlEEPS9_SG_NS0_5tupleIJPjSI_NS0_16reverse_iteratorISI_EEEEENSH_IJSG_SG_SG_EEES9_SI_JZNS1_25segmented_radix_sort_implINS0_14default_configELb1EPKhPhPKlPlN2at6native12_GLOBAL__N_18offset_tEEE10hipError_tPvRmT1_PNSt15iterator_traitsIS12_E10value_typeET2_T3_PNS13_IS18_E10value_typeET4_jRbjT5_S1E_jjP12ihipStream_tbEUljE_ZNSN_ISO_Lb1ESQ_SR_ST_SU_SY_EESZ_S10_S11_S12_S16_S17_S18_S1B_S1C_jS1D_jS1E_S1E_jjS1G_bEUljE0_EEESZ_S10_S11_S18_S1C_S1E_T6_T7_T9_mT8_S1G_bDpT10_ENKUlT_T0_E_clISt17integral_constantIbLb0EES1T_IbLb1EEEEDaS1P_S1Q_EUlS1P_E_NS1_11comp_targetILNS1_3genE8ELNS1_11target_archE1030ELNS1_3gpuE2ELNS1_3repE0EEENS1_30default_config_static_selectorELNS0_4arch9wavefront6targetE1EEEvS12_,"axG",@progbits,_ZN7rocprim17ROCPRIM_400000_NS6detail17trampoline_kernelINS0_13select_configILj256ELj13ELNS0_17block_load_methodE3ELS4_3ELS4_3ELNS0_20block_scan_algorithmE0ELj4294967295EEENS1_25partition_config_selectorILNS1_17partition_subalgoE4EjNS0_10empty_typeEbEEZZNS1_14partition_implILS8_4ELb0ES6_15HIP_vector_typeIjLj2EENS0_17counting_iteratorIjlEEPS9_SG_NS0_5tupleIJPjSI_NS0_16reverse_iteratorISI_EEEEENSH_IJSG_SG_SG_EEES9_SI_JZNS1_25segmented_radix_sort_implINS0_14default_configELb1EPKhPhPKlPlN2at6native12_GLOBAL__N_18offset_tEEE10hipError_tPvRmT1_PNSt15iterator_traitsIS12_E10value_typeET2_T3_PNS13_IS18_E10value_typeET4_jRbjT5_S1E_jjP12ihipStream_tbEUljE_ZNSN_ISO_Lb1ESQ_SR_ST_SU_SY_EESZ_S10_S11_S12_S16_S17_S18_S1B_S1C_jS1D_jS1E_S1E_jjS1G_bEUljE0_EEESZ_S10_S11_S18_S1C_S1E_T6_T7_T9_mT8_S1G_bDpT10_ENKUlT_T0_E_clISt17integral_constantIbLb0EES1T_IbLb1EEEEDaS1P_S1Q_EUlS1P_E_NS1_11comp_targetILNS1_3genE8ELNS1_11target_archE1030ELNS1_3gpuE2ELNS1_3repE0EEENS1_30default_config_static_selectorELNS0_4arch9wavefront6targetE1EEEvS12_,comdat
	.globl	_ZN7rocprim17ROCPRIM_400000_NS6detail17trampoline_kernelINS0_13select_configILj256ELj13ELNS0_17block_load_methodE3ELS4_3ELS4_3ELNS0_20block_scan_algorithmE0ELj4294967295EEENS1_25partition_config_selectorILNS1_17partition_subalgoE4EjNS0_10empty_typeEbEEZZNS1_14partition_implILS8_4ELb0ES6_15HIP_vector_typeIjLj2EENS0_17counting_iteratorIjlEEPS9_SG_NS0_5tupleIJPjSI_NS0_16reverse_iteratorISI_EEEEENSH_IJSG_SG_SG_EEES9_SI_JZNS1_25segmented_radix_sort_implINS0_14default_configELb1EPKhPhPKlPlN2at6native12_GLOBAL__N_18offset_tEEE10hipError_tPvRmT1_PNSt15iterator_traitsIS12_E10value_typeET2_T3_PNS13_IS18_E10value_typeET4_jRbjT5_S1E_jjP12ihipStream_tbEUljE_ZNSN_ISO_Lb1ESQ_SR_ST_SU_SY_EESZ_S10_S11_S12_S16_S17_S18_S1B_S1C_jS1D_jS1E_S1E_jjS1G_bEUljE0_EEESZ_S10_S11_S18_S1C_S1E_T6_T7_T9_mT8_S1G_bDpT10_ENKUlT_T0_E_clISt17integral_constantIbLb0EES1T_IbLb1EEEEDaS1P_S1Q_EUlS1P_E_NS1_11comp_targetILNS1_3genE8ELNS1_11target_archE1030ELNS1_3gpuE2ELNS1_3repE0EEENS1_30default_config_static_selectorELNS0_4arch9wavefront6targetE1EEEvS12_ ; -- Begin function _ZN7rocprim17ROCPRIM_400000_NS6detail17trampoline_kernelINS0_13select_configILj256ELj13ELNS0_17block_load_methodE3ELS4_3ELS4_3ELNS0_20block_scan_algorithmE0ELj4294967295EEENS1_25partition_config_selectorILNS1_17partition_subalgoE4EjNS0_10empty_typeEbEEZZNS1_14partition_implILS8_4ELb0ES6_15HIP_vector_typeIjLj2EENS0_17counting_iteratorIjlEEPS9_SG_NS0_5tupleIJPjSI_NS0_16reverse_iteratorISI_EEEEENSH_IJSG_SG_SG_EEES9_SI_JZNS1_25segmented_radix_sort_implINS0_14default_configELb1EPKhPhPKlPlN2at6native12_GLOBAL__N_18offset_tEEE10hipError_tPvRmT1_PNSt15iterator_traitsIS12_E10value_typeET2_T3_PNS13_IS18_E10value_typeET4_jRbjT5_S1E_jjP12ihipStream_tbEUljE_ZNSN_ISO_Lb1ESQ_SR_ST_SU_SY_EESZ_S10_S11_S12_S16_S17_S18_S1B_S1C_jS1D_jS1E_S1E_jjS1G_bEUljE0_EEESZ_S10_S11_S18_S1C_S1E_T6_T7_T9_mT8_S1G_bDpT10_ENKUlT_T0_E_clISt17integral_constantIbLb0EES1T_IbLb1EEEEDaS1P_S1Q_EUlS1P_E_NS1_11comp_targetILNS1_3genE8ELNS1_11target_archE1030ELNS1_3gpuE2ELNS1_3repE0EEENS1_30default_config_static_selectorELNS0_4arch9wavefront6targetE1EEEvS12_
	.p2align	8
	.type	_ZN7rocprim17ROCPRIM_400000_NS6detail17trampoline_kernelINS0_13select_configILj256ELj13ELNS0_17block_load_methodE3ELS4_3ELS4_3ELNS0_20block_scan_algorithmE0ELj4294967295EEENS1_25partition_config_selectorILNS1_17partition_subalgoE4EjNS0_10empty_typeEbEEZZNS1_14partition_implILS8_4ELb0ES6_15HIP_vector_typeIjLj2EENS0_17counting_iteratorIjlEEPS9_SG_NS0_5tupleIJPjSI_NS0_16reverse_iteratorISI_EEEEENSH_IJSG_SG_SG_EEES9_SI_JZNS1_25segmented_radix_sort_implINS0_14default_configELb1EPKhPhPKlPlN2at6native12_GLOBAL__N_18offset_tEEE10hipError_tPvRmT1_PNSt15iterator_traitsIS12_E10value_typeET2_T3_PNS13_IS18_E10value_typeET4_jRbjT5_S1E_jjP12ihipStream_tbEUljE_ZNSN_ISO_Lb1ESQ_SR_ST_SU_SY_EESZ_S10_S11_S12_S16_S17_S18_S1B_S1C_jS1D_jS1E_S1E_jjS1G_bEUljE0_EEESZ_S10_S11_S18_S1C_S1E_T6_T7_T9_mT8_S1G_bDpT10_ENKUlT_T0_E_clISt17integral_constantIbLb0EES1T_IbLb1EEEEDaS1P_S1Q_EUlS1P_E_NS1_11comp_targetILNS1_3genE8ELNS1_11target_archE1030ELNS1_3gpuE2ELNS1_3repE0EEENS1_30default_config_static_selectorELNS0_4arch9wavefront6targetE1EEEvS12_,@function
_ZN7rocprim17ROCPRIM_400000_NS6detail17trampoline_kernelINS0_13select_configILj256ELj13ELNS0_17block_load_methodE3ELS4_3ELS4_3ELNS0_20block_scan_algorithmE0ELj4294967295EEENS1_25partition_config_selectorILNS1_17partition_subalgoE4EjNS0_10empty_typeEbEEZZNS1_14partition_implILS8_4ELb0ES6_15HIP_vector_typeIjLj2EENS0_17counting_iteratorIjlEEPS9_SG_NS0_5tupleIJPjSI_NS0_16reverse_iteratorISI_EEEEENSH_IJSG_SG_SG_EEES9_SI_JZNS1_25segmented_radix_sort_implINS0_14default_configELb1EPKhPhPKlPlN2at6native12_GLOBAL__N_18offset_tEEE10hipError_tPvRmT1_PNSt15iterator_traitsIS12_E10value_typeET2_T3_PNS13_IS18_E10value_typeET4_jRbjT5_S1E_jjP12ihipStream_tbEUljE_ZNSN_ISO_Lb1ESQ_SR_ST_SU_SY_EESZ_S10_S11_S12_S16_S17_S18_S1B_S1C_jS1D_jS1E_S1E_jjS1G_bEUljE0_EEESZ_S10_S11_S18_S1C_S1E_T6_T7_T9_mT8_S1G_bDpT10_ENKUlT_T0_E_clISt17integral_constantIbLb0EES1T_IbLb1EEEEDaS1P_S1Q_EUlS1P_E_NS1_11comp_targetILNS1_3genE8ELNS1_11target_archE1030ELNS1_3gpuE2ELNS1_3repE0EEENS1_30default_config_static_selectorELNS0_4arch9wavefront6targetE1EEEvS12_: ; @_ZN7rocprim17ROCPRIM_400000_NS6detail17trampoline_kernelINS0_13select_configILj256ELj13ELNS0_17block_load_methodE3ELS4_3ELS4_3ELNS0_20block_scan_algorithmE0ELj4294967295EEENS1_25partition_config_selectorILNS1_17partition_subalgoE4EjNS0_10empty_typeEbEEZZNS1_14partition_implILS8_4ELb0ES6_15HIP_vector_typeIjLj2EENS0_17counting_iteratorIjlEEPS9_SG_NS0_5tupleIJPjSI_NS0_16reverse_iteratorISI_EEEEENSH_IJSG_SG_SG_EEES9_SI_JZNS1_25segmented_radix_sort_implINS0_14default_configELb1EPKhPhPKlPlN2at6native12_GLOBAL__N_18offset_tEEE10hipError_tPvRmT1_PNSt15iterator_traitsIS12_E10value_typeET2_T3_PNS13_IS18_E10value_typeET4_jRbjT5_S1E_jjP12ihipStream_tbEUljE_ZNSN_ISO_Lb1ESQ_SR_ST_SU_SY_EESZ_S10_S11_S12_S16_S17_S18_S1B_S1C_jS1D_jS1E_S1E_jjS1G_bEUljE0_EEESZ_S10_S11_S18_S1C_S1E_T6_T7_T9_mT8_S1G_bDpT10_ENKUlT_T0_E_clISt17integral_constantIbLb0EES1T_IbLb1EEEEDaS1P_S1Q_EUlS1P_E_NS1_11comp_targetILNS1_3genE8ELNS1_11target_archE1030ELNS1_3gpuE2ELNS1_3repE0EEENS1_30default_config_static_selectorELNS0_4arch9wavefront6targetE1EEEvS12_
; %bb.0:
	.section	.rodata,"a",@progbits
	.p2align	6, 0x0
	.amdhsa_kernel _ZN7rocprim17ROCPRIM_400000_NS6detail17trampoline_kernelINS0_13select_configILj256ELj13ELNS0_17block_load_methodE3ELS4_3ELS4_3ELNS0_20block_scan_algorithmE0ELj4294967295EEENS1_25partition_config_selectorILNS1_17partition_subalgoE4EjNS0_10empty_typeEbEEZZNS1_14partition_implILS8_4ELb0ES6_15HIP_vector_typeIjLj2EENS0_17counting_iteratorIjlEEPS9_SG_NS0_5tupleIJPjSI_NS0_16reverse_iteratorISI_EEEEENSH_IJSG_SG_SG_EEES9_SI_JZNS1_25segmented_radix_sort_implINS0_14default_configELb1EPKhPhPKlPlN2at6native12_GLOBAL__N_18offset_tEEE10hipError_tPvRmT1_PNSt15iterator_traitsIS12_E10value_typeET2_T3_PNS13_IS18_E10value_typeET4_jRbjT5_S1E_jjP12ihipStream_tbEUljE_ZNSN_ISO_Lb1ESQ_SR_ST_SU_SY_EESZ_S10_S11_S12_S16_S17_S18_S1B_S1C_jS1D_jS1E_S1E_jjS1G_bEUljE0_EEESZ_S10_S11_S18_S1C_S1E_T6_T7_T9_mT8_S1G_bDpT10_ENKUlT_T0_E_clISt17integral_constantIbLb0EES1T_IbLb1EEEEDaS1P_S1Q_EUlS1P_E_NS1_11comp_targetILNS1_3genE8ELNS1_11target_archE1030ELNS1_3gpuE2ELNS1_3repE0EEENS1_30default_config_static_selectorELNS0_4arch9wavefront6targetE1EEEvS12_
		.amdhsa_group_segment_fixed_size 0
		.amdhsa_private_segment_fixed_size 0
		.amdhsa_kernarg_size 184
		.amdhsa_user_sgpr_count 6
		.amdhsa_user_sgpr_private_segment_buffer 1
		.amdhsa_user_sgpr_dispatch_ptr 0
		.amdhsa_user_sgpr_queue_ptr 0
		.amdhsa_user_sgpr_kernarg_segment_ptr 1
		.amdhsa_user_sgpr_dispatch_id 0
		.amdhsa_user_sgpr_flat_scratch_init 0
		.amdhsa_user_sgpr_kernarg_preload_length 0
		.amdhsa_user_sgpr_kernarg_preload_offset 0
		.amdhsa_user_sgpr_private_segment_size 0
		.amdhsa_uses_dynamic_stack 0
		.amdhsa_system_sgpr_private_segment_wavefront_offset 0
		.amdhsa_system_sgpr_workgroup_id_x 1
		.amdhsa_system_sgpr_workgroup_id_y 0
		.amdhsa_system_sgpr_workgroup_id_z 0
		.amdhsa_system_sgpr_workgroup_info 0
		.amdhsa_system_vgpr_workitem_id 0
		.amdhsa_next_free_vgpr 1
		.amdhsa_next_free_sgpr 0
		.amdhsa_accum_offset 4
		.amdhsa_reserve_vcc 0
		.amdhsa_reserve_flat_scratch 0
		.amdhsa_float_round_mode_32 0
		.amdhsa_float_round_mode_16_64 0
		.amdhsa_float_denorm_mode_32 3
		.amdhsa_float_denorm_mode_16_64 3
		.amdhsa_dx10_clamp 1
		.amdhsa_ieee_mode 1
		.amdhsa_fp16_overflow 0
		.amdhsa_tg_split 0
		.amdhsa_exception_fp_ieee_invalid_op 0
		.amdhsa_exception_fp_denorm_src 0
		.amdhsa_exception_fp_ieee_div_zero 0
		.amdhsa_exception_fp_ieee_overflow 0
		.amdhsa_exception_fp_ieee_underflow 0
		.amdhsa_exception_fp_ieee_inexact 0
		.amdhsa_exception_int_div_zero 0
	.end_amdhsa_kernel
	.section	.text._ZN7rocprim17ROCPRIM_400000_NS6detail17trampoline_kernelINS0_13select_configILj256ELj13ELNS0_17block_load_methodE3ELS4_3ELS4_3ELNS0_20block_scan_algorithmE0ELj4294967295EEENS1_25partition_config_selectorILNS1_17partition_subalgoE4EjNS0_10empty_typeEbEEZZNS1_14partition_implILS8_4ELb0ES6_15HIP_vector_typeIjLj2EENS0_17counting_iteratorIjlEEPS9_SG_NS0_5tupleIJPjSI_NS0_16reverse_iteratorISI_EEEEENSH_IJSG_SG_SG_EEES9_SI_JZNS1_25segmented_radix_sort_implINS0_14default_configELb1EPKhPhPKlPlN2at6native12_GLOBAL__N_18offset_tEEE10hipError_tPvRmT1_PNSt15iterator_traitsIS12_E10value_typeET2_T3_PNS13_IS18_E10value_typeET4_jRbjT5_S1E_jjP12ihipStream_tbEUljE_ZNSN_ISO_Lb1ESQ_SR_ST_SU_SY_EESZ_S10_S11_S12_S16_S17_S18_S1B_S1C_jS1D_jS1E_S1E_jjS1G_bEUljE0_EEESZ_S10_S11_S18_S1C_S1E_T6_T7_T9_mT8_S1G_bDpT10_ENKUlT_T0_E_clISt17integral_constantIbLb0EES1T_IbLb1EEEEDaS1P_S1Q_EUlS1P_E_NS1_11comp_targetILNS1_3genE8ELNS1_11target_archE1030ELNS1_3gpuE2ELNS1_3repE0EEENS1_30default_config_static_selectorELNS0_4arch9wavefront6targetE1EEEvS12_,"axG",@progbits,_ZN7rocprim17ROCPRIM_400000_NS6detail17trampoline_kernelINS0_13select_configILj256ELj13ELNS0_17block_load_methodE3ELS4_3ELS4_3ELNS0_20block_scan_algorithmE0ELj4294967295EEENS1_25partition_config_selectorILNS1_17partition_subalgoE4EjNS0_10empty_typeEbEEZZNS1_14partition_implILS8_4ELb0ES6_15HIP_vector_typeIjLj2EENS0_17counting_iteratorIjlEEPS9_SG_NS0_5tupleIJPjSI_NS0_16reverse_iteratorISI_EEEEENSH_IJSG_SG_SG_EEES9_SI_JZNS1_25segmented_radix_sort_implINS0_14default_configELb1EPKhPhPKlPlN2at6native12_GLOBAL__N_18offset_tEEE10hipError_tPvRmT1_PNSt15iterator_traitsIS12_E10value_typeET2_T3_PNS13_IS18_E10value_typeET4_jRbjT5_S1E_jjP12ihipStream_tbEUljE_ZNSN_ISO_Lb1ESQ_SR_ST_SU_SY_EESZ_S10_S11_S12_S16_S17_S18_S1B_S1C_jS1D_jS1E_S1E_jjS1G_bEUljE0_EEESZ_S10_S11_S18_S1C_S1E_T6_T7_T9_mT8_S1G_bDpT10_ENKUlT_T0_E_clISt17integral_constantIbLb0EES1T_IbLb1EEEEDaS1P_S1Q_EUlS1P_E_NS1_11comp_targetILNS1_3genE8ELNS1_11target_archE1030ELNS1_3gpuE2ELNS1_3repE0EEENS1_30default_config_static_selectorELNS0_4arch9wavefront6targetE1EEEvS12_,comdat
.Lfunc_end46:
	.size	_ZN7rocprim17ROCPRIM_400000_NS6detail17trampoline_kernelINS0_13select_configILj256ELj13ELNS0_17block_load_methodE3ELS4_3ELS4_3ELNS0_20block_scan_algorithmE0ELj4294967295EEENS1_25partition_config_selectorILNS1_17partition_subalgoE4EjNS0_10empty_typeEbEEZZNS1_14partition_implILS8_4ELb0ES6_15HIP_vector_typeIjLj2EENS0_17counting_iteratorIjlEEPS9_SG_NS0_5tupleIJPjSI_NS0_16reverse_iteratorISI_EEEEENSH_IJSG_SG_SG_EEES9_SI_JZNS1_25segmented_radix_sort_implINS0_14default_configELb1EPKhPhPKlPlN2at6native12_GLOBAL__N_18offset_tEEE10hipError_tPvRmT1_PNSt15iterator_traitsIS12_E10value_typeET2_T3_PNS13_IS18_E10value_typeET4_jRbjT5_S1E_jjP12ihipStream_tbEUljE_ZNSN_ISO_Lb1ESQ_SR_ST_SU_SY_EESZ_S10_S11_S12_S16_S17_S18_S1B_S1C_jS1D_jS1E_S1E_jjS1G_bEUljE0_EEESZ_S10_S11_S18_S1C_S1E_T6_T7_T9_mT8_S1G_bDpT10_ENKUlT_T0_E_clISt17integral_constantIbLb0EES1T_IbLb1EEEEDaS1P_S1Q_EUlS1P_E_NS1_11comp_targetILNS1_3genE8ELNS1_11target_archE1030ELNS1_3gpuE2ELNS1_3repE0EEENS1_30default_config_static_selectorELNS0_4arch9wavefront6targetE1EEEvS12_, .Lfunc_end46-_ZN7rocprim17ROCPRIM_400000_NS6detail17trampoline_kernelINS0_13select_configILj256ELj13ELNS0_17block_load_methodE3ELS4_3ELS4_3ELNS0_20block_scan_algorithmE0ELj4294967295EEENS1_25partition_config_selectorILNS1_17partition_subalgoE4EjNS0_10empty_typeEbEEZZNS1_14partition_implILS8_4ELb0ES6_15HIP_vector_typeIjLj2EENS0_17counting_iteratorIjlEEPS9_SG_NS0_5tupleIJPjSI_NS0_16reverse_iteratorISI_EEEEENSH_IJSG_SG_SG_EEES9_SI_JZNS1_25segmented_radix_sort_implINS0_14default_configELb1EPKhPhPKlPlN2at6native12_GLOBAL__N_18offset_tEEE10hipError_tPvRmT1_PNSt15iterator_traitsIS12_E10value_typeET2_T3_PNS13_IS18_E10value_typeET4_jRbjT5_S1E_jjP12ihipStream_tbEUljE_ZNSN_ISO_Lb1ESQ_SR_ST_SU_SY_EESZ_S10_S11_S12_S16_S17_S18_S1B_S1C_jS1D_jS1E_S1E_jjS1G_bEUljE0_EEESZ_S10_S11_S18_S1C_S1E_T6_T7_T9_mT8_S1G_bDpT10_ENKUlT_T0_E_clISt17integral_constantIbLb0EES1T_IbLb1EEEEDaS1P_S1Q_EUlS1P_E_NS1_11comp_targetILNS1_3genE8ELNS1_11target_archE1030ELNS1_3gpuE2ELNS1_3repE0EEENS1_30default_config_static_selectorELNS0_4arch9wavefront6targetE1EEEvS12_
                                        ; -- End function
	.section	.AMDGPU.csdata,"",@progbits
; Kernel info:
; codeLenInByte = 0
; NumSgprs: 4
; NumVgprs: 0
; NumAgprs: 0
; TotalNumVgprs: 0
; ScratchSize: 0
; MemoryBound: 0
; FloatMode: 240
; IeeeMode: 1
; LDSByteSize: 0 bytes/workgroup (compile time only)
; SGPRBlocks: 0
; VGPRBlocks: 0
; NumSGPRsForWavesPerEU: 4
; NumVGPRsForWavesPerEU: 1
; AccumOffset: 4
; Occupancy: 8
; WaveLimiterHint : 0
; COMPUTE_PGM_RSRC2:SCRATCH_EN: 0
; COMPUTE_PGM_RSRC2:USER_SGPR: 6
; COMPUTE_PGM_RSRC2:TRAP_HANDLER: 0
; COMPUTE_PGM_RSRC2:TGID_X_EN: 1
; COMPUTE_PGM_RSRC2:TGID_Y_EN: 0
; COMPUTE_PGM_RSRC2:TGID_Z_EN: 0
; COMPUTE_PGM_RSRC2:TIDIG_COMP_CNT: 0
; COMPUTE_PGM_RSRC3_GFX90A:ACCUM_OFFSET: 0
; COMPUTE_PGM_RSRC3_GFX90A:TG_SPLIT: 0
	.section	.text._ZN7rocprim17ROCPRIM_400000_NS6detail31init_lookback_scan_state_kernelINS1_19lookback_scan_stateIjLb0ELb1EEENS1_16block_id_wrapperIjLb0EEEEEvT_jT0_jPNS7_10value_typeE,"axG",@progbits,_ZN7rocprim17ROCPRIM_400000_NS6detail31init_lookback_scan_state_kernelINS1_19lookback_scan_stateIjLb0ELb1EEENS1_16block_id_wrapperIjLb0EEEEEvT_jT0_jPNS7_10value_typeE,comdat
	.protected	_ZN7rocprim17ROCPRIM_400000_NS6detail31init_lookback_scan_state_kernelINS1_19lookback_scan_stateIjLb0ELb1EEENS1_16block_id_wrapperIjLb0EEEEEvT_jT0_jPNS7_10value_typeE ; -- Begin function _ZN7rocprim17ROCPRIM_400000_NS6detail31init_lookback_scan_state_kernelINS1_19lookback_scan_stateIjLb0ELb1EEENS1_16block_id_wrapperIjLb0EEEEEvT_jT0_jPNS7_10value_typeE
	.globl	_ZN7rocprim17ROCPRIM_400000_NS6detail31init_lookback_scan_state_kernelINS1_19lookback_scan_stateIjLb0ELb1EEENS1_16block_id_wrapperIjLb0EEEEEvT_jT0_jPNS7_10value_typeE
	.p2align	8
	.type	_ZN7rocprim17ROCPRIM_400000_NS6detail31init_lookback_scan_state_kernelINS1_19lookback_scan_stateIjLb0ELb1EEENS1_16block_id_wrapperIjLb0EEEEEvT_jT0_jPNS7_10value_typeE,@function
_ZN7rocprim17ROCPRIM_400000_NS6detail31init_lookback_scan_state_kernelINS1_19lookback_scan_stateIjLb0ELb1EEENS1_16block_id_wrapperIjLb0EEEEEvT_jT0_jPNS7_10value_typeE: ; @_ZN7rocprim17ROCPRIM_400000_NS6detail31init_lookback_scan_state_kernelINS1_19lookback_scan_stateIjLb0ELb1EEENS1_16block_id_wrapperIjLb0EEEEEvT_jT0_jPNS7_10value_typeE
; %bb.0:
	s_load_dword s7, s[4:5], 0x2c
	s_load_dwordx2 s[2:3], s[4:5], 0x18
	s_load_dwordx2 s[0:1], s[4:5], 0x0
	s_load_dword s8, s[4:5], 0x8
	s_waitcnt lgkmcnt(0)
	s_and_b32 s7, s7, 0xffff
	s_mul_i32 s6, s6, s7
	s_cmp_eq_u64 s[2:3], 0
	v_add_u32_e32 v0, s6, v0
	s_cbranch_scc1 .LBB47_6
; %bb.1:
	s_load_dword s6, s[4:5], 0x10
	s_mov_b32 s7, 0
	s_waitcnt lgkmcnt(0)
	s_cmp_lt_u32 s6, s8
	s_cselect_b32 s4, s6, 0
	v_cmp_eq_u32_e32 vcc, s4, v0
	s_and_saveexec_b64 s[4:5], vcc
	s_cbranch_execz .LBB47_5
; %bb.2:
	s_add_i32 s6, s6, 64
	s_lshl_b64 s[6:7], s[6:7], 3
	s_add_u32 s6, s0, s6
	s_addc_u32 s7, s1, s7
	v_mov_b32_e32 v4, 0
	global_load_dwordx2 v[2:3], v4, s[6:7] glc
	s_waitcnt vmcnt(0)
	v_and_b32_e32 v5, 0xff, v3
	v_cmp_ne_u64_e32 vcc, 0, v[4:5]
	s_cbranch_vccnz .LBB47_4
.LBB47_3:                               ; =>This Inner Loop Header: Depth=1
	global_load_dwordx2 v[2:3], v4, s[6:7] glc
	s_waitcnt vmcnt(0)
	v_and_b32_e32 v5, 0xff, v3
	v_cmp_eq_u64_e32 vcc, 0, v[4:5]
	s_cbranch_vccnz .LBB47_3
.LBB47_4:
	v_mov_b32_e32 v1, 0
	global_store_dword v1, v2, s[2:3]
.LBB47_5:
	s_or_b64 exec, exec, s[4:5]
.LBB47_6:
	v_cmp_gt_u32_e32 vcc, s8, v0
	s_and_saveexec_b64 s[2:3], vcc
	s_cbranch_execnz .LBB47_9
; %bb.7:
	s_or_b64 exec, exec, s[2:3]
	v_cmp_gt_u32_e32 vcc, 64, v0
	s_and_saveexec_b64 s[2:3], vcc
	s_cbranch_execnz .LBB47_10
.LBB47_8:
	s_endpgm
.LBB47_9:
	v_add_u32_e32 v2, 64, v0
	v_mov_b32_e32 v3, 0
	v_lshlrev_b64 v[4:5], 3, v[2:3]
	v_mov_b32_e32 v1, s1
	v_add_co_u32_e32 v4, vcc, s0, v4
	v_addc_co_u32_e32 v5, vcc, v1, v5, vcc
	v_mov_b32_e32 v2, v3
	global_store_dwordx2 v[4:5], v[2:3], off
	s_or_b64 exec, exec, s[2:3]
	v_cmp_gt_u32_e32 vcc, 64, v0
	s_and_saveexec_b64 s[2:3], vcc
	s_cbranch_execz .LBB47_8
.LBB47_10:
	v_mov_b32_e32 v1, 0
	v_lshlrev_b64 v[2:3], 3, v[0:1]
	v_mov_b32_e32 v0, s1
	v_add_co_u32_e32 v2, vcc, s0, v2
	v_addc_co_u32_e32 v3, vcc, v0, v3, vcc
	v_mov_b32_e32 v5, 0xff
	v_mov_b32_e32 v4, v1
	global_store_dwordx2 v[2:3], v[4:5], off
	s_endpgm
	.section	.rodata,"a",@progbits
	.p2align	6, 0x0
	.amdhsa_kernel _ZN7rocprim17ROCPRIM_400000_NS6detail31init_lookback_scan_state_kernelINS1_19lookback_scan_stateIjLb0ELb1EEENS1_16block_id_wrapperIjLb0EEEEEvT_jT0_jPNS7_10value_typeE
		.amdhsa_group_segment_fixed_size 0
		.amdhsa_private_segment_fixed_size 0
		.amdhsa_kernarg_size 288
		.amdhsa_user_sgpr_count 6
		.amdhsa_user_sgpr_private_segment_buffer 1
		.amdhsa_user_sgpr_dispatch_ptr 0
		.amdhsa_user_sgpr_queue_ptr 0
		.amdhsa_user_sgpr_kernarg_segment_ptr 1
		.amdhsa_user_sgpr_dispatch_id 0
		.amdhsa_user_sgpr_flat_scratch_init 0
		.amdhsa_user_sgpr_kernarg_preload_length 0
		.amdhsa_user_sgpr_kernarg_preload_offset 0
		.amdhsa_user_sgpr_private_segment_size 0
		.amdhsa_uses_dynamic_stack 0
		.amdhsa_system_sgpr_private_segment_wavefront_offset 0
		.amdhsa_system_sgpr_workgroup_id_x 1
		.amdhsa_system_sgpr_workgroup_id_y 0
		.amdhsa_system_sgpr_workgroup_id_z 0
		.amdhsa_system_sgpr_workgroup_info 0
		.amdhsa_system_vgpr_workitem_id 0
		.amdhsa_next_free_vgpr 6
		.amdhsa_next_free_sgpr 9
		.amdhsa_accum_offset 8
		.amdhsa_reserve_vcc 1
		.amdhsa_reserve_flat_scratch 0
		.amdhsa_float_round_mode_32 0
		.amdhsa_float_round_mode_16_64 0
		.amdhsa_float_denorm_mode_32 3
		.amdhsa_float_denorm_mode_16_64 3
		.amdhsa_dx10_clamp 1
		.amdhsa_ieee_mode 1
		.amdhsa_fp16_overflow 0
		.amdhsa_tg_split 0
		.amdhsa_exception_fp_ieee_invalid_op 0
		.amdhsa_exception_fp_denorm_src 0
		.amdhsa_exception_fp_ieee_div_zero 0
		.amdhsa_exception_fp_ieee_overflow 0
		.amdhsa_exception_fp_ieee_underflow 0
		.amdhsa_exception_fp_ieee_inexact 0
		.amdhsa_exception_int_div_zero 0
	.end_amdhsa_kernel
	.section	.text._ZN7rocprim17ROCPRIM_400000_NS6detail31init_lookback_scan_state_kernelINS1_19lookback_scan_stateIjLb0ELb1EEENS1_16block_id_wrapperIjLb0EEEEEvT_jT0_jPNS7_10value_typeE,"axG",@progbits,_ZN7rocprim17ROCPRIM_400000_NS6detail31init_lookback_scan_state_kernelINS1_19lookback_scan_stateIjLb0ELb1EEENS1_16block_id_wrapperIjLb0EEEEEvT_jT0_jPNS7_10value_typeE,comdat
.Lfunc_end47:
	.size	_ZN7rocprim17ROCPRIM_400000_NS6detail31init_lookback_scan_state_kernelINS1_19lookback_scan_stateIjLb0ELb1EEENS1_16block_id_wrapperIjLb0EEEEEvT_jT0_jPNS7_10value_typeE, .Lfunc_end47-_ZN7rocprim17ROCPRIM_400000_NS6detail31init_lookback_scan_state_kernelINS1_19lookback_scan_stateIjLb0ELb1EEENS1_16block_id_wrapperIjLb0EEEEEvT_jT0_jPNS7_10value_typeE
                                        ; -- End function
	.section	.AMDGPU.csdata,"",@progbits
; Kernel info:
; codeLenInByte = 324
; NumSgprs: 13
; NumVgprs: 6
; NumAgprs: 0
; TotalNumVgprs: 6
; ScratchSize: 0
; MemoryBound: 0
; FloatMode: 240
; IeeeMode: 1
; LDSByteSize: 0 bytes/workgroup (compile time only)
; SGPRBlocks: 1
; VGPRBlocks: 0
; NumSGPRsForWavesPerEU: 13
; NumVGPRsForWavesPerEU: 6
; AccumOffset: 8
; Occupancy: 8
; WaveLimiterHint : 0
; COMPUTE_PGM_RSRC2:SCRATCH_EN: 0
; COMPUTE_PGM_RSRC2:USER_SGPR: 6
; COMPUTE_PGM_RSRC2:TRAP_HANDLER: 0
; COMPUTE_PGM_RSRC2:TGID_X_EN: 1
; COMPUTE_PGM_RSRC2:TGID_Y_EN: 0
; COMPUTE_PGM_RSRC2:TGID_Z_EN: 0
; COMPUTE_PGM_RSRC2:TIDIG_COMP_CNT: 0
; COMPUTE_PGM_RSRC3_GFX90A:ACCUM_OFFSET: 1
; COMPUTE_PGM_RSRC3_GFX90A:TG_SPLIT: 0
	.section	.text._ZN7rocprim17ROCPRIM_400000_NS6detail17trampoline_kernelINS0_13select_configILj256ELj13ELNS0_17block_load_methodE3ELS4_3ELS4_3ELNS0_20block_scan_algorithmE0ELj4294967295EEENS1_25partition_config_selectorILNS1_17partition_subalgoE3EjNS0_10empty_typeEbEEZZNS1_14partition_implILS8_3ELb0ES6_jNS0_17counting_iteratorIjlEEPS9_SE_NS0_5tupleIJPjSE_EEENSF_IJSE_SE_EEES9_SG_JZNS1_25segmented_radix_sort_implINS0_14default_configELb1EPKhPhPKlPlN2at6native12_GLOBAL__N_18offset_tEEE10hipError_tPvRmT1_PNSt15iterator_traitsISY_E10value_typeET2_T3_PNSZ_IS14_E10value_typeET4_jRbjT5_S1A_jjP12ihipStream_tbEUljE_EEESV_SW_SX_S14_S18_S1A_T6_T7_T9_mT8_S1C_bDpT10_ENKUlT_T0_E_clISt17integral_constantIbLb0EES1P_EEDaS1K_S1L_EUlS1K_E_NS1_11comp_targetILNS1_3genE0ELNS1_11target_archE4294967295ELNS1_3gpuE0ELNS1_3repE0EEENS1_30default_config_static_selectorELNS0_4arch9wavefront6targetE1EEEvSY_,"axG",@progbits,_ZN7rocprim17ROCPRIM_400000_NS6detail17trampoline_kernelINS0_13select_configILj256ELj13ELNS0_17block_load_methodE3ELS4_3ELS4_3ELNS0_20block_scan_algorithmE0ELj4294967295EEENS1_25partition_config_selectorILNS1_17partition_subalgoE3EjNS0_10empty_typeEbEEZZNS1_14partition_implILS8_3ELb0ES6_jNS0_17counting_iteratorIjlEEPS9_SE_NS0_5tupleIJPjSE_EEENSF_IJSE_SE_EEES9_SG_JZNS1_25segmented_radix_sort_implINS0_14default_configELb1EPKhPhPKlPlN2at6native12_GLOBAL__N_18offset_tEEE10hipError_tPvRmT1_PNSt15iterator_traitsISY_E10value_typeET2_T3_PNSZ_IS14_E10value_typeET4_jRbjT5_S1A_jjP12ihipStream_tbEUljE_EEESV_SW_SX_S14_S18_S1A_T6_T7_T9_mT8_S1C_bDpT10_ENKUlT_T0_E_clISt17integral_constantIbLb0EES1P_EEDaS1K_S1L_EUlS1K_E_NS1_11comp_targetILNS1_3genE0ELNS1_11target_archE4294967295ELNS1_3gpuE0ELNS1_3repE0EEENS1_30default_config_static_selectorELNS0_4arch9wavefront6targetE1EEEvSY_,comdat
	.globl	_ZN7rocprim17ROCPRIM_400000_NS6detail17trampoline_kernelINS0_13select_configILj256ELj13ELNS0_17block_load_methodE3ELS4_3ELS4_3ELNS0_20block_scan_algorithmE0ELj4294967295EEENS1_25partition_config_selectorILNS1_17partition_subalgoE3EjNS0_10empty_typeEbEEZZNS1_14partition_implILS8_3ELb0ES6_jNS0_17counting_iteratorIjlEEPS9_SE_NS0_5tupleIJPjSE_EEENSF_IJSE_SE_EEES9_SG_JZNS1_25segmented_radix_sort_implINS0_14default_configELb1EPKhPhPKlPlN2at6native12_GLOBAL__N_18offset_tEEE10hipError_tPvRmT1_PNSt15iterator_traitsISY_E10value_typeET2_T3_PNSZ_IS14_E10value_typeET4_jRbjT5_S1A_jjP12ihipStream_tbEUljE_EEESV_SW_SX_S14_S18_S1A_T6_T7_T9_mT8_S1C_bDpT10_ENKUlT_T0_E_clISt17integral_constantIbLb0EES1P_EEDaS1K_S1L_EUlS1K_E_NS1_11comp_targetILNS1_3genE0ELNS1_11target_archE4294967295ELNS1_3gpuE0ELNS1_3repE0EEENS1_30default_config_static_selectorELNS0_4arch9wavefront6targetE1EEEvSY_ ; -- Begin function _ZN7rocprim17ROCPRIM_400000_NS6detail17trampoline_kernelINS0_13select_configILj256ELj13ELNS0_17block_load_methodE3ELS4_3ELS4_3ELNS0_20block_scan_algorithmE0ELj4294967295EEENS1_25partition_config_selectorILNS1_17partition_subalgoE3EjNS0_10empty_typeEbEEZZNS1_14partition_implILS8_3ELb0ES6_jNS0_17counting_iteratorIjlEEPS9_SE_NS0_5tupleIJPjSE_EEENSF_IJSE_SE_EEES9_SG_JZNS1_25segmented_radix_sort_implINS0_14default_configELb1EPKhPhPKlPlN2at6native12_GLOBAL__N_18offset_tEEE10hipError_tPvRmT1_PNSt15iterator_traitsISY_E10value_typeET2_T3_PNSZ_IS14_E10value_typeET4_jRbjT5_S1A_jjP12ihipStream_tbEUljE_EEESV_SW_SX_S14_S18_S1A_T6_T7_T9_mT8_S1C_bDpT10_ENKUlT_T0_E_clISt17integral_constantIbLb0EES1P_EEDaS1K_S1L_EUlS1K_E_NS1_11comp_targetILNS1_3genE0ELNS1_11target_archE4294967295ELNS1_3gpuE0ELNS1_3repE0EEENS1_30default_config_static_selectorELNS0_4arch9wavefront6targetE1EEEvSY_
	.p2align	8
	.type	_ZN7rocprim17ROCPRIM_400000_NS6detail17trampoline_kernelINS0_13select_configILj256ELj13ELNS0_17block_load_methodE3ELS4_3ELS4_3ELNS0_20block_scan_algorithmE0ELj4294967295EEENS1_25partition_config_selectorILNS1_17partition_subalgoE3EjNS0_10empty_typeEbEEZZNS1_14partition_implILS8_3ELb0ES6_jNS0_17counting_iteratorIjlEEPS9_SE_NS0_5tupleIJPjSE_EEENSF_IJSE_SE_EEES9_SG_JZNS1_25segmented_radix_sort_implINS0_14default_configELb1EPKhPhPKlPlN2at6native12_GLOBAL__N_18offset_tEEE10hipError_tPvRmT1_PNSt15iterator_traitsISY_E10value_typeET2_T3_PNSZ_IS14_E10value_typeET4_jRbjT5_S1A_jjP12ihipStream_tbEUljE_EEESV_SW_SX_S14_S18_S1A_T6_T7_T9_mT8_S1C_bDpT10_ENKUlT_T0_E_clISt17integral_constantIbLb0EES1P_EEDaS1K_S1L_EUlS1K_E_NS1_11comp_targetILNS1_3genE0ELNS1_11target_archE4294967295ELNS1_3gpuE0ELNS1_3repE0EEENS1_30default_config_static_selectorELNS0_4arch9wavefront6targetE1EEEvSY_,@function
_ZN7rocprim17ROCPRIM_400000_NS6detail17trampoline_kernelINS0_13select_configILj256ELj13ELNS0_17block_load_methodE3ELS4_3ELS4_3ELNS0_20block_scan_algorithmE0ELj4294967295EEENS1_25partition_config_selectorILNS1_17partition_subalgoE3EjNS0_10empty_typeEbEEZZNS1_14partition_implILS8_3ELb0ES6_jNS0_17counting_iteratorIjlEEPS9_SE_NS0_5tupleIJPjSE_EEENSF_IJSE_SE_EEES9_SG_JZNS1_25segmented_radix_sort_implINS0_14default_configELb1EPKhPhPKlPlN2at6native12_GLOBAL__N_18offset_tEEE10hipError_tPvRmT1_PNSt15iterator_traitsISY_E10value_typeET2_T3_PNSZ_IS14_E10value_typeET4_jRbjT5_S1A_jjP12ihipStream_tbEUljE_EEESV_SW_SX_S14_S18_S1A_T6_T7_T9_mT8_S1C_bDpT10_ENKUlT_T0_E_clISt17integral_constantIbLb0EES1P_EEDaS1K_S1L_EUlS1K_E_NS1_11comp_targetILNS1_3genE0ELNS1_11target_archE4294967295ELNS1_3gpuE0ELNS1_3repE0EEENS1_30default_config_static_selectorELNS0_4arch9wavefront6targetE1EEEvSY_: ; @_ZN7rocprim17ROCPRIM_400000_NS6detail17trampoline_kernelINS0_13select_configILj256ELj13ELNS0_17block_load_methodE3ELS4_3ELS4_3ELNS0_20block_scan_algorithmE0ELj4294967295EEENS1_25partition_config_selectorILNS1_17partition_subalgoE3EjNS0_10empty_typeEbEEZZNS1_14partition_implILS8_3ELb0ES6_jNS0_17counting_iteratorIjlEEPS9_SE_NS0_5tupleIJPjSE_EEENSF_IJSE_SE_EEES9_SG_JZNS1_25segmented_radix_sort_implINS0_14default_configELb1EPKhPhPKlPlN2at6native12_GLOBAL__N_18offset_tEEE10hipError_tPvRmT1_PNSt15iterator_traitsISY_E10value_typeET2_T3_PNSZ_IS14_E10value_typeET4_jRbjT5_S1A_jjP12ihipStream_tbEUljE_EEESV_SW_SX_S14_S18_S1A_T6_T7_T9_mT8_S1C_bDpT10_ENKUlT_T0_E_clISt17integral_constantIbLb0EES1P_EEDaS1K_S1L_EUlS1K_E_NS1_11comp_targetILNS1_3genE0ELNS1_11target_archE4294967295ELNS1_3gpuE0ELNS1_3repE0EEENS1_30default_config_static_selectorELNS0_4arch9wavefront6targetE1EEEvSY_
; %bb.0:
	.section	.rodata,"a",@progbits
	.p2align	6, 0x0
	.amdhsa_kernel _ZN7rocprim17ROCPRIM_400000_NS6detail17trampoline_kernelINS0_13select_configILj256ELj13ELNS0_17block_load_methodE3ELS4_3ELS4_3ELNS0_20block_scan_algorithmE0ELj4294967295EEENS1_25partition_config_selectorILNS1_17partition_subalgoE3EjNS0_10empty_typeEbEEZZNS1_14partition_implILS8_3ELb0ES6_jNS0_17counting_iteratorIjlEEPS9_SE_NS0_5tupleIJPjSE_EEENSF_IJSE_SE_EEES9_SG_JZNS1_25segmented_radix_sort_implINS0_14default_configELb1EPKhPhPKlPlN2at6native12_GLOBAL__N_18offset_tEEE10hipError_tPvRmT1_PNSt15iterator_traitsISY_E10value_typeET2_T3_PNSZ_IS14_E10value_typeET4_jRbjT5_S1A_jjP12ihipStream_tbEUljE_EEESV_SW_SX_S14_S18_S1A_T6_T7_T9_mT8_S1C_bDpT10_ENKUlT_T0_E_clISt17integral_constantIbLb0EES1P_EEDaS1K_S1L_EUlS1K_E_NS1_11comp_targetILNS1_3genE0ELNS1_11target_archE4294967295ELNS1_3gpuE0ELNS1_3repE0EEENS1_30default_config_static_selectorELNS0_4arch9wavefront6targetE1EEEvSY_
		.amdhsa_group_segment_fixed_size 0
		.amdhsa_private_segment_fixed_size 0
		.amdhsa_kernarg_size 144
		.amdhsa_user_sgpr_count 6
		.amdhsa_user_sgpr_private_segment_buffer 1
		.amdhsa_user_sgpr_dispatch_ptr 0
		.amdhsa_user_sgpr_queue_ptr 0
		.amdhsa_user_sgpr_kernarg_segment_ptr 1
		.amdhsa_user_sgpr_dispatch_id 0
		.amdhsa_user_sgpr_flat_scratch_init 0
		.amdhsa_user_sgpr_kernarg_preload_length 0
		.amdhsa_user_sgpr_kernarg_preload_offset 0
		.amdhsa_user_sgpr_private_segment_size 0
		.amdhsa_uses_dynamic_stack 0
		.amdhsa_system_sgpr_private_segment_wavefront_offset 0
		.amdhsa_system_sgpr_workgroup_id_x 1
		.amdhsa_system_sgpr_workgroup_id_y 0
		.amdhsa_system_sgpr_workgroup_id_z 0
		.amdhsa_system_sgpr_workgroup_info 0
		.amdhsa_system_vgpr_workitem_id 0
		.amdhsa_next_free_vgpr 1
		.amdhsa_next_free_sgpr 0
		.amdhsa_accum_offset 4
		.amdhsa_reserve_vcc 0
		.amdhsa_reserve_flat_scratch 0
		.amdhsa_float_round_mode_32 0
		.amdhsa_float_round_mode_16_64 0
		.amdhsa_float_denorm_mode_32 3
		.amdhsa_float_denorm_mode_16_64 3
		.amdhsa_dx10_clamp 1
		.amdhsa_ieee_mode 1
		.amdhsa_fp16_overflow 0
		.amdhsa_tg_split 0
		.amdhsa_exception_fp_ieee_invalid_op 0
		.amdhsa_exception_fp_denorm_src 0
		.amdhsa_exception_fp_ieee_div_zero 0
		.amdhsa_exception_fp_ieee_overflow 0
		.amdhsa_exception_fp_ieee_underflow 0
		.amdhsa_exception_fp_ieee_inexact 0
		.amdhsa_exception_int_div_zero 0
	.end_amdhsa_kernel
	.section	.text._ZN7rocprim17ROCPRIM_400000_NS6detail17trampoline_kernelINS0_13select_configILj256ELj13ELNS0_17block_load_methodE3ELS4_3ELS4_3ELNS0_20block_scan_algorithmE0ELj4294967295EEENS1_25partition_config_selectorILNS1_17partition_subalgoE3EjNS0_10empty_typeEbEEZZNS1_14partition_implILS8_3ELb0ES6_jNS0_17counting_iteratorIjlEEPS9_SE_NS0_5tupleIJPjSE_EEENSF_IJSE_SE_EEES9_SG_JZNS1_25segmented_radix_sort_implINS0_14default_configELb1EPKhPhPKlPlN2at6native12_GLOBAL__N_18offset_tEEE10hipError_tPvRmT1_PNSt15iterator_traitsISY_E10value_typeET2_T3_PNSZ_IS14_E10value_typeET4_jRbjT5_S1A_jjP12ihipStream_tbEUljE_EEESV_SW_SX_S14_S18_S1A_T6_T7_T9_mT8_S1C_bDpT10_ENKUlT_T0_E_clISt17integral_constantIbLb0EES1P_EEDaS1K_S1L_EUlS1K_E_NS1_11comp_targetILNS1_3genE0ELNS1_11target_archE4294967295ELNS1_3gpuE0ELNS1_3repE0EEENS1_30default_config_static_selectorELNS0_4arch9wavefront6targetE1EEEvSY_,"axG",@progbits,_ZN7rocprim17ROCPRIM_400000_NS6detail17trampoline_kernelINS0_13select_configILj256ELj13ELNS0_17block_load_methodE3ELS4_3ELS4_3ELNS0_20block_scan_algorithmE0ELj4294967295EEENS1_25partition_config_selectorILNS1_17partition_subalgoE3EjNS0_10empty_typeEbEEZZNS1_14partition_implILS8_3ELb0ES6_jNS0_17counting_iteratorIjlEEPS9_SE_NS0_5tupleIJPjSE_EEENSF_IJSE_SE_EEES9_SG_JZNS1_25segmented_radix_sort_implINS0_14default_configELb1EPKhPhPKlPlN2at6native12_GLOBAL__N_18offset_tEEE10hipError_tPvRmT1_PNSt15iterator_traitsISY_E10value_typeET2_T3_PNSZ_IS14_E10value_typeET4_jRbjT5_S1A_jjP12ihipStream_tbEUljE_EEESV_SW_SX_S14_S18_S1A_T6_T7_T9_mT8_S1C_bDpT10_ENKUlT_T0_E_clISt17integral_constantIbLb0EES1P_EEDaS1K_S1L_EUlS1K_E_NS1_11comp_targetILNS1_3genE0ELNS1_11target_archE4294967295ELNS1_3gpuE0ELNS1_3repE0EEENS1_30default_config_static_selectorELNS0_4arch9wavefront6targetE1EEEvSY_,comdat
.Lfunc_end48:
	.size	_ZN7rocprim17ROCPRIM_400000_NS6detail17trampoline_kernelINS0_13select_configILj256ELj13ELNS0_17block_load_methodE3ELS4_3ELS4_3ELNS0_20block_scan_algorithmE0ELj4294967295EEENS1_25partition_config_selectorILNS1_17partition_subalgoE3EjNS0_10empty_typeEbEEZZNS1_14partition_implILS8_3ELb0ES6_jNS0_17counting_iteratorIjlEEPS9_SE_NS0_5tupleIJPjSE_EEENSF_IJSE_SE_EEES9_SG_JZNS1_25segmented_radix_sort_implINS0_14default_configELb1EPKhPhPKlPlN2at6native12_GLOBAL__N_18offset_tEEE10hipError_tPvRmT1_PNSt15iterator_traitsISY_E10value_typeET2_T3_PNSZ_IS14_E10value_typeET4_jRbjT5_S1A_jjP12ihipStream_tbEUljE_EEESV_SW_SX_S14_S18_S1A_T6_T7_T9_mT8_S1C_bDpT10_ENKUlT_T0_E_clISt17integral_constantIbLb0EES1P_EEDaS1K_S1L_EUlS1K_E_NS1_11comp_targetILNS1_3genE0ELNS1_11target_archE4294967295ELNS1_3gpuE0ELNS1_3repE0EEENS1_30default_config_static_selectorELNS0_4arch9wavefront6targetE1EEEvSY_, .Lfunc_end48-_ZN7rocprim17ROCPRIM_400000_NS6detail17trampoline_kernelINS0_13select_configILj256ELj13ELNS0_17block_load_methodE3ELS4_3ELS4_3ELNS0_20block_scan_algorithmE0ELj4294967295EEENS1_25partition_config_selectorILNS1_17partition_subalgoE3EjNS0_10empty_typeEbEEZZNS1_14partition_implILS8_3ELb0ES6_jNS0_17counting_iteratorIjlEEPS9_SE_NS0_5tupleIJPjSE_EEENSF_IJSE_SE_EEES9_SG_JZNS1_25segmented_radix_sort_implINS0_14default_configELb1EPKhPhPKlPlN2at6native12_GLOBAL__N_18offset_tEEE10hipError_tPvRmT1_PNSt15iterator_traitsISY_E10value_typeET2_T3_PNSZ_IS14_E10value_typeET4_jRbjT5_S1A_jjP12ihipStream_tbEUljE_EEESV_SW_SX_S14_S18_S1A_T6_T7_T9_mT8_S1C_bDpT10_ENKUlT_T0_E_clISt17integral_constantIbLb0EES1P_EEDaS1K_S1L_EUlS1K_E_NS1_11comp_targetILNS1_3genE0ELNS1_11target_archE4294967295ELNS1_3gpuE0ELNS1_3repE0EEENS1_30default_config_static_selectorELNS0_4arch9wavefront6targetE1EEEvSY_
                                        ; -- End function
	.section	.AMDGPU.csdata,"",@progbits
; Kernel info:
; codeLenInByte = 0
; NumSgprs: 4
; NumVgprs: 0
; NumAgprs: 0
; TotalNumVgprs: 0
; ScratchSize: 0
; MemoryBound: 0
; FloatMode: 240
; IeeeMode: 1
; LDSByteSize: 0 bytes/workgroup (compile time only)
; SGPRBlocks: 0
; VGPRBlocks: 0
; NumSGPRsForWavesPerEU: 4
; NumVGPRsForWavesPerEU: 1
; AccumOffset: 4
; Occupancy: 8
; WaveLimiterHint : 0
; COMPUTE_PGM_RSRC2:SCRATCH_EN: 0
; COMPUTE_PGM_RSRC2:USER_SGPR: 6
; COMPUTE_PGM_RSRC2:TRAP_HANDLER: 0
; COMPUTE_PGM_RSRC2:TGID_X_EN: 1
; COMPUTE_PGM_RSRC2:TGID_Y_EN: 0
; COMPUTE_PGM_RSRC2:TGID_Z_EN: 0
; COMPUTE_PGM_RSRC2:TIDIG_COMP_CNT: 0
; COMPUTE_PGM_RSRC3_GFX90A:ACCUM_OFFSET: 0
; COMPUTE_PGM_RSRC3_GFX90A:TG_SPLIT: 0
	.section	.text._ZN7rocprim17ROCPRIM_400000_NS6detail17trampoline_kernelINS0_13select_configILj256ELj13ELNS0_17block_load_methodE3ELS4_3ELS4_3ELNS0_20block_scan_algorithmE0ELj4294967295EEENS1_25partition_config_selectorILNS1_17partition_subalgoE3EjNS0_10empty_typeEbEEZZNS1_14partition_implILS8_3ELb0ES6_jNS0_17counting_iteratorIjlEEPS9_SE_NS0_5tupleIJPjSE_EEENSF_IJSE_SE_EEES9_SG_JZNS1_25segmented_radix_sort_implINS0_14default_configELb1EPKhPhPKlPlN2at6native12_GLOBAL__N_18offset_tEEE10hipError_tPvRmT1_PNSt15iterator_traitsISY_E10value_typeET2_T3_PNSZ_IS14_E10value_typeET4_jRbjT5_S1A_jjP12ihipStream_tbEUljE_EEESV_SW_SX_S14_S18_S1A_T6_T7_T9_mT8_S1C_bDpT10_ENKUlT_T0_E_clISt17integral_constantIbLb0EES1P_EEDaS1K_S1L_EUlS1K_E_NS1_11comp_targetILNS1_3genE5ELNS1_11target_archE942ELNS1_3gpuE9ELNS1_3repE0EEENS1_30default_config_static_selectorELNS0_4arch9wavefront6targetE1EEEvSY_,"axG",@progbits,_ZN7rocprim17ROCPRIM_400000_NS6detail17trampoline_kernelINS0_13select_configILj256ELj13ELNS0_17block_load_methodE3ELS4_3ELS4_3ELNS0_20block_scan_algorithmE0ELj4294967295EEENS1_25partition_config_selectorILNS1_17partition_subalgoE3EjNS0_10empty_typeEbEEZZNS1_14partition_implILS8_3ELb0ES6_jNS0_17counting_iteratorIjlEEPS9_SE_NS0_5tupleIJPjSE_EEENSF_IJSE_SE_EEES9_SG_JZNS1_25segmented_radix_sort_implINS0_14default_configELb1EPKhPhPKlPlN2at6native12_GLOBAL__N_18offset_tEEE10hipError_tPvRmT1_PNSt15iterator_traitsISY_E10value_typeET2_T3_PNSZ_IS14_E10value_typeET4_jRbjT5_S1A_jjP12ihipStream_tbEUljE_EEESV_SW_SX_S14_S18_S1A_T6_T7_T9_mT8_S1C_bDpT10_ENKUlT_T0_E_clISt17integral_constantIbLb0EES1P_EEDaS1K_S1L_EUlS1K_E_NS1_11comp_targetILNS1_3genE5ELNS1_11target_archE942ELNS1_3gpuE9ELNS1_3repE0EEENS1_30default_config_static_selectorELNS0_4arch9wavefront6targetE1EEEvSY_,comdat
	.globl	_ZN7rocprim17ROCPRIM_400000_NS6detail17trampoline_kernelINS0_13select_configILj256ELj13ELNS0_17block_load_methodE3ELS4_3ELS4_3ELNS0_20block_scan_algorithmE0ELj4294967295EEENS1_25partition_config_selectorILNS1_17partition_subalgoE3EjNS0_10empty_typeEbEEZZNS1_14partition_implILS8_3ELb0ES6_jNS0_17counting_iteratorIjlEEPS9_SE_NS0_5tupleIJPjSE_EEENSF_IJSE_SE_EEES9_SG_JZNS1_25segmented_radix_sort_implINS0_14default_configELb1EPKhPhPKlPlN2at6native12_GLOBAL__N_18offset_tEEE10hipError_tPvRmT1_PNSt15iterator_traitsISY_E10value_typeET2_T3_PNSZ_IS14_E10value_typeET4_jRbjT5_S1A_jjP12ihipStream_tbEUljE_EEESV_SW_SX_S14_S18_S1A_T6_T7_T9_mT8_S1C_bDpT10_ENKUlT_T0_E_clISt17integral_constantIbLb0EES1P_EEDaS1K_S1L_EUlS1K_E_NS1_11comp_targetILNS1_3genE5ELNS1_11target_archE942ELNS1_3gpuE9ELNS1_3repE0EEENS1_30default_config_static_selectorELNS0_4arch9wavefront6targetE1EEEvSY_ ; -- Begin function _ZN7rocprim17ROCPRIM_400000_NS6detail17trampoline_kernelINS0_13select_configILj256ELj13ELNS0_17block_load_methodE3ELS4_3ELS4_3ELNS0_20block_scan_algorithmE0ELj4294967295EEENS1_25partition_config_selectorILNS1_17partition_subalgoE3EjNS0_10empty_typeEbEEZZNS1_14partition_implILS8_3ELb0ES6_jNS0_17counting_iteratorIjlEEPS9_SE_NS0_5tupleIJPjSE_EEENSF_IJSE_SE_EEES9_SG_JZNS1_25segmented_radix_sort_implINS0_14default_configELb1EPKhPhPKlPlN2at6native12_GLOBAL__N_18offset_tEEE10hipError_tPvRmT1_PNSt15iterator_traitsISY_E10value_typeET2_T3_PNSZ_IS14_E10value_typeET4_jRbjT5_S1A_jjP12ihipStream_tbEUljE_EEESV_SW_SX_S14_S18_S1A_T6_T7_T9_mT8_S1C_bDpT10_ENKUlT_T0_E_clISt17integral_constantIbLb0EES1P_EEDaS1K_S1L_EUlS1K_E_NS1_11comp_targetILNS1_3genE5ELNS1_11target_archE942ELNS1_3gpuE9ELNS1_3repE0EEENS1_30default_config_static_selectorELNS0_4arch9wavefront6targetE1EEEvSY_
	.p2align	8
	.type	_ZN7rocprim17ROCPRIM_400000_NS6detail17trampoline_kernelINS0_13select_configILj256ELj13ELNS0_17block_load_methodE3ELS4_3ELS4_3ELNS0_20block_scan_algorithmE0ELj4294967295EEENS1_25partition_config_selectorILNS1_17partition_subalgoE3EjNS0_10empty_typeEbEEZZNS1_14partition_implILS8_3ELb0ES6_jNS0_17counting_iteratorIjlEEPS9_SE_NS0_5tupleIJPjSE_EEENSF_IJSE_SE_EEES9_SG_JZNS1_25segmented_radix_sort_implINS0_14default_configELb1EPKhPhPKlPlN2at6native12_GLOBAL__N_18offset_tEEE10hipError_tPvRmT1_PNSt15iterator_traitsISY_E10value_typeET2_T3_PNSZ_IS14_E10value_typeET4_jRbjT5_S1A_jjP12ihipStream_tbEUljE_EEESV_SW_SX_S14_S18_S1A_T6_T7_T9_mT8_S1C_bDpT10_ENKUlT_T0_E_clISt17integral_constantIbLb0EES1P_EEDaS1K_S1L_EUlS1K_E_NS1_11comp_targetILNS1_3genE5ELNS1_11target_archE942ELNS1_3gpuE9ELNS1_3repE0EEENS1_30default_config_static_selectorELNS0_4arch9wavefront6targetE1EEEvSY_,@function
_ZN7rocprim17ROCPRIM_400000_NS6detail17trampoline_kernelINS0_13select_configILj256ELj13ELNS0_17block_load_methodE3ELS4_3ELS4_3ELNS0_20block_scan_algorithmE0ELj4294967295EEENS1_25partition_config_selectorILNS1_17partition_subalgoE3EjNS0_10empty_typeEbEEZZNS1_14partition_implILS8_3ELb0ES6_jNS0_17counting_iteratorIjlEEPS9_SE_NS0_5tupleIJPjSE_EEENSF_IJSE_SE_EEES9_SG_JZNS1_25segmented_radix_sort_implINS0_14default_configELb1EPKhPhPKlPlN2at6native12_GLOBAL__N_18offset_tEEE10hipError_tPvRmT1_PNSt15iterator_traitsISY_E10value_typeET2_T3_PNSZ_IS14_E10value_typeET4_jRbjT5_S1A_jjP12ihipStream_tbEUljE_EEESV_SW_SX_S14_S18_S1A_T6_T7_T9_mT8_S1C_bDpT10_ENKUlT_T0_E_clISt17integral_constantIbLb0EES1P_EEDaS1K_S1L_EUlS1K_E_NS1_11comp_targetILNS1_3genE5ELNS1_11target_archE942ELNS1_3gpuE9ELNS1_3repE0EEENS1_30default_config_static_selectorELNS0_4arch9wavefront6targetE1EEEvSY_: ; @_ZN7rocprim17ROCPRIM_400000_NS6detail17trampoline_kernelINS0_13select_configILj256ELj13ELNS0_17block_load_methodE3ELS4_3ELS4_3ELNS0_20block_scan_algorithmE0ELj4294967295EEENS1_25partition_config_selectorILNS1_17partition_subalgoE3EjNS0_10empty_typeEbEEZZNS1_14partition_implILS8_3ELb0ES6_jNS0_17counting_iteratorIjlEEPS9_SE_NS0_5tupleIJPjSE_EEENSF_IJSE_SE_EEES9_SG_JZNS1_25segmented_radix_sort_implINS0_14default_configELb1EPKhPhPKlPlN2at6native12_GLOBAL__N_18offset_tEEE10hipError_tPvRmT1_PNSt15iterator_traitsISY_E10value_typeET2_T3_PNSZ_IS14_E10value_typeET4_jRbjT5_S1A_jjP12ihipStream_tbEUljE_EEESV_SW_SX_S14_S18_S1A_T6_T7_T9_mT8_S1C_bDpT10_ENKUlT_T0_E_clISt17integral_constantIbLb0EES1P_EEDaS1K_S1L_EUlS1K_E_NS1_11comp_targetILNS1_3genE5ELNS1_11target_archE942ELNS1_3gpuE9ELNS1_3repE0EEENS1_30default_config_static_selectorELNS0_4arch9wavefront6targetE1EEEvSY_
; %bb.0:
	.section	.rodata,"a",@progbits
	.p2align	6, 0x0
	.amdhsa_kernel _ZN7rocprim17ROCPRIM_400000_NS6detail17trampoline_kernelINS0_13select_configILj256ELj13ELNS0_17block_load_methodE3ELS4_3ELS4_3ELNS0_20block_scan_algorithmE0ELj4294967295EEENS1_25partition_config_selectorILNS1_17partition_subalgoE3EjNS0_10empty_typeEbEEZZNS1_14partition_implILS8_3ELb0ES6_jNS0_17counting_iteratorIjlEEPS9_SE_NS0_5tupleIJPjSE_EEENSF_IJSE_SE_EEES9_SG_JZNS1_25segmented_radix_sort_implINS0_14default_configELb1EPKhPhPKlPlN2at6native12_GLOBAL__N_18offset_tEEE10hipError_tPvRmT1_PNSt15iterator_traitsISY_E10value_typeET2_T3_PNSZ_IS14_E10value_typeET4_jRbjT5_S1A_jjP12ihipStream_tbEUljE_EEESV_SW_SX_S14_S18_S1A_T6_T7_T9_mT8_S1C_bDpT10_ENKUlT_T0_E_clISt17integral_constantIbLb0EES1P_EEDaS1K_S1L_EUlS1K_E_NS1_11comp_targetILNS1_3genE5ELNS1_11target_archE942ELNS1_3gpuE9ELNS1_3repE0EEENS1_30default_config_static_selectorELNS0_4arch9wavefront6targetE1EEEvSY_
		.amdhsa_group_segment_fixed_size 0
		.amdhsa_private_segment_fixed_size 0
		.amdhsa_kernarg_size 144
		.amdhsa_user_sgpr_count 6
		.amdhsa_user_sgpr_private_segment_buffer 1
		.amdhsa_user_sgpr_dispatch_ptr 0
		.amdhsa_user_sgpr_queue_ptr 0
		.amdhsa_user_sgpr_kernarg_segment_ptr 1
		.amdhsa_user_sgpr_dispatch_id 0
		.amdhsa_user_sgpr_flat_scratch_init 0
		.amdhsa_user_sgpr_kernarg_preload_length 0
		.amdhsa_user_sgpr_kernarg_preload_offset 0
		.amdhsa_user_sgpr_private_segment_size 0
		.amdhsa_uses_dynamic_stack 0
		.amdhsa_system_sgpr_private_segment_wavefront_offset 0
		.amdhsa_system_sgpr_workgroup_id_x 1
		.amdhsa_system_sgpr_workgroup_id_y 0
		.amdhsa_system_sgpr_workgroup_id_z 0
		.amdhsa_system_sgpr_workgroup_info 0
		.amdhsa_system_vgpr_workitem_id 0
		.amdhsa_next_free_vgpr 1
		.amdhsa_next_free_sgpr 0
		.amdhsa_accum_offset 4
		.amdhsa_reserve_vcc 0
		.amdhsa_reserve_flat_scratch 0
		.amdhsa_float_round_mode_32 0
		.amdhsa_float_round_mode_16_64 0
		.amdhsa_float_denorm_mode_32 3
		.amdhsa_float_denorm_mode_16_64 3
		.amdhsa_dx10_clamp 1
		.amdhsa_ieee_mode 1
		.amdhsa_fp16_overflow 0
		.amdhsa_tg_split 0
		.amdhsa_exception_fp_ieee_invalid_op 0
		.amdhsa_exception_fp_denorm_src 0
		.amdhsa_exception_fp_ieee_div_zero 0
		.amdhsa_exception_fp_ieee_overflow 0
		.amdhsa_exception_fp_ieee_underflow 0
		.amdhsa_exception_fp_ieee_inexact 0
		.amdhsa_exception_int_div_zero 0
	.end_amdhsa_kernel
	.section	.text._ZN7rocprim17ROCPRIM_400000_NS6detail17trampoline_kernelINS0_13select_configILj256ELj13ELNS0_17block_load_methodE3ELS4_3ELS4_3ELNS0_20block_scan_algorithmE0ELj4294967295EEENS1_25partition_config_selectorILNS1_17partition_subalgoE3EjNS0_10empty_typeEbEEZZNS1_14partition_implILS8_3ELb0ES6_jNS0_17counting_iteratorIjlEEPS9_SE_NS0_5tupleIJPjSE_EEENSF_IJSE_SE_EEES9_SG_JZNS1_25segmented_radix_sort_implINS0_14default_configELb1EPKhPhPKlPlN2at6native12_GLOBAL__N_18offset_tEEE10hipError_tPvRmT1_PNSt15iterator_traitsISY_E10value_typeET2_T3_PNSZ_IS14_E10value_typeET4_jRbjT5_S1A_jjP12ihipStream_tbEUljE_EEESV_SW_SX_S14_S18_S1A_T6_T7_T9_mT8_S1C_bDpT10_ENKUlT_T0_E_clISt17integral_constantIbLb0EES1P_EEDaS1K_S1L_EUlS1K_E_NS1_11comp_targetILNS1_3genE5ELNS1_11target_archE942ELNS1_3gpuE9ELNS1_3repE0EEENS1_30default_config_static_selectorELNS0_4arch9wavefront6targetE1EEEvSY_,"axG",@progbits,_ZN7rocprim17ROCPRIM_400000_NS6detail17trampoline_kernelINS0_13select_configILj256ELj13ELNS0_17block_load_methodE3ELS4_3ELS4_3ELNS0_20block_scan_algorithmE0ELj4294967295EEENS1_25partition_config_selectorILNS1_17partition_subalgoE3EjNS0_10empty_typeEbEEZZNS1_14partition_implILS8_3ELb0ES6_jNS0_17counting_iteratorIjlEEPS9_SE_NS0_5tupleIJPjSE_EEENSF_IJSE_SE_EEES9_SG_JZNS1_25segmented_radix_sort_implINS0_14default_configELb1EPKhPhPKlPlN2at6native12_GLOBAL__N_18offset_tEEE10hipError_tPvRmT1_PNSt15iterator_traitsISY_E10value_typeET2_T3_PNSZ_IS14_E10value_typeET4_jRbjT5_S1A_jjP12ihipStream_tbEUljE_EEESV_SW_SX_S14_S18_S1A_T6_T7_T9_mT8_S1C_bDpT10_ENKUlT_T0_E_clISt17integral_constantIbLb0EES1P_EEDaS1K_S1L_EUlS1K_E_NS1_11comp_targetILNS1_3genE5ELNS1_11target_archE942ELNS1_3gpuE9ELNS1_3repE0EEENS1_30default_config_static_selectorELNS0_4arch9wavefront6targetE1EEEvSY_,comdat
.Lfunc_end49:
	.size	_ZN7rocprim17ROCPRIM_400000_NS6detail17trampoline_kernelINS0_13select_configILj256ELj13ELNS0_17block_load_methodE3ELS4_3ELS4_3ELNS0_20block_scan_algorithmE0ELj4294967295EEENS1_25partition_config_selectorILNS1_17partition_subalgoE3EjNS0_10empty_typeEbEEZZNS1_14partition_implILS8_3ELb0ES6_jNS0_17counting_iteratorIjlEEPS9_SE_NS0_5tupleIJPjSE_EEENSF_IJSE_SE_EEES9_SG_JZNS1_25segmented_radix_sort_implINS0_14default_configELb1EPKhPhPKlPlN2at6native12_GLOBAL__N_18offset_tEEE10hipError_tPvRmT1_PNSt15iterator_traitsISY_E10value_typeET2_T3_PNSZ_IS14_E10value_typeET4_jRbjT5_S1A_jjP12ihipStream_tbEUljE_EEESV_SW_SX_S14_S18_S1A_T6_T7_T9_mT8_S1C_bDpT10_ENKUlT_T0_E_clISt17integral_constantIbLb0EES1P_EEDaS1K_S1L_EUlS1K_E_NS1_11comp_targetILNS1_3genE5ELNS1_11target_archE942ELNS1_3gpuE9ELNS1_3repE0EEENS1_30default_config_static_selectorELNS0_4arch9wavefront6targetE1EEEvSY_, .Lfunc_end49-_ZN7rocprim17ROCPRIM_400000_NS6detail17trampoline_kernelINS0_13select_configILj256ELj13ELNS0_17block_load_methodE3ELS4_3ELS4_3ELNS0_20block_scan_algorithmE0ELj4294967295EEENS1_25partition_config_selectorILNS1_17partition_subalgoE3EjNS0_10empty_typeEbEEZZNS1_14partition_implILS8_3ELb0ES6_jNS0_17counting_iteratorIjlEEPS9_SE_NS0_5tupleIJPjSE_EEENSF_IJSE_SE_EEES9_SG_JZNS1_25segmented_radix_sort_implINS0_14default_configELb1EPKhPhPKlPlN2at6native12_GLOBAL__N_18offset_tEEE10hipError_tPvRmT1_PNSt15iterator_traitsISY_E10value_typeET2_T3_PNSZ_IS14_E10value_typeET4_jRbjT5_S1A_jjP12ihipStream_tbEUljE_EEESV_SW_SX_S14_S18_S1A_T6_T7_T9_mT8_S1C_bDpT10_ENKUlT_T0_E_clISt17integral_constantIbLb0EES1P_EEDaS1K_S1L_EUlS1K_E_NS1_11comp_targetILNS1_3genE5ELNS1_11target_archE942ELNS1_3gpuE9ELNS1_3repE0EEENS1_30default_config_static_selectorELNS0_4arch9wavefront6targetE1EEEvSY_
                                        ; -- End function
	.section	.AMDGPU.csdata,"",@progbits
; Kernel info:
; codeLenInByte = 0
; NumSgprs: 4
; NumVgprs: 0
; NumAgprs: 0
; TotalNumVgprs: 0
; ScratchSize: 0
; MemoryBound: 0
; FloatMode: 240
; IeeeMode: 1
; LDSByteSize: 0 bytes/workgroup (compile time only)
; SGPRBlocks: 0
; VGPRBlocks: 0
; NumSGPRsForWavesPerEU: 4
; NumVGPRsForWavesPerEU: 1
; AccumOffset: 4
; Occupancy: 8
; WaveLimiterHint : 0
; COMPUTE_PGM_RSRC2:SCRATCH_EN: 0
; COMPUTE_PGM_RSRC2:USER_SGPR: 6
; COMPUTE_PGM_RSRC2:TRAP_HANDLER: 0
; COMPUTE_PGM_RSRC2:TGID_X_EN: 1
; COMPUTE_PGM_RSRC2:TGID_Y_EN: 0
; COMPUTE_PGM_RSRC2:TGID_Z_EN: 0
; COMPUTE_PGM_RSRC2:TIDIG_COMP_CNT: 0
; COMPUTE_PGM_RSRC3_GFX90A:ACCUM_OFFSET: 0
; COMPUTE_PGM_RSRC3_GFX90A:TG_SPLIT: 0
	.section	.text._ZN7rocprim17ROCPRIM_400000_NS6detail17trampoline_kernelINS0_13select_configILj256ELj13ELNS0_17block_load_methodE3ELS4_3ELS4_3ELNS0_20block_scan_algorithmE0ELj4294967295EEENS1_25partition_config_selectorILNS1_17partition_subalgoE3EjNS0_10empty_typeEbEEZZNS1_14partition_implILS8_3ELb0ES6_jNS0_17counting_iteratorIjlEEPS9_SE_NS0_5tupleIJPjSE_EEENSF_IJSE_SE_EEES9_SG_JZNS1_25segmented_radix_sort_implINS0_14default_configELb1EPKhPhPKlPlN2at6native12_GLOBAL__N_18offset_tEEE10hipError_tPvRmT1_PNSt15iterator_traitsISY_E10value_typeET2_T3_PNSZ_IS14_E10value_typeET4_jRbjT5_S1A_jjP12ihipStream_tbEUljE_EEESV_SW_SX_S14_S18_S1A_T6_T7_T9_mT8_S1C_bDpT10_ENKUlT_T0_E_clISt17integral_constantIbLb0EES1P_EEDaS1K_S1L_EUlS1K_E_NS1_11comp_targetILNS1_3genE4ELNS1_11target_archE910ELNS1_3gpuE8ELNS1_3repE0EEENS1_30default_config_static_selectorELNS0_4arch9wavefront6targetE1EEEvSY_,"axG",@progbits,_ZN7rocprim17ROCPRIM_400000_NS6detail17trampoline_kernelINS0_13select_configILj256ELj13ELNS0_17block_load_methodE3ELS4_3ELS4_3ELNS0_20block_scan_algorithmE0ELj4294967295EEENS1_25partition_config_selectorILNS1_17partition_subalgoE3EjNS0_10empty_typeEbEEZZNS1_14partition_implILS8_3ELb0ES6_jNS0_17counting_iteratorIjlEEPS9_SE_NS0_5tupleIJPjSE_EEENSF_IJSE_SE_EEES9_SG_JZNS1_25segmented_radix_sort_implINS0_14default_configELb1EPKhPhPKlPlN2at6native12_GLOBAL__N_18offset_tEEE10hipError_tPvRmT1_PNSt15iterator_traitsISY_E10value_typeET2_T3_PNSZ_IS14_E10value_typeET4_jRbjT5_S1A_jjP12ihipStream_tbEUljE_EEESV_SW_SX_S14_S18_S1A_T6_T7_T9_mT8_S1C_bDpT10_ENKUlT_T0_E_clISt17integral_constantIbLb0EES1P_EEDaS1K_S1L_EUlS1K_E_NS1_11comp_targetILNS1_3genE4ELNS1_11target_archE910ELNS1_3gpuE8ELNS1_3repE0EEENS1_30default_config_static_selectorELNS0_4arch9wavefront6targetE1EEEvSY_,comdat
	.globl	_ZN7rocprim17ROCPRIM_400000_NS6detail17trampoline_kernelINS0_13select_configILj256ELj13ELNS0_17block_load_methodE3ELS4_3ELS4_3ELNS0_20block_scan_algorithmE0ELj4294967295EEENS1_25partition_config_selectorILNS1_17partition_subalgoE3EjNS0_10empty_typeEbEEZZNS1_14partition_implILS8_3ELb0ES6_jNS0_17counting_iteratorIjlEEPS9_SE_NS0_5tupleIJPjSE_EEENSF_IJSE_SE_EEES9_SG_JZNS1_25segmented_radix_sort_implINS0_14default_configELb1EPKhPhPKlPlN2at6native12_GLOBAL__N_18offset_tEEE10hipError_tPvRmT1_PNSt15iterator_traitsISY_E10value_typeET2_T3_PNSZ_IS14_E10value_typeET4_jRbjT5_S1A_jjP12ihipStream_tbEUljE_EEESV_SW_SX_S14_S18_S1A_T6_T7_T9_mT8_S1C_bDpT10_ENKUlT_T0_E_clISt17integral_constantIbLb0EES1P_EEDaS1K_S1L_EUlS1K_E_NS1_11comp_targetILNS1_3genE4ELNS1_11target_archE910ELNS1_3gpuE8ELNS1_3repE0EEENS1_30default_config_static_selectorELNS0_4arch9wavefront6targetE1EEEvSY_ ; -- Begin function _ZN7rocprim17ROCPRIM_400000_NS6detail17trampoline_kernelINS0_13select_configILj256ELj13ELNS0_17block_load_methodE3ELS4_3ELS4_3ELNS0_20block_scan_algorithmE0ELj4294967295EEENS1_25partition_config_selectorILNS1_17partition_subalgoE3EjNS0_10empty_typeEbEEZZNS1_14partition_implILS8_3ELb0ES6_jNS0_17counting_iteratorIjlEEPS9_SE_NS0_5tupleIJPjSE_EEENSF_IJSE_SE_EEES9_SG_JZNS1_25segmented_radix_sort_implINS0_14default_configELb1EPKhPhPKlPlN2at6native12_GLOBAL__N_18offset_tEEE10hipError_tPvRmT1_PNSt15iterator_traitsISY_E10value_typeET2_T3_PNSZ_IS14_E10value_typeET4_jRbjT5_S1A_jjP12ihipStream_tbEUljE_EEESV_SW_SX_S14_S18_S1A_T6_T7_T9_mT8_S1C_bDpT10_ENKUlT_T0_E_clISt17integral_constantIbLb0EES1P_EEDaS1K_S1L_EUlS1K_E_NS1_11comp_targetILNS1_3genE4ELNS1_11target_archE910ELNS1_3gpuE8ELNS1_3repE0EEENS1_30default_config_static_selectorELNS0_4arch9wavefront6targetE1EEEvSY_
	.p2align	8
	.type	_ZN7rocprim17ROCPRIM_400000_NS6detail17trampoline_kernelINS0_13select_configILj256ELj13ELNS0_17block_load_methodE3ELS4_3ELS4_3ELNS0_20block_scan_algorithmE0ELj4294967295EEENS1_25partition_config_selectorILNS1_17partition_subalgoE3EjNS0_10empty_typeEbEEZZNS1_14partition_implILS8_3ELb0ES6_jNS0_17counting_iteratorIjlEEPS9_SE_NS0_5tupleIJPjSE_EEENSF_IJSE_SE_EEES9_SG_JZNS1_25segmented_radix_sort_implINS0_14default_configELb1EPKhPhPKlPlN2at6native12_GLOBAL__N_18offset_tEEE10hipError_tPvRmT1_PNSt15iterator_traitsISY_E10value_typeET2_T3_PNSZ_IS14_E10value_typeET4_jRbjT5_S1A_jjP12ihipStream_tbEUljE_EEESV_SW_SX_S14_S18_S1A_T6_T7_T9_mT8_S1C_bDpT10_ENKUlT_T0_E_clISt17integral_constantIbLb0EES1P_EEDaS1K_S1L_EUlS1K_E_NS1_11comp_targetILNS1_3genE4ELNS1_11target_archE910ELNS1_3gpuE8ELNS1_3repE0EEENS1_30default_config_static_selectorELNS0_4arch9wavefront6targetE1EEEvSY_,@function
_ZN7rocprim17ROCPRIM_400000_NS6detail17trampoline_kernelINS0_13select_configILj256ELj13ELNS0_17block_load_methodE3ELS4_3ELS4_3ELNS0_20block_scan_algorithmE0ELj4294967295EEENS1_25partition_config_selectorILNS1_17partition_subalgoE3EjNS0_10empty_typeEbEEZZNS1_14partition_implILS8_3ELb0ES6_jNS0_17counting_iteratorIjlEEPS9_SE_NS0_5tupleIJPjSE_EEENSF_IJSE_SE_EEES9_SG_JZNS1_25segmented_radix_sort_implINS0_14default_configELb1EPKhPhPKlPlN2at6native12_GLOBAL__N_18offset_tEEE10hipError_tPvRmT1_PNSt15iterator_traitsISY_E10value_typeET2_T3_PNSZ_IS14_E10value_typeET4_jRbjT5_S1A_jjP12ihipStream_tbEUljE_EEESV_SW_SX_S14_S18_S1A_T6_T7_T9_mT8_S1C_bDpT10_ENKUlT_T0_E_clISt17integral_constantIbLb0EES1P_EEDaS1K_S1L_EUlS1K_E_NS1_11comp_targetILNS1_3genE4ELNS1_11target_archE910ELNS1_3gpuE8ELNS1_3repE0EEENS1_30default_config_static_selectorELNS0_4arch9wavefront6targetE1EEEvSY_: ; @_ZN7rocprim17ROCPRIM_400000_NS6detail17trampoline_kernelINS0_13select_configILj256ELj13ELNS0_17block_load_methodE3ELS4_3ELS4_3ELNS0_20block_scan_algorithmE0ELj4294967295EEENS1_25partition_config_selectorILNS1_17partition_subalgoE3EjNS0_10empty_typeEbEEZZNS1_14partition_implILS8_3ELb0ES6_jNS0_17counting_iteratorIjlEEPS9_SE_NS0_5tupleIJPjSE_EEENSF_IJSE_SE_EEES9_SG_JZNS1_25segmented_radix_sort_implINS0_14default_configELb1EPKhPhPKlPlN2at6native12_GLOBAL__N_18offset_tEEE10hipError_tPvRmT1_PNSt15iterator_traitsISY_E10value_typeET2_T3_PNSZ_IS14_E10value_typeET4_jRbjT5_S1A_jjP12ihipStream_tbEUljE_EEESV_SW_SX_S14_S18_S1A_T6_T7_T9_mT8_S1C_bDpT10_ENKUlT_T0_E_clISt17integral_constantIbLb0EES1P_EEDaS1K_S1L_EUlS1K_E_NS1_11comp_targetILNS1_3genE4ELNS1_11target_archE910ELNS1_3gpuE8ELNS1_3repE0EEENS1_30default_config_static_selectorELNS0_4arch9wavefront6targetE1EEEvSY_
; %bb.0:
	s_load_dwordx2 s[26:27], s[4:5], 0x58
	s_load_dwordx4 s[20:23], s[4:5], 0x48
	s_load_dword s13, s[4:5], 0x8
	s_load_dwordx2 s[28:29], s[4:5], 0x10
	s_load_dword s12, s[4:5], 0x70
	s_load_dword s7, s[4:5], 0x88
	s_load_dwordx4 s[8:11], s[4:5], 0x78
	s_waitcnt lgkmcnt(0)
	s_load_dwordx2 s[30:31], s[22:23], 0x0
	v_pk_mov_b32 v[2:3], s[26:27], s[26:27] op_sel:[0,1]
	s_add_i32 s2, s12, -1
	s_mulk_i32 s12, 0xd00
	s_add_u32 s0, s28, s12
	s_addc_u32 s1, s29, 0
	s_cmp_eq_u32 s6, s2
	s_cselect_b64 s[22:23], -1, 0
	s_cmp_lg_u32 s6, s2
	s_mul_i32 s42, s6, 0xd00
	v_cmp_lt_u64_e32 vcc, s[0:1], v[2:3]
	s_cselect_b64 s[0:1], -1, 0
	s_or_b64 s[2:3], s[0:1], vcc
	s_add_i32 s0, s13, s42
	s_add_i32 s0, s0, s28
	v_add_u32_e32 v2, s0, v0
	s_mov_b64 s[0:1], -1
	s_and_b64 vcc, exec, s[2:3]
	v_lshlrev_b32_e32 v1, 2, v0
	s_cbranch_vccz .LBB50_2
; %bb.1:
	v_add_u32_e32 v3, 0x100, v2
	v_add_u32_e32 v4, 0x200, v2
	;; [unrolled: 1-line block ×12, first 2 shown]
	ds_write2st64_b32 v1, v2, v3 offset1:4
	ds_write2st64_b32 v1, v4, v5 offset0:8 offset1:12
	ds_write2st64_b32 v1, v6, v7 offset0:16 offset1:20
	;; [unrolled: 1-line block ×5, first 2 shown]
	ds_write_b32 v1, v14 offset:12288
	s_waitcnt lgkmcnt(0)
	s_barrier
	s_mov_b64 s[0:1], 0
.LBB50_2:
	s_andn2_b64 vcc, exec, s[0:1]
	s_add_i32 s12, s12, s28
	s_cbranch_vccnz .LBB50_4
; %bb.3:
	v_add_u32_e32 v3, 0x100, v2
	v_add_u32_e32 v4, 0x200, v2
	;; [unrolled: 1-line block ×12, first 2 shown]
	ds_write2st64_b32 v1, v2, v3 offset1:4
	ds_write2st64_b32 v1, v4, v5 offset0:8 offset1:12
	ds_write2st64_b32 v1, v6, v7 offset0:16 offset1:20
	;; [unrolled: 1-line block ×5, first 2 shown]
	ds_write_b32 v1, v14 offset:12288
	s_waitcnt lgkmcnt(0)
	s_barrier
.LBB50_4:
	v_mul_u32_u24_e32 v33, 13, v0
	v_lshlrev_b32_e32 v2, 2, v33
	s_waitcnt lgkmcnt(0)
	ds_read2_b32 v[30:31], v2 offset1:1
	ds_read2_b32 v[28:29], v2 offset0:2 offset1:3
	ds_read2_b32 v[26:27], v2 offset0:4 offset1:5
	;; [unrolled: 1-line block ×5, first 2 shown]
	ds_read_b32 v32, v2 offset:48
	v_cndmask_b32_e64 v2, 0, 1, s[2:3]
	s_sub_i32 s33, s26, s12
	v_cmp_ne_u32_e64 s[0:1], 1, v2
	s_andn2_b64 vcc, exec, s[2:3]
	s_waitcnt lgkmcnt(0)
	s_barrier
	s_cbranch_vccnz .LBB50_6
; %bb.5:
	v_add_u32_e32 v2, s9, v30
	v_add_u32_e32 v3, s11, v30
	v_mul_lo_u32 v2, v2, s8
	v_mul_lo_u32 v3, v3, s10
	v_sub_u32_e32 v2, v2, v3
	v_add_u32_e32 v3, s9, v31
	v_add_u32_e32 v4, s11, v31
	v_mul_lo_u32 v3, v3, s8
	v_mul_lo_u32 v4, v4, s10
	v_sub_u32_e32 v3, v3, v4
	;; [unrolled: 5-line block ×6, first 2 shown]
	v_add_u32_e32 v8, s9, v24
	v_add_u32_e32 v9, s11, v24
	v_mul_lo_u32 v8, v8, s8
	v_mul_lo_u32 v9, v9, s10
	v_cmp_lt_u32_e32 vcc, s7, v2
	v_sub_u32_e32 v8, v8, v9
	v_add_u32_e32 v9, s9, v25
	v_add_u32_e32 v10, s11, v25
	v_cndmask_b32_e64 v2, 0, 1, vcc
	v_cmp_lt_u32_e32 vcc, s7, v3
	v_mul_lo_u32 v9, v9, s8
	v_mul_lo_u32 v10, v10, s10
	v_cndmask_b32_e64 v3, 0, 1, vcc
	v_cmp_lt_u32_e32 vcc, s7, v4
	v_sub_u32_e32 v9, v9, v10
	v_add_u32_e32 v10, s9, v22
	v_add_u32_e32 v11, s11, v22
	v_cndmask_b32_e64 v4, 0, 1, vcc
	v_cmp_lt_u32_e32 vcc, s7, v5
	v_mul_lo_u32 v10, v10, s8
	v_mul_lo_u32 v11, v11, s10
	v_cndmask_b32_e64 v5, 0, 1, vcc
	;; [unrolled: 9-line block ×4, first 2 shown]
	v_cmp_lt_u32_e32 vcc, s7, v10
	v_sub_u32_e32 v12, v12, v13
	v_add_u32_e32 v13, s9, v21
	v_add_u32_e32 v14, s11, v21
	v_lshlrev_b16_e32 v3, 8, v3
	v_cndmask_b32_e64 v10, 0, 1, vcc
	v_cmp_lt_u32_e32 vcc, s7, v11
	v_mul_lo_u32 v13, v13, s8
	v_mul_lo_u32 v14, v14, s10
	v_or_b32_e32 v2, v2, v3
	v_lshlrev_b16_e32 v3, 8, v5
	v_cndmask_b32_e64 v11, 0, 1, vcc
	v_cmp_lt_u32_e32 vcc, s7, v12
	v_sub_u32_e32 v13, v13, v14
	v_or_b32_sdwa v3, v4, v3 dst_sel:WORD_1 dst_unused:UNUSED_PAD src0_sel:DWORD src1_sel:DWORD
	v_cndmask_b32_e64 v12, 0, 1, vcc
	v_cmp_lt_u32_e32 vcc, s7, v13
	v_add_u32_e32 v14, s9, v32
	v_add_u32_e32 v15, s11, v32
	v_or_b32_sdwa v37, v2, v3 dst_sel:DWORD dst_unused:UNUSED_PAD src0_sel:WORD_0 src1_sel:DWORD
	v_lshlrev_b16_e32 v2, 8, v7
	v_lshlrev_b16_e32 v3, 8, v9
	v_cndmask_b32_e64 v13, 0, 1, vcc
	v_mul_lo_u32 v14, v14, s8
	v_mul_lo_u32 v15, v15, s10
	v_or_b32_e32 v2, v6, v2
	v_or_b32_sdwa v3, v8, v3 dst_sel:WORD_1 dst_unused:UNUSED_PAD src0_sel:DWORD src1_sel:DWORD
	v_sub_u32_e32 v14, v14, v15
	v_or_b32_sdwa v36, v2, v3 dst_sel:DWORD dst_unused:UNUSED_PAD src0_sel:WORD_0 src1_sel:DWORD
	v_lshlrev_b16_e32 v2, 8, v11
	v_lshlrev_b16_e32 v3, 8, v13
	v_cmp_lt_u32_e32 vcc, s7, v14
	v_or_b32_e32 v2, v10, v2
	v_or_b32_sdwa v3, v12, v3 dst_sel:WORD_1 dst_unused:UNUSED_PAD src0_sel:DWORD src1_sel:DWORD
	v_cndmask_b32_e64 v34, 0, 1, vcc
	v_or_b32_sdwa v35, v2, v3 dst_sel:DWORD dst_unused:UNUSED_PAD src0_sel:WORD_0 src1_sel:DWORD
	s_mov_b64 s[2:3], 0
	s_branch .LBB50_7
.LBB50_6:
	s_mov_b64 s[2:3], -1
                                        ; implicit-def: $vgpr34
                                        ; implicit-def: $vgpr35
                                        ; implicit-def: $vgpr36
                                        ; implicit-def: $vgpr37
.LBB50_7:
	s_load_dwordx2 s[24:25], s[4:5], 0x28
	s_load_dwordx2 s[34:35], s[4:5], 0x68
	s_andn2_b64 vcc, exec, s[2:3]
	s_addk_i32 s33, 0xd00
	s_cbranch_vccnz .LBB50_35
; %bb.8:
	v_cmp_gt_u32_e32 vcc, s33, v33
	v_mov_b32_e32 v3, 0
	v_mov_b32_e32 v2, 0
	s_and_saveexec_b64 s[2:3], vcc
; %bb.9:
	v_add_u32_e32 v2, s9, v30
	v_add_u32_e32 v4, s11, v30
	v_mul_lo_u32 v2, v2, s8
	v_mul_lo_u32 v4, v4, s10
	v_sub_u32_e32 v2, v2, v4
	v_cmp_lt_u32_e32 vcc, s7, v2
	v_cndmask_b32_e64 v2, 0, 1, vcc
; %bb.10:
	s_or_b64 exec, exec, s[2:3]
	v_add_u32_e32 v4, 1, v33
	v_cmp_gt_u32_e32 vcc, s33, v4
	s_and_saveexec_b64 s[2:3], vcc
; %bb.11:
	v_add_u32_e32 v3, s9, v31
	v_add_u32_e32 v4, s11, v31
	v_mul_lo_u32 v3, v3, s8
	v_mul_lo_u32 v4, v4, s10
	v_sub_u32_e32 v3, v3, v4
	v_cmp_lt_u32_e32 vcc, s7, v3
	v_cndmask_b32_e64 v3, 0, 1, vcc
; %bb.12:
	s_or_b64 exec, exec, s[2:3]
	v_add_u32_e32 v4, 2, v33
	v_cmp_gt_u32_e32 vcc, s33, v4
	v_mov_b32_e32 v5, 0
	v_mov_b32_e32 v4, 0
	s_and_saveexec_b64 s[2:3], vcc
; %bb.13:
	v_add_u32_e32 v4, s9, v28
	v_add_u32_e32 v6, s11, v28
	v_mul_lo_u32 v4, v4, s8
	v_mul_lo_u32 v6, v6, s10
	v_sub_u32_e32 v4, v4, v6
	v_cmp_lt_u32_e32 vcc, s7, v4
	v_cndmask_b32_e64 v4, 0, 1, vcc
; %bb.14:
	s_or_b64 exec, exec, s[2:3]
	v_add_u32_e32 v6, 3, v33
	v_cmp_gt_u32_e32 vcc, s33, v6
	s_and_saveexec_b64 s[2:3], vcc
; %bb.15:
	v_add_u32_e32 v5, s9, v29
	v_add_u32_e32 v6, s11, v29
	v_mul_lo_u32 v5, v5, s8
	v_mul_lo_u32 v6, v6, s10
	v_sub_u32_e32 v5, v5, v6
	v_cmp_lt_u32_e32 vcc, s7, v5
	v_cndmask_b32_e64 v5, 0, 1, vcc
; %bb.16:
	s_or_b64 exec, exec, s[2:3]
	v_add_u32_e32 v6, 4, v33
	v_cmp_gt_u32_e32 vcc, s33, v6
	v_mov_b32_e32 v7, 0
	v_mov_b32_e32 v6, 0
	s_and_saveexec_b64 s[2:3], vcc
; %bb.17:
	v_add_u32_e32 v6, s9, v26
	v_add_u32_e32 v8, s11, v26
	v_mul_lo_u32 v6, v6, s8
	v_mul_lo_u32 v8, v8, s10
	v_sub_u32_e32 v6, v6, v8
	v_cmp_lt_u32_e32 vcc, s7, v6
	v_cndmask_b32_e64 v6, 0, 1, vcc
; %bb.18:
	s_or_b64 exec, exec, s[2:3]
	v_add_u32_e32 v8, 5, v33
	v_cmp_gt_u32_e32 vcc, s33, v8
	s_and_saveexec_b64 s[2:3], vcc
; %bb.19:
	v_add_u32_e32 v7, s9, v27
	v_add_u32_e32 v8, s11, v27
	v_mul_lo_u32 v7, v7, s8
	v_mul_lo_u32 v8, v8, s10
	v_sub_u32_e32 v7, v7, v8
	v_cmp_lt_u32_e32 vcc, s7, v7
	v_cndmask_b32_e64 v7, 0, 1, vcc
; %bb.20:
	s_or_b64 exec, exec, s[2:3]
	v_add_u32_e32 v8, 6, v33
	v_cmp_gt_u32_e32 vcc, s33, v8
	v_mov_b32_e32 v9, 0
	v_mov_b32_e32 v8, 0
	s_and_saveexec_b64 s[2:3], vcc
; %bb.21:
	v_add_u32_e32 v8, s9, v24
	v_add_u32_e32 v10, s11, v24
	v_mul_lo_u32 v8, v8, s8
	v_mul_lo_u32 v10, v10, s10
	v_sub_u32_e32 v8, v8, v10
	v_cmp_lt_u32_e32 vcc, s7, v8
	v_cndmask_b32_e64 v8, 0, 1, vcc
; %bb.22:
	s_or_b64 exec, exec, s[2:3]
	v_add_u32_e32 v10, 7, v33
	v_cmp_gt_u32_e32 vcc, s33, v10
	s_and_saveexec_b64 s[2:3], vcc
; %bb.23:
	v_add_u32_e32 v9, s9, v25
	v_add_u32_e32 v10, s11, v25
	v_mul_lo_u32 v9, v9, s8
	v_mul_lo_u32 v10, v10, s10
	v_sub_u32_e32 v9, v9, v10
	v_cmp_lt_u32_e32 vcc, s7, v9
	v_cndmask_b32_e64 v9, 0, 1, vcc
; %bb.24:
	s_or_b64 exec, exec, s[2:3]
	v_add_u32_e32 v10, 8, v33
	v_cmp_gt_u32_e32 vcc, s33, v10
	v_mov_b32_e32 v11, 0
	v_mov_b32_e32 v10, 0
	s_and_saveexec_b64 s[2:3], vcc
; %bb.25:
	v_add_u32_e32 v10, s9, v22
	v_add_u32_e32 v12, s11, v22
	v_mul_lo_u32 v10, v10, s8
	v_mul_lo_u32 v12, v12, s10
	v_sub_u32_e32 v10, v10, v12
	v_cmp_lt_u32_e32 vcc, s7, v10
	v_cndmask_b32_e64 v10, 0, 1, vcc
; %bb.26:
	s_or_b64 exec, exec, s[2:3]
	v_add_u32_e32 v12, 9, v33
	v_cmp_gt_u32_e32 vcc, s33, v12
	s_and_saveexec_b64 s[2:3], vcc
; %bb.27:
	v_add_u32_e32 v11, s9, v23
	v_add_u32_e32 v12, s11, v23
	v_mul_lo_u32 v11, v11, s8
	v_mul_lo_u32 v12, v12, s10
	v_sub_u32_e32 v11, v11, v12
	v_cmp_lt_u32_e32 vcc, s7, v11
	v_cndmask_b32_e64 v11, 0, 1, vcc
; %bb.28:
	s_or_b64 exec, exec, s[2:3]
	v_add_u32_e32 v12, 10, v33
	v_cmp_gt_u32_e32 vcc, s33, v12
	v_mov_b32_e32 v13, 0
	v_mov_b32_e32 v12, 0
	s_and_saveexec_b64 s[2:3], vcc
; %bb.29:
	v_add_u32_e32 v12, s9, v20
	v_add_u32_e32 v14, s11, v20
	v_mul_lo_u32 v12, v12, s8
	v_mul_lo_u32 v14, v14, s10
	v_sub_u32_e32 v12, v12, v14
	v_cmp_lt_u32_e32 vcc, s7, v12
	v_cndmask_b32_e64 v12, 0, 1, vcc
; %bb.30:
	s_or_b64 exec, exec, s[2:3]
	v_add_u32_e32 v14, 11, v33
	v_cmp_gt_u32_e32 vcc, s33, v14
	s_and_saveexec_b64 s[2:3], vcc
; %bb.31:
	v_add_u32_e32 v13, s9, v21
	v_add_u32_e32 v14, s11, v21
	v_mul_lo_u32 v13, v13, s8
	v_mul_lo_u32 v14, v14, s10
	v_sub_u32_e32 v13, v13, v14
	v_cmp_lt_u32_e32 vcc, s7, v13
	v_cndmask_b32_e64 v13, 0, 1, vcc
; %bb.32:
	s_or_b64 exec, exec, s[2:3]
	v_add_u32_e32 v14, 12, v33
	v_cmp_gt_u32_e32 vcc, s33, v14
	v_mov_b32_e32 v34, 0
	s_and_saveexec_b64 s[2:3], vcc
; %bb.33:
	v_add_u32_e32 v14, s9, v32
	v_add_u32_e32 v15, s11, v32
	v_mul_lo_u32 v14, v14, s8
	v_mul_lo_u32 v15, v15, s10
	v_sub_u32_e32 v14, v14, v15
	v_cmp_lt_u32_e32 vcc, s7, v14
	v_cndmask_b32_e64 v34, 0, 1, vcc
; %bb.34:
	s_or_b64 exec, exec, s[2:3]
	v_lshlrev_b16_e32 v3, 8, v3
	v_or_b32_e32 v2, v2, v3
	v_lshlrev_b16_e32 v3, 8, v5
	v_or_b32_sdwa v3, v4, v3 dst_sel:WORD_1 dst_unused:UNUSED_PAD src0_sel:DWORD src1_sel:DWORD
	v_or_b32_sdwa v37, v2, v3 dst_sel:DWORD dst_unused:UNUSED_PAD src0_sel:WORD_0 src1_sel:DWORD
	v_lshlrev_b16_e32 v2, 8, v7
	v_lshlrev_b16_e32 v3, 8, v9
	v_or_b32_e32 v2, v6, v2
	v_or_b32_sdwa v3, v8, v3 dst_sel:WORD_1 dst_unused:UNUSED_PAD src0_sel:DWORD src1_sel:DWORD
	v_or_b32_sdwa v36, v2, v3 dst_sel:DWORD dst_unused:UNUSED_PAD src0_sel:WORD_0 src1_sel:DWORD
	v_lshlrev_b16_e32 v2, 8, v11
	v_lshlrev_b16_e32 v3, 8, v13
	v_or_b32_e32 v2, v10, v2
	v_or_b32_sdwa v3, v12, v3 dst_sel:WORD_1 dst_unused:UNUSED_PAD src0_sel:DWORD src1_sel:DWORD
	v_or_b32_sdwa v35, v2, v3 dst_sel:DWORD dst_unused:UNUSED_PAD src0_sel:WORD_0 src1_sel:DWORD
.LBB50_35:
	v_and_b32_e32 v41, 0xff, v37
	v_bfe_u32 v42, v37, 8, 8
	v_bfe_u32 v43, v37, 16, 8
	v_lshrrev_b32_e32 v40, 24, v37
	v_and_b32_e32 v44, 0xff, v36
	v_add3_u32 v3, v42, v41, v43
	v_bfe_u32 v45, v36, 8, 8
	v_bfe_u32 v46, v36, 16, 8
	v_add3_u32 v3, v3, v40, v44
	v_lshrrev_b32_e32 v39, 24, v36
	v_and_b32_e32 v47, 0xff, v35
	v_add3_u32 v3, v3, v45, v46
	v_bfe_u32 v48, v35, 8, 8
	v_bfe_u32 v49, v35, 16, 8
	v_add3_u32 v3, v3, v39, v47
	v_lshrrev_b32_e32 v38, 24, v35
	v_and_b32_e32 v2, 0xff, v34
	v_add3_u32 v3, v3, v48, v49
	v_add3_u32 v52, v3, v38, v2
	v_mbcnt_lo_u32_b32 v2, -1, 0
	v_mbcnt_hi_u32_b32 v50, -1, v2
	v_and_b32_e32 v2, 15, v50
	v_cmp_eq_u32_e64 s[14:15], 0, v2
	v_cmp_lt_u32_e64 s[12:13], 1, v2
	v_cmp_lt_u32_e64 s[10:11], 3, v2
	;; [unrolled: 1-line block ×3, first 2 shown]
	v_and_b32_e32 v2, 16, v50
	v_cmp_eq_u32_e64 s[18:19], 0, v2
	v_or_b32_e32 v2, 63, v0
	s_cmp_lg_u32 s6, 0
	v_cmp_lt_u32_e64 s[2:3], 31, v50
	v_lshrrev_b32_e32 v51, 6, v0
	v_cmp_eq_u32_e64 s[4:5], v2, v0
	s_cbranch_scc0 .LBB50_62
; %bb.36:
	v_mov_b32_dpp v2, v52 row_shr:1 row_mask:0xf bank_mask:0xf
	v_cndmask_b32_e64 v2, v2, 0, s[14:15]
	v_add_u32_e32 v2, v2, v52
	s_nop 1
	v_mov_b32_dpp v3, v2 row_shr:2 row_mask:0xf bank_mask:0xf
	v_cndmask_b32_e64 v3, 0, v3, s[12:13]
	v_add_u32_e32 v2, v2, v3
	s_nop 1
	;; [unrolled: 4-line block ×4, first 2 shown]
	v_mov_b32_dpp v3, v2 row_bcast:15 row_mask:0xf bank_mask:0xf
	v_cndmask_b32_e64 v3, v3, 0, s[18:19]
	v_add_u32_e32 v2, v2, v3
	s_nop 1
	v_mov_b32_dpp v3, v2 row_bcast:31 row_mask:0xf bank_mask:0xf
	v_cndmask_b32_e64 v3, 0, v3, s[2:3]
	v_add_u32_e32 v2, v2, v3
	s_and_saveexec_b64 s[16:17], s[4:5]
	s_cbranch_execz .LBB50_38
; %bb.37:
	v_lshlrev_b32_e32 v3, 2, v51
	ds_write_b32 v3, v2
.LBB50_38:
	s_or_b64 exec, exec, s[16:17]
	v_cmp_gt_u32_e32 vcc, 4, v0
	s_waitcnt lgkmcnt(0)
	s_barrier
	s_and_saveexec_b64 s[16:17], vcc
	s_cbranch_execz .LBB50_40
; %bb.39:
	ds_read_b32 v3, v1
	v_and_b32_e32 v4, 3, v50
	v_cmp_ne_u32_e32 vcc, 0, v4
	s_waitcnt lgkmcnt(0)
	v_mov_b32_dpp v5, v3 row_shr:1 row_mask:0xf bank_mask:0xf
	v_cndmask_b32_e32 v5, 0, v5, vcc
	v_add_u32_e32 v3, v5, v3
	v_cmp_lt_u32_e32 vcc, 1, v4
	s_nop 0
	v_mov_b32_dpp v5, v3 row_shr:2 row_mask:0xf bank_mask:0xf
	v_cndmask_b32_e32 v4, 0, v5, vcc
	v_add_u32_e32 v3, v3, v4
	ds_write_b32 v1, v3
.LBB50_40:
	s_or_b64 exec, exec, s[16:17]
	v_cmp_gt_u32_e32 vcc, 64, v0
	v_cmp_lt_u32_e64 s[16:17], 63, v0
	s_waitcnt lgkmcnt(0)
	s_barrier
	s_waitcnt lgkmcnt(0)
                                        ; implicit-def: $vgpr12
	s_and_saveexec_b64 s[36:37], s[16:17]
	s_cbranch_execz .LBB50_42
; %bb.41:
	v_lshl_add_u32 v3, v51, 2, -4
	ds_read_b32 v12, v3
	s_waitcnt lgkmcnt(0)
	v_add_u32_e32 v2, v12, v2
.LBB50_42:
	s_or_b64 exec, exec, s[36:37]
	v_add_u32_e32 v3, -1, v50
	v_and_b32_e32 v4, 64, v50
	v_cmp_lt_i32_e64 s[16:17], v3, v4
	v_cndmask_b32_e64 v3, v3, v50, s[16:17]
	v_lshlrev_b32_e32 v3, 2, v3
	ds_bpermute_b32 v13, v3, v2
	v_cmp_eq_u32_e64 s[16:17], 0, v50
	s_and_saveexec_b64 s[36:37], vcc
	s_cbranch_execz .LBB50_61
; %bb.43:
	v_mov_b32_e32 v9, 0
	ds_read_b32 v2, v9 offset:12
	s_and_saveexec_b64 s[38:39], s[16:17]
	s_cbranch_execz .LBB50_45
; %bb.44:
	s_add_i32 s40, s6, 64
	s_mov_b32 s41, 0
	s_lshl_b64 s[40:41], s[40:41], 3
	s_add_u32 s40, s34, s40
	v_mov_b32_e32 v3, 1
	s_addc_u32 s41, s35, s41
	s_waitcnt lgkmcnt(0)
	global_store_dwordx2 v9, v[2:3], s[40:41]
.LBB50_45:
	s_or_b64 exec, exec, s[38:39]
	v_xad_u32 v4, v50, -1, s6
	v_add_u32_e32 v8, 64, v4
	v_lshlrev_b64 v[6:7], 3, v[8:9]
	v_mov_b32_e32 v3, s35
	v_add_co_u32_e32 v10, vcc, s34, v6
	v_addc_co_u32_e32 v11, vcc, v3, v7, vcc
	global_load_dwordx2 v[6:7], v[10:11], off glc
	s_waitcnt vmcnt(0)
	v_cmp_eq_u16_sdwa s[40:41], v7, v9 src0_sel:BYTE_0 src1_sel:DWORD
	s_and_saveexec_b64 s[38:39], s[40:41]
	s_cbranch_execz .LBB50_49
; %bb.46:
	s_mov_b64 s[40:41], 0
	v_mov_b32_e32 v3, 0
.LBB50_47:                              ; =>This Inner Loop Header: Depth=1
	global_load_dwordx2 v[6:7], v[10:11], off glc
	s_waitcnt vmcnt(0)
	v_cmp_ne_u16_sdwa s[44:45], v7, v3 src0_sel:BYTE_0 src1_sel:DWORD
	s_or_b64 s[40:41], s[44:45], s[40:41]
	s_andn2_b64 exec, exec, s[40:41]
	s_cbranch_execnz .LBB50_47
; %bb.48:
	s_or_b64 exec, exec, s[40:41]
.LBB50_49:
	s_or_b64 exec, exec, s[38:39]
	v_and_b32_e32 v14, 63, v50
	v_mov_b32_e32 v3, 2
	v_cmp_ne_u32_e32 vcc, 63, v14
	v_cmp_eq_u16_sdwa s[38:39], v7, v3 src0_sel:BYTE_0 src1_sel:DWORD
	v_lshlrev_b64 v[8:9], v50, -1
	v_addc_co_u32_e32 v11, vcc, 0, v50, vcc
	v_and_b32_e32 v5, s39, v9
	v_lshlrev_b32_e32 v15, 2, v11
	v_or_b32_e32 v5, 0x80000000, v5
	ds_bpermute_b32 v11, v15, v6
	v_and_b32_e32 v10, s38, v8
	v_ffbl_b32_e32 v5, v5
	v_add_u32_e32 v5, 32, v5
	v_ffbl_b32_e32 v10, v10
	v_min_u32_e32 v5, v10, v5
	v_cmp_lt_u32_e32 vcc, v14, v5
	s_waitcnt lgkmcnt(0)
	v_cndmask_b32_e32 v10, 0, v11, vcc
	v_cmp_gt_u32_e32 vcc, 62, v14
	v_add_u32_e32 v6, v10, v6
	v_cndmask_b32_e64 v10, 0, 1, vcc
	v_lshlrev_b32_e32 v10, 1, v10
	v_add_lshl_u32 v16, v10, v50, 2
	ds_bpermute_b32 v10, v16, v6
	v_add_u32_e32 v17, 2, v14
	v_cmp_le_u32_e32 vcc, v17, v5
	v_add_u32_e32 v19, 4, v14
	v_add_u32_e32 v54, 8, v14
	s_waitcnt lgkmcnt(0)
	v_cndmask_b32_e32 v10, 0, v10, vcc
	v_cmp_gt_u32_e32 vcc, 60, v14
	v_add_u32_e32 v6, v6, v10
	v_cndmask_b32_e64 v10, 0, 1, vcc
	v_lshlrev_b32_e32 v10, 2, v10
	v_add_lshl_u32 v18, v10, v50, 2
	ds_bpermute_b32 v10, v18, v6
	v_cmp_le_u32_e32 vcc, v19, v5
	v_add_u32_e32 v57, 16, v14
	v_add_u32_e32 v59, 32, v14
	s_waitcnt lgkmcnt(0)
	v_cndmask_b32_e32 v10, 0, v10, vcc
	v_cmp_gt_u32_e32 vcc, 56, v14
	v_add_u32_e32 v6, v6, v10
	v_cndmask_b32_e64 v10, 0, 1, vcc
	v_lshlrev_b32_e32 v10, 3, v10
	v_add_lshl_u32 v53, v10, v50, 2
	ds_bpermute_b32 v10, v53, v6
	v_cmp_le_u32_e32 vcc, v54, v5
	s_waitcnt lgkmcnt(0)
	v_cndmask_b32_e32 v10, 0, v10, vcc
	v_cmp_gt_u32_e32 vcc, 48, v14
	v_add_u32_e32 v6, v6, v10
	v_cndmask_b32_e64 v10, 0, 1, vcc
	v_lshlrev_b32_e32 v10, 4, v10
	v_add_lshl_u32 v56, v10, v50, 2
	ds_bpermute_b32 v10, v56, v6
	v_cmp_le_u32_e32 vcc, v57, v5
	;; [unrolled: 9-line block ×3, first 2 shown]
	s_waitcnt lgkmcnt(0)
	v_cndmask_b32_e32 v5, 0, v10, vcc
	v_add_u32_e32 v6, v6, v5
	v_mov_b32_e32 v5, 0
	s_branch .LBB50_51
.LBB50_50:                              ;   in Loop: Header=BB50_51 Depth=1
	s_or_b64 exec, exec, s[38:39]
	v_cmp_eq_u16_sdwa s[38:39], v7, v3 src0_sel:BYTE_0 src1_sel:DWORD
	v_and_b32_e32 v10, s39, v9
	v_or_b32_e32 v10, 0x80000000, v10
	ds_bpermute_b32 v60, v15, v6
	v_and_b32_e32 v11, s38, v8
	v_ffbl_b32_e32 v10, v10
	v_add_u32_e32 v10, 32, v10
	v_ffbl_b32_e32 v11, v11
	v_min_u32_e32 v10, v11, v10
	v_cmp_lt_u32_e32 vcc, v14, v10
	s_waitcnt lgkmcnt(0)
	v_cndmask_b32_e32 v11, 0, v60, vcc
	v_add_u32_e32 v6, v11, v6
	ds_bpermute_b32 v11, v16, v6
	v_cmp_le_u32_e32 vcc, v17, v10
	v_subrev_u32_e32 v4, 64, v4
	s_waitcnt lgkmcnt(0)
	v_cndmask_b32_e32 v11, 0, v11, vcc
	v_add_u32_e32 v6, v6, v11
	ds_bpermute_b32 v11, v18, v6
	v_cmp_le_u32_e32 vcc, v19, v10
	s_waitcnt lgkmcnt(0)
	v_cndmask_b32_e32 v11, 0, v11, vcc
	v_add_u32_e32 v6, v6, v11
	ds_bpermute_b32 v11, v53, v6
	v_cmp_le_u32_e32 vcc, v54, v10
	;; [unrolled: 5-line block ×4, first 2 shown]
	s_waitcnt lgkmcnt(0)
	v_cndmask_b32_e32 v10, 0, v11, vcc
	v_add3_u32 v6, v10, v55, v6
.LBB50_51:                              ; =>This Loop Header: Depth=1
                                        ;     Child Loop BB50_54 Depth 2
	v_cmp_ne_u16_sdwa s[38:39], v7, v3 src0_sel:BYTE_0 src1_sel:DWORD
	v_cndmask_b32_e64 v7, 0, 1, s[38:39]
	;;#ASMSTART
	;;#ASMEND
	v_cmp_ne_u32_e32 vcc, 0, v7
	s_cmp_lg_u64 vcc, exec
	v_mov_b32_e32 v55, v6
	s_cbranch_scc1 .LBB50_56
; %bb.52:                               ;   in Loop: Header=BB50_51 Depth=1
	v_lshlrev_b64 v[6:7], 3, v[4:5]
	v_mov_b32_e32 v11, s35
	v_add_co_u32_e32 v10, vcc, s34, v6
	v_addc_co_u32_e32 v11, vcc, v11, v7, vcc
	global_load_dwordx2 v[6:7], v[10:11], off glc
	s_waitcnt vmcnt(0)
	v_cmp_eq_u16_sdwa s[40:41], v7, v5 src0_sel:BYTE_0 src1_sel:DWORD
	s_and_saveexec_b64 s[38:39], s[40:41]
	s_cbranch_execz .LBB50_50
; %bb.53:                               ;   in Loop: Header=BB50_51 Depth=1
	s_mov_b64 s[40:41], 0
.LBB50_54:                              ;   Parent Loop BB50_51 Depth=1
                                        ; =>  This Inner Loop Header: Depth=2
	global_load_dwordx2 v[6:7], v[10:11], off glc
	s_waitcnt vmcnt(0)
	v_cmp_ne_u16_sdwa s[44:45], v7, v5 src0_sel:BYTE_0 src1_sel:DWORD
	s_or_b64 s[40:41], s[44:45], s[40:41]
	s_andn2_b64 exec, exec, s[40:41]
	s_cbranch_execnz .LBB50_54
; %bb.55:                               ;   in Loop: Header=BB50_51 Depth=1
	s_or_b64 exec, exec, s[40:41]
	s_branch .LBB50_50
.LBB50_56:                              ;   in Loop: Header=BB50_51 Depth=1
                                        ; implicit-def: $vgpr6
                                        ; implicit-def: $vgpr7
	s_cbranch_execz .LBB50_51
; %bb.57:
	s_and_saveexec_b64 s[38:39], s[16:17]
	s_cbranch_execz .LBB50_59
; %bb.58:
	s_add_i32 s6, s6, 64
	s_mov_b32 s7, 0
	s_lshl_b64 s[6:7], s[6:7], 3
	s_add_u32 s6, s34, s6
	v_add_u32_e32 v4, v55, v2
	v_mov_b32_e32 v5, 2
	s_addc_u32 s7, s35, s7
	v_mov_b32_e32 v3, 0
	global_store_dwordx2 v3, v[4:5], s[6:7]
	s_movk_i32 s6, 0x3400
	v_add_u32_e64 v3, s6, 0
	ds_write2_b32 v3, v2, v55 offset1:2
.LBB50_59:
	s_or_b64 exec, exec, s[38:39]
	v_cmp_eq_u32_e32 vcc, 0, v0
	s_and_b64 exec, exec, vcc
	s_cbranch_execz .LBB50_61
; %bb.60:
	v_mov_b32_e32 v2, 0
	ds_write_b32 v2, v55 offset:12
.LBB50_61:
	s_or_b64 exec, exec, s[36:37]
	v_mov_b32_e32 v2, 0
	s_waitcnt lgkmcnt(0)
	s_barrier
	ds_read_b32 v2, v2 offset:12
	v_cndmask_b32_e64 v3, v13, v12, s[16:17]
	v_cmp_ne_u32_e32 vcc, 0, v0
	v_cndmask_b32_e32 v3, 0, v3, vcc
	s_movk_i32 s6, 0x3400
	s_waitcnt lgkmcnt(0)
	v_add_u32_e32 v2, v2, v3
	v_add_u32_e32 v3, v2, v41
	;; [unrolled: 1-line block ×8, first 2 shown]
	v_add_u32_e64 v12, s6, 0
	v_add_u32_e32 v10, v9, v39
	s_barrier
	ds_read2_b32 v[18:19], v12 offset1:2
	v_add_u32_e32 v11, v10, v47
	v_add_u32_e32 v12, v11, v48
	v_add_u32_e32 v13, v12, v49
	v_add_u32_e32 v14, v13, v38
	s_branch .LBB50_72
.LBB50_62:
                                        ; implicit-def: $vgpr19
                                        ; implicit-def: $vgpr2_vgpr3_vgpr4_vgpr5_vgpr6_vgpr7_vgpr8_vgpr9_vgpr10_vgpr11_vgpr12_vgpr13_vgpr14_vgpr15_vgpr16_vgpr17
	s_cbranch_execz .LBB50_72
; %bb.63:
	s_nop 0
	v_mov_b32_dpp v2, v52 row_shr:1 row_mask:0xf bank_mask:0xf
	v_cndmask_b32_e64 v2, v2, 0, s[14:15]
	v_add_u32_e32 v2, v2, v52
	s_nop 1
	v_mov_b32_dpp v3, v2 row_shr:2 row_mask:0xf bank_mask:0xf
	v_cndmask_b32_e64 v3, 0, v3, s[12:13]
	v_add_u32_e32 v2, v2, v3
	;; [unrolled: 4-line block ×4, first 2 shown]
	s_nop 1
	v_mov_b32_dpp v3, v2 row_bcast:15 row_mask:0xf bank_mask:0xf
	v_cndmask_b32_e64 v3, v3, 0, s[18:19]
	v_add_u32_e32 v2, v2, v3
	s_nop 1
	v_mov_b32_dpp v3, v2 row_bcast:31 row_mask:0xf bank_mask:0xf
	v_cndmask_b32_e64 v3, 0, v3, s[2:3]
	v_add_u32_e32 v2, v2, v3
	s_and_saveexec_b64 s[2:3], s[4:5]
	s_cbranch_execz .LBB50_65
; %bb.64:
	v_lshlrev_b32_e32 v3, 2, v51
	ds_write_b32 v3, v2
.LBB50_65:
	s_or_b64 exec, exec, s[2:3]
	v_cmp_gt_u32_e32 vcc, 4, v0
	s_waitcnt lgkmcnt(0)
	s_barrier
	s_and_saveexec_b64 s[2:3], vcc
	s_cbranch_execz .LBB50_67
; %bb.66:
	ds_read_b32 v3, v1
	v_and_b32_e32 v4, 3, v50
	v_cmp_ne_u32_e32 vcc, 0, v4
	s_waitcnt lgkmcnt(0)
	v_mov_b32_dpp v5, v3 row_shr:1 row_mask:0xf bank_mask:0xf
	v_cndmask_b32_e32 v5, 0, v5, vcc
	v_add_u32_e32 v3, v5, v3
	v_cmp_lt_u32_e32 vcc, 1, v4
	s_nop 0
	v_mov_b32_dpp v5, v3 row_shr:2 row_mask:0xf bank_mask:0xf
	v_cndmask_b32_e32 v4, 0, v5, vcc
	v_add_u32_e32 v3, v3, v4
	ds_write_b32 v1, v3
.LBB50_67:
	s_or_b64 exec, exec, s[2:3]
	v_cmp_lt_u32_e32 vcc, 63, v0
	v_mov_b32_e32 v4, 0
	v_mov_b32_e32 v3, 0
	s_waitcnt lgkmcnt(0)
	s_barrier
	s_and_saveexec_b64 s[2:3], vcc
	s_cbranch_execz .LBB50_69
; %bb.68:
	v_lshl_add_u32 v3, v51, 2, -4
	ds_read_b32 v3, v3
.LBB50_69:
	s_or_b64 exec, exec, s[2:3]
	v_add_u32_e32 v5, -1, v50
	v_and_b32_e32 v6, 64, v50
	v_cmp_lt_i32_e32 vcc, v5, v6
	v_cndmask_b32_e32 v5, v5, v50, vcc
	s_waitcnt lgkmcnt(0)
	v_add_u32_e32 v2, v3, v2
	v_lshlrev_b32_e32 v5, 2, v5
	ds_bpermute_b32 v2, v5, v2
	ds_read_b32 v18, v4 offset:12
	v_cmp_eq_u32_e32 vcc, 0, v0
	s_and_saveexec_b64 s[2:3], vcc
	s_cbranch_execz .LBB50_71
; %bb.70:
	v_mov_b32_e32 v4, 0
	v_mov_b32_e32 v19, 2
	s_waitcnt lgkmcnt(0)
	global_store_dwordx2 v4, v[18:19], s[34:35] offset:512
.LBB50_71:
	s_or_b64 exec, exec, s[2:3]
	v_cmp_eq_u32_e64 s[2:3], 0, v50
	s_waitcnt lgkmcnt(1)
	v_cndmask_b32_e64 v2, v2, v3, s[2:3]
	v_cndmask_b32_e64 v2, v2, 0, vcc
	v_add_u32_e32 v3, v2, v41
	v_add_u32_e32 v4, v3, v42
	;; [unrolled: 1-line block ×11, first 2 shown]
	v_mov_b32_e32 v19, 0
	v_add_u32_e32 v14, v13, v38
	s_waitcnt lgkmcnt(0)
	s_barrier
.LBB50_72:
	s_waitcnt lgkmcnt(0)
	v_add_u32_e32 v33, v18, v33
	v_sub_u32_e32 v2, v2, v19
	v_and_b32_e32 v42, 1, v37
	v_sub_u32_e32 v41, v33, v2
	v_cmp_eq_u32_e32 vcc, 1, v42
	v_cndmask_b32_e32 v2, v41, v2, vcc
	v_lshlrev_b32_e32 v2, 2, v2
	v_lshrrev_b32_e32 v17, 8, v37
	ds_write_b32 v2, v30
	v_sub_u32_e32 v2, v3, v19
	v_sub_u32_e32 v3, v33, v2
	v_and_b32_e32 v17, 1, v17
	v_add_u32_e32 v3, 1, v3
	v_cmp_eq_u32_e32 vcc, 1, v17
	v_cndmask_b32_e32 v2, v3, v2, vcc
	v_lshlrev_b32_e32 v2, 2, v2
	ds_write_b32 v2, v31
	v_sub_u32_e32 v2, v4, v19
	v_mov_b32_e32 v4, 1
	v_sub_u32_e32 v3, v33, v2
	v_and_b32_sdwa v17, v4, v37 dst_sel:DWORD dst_unused:UNUSED_PAD src0_sel:DWORD src1_sel:WORD_1
	v_add_u32_e32 v3, 2, v3
	v_cmp_eq_u32_e32 vcc, 1, v17
	v_cndmask_b32_e32 v2, v3, v2, vcc
	v_lshlrev_b32_e32 v2, 2, v2
	ds_write_b32 v2, v28
	v_sub_u32_e32 v2, v5, v19
	v_sub_u32_e32 v3, v33, v2
	v_and_b32_e32 v5, 1, v40
	v_add_u32_e32 v3, 3, v3
	v_cmp_eq_u32_e32 vcc, 1, v5
	v_cndmask_b32_e32 v2, v3, v2, vcc
	v_lshlrev_b32_e32 v2, 2, v2
	ds_write_b32 v2, v29
	v_sub_u32_e32 v2, v6, v19
	v_sub_u32_e32 v3, v33, v2
	v_and_b32_e32 v5, 1, v36
	v_add_u32_e32 v3, 4, v3
	v_cmp_eq_u32_e32 vcc, 1, v5
	v_cndmask_b32_e32 v2, v3, v2, vcc
	v_lshlrev_b32_e32 v2, 2, v2
	v_lshrrev_b32_e32 v16, 8, v36
	ds_write_b32 v2, v26
	v_sub_u32_e32 v2, v7, v19
	v_sub_u32_e32 v3, v33, v2
	v_and_b32_e32 v5, 1, v16
	v_add_u32_e32 v3, 5, v3
	v_cmp_eq_u32_e32 vcc, 1, v5
	v_cndmask_b32_e32 v2, v3, v2, vcc
	v_lshlrev_b32_e32 v2, 2, v2
	ds_write_b32 v2, v27
	v_sub_u32_e32 v2, v8, v19
	v_sub_u32_e32 v3, v33, v2
	v_and_b32_sdwa v5, v4, v36 dst_sel:DWORD dst_unused:UNUSED_PAD src0_sel:DWORD src1_sel:WORD_1
	v_add_u32_e32 v3, 6, v3
	v_cmp_eq_u32_e32 vcc, 1, v5
	v_cndmask_b32_e32 v2, v3, v2, vcc
	v_lshlrev_b32_e32 v2, 2, v2
	ds_write_b32 v2, v24
	v_sub_u32_e32 v2, v9, v19
	v_sub_u32_e32 v3, v33, v2
	v_and_b32_e32 v5, 1, v39
	v_add_u32_e32 v3, 7, v3
	v_cmp_eq_u32_e32 vcc, 1, v5
	v_cndmask_b32_e32 v2, v3, v2, vcc
	v_lshlrev_b32_e32 v2, 2, v2
	ds_write_b32 v2, v25
	v_sub_u32_e32 v2, v10, v19
	v_sub_u32_e32 v3, v33, v2
	v_and_b32_e32 v5, 1, v35
	v_add_u32_e32 v3, 8, v3
	v_cmp_eq_u32_e32 vcc, 1, v5
	v_cndmask_b32_e32 v2, v3, v2, vcc
	v_lshlrev_b32_e32 v2, 2, v2
	v_lshrrev_b32_e32 v15, 8, v35
	ds_write_b32 v2, v22
	v_sub_u32_e32 v2, v11, v19
	v_sub_u32_e32 v3, v33, v2
	v_and_b32_e32 v5, 1, v15
	v_add_u32_e32 v3, 9, v3
	v_cmp_eq_u32_e32 vcc, 1, v5
	v_cndmask_b32_e32 v2, v3, v2, vcc
	v_lshlrev_b32_e32 v2, 2, v2
	ds_write_b32 v2, v23
	v_sub_u32_e32 v2, v12, v19
	v_sub_u32_e32 v3, v33, v2
	v_and_b32_sdwa v4, v4, v35 dst_sel:DWORD dst_unused:UNUSED_PAD src0_sel:DWORD src1_sel:WORD_1
	v_add_u32_e32 v3, 10, v3
	v_cmp_eq_u32_e32 vcc, 1, v4
	v_cndmask_b32_e32 v2, v3, v2, vcc
	v_lshlrev_b32_e32 v2, 2, v2
	ds_write_b32 v2, v20
	v_sub_u32_e32 v2, v13, v19
	v_sub_u32_e32 v3, v33, v2
	v_and_b32_e32 v4, 1, v38
	v_add_u32_e32 v3, 11, v3
	v_cmp_eq_u32_e32 vcc, 1, v4
	v_cndmask_b32_e32 v2, v3, v2, vcc
	v_lshlrev_b32_e32 v2, 2, v2
	ds_write_b32 v2, v21
	v_sub_u32_e32 v2, v14, v19
	v_sub_u32_e32 v3, v33, v2
	v_and_b32_e32 v4, 1, v34
	v_add_u32_e32 v3, 12, v3
	v_cmp_eq_u32_e32 vcc, 1, v4
	v_cndmask_b32_e32 v2, v3, v2, vcc
	s_add_u32 s2, s28, s42
	v_lshlrev_b32_e32 v2, 2, v2
	s_addc_u32 s3, s29, 0
	ds_write_b32 v2, v32
	s_waitcnt lgkmcnt(0)
	s_barrier
	ds_read2st64_b32 v[12:13], v1 offset1:4
	ds_read2st64_b32 v[10:11], v1 offset0:8 offset1:12
	ds_read2st64_b32 v[8:9], v1 offset0:16 offset1:20
	;; [unrolled: 1-line block ×5, first 2 shown]
	ds_read_b32 v17, v1 offset:12288
	v_mov_b32_e32 v14, s31
	v_add_co_u32_e32 v1, vcc, s30, v19
	s_sub_u32 s2, s26, s2
	v_addc_co_u32_e32 v16, vcc, 0, v14, vcc
	s_subb_u32 s3, s27, s3
	v_mov_b32_e32 v14, s3
	v_add_co_u32_e32 v15, vcc, s2, v18
	v_addc_co_u32_e32 v14, vcc, 0, v14, vcc
	s_and_b64 vcc, exec, s[0:1]
	v_add_co_u32_e64 v19, s[0:1], v15, v1
	v_or_b32_e32 v32, 0x100, v0
	v_or_b32_e32 v31, 0x200, v0
	;; [unrolled: 1-line block ×12, first 2 shown]
	v_addc_co_u32_e64 v21, s[0:1], v14, v16, s[0:1]
	s_cbranch_vccnz .LBB50_126
; %bb.73:
	v_cmp_ge_u32_e32 vcc, v0, v18
                                        ; implicit-def: $vgpr14_vgpr15
	s_and_saveexec_b64 s[0:1], vcc
	s_xor_b64 s[0:1], exec, s[0:1]
; %bb.74:
	v_not_b32_e32 v14, v0
	v_ashrrev_i32_e32 v15, 31, v14
	v_add_co_u32_e32 v14, vcc, v19, v14
	v_addc_co_u32_e32 v15, vcc, v21, v15, vcc
; %bb.75:
	s_andn2_saveexec_b64 s[0:1], s[0:1]
; %bb.76:
	v_add_co_u32_e32 v14, vcc, v1, v0
	v_addc_co_u32_e32 v15, vcc, 0, v16, vcc
; %bb.77:
	s_or_b64 exec, exec, s[0:1]
	v_lshlrev_b64 v[14:15], 2, v[14:15]
	v_mov_b32_e32 v33, s25
	v_add_co_u32_e32 v14, vcc, s24, v14
	v_addc_co_u32_e32 v15, vcc, v33, v15, vcc
	v_cmp_ge_u32_e32 vcc, v32, v18
	s_waitcnt lgkmcnt(6)
	global_store_dword v[14:15], v12, off
                                        ; implicit-def: $vgpr14_vgpr15
	s_and_saveexec_b64 s[0:1], vcc
	s_xor_b64 s[0:1], exec, s[0:1]
; %bb.78:
	v_xor_b32_e32 v14, 0xfffffeff, v0
	v_ashrrev_i32_e32 v15, 31, v14
	v_add_co_u32_e32 v14, vcc, v19, v14
	v_addc_co_u32_e32 v15, vcc, v21, v15, vcc
; %bb.79:
	s_andn2_saveexec_b64 s[0:1], s[0:1]
; %bb.80:
	v_add_co_u32_e32 v14, vcc, v1, v32
	v_addc_co_u32_e32 v15, vcc, 0, v16, vcc
; %bb.81:
	s_or_b64 exec, exec, s[0:1]
	v_lshlrev_b64 v[14:15], 2, v[14:15]
	v_mov_b32_e32 v33, s25
	v_add_co_u32_e32 v14, vcc, s24, v14
	v_addc_co_u32_e32 v15, vcc, v33, v15, vcc
	v_cmp_ge_u32_e32 vcc, v31, v18
	global_store_dword v[14:15], v13, off
                                        ; implicit-def: $vgpr14_vgpr15
	s_and_saveexec_b64 s[0:1], vcc
	s_xor_b64 s[0:1], exec, s[0:1]
; %bb.82:
	v_xor_b32_e32 v14, 0xfffffdff, v0
	v_ashrrev_i32_e32 v15, 31, v14
	v_add_co_u32_e32 v14, vcc, v19, v14
	v_addc_co_u32_e32 v15, vcc, v21, v15, vcc
; %bb.83:
	s_andn2_saveexec_b64 s[0:1], s[0:1]
; %bb.84:
	v_add_co_u32_e32 v14, vcc, v1, v31
	v_addc_co_u32_e32 v15, vcc, 0, v16, vcc
; %bb.85:
	s_or_b64 exec, exec, s[0:1]
	v_lshlrev_b64 v[14:15], 2, v[14:15]
	v_mov_b32_e32 v33, s25
	v_add_co_u32_e32 v14, vcc, s24, v14
	v_addc_co_u32_e32 v15, vcc, v33, v15, vcc
	v_cmp_ge_u32_e32 vcc, v30, v18
	s_waitcnt lgkmcnt(5)
	global_store_dword v[14:15], v10, off
                                        ; implicit-def: $vgpr14_vgpr15
	s_and_saveexec_b64 s[0:1], vcc
	s_xor_b64 s[0:1], exec, s[0:1]
; %bb.86:
	v_xor_b32_e32 v14, 0xfffffcff, v0
	v_ashrrev_i32_e32 v15, 31, v14
	v_add_co_u32_e32 v14, vcc, v19, v14
	v_addc_co_u32_e32 v15, vcc, v21, v15, vcc
; %bb.87:
	s_andn2_saveexec_b64 s[0:1], s[0:1]
; %bb.88:
	v_add_co_u32_e32 v14, vcc, v1, v30
	v_addc_co_u32_e32 v15, vcc, 0, v16, vcc
; %bb.89:
	s_or_b64 exec, exec, s[0:1]
	v_lshlrev_b64 v[14:15], 2, v[14:15]
	v_mov_b32_e32 v33, s25
	v_add_co_u32_e32 v14, vcc, s24, v14
	v_addc_co_u32_e32 v15, vcc, v33, v15, vcc
	v_cmp_ge_u32_e32 vcc, v29, v18
	global_store_dword v[14:15], v11, off
                                        ; implicit-def: $vgpr14_vgpr15
	s_and_saveexec_b64 s[0:1], vcc
	s_xor_b64 s[0:1], exec, s[0:1]
; %bb.90:
	v_xor_b32_e32 v14, 0xfffffbff, v0
	;; [unrolled: 43-line block ×6, first 2 shown]
	v_ashrrev_i32_e32 v15, 31, v14
	v_add_co_u32_e32 v14, vcc, v19, v14
	v_addc_co_u32_e32 v15, vcc, v21, v15, vcc
; %bb.123:
	s_andn2_saveexec_b64 s[0:1], s[0:1]
; %bb.124:
	v_add_co_u32_e32 v14, vcc, v1, v20
	v_addc_co_u32_e32 v15, vcc, 0, v16, vcc
; %bb.125:
	s_or_b64 exec, exec, s[0:1]
	s_mov_b64 s[0:1], -1
	s_branch .LBB50_206
.LBB50_126:
	s_mov_b64 s[0:1], 0
                                        ; implicit-def: $vgpr14_vgpr15
	s_cbranch_execz .LBB50_206
; %bb.127:
	v_cmp_gt_u32_e32 vcc, s33, v0
	s_and_saveexec_b64 s[2:3], vcc
	s_cbranch_execz .LBB50_163
; %bb.128:
	v_cmp_ge_u32_e32 vcc, v0, v18
                                        ; implicit-def: $vgpr14_vgpr15
	s_and_saveexec_b64 s[4:5], vcc
	s_xor_b64 s[4:5], exec, s[4:5]
; %bb.129:
	v_not_b32_e32 v14, v0
	v_ashrrev_i32_e32 v15, 31, v14
	v_add_co_u32_e32 v14, vcc, v19, v14
	v_addc_co_u32_e32 v15, vcc, v21, v15, vcc
; %bb.130:
	s_andn2_saveexec_b64 s[4:5], s[4:5]
; %bb.131:
	v_add_co_u32_e32 v14, vcc, v1, v0
	v_addc_co_u32_e32 v15, vcc, 0, v16, vcc
; %bb.132:
	s_or_b64 exec, exec, s[4:5]
	v_lshlrev_b64 v[14:15], 2, v[14:15]
	v_mov_b32_e32 v33, s25
	v_add_co_u32_e32 v14, vcc, s24, v14
	v_addc_co_u32_e32 v15, vcc, v33, v15, vcc
	s_waitcnt lgkmcnt(6)
	global_store_dword v[14:15], v12, off
	s_or_b64 exec, exec, s[2:3]
	v_cmp_gt_u32_e32 vcc, s33, v32
	s_and_saveexec_b64 s[2:3], vcc
	s_cbranch_execnz .LBB50_164
.LBB50_133:
	s_or_b64 exec, exec, s[2:3]
	v_cmp_gt_u32_e32 vcc, s33, v31
	s_and_saveexec_b64 s[2:3], vcc
	s_cbranch_execz .LBB50_169
.LBB50_134:
	v_cmp_ge_u32_e32 vcc, v31, v18
                                        ; implicit-def: $vgpr12_vgpr13
	s_and_saveexec_b64 s[4:5], vcc
	s_xor_b64 s[4:5], exec, s[4:5]
	s_cbranch_execz .LBB50_136
; %bb.135:
	s_waitcnt lgkmcnt(6)
	v_xor_b32_e32 v12, 0xfffffdff, v0
	v_ashrrev_i32_e32 v13, 31, v12
	v_add_co_u32_e32 v12, vcc, v19, v12
	v_addc_co_u32_e32 v13, vcc, v21, v13, vcc
                                        ; implicit-def: $vgpr31
.LBB50_136:
	s_andn2_saveexec_b64 s[4:5], s[4:5]
	s_cbranch_execz .LBB50_138
; %bb.137:
	s_waitcnt lgkmcnt(6)
	v_add_co_u32_e32 v12, vcc, v1, v31
	v_addc_co_u32_e32 v13, vcc, 0, v16, vcc
.LBB50_138:
	s_or_b64 exec, exec, s[4:5]
	s_waitcnt lgkmcnt(6)
	v_lshlrev_b64 v[12:13], 2, v[12:13]
	v_mov_b32_e32 v14, s25
	v_add_co_u32_e32 v12, vcc, s24, v12
	v_addc_co_u32_e32 v13, vcc, v14, v13, vcc
	s_waitcnt lgkmcnt(5)
	global_store_dword v[12:13], v10, off
	s_or_b64 exec, exec, s[2:3]
	v_cmp_gt_u32_e32 vcc, s33, v30
	s_and_saveexec_b64 s[2:3], vcc
	s_cbranch_execnz .LBB50_170
.LBB50_139:
	s_or_b64 exec, exec, s[2:3]
	v_cmp_gt_u32_e32 vcc, s33, v29
	s_and_saveexec_b64 s[2:3], vcc
	s_cbranch_execz .LBB50_175
.LBB50_140:
	v_cmp_ge_u32_e32 vcc, v29, v18
                                        ; implicit-def: $vgpr10_vgpr11
	s_and_saveexec_b64 s[4:5], vcc
	s_xor_b64 s[4:5], exec, s[4:5]
	s_cbranch_execz .LBB50_142
; %bb.141:
	s_waitcnt lgkmcnt(5)
	v_xor_b32_e32 v10, 0xfffffbff, v0
	v_ashrrev_i32_e32 v11, 31, v10
	v_add_co_u32_e32 v10, vcc, v19, v10
	v_addc_co_u32_e32 v11, vcc, v21, v11, vcc
                                        ; implicit-def: $vgpr29
.LBB50_142:
	s_andn2_saveexec_b64 s[4:5], s[4:5]
	s_cbranch_execz .LBB50_144
; %bb.143:
	s_waitcnt lgkmcnt(5)
	v_add_co_u32_e32 v10, vcc, v1, v29
	v_addc_co_u32_e32 v11, vcc, 0, v16, vcc
.LBB50_144:
	s_or_b64 exec, exec, s[4:5]
	s_waitcnt lgkmcnt(5)
	v_lshlrev_b64 v[10:11], 2, v[10:11]
	v_mov_b32_e32 v12, s25
	v_add_co_u32_e32 v10, vcc, s24, v10
	v_addc_co_u32_e32 v11, vcc, v12, v11, vcc
	s_waitcnt lgkmcnt(4)
	global_store_dword v[10:11], v8, off
	s_or_b64 exec, exec, s[2:3]
	v_cmp_gt_u32_e32 vcc, s33, v28
	s_and_saveexec_b64 s[2:3], vcc
	s_cbranch_execnz .LBB50_176
.LBB50_145:
	s_or_b64 exec, exec, s[2:3]
	v_cmp_gt_u32_e32 vcc, s33, v27
	s_and_saveexec_b64 s[2:3], vcc
	s_cbranch_execz .LBB50_181
.LBB50_146:
	v_cmp_ge_u32_e32 vcc, v27, v18
                                        ; implicit-def: $vgpr8_vgpr9
	s_and_saveexec_b64 s[4:5], vcc
	s_xor_b64 s[4:5], exec, s[4:5]
	s_cbranch_execz .LBB50_148
; %bb.147:
	s_waitcnt lgkmcnt(4)
	v_xor_b32_e32 v8, 0xfffff9ff, v0
	v_ashrrev_i32_e32 v9, 31, v8
	v_add_co_u32_e32 v8, vcc, v19, v8
	v_addc_co_u32_e32 v9, vcc, v21, v9, vcc
                                        ; implicit-def: $vgpr27
.LBB50_148:
	s_andn2_saveexec_b64 s[4:5], s[4:5]
	s_cbranch_execz .LBB50_150
; %bb.149:
	s_waitcnt lgkmcnt(4)
	v_add_co_u32_e32 v8, vcc, v1, v27
	v_addc_co_u32_e32 v9, vcc, 0, v16, vcc
.LBB50_150:
	s_or_b64 exec, exec, s[4:5]
	s_waitcnt lgkmcnt(4)
	v_lshlrev_b64 v[8:9], 2, v[8:9]
	v_mov_b32_e32 v10, s25
	v_add_co_u32_e32 v8, vcc, s24, v8
	v_addc_co_u32_e32 v9, vcc, v10, v9, vcc
	s_waitcnt lgkmcnt(3)
	global_store_dword v[8:9], v6, off
	s_or_b64 exec, exec, s[2:3]
	v_cmp_gt_u32_e32 vcc, s33, v26
	s_and_saveexec_b64 s[2:3], vcc
	s_cbranch_execnz .LBB50_182
.LBB50_151:
	s_or_b64 exec, exec, s[2:3]
	v_cmp_gt_u32_e32 vcc, s33, v25
	s_and_saveexec_b64 s[2:3], vcc
	s_cbranch_execz .LBB50_187
.LBB50_152:
	v_cmp_ge_u32_e32 vcc, v25, v18
                                        ; implicit-def: $vgpr6_vgpr7
	s_and_saveexec_b64 s[4:5], vcc
	s_xor_b64 s[4:5], exec, s[4:5]
	s_cbranch_execz .LBB50_154
; %bb.153:
	s_waitcnt lgkmcnt(3)
	v_xor_b32_e32 v6, 0xfffff7ff, v0
	v_ashrrev_i32_e32 v7, 31, v6
	v_add_co_u32_e32 v6, vcc, v19, v6
	v_addc_co_u32_e32 v7, vcc, v21, v7, vcc
                                        ; implicit-def: $vgpr25
.LBB50_154:
	s_andn2_saveexec_b64 s[4:5], s[4:5]
	s_cbranch_execz .LBB50_156
; %bb.155:
	s_waitcnt lgkmcnt(3)
	v_add_co_u32_e32 v6, vcc, v1, v25
	v_addc_co_u32_e32 v7, vcc, 0, v16, vcc
.LBB50_156:
	s_or_b64 exec, exec, s[4:5]
	s_waitcnt lgkmcnt(3)
	v_lshlrev_b64 v[6:7], 2, v[6:7]
	v_mov_b32_e32 v8, s25
	v_add_co_u32_e32 v6, vcc, s24, v6
	v_addc_co_u32_e32 v7, vcc, v8, v7, vcc
	s_waitcnt lgkmcnt(2)
	global_store_dword v[6:7], v4, off
	s_or_b64 exec, exec, s[2:3]
	v_cmp_gt_u32_e32 vcc, s33, v24
	s_and_saveexec_b64 s[2:3], vcc
	s_cbranch_execnz .LBB50_188
.LBB50_157:
	s_or_b64 exec, exec, s[2:3]
	v_cmp_gt_u32_e32 vcc, s33, v23
	s_and_saveexec_b64 s[2:3], vcc
	s_cbranch_execz .LBB50_193
.LBB50_158:
	v_cmp_ge_u32_e32 vcc, v23, v18
                                        ; implicit-def: $vgpr4_vgpr5
	s_and_saveexec_b64 s[4:5], vcc
	s_xor_b64 s[4:5], exec, s[4:5]
	s_cbranch_execz .LBB50_160
; %bb.159:
	s_waitcnt lgkmcnt(2)
	v_xor_b32_e32 v4, 0xfffff5ff, v0
	v_ashrrev_i32_e32 v5, 31, v4
	v_add_co_u32_e32 v4, vcc, v19, v4
	v_addc_co_u32_e32 v5, vcc, v21, v5, vcc
                                        ; implicit-def: $vgpr23
.LBB50_160:
	s_andn2_saveexec_b64 s[4:5], s[4:5]
	s_cbranch_execz .LBB50_162
; %bb.161:
	s_waitcnt lgkmcnt(2)
	v_add_co_u32_e32 v4, vcc, v1, v23
	v_addc_co_u32_e32 v5, vcc, 0, v16, vcc
.LBB50_162:
	s_or_b64 exec, exec, s[4:5]
	s_waitcnt lgkmcnt(2)
	v_lshlrev_b64 v[4:5], 2, v[4:5]
	v_mov_b32_e32 v6, s25
	v_add_co_u32_e32 v4, vcc, s24, v4
	v_addc_co_u32_e32 v5, vcc, v6, v5, vcc
	s_waitcnt lgkmcnt(1)
	global_store_dword v[4:5], v2, off
	s_or_b64 exec, exec, s[2:3]
	v_cmp_gt_u32_e32 vcc, s33, v22
	s_and_saveexec_b64 s[2:3], vcc
	s_cbranch_execz .LBB50_199
	s_branch .LBB50_194
.LBB50_163:
	s_or_b64 exec, exec, s[2:3]
	v_cmp_gt_u32_e32 vcc, s33, v32
	s_and_saveexec_b64 s[2:3], vcc
	s_cbranch_execz .LBB50_133
.LBB50_164:
	v_cmp_ge_u32_e32 vcc, v32, v18
                                        ; implicit-def: $vgpr14_vgpr15
	s_and_saveexec_b64 s[4:5], vcc
	s_xor_b64 s[4:5], exec, s[4:5]
	s_cbranch_execz .LBB50_166
; %bb.165:
	s_waitcnt lgkmcnt(6)
	v_xor_b32_e32 v12, 0xfffffeff, v0
	v_ashrrev_i32_e32 v15, 31, v12
	v_add_co_u32_e32 v14, vcc, v19, v12
	v_addc_co_u32_e32 v15, vcc, v21, v15, vcc
                                        ; implicit-def: $vgpr32
.LBB50_166:
	s_andn2_saveexec_b64 s[4:5], s[4:5]
; %bb.167:
	v_add_co_u32_e32 v14, vcc, v1, v32
	v_addc_co_u32_e32 v15, vcc, 0, v16, vcc
; %bb.168:
	s_or_b64 exec, exec, s[4:5]
	v_lshlrev_b64 v[14:15], 2, v[14:15]
	s_waitcnt lgkmcnt(6)
	v_mov_b32_e32 v12, s25
	v_add_co_u32_e32 v14, vcc, s24, v14
	v_addc_co_u32_e32 v15, vcc, v12, v15, vcc
	global_store_dword v[14:15], v13, off
	s_or_b64 exec, exec, s[2:3]
	v_cmp_gt_u32_e32 vcc, s33, v31
	s_and_saveexec_b64 s[2:3], vcc
	s_cbranch_execnz .LBB50_134
.LBB50_169:
	s_or_b64 exec, exec, s[2:3]
	v_cmp_gt_u32_e32 vcc, s33, v30
	s_and_saveexec_b64 s[2:3], vcc
	s_cbranch_execz .LBB50_139
.LBB50_170:
	v_cmp_ge_u32_e32 vcc, v30, v18
                                        ; implicit-def: $vgpr12_vgpr13
	s_and_saveexec_b64 s[4:5], vcc
	s_xor_b64 s[4:5], exec, s[4:5]
	s_cbranch_execz .LBB50_172
; %bb.171:
	s_waitcnt lgkmcnt(5)
	v_xor_b32_e32 v10, 0xfffffcff, v0
	v_ashrrev_i32_e32 v13, 31, v10
	v_add_co_u32_e32 v12, vcc, v19, v10
	v_addc_co_u32_e32 v13, vcc, v21, v13, vcc
                                        ; implicit-def: $vgpr30
.LBB50_172:
	s_andn2_saveexec_b64 s[4:5], s[4:5]
	s_cbranch_execz .LBB50_174
; %bb.173:
	s_waitcnt lgkmcnt(6)
	v_add_co_u32_e32 v12, vcc, v1, v30
	v_addc_co_u32_e32 v13, vcc, 0, v16, vcc
.LBB50_174:
	s_or_b64 exec, exec, s[4:5]
	s_waitcnt lgkmcnt(6)
	v_lshlrev_b64 v[12:13], 2, v[12:13]
	s_waitcnt lgkmcnt(5)
	v_mov_b32_e32 v10, s25
	v_add_co_u32_e32 v12, vcc, s24, v12
	v_addc_co_u32_e32 v13, vcc, v10, v13, vcc
	global_store_dword v[12:13], v11, off
	s_or_b64 exec, exec, s[2:3]
	v_cmp_gt_u32_e32 vcc, s33, v29
	s_and_saveexec_b64 s[2:3], vcc
	s_cbranch_execnz .LBB50_140
.LBB50_175:
	s_or_b64 exec, exec, s[2:3]
	v_cmp_gt_u32_e32 vcc, s33, v28
	s_and_saveexec_b64 s[2:3], vcc
	s_cbranch_execz .LBB50_145
.LBB50_176:
	v_cmp_ge_u32_e32 vcc, v28, v18
                                        ; implicit-def: $vgpr10_vgpr11
	s_and_saveexec_b64 s[4:5], vcc
	s_xor_b64 s[4:5], exec, s[4:5]
	s_cbranch_execz .LBB50_178
; %bb.177:
	s_waitcnt lgkmcnt(4)
	v_xor_b32_e32 v8, 0xfffffaff, v0
	v_ashrrev_i32_e32 v11, 31, v8
	v_add_co_u32_e32 v10, vcc, v19, v8
	v_addc_co_u32_e32 v11, vcc, v21, v11, vcc
                                        ; implicit-def: $vgpr28
.LBB50_178:
	s_andn2_saveexec_b64 s[4:5], s[4:5]
	s_cbranch_execz .LBB50_180
; %bb.179:
	s_waitcnt lgkmcnt(5)
	v_add_co_u32_e32 v10, vcc, v1, v28
	v_addc_co_u32_e32 v11, vcc, 0, v16, vcc
.LBB50_180:
	s_or_b64 exec, exec, s[4:5]
	s_waitcnt lgkmcnt(5)
	v_lshlrev_b64 v[10:11], 2, v[10:11]
	s_waitcnt lgkmcnt(4)
	v_mov_b32_e32 v8, s25
	v_add_co_u32_e32 v10, vcc, s24, v10
	v_addc_co_u32_e32 v11, vcc, v8, v11, vcc
	global_store_dword v[10:11], v9, off
	s_or_b64 exec, exec, s[2:3]
	v_cmp_gt_u32_e32 vcc, s33, v27
	s_and_saveexec_b64 s[2:3], vcc
	s_cbranch_execnz .LBB50_146
.LBB50_181:
	s_or_b64 exec, exec, s[2:3]
	v_cmp_gt_u32_e32 vcc, s33, v26
	s_and_saveexec_b64 s[2:3], vcc
	s_cbranch_execz .LBB50_151
.LBB50_182:
	v_cmp_ge_u32_e32 vcc, v26, v18
                                        ; implicit-def: $vgpr8_vgpr9
	s_and_saveexec_b64 s[4:5], vcc
	s_xor_b64 s[4:5], exec, s[4:5]
	s_cbranch_execz .LBB50_184
; %bb.183:
	s_waitcnt lgkmcnt(3)
	v_xor_b32_e32 v6, 0xfffff8ff, v0
	v_ashrrev_i32_e32 v9, 31, v6
	v_add_co_u32_e32 v8, vcc, v19, v6
	v_addc_co_u32_e32 v9, vcc, v21, v9, vcc
                                        ; implicit-def: $vgpr26
.LBB50_184:
	s_andn2_saveexec_b64 s[4:5], s[4:5]
	s_cbranch_execz .LBB50_186
; %bb.185:
	s_waitcnt lgkmcnt(4)
	v_add_co_u32_e32 v8, vcc, v1, v26
	v_addc_co_u32_e32 v9, vcc, 0, v16, vcc
.LBB50_186:
	s_or_b64 exec, exec, s[4:5]
	s_waitcnt lgkmcnt(4)
	v_lshlrev_b64 v[8:9], 2, v[8:9]
	s_waitcnt lgkmcnt(3)
	v_mov_b32_e32 v6, s25
	v_add_co_u32_e32 v8, vcc, s24, v8
	v_addc_co_u32_e32 v9, vcc, v6, v9, vcc
	global_store_dword v[8:9], v7, off
	s_or_b64 exec, exec, s[2:3]
	v_cmp_gt_u32_e32 vcc, s33, v25
	s_and_saveexec_b64 s[2:3], vcc
	s_cbranch_execnz .LBB50_152
.LBB50_187:
	s_or_b64 exec, exec, s[2:3]
	v_cmp_gt_u32_e32 vcc, s33, v24
	s_and_saveexec_b64 s[2:3], vcc
	s_cbranch_execz .LBB50_157
.LBB50_188:
	v_cmp_ge_u32_e32 vcc, v24, v18
                                        ; implicit-def: $vgpr6_vgpr7
	s_and_saveexec_b64 s[4:5], vcc
	s_xor_b64 s[4:5], exec, s[4:5]
	s_cbranch_execz .LBB50_190
; %bb.189:
	s_waitcnt lgkmcnt(2)
	v_xor_b32_e32 v4, 0xfffff6ff, v0
	v_ashrrev_i32_e32 v7, 31, v4
	v_add_co_u32_e32 v6, vcc, v19, v4
	v_addc_co_u32_e32 v7, vcc, v21, v7, vcc
                                        ; implicit-def: $vgpr24
.LBB50_190:
	s_andn2_saveexec_b64 s[4:5], s[4:5]
	s_cbranch_execz .LBB50_192
; %bb.191:
	s_waitcnt lgkmcnt(3)
	v_add_co_u32_e32 v6, vcc, v1, v24
	v_addc_co_u32_e32 v7, vcc, 0, v16, vcc
.LBB50_192:
	s_or_b64 exec, exec, s[4:5]
	s_waitcnt lgkmcnt(3)
	v_lshlrev_b64 v[6:7], 2, v[6:7]
	s_waitcnt lgkmcnt(2)
	v_mov_b32_e32 v4, s25
	v_add_co_u32_e32 v6, vcc, s24, v6
	v_addc_co_u32_e32 v7, vcc, v4, v7, vcc
	global_store_dword v[6:7], v5, off
	s_or_b64 exec, exec, s[2:3]
	v_cmp_gt_u32_e32 vcc, s33, v23
	s_and_saveexec_b64 s[2:3], vcc
	s_cbranch_execnz .LBB50_158
.LBB50_193:
	s_or_b64 exec, exec, s[2:3]
	v_cmp_gt_u32_e32 vcc, s33, v22
	s_and_saveexec_b64 s[2:3], vcc
	s_cbranch_execz .LBB50_199
.LBB50_194:
	v_cmp_ge_u32_e32 vcc, v22, v18
                                        ; implicit-def: $vgpr4_vgpr5
	s_and_saveexec_b64 s[4:5], vcc
	s_xor_b64 s[4:5], exec, s[4:5]
	s_cbranch_execz .LBB50_196
; %bb.195:
	s_waitcnt lgkmcnt(1)
	v_xor_b32_e32 v2, 0xfffff4ff, v0
	v_ashrrev_i32_e32 v5, 31, v2
	v_add_co_u32_e32 v4, vcc, v19, v2
	v_addc_co_u32_e32 v5, vcc, v21, v5, vcc
                                        ; implicit-def: $vgpr22
.LBB50_196:
	s_andn2_saveexec_b64 s[4:5], s[4:5]
	s_cbranch_execz .LBB50_198
; %bb.197:
	s_waitcnt lgkmcnt(2)
	v_add_co_u32_e32 v4, vcc, v1, v22
	v_addc_co_u32_e32 v5, vcc, 0, v16, vcc
.LBB50_198:
	s_or_b64 exec, exec, s[4:5]
	s_waitcnt lgkmcnt(2)
	v_lshlrev_b64 v[4:5], 2, v[4:5]
	s_waitcnt lgkmcnt(1)
	v_mov_b32_e32 v2, s25
	v_add_co_u32_e32 v4, vcc, s24, v4
	v_addc_co_u32_e32 v5, vcc, v2, v5, vcc
	global_store_dword v[4:5], v3, off
.LBB50_199:
	s_or_b64 exec, exec, s[2:3]
	v_cmp_gt_u32_e32 vcc, s33, v20
                                        ; implicit-def: $vgpr14_vgpr15
	s_and_saveexec_b64 s[2:3], vcc
	s_cbranch_execz .LBB50_205
; %bb.200:
	v_cmp_ge_u32_e32 vcc, v20, v18
                                        ; implicit-def: $vgpr14_vgpr15
	s_and_saveexec_b64 s[4:5], vcc
	s_xor_b64 s[4:5], exec, s[4:5]
	s_cbranch_execz .LBB50_202
; %bb.201:
	s_waitcnt lgkmcnt(1)
	v_xor_b32_e32 v2, 0xfffff3ff, v0
	v_ashrrev_i32_e32 v3, 31, v2
	v_add_co_u32_e32 v14, vcc, v19, v2
	v_addc_co_u32_e32 v15, vcc, v21, v3, vcc
                                        ; implicit-def: $vgpr20
.LBB50_202:
	s_andn2_saveexec_b64 s[4:5], s[4:5]
; %bb.203:
	v_add_co_u32_e32 v14, vcc, v1, v20
	v_addc_co_u32_e32 v15, vcc, 0, v16, vcc
; %bb.204:
	s_or_b64 exec, exec, s[4:5]
	s_or_b64 s[0:1], s[0:1], exec
.LBB50_205:
	s_or_b64 exec, exec, s[2:3]
.LBB50_206:
	s_and_saveexec_b64 s[2:3], s[0:1]
	s_cbranch_execz .LBB50_208
; %bb.207:
	s_waitcnt lgkmcnt(1)
	v_lshlrev_b64 v[2:3], 2, v[14:15]
	v_mov_b32_e32 v4, s25
	v_add_co_u32_e32 v2, vcc, s24, v2
	v_addc_co_u32_e32 v3, vcc, v4, v3, vcc
	s_waitcnt lgkmcnt(0)
	global_store_dword v[2:3], v17, off
.LBB50_208:
	s_or_b64 exec, exec, s[2:3]
	v_cmp_eq_u32_e32 vcc, 0, v0
	s_and_b64 s[0:1], vcc, s[22:23]
	s_and_saveexec_b64 s[2:3], s[0:1]
	s_cbranch_execz .LBB50_210
; %bb.209:
	v_add_co_u32_e32 v0, vcc, v1, v18
	s_waitcnt lgkmcnt(1)
	v_mov_b32_e32 v2, 0
	v_addc_co_u32_e32 v1, vcc, 0, v16, vcc
	global_store_dwordx2 v2, v[0:1], s[20:21]
.LBB50_210:
	s_endpgm
	.section	.rodata,"a",@progbits
	.p2align	6, 0x0
	.amdhsa_kernel _ZN7rocprim17ROCPRIM_400000_NS6detail17trampoline_kernelINS0_13select_configILj256ELj13ELNS0_17block_load_methodE3ELS4_3ELS4_3ELNS0_20block_scan_algorithmE0ELj4294967295EEENS1_25partition_config_selectorILNS1_17partition_subalgoE3EjNS0_10empty_typeEbEEZZNS1_14partition_implILS8_3ELb0ES6_jNS0_17counting_iteratorIjlEEPS9_SE_NS0_5tupleIJPjSE_EEENSF_IJSE_SE_EEES9_SG_JZNS1_25segmented_radix_sort_implINS0_14default_configELb1EPKhPhPKlPlN2at6native12_GLOBAL__N_18offset_tEEE10hipError_tPvRmT1_PNSt15iterator_traitsISY_E10value_typeET2_T3_PNSZ_IS14_E10value_typeET4_jRbjT5_S1A_jjP12ihipStream_tbEUljE_EEESV_SW_SX_S14_S18_S1A_T6_T7_T9_mT8_S1C_bDpT10_ENKUlT_T0_E_clISt17integral_constantIbLb0EES1P_EEDaS1K_S1L_EUlS1K_E_NS1_11comp_targetILNS1_3genE4ELNS1_11target_archE910ELNS1_3gpuE8ELNS1_3repE0EEENS1_30default_config_static_selectorELNS0_4arch9wavefront6targetE1EEEvSY_
		.amdhsa_group_segment_fixed_size 13324
		.amdhsa_private_segment_fixed_size 0
		.amdhsa_kernarg_size 144
		.amdhsa_user_sgpr_count 6
		.amdhsa_user_sgpr_private_segment_buffer 1
		.amdhsa_user_sgpr_dispatch_ptr 0
		.amdhsa_user_sgpr_queue_ptr 0
		.amdhsa_user_sgpr_kernarg_segment_ptr 1
		.amdhsa_user_sgpr_dispatch_id 0
		.amdhsa_user_sgpr_flat_scratch_init 0
		.amdhsa_user_sgpr_kernarg_preload_length 0
		.amdhsa_user_sgpr_kernarg_preload_offset 0
		.amdhsa_user_sgpr_private_segment_size 0
		.amdhsa_uses_dynamic_stack 0
		.amdhsa_system_sgpr_private_segment_wavefront_offset 0
		.amdhsa_system_sgpr_workgroup_id_x 1
		.amdhsa_system_sgpr_workgroup_id_y 0
		.amdhsa_system_sgpr_workgroup_id_z 0
		.amdhsa_system_sgpr_workgroup_info 0
		.amdhsa_system_vgpr_workitem_id 0
		.amdhsa_next_free_vgpr 61
		.amdhsa_next_free_sgpr 46
		.amdhsa_accum_offset 64
		.amdhsa_reserve_vcc 1
		.amdhsa_reserve_flat_scratch 0
		.amdhsa_float_round_mode_32 0
		.amdhsa_float_round_mode_16_64 0
		.amdhsa_float_denorm_mode_32 3
		.amdhsa_float_denorm_mode_16_64 3
		.amdhsa_dx10_clamp 1
		.amdhsa_ieee_mode 1
		.amdhsa_fp16_overflow 0
		.amdhsa_tg_split 0
		.amdhsa_exception_fp_ieee_invalid_op 0
		.amdhsa_exception_fp_denorm_src 0
		.amdhsa_exception_fp_ieee_div_zero 0
		.amdhsa_exception_fp_ieee_overflow 0
		.amdhsa_exception_fp_ieee_underflow 0
		.amdhsa_exception_fp_ieee_inexact 0
		.amdhsa_exception_int_div_zero 0
	.end_amdhsa_kernel
	.section	.text._ZN7rocprim17ROCPRIM_400000_NS6detail17trampoline_kernelINS0_13select_configILj256ELj13ELNS0_17block_load_methodE3ELS4_3ELS4_3ELNS0_20block_scan_algorithmE0ELj4294967295EEENS1_25partition_config_selectorILNS1_17partition_subalgoE3EjNS0_10empty_typeEbEEZZNS1_14partition_implILS8_3ELb0ES6_jNS0_17counting_iteratorIjlEEPS9_SE_NS0_5tupleIJPjSE_EEENSF_IJSE_SE_EEES9_SG_JZNS1_25segmented_radix_sort_implINS0_14default_configELb1EPKhPhPKlPlN2at6native12_GLOBAL__N_18offset_tEEE10hipError_tPvRmT1_PNSt15iterator_traitsISY_E10value_typeET2_T3_PNSZ_IS14_E10value_typeET4_jRbjT5_S1A_jjP12ihipStream_tbEUljE_EEESV_SW_SX_S14_S18_S1A_T6_T7_T9_mT8_S1C_bDpT10_ENKUlT_T0_E_clISt17integral_constantIbLb0EES1P_EEDaS1K_S1L_EUlS1K_E_NS1_11comp_targetILNS1_3genE4ELNS1_11target_archE910ELNS1_3gpuE8ELNS1_3repE0EEENS1_30default_config_static_selectorELNS0_4arch9wavefront6targetE1EEEvSY_,"axG",@progbits,_ZN7rocprim17ROCPRIM_400000_NS6detail17trampoline_kernelINS0_13select_configILj256ELj13ELNS0_17block_load_methodE3ELS4_3ELS4_3ELNS0_20block_scan_algorithmE0ELj4294967295EEENS1_25partition_config_selectorILNS1_17partition_subalgoE3EjNS0_10empty_typeEbEEZZNS1_14partition_implILS8_3ELb0ES6_jNS0_17counting_iteratorIjlEEPS9_SE_NS0_5tupleIJPjSE_EEENSF_IJSE_SE_EEES9_SG_JZNS1_25segmented_radix_sort_implINS0_14default_configELb1EPKhPhPKlPlN2at6native12_GLOBAL__N_18offset_tEEE10hipError_tPvRmT1_PNSt15iterator_traitsISY_E10value_typeET2_T3_PNSZ_IS14_E10value_typeET4_jRbjT5_S1A_jjP12ihipStream_tbEUljE_EEESV_SW_SX_S14_S18_S1A_T6_T7_T9_mT8_S1C_bDpT10_ENKUlT_T0_E_clISt17integral_constantIbLb0EES1P_EEDaS1K_S1L_EUlS1K_E_NS1_11comp_targetILNS1_3genE4ELNS1_11target_archE910ELNS1_3gpuE8ELNS1_3repE0EEENS1_30default_config_static_selectorELNS0_4arch9wavefront6targetE1EEEvSY_,comdat
.Lfunc_end50:
	.size	_ZN7rocprim17ROCPRIM_400000_NS6detail17trampoline_kernelINS0_13select_configILj256ELj13ELNS0_17block_load_methodE3ELS4_3ELS4_3ELNS0_20block_scan_algorithmE0ELj4294967295EEENS1_25partition_config_selectorILNS1_17partition_subalgoE3EjNS0_10empty_typeEbEEZZNS1_14partition_implILS8_3ELb0ES6_jNS0_17counting_iteratorIjlEEPS9_SE_NS0_5tupleIJPjSE_EEENSF_IJSE_SE_EEES9_SG_JZNS1_25segmented_radix_sort_implINS0_14default_configELb1EPKhPhPKlPlN2at6native12_GLOBAL__N_18offset_tEEE10hipError_tPvRmT1_PNSt15iterator_traitsISY_E10value_typeET2_T3_PNSZ_IS14_E10value_typeET4_jRbjT5_S1A_jjP12ihipStream_tbEUljE_EEESV_SW_SX_S14_S18_S1A_T6_T7_T9_mT8_S1C_bDpT10_ENKUlT_T0_E_clISt17integral_constantIbLb0EES1P_EEDaS1K_S1L_EUlS1K_E_NS1_11comp_targetILNS1_3genE4ELNS1_11target_archE910ELNS1_3gpuE8ELNS1_3repE0EEENS1_30default_config_static_selectorELNS0_4arch9wavefront6targetE1EEEvSY_, .Lfunc_end50-_ZN7rocprim17ROCPRIM_400000_NS6detail17trampoline_kernelINS0_13select_configILj256ELj13ELNS0_17block_load_methodE3ELS4_3ELS4_3ELNS0_20block_scan_algorithmE0ELj4294967295EEENS1_25partition_config_selectorILNS1_17partition_subalgoE3EjNS0_10empty_typeEbEEZZNS1_14partition_implILS8_3ELb0ES6_jNS0_17counting_iteratorIjlEEPS9_SE_NS0_5tupleIJPjSE_EEENSF_IJSE_SE_EEES9_SG_JZNS1_25segmented_radix_sort_implINS0_14default_configELb1EPKhPhPKlPlN2at6native12_GLOBAL__N_18offset_tEEE10hipError_tPvRmT1_PNSt15iterator_traitsISY_E10value_typeET2_T3_PNSZ_IS14_E10value_typeET4_jRbjT5_S1A_jjP12ihipStream_tbEUljE_EEESV_SW_SX_S14_S18_S1A_T6_T7_T9_mT8_S1C_bDpT10_ENKUlT_T0_E_clISt17integral_constantIbLb0EES1P_EEDaS1K_S1L_EUlS1K_E_NS1_11comp_targetILNS1_3genE4ELNS1_11target_archE910ELNS1_3gpuE8ELNS1_3repE0EEENS1_30default_config_static_selectorELNS0_4arch9wavefront6targetE1EEEvSY_
                                        ; -- End function
	.section	.AMDGPU.csdata,"",@progbits
; Kernel info:
; codeLenInByte = 7676
; NumSgprs: 50
; NumVgprs: 61
; NumAgprs: 0
; TotalNumVgprs: 61
; ScratchSize: 0
; MemoryBound: 0
; FloatMode: 240
; IeeeMode: 1
; LDSByteSize: 13324 bytes/workgroup (compile time only)
; SGPRBlocks: 6
; VGPRBlocks: 7
; NumSGPRsForWavesPerEU: 50
; NumVGPRsForWavesPerEU: 61
; AccumOffset: 64
; Occupancy: 4
; WaveLimiterHint : 0
; COMPUTE_PGM_RSRC2:SCRATCH_EN: 0
; COMPUTE_PGM_RSRC2:USER_SGPR: 6
; COMPUTE_PGM_RSRC2:TRAP_HANDLER: 0
; COMPUTE_PGM_RSRC2:TGID_X_EN: 1
; COMPUTE_PGM_RSRC2:TGID_Y_EN: 0
; COMPUTE_PGM_RSRC2:TGID_Z_EN: 0
; COMPUTE_PGM_RSRC2:TIDIG_COMP_CNT: 0
; COMPUTE_PGM_RSRC3_GFX90A:ACCUM_OFFSET: 15
; COMPUTE_PGM_RSRC3_GFX90A:TG_SPLIT: 0
	.section	.text._ZN7rocprim17ROCPRIM_400000_NS6detail17trampoline_kernelINS0_13select_configILj256ELj13ELNS0_17block_load_methodE3ELS4_3ELS4_3ELNS0_20block_scan_algorithmE0ELj4294967295EEENS1_25partition_config_selectorILNS1_17partition_subalgoE3EjNS0_10empty_typeEbEEZZNS1_14partition_implILS8_3ELb0ES6_jNS0_17counting_iteratorIjlEEPS9_SE_NS0_5tupleIJPjSE_EEENSF_IJSE_SE_EEES9_SG_JZNS1_25segmented_radix_sort_implINS0_14default_configELb1EPKhPhPKlPlN2at6native12_GLOBAL__N_18offset_tEEE10hipError_tPvRmT1_PNSt15iterator_traitsISY_E10value_typeET2_T3_PNSZ_IS14_E10value_typeET4_jRbjT5_S1A_jjP12ihipStream_tbEUljE_EEESV_SW_SX_S14_S18_S1A_T6_T7_T9_mT8_S1C_bDpT10_ENKUlT_T0_E_clISt17integral_constantIbLb0EES1P_EEDaS1K_S1L_EUlS1K_E_NS1_11comp_targetILNS1_3genE3ELNS1_11target_archE908ELNS1_3gpuE7ELNS1_3repE0EEENS1_30default_config_static_selectorELNS0_4arch9wavefront6targetE1EEEvSY_,"axG",@progbits,_ZN7rocprim17ROCPRIM_400000_NS6detail17trampoline_kernelINS0_13select_configILj256ELj13ELNS0_17block_load_methodE3ELS4_3ELS4_3ELNS0_20block_scan_algorithmE0ELj4294967295EEENS1_25partition_config_selectorILNS1_17partition_subalgoE3EjNS0_10empty_typeEbEEZZNS1_14partition_implILS8_3ELb0ES6_jNS0_17counting_iteratorIjlEEPS9_SE_NS0_5tupleIJPjSE_EEENSF_IJSE_SE_EEES9_SG_JZNS1_25segmented_radix_sort_implINS0_14default_configELb1EPKhPhPKlPlN2at6native12_GLOBAL__N_18offset_tEEE10hipError_tPvRmT1_PNSt15iterator_traitsISY_E10value_typeET2_T3_PNSZ_IS14_E10value_typeET4_jRbjT5_S1A_jjP12ihipStream_tbEUljE_EEESV_SW_SX_S14_S18_S1A_T6_T7_T9_mT8_S1C_bDpT10_ENKUlT_T0_E_clISt17integral_constantIbLb0EES1P_EEDaS1K_S1L_EUlS1K_E_NS1_11comp_targetILNS1_3genE3ELNS1_11target_archE908ELNS1_3gpuE7ELNS1_3repE0EEENS1_30default_config_static_selectorELNS0_4arch9wavefront6targetE1EEEvSY_,comdat
	.globl	_ZN7rocprim17ROCPRIM_400000_NS6detail17trampoline_kernelINS0_13select_configILj256ELj13ELNS0_17block_load_methodE3ELS4_3ELS4_3ELNS0_20block_scan_algorithmE0ELj4294967295EEENS1_25partition_config_selectorILNS1_17partition_subalgoE3EjNS0_10empty_typeEbEEZZNS1_14partition_implILS8_3ELb0ES6_jNS0_17counting_iteratorIjlEEPS9_SE_NS0_5tupleIJPjSE_EEENSF_IJSE_SE_EEES9_SG_JZNS1_25segmented_radix_sort_implINS0_14default_configELb1EPKhPhPKlPlN2at6native12_GLOBAL__N_18offset_tEEE10hipError_tPvRmT1_PNSt15iterator_traitsISY_E10value_typeET2_T3_PNSZ_IS14_E10value_typeET4_jRbjT5_S1A_jjP12ihipStream_tbEUljE_EEESV_SW_SX_S14_S18_S1A_T6_T7_T9_mT8_S1C_bDpT10_ENKUlT_T0_E_clISt17integral_constantIbLb0EES1P_EEDaS1K_S1L_EUlS1K_E_NS1_11comp_targetILNS1_3genE3ELNS1_11target_archE908ELNS1_3gpuE7ELNS1_3repE0EEENS1_30default_config_static_selectorELNS0_4arch9wavefront6targetE1EEEvSY_ ; -- Begin function _ZN7rocprim17ROCPRIM_400000_NS6detail17trampoline_kernelINS0_13select_configILj256ELj13ELNS0_17block_load_methodE3ELS4_3ELS4_3ELNS0_20block_scan_algorithmE0ELj4294967295EEENS1_25partition_config_selectorILNS1_17partition_subalgoE3EjNS0_10empty_typeEbEEZZNS1_14partition_implILS8_3ELb0ES6_jNS0_17counting_iteratorIjlEEPS9_SE_NS0_5tupleIJPjSE_EEENSF_IJSE_SE_EEES9_SG_JZNS1_25segmented_radix_sort_implINS0_14default_configELb1EPKhPhPKlPlN2at6native12_GLOBAL__N_18offset_tEEE10hipError_tPvRmT1_PNSt15iterator_traitsISY_E10value_typeET2_T3_PNSZ_IS14_E10value_typeET4_jRbjT5_S1A_jjP12ihipStream_tbEUljE_EEESV_SW_SX_S14_S18_S1A_T6_T7_T9_mT8_S1C_bDpT10_ENKUlT_T0_E_clISt17integral_constantIbLb0EES1P_EEDaS1K_S1L_EUlS1K_E_NS1_11comp_targetILNS1_3genE3ELNS1_11target_archE908ELNS1_3gpuE7ELNS1_3repE0EEENS1_30default_config_static_selectorELNS0_4arch9wavefront6targetE1EEEvSY_
	.p2align	8
	.type	_ZN7rocprim17ROCPRIM_400000_NS6detail17trampoline_kernelINS0_13select_configILj256ELj13ELNS0_17block_load_methodE3ELS4_3ELS4_3ELNS0_20block_scan_algorithmE0ELj4294967295EEENS1_25partition_config_selectorILNS1_17partition_subalgoE3EjNS0_10empty_typeEbEEZZNS1_14partition_implILS8_3ELb0ES6_jNS0_17counting_iteratorIjlEEPS9_SE_NS0_5tupleIJPjSE_EEENSF_IJSE_SE_EEES9_SG_JZNS1_25segmented_radix_sort_implINS0_14default_configELb1EPKhPhPKlPlN2at6native12_GLOBAL__N_18offset_tEEE10hipError_tPvRmT1_PNSt15iterator_traitsISY_E10value_typeET2_T3_PNSZ_IS14_E10value_typeET4_jRbjT5_S1A_jjP12ihipStream_tbEUljE_EEESV_SW_SX_S14_S18_S1A_T6_T7_T9_mT8_S1C_bDpT10_ENKUlT_T0_E_clISt17integral_constantIbLb0EES1P_EEDaS1K_S1L_EUlS1K_E_NS1_11comp_targetILNS1_3genE3ELNS1_11target_archE908ELNS1_3gpuE7ELNS1_3repE0EEENS1_30default_config_static_selectorELNS0_4arch9wavefront6targetE1EEEvSY_,@function
_ZN7rocprim17ROCPRIM_400000_NS6detail17trampoline_kernelINS0_13select_configILj256ELj13ELNS0_17block_load_methodE3ELS4_3ELS4_3ELNS0_20block_scan_algorithmE0ELj4294967295EEENS1_25partition_config_selectorILNS1_17partition_subalgoE3EjNS0_10empty_typeEbEEZZNS1_14partition_implILS8_3ELb0ES6_jNS0_17counting_iteratorIjlEEPS9_SE_NS0_5tupleIJPjSE_EEENSF_IJSE_SE_EEES9_SG_JZNS1_25segmented_radix_sort_implINS0_14default_configELb1EPKhPhPKlPlN2at6native12_GLOBAL__N_18offset_tEEE10hipError_tPvRmT1_PNSt15iterator_traitsISY_E10value_typeET2_T3_PNSZ_IS14_E10value_typeET4_jRbjT5_S1A_jjP12ihipStream_tbEUljE_EEESV_SW_SX_S14_S18_S1A_T6_T7_T9_mT8_S1C_bDpT10_ENKUlT_T0_E_clISt17integral_constantIbLb0EES1P_EEDaS1K_S1L_EUlS1K_E_NS1_11comp_targetILNS1_3genE3ELNS1_11target_archE908ELNS1_3gpuE7ELNS1_3repE0EEENS1_30default_config_static_selectorELNS0_4arch9wavefront6targetE1EEEvSY_: ; @_ZN7rocprim17ROCPRIM_400000_NS6detail17trampoline_kernelINS0_13select_configILj256ELj13ELNS0_17block_load_methodE3ELS4_3ELS4_3ELNS0_20block_scan_algorithmE0ELj4294967295EEENS1_25partition_config_selectorILNS1_17partition_subalgoE3EjNS0_10empty_typeEbEEZZNS1_14partition_implILS8_3ELb0ES6_jNS0_17counting_iteratorIjlEEPS9_SE_NS0_5tupleIJPjSE_EEENSF_IJSE_SE_EEES9_SG_JZNS1_25segmented_radix_sort_implINS0_14default_configELb1EPKhPhPKlPlN2at6native12_GLOBAL__N_18offset_tEEE10hipError_tPvRmT1_PNSt15iterator_traitsISY_E10value_typeET2_T3_PNSZ_IS14_E10value_typeET4_jRbjT5_S1A_jjP12ihipStream_tbEUljE_EEESV_SW_SX_S14_S18_S1A_T6_T7_T9_mT8_S1C_bDpT10_ENKUlT_T0_E_clISt17integral_constantIbLb0EES1P_EEDaS1K_S1L_EUlS1K_E_NS1_11comp_targetILNS1_3genE3ELNS1_11target_archE908ELNS1_3gpuE7ELNS1_3repE0EEENS1_30default_config_static_selectorELNS0_4arch9wavefront6targetE1EEEvSY_
; %bb.0:
	.section	.rodata,"a",@progbits
	.p2align	6, 0x0
	.amdhsa_kernel _ZN7rocprim17ROCPRIM_400000_NS6detail17trampoline_kernelINS0_13select_configILj256ELj13ELNS0_17block_load_methodE3ELS4_3ELS4_3ELNS0_20block_scan_algorithmE0ELj4294967295EEENS1_25partition_config_selectorILNS1_17partition_subalgoE3EjNS0_10empty_typeEbEEZZNS1_14partition_implILS8_3ELb0ES6_jNS0_17counting_iteratorIjlEEPS9_SE_NS0_5tupleIJPjSE_EEENSF_IJSE_SE_EEES9_SG_JZNS1_25segmented_radix_sort_implINS0_14default_configELb1EPKhPhPKlPlN2at6native12_GLOBAL__N_18offset_tEEE10hipError_tPvRmT1_PNSt15iterator_traitsISY_E10value_typeET2_T3_PNSZ_IS14_E10value_typeET4_jRbjT5_S1A_jjP12ihipStream_tbEUljE_EEESV_SW_SX_S14_S18_S1A_T6_T7_T9_mT8_S1C_bDpT10_ENKUlT_T0_E_clISt17integral_constantIbLb0EES1P_EEDaS1K_S1L_EUlS1K_E_NS1_11comp_targetILNS1_3genE3ELNS1_11target_archE908ELNS1_3gpuE7ELNS1_3repE0EEENS1_30default_config_static_selectorELNS0_4arch9wavefront6targetE1EEEvSY_
		.amdhsa_group_segment_fixed_size 0
		.amdhsa_private_segment_fixed_size 0
		.amdhsa_kernarg_size 144
		.amdhsa_user_sgpr_count 6
		.amdhsa_user_sgpr_private_segment_buffer 1
		.amdhsa_user_sgpr_dispatch_ptr 0
		.amdhsa_user_sgpr_queue_ptr 0
		.amdhsa_user_sgpr_kernarg_segment_ptr 1
		.amdhsa_user_sgpr_dispatch_id 0
		.amdhsa_user_sgpr_flat_scratch_init 0
		.amdhsa_user_sgpr_kernarg_preload_length 0
		.amdhsa_user_sgpr_kernarg_preload_offset 0
		.amdhsa_user_sgpr_private_segment_size 0
		.amdhsa_uses_dynamic_stack 0
		.amdhsa_system_sgpr_private_segment_wavefront_offset 0
		.amdhsa_system_sgpr_workgroup_id_x 1
		.amdhsa_system_sgpr_workgroup_id_y 0
		.amdhsa_system_sgpr_workgroup_id_z 0
		.amdhsa_system_sgpr_workgroup_info 0
		.amdhsa_system_vgpr_workitem_id 0
		.amdhsa_next_free_vgpr 1
		.amdhsa_next_free_sgpr 0
		.amdhsa_accum_offset 4
		.amdhsa_reserve_vcc 0
		.amdhsa_reserve_flat_scratch 0
		.amdhsa_float_round_mode_32 0
		.amdhsa_float_round_mode_16_64 0
		.amdhsa_float_denorm_mode_32 3
		.amdhsa_float_denorm_mode_16_64 3
		.amdhsa_dx10_clamp 1
		.amdhsa_ieee_mode 1
		.amdhsa_fp16_overflow 0
		.amdhsa_tg_split 0
		.amdhsa_exception_fp_ieee_invalid_op 0
		.amdhsa_exception_fp_denorm_src 0
		.amdhsa_exception_fp_ieee_div_zero 0
		.amdhsa_exception_fp_ieee_overflow 0
		.amdhsa_exception_fp_ieee_underflow 0
		.amdhsa_exception_fp_ieee_inexact 0
		.amdhsa_exception_int_div_zero 0
	.end_amdhsa_kernel
	.section	.text._ZN7rocprim17ROCPRIM_400000_NS6detail17trampoline_kernelINS0_13select_configILj256ELj13ELNS0_17block_load_methodE3ELS4_3ELS4_3ELNS0_20block_scan_algorithmE0ELj4294967295EEENS1_25partition_config_selectorILNS1_17partition_subalgoE3EjNS0_10empty_typeEbEEZZNS1_14partition_implILS8_3ELb0ES6_jNS0_17counting_iteratorIjlEEPS9_SE_NS0_5tupleIJPjSE_EEENSF_IJSE_SE_EEES9_SG_JZNS1_25segmented_radix_sort_implINS0_14default_configELb1EPKhPhPKlPlN2at6native12_GLOBAL__N_18offset_tEEE10hipError_tPvRmT1_PNSt15iterator_traitsISY_E10value_typeET2_T3_PNSZ_IS14_E10value_typeET4_jRbjT5_S1A_jjP12ihipStream_tbEUljE_EEESV_SW_SX_S14_S18_S1A_T6_T7_T9_mT8_S1C_bDpT10_ENKUlT_T0_E_clISt17integral_constantIbLb0EES1P_EEDaS1K_S1L_EUlS1K_E_NS1_11comp_targetILNS1_3genE3ELNS1_11target_archE908ELNS1_3gpuE7ELNS1_3repE0EEENS1_30default_config_static_selectorELNS0_4arch9wavefront6targetE1EEEvSY_,"axG",@progbits,_ZN7rocprim17ROCPRIM_400000_NS6detail17trampoline_kernelINS0_13select_configILj256ELj13ELNS0_17block_load_methodE3ELS4_3ELS4_3ELNS0_20block_scan_algorithmE0ELj4294967295EEENS1_25partition_config_selectorILNS1_17partition_subalgoE3EjNS0_10empty_typeEbEEZZNS1_14partition_implILS8_3ELb0ES6_jNS0_17counting_iteratorIjlEEPS9_SE_NS0_5tupleIJPjSE_EEENSF_IJSE_SE_EEES9_SG_JZNS1_25segmented_radix_sort_implINS0_14default_configELb1EPKhPhPKlPlN2at6native12_GLOBAL__N_18offset_tEEE10hipError_tPvRmT1_PNSt15iterator_traitsISY_E10value_typeET2_T3_PNSZ_IS14_E10value_typeET4_jRbjT5_S1A_jjP12ihipStream_tbEUljE_EEESV_SW_SX_S14_S18_S1A_T6_T7_T9_mT8_S1C_bDpT10_ENKUlT_T0_E_clISt17integral_constantIbLb0EES1P_EEDaS1K_S1L_EUlS1K_E_NS1_11comp_targetILNS1_3genE3ELNS1_11target_archE908ELNS1_3gpuE7ELNS1_3repE0EEENS1_30default_config_static_selectorELNS0_4arch9wavefront6targetE1EEEvSY_,comdat
.Lfunc_end51:
	.size	_ZN7rocprim17ROCPRIM_400000_NS6detail17trampoline_kernelINS0_13select_configILj256ELj13ELNS0_17block_load_methodE3ELS4_3ELS4_3ELNS0_20block_scan_algorithmE0ELj4294967295EEENS1_25partition_config_selectorILNS1_17partition_subalgoE3EjNS0_10empty_typeEbEEZZNS1_14partition_implILS8_3ELb0ES6_jNS0_17counting_iteratorIjlEEPS9_SE_NS0_5tupleIJPjSE_EEENSF_IJSE_SE_EEES9_SG_JZNS1_25segmented_radix_sort_implINS0_14default_configELb1EPKhPhPKlPlN2at6native12_GLOBAL__N_18offset_tEEE10hipError_tPvRmT1_PNSt15iterator_traitsISY_E10value_typeET2_T3_PNSZ_IS14_E10value_typeET4_jRbjT5_S1A_jjP12ihipStream_tbEUljE_EEESV_SW_SX_S14_S18_S1A_T6_T7_T9_mT8_S1C_bDpT10_ENKUlT_T0_E_clISt17integral_constantIbLb0EES1P_EEDaS1K_S1L_EUlS1K_E_NS1_11comp_targetILNS1_3genE3ELNS1_11target_archE908ELNS1_3gpuE7ELNS1_3repE0EEENS1_30default_config_static_selectorELNS0_4arch9wavefront6targetE1EEEvSY_, .Lfunc_end51-_ZN7rocprim17ROCPRIM_400000_NS6detail17trampoline_kernelINS0_13select_configILj256ELj13ELNS0_17block_load_methodE3ELS4_3ELS4_3ELNS0_20block_scan_algorithmE0ELj4294967295EEENS1_25partition_config_selectorILNS1_17partition_subalgoE3EjNS0_10empty_typeEbEEZZNS1_14partition_implILS8_3ELb0ES6_jNS0_17counting_iteratorIjlEEPS9_SE_NS0_5tupleIJPjSE_EEENSF_IJSE_SE_EEES9_SG_JZNS1_25segmented_radix_sort_implINS0_14default_configELb1EPKhPhPKlPlN2at6native12_GLOBAL__N_18offset_tEEE10hipError_tPvRmT1_PNSt15iterator_traitsISY_E10value_typeET2_T3_PNSZ_IS14_E10value_typeET4_jRbjT5_S1A_jjP12ihipStream_tbEUljE_EEESV_SW_SX_S14_S18_S1A_T6_T7_T9_mT8_S1C_bDpT10_ENKUlT_T0_E_clISt17integral_constantIbLb0EES1P_EEDaS1K_S1L_EUlS1K_E_NS1_11comp_targetILNS1_3genE3ELNS1_11target_archE908ELNS1_3gpuE7ELNS1_3repE0EEENS1_30default_config_static_selectorELNS0_4arch9wavefront6targetE1EEEvSY_
                                        ; -- End function
	.section	.AMDGPU.csdata,"",@progbits
; Kernel info:
; codeLenInByte = 0
; NumSgprs: 4
; NumVgprs: 0
; NumAgprs: 0
; TotalNumVgprs: 0
; ScratchSize: 0
; MemoryBound: 0
; FloatMode: 240
; IeeeMode: 1
; LDSByteSize: 0 bytes/workgroup (compile time only)
; SGPRBlocks: 0
; VGPRBlocks: 0
; NumSGPRsForWavesPerEU: 4
; NumVGPRsForWavesPerEU: 1
; AccumOffset: 4
; Occupancy: 8
; WaveLimiterHint : 0
; COMPUTE_PGM_RSRC2:SCRATCH_EN: 0
; COMPUTE_PGM_RSRC2:USER_SGPR: 6
; COMPUTE_PGM_RSRC2:TRAP_HANDLER: 0
; COMPUTE_PGM_RSRC2:TGID_X_EN: 1
; COMPUTE_PGM_RSRC2:TGID_Y_EN: 0
; COMPUTE_PGM_RSRC2:TGID_Z_EN: 0
; COMPUTE_PGM_RSRC2:TIDIG_COMP_CNT: 0
; COMPUTE_PGM_RSRC3_GFX90A:ACCUM_OFFSET: 0
; COMPUTE_PGM_RSRC3_GFX90A:TG_SPLIT: 0
	.section	.text._ZN7rocprim17ROCPRIM_400000_NS6detail17trampoline_kernelINS0_13select_configILj256ELj13ELNS0_17block_load_methodE3ELS4_3ELS4_3ELNS0_20block_scan_algorithmE0ELj4294967295EEENS1_25partition_config_selectorILNS1_17partition_subalgoE3EjNS0_10empty_typeEbEEZZNS1_14partition_implILS8_3ELb0ES6_jNS0_17counting_iteratorIjlEEPS9_SE_NS0_5tupleIJPjSE_EEENSF_IJSE_SE_EEES9_SG_JZNS1_25segmented_radix_sort_implINS0_14default_configELb1EPKhPhPKlPlN2at6native12_GLOBAL__N_18offset_tEEE10hipError_tPvRmT1_PNSt15iterator_traitsISY_E10value_typeET2_T3_PNSZ_IS14_E10value_typeET4_jRbjT5_S1A_jjP12ihipStream_tbEUljE_EEESV_SW_SX_S14_S18_S1A_T6_T7_T9_mT8_S1C_bDpT10_ENKUlT_T0_E_clISt17integral_constantIbLb0EES1P_EEDaS1K_S1L_EUlS1K_E_NS1_11comp_targetILNS1_3genE2ELNS1_11target_archE906ELNS1_3gpuE6ELNS1_3repE0EEENS1_30default_config_static_selectorELNS0_4arch9wavefront6targetE1EEEvSY_,"axG",@progbits,_ZN7rocprim17ROCPRIM_400000_NS6detail17trampoline_kernelINS0_13select_configILj256ELj13ELNS0_17block_load_methodE3ELS4_3ELS4_3ELNS0_20block_scan_algorithmE0ELj4294967295EEENS1_25partition_config_selectorILNS1_17partition_subalgoE3EjNS0_10empty_typeEbEEZZNS1_14partition_implILS8_3ELb0ES6_jNS0_17counting_iteratorIjlEEPS9_SE_NS0_5tupleIJPjSE_EEENSF_IJSE_SE_EEES9_SG_JZNS1_25segmented_radix_sort_implINS0_14default_configELb1EPKhPhPKlPlN2at6native12_GLOBAL__N_18offset_tEEE10hipError_tPvRmT1_PNSt15iterator_traitsISY_E10value_typeET2_T3_PNSZ_IS14_E10value_typeET4_jRbjT5_S1A_jjP12ihipStream_tbEUljE_EEESV_SW_SX_S14_S18_S1A_T6_T7_T9_mT8_S1C_bDpT10_ENKUlT_T0_E_clISt17integral_constantIbLb0EES1P_EEDaS1K_S1L_EUlS1K_E_NS1_11comp_targetILNS1_3genE2ELNS1_11target_archE906ELNS1_3gpuE6ELNS1_3repE0EEENS1_30default_config_static_selectorELNS0_4arch9wavefront6targetE1EEEvSY_,comdat
	.globl	_ZN7rocprim17ROCPRIM_400000_NS6detail17trampoline_kernelINS0_13select_configILj256ELj13ELNS0_17block_load_methodE3ELS4_3ELS4_3ELNS0_20block_scan_algorithmE0ELj4294967295EEENS1_25partition_config_selectorILNS1_17partition_subalgoE3EjNS0_10empty_typeEbEEZZNS1_14partition_implILS8_3ELb0ES6_jNS0_17counting_iteratorIjlEEPS9_SE_NS0_5tupleIJPjSE_EEENSF_IJSE_SE_EEES9_SG_JZNS1_25segmented_radix_sort_implINS0_14default_configELb1EPKhPhPKlPlN2at6native12_GLOBAL__N_18offset_tEEE10hipError_tPvRmT1_PNSt15iterator_traitsISY_E10value_typeET2_T3_PNSZ_IS14_E10value_typeET4_jRbjT5_S1A_jjP12ihipStream_tbEUljE_EEESV_SW_SX_S14_S18_S1A_T6_T7_T9_mT8_S1C_bDpT10_ENKUlT_T0_E_clISt17integral_constantIbLb0EES1P_EEDaS1K_S1L_EUlS1K_E_NS1_11comp_targetILNS1_3genE2ELNS1_11target_archE906ELNS1_3gpuE6ELNS1_3repE0EEENS1_30default_config_static_selectorELNS0_4arch9wavefront6targetE1EEEvSY_ ; -- Begin function _ZN7rocprim17ROCPRIM_400000_NS6detail17trampoline_kernelINS0_13select_configILj256ELj13ELNS0_17block_load_methodE3ELS4_3ELS4_3ELNS0_20block_scan_algorithmE0ELj4294967295EEENS1_25partition_config_selectorILNS1_17partition_subalgoE3EjNS0_10empty_typeEbEEZZNS1_14partition_implILS8_3ELb0ES6_jNS0_17counting_iteratorIjlEEPS9_SE_NS0_5tupleIJPjSE_EEENSF_IJSE_SE_EEES9_SG_JZNS1_25segmented_radix_sort_implINS0_14default_configELb1EPKhPhPKlPlN2at6native12_GLOBAL__N_18offset_tEEE10hipError_tPvRmT1_PNSt15iterator_traitsISY_E10value_typeET2_T3_PNSZ_IS14_E10value_typeET4_jRbjT5_S1A_jjP12ihipStream_tbEUljE_EEESV_SW_SX_S14_S18_S1A_T6_T7_T9_mT8_S1C_bDpT10_ENKUlT_T0_E_clISt17integral_constantIbLb0EES1P_EEDaS1K_S1L_EUlS1K_E_NS1_11comp_targetILNS1_3genE2ELNS1_11target_archE906ELNS1_3gpuE6ELNS1_3repE0EEENS1_30default_config_static_selectorELNS0_4arch9wavefront6targetE1EEEvSY_
	.p2align	8
	.type	_ZN7rocprim17ROCPRIM_400000_NS6detail17trampoline_kernelINS0_13select_configILj256ELj13ELNS0_17block_load_methodE3ELS4_3ELS4_3ELNS0_20block_scan_algorithmE0ELj4294967295EEENS1_25partition_config_selectorILNS1_17partition_subalgoE3EjNS0_10empty_typeEbEEZZNS1_14partition_implILS8_3ELb0ES6_jNS0_17counting_iteratorIjlEEPS9_SE_NS0_5tupleIJPjSE_EEENSF_IJSE_SE_EEES9_SG_JZNS1_25segmented_radix_sort_implINS0_14default_configELb1EPKhPhPKlPlN2at6native12_GLOBAL__N_18offset_tEEE10hipError_tPvRmT1_PNSt15iterator_traitsISY_E10value_typeET2_T3_PNSZ_IS14_E10value_typeET4_jRbjT5_S1A_jjP12ihipStream_tbEUljE_EEESV_SW_SX_S14_S18_S1A_T6_T7_T9_mT8_S1C_bDpT10_ENKUlT_T0_E_clISt17integral_constantIbLb0EES1P_EEDaS1K_S1L_EUlS1K_E_NS1_11comp_targetILNS1_3genE2ELNS1_11target_archE906ELNS1_3gpuE6ELNS1_3repE0EEENS1_30default_config_static_selectorELNS0_4arch9wavefront6targetE1EEEvSY_,@function
_ZN7rocprim17ROCPRIM_400000_NS6detail17trampoline_kernelINS0_13select_configILj256ELj13ELNS0_17block_load_methodE3ELS4_3ELS4_3ELNS0_20block_scan_algorithmE0ELj4294967295EEENS1_25partition_config_selectorILNS1_17partition_subalgoE3EjNS0_10empty_typeEbEEZZNS1_14partition_implILS8_3ELb0ES6_jNS0_17counting_iteratorIjlEEPS9_SE_NS0_5tupleIJPjSE_EEENSF_IJSE_SE_EEES9_SG_JZNS1_25segmented_radix_sort_implINS0_14default_configELb1EPKhPhPKlPlN2at6native12_GLOBAL__N_18offset_tEEE10hipError_tPvRmT1_PNSt15iterator_traitsISY_E10value_typeET2_T3_PNSZ_IS14_E10value_typeET4_jRbjT5_S1A_jjP12ihipStream_tbEUljE_EEESV_SW_SX_S14_S18_S1A_T6_T7_T9_mT8_S1C_bDpT10_ENKUlT_T0_E_clISt17integral_constantIbLb0EES1P_EEDaS1K_S1L_EUlS1K_E_NS1_11comp_targetILNS1_3genE2ELNS1_11target_archE906ELNS1_3gpuE6ELNS1_3repE0EEENS1_30default_config_static_selectorELNS0_4arch9wavefront6targetE1EEEvSY_: ; @_ZN7rocprim17ROCPRIM_400000_NS6detail17trampoline_kernelINS0_13select_configILj256ELj13ELNS0_17block_load_methodE3ELS4_3ELS4_3ELNS0_20block_scan_algorithmE0ELj4294967295EEENS1_25partition_config_selectorILNS1_17partition_subalgoE3EjNS0_10empty_typeEbEEZZNS1_14partition_implILS8_3ELb0ES6_jNS0_17counting_iteratorIjlEEPS9_SE_NS0_5tupleIJPjSE_EEENSF_IJSE_SE_EEES9_SG_JZNS1_25segmented_radix_sort_implINS0_14default_configELb1EPKhPhPKlPlN2at6native12_GLOBAL__N_18offset_tEEE10hipError_tPvRmT1_PNSt15iterator_traitsISY_E10value_typeET2_T3_PNSZ_IS14_E10value_typeET4_jRbjT5_S1A_jjP12ihipStream_tbEUljE_EEESV_SW_SX_S14_S18_S1A_T6_T7_T9_mT8_S1C_bDpT10_ENKUlT_T0_E_clISt17integral_constantIbLb0EES1P_EEDaS1K_S1L_EUlS1K_E_NS1_11comp_targetILNS1_3genE2ELNS1_11target_archE906ELNS1_3gpuE6ELNS1_3repE0EEENS1_30default_config_static_selectorELNS0_4arch9wavefront6targetE1EEEvSY_
; %bb.0:
	.section	.rodata,"a",@progbits
	.p2align	6, 0x0
	.amdhsa_kernel _ZN7rocprim17ROCPRIM_400000_NS6detail17trampoline_kernelINS0_13select_configILj256ELj13ELNS0_17block_load_methodE3ELS4_3ELS4_3ELNS0_20block_scan_algorithmE0ELj4294967295EEENS1_25partition_config_selectorILNS1_17partition_subalgoE3EjNS0_10empty_typeEbEEZZNS1_14partition_implILS8_3ELb0ES6_jNS0_17counting_iteratorIjlEEPS9_SE_NS0_5tupleIJPjSE_EEENSF_IJSE_SE_EEES9_SG_JZNS1_25segmented_radix_sort_implINS0_14default_configELb1EPKhPhPKlPlN2at6native12_GLOBAL__N_18offset_tEEE10hipError_tPvRmT1_PNSt15iterator_traitsISY_E10value_typeET2_T3_PNSZ_IS14_E10value_typeET4_jRbjT5_S1A_jjP12ihipStream_tbEUljE_EEESV_SW_SX_S14_S18_S1A_T6_T7_T9_mT8_S1C_bDpT10_ENKUlT_T0_E_clISt17integral_constantIbLb0EES1P_EEDaS1K_S1L_EUlS1K_E_NS1_11comp_targetILNS1_3genE2ELNS1_11target_archE906ELNS1_3gpuE6ELNS1_3repE0EEENS1_30default_config_static_selectorELNS0_4arch9wavefront6targetE1EEEvSY_
		.amdhsa_group_segment_fixed_size 0
		.amdhsa_private_segment_fixed_size 0
		.amdhsa_kernarg_size 144
		.amdhsa_user_sgpr_count 6
		.amdhsa_user_sgpr_private_segment_buffer 1
		.amdhsa_user_sgpr_dispatch_ptr 0
		.amdhsa_user_sgpr_queue_ptr 0
		.amdhsa_user_sgpr_kernarg_segment_ptr 1
		.amdhsa_user_sgpr_dispatch_id 0
		.amdhsa_user_sgpr_flat_scratch_init 0
		.amdhsa_user_sgpr_kernarg_preload_length 0
		.amdhsa_user_sgpr_kernarg_preload_offset 0
		.amdhsa_user_sgpr_private_segment_size 0
		.amdhsa_uses_dynamic_stack 0
		.amdhsa_system_sgpr_private_segment_wavefront_offset 0
		.amdhsa_system_sgpr_workgroup_id_x 1
		.amdhsa_system_sgpr_workgroup_id_y 0
		.amdhsa_system_sgpr_workgroup_id_z 0
		.amdhsa_system_sgpr_workgroup_info 0
		.amdhsa_system_vgpr_workitem_id 0
		.amdhsa_next_free_vgpr 1
		.amdhsa_next_free_sgpr 0
		.amdhsa_accum_offset 4
		.amdhsa_reserve_vcc 0
		.amdhsa_reserve_flat_scratch 0
		.amdhsa_float_round_mode_32 0
		.amdhsa_float_round_mode_16_64 0
		.amdhsa_float_denorm_mode_32 3
		.amdhsa_float_denorm_mode_16_64 3
		.amdhsa_dx10_clamp 1
		.amdhsa_ieee_mode 1
		.amdhsa_fp16_overflow 0
		.amdhsa_tg_split 0
		.amdhsa_exception_fp_ieee_invalid_op 0
		.amdhsa_exception_fp_denorm_src 0
		.amdhsa_exception_fp_ieee_div_zero 0
		.amdhsa_exception_fp_ieee_overflow 0
		.amdhsa_exception_fp_ieee_underflow 0
		.amdhsa_exception_fp_ieee_inexact 0
		.amdhsa_exception_int_div_zero 0
	.end_amdhsa_kernel
	.section	.text._ZN7rocprim17ROCPRIM_400000_NS6detail17trampoline_kernelINS0_13select_configILj256ELj13ELNS0_17block_load_methodE3ELS4_3ELS4_3ELNS0_20block_scan_algorithmE0ELj4294967295EEENS1_25partition_config_selectorILNS1_17partition_subalgoE3EjNS0_10empty_typeEbEEZZNS1_14partition_implILS8_3ELb0ES6_jNS0_17counting_iteratorIjlEEPS9_SE_NS0_5tupleIJPjSE_EEENSF_IJSE_SE_EEES9_SG_JZNS1_25segmented_radix_sort_implINS0_14default_configELb1EPKhPhPKlPlN2at6native12_GLOBAL__N_18offset_tEEE10hipError_tPvRmT1_PNSt15iterator_traitsISY_E10value_typeET2_T3_PNSZ_IS14_E10value_typeET4_jRbjT5_S1A_jjP12ihipStream_tbEUljE_EEESV_SW_SX_S14_S18_S1A_T6_T7_T9_mT8_S1C_bDpT10_ENKUlT_T0_E_clISt17integral_constantIbLb0EES1P_EEDaS1K_S1L_EUlS1K_E_NS1_11comp_targetILNS1_3genE2ELNS1_11target_archE906ELNS1_3gpuE6ELNS1_3repE0EEENS1_30default_config_static_selectorELNS0_4arch9wavefront6targetE1EEEvSY_,"axG",@progbits,_ZN7rocprim17ROCPRIM_400000_NS6detail17trampoline_kernelINS0_13select_configILj256ELj13ELNS0_17block_load_methodE3ELS4_3ELS4_3ELNS0_20block_scan_algorithmE0ELj4294967295EEENS1_25partition_config_selectorILNS1_17partition_subalgoE3EjNS0_10empty_typeEbEEZZNS1_14partition_implILS8_3ELb0ES6_jNS0_17counting_iteratorIjlEEPS9_SE_NS0_5tupleIJPjSE_EEENSF_IJSE_SE_EEES9_SG_JZNS1_25segmented_radix_sort_implINS0_14default_configELb1EPKhPhPKlPlN2at6native12_GLOBAL__N_18offset_tEEE10hipError_tPvRmT1_PNSt15iterator_traitsISY_E10value_typeET2_T3_PNSZ_IS14_E10value_typeET4_jRbjT5_S1A_jjP12ihipStream_tbEUljE_EEESV_SW_SX_S14_S18_S1A_T6_T7_T9_mT8_S1C_bDpT10_ENKUlT_T0_E_clISt17integral_constantIbLb0EES1P_EEDaS1K_S1L_EUlS1K_E_NS1_11comp_targetILNS1_3genE2ELNS1_11target_archE906ELNS1_3gpuE6ELNS1_3repE0EEENS1_30default_config_static_selectorELNS0_4arch9wavefront6targetE1EEEvSY_,comdat
.Lfunc_end52:
	.size	_ZN7rocprim17ROCPRIM_400000_NS6detail17trampoline_kernelINS0_13select_configILj256ELj13ELNS0_17block_load_methodE3ELS4_3ELS4_3ELNS0_20block_scan_algorithmE0ELj4294967295EEENS1_25partition_config_selectorILNS1_17partition_subalgoE3EjNS0_10empty_typeEbEEZZNS1_14partition_implILS8_3ELb0ES6_jNS0_17counting_iteratorIjlEEPS9_SE_NS0_5tupleIJPjSE_EEENSF_IJSE_SE_EEES9_SG_JZNS1_25segmented_radix_sort_implINS0_14default_configELb1EPKhPhPKlPlN2at6native12_GLOBAL__N_18offset_tEEE10hipError_tPvRmT1_PNSt15iterator_traitsISY_E10value_typeET2_T3_PNSZ_IS14_E10value_typeET4_jRbjT5_S1A_jjP12ihipStream_tbEUljE_EEESV_SW_SX_S14_S18_S1A_T6_T7_T9_mT8_S1C_bDpT10_ENKUlT_T0_E_clISt17integral_constantIbLb0EES1P_EEDaS1K_S1L_EUlS1K_E_NS1_11comp_targetILNS1_3genE2ELNS1_11target_archE906ELNS1_3gpuE6ELNS1_3repE0EEENS1_30default_config_static_selectorELNS0_4arch9wavefront6targetE1EEEvSY_, .Lfunc_end52-_ZN7rocprim17ROCPRIM_400000_NS6detail17trampoline_kernelINS0_13select_configILj256ELj13ELNS0_17block_load_methodE3ELS4_3ELS4_3ELNS0_20block_scan_algorithmE0ELj4294967295EEENS1_25partition_config_selectorILNS1_17partition_subalgoE3EjNS0_10empty_typeEbEEZZNS1_14partition_implILS8_3ELb0ES6_jNS0_17counting_iteratorIjlEEPS9_SE_NS0_5tupleIJPjSE_EEENSF_IJSE_SE_EEES9_SG_JZNS1_25segmented_radix_sort_implINS0_14default_configELb1EPKhPhPKlPlN2at6native12_GLOBAL__N_18offset_tEEE10hipError_tPvRmT1_PNSt15iterator_traitsISY_E10value_typeET2_T3_PNSZ_IS14_E10value_typeET4_jRbjT5_S1A_jjP12ihipStream_tbEUljE_EEESV_SW_SX_S14_S18_S1A_T6_T7_T9_mT8_S1C_bDpT10_ENKUlT_T0_E_clISt17integral_constantIbLb0EES1P_EEDaS1K_S1L_EUlS1K_E_NS1_11comp_targetILNS1_3genE2ELNS1_11target_archE906ELNS1_3gpuE6ELNS1_3repE0EEENS1_30default_config_static_selectorELNS0_4arch9wavefront6targetE1EEEvSY_
                                        ; -- End function
	.section	.AMDGPU.csdata,"",@progbits
; Kernel info:
; codeLenInByte = 0
; NumSgprs: 4
; NumVgprs: 0
; NumAgprs: 0
; TotalNumVgprs: 0
; ScratchSize: 0
; MemoryBound: 0
; FloatMode: 240
; IeeeMode: 1
; LDSByteSize: 0 bytes/workgroup (compile time only)
; SGPRBlocks: 0
; VGPRBlocks: 0
; NumSGPRsForWavesPerEU: 4
; NumVGPRsForWavesPerEU: 1
; AccumOffset: 4
; Occupancy: 8
; WaveLimiterHint : 0
; COMPUTE_PGM_RSRC2:SCRATCH_EN: 0
; COMPUTE_PGM_RSRC2:USER_SGPR: 6
; COMPUTE_PGM_RSRC2:TRAP_HANDLER: 0
; COMPUTE_PGM_RSRC2:TGID_X_EN: 1
; COMPUTE_PGM_RSRC2:TGID_Y_EN: 0
; COMPUTE_PGM_RSRC2:TGID_Z_EN: 0
; COMPUTE_PGM_RSRC2:TIDIG_COMP_CNT: 0
; COMPUTE_PGM_RSRC3_GFX90A:ACCUM_OFFSET: 0
; COMPUTE_PGM_RSRC3_GFX90A:TG_SPLIT: 0
	.section	.text._ZN7rocprim17ROCPRIM_400000_NS6detail17trampoline_kernelINS0_13select_configILj256ELj13ELNS0_17block_load_methodE3ELS4_3ELS4_3ELNS0_20block_scan_algorithmE0ELj4294967295EEENS1_25partition_config_selectorILNS1_17partition_subalgoE3EjNS0_10empty_typeEbEEZZNS1_14partition_implILS8_3ELb0ES6_jNS0_17counting_iteratorIjlEEPS9_SE_NS0_5tupleIJPjSE_EEENSF_IJSE_SE_EEES9_SG_JZNS1_25segmented_radix_sort_implINS0_14default_configELb1EPKhPhPKlPlN2at6native12_GLOBAL__N_18offset_tEEE10hipError_tPvRmT1_PNSt15iterator_traitsISY_E10value_typeET2_T3_PNSZ_IS14_E10value_typeET4_jRbjT5_S1A_jjP12ihipStream_tbEUljE_EEESV_SW_SX_S14_S18_S1A_T6_T7_T9_mT8_S1C_bDpT10_ENKUlT_T0_E_clISt17integral_constantIbLb0EES1P_EEDaS1K_S1L_EUlS1K_E_NS1_11comp_targetILNS1_3genE10ELNS1_11target_archE1200ELNS1_3gpuE4ELNS1_3repE0EEENS1_30default_config_static_selectorELNS0_4arch9wavefront6targetE1EEEvSY_,"axG",@progbits,_ZN7rocprim17ROCPRIM_400000_NS6detail17trampoline_kernelINS0_13select_configILj256ELj13ELNS0_17block_load_methodE3ELS4_3ELS4_3ELNS0_20block_scan_algorithmE0ELj4294967295EEENS1_25partition_config_selectorILNS1_17partition_subalgoE3EjNS0_10empty_typeEbEEZZNS1_14partition_implILS8_3ELb0ES6_jNS0_17counting_iteratorIjlEEPS9_SE_NS0_5tupleIJPjSE_EEENSF_IJSE_SE_EEES9_SG_JZNS1_25segmented_radix_sort_implINS0_14default_configELb1EPKhPhPKlPlN2at6native12_GLOBAL__N_18offset_tEEE10hipError_tPvRmT1_PNSt15iterator_traitsISY_E10value_typeET2_T3_PNSZ_IS14_E10value_typeET4_jRbjT5_S1A_jjP12ihipStream_tbEUljE_EEESV_SW_SX_S14_S18_S1A_T6_T7_T9_mT8_S1C_bDpT10_ENKUlT_T0_E_clISt17integral_constantIbLb0EES1P_EEDaS1K_S1L_EUlS1K_E_NS1_11comp_targetILNS1_3genE10ELNS1_11target_archE1200ELNS1_3gpuE4ELNS1_3repE0EEENS1_30default_config_static_selectorELNS0_4arch9wavefront6targetE1EEEvSY_,comdat
	.globl	_ZN7rocprim17ROCPRIM_400000_NS6detail17trampoline_kernelINS0_13select_configILj256ELj13ELNS0_17block_load_methodE3ELS4_3ELS4_3ELNS0_20block_scan_algorithmE0ELj4294967295EEENS1_25partition_config_selectorILNS1_17partition_subalgoE3EjNS0_10empty_typeEbEEZZNS1_14partition_implILS8_3ELb0ES6_jNS0_17counting_iteratorIjlEEPS9_SE_NS0_5tupleIJPjSE_EEENSF_IJSE_SE_EEES9_SG_JZNS1_25segmented_radix_sort_implINS0_14default_configELb1EPKhPhPKlPlN2at6native12_GLOBAL__N_18offset_tEEE10hipError_tPvRmT1_PNSt15iterator_traitsISY_E10value_typeET2_T3_PNSZ_IS14_E10value_typeET4_jRbjT5_S1A_jjP12ihipStream_tbEUljE_EEESV_SW_SX_S14_S18_S1A_T6_T7_T9_mT8_S1C_bDpT10_ENKUlT_T0_E_clISt17integral_constantIbLb0EES1P_EEDaS1K_S1L_EUlS1K_E_NS1_11comp_targetILNS1_3genE10ELNS1_11target_archE1200ELNS1_3gpuE4ELNS1_3repE0EEENS1_30default_config_static_selectorELNS0_4arch9wavefront6targetE1EEEvSY_ ; -- Begin function _ZN7rocprim17ROCPRIM_400000_NS6detail17trampoline_kernelINS0_13select_configILj256ELj13ELNS0_17block_load_methodE3ELS4_3ELS4_3ELNS0_20block_scan_algorithmE0ELj4294967295EEENS1_25partition_config_selectorILNS1_17partition_subalgoE3EjNS0_10empty_typeEbEEZZNS1_14partition_implILS8_3ELb0ES6_jNS0_17counting_iteratorIjlEEPS9_SE_NS0_5tupleIJPjSE_EEENSF_IJSE_SE_EEES9_SG_JZNS1_25segmented_radix_sort_implINS0_14default_configELb1EPKhPhPKlPlN2at6native12_GLOBAL__N_18offset_tEEE10hipError_tPvRmT1_PNSt15iterator_traitsISY_E10value_typeET2_T3_PNSZ_IS14_E10value_typeET4_jRbjT5_S1A_jjP12ihipStream_tbEUljE_EEESV_SW_SX_S14_S18_S1A_T6_T7_T9_mT8_S1C_bDpT10_ENKUlT_T0_E_clISt17integral_constantIbLb0EES1P_EEDaS1K_S1L_EUlS1K_E_NS1_11comp_targetILNS1_3genE10ELNS1_11target_archE1200ELNS1_3gpuE4ELNS1_3repE0EEENS1_30default_config_static_selectorELNS0_4arch9wavefront6targetE1EEEvSY_
	.p2align	8
	.type	_ZN7rocprim17ROCPRIM_400000_NS6detail17trampoline_kernelINS0_13select_configILj256ELj13ELNS0_17block_load_methodE3ELS4_3ELS4_3ELNS0_20block_scan_algorithmE0ELj4294967295EEENS1_25partition_config_selectorILNS1_17partition_subalgoE3EjNS0_10empty_typeEbEEZZNS1_14partition_implILS8_3ELb0ES6_jNS0_17counting_iteratorIjlEEPS9_SE_NS0_5tupleIJPjSE_EEENSF_IJSE_SE_EEES9_SG_JZNS1_25segmented_radix_sort_implINS0_14default_configELb1EPKhPhPKlPlN2at6native12_GLOBAL__N_18offset_tEEE10hipError_tPvRmT1_PNSt15iterator_traitsISY_E10value_typeET2_T3_PNSZ_IS14_E10value_typeET4_jRbjT5_S1A_jjP12ihipStream_tbEUljE_EEESV_SW_SX_S14_S18_S1A_T6_T7_T9_mT8_S1C_bDpT10_ENKUlT_T0_E_clISt17integral_constantIbLb0EES1P_EEDaS1K_S1L_EUlS1K_E_NS1_11comp_targetILNS1_3genE10ELNS1_11target_archE1200ELNS1_3gpuE4ELNS1_3repE0EEENS1_30default_config_static_selectorELNS0_4arch9wavefront6targetE1EEEvSY_,@function
_ZN7rocprim17ROCPRIM_400000_NS6detail17trampoline_kernelINS0_13select_configILj256ELj13ELNS0_17block_load_methodE3ELS4_3ELS4_3ELNS0_20block_scan_algorithmE0ELj4294967295EEENS1_25partition_config_selectorILNS1_17partition_subalgoE3EjNS0_10empty_typeEbEEZZNS1_14partition_implILS8_3ELb0ES6_jNS0_17counting_iteratorIjlEEPS9_SE_NS0_5tupleIJPjSE_EEENSF_IJSE_SE_EEES9_SG_JZNS1_25segmented_radix_sort_implINS0_14default_configELb1EPKhPhPKlPlN2at6native12_GLOBAL__N_18offset_tEEE10hipError_tPvRmT1_PNSt15iterator_traitsISY_E10value_typeET2_T3_PNSZ_IS14_E10value_typeET4_jRbjT5_S1A_jjP12ihipStream_tbEUljE_EEESV_SW_SX_S14_S18_S1A_T6_T7_T9_mT8_S1C_bDpT10_ENKUlT_T0_E_clISt17integral_constantIbLb0EES1P_EEDaS1K_S1L_EUlS1K_E_NS1_11comp_targetILNS1_3genE10ELNS1_11target_archE1200ELNS1_3gpuE4ELNS1_3repE0EEENS1_30default_config_static_selectorELNS0_4arch9wavefront6targetE1EEEvSY_: ; @_ZN7rocprim17ROCPRIM_400000_NS6detail17trampoline_kernelINS0_13select_configILj256ELj13ELNS0_17block_load_methodE3ELS4_3ELS4_3ELNS0_20block_scan_algorithmE0ELj4294967295EEENS1_25partition_config_selectorILNS1_17partition_subalgoE3EjNS0_10empty_typeEbEEZZNS1_14partition_implILS8_3ELb0ES6_jNS0_17counting_iteratorIjlEEPS9_SE_NS0_5tupleIJPjSE_EEENSF_IJSE_SE_EEES9_SG_JZNS1_25segmented_radix_sort_implINS0_14default_configELb1EPKhPhPKlPlN2at6native12_GLOBAL__N_18offset_tEEE10hipError_tPvRmT1_PNSt15iterator_traitsISY_E10value_typeET2_T3_PNSZ_IS14_E10value_typeET4_jRbjT5_S1A_jjP12ihipStream_tbEUljE_EEESV_SW_SX_S14_S18_S1A_T6_T7_T9_mT8_S1C_bDpT10_ENKUlT_T0_E_clISt17integral_constantIbLb0EES1P_EEDaS1K_S1L_EUlS1K_E_NS1_11comp_targetILNS1_3genE10ELNS1_11target_archE1200ELNS1_3gpuE4ELNS1_3repE0EEENS1_30default_config_static_selectorELNS0_4arch9wavefront6targetE1EEEvSY_
; %bb.0:
	.section	.rodata,"a",@progbits
	.p2align	6, 0x0
	.amdhsa_kernel _ZN7rocprim17ROCPRIM_400000_NS6detail17trampoline_kernelINS0_13select_configILj256ELj13ELNS0_17block_load_methodE3ELS4_3ELS4_3ELNS0_20block_scan_algorithmE0ELj4294967295EEENS1_25partition_config_selectorILNS1_17partition_subalgoE3EjNS0_10empty_typeEbEEZZNS1_14partition_implILS8_3ELb0ES6_jNS0_17counting_iteratorIjlEEPS9_SE_NS0_5tupleIJPjSE_EEENSF_IJSE_SE_EEES9_SG_JZNS1_25segmented_radix_sort_implINS0_14default_configELb1EPKhPhPKlPlN2at6native12_GLOBAL__N_18offset_tEEE10hipError_tPvRmT1_PNSt15iterator_traitsISY_E10value_typeET2_T3_PNSZ_IS14_E10value_typeET4_jRbjT5_S1A_jjP12ihipStream_tbEUljE_EEESV_SW_SX_S14_S18_S1A_T6_T7_T9_mT8_S1C_bDpT10_ENKUlT_T0_E_clISt17integral_constantIbLb0EES1P_EEDaS1K_S1L_EUlS1K_E_NS1_11comp_targetILNS1_3genE10ELNS1_11target_archE1200ELNS1_3gpuE4ELNS1_3repE0EEENS1_30default_config_static_selectorELNS0_4arch9wavefront6targetE1EEEvSY_
		.amdhsa_group_segment_fixed_size 0
		.amdhsa_private_segment_fixed_size 0
		.amdhsa_kernarg_size 144
		.amdhsa_user_sgpr_count 6
		.amdhsa_user_sgpr_private_segment_buffer 1
		.amdhsa_user_sgpr_dispatch_ptr 0
		.amdhsa_user_sgpr_queue_ptr 0
		.amdhsa_user_sgpr_kernarg_segment_ptr 1
		.amdhsa_user_sgpr_dispatch_id 0
		.amdhsa_user_sgpr_flat_scratch_init 0
		.amdhsa_user_sgpr_kernarg_preload_length 0
		.amdhsa_user_sgpr_kernarg_preload_offset 0
		.amdhsa_user_sgpr_private_segment_size 0
		.amdhsa_uses_dynamic_stack 0
		.amdhsa_system_sgpr_private_segment_wavefront_offset 0
		.amdhsa_system_sgpr_workgroup_id_x 1
		.amdhsa_system_sgpr_workgroup_id_y 0
		.amdhsa_system_sgpr_workgroup_id_z 0
		.amdhsa_system_sgpr_workgroup_info 0
		.amdhsa_system_vgpr_workitem_id 0
		.amdhsa_next_free_vgpr 1
		.amdhsa_next_free_sgpr 0
		.amdhsa_accum_offset 4
		.amdhsa_reserve_vcc 0
		.amdhsa_reserve_flat_scratch 0
		.amdhsa_float_round_mode_32 0
		.amdhsa_float_round_mode_16_64 0
		.amdhsa_float_denorm_mode_32 3
		.amdhsa_float_denorm_mode_16_64 3
		.amdhsa_dx10_clamp 1
		.amdhsa_ieee_mode 1
		.amdhsa_fp16_overflow 0
		.amdhsa_tg_split 0
		.amdhsa_exception_fp_ieee_invalid_op 0
		.amdhsa_exception_fp_denorm_src 0
		.amdhsa_exception_fp_ieee_div_zero 0
		.amdhsa_exception_fp_ieee_overflow 0
		.amdhsa_exception_fp_ieee_underflow 0
		.amdhsa_exception_fp_ieee_inexact 0
		.amdhsa_exception_int_div_zero 0
	.end_amdhsa_kernel
	.section	.text._ZN7rocprim17ROCPRIM_400000_NS6detail17trampoline_kernelINS0_13select_configILj256ELj13ELNS0_17block_load_methodE3ELS4_3ELS4_3ELNS0_20block_scan_algorithmE0ELj4294967295EEENS1_25partition_config_selectorILNS1_17partition_subalgoE3EjNS0_10empty_typeEbEEZZNS1_14partition_implILS8_3ELb0ES6_jNS0_17counting_iteratorIjlEEPS9_SE_NS0_5tupleIJPjSE_EEENSF_IJSE_SE_EEES9_SG_JZNS1_25segmented_radix_sort_implINS0_14default_configELb1EPKhPhPKlPlN2at6native12_GLOBAL__N_18offset_tEEE10hipError_tPvRmT1_PNSt15iterator_traitsISY_E10value_typeET2_T3_PNSZ_IS14_E10value_typeET4_jRbjT5_S1A_jjP12ihipStream_tbEUljE_EEESV_SW_SX_S14_S18_S1A_T6_T7_T9_mT8_S1C_bDpT10_ENKUlT_T0_E_clISt17integral_constantIbLb0EES1P_EEDaS1K_S1L_EUlS1K_E_NS1_11comp_targetILNS1_3genE10ELNS1_11target_archE1200ELNS1_3gpuE4ELNS1_3repE0EEENS1_30default_config_static_selectorELNS0_4arch9wavefront6targetE1EEEvSY_,"axG",@progbits,_ZN7rocprim17ROCPRIM_400000_NS6detail17trampoline_kernelINS0_13select_configILj256ELj13ELNS0_17block_load_methodE3ELS4_3ELS4_3ELNS0_20block_scan_algorithmE0ELj4294967295EEENS1_25partition_config_selectorILNS1_17partition_subalgoE3EjNS0_10empty_typeEbEEZZNS1_14partition_implILS8_3ELb0ES6_jNS0_17counting_iteratorIjlEEPS9_SE_NS0_5tupleIJPjSE_EEENSF_IJSE_SE_EEES9_SG_JZNS1_25segmented_radix_sort_implINS0_14default_configELb1EPKhPhPKlPlN2at6native12_GLOBAL__N_18offset_tEEE10hipError_tPvRmT1_PNSt15iterator_traitsISY_E10value_typeET2_T3_PNSZ_IS14_E10value_typeET4_jRbjT5_S1A_jjP12ihipStream_tbEUljE_EEESV_SW_SX_S14_S18_S1A_T6_T7_T9_mT8_S1C_bDpT10_ENKUlT_T0_E_clISt17integral_constantIbLb0EES1P_EEDaS1K_S1L_EUlS1K_E_NS1_11comp_targetILNS1_3genE10ELNS1_11target_archE1200ELNS1_3gpuE4ELNS1_3repE0EEENS1_30default_config_static_selectorELNS0_4arch9wavefront6targetE1EEEvSY_,comdat
.Lfunc_end53:
	.size	_ZN7rocprim17ROCPRIM_400000_NS6detail17trampoline_kernelINS0_13select_configILj256ELj13ELNS0_17block_load_methodE3ELS4_3ELS4_3ELNS0_20block_scan_algorithmE0ELj4294967295EEENS1_25partition_config_selectorILNS1_17partition_subalgoE3EjNS0_10empty_typeEbEEZZNS1_14partition_implILS8_3ELb0ES6_jNS0_17counting_iteratorIjlEEPS9_SE_NS0_5tupleIJPjSE_EEENSF_IJSE_SE_EEES9_SG_JZNS1_25segmented_radix_sort_implINS0_14default_configELb1EPKhPhPKlPlN2at6native12_GLOBAL__N_18offset_tEEE10hipError_tPvRmT1_PNSt15iterator_traitsISY_E10value_typeET2_T3_PNSZ_IS14_E10value_typeET4_jRbjT5_S1A_jjP12ihipStream_tbEUljE_EEESV_SW_SX_S14_S18_S1A_T6_T7_T9_mT8_S1C_bDpT10_ENKUlT_T0_E_clISt17integral_constantIbLb0EES1P_EEDaS1K_S1L_EUlS1K_E_NS1_11comp_targetILNS1_3genE10ELNS1_11target_archE1200ELNS1_3gpuE4ELNS1_3repE0EEENS1_30default_config_static_selectorELNS0_4arch9wavefront6targetE1EEEvSY_, .Lfunc_end53-_ZN7rocprim17ROCPRIM_400000_NS6detail17trampoline_kernelINS0_13select_configILj256ELj13ELNS0_17block_load_methodE3ELS4_3ELS4_3ELNS0_20block_scan_algorithmE0ELj4294967295EEENS1_25partition_config_selectorILNS1_17partition_subalgoE3EjNS0_10empty_typeEbEEZZNS1_14partition_implILS8_3ELb0ES6_jNS0_17counting_iteratorIjlEEPS9_SE_NS0_5tupleIJPjSE_EEENSF_IJSE_SE_EEES9_SG_JZNS1_25segmented_radix_sort_implINS0_14default_configELb1EPKhPhPKlPlN2at6native12_GLOBAL__N_18offset_tEEE10hipError_tPvRmT1_PNSt15iterator_traitsISY_E10value_typeET2_T3_PNSZ_IS14_E10value_typeET4_jRbjT5_S1A_jjP12ihipStream_tbEUljE_EEESV_SW_SX_S14_S18_S1A_T6_T7_T9_mT8_S1C_bDpT10_ENKUlT_T0_E_clISt17integral_constantIbLb0EES1P_EEDaS1K_S1L_EUlS1K_E_NS1_11comp_targetILNS1_3genE10ELNS1_11target_archE1200ELNS1_3gpuE4ELNS1_3repE0EEENS1_30default_config_static_selectorELNS0_4arch9wavefront6targetE1EEEvSY_
                                        ; -- End function
	.section	.AMDGPU.csdata,"",@progbits
; Kernel info:
; codeLenInByte = 0
; NumSgprs: 4
; NumVgprs: 0
; NumAgprs: 0
; TotalNumVgprs: 0
; ScratchSize: 0
; MemoryBound: 0
; FloatMode: 240
; IeeeMode: 1
; LDSByteSize: 0 bytes/workgroup (compile time only)
; SGPRBlocks: 0
; VGPRBlocks: 0
; NumSGPRsForWavesPerEU: 4
; NumVGPRsForWavesPerEU: 1
; AccumOffset: 4
; Occupancy: 8
; WaveLimiterHint : 0
; COMPUTE_PGM_RSRC2:SCRATCH_EN: 0
; COMPUTE_PGM_RSRC2:USER_SGPR: 6
; COMPUTE_PGM_RSRC2:TRAP_HANDLER: 0
; COMPUTE_PGM_RSRC2:TGID_X_EN: 1
; COMPUTE_PGM_RSRC2:TGID_Y_EN: 0
; COMPUTE_PGM_RSRC2:TGID_Z_EN: 0
; COMPUTE_PGM_RSRC2:TIDIG_COMP_CNT: 0
; COMPUTE_PGM_RSRC3_GFX90A:ACCUM_OFFSET: 0
; COMPUTE_PGM_RSRC3_GFX90A:TG_SPLIT: 0
	.section	.text._ZN7rocprim17ROCPRIM_400000_NS6detail17trampoline_kernelINS0_13select_configILj256ELj13ELNS0_17block_load_methodE3ELS4_3ELS4_3ELNS0_20block_scan_algorithmE0ELj4294967295EEENS1_25partition_config_selectorILNS1_17partition_subalgoE3EjNS0_10empty_typeEbEEZZNS1_14partition_implILS8_3ELb0ES6_jNS0_17counting_iteratorIjlEEPS9_SE_NS0_5tupleIJPjSE_EEENSF_IJSE_SE_EEES9_SG_JZNS1_25segmented_radix_sort_implINS0_14default_configELb1EPKhPhPKlPlN2at6native12_GLOBAL__N_18offset_tEEE10hipError_tPvRmT1_PNSt15iterator_traitsISY_E10value_typeET2_T3_PNSZ_IS14_E10value_typeET4_jRbjT5_S1A_jjP12ihipStream_tbEUljE_EEESV_SW_SX_S14_S18_S1A_T6_T7_T9_mT8_S1C_bDpT10_ENKUlT_T0_E_clISt17integral_constantIbLb0EES1P_EEDaS1K_S1L_EUlS1K_E_NS1_11comp_targetILNS1_3genE9ELNS1_11target_archE1100ELNS1_3gpuE3ELNS1_3repE0EEENS1_30default_config_static_selectorELNS0_4arch9wavefront6targetE1EEEvSY_,"axG",@progbits,_ZN7rocprim17ROCPRIM_400000_NS6detail17trampoline_kernelINS0_13select_configILj256ELj13ELNS0_17block_load_methodE3ELS4_3ELS4_3ELNS0_20block_scan_algorithmE0ELj4294967295EEENS1_25partition_config_selectorILNS1_17partition_subalgoE3EjNS0_10empty_typeEbEEZZNS1_14partition_implILS8_3ELb0ES6_jNS0_17counting_iteratorIjlEEPS9_SE_NS0_5tupleIJPjSE_EEENSF_IJSE_SE_EEES9_SG_JZNS1_25segmented_radix_sort_implINS0_14default_configELb1EPKhPhPKlPlN2at6native12_GLOBAL__N_18offset_tEEE10hipError_tPvRmT1_PNSt15iterator_traitsISY_E10value_typeET2_T3_PNSZ_IS14_E10value_typeET4_jRbjT5_S1A_jjP12ihipStream_tbEUljE_EEESV_SW_SX_S14_S18_S1A_T6_T7_T9_mT8_S1C_bDpT10_ENKUlT_T0_E_clISt17integral_constantIbLb0EES1P_EEDaS1K_S1L_EUlS1K_E_NS1_11comp_targetILNS1_3genE9ELNS1_11target_archE1100ELNS1_3gpuE3ELNS1_3repE0EEENS1_30default_config_static_selectorELNS0_4arch9wavefront6targetE1EEEvSY_,comdat
	.globl	_ZN7rocprim17ROCPRIM_400000_NS6detail17trampoline_kernelINS0_13select_configILj256ELj13ELNS0_17block_load_methodE3ELS4_3ELS4_3ELNS0_20block_scan_algorithmE0ELj4294967295EEENS1_25partition_config_selectorILNS1_17partition_subalgoE3EjNS0_10empty_typeEbEEZZNS1_14partition_implILS8_3ELb0ES6_jNS0_17counting_iteratorIjlEEPS9_SE_NS0_5tupleIJPjSE_EEENSF_IJSE_SE_EEES9_SG_JZNS1_25segmented_radix_sort_implINS0_14default_configELb1EPKhPhPKlPlN2at6native12_GLOBAL__N_18offset_tEEE10hipError_tPvRmT1_PNSt15iterator_traitsISY_E10value_typeET2_T3_PNSZ_IS14_E10value_typeET4_jRbjT5_S1A_jjP12ihipStream_tbEUljE_EEESV_SW_SX_S14_S18_S1A_T6_T7_T9_mT8_S1C_bDpT10_ENKUlT_T0_E_clISt17integral_constantIbLb0EES1P_EEDaS1K_S1L_EUlS1K_E_NS1_11comp_targetILNS1_3genE9ELNS1_11target_archE1100ELNS1_3gpuE3ELNS1_3repE0EEENS1_30default_config_static_selectorELNS0_4arch9wavefront6targetE1EEEvSY_ ; -- Begin function _ZN7rocprim17ROCPRIM_400000_NS6detail17trampoline_kernelINS0_13select_configILj256ELj13ELNS0_17block_load_methodE3ELS4_3ELS4_3ELNS0_20block_scan_algorithmE0ELj4294967295EEENS1_25partition_config_selectorILNS1_17partition_subalgoE3EjNS0_10empty_typeEbEEZZNS1_14partition_implILS8_3ELb0ES6_jNS0_17counting_iteratorIjlEEPS9_SE_NS0_5tupleIJPjSE_EEENSF_IJSE_SE_EEES9_SG_JZNS1_25segmented_radix_sort_implINS0_14default_configELb1EPKhPhPKlPlN2at6native12_GLOBAL__N_18offset_tEEE10hipError_tPvRmT1_PNSt15iterator_traitsISY_E10value_typeET2_T3_PNSZ_IS14_E10value_typeET4_jRbjT5_S1A_jjP12ihipStream_tbEUljE_EEESV_SW_SX_S14_S18_S1A_T6_T7_T9_mT8_S1C_bDpT10_ENKUlT_T0_E_clISt17integral_constantIbLb0EES1P_EEDaS1K_S1L_EUlS1K_E_NS1_11comp_targetILNS1_3genE9ELNS1_11target_archE1100ELNS1_3gpuE3ELNS1_3repE0EEENS1_30default_config_static_selectorELNS0_4arch9wavefront6targetE1EEEvSY_
	.p2align	8
	.type	_ZN7rocprim17ROCPRIM_400000_NS6detail17trampoline_kernelINS0_13select_configILj256ELj13ELNS0_17block_load_methodE3ELS4_3ELS4_3ELNS0_20block_scan_algorithmE0ELj4294967295EEENS1_25partition_config_selectorILNS1_17partition_subalgoE3EjNS0_10empty_typeEbEEZZNS1_14partition_implILS8_3ELb0ES6_jNS0_17counting_iteratorIjlEEPS9_SE_NS0_5tupleIJPjSE_EEENSF_IJSE_SE_EEES9_SG_JZNS1_25segmented_radix_sort_implINS0_14default_configELb1EPKhPhPKlPlN2at6native12_GLOBAL__N_18offset_tEEE10hipError_tPvRmT1_PNSt15iterator_traitsISY_E10value_typeET2_T3_PNSZ_IS14_E10value_typeET4_jRbjT5_S1A_jjP12ihipStream_tbEUljE_EEESV_SW_SX_S14_S18_S1A_T6_T7_T9_mT8_S1C_bDpT10_ENKUlT_T0_E_clISt17integral_constantIbLb0EES1P_EEDaS1K_S1L_EUlS1K_E_NS1_11comp_targetILNS1_3genE9ELNS1_11target_archE1100ELNS1_3gpuE3ELNS1_3repE0EEENS1_30default_config_static_selectorELNS0_4arch9wavefront6targetE1EEEvSY_,@function
_ZN7rocprim17ROCPRIM_400000_NS6detail17trampoline_kernelINS0_13select_configILj256ELj13ELNS0_17block_load_methodE3ELS4_3ELS4_3ELNS0_20block_scan_algorithmE0ELj4294967295EEENS1_25partition_config_selectorILNS1_17partition_subalgoE3EjNS0_10empty_typeEbEEZZNS1_14partition_implILS8_3ELb0ES6_jNS0_17counting_iteratorIjlEEPS9_SE_NS0_5tupleIJPjSE_EEENSF_IJSE_SE_EEES9_SG_JZNS1_25segmented_radix_sort_implINS0_14default_configELb1EPKhPhPKlPlN2at6native12_GLOBAL__N_18offset_tEEE10hipError_tPvRmT1_PNSt15iterator_traitsISY_E10value_typeET2_T3_PNSZ_IS14_E10value_typeET4_jRbjT5_S1A_jjP12ihipStream_tbEUljE_EEESV_SW_SX_S14_S18_S1A_T6_T7_T9_mT8_S1C_bDpT10_ENKUlT_T0_E_clISt17integral_constantIbLb0EES1P_EEDaS1K_S1L_EUlS1K_E_NS1_11comp_targetILNS1_3genE9ELNS1_11target_archE1100ELNS1_3gpuE3ELNS1_3repE0EEENS1_30default_config_static_selectorELNS0_4arch9wavefront6targetE1EEEvSY_: ; @_ZN7rocprim17ROCPRIM_400000_NS6detail17trampoline_kernelINS0_13select_configILj256ELj13ELNS0_17block_load_methodE3ELS4_3ELS4_3ELNS0_20block_scan_algorithmE0ELj4294967295EEENS1_25partition_config_selectorILNS1_17partition_subalgoE3EjNS0_10empty_typeEbEEZZNS1_14partition_implILS8_3ELb0ES6_jNS0_17counting_iteratorIjlEEPS9_SE_NS0_5tupleIJPjSE_EEENSF_IJSE_SE_EEES9_SG_JZNS1_25segmented_radix_sort_implINS0_14default_configELb1EPKhPhPKlPlN2at6native12_GLOBAL__N_18offset_tEEE10hipError_tPvRmT1_PNSt15iterator_traitsISY_E10value_typeET2_T3_PNSZ_IS14_E10value_typeET4_jRbjT5_S1A_jjP12ihipStream_tbEUljE_EEESV_SW_SX_S14_S18_S1A_T6_T7_T9_mT8_S1C_bDpT10_ENKUlT_T0_E_clISt17integral_constantIbLb0EES1P_EEDaS1K_S1L_EUlS1K_E_NS1_11comp_targetILNS1_3genE9ELNS1_11target_archE1100ELNS1_3gpuE3ELNS1_3repE0EEENS1_30default_config_static_selectorELNS0_4arch9wavefront6targetE1EEEvSY_
; %bb.0:
	.section	.rodata,"a",@progbits
	.p2align	6, 0x0
	.amdhsa_kernel _ZN7rocprim17ROCPRIM_400000_NS6detail17trampoline_kernelINS0_13select_configILj256ELj13ELNS0_17block_load_methodE3ELS4_3ELS4_3ELNS0_20block_scan_algorithmE0ELj4294967295EEENS1_25partition_config_selectorILNS1_17partition_subalgoE3EjNS0_10empty_typeEbEEZZNS1_14partition_implILS8_3ELb0ES6_jNS0_17counting_iteratorIjlEEPS9_SE_NS0_5tupleIJPjSE_EEENSF_IJSE_SE_EEES9_SG_JZNS1_25segmented_radix_sort_implINS0_14default_configELb1EPKhPhPKlPlN2at6native12_GLOBAL__N_18offset_tEEE10hipError_tPvRmT1_PNSt15iterator_traitsISY_E10value_typeET2_T3_PNSZ_IS14_E10value_typeET4_jRbjT5_S1A_jjP12ihipStream_tbEUljE_EEESV_SW_SX_S14_S18_S1A_T6_T7_T9_mT8_S1C_bDpT10_ENKUlT_T0_E_clISt17integral_constantIbLb0EES1P_EEDaS1K_S1L_EUlS1K_E_NS1_11comp_targetILNS1_3genE9ELNS1_11target_archE1100ELNS1_3gpuE3ELNS1_3repE0EEENS1_30default_config_static_selectorELNS0_4arch9wavefront6targetE1EEEvSY_
		.amdhsa_group_segment_fixed_size 0
		.amdhsa_private_segment_fixed_size 0
		.amdhsa_kernarg_size 144
		.amdhsa_user_sgpr_count 6
		.amdhsa_user_sgpr_private_segment_buffer 1
		.amdhsa_user_sgpr_dispatch_ptr 0
		.amdhsa_user_sgpr_queue_ptr 0
		.amdhsa_user_sgpr_kernarg_segment_ptr 1
		.amdhsa_user_sgpr_dispatch_id 0
		.amdhsa_user_sgpr_flat_scratch_init 0
		.amdhsa_user_sgpr_kernarg_preload_length 0
		.amdhsa_user_sgpr_kernarg_preload_offset 0
		.amdhsa_user_sgpr_private_segment_size 0
		.amdhsa_uses_dynamic_stack 0
		.amdhsa_system_sgpr_private_segment_wavefront_offset 0
		.amdhsa_system_sgpr_workgroup_id_x 1
		.amdhsa_system_sgpr_workgroup_id_y 0
		.amdhsa_system_sgpr_workgroup_id_z 0
		.amdhsa_system_sgpr_workgroup_info 0
		.amdhsa_system_vgpr_workitem_id 0
		.amdhsa_next_free_vgpr 1
		.amdhsa_next_free_sgpr 0
		.amdhsa_accum_offset 4
		.amdhsa_reserve_vcc 0
		.amdhsa_reserve_flat_scratch 0
		.amdhsa_float_round_mode_32 0
		.amdhsa_float_round_mode_16_64 0
		.amdhsa_float_denorm_mode_32 3
		.amdhsa_float_denorm_mode_16_64 3
		.amdhsa_dx10_clamp 1
		.amdhsa_ieee_mode 1
		.amdhsa_fp16_overflow 0
		.amdhsa_tg_split 0
		.amdhsa_exception_fp_ieee_invalid_op 0
		.amdhsa_exception_fp_denorm_src 0
		.amdhsa_exception_fp_ieee_div_zero 0
		.amdhsa_exception_fp_ieee_overflow 0
		.amdhsa_exception_fp_ieee_underflow 0
		.amdhsa_exception_fp_ieee_inexact 0
		.amdhsa_exception_int_div_zero 0
	.end_amdhsa_kernel
	.section	.text._ZN7rocprim17ROCPRIM_400000_NS6detail17trampoline_kernelINS0_13select_configILj256ELj13ELNS0_17block_load_methodE3ELS4_3ELS4_3ELNS0_20block_scan_algorithmE0ELj4294967295EEENS1_25partition_config_selectorILNS1_17partition_subalgoE3EjNS0_10empty_typeEbEEZZNS1_14partition_implILS8_3ELb0ES6_jNS0_17counting_iteratorIjlEEPS9_SE_NS0_5tupleIJPjSE_EEENSF_IJSE_SE_EEES9_SG_JZNS1_25segmented_radix_sort_implINS0_14default_configELb1EPKhPhPKlPlN2at6native12_GLOBAL__N_18offset_tEEE10hipError_tPvRmT1_PNSt15iterator_traitsISY_E10value_typeET2_T3_PNSZ_IS14_E10value_typeET4_jRbjT5_S1A_jjP12ihipStream_tbEUljE_EEESV_SW_SX_S14_S18_S1A_T6_T7_T9_mT8_S1C_bDpT10_ENKUlT_T0_E_clISt17integral_constantIbLb0EES1P_EEDaS1K_S1L_EUlS1K_E_NS1_11comp_targetILNS1_3genE9ELNS1_11target_archE1100ELNS1_3gpuE3ELNS1_3repE0EEENS1_30default_config_static_selectorELNS0_4arch9wavefront6targetE1EEEvSY_,"axG",@progbits,_ZN7rocprim17ROCPRIM_400000_NS6detail17trampoline_kernelINS0_13select_configILj256ELj13ELNS0_17block_load_methodE3ELS4_3ELS4_3ELNS0_20block_scan_algorithmE0ELj4294967295EEENS1_25partition_config_selectorILNS1_17partition_subalgoE3EjNS0_10empty_typeEbEEZZNS1_14partition_implILS8_3ELb0ES6_jNS0_17counting_iteratorIjlEEPS9_SE_NS0_5tupleIJPjSE_EEENSF_IJSE_SE_EEES9_SG_JZNS1_25segmented_radix_sort_implINS0_14default_configELb1EPKhPhPKlPlN2at6native12_GLOBAL__N_18offset_tEEE10hipError_tPvRmT1_PNSt15iterator_traitsISY_E10value_typeET2_T3_PNSZ_IS14_E10value_typeET4_jRbjT5_S1A_jjP12ihipStream_tbEUljE_EEESV_SW_SX_S14_S18_S1A_T6_T7_T9_mT8_S1C_bDpT10_ENKUlT_T0_E_clISt17integral_constantIbLb0EES1P_EEDaS1K_S1L_EUlS1K_E_NS1_11comp_targetILNS1_3genE9ELNS1_11target_archE1100ELNS1_3gpuE3ELNS1_3repE0EEENS1_30default_config_static_selectorELNS0_4arch9wavefront6targetE1EEEvSY_,comdat
.Lfunc_end54:
	.size	_ZN7rocprim17ROCPRIM_400000_NS6detail17trampoline_kernelINS0_13select_configILj256ELj13ELNS0_17block_load_methodE3ELS4_3ELS4_3ELNS0_20block_scan_algorithmE0ELj4294967295EEENS1_25partition_config_selectorILNS1_17partition_subalgoE3EjNS0_10empty_typeEbEEZZNS1_14partition_implILS8_3ELb0ES6_jNS0_17counting_iteratorIjlEEPS9_SE_NS0_5tupleIJPjSE_EEENSF_IJSE_SE_EEES9_SG_JZNS1_25segmented_radix_sort_implINS0_14default_configELb1EPKhPhPKlPlN2at6native12_GLOBAL__N_18offset_tEEE10hipError_tPvRmT1_PNSt15iterator_traitsISY_E10value_typeET2_T3_PNSZ_IS14_E10value_typeET4_jRbjT5_S1A_jjP12ihipStream_tbEUljE_EEESV_SW_SX_S14_S18_S1A_T6_T7_T9_mT8_S1C_bDpT10_ENKUlT_T0_E_clISt17integral_constantIbLb0EES1P_EEDaS1K_S1L_EUlS1K_E_NS1_11comp_targetILNS1_3genE9ELNS1_11target_archE1100ELNS1_3gpuE3ELNS1_3repE0EEENS1_30default_config_static_selectorELNS0_4arch9wavefront6targetE1EEEvSY_, .Lfunc_end54-_ZN7rocprim17ROCPRIM_400000_NS6detail17trampoline_kernelINS0_13select_configILj256ELj13ELNS0_17block_load_methodE3ELS4_3ELS4_3ELNS0_20block_scan_algorithmE0ELj4294967295EEENS1_25partition_config_selectorILNS1_17partition_subalgoE3EjNS0_10empty_typeEbEEZZNS1_14partition_implILS8_3ELb0ES6_jNS0_17counting_iteratorIjlEEPS9_SE_NS0_5tupleIJPjSE_EEENSF_IJSE_SE_EEES9_SG_JZNS1_25segmented_radix_sort_implINS0_14default_configELb1EPKhPhPKlPlN2at6native12_GLOBAL__N_18offset_tEEE10hipError_tPvRmT1_PNSt15iterator_traitsISY_E10value_typeET2_T3_PNSZ_IS14_E10value_typeET4_jRbjT5_S1A_jjP12ihipStream_tbEUljE_EEESV_SW_SX_S14_S18_S1A_T6_T7_T9_mT8_S1C_bDpT10_ENKUlT_T0_E_clISt17integral_constantIbLb0EES1P_EEDaS1K_S1L_EUlS1K_E_NS1_11comp_targetILNS1_3genE9ELNS1_11target_archE1100ELNS1_3gpuE3ELNS1_3repE0EEENS1_30default_config_static_selectorELNS0_4arch9wavefront6targetE1EEEvSY_
                                        ; -- End function
	.section	.AMDGPU.csdata,"",@progbits
; Kernel info:
; codeLenInByte = 0
; NumSgprs: 4
; NumVgprs: 0
; NumAgprs: 0
; TotalNumVgprs: 0
; ScratchSize: 0
; MemoryBound: 0
; FloatMode: 240
; IeeeMode: 1
; LDSByteSize: 0 bytes/workgroup (compile time only)
; SGPRBlocks: 0
; VGPRBlocks: 0
; NumSGPRsForWavesPerEU: 4
; NumVGPRsForWavesPerEU: 1
; AccumOffset: 4
; Occupancy: 8
; WaveLimiterHint : 0
; COMPUTE_PGM_RSRC2:SCRATCH_EN: 0
; COMPUTE_PGM_RSRC2:USER_SGPR: 6
; COMPUTE_PGM_RSRC2:TRAP_HANDLER: 0
; COMPUTE_PGM_RSRC2:TGID_X_EN: 1
; COMPUTE_PGM_RSRC2:TGID_Y_EN: 0
; COMPUTE_PGM_RSRC2:TGID_Z_EN: 0
; COMPUTE_PGM_RSRC2:TIDIG_COMP_CNT: 0
; COMPUTE_PGM_RSRC3_GFX90A:ACCUM_OFFSET: 0
; COMPUTE_PGM_RSRC3_GFX90A:TG_SPLIT: 0
	.section	.text._ZN7rocprim17ROCPRIM_400000_NS6detail17trampoline_kernelINS0_13select_configILj256ELj13ELNS0_17block_load_methodE3ELS4_3ELS4_3ELNS0_20block_scan_algorithmE0ELj4294967295EEENS1_25partition_config_selectorILNS1_17partition_subalgoE3EjNS0_10empty_typeEbEEZZNS1_14partition_implILS8_3ELb0ES6_jNS0_17counting_iteratorIjlEEPS9_SE_NS0_5tupleIJPjSE_EEENSF_IJSE_SE_EEES9_SG_JZNS1_25segmented_radix_sort_implINS0_14default_configELb1EPKhPhPKlPlN2at6native12_GLOBAL__N_18offset_tEEE10hipError_tPvRmT1_PNSt15iterator_traitsISY_E10value_typeET2_T3_PNSZ_IS14_E10value_typeET4_jRbjT5_S1A_jjP12ihipStream_tbEUljE_EEESV_SW_SX_S14_S18_S1A_T6_T7_T9_mT8_S1C_bDpT10_ENKUlT_T0_E_clISt17integral_constantIbLb0EES1P_EEDaS1K_S1L_EUlS1K_E_NS1_11comp_targetILNS1_3genE8ELNS1_11target_archE1030ELNS1_3gpuE2ELNS1_3repE0EEENS1_30default_config_static_selectorELNS0_4arch9wavefront6targetE1EEEvSY_,"axG",@progbits,_ZN7rocprim17ROCPRIM_400000_NS6detail17trampoline_kernelINS0_13select_configILj256ELj13ELNS0_17block_load_methodE3ELS4_3ELS4_3ELNS0_20block_scan_algorithmE0ELj4294967295EEENS1_25partition_config_selectorILNS1_17partition_subalgoE3EjNS0_10empty_typeEbEEZZNS1_14partition_implILS8_3ELb0ES6_jNS0_17counting_iteratorIjlEEPS9_SE_NS0_5tupleIJPjSE_EEENSF_IJSE_SE_EEES9_SG_JZNS1_25segmented_radix_sort_implINS0_14default_configELb1EPKhPhPKlPlN2at6native12_GLOBAL__N_18offset_tEEE10hipError_tPvRmT1_PNSt15iterator_traitsISY_E10value_typeET2_T3_PNSZ_IS14_E10value_typeET4_jRbjT5_S1A_jjP12ihipStream_tbEUljE_EEESV_SW_SX_S14_S18_S1A_T6_T7_T9_mT8_S1C_bDpT10_ENKUlT_T0_E_clISt17integral_constantIbLb0EES1P_EEDaS1K_S1L_EUlS1K_E_NS1_11comp_targetILNS1_3genE8ELNS1_11target_archE1030ELNS1_3gpuE2ELNS1_3repE0EEENS1_30default_config_static_selectorELNS0_4arch9wavefront6targetE1EEEvSY_,comdat
	.globl	_ZN7rocprim17ROCPRIM_400000_NS6detail17trampoline_kernelINS0_13select_configILj256ELj13ELNS0_17block_load_methodE3ELS4_3ELS4_3ELNS0_20block_scan_algorithmE0ELj4294967295EEENS1_25partition_config_selectorILNS1_17partition_subalgoE3EjNS0_10empty_typeEbEEZZNS1_14partition_implILS8_3ELb0ES6_jNS0_17counting_iteratorIjlEEPS9_SE_NS0_5tupleIJPjSE_EEENSF_IJSE_SE_EEES9_SG_JZNS1_25segmented_radix_sort_implINS0_14default_configELb1EPKhPhPKlPlN2at6native12_GLOBAL__N_18offset_tEEE10hipError_tPvRmT1_PNSt15iterator_traitsISY_E10value_typeET2_T3_PNSZ_IS14_E10value_typeET4_jRbjT5_S1A_jjP12ihipStream_tbEUljE_EEESV_SW_SX_S14_S18_S1A_T6_T7_T9_mT8_S1C_bDpT10_ENKUlT_T0_E_clISt17integral_constantIbLb0EES1P_EEDaS1K_S1L_EUlS1K_E_NS1_11comp_targetILNS1_3genE8ELNS1_11target_archE1030ELNS1_3gpuE2ELNS1_3repE0EEENS1_30default_config_static_selectorELNS0_4arch9wavefront6targetE1EEEvSY_ ; -- Begin function _ZN7rocprim17ROCPRIM_400000_NS6detail17trampoline_kernelINS0_13select_configILj256ELj13ELNS0_17block_load_methodE3ELS4_3ELS4_3ELNS0_20block_scan_algorithmE0ELj4294967295EEENS1_25partition_config_selectorILNS1_17partition_subalgoE3EjNS0_10empty_typeEbEEZZNS1_14partition_implILS8_3ELb0ES6_jNS0_17counting_iteratorIjlEEPS9_SE_NS0_5tupleIJPjSE_EEENSF_IJSE_SE_EEES9_SG_JZNS1_25segmented_radix_sort_implINS0_14default_configELb1EPKhPhPKlPlN2at6native12_GLOBAL__N_18offset_tEEE10hipError_tPvRmT1_PNSt15iterator_traitsISY_E10value_typeET2_T3_PNSZ_IS14_E10value_typeET4_jRbjT5_S1A_jjP12ihipStream_tbEUljE_EEESV_SW_SX_S14_S18_S1A_T6_T7_T9_mT8_S1C_bDpT10_ENKUlT_T0_E_clISt17integral_constantIbLb0EES1P_EEDaS1K_S1L_EUlS1K_E_NS1_11comp_targetILNS1_3genE8ELNS1_11target_archE1030ELNS1_3gpuE2ELNS1_3repE0EEENS1_30default_config_static_selectorELNS0_4arch9wavefront6targetE1EEEvSY_
	.p2align	8
	.type	_ZN7rocprim17ROCPRIM_400000_NS6detail17trampoline_kernelINS0_13select_configILj256ELj13ELNS0_17block_load_methodE3ELS4_3ELS4_3ELNS0_20block_scan_algorithmE0ELj4294967295EEENS1_25partition_config_selectorILNS1_17partition_subalgoE3EjNS0_10empty_typeEbEEZZNS1_14partition_implILS8_3ELb0ES6_jNS0_17counting_iteratorIjlEEPS9_SE_NS0_5tupleIJPjSE_EEENSF_IJSE_SE_EEES9_SG_JZNS1_25segmented_radix_sort_implINS0_14default_configELb1EPKhPhPKlPlN2at6native12_GLOBAL__N_18offset_tEEE10hipError_tPvRmT1_PNSt15iterator_traitsISY_E10value_typeET2_T3_PNSZ_IS14_E10value_typeET4_jRbjT5_S1A_jjP12ihipStream_tbEUljE_EEESV_SW_SX_S14_S18_S1A_T6_T7_T9_mT8_S1C_bDpT10_ENKUlT_T0_E_clISt17integral_constantIbLb0EES1P_EEDaS1K_S1L_EUlS1K_E_NS1_11comp_targetILNS1_3genE8ELNS1_11target_archE1030ELNS1_3gpuE2ELNS1_3repE0EEENS1_30default_config_static_selectorELNS0_4arch9wavefront6targetE1EEEvSY_,@function
_ZN7rocprim17ROCPRIM_400000_NS6detail17trampoline_kernelINS0_13select_configILj256ELj13ELNS0_17block_load_methodE3ELS4_3ELS4_3ELNS0_20block_scan_algorithmE0ELj4294967295EEENS1_25partition_config_selectorILNS1_17partition_subalgoE3EjNS0_10empty_typeEbEEZZNS1_14partition_implILS8_3ELb0ES6_jNS0_17counting_iteratorIjlEEPS9_SE_NS0_5tupleIJPjSE_EEENSF_IJSE_SE_EEES9_SG_JZNS1_25segmented_radix_sort_implINS0_14default_configELb1EPKhPhPKlPlN2at6native12_GLOBAL__N_18offset_tEEE10hipError_tPvRmT1_PNSt15iterator_traitsISY_E10value_typeET2_T3_PNSZ_IS14_E10value_typeET4_jRbjT5_S1A_jjP12ihipStream_tbEUljE_EEESV_SW_SX_S14_S18_S1A_T6_T7_T9_mT8_S1C_bDpT10_ENKUlT_T0_E_clISt17integral_constantIbLb0EES1P_EEDaS1K_S1L_EUlS1K_E_NS1_11comp_targetILNS1_3genE8ELNS1_11target_archE1030ELNS1_3gpuE2ELNS1_3repE0EEENS1_30default_config_static_selectorELNS0_4arch9wavefront6targetE1EEEvSY_: ; @_ZN7rocprim17ROCPRIM_400000_NS6detail17trampoline_kernelINS0_13select_configILj256ELj13ELNS0_17block_load_methodE3ELS4_3ELS4_3ELNS0_20block_scan_algorithmE0ELj4294967295EEENS1_25partition_config_selectorILNS1_17partition_subalgoE3EjNS0_10empty_typeEbEEZZNS1_14partition_implILS8_3ELb0ES6_jNS0_17counting_iteratorIjlEEPS9_SE_NS0_5tupleIJPjSE_EEENSF_IJSE_SE_EEES9_SG_JZNS1_25segmented_radix_sort_implINS0_14default_configELb1EPKhPhPKlPlN2at6native12_GLOBAL__N_18offset_tEEE10hipError_tPvRmT1_PNSt15iterator_traitsISY_E10value_typeET2_T3_PNSZ_IS14_E10value_typeET4_jRbjT5_S1A_jjP12ihipStream_tbEUljE_EEESV_SW_SX_S14_S18_S1A_T6_T7_T9_mT8_S1C_bDpT10_ENKUlT_T0_E_clISt17integral_constantIbLb0EES1P_EEDaS1K_S1L_EUlS1K_E_NS1_11comp_targetILNS1_3genE8ELNS1_11target_archE1030ELNS1_3gpuE2ELNS1_3repE0EEENS1_30default_config_static_selectorELNS0_4arch9wavefront6targetE1EEEvSY_
; %bb.0:
	.section	.rodata,"a",@progbits
	.p2align	6, 0x0
	.amdhsa_kernel _ZN7rocprim17ROCPRIM_400000_NS6detail17trampoline_kernelINS0_13select_configILj256ELj13ELNS0_17block_load_methodE3ELS4_3ELS4_3ELNS0_20block_scan_algorithmE0ELj4294967295EEENS1_25partition_config_selectorILNS1_17partition_subalgoE3EjNS0_10empty_typeEbEEZZNS1_14partition_implILS8_3ELb0ES6_jNS0_17counting_iteratorIjlEEPS9_SE_NS0_5tupleIJPjSE_EEENSF_IJSE_SE_EEES9_SG_JZNS1_25segmented_radix_sort_implINS0_14default_configELb1EPKhPhPKlPlN2at6native12_GLOBAL__N_18offset_tEEE10hipError_tPvRmT1_PNSt15iterator_traitsISY_E10value_typeET2_T3_PNSZ_IS14_E10value_typeET4_jRbjT5_S1A_jjP12ihipStream_tbEUljE_EEESV_SW_SX_S14_S18_S1A_T6_T7_T9_mT8_S1C_bDpT10_ENKUlT_T0_E_clISt17integral_constantIbLb0EES1P_EEDaS1K_S1L_EUlS1K_E_NS1_11comp_targetILNS1_3genE8ELNS1_11target_archE1030ELNS1_3gpuE2ELNS1_3repE0EEENS1_30default_config_static_selectorELNS0_4arch9wavefront6targetE1EEEvSY_
		.amdhsa_group_segment_fixed_size 0
		.amdhsa_private_segment_fixed_size 0
		.amdhsa_kernarg_size 144
		.amdhsa_user_sgpr_count 6
		.amdhsa_user_sgpr_private_segment_buffer 1
		.amdhsa_user_sgpr_dispatch_ptr 0
		.amdhsa_user_sgpr_queue_ptr 0
		.amdhsa_user_sgpr_kernarg_segment_ptr 1
		.amdhsa_user_sgpr_dispatch_id 0
		.amdhsa_user_sgpr_flat_scratch_init 0
		.amdhsa_user_sgpr_kernarg_preload_length 0
		.amdhsa_user_sgpr_kernarg_preload_offset 0
		.amdhsa_user_sgpr_private_segment_size 0
		.amdhsa_uses_dynamic_stack 0
		.amdhsa_system_sgpr_private_segment_wavefront_offset 0
		.amdhsa_system_sgpr_workgroup_id_x 1
		.amdhsa_system_sgpr_workgroup_id_y 0
		.amdhsa_system_sgpr_workgroup_id_z 0
		.amdhsa_system_sgpr_workgroup_info 0
		.amdhsa_system_vgpr_workitem_id 0
		.amdhsa_next_free_vgpr 1
		.amdhsa_next_free_sgpr 0
		.amdhsa_accum_offset 4
		.amdhsa_reserve_vcc 0
		.amdhsa_reserve_flat_scratch 0
		.amdhsa_float_round_mode_32 0
		.amdhsa_float_round_mode_16_64 0
		.amdhsa_float_denorm_mode_32 3
		.amdhsa_float_denorm_mode_16_64 3
		.amdhsa_dx10_clamp 1
		.amdhsa_ieee_mode 1
		.amdhsa_fp16_overflow 0
		.amdhsa_tg_split 0
		.amdhsa_exception_fp_ieee_invalid_op 0
		.amdhsa_exception_fp_denorm_src 0
		.amdhsa_exception_fp_ieee_div_zero 0
		.amdhsa_exception_fp_ieee_overflow 0
		.amdhsa_exception_fp_ieee_underflow 0
		.amdhsa_exception_fp_ieee_inexact 0
		.amdhsa_exception_int_div_zero 0
	.end_amdhsa_kernel
	.section	.text._ZN7rocprim17ROCPRIM_400000_NS6detail17trampoline_kernelINS0_13select_configILj256ELj13ELNS0_17block_load_methodE3ELS4_3ELS4_3ELNS0_20block_scan_algorithmE0ELj4294967295EEENS1_25partition_config_selectorILNS1_17partition_subalgoE3EjNS0_10empty_typeEbEEZZNS1_14partition_implILS8_3ELb0ES6_jNS0_17counting_iteratorIjlEEPS9_SE_NS0_5tupleIJPjSE_EEENSF_IJSE_SE_EEES9_SG_JZNS1_25segmented_radix_sort_implINS0_14default_configELb1EPKhPhPKlPlN2at6native12_GLOBAL__N_18offset_tEEE10hipError_tPvRmT1_PNSt15iterator_traitsISY_E10value_typeET2_T3_PNSZ_IS14_E10value_typeET4_jRbjT5_S1A_jjP12ihipStream_tbEUljE_EEESV_SW_SX_S14_S18_S1A_T6_T7_T9_mT8_S1C_bDpT10_ENKUlT_T0_E_clISt17integral_constantIbLb0EES1P_EEDaS1K_S1L_EUlS1K_E_NS1_11comp_targetILNS1_3genE8ELNS1_11target_archE1030ELNS1_3gpuE2ELNS1_3repE0EEENS1_30default_config_static_selectorELNS0_4arch9wavefront6targetE1EEEvSY_,"axG",@progbits,_ZN7rocprim17ROCPRIM_400000_NS6detail17trampoline_kernelINS0_13select_configILj256ELj13ELNS0_17block_load_methodE3ELS4_3ELS4_3ELNS0_20block_scan_algorithmE0ELj4294967295EEENS1_25partition_config_selectorILNS1_17partition_subalgoE3EjNS0_10empty_typeEbEEZZNS1_14partition_implILS8_3ELb0ES6_jNS0_17counting_iteratorIjlEEPS9_SE_NS0_5tupleIJPjSE_EEENSF_IJSE_SE_EEES9_SG_JZNS1_25segmented_radix_sort_implINS0_14default_configELb1EPKhPhPKlPlN2at6native12_GLOBAL__N_18offset_tEEE10hipError_tPvRmT1_PNSt15iterator_traitsISY_E10value_typeET2_T3_PNSZ_IS14_E10value_typeET4_jRbjT5_S1A_jjP12ihipStream_tbEUljE_EEESV_SW_SX_S14_S18_S1A_T6_T7_T9_mT8_S1C_bDpT10_ENKUlT_T0_E_clISt17integral_constantIbLb0EES1P_EEDaS1K_S1L_EUlS1K_E_NS1_11comp_targetILNS1_3genE8ELNS1_11target_archE1030ELNS1_3gpuE2ELNS1_3repE0EEENS1_30default_config_static_selectorELNS0_4arch9wavefront6targetE1EEEvSY_,comdat
.Lfunc_end55:
	.size	_ZN7rocprim17ROCPRIM_400000_NS6detail17trampoline_kernelINS0_13select_configILj256ELj13ELNS0_17block_load_methodE3ELS4_3ELS4_3ELNS0_20block_scan_algorithmE0ELj4294967295EEENS1_25partition_config_selectorILNS1_17partition_subalgoE3EjNS0_10empty_typeEbEEZZNS1_14partition_implILS8_3ELb0ES6_jNS0_17counting_iteratorIjlEEPS9_SE_NS0_5tupleIJPjSE_EEENSF_IJSE_SE_EEES9_SG_JZNS1_25segmented_radix_sort_implINS0_14default_configELb1EPKhPhPKlPlN2at6native12_GLOBAL__N_18offset_tEEE10hipError_tPvRmT1_PNSt15iterator_traitsISY_E10value_typeET2_T3_PNSZ_IS14_E10value_typeET4_jRbjT5_S1A_jjP12ihipStream_tbEUljE_EEESV_SW_SX_S14_S18_S1A_T6_T7_T9_mT8_S1C_bDpT10_ENKUlT_T0_E_clISt17integral_constantIbLb0EES1P_EEDaS1K_S1L_EUlS1K_E_NS1_11comp_targetILNS1_3genE8ELNS1_11target_archE1030ELNS1_3gpuE2ELNS1_3repE0EEENS1_30default_config_static_selectorELNS0_4arch9wavefront6targetE1EEEvSY_, .Lfunc_end55-_ZN7rocprim17ROCPRIM_400000_NS6detail17trampoline_kernelINS0_13select_configILj256ELj13ELNS0_17block_load_methodE3ELS4_3ELS4_3ELNS0_20block_scan_algorithmE0ELj4294967295EEENS1_25partition_config_selectorILNS1_17partition_subalgoE3EjNS0_10empty_typeEbEEZZNS1_14partition_implILS8_3ELb0ES6_jNS0_17counting_iteratorIjlEEPS9_SE_NS0_5tupleIJPjSE_EEENSF_IJSE_SE_EEES9_SG_JZNS1_25segmented_radix_sort_implINS0_14default_configELb1EPKhPhPKlPlN2at6native12_GLOBAL__N_18offset_tEEE10hipError_tPvRmT1_PNSt15iterator_traitsISY_E10value_typeET2_T3_PNSZ_IS14_E10value_typeET4_jRbjT5_S1A_jjP12ihipStream_tbEUljE_EEESV_SW_SX_S14_S18_S1A_T6_T7_T9_mT8_S1C_bDpT10_ENKUlT_T0_E_clISt17integral_constantIbLb0EES1P_EEDaS1K_S1L_EUlS1K_E_NS1_11comp_targetILNS1_3genE8ELNS1_11target_archE1030ELNS1_3gpuE2ELNS1_3repE0EEENS1_30default_config_static_selectorELNS0_4arch9wavefront6targetE1EEEvSY_
                                        ; -- End function
	.section	.AMDGPU.csdata,"",@progbits
; Kernel info:
; codeLenInByte = 0
; NumSgprs: 4
; NumVgprs: 0
; NumAgprs: 0
; TotalNumVgprs: 0
; ScratchSize: 0
; MemoryBound: 0
; FloatMode: 240
; IeeeMode: 1
; LDSByteSize: 0 bytes/workgroup (compile time only)
; SGPRBlocks: 0
; VGPRBlocks: 0
; NumSGPRsForWavesPerEU: 4
; NumVGPRsForWavesPerEU: 1
; AccumOffset: 4
; Occupancy: 8
; WaveLimiterHint : 0
; COMPUTE_PGM_RSRC2:SCRATCH_EN: 0
; COMPUTE_PGM_RSRC2:USER_SGPR: 6
; COMPUTE_PGM_RSRC2:TRAP_HANDLER: 0
; COMPUTE_PGM_RSRC2:TGID_X_EN: 1
; COMPUTE_PGM_RSRC2:TGID_Y_EN: 0
; COMPUTE_PGM_RSRC2:TGID_Z_EN: 0
; COMPUTE_PGM_RSRC2:TIDIG_COMP_CNT: 0
; COMPUTE_PGM_RSRC3_GFX90A:ACCUM_OFFSET: 0
; COMPUTE_PGM_RSRC3_GFX90A:TG_SPLIT: 0
	.section	.text._ZN7rocprim17ROCPRIM_400000_NS6detail31init_lookback_scan_state_kernelINS1_19lookback_scan_stateIjLb1ELb1EEENS1_16block_id_wrapperIjLb1EEEEEvT_jT0_jPNS7_10value_typeE,"axG",@progbits,_ZN7rocprim17ROCPRIM_400000_NS6detail31init_lookback_scan_state_kernelINS1_19lookback_scan_stateIjLb1ELb1EEENS1_16block_id_wrapperIjLb1EEEEEvT_jT0_jPNS7_10value_typeE,comdat
	.protected	_ZN7rocprim17ROCPRIM_400000_NS6detail31init_lookback_scan_state_kernelINS1_19lookback_scan_stateIjLb1ELb1EEENS1_16block_id_wrapperIjLb1EEEEEvT_jT0_jPNS7_10value_typeE ; -- Begin function _ZN7rocprim17ROCPRIM_400000_NS6detail31init_lookback_scan_state_kernelINS1_19lookback_scan_stateIjLb1ELb1EEENS1_16block_id_wrapperIjLb1EEEEEvT_jT0_jPNS7_10value_typeE
	.globl	_ZN7rocprim17ROCPRIM_400000_NS6detail31init_lookback_scan_state_kernelINS1_19lookback_scan_stateIjLb1ELb1EEENS1_16block_id_wrapperIjLb1EEEEEvT_jT0_jPNS7_10value_typeE
	.p2align	8
	.type	_ZN7rocprim17ROCPRIM_400000_NS6detail31init_lookback_scan_state_kernelINS1_19lookback_scan_stateIjLb1ELb1EEENS1_16block_id_wrapperIjLb1EEEEEvT_jT0_jPNS7_10value_typeE,@function
_ZN7rocprim17ROCPRIM_400000_NS6detail31init_lookback_scan_state_kernelINS1_19lookback_scan_stateIjLb1ELb1EEENS1_16block_id_wrapperIjLb1EEEEEvT_jT0_jPNS7_10value_typeE: ; @_ZN7rocprim17ROCPRIM_400000_NS6detail31init_lookback_scan_state_kernelINS1_19lookback_scan_stateIjLb1ELb1EEENS1_16block_id_wrapperIjLb1EEEEEvT_jT0_jPNS7_10value_typeE
; %bb.0:
	s_load_dword s7, s[4:5], 0x34
	s_load_dwordx2 s[2:3], s[4:5], 0x20
	s_load_dwordx2 s[0:1], s[4:5], 0x0
	s_load_dword s10, s[4:5], 0x8
	s_waitcnt lgkmcnt(0)
	s_and_b32 s7, s7, 0xffff
	s_mul_i32 s6, s6, s7
	s_cmp_eq_u64 s[2:3], 0
	v_add_u32_e32 v0, s6, v0
	s_cbranch_scc1 .LBB56_9
; %bb.1:
	s_load_dword s8, s[4:5], 0x18
	s_mov_b32 s9, 0
	s_waitcnt lgkmcnt(0)
	s_cmp_lt_u32 s8, s10
	s_cselect_b32 s6, s8, 0
	v_cmp_eq_u32_e32 vcc, s6, v0
	s_and_saveexec_b64 s[6:7], vcc
	s_cbranch_execz .LBB56_8
; %bb.2:
	s_add_i32 s8, s8, 64
	s_lshl_b64 s[8:9], s[8:9], 3
	s_add_u32 s8, s0, s8
	s_addc_u32 s9, s1, s9
	v_mov_b32_e32 v2, 0
	global_load_dwordx2 v[4:5], v2, s[8:9] glc
	s_waitcnt vmcnt(0)
	v_and_b32_e32 v3, 0xff, v5
	v_cmp_ne_u64_e32 vcc, 0, v[2:3]
	s_cbranch_vccnz .LBB56_7
; %bb.3:
	s_mov_b32 s11, 1
.LBB56_4:                               ; =>This Loop Header: Depth=1
                                        ;     Child Loop BB56_5 Depth 2
	s_max_u32 s12, s11, 1
.LBB56_5:                               ;   Parent Loop BB56_4 Depth=1
                                        ; =>  This Inner Loop Header: Depth=2
	s_add_i32 s12, s12, -1
	s_cmp_eq_u32 s12, 0
	s_sleep 1
	s_cbranch_scc0 .LBB56_5
; %bb.6:                                ;   in Loop: Header=BB56_4 Depth=1
	global_load_dwordx2 v[4:5], v2, s[8:9] glc
	s_cmp_lt_u32 s11, 32
	s_cselect_b64 s[12:13], -1, 0
	s_cmp_lg_u64 s[12:13], 0
	s_addc_u32 s11, s11, 0
	s_waitcnt vmcnt(0)
	v_and_b32_e32 v3, 0xff, v5
	v_cmp_ne_u64_e32 vcc, 0, v[2:3]
	s_cbranch_vccz .LBB56_4
.LBB56_7:
	v_mov_b32_e32 v1, 0
	global_store_dword v1, v4, s[2:3]
.LBB56_8:
	s_or_b64 exec, exec, s[6:7]
.LBB56_9:
	v_cmp_eq_u32_e32 vcc, 0, v0
	s_and_saveexec_b64 s[2:3], vcc
	s_cbranch_execnz .LBB56_13
; %bb.10:
	s_or_b64 exec, exec, s[2:3]
	v_cmp_gt_u32_e32 vcc, s10, v0
	s_and_saveexec_b64 s[2:3], vcc
	s_cbranch_execnz .LBB56_14
.LBB56_11:
	s_or_b64 exec, exec, s[2:3]
	v_cmp_gt_u32_e32 vcc, 64, v0
	s_and_saveexec_b64 s[2:3], vcc
	s_cbranch_execnz .LBB56_15
.LBB56_12:
	s_endpgm
.LBB56_13:
	s_load_dwordx2 s[4:5], s[4:5], 0x10
	v_mov_b32_e32 v1, 0
	s_waitcnt lgkmcnt(0)
	global_store_dword v1, v1, s[4:5]
	s_or_b64 exec, exec, s[2:3]
	v_cmp_gt_u32_e32 vcc, s10, v0
	s_and_saveexec_b64 s[2:3], vcc
	s_cbranch_execz .LBB56_11
.LBB56_14:
	v_add_u32_e32 v2, 64, v0
	v_mov_b32_e32 v3, 0
	v_lshlrev_b64 v[4:5], 3, v[2:3]
	v_mov_b32_e32 v1, s1
	v_add_co_u32_e32 v4, vcc, s0, v4
	v_addc_co_u32_e32 v5, vcc, v1, v5, vcc
	v_mov_b32_e32 v2, v3
	global_store_dwordx2 v[4:5], v[2:3], off
	s_or_b64 exec, exec, s[2:3]
	v_cmp_gt_u32_e32 vcc, 64, v0
	s_and_saveexec_b64 s[2:3], vcc
	s_cbranch_execz .LBB56_12
.LBB56_15:
	v_mov_b32_e32 v1, 0
	v_lshlrev_b64 v[2:3], 3, v[0:1]
	v_mov_b32_e32 v0, s1
	v_add_co_u32_e32 v2, vcc, s0, v2
	v_addc_co_u32_e32 v3, vcc, v0, v3, vcc
	v_mov_b32_e32 v5, 0xff
	v_mov_b32_e32 v4, v1
	global_store_dwordx2 v[2:3], v[4:5], off
	s_endpgm
	.section	.rodata,"a",@progbits
	.p2align	6, 0x0
	.amdhsa_kernel _ZN7rocprim17ROCPRIM_400000_NS6detail31init_lookback_scan_state_kernelINS1_19lookback_scan_stateIjLb1ELb1EEENS1_16block_id_wrapperIjLb1EEEEEvT_jT0_jPNS7_10value_typeE
		.amdhsa_group_segment_fixed_size 0
		.amdhsa_private_segment_fixed_size 0
		.amdhsa_kernarg_size 296
		.amdhsa_user_sgpr_count 6
		.amdhsa_user_sgpr_private_segment_buffer 1
		.amdhsa_user_sgpr_dispatch_ptr 0
		.amdhsa_user_sgpr_queue_ptr 0
		.amdhsa_user_sgpr_kernarg_segment_ptr 1
		.amdhsa_user_sgpr_dispatch_id 0
		.amdhsa_user_sgpr_flat_scratch_init 0
		.amdhsa_user_sgpr_kernarg_preload_length 0
		.amdhsa_user_sgpr_kernarg_preload_offset 0
		.amdhsa_user_sgpr_private_segment_size 0
		.amdhsa_uses_dynamic_stack 0
		.amdhsa_system_sgpr_private_segment_wavefront_offset 0
		.amdhsa_system_sgpr_workgroup_id_x 1
		.amdhsa_system_sgpr_workgroup_id_y 0
		.amdhsa_system_sgpr_workgroup_id_z 0
		.amdhsa_system_sgpr_workgroup_info 0
		.amdhsa_system_vgpr_workitem_id 0
		.amdhsa_next_free_vgpr 6
		.amdhsa_next_free_sgpr 14
		.amdhsa_accum_offset 8
		.amdhsa_reserve_vcc 1
		.amdhsa_reserve_flat_scratch 0
		.amdhsa_float_round_mode_32 0
		.amdhsa_float_round_mode_16_64 0
		.amdhsa_float_denorm_mode_32 3
		.amdhsa_float_denorm_mode_16_64 3
		.amdhsa_dx10_clamp 1
		.amdhsa_ieee_mode 1
		.amdhsa_fp16_overflow 0
		.amdhsa_tg_split 0
		.amdhsa_exception_fp_ieee_invalid_op 0
		.amdhsa_exception_fp_denorm_src 0
		.amdhsa_exception_fp_ieee_div_zero 0
		.amdhsa_exception_fp_ieee_overflow 0
		.amdhsa_exception_fp_ieee_underflow 0
		.amdhsa_exception_fp_ieee_inexact 0
		.amdhsa_exception_int_div_zero 0
	.end_amdhsa_kernel
	.section	.text._ZN7rocprim17ROCPRIM_400000_NS6detail31init_lookback_scan_state_kernelINS1_19lookback_scan_stateIjLb1ELb1EEENS1_16block_id_wrapperIjLb1EEEEEvT_jT0_jPNS7_10value_typeE,"axG",@progbits,_ZN7rocprim17ROCPRIM_400000_NS6detail31init_lookback_scan_state_kernelINS1_19lookback_scan_stateIjLb1ELb1EEENS1_16block_id_wrapperIjLb1EEEEEvT_jT0_jPNS7_10value_typeE,comdat
.Lfunc_end56:
	.size	_ZN7rocprim17ROCPRIM_400000_NS6detail31init_lookback_scan_state_kernelINS1_19lookback_scan_stateIjLb1ELb1EEENS1_16block_id_wrapperIjLb1EEEEEvT_jT0_jPNS7_10value_typeE, .Lfunc_end56-_ZN7rocprim17ROCPRIM_400000_NS6detail31init_lookback_scan_state_kernelINS1_19lookback_scan_stateIjLb1ELb1EEENS1_16block_id_wrapperIjLb1EEEEEvT_jT0_jPNS7_10value_typeE
                                        ; -- End function
	.section	.AMDGPU.csdata,"",@progbits
; Kernel info:
; codeLenInByte = 420
; NumSgprs: 18
; NumVgprs: 6
; NumAgprs: 0
; TotalNumVgprs: 6
; ScratchSize: 0
; MemoryBound: 0
; FloatMode: 240
; IeeeMode: 1
; LDSByteSize: 0 bytes/workgroup (compile time only)
; SGPRBlocks: 2
; VGPRBlocks: 0
; NumSGPRsForWavesPerEU: 18
; NumVGPRsForWavesPerEU: 6
; AccumOffset: 8
; Occupancy: 8
; WaveLimiterHint : 0
; COMPUTE_PGM_RSRC2:SCRATCH_EN: 0
; COMPUTE_PGM_RSRC2:USER_SGPR: 6
; COMPUTE_PGM_RSRC2:TRAP_HANDLER: 0
; COMPUTE_PGM_RSRC2:TGID_X_EN: 1
; COMPUTE_PGM_RSRC2:TGID_Y_EN: 0
; COMPUTE_PGM_RSRC2:TGID_Z_EN: 0
; COMPUTE_PGM_RSRC2:TIDIG_COMP_CNT: 0
; COMPUTE_PGM_RSRC3_GFX90A:ACCUM_OFFSET: 1
; COMPUTE_PGM_RSRC3_GFX90A:TG_SPLIT: 0
	.section	.text._ZN7rocprim17ROCPRIM_400000_NS6detail17trampoline_kernelINS0_13select_configILj256ELj13ELNS0_17block_load_methodE3ELS4_3ELS4_3ELNS0_20block_scan_algorithmE0ELj4294967295EEENS1_25partition_config_selectorILNS1_17partition_subalgoE3EjNS0_10empty_typeEbEEZZNS1_14partition_implILS8_3ELb0ES6_jNS0_17counting_iteratorIjlEEPS9_SE_NS0_5tupleIJPjSE_EEENSF_IJSE_SE_EEES9_SG_JZNS1_25segmented_radix_sort_implINS0_14default_configELb1EPKhPhPKlPlN2at6native12_GLOBAL__N_18offset_tEEE10hipError_tPvRmT1_PNSt15iterator_traitsISY_E10value_typeET2_T3_PNSZ_IS14_E10value_typeET4_jRbjT5_S1A_jjP12ihipStream_tbEUljE_EEESV_SW_SX_S14_S18_S1A_T6_T7_T9_mT8_S1C_bDpT10_ENKUlT_T0_E_clISt17integral_constantIbLb1EES1P_EEDaS1K_S1L_EUlS1K_E_NS1_11comp_targetILNS1_3genE0ELNS1_11target_archE4294967295ELNS1_3gpuE0ELNS1_3repE0EEENS1_30default_config_static_selectorELNS0_4arch9wavefront6targetE1EEEvSY_,"axG",@progbits,_ZN7rocprim17ROCPRIM_400000_NS6detail17trampoline_kernelINS0_13select_configILj256ELj13ELNS0_17block_load_methodE3ELS4_3ELS4_3ELNS0_20block_scan_algorithmE0ELj4294967295EEENS1_25partition_config_selectorILNS1_17partition_subalgoE3EjNS0_10empty_typeEbEEZZNS1_14partition_implILS8_3ELb0ES6_jNS0_17counting_iteratorIjlEEPS9_SE_NS0_5tupleIJPjSE_EEENSF_IJSE_SE_EEES9_SG_JZNS1_25segmented_radix_sort_implINS0_14default_configELb1EPKhPhPKlPlN2at6native12_GLOBAL__N_18offset_tEEE10hipError_tPvRmT1_PNSt15iterator_traitsISY_E10value_typeET2_T3_PNSZ_IS14_E10value_typeET4_jRbjT5_S1A_jjP12ihipStream_tbEUljE_EEESV_SW_SX_S14_S18_S1A_T6_T7_T9_mT8_S1C_bDpT10_ENKUlT_T0_E_clISt17integral_constantIbLb1EES1P_EEDaS1K_S1L_EUlS1K_E_NS1_11comp_targetILNS1_3genE0ELNS1_11target_archE4294967295ELNS1_3gpuE0ELNS1_3repE0EEENS1_30default_config_static_selectorELNS0_4arch9wavefront6targetE1EEEvSY_,comdat
	.globl	_ZN7rocprim17ROCPRIM_400000_NS6detail17trampoline_kernelINS0_13select_configILj256ELj13ELNS0_17block_load_methodE3ELS4_3ELS4_3ELNS0_20block_scan_algorithmE0ELj4294967295EEENS1_25partition_config_selectorILNS1_17partition_subalgoE3EjNS0_10empty_typeEbEEZZNS1_14partition_implILS8_3ELb0ES6_jNS0_17counting_iteratorIjlEEPS9_SE_NS0_5tupleIJPjSE_EEENSF_IJSE_SE_EEES9_SG_JZNS1_25segmented_radix_sort_implINS0_14default_configELb1EPKhPhPKlPlN2at6native12_GLOBAL__N_18offset_tEEE10hipError_tPvRmT1_PNSt15iterator_traitsISY_E10value_typeET2_T3_PNSZ_IS14_E10value_typeET4_jRbjT5_S1A_jjP12ihipStream_tbEUljE_EEESV_SW_SX_S14_S18_S1A_T6_T7_T9_mT8_S1C_bDpT10_ENKUlT_T0_E_clISt17integral_constantIbLb1EES1P_EEDaS1K_S1L_EUlS1K_E_NS1_11comp_targetILNS1_3genE0ELNS1_11target_archE4294967295ELNS1_3gpuE0ELNS1_3repE0EEENS1_30default_config_static_selectorELNS0_4arch9wavefront6targetE1EEEvSY_ ; -- Begin function _ZN7rocprim17ROCPRIM_400000_NS6detail17trampoline_kernelINS0_13select_configILj256ELj13ELNS0_17block_load_methodE3ELS4_3ELS4_3ELNS0_20block_scan_algorithmE0ELj4294967295EEENS1_25partition_config_selectorILNS1_17partition_subalgoE3EjNS0_10empty_typeEbEEZZNS1_14partition_implILS8_3ELb0ES6_jNS0_17counting_iteratorIjlEEPS9_SE_NS0_5tupleIJPjSE_EEENSF_IJSE_SE_EEES9_SG_JZNS1_25segmented_radix_sort_implINS0_14default_configELb1EPKhPhPKlPlN2at6native12_GLOBAL__N_18offset_tEEE10hipError_tPvRmT1_PNSt15iterator_traitsISY_E10value_typeET2_T3_PNSZ_IS14_E10value_typeET4_jRbjT5_S1A_jjP12ihipStream_tbEUljE_EEESV_SW_SX_S14_S18_S1A_T6_T7_T9_mT8_S1C_bDpT10_ENKUlT_T0_E_clISt17integral_constantIbLb1EES1P_EEDaS1K_S1L_EUlS1K_E_NS1_11comp_targetILNS1_3genE0ELNS1_11target_archE4294967295ELNS1_3gpuE0ELNS1_3repE0EEENS1_30default_config_static_selectorELNS0_4arch9wavefront6targetE1EEEvSY_
	.p2align	8
	.type	_ZN7rocprim17ROCPRIM_400000_NS6detail17trampoline_kernelINS0_13select_configILj256ELj13ELNS0_17block_load_methodE3ELS4_3ELS4_3ELNS0_20block_scan_algorithmE0ELj4294967295EEENS1_25partition_config_selectorILNS1_17partition_subalgoE3EjNS0_10empty_typeEbEEZZNS1_14partition_implILS8_3ELb0ES6_jNS0_17counting_iteratorIjlEEPS9_SE_NS0_5tupleIJPjSE_EEENSF_IJSE_SE_EEES9_SG_JZNS1_25segmented_radix_sort_implINS0_14default_configELb1EPKhPhPKlPlN2at6native12_GLOBAL__N_18offset_tEEE10hipError_tPvRmT1_PNSt15iterator_traitsISY_E10value_typeET2_T3_PNSZ_IS14_E10value_typeET4_jRbjT5_S1A_jjP12ihipStream_tbEUljE_EEESV_SW_SX_S14_S18_S1A_T6_T7_T9_mT8_S1C_bDpT10_ENKUlT_T0_E_clISt17integral_constantIbLb1EES1P_EEDaS1K_S1L_EUlS1K_E_NS1_11comp_targetILNS1_3genE0ELNS1_11target_archE4294967295ELNS1_3gpuE0ELNS1_3repE0EEENS1_30default_config_static_selectorELNS0_4arch9wavefront6targetE1EEEvSY_,@function
_ZN7rocprim17ROCPRIM_400000_NS6detail17trampoline_kernelINS0_13select_configILj256ELj13ELNS0_17block_load_methodE3ELS4_3ELS4_3ELNS0_20block_scan_algorithmE0ELj4294967295EEENS1_25partition_config_selectorILNS1_17partition_subalgoE3EjNS0_10empty_typeEbEEZZNS1_14partition_implILS8_3ELb0ES6_jNS0_17counting_iteratorIjlEEPS9_SE_NS0_5tupleIJPjSE_EEENSF_IJSE_SE_EEES9_SG_JZNS1_25segmented_radix_sort_implINS0_14default_configELb1EPKhPhPKlPlN2at6native12_GLOBAL__N_18offset_tEEE10hipError_tPvRmT1_PNSt15iterator_traitsISY_E10value_typeET2_T3_PNSZ_IS14_E10value_typeET4_jRbjT5_S1A_jjP12ihipStream_tbEUljE_EEESV_SW_SX_S14_S18_S1A_T6_T7_T9_mT8_S1C_bDpT10_ENKUlT_T0_E_clISt17integral_constantIbLb1EES1P_EEDaS1K_S1L_EUlS1K_E_NS1_11comp_targetILNS1_3genE0ELNS1_11target_archE4294967295ELNS1_3gpuE0ELNS1_3repE0EEENS1_30default_config_static_selectorELNS0_4arch9wavefront6targetE1EEEvSY_: ; @_ZN7rocprim17ROCPRIM_400000_NS6detail17trampoline_kernelINS0_13select_configILj256ELj13ELNS0_17block_load_methodE3ELS4_3ELS4_3ELNS0_20block_scan_algorithmE0ELj4294967295EEENS1_25partition_config_selectorILNS1_17partition_subalgoE3EjNS0_10empty_typeEbEEZZNS1_14partition_implILS8_3ELb0ES6_jNS0_17counting_iteratorIjlEEPS9_SE_NS0_5tupleIJPjSE_EEENSF_IJSE_SE_EEES9_SG_JZNS1_25segmented_radix_sort_implINS0_14default_configELb1EPKhPhPKlPlN2at6native12_GLOBAL__N_18offset_tEEE10hipError_tPvRmT1_PNSt15iterator_traitsISY_E10value_typeET2_T3_PNSZ_IS14_E10value_typeET4_jRbjT5_S1A_jjP12ihipStream_tbEUljE_EEESV_SW_SX_S14_S18_S1A_T6_T7_T9_mT8_S1C_bDpT10_ENKUlT_T0_E_clISt17integral_constantIbLb1EES1P_EEDaS1K_S1L_EUlS1K_E_NS1_11comp_targetILNS1_3genE0ELNS1_11target_archE4294967295ELNS1_3gpuE0ELNS1_3repE0EEENS1_30default_config_static_selectorELNS0_4arch9wavefront6targetE1EEEvSY_
; %bb.0:
	.section	.rodata,"a",@progbits
	.p2align	6, 0x0
	.amdhsa_kernel _ZN7rocprim17ROCPRIM_400000_NS6detail17trampoline_kernelINS0_13select_configILj256ELj13ELNS0_17block_load_methodE3ELS4_3ELS4_3ELNS0_20block_scan_algorithmE0ELj4294967295EEENS1_25partition_config_selectorILNS1_17partition_subalgoE3EjNS0_10empty_typeEbEEZZNS1_14partition_implILS8_3ELb0ES6_jNS0_17counting_iteratorIjlEEPS9_SE_NS0_5tupleIJPjSE_EEENSF_IJSE_SE_EEES9_SG_JZNS1_25segmented_radix_sort_implINS0_14default_configELb1EPKhPhPKlPlN2at6native12_GLOBAL__N_18offset_tEEE10hipError_tPvRmT1_PNSt15iterator_traitsISY_E10value_typeET2_T3_PNSZ_IS14_E10value_typeET4_jRbjT5_S1A_jjP12ihipStream_tbEUljE_EEESV_SW_SX_S14_S18_S1A_T6_T7_T9_mT8_S1C_bDpT10_ENKUlT_T0_E_clISt17integral_constantIbLb1EES1P_EEDaS1K_S1L_EUlS1K_E_NS1_11comp_targetILNS1_3genE0ELNS1_11target_archE4294967295ELNS1_3gpuE0ELNS1_3repE0EEENS1_30default_config_static_selectorELNS0_4arch9wavefront6targetE1EEEvSY_
		.amdhsa_group_segment_fixed_size 0
		.amdhsa_private_segment_fixed_size 0
		.amdhsa_kernarg_size 152
		.amdhsa_user_sgpr_count 6
		.amdhsa_user_sgpr_private_segment_buffer 1
		.amdhsa_user_sgpr_dispatch_ptr 0
		.amdhsa_user_sgpr_queue_ptr 0
		.amdhsa_user_sgpr_kernarg_segment_ptr 1
		.amdhsa_user_sgpr_dispatch_id 0
		.amdhsa_user_sgpr_flat_scratch_init 0
		.amdhsa_user_sgpr_kernarg_preload_length 0
		.amdhsa_user_sgpr_kernarg_preload_offset 0
		.amdhsa_user_sgpr_private_segment_size 0
		.amdhsa_uses_dynamic_stack 0
		.amdhsa_system_sgpr_private_segment_wavefront_offset 0
		.amdhsa_system_sgpr_workgroup_id_x 1
		.amdhsa_system_sgpr_workgroup_id_y 0
		.amdhsa_system_sgpr_workgroup_id_z 0
		.amdhsa_system_sgpr_workgroup_info 0
		.amdhsa_system_vgpr_workitem_id 0
		.amdhsa_next_free_vgpr 1
		.amdhsa_next_free_sgpr 0
		.amdhsa_accum_offset 4
		.amdhsa_reserve_vcc 0
		.amdhsa_reserve_flat_scratch 0
		.amdhsa_float_round_mode_32 0
		.amdhsa_float_round_mode_16_64 0
		.amdhsa_float_denorm_mode_32 3
		.amdhsa_float_denorm_mode_16_64 3
		.amdhsa_dx10_clamp 1
		.amdhsa_ieee_mode 1
		.amdhsa_fp16_overflow 0
		.amdhsa_tg_split 0
		.amdhsa_exception_fp_ieee_invalid_op 0
		.amdhsa_exception_fp_denorm_src 0
		.amdhsa_exception_fp_ieee_div_zero 0
		.amdhsa_exception_fp_ieee_overflow 0
		.amdhsa_exception_fp_ieee_underflow 0
		.amdhsa_exception_fp_ieee_inexact 0
		.amdhsa_exception_int_div_zero 0
	.end_amdhsa_kernel
	.section	.text._ZN7rocprim17ROCPRIM_400000_NS6detail17trampoline_kernelINS0_13select_configILj256ELj13ELNS0_17block_load_methodE3ELS4_3ELS4_3ELNS0_20block_scan_algorithmE0ELj4294967295EEENS1_25partition_config_selectorILNS1_17partition_subalgoE3EjNS0_10empty_typeEbEEZZNS1_14partition_implILS8_3ELb0ES6_jNS0_17counting_iteratorIjlEEPS9_SE_NS0_5tupleIJPjSE_EEENSF_IJSE_SE_EEES9_SG_JZNS1_25segmented_radix_sort_implINS0_14default_configELb1EPKhPhPKlPlN2at6native12_GLOBAL__N_18offset_tEEE10hipError_tPvRmT1_PNSt15iterator_traitsISY_E10value_typeET2_T3_PNSZ_IS14_E10value_typeET4_jRbjT5_S1A_jjP12ihipStream_tbEUljE_EEESV_SW_SX_S14_S18_S1A_T6_T7_T9_mT8_S1C_bDpT10_ENKUlT_T0_E_clISt17integral_constantIbLb1EES1P_EEDaS1K_S1L_EUlS1K_E_NS1_11comp_targetILNS1_3genE0ELNS1_11target_archE4294967295ELNS1_3gpuE0ELNS1_3repE0EEENS1_30default_config_static_selectorELNS0_4arch9wavefront6targetE1EEEvSY_,"axG",@progbits,_ZN7rocprim17ROCPRIM_400000_NS6detail17trampoline_kernelINS0_13select_configILj256ELj13ELNS0_17block_load_methodE3ELS4_3ELS4_3ELNS0_20block_scan_algorithmE0ELj4294967295EEENS1_25partition_config_selectorILNS1_17partition_subalgoE3EjNS0_10empty_typeEbEEZZNS1_14partition_implILS8_3ELb0ES6_jNS0_17counting_iteratorIjlEEPS9_SE_NS0_5tupleIJPjSE_EEENSF_IJSE_SE_EEES9_SG_JZNS1_25segmented_radix_sort_implINS0_14default_configELb1EPKhPhPKlPlN2at6native12_GLOBAL__N_18offset_tEEE10hipError_tPvRmT1_PNSt15iterator_traitsISY_E10value_typeET2_T3_PNSZ_IS14_E10value_typeET4_jRbjT5_S1A_jjP12ihipStream_tbEUljE_EEESV_SW_SX_S14_S18_S1A_T6_T7_T9_mT8_S1C_bDpT10_ENKUlT_T0_E_clISt17integral_constantIbLb1EES1P_EEDaS1K_S1L_EUlS1K_E_NS1_11comp_targetILNS1_3genE0ELNS1_11target_archE4294967295ELNS1_3gpuE0ELNS1_3repE0EEENS1_30default_config_static_selectorELNS0_4arch9wavefront6targetE1EEEvSY_,comdat
.Lfunc_end57:
	.size	_ZN7rocprim17ROCPRIM_400000_NS6detail17trampoline_kernelINS0_13select_configILj256ELj13ELNS0_17block_load_methodE3ELS4_3ELS4_3ELNS0_20block_scan_algorithmE0ELj4294967295EEENS1_25partition_config_selectorILNS1_17partition_subalgoE3EjNS0_10empty_typeEbEEZZNS1_14partition_implILS8_3ELb0ES6_jNS0_17counting_iteratorIjlEEPS9_SE_NS0_5tupleIJPjSE_EEENSF_IJSE_SE_EEES9_SG_JZNS1_25segmented_radix_sort_implINS0_14default_configELb1EPKhPhPKlPlN2at6native12_GLOBAL__N_18offset_tEEE10hipError_tPvRmT1_PNSt15iterator_traitsISY_E10value_typeET2_T3_PNSZ_IS14_E10value_typeET4_jRbjT5_S1A_jjP12ihipStream_tbEUljE_EEESV_SW_SX_S14_S18_S1A_T6_T7_T9_mT8_S1C_bDpT10_ENKUlT_T0_E_clISt17integral_constantIbLb1EES1P_EEDaS1K_S1L_EUlS1K_E_NS1_11comp_targetILNS1_3genE0ELNS1_11target_archE4294967295ELNS1_3gpuE0ELNS1_3repE0EEENS1_30default_config_static_selectorELNS0_4arch9wavefront6targetE1EEEvSY_, .Lfunc_end57-_ZN7rocprim17ROCPRIM_400000_NS6detail17trampoline_kernelINS0_13select_configILj256ELj13ELNS0_17block_load_methodE3ELS4_3ELS4_3ELNS0_20block_scan_algorithmE0ELj4294967295EEENS1_25partition_config_selectorILNS1_17partition_subalgoE3EjNS0_10empty_typeEbEEZZNS1_14partition_implILS8_3ELb0ES6_jNS0_17counting_iteratorIjlEEPS9_SE_NS0_5tupleIJPjSE_EEENSF_IJSE_SE_EEES9_SG_JZNS1_25segmented_radix_sort_implINS0_14default_configELb1EPKhPhPKlPlN2at6native12_GLOBAL__N_18offset_tEEE10hipError_tPvRmT1_PNSt15iterator_traitsISY_E10value_typeET2_T3_PNSZ_IS14_E10value_typeET4_jRbjT5_S1A_jjP12ihipStream_tbEUljE_EEESV_SW_SX_S14_S18_S1A_T6_T7_T9_mT8_S1C_bDpT10_ENKUlT_T0_E_clISt17integral_constantIbLb1EES1P_EEDaS1K_S1L_EUlS1K_E_NS1_11comp_targetILNS1_3genE0ELNS1_11target_archE4294967295ELNS1_3gpuE0ELNS1_3repE0EEENS1_30default_config_static_selectorELNS0_4arch9wavefront6targetE1EEEvSY_
                                        ; -- End function
	.section	.AMDGPU.csdata,"",@progbits
; Kernel info:
; codeLenInByte = 0
; NumSgprs: 4
; NumVgprs: 0
; NumAgprs: 0
; TotalNumVgprs: 0
; ScratchSize: 0
; MemoryBound: 0
; FloatMode: 240
; IeeeMode: 1
; LDSByteSize: 0 bytes/workgroup (compile time only)
; SGPRBlocks: 0
; VGPRBlocks: 0
; NumSGPRsForWavesPerEU: 4
; NumVGPRsForWavesPerEU: 1
; AccumOffset: 4
; Occupancy: 8
; WaveLimiterHint : 0
; COMPUTE_PGM_RSRC2:SCRATCH_EN: 0
; COMPUTE_PGM_RSRC2:USER_SGPR: 6
; COMPUTE_PGM_RSRC2:TRAP_HANDLER: 0
; COMPUTE_PGM_RSRC2:TGID_X_EN: 1
; COMPUTE_PGM_RSRC2:TGID_Y_EN: 0
; COMPUTE_PGM_RSRC2:TGID_Z_EN: 0
; COMPUTE_PGM_RSRC2:TIDIG_COMP_CNT: 0
; COMPUTE_PGM_RSRC3_GFX90A:ACCUM_OFFSET: 0
; COMPUTE_PGM_RSRC3_GFX90A:TG_SPLIT: 0
	.section	.text._ZN7rocprim17ROCPRIM_400000_NS6detail17trampoline_kernelINS0_13select_configILj256ELj13ELNS0_17block_load_methodE3ELS4_3ELS4_3ELNS0_20block_scan_algorithmE0ELj4294967295EEENS1_25partition_config_selectorILNS1_17partition_subalgoE3EjNS0_10empty_typeEbEEZZNS1_14partition_implILS8_3ELb0ES6_jNS0_17counting_iteratorIjlEEPS9_SE_NS0_5tupleIJPjSE_EEENSF_IJSE_SE_EEES9_SG_JZNS1_25segmented_radix_sort_implINS0_14default_configELb1EPKhPhPKlPlN2at6native12_GLOBAL__N_18offset_tEEE10hipError_tPvRmT1_PNSt15iterator_traitsISY_E10value_typeET2_T3_PNSZ_IS14_E10value_typeET4_jRbjT5_S1A_jjP12ihipStream_tbEUljE_EEESV_SW_SX_S14_S18_S1A_T6_T7_T9_mT8_S1C_bDpT10_ENKUlT_T0_E_clISt17integral_constantIbLb1EES1P_EEDaS1K_S1L_EUlS1K_E_NS1_11comp_targetILNS1_3genE5ELNS1_11target_archE942ELNS1_3gpuE9ELNS1_3repE0EEENS1_30default_config_static_selectorELNS0_4arch9wavefront6targetE1EEEvSY_,"axG",@progbits,_ZN7rocprim17ROCPRIM_400000_NS6detail17trampoline_kernelINS0_13select_configILj256ELj13ELNS0_17block_load_methodE3ELS4_3ELS4_3ELNS0_20block_scan_algorithmE0ELj4294967295EEENS1_25partition_config_selectorILNS1_17partition_subalgoE3EjNS0_10empty_typeEbEEZZNS1_14partition_implILS8_3ELb0ES6_jNS0_17counting_iteratorIjlEEPS9_SE_NS0_5tupleIJPjSE_EEENSF_IJSE_SE_EEES9_SG_JZNS1_25segmented_radix_sort_implINS0_14default_configELb1EPKhPhPKlPlN2at6native12_GLOBAL__N_18offset_tEEE10hipError_tPvRmT1_PNSt15iterator_traitsISY_E10value_typeET2_T3_PNSZ_IS14_E10value_typeET4_jRbjT5_S1A_jjP12ihipStream_tbEUljE_EEESV_SW_SX_S14_S18_S1A_T6_T7_T9_mT8_S1C_bDpT10_ENKUlT_T0_E_clISt17integral_constantIbLb1EES1P_EEDaS1K_S1L_EUlS1K_E_NS1_11comp_targetILNS1_3genE5ELNS1_11target_archE942ELNS1_3gpuE9ELNS1_3repE0EEENS1_30default_config_static_selectorELNS0_4arch9wavefront6targetE1EEEvSY_,comdat
	.globl	_ZN7rocprim17ROCPRIM_400000_NS6detail17trampoline_kernelINS0_13select_configILj256ELj13ELNS0_17block_load_methodE3ELS4_3ELS4_3ELNS0_20block_scan_algorithmE0ELj4294967295EEENS1_25partition_config_selectorILNS1_17partition_subalgoE3EjNS0_10empty_typeEbEEZZNS1_14partition_implILS8_3ELb0ES6_jNS0_17counting_iteratorIjlEEPS9_SE_NS0_5tupleIJPjSE_EEENSF_IJSE_SE_EEES9_SG_JZNS1_25segmented_radix_sort_implINS0_14default_configELb1EPKhPhPKlPlN2at6native12_GLOBAL__N_18offset_tEEE10hipError_tPvRmT1_PNSt15iterator_traitsISY_E10value_typeET2_T3_PNSZ_IS14_E10value_typeET4_jRbjT5_S1A_jjP12ihipStream_tbEUljE_EEESV_SW_SX_S14_S18_S1A_T6_T7_T9_mT8_S1C_bDpT10_ENKUlT_T0_E_clISt17integral_constantIbLb1EES1P_EEDaS1K_S1L_EUlS1K_E_NS1_11comp_targetILNS1_3genE5ELNS1_11target_archE942ELNS1_3gpuE9ELNS1_3repE0EEENS1_30default_config_static_selectorELNS0_4arch9wavefront6targetE1EEEvSY_ ; -- Begin function _ZN7rocprim17ROCPRIM_400000_NS6detail17trampoline_kernelINS0_13select_configILj256ELj13ELNS0_17block_load_methodE3ELS4_3ELS4_3ELNS0_20block_scan_algorithmE0ELj4294967295EEENS1_25partition_config_selectorILNS1_17partition_subalgoE3EjNS0_10empty_typeEbEEZZNS1_14partition_implILS8_3ELb0ES6_jNS0_17counting_iteratorIjlEEPS9_SE_NS0_5tupleIJPjSE_EEENSF_IJSE_SE_EEES9_SG_JZNS1_25segmented_radix_sort_implINS0_14default_configELb1EPKhPhPKlPlN2at6native12_GLOBAL__N_18offset_tEEE10hipError_tPvRmT1_PNSt15iterator_traitsISY_E10value_typeET2_T3_PNSZ_IS14_E10value_typeET4_jRbjT5_S1A_jjP12ihipStream_tbEUljE_EEESV_SW_SX_S14_S18_S1A_T6_T7_T9_mT8_S1C_bDpT10_ENKUlT_T0_E_clISt17integral_constantIbLb1EES1P_EEDaS1K_S1L_EUlS1K_E_NS1_11comp_targetILNS1_3genE5ELNS1_11target_archE942ELNS1_3gpuE9ELNS1_3repE0EEENS1_30default_config_static_selectorELNS0_4arch9wavefront6targetE1EEEvSY_
	.p2align	8
	.type	_ZN7rocprim17ROCPRIM_400000_NS6detail17trampoline_kernelINS0_13select_configILj256ELj13ELNS0_17block_load_methodE3ELS4_3ELS4_3ELNS0_20block_scan_algorithmE0ELj4294967295EEENS1_25partition_config_selectorILNS1_17partition_subalgoE3EjNS0_10empty_typeEbEEZZNS1_14partition_implILS8_3ELb0ES6_jNS0_17counting_iteratorIjlEEPS9_SE_NS0_5tupleIJPjSE_EEENSF_IJSE_SE_EEES9_SG_JZNS1_25segmented_radix_sort_implINS0_14default_configELb1EPKhPhPKlPlN2at6native12_GLOBAL__N_18offset_tEEE10hipError_tPvRmT1_PNSt15iterator_traitsISY_E10value_typeET2_T3_PNSZ_IS14_E10value_typeET4_jRbjT5_S1A_jjP12ihipStream_tbEUljE_EEESV_SW_SX_S14_S18_S1A_T6_T7_T9_mT8_S1C_bDpT10_ENKUlT_T0_E_clISt17integral_constantIbLb1EES1P_EEDaS1K_S1L_EUlS1K_E_NS1_11comp_targetILNS1_3genE5ELNS1_11target_archE942ELNS1_3gpuE9ELNS1_3repE0EEENS1_30default_config_static_selectorELNS0_4arch9wavefront6targetE1EEEvSY_,@function
_ZN7rocprim17ROCPRIM_400000_NS6detail17trampoline_kernelINS0_13select_configILj256ELj13ELNS0_17block_load_methodE3ELS4_3ELS4_3ELNS0_20block_scan_algorithmE0ELj4294967295EEENS1_25partition_config_selectorILNS1_17partition_subalgoE3EjNS0_10empty_typeEbEEZZNS1_14partition_implILS8_3ELb0ES6_jNS0_17counting_iteratorIjlEEPS9_SE_NS0_5tupleIJPjSE_EEENSF_IJSE_SE_EEES9_SG_JZNS1_25segmented_radix_sort_implINS0_14default_configELb1EPKhPhPKlPlN2at6native12_GLOBAL__N_18offset_tEEE10hipError_tPvRmT1_PNSt15iterator_traitsISY_E10value_typeET2_T3_PNSZ_IS14_E10value_typeET4_jRbjT5_S1A_jjP12ihipStream_tbEUljE_EEESV_SW_SX_S14_S18_S1A_T6_T7_T9_mT8_S1C_bDpT10_ENKUlT_T0_E_clISt17integral_constantIbLb1EES1P_EEDaS1K_S1L_EUlS1K_E_NS1_11comp_targetILNS1_3genE5ELNS1_11target_archE942ELNS1_3gpuE9ELNS1_3repE0EEENS1_30default_config_static_selectorELNS0_4arch9wavefront6targetE1EEEvSY_: ; @_ZN7rocprim17ROCPRIM_400000_NS6detail17trampoline_kernelINS0_13select_configILj256ELj13ELNS0_17block_load_methodE3ELS4_3ELS4_3ELNS0_20block_scan_algorithmE0ELj4294967295EEENS1_25partition_config_selectorILNS1_17partition_subalgoE3EjNS0_10empty_typeEbEEZZNS1_14partition_implILS8_3ELb0ES6_jNS0_17counting_iteratorIjlEEPS9_SE_NS0_5tupleIJPjSE_EEENSF_IJSE_SE_EEES9_SG_JZNS1_25segmented_radix_sort_implINS0_14default_configELb1EPKhPhPKlPlN2at6native12_GLOBAL__N_18offset_tEEE10hipError_tPvRmT1_PNSt15iterator_traitsISY_E10value_typeET2_T3_PNSZ_IS14_E10value_typeET4_jRbjT5_S1A_jjP12ihipStream_tbEUljE_EEESV_SW_SX_S14_S18_S1A_T6_T7_T9_mT8_S1C_bDpT10_ENKUlT_T0_E_clISt17integral_constantIbLb1EES1P_EEDaS1K_S1L_EUlS1K_E_NS1_11comp_targetILNS1_3genE5ELNS1_11target_archE942ELNS1_3gpuE9ELNS1_3repE0EEENS1_30default_config_static_selectorELNS0_4arch9wavefront6targetE1EEEvSY_
; %bb.0:
	.section	.rodata,"a",@progbits
	.p2align	6, 0x0
	.amdhsa_kernel _ZN7rocprim17ROCPRIM_400000_NS6detail17trampoline_kernelINS0_13select_configILj256ELj13ELNS0_17block_load_methodE3ELS4_3ELS4_3ELNS0_20block_scan_algorithmE0ELj4294967295EEENS1_25partition_config_selectorILNS1_17partition_subalgoE3EjNS0_10empty_typeEbEEZZNS1_14partition_implILS8_3ELb0ES6_jNS0_17counting_iteratorIjlEEPS9_SE_NS0_5tupleIJPjSE_EEENSF_IJSE_SE_EEES9_SG_JZNS1_25segmented_radix_sort_implINS0_14default_configELb1EPKhPhPKlPlN2at6native12_GLOBAL__N_18offset_tEEE10hipError_tPvRmT1_PNSt15iterator_traitsISY_E10value_typeET2_T3_PNSZ_IS14_E10value_typeET4_jRbjT5_S1A_jjP12ihipStream_tbEUljE_EEESV_SW_SX_S14_S18_S1A_T6_T7_T9_mT8_S1C_bDpT10_ENKUlT_T0_E_clISt17integral_constantIbLb1EES1P_EEDaS1K_S1L_EUlS1K_E_NS1_11comp_targetILNS1_3genE5ELNS1_11target_archE942ELNS1_3gpuE9ELNS1_3repE0EEENS1_30default_config_static_selectorELNS0_4arch9wavefront6targetE1EEEvSY_
		.amdhsa_group_segment_fixed_size 0
		.amdhsa_private_segment_fixed_size 0
		.amdhsa_kernarg_size 152
		.amdhsa_user_sgpr_count 6
		.amdhsa_user_sgpr_private_segment_buffer 1
		.amdhsa_user_sgpr_dispatch_ptr 0
		.amdhsa_user_sgpr_queue_ptr 0
		.amdhsa_user_sgpr_kernarg_segment_ptr 1
		.amdhsa_user_sgpr_dispatch_id 0
		.amdhsa_user_sgpr_flat_scratch_init 0
		.amdhsa_user_sgpr_kernarg_preload_length 0
		.amdhsa_user_sgpr_kernarg_preload_offset 0
		.amdhsa_user_sgpr_private_segment_size 0
		.amdhsa_uses_dynamic_stack 0
		.amdhsa_system_sgpr_private_segment_wavefront_offset 0
		.amdhsa_system_sgpr_workgroup_id_x 1
		.amdhsa_system_sgpr_workgroup_id_y 0
		.amdhsa_system_sgpr_workgroup_id_z 0
		.amdhsa_system_sgpr_workgroup_info 0
		.amdhsa_system_vgpr_workitem_id 0
		.amdhsa_next_free_vgpr 1
		.amdhsa_next_free_sgpr 0
		.amdhsa_accum_offset 4
		.amdhsa_reserve_vcc 0
		.amdhsa_reserve_flat_scratch 0
		.amdhsa_float_round_mode_32 0
		.amdhsa_float_round_mode_16_64 0
		.amdhsa_float_denorm_mode_32 3
		.amdhsa_float_denorm_mode_16_64 3
		.amdhsa_dx10_clamp 1
		.amdhsa_ieee_mode 1
		.amdhsa_fp16_overflow 0
		.amdhsa_tg_split 0
		.amdhsa_exception_fp_ieee_invalid_op 0
		.amdhsa_exception_fp_denorm_src 0
		.amdhsa_exception_fp_ieee_div_zero 0
		.amdhsa_exception_fp_ieee_overflow 0
		.amdhsa_exception_fp_ieee_underflow 0
		.amdhsa_exception_fp_ieee_inexact 0
		.amdhsa_exception_int_div_zero 0
	.end_amdhsa_kernel
	.section	.text._ZN7rocprim17ROCPRIM_400000_NS6detail17trampoline_kernelINS0_13select_configILj256ELj13ELNS0_17block_load_methodE3ELS4_3ELS4_3ELNS0_20block_scan_algorithmE0ELj4294967295EEENS1_25partition_config_selectorILNS1_17partition_subalgoE3EjNS0_10empty_typeEbEEZZNS1_14partition_implILS8_3ELb0ES6_jNS0_17counting_iteratorIjlEEPS9_SE_NS0_5tupleIJPjSE_EEENSF_IJSE_SE_EEES9_SG_JZNS1_25segmented_radix_sort_implINS0_14default_configELb1EPKhPhPKlPlN2at6native12_GLOBAL__N_18offset_tEEE10hipError_tPvRmT1_PNSt15iterator_traitsISY_E10value_typeET2_T3_PNSZ_IS14_E10value_typeET4_jRbjT5_S1A_jjP12ihipStream_tbEUljE_EEESV_SW_SX_S14_S18_S1A_T6_T7_T9_mT8_S1C_bDpT10_ENKUlT_T0_E_clISt17integral_constantIbLb1EES1P_EEDaS1K_S1L_EUlS1K_E_NS1_11comp_targetILNS1_3genE5ELNS1_11target_archE942ELNS1_3gpuE9ELNS1_3repE0EEENS1_30default_config_static_selectorELNS0_4arch9wavefront6targetE1EEEvSY_,"axG",@progbits,_ZN7rocprim17ROCPRIM_400000_NS6detail17trampoline_kernelINS0_13select_configILj256ELj13ELNS0_17block_load_methodE3ELS4_3ELS4_3ELNS0_20block_scan_algorithmE0ELj4294967295EEENS1_25partition_config_selectorILNS1_17partition_subalgoE3EjNS0_10empty_typeEbEEZZNS1_14partition_implILS8_3ELb0ES6_jNS0_17counting_iteratorIjlEEPS9_SE_NS0_5tupleIJPjSE_EEENSF_IJSE_SE_EEES9_SG_JZNS1_25segmented_radix_sort_implINS0_14default_configELb1EPKhPhPKlPlN2at6native12_GLOBAL__N_18offset_tEEE10hipError_tPvRmT1_PNSt15iterator_traitsISY_E10value_typeET2_T3_PNSZ_IS14_E10value_typeET4_jRbjT5_S1A_jjP12ihipStream_tbEUljE_EEESV_SW_SX_S14_S18_S1A_T6_T7_T9_mT8_S1C_bDpT10_ENKUlT_T0_E_clISt17integral_constantIbLb1EES1P_EEDaS1K_S1L_EUlS1K_E_NS1_11comp_targetILNS1_3genE5ELNS1_11target_archE942ELNS1_3gpuE9ELNS1_3repE0EEENS1_30default_config_static_selectorELNS0_4arch9wavefront6targetE1EEEvSY_,comdat
.Lfunc_end58:
	.size	_ZN7rocprim17ROCPRIM_400000_NS6detail17trampoline_kernelINS0_13select_configILj256ELj13ELNS0_17block_load_methodE3ELS4_3ELS4_3ELNS0_20block_scan_algorithmE0ELj4294967295EEENS1_25partition_config_selectorILNS1_17partition_subalgoE3EjNS0_10empty_typeEbEEZZNS1_14partition_implILS8_3ELb0ES6_jNS0_17counting_iteratorIjlEEPS9_SE_NS0_5tupleIJPjSE_EEENSF_IJSE_SE_EEES9_SG_JZNS1_25segmented_radix_sort_implINS0_14default_configELb1EPKhPhPKlPlN2at6native12_GLOBAL__N_18offset_tEEE10hipError_tPvRmT1_PNSt15iterator_traitsISY_E10value_typeET2_T3_PNSZ_IS14_E10value_typeET4_jRbjT5_S1A_jjP12ihipStream_tbEUljE_EEESV_SW_SX_S14_S18_S1A_T6_T7_T9_mT8_S1C_bDpT10_ENKUlT_T0_E_clISt17integral_constantIbLb1EES1P_EEDaS1K_S1L_EUlS1K_E_NS1_11comp_targetILNS1_3genE5ELNS1_11target_archE942ELNS1_3gpuE9ELNS1_3repE0EEENS1_30default_config_static_selectorELNS0_4arch9wavefront6targetE1EEEvSY_, .Lfunc_end58-_ZN7rocprim17ROCPRIM_400000_NS6detail17trampoline_kernelINS0_13select_configILj256ELj13ELNS0_17block_load_methodE3ELS4_3ELS4_3ELNS0_20block_scan_algorithmE0ELj4294967295EEENS1_25partition_config_selectorILNS1_17partition_subalgoE3EjNS0_10empty_typeEbEEZZNS1_14partition_implILS8_3ELb0ES6_jNS0_17counting_iteratorIjlEEPS9_SE_NS0_5tupleIJPjSE_EEENSF_IJSE_SE_EEES9_SG_JZNS1_25segmented_radix_sort_implINS0_14default_configELb1EPKhPhPKlPlN2at6native12_GLOBAL__N_18offset_tEEE10hipError_tPvRmT1_PNSt15iterator_traitsISY_E10value_typeET2_T3_PNSZ_IS14_E10value_typeET4_jRbjT5_S1A_jjP12ihipStream_tbEUljE_EEESV_SW_SX_S14_S18_S1A_T6_T7_T9_mT8_S1C_bDpT10_ENKUlT_T0_E_clISt17integral_constantIbLb1EES1P_EEDaS1K_S1L_EUlS1K_E_NS1_11comp_targetILNS1_3genE5ELNS1_11target_archE942ELNS1_3gpuE9ELNS1_3repE0EEENS1_30default_config_static_selectorELNS0_4arch9wavefront6targetE1EEEvSY_
                                        ; -- End function
	.section	.AMDGPU.csdata,"",@progbits
; Kernel info:
; codeLenInByte = 0
; NumSgprs: 4
; NumVgprs: 0
; NumAgprs: 0
; TotalNumVgprs: 0
; ScratchSize: 0
; MemoryBound: 0
; FloatMode: 240
; IeeeMode: 1
; LDSByteSize: 0 bytes/workgroup (compile time only)
; SGPRBlocks: 0
; VGPRBlocks: 0
; NumSGPRsForWavesPerEU: 4
; NumVGPRsForWavesPerEU: 1
; AccumOffset: 4
; Occupancy: 8
; WaveLimiterHint : 0
; COMPUTE_PGM_RSRC2:SCRATCH_EN: 0
; COMPUTE_PGM_RSRC2:USER_SGPR: 6
; COMPUTE_PGM_RSRC2:TRAP_HANDLER: 0
; COMPUTE_PGM_RSRC2:TGID_X_EN: 1
; COMPUTE_PGM_RSRC2:TGID_Y_EN: 0
; COMPUTE_PGM_RSRC2:TGID_Z_EN: 0
; COMPUTE_PGM_RSRC2:TIDIG_COMP_CNT: 0
; COMPUTE_PGM_RSRC3_GFX90A:ACCUM_OFFSET: 0
; COMPUTE_PGM_RSRC3_GFX90A:TG_SPLIT: 0
	.section	.text._ZN7rocprim17ROCPRIM_400000_NS6detail17trampoline_kernelINS0_13select_configILj256ELj13ELNS0_17block_load_methodE3ELS4_3ELS4_3ELNS0_20block_scan_algorithmE0ELj4294967295EEENS1_25partition_config_selectorILNS1_17partition_subalgoE3EjNS0_10empty_typeEbEEZZNS1_14partition_implILS8_3ELb0ES6_jNS0_17counting_iteratorIjlEEPS9_SE_NS0_5tupleIJPjSE_EEENSF_IJSE_SE_EEES9_SG_JZNS1_25segmented_radix_sort_implINS0_14default_configELb1EPKhPhPKlPlN2at6native12_GLOBAL__N_18offset_tEEE10hipError_tPvRmT1_PNSt15iterator_traitsISY_E10value_typeET2_T3_PNSZ_IS14_E10value_typeET4_jRbjT5_S1A_jjP12ihipStream_tbEUljE_EEESV_SW_SX_S14_S18_S1A_T6_T7_T9_mT8_S1C_bDpT10_ENKUlT_T0_E_clISt17integral_constantIbLb1EES1P_EEDaS1K_S1L_EUlS1K_E_NS1_11comp_targetILNS1_3genE4ELNS1_11target_archE910ELNS1_3gpuE8ELNS1_3repE0EEENS1_30default_config_static_selectorELNS0_4arch9wavefront6targetE1EEEvSY_,"axG",@progbits,_ZN7rocprim17ROCPRIM_400000_NS6detail17trampoline_kernelINS0_13select_configILj256ELj13ELNS0_17block_load_methodE3ELS4_3ELS4_3ELNS0_20block_scan_algorithmE0ELj4294967295EEENS1_25partition_config_selectorILNS1_17partition_subalgoE3EjNS0_10empty_typeEbEEZZNS1_14partition_implILS8_3ELb0ES6_jNS0_17counting_iteratorIjlEEPS9_SE_NS0_5tupleIJPjSE_EEENSF_IJSE_SE_EEES9_SG_JZNS1_25segmented_radix_sort_implINS0_14default_configELb1EPKhPhPKlPlN2at6native12_GLOBAL__N_18offset_tEEE10hipError_tPvRmT1_PNSt15iterator_traitsISY_E10value_typeET2_T3_PNSZ_IS14_E10value_typeET4_jRbjT5_S1A_jjP12ihipStream_tbEUljE_EEESV_SW_SX_S14_S18_S1A_T6_T7_T9_mT8_S1C_bDpT10_ENKUlT_T0_E_clISt17integral_constantIbLb1EES1P_EEDaS1K_S1L_EUlS1K_E_NS1_11comp_targetILNS1_3genE4ELNS1_11target_archE910ELNS1_3gpuE8ELNS1_3repE0EEENS1_30default_config_static_selectorELNS0_4arch9wavefront6targetE1EEEvSY_,comdat
	.globl	_ZN7rocprim17ROCPRIM_400000_NS6detail17trampoline_kernelINS0_13select_configILj256ELj13ELNS0_17block_load_methodE3ELS4_3ELS4_3ELNS0_20block_scan_algorithmE0ELj4294967295EEENS1_25partition_config_selectorILNS1_17partition_subalgoE3EjNS0_10empty_typeEbEEZZNS1_14partition_implILS8_3ELb0ES6_jNS0_17counting_iteratorIjlEEPS9_SE_NS0_5tupleIJPjSE_EEENSF_IJSE_SE_EEES9_SG_JZNS1_25segmented_radix_sort_implINS0_14default_configELb1EPKhPhPKlPlN2at6native12_GLOBAL__N_18offset_tEEE10hipError_tPvRmT1_PNSt15iterator_traitsISY_E10value_typeET2_T3_PNSZ_IS14_E10value_typeET4_jRbjT5_S1A_jjP12ihipStream_tbEUljE_EEESV_SW_SX_S14_S18_S1A_T6_T7_T9_mT8_S1C_bDpT10_ENKUlT_T0_E_clISt17integral_constantIbLb1EES1P_EEDaS1K_S1L_EUlS1K_E_NS1_11comp_targetILNS1_3genE4ELNS1_11target_archE910ELNS1_3gpuE8ELNS1_3repE0EEENS1_30default_config_static_selectorELNS0_4arch9wavefront6targetE1EEEvSY_ ; -- Begin function _ZN7rocprim17ROCPRIM_400000_NS6detail17trampoline_kernelINS0_13select_configILj256ELj13ELNS0_17block_load_methodE3ELS4_3ELS4_3ELNS0_20block_scan_algorithmE0ELj4294967295EEENS1_25partition_config_selectorILNS1_17partition_subalgoE3EjNS0_10empty_typeEbEEZZNS1_14partition_implILS8_3ELb0ES6_jNS0_17counting_iteratorIjlEEPS9_SE_NS0_5tupleIJPjSE_EEENSF_IJSE_SE_EEES9_SG_JZNS1_25segmented_radix_sort_implINS0_14default_configELb1EPKhPhPKlPlN2at6native12_GLOBAL__N_18offset_tEEE10hipError_tPvRmT1_PNSt15iterator_traitsISY_E10value_typeET2_T3_PNSZ_IS14_E10value_typeET4_jRbjT5_S1A_jjP12ihipStream_tbEUljE_EEESV_SW_SX_S14_S18_S1A_T6_T7_T9_mT8_S1C_bDpT10_ENKUlT_T0_E_clISt17integral_constantIbLb1EES1P_EEDaS1K_S1L_EUlS1K_E_NS1_11comp_targetILNS1_3genE4ELNS1_11target_archE910ELNS1_3gpuE8ELNS1_3repE0EEENS1_30default_config_static_selectorELNS0_4arch9wavefront6targetE1EEEvSY_
	.p2align	8
	.type	_ZN7rocprim17ROCPRIM_400000_NS6detail17trampoline_kernelINS0_13select_configILj256ELj13ELNS0_17block_load_methodE3ELS4_3ELS4_3ELNS0_20block_scan_algorithmE0ELj4294967295EEENS1_25partition_config_selectorILNS1_17partition_subalgoE3EjNS0_10empty_typeEbEEZZNS1_14partition_implILS8_3ELb0ES6_jNS0_17counting_iteratorIjlEEPS9_SE_NS0_5tupleIJPjSE_EEENSF_IJSE_SE_EEES9_SG_JZNS1_25segmented_radix_sort_implINS0_14default_configELb1EPKhPhPKlPlN2at6native12_GLOBAL__N_18offset_tEEE10hipError_tPvRmT1_PNSt15iterator_traitsISY_E10value_typeET2_T3_PNSZ_IS14_E10value_typeET4_jRbjT5_S1A_jjP12ihipStream_tbEUljE_EEESV_SW_SX_S14_S18_S1A_T6_T7_T9_mT8_S1C_bDpT10_ENKUlT_T0_E_clISt17integral_constantIbLb1EES1P_EEDaS1K_S1L_EUlS1K_E_NS1_11comp_targetILNS1_3genE4ELNS1_11target_archE910ELNS1_3gpuE8ELNS1_3repE0EEENS1_30default_config_static_selectorELNS0_4arch9wavefront6targetE1EEEvSY_,@function
_ZN7rocprim17ROCPRIM_400000_NS6detail17trampoline_kernelINS0_13select_configILj256ELj13ELNS0_17block_load_methodE3ELS4_3ELS4_3ELNS0_20block_scan_algorithmE0ELj4294967295EEENS1_25partition_config_selectorILNS1_17partition_subalgoE3EjNS0_10empty_typeEbEEZZNS1_14partition_implILS8_3ELb0ES6_jNS0_17counting_iteratorIjlEEPS9_SE_NS0_5tupleIJPjSE_EEENSF_IJSE_SE_EEES9_SG_JZNS1_25segmented_radix_sort_implINS0_14default_configELb1EPKhPhPKlPlN2at6native12_GLOBAL__N_18offset_tEEE10hipError_tPvRmT1_PNSt15iterator_traitsISY_E10value_typeET2_T3_PNSZ_IS14_E10value_typeET4_jRbjT5_S1A_jjP12ihipStream_tbEUljE_EEESV_SW_SX_S14_S18_S1A_T6_T7_T9_mT8_S1C_bDpT10_ENKUlT_T0_E_clISt17integral_constantIbLb1EES1P_EEDaS1K_S1L_EUlS1K_E_NS1_11comp_targetILNS1_3genE4ELNS1_11target_archE910ELNS1_3gpuE8ELNS1_3repE0EEENS1_30default_config_static_selectorELNS0_4arch9wavefront6targetE1EEEvSY_: ; @_ZN7rocprim17ROCPRIM_400000_NS6detail17trampoline_kernelINS0_13select_configILj256ELj13ELNS0_17block_load_methodE3ELS4_3ELS4_3ELNS0_20block_scan_algorithmE0ELj4294967295EEENS1_25partition_config_selectorILNS1_17partition_subalgoE3EjNS0_10empty_typeEbEEZZNS1_14partition_implILS8_3ELb0ES6_jNS0_17counting_iteratorIjlEEPS9_SE_NS0_5tupleIJPjSE_EEENSF_IJSE_SE_EEES9_SG_JZNS1_25segmented_radix_sort_implINS0_14default_configELb1EPKhPhPKlPlN2at6native12_GLOBAL__N_18offset_tEEE10hipError_tPvRmT1_PNSt15iterator_traitsISY_E10value_typeET2_T3_PNSZ_IS14_E10value_typeET4_jRbjT5_S1A_jjP12ihipStream_tbEUljE_EEESV_SW_SX_S14_S18_S1A_T6_T7_T9_mT8_S1C_bDpT10_ENKUlT_T0_E_clISt17integral_constantIbLb1EES1P_EEDaS1K_S1L_EUlS1K_E_NS1_11comp_targetILNS1_3genE4ELNS1_11target_archE910ELNS1_3gpuE8ELNS1_3repE0EEENS1_30default_config_static_selectorELNS0_4arch9wavefront6targetE1EEEvSY_
; %bb.0:
	s_load_dwordx2 s[28:29], s[4:5], 0x10
	s_load_dwordx2 s[24:25], s[4:5], 0x28
	;; [unrolled: 1-line block ×3, first 2 shown]
	s_load_dwordx4 s[20:23], s[4:5], 0x48
	s_load_dword s14, s[4:5], 0x90
	s_load_dwordx2 s[30:31], s[4:5], 0x68
	s_load_dwordx4 s[8:11], s[4:5], 0x80
	v_cmp_eq_u32_e64 s[0:1], 0, v0
	s_and_saveexec_b64 s[2:3], s[0:1]
	s_cbranch_execz .LBB59_4
; %bb.1:
	s_mov_b64 s[12:13], exec
	v_mbcnt_lo_u32_b32 v1, s12, 0
	v_mbcnt_hi_u32_b32 v1, s13, v1
	v_cmp_eq_u32_e32 vcc, 0, v1
                                        ; implicit-def: $vgpr2
	s_and_saveexec_b64 s[6:7], vcc
	s_cbranch_execz .LBB59_3
; %bb.2:
	s_load_dwordx2 s[16:17], s[4:5], 0x78
	s_bcnt1_i32_b64 s12, s[12:13]
	v_mov_b32_e32 v2, 0
	v_mov_b32_e32 v3, s12
	s_waitcnt lgkmcnt(0)
	global_atomic_add v2, v2, v3, s[16:17] glc
.LBB59_3:
	s_or_b64 exec, exec, s[6:7]
	s_waitcnt vmcnt(0)
	v_readfirstlane_b32 s6, v2
	v_add_u32_e32 v1, s6, v1
	v_mov_b32_e32 v2, 0
	ds_write_b32 v2, v1
.LBB59_4:
	s_or_b64 exec, exec, s[2:3]
	v_mov_b32_e32 v1, 0
	s_load_dword s2, s[4:5], 0x8
	s_load_dword s6, s[4:5], 0x70
	s_waitcnt lgkmcnt(0)
	s_barrier
	ds_read_b32 v2, v1
	s_waitcnt lgkmcnt(0)
	s_barrier
	global_load_dwordx2 v[20:21], v1, s[22:23]
	s_add_i32 s7, s2, s28
	s_movk_i32 s2, 0xd00
	s_add_i32 s4, s6, -1
	s_mulk_i32 s6, 0xd00
	v_mul_lo_u32 v1, v2, s2
	s_add_u32 s2, s28, s6
	v_readfirstlane_b32 s40, v2
	s_addc_u32 s3, s29, 0
	s_cmp_eq_u32 s40, s4
	v_pk_mov_b32 v[2:3], s[26:27], s[26:27] op_sel:[0,1]
	s_cselect_b64 s[22:23], -1, 0
	s_cmp_lg_u32 s40, s4
	v_cmp_lt_u64_e32 vcc, s[2:3], v[2:3]
	s_cselect_b64 s[2:3], -1, 0
	s_or_b64 s[4:5], vcc, s[2:3]
	v_add_u32_e32 v2, s7, v1
	s_mov_b64 s[2:3], -1
	s_and_b64 vcc, exec, s[4:5]
	v_add_u32_e32 v2, v2, v0
	v_lshlrev_b32_e32 v34, 2, v0
	s_cbranch_vccz .LBB59_6
; %bb.5:
	v_add_u32_e32 v3, 0x100, v2
	v_add_u32_e32 v4, 0x200, v2
	;; [unrolled: 1-line block ×12, first 2 shown]
	ds_write2st64_b32 v34, v2, v3 offset1:4
	ds_write2st64_b32 v34, v4, v5 offset0:8 offset1:12
	ds_write2st64_b32 v34, v6, v7 offset0:16 offset1:20
	ds_write2st64_b32 v34, v8, v9 offset0:24 offset1:28
	ds_write2st64_b32 v34, v10, v11 offset0:32 offset1:36
	ds_write2st64_b32 v34, v12, v13 offset0:40 offset1:44
	ds_write_b32 v34, v14 offset:12288
	s_waitcnt lgkmcnt(0)
	s_barrier
	s_mov_b64 s[2:3], 0
.LBB59_6:
	s_andn2_b64 vcc, exec, s[2:3]
	s_add_i32 s6, s6, s28
	s_cbranch_vccnz .LBB59_8
; %bb.7:
	v_add_u32_e32 v3, 0x100, v2
	v_add_u32_e32 v4, 0x200, v2
	;; [unrolled: 1-line block ×12, first 2 shown]
	ds_write2st64_b32 v34, v2, v3 offset1:4
	ds_write2st64_b32 v34, v4, v5 offset0:8 offset1:12
	ds_write2st64_b32 v34, v6, v7 offset0:16 offset1:20
	;; [unrolled: 1-line block ×5, first 2 shown]
	ds_write_b32 v34, v14 offset:12288
	s_waitcnt lgkmcnt(0)
	s_barrier
.LBB59_8:
	v_mul_u32_u24_e32 v36, 13, v0
	v_lshlrev_b32_e32 v2, 2, v36
	ds_read2_b32 v[32:33], v2 offset1:1
	ds_read2_b32 v[30:31], v2 offset0:2 offset1:3
	ds_read2_b32 v[28:29], v2 offset0:4 offset1:5
	ds_read2_b32 v[26:27], v2 offset0:6 offset1:7
	ds_read2_b32 v[24:25], v2 offset0:8 offset1:9
	ds_read2_b32 v[22:23], v2 offset0:10 offset1:11
	ds_read_b32 v35, v2 offset:48
	v_cndmask_b32_e64 v2, 0, 1, s[4:5]
	s_sub_i32 s33, s26, s6
	v_cmp_ne_u32_e64 s[2:3], 1, v2
	s_andn2_b64 vcc, exec, s[4:5]
	s_waitcnt lgkmcnt(0)
	s_barrier
	s_cbranch_vccnz .LBB59_10
; %bb.9:
	v_add_u32_e32 v2, s9, v32
	v_add_u32_e32 v3, s11, v32
	v_mul_lo_u32 v2, v2, s8
	v_mul_lo_u32 v3, v3, s10
	v_sub_u32_e32 v2, v2, v3
	v_add_u32_e32 v3, s9, v33
	v_add_u32_e32 v4, s11, v33
	v_mul_lo_u32 v3, v3, s8
	v_mul_lo_u32 v4, v4, s10
	v_sub_u32_e32 v3, v3, v4
	;; [unrolled: 5-line block ×6, first 2 shown]
	v_add_u32_e32 v8, s9, v26
	v_add_u32_e32 v9, s11, v26
	v_mul_lo_u32 v8, v8, s8
	v_mul_lo_u32 v9, v9, s10
	v_cmp_lt_u32_e32 vcc, s14, v2
	v_sub_u32_e32 v8, v8, v9
	v_add_u32_e32 v9, s9, v27
	v_add_u32_e32 v10, s11, v27
	v_cndmask_b32_e64 v2, 0, 1, vcc
	v_cmp_lt_u32_e32 vcc, s14, v3
	v_mul_lo_u32 v9, v9, s8
	v_mul_lo_u32 v10, v10, s10
	v_cndmask_b32_e64 v3, 0, 1, vcc
	v_cmp_lt_u32_e32 vcc, s14, v4
	v_sub_u32_e32 v9, v9, v10
	v_add_u32_e32 v10, s9, v24
	v_add_u32_e32 v11, s11, v24
	v_cndmask_b32_e64 v4, 0, 1, vcc
	v_cmp_lt_u32_e32 vcc, s14, v5
	v_mul_lo_u32 v10, v10, s8
	v_mul_lo_u32 v11, v11, s10
	v_cndmask_b32_e64 v5, 0, 1, vcc
	;; [unrolled: 9-line block ×4, first 2 shown]
	v_cmp_lt_u32_e32 vcc, s14, v10
	v_sub_u32_e32 v12, v12, v13
	v_add_u32_e32 v13, s9, v23
	v_add_u32_e32 v14, s11, v23
	v_lshlrev_b16_e32 v3, 8, v3
	v_cndmask_b32_e64 v10, 0, 1, vcc
	v_cmp_lt_u32_e32 vcc, s14, v11
	v_mul_lo_u32 v13, v13, s8
	v_mul_lo_u32 v14, v14, s10
	v_or_b32_e32 v2, v2, v3
	v_lshlrev_b16_e32 v3, 8, v5
	v_cndmask_b32_e64 v11, 0, 1, vcc
	v_cmp_lt_u32_e32 vcc, s14, v12
	v_sub_u32_e32 v13, v13, v14
	v_or_b32_sdwa v3, v4, v3 dst_sel:WORD_1 dst_unused:UNUSED_PAD src0_sel:DWORD src1_sel:DWORD
	v_cndmask_b32_e64 v12, 0, 1, vcc
	v_cmp_lt_u32_e32 vcc, s14, v13
	v_add_u32_e32 v14, s9, v35
	v_add_u32_e32 v15, s11, v35
	v_or_b32_sdwa v40, v2, v3 dst_sel:DWORD dst_unused:UNUSED_PAD src0_sel:WORD_0 src1_sel:DWORD
	v_lshlrev_b16_e32 v2, 8, v7
	v_lshlrev_b16_e32 v3, 8, v9
	v_cndmask_b32_e64 v13, 0, 1, vcc
	v_mul_lo_u32 v14, v14, s8
	v_mul_lo_u32 v15, v15, s10
	v_or_b32_e32 v2, v6, v2
	v_or_b32_sdwa v3, v8, v3 dst_sel:WORD_1 dst_unused:UNUSED_PAD src0_sel:DWORD src1_sel:DWORD
	v_sub_u32_e32 v14, v14, v15
	v_or_b32_sdwa v39, v2, v3 dst_sel:DWORD dst_unused:UNUSED_PAD src0_sel:WORD_0 src1_sel:DWORD
	v_lshlrev_b16_e32 v2, 8, v11
	v_lshlrev_b16_e32 v3, 8, v13
	v_cmp_lt_u32_e32 vcc, s14, v14
	v_or_b32_e32 v2, v10, v2
	v_or_b32_sdwa v3, v12, v3 dst_sel:WORD_1 dst_unused:UNUSED_PAD src0_sel:DWORD src1_sel:DWORD
	v_cndmask_b32_e64 v37, 0, 1, vcc
	v_or_b32_sdwa v38, v2, v3 dst_sel:DWORD dst_unused:UNUSED_PAD src0_sel:WORD_0 src1_sel:DWORD
	s_addk_i32 s33, 0xd00
	s_cbranch_execz .LBB59_11
	s_branch .LBB59_38
.LBB59_10:
                                        ; implicit-def: $vgpr37
                                        ; implicit-def: $vgpr38
                                        ; implicit-def: $vgpr39
                                        ; implicit-def: $vgpr40
	s_addk_i32 s33, 0xd00
.LBB59_11:
	v_cmp_gt_u32_e32 vcc, s33, v36
	v_mov_b32_e32 v3, 0
	v_mov_b32_e32 v2, 0
	s_and_saveexec_b64 s[4:5], vcc
; %bb.12:
	v_add_u32_e32 v2, s9, v32
	v_add_u32_e32 v4, s11, v32
	v_mul_lo_u32 v2, v2, s8
	v_mul_lo_u32 v4, v4, s10
	v_sub_u32_e32 v2, v2, v4
	v_cmp_lt_u32_e32 vcc, s14, v2
	v_cndmask_b32_e64 v2, 0, 1, vcc
; %bb.13:
	s_or_b64 exec, exec, s[4:5]
	v_add_u32_e32 v4, 1, v36
	v_cmp_gt_u32_e32 vcc, s33, v4
	s_and_saveexec_b64 s[4:5], vcc
; %bb.14:
	v_add_u32_e32 v3, s9, v33
	v_add_u32_e32 v4, s11, v33
	v_mul_lo_u32 v3, v3, s8
	v_mul_lo_u32 v4, v4, s10
	v_sub_u32_e32 v3, v3, v4
	v_cmp_lt_u32_e32 vcc, s14, v3
	v_cndmask_b32_e64 v3, 0, 1, vcc
; %bb.15:
	s_or_b64 exec, exec, s[4:5]
	v_add_u32_e32 v4, 2, v36
	v_cmp_gt_u32_e32 vcc, s33, v4
	v_mov_b32_e32 v5, 0
	v_mov_b32_e32 v4, 0
	s_and_saveexec_b64 s[4:5], vcc
; %bb.16:
	v_add_u32_e32 v4, s9, v30
	v_add_u32_e32 v6, s11, v30
	v_mul_lo_u32 v4, v4, s8
	v_mul_lo_u32 v6, v6, s10
	v_sub_u32_e32 v4, v4, v6
	v_cmp_lt_u32_e32 vcc, s14, v4
	v_cndmask_b32_e64 v4, 0, 1, vcc
; %bb.17:
	s_or_b64 exec, exec, s[4:5]
	v_add_u32_e32 v6, 3, v36
	v_cmp_gt_u32_e32 vcc, s33, v6
	s_and_saveexec_b64 s[4:5], vcc
; %bb.18:
	v_add_u32_e32 v5, s9, v31
	v_add_u32_e32 v6, s11, v31
	v_mul_lo_u32 v5, v5, s8
	v_mul_lo_u32 v6, v6, s10
	v_sub_u32_e32 v5, v5, v6
	v_cmp_lt_u32_e32 vcc, s14, v5
	v_cndmask_b32_e64 v5, 0, 1, vcc
; %bb.19:
	s_or_b64 exec, exec, s[4:5]
	v_add_u32_e32 v6, 4, v36
	;; [unrolled: 28-line block ×6, first 2 shown]
	v_cmp_gt_u32_e32 vcc, s33, v14
	v_mov_b32_e32 v37, 0
	s_and_saveexec_b64 s[4:5], vcc
; %bb.36:
	v_add_u32_e32 v14, s9, v35
	v_add_u32_e32 v15, s11, v35
	v_mul_lo_u32 v14, v14, s8
	v_mul_lo_u32 v15, v15, s10
	v_sub_u32_e32 v14, v14, v15
	v_cmp_lt_u32_e32 vcc, s14, v14
	v_cndmask_b32_e64 v37, 0, 1, vcc
; %bb.37:
	s_or_b64 exec, exec, s[4:5]
	v_lshlrev_b16_e32 v3, 8, v3
	v_or_b32_e32 v2, v2, v3
	v_lshlrev_b16_e32 v3, 8, v5
	v_or_b32_sdwa v3, v4, v3 dst_sel:WORD_1 dst_unused:UNUSED_PAD src0_sel:DWORD src1_sel:DWORD
	v_or_b32_sdwa v40, v2, v3 dst_sel:DWORD dst_unused:UNUSED_PAD src0_sel:WORD_0 src1_sel:DWORD
	v_lshlrev_b16_e32 v2, 8, v7
	v_lshlrev_b16_e32 v3, 8, v9
	v_or_b32_e32 v2, v6, v2
	v_or_b32_sdwa v3, v8, v3 dst_sel:WORD_1 dst_unused:UNUSED_PAD src0_sel:DWORD src1_sel:DWORD
	v_or_b32_sdwa v39, v2, v3 dst_sel:DWORD dst_unused:UNUSED_PAD src0_sel:WORD_0 src1_sel:DWORD
	v_lshlrev_b16_e32 v2, 8, v11
	v_lshlrev_b16_e32 v3, 8, v13
	v_or_b32_e32 v2, v10, v2
	v_or_b32_sdwa v3, v12, v3 dst_sel:WORD_1 dst_unused:UNUSED_PAD src0_sel:DWORD src1_sel:DWORD
	v_or_b32_sdwa v38, v2, v3 dst_sel:DWORD dst_unused:UNUSED_PAD src0_sel:WORD_0 src1_sel:DWORD
.LBB59_38:
	v_and_b32_e32 v44, 0xff, v40
	v_bfe_u32 v45, v40, 8, 8
	v_bfe_u32 v46, v40, 16, 8
	v_lshrrev_b32_e32 v43, 24, v40
	v_and_b32_e32 v47, 0xff, v39
	v_add3_u32 v3, v45, v44, v46
	v_bfe_u32 v48, v39, 8, 8
	v_bfe_u32 v49, v39, 16, 8
	v_add3_u32 v3, v3, v43, v47
	v_lshrrev_b32_e32 v42, 24, v39
	v_and_b32_e32 v50, 0xff, v38
	v_add3_u32 v3, v3, v48, v49
	v_bfe_u32 v51, v38, 8, 8
	v_bfe_u32 v52, v38, 16, 8
	v_add3_u32 v3, v3, v42, v50
	v_lshrrev_b32_e32 v41, 24, v38
	v_and_b32_e32 v2, 0xff, v37
	v_add3_u32 v3, v3, v51, v52
	v_add3_u32 v55, v3, v41, v2
	v_mbcnt_lo_u32_b32 v2, -1, 0
	v_mbcnt_hi_u32_b32 v53, -1, v2
	v_and_b32_e32 v2, 15, v53
	v_cmp_eq_u32_e64 s[16:17], 0, v2
	v_cmp_lt_u32_e64 s[14:15], 1, v2
	v_cmp_lt_u32_e64 s[12:13], 3, v2
	;; [unrolled: 1-line block ×3, first 2 shown]
	v_and_b32_e32 v2, 16, v53
	v_cmp_eq_u32_e64 s[8:9], 0, v2
	v_or_b32_e32 v2, 63, v0
	s_cmp_lg_u32 s40, 0
	v_cmp_lt_u32_e64 s[4:5], 31, v53
	v_lshrrev_b32_e32 v54, 6, v0
	v_cmp_eq_u32_e64 s[6:7], v2, v0
	s_cbranch_scc0 .LBB59_69
; %bb.39:
	v_mov_b32_dpp v2, v55 row_shr:1 row_mask:0xf bank_mask:0xf
	v_cndmask_b32_e64 v2, v2, 0, s[16:17]
	v_add_u32_e32 v2, v2, v55
	s_nop 1
	v_mov_b32_dpp v3, v2 row_shr:2 row_mask:0xf bank_mask:0xf
	v_cndmask_b32_e64 v3, 0, v3, s[14:15]
	v_add_u32_e32 v2, v2, v3
	s_nop 1
	;; [unrolled: 4-line block ×4, first 2 shown]
	v_mov_b32_dpp v3, v2 row_bcast:15 row_mask:0xf bank_mask:0xf
	v_cndmask_b32_e64 v3, v3, 0, s[8:9]
	v_add_u32_e32 v2, v2, v3
	s_nop 1
	v_mov_b32_dpp v3, v2 row_bcast:31 row_mask:0xf bank_mask:0xf
	v_cndmask_b32_e64 v3, 0, v3, s[4:5]
	v_add_u32_e32 v2, v2, v3
	s_and_saveexec_b64 s[18:19], s[6:7]
	s_cbranch_execz .LBB59_41
; %bb.40:
	v_lshlrev_b32_e32 v3, 2, v54
	ds_write_b32 v3, v2
.LBB59_41:
	s_or_b64 exec, exec, s[18:19]
	v_cmp_gt_u32_e32 vcc, 4, v0
	s_waitcnt lgkmcnt(0)
	s_barrier
	s_and_saveexec_b64 s[18:19], vcc
	s_cbranch_execz .LBB59_43
; %bb.42:
	ds_read_b32 v3, v34
	v_and_b32_e32 v4, 3, v53
	v_cmp_ne_u32_e32 vcc, 0, v4
	s_waitcnt lgkmcnt(0)
	v_mov_b32_dpp v5, v3 row_shr:1 row_mask:0xf bank_mask:0xf
	v_cndmask_b32_e32 v5, 0, v5, vcc
	v_add_u32_e32 v3, v5, v3
	v_cmp_lt_u32_e32 vcc, 1, v4
	s_nop 0
	v_mov_b32_dpp v5, v3 row_shr:2 row_mask:0xf bank_mask:0xf
	v_cndmask_b32_e32 v4, 0, v5, vcc
	v_add_u32_e32 v3, v3, v4
	ds_write_b32 v34, v3
.LBB59_43:
	s_or_b64 exec, exec, s[18:19]
	v_cmp_gt_u32_e32 vcc, 64, v0
	v_cmp_lt_u32_e64 s[18:19], 63, v0
	s_waitcnt lgkmcnt(0)
	s_barrier
	s_waitcnt lgkmcnt(0)
                                        ; implicit-def: $vgpr12
	s_and_saveexec_b64 s[34:35], s[18:19]
	s_cbranch_execz .LBB59_45
; %bb.44:
	v_lshl_add_u32 v3, v54, 2, -4
	ds_read_b32 v12, v3
	s_waitcnt lgkmcnt(0)
	v_add_u32_e32 v2, v12, v2
.LBB59_45:
	s_or_b64 exec, exec, s[34:35]
	v_add_u32_e32 v3, -1, v53
	v_and_b32_e32 v4, 64, v53
	v_cmp_lt_i32_e64 s[18:19], v3, v4
	v_cndmask_b32_e64 v3, v3, v53, s[18:19]
	v_lshlrev_b32_e32 v3, 2, v3
	ds_bpermute_b32 v13, v3, v2
	v_cmp_eq_u32_e64 s[18:19], 0, v53
	s_and_saveexec_b64 s[34:35], vcc
	s_cbranch_execz .LBB59_68
; %bb.46:
	v_mov_b32_e32 v11, 0
	ds_read_b32 v2, v11 offset:12
	s_and_saveexec_b64 s[36:37], s[18:19]
	s_cbranch_execz .LBB59_48
; %bb.47:
	s_add_i32 s38, s40, 64
	s_mov_b32 s39, 0
	s_lshl_b64 s[38:39], s[38:39], 3
	s_add_u32 s38, s30, s38
	v_mov_b32_e32 v3, 1
	s_addc_u32 s39, s31, s39
	s_waitcnt lgkmcnt(0)
	global_store_dwordx2 v11, v[2:3], s[38:39]
.LBB59_48:
	s_or_b64 exec, exec, s[36:37]
	v_xad_u32 v4, v53, -1, s40
	v_add_u32_e32 v10, 64, v4
	v_lshlrev_b64 v[6:7], 3, v[10:11]
	v_mov_b32_e32 v3, s31
	v_add_co_u32_e32 v6, vcc, s30, v6
	v_addc_co_u32_e32 v7, vcc, v3, v7, vcc
	global_load_dwordx2 v[8:9], v[6:7], off glc
	s_waitcnt vmcnt(0)
	v_cmp_eq_u16_sdwa s[38:39], v9, v11 src0_sel:BYTE_0 src1_sel:DWORD
	s_and_saveexec_b64 s[36:37], s[38:39]
	s_cbranch_execz .LBB59_54
; %bb.49:
	s_mov_b32 s41, 1
	s_mov_b64 s[38:39], 0
	v_mov_b32_e32 v3, 0
.LBB59_50:                              ; =>This Loop Header: Depth=1
                                        ;     Child Loop BB59_51 Depth 2
	s_max_u32 s42, s41, 1
.LBB59_51:                              ;   Parent Loop BB59_50 Depth=1
                                        ; =>  This Inner Loop Header: Depth=2
	s_add_i32 s42, s42, -1
	s_cmp_eq_u32 s42, 0
	s_sleep 1
	s_cbranch_scc0 .LBB59_51
; %bb.52:                               ;   in Loop: Header=BB59_50 Depth=1
	global_load_dwordx2 v[8:9], v[6:7], off glc
	s_cmp_lt_u32 s41, 32
	s_cselect_b64 s[42:43], -1, 0
	s_cmp_lg_u64 s[42:43], 0
	s_addc_u32 s41, s41, 0
	s_waitcnt vmcnt(0)
	v_cmp_ne_u16_sdwa s[42:43], v9, v3 src0_sel:BYTE_0 src1_sel:DWORD
	s_or_b64 s[38:39], s[42:43], s[38:39]
	s_andn2_b64 exec, exec, s[38:39]
	s_cbranch_execnz .LBB59_50
; %bb.53:
	s_or_b64 exec, exec, s[38:39]
.LBB59_54:
	s_or_b64 exec, exec, s[36:37]
	v_and_b32_e32 v14, 63, v53
	v_mov_b32_e32 v3, 2
	v_cmp_ne_u32_e32 vcc, 63, v14
	v_cmp_eq_u16_sdwa s[36:37], v9, v3 src0_sel:BYTE_0 src1_sel:DWORD
	v_lshlrev_b64 v[6:7], v53, -1
	v_addc_co_u32_e32 v11, vcc, 0, v53, vcc
	v_and_b32_e32 v5, s37, v7
	v_lshlrev_b32_e32 v15, 2, v11
	v_or_b32_e32 v5, 0x80000000, v5
	ds_bpermute_b32 v11, v15, v8
	v_and_b32_e32 v10, s36, v6
	v_ffbl_b32_e32 v5, v5
	v_add_u32_e32 v5, 32, v5
	v_ffbl_b32_e32 v10, v10
	v_min_u32_e32 v5, v10, v5
	v_cmp_lt_u32_e32 vcc, v14, v5
	s_waitcnt lgkmcnt(0)
	v_cndmask_b32_e32 v10, 0, v11, vcc
	v_cmp_gt_u32_e32 vcc, 62, v14
	v_add_u32_e32 v8, v10, v8
	v_cndmask_b32_e64 v10, 0, 1, vcc
	v_lshlrev_b32_e32 v10, 1, v10
	v_add_lshl_u32 v16, v10, v53, 2
	ds_bpermute_b32 v10, v16, v8
	v_add_u32_e32 v17, 2, v14
	v_cmp_le_u32_e32 vcc, v17, v5
	v_add_u32_e32 v19, 4, v14
	v_add_u32_e32 v57, 8, v14
	s_waitcnt lgkmcnt(0)
	v_cndmask_b32_e32 v10, 0, v10, vcc
	v_cmp_gt_u32_e32 vcc, 60, v14
	v_add_u32_e32 v8, v8, v10
	v_cndmask_b32_e64 v10, 0, 1, vcc
	v_lshlrev_b32_e32 v10, 2, v10
	v_add_lshl_u32 v18, v10, v53, 2
	ds_bpermute_b32 v10, v18, v8
	v_cmp_le_u32_e32 vcc, v19, v5
	v_add_u32_e32 v60, 16, v14
	v_add_u32_e32 v62, 32, v14
	s_waitcnt lgkmcnt(0)
	v_cndmask_b32_e32 v10, 0, v10, vcc
	v_cmp_gt_u32_e32 vcc, 56, v14
	v_add_u32_e32 v8, v8, v10
	v_cndmask_b32_e64 v10, 0, 1, vcc
	v_lshlrev_b32_e32 v10, 3, v10
	v_add_lshl_u32 v56, v10, v53, 2
	ds_bpermute_b32 v10, v56, v8
	v_cmp_le_u32_e32 vcc, v57, v5
	s_waitcnt lgkmcnt(0)
	v_cndmask_b32_e32 v10, 0, v10, vcc
	v_cmp_gt_u32_e32 vcc, 48, v14
	v_add_u32_e32 v8, v8, v10
	v_cndmask_b32_e64 v10, 0, 1, vcc
	v_lshlrev_b32_e32 v10, 4, v10
	v_add_lshl_u32 v59, v10, v53, 2
	ds_bpermute_b32 v10, v59, v8
	v_cmp_le_u32_e32 vcc, v60, v5
	;; [unrolled: 9-line block ×3, first 2 shown]
	s_waitcnt lgkmcnt(0)
	v_cndmask_b32_e32 v5, 0, v10, vcc
	v_add_u32_e32 v8, v8, v5
	v_mov_b32_e32 v5, 0
	s_branch .LBB59_56
.LBB59_55:                              ;   in Loop: Header=BB59_56 Depth=1
	s_or_b64 exec, exec, s[36:37]
	v_cmp_eq_u16_sdwa s[36:37], v9, v3 src0_sel:BYTE_0 src1_sel:DWORD
	v_and_b32_e32 v10, s37, v7
	v_or_b32_e32 v10, 0x80000000, v10
	ds_bpermute_b32 v63, v15, v8
	v_and_b32_e32 v11, s36, v6
	v_ffbl_b32_e32 v10, v10
	v_add_u32_e32 v10, 32, v10
	v_ffbl_b32_e32 v11, v11
	v_min_u32_e32 v10, v11, v10
	v_cmp_lt_u32_e32 vcc, v14, v10
	s_waitcnt lgkmcnt(0)
	v_cndmask_b32_e32 v11, 0, v63, vcc
	v_add_u32_e32 v8, v11, v8
	ds_bpermute_b32 v11, v16, v8
	v_cmp_le_u32_e32 vcc, v17, v10
	v_subrev_u32_e32 v4, 64, v4
	s_waitcnt lgkmcnt(0)
	v_cndmask_b32_e32 v11, 0, v11, vcc
	v_add_u32_e32 v8, v8, v11
	ds_bpermute_b32 v11, v18, v8
	v_cmp_le_u32_e32 vcc, v19, v10
	s_waitcnt lgkmcnt(0)
	v_cndmask_b32_e32 v11, 0, v11, vcc
	v_add_u32_e32 v8, v8, v11
	ds_bpermute_b32 v11, v56, v8
	v_cmp_le_u32_e32 vcc, v57, v10
	;; [unrolled: 5-line block ×4, first 2 shown]
	s_waitcnt lgkmcnt(0)
	v_cndmask_b32_e32 v10, 0, v11, vcc
	v_add3_u32 v8, v10, v58, v8
.LBB59_56:                              ; =>This Loop Header: Depth=1
                                        ;     Child Loop BB59_59 Depth 2
                                        ;       Child Loop BB59_60 Depth 3
	v_cmp_ne_u16_sdwa s[36:37], v9, v3 src0_sel:BYTE_0 src1_sel:DWORD
	v_cndmask_b32_e64 v9, 0, 1, s[36:37]
	;;#ASMSTART
	;;#ASMEND
	v_cmp_ne_u32_e32 vcc, 0, v9
	s_cmp_lg_u64 vcc, exec
	v_mov_b32_e32 v58, v8
	s_cbranch_scc1 .LBB59_63
; %bb.57:                               ;   in Loop: Header=BB59_56 Depth=1
	v_lshlrev_b64 v[8:9], 3, v[4:5]
	v_mov_b32_e32 v11, s31
	v_add_co_u32_e32 v10, vcc, s30, v8
	v_addc_co_u32_e32 v11, vcc, v11, v9, vcc
	global_load_dwordx2 v[8:9], v[10:11], off glc
	s_waitcnt vmcnt(0)
	v_cmp_eq_u16_sdwa s[38:39], v9, v5 src0_sel:BYTE_0 src1_sel:DWORD
	s_and_saveexec_b64 s[36:37], s[38:39]
	s_cbranch_execz .LBB59_55
; %bb.58:                               ;   in Loop: Header=BB59_56 Depth=1
	s_mov_b32 s41, 1
	s_mov_b64 s[38:39], 0
.LBB59_59:                              ;   Parent Loop BB59_56 Depth=1
                                        ; =>  This Loop Header: Depth=2
                                        ;       Child Loop BB59_60 Depth 3
	s_max_u32 s42, s41, 1
.LBB59_60:                              ;   Parent Loop BB59_56 Depth=1
                                        ;     Parent Loop BB59_59 Depth=2
                                        ; =>    This Inner Loop Header: Depth=3
	s_add_i32 s42, s42, -1
	s_cmp_eq_u32 s42, 0
	s_sleep 1
	s_cbranch_scc0 .LBB59_60
; %bb.61:                               ;   in Loop: Header=BB59_59 Depth=2
	global_load_dwordx2 v[8:9], v[10:11], off glc
	s_cmp_lt_u32 s41, 32
	s_cselect_b64 s[42:43], -1, 0
	s_cmp_lg_u64 s[42:43], 0
	s_addc_u32 s41, s41, 0
	s_waitcnt vmcnt(0)
	v_cmp_ne_u16_sdwa s[42:43], v9, v5 src0_sel:BYTE_0 src1_sel:DWORD
	s_or_b64 s[38:39], s[42:43], s[38:39]
	s_andn2_b64 exec, exec, s[38:39]
	s_cbranch_execnz .LBB59_59
; %bb.62:                               ;   in Loop: Header=BB59_56 Depth=1
	s_or_b64 exec, exec, s[38:39]
	s_branch .LBB59_55
.LBB59_63:                              ;   in Loop: Header=BB59_56 Depth=1
                                        ; implicit-def: $vgpr8
                                        ; implicit-def: $vgpr9
	s_cbranch_execz .LBB59_56
; %bb.64:
	s_and_saveexec_b64 s[36:37], s[18:19]
	s_cbranch_execz .LBB59_66
; %bb.65:
	s_add_i32 s38, s40, 64
	s_mov_b32 s39, 0
	s_lshl_b64 s[38:39], s[38:39], 3
	s_add_u32 s38, s30, s38
	v_add_u32_e32 v4, v58, v2
	v_mov_b32_e32 v5, 2
	s_addc_u32 s39, s31, s39
	v_mov_b32_e32 v3, 0
	global_store_dwordx2 v3, v[4:5], s[38:39]
	s_movk_i32 s38, 0x3400
	v_add_u32_e64 v3, s38, 0
	ds_write2_b32 v3, v2, v58 offset1:2
.LBB59_66:
	s_or_b64 exec, exec, s[36:37]
	s_and_b64 exec, exec, s[0:1]
	s_cbranch_execz .LBB59_68
; %bb.67:
	v_mov_b32_e32 v2, 0
	ds_write_b32 v2, v58 offset:12
.LBB59_68:
	s_or_b64 exec, exec, s[34:35]
	v_mov_b32_e32 v2, 0
	s_waitcnt lgkmcnt(0)
	s_barrier
	ds_read_b32 v2, v2 offset:12
	v_cndmask_b32_e64 v3, v13, v12, s[18:19]
	v_cndmask_b32_e64 v3, v3, 0, s[0:1]
	s_movk_i32 s18, 0x3400
	v_add_u32_e64 v12, s18, 0
	s_waitcnt lgkmcnt(0)
	v_add_u32_e32 v2, v2, v3
	v_add_u32_e32 v3, v2, v44
	;; [unrolled: 1-line block ×9, first 2 shown]
	s_barrier
	ds_read2_b32 v[18:19], v12 offset1:2
	v_add_u32_e32 v11, v10, v50
	v_add_u32_e32 v12, v11, v51
	;; [unrolled: 1-line block ×4, first 2 shown]
	s_branch .LBB59_79
.LBB59_69:
                                        ; implicit-def: $vgpr19
                                        ; implicit-def: $vgpr2_vgpr3_vgpr4_vgpr5_vgpr6_vgpr7_vgpr8_vgpr9_vgpr10_vgpr11_vgpr12_vgpr13_vgpr14_vgpr15_vgpr16_vgpr17
	s_cbranch_execz .LBB59_79
; %bb.70:
	s_nop 0
	v_mov_b32_dpp v2, v55 row_shr:1 row_mask:0xf bank_mask:0xf
	v_cndmask_b32_e64 v2, v2, 0, s[16:17]
	v_add_u32_e32 v2, v2, v55
	s_nop 1
	v_mov_b32_dpp v3, v2 row_shr:2 row_mask:0xf bank_mask:0xf
	v_cndmask_b32_e64 v3, 0, v3, s[14:15]
	v_add_u32_e32 v2, v2, v3
	;; [unrolled: 4-line block ×4, first 2 shown]
	s_nop 1
	v_mov_b32_dpp v3, v2 row_bcast:15 row_mask:0xf bank_mask:0xf
	v_cndmask_b32_e64 v3, v3, 0, s[8:9]
	v_add_u32_e32 v2, v2, v3
	s_nop 1
	v_mov_b32_dpp v3, v2 row_bcast:31 row_mask:0xf bank_mask:0xf
	v_cndmask_b32_e64 v3, 0, v3, s[4:5]
	v_add_u32_e32 v2, v2, v3
	s_and_saveexec_b64 s[4:5], s[6:7]
	s_cbranch_execz .LBB59_72
; %bb.71:
	v_lshlrev_b32_e32 v3, 2, v54
	ds_write_b32 v3, v2
.LBB59_72:
	s_or_b64 exec, exec, s[4:5]
	v_cmp_gt_u32_e32 vcc, 4, v0
	s_waitcnt lgkmcnt(0)
	s_barrier
	s_and_saveexec_b64 s[4:5], vcc
	s_cbranch_execz .LBB59_74
; %bb.73:
	ds_read_b32 v3, v34
	v_and_b32_e32 v4, 3, v53
	v_cmp_ne_u32_e32 vcc, 0, v4
	s_waitcnt lgkmcnt(0)
	v_mov_b32_dpp v5, v3 row_shr:1 row_mask:0xf bank_mask:0xf
	v_cndmask_b32_e32 v5, 0, v5, vcc
	v_add_u32_e32 v3, v5, v3
	v_cmp_lt_u32_e32 vcc, 1, v4
	s_nop 0
	v_mov_b32_dpp v5, v3 row_shr:2 row_mask:0xf bank_mask:0xf
	v_cndmask_b32_e32 v4, 0, v5, vcc
	v_add_u32_e32 v3, v3, v4
	ds_write_b32 v34, v3
.LBB59_74:
	s_or_b64 exec, exec, s[4:5]
	v_cmp_lt_u32_e32 vcc, 63, v0
	v_mov_b32_e32 v4, 0
	v_mov_b32_e32 v3, 0
	s_waitcnt lgkmcnt(0)
	s_barrier
	s_and_saveexec_b64 s[4:5], vcc
	s_cbranch_execz .LBB59_76
; %bb.75:
	v_lshl_add_u32 v3, v54, 2, -4
	ds_read_b32 v3, v3
.LBB59_76:
	s_or_b64 exec, exec, s[4:5]
	v_add_u32_e32 v5, -1, v53
	v_and_b32_e32 v6, 64, v53
	v_cmp_lt_i32_e32 vcc, v5, v6
	v_cndmask_b32_e32 v5, v5, v53, vcc
	s_waitcnt lgkmcnt(0)
	v_add_u32_e32 v2, v3, v2
	v_lshlrev_b32_e32 v5, 2, v5
	ds_bpermute_b32 v2, v5, v2
	ds_read_b32 v18, v4 offset:12
	s_and_saveexec_b64 s[4:5], s[0:1]
	s_cbranch_execz .LBB59_78
; %bb.77:
	v_mov_b32_e32 v4, 0
	v_mov_b32_e32 v19, 2
	s_waitcnt lgkmcnt(0)
	global_store_dwordx2 v4, v[18:19], s[30:31] offset:512
.LBB59_78:
	s_or_b64 exec, exec, s[4:5]
	v_cmp_eq_u32_e32 vcc, 0, v53
	s_waitcnt lgkmcnt(1)
	v_cndmask_b32_e32 v2, v2, v3, vcc
	v_cndmask_b32_e64 v2, v2, 0, s[0:1]
	v_add_u32_e32 v3, v2, v44
	v_add_u32_e32 v4, v3, v45
	;; [unrolled: 1-line block ×11, first 2 shown]
	v_mov_b32_e32 v19, 0
	v_add_u32_e32 v14, v13, v41
	s_waitcnt lgkmcnt(0)
	s_barrier
.LBB59_79:
	s_waitcnt lgkmcnt(0)
	v_add_u32_e32 v36, v18, v36
	v_sub_u32_e32 v2, v2, v19
	v_and_b32_e32 v45, 1, v40
	v_sub_u32_e32 v44, v36, v2
	v_cmp_eq_u32_e32 vcc, 1, v45
	v_cndmask_b32_e32 v2, v44, v2, vcc
	v_lshlrev_b32_e32 v2, 2, v2
	v_lshrrev_b32_e32 v17, 8, v40
	ds_write_b32 v2, v32
	v_sub_u32_e32 v2, v3, v19
	v_sub_u32_e32 v3, v36, v2
	v_and_b32_e32 v17, 1, v17
	v_add_u32_e32 v3, 1, v3
	v_cmp_eq_u32_e32 vcc, 1, v17
	v_cndmask_b32_e32 v2, v3, v2, vcc
	v_lshlrev_b32_e32 v2, 2, v2
	ds_write_b32 v2, v33
	v_sub_u32_e32 v2, v4, v19
	v_mov_b32_e32 v4, 1
	v_sub_u32_e32 v3, v36, v2
	v_and_b32_sdwa v17, v4, v40 dst_sel:DWORD dst_unused:UNUSED_PAD src0_sel:DWORD src1_sel:WORD_1
	v_add_u32_e32 v3, 2, v3
	v_cmp_eq_u32_e32 vcc, 1, v17
	v_cndmask_b32_e32 v2, v3, v2, vcc
	v_lshlrev_b32_e32 v2, 2, v2
	ds_write_b32 v2, v30
	v_sub_u32_e32 v2, v5, v19
	v_sub_u32_e32 v3, v36, v2
	v_and_b32_e32 v5, 1, v43
	v_add_u32_e32 v3, 3, v3
	v_cmp_eq_u32_e32 vcc, 1, v5
	v_cndmask_b32_e32 v2, v3, v2, vcc
	v_lshlrev_b32_e32 v2, 2, v2
	ds_write_b32 v2, v31
	v_sub_u32_e32 v2, v6, v19
	v_sub_u32_e32 v3, v36, v2
	v_and_b32_e32 v5, 1, v39
	v_add_u32_e32 v3, 4, v3
	v_cmp_eq_u32_e32 vcc, 1, v5
	v_cndmask_b32_e32 v2, v3, v2, vcc
	v_lshlrev_b32_e32 v2, 2, v2
	v_lshrrev_b32_e32 v16, 8, v39
	ds_write_b32 v2, v28
	v_sub_u32_e32 v2, v7, v19
	v_sub_u32_e32 v3, v36, v2
	v_and_b32_e32 v5, 1, v16
	v_add_u32_e32 v3, 5, v3
	v_cmp_eq_u32_e32 vcc, 1, v5
	v_cndmask_b32_e32 v2, v3, v2, vcc
	v_lshlrev_b32_e32 v2, 2, v2
	ds_write_b32 v2, v29
	v_sub_u32_e32 v2, v8, v19
	v_sub_u32_e32 v3, v36, v2
	v_and_b32_sdwa v5, v4, v39 dst_sel:DWORD dst_unused:UNUSED_PAD src0_sel:DWORD src1_sel:WORD_1
	v_add_u32_e32 v3, 6, v3
	v_cmp_eq_u32_e32 vcc, 1, v5
	v_cndmask_b32_e32 v2, v3, v2, vcc
	v_lshlrev_b32_e32 v2, 2, v2
	ds_write_b32 v2, v26
	v_sub_u32_e32 v2, v9, v19
	v_sub_u32_e32 v3, v36, v2
	v_and_b32_e32 v5, 1, v42
	v_add_u32_e32 v3, 7, v3
	v_cmp_eq_u32_e32 vcc, 1, v5
	v_cndmask_b32_e32 v2, v3, v2, vcc
	v_lshlrev_b32_e32 v2, 2, v2
	ds_write_b32 v2, v27
	v_sub_u32_e32 v2, v10, v19
	v_sub_u32_e32 v3, v36, v2
	v_and_b32_e32 v5, 1, v38
	v_add_u32_e32 v3, 8, v3
	v_cmp_eq_u32_e32 vcc, 1, v5
	v_cndmask_b32_e32 v2, v3, v2, vcc
	v_lshlrev_b32_e32 v2, 2, v2
	v_lshrrev_b32_e32 v15, 8, v38
	ds_write_b32 v2, v24
	v_sub_u32_e32 v2, v11, v19
	v_sub_u32_e32 v3, v36, v2
	v_and_b32_e32 v5, 1, v15
	v_add_u32_e32 v3, 9, v3
	v_cmp_eq_u32_e32 vcc, 1, v5
	v_cndmask_b32_e32 v2, v3, v2, vcc
	v_lshlrev_b32_e32 v2, 2, v2
	ds_write_b32 v2, v25
	v_sub_u32_e32 v2, v12, v19
	v_sub_u32_e32 v3, v36, v2
	v_and_b32_sdwa v4, v4, v38 dst_sel:DWORD dst_unused:UNUSED_PAD src0_sel:DWORD src1_sel:WORD_1
	v_add_u32_e32 v3, 10, v3
	v_cmp_eq_u32_e32 vcc, 1, v4
	v_cndmask_b32_e32 v2, v3, v2, vcc
	v_lshlrev_b32_e32 v2, 2, v2
	ds_write_b32 v2, v22
	v_sub_u32_e32 v2, v13, v19
	v_sub_u32_e32 v3, v36, v2
	v_and_b32_e32 v4, 1, v41
	v_add_u32_e32 v3, 11, v3
	v_cmp_eq_u32_e32 vcc, 1, v4
	v_cndmask_b32_e32 v2, v3, v2, vcc
	v_lshlrev_b32_e32 v2, 2, v2
	ds_write_b32 v2, v23
	v_sub_u32_e32 v2, v14, v19
	v_sub_u32_e32 v3, v36, v2
	v_and_b32_e32 v4, 1, v37
	v_add_u32_e32 v3, 12, v3
	v_cmp_eq_u32_e32 vcc, 1, v4
	v_cndmask_b32_e32 v2, v3, v2, vcc
	s_waitcnt vmcnt(0)
	v_add_co_u32_e32 v16, vcc, v20, v19
	v_addc_co_u32_e32 v17, vcc, 0, v21, vcc
	v_mov_b32_e32 v14, s29
	v_add_co_u32_e32 v1, vcc, s28, v1
	v_addc_co_u32_e32 v14, vcc, 0, v14, vcc
	v_lshlrev_b32_e32 v2, 2, v2
	v_mov_b32_e32 v15, s27
	v_sub_co_u32_e32 v1, vcc, s26, v1
	ds_write_b32 v2, v35
	s_waitcnt lgkmcnt(0)
	s_barrier
	ds_read2st64_b32 v[12:13], v34 offset1:4
	ds_read2st64_b32 v[10:11], v34 offset0:8 offset1:12
	ds_read2st64_b32 v[8:9], v34 offset0:16 offset1:20
	;; [unrolled: 1-line block ×5, first 2 shown]
	ds_read_b32 v22, v34 offset:12288
	v_subb_co_u32_e32 v14, vcc, v15, v14, vcc
	v_add_co_u32_e32 v1, vcc, v1, v18
	v_addc_co_u32_e32 v14, vcc, 0, v14, vcc
	s_and_b64 vcc, exec, s[2:3]
	v_add_co_u32_e64 v1, s[2:3], v1, v16
	v_or_b32_e32 v35, 0x100, v0
	v_or_b32_e32 v33, 0x200, v0
	;; [unrolled: 1-line block ×12, first 2 shown]
	v_addc_co_u32_e64 v19, s[2:3], v14, v17, s[2:3]
	s_cbranch_vccnz .LBB59_136
; %bb.80:
	v_cmp_ge_u32_e32 vcc, v0, v18
                                        ; implicit-def: $vgpr14_vgpr15
	s_and_saveexec_b64 s[2:3], vcc
	s_xor_b64 s[2:3], exec, s[2:3]
; %bb.81:
	v_not_b32_e32 v14, v0
	v_ashrrev_i32_e32 v15, 31, v14
	v_add_co_u32_e32 v14, vcc, v1, v14
	v_addc_co_u32_e32 v15, vcc, v19, v15, vcc
; %bb.82:
	s_andn2_saveexec_b64 s[2:3], s[2:3]
; %bb.83:
	v_add_co_u32_e32 v14, vcc, v16, v0
	v_addc_co_u32_e32 v15, vcc, 0, v17, vcc
; %bb.84:
	s_or_b64 exec, exec, s[2:3]
	v_lshlrev_b64 v[14:15], 2, v[14:15]
	v_mov_b32_e32 v20, s25
	v_add_co_u32_e32 v14, vcc, s24, v14
	v_addc_co_u32_e32 v15, vcc, v20, v15, vcc
	v_cmp_ge_u32_e32 vcc, v35, v18
	s_waitcnt lgkmcnt(6)
	global_store_dword v[14:15], v12, off
                                        ; implicit-def: $vgpr14_vgpr15
	s_and_saveexec_b64 s[2:3], vcc
	s_xor_b64 s[2:3], exec, s[2:3]
; %bb.85:
	v_xor_b32_e32 v14, 0xfffffeff, v0
	v_ashrrev_i32_e32 v15, 31, v14
	v_add_co_u32_e32 v14, vcc, v1, v14
	v_addc_co_u32_e32 v15, vcc, v19, v15, vcc
; %bb.86:
	s_andn2_saveexec_b64 s[2:3], s[2:3]
; %bb.87:
	v_add_co_u32_e32 v14, vcc, v16, v35
	v_addc_co_u32_e32 v15, vcc, 0, v17, vcc
; %bb.88:
	s_or_b64 exec, exec, s[2:3]
	v_lshlrev_b64 v[14:15], 2, v[14:15]
	v_mov_b32_e32 v20, s25
	v_add_co_u32_e32 v14, vcc, s24, v14
	v_addc_co_u32_e32 v15, vcc, v20, v15, vcc
	v_cmp_ge_u32_e32 vcc, v33, v18
	global_store_dword v[14:15], v13, off
                                        ; implicit-def: $vgpr14_vgpr15
	s_and_saveexec_b64 s[2:3], vcc
	s_xor_b64 s[2:3], exec, s[2:3]
; %bb.89:
	v_xor_b32_e32 v14, 0xfffffdff, v0
	v_ashrrev_i32_e32 v15, 31, v14
	v_add_co_u32_e32 v14, vcc, v1, v14
	v_addc_co_u32_e32 v15, vcc, v19, v15, vcc
; %bb.90:
	s_andn2_saveexec_b64 s[2:3], s[2:3]
; %bb.91:
	v_add_co_u32_e32 v14, vcc, v16, v33
	v_addc_co_u32_e32 v15, vcc, 0, v17, vcc
; %bb.92:
	s_or_b64 exec, exec, s[2:3]
	v_lshlrev_b64 v[14:15], 2, v[14:15]
	v_mov_b32_e32 v20, s25
	v_add_co_u32_e32 v14, vcc, s24, v14
	v_addc_co_u32_e32 v15, vcc, v20, v15, vcc
	v_cmp_ge_u32_e32 vcc, v32, v18
	s_waitcnt lgkmcnt(5)
	global_store_dword v[14:15], v10, off
                                        ; implicit-def: $vgpr14_vgpr15
	s_and_saveexec_b64 s[2:3], vcc
	s_xor_b64 s[2:3], exec, s[2:3]
; %bb.93:
	v_xor_b32_e32 v14, 0xfffffcff, v0
	v_ashrrev_i32_e32 v15, 31, v14
	v_add_co_u32_e32 v14, vcc, v1, v14
	v_addc_co_u32_e32 v15, vcc, v19, v15, vcc
; %bb.94:
	s_andn2_saveexec_b64 s[2:3], s[2:3]
; %bb.95:
	v_add_co_u32_e32 v14, vcc, v16, v32
	v_addc_co_u32_e32 v15, vcc, 0, v17, vcc
; %bb.96:
	s_or_b64 exec, exec, s[2:3]
	v_lshlrev_b64 v[14:15], 2, v[14:15]
	v_mov_b32_e32 v20, s25
	v_add_co_u32_e32 v14, vcc, s24, v14
	v_addc_co_u32_e32 v15, vcc, v20, v15, vcc
	v_cmp_ge_u32_e32 vcc, v31, v18
	global_store_dword v[14:15], v11, off
                                        ; implicit-def: $vgpr14_vgpr15
	s_and_saveexec_b64 s[2:3], vcc
	s_xor_b64 s[2:3], exec, s[2:3]
; %bb.97:
	v_xor_b32_e32 v14, 0xfffffbff, v0
	;; [unrolled: 43-line block ×6, first 2 shown]
	v_ashrrev_i32_e32 v15, 31, v14
	v_add_co_u32_e32 v14, vcc, v1, v14
	v_addc_co_u32_e32 v15, vcc, v19, v15, vcc
; %bb.130:
	s_andn2_saveexec_b64 s[2:3], s[2:3]
; %bb.131:
	v_add_co_u32_e32 v14, vcc, v16, v23
	v_addc_co_u32_e32 v15, vcc, 0, v17, vcc
; %bb.132:
	s_or_b64 exec, exec, s[2:3]
	s_mov_b64 s[2:3], -1
.LBB59_133:
	s_and_saveexec_b64 s[4:5], s[2:3]
	s_cbranch_execz .LBB59_216
.LBB59_134:
	v_lshlrev_b64 v[0:1], 2, v[14:15]
	s_waitcnt lgkmcnt(1)
	v_mov_b32_e32 v2, s25
	v_add_co_u32_e32 v0, vcc, s24, v0
	v_addc_co_u32_e32 v1, vcc, v2, v1, vcc
	s_waitcnt lgkmcnt(0)
	global_store_dword v[0:1], v22, off
	s_or_b64 exec, exec, s[4:5]
	s_and_b64 s[0:1], s[0:1], s[22:23]
	s_and_saveexec_b64 s[2:3], s[0:1]
	s_cbranch_execnz .LBB59_217
.LBB59_135:
	s_endpgm
.LBB59_136:
	s_mov_b64 s[2:3], 0
                                        ; implicit-def: $vgpr14_vgpr15
	s_cbranch_execz .LBB59_133
; %bb.137:
	v_cmp_gt_u32_e32 vcc, s33, v0
	s_and_saveexec_b64 s[4:5], vcc
	s_cbranch_execz .LBB59_173
; %bb.138:
	v_cmp_ge_u32_e32 vcc, v0, v18
                                        ; implicit-def: $vgpr14_vgpr15
	s_and_saveexec_b64 s[6:7], vcc
	s_xor_b64 s[6:7], exec, s[6:7]
; %bb.139:
	v_not_b32_e32 v14, v0
	v_ashrrev_i32_e32 v15, 31, v14
	v_add_co_u32_e32 v14, vcc, v1, v14
	v_addc_co_u32_e32 v15, vcc, v19, v15, vcc
; %bb.140:
	s_andn2_saveexec_b64 s[6:7], s[6:7]
; %bb.141:
	v_add_co_u32_e32 v14, vcc, v16, v0
	v_addc_co_u32_e32 v15, vcc, 0, v17, vcc
; %bb.142:
	s_or_b64 exec, exec, s[6:7]
	v_lshlrev_b64 v[14:15], 2, v[14:15]
	v_mov_b32_e32 v20, s25
	v_add_co_u32_e32 v14, vcc, s24, v14
	v_addc_co_u32_e32 v15, vcc, v20, v15, vcc
	s_waitcnt lgkmcnt(6)
	global_store_dword v[14:15], v12, off
	s_or_b64 exec, exec, s[4:5]
	v_cmp_gt_u32_e32 vcc, s33, v35
	s_and_saveexec_b64 s[4:5], vcc
	s_cbranch_execnz .LBB59_174
.LBB59_143:
	s_or_b64 exec, exec, s[4:5]
	v_cmp_gt_u32_e32 vcc, s33, v33
	s_and_saveexec_b64 s[4:5], vcc
	s_cbranch_execz .LBB59_179
.LBB59_144:
	v_cmp_ge_u32_e32 vcc, v33, v18
                                        ; implicit-def: $vgpr12_vgpr13
	s_and_saveexec_b64 s[6:7], vcc
	s_xor_b64 s[6:7], exec, s[6:7]
	s_cbranch_execz .LBB59_146
; %bb.145:
	s_waitcnt lgkmcnt(6)
	v_xor_b32_e32 v12, 0xfffffdff, v0
	v_ashrrev_i32_e32 v13, 31, v12
	v_add_co_u32_e32 v12, vcc, v1, v12
	v_addc_co_u32_e32 v13, vcc, v19, v13, vcc
                                        ; implicit-def: $vgpr33
.LBB59_146:
	s_andn2_saveexec_b64 s[6:7], s[6:7]
	s_cbranch_execz .LBB59_148
; %bb.147:
	s_waitcnt lgkmcnt(6)
	v_add_co_u32_e32 v12, vcc, v16, v33
	v_addc_co_u32_e32 v13, vcc, 0, v17, vcc
.LBB59_148:
	s_or_b64 exec, exec, s[6:7]
	s_waitcnt lgkmcnt(6)
	v_lshlrev_b64 v[12:13], 2, v[12:13]
	v_mov_b32_e32 v14, s25
	v_add_co_u32_e32 v12, vcc, s24, v12
	v_addc_co_u32_e32 v13, vcc, v14, v13, vcc
	s_waitcnt lgkmcnt(5)
	global_store_dword v[12:13], v10, off
	s_or_b64 exec, exec, s[4:5]
	v_cmp_gt_u32_e32 vcc, s33, v32
	s_and_saveexec_b64 s[4:5], vcc
	s_cbranch_execnz .LBB59_180
.LBB59_149:
	s_or_b64 exec, exec, s[4:5]
	v_cmp_gt_u32_e32 vcc, s33, v31
	s_and_saveexec_b64 s[4:5], vcc
	s_cbranch_execz .LBB59_185
.LBB59_150:
	v_cmp_ge_u32_e32 vcc, v31, v18
                                        ; implicit-def: $vgpr10_vgpr11
	s_and_saveexec_b64 s[6:7], vcc
	s_xor_b64 s[6:7], exec, s[6:7]
	s_cbranch_execz .LBB59_152
; %bb.151:
	s_waitcnt lgkmcnt(5)
	v_xor_b32_e32 v10, 0xfffffbff, v0
	v_ashrrev_i32_e32 v11, 31, v10
	v_add_co_u32_e32 v10, vcc, v1, v10
	v_addc_co_u32_e32 v11, vcc, v19, v11, vcc
                                        ; implicit-def: $vgpr31
.LBB59_152:
	s_andn2_saveexec_b64 s[6:7], s[6:7]
	s_cbranch_execz .LBB59_154
; %bb.153:
	s_waitcnt lgkmcnt(5)
	v_add_co_u32_e32 v10, vcc, v16, v31
	v_addc_co_u32_e32 v11, vcc, 0, v17, vcc
.LBB59_154:
	s_or_b64 exec, exec, s[6:7]
	s_waitcnt lgkmcnt(5)
	v_lshlrev_b64 v[10:11], 2, v[10:11]
	v_mov_b32_e32 v12, s25
	v_add_co_u32_e32 v10, vcc, s24, v10
	v_addc_co_u32_e32 v11, vcc, v12, v11, vcc
	s_waitcnt lgkmcnt(4)
	global_store_dword v[10:11], v8, off
	s_or_b64 exec, exec, s[4:5]
	v_cmp_gt_u32_e32 vcc, s33, v30
	s_and_saveexec_b64 s[4:5], vcc
	s_cbranch_execnz .LBB59_186
.LBB59_155:
	s_or_b64 exec, exec, s[4:5]
	v_cmp_gt_u32_e32 vcc, s33, v29
	s_and_saveexec_b64 s[4:5], vcc
	s_cbranch_execz .LBB59_191
.LBB59_156:
	v_cmp_ge_u32_e32 vcc, v29, v18
                                        ; implicit-def: $vgpr8_vgpr9
	s_and_saveexec_b64 s[6:7], vcc
	s_xor_b64 s[6:7], exec, s[6:7]
	s_cbranch_execz .LBB59_158
; %bb.157:
	s_waitcnt lgkmcnt(4)
	v_xor_b32_e32 v8, 0xfffff9ff, v0
	v_ashrrev_i32_e32 v9, 31, v8
	v_add_co_u32_e32 v8, vcc, v1, v8
	v_addc_co_u32_e32 v9, vcc, v19, v9, vcc
                                        ; implicit-def: $vgpr29
.LBB59_158:
	s_andn2_saveexec_b64 s[6:7], s[6:7]
	s_cbranch_execz .LBB59_160
; %bb.159:
	s_waitcnt lgkmcnt(4)
	v_add_co_u32_e32 v8, vcc, v16, v29
	v_addc_co_u32_e32 v9, vcc, 0, v17, vcc
.LBB59_160:
	s_or_b64 exec, exec, s[6:7]
	s_waitcnt lgkmcnt(4)
	v_lshlrev_b64 v[8:9], 2, v[8:9]
	v_mov_b32_e32 v10, s25
	v_add_co_u32_e32 v8, vcc, s24, v8
	v_addc_co_u32_e32 v9, vcc, v10, v9, vcc
	s_waitcnt lgkmcnt(3)
	global_store_dword v[8:9], v6, off
	s_or_b64 exec, exec, s[4:5]
	v_cmp_gt_u32_e32 vcc, s33, v28
	s_and_saveexec_b64 s[4:5], vcc
	s_cbranch_execnz .LBB59_192
.LBB59_161:
	s_or_b64 exec, exec, s[4:5]
	v_cmp_gt_u32_e32 vcc, s33, v27
	s_and_saveexec_b64 s[4:5], vcc
	s_cbranch_execz .LBB59_197
.LBB59_162:
	v_cmp_ge_u32_e32 vcc, v27, v18
                                        ; implicit-def: $vgpr6_vgpr7
	s_and_saveexec_b64 s[6:7], vcc
	s_xor_b64 s[6:7], exec, s[6:7]
	s_cbranch_execz .LBB59_164
; %bb.163:
	s_waitcnt lgkmcnt(3)
	v_xor_b32_e32 v6, 0xfffff7ff, v0
	v_ashrrev_i32_e32 v7, 31, v6
	v_add_co_u32_e32 v6, vcc, v1, v6
	v_addc_co_u32_e32 v7, vcc, v19, v7, vcc
                                        ; implicit-def: $vgpr27
.LBB59_164:
	s_andn2_saveexec_b64 s[6:7], s[6:7]
	s_cbranch_execz .LBB59_166
; %bb.165:
	s_waitcnt lgkmcnt(3)
	v_add_co_u32_e32 v6, vcc, v16, v27
	v_addc_co_u32_e32 v7, vcc, 0, v17, vcc
.LBB59_166:
	s_or_b64 exec, exec, s[6:7]
	s_waitcnt lgkmcnt(3)
	v_lshlrev_b64 v[6:7], 2, v[6:7]
	v_mov_b32_e32 v8, s25
	v_add_co_u32_e32 v6, vcc, s24, v6
	v_addc_co_u32_e32 v7, vcc, v8, v7, vcc
	s_waitcnt lgkmcnt(2)
	global_store_dword v[6:7], v4, off
	s_or_b64 exec, exec, s[4:5]
	v_cmp_gt_u32_e32 vcc, s33, v26
	s_and_saveexec_b64 s[4:5], vcc
	s_cbranch_execnz .LBB59_198
.LBB59_167:
	s_or_b64 exec, exec, s[4:5]
	v_cmp_gt_u32_e32 vcc, s33, v25
	s_and_saveexec_b64 s[4:5], vcc
	s_cbranch_execz .LBB59_203
.LBB59_168:
	v_cmp_ge_u32_e32 vcc, v25, v18
                                        ; implicit-def: $vgpr4_vgpr5
	s_and_saveexec_b64 s[6:7], vcc
	s_xor_b64 s[6:7], exec, s[6:7]
	s_cbranch_execz .LBB59_170
; %bb.169:
	s_waitcnt lgkmcnt(2)
	v_xor_b32_e32 v4, 0xfffff5ff, v0
	v_ashrrev_i32_e32 v5, 31, v4
	v_add_co_u32_e32 v4, vcc, v1, v4
	v_addc_co_u32_e32 v5, vcc, v19, v5, vcc
                                        ; implicit-def: $vgpr25
.LBB59_170:
	s_andn2_saveexec_b64 s[6:7], s[6:7]
	s_cbranch_execz .LBB59_172
; %bb.171:
	s_waitcnt lgkmcnt(2)
	v_add_co_u32_e32 v4, vcc, v16, v25
	v_addc_co_u32_e32 v5, vcc, 0, v17, vcc
.LBB59_172:
	s_or_b64 exec, exec, s[6:7]
	s_waitcnt lgkmcnt(2)
	v_lshlrev_b64 v[4:5], 2, v[4:5]
	v_mov_b32_e32 v6, s25
	v_add_co_u32_e32 v4, vcc, s24, v4
	v_addc_co_u32_e32 v5, vcc, v6, v5, vcc
	s_waitcnt lgkmcnt(1)
	global_store_dword v[4:5], v2, off
	s_or_b64 exec, exec, s[4:5]
	v_cmp_gt_u32_e32 vcc, s33, v24
	s_and_saveexec_b64 s[4:5], vcc
	s_cbranch_execz .LBB59_209
	s_branch .LBB59_204
.LBB59_173:
	s_or_b64 exec, exec, s[4:5]
	v_cmp_gt_u32_e32 vcc, s33, v35
	s_and_saveexec_b64 s[4:5], vcc
	s_cbranch_execz .LBB59_143
.LBB59_174:
	v_cmp_ge_u32_e32 vcc, v35, v18
                                        ; implicit-def: $vgpr14_vgpr15
	s_and_saveexec_b64 s[6:7], vcc
	s_xor_b64 s[6:7], exec, s[6:7]
	s_cbranch_execz .LBB59_176
; %bb.175:
	s_waitcnt lgkmcnt(6)
	v_xor_b32_e32 v12, 0xfffffeff, v0
	v_ashrrev_i32_e32 v15, 31, v12
	v_add_co_u32_e32 v14, vcc, v1, v12
	v_addc_co_u32_e32 v15, vcc, v19, v15, vcc
                                        ; implicit-def: $vgpr35
.LBB59_176:
	s_andn2_saveexec_b64 s[6:7], s[6:7]
; %bb.177:
	v_add_co_u32_e32 v14, vcc, v16, v35
	v_addc_co_u32_e32 v15, vcc, 0, v17, vcc
; %bb.178:
	s_or_b64 exec, exec, s[6:7]
	v_lshlrev_b64 v[14:15], 2, v[14:15]
	s_waitcnt lgkmcnt(6)
	v_mov_b32_e32 v12, s25
	v_add_co_u32_e32 v14, vcc, s24, v14
	v_addc_co_u32_e32 v15, vcc, v12, v15, vcc
	global_store_dword v[14:15], v13, off
	s_or_b64 exec, exec, s[4:5]
	v_cmp_gt_u32_e32 vcc, s33, v33
	s_and_saveexec_b64 s[4:5], vcc
	s_cbranch_execnz .LBB59_144
.LBB59_179:
	s_or_b64 exec, exec, s[4:5]
	v_cmp_gt_u32_e32 vcc, s33, v32
	s_and_saveexec_b64 s[4:5], vcc
	s_cbranch_execz .LBB59_149
.LBB59_180:
	v_cmp_ge_u32_e32 vcc, v32, v18
                                        ; implicit-def: $vgpr12_vgpr13
	s_and_saveexec_b64 s[6:7], vcc
	s_xor_b64 s[6:7], exec, s[6:7]
	s_cbranch_execz .LBB59_182
; %bb.181:
	s_waitcnt lgkmcnt(5)
	v_xor_b32_e32 v10, 0xfffffcff, v0
	v_ashrrev_i32_e32 v13, 31, v10
	v_add_co_u32_e32 v12, vcc, v1, v10
	v_addc_co_u32_e32 v13, vcc, v19, v13, vcc
                                        ; implicit-def: $vgpr32
.LBB59_182:
	s_andn2_saveexec_b64 s[6:7], s[6:7]
	s_cbranch_execz .LBB59_184
; %bb.183:
	s_waitcnt lgkmcnt(6)
	v_add_co_u32_e32 v12, vcc, v16, v32
	v_addc_co_u32_e32 v13, vcc, 0, v17, vcc
.LBB59_184:
	s_or_b64 exec, exec, s[6:7]
	s_waitcnt lgkmcnt(6)
	v_lshlrev_b64 v[12:13], 2, v[12:13]
	s_waitcnt lgkmcnt(5)
	v_mov_b32_e32 v10, s25
	v_add_co_u32_e32 v12, vcc, s24, v12
	v_addc_co_u32_e32 v13, vcc, v10, v13, vcc
	global_store_dword v[12:13], v11, off
	s_or_b64 exec, exec, s[4:5]
	v_cmp_gt_u32_e32 vcc, s33, v31
	s_and_saveexec_b64 s[4:5], vcc
	s_cbranch_execnz .LBB59_150
.LBB59_185:
	s_or_b64 exec, exec, s[4:5]
	v_cmp_gt_u32_e32 vcc, s33, v30
	s_and_saveexec_b64 s[4:5], vcc
	s_cbranch_execz .LBB59_155
.LBB59_186:
	v_cmp_ge_u32_e32 vcc, v30, v18
                                        ; implicit-def: $vgpr10_vgpr11
	s_and_saveexec_b64 s[6:7], vcc
	s_xor_b64 s[6:7], exec, s[6:7]
	s_cbranch_execz .LBB59_188
; %bb.187:
	s_waitcnt lgkmcnt(4)
	v_xor_b32_e32 v8, 0xfffffaff, v0
	v_ashrrev_i32_e32 v11, 31, v8
	v_add_co_u32_e32 v10, vcc, v1, v8
	v_addc_co_u32_e32 v11, vcc, v19, v11, vcc
                                        ; implicit-def: $vgpr30
.LBB59_188:
	s_andn2_saveexec_b64 s[6:7], s[6:7]
	s_cbranch_execz .LBB59_190
; %bb.189:
	s_waitcnt lgkmcnt(5)
	v_add_co_u32_e32 v10, vcc, v16, v30
	v_addc_co_u32_e32 v11, vcc, 0, v17, vcc
.LBB59_190:
	s_or_b64 exec, exec, s[6:7]
	s_waitcnt lgkmcnt(5)
	v_lshlrev_b64 v[10:11], 2, v[10:11]
	s_waitcnt lgkmcnt(4)
	v_mov_b32_e32 v8, s25
	v_add_co_u32_e32 v10, vcc, s24, v10
	v_addc_co_u32_e32 v11, vcc, v8, v11, vcc
	global_store_dword v[10:11], v9, off
	s_or_b64 exec, exec, s[4:5]
	v_cmp_gt_u32_e32 vcc, s33, v29
	s_and_saveexec_b64 s[4:5], vcc
	s_cbranch_execnz .LBB59_156
.LBB59_191:
	s_or_b64 exec, exec, s[4:5]
	v_cmp_gt_u32_e32 vcc, s33, v28
	s_and_saveexec_b64 s[4:5], vcc
	s_cbranch_execz .LBB59_161
.LBB59_192:
	v_cmp_ge_u32_e32 vcc, v28, v18
                                        ; implicit-def: $vgpr8_vgpr9
	s_and_saveexec_b64 s[6:7], vcc
	s_xor_b64 s[6:7], exec, s[6:7]
	s_cbranch_execz .LBB59_194
; %bb.193:
	s_waitcnt lgkmcnt(3)
	v_xor_b32_e32 v6, 0xfffff8ff, v0
	v_ashrrev_i32_e32 v9, 31, v6
	v_add_co_u32_e32 v8, vcc, v1, v6
	v_addc_co_u32_e32 v9, vcc, v19, v9, vcc
                                        ; implicit-def: $vgpr28
.LBB59_194:
	s_andn2_saveexec_b64 s[6:7], s[6:7]
	s_cbranch_execz .LBB59_196
; %bb.195:
	s_waitcnt lgkmcnt(4)
	v_add_co_u32_e32 v8, vcc, v16, v28
	v_addc_co_u32_e32 v9, vcc, 0, v17, vcc
.LBB59_196:
	s_or_b64 exec, exec, s[6:7]
	s_waitcnt lgkmcnt(4)
	v_lshlrev_b64 v[8:9], 2, v[8:9]
	s_waitcnt lgkmcnt(3)
	v_mov_b32_e32 v6, s25
	v_add_co_u32_e32 v8, vcc, s24, v8
	v_addc_co_u32_e32 v9, vcc, v6, v9, vcc
	global_store_dword v[8:9], v7, off
	s_or_b64 exec, exec, s[4:5]
	v_cmp_gt_u32_e32 vcc, s33, v27
	s_and_saveexec_b64 s[4:5], vcc
	s_cbranch_execnz .LBB59_162
.LBB59_197:
	s_or_b64 exec, exec, s[4:5]
	v_cmp_gt_u32_e32 vcc, s33, v26
	s_and_saveexec_b64 s[4:5], vcc
	s_cbranch_execz .LBB59_167
.LBB59_198:
	v_cmp_ge_u32_e32 vcc, v26, v18
                                        ; implicit-def: $vgpr6_vgpr7
	s_and_saveexec_b64 s[6:7], vcc
	s_xor_b64 s[6:7], exec, s[6:7]
	s_cbranch_execz .LBB59_200
; %bb.199:
	s_waitcnt lgkmcnt(2)
	v_xor_b32_e32 v4, 0xfffff6ff, v0
	v_ashrrev_i32_e32 v7, 31, v4
	v_add_co_u32_e32 v6, vcc, v1, v4
	v_addc_co_u32_e32 v7, vcc, v19, v7, vcc
                                        ; implicit-def: $vgpr26
.LBB59_200:
	s_andn2_saveexec_b64 s[6:7], s[6:7]
	s_cbranch_execz .LBB59_202
; %bb.201:
	s_waitcnt lgkmcnt(3)
	v_add_co_u32_e32 v6, vcc, v16, v26
	v_addc_co_u32_e32 v7, vcc, 0, v17, vcc
.LBB59_202:
	s_or_b64 exec, exec, s[6:7]
	s_waitcnt lgkmcnt(3)
	v_lshlrev_b64 v[6:7], 2, v[6:7]
	s_waitcnt lgkmcnt(2)
	v_mov_b32_e32 v4, s25
	v_add_co_u32_e32 v6, vcc, s24, v6
	v_addc_co_u32_e32 v7, vcc, v4, v7, vcc
	global_store_dword v[6:7], v5, off
	s_or_b64 exec, exec, s[4:5]
	v_cmp_gt_u32_e32 vcc, s33, v25
	s_and_saveexec_b64 s[4:5], vcc
	s_cbranch_execnz .LBB59_168
.LBB59_203:
	s_or_b64 exec, exec, s[4:5]
	v_cmp_gt_u32_e32 vcc, s33, v24
	s_and_saveexec_b64 s[4:5], vcc
	s_cbranch_execz .LBB59_209
.LBB59_204:
	v_cmp_ge_u32_e32 vcc, v24, v18
                                        ; implicit-def: $vgpr4_vgpr5
	s_and_saveexec_b64 s[6:7], vcc
	s_xor_b64 s[6:7], exec, s[6:7]
	s_cbranch_execz .LBB59_206
; %bb.205:
	s_waitcnt lgkmcnt(1)
	v_xor_b32_e32 v2, 0xfffff4ff, v0
	v_ashrrev_i32_e32 v5, 31, v2
	v_add_co_u32_e32 v4, vcc, v1, v2
	v_addc_co_u32_e32 v5, vcc, v19, v5, vcc
                                        ; implicit-def: $vgpr24
.LBB59_206:
	s_andn2_saveexec_b64 s[6:7], s[6:7]
	s_cbranch_execz .LBB59_208
; %bb.207:
	s_waitcnt lgkmcnt(2)
	v_add_co_u32_e32 v4, vcc, v16, v24
	v_addc_co_u32_e32 v5, vcc, 0, v17, vcc
.LBB59_208:
	s_or_b64 exec, exec, s[6:7]
	s_waitcnt lgkmcnt(2)
	v_lshlrev_b64 v[4:5], 2, v[4:5]
	s_waitcnt lgkmcnt(1)
	v_mov_b32_e32 v2, s25
	v_add_co_u32_e32 v4, vcc, s24, v4
	v_addc_co_u32_e32 v5, vcc, v2, v5, vcc
	global_store_dword v[4:5], v3, off
.LBB59_209:
	s_or_b64 exec, exec, s[4:5]
	v_cmp_gt_u32_e32 vcc, s33, v23
                                        ; implicit-def: $vgpr14_vgpr15
	s_and_saveexec_b64 s[4:5], vcc
	s_cbranch_execz .LBB59_215
; %bb.210:
	v_cmp_ge_u32_e32 vcc, v23, v18
                                        ; implicit-def: $vgpr14_vgpr15
	s_and_saveexec_b64 s[6:7], vcc
	s_xor_b64 s[6:7], exec, s[6:7]
	s_cbranch_execz .LBB59_212
; %bb.211:
	v_xor_b32_e32 v0, 0xfffff3ff, v0
	s_waitcnt lgkmcnt(1)
	v_ashrrev_i32_e32 v2, 31, v0
	v_add_co_u32_e32 v14, vcc, v1, v0
	v_addc_co_u32_e32 v15, vcc, v19, v2, vcc
                                        ; implicit-def: $vgpr23
.LBB59_212:
	s_andn2_saveexec_b64 s[6:7], s[6:7]
; %bb.213:
	v_add_co_u32_e32 v14, vcc, v16, v23
	v_addc_co_u32_e32 v15, vcc, 0, v17, vcc
; %bb.214:
	s_or_b64 exec, exec, s[6:7]
	s_or_b64 s[2:3], s[2:3], exec
.LBB59_215:
	s_or_b64 exec, exec, s[4:5]
	s_and_saveexec_b64 s[4:5], s[2:3]
	s_cbranch_execnz .LBB59_134
.LBB59_216:
	s_or_b64 exec, exec, s[4:5]
	s_and_b64 s[0:1], s[0:1], s[22:23]
	s_and_saveexec_b64 s[2:3], s[0:1]
	s_cbranch_execz .LBB59_135
.LBB59_217:
	v_add_co_u32_e32 v0, vcc, v16, v18
	s_waitcnt lgkmcnt(1)
	v_mov_b32_e32 v2, 0
	v_addc_co_u32_e32 v1, vcc, 0, v17, vcc
	global_store_dwordx2 v2, v[0:1], s[20:21]
	s_endpgm
	.section	.rodata,"a",@progbits
	.p2align	6, 0x0
	.amdhsa_kernel _ZN7rocprim17ROCPRIM_400000_NS6detail17trampoline_kernelINS0_13select_configILj256ELj13ELNS0_17block_load_methodE3ELS4_3ELS4_3ELNS0_20block_scan_algorithmE0ELj4294967295EEENS1_25partition_config_selectorILNS1_17partition_subalgoE3EjNS0_10empty_typeEbEEZZNS1_14partition_implILS8_3ELb0ES6_jNS0_17counting_iteratorIjlEEPS9_SE_NS0_5tupleIJPjSE_EEENSF_IJSE_SE_EEES9_SG_JZNS1_25segmented_radix_sort_implINS0_14default_configELb1EPKhPhPKlPlN2at6native12_GLOBAL__N_18offset_tEEE10hipError_tPvRmT1_PNSt15iterator_traitsISY_E10value_typeET2_T3_PNSZ_IS14_E10value_typeET4_jRbjT5_S1A_jjP12ihipStream_tbEUljE_EEESV_SW_SX_S14_S18_S1A_T6_T7_T9_mT8_S1C_bDpT10_ENKUlT_T0_E_clISt17integral_constantIbLb1EES1P_EEDaS1K_S1L_EUlS1K_E_NS1_11comp_targetILNS1_3genE4ELNS1_11target_archE910ELNS1_3gpuE8ELNS1_3repE0EEENS1_30default_config_static_selectorELNS0_4arch9wavefront6targetE1EEEvSY_
		.amdhsa_group_segment_fixed_size 13324
		.amdhsa_private_segment_fixed_size 0
		.amdhsa_kernarg_size 152
		.amdhsa_user_sgpr_count 6
		.amdhsa_user_sgpr_private_segment_buffer 1
		.amdhsa_user_sgpr_dispatch_ptr 0
		.amdhsa_user_sgpr_queue_ptr 0
		.amdhsa_user_sgpr_kernarg_segment_ptr 1
		.amdhsa_user_sgpr_dispatch_id 0
		.amdhsa_user_sgpr_flat_scratch_init 0
		.amdhsa_user_sgpr_kernarg_preload_length 0
		.amdhsa_user_sgpr_kernarg_preload_offset 0
		.amdhsa_user_sgpr_private_segment_size 0
		.amdhsa_uses_dynamic_stack 0
		.amdhsa_system_sgpr_private_segment_wavefront_offset 0
		.amdhsa_system_sgpr_workgroup_id_x 1
		.amdhsa_system_sgpr_workgroup_id_y 0
		.amdhsa_system_sgpr_workgroup_id_z 0
		.amdhsa_system_sgpr_workgroup_info 0
		.amdhsa_system_vgpr_workitem_id 0
		.amdhsa_next_free_vgpr 64
		.amdhsa_next_free_sgpr 44
		.amdhsa_accum_offset 64
		.amdhsa_reserve_vcc 1
		.amdhsa_reserve_flat_scratch 0
		.amdhsa_float_round_mode_32 0
		.amdhsa_float_round_mode_16_64 0
		.amdhsa_float_denorm_mode_32 3
		.amdhsa_float_denorm_mode_16_64 3
		.amdhsa_dx10_clamp 1
		.amdhsa_ieee_mode 1
		.amdhsa_fp16_overflow 0
		.amdhsa_tg_split 0
		.amdhsa_exception_fp_ieee_invalid_op 0
		.amdhsa_exception_fp_denorm_src 0
		.amdhsa_exception_fp_ieee_div_zero 0
		.amdhsa_exception_fp_ieee_overflow 0
		.amdhsa_exception_fp_ieee_underflow 0
		.amdhsa_exception_fp_ieee_inexact 0
		.amdhsa_exception_int_div_zero 0
	.end_amdhsa_kernel
	.section	.text._ZN7rocprim17ROCPRIM_400000_NS6detail17trampoline_kernelINS0_13select_configILj256ELj13ELNS0_17block_load_methodE3ELS4_3ELS4_3ELNS0_20block_scan_algorithmE0ELj4294967295EEENS1_25partition_config_selectorILNS1_17partition_subalgoE3EjNS0_10empty_typeEbEEZZNS1_14partition_implILS8_3ELb0ES6_jNS0_17counting_iteratorIjlEEPS9_SE_NS0_5tupleIJPjSE_EEENSF_IJSE_SE_EEES9_SG_JZNS1_25segmented_radix_sort_implINS0_14default_configELb1EPKhPhPKlPlN2at6native12_GLOBAL__N_18offset_tEEE10hipError_tPvRmT1_PNSt15iterator_traitsISY_E10value_typeET2_T3_PNSZ_IS14_E10value_typeET4_jRbjT5_S1A_jjP12ihipStream_tbEUljE_EEESV_SW_SX_S14_S18_S1A_T6_T7_T9_mT8_S1C_bDpT10_ENKUlT_T0_E_clISt17integral_constantIbLb1EES1P_EEDaS1K_S1L_EUlS1K_E_NS1_11comp_targetILNS1_3genE4ELNS1_11target_archE910ELNS1_3gpuE8ELNS1_3repE0EEENS1_30default_config_static_selectorELNS0_4arch9wavefront6targetE1EEEvSY_,"axG",@progbits,_ZN7rocprim17ROCPRIM_400000_NS6detail17trampoline_kernelINS0_13select_configILj256ELj13ELNS0_17block_load_methodE3ELS4_3ELS4_3ELNS0_20block_scan_algorithmE0ELj4294967295EEENS1_25partition_config_selectorILNS1_17partition_subalgoE3EjNS0_10empty_typeEbEEZZNS1_14partition_implILS8_3ELb0ES6_jNS0_17counting_iteratorIjlEEPS9_SE_NS0_5tupleIJPjSE_EEENSF_IJSE_SE_EEES9_SG_JZNS1_25segmented_radix_sort_implINS0_14default_configELb1EPKhPhPKlPlN2at6native12_GLOBAL__N_18offset_tEEE10hipError_tPvRmT1_PNSt15iterator_traitsISY_E10value_typeET2_T3_PNSZ_IS14_E10value_typeET4_jRbjT5_S1A_jjP12ihipStream_tbEUljE_EEESV_SW_SX_S14_S18_S1A_T6_T7_T9_mT8_S1C_bDpT10_ENKUlT_T0_E_clISt17integral_constantIbLb1EES1P_EEDaS1K_S1L_EUlS1K_E_NS1_11comp_targetILNS1_3genE4ELNS1_11target_archE910ELNS1_3gpuE8ELNS1_3repE0EEENS1_30default_config_static_selectorELNS0_4arch9wavefront6targetE1EEEvSY_,comdat
.Lfunc_end59:
	.size	_ZN7rocprim17ROCPRIM_400000_NS6detail17trampoline_kernelINS0_13select_configILj256ELj13ELNS0_17block_load_methodE3ELS4_3ELS4_3ELNS0_20block_scan_algorithmE0ELj4294967295EEENS1_25partition_config_selectorILNS1_17partition_subalgoE3EjNS0_10empty_typeEbEEZZNS1_14partition_implILS8_3ELb0ES6_jNS0_17counting_iteratorIjlEEPS9_SE_NS0_5tupleIJPjSE_EEENSF_IJSE_SE_EEES9_SG_JZNS1_25segmented_radix_sort_implINS0_14default_configELb1EPKhPhPKlPlN2at6native12_GLOBAL__N_18offset_tEEE10hipError_tPvRmT1_PNSt15iterator_traitsISY_E10value_typeET2_T3_PNSZ_IS14_E10value_typeET4_jRbjT5_S1A_jjP12ihipStream_tbEUljE_EEESV_SW_SX_S14_S18_S1A_T6_T7_T9_mT8_S1C_bDpT10_ENKUlT_T0_E_clISt17integral_constantIbLb1EES1P_EEDaS1K_S1L_EUlS1K_E_NS1_11comp_targetILNS1_3genE4ELNS1_11target_archE910ELNS1_3gpuE8ELNS1_3repE0EEENS1_30default_config_static_selectorELNS0_4arch9wavefront6targetE1EEEvSY_, .Lfunc_end59-_ZN7rocprim17ROCPRIM_400000_NS6detail17trampoline_kernelINS0_13select_configILj256ELj13ELNS0_17block_load_methodE3ELS4_3ELS4_3ELNS0_20block_scan_algorithmE0ELj4294967295EEENS1_25partition_config_selectorILNS1_17partition_subalgoE3EjNS0_10empty_typeEbEEZZNS1_14partition_implILS8_3ELb0ES6_jNS0_17counting_iteratorIjlEEPS9_SE_NS0_5tupleIJPjSE_EEENSF_IJSE_SE_EEES9_SG_JZNS1_25segmented_radix_sort_implINS0_14default_configELb1EPKhPhPKlPlN2at6native12_GLOBAL__N_18offset_tEEE10hipError_tPvRmT1_PNSt15iterator_traitsISY_E10value_typeET2_T3_PNSZ_IS14_E10value_typeET4_jRbjT5_S1A_jjP12ihipStream_tbEUljE_EEESV_SW_SX_S14_S18_S1A_T6_T7_T9_mT8_S1C_bDpT10_ENKUlT_T0_E_clISt17integral_constantIbLb1EES1P_EEDaS1K_S1L_EUlS1K_E_NS1_11comp_targetILNS1_3genE4ELNS1_11target_archE910ELNS1_3gpuE8ELNS1_3repE0EEENS1_30default_config_static_selectorELNS0_4arch9wavefront6targetE1EEEvSY_
                                        ; -- End function
	.section	.AMDGPU.csdata,"",@progbits
; Kernel info:
; codeLenInByte = 7896
; NumSgprs: 48
; NumVgprs: 64
; NumAgprs: 0
; TotalNumVgprs: 64
; ScratchSize: 0
; MemoryBound: 0
; FloatMode: 240
; IeeeMode: 1
; LDSByteSize: 13324 bytes/workgroup (compile time only)
; SGPRBlocks: 5
; VGPRBlocks: 7
; NumSGPRsForWavesPerEU: 48
; NumVGPRsForWavesPerEU: 64
; AccumOffset: 64
; Occupancy: 4
; WaveLimiterHint : 0
; COMPUTE_PGM_RSRC2:SCRATCH_EN: 0
; COMPUTE_PGM_RSRC2:USER_SGPR: 6
; COMPUTE_PGM_RSRC2:TRAP_HANDLER: 0
; COMPUTE_PGM_RSRC2:TGID_X_EN: 1
; COMPUTE_PGM_RSRC2:TGID_Y_EN: 0
; COMPUTE_PGM_RSRC2:TGID_Z_EN: 0
; COMPUTE_PGM_RSRC2:TIDIG_COMP_CNT: 0
; COMPUTE_PGM_RSRC3_GFX90A:ACCUM_OFFSET: 15
; COMPUTE_PGM_RSRC3_GFX90A:TG_SPLIT: 0
	.section	.text._ZN7rocprim17ROCPRIM_400000_NS6detail17trampoline_kernelINS0_13select_configILj256ELj13ELNS0_17block_load_methodE3ELS4_3ELS4_3ELNS0_20block_scan_algorithmE0ELj4294967295EEENS1_25partition_config_selectorILNS1_17partition_subalgoE3EjNS0_10empty_typeEbEEZZNS1_14partition_implILS8_3ELb0ES6_jNS0_17counting_iteratorIjlEEPS9_SE_NS0_5tupleIJPjSE_EEENSF_IJSE_SE_EEES9_SG_JZNS1_25segmented_radix_sort_implINS0_14default_configELb1EPKhPhPKlPlN2at6native12_GLOBAL__N_18offset_tEEE10hipError_tPvRmT1_PNSt15iterator_traitsISY_E10value_typeET2_T3_PNSZ_IS14_E10value_typeET4_jRbjT5_S1A_jjP12ihipStream_tbEUljE_EEESV_SW_SX_S14_S18_S1A_T6_T7_T9_mT8_S1C_bDpT10_ENKUlT_T0_E_clISt17integral_constantIbLb1EES1P_EEDaS1K_S1L_EUlS1K_E_NS1_11comp_targetILNS1_3genE3ELNS1_11target_archE908ELNS1_3gpuE7ELNS1_3repE0EEENS1_30default_config_static_selectorELNS0_4arch9wavefront6targetE1EEEvSY_,"axG",@progbits,_ZN7rocprim17ROCPRIM_400000_NS6detail17trampoline_kernelINS0_13select_configILj256ELj13ELNS0_17block_load_methodE3ELS4_3ELS4_3ELNS0_20block_scan_algorithmE0ELj4294967295EEENS1_25partition_config_selectorILNS1_17partition_subalgoE3EjNS0_10empty_typeEbEEZZNS1_14partition_implILS8_3ELb0ES6_jNS0_17counting_iteratorIjlEEPS9_SE_NS0_5tupleIJPjSE_EEENSF_IJSE_SE_EEES9_SG_JZNS1_25segmented_radix_sort_implINS0_14default_configELb1EPKhPhPKlPlN2at6native12_GLOBAL__N_18offset_tEEE10hipError_tPvRmT1_PNSt15iterator_traitsISY_E10value_typeET2_T3_PNSZ_IS14_E10value_typeET4_jRbjT5_S1A_jjP12ihipStream_tbEUljE_EEESV_SW_SX_S14_S18_S1A_T6_T7_T9_mT8_S1C_bDpT10_ENKUlT_T0_E_clISt17integral_constantIbLb1EES1P_EEDaS1K_S1L_EUlS1K_E_NS1_11comp_targetILNS1_3genE3ELNS1_11target_archE908ELNS1_3gpuE7ELNS1_3repE0EEENS1_30default_config_static_selectorELNS0_4arch9wavefront6targetE1EEEvSY_,comdat
	.globl	_ZN7rocprim17ROCPRIM_400000_NS6detail17trampoline_kernelINS0_13select_configILj256ELj13ELNS0_17block_load_methodE3ELS4_3ELS4_3ELNS0_20block_scan_algorithmE0ELj4294967295EEENS1_25partition_config_selectorILNS1_17partition_subalgoE3EjNS0_10empty_typeEbEEZZNS1_14partition_implILS8_3ELb0ES6_jNS0_17counting_iteratorIjlEEPS9_SE_NS0_5tupleIJPjSE_EEENSF_IJSE_SE_EEES9_SG_JZNS1_25segmented_radix_sort_implINS0_14default_configELb1EPKhPhPKlPlN2at6native12_GLOBAL__N_18offset_tEEE10hipError_tPvRmT1_PNSt15iterator_traitsISY_E10value_typeET2_T3_PNSZ_IS14_E10value_typeET4_jRbjT5_S1A_jjP12ihipStream_tbEUljE_EEESV_SW_SX_S14_S18_S1A_T6_T7_T9_mT8_S1C_bDpT10_ENKUlT_T0_E_clISt17integral_constantIbLb1EES1P_EEDaS1K_S1L_EUlS1K_E_NS1_11comp_targetILNS1_3genE3ELNS1_11target_archE908ELNS1_3gpuE7ELNS1_3repE0EEENS1_30default_config_static_selectorELNS0_4arch9wavefront6targetE1EEEvSY_ ; -- Begin function _ZN7rocprim17ROCPRIM_400000_NS6detail17trampoline_kernelINS0_13select_configILj256ELj13ELNS0_17block_load_methodE3ELS4_3ELS4_3ELNS0_20block_scan_algorithmE0ELj4294967295EEENS1_25partition_config_selectorILNS1_17partition_subalgoE3EjNS0_10empty_typeEbEEZZNS1_14partition_implILS8_3ELb0ES6_jNS0_17counting_iteratorIjlEEPS9_SE_NS0_5tupleIJPjSE_EEENSF_IJSE_SE_EEES9_SG_JZNS1_25segmented_radix_sort_implINS0_14default_configELb1EPKhPhPKlPlN2at6native12_GLOBAL__N_18offset_tEEE10hipError_tPvRmT1_PNSt15iterator_traitsISY_E10value_typeET2_T3_PNSZ_IS14_E10value_typeET4_jRbjT5_S1A_jjP12ihipStream_tbEUljE_EEESV_SW_SX_S14_S18_S1A_T6_T7_T9_mT8_S1C_bDpT10_ENKUlT_T0_E_clISt17integral_constantIbLb1EES1P_EEDaS1K_S1L_EUlS1K_E_NS1_11comp_targetILNS1_3genE3ELNS1_11target_archE908ELNS1_3gpuE7ELNS1_3repE0EEENS1_30default_config_static_selectorELNS0_4arch9wavefront6targetE1EEEvSY_
	.p2align	8
	.type	_ZN7rocprim17ROCPRIM_400000_NS6detail17trampoline_kernelINS0_13select_configILj256ELj13ELNS0_17block_load_methodE3ELS4_3ELS4_3ELNS0_20block_scan_algorithmE0ELj4294967295EEENS1_25partition_config_selectorILNS1_17partition_subalgoE3EjNS0_10empty_typeEbEEZZNS1_14partition_implILS8_3ELb0ES6_jNS0_17counting_iteratorIjlEEPS9_SE_NS0_5tupleIJPjSE_EEENSF_IJSE_SE_EEES9_SG_JZNS1_25segmented_radix_sort_implINS0_14default_configELb1EPKhPhPKlPlN2at6native12_GLOBAL__N_18offset_tEEE10hipError_tPvRmT1_PNSt15iterator_traitsISY_E10value_typeET2_T3_PNSZ_IS14_E10value_typeET4_jRbjT5_S1A_jjP12ihipStream_tbEUljE_EEESV_SW_SX_S14_S18_S1A_T6_T7_T9_mT8_S1C_bDpT10_ENKUlT_T0_E_clISt17integral_constantIbLb1EES1P_EEDaS1K_S1L_EUlS1K_E_NS1_11comp_targetILNS1_3genE3ELNS1_11target_archE908ELNS1_3gpuE7ELNS1_3repE0EEENS1_30default_config_static_selectorELNS0_4arch9wavefront6targetE1EEEvSY_,@function
_ZN7rocprim17ROCPRIM_400000_NS6detail17trampoline_kernelINS0_13select_configILj256ELj13ELNS0_17block_load_methodE3ELS4_3ELS4_3ELNS0_20block_scan_algorithmE0ELj4294967295EEENS1_25partition_config_selectorILNS1_17partition_subalgoE3EjNS0_10empty_typeEbEEZZNS1_14partition_implILS8_3ELb0ES6_jNS0_17counting_iteratorIjlEEPS9_SE_NS0_5tupleIJPjSE_EEENSF_IJSE_SE_EEES9_SG_JZNS1_25segmented_radix_sort_implINS0_14default_configELb1EPKhPhPKlPlN2at6native12_GLOBAL__N_18offset_tEEE10hipError_tPvRmT1_PNSt15iterator_traitsISY_E10value_typeET2_T3_PNSZ_IS14_E10value_typeET4_jRbjT5_S1A_jjP12ihipStream_tbEUljE_EEESV_SW_SX_S14_S18_S1A_T6_T7_T9_mT8_S1C_bDpT10_ENKUlT_T0_E_clISt17integral_constantIbLb1EES1P_EEDaS1K_S1L_EUlS1K_E_NS1_11comp_targetILNS1_3genE3ELNS1_11target_archE908ELNS1_3gpuE7ELNS1_3repE0EEENS1_30default_config_static_selectorELNS0_4arch9wavefront6targetE1EEEvSY_: ; @_ZN7rocprim17ROCPRIM_400000_NS6detail17trampoline_kernelINS0_13select_configILj256ELj13ELNS0_17block_load_methodE3ELS4_3ELS4_3ELNS0_20block_scan_algorithmE0ELj4294967295EEENS1_25partition_config_selectorILNS1_17partition_subalgoE3EjNS0_10empty_typeEbEEZZNS1_14partition_implILS8_3ELb0ES6_jNS0_17counting_iteratorIjlEEPS9_SE_NS0_5tupleIJPjSE_EEENSF_IJSE_SE_EEES9_SG_JZNS1_25segmented_radix_sort_implINS0_14default_configELb1EPKhPhPKlPlN2at6native12_GLOBAL__N_18offset_tEEE10hipError_tPvRmT1_PNSt15iterator_traitsISY_E10value_typeET2_T3_PNSZ_IS14_E10value_typeET4_jRbjT5_S1A_jjP12ihipStream_tbEUljE_EEESV_SW_SX_S14_S18_S1A_T6_T7_T9_mT8_S1C_bDpT10_ENKUlT_T0_E_clISt17integral_constantIbLb1EES1P_EEDaS1K_S1L_EUlS1K_E_NS1_11comp_targetILNS1_3genE3ELNS1_11target_archE908ELNS1_3gpuE7ELNS1_3repE0EEENS1_30default_config_static_selectorELNS0_4arch9wavefront6targetE1EEEvSY_
; %bb.0:
	.section	.rodata,"a",@progbits
	.p2align	6, 0x0
	.amdhsa_kernel _ZN7rocprim17ROCPRIM_400000_NS6detail17trampoline_kernelINS0_13select_configILj256ELj13ELNS0_17block_load_methodE3ELS4_3ELS4_3ELNS0_20block_scan_algorithmE0ELj4294967295EEENS1_25partition_config_selectorILNS1_17partition_subalgoE3EjNS0_10empty_typeEbEEZZNS1_14partition_implILS8_3ELb0ES6_jNS0_17counting_iteratorIjlEEPS9_SE_NS0_5tupleIJPjSE_EEENSF_IJSE_SE_EEES9_SG_JZNS1_25segmented_radix_sort_implINS0_14default_configELb1EPKhPhPKlPlN2at6native12_GLOBAL__N_18offset_tEEE10hipError_tPvRmT1_PNSt15iterator_traitsISY_E10value_typeET2_T3_PNSZ_IS14_E10value_typeET4_jRbjT5_S1A_jjP12ihipStream_tbEUljE_EEESV_SW_SX_S14_S18_S1A_T6_T7_T9_mT8_S1C_bDpT10_ENKUlT_T0_E_clISt17integral_constantIbLb1EES1P_EEDaS1K_S1L_EUlS1K_E_NS1_11comp_targetILNS1_3genE3ELNS1_11target_archE908ELNS1_3gpuE7ELNS1_3repE0EEENS1_30default_config_static_selectorELNS0_4arch9wavefront6targetE1EEEvSY_
		.amdhsa_group_segment_fixed_size 0
		.amdhsa_private_segment_fixed_size 0
		.amdhsa_kernarg_size 152
		.amdhsa_user_sgpr_count 6
		.amdhsa_user_sgpr_private_segment_buffer 1
		.amdhsa_user_sgpr_dispatch_ptr 0
		.amdhsa_user_sgpr_queue_ptr 0
		.amdhsa_user_sgpr_kernarg_segment_ptr 1
		.amdhsa_user_sgpr_dispatch_id 0
		.amdhsa_user_sgpr_flat_scratch_init 0
		.amdhsa_user_sgpr_kernarg_preload_length 0
		.amdhsa_user_sgpr_kernarg_preload_offset 0
		.amdhsa_user_sgpr_private_segment_size 0
		.amdhsa_uses_dynamic_stack 0
		.amdhsa_system_sgpr_private_segment_wavefront_offset 0
		.amdhsa_system_sgpr_workgroup_id_x 1
		.amdhsa_system_sgpr_workgroup_id_y 0
		.amdhsa_system_sgpr_workgroup_id_z 0
		.amdhsa_system_sgpr_workgroup_info 0
		.amdhsa_system_vgpr_workitem_id 0
		.amdhsa_next_free_vgpr 1
		.amdhsa_next_free_sgpr 0
		.amdhsa_accum_offset 4
		.amdhsa_reserve_vcc 0
		.amdhsa_reserve_flat_scratch 0
		.amdhsa_float_round_mode_32 0
		.amdhsa_float_round_mode_16_64 0
		.amdhsa_float_denorm_mode_32 3
		.amdhsa_float_denorm_mode_16_64 3
		.amdhsa_dx10_clamp 1
		.amdhsa_ieee_mode 1
		.amdhsa_fp16_overflow 0
		.amdhsa_tg_split 0
		.amdhsa_exception_fp_ieee_invalid_op 0
		.amdhsa_exception_fp_denorm_src 0
		.amdhsa_exception_fp_ieee_div_zero 0
		.amdhsa_exception_fp_ieee_overflow 0
		.amdhsa_exception_fp_ieee_underflow 0
		.amdhsa_exception_fp_ieee_inexact 0
		.amdhsa_exception_int_div_zero 0
	.end_amdhsa_kernel
	.section	.text._ZN7rocprim17ROCPRIM_400000_NS6detail17trampoline_kernelINS0_13select_configILj256ELj13ELNS0_17block_load_methodE3ELS4_3ELS4_3ELNS0_20block_scan_algorithmE0ELj4294967295EEENS1_25partition_config_selectorILNS1_17partition_subalgoE3EjNS0_10empty_typeEbEEZZNS1_14partition_implILS8_3ELb0ES6_jNS0_17counting_iteratorIjlEEPS9_SE_NS0_5tupleIJPjSE_EEENSF_IJSE_SE_EEES9_SG_JZNS1_25segmented_radix_sort_implINS0_14default_configELb1EPKhPhPKlPlN2at6native12_GLOBAL__N_18offset_tEEE10hipError_tPvRmT1_PNSt15iterator_traitsISY_E10value_typeET2_T3_PNSZ_IS14_E10value_typeET4_jRbjT5_S1A_jjP12ihipStream_tbEUljE_EEESV_SW_SX_S14_S18_S1A_T6_T7_T9_mT8_S1C_bDpT10_ENKUlT_T0_E_clISt17integral_constantIbLb1EES1P_EEDaS1K_S1L_EUlS1K_E_NS1_11comp_targetILNS1_3genE3ELNS1_11target_archE908ELNS1_3gpuE7ELNS1_3repE0EEENS1_30default_config_static_selectorELNS0_4arch9wavefront6targetE1EEEvSY_,"axG",@progbits,_ZN7rocprim17ROCPRIM_400000_NS6detail17trampoline_kernelINS0_13select_configILj256ELj13ELNS0_17block_load_methodE3ELS4_3ELS4_3ELNS0_20block_scan_algorithmE0ELj4294967295EEENS1_25partition_config_selectorILNS1_17partition_subalgoE3EjNS0_10empty_typeEbEEZZNS1_14partition_implILS8_3ELb0ES6_jNS0_17counting_iteratorIjlEEPS9_SE_NS0_5tupleIJPjSE_EEENSF_IJSE_SE_EEES9_SG_JZNS1_25segmented_radix_sort_implINS0_14default_configELb1EPKhPhPKlPlN2at6native12_GLOBAL__N_18offset_tEEE10hipError_tPvRmT1_PNSt15iterator_traitsISY_E10value_typeET2_T3_PNSZ_IS14_E10value_typeET4_jRbjT5_S1A_jjP12ihipStream_tbEUljE_EEESV_SW_SX_S14_S18_S1A_T6_T7_T9_mT8_S1C_bDpT10_ENKUlT_T0_E_clISt17integral_constantIbLb1EES1P_EEDaS1K_S1L_EUlS1K_E_NS1_11comp_targetILNS1_3genE3ELNS1_11target_archE908ELNS1_3gpuE7ELNS1_3repE0EEENS1_30default_config_static_selectorELNS0_4arch9wavefront6targetE1EEEvSY_,comdat
.Lfunc_end60:
	.size	_ZN7rocprim17ROCPRIM_400000_NS6detail17trampoline_kernelINS0_13select_configILj256ELj13ELNS0_17block_load_methodE3ELS4_3ELS4_3ELNS0_20block_scan_algorithmE0ELj4294967295EEENS1_25partition_config_selectorILNS1_17partition_subalgoE3EjNS0_10empty_typeEbEEZZNS1_14partition_implILS8_3ELb0ES6_jNS0_17counting_iteratorIjlEEPS9_SE_NS0_5tupleIJPjSE_EEENSF_IJSE_SE_EEES9_SG_JZNS1_25segmented_radix_sort_implINS0_14default_configELb1EPKhPhPKlPlN2at6native12_GLOBAL__N_18offset_tEEE10hipError_tPvRmT1_PNSt15iterator_traitsISY_E10value_typeET2_T3_PNSZ_IS14_E10value_typeET4_jRbjT5_S1A_jjP12ihipStream_tbEUljE_EEESV_SW_SX_S14_S18_S1A_T6_T7_T9_mT8_S1C_bDpT10_ENKUlT_T0_E_clISt17integral_constantIbLb1EES1P_EEDaS1K_S1L_EUlS1K_E_NS1_11comp_targetILNS1_3genE3ELNS1_11target_archE908ELNS1_3gpuE7ELNS1_3repE0EEENS1_30default_config_static_selectorELNS0_4arch9wavefront6targetE1EEEvSY_, .Lfunc_end60-_ZN7rocprim17ROCPRIM_400000_NS6detail17trampoline_kernelINS0_13select_configILj256ELj13ELNS0_17block_load_methodE3ELS4_3ELS4_3ELNS0_20block_scan_algorithmE0ELj4294967295EEENS1_25partition_config_selectorILNS1_17partition_subalgoE3EjNS0_10empty_typeEbEEZZNS1_14partition_implILS8_3ELb0ES6_jNS0_17counting_iteratorIjlEEPS9_SE_NS0_5tupleIJPjSE_EEENSF_IJSE_SE_EEES9_SG_JZNS1_25segmented_radix_sort_implINS0_14default_configELb1EPKhPhPKlPlN2at6native12_GLOBAL__N_18offset_tEEE10hipError_tPvRmT1_PNSt15iterator_traitsISY_E10value_typeET2_T3_PNSZ_IS14_E10value_typeET4_jRbjT5_S1A_jjP12ihipStream_tbEUljE_EEESV_SW_SX_S14_S18_S1A_T6_T7_T9_mT8_S1C_bDpT10_ENKUlT_T0_E_clISt17integral_constantIbLb1EES1P_EEDaS1K_S1L_EUlS1K_E_NS1_11comp_targetILNS1_3genE3ELNS1_11target_archE908ELNS1_3gpuE7ELNS1_3repE0EEENS1_30default_config_static_selectorELNS0_4arch9wavefront6targetE1EEEvSY_
                                        ; -- End function
	.section	.AMDGPU.csdata,"",@progbits
; Kernel info:
; codeLenInByte = 0
; NumSgprs: 4
; NumVgprs: 0
; NumAgprs: 0
; TotalNumVgprs: 0
; ScratchSize: 0
; MemoryBound: 0
; FloatMode: 240
; IeeeMode: 1
; LDSByteSize: 0 bytes/workgroup (compile time only)
; SGPRBlocks: 0
; VGPRBlocks: 0
; NumSGPRsForWavesPerEU: 4
; NumVGPRsForWavesPerEU: 1
; AccumOffset: 4
; Occupancy: 8
; WaveLimiterHint : 0
; COMPUTE_PGM_RSRC2:SCRATCH_EN: 0
; COMPUTE_PGM_RSRC2:USER_SGPR: 6
; COMPUTE_PGM_RSRC2:TRAP_HANDLER: 0
; COMPUTE_PGM_RSRC2:TGID_X_EN: 1
; COMPUTE_PGM_RSRC2:TGID_Y_EN: 0
; COMPUTE_PGM_RSRC2:TGID_Z_EN: 0
; COMPUTE_PGM_RSRC2:TIDIG_COMP_CNT: 0
; COMPUTE_PGM_RSRC3_GFX90A:ACCUM_OFFSET: 0
; COMPUTE_PGM_RSRC3_GFX90A:TG_SPLIT: 0
	.section	.text._ZN7rocprim17ROCPRIM_400000_NS6detail17trampoline_kernelINS0_13select_configILj256ELj13ELNS0_17block_load_methodE3ELS4_3ELS4_3ELNS0_20block_scan_algorithmE0ELj4294967295EEENS1_25partition_config_selectorILNS1_17partition_subalgoE3EjNS0_10empty_typeEbEEZZNS1_14partition_implILS8_3ELb0ES6_jNS0_17counting_iteratorIjlEEPS9_SE_NS0_5tupleIJPjSE_EEENSF_IJSE_SE_EEES9_SG_JZNS1_25segmented_radix_sort_implINS0_14default_configELb1EPKhPhPKlPlN2at6native12_GLOBAL__N_18offset_tEEE10hipError_tPvRmT1_PNSt15iterator_traitsISY_E10value_typeET2_T3_PNSZ_IS14_E10value_typeET4_jRbjT5_S1A_jjP12ihipStream_tbEUljE_EEESV_SW_SX_S14_S18_S1A_T6_T7_T9_mT8_S1C_bDpT10_ENKUlT_T0_E_clISt17integral_constantIbLb1EES1P_EEDaS1K_S1L_EUlS1K_E_NS1_11comp_targetILNS1_3genE2ELNS1_11target_archE906ELNS1_3gpuE6ELNS1_3repE0EEENS1_30default_config_static_selectorELNS0_4arch9wavefront6targetE1EEEvSY_,"axG",@progbits,_ZN7rocprim17ROCPRIM_400000_NS6detail17trampoline_kernelINS0_13select_configILj256ELj13ELNS0_17block_load_methodE3ELS4_3ELS4_3ELNS0_20block_scan_algorithmE0ELj4294967295EEENS1_25partition_config_selectorILNS1_17partition_subalgoE3EjNS0_10empty_typeEbEEZZNS1_14partition_implILS8_3ELb0ES6_jNS0_17counting_iteratorIjlEEPS9_SE_NS0_5tupleIJPjSE_EEENSF_IJSE_SE_EEES9_SG_JZNS1_25segmented_radix_sort_implINS0_14default_configELb1EPKhPhPKlPlN2at6native12_GLOBAL__N_18offset_tEEE10hipError_tPvRmT1_PNSt15iterator_traitsISY_E10value_typeET2_T3_PNSZ_IS14_E10value_typeET4_jRbjT5_S1A_jjP12ihipStream_tbEUljE_EEESV_SW_SX_S14_S18_S1A_T6_T7_T9_mT8_S1C_bDpT10_ENKUlT_T0_E_clISt17integral_constantIbLb1EES1P_EEDaS1K_S1L_EUlS1K_E_NS1_11comp_targetILNS1_3genE2ELNS1_11target_archE906ELNS1_3gpuE6ELNS1_3repE0EEENS1_30default_config_static_selectorELNS0_4arch9wavefront6targetE1EEEvSY_,comdat
	.globl	_ZN7rocprim17ROCPRIM_400000_NS6detail17trampoline_kernelINS0_13select_configILj256ELj13ELNS0_17block_load_methodE3ELS4_3ELS4_3ELNS0_20block_scan_algorithmE0ELj4294967295EEENS1_25partition_config_selectorILNS1_17partition_subalgoE3EjNS0_10empty_typeEbEEZZNS1_14partition_implILS8_3ELb0ES6_jNS0_17counting_iteratorIjlEEPS9_SE_NS0_5tupleIJPjSE_EEENSF_IJSE_SE_EEES9_SG_JZNS1_25segmented_radix_sort_implINS0_14default_configELb1EPKhPhPKlPlN2at6native12_GLOBAL__N_18offset_tEEE10hipError_tPvRmT1_PNSt15iterator_traitsISY_E10value_typeET2_T3_PNSZ_IS14_E10value_typeET4_jRbjT5_S1A_jjP12ihipStream_tbEUljE_EEESV_SW_SX_S14_S18_S1A_T6_T7_T9_mT8_S1C_bDpT10_ENKUlT_T0_E_clISt17integral_constantIbLb1EES1P_EEDaS1K_S1L_EUlS1K_E_NS1_11comp_targetILNS1_3genE2ELNS1_11target_archE906ELNS1_3gpuE6ELNS1_3repE0EEENS1_30default_config_static_selectorELNS0_4arch9wavefront6targetE1EEEvSY_ ; -- Begin function _ZN7rocprim17ROCPRIM_400000_NS6detail17trampoline_kernelINS0_13select_configILj256ELj13ELNS0_17block_load_methodE3ELS4_3ELS4_3ELNS0_20block_scan_algorithmE0ELj4294967295EEENS1_25partition_config_selectorILNS1_17partition_subalgoE3EjNS0_10empty_typeEbEEZZNS1_14partition_implILS8_3ELb0ES6_jNS0_17counting_iteratorIjlEEPS9_SE_NS0_5tupleIJPjSE_EEENSF_IJSE_SE_EEES9_SG_JZNS1_25segmented_radix_sort_implINS0_14default_configELb1EPKhPhPKlPlN2at6native12_GLOBAL__N_18offset_tEEE10hipError_tPvRmT1_PNSt15iterator_traitsISY_E10value_typeET2_T3_PNSZ_IS14_E10value_typeET4_jRbjT5_S1A_jjP12ihipStream_tbEUljE_EEESV_SW_SX_S14_S18_S1A_T6_T7_T9_mT8_S1C_bDpT10_ENKUlT_T0_E_clISt17integral_constantIbLb1EES1P_EEDaS1K_S1L_EUlS1K_E_NS1_11comp_targetILNS1_3genE2ELNS1_11target_archE906ELNS1_3gpuE6ELNS1_3repE0EEENS1_30default_config_static_selectorELNS0_4arch9wavefront6targetE1EEEvSY_
	.p2align	8
	.type	_ZN7rocprim17ROCPRIM_400000_NS6detail17trampoline_kernelINS0_13select_configILj256ELj13ELNS0_17block_load_methodE3ELS4_3ELS4_3ELNS0_20block_scan_algorithmE0ELj4294967295EEENS1_25partition_config_selectorILNS1_17partition_subalgoE3EjNS0_10empty_typeEbEEZZNS1_14partition_implILS8_3ELb0ES6_jNS0_17counting_iteratorIjlEEPS9_SE_NS0_5tupleIJPjSE_EEENSF_IJSE_SE_EEES9_SG_JZNS1_25segmented_radix_sort_implINS0_14default_configELb1EPKhPhPKlPlN2at6native12_GLOBAL__N_18offset_tEEE10hipError_tPvRmT1_PNSt15iterator_traitsISY_E10value_typeET2_T3_PNSZ_IS14_E10value_typeET4_jRbjT5_S1A_jjP12ihipStream_tbEUljE_EEESV_SW_SX_S14_S18_S1A_T6_T7_T9_mT8_S1C_bDpT10_ENKUlT_T0_E_clISt17integral_constantIbLb1EES1P_EEDaS1K_S1L_EUlS1K_E_NS1_11comp_targetILNS1_3genE2ELNS1_11target_archE906ELNS1_3gpuE6ELNS1_3repE0EEENS1_30default_config_static_selectorELNS0_4arch9wavefront6targetE1EEEvSY_,@function
_ZN7rocprim17ROCPRIM_400000_NS6detail17trampoline_kernelINS0_13select_configILj256ELj13ELNS0_17block_load_methodE3ELS4_3ELS4_3ELNS0_20block_scan_algorithmE0ELj4294967295EEENS1_25partition_config_selectorILNS1_17partition_subalgoE3EjNS0_10empty_typeEbEEZZNS1_14partition_implILS8_3ELb0ES6_jNS0_17counting_iteratorIjlEEPS9_SE_NS0_5tupleIJPjSE_EEENSF_IJSE_SE_EEES9_SG_JZNS1_25segmented_radix_sort_implINS0_14default_configELb1EPKhPhPKlPlN2at6native12_GLOBAL__N_18offset_tEEE10hipError_tPvRmT1_PNSt15iterator_traitsISY_E10value_typeET2_T3_PNSZ_IS14_E10value_typeET4_jRbjT5_S1A_jjP12ihipStream_tbEUljE_EEESV_SW_SX_S14_S18_S1A_T6_T7_T9_mT8_S1C_bDpT10_ENKUlT_T0_E_clISt17integral_constantIbLb1EES1P_EEDaS1K_S1L_EUlS1K_E_NS1_11comp_targetILNS1_3genE2ELNS1_11target_archE906ELNS1_3gpuE6ELNS1_3repE0EEENS1_30default_config_static_selectorELNS0_4arch9wavefront6targetE1EEEvSY_: ; @_ZN7rocprim17ROCPRIM_400000_NS6detail17trampoline_kernelINS0_13select_configILj256ELj13ELNS0_17block_load_methodE3ELS4_3ELS4_3ELNS0_20block_scan_algorithmE0ELj4294967295EEENS1_25partition_config_selectorILNS1_17partition_subalgoE3EjNS0_10empty_typeEbEEZZNS1_14partition_implILS8_3ELb0ES6_jNS0_17counting_iteratorIjlEEPS9_SE_NS0_5tupleIJPjSE_EEENSF_IJSE_SE_EEES9_SG_JZNS1_25segmented_radix_sort_implINS0_14default_configELb1EPKhPhPKlPlN2at6native12_GLOBAL__N_18offset_tEEE10hipError_tPvRmT1_PNSt15iterator_traitsISY_E10value_typeET2_T3_PNSZ_IS14_E10value_typeET4_jRbjT5_S1A_jjP12ihipStream_tbEUljE_EEESV_SW_SX_S14_S18_S1A_T6_T7_T9_mT8_S1C_bDpT10_ENKUlT_T0_E_clISt17integral_constantIbLb1EES1P_EEDaS1K_S1L_EUlS1K_E_NS1_11comp_targetILNS1_3genE2ELNS1_11target_archE906ELNS1_3gpuE6ELNS1_3repE0EEENS1_30default_config_static_selectorELNS0_4arch9wavefront6targetE1EEEvSY_
; %bb.0:
	.section	.rodata,"a",@progbits
	.p2align	6, 0x0
	.amdhsa_kernel _ZN7rocprim17ROCPRIM_400000_NS6detail17trampoline_kernelINS0_13select_configILj256ELj13ELNS0_17block_load_methodE3ELS4_3ELS4_3ELNS0_20block_scan_algorithmE0ELj4294967295EEENS1_25partition_config_selectorILNS1_17partition_subalgoE3EjNS0_10empty_typeEbEEZZNS1_14partition_implILS8_3ELb0ES6_jNS0_17counting_iteratorIjlEEPS9_SE_NS0_5tupleIJPjSE_EEENSF_IJSE_SE_EEES9_SG_JZNS1_25segmented_radix_sort_implINS0_14default_configELb1EPKhPhPKlPlN2at6native12_GLOBAL__N_18offset_tEEE10hipError_tPvRmT1_PNSt15iterator_traitsISY_E10value_typeET2_T3_PNSZ_IS14_E10value_typeET4_jRbjT5_S1A_jjP12ihipStream_tbEUljE_EEESV_SW_SX_S14_S18_S1A_T6_T7_T9_mT8_S1C_bDpT10_ENKUlT_T0_E_clISt17integral_constantIbLb1EES1P_EEDaS1K_S1L_EUlS1K_E_NS1_11comp_targetILNS1_3genE2ELNS1_11target_archE906ELNS1_3gpuE6ELNS1_3repE0EEENS1_30default_config_static_selectorELNS0_4arch9wavefront6targetE1EEEvSY_
		.amdhsa_group_segment_fixed_size 0
		.amdhsa_private_segment_fixed_size 0
		.amdhsa_kernarg_size 152
		.amdhsa_user_sgpr_count 6
		.amdhsa_user_sgpr_private_segment_buffer 1
		.amdhsa_user_sgpr_dispatch_ptr 0
		.amdhsa_user_sgpr_queue_ptr 0
		.amdhsa_user_sgpr_kernarg_segment_ptr 1
		.amdhsa_user_sgpr_dispatch_id 0
		.amdhsa_user_sgpr_flat_scratch_init 0
		.amdhsa_user_sgpr_kernarg_preload_length 0
		.amdhsa_user_sgpr_kernarg_preload_offset 0
		.amdhsa_user_sgpr_private_segment_size 0
		.amdhsa_uses_dynamic_stack 0
		.amdhsa_system_sgpr_private_segment_wavefront_offset 0
		.amdhsa_system_sgpr_workgroup_id_x 1
		.amdhsa_system_sgpr_workgroup_id_y 0
		.amdhsa_system_sgpr_workgroup_id_z 0
		.amdhsa_system_sgpr_workgroup_info 0
		.amdhsa_system_vgpr_workitem_id 0
		.amdhsa_next_free_vgpr 1
		.amdhsa_next_free_sgpr 0
		.amdhsa_accum_offset 4
		.amdhsa_reserve_vcc 0
		.amdhsa_reserve_flat_scratch 0
		.amdhsa_float_round_mode_32 0
		.amdhsa_float_round_mode_16_64 0
		.amdhsa_float_denorm_mode_32 3
		.amdhsa_float_denorm_mode_16_64 3
		.amdhsa_dx10_clamp 1
		.amdhsa_ieee_mode 1
		.amdhsa_fp16_overflow 0
		.amdhsa_tg_split 0
		.amdhsa_exception_fp_ieee_invalid_op 0
		.amdhsa_exception_fp_denorm_src 0
		.amdhsa_exception_fp_ieee_div_zero 0
		.amdhsa_exception_fp_ieee_overflow 0
		.amdhsa_exception_fp_ieee_underflow 0
		.amdhsa_exception_fp_ieee_inexact 0
		.amdhsa_exception_int_div_zero 0
	.end_amdhsa_kernel
	.section	.text._ZN7rocprim17ROCPRIM_400000_NS6detail17trampoline_kernelINS0_13select_configILj256ELj13ELNS0_17block_load_methodE3ELS4_3ELS4_3ELNS0_20block_scan_algorithmE0ELj4294967295EEENS1_25partition_config_selectorILNS1_17partition_subalgoE3EjNS0_10empty_typeEbEEZZNS1_14partition_implILS8_3ELb0ES6_jNS0_17counting_iteratorIjlEEPS9_SE_NS0_5tupleIJPjSE_EEENSF_IJSE_SE_EEES9_SG_JZNS1_25segmented_radix_sort_implINS0_14default_configELb1EPKhPhPKlPlN2at6native12_GLOBAL__N_18offset_tEEE10hipError_tPvRmT1_PNSt15iterator_traitsISY_E10value_typeET2_T3_PNSZ_IS14_E10value_typeET4_jRbjT5_S1A_jjP12ihipStream_tbEUljE_EEESV_SW_SX_S14_S18_S1A_T6_T7_T9_mT8_S1C_bDpT10_ENKUlT_T0_E_clISt17integral_constantIbLb1EES1P_EEDaS1K_S1L_EUlS1K_E_NS1_11comp_targetILNS1_3genE2ELNS1_11target_archE906ELNS1_3gpuE6ELNS1_3repE0EEENS1_30default_config_static_selectorELNS0_4arch9wavefront6targetE1EEEvSY_,"axG",@progbits,_ZN7rocprim17ROCPRIM_400000_NS6detail17trampoline_kernelINS0_13select_configILj256ELj13ELNS0_17block_load_methodE3ELS4_3ELS4_3ELNS0_20block_scan_algorithmE0ELj4294967295EEENS1_25partition_config_selectorILNS1_17partition_subalgoE3EjNS0_10empty_typeEbEEZZNS1_14partition_implILS8_3ELb0ES6_jNS0_17counting_iteratorIjlEEPS9_SE_NS0_5tupleIJPjSE_EEENSF_IJSE_SE_EEES9_SG_JZNS1_25segmented_radix_sort_implINS0_14default_configELb1EPKhPhPKlPlN2at6native12_GLOBAL__N_18offset_tEEE10hipError_tPvRmT1_PNSt15iterator_traitsISY_E10value_typeET2_T3_PNSZ_IS14_E10value_typeET4_jRbjT5_S1A_jjP12ihipStream_tbEUljE_EEESV_SW_SX_S14_S18_S1A_T6_T7_T9_mT8_S1C_bDpT10_ENKUlT_T0_E_clISt17integral_constantIbLb1EES1P_EEDaS1K_S1L_EUlS1K_E_NS1_11comp_targetILNS1_3genE2ELNS1_11target_archE906ELNS1_3gpuE6ELNS1_3repE0EEENS1_30default_config_static_selectorELNS0_4arch9wavefront6targetE1EEEvSY_,comdat
.Lfunc_end61:
	.size	_ZN7rocprim17ROCPRIM_400000_NS6detail17trampoline_kernelINS0_13select_configILj256ELj13ELNS0_17block_load_methodE3ELS4_3ELS4_3ELNS0_20block_scan_algorithmE0ELj4294967295EEENS1_25partition_config_selectorILNS1_17partition_subalgoE3EjNS0_10empty_typeEbEEZZNS1_14partition_implILS8_3ELb0ES6_jNS0_17counting_iteratorIjlEEPS9_SE_NS0_5tupleIJPjSE_EEENSF_IJSE_SE_EEES9_SG_JZNS1_25segmented_radix_sort_implINS0_14default_configELb1EPKhPhPKlPlN2at6native12_GLOBAL__N_18offset_tEEE10hipError_tPvRmT1_PNSt15iterator_traitsISY_E10value_typeET2_T3_PNSZ_IS14_E10value_typeET4_jRbjT5_S1A_jjP12ihipStream_tbEUljE_EEESV_SW_SX_S14_S18_S1A_T6_T7_T9_mT8_S1C_bDpT10_ENKUlT_T0_E_clISt17integral_constantIbLb1EES1P_EEDaS1K_S1L_EUlS1K_E_NS1_11comp_targetILNS1_3genE2ELNS1_11target_archE906ELNS1_3gpuE6ELNS1_3repE0EEENS1_30default_config_static_selectorELNS0_4arch9wavefront6targetE1EEEvSY_, .Lfunc_end61-_ZN7rocprim17ROCPRIM_400000_NS6detail17trampoline_kernelINS0_13select_configILj256ELj13ELNS0_17block_load_methodE3ELS4_3ELS4_3ELNS0_20block_scan_algorithmE0ELj4294967295EEENS1_25partition_config_selectorILNS1_17partition_subalgoE3EjNS0_10empty_typeEbEEZZNS1_14partition_implILS8_3ELb0ES6_jNS0_17counting_iteratorIjlEEPS9_SE_NS0_5tupleIJPjSE_EEENSF_IJSE_SE_EEES9_SG_JZNS1_25segmented_radix_sort_implINS0_14default_configELb1EPKhPhPKlPlN2at6native12_GLOBAL__N_18offset_tEEE10hipError_tPvRmT1_PNSt15iterator_traitsISY_E10value_typeET2_T3_PNSZ_IS14_E10value_typeET4_jRbjT5_S1A_jjP12ihipStream_tbEUljE_EEESV_SW_SX_S14_S18_S1A_T6_T7_T9_mT8_S1C_bDpT10_ENKUlT_T0_E_clISt17integral_constantIbLb1EES1P_EEDaS1K_S1L_EUlS1K_E_NS1_11comp_targetILNS1_3genE2ELNS1_11target_archE906ELNS1_3gpuE6ELNS1_3repE0EEENS1_30default_config_static_selectorELNS0_4arch9wavefront6targetE1EEEvSY_
                                        ; -- End function
	.section	.AMDGPU.csdata,"",@progbits
; Kernel info:
; codeLenInByte = 0
; NumSgprs: 4
; NumVgprs: 0
; NumAgprs: 0
; TotalNumVgprs: 0
; ScratchSize: 0
; MemoryBound: 0
; FloatMode: 240
; IeeeMode: 1
; LDSByteSize: 0 bytes/workgroup (compile time only)
; SGPRBlocks: 0
; VGPRBlocks: 0
; NumSGPRsForWavesPerEU: 4
; NumVGPRsForWavesPerEU: 1
; AccumOffset: 4
; Occupancy: 8
; WaveLimiterHint : 0
; COMPUTE_PGM_RSRC2:SCRATCH_EN: 0
; COMPUTE_PGM_RSRC2:USER_SGPR: 6
; COMPUTE_PGM_RSRC2:TRAP_HANDLER: 0
; COMPUTE_PGM_RSRC2:TGID_X_EN: 1
; COMPUTE_PGM_RSRC2:TGID_Y_EN: 0
; COMPUTE_PGM_RSRC2:TGID_Z_EN: 0
; COMPUTE_PGM_RSRC2:TIDIG_COMP_CNT: 0
; COMPUTE_PGM_RSRC3_GFX90A:ACCUM_OFFSET: 0
; COMPUTE_PGM_RSRC3_GFX90A:TG_SPLIT: 0
	.section	.text._ZN7rocprim17ROCPRIM_400000_NS6detail17trampoline_kernelINS0_13select_configILj256ELj13ELNS0_17block_load_methodE3ELS4_3ELS4_3ELNS0_20block_scan_algorithmE0ELj4294967295EEENS1_25partition_config_selectorILNS1_17partition_subalgoE3EjNS0_10empty_typeEbEEZZNS1_14partition_implILS8_3ELb0ES6_jNS0_17counting_iteratorIjlEEPS9_SE_NS0_5tupleIJPjSE_EEENSF_IJSE_SE_EEES9_SG_JZNS1_25segmented_radix_sort_implINS0_14default_configELb1EPKhPhPKlPlN2at6native12_GLOBAL__N_18offset_tEEE10hipError_tPvRmT1_PNSt15iterator_traitsISY_E10value_typeET2_T3_PNSZ_IS14_E10value_typeET4_jRbjT5_S1A_jjP12ihipStream_tbEUljE_EEESV_SW_SX_S14_S18_S1A_T6_T7_T9_mT8_S1C_bDpT10_ENKUlT_T0_E_clISt17integral_constantIbLb1EES1P_EEDaS1K_S1L_EUlS1K_E_NS1_11comp_targetILNS1_3genE10ELNS1_11target_archE1200ELNS1_3gpuE4ELNS1_3repE0EEENS1_30default_config_static_selectorELNS0_4arch9wavefront6targetE1EEEvSY_,"axG",@progbits,_ZN7rocprim17ROCPRIM_400000_NS6detail17trampoline_kernelINS0_13select_configILj256ELj13ELNS0_17block_load_methodE3ELS4_3ELS4_3ELNS0_20block_scan_algorithmE0ELj4294967295EEENS1_25partition_config_selectorILNS1_17partition_subalgoE3EjNS0_10empty_typeEbEEZZNS1_14partition_implILS8_3ELb0ES6_jNS0_17counting_iteratorIjlEEPS9_SE_NS0_5tupleIJPjSE_EEENSF_IJSE_SE_EEES9_SG_JZNS1_25segmented_radix_sort_implINS0_14default_configELb1EPKhPhPKlPlN2at6native12_GLOBAL__N_18offset_tEEE10hipError_tPvRmT1_PNSt15iterator_traitsISY_E10value_typeET2_T3_PNSZ_IS14_E10value_typeET4_jRbjT5_S1A_jjP12ihipStream_tbEUljE_EEESV_SW_SX_S14_S18_S1A_T6_T7_T9_mT8_S1C_bDpT10_ENKUlT_T0_E_clISt17integral_constantIbLb1EES1P_EEDaS1K_S1L_EUlS1K_E_NS1_11comp_targetILNS1_3genE10ELNS1_11target_archE1200ELNS1_3gpuE4ELNS1_3repE0EEENS1_30default_config_static_selectorELNS0_4arch9wavefront6targetE1EEEvSY_,comdat
	.globl	_ZN7rocprim17ROCPRIM_400000_NS6detail17trampoline_kernelINS0_13select_configILj256ELj13ELNS0_17block_load_methodE3ELS4_3ELS4_3ELNS0_20block_scan_algorithmE0ELj4294967295EEENS1_25partition_config_selectorILNS1_17partition_subalgoE3EjNS0_10empty_typeEbEEZZNS1_14partition_implILS8_3ELb0ES6_jNS0_17counting_iteratorIjlEEPS9_SE_NS0_5tupleIJPjSE_EEENSF_IJSE_SE_EEES9_SG_JZNS1_25segmented_radix_sort_implINS0_14default_configELb1EPKhPhPKlPlN2at6native12_GLOBAL__N_18offset_tEEE10hipError_tPvRmT1_PNSt15iterator_traitsISY_E10value_typeET2_T3_PNSZ_IS14_E10value_typeET4_jRbjT5_S1A_jjP12ihipStream_tbEUljE_EEESV_SW_SX_S14_S18_S1A_T6_T7_T9_mT8_S1C_bDpT10_ENKUlT_T0_E_clISt17integral_constantIbLb1EES1P_EEDaS1K_S1L_EUlS1K_E_NS1_11comp_targetILNS1_3genE10ELNS1_11target_archE1200ELNS1_3gpuE4ELNS1_3repE0EEENS1_30default_config_static_selectorELNS0_4arch9wavefront6targetE1EEEvSY_ ; -- Begin function _ZN7rocprim17ROCPRIM_400000_NS6detail17trampoline_kernelINS0_13select_configILj256ELj13ELNS0_17block_load_methodE3ELS4_3ELS4_3ELNS0_20block_scan_algorithmE0ELj4294967295EEENS1_25partition_config_selectorILNS1_17partition_subalgoE3EjNS0_10empty_typeEbEEZZNS1_14partition_implILS8_3ELb0ES6_jNS0_17counting_iteratorIjlEEPS9_SE_NS0_5tupleIJPjSE_EEENSF_IJSE_SE_EEES9_SG_JZNS1_25segmented_radix_sort_implINS0_14default_configELb1EPKhPhPKlPlN2at6native12_GLOBAL__N_18offset_tEEE10hipError_tPvRmT1_PNSt15iterator_traitsISY_E10value_typeET2_T3_PNSZ_IS14_E10value_typeET4_jRbjT5_S1A_jjP12ihipStream_tbEUljE_EEESV_SW_SX_S14_S18_S1A_T6_T7_T9_mT8_S1C_bDpT10_ENKUlT_T0_E_clISt17integral_constantIbLb1EES1P_EEDaS1K_S1L_EUlS1K_E_NS1_11comp_targetILNS1_3genE10ELNS1_11target_archE1200ELNS1_3gpuE4ELNS1_3repE0EEENS1_30default_config_static_selectorELNS0_4arch9wavefront6targetE1EEEvSY_
	.p2align	8
	.type	_ZN7rocprim17ROCPRIM_400000_NS6detail17trampoline_kernelINS0_13select_configILj256ELj13ELNS0_17block_load_methodE3ELS4_3ELS4_3ELNS0_20block_scan_algorithmE0ELj4294967295EEENS1_25partition_config_selectorILNS1_17partition_subalgoE3EjNS0_10empty_typeEbEEZZNS1_14partition_implILS8_3ELb0ES6_jNS0_17counting_iteratorIjlEEPS9_SE_NS0_5tupleIJPjSE_EEENSF_IJSE_SE_EEES9_SG_JZNS1_25segmented_radix_sort_implINS0_14default_configELb1EPKhPhPKlPlN2at6native12_GLOBAL__N_18offset_tEEE10hipError_tPvRmT1_PNSt15iterator_traitsISY_E10value_typeET2_T3_PNSZ_IS14_E10value_typeET4_jRbjT5_S1A_jjP12ihipStream_tbEUljE_EEESV_SW_SX_S14_S18_S1A_T6_T7_T9_mT8_S1C_bDpT10_ENKUlT_T0_E_clISt17integral_constantIbLb1EES1P_EEDaS1K_S1L_EUlS1K_E_NS1_11comp_targetILNS1_3genE10ELNS1_11target_archE1200ELNS1_3gpuE4ELNS1_3repE0EEENS1_30default_config_static_selectorELNS0_4arch9wavefront6targetE1EEEvSY_,@function
_ZN7rocprim17ROCPRIM_400000_NS6detail17trampoline_kernelINS0_13select_configILj256ELj13ELNS0_17block_load_methodE3ELS4_3ELS4_3ELNS0_20block_scan_algorithmE0ELj4294967295EEENS1_25partition_config_selectorILNS1_17partition_subalgoE3EjNS0_10empty_typeEbEEZZNS1_14partition_implILS8_3ELb0ES6_jNS0_17counting_iteratorIjlEEPS9_SE_NS0_5tupleIJPjSE_EEENSF_IJSE_SE_EEES9_SG_JZNS1_25segmented_radix_sort_implINS0_14default_configELb1EPKhPhPKlPlN2at6native12_GLOBAL__N_18offset_tEEE10hipError_tPvRmT1_PNSt15iterator_traitsISY_E10value_typeET2_T3_PNSZ_IS14_E10value_typeET4_jRbjT5_S1A_jjP12ihipStream_tbEUljE_EEESV_SW_SX_S14_S18_S1A_T6_T7_T9_mT8_S1C_bDpT10_ENKUlT_T0_E_clISt17integral_constantIbLb1EES1P_EEDaS1K_S1L_EUlS1K_E_NS1_11comp_targetILNS1_3genE10ELNS1_11target_archE1200ELNS1_3gpuE4ELNS1_3repE0EEENS1_30default_config_static_selectorELNS0_4arch9wavefront6targetE1EEEvSY_: ; @_ZN7rocprim17ROCPRIM_400000_NS6detail17trampoline_kernelINS0_13select_configILj256ELj13ELNS0_17block_load_methodE3ELS4_3ELS4_3ELNS0_20block_scan_algorithmE0ELj4294967295EEENS1_25partition_config_selectorILNS1_17partition_subalgoE3EjNS0_10empty_typeEbEEZZNS1_14partition_implILS8_3ELb0ES6_jNS0_17counting_iteratorIjlEEPS9_SE_NS0_5tupleIJPjSE_EEENSF_IJSE_SE_EEES9_SG_JZNS1_25segmented_radix_sort_implINS0_14default_configELb1EPKhPhPKlPlN2at6native12_GLOBAL__N_18offset_tEEE10hipError_tPvRmT1_PNSt15iterator_traitsISY_E10value_typeET2_T3_PNSZ_IS14_E10value_typeET4_jRbjT5_S1A_jjP12ihipStream_tbEUljE_EEESV_SW_SX_S14_S18_S1A_T6_T7_T9_mT8_S1C_bDpT10_ENKUlT_T0_E_clISt17integral_constantIbLb1EES1P_EEDaS1K_S1L_EUlS1K_E_NS1_11comp_targetILNS1_3genE10ELNS1_11target_archE1200ELNS1_3gpuE4ELNS1_3repE0EEENS1_30default_config_static_selectorELNS0_4arch9wavefront6targetE1EEEvSY_
; %bb.0:
	.section	.rodata,"a",@progbits
	.p2align	6, 0x0
	.amdhsa_kernel _ZN7rocprim17ROCPRIM_400000_NS6detail17trampoline_kernelINS0_13select_configILj256ELj13ELNS0_17block_load_methodE3ELS4_3ELS4_3ELNS0_20block_scan_algorithmE0ELj4294967295EEENS1_25partition_config_selectorILNS1_17partition_subalgoE3EjNS0_10empty_typeEbEEZZNS1_14partition_implILS8_3ELb0ES6_jNS0_17counting_iteratorIjlEEPS9_SE_NS0_5tupleIJPjSE_EEENSF_IJSE_SE_EEES9_SG_JZNS1_25segmented_radix_sort_implINS0_14default_configELb1EPKhPhPKlPlN2at6native12_GLOBAL__N_18offset_tEEE10hipError_tPvRmT1_PNSt15iterator_traitsISY_E10value_typeET2_T3_PNSZ_IS14_E10value_typeET4_jRbjT5_S1A_jjP12ihipStream_tbEUljE_EEESV_SW_SX_S14_S18_S1A_T6_T7_T9_mT8_S1C_bDpT10_ENKUlT_T0_E_clISt17integral_constantIbLb1EES1P_EEDaS1K_S1L_EUlS1K_E_NS1_11comp_targetILNS1_3genE10ELNS1_11target_archE1200ELNS1_3gpuE4ELNS1_3repE0EEENS1_30default_config_static_selectorELNS0_4arch9wavefront6targetE1EEEvSY_
		.amdhsa_group_segment_fixed_size 0
		.amdhsa_private_segment_fixed_size 0
		.amdhsa_kernarg_size 152
		.amdhsa_user_sgpr_count 6
		.amdhsa_user_sgpr_private_segment_buffer 1
		.amdhsa_user_sgpr_dispatch_ptr 0
		.amdhsa_user_sgpr_queue_ptr 0
		.amdhsa_user_sgpr_kernarg_segment_ptr 1
		.amdhsa_user_sgpr_dispatch_id 0
		.amdhsa_user_sgpr_flat_scratch_init 0
		.amdhsa_user_sgpr_kernarg_preload_length 0
		.amdhsa_user_sgpr_kernarg_preload_offset 0
		.amdhsa_user_sgpr_private_segment_size 0
		.amdhsa_uses_dynamic_stack 0
		.amdhsa_system_sgpr_private_segment_wavefront_offset 0
		.amdhsa_system_sgpr_workgroup_id_x 1
		.amdhsa_system_sgpr_workgroup_id_y 0
		.amdhsa_system_sgpr_workgroup_id_z 0
		.amdhsa_system_sgpr_workgroup_info 0
		.amdhsa_system_vgpr_workitem_id 0
		.amdhsa_next_free_vgpr 1
		.amdhsa_next_free_sgpr 0
		.amdhsa_accum_offset 4
		.amdhsa_reserve_vcc 0
		.amdhsa_reserve_flat_scratch 0
		.amdhsa_float_round_mode_32 0
		.amdhsa_float_round_mode_16_64 0
		.amdhsa_float_denorm_mode_32 3
		.amdhsa_float_denorm_mode_16_64 3
		.amdhsa_dx10_clamp 1
		.amdhsa_ieee_mode 1
		.amdhsa_fp16_overflow 0
		.amdhsa_tg_split 0
		.amdhsa_exception_fp_ieee_invalid_op 0
		.amdhsa_exception_fp_denorm_src 0
		.amdhsa_exception_fp_ieee_div_zero 0
		.amdhsa_exception_fp_ieee_overflow 0
		.amdhsa_exception_fp_ieee_underflow 0
		.amdhsa_exception_fp_ieee_inexact 0
		.amdhsa_exception_int_div_zero 0
	.end_amdhsa_kernel
	.section	.text._ZN7rocprim17ROCPRIM_400000_NS6detail17trampoline_kernelINS0_13select_configILj256ELj13ELNS0_17block_load_methodE3ELS4_3ELS4_3ELNS0_20block_scan_algorithmE0ELj4294967295EEENS1_25partition_config_selectorILNS1_17partition_subalgoE3EjNS0_10empty_typeEbEEZZNS1_14partition_implILS8_3ELb0ES6_jNS0_17counting_iteratorIjlEEPS9_SE_NS0_5tupleIJPjSE_EEENSF_IJSE_SE_EEES9_SG_JZNS1_25segmented_radix_sort_implINS0_14default_configELb1EPKhPhPKlPlN2at6native12_GLOBAL__N_18offset_tEEE10hipError_tPvRmT1_PNSt15iterator_traitsISY_E10value_typeET2_T3_PNSZ_IS14_E10value_typeET4_jRbjT5_S1A_jjP12ihipStream_tbEUljE_EEESV_SW_SX_S14_S18_S1A_T6_T7_T9_mT8_S1C_bDpT10_ENKUlT_T0_E_clISt17integral_constantIbLb1EES1P_EEDaS1K_S1L_EUlS1K_E_NS1_11comp_targetILNS1_3genE10ELNS1_11target_archE1200ELNS1_3gpuE4ELNS1_3repE0EEENS1_30default_config_static_selectorELNS0_4arch9wavefront6targetE1EEEvSY_,"axG",@progbits,_ZN7rocprim17ROCPRIM_400000_NS6detail17trampoline_kernelINS0_13select_configILj256ELj13ELNS0_17block_load_methodE3ELS4_3ELS4_3ELNS0_20block_scan_algorithmE0ELj4294967295EEENS1_25partition_config_selectorILNS1_17partition_subalgoE3EjNS0_10empty_typeEbEEZZNS1_14partition_implILS8_3ELb0ES6_jNS0_17counting_iteratorIjlEEPS9_SE_NS0_5tupleIJPjSE_EEENSF_IJSE_SE_EEES9_SG_JZNS1_25segmented_radix_sort_implINS0_14default_configELb1EPKhPhPKlPlN2at6native12_GLOBAL__N_18offset_tEEE10hipError_tPvRmT1_PNSt15iterator_traitsISY_E10value_typeET2_T3_PNSZ_IS14_E10value_typeET4_jRbjT5_S1A_jjP12ihipStream_tbEUljE_EEESV_SW_SX_S14_S18_S1A_T6_T7_T9_mT8_S1C_bDpT10_ENKUlT_T0_E_clISt17integral_constantIbLb1EES1P_EEDaS1K_S1L_EUlS1K_E_NS1_11comp_targetILNS1_3genE10ELNS1_11target_archE1200ELNS1_3gpuE4ELNS1_3repE0EEENS1_30default_config_static_selectorELNS0_4arch9wavefront6targetE1EEEvSY_,comdat
.Lfunc_end62:
	.size	_ZN7rocprim17ROCPRIM_400000_NS6detail17trampoline_kernelINS0_13select_configILj256ELj13ELNS0_17block_load_methodE3ELS4_3ELS4_3ELNS0_20block_scan_algorithmE0ELj4294967295EEENS1_25partition_config_selectorILNS1_17partition_subalgoE3EjNS0_10empty_typeEbEEZZNS1_14partition_implILS8_3ELb0ES6_jNS0_17counting_iteratorIjlEEPS9_SE_NS0_5tupleIJPjSE_EEENSF_IJSE_SE_EEES9_SG_JZNS1_25segmented_radix_sort_implINS0_14default_configELb1EPKhPhPKlPlN2at6native12_GLOBAL__N_18offset_tEEE10hipError_tPvRmT1_PNSt15iterator_traitsISY_E10value_typeET2_T3_PNSZ_IS14_E10value_typeET4_jRbjT5_S1A_jjP12ihipStream_tbEUljE_EEESV_SW_SX_S14_S18_S1A_T6_T7_T9_mT8_S1C_bDpT10_ENKUlT_T0_E_clISt17integral_constantIbLb1EES1P_EEDaS1K_S1L_EUlS1K_E_NS1_11comp_targetILNS1_3genE10ELNS1_11target_archE1200ELNS1_3gpuE4ELNS1_3repE0EEENS1_30default_config_static_selectorELNS0_4arch9wavefront6targetE1EEEvSY_, .Lfunc_end62-_ZN7rocprim17ROCPRIM_400000_NS6detail17trampoline_kernelINS0_13select_configILj256ELj13ELNS0_17block_load_methodE3ELS4_3ELS4_3ELNS0_20block_scan_algorithmE0ELj4294967295EEENS1_25partition_config_selectorILNS1_17partition_subalgoE3EjNS0_10empty_typeEbEEZZNS1_14partition_implILS8_3ELb0ES6_jNS0_17counting_iteratorIjlEEPS9_SE_NS0_5tupleIJPjSE_EEENSF_IJSE_SE_EEES9_SG_JZNS1_25segmented_radix_sort_implINS0_14default_configELb1EPKhPhPKlPlN2at6native12_GLOBAL__N_18offset_tEEE10hipError_tPvRmT1_PNSt15iterator_traitsISY_E10value_typeET2_T3_PNSZ_IS14_E10value_typeET4_jRbjT5_S1A_jjP12ihipStream_tbEUljE_EEESV_SW_SX_S14_S18_S1A_T6_T7_T9_mT8_S1C_bDpT10_ENKUlT_T0_E_clISt17integral_constantIbLb1EES1P_EEDaS1K_S1L_EUlS1K_E_NS1_11comp_targetILNS1_3genE10ELNS1_11target_archE1200ELNS1_3gpuE4ELNS1_3repE0EEENS1_30default_config_static_selectorELNS0_4arch9wavefront6targetE1EEEvSY_
                                        ; -- End function
	.section	.AMDGPU.csdata,"",@progbits
; Kernel info:
; codeLenInByte = 0
; NumSgprs: 4
; NumVgprs: 0
; NumAgprs: 0
; TotalNumVgprs: 0
; ScratchSize: 0
; MemoryBound: 0
; FloatMode: 240
; IeeeMode: 1
; LDSByteSize: 0 bytes/workgroup (compile time only)
; SGPRBlocks: 0
; VGPRBlocks: 0
; NumSGPRsForWavesPerEU: 4
; NumVGPRsForWavesPerEU: 1
; AccumOffset: 4
; Occupancy: 8
; WaveLimiterHint : 0
; COMPUTE_PGM_RSRC2:SCRATCH_EN: 0
; COMPUTE_PGM_RSRC2:USER_SGPR: 6
; COMPUTE_PGM_RSRC2:TRAP_HANDLER: 0
; COMPUTE_PGM_RSRC2:TGID_X_EN: 1
; COMPUTE_PGM_RSRC2:TGID_Y_EN: 0
; COMPUTE_PGM_RSRC2:TGID_Z_EN: 0
; COMPUTE_PGM_RSRC2:TIDIG_COMP_CNT: 0
; COMPUTE_PGM_RSRC3_GFX90A:ACCUM_OFFSET: 0
; COMPUTE_PGM_RSRC3_GFX90A:TG_SPLIT: 0
	.section	.text._ZN7rocprim17ROCPRIM_400000_NS6detail17trampoline_kernelINS0_13select_configILj256ELj13ELNS0_17block_load_methodE3ELS4_3ELS4_3ELNS0_20block_scan_algorithmE0ELj4294967295EEENS1_25partition_config_selectorILNS1_17partition_subalgoE3EjNS0_10empty_typeEbEEZZNS1_14partition_implILS8_3ELb0ES6_jNS0_17counting_iteratorIjlEEPS9_SE_NS0_5tupleIJPjSE_EEENSF_IJSE_SE_EEES9_SG_JZNS1_25segmented_radix_sort_implINS0_14default_configELb1EPKhPhPKlPlN2at6native12_GLOBAL__N_18offset_tEEE10hipError_tPvRmT1_PNSt15iterator_traitsISY_E10value_typeET2_T3_PNSZ_IS14_E10value_typeET4_jRbjT5_S1A_jjP12ihipStream_tbEUljE_EEESV_SW_SX_S14_S18_S1A_T6_T7_T9_mT8_S1C_bDpT10_ENKUlT_T0_E_clISt17integral_constantIbLb1EES1P_EEDaS1K_S1L_EUlS1K_E_NS1_11comp_targetILNS1_3genE9ELNS1_11target_archE1100ELNS1_3gpuE3ELNS1_3repE0EEENS1_30default_config_static_selectorELNS0_4arch9wavefront6targetE1EEEvSY_,"axG",@progbits,_ZN7rocprim17ROCPRIM_400000_NS6detail17trampoline_kernelINS0_13select_configILj256ELj13ELNS0_17block_load_methodE3ELS4_3ELS4_3ELNS0_20block_scan_algorithmE0ELj4294967295EEENS1_25partition_config_selectorILNS1_17partition_subalgoE3EjNS0_10empty_typeEbEEZZNS1_14partition_implILS8_3ELb0ES6_jNS0_17counting_iteratorIjlEEPS9_SE_NS0_5tupleIJPjSE_EEENSF_IJSE_SE_EEES9_SG_JZNS1_25segmented_radix_sort_implINS0_14default_configELb1EPKhPhPKlPlN2at6native12_GLOBAL__N_18offset_tEEE10hipError_tPvRmT1_PNSt15iterator_traitsISY_E10value_typeET2_T3_PNSZ_IS14_E10value_typeET4_jRbjT5_S1A_jjP12ihipStream_tbEUljE_EEESV_SW_SX_S14_S18_S1A_T6_T7_T9_mT8_S1C_bDpT10_ENKUlT_T0_E_clISt17integral_constantIbLb1EES1P_EEDaS1K_S1L_EUlS1K_E_NS1_11comp_targetILNS1_3genE9ELNS1_11target_archE1100ELNS1_3gpuE3ELNS1_3repE0EEENS1_30default_config_static_selectorELNS0_4arch9wavefront6targetE1EEEvSY_,comdat
	.globl	_ZN7rocprim17ROCPRIM_400000_NS6detail17trampoline_kernelINS0_13select_configILj256ELj13ELNS0_17block_load_methodE3ELS4_3ELS4_3ELNS0_20block_scan_algorithmE0ELj4294967295EEENS1_25partition_config_selectorILNS1_17partition_subalgoE3EjNS0_10empty_typeEbEEZZNS1_14partition_implILS8_3ELb0ES6_jNS0_17counting_iteratorIjlEEPS9_SE_NS0_5tupleIJPjSE_EEENSF_IJSE_SE_EEES9_SG_JZNS1_25segmented_radix_sort_implINS0_14default_configELb1EPKhPhPKlPlN2at6native12_GLOBAL__N_18offset_tEEE10hipError_tPvRmT1_PNSt15iterator_traitsISY_E10value_typeET2_T3_PNSZ_IS14_E10value_typeET4_jRbjT5_S1A_jjP12ihipStream_tbEUljE_EEESV_SW_SX_S14_S18_S1A_T6_T7_T9_mT8_S1C_bDpT10_ENKUlT_T0_E_clISt17integral_constantIbLb1EES1P_EEDaS1K_S1L_EUlS1K_E_NS1_11comp_targetILNS1_3genE9ELNS1_11target_archE1100ELNS1_3gpuE3ELNS1_3repE0EEENS1_30default_config_static_selectorELNS0_4arch9wavefront6targetE1EEEvSY_ ; -- Begin function _ZN7rocprim17ROCPRIM_400000_NS6detail17trampoline_kernelINS0_13select_configILj256ELj13ELNS0_17block_load_methodE3ELS4_3ELS4_3ELNS0_20block_scan_algorithmE0ELj4294967295EEENS1_25partition_config_selectorILNS1_17partition_subalgoE3EjNS0_10empty_typeEbEEZZNS1_14partition_implILS8_3ELb0ES6_jNS0_17counting_iteratorIjlEEPS9_SE_NS0_5tupleIJPjSE_EEENSF_IJSE_SE_EEES9_SG_JZNS1_25segmented_radix_sort_implINS0_14default_configELb1EPKhPhPKlPlN2at6native12_GLOBAL__N_18offset_tEEE10hipError_tPvRmT1_PNSt15iterator_traitsISY_E10value_typeET2_T3_PNSZ_IS14_E10value_typeET4_jRbjT5_S1A_jjP12ihipStream_tbEUljE_EEESV_SW_SX_S14_S18_S1A_T6_T7_T9_mT8_S1C_bDpT10_ENKUlT_T0_E_clISt17integral_constantIbLb1EES1P_EEDaS1K_S1L_EUlS1K_E_NS1_11comp_targetILNS1_3genE9ELNS1_11target_archE1100ELNS1_3gpuE3ELNS1_3repE0EEENS1_30default_config_static_selectorELNS0_4arch9wavefront6targetE1EEEvSY_
	.p2align	8
	.type	_ZN7rocprim17ROCPRIM_400000_NS6detail17trampoline_kernelINS0_13select_configILj256ELj13ELNS0_17block_load_methodE3ELS4_3ELS4_3ELNS0_20block_scan_algorithmE0ELj4294967295EEENS1_25partition_config_selectorILNS1_17partition_subalgoE3EjNS0_10empty_typeEbEEZZNS1_14partition_implILS8_3ELb0ES6_jNS0_17counting_iteratorIjlEEPS9_SE_NS0_5tupleIJPjSE_EEENSF_IJSE_SE_EEES9_SG_JZNS1_25segmented_radix_sort_implINS0_14default_configELb1EPKhPhPKlPlN2at6native12_GLOBAL__N_18offset_tEEE10hipError_tPvRmT1_PNSt15iterator_traitsISY_E10value_typeET2_T3_PNSZ_IS14_E10value_typeET4_jRbjT5_S1A_jjP12ihipStream_tbEUljE_EEESV_SW_SX_S14_S18_S1A_T6_T7_T9_mT8_S1C_bDpT10_ENKUlT_T0_E_clISt17integral_constantIbLb1EES1P_EEDaS1K_S1L_EUlS1K_E_NS1_11comp_targetILNS1_3genE9ELNS1_11target_archE1100ELNS1_3gpuE3ELNS1_3repE0EEENS1_30default_config_static_selectorELNS0_4arch9wavefront6targetE1EEEvSY_,@function
_ZN7rocprim17ROCPRIM_400000_NS6detail17trampoline_kernelINS0_13select_configILj256ELj13ELNS0_17block_load_methodE3ELS4_3ELS4_3ELNS0_20block_scan_algorithmE0ELj4294967295EEENS1_25partition_config_selectorILNS1_17partition_subalgoE3EjNS0_10empty_typeEbEEZZNS1_14partition_implILS8_3ELb0ES6_jNS0_17counting_iteratorIjlEEPS9_SE_NS0_5tupleIJPjSE_EEENSF_IJSE_SE_EEES9_SG_JZNS1_25segmented_radix_sort_implINS0_14default_configELb1EPKhPhPKlPlN2at6native12_GLOBAL__N_18offset_tEEE10hipError_tPvRmT1_PNSt15iterator_traitsISY_E10value_typeET2_T3_PNSZ_IS14_E10value_typeET4_jRbjT5_S1A_jjP12ihipStream_tbEUljE_EEESV_SW_SX_S14_S18_S1A_T6_T7_T9_mT8_S1C_bDpT10_ENKUlT_T0_E_clISt17integral_constantIbLb1EES1P_EEDaS1K_S1L_EUlS1K_E_NS1_11comp_targetILNS1_3genE9ELNS1_11target_archE1100ELNS1_3gpuE3ELNS1_3repE0EEENS1_30default_config_static_selectorELNS0_4arch9wavefront6targetE1EEEvSY_: ; @_ZN7rocprim17ROCPRIM_400000_NS6detail17trampoline_kernelINS0_13select_configILj256ELj13ELNS0_17block_load_methodE3ELS4_3ELS4_3ELNS0_20block_scan_algorithmE0ELj4294967295EEENS1_25partition_config_selectorILNS1_17partition_subalgoE3EjNS0_10empty_typeEbEEZZNS1_14partition_implILS8_3ELb0ES6_jNS0_17counting_iteratorIjlEEPS9_SE_NS0_5tupleIJPjSE_EEENSF_IJSE_SE_EEES9_SG_JZNS1_25segmented_radix_sort_implINS0_14default_configELb1EPKhPhPKlPlN2at6native12_GLOBAL__N_18offset_tEEE10hipError_tPvRmT1_PNSt15iterator_traitsISY_E10value_typeET2_T3_PNSZ_IS14_E10value_typeET4_jRbjT5_S1A_jjP12ihipStream_tbEUljE_EEESV_SW_SX_S14_S18_S1A_T6_T7_T9_mT8_S1C_bDpT10_ENKUlT_T0_E_clISt17integral_constantIbLb1EES1P_EEDaS1K_S1L_EUlS1K_E_NS1_11comp_targetILNS1_3genE9ELNS1_11target_archE1100ELNS1_3gpuE3ELNS1_3repE0EEENS1_30default_config_static_selectorELNS0_4arch9wavefront6targetE1EEEvSY_
; %bb.0:
	.section	.rodata,"a",@progbits
	.p2align	6, 0x0
	.amdhsa_kernel _ZN7rocprim17ROCPRIM_400000_NS6detail17trampoline_kernelINS0_13select_configILj256ELj13ELNS0_17block_load_methodE3ELS4_3ELS4_3ELNS0_20block_scan_algorithmE0ELj4294967295EEENS1_25partition_config_selectorILNS1_17partition_subalgoE3EjNS0_10empty_typeEbEEZZNS1_14partition_implILS8_3ELb0ES6_jNS0_17counting_iteratorIjlEEPS9_SE_NS0_5tupleIJPjSE_EEENSF_IJSE_SE_EEES9_SG_JZNS1_25segmented_radix_sort_implINS0_14default_configELb1EPKhPhPKlPlN2at6native12_GLOBAL__N_18offset_tEEE10hipError_tPvRmT1_PNSt15iterator_traitsISY_E10value_typeET2_T3_PNSZ_IS14_E10value_typeET4_jRbjT5_S1A_jjP12ihipStream_tbEUljE_EEESV_SW_SX_S14_S18_S1A_T6_T7_T9_mT8_S1C_bDpT10_ENKUlT_T0_E_clISt17integral_constantIbLb1EES1P_EEDaS1K_S1L_EUlS1K_E_NS1_11comp_targetILNS1_3genE9ELNS1_11target_archE1100ELNS1_3gpuE3ELNS1_3repE0EEENS1_30default_config_static_selectorELNS0_4arch9wavefront6targetE1EEEvSY_
		.amdhsa_group_segment_fixed_size 0
		.amdhsa_private_segment_fixed_size 0
		.amdhsa_kernarg_size 152
		.amdhsa_user_sgpr_count 6
		.amdhsa_user_sgpr_private_segment_buffer 1
		.amdhsa_user_sgpr_dispatch_ptr 0
		.amdhsa_user_sgpr_queue_ptr 0
		.amdhsa_user_sgpr_kernarg_segment_ptr 1
		.amdhsa_user_sgpr_dispatch_id 0
		.amdhsa_user_sgpr_flat_scratch_init 0
		.amdhsa_user_sgpr_kernarg_preload_length 0
		.amdhsa_user_sgpr_kernarg_preload_offset 0
		.amdhsa_user_sgpr_private_segment_size 0
		.amdhsa_uses_dynamic_stack 0
		.amdhsa_system_sgpr_private_segment_wavefront_offset 0
		.amdhsa_system_sgpr_workgroup_id_x 1
		.amdhsa_system_sgpr_workgroup_id_y 0
		.amdhsa_system_sgpr_workgroup_id_z 0
		.amdhsa_system_sgpr_workgroup_info 0
		.amdhsa_system_vgpr_workitem_id 0
		.amdhsa_next_free_vgpr 1
		.amdhsa_next_free_sgpr 0
		.amdhsa_accum_offset 4
		.amdhsa_reserve_vcc 0
		.amdhsa_reserve_flat_scratch 0
		.amdhsa_float_round_mode_32 0
		.amdhsa_float_round_mode_16_64 0
		.amdhsa_float_denorm_mode_32 3
		.amdhsa_float_denorm_mode_16_64 3
		.amdhsa_dx10_clamp 1
		.amdhsa_ieee_mode 1
		.amdhsa_fp16_overflow 0
		.amdhsa_tg_split 0
		.amdhsa_exception_fp_ieee_invalid_op 0
		.amdhsa_exception_fp_denorm_src 0
		.amdhsa_exception_fp_ieee_div_zero 0
		.amdhsa_exception_fp_ieee_overflow 0
		.amdhsa_exception_fp_ieee_underflow 0
		.amdhsa_exception_fp_ieee_inexact 0
		.amdhsa_exception_int_div_zero 0
	.end_amdhsa_kernel
	.section	.text._ZN7rocprim17ROCPRIM_400000_NS6detail17trampoline_kernelINS0_13select_configILj256ELj13ELNS0_17block_load_methodE3ELS4_3ELS4_3ELNS0_20block_scan_algorithmE0ELj4294967295EEENS1_25partition_config_selectorILNS1_17partition_subalgoE3EjNS0_10empty_typeEbEEZZNS1_14partition_implILS8_3ELb0ES6_jNS0_17counting_iteratorIjlEEPS9_SE_NS0_5tupleIJPjSE_EEENSF_IJSE_SE_EEES9_SG_JZNS1_25segmented_radix_sort_implINS0_14default_configELb1EPKhPhPKlPlN2at6native12_GLOBAL__N_18offset_tEEE10hipError_tPvRmT1_PNSt15iterator_traitsISY_E10value_typeET2_T3_PNSZ_IS14_E10value_typeET4_jRbjT5_S1A_jjP12ihipStream_tbEUljE_EEESV_SW_SX_S14_S18_S1A_T6_T7_T9_mT8_S1C_bDpT10_ENKUlT_T0_E_clISt17integral_constantIbLb1EES1P_EEDaS1K_S1L_EUlS1K_E_NS1_11comp_targetILNS1_3genE9ELNS1_11target_archE1100ELNS1_3gpuE3ELNS1_3repE0EEENS1_30default_config_static_selectorELNS0_4arch9wavefront6targetE1EEEvSY_,"axG",@progbits,_ZN7rocprim17ROCPRIM_400000_NS6detail17trampoline_kernelINS0_13select_configILj256ELj13ELNS0_17block_load_methodE3ELS4_3ELS4_3ELNS0_20block_scan_algorithmE0ELj4294967295EEENS1_25partition_config_selectorILNS1_17partition_subalgoE3EjNS0_10empty_typeEbEEZZNS1_14partition_implILS8_3ELb0ES6_jNS0_17counting_iteratorIjlEEPS9_SE_NS0_5tupleIJPjSE_EEENSF_IJSE_SE_EEES9_SG_JZNS1_25segmented_radix_sort_implINS0_14default_configELb1EPKhPhPKlPlN2at6native12_GLOBAL__N_18offset_tEEE10hipError_tPvRmT1_PNSt15iterator_traitsISY_E10value_typeET2_T3_PNSZ_IS14_E10value_typeET4_jRbjT5_S1A_jjP12ihipStream_tbEUljE_EEESV_SW_SX_S14_S18_S1A_T6_T7_T9_mT8_S1C_bDpT10_ENKUlT_T0_E_clISt17integral_constantIbLb1EES1P_EEDaS1K_S1L_EUlS1K_E_NS1_11comp_targetILNS1_3genE9ELNS1_11target_archE1100ELNS1_3gpuE3ELNS1_3repE0EEENS1_30default_config_static_selectorELNS0_4arch9wavefront6targetE1EEEvSY_,comdat
.Lfunc_end63:
	.size	_ZN7rocprim17ROCPRIM_400000_NS6detail17trampoline_kernelINS0_13select_configILj256ELj13ELNS0_17block_load_methodE3ELS4_3ELS4_3ELNS0_20block_scan_algorithmE0ELj4294967295EEENS1_25partition_config_selectorILNS1_17partition_subalgoE3EjNS0_10empty_typeEbEEZZNS1_14partition_implILS8_3ELb0ES6_jNS0_17counting_iteratorIjlEEPS9_SE_NS0_5tupleIJPjSE_EEENSF_IJSE_SE_EEES9_SG_JZNS1_25segmented_radix_sort_implINS0_14default_configELb1EPKhPhPKlPlN2at6native12_GLOBAL__N_18offset_tEEE10hipError_tPvRmT1_PNSt15iterator_traitsISY_E10value_typeET2_T3_PNSZ_IS14_E10value_typeET4_jRbjT5_S1A_jjP12ihipStream_tbEUljE_EEESV_SW_SX_S14_S18_S1A_T6_T7_T9_mT8_S1C_bDpT10_ENKUlT_T0_E_clISt17integral_constantIbLb1EES1P_EEDaS1K_S1L_EUlS1K_E_NS1_11comp_targetILNS1_3genE9ELNS1_11target_archE1100ELNS1_3gpuE3ELNS1_3repE0EEENS1_30default_config_static_selectorELNS0_4arch9wavefront6targetE1EEEvSY_, .Lfunc_end63-_ZN7rocprim17ROCPRIM_400000_NS6detail17trampoline_kernelINS0_13select_configILj256ELj13ELNS0_17block_load_methodE3ELS4_3ELS4_3ELNS0_20block_scan_algorithmE0ELj4294967295EEENS1_25partition_config_selectorILNS1_17partition_subalgoE3EjNS0_10empty_typeEbEEZZNS1_14partition_implILS8_3ELb0ES6_jNS0_17counting_iteratorIjlEEPS9_SE_NS0_5tupleIJPjSE_EEENSF_IJSE_SE_EEES9_SG_JZNS1_25segmented_radix_sort_implINS0_14default_configELb1EPKhPhPKlPlN2at6native12_GLOBAL__N_18offset_tEEE10hipError_tPvRmT1_PNSt15iterator_traitsISY_E10value_typeET2_T3_PNSZ_IS14_E10value_typeET4_jRbjT5_S1A_jjP12ihipStream_tbEUljE_EEESV_SW_SX_S14_S18_S1A_T6_T7_T9_mT8_S1C_bDpT10_ENKUlT_T0_E_clISt17integral_constantIbLb1EES1P_EEDaS1K_S1L_EUlS1K_E_NS1_11comp_targetILNS1_3genE9ELNS1_11target_archE1100ELNS1_3gpuE3ELNS1_3repE0EEENS1_30default_config_static_selectorELNS0_4arch9wavefront6targetE1EEEvSY_
                                        ; -- End function
	.section	.AMDGPU.csdata,"",@progbits
; Kernel info:
; codeLenInByte = 0
; NumSgprs: 4
; NumVgprs: 0
; NumAgprs: 0
; TotalNumVgprs: 0
; ScratchSize: 0
; MemoryBound: 0
; FloatMode: 240
; IeeeMode: 1
; LDSByteSize: 0 bytes/workgroup (compile time only)
; SGPRBlocks: 0
; VGPRBlocks: 0
; NumSGPRsForWavesPerEU: 4
; NumVGPRsForWavesPerEU: 1
; AccumOffset: 4
; Occupancy: 8
; WaveLimiterHint : 0
; COMPUTE_PGM_RSRC2:SCRATCH_EN: 0
; COMPUTE_PGM_RSRC2:USER_SGPR: 6
; COMPUTE_PGM_RSRC2:TRAP_HANDLER: 0
; COMPUTE_PGM_RSRC2:TGID_X_EN: 1
; COMPUTE_PGM_RSRC2:TGID_Y_EN: 0
; COMPUTE_PGM_RSRC2:TGID_Z_EN: 0
; COMPUTE_PGM_RSRC2:TIDIG_COMP_CNT: 0
; COMPUTE_PGM_RSRC3_GFX90A:ACCUM_OFFSET: 0
; COMPUTE_PGM_RSRC3_GFX90A:TG_SPLIT: 0
	.section	.text._ZN7rocprim17ROCPRIM_400000_NS6detail17trampoline_kernelINS0_13select_configILj256ELj13ELNS0_17block_load_methodE3ELS4_3ELS4_3ELNS0_20block_scan_algorithmE0ELj4294967295EEENS1_25partition_config_selectorILNS1_17partition_subalgoE3EjNS0_10empty_typeEbEEZZNS1_14partition_implILS8_3ELb0ES6_jNS0_17counting_iteratorIjlEEPS9_SE_NS0_5tupleIJPjSE_EEENSF_IJSE_SE_EEES9_SG_JZNS1_25segmented_radix_sort_implINS0_14default_configELb1EPKhPhPKlPlN2at6native12_GLOBAL__N_18offset_tEEE10hipError_tPvRmT1_PNSt15iterator_traitsISY_E10value_typeET2_T3_PNSZ_IS14_E10value_typeET4_jRbjT5_S1A_jjP12ihipStream_tbEUljE_EEESV_SW_SX_S14_S18_S1A_T6_T7_T9_mT8_S1C_bDpT10_ENKUlT_T0_E_clISt17integral_constantIbLb1EES1P_EEDaS1K_S1L_EUlS1K_E_NS1_11comp_targetILNS1_3genE8ELNS1_11target_archE1030ELNS1_3gpuE2ELNS1_3repE0EEENS1_30default_config_static_selectorELNS0_4arch9wavefront6targetE1EEEvSY_,"axG",@progbits,_ZN7rocprim17ROCPRIM_400000_NS6detail17trampoline_kernelINS0_13select_configILj256ELj13ELNS0_17block_load_methodE3ELS4_3ELS4_3ELNS0_20block_scan_algorithmE0ELj4294967295EEENS1_25partition_config_selectorILNS1_17partition_subalgoE3EjNS0_10empty_typeEbEEZZNS1_14partition_implILS8_3ELb0ES6_jNS0_17counting_iteratorIjlEEPS9_SE_NS0_5tupleIJPjSE_EEENSF_IJSE_SE_EEES9_SG_JZNS1_25segmented_radix_sort_implINS0_14default_configELb1EPKhPhPKlPlN2at6native12_GLOBAL__N_18offset_tEEE10hipError_tPvRmT1_PNSt15iterator_traitsISY_E10value_typeET2_T3_PNSZ_IS14_E10value_typeET4_jRbjT5_S1A_jjP12ihipStream_tbEUljE_EEESV_SW_SX_S14_S18_S1A_T6_T7_T9_mT8_S1C_bDpT10_ENKUlT_T0_E_clISt17integral_constantIbLb1EES1P_EEDaS1K_S1L_EUlS1K_E_NS1_11comp_targetILNS1_3genE8ELNS1_11target_archE1030ELNS1_3gpuE2ELNS1_3repE0EEENS1_30default_config_static_selectorELNS0_4arch9wavefront6targetE1EEEvSY_,comdat
	.globl	_ZN7rocprim17ROCPRIM_400000_NS6detail17trampoline_kernelINS0_13select_configILj256ELj13ELNS0_17block_load_methodE3ELS4_3ELS4_3ELNS0_20block_scan_algorithmE0ELj4294967295EEENS1_25partition_config_selectorILNS1_17partition_subalgoE3EjNS0_10empty_typeEbEEZZNS1_14partition_implILS8_3ELb0ES6_jNS0_17counting_iteratorIjlEEPS9_SE_NS0_5tupleIJPjSE_EEENSF_IJSE_SE_EEES9_SG_JZNS1_25segmented_radix_sort_implINS0_14default_configELb1EPKhPhPKlPlN2at6native12_GLOBAL__N_18offset_tEEE10hipError_tPvRmT1_PNSt15iterator_traitsISY_E10value_typeET2_T3_PNSZ_IS14_E10value_typeET4_jRbjT5_S1A_jjP12ihipStream_tbEUljE_EEESV_SW_SX_S14_S18_S1A_T6_T7_T9_mT8_S1C_bDpT10_ENKUlT_T0_E_clISt17integral_constantIbLb1EES1P_EEDaS1K_S1L_EUlS1K_E_NS1_11comp_targetILNS1_3genE8ELNS1_11target_archE1030ELNS1_3gpuE2ELNS1_3repE0EEENS1_30default_config_static_selectorELNS0_4arch9wavefront6targetE1EEEvSY_ ; -- Begin function _ZN7rocprim17ROCPRIM_400000_NS6detail17trampoline_kernelINS0_13select_configILj256ELj13ELNS0_17block_load_methodE3ELS4_3ELS4_3ELNS0_20block_scan_algorithmE0ELj4294967295EEENS1_25partition_config_selectorILNS1_17partition_subalgoE3EjNS0_10empty_typeEbEEZZNS1_14partition_implILS8_3ELb0ES6_jNS0_17counting_iteratorIjlEEPS9_SE_NS0_5tupleIJPjSE_EEENSF_IJSE_SE_EEES9_SG_JZNS1_25segmented_radix_sort_implINS0_14default_configELb1EPKhPhPKlPlN2at6native12_GLOBAL__N_18offset_tEEE10hipError_tPvRmT1_PNSt15iterator_traitsISY_E10value_typeET2_T3_PNSZ_IS14_E10value_typeET4_jRbjT5_S1A_jjP12ihipStream_tbEUljE_EEESV_SW_SX_S14_S18_S1A_T6_T7_T9_mT8_S1C_bDpT10_ENKUlT_T0_E_clISt17integral_constantIbLb1EES1P_EEDaS1K_S1L_EUlS1K_E_NS1_11comp_targetILNS1_3genE8ELNS1_11target_archE1030ELNS1_3gpuE2ELNS1_3repE0EEENS1_30default_config_static_selectorELNS0_4arch9wavefront6targetE1EEEvSY_
	.p2align	8
	.type	_ZN7rocprim17ROCPRIM_400000_NS6detail17trampoline_kernelINS0_13select_configILj256ELj13ELNS0_17block_load_methodE3ELS4_3ELS4_3ELNS0_20block_scan_algorithmE0ELj4294967295EEENS1_25partition_config_selectorILNS1_17partition_subalgoE3EjNS0_10empty_typeEbEEZZNS1_14partition_implILS8_3ELb0ES6_jNS0_17counting_iteratorIjlEEPS9_SE_NS0_5tupleIJPjSE_EEENSF_IJSE_SE_EEES9_SG_JZNS1_25segmented_radix_sort_implINS0_14default_configELb1EPKhPhPKlPlN2at6native12_GLOBAL__N_18offset_tEEE10hipError_tPvRmT1_PNSt15iterator_traitsISY_E10value_typeET2_T3_PNSZ_IS14_E10value_typeET4_jRbjT5_S1A_jjP12ihipStream_tbEUljE_EEESV_SW_SX_S14_S18_S1A_T6_T7_T9_mT8_S1C_bDpT10_ENKUlT_T0_E_clISt17integral_constantIbLb1EES1P_EEDaS1K_S1L_EUlS1K_E_NS1_11comp_targetILNS1_3genE8ELNS1_11target_archE1030ELNS1_3gpuE2ELNS1_3repE0EEENS1_30default_config_static_selectorELNS0_4arch9wavefront6targetE1EEEvSY_,@function
_ZN7rocprim17ROCPRIM_400000_NS6detail17trampoline_kernelINS0_13select_configILj256ELj13ELNS0_17block_load_methodE3ELS4_3ELS4_3ELNS0_20block_scan_algorithmE0ELj4294967295EEENS1_25partition_config_selectorILNS1_17partition_subalgoE3EjNS0_10empty_typeEbEEZZNS1_14partition_implILS8_3ELb0ES6_jNS0_17counting_iteratorIjlEEPS9_SE_NS0_5tupleIJPjSE_EEENSF_IJSE_SE_EEES9_SG_JZNS1_25segmented_radix_sort_implINS0_14default_configELb1EPKhPhPKlPlN2at6native12_GLOBAL__N_18offset_tEEE10hipError_tPvRmT1_PNSt15iterator_traitsISY_E10value_typeET2_T3_PNSZ_IS14_E10value_typeET4_jRbjT5_S1A_jjP12ihipStream_tbEUljE_EEESV_SW_SX_S14_S18_S1A_T6_T7_T9_mT8_S1C_bDpT10_ENKUlT_T0_E_clISt17integral_constantIbLb1EES1P_EEDaS1K_S1L_EUlS1K_E_NS1_11comp_targetILNS1_3genE8ELNS1_11target_archE1030ELNS1_3gpuE2ELNS1_3repE0EEENS1_30default_config_static_selectorELNS0_4arch9wavefront6targetE1EEEvSY_: ; @_ZN7rocprim17ROCPRIM_400000_NS6detail17trampoline_kernelINS0_13select_configILj256ELj13ELNS0_17block_load_methodE3ELS4_3ELS4_3ELNS0_20block_scan_algorithmE0ELj4294967295EEENS1_25partition_config_selectorILNS1_17partition_subalgoE3EjNS0_10empty_typeEbEEZZNS1_14partition_implILS8_3ELb0ES6_jNS0_17counting_iteratorIjlEEPS9_SE_NS0_5tupleIJPjSE_EEENSF_IJSE_SE_EEES9_SG_JZNS1_25segmented_radix_sort_implINS0_14default_configELb1EPKhPhPKlPlN2at6native12_GLOBAL__N_18offset_tEEE10hipError_tPvRmT1_PNSt15iterator_traitsISY_E10value_typeET2_T3_PNSZ_IS14_E10value_typeET4_jRbjT5_S1A_jjP12ihipStream_tbEUljE_EEESV_SW_SX_S14_S18_S1A_T6_T7_T9_mT8_S1C_bDpT10_ENKUlT_T0_E_clISt17integral_constantIbLb1EES1P_EEDaS1K_S1L_EUlS1K_E_NS1_11comp_targetILNS1_3genE8ELNS1_11target_archE1030ELNS1_3gpuE2ELNS1_3repE0EEENS1_30default_config_static_selectorELNS0_4arch9wavefront6targetE1EEEvSY_
; %bb.0:
	.section	.rodata,"a",@progbits
	.p2align	6, 0x0
	.amdhsa_kernel _ZN7rocprim17ROCPRIM_400000_NS6detail17trampoline_kernelINS0_13select_configILj256ELj13ELNS0_17block_load_methodE3ELS4_3ELS4_3ELNS0_20block_scan_algorithmE0ELj4294967295EEENS1_25partition_config_selectorILNS1_17partition_subalgoE3EjNS0_10empty_typeEbEEZZNS1_14partition_implILS8_3ELb0ES6_jNS0_17counting_iteratorIjlEEPS9_SE_NS0_5tupleIJPjSE_EEENSF_IJSE_SE_EEES9_SG_JZNS1_25segmented_radix_sort_implINS0_14default_configELb1EPKhPhPKlPlN2at6native12_GLOBAL__N_18offset_tEEE10hipError_tPvRmT1_PNSt15iterator_traitsISY_E10value_typeET2_T3_PNSZ_IS14_E10value_typeET4_jRbjT5_S1A_jjP12ihipStream_tbEUljE_EEESV_SW_SX_S14_S18_S1A_T6_T7_T9_mT8_S1C_bDpT10_ENKUlT_T0_E_clISt17integral_constantIbLb1EES1P_EEDaS1K_S1L_EUlS1K_E_NS1_11comp_targetILNS1_3genE8ELNS1_11target_archE1030ELNS1_3gpuE2ELNS1_3repE0EEENS1_30default_config_static_selectorELNS0_4arch9wavefront6targetE1EEEvSY_
		.amdhsa_group_segment_fixed_size 0
		.amdhsa_private_segment_fixed_size 0
		.amdhsa_kernarg_size 152
		.amdhsa_user_sgpr_count 6
		.amdhsa_user_sgpr_private_segment_buffer 1
		.amdhsa_user_sgpr_dispatch_ptr 0
		.amdhsa_user_sgpr_queue_ptr 0
		.amdhsa_user_sgpr_kernarg_segment_ptr 1
		.amdhsa_user_sgpr_dispatch_id 0
		.amdhsa_user_sgpr_flat_scratch_init 0
		.amdhsa_user_sgpr_kernarg_preload_length 0
		.amdhsa_user_sgpr_kernarg_preload_offset 0
		.amdhsa_user_sgpr_private_segment_size 0
		.amdhsa_uses_dynamic_stack 0
		.amdhsa_system_sgpr_private_segment_wavefront_offset 0
		.amdhsa_system_sgpr_workgroup_id_x 1
		.amdhsa_system_sgpr_workgroup_id_y 0
		.amdhsa_system_sgpr_workgroup_id_z 0
		.amdhsa_system_sgpr_workgroup_info 0
		.amdhsa_system_vgpr_workitem_id 0
		.amdhsa_next_free_vgpr 1
		.amdhsa_next_free_sgpr 0
		.amdhsa_accum_offset 4
		.amdhsa_reserve_vcc 0
		.amdhsa_reserve_flat_scratch 0
		.amdhsa_float_round_mode_32 0
		.amdhsa_float_round_mode_16_64 0
		.amdhsa_float_denorm_mode_32 3
		.amdhsa_float_denorm_mode_16_64 3
		.amdhsa_dx10_clamp 1
		.amdhsa_ieee_mode 1
		.amdhsa_fp16_overflow 0
		.amdhsa_tg_split 0
		.amdhsa_exception_fp_ieee_invalid_op 0
		.amdhsa_exception_fp_denorm_src 0
		.amdhsa_exception_fp_ieee_div_zero 0
		.amdhsa_exception_fp_ieee_overflow 0
		.amdhsa_exception_fp_ieee_underflow 0
		.amdhsa_exception_fp_ieee_inexact 0
		.amdhsa_exception_int_div_zero 0
	.end_amdhsa_kernel
	.section	.text._ZN7rocprim17ROCPRIM_400000_NS6detail17trampoline_kernelINS0_13select_configILj256ELj13ELNS0_17block_load_methodE3ELS4_3ELS4_3ELNS0_20block_scan_algorithmE0ELj4294967295EEENS1_25partition_config_selectorILNS1_17partition_subalgoE3EjNS0_10empty_typeEbEEZZNS1_14partition_implILS8_3ELb0ES6_jNS0_17counting_iteratorIjlEEPS9_SE_NS0_5tupleIJPjSE_EEENSF_IJSE_SE_EEES9_SG_JZNS1_25segmented_radix_sort_implINS0_14default_configELb1EPKhPhPKlPlN2at6native12_GLOBAL__N_18offset_tEEE10hipError_tPvRmT1_PNSt15iterator_traitsISY_E10value_typeET2_T3_PNSZ_IS14_E10value_typeET4_jRbjT5_S1A_jjP12ihipStream_tbEUljE_EEESV_SW_SX_S14_S18_S1A_T6_T7_T9_mT8_S1C_bDpT10_ENKUlT_T0_E_clISt17integral_constantIbLb1EES1P_EEDaS1K_S1L_EUlS1K_E_NS1_11comp_targetILNS1_3genE8ELNS1_11target_archE1030ELNS1_3gpuE2ELNS1_3repE0EEENS1_30default_config_static_selectorELNS0_4arch9wavefront6targetE1EEEvSY_,"axG",@progbits,_ZN7rocprim17ROCPRIM_400000_NS6detail17trampoline_kernelINS0_13select_configILj256ELj13ELNS0_17block_load_methodE3ELS4_3ELS4_3ELNS0_20block_scan_algorithmE0ELj4294967295EEENS1_25partition_config_selectorILNS1_17partition_subalgoE3EjNS0_10empty_typeEbEEZZNS1_14partition_implILS8_3ELb0ES6_jNS0_17counting_iteratorIjlEEPS9_SE_NS0_5tupleIJPjSE_EEENSF_IJSE_SE_EEES9_SG_JZNS1_25segmented_radix_sort_implINS0_14default_configELb1EPKhPhPKlPlN2at6native12_GLOBAL__N_18offset_tEEE10hipError_tPvRmT1_PNSt15iterator_traitsISY_E10value_typeET2_T3_PNSZ_IS14_E10value_typeET4_jRbjT5_S1A_jjP12ihipStream_tbEUljE_EEESV_SW_SX_S14_S18_S1A_T6_T7_T9_mT8_S1C_bDpT10_ENKUlT_T0_E_clISt17integral_constantIbLb1EES1P_EEDaS1K_S1L_EUlS1K_E_NS1_11comp_targetILNS1_3genE8ELNS1_11target_archE1030ELNS1_3gpuE2ELNS1_3repE0EEENS1_30default_config_static_selectorELNS0_4arch9wavefront6targetE1EEEvSY_,comdat
.Lfunc_end64:
	.size	_ZN7rocprim17ROCPRIM_400000_NS6detail17trampoline_kernelINS0_13select_configILj256ELj13ELNS0_17block_load_methodE3ELS4_3ELS4_3ELNS0_20block_scan_algorithmE0ELj4294967295EEENS1_25partition_config_selectorILNS1_17partition_subalgoE3EjNS0_10empty_typeEbEEZZNS1_14partition_implILS8_3ELb0ES6_jNS0_17counting_iteratorIjlEEPS9_SE_NS0_5tupleIJPjSE_EEENSF_IJSE_SE_EEES9_SG_JZNS1_25segmented_radix_sort_implINS0_14default_configELb1EPKhPhPKlPlN2at6native12_GLOBAL__N_18offset_tEEE10hipError_tPvRmT1_PNSt15iterator_traitsISY_E10value_typeET2_T3_PNSZ_IS14_E10value_typeET4_jRbjT5_S1A_jjP12ihipStream_tbEUljE_EEESV_SW_SX_S14_S18_S1A_T6_T7_T9_mT8_S1C_bDpT10_ENKUlT_T0_E_clISt17integral_constantIbLb1EES1P_EEDaS1K_S1L_EUlS1K_E_NS1_11comp_targetILNS1_3genE8ELNS1_11target_archE1030ELNS1_3gpuE2ELNS1_3repE0EEENS1_30default_config_static_selectorELNS0_4arch9wavefront6targetE1EEEvSY_, .Lfunc_end64-_ZN7rocprim17ROCPRIM_400000_NS6detail17trampoline_kernelINS0_13select_configILj256ELj13ELNS0_17block_load_methodE3ELS4_3ELS4_3ELNS0_20block_scan_algorithmE0ELj4294967295EEENS1_25partition_config_selectorILNS1_17partition_subalgoE3EjNS0_10empty_typeEbEEZZNS1_14partition_implILS8_3ELb0ES6_jNS0_17counting_iteratorIjlEEPS9_SE_NS0_5tupleIJPjSE_EEENSF_IJSE_SE_EEES9_SG_JZNS1_25segmented_radix_sort_implINS0_14default_configELb1EPKhPhPKlPlN2at6native12_GLOBAL__N_18offset_tEEE10hipError_tPvRmT1_PNSt15iterator_traitsISY_E10value_typeET2_T3_PNSZ_IS14_E10value_typeET4_jRbjT5_S1A_jjP12ihipStream_tbEUljE_EEESV_SW_SX_S14_S18_S1A_T6_T7_T9_mT8_S1C_bDpT10_ENKUlT_T0_E_clISt17integral_constantIbLb1EES1P_EEDaS1K_S1L_EUlS1K_E_NS1_11comp_targetILNS1_3genE8ELNS1_11target_archE1030ELNS1_3gpuE2ELNS1_3repE0EEENS1_30default_config_static_selectorELNS0_4arch9wavefront6targetE1EEEvSY_
                                        ; -- End function
	.section	.AMDGPU.csdata,"",@progbits
; Kernel info:
; codeLenInByte = 0
; NumSgprs: 4
; NumVgprs: 0
; NumAgprs: 0
; TotalNumVgprs: 0
; ScratchSize: 0
; MemoryBound: 0
; FloatMode: 240
; IeeeMode: 1
; LDSByteSize: 0 bytes/workgroup (compile time only)
; SGPRBlocks: 0
; VGPRBlocks: 0
; NumSGPRsForWavesPerEU: 4
; NumVGPRsForWavesPerEU: 1
; AccumOffset: 4
; Occupancy: 8
; WaveLimiterHint : 0
; COMPUTE_PGM_RSRC2:SCRATCH_EN: 0
; COMPUTE_PGM_RSRC2:USER_SGPR: 6
; COMPUTE_PGM_RSRC2:TRAP_HANDLER: 0
; COMPUTE_PGM_RSRC2:TGID_X_EN: 1
; COMPUTE_PGM_RSRC2:TGID_Y_EN: 0
; COMPUTE_PGM_RSRC2:TGID_Z_EN: 0
; COMPUTE_PGM_RSRC2:TIDIG_COMP_CNT: 0
; COMPUTE_PGM_RSRC3_GFX90A:ACCUM_OFFSET: 0
; COMPUTE_PGM_RSRC3_GFX90A:TG_SPLIT: 0
	.section	.text._ZN7rocprim17ROCPRIM_400000_NS6detail31init_lookback_scan_state_kernelINS1_19lookback_scan_stateIjLb1ELb1EEENS1_16block_id_wrapperIjLb0EEEEEvT_jT0_jPNS7_10value_typeE,"axG",@progbits,_ZN7rocprim17ROCPRIM_400000_NS6detail31init_lookback_scan_state_kernelINS1_19lookback_scan_stateIjLb1ELb1EEENS1_16block_id_wrapperIjLb0EEEEEvT_jT0_jPNS7_10value_typeE,comdat
	.protected	_ZN7rocprim17ROCPRIM_400000_NS6detail31init_lookback_scan_state_kernelINS1_19lookback_scan_stateIjLb1ELb1EEENS1_16block_id_wrapperIjLb0EEEEEvT_jT0_jPNS7_10value_typeE ; -- Begin function _ZN7rocprim17ROCPRIM_400000_NS6detail31init_lookback_scan_state_kernelINS1_19lookback_scan_stateIjLb1ELb1EEENS1_16block_id_wrapperIjLb0EEEEEvT_jT0_jPNS7_10value_typeE
	.globl	_ZN7rocprim17ROCPRIM_400000_NS6detail31init_lookback_scan_state_kernelINS1_19lookback_scan_stateIjLb1ELb1EEENS1_16block_id_wrapperIjLb0EEEEEvT_jT0_jPNS7_10value_typeE
	.p2align	8
	.type	_ZN7rocprim17ROCPRIM_400000_NS6detail31init_lookback_scan_state_kernelINS1_19lookback_scan_stateIjLb1ELb1EEENS1_16block_id_wrapperIjLb0EEEEEvT_jT0_jPNS7_10value_typeE,@function
_ZN7rocprim17ROCPRIM_400000_NS6detail31init_lookback_scan_state_kernelINS1_19lookback_scan_stateIjLb1ELb1EEENS1_16block_id_wrapperIjLb0EEEEEvT_jT0_jPNS7_10value_typeE: ; @_ZN7rocprim17ROCPRIM_400000_NS6detail31init_lookback_scan_state_kernelINS1_19lookback_scan_stateIjLb1ELb1EEENS1_16block_id_wrapperIjLb0EEEEEvT_jT0_jPNS7_10value_typeE
; %bb.0:
	s_load_dword s7, s[4:5], 0x2c
	s_load_dwordx2 s[2:3], s[4:5], 0x18
	s_load_dwordx2 s[0:1], s[4:5], 0x0
	s_load_dword s8, s[4:5], 0x8
	s_waitcnt lgkmcnt(0)
	s_and_b32 s7, s7, 0xffff
	s_mul_i32 s6, s6, s7
	s_cmp_eq_u64 s[2:3], 0
	v_add_u32_e32 v0, s6, v0
	s_cbranch_scc1 .LBB65_9
; %bb.1:
	s_load_dword s6, s[4:5], 0x10
	s_mov_b32 s7, 0
	s_waitcnt lgkmcnt(0)
	s_cmp_lt_u32 s6, s8
	s_cselect_b32 s4, s6, 0
	v_cmp_eq_u32_e32 vcc, s4, v0
	s_and_saveexec_b64 s[4:5], vcc
	s_cbranch_execz .LBB65_8
; %bb.2:
	s_add_i32 s6, s6, 64
	s_lshl_b64 s[6:7], s[6:7], 3
	s_add_u32 s6, s0, s6
	s_addc_u32 s7, s1, s7
	v_mov_b32_e32 v2, 0
	global_load_dwordx2 v[4:5], v2, s[6:7] glc
	s_waitcnt vmcnt(0)
	v_and_b32_e32 v3, 0xff, v5
	v_cmp_ne_u64_e32 vcc, 0, v[2:3]
	s_cbranch_vccnz .LBB65_7
; %bb.3:
	s_mov_b32 s9, 1
.LBB65_4:                               ; =>This Loop Header: Depth=1
                                        ;     Child Loop BB65_5 Depth 2
	s_max_u32 s10, s9, 1
.LBB65_5:                               ;   Parent Loop BB65_4 Depth=1
                                        ; =>  This Inner Loop Header: Depth=2
	s_add_i32 s10, s10, -1
	s_cmp_eq_u32 s10, 0
	s_sleep 1
	s_cbranch_scc0 .LBB65_5
; %bb.6:                                ;   in Loop: Header=BB65_4 Depth=1
	global_load_dwordx2 v[4:5], v2, s[6:7] glc
	s_cmp_lt_u32 s9, 32
	s_cselect_b64 s[10:11], -1, 0
	s_cmp_lg_u64 s[10:11], 0
	s_addc_u32 s9, s9, 0
	s_waitcnt vmcnt(0)
	v_and_b32_e32 v3, 0xff, v5
	v_cmp_ne_u64_e32 vcc, 0, v[2:3]
	s_cbranch_vccz .LBB65_4
.LBB65_7:
	v_mov_b32_e32 v1, 0
	global_store_dword v1, v4, s[2:3]
.LBB65_8:
	s_or_b64 exec, exec, s[4:5]
.LBB65_9:
	v_cmp_gt_u32_e32 vcc, s8, v0
	s_and_saveexec_b64 s[2:3], vcc
	s_cbranch_execnz .LBB65_12
; %bb.10:
	s_or_b64 exec, exec, s[2:3]
	v_cmp_gt_u32_e32 vcc, 64, v0
	s_and_saveexec_b64 s[2:3], vcc
	s_cbranch_execnz .LBB65_13
.LBB65_11:
	s_endpgm
.LBB65_12:
	v_add_u32_e32 v2, 64, v0
	v_mov_b32_e32 v3, 0
	v_lshlrev_b64 v[4:5], 3, v[2:3]
	v_mov_b32_e32 v1, s1
	v_add_co_u32_e32 v4, vcc, s0, v4
	v_addc_co_u32_e32 v5, vcc, v1, v5, vcc
	v_mov_b32_e32 v2, v3
	global_store_dwordx2 v[4:5], v[2:3], off
	s_or_b64 exec, exec, s[2:3]
	v_cmp_gt_u32_e32 vcc, 64, v0
	s_and_saveexec_b64 s[2:3], vcc
	s_cbranch_execz .LBB65_11
.LBB65_13:
	v_mov_b32_e32 v1, 0
	v_lshlrev_b64 v[2:3], 3, v[0:1]
	v_mov_b32_e32 v0, s1
	v_add_co_u32_e32 v2, vcc, s0, v2
	v_addc_co_u32_e32 v3, vcc, v0, v3, vcc
	v_mov_b32_e32 v5, 0xff
	v_mov_b32_e32 v4, v1
	global_store_dwordx2 v[2:3], v[4:5], off
	s_endpgm
	.section	.rodata,"a",@progbits
	.p2align	6, 0x0
	.amdhsa_kernel _ZN7rocprim17ROCPRIM_400000_NS6detail31init_lookback_scan_state_kernelINS1_19lookback_scan_stateIjLb1ELb1EEENS1_16block_id_wrapperIjLb0EEEEEvT_jT0_jPNS7_10value_typeE
		.amdhsa_group_segment_fixed_size 0
		.amdhsa_private_segment_fixed_size 0
		.amdhsa_kernarg_size 288
		.amdhsa_user_sgpr_count 6
		.amdhsa_user_sgpr_private_segment_buffer 1
		.amdhsa_user_sgpr_dispatch_ptr 0
		.amdhsa_user_sgpr_queue_ptr 0
		.amdhsa_user_sgpr_kernarg_segment_ptr 1
		.amdhsa_user_sgpr_dispatch_id 0
		.amdhsa_user_sgpr_flat_scratch_init 0
		.amdhsa_user_sgpr_kernarg_preload_length 0
		.amdhsa_user_sgpr_kernarg_preload_offset 0
		.amdhsa_user_sgpr_private_segment_size 0
		.amdhsa_uses_dynamic_stack 0
		.amdhsa_system_sgpr_private_segment_wavefront_offset 0
		.amdhsa_system_sgpr_workgroup_id_x 1
		.amdhsa_system_sgpr_workgroup_id_y 0
		.amdhsa_system_sgpr_workgroup_id_z 0
		.amdhsa_system_sgpr_workgroup_info 0
		.amdhsa_system_vgpr_workitem_id 0
		.amdhsa_next_free_vgpr 6
		.amdhsa_next_free_sgpr 12
		.amdhsa_accum_offset 8
		.amdhsa_reserve_vcc 1
		.amdhsa_reserve_flat_scratch 0
		.amdhsa_float_round_mode_32 0
		.amdhsa_float_round_mode_16_64 0
		.amdhsa_float_denorm_mode_32 3
		.amdhsa_float_denorm_mode_16_64 3
		.amdhsa_dx10_clamp 1
		.amdhsa_ieee_mode 1
		.amdhsa_fp16_overflow 0
		.amdhsa_tg_split 0
		.amdhsa_exception_fp_ieee_invalid_op 0
		.amdhsa_exception_fp_denorm_src 0
		.amdhsa_exception_fp_ieee_div_zero 0
		.amdhsa_exception_fp_ieee_overflow 0
		.amdhsa_exception_fp_ieee_underflow 0
		.amdhsa_exception_fp_ieee_inexact 0
		.amdhsa_exception_int_div_zero 0
	.end_amdhsa_kernel
	.section	.text._ZN7rocprim17ROCPRIM_400000_NS6detail31init_lookback_scan_state_kernelINS1_19lookback_scan_stateIjLb1ELb1EEENS1_16block_id_wrapperIjLb0EEEEEvT_jT0_jPNS7_10value_typeE,"axG",@progbits,_ZN7rocprim17ROCPRIM_400000_NS6detail31init_lookback_scan_state_kernelINS1_19lookback_scan_stateIjLb1ELb1EEENS1_16block_id_wrapperIjLb0EEEEEvT_jT0_jPNS7_10value_typeE,comdat
.Lfunc_end65:
	.size	_ZN7rocprim17ROCPRIM_400000_NS6detail31init_lookback_scan_state_kernelINS1_19lookback_scan_stateIjLb1ELb1EEENS1_16block_id_wrapperIjLb0EEEEEvT_jT0_jPNS7_10value_typeE, .Lfunc_end65-_ZN7rocprim17ROCPRIM_400000_NS6detail31init_lookback_scan_state_kernelINS1_19lookback_scan_stateIjLb1ELb1EEENS1_16block_id_wrapperIjLb0EEEEEvT_jT0_jPNS7_10value_typeE
                                        ; -- End function
	.section	.AMDGPU.csdata,"",@progbits
; Kernel info:
; codeLenInByte = 364
; NumSgprs: 16
; NumVgprs: 6
; NumAgprs: 0
; TotalNumVgprs: 6
; ScratchSize: 0
; MemoryBound: 0
; FloatMode: 240
; IeeeMode: 1
; LDSByteSize: 0 bytes/workgroup (compile time only)
; SGPRBlocks: 1
; VGPRBlocks: 0
; NumSGPRsForWavesPerEU: 16
; NumVGPRsForWavesPerEU: 6
; AccumOffset: 8
; Occupancy: 8
; WaveLimiterHint : 0
; COMPUTE_PGM_RSRC2:SCRATCH_EN: 0
; COMPUTE_PGM_RSRC2:USER_SGPR: 6
; COMPUTE_PGM_RSRC2:TRAP_HANDLER: 0
; COMPUTE_PGM_RSRC2:TGID_X_EN: 1
; COMPUTE_PGM_RSRC2:TGID_Y_EN: 0
; COMPUTE_PGM_RSRC2:TGID_Z_EN: 0
; COMPUTE_PGM_RSRC2:TIDIG_COMP_CNT: 0
; COMPUTE_PGM_RSRC3_GFX90A:ACCUM_OFFSET: 1
; COMPUTE_PGM_RSRC3_GFX90A:TG_SPLIT: 0
	.section	.text._ZN7rocprim17ROCPRIM_400000_NS6detail17trampoline_kernelINS0_13select_configILj256ELj13ELNS0_17block_load_methodE3ELS4_3ELS4_3ELNS0_20block_scan_algorithmE0ELj4294967295EEENS1_25partition_config_selectorILNS1_17partition_subalgoE3EjNS0_10empty_typeEbEEZZNS1_14partition_implILS8_3ELb0ES6_jNS0_17counting_iteratorIjlEEPS9_SE_NS0_5tupleIJPjSE_EEENSF_IJSE_SE_EEES9_SG_JZNS1_25segmented_radix_sort_implINS0_14default_configELb1EPKhPhPKlPlN2at6native12_GLOBAL__N_18offset_tEEE10hipError_tPvRmT1_PNSt15iterator_traitsISY_E10value_typeET2_T3_PNSZ_IS14_E10value_typeET4_jRbjT5_S1A_jjP12ihipStream_tbEUljE_EEESV_SW_SX_S14_S18_S1A_T6_T7_T9_mT8_S1C_bDpT10_ENKUlT_T0_E_clISt17integral_constantIbLb1EES1O_IbLb0EEEEDaS1K_S1L_EUlS1K_E_NS1_11comp_targetILNS1_3genE0ELNS1_11target_archE4294967295ELNS1_3gpuE0ELNS1_3repE0EEENS1_30default_config_static_selectorELNS0_4arch9wavefront6targetE1EEEvSY_,"axG",@progbits,_ZN7rocprim17ROCPRIM_400000_NS6detail17trampoline_kernelINS0_13select_configILj256ELj13ELNS0_17block_load_methodE3ELS4_3ELS4_3ELNS0_20block_scan_algorithmE0ELj4294967295EEENS1_25partition_config_selectorILNS1_17partition_subalgoE3EjNS0_10empty_typeEbEEZZNS1_14partition_implILS8_3ELb0ES6_jNS0_17counting_iteratorIjlEEPS9_SE_NS0_5tupleIJPjSE_EEENSF_IJSE_SE_EEES9_SG_JZNS1_25segmented_radix_sort_implINS0_14default_configELb1EPKhPhPKlPlN2at6native12_GLOBAL__N_18offset_tEEE10hipError_tPvRmT1_PNSt15iterator_traitsISY_E10value_typeET2_T3_PNSZ_IS14_E10value_typeET4_jRbjT5_S1A_jjP12ihipStream_tbEUljE_EEESV_SW_SX_S14_S18_S1A_T6_T7_T9_mT8_S1C_bDpT10_ENKUlT_T0_E_clISt17integral_constantIbLb1EES1O_IbLb0EEEEDaS1K_S1L_EUlS1K_E_NS1_11comp_targetILNS1_3genE0ELNS1_11target_archE4294967295ELNS1_3gpuE0ELNS1_3repE0EEENS1_30default_config_static_selectorELNS0_4arch9wavefront6targetE1EEEvSY_,comdat
	.globl	_ZN7rocprim17ROCPRIM_400000_NS6detail17trampoline_kernelINS0_13select_configILj256ELj13ELNS0_17block_load_methodE3ELS4_3ELS4_3ELNS0_20block_scan_algorithmE0ELj4294967295EEENS1_25partition_config_selectorILNS1_17partition_subalgoE3EjNS0_10empty_typeEbEEZZNS1_14partition_implILS8_3ELb0ES6_jNS0_17counting_iteratorIjlEEPS9_SE_NS0_5tupleIJPjSE_EEENSF_IJSE_SE_EEES9_SG_JZNS1_25segmented_radix_sort_implINS0_14default_configELb1EPKhPhPKlPlN2at6native12_GLOBAL__N_18offset_tEEE10hipError_tPvRmT1_PNSt15iterator_traitsISY_E10value_typeET2_T3_PNSZ_IS14_E10value_typeET4_jRbjT5_S1A_jjP12ihipStream_tbEUljE_EEESV_SW_SX_S14_S18_S1A_T6_T7_T9_mT8_S1C_bDpT10_ENKUlT_T0_E_clISt17integral_constantIbLb1EES1O_IbLb0EEEEDaS1K_S1L_EUlS1K_E_NS1_11comp_targetILNS1_3genE0ELNS1_11target_archE4294967295ELNS1_3gpuE0ELNS1_3repE0EEENS1_30default_config_static_selectorELNS0_4arch9wavefront6targetE1EEEvSY_ ; -- Begin function _ZN7rocprim17ROCPRIM_400000_NS6detail17trampoline_kernelINS0_13select_configILj256ELj13ELNS0_17block_load_methodE3ELS4_3ELS4_3ELNS0_20block_scan_algorithmE0ELj4294967295EEENS1_25partition_config_selectorILNS1_17partition_subalgoE3EjNS0_10empty_typeEbEEZZNS1_14partition_implILS8_3ELb0ES6_jNS0_17counting_iteratorIjlEEPS9_SE_NS0_5tupleIJPjSE_EEENSF_IJSE_SE_EEES9_SG_JZNS1_25segmented_radix_sort_implINS0_14default_configELb1EPKhPhPKlPlN2at6native12_GLOBAL__N_18offset_tEEE10hipError_tPvRmT1_PNSt15iterator_traitsISY_E10value_typeET2_T3_PNSZ_IS14_E10value_typeET4_jRbjT5_S1A_jjP12ihipStream_tbEUljE_EEESV_SW_SX_S14_S18_S1A_T6_T7_T9_mT8_S1C_bDpT10_ENKUlT_T0_E_clISt17integral_constantIbLb1EES1O_IbLb0EEEEDaS1K_S1L_EUlS1K_E_NS1_11comp_targetILNS1_3genE0ELNS1_11target_archE4294967295ELNS1_3gpuE0ELNS1_3repE0EEENS1_30default_config_static_selectorELNS0_4arch9wavefront6targetE1EEEvSY_
	.p2align	8
	.type	_ZN7rocprim17ROCPRIM_400000_NS6detail17trampoline_kernelINS0_13select_configILj256ELj13ELNS0_17block_load_methodE3ELS4_3ELS4_3ELNS0_20block_scan_algorithmE0ELj4294967295EEENS1_25partition_config_selectorILNS1_17partition_subalgoE3EjNS0_10empty_typeEbEEZZNS1_14partition_implILS8_3ELb0ES6_jNS0_17counting_iteratorIjlEEPS9_SE_NS0_5tupleIJPjSE_EEENSF_IJSE_SE_EEES9_SG_JZNS1_25segmented_radix_sort_implINS0_14default_configELb1EPKhPhPKlPlN2at6native12_GLOBAL__N_18offset_tEEE10hipError_tPvRmT1_PNSt15iterator_traitsISY_E10value_typeET2_T3_PNSZ_IS14_E10value_typeET4_jRbjT5_S1A_jjP12ihipStream_tbEUljE_EEESV_SW_SX_S14_S18_S1A_T6_T7_T9_mT8_S1C_bDpT10_ENKUlT_T0_E_clISt17integral_constantIbLb1EES1O_IbLb0EEEEDaS1K_S1L_EUlS1K_E_NS1_11comp_targetILNS1_3genE0ELNS1_11target_archE4294967295ELNS1_3gpuE0ELNS1_3repE0EEENS1_30default_config_static_selectorELNS0_4arch9wavefront6targetE1EEEvSY_,@function
_ZN7rocprim17ROCPRIM_400000_NS6detail17trampoline_kernelINS0_13select_configILj256ELj13ELNS0_17block_load_methodE3ELS4_3ELS4_3ELNS0_20block_scan_algorithmE0ELj4294967295EEENS1_25partition_config_selectorILNS1_17partition_subalgoE3EjNS0_10empty_typeEbEEZZNS1_14partition_implILS8_3ELb0ES6_jNS0_17counting_iteratorIjlEEPS9_SE_NS0_5tupleIJPjSE_EEENSF_IJSE_SE_EEES9_SG_JZNS1_25segmented_radix_sort_implINS0_14default_configELb1EPKhPhPKlPlN2at6native12_GLOBAL__N_18offset_tEEE10hipError_tPvRmT1_PNSt15iterator_traitsISY_E10value_typeET2_T3_PNSZ_IS14_E10value_typeET4_jRbjT5_S1A_jjP12ihipStream_tbEUljE_EEESV_SW_SX_S14_S18_S1A_T6_T7_T9_mT8_S1C_bDpT10_ENKUlT_T0_E_clISt17integral_constantIbLb1EES1O_IbLb0EEEEDaS1K_S1L_EUlS1K_E_NS1_11comp_targetILNS1_3genE0ELNS1_11target_archE4294967295ELNS1_3gpuE0ELNS1_3repE0EEENS1_30default_config_static_selectorELNS0_4arch9wavefront6targetE1EEEvSY_: ; @_ZN7rocprim17ROCPRIM_400000_NS6detail17trampoline_kernelINS0_13select_configILj256ELj13ELNS0_17block_load_methodE3ELS4_3ELS4_3ELNS0_20block_scan_algorithmE0ELj4294967295EEENS1_25partition_config_selectorILNS1_17partition_subalgoE3EjNS0_10empty_typeEbEEZZNS1_14partition_implILS8_3ELb0ES6_jNS0_17counting_iteratorIjlEEPS9_SE_NS0_5tupleIJPjSE_EEENSF_IJSE_SE_EEES9_SG_JZNS1_25segmented_radix_sort_implINS0_14default_configELb1EPKhPhPKlPlN2at6native12_GLOBAL__N_18offset_tEEE10hipError_tPvRmT1_PNSt15iterator_traitsISY_E10value_typeET2_T3_PNSZ_IS14_E10value_typeET4_jRbjT5_S1A_jjP12ihipStream_tbEUljE_EEESV_SW_SX_S14_S18_S1A_T6_T7_T9_mT8_S1C_bDpT10_ENKUlT_T0_E_clISt17integral_constantIbLb1EES1O_IbLb0EEEEDaS1K_S1L_EUlS1K_E_NS1_11comp_targetILNS1_3genE0ELNS1_11target_archE4294967295ELNS1_3gpuE0ELNS1_3repE0EEENS1_30default_config_static_selectorELNS0_4arch9wavefront6targetE1EEEvSY_
; %bb.0:
	.section	.rodata,"a",@progbits
	.p2align	6, 0x0
	.amdhsa_kernel _ZN7rocprim17ROCPRIM_400000_NS6detail17trampoline_kernelINS0_13select_configILj256ELj13ELNS0_17block_load_methodE3ELS4_3ELS4_3ELNS0_20block_scan_algorithmE0ELj4294967295EEENS1_25partition_config_selectorILNS1_17partition_subalgoE3EjNS0_10empty_typeEbEEZZNS1_14partition_implILS8_3ELb0ES6_jNS0_17counting_iteratorIjlEEPS9_SE_NS0_5tupleIJPjSE_EEENSF_IJSE_SE_EEES9_SG_JZNS1_25segmented_radix_sort_implINS0_14default_configELb1EPKhPhPKlPlN2at6native12_GLOBAL__N_18offset_tEEE10hipError_tPvRmT1_PNSt15iterator_traitsISY_E10value_typeET2_T3_PNSZ_IS14_E10value_typeET4_jRbjT5_S1A_jjP12ihipStream_tbEUljE_EEESV_SW_SX_S14_S18_S1A_T6_T7_T9_mT8_S1C_bDpT10_ENKUlT_T0_E_clISt17integral_constantIbLb1EES1O_IbLb0EEEEDaS1K_S1L_EUlS1K_E_NS1_11comp_targetILNS1_3genE0ELNS1_11target_archE4294967295ELNS1_3gpuE0ELNS1_3repE0EEENS1_30default_config_static_selectorELNS0_4arch9wavefront6targetE1EEEvSY_
		.amdhsa_group_segment_fixed_size 0
		.amdhsa_private_segment_fixed_size 0
		.amdhsa_kernarg_size 144
		.amdhsa_user_sgpr_count 6
		.amdhsa_user_sgpr_private_segment_buffer 1
		.amdhsa_user_sgpr_dispatch_ptr 0
		.amdhsa_user_sgpr_queue_ptr 0
		.amdhsa_user_sgpr_kernarg_segment_ptr 1
		.amdhsa_user_sgpr_dispatch_id 0
		.amdhsa_user_sgpr_flat_scratch_init 0
		.amdhsa_user_sgpr_kernarg_preload_length 0
		.amdhsa_user_sgpr_kernarg_preload_offset 0
		.amdhsa_user_sgpr_private_segment_size 0
		.amdhsa_uses_dynamic_stack 0
		.amdhsa_system_sgpr_private_segment_wavefront_offset 0
		.amdhsa_system_sgpr_workgroup_id_x 1
		.amdhsa_system_sgpr_workgroup_id_y 0
		.amdhsa_system_sgpr_workgroup_id_z 0
		.amdhsa_system_sgpr_workgroup_info 0
		.amdhsa_system_vgpr_workitem_id 0
		.amdhsa_next_free_vgpr 1
		.amdhsa_next_free_sgpr 0
		.amdhsa_accum_offset 4
		.amdhsa_reserve_vcc 0
		.amdhsa_reserve_flat_scratch 0
		.amdhsa_float_round_mode_32 0
		.amdhsa_float_round_mode_16_64 0
		.amdhsa_float_denorm_mode_32 3
		.amdhsa_float_denorm_mode_16_64 3
		.amdhsa_dx10_clamp 1
		.amdhsa_ieee_mode 1
		.amdhsa_fp16_overflow 0
		.amdhsa_tg_split 0
		.amdhsa_exception_fp_ieee_invalid_op 0
		.amdhsa_exception_fp_denorm_src 0
		.amdhsa_exception_fp_ieee_div_zero 0
		.amdhsa_exception_fp_ieee_overflow 0
		.amdhsa_exception_fp_ieee_underflow 0
		.amdhsa_exception_fp_ieee_inexact 0
		.amdhsa_exception_int_div_zero 0
	.end_amdhsa_kernel
	.section	.text._ZN7rocprim17ROCPRIM_400000_NS6detail17trampoline_kernelINS0_13select_configILj256ELj13ELNS0_17block_load_methodE3ELS4_3ELS4_3ELNS0_20block_scan_algorithmE0ELj4294967295EEENS1_25partition_config_selectorILNS1_17partition_subalgoE3EjNS0_10empty_typeEbEEZZNS1_14partition_implILS8_3ELb0ES6_jNS0_17counting_iteratorIjlEEPS9_SE_NS0_5tupleIJPjSE_EEENSF_IJSE_SE_EEES9_SG_JZNS1_25segmented_radix_sort_implINS0_14default_configELb1EPKhPhPKlPlN2at6native12_GLOBAL__N_18offset_tEEE10hipError_tPvRmT1_PNSt15iterator_traitsISY_E10value_typeET2_T3_PNSZ_IS14_E10value_typeET4_jRbjT5_S1A_jjP12ihipStream_tbEUljE_EEESV_SW_SX_S14_S18_S1A_T6_T7_T9_mT8_S1C_bDpT10_ENKUlT_T0_E_clISt17integral_constantIbLb1EES1O_IbLb0EEEEDaS1K_S1L_EUlS1K_E_NS1_11comp_targetILNS1_3genE0ELNS1_11target_archE4294967295ELNS1_3gpuE0ELNS1_3repE0EEENS1_30default_config_static_selectorELNS0_4arch9wavefront6targetE1EEEvSY_,"axG",@progbits,_ZN7rocprim17ROCPRIM_400000_NS6detail17trampoline_kernelINS0_13select_configILj256ELj13ELNS0_17block_load_methodE3ELS4_3ELS4_3ELNS0_20block_scan_algorithmE0ELj4294967295EEENS1_25partition_config_selectorILNS1_17partition_subalgoE3EjNS0_10empty_typeEbEEZZNS1_14partition_implILS8_3ELb0ES6_jNS0_17counting_iteratorIjlEEPS9_SE_NS0_5tupleIJPjSE_EEENSF_IJSE_SE_EEES9_SG_JZNS1_25segmented_radix_sort_implINS0_14default_configELb1EPKhPhPKlPlN2at6native12_GLOBAL__N_18offset_tEEE10hipError_tPvRmT1_PNSt15iterator_traitsISY_E10value_typeET2_T3_PNSZ_IS14_E10value_typeET4_jRbjT5_S1A_jjP12ihipStream_tbEUljE_EEESV_SW_SX_S14_S18_S1A_T6_T7_T9_mT8_S1C_bDpT10_ENKUlT_T0_E_clISt17integral_constantIbLb1EES1O_IbLb0EEEEDaS1K_S1L_EUlS1K_E_NS1_11comp_targetILNS1_3genE0ELNS1_11target_archE4294967295ELNS1_3gpuE0ELNS1_3repE0EEENS1_30default_config_static_selectorELNS0_4arch9wavefront6targetE1EEEvSY_,comdat
.Lfunc_end66:
	.size	_ZN7rocprim17ROCPRIM_400000_NS6detail17trampoline_kernelINS0_13select_configILj256ELj13ELNS0_17block_load_methodE3ELS4_3ELS4_3ELNS0_20block_scan_algorithmE0ELj4294967295EEENS1_25partition_config_selectorILNS1_17partition_subalgoE3EjNS0_10empty_typeEbEEZZNS1_14partition_implILS8_3ELb0ES6_jNS0_17counting_iteratorIjlEEPS9_SE_NS0_5tupleIJPjSE_EEENSF_IJSE_SE_EEES9_SG_JZNS1_25segmented_radix_sort_implINS0_14default_configELb1EPKhPhPKlPlN2at6native12_GLOBAL__N_18offset_tEEE10hipError_tPvRmT1_PNSt15iterator_traitsISY_E10value_typeET2_T3_PNSZ_IS14_E10value_typeET4_jRbjT5_S1A_jjP12ihipStream_tbEUljE_EEESV_SW_SX_S14_S18_S1A_T6_T7_T9_mT8_S1C_bDpT10_ENKUlT_T0_E_clISt17integral_constantIbLb1EES1O_IbLb0EEEEDaS1K_S1L_EUlS1K_E_NS1_11comp_targetILNS1_3genE0ELNS1_11target_archE4294967295ELNS1_3gpuE0ELNS1_3repE0EEENS1_30default_config_static_selectorELNS0_4arch9wavefront6targetE1EEEvSY_, .Lfunc_end66-_ZN7rocprim17ROCPRIM_400000_NS6detail17trampoline_kernelINS0_13select_configILj256ELj13ELNS0_17block_load_methodE3ELS4_3ELS4_3ELNS0_20block_scan_algorithmE0ELj4294967295EEENS1_25partition_config_selectorILNS1_17partition_subalgoE3EjNS0_10empty_typeEbEEZZNS1_14partition_implILS8_3ELb0ES6_jNS0_17counting_iteratorIjlEEPS9_SE_NS0_5tupleIJPjSE_EEENSF_IJSE_SE_EEES9_SG_JZNS1_25segmented_radix_sort_implINS0_14default_configELb1EPKhPhPKlPlN2at6native12_GLOBAL__N_18offset_tEEE10hipError_tPvRmT1_PNSt15iterator_traitsISY_E10value_typeET2_T3_PNSZ_IS14_E10value_typeET4_jRbjT5_S1A_jjP12ihipStream_tbEUljE_EEESV_SW_SX_S14_S18_S1A_T6_T7_T9_mT8_S1C_bDpT10_ENKUlT_T0_E_clISt17integral_constantIbLb1EES1O_IbLb0EEEEDaS1K_S1L_EUlS1K_E_NS1_11comp_targetILNS1_3genE0ELNS1_11target_archE4294967295ELNS1_3gpuE0ELNS1_3repE0EEENS1_30default_config_static_selectorELNS0_4arch9wavefront6targetE1EEEvSY_
                                        ; -- End function
	.section	.AMDGPU.csdata,"",@progbits
; Kernel info:
; codeLenInByte = 0
; NumSgprs: 4
; NumVgprs: 0
; NumAgprs: 0
; TotalNumVgprs: 0
; ScratchSize: 0
; MemoryBound: 0
; FloatMode: 240
; IeeeMode: 1
; LDSByteSize: 0 bytes/workgroup (compile time only)
; SGPRBlocks: 0
; VGPRBlocks: 0
; NumSGPRsForWavesPerEU: 4
; NumVGPRsForWavesPerEU: 1
; AccumOffset: 4
; Occupancy: 8
; WaveLimiterHint : 0
; COMPUTE_PGM_RSRC2:SCRATCH_EN: 0
; COMPUTE_PGM_RSRC2:USER_SGPR: 6
; COMPUTE_PGM_RSRC2:TRAP_HANDLER: 0
; COMPUTE_PGM_RSRC2:TGID_X_EN: 1
; COMPUTE_PGM_RSRC2:TGID_Y_EN: 0
; COMPUTE_PGM_RSRC2:TGID_Z_EN: 0
; COMPUTE_PGM_RSRC2:TIDIG_COMP_CNT: 0
; COMPUTE_PGM_RSRC3_GFX90A:ACCUM_OFFSET: 0
; COMPUTE_PGM_RSRC3_GFX90A:TG_SPLIT: 0
	.section	.text._ZN7rocprim17ROCPRIM_400000_NS6detail17trampoline_kernelINS0_13select_configILj256ELj13ELNS0_17block_load_methodE3ELS4_3ELS4_3ELNS0_20block_scan_algorithmE0ELj4294967295EEENS1_25partition_config_selectorILNS1_17partition_subalgoE3EjNS0_10empty_typeEbEEZZNS1_14partition_implILS8_3ELb0ES6_jNS0_17counting_iteratorIjlEEPS9_SE_NS0_5tupleIJPjSE_EEENSF_IJSE_SE_EEES9_SG_JZNS1_25segmented_radix_sort_implINS0_14default_configELb1EPKhPhPKlPlN2at6native12_GLOBAL__N_18offset_tEEE10hipError_tPvRmT1_PNSt15iterator_traitsISY_E10value_typeET2_T3_PNSZ_IS14_E10value_typeET4_jRbjT5_S1A_jjP12ihipStream_tbEUljE_EEESV_SW_SX_S14_S18_S1A_T6_T7_T9_mT8_S1C_bDpT10_ENKUlT_T0_E_clISt17integral_constantIbLb1EES1O_IbLb0EEEEDaS1K_S1L_EUlS1K_E_NS1_11comp_targetILNS1_3genE5ELNS1_11target_archE942ELNS1_3gpuE9ELNS1_3repE0EEENS1_30default_config_static_selectorELNS0_4arch9wavefront6targetE1EEEvSY_,"axG",@progbits,_ZN7rocprim17ROCPRIM_400000_NS6detail17trampoline_kernelINS0_13select_configILj256ELj13ELNS0_17block_load_methodE3ELS4_3ELS4_3ELNS0_20block_scan_algorithmE0ELj4294967295EEENS1_25partition_config_selectorILNS1_17partition_subalgoE3EjNS0_10empty_typeEbEEZZNS1_14partition_implILS8_3ELb0ES6_jNS0_17counting_iteratorIjlEEPS9_SE_NS0_5tupleIJPjSE_EEENSF_IJSE_SE_EEES9_SG_JZNS1_25segmented_radix_sort_implINS0_14default_configELb1EPKhPhPKlPlN2at6native12_GLOBAL__N_18offset_tEEE10hipError_tPvRmT1_PNSt15iterator_traitsISY_E10value_typeET2_T3_PNSZ_IS14_E10value_typeET4_jRbjT5_S1A_jjP12ihipStream_tbEUljE_EEESV_SW_SX_S14_S18_S1A_T6_T7_T9_mT8_S1C_bDpT10_ENKUlT_T0_E_clISt17integral_constantIbLb1EES1O_IbLb0EEEEDaS1K_S1L_EUlS1K_E_NS1_11comp_targetILNS1_3genE5ELNS1_11target_archE942ELNS1_3gpuE9ELNS1_3repE0EEENS1_30default_config_static_selectorELNS0_4arch9wavefront6targetE1EEEvSY_,comdat
	.globl	_ZN7rocprim17ROCPRIM_400000_NS6detail17trampoline_kernelINS0_13select_configILj256ELj13ELNS0_17block_load_methodE3ELS4_3ELS4_3ELNS0_20block_scan_algorithmE0ELj4294967295EEENS1_25partition_config_selectorILNS1_17partition_subalgoE3EjNS0_10empty_typeEbEEZZNS1_14partition_implILS8_3ELb0ES6_jNS0_17counting_iteratorIjlEEPS9_SE_NS0_5tupleIJPjSE_EEENSF_IJSE_SE_EEES9_SG_JZNS1_25segmented_radix_sort_implINS0_14default_configELb1EPKhPhPKlPlN2at6native12_GLOBAL__N_18offset_tEEE10hipError_tPvRmT1_PNSt15iterator_traitsISY_E10value_typeET2_T3_PNSZ_IS14_E10value_typeET4_jRbjT5_S1A_jjP12ihipStream_tbEUljE_EEESV_SW_SX_S14_S18_S1A_T6_T7_T9_mT8_S1C_bDpT10_ENKUlT_T0_E_clISt17integral_constantIbLb1EES1O_IbLb0EEEEDaS1K_S1L_EUlS1K_E_NS1_11comp_targetILNS1_3genE5ELNS1_11target_archE942ELNS1_3gpuE9ELNS1_3repE0EEENS1_30default_config_static_selectorELNS0_4arch9wavefront6targetE1EEEvSY_ ; -- Begin function _ZN7rocprim17ROCPRIM_400000_NS6detail17trampoline_kernelINS0_13select_configILj256ELj13ELNS0_17block_load_methodE3ELS4_3ELS4_3ELNS0_20block_scan_algorithmE0ELj4294967295EEENS1_25partition_config_selectorILNS1_17partition_subalgoE3EjNS0_10empty_typeEbEEZZNS1_14partition_implILS8_3ELb0ES6_jNS0_17counting_iteratorIjlEEPS9_SE_NS0_5tupleIJPjSE_EEENSF_IJSE_SE_EEES9_SG_JZNS1_25segmented_radix_sort_implINS0_14default_configELb1EPKhPhPKlPlN2at6native12_GLOBAL__N_18offset_tEEE10hipError_tPvRmT1_PNSt15iterator_traitsISY_E10value_typeET2_T3_PNSZ_IS14_E10value_typeET4_jRbjT5_S1A_jjP12ihipStream_tbEUljE_EEESV_SW_SX_S14_S18_S1A_T6_T7_T9_mT8_S1C_bDpT10_ENKUlT_T0_E_clISt17integral_constantIbLb1EES1O_IbLb0EEEEDaS1K_S1L_EUlS1K_E_NS1_11comp_targetILNS1_3genE5ELNS1_11target_archE942ELNS1_3gpuE9ELNS1_3repE0EEENS1_30default_config_static_selectorELNS0_4arch9wavefront6targetE1EEEvSY_
	.p2align	8
	.type	_ZN7rocprim17ROCPRIM_400000_NS6detail17trampoline_kernelINS0_13select_configILj256ELj13ELNS0_17block_load_methodE3ELS4_3ELS4_3ELNS0_20block_scan_algorithmE0ELj4294967295EEENS1_25partition_config_selectorILNS1_17partition_subalgoE3EjNS0_10empty_typeEbEEZZNS1_14partition_implILS8_3ELb0ES6_jNS0_17counting_iteratorIjlEEPS9_SE_NS0_5tupleIJPjSE_EEENSF_IJSE_SE_EEES9_SG_JZNS1_25segmented_radix_sort_implINS0_14default_configELb1EPKhPhPKlPlN2at6native12_GLOBAL__N_18offset_tEEE10hipError_tPvRmT1_PNSt15iterator_traitsISY_E10value_typeET2_T3_PNSZ_IS14_E10value_typeET4_jRbjT5_S1A_jjP12ihipStream_tbEUljE_EEESV_SW_SX_S14_S18_S1A_T6_T7_T9_mT8_S1C_bDpT10_ENKUlT_T0_E_clISt17integral_constantIbLb1EES1O_IbLb0EEEEDaS1K_S1L_EUlS1K_E_NS1_11comp_targetILNS1_3genE5ELNS1_11target_archE942ELNS1_3gpuE9ELNS1_3repE0EEENS1_30default_config_static_selectorELNS0_4arch9wavefront6targetE1EEEvSY_,@function
_ZN7rocprim17ROCPRIM_400000_NS6detail17trampoline_kernelINS0_13select_configILj256ELj13ELNS0_17block_load_methodE3ELS4_3ELS4_3ELNS0_20block_scan_algorithmE0ELj4294967295EEENS1_25partition_config_selectorILNS1_17partition_subalgoE3EjNS0_10empty_typeEbEEZZNS1_14partition_implILS8_3ELb0ES6_jNS0_17counting_iteratorIjlEEPS9_SE_NS0_5tupleIJPjSE_EEENSF_IJSE_SE_EEES9_SG_JZNS1_25segmented_radix_sort_implINS0_14default_configELb1EPKhPhPKlPlN2at6native12_GLOBAL__N_18offset_tEEE10hipError_tPvRmT1_PNSt15iterator_traitsISY_E10value_typeET2_T3_PNSZ_IS14_E10value_typeET4_jRbjT5_S1A_jjP12ihipStream_tbEUljE_EEESV_SW_SX_S14_S18_S1A_T6_T7_T9_mT8_S1C_bDpT10_ENKUlT_T0_E_clISt17integral_constantIbLb1EES1O_IbLb0EEEEDaS1K_S1L_EUlS1K_E_NS1_11comp_targetILNS1_3genE5ELNS1_11target_archE942ELNS1_3gpuE9ELNS1_3repE0EEENS1_30default_config_static_selectorELNS0_4arch9wavefront6targetE1EEEvSY_: ; @_ZN7rocprim17ROCPRIM_400000_NS6detail17trampoline_kernelINS0_13select_configILj256ELj13ELNS0_17block_load_methodE3ELS4_3ELS4_3ELNS0_20block_scan_algorithmE0ELj4294967295EEENS1_25partition_config_selectorILNS1_17partition_subalgoE3EjNS0_10empty_typeEbEEZZNS1_14partition_implILS8_3ELb0ES6_jNS0_17counting_iteratorIjlEEPS9_SE_NS0_5tupleIJPjSE_EEENSF_IJSE_SE_EEES9_SG_JZNS1_25segmented_radix_sort_implINS0_14default_configELb1EPKhPhPKlPlN2at6native12_GLOBAL__N_18offset_tEEE10hipError_tPvRmT1_PNSt15iterator_traitsISY_E10value_typeET2_T3_PNSZ_IS14_E10value_typeET4_jRbjT5_S1A_jjP12ihipStream_tbEUljE_EEESV_SW_SX_S14_S18_S1A_T6_T7_T9_mT8_S1C_bDpT10_ENKUlT_T0_E_clISt17integral_constantIbLb1EES1O_IbLb0EEEEDaS1K_S1L_EUlS1K_E_NS1_11comp_targetILNS1_3genE5ELNS1_11target_archE942ELNS1_3gpuE9ELNS1_3repE0EEENS1_30default_config_static_selectorELNS0_4arch9wavefront6targetE1EEEvSY_
; %bb.0:
	.section	.rodata,"a",@progbits
	.p2align	6, 0x0
	.amdhsa_kernel _ZN7rocprim17ROCPRIM_400000_NS6detail17trampoline_kernelINS0_13select_configILj256ELj13ELNS0_17block_load_methodE3ELS4_3ELS4_3ELNS0_20block_scan_algorithmE0ELj4294967295EEENS1_25partition_config_selectorILNS1_17partition_subalgoE3EjNS0_10empty_typeEbEEZZNS1_14partition_implILS8_3ELb0ES6_jNS0_17counting_iteratorIjlEEPS9_SE_NS0_5tupleIJPjSE_EEENSF_IJSE_SE_EEES9_SG_JZNS1_25segmented_radix_sort_implINS0_14default_configELb1EPKhPhPKlPlN2at6native12_GLOBAL__N_18offset_tEEE10hipError_tPvRmT1_PNSt15iterator_traitsISY_E10value_typeET2_T3_PNSZ_IS14_E10value_typeET4_jRbjT5_S1A_jjP12ihipStream_tbEUljE_EEESV_SW_SX_S14_S18_S1A_T6_T7_T9_mT8_S1C_bDpT10_ENKUlT_T0_E_clISt17integral_constantIbLb1EES1O_IbLb0EEEEDaS1K_S1L_EUlS1K_E_NS1_11comp_targetILNS1_3genE5ELNS1_11target_archE942ELNS1_3gpuE9ELNS1_3repE0EEENS1_30default_config_static_selectorELNS0_4arch9wavefront6targetE1EEEvSY_
		.amdhsa_group_segment_fixed_size 0
		.amdhsa_private_segment_fixed_size 0
		.amdhsa_kernarg_size 144
		.amdhsa_user_sgpr_count 6
		.amdhsa_user_sgpr_private_segment_buffer 1
		.amdhsa_user_sgpr_dispatch_ptr 0
		.amdhsa_user_sgpr_queue_ptr 0
		.amdhsa_user_sgpr_kernarg_segment_ptr 1
		.amdhsa_user_sgpr_dispatch_id 0
		.amdhsa_user_sgpr_flat_scratch_init 0
		.amdhsa_user_sgpr_kernarg_preload_length 0
		.amdhsa_user_sgpr_kernarg_preload_offset 0
		.amdhsa_user_sgpr_private_segment_size 0
		.amdhsa_uses_dynamic_stack 0
		.amdhsa_system_sgpr_private_segment_wavefront_offset 0
		.amdhsa_system_sgpr_workgroup_id_x 1
		.amdhsa_system_sgpr_workgroup_id_y 0
		.amdhsa_system_sgpr_workgroup_id_z 0
		.amdhsa_system_sgpr_workgroup_info 0
		.amdhsa_system_vgpr_workitem_id 0
		.amdhsa_next_free_vgpr 1
		.amdhsa_next_free_sgpr 0
		.amdhsa_accum_offset 4
		.amdhsa_reserve_vcc 0
		.amdhsa_reserve_flat_scratch 0
		.amdhsa_float_round_mode_32 0
		.amdhsa_float_round_mode_16_64 0
		.amdhsa_float_denorm_mode_32 3
		.amdhsa_float_denorm_mode_16_64 3
		.amdhsa_dx10_clamp 1
		.amdhsa_ieee_mode 1
		.amdhsa_fp16_overflow 0
		.amdhsa_tg_split 0
		.amdhsa_exception_fp_ieee_invalid_op 0
		.amdhsa_exception_fp_denorm_src 0
		.amdhsa_exception_fp_ieee_div_zero 0
		.amdhsa_exception_fp_ieee_overflow 0
		.amdhsa_exception_fp_ieee_underflow 0
		.amdhsa_exception_fp_ieee_inexact 0
		.amdhsa_exception_int_div_zero 0
	.end_amdhsa_kernel
	.section	.text._ZN7rocprim17ROCPRIM_400000_NS6detail17trampoline_kernelINS0_13select_configILj256ELj13ELNS0_17block_load_methodE3ELS4_3ELS4_3ELNS0_20block_scan_algorithmE0ELj4294967295EEENS1_25partition_config_selectorILNS1_17partition_subalgoE3EjNS0_10empty_typeEbEEZZNS1_14partition_implILS8_3ELb0ES6_jNS0_17counting_iteratorIjlEEPS9_SE_NS0_5tupleIJPjSE_EEENSF_IJSE_SE_EEES9_SG_JZNS1_25segmented_radix_sort_implINS0_14default_configELb1EPKhPhPKlPlN2at6native12_GLOBAL__N_18offset_tEEE10hipError_tPvRmT1_PNSt15iterator_traitsISY_E10value_typeET2_T3_PNSZ_IS14_E10value_typeET4_jRbjT5_S1A_jjP12ihipStream_tbEUljE_EEESV_SW_SX_S14_S18_S1A_T6_T7_T9_mT8_S1C_bDpT10_ENKUlT_T0_E_clISt17integral_constantIbLb1EES1O_IbLb0EEEEDaS1K_S1L_EUlS1K_E_NS1_11comp_targetILNS1_3genE5ELNS1_11target_archE942ELNS1_3gpuE9ELNS1_3repE0EEENS1_30default_config_static_selectorELNS0_4arch9wavefront6targetE1EEEvSY_,"axG",@progbits,_ZN7rocprim17ROCPRIM_400000_NS6detail17trampoline_kernelINS0_13select_configILj256ELj13ELNS0_17block_load_methodE3ELS4_3ELS4_3ELNS0_20block_scan_algorithmE0ELj4294967295EEENS1_25partition_config_selectorILNS1_17partition_subalgoE3EjNS0_10empty_typeEbEEZZNS1_14partition_implILS8_3ELb0ES6_jNS0_17counting_iteratorIjlEEPS9_SE_NS0_5tupleIJPjSE_EEENSF_IJSE_SE_EEES9_SG_JZNS1_25segmented_radix_sort_implINS0_14default_configELb1EPKhPhPKlPlN2at6native12_GLOBAL__N_18offset_tEEE10hipError_tPvRmT1_PNSt15iterator_traitsISY_E10value_typeET2_T3_PNSZ_IS14_E10value_typeET4_jRbjT5_S1A_jjP12ihipStream_tbEUljE_EEESV_SW_SX_S14_S18_S1A_T6_T7_T9_mT8_S1C_bDpT10_ENKUlT_T0_E_clISt17integral_constantIbLb1EES1O_IbLb0EEEEDaS1K_S1L_EUlS1K_E_NS1_11comp_targetILNS1_3genE5ELNS1_11target_archE942ELNS1_3gpuE9ELNS1_3repE0EEENS1_30default_config_static_selectorELNS0_4arch9wavefront6targetE1EEEvSY_,comdat
.Lfunc_end67:
	.size	_ZN7rocprim17ROCPRIM_400000_NS6detail17trampoline_kernelINS0_13select_configILj256ELj13ELNS0_17block_load_methodE3ELS4_3ELS4_3ELNS0_20block_scan_algorithmE0ELj4294967295EEENS1_25partition_config_selectorILNS1_17partition_subalgoE3EjNS0_10empty_typeEbEEZZNS1_14partition_implILS8_3ELb0ES6_jNS0_17counting_iteratorIjlEEPS9_SE_NS0_5tupleIJPjSE_EEENSF_IJSE_SE_EEES9_SG_JZNS1_25segmented_radix_sort_implINS0_14default_configELb1EPKhPhPKlPlN2at6native12_GLOBAL__N_18offset_tEEE10hipError_tPvRmT1_PNSt15iterator_traitsISY_E10value_typeET2_T3_PNSZ_IS14_E10value_typeET4_jRbjT5_S1A_jjP12ihipStream_tbEUljE_EEESV_SW_SX_S14_S18_S1A_T6_T7_T9_mT8_S1C_bDpT10_ENKUlT_T0_E_clISt17integral_constantIbLb1EES1O_IbLb0EEEEDaS1K_S1L_EUlS1K_E_NS1_11comp_targetILNS1_3genE5ELNS1_11target_archE942ELNS1_3gpuE9ELNS1_3repE0EEENS1_30default_config_static_selectorELNS0_4arch9wavefront6targetE1EEEvSY_, .Lfunc_end67-_ZN7rocprim17ROCPRIM_400000_NS6detail17trampoline_kernelINS0_13select_configILj256ELj13ELNS0_17block_load_methodE3ELS4_3ELS4_3ELNS0_20block_scan_algorithmE0ELj4294967295EEENS1_25partition_config_selectorILNS1_17partition_subalgoE3EjNS0_10empty_typeEbEEZZNS1_14partition_implILS8_3ELb0ES6_jNS0_17counting_iteratorIjlEEPS9_SE_NS0_5tupleIJPjSE_EEENSF_IJSE_SE_EEES9_SG_JZNS1_25segmented_radix_sort_implINS0_14default_configELb1EPKhPhPKlPlN2at6native12_GLOBAL__N_18offset_tEEE10hipError_tPvRmT1_PNSt15iterator_traitsISY_E10value_typeET2_T3_PNSZ_IS14_E10value_typeET4_jRbjT5_S1A_jjP12ihipStream_tbEUljE_EEESV_SW_SX_S14_S18_S1A_T6_T7_T9_mT8_S1C_bDpT10_ENKUlT_T0_E_clISt17integral_constantIbLb1EES1O_IbLb0EEEEDaS1K_S1L_EUlS1K_E_NS1_11comp_targetILNS1_3genE5ELNS1_11target_archE942ELNS1_3gpuE9ELNS1_3repE0EEENS1_30default_config_static_selectorELNS0_4arch9wavefront6targetE1EEEvSY_
                                        ; -- End function
	.section	.AMDGPU.csdata,"",@progbits
; Kernel info:
; codeLenInByte = 0
; NumSgprs: 4
; NumVgprs: 0
; NumAgprs: 0
; TotalNumVgprs: 0
; ScratchSize: 0
; MemoryBound: 0
; FloatMode: 240
; IeeeMode: 1
; LDSByteSize: 0 bytes/workgroup (compile time only)
; SGPRBlocks: 0
; VGPRBlocks: 0
; NumSGPRsForWavesPerEU: 4
; NumVGPRsForWavesPerEU: 1
; AccumOffset: 4
; Occupancy: 8
; WaveLimiterHint : 0
; COMPUTE_PGM_RSRC2:SCRATCH_EN: 0
; COMPUTE_PGM_RSRC2:USER_SGPR: 6
; COMPUTE_PGM_RSRC2:TRAP_HANDLER: 0
; COMPUTE_PGM_RSRC2:TGID_X_EN: 1
; COMPUTE_PGM_RSRC2:TGID_Y_EN: 0
; COMPUTE_PGM_RSRC2:TGID_Z_EN: 0
; COMPUTE_PGM_RSRC2:TIDIG_COMP_CNT: 0
; COMPUTE_PGM_RSRC3_GFX90A:ACCUM_OFFSET: 0
; COMPUTE_PGM_RSRC3_GFX90A:TG_SPLIT: 0
	.section	.text._ZN7rocprim17ROCPRIM_400000_NS6detail17trampoline_kernelINS0_13select_configILj256ELj13ELNS0_17block_load_methodE3ELS4_3ELS4_3ELNS0_20block_scan_algorithmE0ELj4294967295EEENS1_25partition_config_selectorILNS1_17partition_subalgoE3EjNS0_10empty_typeEbEEZZNS1_14partition_implILS8_3ELb0ES6_jNS0_17counting_iteratorIjlEEPS9_SE_NS0_5tupleIJPjSE_EEENSF_IJSE_SE_EEES9_SG_JZNS1_25segmented_radix_sort_implINS0_14default_configELb1EPKhPhPKlPlN2at6native12_GLOBAL__N_18offset_tEEE10hipError_tPvRmT1_PNSt15iterator_traitsISY_E10value_typeET2_T3_PNSZ_IS14_E10value_typeET4_jRbjT5_S1A_jjP12ihipStream_tbEUljE_EEESV_SW_SX_S14_S18_S1A_T6_T7_T9_mT8_S1C_bDpT10_ENKUlT_T0_E_clISt17integral_constantIbLb1EES1O_IbLb0EEEEDaS1K_S1L_EUlS1K_E_NS1_11comp_targetILNS1_3genE4ELNS1_11target_archE910ELNS1_3gpuE8ELNS1_3repE0EEENS1_30default_config_static_selectorELNS0_4arch9wavefront6targetE1EEEvSY_,"axG",@progbits,_ZN7rocprim17ROCPRIM_400000_NS6detail17trampoline_kernelINS0_13select_configILj256ELj13ELNS0_17block_load_methodE3ELS4_3ELS4_3ELNS0_20block_scan_algorithmE0ELj4294967295EEENS1_25partition_config_selectorILNS1_17partition_subalgoE3EjNS0_10empty_typeEbEEZZNS1_14partition_implILS8_3ELb0ES6_jNS0_17counting_iteratorIjlEEPS9_SE_NS0_5tupleIJPjSE_EEENSF_IJSE_SE_EEES9_SG_JZNS1_25segmented_radix_sort_implINS0_14default_configELb1EPKhPhPKlPlN2at6native12_GLOBAL__N_18offset_tEEE10hipError_tPvRmT1_PNSt15iterator_traitsISY_E10value_typeET2_T3_PNSZ_IS14_E10value_typeET4_jRbjT5_S1A_jjP12ihipStream_tbEUljE_EEESV_SW_SX_S14_S18_S1A_T6_T7_T9_mT8_S1C_bDpT10_ENKUlT_T0_E_clISt17integral_constantIbLb1EES1O_IbLb0EEEEDaS1K_S1L_EUlS1K_E_NS1_11comp_targetILNS1_3genE4ELNS1_11target_archE910ELNS1_3gpuE8ELNS1_3repE0EEENS1_30default_config_static_selectorELNS0_4arch9wavefront6targetE1EEEvSY_,comdat
	.globl	_ZN7rocprim17ROCPRIM_400000_NS6detail17trampoline_kernelINS0_13select_configILj256ELj13ELNS0_17block_load_methodE3ELS4_3ELS4_3ELNS0_20block_scan_algorithmE0ELj4294967295EEENS1_25partition_config_selectorILNS1_17partition_subalgoE3EjNS0_10empty_typeEbEEZZNS1_14partition_implILS8_3ELb0ES6_jNS0_17counting_iteratorIjlEEPS9_SE_NS0_5tupleIJPjSE_EEENSF_IJSE_SE_EEES9_SG_JZNS1_25segmented_radix_sort_implINS0_14default_configELb1EPKhPhPKlPlN2at6native12_GLOBAL__N_18offset_tEEE10hipError_tPvRmT1_PNSt15iterator_traitsISY_E10value_typeET2_T3_PNSZ_IS14_E10value_typeET4_jRbjT5_S1A_jjP12ihipStream_tbEUljE_EEESV_SW_SX_S14_S18_S1A_T6_T7_T9_mT8_S1C_bDpT10_ENKUlT_T0_E_clISt17integral_constantIbLb1EES1O_IbLb0EEEEDaS1K_S1L_EUlS1K_E_NS1_11comp_targetILNS1_3genE4ELNS1_11target_archE910ELNS1_3gpuE8ELNS1_3repE0EEENS1_30default_config_static_selectorELNS0_4arch9wavefront6targetE1EEEvSY_ ; -- Begin function _ZN7rocprim17ROCPRIM_400000_NS6detail17trampoline_kernelINS0_13select_configILj256ELj13ELNS0_17block_load_methodE3ELS4_3ELS4_3ELNS0_20block_scan_algorithmE0ELj4294967295EEENS1_25partition_config_selectorILNS1_17partition_subalgoE3EjNS0_10empty_typeEbEEZZNS1_14partition_implILS8_3ELb0ES6_jNS0_17counting_iteratorIjlEEPS9_SE_NS0_5tupleIJPjSE_EEENSF_IJSE_SE_EEES9_SG_JZNS1_25segmented_radix_sort_implINS0_14default_configELb1EPKhPhPKlPlN2at6native12_GLOBAL__N_18offset_tEEE10hipError_tPvRmT1_PNSt15iterator_traitsISY_E10value_typeET2_T3_PNSZ_IS14_E10value_typeET4_jRbjT5_S1A_jjP12ihipStream_tbEUljE_EEESV_SW_SX_S14_S18_S1A_T6_T7_T9_mT8_S1C_bDpT10_ENKUlT_T0_E_clISt17integral_constantIbLb1EES1O_IbLb0EEEEDaS1K_S1L_EUlS1K_E_NS1_11comp_targetILNS1_3genE4ELNS1_11target_archE910ELNS1_3gpuE8ELNS1_3repE0EEENS1_30default_config_static_selectorELNS0_4arch9wavefront6targetE1EEEvSY_
	.p2align	8
	.type	_ZN7rocprim17ROCPRIM_400000_NS6detail17trampoline_kernelINS0_13select_configILj256ELj13ELNS0_17block_load_methodE3ELS4_3ELS4_3ELNS0_20block_scan_algorithmE0ELj4294967295EEENS1_25partition_config_selectorILNS1_17partition_subalgoE3EjNS0_10empty_typeEbEEZZNS1_14partition_implILS8_3ELb0ES6_jNS0_17counting_iteratorIjlEEPS9_SE_NS0_5tupleIJPjSE_EEENSF_IJSE_SE_EEES9_SG_JZNS1_25segmented_radix_sort_implINS0_14default_configELb1EPKhPhPKlPlN2at6native12_GLOBAL__N_18offset_tEEE10hipError_tPvRmT1_PNSt15iterator_traitsISY_E10value_typeET2_T3_PNSZ_IS14_E10value_typeET4_jRbjT5_S1A_jjP12ihipStream_tbEUljE_EEESV_SW_SX_S14_S18_S1A_T6_T7_T9_mT8_S1C_bDpT10_ENKUlT_T0_E_clISt17integral_constantIbLb1EES1O_IbLb0EEEEDaS1K_S1L_EUlS1K_E_NS1_11comp_targetILNS1_3genE4ELNS1_11target_archE910ELNS1_3gpuE8ELNS1_3repE0EEENS1_30default_config_static_selectorELNS0_4arch9wavefront6targetE1EEEvSY_,@function
_ZN7rocprim17ROCPRIM_400000_NS6detail17trampoline_kernelINS0_13select_configILj256ELj13ELNS0_17block_load_methodE3ELS4_3ELS4_3ELNS0_20block_scan_algorithmE0ELj4294967295EEENS1_25partition_config_selectorILNS1_17partition_subalgoE3EjNS0_10empty_typeEbEEZZNS1_14partition_implILS8_3ELb0ES6_jNS0_17counting_iteratorIjlEEPS9_SE_NS0_5tupleIJPjSE_EEENSF_IJSE_SE_EEES9_SG_JZNS1_25segmented_radix_sort_implINS0_14default_configELb1EPKhPhPKlPlN2at6native12_GLOBAL__N_18offset_tEEE10hipError_tPvRmT1_PNSt15iterator_traitsISY_E10value_typeET2_T3_PNSZ_IS14_E10value_typeET4_jRbjT5_S1A_jjP12ihipStream_tbEUljE_EEESV_SW_SX_S14_S18_S1A_T6_T7_T9_mT8_S1C_bDpT10_ENKUlT_T0_E_clISt17integral_constantIbLb1EES1O_IbLb0EEEEDaS1K_S1L_EUlS1K_E_NS1_11comp_targetILNS1_3genE4ELNS1_11target_archE910ELNS1_3gpuE8ELNS1_3repE0EEENS1_30default_config_static_selectorELNS0_4arch9wavefront6targetE1EEEvSY_: ; @_ZN7rocprim17ROCPRIM_400000_NS6detail17trampoline_kernelINS0_13select_configILj256ELj13ELNS0_17block_load_methodE3ELS4_3ELS4_3ELNS0_20block_scan_algorithmE0ELj4294967295EEENS1_25partition_config_selectorILNS1_17partition_subalgoE3EjNS0_10empty_typeEbEEZZNS1_14partition_implILS8_3ELb0ES6_jNS0_17counting_iteratorIjlEEPS9_SE_NS0_5tupleIJPjSE_EEENSF_IJSE_SE_EEES9_SG_JZNS1_25segmented_radix_sort_implINS0_14default_configELb1EPKhPhPKlPlN2at6native12_GLOBAL__N_18offset_tEEE10hipError_tPvRmT1_PNSt15iterator_traitsISY_E10value_typeET2_T3_PNSZ_IS14_E10value_typeET4_jRbjT5_S1A_jjP12ihipStream_tbEUljE_EEESV_SW_SX_S14_S18_S1A_T6_T7_T9_mT8_S1C_bDpT10_ENKUlT_T0_E_clISt17integral_constantIbLb1EES1O_IbLb0EEEEDaS1K_S1L_EUlS1K_E_NS1_11comp_targetILNS1_3genE4ELNS1_11target_archE910ELNS1_3gpuE8ELNS1_3repE0EEENS1_30default_config_static_selectorELNS0_4arch9wavefront6targetE1EEEvSY_
; %bb.0:
	s_load_dwordx2 s[26:27], s[4:5], 0x58
	s_load_dwordx4 s[20:23], s[4:5], 0x48
	s_load_dword s13, s[4:5], 0x8
	s_load_dwordx2 s[28:29], s[4:5], 0x10
	s_load_dword s12, s[4:5], 0x70
	s_load_dword s7, s[4:5], 0x88
	s_load_dwordx4 s[8:11], s[4:5], 0x78
	s_waitcnt lgkmcnt(0)
	s_load_dwordx2 s[30:31], s[22:23], 0x0
	v_pk_mov_b32 v[2:3], s[26:27], s[26:27] op_sel:[0,1]
	s_add_i32 s2, s12, -1
	s_mulk_i32 s12, 0xd00
	s_add_u32 s0, s28, s12
	s_addc_u32 s1, s29, 0
	s_cmp_eq_u32 s6, s2
	s_cselect_b64 s[22:23], -1, 0
	s_cmp_lg_u32 s6, s2
	s_mul_i32 s42, s6, 0xd00
	v_cmp_lt_u64_e32 vcc, s[0:1], v[2:3]
	s_cselect_b64 s[0:1], -1, 0
	s_or_b64 s[2:3], s[0:1], vcc
	s_add_i32 s0, s13, s42
	s_add_i32 s0, s0, s28
	v_add_u32_e32 v2, s0, v0
	s_mov_b64 s[0:1], -1
	s_and_b64 vcc, exec, s[2:3]
	v_lshlrev_b32_e32 v1, 2, v0
	s_cbranch_vccz .LBB68_2
; %bb.1:
	v_add_u32_e32 v3, 0x100, v2
	v_add_u32_e32 v4, 0x200, v2
	;; [unrolled: 1-line block ×12, first 2 shown]
	ds_write2st64_b32 v1, v2, v3 offset1:4
	ds_write2st64_b32 v1, v4, v5 offset0:8 offset1:12
	ds_write2st64_b32 v1, v6, v7 offset0:16 offset1:20
	;; [unrolled: 1-line block ×5, first 2 shown]
	ds_write_b32 v1, v14 offset:12288
	s_waitcnt lgkmcnt(0)
	s_barrier
	s_mov_b64 s[0:1], 0
.LBB68_2:
	s_andn2_b64 vcc, exec, s[0:1]
	s_add_i32 s12, s12, s28
	s_cbranch_vccnz .LBB68_4
; %bb.3:
	v_add_u32_e32 v3, 0x100, v2
	v_add_u32_e32 v4, 0x200, v2
	;; [unrolled: 1-line block ×12, first 2 shown]
	ds_write2st64_b32 v1, v2, v3 offset1:4
	ds_write2st64_b32 v1, v4, v5 offset0:8 offset1:12
	ds_write2st64_b32 v1, v6, v7 offset0:16 offset1:20
	;; [unrolled: 1-line block ×5, first 2 shown]
	ds_write_b32 v1, v14 offset:12288
	s_waitcnt lgkmcnt(0)
	s_barrier
.LBB68_4:
	v_mul_u32_u24_e32 v33, 13, v0
	v_lshlrev_b32_e32 v2, 2, v33
	s_waitcnt lgkmcnt(0)
	ds_read2_b32 v[30:31], v2 offset1:1
	ds_read2_b32 v[28:29], v2 offset0:2 offset1:3
	ds_read2_b32 v[26:27], v2 offset0:4 offset1:5
	;; [unrolled: 1-line block ×5, first 2 shown]
	ds_read_b32 v32, v2 offset:48
	v_cndmask_b32_e64 v2, 0, 1, s[2:3]
	s_sub_i32 s33, s26, s12
	v_cmp_ne_u32_e64 s[0:1], 1, v2
	s_andn2_b64 vcc, exec, s[2:3]
	s_waitcnt lgkmcnt(0)
	s_barrier
	s_cbranch_vccnz .LBB68_6
; %bb.5:
	v_add_u32_e32 v2, s9, v30
	v_add_u32_e32 v3, s11, v30
	v_mul_lo_u32 v2, v2, s8
	v_mul_lo_u32 v3, v3, s10
	v_sub_u32_e32 v2, v2, v3
	v_add_u32_e32 v3, s9, v31
	v_add_u32_e32 v4, s11, v31
	v_mul_lo_u32 v3, v3, s8
	v_mul_lo_u32 v4, v4, s10
	v_sub_u32_e32 v3, v3, v4
	;; [unrolled: 5-line block ×6, first 2 shown]
	v_add_u32_e32 v8, s9, v24
	v_add_u32_e32 v9, s11, v24
	v_mul_lo_u32 v8, v8, s8
	v_mul_lo_u32 v9, v9, s10
	v_cmp_lt_u32_e32 vcc, s7, v2
	v_sub_u32_e32 v8, v8, v9
	v_add_u32_e32 v9, s9, v25
	v_add_u32_e32 v10, s11, v25
	v_cndmask_b32_e64 v2, 0, 1, vcc
	v_cmp_lt_u32_e32 vcc, s7, v3
	v_mul_lo_u32 v9, v9, s8
	v_mul_lo_u32 v10, v10, s10
	v_cndmask_b32_e64 v3, 0, 1, vcc
	v_cmp_lt_u32_e32 vcc, s7, v4
	v_sub_u32_e32 v9, v9, v10
	v_add_u32_e32 v10, s9, v22
	v_add_u32_e32 v11, s11, v22
	v_cndmask_b32_e64 v4, 0, 1, vcc
	v_cmp_lt_u32_e32 vcc, s7, v5
	v_mul_lo_u32 v10, v10, s8
	v_mul_lo_u32 v11, v11, s10
	v_cndmask_b32_e64 v5, 0, 1, vcc
	;; [unrolled: 9-line block ×4, first 2 shown]
	v_cmp_lt_u32_e32 vcc, s7, v10
	v_sub_u32_e32 v12, v12, v13
	v_add_u32_e32 v13, s9, v21
	v_add_u32_e32 v14, s11, v21
	v_lshlrev_b16_e32 v3, 8, v3
	v_cndmask_b32_e64 v10, 0, 1, vcc
	v_cmp_lt_u32_e32 vcc, s7, v11
	v_mul_lo_u32 v13, v13, s8
	v_mul_lo_u32 v14, v14, s10
	v_or_b32_e32 v2, v2, v3
	v_lshlrev_b16_e32 v3, 8, v5
	v_cndmask_b32_e64 v11, 0, 1, vcc
	v_cmp_lt_u32_e32 vcc, s7, v12
	v_sub_u32_e32 v13, v13, v14
	v_or_b32_sdwa v3, v4, v3 dst_sel:WORD_1 dst_unused:UNUSED_PAD src0_sel:DWORD src1_sel:DWORD
	v_cndmask_b32_e64 v12, 0, 1, vcc
	v_cmp_lt_u32_e32 vcc, s7, v13
	v_add_u32_e32 v14, s9, v32
	v_add_u32_e32 v15, s11, v32
	v_or_b32_sdwa v37, v2, v3 dst_sel:DWORD dst_unused:UNUSED_PAD src0_sel:WORD_0 src1_sel:DWORD
	v_lshlrev_b16_e32 v2, 8, v7
	v_lshlrev_b16_e32 v3, 8, v9
	v_cndmask_b32_e64 v13, 0, 1, vcc
	v_mul_lo_u32 v14, v14, s8
	v_mul_lo_u32 v15, v15, s10
	v_or_b32_e32 v2, v6, v2
	v_or_b32_sdwa v3, v8, v3 dst_sel:WORD_1 dst_unused:UNUSED_PAD src0_sel:DWORD src1_sel:DWORD
	v_sub_u32_e32 v14, v14, v15
	v_or_b32_sdwa v36, v2, v3 dst_sel:DWORD dst_unused:UNUSED_PAD src0_sel:WORD_0 src1_sel:DWORD
	v_lshlrev_b16_e32 v2, 8, v11
	v_lshlrev_b16_e32 v3, 8, v13
	v_cmp_lt_u32_e32 vcc, s7, v14
	v_or_b32_e32 v2, v10, v2
	v_or_b32_sdwa v3, v12, v3 dst_sel:WORD_1 dst_unused:UNUSED_PAD src0_sel:DWORD src1_sel:DWORD
	v_cndmask_b32_e64 v34, 0, 1, vcc
	v_or_b32_sdwa v35, v2, v3 dst_sel:DWORD dst_unused:UNUSED_PAD src0_sel:WORD_0 src1_sel:DWORD
	s_mov_b64 s[2:3], 0
	s_branch .LBB68_7
.LBB68_6:
	s_mov_b64 s[2:3], -1
                                        ; implicit-def: $vgpr34
                                        ; implicit-def: $vgpr35
                                        ; implicit-def: $vgpr36
                                        ; implicit-def: $vgpr37
.LBB68_7:
	s_load_dwordx2 s[24:25], s[4:5], 0x28
	s_load_dwordx2 s[34:35], s[4:5], 0x68
	s_andn2_b64 vcc, exec, s[2:3]
	s_addk_i32 s33, 0xd00
	s_cbranch_vccnz .LBB68_35
; %bb.8:
	v_cmp_gt_u32_e32 vcc, s33, v33
	v_mov_b32_e32 v3, 0
	v_mov_b32_e32 v2, 0
	s_and_saveexec_b64 s[2:3], vcc
; %bb.9:
	v_add_u32_e32 v2, s9, v30
	v_add_u32_e32 v4, s11, v30
	v_mul_lo_u32 v2, v2, s8
	v_mul_lo_u32 v4, v4, s10
	v_sub_u32_e32 v2, v2, v4
	v_cmp_lt_u32_e32 vcc, s7, v2
	v_cndmask_b32_e64 v2, 0, 1, vcc
; %bb.10:
	s_or_b64 exec, exec, s[2:3]
	v_add_u32_e32 v4, 1, v33
	v_cmp_gt_u32_e32 vcc, s33, v4
	s_and_saveexec_b64 s[2:3], vcc
; %bb.11:
	v_add_u32_e32 v3, s9, v31
	v_add_u32_e32 v4, s11, v31
	v_mul_lo_u32 v3, v3, s8
	v_mul_lo_u32 v4, v4, s10
	v_sub_u32_e32 v3, v3, v4
	v_cmp_lt_u32_e32 vcc, s7, v3
	v_cndmask_b32_e64 v3, 0, 1, vcc
; %bb.12:
	s_or_b64 exec, exec, s[2:3]
	v_add_u32_e32 v4, 2, v33
	v_cmp_gt_u32_e32 vcc, s33, v4
	v_mov_b32_e32 v5, 0
	v_mov_b32_e32 v4, 0
	s_and_saveexec_b64 s[2:3], vcc
; %bb.13:
	v_add_u32_e32 v4, s9, v28
	v_add_u32_e32 v6, s11, v28
	v_mul_lo_u32 v4, v4, s8
	v_mul_lo_u32 v6, v6, s10
	v_sub_u32_e32 v4, v4, v6
	v_cmp_lt_u32_e32 vcc, s7, v4
	v_cndmask_b32_e64 v4, 0, 1, vcc
; %bb.14:
	s_or_b64 exec, exec, s[2:3]
	v_add_u32_e32 v6, 3, v33
	v_cmp_gt_u32_e32 vcc, s33, v6
	s_and_saveexec_b64 s[2:3], vcc
; %bb.15:
	v_add_u32_e32 v5, s9, v29
	v_add_u32_e32 v6, s11, v29
	v_mul_lo_u32 v5, v5, s8
	v_mul_lo_u32 v6, v6, s10
	v_sub_u32_e32 v5, v5, v6
	v_cmp_lt_u32_e32 vcc, s7, v5
	v_cndmask_b32_e64 v5, 0, 1, vcc
; %bb.16:
	s_or_b64 exec, exec, s[2:3]
	v_add_u32_e32 v6, 4, v33
	;; [unrolled: 28-line block ×6, first 2 shown]
	v_cmp_gt_u32_e32 vcc, s33, v14
	v_mov_b32_e32 v34, 0
	s_and_saveexec_b64 s[2:3], vcc
; %bb.33:
	v_add_u32_e32 v14, s9, v32
	v_add_u32_e32 v15, s11, v32
	v_mul_lo_u32 v14, v14, s8
	v_mul_lo_u32 v15, v15, s10
	v_sub_u32_e32 v14, v14, v15
	v_cmp_lt_u32_e32 vcc, s7, v14
	v_cndmask_b32_e64 v34, 0, 1, vcc
; %bb.34:
	s_or_b64 exec, exec, s[2:3]
	v_lshlrev_b16_e32 v3, 8, v3
	v_or_b32_e32 v2, v2, v3
	v_lshlrev_b16_e32 v3, 8, v5
	v_or_b32_sdwa v3, v4, v3 dst_sel:WORD_1 dst_unused:UNUSED_PAD src0_sel:DWORD src1_sel:DWORD
	v_or_b32_sdwa v37, v2, v3 dst_sel:DWORD dst_unused:UNUSED_PAD src0_sel:WORD_0 src1_sel:DWORD
	v_lshlrev_b16_e32 v2, 8, v7
	v_lshlrev_b16_e32 v3, 8, v9
	v_or_b32_e32 v2, v6, v2
	v_or_b32_sdwa v3, v8, v3 dst_sel:WORD_1 dst_unused:UNUSED_PAD src0_sel:DWORD src1_sel:DWORD
	v_or_b32_sdwa v36, v2, v3 dst_sel:DWORD dst_unused:UNUSED_PAD src0_sel:WORD_0 src1_sel:DWORD
	v_lshlrev_b16_e32 v2, 8, v11
	v_lshlrev_b16_e32 v3, 8, v13
	v_or_b32_e32 v2, v10, v2
	v_or_b32_sdwa v3, v12, v3 dst_sel:WORD_1 dst_unused:UNUSED_PAD src0_sel:DWORD src1_sel:DWORD
	v_or_b32_sdwa v35, v2, v3 dst_sel:DWORD dst_unused:UNUSED_PAD src0_sel:WORD_0 src1_sel:DWORD
.LBB68_35:
	v_and_b32_e32 v41, 0xff, v37
	v_bfe_u32 v42, v37, 8, 8
	v_bfe_u32 v43, v37, 16, 8
	v_lshrrev_b32_e32 v40, 24, v37
	v_and_b32_e32 v44, 0xff, v36
	v_add3_u32 v3, v42, v41, v43
	v_bfe_u32 v45, v36, 8, 8
	v_bfe_u32 v46, v36, 16, 8
	v_add3_u32 v3, v3, v40, v44
	v_lshrrev_b32_e32 v39, 24, v36
	v_and_b32_e32 v47, 0xff, v35
	v_add3_u32 v3, v3, v45, v46
	v_bfe_u32 v48, v35, 8, 8
	v_bfe_u32 v49, v35, 16, 8
	v_add3_u32 v3, v3, v39, v47
	v_lshrrev_b32_e32 v38, 24, v35
	v_and_b32_e32 v2, 0xff, v34
	v_add3_u32 v3, v3, v48, v49
	v_add3_u32 v52, v3, v38, v2
	v_mbcnt_lo_u32_b32 v2, -1, 0
	v_mbcnt_hi_u32_b32 v50, -1, v2
	v_and_b32_e32 v2, 15, v50
	v_cmp_eq_u32_e64 s[14:15], 0, v2
	v_cmp_lt_u32_e64 s[12:13], 1, v2
	v_cmp_lt_u32_e64 s[10:11], 3, v2
	;; [unrolled: 1-line block ×3, first 2 shown]
	v_and_b32_e32 v2, 16, v50
	v_cmp_eq_u32_e64 s[18:19], 0, v2
	v_or_b32_e32 v2, 63, v0
	s_cmp_lg_u32 s6, 0
	v_cmp_lt_u32_e64 s[2:3], 31, v50
	v_lshrrev_b32_e32 v51, 6, v0
	v_cmp_eq_u32_e64 s[4:5], v2, v0
	s_cbranch_scc0 .LBB68_66
; %bb.36:
	v_mov_b32_dpp v2, v52 row_shr:1 row_mask:0xf bank_mask:0xf
	v_cndmask_b32_e64 v2, v2, 0, s[14:15]
	v_add_u32_e32 v2, v2, v52
	s_nop 1
	v_mov_b32_dpp v3, v2 row_shr:2 row_mask:0xf bank_mask:0xf
	v_cndmask_b32_e64 v3, 0, v3, s[12:13]
	v_add_u32_e32 v2, v2, v3
	s_nop 1
	;; [unrolled: 4-line block ×4, first 2 shown]
	v_mov_b32_dpp v3, v2 row_bcast:15 row_mask:0xf bank_mask:0xf
	v_cndmask_b32_e64 v3, v3, 0, s[18:19]
	v_add_u32_e32 v2, v2, v3
	s_nop 1
	v_mov_b32_dpp v3, v2 row_bcast:31 row_mask:0xf bank_mask:0xf
	v_cndmask_b32_e64 v3, 0, v3, s[2:3]
	v_add_u32_e32 v2, v2, v3
	s_and_saveexec_b64 s[16:17], s[4:5]
	s_cbranch_execz .LBB68_38
; %bb.37:
	v_lshlrev_b32_e32 v3, 2, v51
	ds_write_b32 v3, v2
.LBB68_38:
	s_or_b64 exec, exec, s[16:17]
	v_cmp_gt_u32_e32 vcc, 4, v0
	s_waitcnt lgkmcnt(0)
	s_barrier
	s_and_saveexec_b64 s[16:17], vcc
	s_cbranch_execz .LBB68_40
; %bb.39:
	ds_read_b32 v3, v1
	v_and_b32_e32 v4, 3, v50
	v_cmp_ne_u32_e32 vcc, 0, v4
	s_waitcnt lgkmcnt(0)
	v_mov_b32_dpp v5, v3 row_shr:1 row_mask:0xf bank_mask:0xf
	v_cndmask_b32_e32 v5, 0, v5, vcc
	v_add_u32_e32 v3, v5, v3
	v_cmp_lt_u32_e32 vcc, 1, v4
	s_nop 0
	v_mov_b32_dpp v5, v3 row_shr:2 row_mask:0xf bank_mask:0xf
	v_cndmask_b32_e32 v4, 0, v5, vcc
	v_add_u32_e32 v3, v3, v4
	ds_write_b32 v1, v3
.LBB68_40:
	s_or_b64 exec, exec, s[16:17]
	v_cmp_gt_u32_e32 vcc, 64, v0
	v_cmp_lt_u32_e64 s[16:17], 63, v0
	s_waitcnt lgkmcnt(0)
	s_barrier
	s_waitcnt lgkmcnt(0)
                                        ; implicit-def: $vgpr12
	s_and_saveexec_b64 s[36:37], s[16:17]
	s_cbranch_execz .LBB68_42
; %bb.41:
	v_lshl_add_u32 v3, v51, 2, -4
	ds_read_b32 v12, v3
	s_waitcnt lgkmcnt(0)
	v_add_u32_e32 v2, v12, v2
.LBB68_42:
	s_or_b64 exec, exec, s[36:37]
	v_add_u32_e32 v3, -1, v50
	v_and_b32_e32 v4, 64, v50
	v_cmp_lt_i32_e64 s[16:17], v3, v4
	v_cndmask_b32_e64 v3, v3, v50, s[16:17]
	v_lshlrev_b32_e32 v3, 2, v3
	ds_bpermute_b32 v13, v3, v2
	v_cmp_eq_u32_e64 s[16:17], 0, v50
	s_and_saveexec_b64 s[36:37], vcc
	s_cbranch_execz .LBB68_65
; %bb.43:
	v_mov_b32_e32 v11, 0
	ds_read_b32 v2, v11 offset:12
	s_and_saveexec_b64 s[38:39], s[16:17]
	s_cbranch_execz .LBB68_45
; %bb.44:
	s_add_i32 s40, s6, 64
	s_mov_b32 s41, 0
	s_lshl_b64 s[40:41], s[40:41], 3
	s_add_u32 s40, s34, s40
	v_mov_b32_e32 v3, 1
	s_addc_u32 s41, s35, s41
	s_waitcnt lgkmcnt(0)
	global_store_dwordx2 v11, v[2:3], s[40:41]
.LBB68_45:
	s_or_b64 exec, exec, s[38:39]
	v_xad_u32 v4, v50, -1, s6
	v_add_u32_e32 v10, 64, v4
	v_lshlrev_b64 v[6:7], 3, v[10:11]
	v_mov_b32_e32 v3, s35
	v_add_co_u32_e32 v6, vcc, s34, v6
	v_addc_co_u32_e32 v7, vcc, v3, v7, vcc
	global_load_dwordx2 v[8:9], v[6:7], off glc
	s_waitcnt vmcnt(0)
	v_cmp_eq_u16_sdwa s[40:41], v9, v11 src0_sel:BYTE_0 src1_sel:DWORD
	s_and_saveexec_b64 s[38:39], s[40:41]
	s_cbranch_execz .LBB68_51
; %bb.46:
	s_mov_b32 s7, 1
	s_mov_b64 s[40:41], 0
	v_mov_b32_e32 v3, 0
.LBB68_47:                              ; =>This Loop Header: Depth=1
                                        ;     Child Loop BB68_48 Depth 2
	s_max_u32 s43, s7, 1
.LBB68_48:                              ;   Parent Loop BB68_47 Depth=1
                                        ; =>  This Inner Loop Header: Depth=2
	s_add_i32 s43, s43, -1
	s_cmp_eq_u32 s43, 0
	s_sleep 1
	s_cbranch_scc0 .LBB68_48
; %bb.49:                               ;   in Loop: Header=BB68_47 Depth=1
	global_load_dwordx2 v[8:9], v[6:7], off glc
	s_cmp_lt_u32 s7, 32
	s_cselect_b64 s[44:45], -1, 0
	s_cmp_lg_u64 s[44:45], 0
	s_addc_u32 s7, s7, 0
	s_waitcnt vmcnt(0)
	v_cmp_ne_u16_sdwa s[44:45], v9, v3 src0_sel:BYTE_0 src1_sel:DWORD
	s_or_b64 s[40:41], s[44:45], s[40:41]
	s_andn2_b64 exec, exec, s[40:41]
	s_cbranch_execnz .LBB68_47
; %bb.50:
	s_or_b64 exec, exec, s[40:41]
.LBB68_51:
	s_or_b64 exec, exec, s[38:39]
	v_and_b32_e32 v14, 63, v50
	v_mov_b32_e32 v3, 2
	v_cmp_ne_u32_e32 vcc, 63, v14
	v_cmp_eq_u16_sdwa s[38:39], v9, v3 src0_sel:BYTE_0 src1_sel:DWORD
	v_lshlrev_b64 v[6:7], v50, -1
	v_addc_co_u32_e32 v11, vcc, 0, v50, vcc
	v_and_b32_e32 v5, s39, v7
	v_lshlrev_b32_e32 v15, 2, v11
	v_or_b32_e32 v5, 0x80000000, v5
	ds_bpermute_b32 v11, v15, v8
	v_and_b32_e32 v10, s38, v6
	v_ffbl_b32_e32 v5, v5
	v_add_u32_e32 v5, 32, v5
	v_ffbl_b32_e32 v10, v10
	v_min_u32_e32 v5, v10, v5
	v_cmp_lt_u32_e32 vcc, v14, v5
	s_waitcnt lgkmcnt(0)
	v_cndmask_b32_e32 v10, 0, v11, vcc
	v_cmp_gt_u32_e32 vcc, 62, v14
	v_add_u32_e32 v8, v10, v8
	v_cndmask_b32_e64 v10, 0, 1, vcc
	v_lshlrev_b32_e32 v10, 1, v10
	v_add_lshl_u32 v16, v10, v50, 2
	ds_bpermute_b32 v10, v16, v8
	v_add_u32_e32 v17, 2, v14
	v_cmp_le_u32_e32 vcc, v17, v5
	v_add_u32_e32 v19, 4, v14
	v_add_u32_e32 v54, 8, v14
	s_waitcnt lgkmcnt(0)
	v_cndmask_b32_e32 v10, 0, v10, vcc
	v_cmp_gt_u32_e32 vcc, 60, v14
	v_add_u32_e32 v8, v8, v10
	v_cndmask_b32_e64 v10, 0, 1, vcc
	v_lshlrev_b32_e32 v10, 2, v10
	v_add_lshl_u32 v18, v10, v50, 2
	ds_bpermute_b32 v10, v18, v8
	v_cmp_le_u32_e32 vcc, v19, v5
	v_add_u32_e32 v57, 16, v14
	v_add_u32_e32 v59, 32, v14
	s_waitcnt lgkmcnt(0)
	v_cndmask_b32_e32 v10, 0, v10, vcc
	v_cmp_gt_u32_e32 vcc, 56, v14
	v_add_u32_e32 v8, v8, v10
	v_cndmask_b32_e64 v10, 0, 1, vcc
	v_lshlrev_b32_e32 v10, 3, v10
	v_add_lshl_u32 v53, v10, v50, 2
	ds_bpermute_b32 v10, v53, v8
	v_cmp_le_u32_e32 vcc, v54, v5
	s_waitcnt lgkmcnt(0)
	v_cndmask_b32_e32 v10, 0, v10, vcc
	v_cmp_gt_u32_e32 vcc, 48, v14
	v_add_u32_e32 v8, v8, v10
	v_cndmask_b32_e64 v10, 0, 1, vcc
	v_lshlrev_b32_e32 v10, 4, v10
	v_add_lshl_u32 v56, v10, v50, 2
	ds_bpermute_b32 v10, v56, v8
	v_cmp_le_u32_e32 vcc, v57, v5
	;; [unrolled: 9-line block ×3, first 2 shown]
	s_waitcnt lgkmcnt(0)
	v_cndmask_b32_e32 v5, 0, v10, vcc
	v_add_u32_e32 v8, v8, v5
	v_mov_b32_e32 v5, 0
	s_branch .LBB68_53
.LBB68_52:                              ;   in Loop: Header=BB68_53 Depth=1
	s_or_b64 exec, exec, s[38:39]
	v_cmp_eq_u16_sdwa s[38:39], v9, v3 src0_sel:BYTE_0 src1_sel:DWORD
	v_and_b32_e32 v10, s39, v7
	v_or_b32_e32 v10, 0x80000000, v10
	ds_bpermute_b32 v60, v15, v8
	v_and_b32_e32 v11, s38, v6
	v_ffbl_b32_e32 v10, v10
	v_add_u32_e32 v10, 32, v10
	v_ffbl_b32_e32 v11, v11
	v_min_u32_e32 v10, v11, v10
	v_cmp_lt_u32_e32 vcc, v14, v10
	s_waitcnt lgkmcnt(0)
	v_cndmask_b32_e32 v11, 0, v60, vcc
	v_add_u32_e32 v8, v11, v8
	ds_bpermute_b32 v11, v16, v8
	v_cmp_le_u32_e32 vcc, v17, v10
	v_subrev_u32_e32 v4, 64, v4
	s_waitcnt lgkmcnt(0)
	v_cndmask_b32_e32 v11, 0, v11, vcc
	v_add_u32_e32 v8, v8, v11
	ds_bpermute_b32 v11, v18, v8
	v_cmp_le_u32_e32 vcc, v19, v10
	s_waitcnt lgkmcnt(0)
	v_cndmask_b32_e32 v11, 0, v11, vcc
	v_add_u32_e32 v8, v8, v11
	ds_bpermute_b32 v11, v53, v8
	v_cmp_le_u32_e32 vcc, v54, v10
	;; [unrolled: 5-line block ×4, first 2 shown]
	s_waitcnt lgkmcnt(0)
	v_cndmask_b32_e32 v10, 0, v11, vcc
	v_add3_u32 v8, v10, v55, v8
.LBB68_53:                              ; =>This Loop Header: Depth=1
                                        ;     Child Loop BB68_56 Depth 2
                                        ;       Child Loop BB68_57 Depth 3
	v_cmp_ne_u16_sdwa s[38:39], v9, v3 src0_sel:BYTE_0 src1_sel:DWORD
	v_cndmask_b32_e64 v9, 0, 1, s[38:39]
	;;#ASMSTART
	;;#ASMEND
	v_cmp_ne_u32_e32 vcc, 0, v9
	s_cmp_lg_u64 vcc, exec
	v_mov_b32_e32 v55, v8
	s_cbranch_scc1 .LBB68_60
; %bb.54:                               ;   in Loop: Header=BB68_53 Depth=1
	v_lshlrev_b64 v[8:9], 3, v[4:5]
	v_mov_b32_e32 v11, s35
	v_add_co_u32_e32 v10, vcc, s34, v8
	v_addc_co_u32_e32 v11, vcc, v11, v9, vcc
	global_load_dwordx2 v[8:9], v[10:11], off glc
	s_waitcnt vmcnt(0)
	v_cmp_eq_u16_sdwa s[40:41], v9, v5 src0_sel:BYTE_0 src1_sel:DWORD
	s_and_saveexec_b64 s[38:39], s[40:41]
	s_cbranch_execz .LBB68_52
; %bb.55:                               ;   in Loop: Header=BB68_53 Depth=1
	s_mov_b32 s7, 1
	s_mov_b64 s[40:41], 0
.LBB68_56:                              ;   Parent Loop BB68_53 Depth=1
                                        ; =>  This Loop Header: Depth=2
                                        ;       Child Loop BB68_57 Depth 3
	s_max_u32 s43, s7, 1
.LBB68_57:                              ;   Parent Loop BB68_53 Depth=1
                                        ;     Parent Loop BB68_56 Depth=2
                                        ; =>    This Inner Loop Header: Depth=3
	s_add_i32 s43, s43, -1
	s_cmp_eq_u32 s43, 0
	s_sleep 1
	s_cbranch_scc0 .LBB68_57
; %bb.58:                               ;   in Loop: Header=BB68_56 Depth=2
	global_load_dwordx2 v[8:9], v[10:11], off glc
	s_cmp_lt_u32 s7, 32
	s_cselect_b64 s[44:45], -1, 0
	s_cmp_lg_u64 s[44:45], 0
	s_addc_u32 s7, s7, 0
	s_waitcnt vmcnt(0)
	v_cmp_ne_u16_sdwa s[44:45], v9, v5 src0_sel:BYTE_0 src1_sel:DWORD
	s_or_b64 s[40:41], s[44:45], s[40:41]
	s_andn2_b64 exec, exec, s[40:41]
	s_cbranch_execnz .LBB68_56
; %bb.59:                               ;   in Loop: Header=BB68_53 Depth=1
	s_or_b64 exec, exec, s[40:41]
	s_branch .LBB68_52
.LBB68_60:                              ;   in Loop: Header=BB68_53 Depth=1
                                        ; implicit-def: $vgpr8
                                        ; implicit-def: $vgpr9
	s_cbranch_execz .LBB68_53
; %bb.61:
	s_and_saveexec_b64 s[38:39], s[16:17]
	s_cbranch_execz .LBB68_63
; %bb.62:
	s_add_i32 s6, s6, 64
	s_mov_b32 s7, 0
	s_lshl_b64 s[6:7], s[6:7], 3
	s_add_u32 s6, s34, s6
	v_add_u32_e32 v4, v55, v2
	v_mov_b32_e32 v5, 2
	s_addc_u32 s7, s35, s7
	v_mov_b32_e32 v3, 0
	global_store_dwordx2 v3, v[4:5], s[6:7]
	s_movk_i32 s6, 0x3400
	v_add_u32_e64 v3, s6, 0
	ds_write2_b32 v3, v2, v55 offset1:2
.LBB68_63:
	s_or_b64 exec, exec, s[38:39]
	v_cmp_eq_u32_e32 vcc, 0, v0
	s_and_b64 exec, exec, vcc
	s_cbranch_execz .LBB68_65
; %bb.64:
	v_mov_b32_e32 v2, 0
	ds_write_b32 v2, v55 offset:12
.LBB68_65:
	s_or_b64 exec, exec, s[36:37]
	v_mov_b32_e32 v2, 0
	s_waitcnt lgkmcnt(0)
	s_barrier
	ds_read_b32 v2, v2 offset:12
	v_cndmask_b32_e64 v3, v13, v12, s[16:17]
	v_cmp_ne_u32_e32 vcc, 0, v0
	v_cndmask_b32_e32 v3, 0, v3, vcc
	s_movk_i32 s6, 0x3400
	s_waitcnt lgkmcnt(0)
	v_add_u32_e32 v2, v2, v3
	v_add_u32_e32 v3, v2, v41
	;; [unrolled: 1-line block ×8, first 2 shown]
	v_add_u32_e64 v12, s6, 0
	v_add_u32_e32 v10, v9, v39
	s_barrier
	ds_read2_b32 v[18:19], v12 offset1:2
	v_add_u32_e32 v11, v10, v47
	v_add_u32_e32 v12, v11, v48
	v_add_u32_e32 v13, v12, v49
	v_add_u32_e32 v14, v13, v38
	s_branch .LBB68_76
.LBB68_66:
                                        ; implicit-def: $vgpr19
                                        ; implicit-def: $vgpr2_vgpr3_vgpr4_vgpr5_vgpr6_vgpr7_vgpr8_vgpr9_vgpr10_vgpr11_vgpr12_vgpr13_vgpr14_vgpr15_vgpr16_vgpr17
	s_cbranch_execz .LBB68_76
; %bb.67:
	s_nop 0
	v_mov_b32_dpp v2, v52 row_shr:1 row_mask:0xf bank_mask:0xf
	v_cndmask_b32_e64 v2, v2, 0, s[14:15]
	v_add_u32_e32 v2, v2, v52
	s_nop 1
	v_mov_b32_dpp v3, v2 row_shr:2 row_mask:0xf bank_mask:0xf
	v_cndmask_b32_e64 v3, 0, v3, s[12:13]
	v_add_u32_e32 v2, v2, v3
	;; [unrolled: 4-line block ×4, first 2 shown]
	s_nop 1
	v_mov_b32_dpp v3, v2 row_bcast:15 row_mask:0xf bank_mask:0xf
	v_cndmask_b32_e64 v3, v3, 0, s[18:19]
	v_add_u32_e32 v2, v2, v3
	s_nop 1
	v_mov_b32_dpp v3, v2 row_bcast:31 row_mask:0xf bank_mask:0xf
	v_cndmask_b32_e64 v3, 0, v3, s[2:3]
	v_add_u32_e32 v2, v2, v3
	s_and_saveexec_b64 s[2:3], s[4:5]
	s_cbranch_execz .LBB68_69
; %bb.68:
	v_lshlrev_b32_e32 v3, 2, v51
	ds_write_b32 v3, v2
.LBB68_69:
	s_or_b64 exec, exec, s[2:3]
	v_cmp_gt_u32_e32 vcc, 4, v0
	s_waitcnt lgkmcnt(0)
	s_barrier
	s_and_saveexec_b64 s[2:3], vcc
	s_cbranch_execz .LBB68_71
; %bb.70:
	ds_read_b32 v3, v1
	v_and_b32_e32 v4, 3, v50
	v_cmp_ne_u32_e32 vcc, 0, v4
	s_waitcnt lgkmcnt(0)
	v_mov_b32_dpp v5, v3 row_shr:1 row_mask:0xf bank_mask:0xf
	v_cndmask_b32_e32 v5, 0, v5, vcc
	v_add_u32_e32 v3, v5, v3
	v_cmp_lt_u32_e32 vcc, 1, v4
	s_nop 0
	v_mov_b32_dpp v5, v3 row_shr:2 row_mask:0xf bank_mask:0xf
	v_cndmask_b32_e32 v4, 0, v5, vcc
	v_add_u32_e32 v3, v3, v4
	ds_write_b32 v1, v3
.LBB68_71:
	s_or_b64 exec, exec, s[2:3]
	v_cmp_lt_u32_e32 vcc, 63, v0
	v_mov_b32_e32 v4, 0
	v_mov_b32_e32 v3, 0
	s_waitcnt lgkmcnt(0)
	s_barrier
	s_and_saveexec_b64 s[2:3], vcc
	s_cbranch_execz .LBB68_73
; %bb.72:
	v_lshl_add_u32 v3, v51, 2, -4
	ds_read_b32 v3, v3
.LBB68_73:
	s_or_b64 exec, exec, s[2:3]
	v_add_u32_e32 v5, -1, v50
	v_and_b32_e32 v6, 64, v50
	v_cmp_lt_i32_e32 vcc, v5, v6
	v_cndmask_b32_e32 v5, v5, v50, vcc
	s_waitcnt lgkmcnt(0)
	v_add_u32_e32 v2, v3, v2
	v_lshlrev_b32_e32 v5, 2, v5
	ds_bpermute_b32 v2, v5, v2
	ds_read_b32 v18, v4 offset:12
	v_cmp_eq_u32_e32 vcc, 0, v0
	s_and_saveexec_b64 s[2:3], vcc
	s_cbranch_execz .LBB68_75
; %bb.74:
	v_mov_b32_e32 v4, 0
	v_mov_b32_e32 v19, 2
	s_waitcnt lgkmcnt(0)
	global_store_dwordx2 v4, v[18:19], s[34:35] offset:512
.LBB68_75:
	s_or_b64 exec, exec, s[2:3]
	v_cmp_eq_u32_e64 s[2:3], 0, v50
	s_waitcnt lgkmcnt(1)
	v_cndmask_b32_e64 v2, v2, v3, s[2:3]
	v_cndmask_b32_e64 v2, v2, 0, vcc
	v_add_u32_e32 v3, v2, v41
	v_add_u32_e32 v4, v3, v42
	;; [unrolled: 1-line block ×11, first 2 shown]
	v_mov_b32_e32 v19, 0
	v_add_u32_e32 v14, v13, v38
	s_waitcnt lgkmcnt(0)
	s_barrier
.LBB68_76:
	s_waitcnt lgkmcnt(0)
	v_add_u32_e32 v33, v18, v33
	v_sub_u32_e32 v2, v2, v19
	v_and_b32_e32 v42, 1, v37
	v_sub_u32_e32 v41, v33, v2
	v_cmp_eq_u32_e32 vcc, 1, v42
	v_cndmask_b32_e32 v2, v41, v2, vcc
	v_lshlrev_b32_e32 v2, 2, v2
	v_lshrrev_b32_e32 v17, 8, v37
	ds_write_b32 v2, v30
	v_sub_u32_e32 v2, v3, v19
	v_sub_u32_e32 v3, v33, v2
	v_and_b32_e32 v17, 1, v17
	v_add_u32_e32 v3, 1, v3
	v_cmp_eq_u32_e32 vcc, 1, v17
	v_cndmask_b32_e32 v2, v3, v2, vcc
	v_lshlrev_b32_e32 v2, 2, v2
	ds_write_b32 v2, v31
	v_sub_u32_e32 v2, v4, v19
	v_mov_b32_e32 v4, 1
	v_sub_u32_e32 v3, v33, v2
	v_and_b32_sdwa v17, v4, v37 dst_sel:DWORD dst_unused:UNUSED_PAD src0_sel:DWORD src1_sel:WORD_1
	v_add_u32_e32 v3, 2, v3
	v_cmp_eq_u32_e32 vcc, 1, v17
	v_cndmask_b32_e32 v2, v3, v2, vcc
	v_lshlrev_b32_e32 v2, 2, v2
	ds_write_b32 v2, v28
	v_sub_u32_e32 v2, v5, v19
	v_sub_u32_e32 v3, v33, v2
	v_and_b32_e32 v5, 1, v40
	v_add_u32_e32 v3, 3, v3
	v_cmp_eq_u32_e32 vcc, 1, v5
	v_cndmask_b32_e32 v2, v3, v2, vcc
	v_lshlrev_b32_e32 v2, 2, v2
	ds_write_b32 v2, v29
	v_sub_u32_e32 v2, v6, v19
	v_sub_u32_e32 v3, v33, v2
	v_and_b32_e32 v5, 1, v36
	v_add_u32_e32 v3, 4, v3
	v_cmp_eq_u32_e32 vcc, 1, v5
	v_cndmask_b32_e32 v2, v3, v2, vcc
	v_lshlrev_b32_e32 v2, 2, v2
	v_lshrrev_b32_e32 v16, 8, v36
	ds_write_b32 v2, v26
	v_sub_u32_e32 v2, v7, v19
	v_sub_u32_e32 v3, v33, v2
	v_and_b32_e32 v5, 1, v16
	v_add_u32_e32 v3, 5, v3
	v_cmp_eq_u32_e32 vcc, 1, v5
	v_cndmask_b32_e32 v2, v3, v2, vcc
	v_lshlrev_b32_e32 v2, 2, v2
	ds_write_b32 v2, v27
	v_sub_u32_e32 v2, v8, v19
	v_sub_u32_e32 v3, v33, v2
	v_and_b32_sdwa v5, v4, v36 dst_sel:DWORD dst_unused:UNUSED_PAD src0_sel:DWORD src1_sel:WORD_1
	v_add_u32_e32 v3, 6, v3
	v_cmp_eq_u32_e32 vcc, 1, v5
	v_cndmask_b32_e32 v2, v3, v2, vcc
	v_lshlrev_b32_e32 v2, 2, v2
	ds_write_b32 v2, v24
	v_sub_u32_e32 v2, v9, v19
	v_sub_u32_e32 v3, v33, v2
	v_and_b32_e32 v5, 1, v39
	v_add_u32_e32 v3, 7, v3
	v_cmp_eq_u32_e32 vcc, 1, v5
	v_cndmask_b32_e32 v2, v3, v2, vcc
	v_lshlrev_b32_e32 v2, 2, v2
	ds_write_b32 v2, v25
	v_sub_u32_e32 v2, v10, v19
	v_sub_u32_e32 v3, v33, v2
	v_and_b32_e32 v5, 1, v35
	v_add_u32_e32 v3, 8, v3
	v_cmp_eq_u32_e32 vcc, 1, v5
	v_cndmask_b32_e32 v2, v3, v2, vcc
	v_lshlrev_b32_e32 v2, 2, v2
	v_lshrrev_b32_e32 v15, 8, v35
	ds_write_b32 v2, v22
	v_sub_u32_e32 v2, v11, v19
	v_sub_u32_e32 v3, v33, v2
	v_and_b32_e32 v5, 1, v15
	v_add_u32_e32 v3, 9, v3
	v_cmp_eq_u32_e32 vcc, 1, v5
	v_cndmask_b32_e32 v2, v3, v2, vcc
	v_lshlrev_b32_e32 v2, 2, v2
	ds_write_b32 v2, v23
	v_sub_u32_e32 v2, v12, v19
	v_sub_u32_e32 v3, v33, v2
	v_and_b32_sdwa v4, v4, v35 dst_sel:DWORD dst_unused:UNUSED_PAD src0_sel:DWORD src1_sel:WORD_1
	v_add_u32_e32 v3, 10, v3
	v_cmp_eq_u32_e32 vcc, 1, v4
	v_cndmask_b32_e32 v2, v3, v2, vcc
	v_lshlrev_b32_e32 v2, 2, v2
	ds_write_b32 v2, v20
	v_sub_u32_e32 v2, v13, v19
	v_sub_u32_e32 v3, v33, v2
	v_and_b32_e32 v4, 1, v38
	v_add_u32_e32 v3, 11, v3
	v_cmp_eq_u32_e32 vcc, 1, v4
	v_cndmask_b32_e32 v2, v3, v2, vcc
	v_lshlrev_b32_e32 v2, 2, v2
	ds_write_b32 v2, v21
	v_sub_u32_e32 v2, v14, v19
	v_sub_u32_e32 v3, v33, v2
	v_and_b32_e32 v4, 1, v34
	v_add_u32_e32 v3, 12, v3
	v_cmp_eq_u32_e32 vcc, 1, v4
	v_cndmask_b32_e32 v2, v3, v2, vcc
	s_add_u32 s2, s28, s42
	v_lshlrev_b32_e32 v2, 2, v2
	s_addc_u32 s3, s29, 0
	ds_write_b32 v2, v32
	s_waitcnt lgkmcnt(0)
	s_barrier
	ds_read2st64_b32 v[12:13], v1 offset1:4
	ds_read2st64_b32 v[10:11], v1 offset0:8 offset1:12
	ds_read2st64_b32 v[8:9], v1 offset0:16 offset1:20
	;; [unrolled: 1-line block ×5, first 2 shown]
	ds_read_b32 v17, v1 offset:12288
	v_mov_b32_e32 v14, s31
	v_add_co_u32_e32 v1, vcc, s30, v19
	s_sub_u32 s2, s26, s2
	v_addc_co_u32_e32 v16, vcc, 0, v14, vcc
	s_subb_u32 s3, s27, s3
	v_mov_b32_e32 v14, s3
	v_add_co_u32_e32 v15, vcc, s2, v18
	v_addc_co_u32_e32 v14, vcc, 0, v14, vcc
	s_and_b64 vcc, exec, s[0:1]
	v_add_co_u32_e64 v19, s[0:1], v15, v1
	v_or_b32_e32 v32, 0x100, v0
	v_or_b32_e32 v31, 0x200, v0
	;; [unrolled: 1-line block ×12, first 2 shown]
	v_addc_co_u32_e64 v21, s[0:1], v14, v16, s[0:1]
	s_cbranch_vccnz .LBB68_130
; %bb.77:
	v_cmp_ge_u32_e32 vcc, v0, v18
                                        ; implicit-def: $vgpr14_vgpr15
	s_and_saveexec_b64 s[0:1], vcc
	s_xor_b64 s[0:1], exec, s[0:1]
; %bb.78:
	v_not_b32_e32 v14, v0
	v_ashrrev_i32_e32 v15, 31, v14
	v_add_co_u32_e32 v14, vcc, v19, v14
	v_addc_co_u32_e32 v15, vcc, v21, v15, vcc
; %bb.79:
	s_andn2_saveexec_b64 s[0:1], s[0:1]
; %bb.80:
	v_add_co_u32_e32 v14, vcc, v1, v0
	v_addc_co_u32_e32 v15, vcc, 0, v16, vcc
; %bb.81:
	s_or_b64 exec, exec, s[0:1]
	v_lshlrev_b64 v[14:15], 2, v[14:15]
	v_mov_b32_e32 v33, s25
	v_add_co_u32_e32 v14, vcc, s24, v14
	v_addc_co_u32_e32 v15, vcc, v33, v15, vcc
	v_cmp_ge_u32_e32 vcc, v32, v18
	s_waitcnt lgkmcnt(6)
	global_store_dword v[14:15], v12, off
                                        ; implicit-def: $vgpr14_vgpr15
	s_and_saveexec_b64 s[0:1], vcc
	s_xor_b64 s[0:1], exec, s[0:1]
; %bb.82:
	v_xor_b32_e32 v14, 0xfffffeff, v0
	v_ashrrev_i32_e32 v15, 31, v14
	v_add_co_u32_e32 v14, vcc, v19, v14
	v_addc_co_u32_e32 v15, vcc, v21, v15, vcc
; %bb.83:
	s_andn2_saveexec_b64 s[0:1], s[0:1]
; %bb.84:
	v_add_co_u32_e32 v14, vcc, v1, v32
	v_addc_co_u32_e32 v15, vcc, 0, v16, vcc
; %bb.85:
	s_or_b64 exec, exec, s[0:1]
	v_lshlrev_b64 v[14:15], 2, v[14:15]
	v_mov_b32_e32 v33, s25
	v_add_co_u32_e32 v14, vcc, s24, v14
	v_addc_co_u32_e32 v15, vcc, v33, v15, vcc
	v_cmp_ge_u32_e32 vcc, v31, v18
	global_store_dword v[14:15], v13, off
                                        ; implicit-def: $vgpr14_vgpr15
	s_and_saveexec_b64 s[0:1], vcc
	s_xor_b64 s[0:1], exec, s[0:1]
; %bb.86:
	v_xor_b32_e32 v14, 0xfffffdff, v0
	v_ashrrev_i32_e32 v15, 31, v14
	v_add_co_u32_e32 v14, vcc, v19, v14
	v_addc_co_u32_e32 v15, vcc, v21, v15, vcc
; %bb.87:
	s_andn2_saveexec_b64 s[0:1], s[0:1]
; %bb.88:
	v_add_co_u32_e32 v14, vcc, v1, v31
	v_addc_co_u32_e32 v15, vcc, 0, v16, vcc
; %bb.89:
	s_or_b64 exec, exec, s[0:1]
	v_lshlrev_b64 v[14:15], 2, v[14:15]
	v_mov_b32_e32 v33, s25
	v_add_co_u32_e32 v14, vcc, s24, v14
	v_addc_co_u32_e32 v15, vcc, v33, v15, vcc
	v_cmp_ge_u32_e32 vcc, v30, v18
	s_waitcnt lgkmcnt(5)
	global_store_dword v[14:15], v10, off
                                        ; implicit-def: $vgpr14_vgpr15
	s_and_saveexec_b64 s[0:1], vcc
	s_xor_b64 s[0:1], exec, s[0:1]
; %bb.90:
	v_xor_b32_e32 v14, 0xfffffcff, v0
	v_ashrrev_i32_e32 v15, 31, v14
	v_add_co_u32_e32 v14, vcc, v19, v14
	v_addc_co_u32_e32 v15, vcc, v21, v15, vcc
; %bb.91:
	s_andn2_saveexec_b64 s[0:1], s[0:1]
; %bb.92:
	v_add_co_u32_e32 v14, vcc, v1, v30
	v_addc_co_u32_e32 v15, vcc, 0, v16, vcc
; %bb.93:
	s_or_b64 exec, exec, s[0:1]
	v_lshlrev_b64 v[14:15], 2, v[14:15]
	v_mov_b32_e32 v33, s25
	v_add_co_u32_e32 v14, vcc, s24, v14
	v_addc_co_u32_e32 v15, vcc, v33, v15, vcc
	v_cmp_ge_u32_e32 vcc, v29, v18
	global_store_dword v[14:15], v11, off
                                        ; implicit-def: $vgpr14_vgpr15
	s_and_saveexec_b64 s[0:1], vcc
	s_xor_b64 s[0:1], exec, s[0:1]
; %bb.94:
	v_xor_b32_e32 v14, 0xfffffbff, v0
	;; [unrolled: 43-line block ×6, first 2 shown]
	v_ashrrev_i32_e32 v15, 31, v14
	v_add_co_u32_e32 v14, vcc, v19, v14
	v_addc_co_u32_e32 v15, vcc, v21, v15, vcc
; %bb.127:
	s_andn2_saveexec_b64 s[0:1], s[0:1]
; %bb.128:
	v_add_co_u32_e32 v14, vcc, v1, v20
	v_addc_co_u32_e32 v15, vcc, 0, v16, vcc
; %bb.129:
	s_or_b64 exec, exec, s[0:1]
	s_mov_b64 s[0:1], -1
	s_branch .LBB68_210
.LBB68_130:
	s_mov_b64 s[0:1], 0
                                        ; implicit-def: $vgpr14_vgpr15
	s_cbranch_execz .LBB68_210
; %bb.131:
	v_cmp_gt_u32_e32 vcc, s33, v0
	s_and_saveexec_b64 s[2:3], vcc
	s_cbranch_execz .LBB68_167
; %bb.132:
	v_cmp_ge_u32_e32 vcc, v0, v18
                                        ; implicit-def: $vgpr14_vgpr15
	s_and_saveexec_b64 s[4:5], vcc
	s_xor_b64 s[4:5], exec, s[4:5]
; %bb.133:
	v_not_b32_e32 v14, v0
	v_ashrrev_i32_e32 v15, 31, v14
	v_add_co_u32_e32 v14, vcc, v19, v14
	v_addc_co_u32_e32 v15, vcc, v21, v15, vcc
; %bb.134:
	s_andn2_saveexec_b64 s[4:5], s[4:5]
; %bb.135:
	v_add_co_u32_e32 v14, vcc, v1, v0
	v_addc_co_u32_e32 v15, vcc, 0, v16, vcc
; %bb.136:
	s_or_b64 exec, exec, s[4:5]
	v_lshlrev_b64 v[14:15], 2, v[14:15]
	v_mov_b32_e32 v33, s25
	v_add_co_u32_e32 v14, vcc, s24, v14
	v_addc_co_u32_e32 v15, vcc, v33, v15, vcc
	s_waitcnt lgkmcnt(6)
	global_store_dword v[14:15], v12, off
	s_or_b64 exec, exec, s[2:3]
	v_cmp_gt_u32_e32 vcc, s33, v32
	s_and_saveexec_b64 s[2:3], vcc
	s_cbranch_execnz .LBB68_168
.LBB68_137:
	s_or_b64 exec, exec, s[2:3]
	v_cmp_gt_u32_e32 vcc, s33, v31
	s_and_saveexec_b64 s[2:3], vcc
	s_cbranch_execz .LBB68_173
.LBB68_138:
	v_cmp_ge_u32_e32 vcc, v31, v18
                                        ; implicit-def: $vgpr12_vgpr13
	s_and_saveexec_b64 s[4:5], vcc
	s_xor_b64 s[4:5], exec, s[4:5]
	s_cbranch_execz .LBB68_140
; %bb.139:
	s_waitcnt lgkmcnt(6)
	v_xor_b32_e32 v12, 0xfffffdff, v0
	v_ashrrev_i32_e32 v13, 31, v12
	v_add_co_u32_e32 v12, vcc, v19, v12
	v_addc_co_u32_e32 v13, vcc, v21, v13, vcc
                                        ; implicit-def: $vgpr31
.LBB68_140:
	s_andn2_saveexec_b64 s[4:5], s[4:5]
	s_cbranch_execz .LBB68_142
; %bb.141:
	s_waitcnt lgkmcnt(6)
	v_add_co_u32_e32 v12, vcc, v1, v31
	v_addc_co_u32_e32 v13, vcc, 0, v16, vcc
.LBB68_142:
	s_or_b64 exec, exec, s[4:5]
	s_waitcnt lgkmcnt(6)
	v_lshlrev_b64 v[12:13], 2, v[12:13]
	v_mov_b32_e32 v14, s25
	v_add_co_u32_e32 v12, vcc, s24, v12
	v_addc_co_u32_e32 v13, vcc, v14, v13, vcc
	s_waitcnt lgkmcnt(5)
	global_store_dword v[12:13], v10, off
	s_or_b64 exec, exec, s[2:3]
	v_cmp_gt_u32_e32 vcc, s33, v30
	s_and_saveexec_b64 s[2:3], vcc
	s_cbranch_execnz .LBB68_174
.LBB68_143:
	s_or_b64 exec, exec, s[2:3]
	v_cmp_gt_u32_e32 vcc, s33, v29
	s_and_saveexec_b64 s[2:3], vcc
	s_cbranch_execz .LBB68_179
.LBB68_144:
	v_cmp_ge_u32_e32 vcc, v29, v18
                                        ; implicit-def: $vgpr10_vgpr11
	s_and_saveexec_b64 s[4:5], vcc
	s_xor_b64 s[4:5], exec, s[4:5]
	s_cbranch_execz .LBB68_146
; %bb.145:
	s_waitcnt lgkmcnt(5)
	v_xor_b32_e32 v10, 0xfffffbff, v0
	v_ashrrev_i32_e32 v11, 31, v10
	v_add_co_u32_e32 v10, vcc, v19, v10
	v_addc_co_u32_e32 v11, vcc, v21, v11, vcc
                                        ; implicit-def: $vgpr29
.LBB68_146:
	s_andn2_saveexec_b64 s[4:5], s[4:5]
	s_cbranch_execz .LBB68_148
; %bb.147:
	s_waitcnt lgkmcnt(5)
	v_add_co_u32_e32 v10, vcc, v1, v29
	v_addc_co_u32_e32 v11, vcc, 0, v16, vcc
.LBB68_148:
	s_or_b64 exec, exec, s[4:5]
	s_waitcnt lgkmcnt(5)
	v_lshlrev_b64 v[10:11], 2, v[10:11]
	v_mov_b32_e32 v12, s25
	v_add_co_u32_e32 v10, vcc, s24, v10
	v_addc_co_u32_e32 v11, vcc, v12, v11, vcc
	s_waitcnt lgkmcnt(4)
	global_store_dword v[10:11], v8, off
	s_or_b64 exec, exec, s[2:3]
	v_cmp_gt_u32_e32 vcc, s33, v28
	s_and_saveexec_b64 s[2:3], vcc
	s_cbranch_execnz .LBB68_180
.LBB68_149:
	s_or_b64 exec, exec, s[2:3]
	v_cmp_gt_u32_e32 vcc, s33, v27
	s_and_saveexec_b64 s[2:3], vcc
	s_cbranch_execz .LBB68_185
.LBB68_150:
	v_cmp_ge_u32_e32 vcc, v27, v18
                                        ; implicit-def: $vgpr8_vgpr9
	s_and_saveexec_b64 s[4:5], vcc
	s_xor_b64 s[4:5], exec, s[4:5]
	s_cbranch_execz .LBB68_152
; %bb.151:
	s_waitcnt lgkmcnt(4)
	v_xor_b32_e32 v8, 0xfffff9ff, v0
	v_ashrrev_i32_e32 v9, 31, v8
	v_add_co_u32_e32 v8, vcc, v19, v8
	v_addc_co_u32_e32 v9, vcc, v21, v9, vcc
                                        ; implicit-def: $vgpr27
.LBB68_152:
	s_andn2_saveexec_b64 s[4:5], s[4:5]
	s_cbranch_execz .LBB68_154
; %bb.153:
	s_waitcnt lgkmcnt(4)
	v_add_co_u32_e32 v8, vcc, v1, v27
	v_addc_co_u32_e32 v9, vcc, 0, v16, vcc
.LBB68_154:
	s_or_b64 exec, exec, s[4:5]
	s_waitcnt lgkmcnt(4)
	v_lshlrev_b64 v[8:9], 2, v[8:9]
	v_mov_b32_e32 v10, s25
	v_add_co_u32_e32 v8, vcc, s24, v8
	v_addc_co_u32_e32 v9, vcc, v10, v9, vcc
	s_waitcnt lgkmcnt(3)
	global_store_dword v[8:9], v6, off
	s_or_b64 exec, exec, s[2:3]
	v_cmp_gt_u32_e32 vcc, s33, v26
	s_and_saveexec_b64 s[2:3], vcc
	s_cbranch_execnz .LBB68_186
.LBB68_155:
	s_or_b64 exec, exec, s[2:3]
	v_cmp_gt_u32_e32 vcc, s33, v25
	s_and_saveexec_b64 s[2:3], vcc
	s_cbranch_execz .LBB68_191
.LBB68_156:
	v_cmp_ge_u32_e32 vcc, v25, v18
                                        ; implicit-def: $vgpr6_vgpr7
	s_and_saveexec_b64 s[4:5], vcc
	s_xor_b64 s[4:5], exec, s[4:5]
	s_cbranch_execz .LBB68_158
; %bb.157:
	s_waitcnt lgkmcnt(3)
	v_xor_b32_e32 v6, 0xfffff7ff, v0
	v_ashrrev_i32_e32 v7, 31, v6
	v_add_co_u32_e32 v6, vcc, v19, v6
	v_addc_co_u32_e32 v7, vcc, v21, v7, vcc
                                        ; implicit-def: $vgpr25
.LBB68_158:
	s_andn2_saveexec_b64 s[4:5], s[4:5]
	s_cbranch_execz .LBB68_160
; %bb.159:
	s_waitcnt lgkmcnt(3)
	v_add_co_u32_e32 v6, vcc, v1, v25
	v_addc_co_u32_e32 v7, vcc, 0, v16, vcc
.LBB68_160:
	s_or_b64 exec, exec, s[4:5]
	s_waitcnt lgkmcnt(3)
	v_lshlrev_b64 v[6:7], 2, v[6:7]
	v_mov_b32_e32 v8, s25
	v_add_co_u32_e32 v6, vcc, s24, v6
	v_addc_co_u32_e32 v7, vcc, v8, v7, vcc
	s_waitcnt lgkmcnt(2)
	global_store_dword v[6:7], v4, off
	s_or_b64 exec, exec, s[2:3]
	v_cmp_gt_u32_e32 vcc, s33, v24
	s_and_saveexec_b64 s[2:3], vcc
	s_cbranch_execnz .LBB68_192
.LBB68_161:
	s_or_b64 exec, exec, s[2:3]
	v_cmp_gt_u32_e32 vcc, s33, v23
	s_and_saveexec_b64 s[2:3], vcc
	s_cbranch_execz .LBB68_197
.LBB68_162:
	v_cmp_ge_u32_e32 vcc, v23, v18
                                        ; implicit-def: $vgpr4_vgpr5
	s_and_saveexec_b64 s[4:5], vcc
	s_xor_b64 s[4:5], exec, s[4:5]
	s_cbranch_execz .LBB68_164
; %bb.163:
	s_waitcnt lgkmcnt(2)
	v_xor_b32_e32 v4, 0xfffff5ff, v0
	v_ashrrev_i32_e32 v5, 31, v4
	v_add_co_u32_e32 v4, vcc, v19, v4
	v_addc_co_u32_e32 v5, vcc, v21, v5, vcc
                                        ; implicit-def: $vgpr23
.LBB68_164:
	s_andn2_saveexec_b64 s[4:5], s[4:5]
	s_cbranch_execz .LBB68_166
; %bb.165:
	s_waitcnt lgkmcnt(2)
	v_add_co_u32_e32 v4, vcc, v1, v23
	v_addc_co_u32_e32 v5, vcc, 0, v16, vcc
.LBB68_166:
	s_or_b64 exec, exec, s[4:5]
	s_waitcnt lgkmcnt(2)
	v_lshlrev_b64 v[4:5], 2, v[4:5]
	v_mov_b32_e32 v6, s25
	v_add_co_u32_e32 v4, vcc, s24, v4
	v_addc_co_u32_e32 v5, vcc, v6, v5, vcc
	s_waitcnt lgkmcnt(1)
	global_store_dword v[4:5], v2, off
	s_or_b64 exec, exec, s[2:3]
	v_cmp_gt_u32_e32 vcc, s33, v22
	s_and_saveexec_b64 s[2:3], vcc
	s_cbranch_execz .LBB68_203
	s_branch .LBB68_198
.LBB68_167:
	s_or_b64 exec, exec, s[2:3]
	v_cmp_gt_u32_e32 vcc, s33, v32
	s_and_saveexec_b64 s[2:3], vcc
	s_cbranch_execz .LBB68_137
.LBB68_168:
	v_cmp_ge_u32_e32 vcc, v32, v18
                                        ; implicit-def: $vgpr14_vgpr15
	s_and_saveexec_b64 s[4:5], vcc
	s_xor_b64 s[4:5], exec, s[4:5]
	s_cbranch_execz .LBB68_170
; %bb.169:
	s_waitcnt lgkmcnt(6)
	v_xor_b32_e32 v12, 0xfffffeff, v0
	v_ashrrev_i32_e32 v15, 31, v12
	v_add_co_u32_e32 v14, vcc, v19, v12
	v_addc_co_u32_e32 v15, vcc, v21, v15, vcc
                                        ; implicit-def: $vgpr32
.LBB68_170:
	s_andn2_saveexec_b64 s[4:5], s[4:5]
; %bb.171:
	v_add_co_u32_e32 v14, vcc, v1, v32
	v_addc_co_u32_e32 v15, vcc, 0, v16, vcc
; %bb.172:
	s_or_b64 exec, exec, s[4:5]
	v_lshlrev_b64 v[14:15], 2, v[14:15]
	s_waitcnt lgkmcnt(6)
	v_mov_b32_e32 v12, s25
	v_add_co_u32_e32 v14, vcc, s24, v14
	v_addc_co_u32_e32 v15, vcc, v12, v15, vcc
	global_store_dword v[14:15], v13, off
	s_or_b64 exec, exec, s[2:3]
	v_cmp_gt_u32_e32 vcc, s33, v31
	s_and_saveexec_b64 s[2:3], vcc
	s_cbranch_execnz .LBB68_138
.LBB68_173:
	s_or_b64 exec, exec, s[2:3]
	v_cmp_gt_u32_e32 vcc, s33, v30
	s_and_saveexec_b64 s[2:3], vcc
	s_cbranch_execz .LBB68_143
.LBB68_174:
	v_cmp_ge_u32_e32 vcc, v30, v18
                                        ; implicit-def: $vgpr12_vgpr13
	s_and_saveexec_b64 s[4:5], vcc
	s_xor_b64 s[4:5], exec, s[4:5]
	s_cbranch_execz .LBB68_176
; %bb.175:
	s_waitcnt lgkmcnt(5)
	v_xor_b32_e32 v10, 0xfffffcff, v0
	v_ashrrev_i32_e32 v13, 31, v10
	v_add_co_u32_e32 v12, vcc, v19, v10
	v_addc_co_u32_e32 v13, vcc, v21, v13, vcc
                                        ; implicit-def: $vgpr30
.LBB68_176:
	s_andn2_saveexec_b64 s[4:5], s[4:5]
	s_cbranch_execz .LBB68_178
; %bb.177:
	s_waitcnt lgkmcnt(6)
	v_add_co_u32_e32 v12, vcc, v1, v30
	v_addc_co_u32_e32 v13, vcc, 0, v16, vcc
.LBB68_178:
	s_or_b64 exec, exec, s[4:5]
	s_waitcnt lgkmcnt(6)
	v_lshlrev_b64 v[12:13], 2, v[12:13]
	s_waitcnt lgkmcnt(5)
	v_mov_b32_e32 v10, s25
	v_add_co_u32_e32 v12, vcc, s24, v12
	v_addc_co_u32_e32 v13, vcc, v10, v13, vcc
	global_store_dword v[12:13], v11, off
	s_or_b64 exec, exec, s[2:3]
	v_cmp_gt_u32_e32 vcc, s33, v29
	s_and_saveexec_b64 s[2:3], vcc
	s_cbranch_execnz .LBB68_144
.LBB68_179:
	s_or_b64 exec, exec, s[2:3]
	v_cmp_gt_u32_e32 vcc, s33, v28
	s_and_saveexec_b64 s[2:3], vcc
	s_cbranch_execz .LBB68_149
.LBB68_180:
	v_cmp_ge_u32_e32 vcc, v28, v18
                                        ; implicit-def: $vgpr10_vgpr11
	s_and_saveexec_b64 s[4:5], vcc
	s_xor_b64 s[4:5], exec, s[4:5]
	s_cbranch_execz .LBB68_182
; %bb.181:
	s_waitcnt lgkmcnt(4)
	v_xor_b32_e32 v8, 0xfffffaff, v0
	v_ashrrev_i32_e32 v11, 31, v8
	v_add_co_u32_e32 v10, vcc, v19, v8
	v_addc_co_u32_e32 v11, vcc, v21, v11, vcc
                                        ; implicit-def: $vgpr28
.LBB68_182:
	s_andn2_saveexec_b64 s[4:5], s[4:5]
	s_cbranch_execz .LBB68_184
; %bb.183:
	s_waitcnt lgkmcnt(5)
	v_add_co_u32_e32 v10, vcc, v1, v28
	v_addc_co_u32_e32 v11, vcc, 0, v16, vcc
.LBB68_184:
	s_or_b64 exec, exec, s[4:5]
	s_waitcnt lgkmcnt(5)
	v_lshlrev_b64 v[10:11], 2, v[10:11]
	s_waitcnt lgkmcnt(4)
	v_mov_b32_e32 v8, s25
	v_add_co_u32_e32 v10, vcc, s24, v10
	v_addc_co_u32_e32 v11, vcc, v8, v11, vcc
	global_store_dword v[10:11], v9, off
	s_or_b64 exec, exec, s[2:3]
	v_cmp_gt_u32_e32 vcc, s33, v27
	s_and_saveexec_b64 s[2:3], vcc
	s_cbranch_execnz .LBB68_150
.LBB68_185:
	s_or_b64 exec, exec, s[2:3]
	v_cmp_gt_u32_e32 vcc, s33, v26
	s_and_saveexec_b64 s[2:3], vcc
	s_cbranch_execz .LBB68_155
.LBB68_186:
	v_cmp_ge_u32_e32 vcc, v26, v18
                                        ; implicit-def: $vgpr8_vgpr9
	s_and_saveexec_b64 s[4:5], vcc
	s_xor_b64 s[4:5], exec, s[4:5]
	s_cbranch_execz .LBB68_188
; %bb.187:
	s_waitcnt lgkmcnt(3)
	v_xor_b32_e32 v6, 0xfffff8ff, v0
	v_ashrrev_i32_e32 v9, 31, v6
	v_add_co_u32_e32 v8, vcc, v19, v6
	v_addc_co_u32_e32 v9, vcc, v21, v9, vcc
                                        ; implicit-def: $vgpr26
.LBB68_188:
	s_andn2_saveexec_b64 s[4:5], s[4:5]
	s_cbranch_execz .LBB68_190
; %bb.189:
	s_waitcnt lgkmcnt(4)
	v_add_co_u32_e32 v8, vcc, v1, v26
	v_addc_co_u32_e32 v9, vcc, 0, v16, vcc
.LBB68_190:
	s_or_b64 exec, exec, s[4:5]
	s_waitcnt lgkmcnt(4)
	v_lshlrev_b64 v[8:9], 2, v[8:9]
	s_waitcnt lgkmcnt(3)
	v_mov_b32_e32 v6, s25
	v_add_co_u32_e32 v8, vcc, s24, v8
	v_addc_co_u32_e32 v9, vcc, v6, v9, vcc
	global_store_dword v[8:9], v7, off
	s_or_b64 exec, exec, s[2:3]
	v_cmp_gt_u32_e32 vcc, s33, v25
	s_and_saveexec_b64 s[2:3], vcc
	s_cbranch_execnz .LBB68_156
.LBB68_191:
	s_or_b64 exec, exec, s[2:3]
	v_cmp_gt_u32_e32 vcc, s33, v24
	s_and_saveexec_b64 s[2:3], vcc
	s_cbranch_execz .LBB68_161
.LBB68_192:
	v_cmp_ge_u32_e32 vcc, v24, v18
                                        ; implicit-def: $vgpr6_vgpr7
	s_and_saveexec_b64 s[4:5], vcc
	s_xor_b64 s[4:5], exec, s[4:5]
	s_cbranch_execz .LBB68_194
; %bb.193:
	s_waitcnt lgkmcnt(2)
	v_xor_b32_e32 v4, 0xfffff6ff, v0
	v_ashrrev_i32_e32 v7, 31, v4
	v_add_co_u32_e32 v6, vcc, v19, v4
	v_addc_co_u32_e32 v7, vcc, v21, v7, vcc
                                        ; implicit-def: $vgpr24
.LBB68_194:
	s_andn2_saveexec_b64 s[4:5], s[4:5]
	s_cbranch_execz .LBB68_196
; %bb.195:
	s_waitcnt lgkmcnt(3)
	v_add_co_u32_e32 v6, vcc, v1, v24
	v_addc_co_u32_e32 v7, vcc, 0, v16, vcc
.LBB68_196:
	s_or_b64 exec, exec, s[4:5]
	s_waitcnt lgkmcnt(3)
	v_lshlrev_b64 v[6:7], 2, v[6:7]
	s_waitcnt lgkmcnt(2)
	v_mov_b32_e32 v4, s25
	v_add_co_u32_e32 v6, vcc, s24, v6
	v_addc_co_u32_e32 v7, vcc, v4, v7, vcc
	global_store_dword v[6:7], v5, off
	s_or_b64 exec, exec, s[2:3]
	v_cmp_gt_u32_e32 vcc, s33, v23
	s_and_saveexec_b64 s[2:3], vcc
	s_cbranch_execnz .LBB68_162
.LBB68_197:
	s_or_b64 exec, exec, s[2:3]
	v_cmp_gt_u32_e32 vcc, s33, v22
	s_and_saveexec_b64 s[2:3], vcc
	s_cbranch_execz .LBB68_203
.LBB68_198:
	v_cmp_ge_u32_e32 vcc, v22, v18
                                        ; implicit-def: $vgpr4_vgpr5
	s_and_saveexec_b64 s[4:5], vcc
	s_xor_b64 s[4:5], exec, s[4:5]
	s_cbranch_execz .LBB68_200
; %bb.199:
	s_waitcnt lgkmcnt(1)
	v_xor_b32_e32 v2, 0xfffff4ff, v0
	v_ashrrev_i32_e32 v5, 31, v2
	v_add_co_u32_e32 v4, vcc, v19, v2
	v_addc_co_u32_e32 v5, vcc, v21, v5, vcc
                                        ; implicit-def: $vgpr22
.LBB68_200:
	s_andn2_saveexec_b64 s[4:5], s[4:5]
	s_cbranch_execz .LBB68_202
; %bb.201:
	s_waitcnt lgkmcnt(2)
	v_add_co_u32_e32 v4, vcc, v1, v22
	v_addc_co_u32_e32 v5, vcc, 0, v16, vcc
.LBB68_202:
	s_or_b64 exec, exec, s[4:5]
	s_waitcnt lgkmcnt(2)
	v_lshlrev_b64 v[4:5], 2, v[4:5]
	s_waitcnt lgkmcnt(1)
	v_mov_b32_e32 v2, s25
	v_add_co_u32_e32 v4, vcc, s24, v4
	v_addc_co_u32_e32 v5, vcc, v2, v5, vcc
	global_store_dword v[4:5], v3, off
.LBB68_203:
	s_or_b64 exec, exec, s[2:3]
	v_cmp_gt_u32_e32 vcc, s33, v20
                                        ; implicit-def: $vgpr14_vgpr15
	s_and_saveexec_b64 s[2:3], vcc
	s_cbranch_execz .LBB68_209
; %bb.204:
	v_cmp_ge_u32_e32 vcc, v20, v18
                                        ; implicit-def: $vgpr14_vgpr15
	s_and_saveexec_b64 s[4:5], vcc
	s_xor_b64 s[4:5], exec, s[4:5]
	s_cbranch_execz .LBB68_206
; %bb.205:
	s_waitcnt lgkmcnt(1)
	v_xor_b32_e32 v2, 0xfffff3ff, v0
	v_ashrrev_i32_e32 v3, 31, v2
	v_add_co_u32_e32 v14, vcc, v19, v2
	v_addc_co_u32_e32 v15, vcc, v21, v3, vcc
                                        ; implicit-def: $vgpr20
.LBB68_206:
	s_andn2_saveexec_b64 s[4:5], s[4:5]
; %bb.207:
	v_add_co_u32_e32 v14, vcc, v1, v20
	v_addc_co_u32_e32 v15, vcc, 0, v16, vcc
; %bb.208:
	s_or_b64 exec, exec, s[4:5]
	s_or_b64 s[0:1], s[0:1], exec
.LBB68_209:
	s_or_b64 exec, exec, s[2:3]
.LBB68_210:
	s_and_saveexec_b64 s[2:3], s[0:1]
	s_cbranch_execz .LBB68_212
; %bb.211:
	s_waitcnt lgkmcnt(1)
	v_lshlrev_b64 v[2:3], 2, v[14:15]
	v_mov_b32_e32 v4, s25
	v_add_co_u32_e32 v2, vcc, s24, v2
	v_addc_co_u32_e32 v3, vcc, v4, v3, vcc
	s_waitcnt lgkmcnt(0)
	global_store_dword v[2:3], v17, off
.LBB68_212:
	s_or_b64 exec, exec, s[2:3]
	v_cmp_eq_u32_e32 vcc, 0, v0
	s_and_b64 s[0:1], vcc, s[22:23]
	s_and_saveexec_b64 s[2:3], s[0:1]
	s_cbranch_execz .LBB68_214
; %bb.213:
	v_add_co_u32_e32 v0, vcc, v1, v18
	s_waitcnt lgkmcnt(1)
	v_mov_b32_e32 v2, 0
	v_addc_co_u32_e32 v1, vcc, 0, v16, vcc
	global_store_dwordx2 v2, v[0:1], s[20:21]
.LBB68_214:
	s_endpgm
	.section	.rodata,"a",@progbits
	.p2align	6, 0x0
	.amdhsa_kernel _ZN7rocprim17ROCPRIM_400000_NS6detail17trampoline_kernelINS0_13select_configILj256ELj13ELNS0_17block_load_methodE3ELS4_3ELS4_3ELNS0_20block_scan_algorithmE0ELj4294967295EEENS1_25partition_config_selectorILNS1_17partition_subalgoE3EjNS0_10empty_typeEbEEZZNS1_14partition_implILS8_3ELb0ES6_jNS0_17counting_iteratorIjlEEPS9_SE_NS0_5tupleIJPjSE_EEENSF_IJSE_SE_EEES9_SG_JZNS1_25segmented_radix_sort_implINS0_14default_configELb1EPKhPhPKlPlN2at6native12_GLOBAL__N_18offset_tEEE10hipError_tPvRmT1_PNSt15iterator_traitsISY_E10value_typeET2_T3_PNSZ_IS14_E10value_typeET4_jRbjT5_S1A_jjP12ihipStream_tbEUljE_EEESV_SW_SX_S14_S18_S1A_T6_T7_T9_mT8_S1C_bDpT10_ENKUlT_T0_E_clISt17integral_constantIbLb1EES1O_IbLb0EEEEDaS1K_S1L_EUlS1K_E_NS1_11comp_targetILNS1_3genE4ELNS1_11target_archE910ELNS1_3gpuE8ELNS1_3repE0EEENS1_30default_config_static_selectorELNS0_4arch9wavefront6targetE1EEEvSY_
		.amdhsa_group_segment_fixed_size 13324
		.amdhsa_private_segment_fixed_size 0
		.amdhsa_kernarg_size 144
		.amdhsa_user_sgpr_count 6
		.amdhsa_user_sgpr_private_segment_buffer 1
		.amdhsa_user_sgpr_dispatch_ptr 0
		.amdhsa_user_sgpr_queue_ptr 0
		.amdhsa_user_sgpr_kernarg_segment_ptr 1
		.amdhsa_user_sgpr_dispatch_id 0
		.amdhsa_user_sgpr_flat_scratch_init 0
		.amdhsa_user_sgpr_kernarg_preload_length 0
		.amdhsa_user_sgpr_kernarg_preload_offset 0
		.amdhsa_user_sgpr_private_segment_size 0
		.amdhsa_uses_dynamic_stack 0
		.amdhsa_system_sgpr_private_segment_wavefront_offset 0
		.amdhsa_system_sgpr_workgroup_id_x 1
		.amdhsa_system_sgpr_workgroup_id_y 0
		.amdhsa_system_sgpr_workgroup_id_z 0
		.amdhsa_system_sgpr_workgroup_info 0
		.amdhsa_system_vgpr_workitem_id 0
		.amdhsa_next_free_vgpr 61
		.amdhsa_next_free_sgpr 46
		.amdhsa_accum_offset 64
		.amdhsa_reserve_vcc 1
		.amdhsa_reserve_flat_scratch 0
		.amdhsa_float_round_mode_32 0
		.amdhsa_float_round_mode_16_64 0
		.amdhsa_float_denorm_mode_32 3
		.amdhsa_float_denorm_mode_16_64 3
		.amdhsa_dx10_clamp 1
		.amdhsa_ieee_mode 1
		.amdhsa_fp16_overflow 0
		.amdhsa_tg_split 0
		.amdhsa_exception_fp_ieee_invalid_op 0
		.amdhsa_exception_fp_denorm_src 0
		.amdhsa_exception_fp_ieee_div_zero 0
		.amdhsa_exception_fp_ieee_overflow 0
		.amdhsa_exception_fp_ieee_underflow 0
		.amdhsa_exception_fp_ieee_inexact 0
		.amdhsa_exception_int_div_zero 0
	.end_amdhsa_kernel
	.section	.text._ZN7rocprim17ROCPRIM_400000_NS6detail17trampoline_kernelINS0_13select_configILj256ELj13ELNS0_17block_load_methodE3ELS4_3ELS4_3ELNS0_20block_scan_algorithmE0ELj4294967295EEENS1_25partition_config_selectorILNS1_17partition_subalgoE3EjNS0_10empty_typeEbEEZZNS1_14partition_implILS8_3ELb0ES6_jNS0_17counting_iteratorIjlEEPS9_SE_NS0_5tupleIJPjSE_EEENSF_IJSE_SE_EEES9_SG_JZNS1_25segmented_radix_sort_implINS0_14default_configELb1EPKhPhPKlPlN2at6native12_GLOBAL__N_18offset_tEEE10hipError_tPvRmT1_PNSt15iterator_traitsISY_E10value_typeET2_T3_PNSZ_IS14_E10value_typeET4_jRbjT5_S1A_jjP12ihipStream_tbEUljE_EEESV_SW_SX_S14_S18_S1A_T6_T7_T9_mT8_S1C_bDpT10_ENKUlT_T0_E_clISt17integral_constantIbLb1EES1O_IbLb0EEEEDaS1K_S1L_EUlS1K_E_NS1_11comp_targetILNS1_3genE4ELNS1_11target_archE910ELNS1_3gpuE8ELNS1_3repE0EEENS1_30default_config_static_selectorELNS0_4arch9wavefront6targetE1EEEvSY_,"axG",@progbits,_ZN7rocprim17ROCPRIM_400000_NS6detail17trampoline_kernelINS0_13select_configILj256ELj13ELNS0_17block_load_methodE3ELS4_3ELS4_3ELNS0_20block_scan_algorithmE0ELj4294967295EEENS1_25partition_config_selectorILNS1_17partition_subalgoE3EjNS0_10empty_typeEbEEZZNS1_14partition_implILS8_3ELb0ES6_jNS0_17counting_iteratorIjlEEPS9_SE_NS0_5tupleIJPjSE_EEENSF_IJSE_SE_EEES9_SG_JZNS1_25segmented_radix_sort_implINS0_14default_configELb1EPKhPhPKlPlN2at6native12_GLOBAL__N_18offset_tEEE10hipError_tPvRmT1_PNSt15iterator_traitsISY_E10value_typeET2_T3_PNSZ_IS14_E10value_typeET4_jRbjT5_S1A_jjP12ihipStream_tbEUljE_EEESV_SW_SX_S14_S18_S1A_T6_T7_T9_mT8_S1C_bDpT10_ENKUlT_T0_E_clISt17integral_constantIbLb1EES1O_IbLb0EEEEDaS1K_S1L_EUlS1K_E_NS1_11comp_targetILNS1_3genE4ELNS1_11target_archE910ELNS1_3gpuE8ELNS1_3repE0EEENS1_30default_config_static_selectorELNS0_4arch9wavefront6targetE1EEEvSY_,comdat
.Lfunc_end68:
	.size	_ZN7rocprim17ROCPRIM_400000_NS6detail17trampoline_kernelINS0_13select_configILj256ELj13ELNS0_17block_load_methodE3ELS4_3ELS4_3ELNS0_20block_scan_algorithmE0ELj4294967295EEENS1_25partition_config_selectorILNS1_17partition_subalgoE3EjNS0_10empty_typeEbEEZZNS1_14partition_implILS8_3ELb0ES6_jNS0_17counting_iteratorIjlEEPS9_SE_NS0_5tupleIJPjSE_EEENSF_IJSE_SE_EEES9_SG_JZNS1_25segmented_radix_sort_implINS0_14default_configELb1EPKhPhPKlPlN2at6native12_GLOBAL__N_18offset_tEEE10hipError_tPvRmT1_PNSt15iterator_traitsISY_E10value_typeET2_T3_PNSZ_IS14_E10value_typeET4_jRbjT5_S1A_jjP12ihipStream_tbEUljE_EEESV_SW_SX_S14_S18_S1A_T6_T7_T9_mT8_S1C_bDpT10_ENKUlT_T0_E_clISt17integral_constantIbLb1EES1O_IbLb0EEEEDaS1K_S1L_EUlS1K_E_NS1_11comp_targetILNS1_3genE4ELNS1_11target_archE910ELNS1_3gpuE8ELNS1_3repE0EEENS1_30default_config_static_selectorELNS0_4arch9wavefront6targetE1EEEvSY_, .Lfunc_end68-_ZN7rocprim17ROCPRIM_400000_NS6detail17trampoline_kernelINS0_13select_configILj256ELj13ELNS0_17block_load_methodE3ELS4_3ELS4_3ELNS0_20block_scan_algorithmE0ELj4294967295EEENS1_25partition_config_selectorILNS1_17partition_subalgoE3EjNS0_10empty_typeEbEEZZNS1_14partition_implILS8_3ELb0ES6_jNS0_17counting_iteratorIjlEEPS9_SE_NS0_5tupleIJPjSE_EEENSF_IJSE_SE_EEES9_SG_JZNS1_25segmented_radix_sort_implINS0_14default_configELb1EPKhPhPKlPlN2at6native12_GLOBAL__N_18offset_tEEE10hipError_tPvRmT1_PNSt15iterator_traitsISY_E10value_typeET2_T3_PNSZ_IS14_E10value_typeET4_jRbjT5_S1A_jjP12ihipStream_tbEUljE_EEESV_SW_SX_S14_S18_S1A_T6_T7_T9_mT8_S1C_bDpT10_ENKUlT_T0_E_clISt17integral_constantIbLb1EES1O_IbLb0EEEEDaS1K_S1L_EUlS1K_E_NS1_11comp_targetILNS1_3genE4ELNS1_11target_archE910ELNS1_3gpuE8ELNS1_3repE0EEENS1_30default_config_static_selectorELNS0_4arch9wavefront6targetE1EEEvSY_
                                        ; -- End function
	.section	.AMDGPU.csdata,"",@progbits
; Kernel info:
; codeLenInByte = 7756
; NumSgprs: 50
; NumVgprs: 61
; NumAgprs: 0
; TotalNumVgprs: 61
; ScratchSize: 0
; MemoryBound: 0
; FloatMode: 240
; IeeeMode: 1
; LDSByteSize: 13324 bytes/workgroup (compile time only)
; SGPRBlocks: 6
; VGPRBlocks: 7
; NumSGPRsForWavesPerEU: 50
; NumVGPRsForWavesPerEU: 61
; AccumOffset: 64
; Occupancy: 4
; WaveLimiterHint : 0
; COMPUTE_PGM_RSRC2:SCRATCH_EN: 0
; COMPUTE_PGM_RSRC2:USER_SGPR: 6
; COMPUTE_PGM_RSRC2:TRAP_HANDLER: 0
; COMPUTE_PGM_RSRC2:TGID_X_EN: 1
; COMPUTE_PGM_RSRC2:TGID_Y_EN: 0
; COMPUTE_PGM_RSRC2:TGID_Z_EN: 0
; COMPUTE_PGM_RSRC2:TIDIG_COMP_CNT: 0
; COMPUTE_PGM_RSRC3_GFX90A:ACCUM_OFFSET: 15
; COMPUTE_PGM_RSRC3_GFX90A:TG_SPLIT: 0
	.section	.text._ZN7rocprim17ROCPRIM_400000_NS6detail17trampoline_kernelINS0_13select_configILj256ELj13ELNS0_17block_load_methodE3ELS4_3ELS4_3ELNS0_20block_scan_algorithmE0ELj4294967295EEENS1_25partition_config_selectorILNS1_17partition_subalgoE3EjNS0_10empty_typeEbEEZZNS1_14partition_implILS8_3ELb0ES6_jNS0_17counting_iteratorIjlEEPS9_SE_NS0_5tupleIJPjSE_EEENSF_IJSE_SE_EEES9_SG_JZNS1_25segmented_radix_sort_implINS0_14default_configELb1EPKhPhPKlPlN2at6native12_GLOBAL__N_18offset_tEEE10hipError_tPvRmT1_PNSt15iterator_traitsISY_E10value_typeET2_T3_PNSZ_IS14_E10value_typeET4_jRbjT5_S1A_jjP12ihipStream_tbEUljE_EEESV_SW_SX_S14_S18_S1A_T6_T7_T9_mT8_S1C_bDpT10_ENKUlT_T0_E_clISt17integral_constantIbLb1EES1O_IbLb0EEEEDaS1K_S1L_EUlS1K_E_NS1_11comp_targetILNS1_3genE3ELNS1_11target_archE908ELNS1_3gpuE7ELNS1_3repE0EEENS1_30default_config_static_selectorELNS0_4arch9wavefront6targetE1EEEvSY_,"axG",@progbits,_ZN7rocprim17ROCPRIM_400000_NS6detail17trampoline_kernelINS0_13select_configILj256ELj13ELNS0_17block_load_methodE3ELS4_3ELS4_3ELNS0_20block_scan_algorithmE0ELj4294967295EEENS1_25partition_config_selectorILNS1_17partition_subalgoE3EjNS0_10empty_typeEbEEZZNS1_14partition_implILS8_3ELb0ES6_jNS0_17counting_iteratorIjlEEPS9_SE_NS0_5tupleIJPjSE_EEENSF_IJSE_SE_EEES9_SG_JZNS1_25segmented_radix_sort_implINS0_14default_configELb1EPKhPhPKlPlN2at6native12_GLOBAL__N_18offset_tEEE10hipError_tPvRmT1_PNSt15iterator_traitsISY_E10value_typeET2_T3_PNSZ_IS14_E10value_typeET4_jRbjT5_S1A_jjP12ihipStream_tbEUljE_EEESV_SW_SX_S14_S18_S1A_T6_T7_T9_mT8_S1C_bDpT10_ENKUlT_T0_E_clISt17integral_constantIbLb1EES1O_IbLb0EEEEDaS1K_S1L_EUlS1K_E_NS1_11comp_targetILNS1_3genE3ELNS1_11target_archE908ELNS1_3gpuE7ELNS1_3repE0EEENS1_30default_config_static_selectorELNS0_4arch9wavefront6targetE1EEEvSY_,comdat
	.globl	_ZN7rocprim17ROCPRIM_400000_NS6detail17trampoline_kernelINS0_13select_configILj256ELj13ELNS0_17block_load_methodE3ELS4_3ELS4_3ELNS0_20block_scan_algorithmE0ELj4294967295EEENS1_25partition_config_selectorILNS1_17partition_subalgoE3EjNS0_10empty_typeEbEEZZNS1_14partition_implILS8_3ELb0ES6_jNS0_17counting_iteratorIjlEEPS9_SE_NS0_5tupleIJPjSE_EEENSF_IJSE_SE_EEES9_SG_JZNS1_25segmented_radix_sort_implINS0_14default_configELb1EPKhPhPKlPlN2at6native12_GLOBAL__N_18offset_tEEE10hipError_tPvRmT1_PNSt15iterator_traitsISY_E10value_typeET2_T3_PNSZ_IS14_E10value_typeET4_jRbjT5_S1A_jjP12ihipStream_tbEUljE_EEESV_SW_SX_S14_S18_S1A_T6_T7_T9_mT8_S1C_bDpT10_ENKUlT_T0_E_clISt17integral_constantIbLb1EES1O_IbLb0EEEEDaS1K_S1L_EUlS1K_E_NS1_11comp_targetILNS1_3genE3ELNS1_11target_archE908ELNS1_3gpuE7ELNS1_3repE0EEENS1_30default_config_static_selectorELNS0_4arch9wavefront6targetE1EEEvSY_ ; -- Begin function _ZN7rocprim17ROCPRIM_400000_NS6detail17trampoline_kernelINS0_13select_configILj256ELj13ELNS0_17block_load_methodE3ELS4_3ELS4_3ELNS0_20block_scan_algorithmE0ELj4294967295EEENS1_25partition_config_selectorILNS1_17partition_subalgoE3EjNS0_10empty_typeEbEEZZNS1_14partition_implILS8_3ELb0ES6_jNS0_17counting_iteratorIjlEEPS9_SE_NS0_5tupleIJPjSE_EEENSF_IJSE_SE_EEES9_SG_JZNS1_25segmented_radix_sort_implINS0_14default_configELb1EPKhPhPKlPlN2at6native12_GLOBAL__N_18offset_tEEE10hipError_tPvRmT1_PNSt15iterator_traitsISY_E10value_typeET2_T3_PNSZ_IS14_E10value_typeET4_jRbjT5_S1A_jjP12ihipStream_tbEUljE_EEESV_SW_SX_S14_S18_S1A_T6_T7_T9_mT8_S1C_bDpT10_ENKUlT_T0_E_clISt17integral_constantIbLb1EES1O_IbLb0EEEEDaS1K_S1L_EUlS1K_E_NS1_11comp_targetILNS1_3genE3ELNS1_11target_archE908ELNS1_3gpuE7ELNS1_3repE0EEENS1_30default_config_static_selectorELNS0_4arch9wavefront6targetE1EEEvSY_
	.p2align	8
	.type	_ZN7rocprim17ROCPRIM_400000_NS6detail17trampoline_kernelINS0_13select_configILj256ELj13ELNS0_17block_load_methodE3ELS4_3ELS4_3ELNS0_20block_scan_algorithmE0ELj4294967295EEENS1_25partition_config_selectorILNS1_17partition_subalgoE3EjNS0_10empty_typeEbEEZZNS1_14partition_implILS8_3ELb0ES6_jNS0_17counting_iteratorIjlEEPS9_SE_NS0_5tupleIJPjSE_EEENSF_IJSE_SE_EEES9_SG_JZNS1_25segmented_radix_sort_implINS0_14default_configELb1EPKhPhPKlPlN2at6native12_GLOBAL__N_18offset_tEEE10hipError_tPvRmT1_PNSt15iterator_traitsISY_E10value_typeET2_T3_PNSZ_IS14_E10value_typeET4_jRbjT5_S1A_jjP12ihipStream_tbEUljE_EEESV_SW_SX_S14_S18_S1A_T6_T7_T9_mT8_S1C_bDpT10_ENKUlT_T0_E_clISt17integral_constantIbLb1EES1O_IbLb0EEEEDaS1K_S1L_EUlS1K_E_NS1_11comp_targetILNS1_3genE3ELNS1_11target_archE908ELNS1_3gpuE7ELNS1_3repE0EEENS1_30default_config_static_selectorELNS0_4arch9wavefront6targetE1EEEvSY_,@function
_ZN7rocprim17ROCPRIM_400000_NS6detail17trampoline_kernelINS0_13select_configILj256ELj13ELNS0_17block_load_methodE3ELS4_3ELS4_3ELNS0_20block_scan_algorithmE0ELj4294967295EEENS1_25partition_config_selectorILNS1_17partition_subalgoE3EjNS0_10empty_typeEbEEZZNS1_14partition_implILS8_3ELb0ES6_jNS0_17counting_iteratorIjlEEPS9_SE_NS0_5tupleIJPjSE_EEENSF_IJSE_SE_EEES9_SG_JZNS1_25segmented_radix_sort_implINS0_14default_configELb1EPKhPhPKlPlN2at6native12_GLOBAL__N_18offset_tEEE10hipError_tPvRmT1_PNSt15iterator_traitsISY_E10value_typeET2_T3_PNSZ_IS14_E10value_typeET4_jRbjT5_S1A_jjP12ihipStream_tbEUljE_EEESV_SW_SX_S14_S18_S1A_T6_T7_T9_mT8_S1C_bDpT10_ENKUlT_T0_E_clISt17integral_constantIbLb1EES1O_IbLb0EEEEDaS1K_S1L_EUlS1K_E_NS1_11comp_targetILNS1_3genE3ELNS1_11target_archE908ELNS1_3gpuE7ELNS1_3repE0EEENS1_30default_config_static_selectorELNS0_4arch9wavefront6targetE1EEEvSY_: ; @_ZN7rocprim17ROCPRIM_400000_NS6detail17trampoline_kernelINS0_13select_configILj256ELj13ELNS0_17block_load_methodE3ELS4_3ELS4_3ELNS0_20block_scan_algorithmE0ELj4294967295EEENS1_25partition_config_selectorILNS1_17partition_subalgoE3EjNS0_10empty_typeEbEEZZNS1_14partition_implILS8_3ELb0ES6_jNS0_17counting_iteratorIjlEEPS9_SE_NS0_5tupleIJPjSE_EEENSF_IJSE_SE_EEES9_SG_JZNS1_25segmented_radix_sort_implINS0_14default_configELb1EPKhPhPKlPlN2at6native12_GLOBAL__N_18offset_tEEE10hipError_tPvRmT1_PNSt15iterator_traitsISY_E10value_typeET2_T3_PNSZ_IS14_E10value_typeET4_jRbjT5_S1A_jjP12ihipStream_tbEUljE_EEESV_SW_SX_S14_S18_S1A_T6_T7_T9_mT8_S1C_bDpT10_ENKUlT_T0_E_clISt17integral_constantIbLb1EES1O_IbLb0EEEEDaS1K_S1L_EUlS1K_E_NS1_11comp_targetILNS1_3genE3ELNS1_11target_archE908ELNS1_3gpuE7ELNS1_3repE0EEENS1_30default_config_static_selectorELNS0_4arch9wavefront6targetE1EEEvSY_
; %bb.0:
	.section	.rodata,"a",@progbits
	.p2align	6, 0x0
	.amdhsa_kernel _ZN7rocprim17ROCPRIM_400000_NS6detail17trampoline_kernelINS0_13select_configILj256ELj13ELNS0_17block_load_methodE3ELS4_3ELS4_3ELNS0_20block_scan_algorithmE0ELj4294967295EEENS1_25partition_config_selectorILNS1_17partition_subalgoE3EjNS0_10empty_typeEbEEZZNS1_14partition_implILS8_3ELb0ES6_jNS0_17counting_iteratorIjlEEPS9_SE_NS0_5tupleIJPjSE_EEENSF_IJSE_SE_EEES9_SG_JZNS1_25segmented_radix_sort_implINS0_14default_configELb1EPKhPhPKlPlN2at6native12_GLOBAL__N_18offset_tEEE10hipError_tPvRmT1_PNSt15iterator_traitsISY_E10value_typeET2_T3_PNSZ_IS14_E10value_typeET4_jRbjT5_S1A_jjP12ihipStream_tbEUljE_EEESV_SW_SX_S14_S18_S1A_T6_T7_T9_mT8_S1C_bDpT10_ENKUlT_T0_E_clISt17integral_constantIbLb1EES1O_IbLb0EEEEDaS1K_S1L_EUlS1K_E_NS1_11comp_targetILNS1_3genE3ELNS1_11target_archE908ELNS1_3gpuE7ELNS1_3repE0EEENS1_30default_config_static_selectorELNS0_4arch9wavefront6targetE1EEEvSY_
		.amdhsa_group_segment_fixed_size 0
		.amdhsa_private_segment_fixed_size 0
		.amdhsa_kernarg_size 144
		.amdhsa_user_sgpr_count 6
		.amdhsa_user_sgpr_private_segment_buffer 1
		.amdhsa_user_sgpr_dispatch_ptr 0
		.amdhsa_user_sgpr_queue_ptr 0
		.amdhsa_user_sgpr_kernarg_segment_ptr 1
		.amdhsa_user_sgpr_dispatch_id 0
		.amdhsa_user_sgpr_flat_scratch_init 0
		.amdhsa_user_sgpr_kernarg_preload_length 0
		.amdhsa_user_sgpr_kernarg_preload_offset 0
		.amdhsa_user_sgpr_private_segment_size 0
		.amdhsa_uses_dynamic_stack 0
		.amdhsa_system_sgpr_private_segment_wavefront_offset 0
		.amdhsa_system_sgpr_workgroup_id_x 1
		.amdhsa_system_sgpr_workgroup_id_y 0
		.amdhsa_system_sgpr_workgroup_id_z 0
		.amdhsa_system_sgpr_workgroup_info 0
		.amdhsa_system_vgpr_workitem_id 0
		.amdhsa_next_free_vgpr 1
		.amdhsa_next_free_sgpr 0
		.amdhsa_accum_offset 4
		.amdhsa_reserve_vcc 0
		.amdhsa_reserve_flat_scratch 0
		.amdhsa_float_round_mode_32 0
		.amdhsa_float_round_mode_16_64 0
		.amdhsa_float_denorm_mode_32 3
		.amdhsa_float_denorm_mode_16_64 3
		.amdhsa_dx10_clamp 1
		.amdhsa_ieee_mode 1
		.amdhsa_fp16_overflow 0
		.amdhsa_tg_split 0
		.amdhsa_exception_fp_ieee_invalid_op 0
		.amdhsa_exception_fp_denorm_src 0
		.amdhsa_exception_fp_ieee_div_zero 0
		.amdhsa_exception_fp_ieee_overflow 0
		.amdhsa_exception_fp_ieee_underflow 0
		.amdhsa_exception_fp_ieee_inexact 0
		.amdhsa_exception_int_div_zero 0
	.end_amdhsa_kernel
	.section	.text._ZN7rocprim17ROCPRIM_400000_NS6detail17trampoline_kernelINS0_13select_configILj256ELj13ELNS0_17block_load_methodE3ELS4_3ELS4_3ELNS0_20block_scan_algorithmE0ELj4294967295EEENS1_25partition_config_selectorILNS1_17partition_subalgoE3EjNS0_10empty_typeEbEEZZNS1_14partition_implILS8_3ELb0ES6_jNS0_17counting_iteratorIjlEEPS9_SE_NS0_5tupleIJPjSE_EEENSF_IJSE_SE_EEES9_SG_JZNS1_25segmented_radix_sort_implINS0_14default_configELb1EPKhPhPKlPlN2at6native12_GLOBAL__N_18offset_tEEE10hipError_tPvRmT1_PNSt15iterator_traitsISY_E10value_typeET2_T3_PNSZ_IS14_E10value_typeET4_jRbjT5_S1A_jjP12ihipStream_tbEUljE_EEESV_SW_SX_S14_S18_S1A_T6_T7_T9_mT8_S1C_bDpT10_ENKUlT_T0_E_clISt17integral_constantIbLb1EES1O_IbLb0EEEEDaS1K_S1L_EUlS1K_E_NS1_11comp_targetILNS1_3genE3ELNS1_11target_archE908ELNS1_3gpuE7ELNS1_3repE0EEENS1_30default_config_static_selectorELNS0_4arch9wavefront6targetE1EEEvSY_,"axG",@progbits,_ZN7rocprim17ROCPRIM_400000_NS6detail17trampoline_kernelINS0_13select_configILj256ELj13ELNS0_17block_load_methodE3ELS4_3ELS4_3ELNS0_20block_scan_algorithmE0ELj4294967295EEENS1_25partition_config_selectorILNS1_17partition_subalgoE3EjNS0_10empty_typeEbEEZZNS1_14partition_implILS8_3ELb0ES6_jNS0_17counting_iteratorIjlEEPS9_SE_NS0_5tupleIJPjSE_EEENSF_IJSE_SE_EEES9_SG_JZNS1_25segmented_radix_sort_implINS0_14default_configELb1EPKhPhPKlPlN2at6native12_GLOBAL__N_18offset_tEEE10hipError_tPvRmT1_PNSt15iterator_traitsISY_E10value_typeET2_T3_PNSZ_IS14_E10value_typeET4_jRbjT5_S1A_jjP12ihipStream_tbEUljE_EEESV_SW_SX_S14_S18_S1A_T6_T7_T9_mT8_S1C_bDpT10_ENKUlT_T0_E_clISt17integral_constantIbLb1EES1O_IbLb0EEEEDaS1K_S1L_EUlS1K_E_NS1_11comp_targetILNS1_3genE3ELNS1_11target_archE908ELNS1_3gpuE7ELNS1_3repE0EEENS1_30default_config_static_selectorELNS0_4arch9wavefront6targetE1EEEvSY_,comdat
.Lfunc_end69:
	.size	_ZN7rocprim17ROCPRIM_400000_NS6detail17trampoline_kernelINS0_13select_configILj256ELj13ELNS0_17block_load_methodE3ELS4_3ELS4_3ELNS0_20block_scan_algorithmE0ELj4294967295EEENS1_25partition_config_selectorILNS1_17partition_subalgoE3EjNS0_10empty_typeEbEEZZNS1_14partition_implILS8_3ELb0ES6_jNS0_17counting_iteratorIjlEEPS9_SE_NS0_5tupleIJPjSE_EEENSF_IJSE_SE_EEES9_SG_JZNS1_25segmented_radix_sort_implINS0_14default_configELb1EPKhPhPKlPlN2at6native12_GLOBAL__N_18offset_tEEE10hipError_tPvRmT1_PNSt15iterator_traitsISY_E10value_typeET2_T3_PNSZ_IS14_E10value_typeET4_jRbjT5_S1A_jjP12ihipStream_tbEUljE_EEESV_SW_SX_S14_S18_S1A_T6_T7_T9_mT8_S1C_bDpT10_ENKUlT_T0_E_clISt17integral_constantIbLb1EES1O_IbLb0EEEEDaS1K_S1L_EUlS1K_E_NS1_11comp_targetILNS1_3genE3ELNS1_11target_archE908ELNS1_3gpuE7ELNS1_3repE0EEENS1_30default_config_static_selectorELNS0_4arch9wavefront6targetE1EEEvSY_, .Lfunc_end69-_ZN7rocprim17ROCPRIM_400000_NS6detail17trampoline_kernelINS0_13select_configILj256ELj13ELNS0_17block_load_methodE3ELS4_3ELS4_3ELNS0_20block_scan_algorithmE0ELj4294967295EEENS1_25partition_config_selectorILNS1_17partition_subalgoE3EjNS0_10empty_typeEbEEZZNS1_14partition_implILS8_3ELb0ES6_jNS0_17counting_iteratorIjlEEPS9_SE_NS0_5tupleIJPjSE_EEENSF_IJSE_SE_EEES9_SG_JZNS1_25segmented_radix_sort_implINS0_14default_configELb1EPKhPhPKlPlN2at6native12_GLOBAL__N_18offset_tEEE10hipError_tPvRmT1_PNSt15iterator_traitsISY_E10value_typeET2_T3_PNSZ_IS14_E10value_typeET4_jRbjT5_S1A_jjP12ihipStream_tbEUljE_EEESV_SW_SX_S14_S18_S1A_T6_T7_T9_mT8_S1C_bDpT10_ENKUlT_T0_E_clISt17integral_constantIbLb1EES1O_IbLb0EEEEDaS1K_S1L_EUlS1K_E_NS1_11comp_targetILNS1_3genE3ELNS1_11target_archE908ELNS1_3gpuE7ELNS1_3repE0EEENS1_30default_config_static_selectorELNS0_4arch9wavefront6targetE1EEEvSY_
                                        ; -- End function
	.section	.AMDGPU.csdata,"",@progbits
; Kernel info:
; codeLenInByte = 0
; NumSgprs: 4
; NumVgprs: 0
; NumAgprs: 0
; TotalNumVgprs: 0
; ScratchSize: 0
; MemoryBound: 0
; FloatMode: 240
; IeeeMode: 1
; LDSByteSize: 0 bytes/workgroup (compile time only)
; SGPRBlocks: 0
; VGPRBlocks: 0
; NumSGPRsForWavesPerEU: 4
; NumVGPRsForWavesPerEU: 1
; AccumOffset: 4
; Occupancy: 8
; WaveLimiterHint : 0
; COMPUTE_PGM_RSRC2:SCRATCH_EN: 0
; COMPUTE_PGM_RSRC2:USER_SGPR: 6
; COMPUTE_PGM_RSRC2:TRAP_HANDLER: 0
; COMPUTE_PGM_RSRC2:TGID_X_EN: 1
; COMPUTE_PGM_RSRC2:TGID_Y_EN: 0
; COMPUTE_PGM_RSRC2:TGID_Z_EN: 0
; COMPUTE_PGM_RSRC2:TIDIG_COMP_CNT: 0
; COMPUTE_PGM_RSRC3_GFX90A:ACCUM_OFFSET: 0
; COMPUTE_PGM_RSRC3_GFX90A:TG_SPLIT: 0
	.section	.text._ZN7rocprim17ROCPRIM_400000_NS6detail17trampoline_kernelINS0_13select_configILj256ELj13ELNS0_17block_load_methodE3ELS4_3ELS4_3ELNS0_20block_scan_algorithmE0ELj4294967295EEENS1_25partition_config_selectorILNS1_17partition_subalgoE3EjNS0_10empty_typeEbEEZZNS1_14partition_implILS8_3ELb0ES6_jNS0_17counting_iteratorIjlEEPS9_SE_NS0_5tupleIJPjSE_EEENSF_IJSE_SE_EEES9_SG_JZNS1_25segmented_radix_sort_implINS0_14default_configELb1EPKhPhPKlPlN2at6native12_GLOBAL__N_18offset_tEEE10hipError_tPvRmT1_PNSt15iterator_traitsISY_E10value_typeET2_T3_PNSZ_IS14_E10value_typeET4_jRbjT5_S1A_jjP12ihipStream_tbEUljE_EEESV_SW_SX_S14_S18_S1A_T6_T7_T9_mT8_S1C_bDpT10_ENKUlT_T0_E_clISt17integral_constantIbLb1EES1O_IbLb0EEEEDaS1K_S1L_EUlS1K_E_NS1_11comp_targetILNS1_3genE2ELNS1_11target_archE906ELNS1_3gpuE6ELNS1_3repE0EEENS1_30default_config_static_selectorELNS0_4arch9wavefront6targetE1EEEvSY_,"axG",@progbits,_ZN7rocprim17ROCPRIM_400000_NS6detail17trampoline_kernelINS0_13select_configILj256ELj13ELNS0_17block_load_methodE3ELS4_3ELS4_3ELNS0_20block_scan_algorithmE0ELj4294967295EEENS1_25partition_config_selectorILNS1_17partition_subalgoE3EjNS0_10empty_typeEbEEZZNS1_14partition_implILS8_3ELb0ES6_jNS0_17counting_iteratorIjlEEPS9_SE_NS0_5tupleIJPjSE_EEENSF_IJSE_SE_EEES9_SG_JZNS1_25segmented_radix_sort_implINS0_14default_configELb1EPKhPhPKlPlN2at6native12_GLOBAL__N_18offset_tEEE10hipError_tPvRmT1_PNSt15iterator_traitsISY_E10value_typeET2_T3_PNSZ_IS14_E10value_typeET4_jRbjT5_S1A_jjP12ihipStream_tbEUljE_EEESV_SW_SX_S14_S18_S1A_T6_T7_T9_mT8_S1C_bDpT10_ENKUlT_T0_E_clISt17integral_constantIbLb1EES1O_IbLb0EEEEDaS1K_S1L_EUlS1K_E_NS1_11comp_targetILNS1_3genE2ELNS1_11target_archE906ELNS1_3gpuE6ELNS1_3repE0EEENS1_30default_config_static_selectorELNS0_4arch9wavefront6targetE1EEEvSY_,comdat
	.globl	_ZN7rocprim17ROCPRIM_400000_NS6detail17trampoline_kernelINS0_13select_configILj256ELj13ELNS0_17block_load_methodE3ELS4_3ELS4_3ELNS0_20block_scan_algorithmE0ELj4294967295EEENS1_25partition_config_selectorILNS1_17partition_subalgoE3EjNS0_10empty_typeEbEEZZNS1_14partition_implILS8_3ELb0ES6_jNS0_17counting_iteratorIjlEEPS9_SE_NS0_5tupleIJPjSE_EEENSF_IJSE_SE_EEES9_SG_JZNS1_25segmented_radix_sort_implINS0_14default_configELb1EPKhPhPKlPlN2at6native12_GLOBAL__N_18offset_tEEE10hipError_tPvRmT1_PNSt15iterator_traitsISY_E10value_typeET2_T3_PNSZ_IS14_E10value_typeET4_jRbjT5_S1A_jjP12ihipStream_tbEUljE_EEESV_SW_SX_S14_S18_S1A_T6_T7_T9_mT8_S1C_bDpT10_ENKUlT_T0_E_clISt17integral_constantIbLb1EES1O_IbLb0EEEEDaS1K_S1L_EUlS1K_E_NS1_11comp_targetILNS1_3genE2ELNS1_11target_archE906ELNS1_3gpuE6ELNS1_3repE0EEENS1_30default_config_static_selectorELNS0_4arch9wavefront6targetE1EEEvSY_ ; -- Begin function _ZN7rocprim17ROCPRIM_400000_NS6detail17trampoline_kernelINS0_13select_configILj256ELj13ELNS0_17block_load_methodE3ELS4_3ELS4_3ELNS0_20block_scan_algorithmE0ELj4294967295EEENS1_25partition_config_selectorILNS1_17partition_subalgoE3EjNS0_10empty_typeEbEEZZNS1_14partition_implILS8_3ELb0ES6_jNS0_17counting_iteratorIjlEEPS9_SE_NS0_5tupleIJPjSE_EEENSF_IJSE_SE_EEES9_SG_JZNS1_25segmented_radix_sort_implINS0_14default_configELb1EPKhPhPKlPlN2at6native12_GLOBAL__N_18offset_tEEE10hipError_tPvRmT1_PNSt15iterator_traitsISY_E10value_typeET2_T3_PNSZ_IS14_E10value_typeET4_jRbjT5_S1A_jjP12ihipStream_tbEUljE_EEESV_SW_SX_S14_S18_S1A_T6_T7_T9_mT8_S1C_bDpT10_ENKUlT_T0_E_clISt17integral_constantIbLb1EES1O_IbLb0EEEEDaS1K_S1L_EUlS1K_E_NS1_11comp_targetILNS1_3genE2ELNS1_11target_archE906ELNS1_3gpuE6ELNS1_3repE0EEENS1_30default_config_static_selectorELNS0_4arch9wavefront6targetE1EEEvSY_
	.p2align	8
	.type	_ZN7rocprim17ROCPRIM_400000_NS6detail17trampoline_kernelINS0_13select_configILj256ELj13ELNS0_17block_load_methodE3ELS4_3ELS4_3ELNS0_20block_scan_algorithmE0ELj4294967295EEENS1_25partition_config_selectorILNS1_17partition_subalgoE3EjNS0_10empty_typeEbEEZZNS1_14partition_implILS8_3ELb0ES6_jNS0_17counting_iteratorIjlEEPS9_SE_NS0_5tupleIJPjSE_EEENSF_IJSE_SE_EEES9_SG_JZNS1_25segmented_radix_sort_implINS0_14default_configELb1EPKhPhPKlPlN2at6native12_GLOBAL__N_18offset_tEEE10hipError_tPvRmT1_PNSt15iterator_traitsISY_E10value_typeET2_T3_PNSZ_IS14_E10value_typeET4_jRbjT5_S1A_jjP12ihipStream_tbEUljE_EEESV_SW_SX_S14_S18_S1A_T6_T7_T9_mT8_S1C_bDpT10_ENKUlT_T0_E_clISt17integral_constantIbLb1EES1O_IbLb0EEEEDaS1K_S1L_EUlS1K_E_NS1_11comp_targetILNS1_3genE2ELNS1_11target_archE906ELNS1_3gpuE6ELNS1_3repE0EEENS1_30default_config_static_selectorELNS0_4arch9wavefront6targetE1EEEvSY_,@function
_ZN7rocprim17ROCPRIM_400000_NS6detail17trampoline_kernelINS0_13select_configILj256ELj13ELNS0_17block_load_methodE3ELS4_3ELS4_3ELNS0_20block_scan_algorithmE0ELj4294967295EEENS1_25partition_config_selectorILNS1_17partition_subalgoE3EjNS0_10empty_typeEbEEZZNS1_14partition_implILS8_3ELb0ES6_jNS0_17counting_iteratorIjlEEPS9_SE_NS0_5tupleIJPjSE_EEENSF_IJSE_SE_EEES9_SG_JZNS1_25segmented_radix_sort_implINS0_14default_configELb1EPKhPhPKlPlN2at6native12_GLOBAL__N_18offset_tEEE10hipError_tPvRmT1_PNSt15iterator_traitsISY_E10value_typeET2_T3_PNSZ_IS14_E10value_typeET4_jRbjT5_S1A_jjP12ihipStream_tbEUljE_EEESV_SW_SX_S14_S18_S1A_T6_T7_T9_mT8_S1C_bDpT10_ENKUlT_T0_E_clISt17integral_constantIbLb1EES1O_IbLb0EEEEDaS1K_S1L_EUlS1K_E_NS1_11comp_targetILNS1_3genE2ELNS1_11target_archE906ELNS1_3gpuE6ELNS1_3repE0EEENS1_30default_config_static_selectorELNS0_4arch9wavefront6targetE1EEEvSY_: ; @_ZN7rocprim17ROCPRIM_400000_NS6detail17trampoline_kernelINS0_13select_configILj256ELj13ELNS0_17block_load_methodE3ELS4_3ELS4_3ELNS0_20block_scan_algorithmE0ELj4294967295EEENS1_25partition_config_selectorILNS1_17partition_subalgoE3EjNS0_10empty_typeEbEEZZNS1_14partition_implILS8_3ELb0ES6_jNS0_17counting_iteratorIjlEEPS9_SE_NS0_5tupleIJPjSE_EEENSF_IJSE_SE_EEES9_SG_JZNS1_25segmented_radix_sort_implINS0_14default_configELb1EPKhPhPKlPlN2at6native12_GLOBAL__N_18offset_tEEE10hipError_tPvRmT1_PNSt15iterator_traitsISY_E10value_typeET2_T3_PNSZ_IS14_E10value_typeET4_jRbjT5_S1A_jjP12ihipStream_tbEUljE_EEESV_SW_SX_S14_S18_S1A_T6_T7_T9_mT8_S1C_bDpT10_ENKUlT_T0_E_clISt17integral_constantIbLb1EES1O_IbLb0EEEEDaS1K_S1L_EUlS1K_E_NS1_11comp_targetILNS1_3genE2ELNS1_11target_archE906ELNS1_3gpuE6ELNS1_3repE0EEENS1_30default_config_static_selectorELNS0_4arch9wavefront6targetE1EEEvSY_
; %bb.0:
	.section	.rodata,"a",@progbits
	.p2align	6, 0x0
	.amdhsa_kernel _ZN7rocprim17ROCPRIM_400000_NS6detail17trampoline_kernelINS0_13select_configILj256ELj13ELNS0_17block_load_methodE3ELS4_3ELS4_3ELNS0_20block_scan_algorithmE0ELj4294967295EEENS1_25partition_config_selectorILNS1_17partition_subalgoE3EjNS0_10empty_typeEbEEZZNS1_14partition_implILS8_3ELb0ES6_jNS0_17counting_iteratorIjlEEPS9_SE_NS0_5tupleIJPjSE_EEENSF_IJSE_SE_EEES9_SG_JZNS1_25segmented_radix_sort_implINS0_14default_configELb1EPKhPhPKlPlN2at6native12_GLOBAL__N_18offset_tEEE10hipError_tPvRmT1_PNSt15iterator_traitsISY_E10value_typeET2_T3_PNSZ_IS14_E10value_typeET4_jRbjT5_S1A_jjP12ihipStream_tbEUljE_EEESV_SW_SX_S14_S18_S1A_T6_T7_T9_mT8_S1C_bDpT10_ENKUlT_T0_E_clISt17integral_constantIbLb1EES1O_IbLb0EEEEDaS1K_S1L_EUlS1K_E_NS1_11comp_targetILNS1_3genE2ELNS1_11target_archE906ELNS1_3gpuE6ELNS1_3repE0EEENS1_30default_config_static_selectorELNS0_4arch9wavefront6targetE1EEEvSY_
		.amdhsa_group_segment_fixed_size 0
		.amdhsa_private_segment_fixed_size 0
		.amdhsa_kernarg_size 144
		.amdhsa_user_sgpr_count 6
		.amdhsa_user_sgpr_private_segment_buffer 1
		.amdhsa_user_sgpr_dispatch_ptr 0
		.amdhsa_user_sgpr_queue_ptr 0
		.amdhsa_user_sgpr_kernarg_segment_ptr 1
		.amdhsa_user_sgpr_dispatch_id 0
		.amdhsa_user_sgpr_flat_scratch_init 0
		.amdhsa_user_sgpr_kernarg_preload_length 0
		.amdhsa_user_sgpr_kernarg_preload_offset 0
		.amdhsa_user_sgpr_private_segment_size 0
		.amdhsa_uses_dynamic_stack 0
		.amdhsa_system_sgpr_private_segment_wavefront_offset 0
		.amdhsa_system_sgpr_workgroup_id_x 1
		.amdhsa_system_sgpr_workgroup_id_y 0
		.amdhsa_system_sgpr_workgroup_id_z 0
		.amdhsa_system_sgpr_workgroup_info 0
		.amdhsa_system_vgpr_workitem_id 0
		.amdhsa_next_free_vgpr 1
		.amdhsa_next_free_sgpr 0
		.amdhsa_accum_offset 4
		.amdhsa_reserve_vcc 0
		.amdhsa_reserve_flat_scratch 0
		.amdhsa_float_round_mode_32 0
		.amdhsa_float_round_mode_16_64 0
		.amdhsa_float_denorm_mode_32 3
		.amdhsa_float_denorm_mode_16_64 3
		.amdhsa_dx10_clamp 1
		.amdhsa_ieee_mode 1
		.amdhsa_fp16_overflow 0
		.amdhsa_tg_split 0
		.amdhsa_exception_fp_ieee_invalid_op 0
		.amdhsa_exception_fp_denorm_src 0
		.amdhsa_exception_fp_ieee_div_zero 0
		.amdhsa_exception_fp_ieee_overflow 0
		.amdhsa_exception_fp_ieee_underflow 0
		.amdhsa_exception_fp_ieee_inexact 0
		.amdhsa_exception_int_div_zero 0
	.end_amdhsa_kernel
	.section	.text._ZN7rocprim17ROCPRIM_400000_NS6detail17trampoline_kernelINS0_13select_configILj256ELj13ELNS0_17block_load_methodE3ELS4_3ELS4_3ELNS0_20block_scan_algorithmE0ELj4294967295EEENS1_25partition_config_selectorILNS1_17partition_subalgoE3EjNS0_10empty_typeEbEEZZNS1_14partition_implILS8_3ELb0ES6_jNS0_17counting_iteratorIjlEEPS9_SE_NS0_5tupleIJPjSE_EEENSF_IJSE_SE_EEES9_SG_JZNS1_25segmented_radix_sort_implINS0_14default_configELb1EPKhPhPKlPlN2at6native12_GLOBAL__N_18offset_tEEE10hipError_tPvRmT1_PNSt15iterator_traitsISY_E10value_typeET2_T3_PNSZ_IS14_E10value_typeET4_jRbjT5_S1A_jjP12ihipStream_tbEUljE_EEESV_SW_SX_S14_S18_S1A_T6_T7_T9_mT8_S1C_bDpT10_ENKUlT_T0_E_clISt17integral_constantIbLb1EES1O_IbLb0EEEEDaS1K_S1L_EUlS1K_E_NS1_11comp_targetILNS1_3genE2ELNS1_11target_archE906ELNS1_3gpuE6ELNS1_3repE0EEENS1_30default_config_static_selectorELNS0_4arch9wavefront6targetE1EEEvSY_,"axG",@progbits,_ZN7rocprim17ROCPRIM_400000_NS6detail17trampoline_kernelINS0_13select_configILj256ELj13ELNS0_17block_load_methodE3ELS4_3ELS4_3ELNS0_20block_scan_algorithmE0ELj4294967295EEENS1_25partition_config_selectorILNS1_17partition_subalgoE3EjNS0_10empty_typeEbEEZZNS1_14partition_implILS8_3ELb0ES6_jNS0_17counting_iteratorIjlEEPS9_SE_NS0_5tupleIJPjSE_EEENSF_IJSE_SE_EEES9_SG_JZNS1_25segmented_radix_sort_implINS0_14default_configELb1EPKhPhPKlPlN2at6native12_GLOBAL__N_18offset_tEEE10hipError_tPvRmT1_PNSt15iterator_traitsISY_E10value_typeET2_T3_PNSZ_IS14_E10value_typeET4_jRbjT5_S1A_jjP12ihipStream_tbEUljE_EEESV_SW_SX_S14_S18_S1A_T6_T7_T9_mT8_S1C_bDpT10_ENKUlT_T0_E_clISt17integral_constantIbLb1EES1O_IbLb0EEEEDaS1K_S1L_EUlS1K_E_NS1_11comp_targetILNS1_3genE2ELNS1_11target_archE906ELNS1_3gpuE6ELNS1_3repE0EEENS1_30default_config_static_selectorELNS0_4arch9wavefront6targetE1EEEvSY_,comdat
.Lfunc_end70:
	.size	_ZN7rocprim17ROCPRIM_400000_NS6detail17trampoline_kernelINS0_13select_configILj256ELj13ELNS0_17block_load_methodE3ELS4_3ELS4_3ELNS0_20block_scan_algorithmE0ELj4294967295EEENS1_25partition_config_selectorILNS1_17partition_subalgoE3EjNS0_10empty_typeEbEEZZNS1_14partition_implILS8_3ELb0ES6_jNS0_17counting_iteratorIjlEEPS9_SE_NS0_5tupleIJPjSE_EEENSF_IJSE_SE_EEES9_SG_JZNS1_25segmented_radix_sort_implINS0_14default_configELb1EPKhPhPKlPlN2at6native12_GLOBAL__N_18offset_tEEE10hipError_tPvRmT1_PNSt15iterator_traitsISY_E10value_typeET2_T3_PNSZ_IS14_E10value_typeET4_jRbjT5_S1A_jjP12ihipStream_tbEUljE_EEESV_SW_SX_S14_S18_S1A_T6_T7_T9_mT8_S1C_bDpT10_ENKUlT_T0_E_clISt17integral_constantIbLb1EES1O_IbLb0EEEEDaS1K_S1L_EUlS1K_E_NS1_11comp_targetILNS1_3genE2ELNS1_11target_archE906ELNS1_3gpuE6ELNS1_3repE0EEENS1_30default_config_static_selectorELNS0_4arch9wavefront6targetE1EEEvSY_, .Lfunc_end70-_ZN7rocprim17ROCPRIM_400000_NS6detail17trampoline_kernelINS0_13select_configILj256ELj13ELNS0_17block_load_methodE3ELS4_3ELS4_3ELNS0_20block_scan_algorithmE0ELj4294967295EEENS1_25partition_config_selectorILNS1_17partition_subalgoE3EjNS0_10empty_typeEbEEZZNS1_14partition_implILS8_3ELb0ES6_jNS0_17counting_iteratorIjlEEPS9_SE_NS0_5tupleIJPjSE_EEENSF_IJSE_SE_EEES9_SG_JZNS1_25segmented_radix_sort_implINS0_14default_configELb1EPKhPhPKlPlN2at6native12_GLOBAL__N_18offset_tEEE10hipError_tPvRmT1_PNSt15iterator_traitsISY_E10value_typeET2_T3_PNSZ_IS14_E10value_typeET4_jRbjT5_S1A_jjP12ihipStream_tbEUljE_EEESV_SW_SX_S14_S18_S1A_T6_T7_T9_mT8_S1C_bDpT10_ENKUlT_T0_E_clISt17integral_constantIbLb1EES1O_IbLb0EEEEDaS1K_S1L_EUlS1K_E_NS1_11comp_targetILNS1_3genE2ELNS1_11target_archE906ELNS1_3gpuE6ELNS1_3repE0EEENS1_30default_config_static_selectorELNS0_4arch9wavefront6targetE1EEEvSY_
                                        ; -- End function
	.section	.AMDGPU.csdata,"",@progbits
; Kernel info:
; codeLenInByte = 0
; NumSgprs: 4
; NumVgprs: 0
; NumAgprs: 0
; TotalNumVgprs: 0
; ScratchSize: 0
; MemoryBound: 0
; FloatMode: 240
; IeeeMode: 1
; LDSByteSize: 0 bytes/workgroup (compile time only)
; SGPRBlocks: 0
; VGPRBlocks: 0
; NumSGPRsForWavesPerEU: 4
; NumVGPRsForWavesPerEU: 1
; AccumOffset: 4
; Occupancy: 8
; WaveLimiterHint : 0
; COMPUTE_PGM_RSRC2:SCRATCH_EN: 0
; COMPUTE_PGM_RSRC2:USER_SGPR: 6
; COMPUTE_PGM_RSRC2:TRAP_HANDLER: 0
; COMPUTE_PGM_RSRC2:TGID_X_EN: 1
; COMPUTE_PGM_RSRC2:TGID_Y_EN: 0
; COMPUTE_PGM_RSRC2:TGID_Z_EN: 0
; COMPUTE_PGM_RSRC2:TIDIG_COMP_CNT: 0
; COMPUTE_PGM_RSRC3_GFX90A:ACCUM_OFFSET: 0
; COMPUTE_PGM_RSRC3_GFX90A:TG_SPLIT: 0
	.section	.text._ZN7rocprim17ROCPRIM_400000_NS6detail17trampoline_kernelINS0_13select_configILj256ELj13ELNS0_17block_load_methodE3ELS4_3ELS4_3ELNS0_20block_scan_algorithmE0ELj4294967295EEENS1_25partition_config_selectorILNS1_17partition_subalgoE3EjNS0_10empty_typeEbEEZZNS1_14partition_implILS8_3ELb0ES6_jNS0_17counting_iteratorIjlEEPS9_SE_NS0_5tupleIJPjSE_EEENSF_IJSE_SE_EEES9_SG_JZNS1_25segmented_radix_sort_implINS0_14default_configELb1EPKhPhPKlPlN2at6native12_GLOBAL__N_18offset_tEEE10hipError_tPvRmT1_PNSt15iterator_traitsISY_E10value_typeET2_T3_PNSZ_IS14_E10value_typeET4_jRbjT5_S1A_jjP12ihipStream_tbEUljE_EEESV_SW_SX_S14_S18_S1A_T6_T7_T9_mT8_S1C_bDpT10_ENKUlT_T0_E_clISt17integral_constantIbLb1EES1O_IbLb0EEEEDaS1K_S1L_EUlS1K_E_NS1_11comp_targetILNS1_3genE10ELNS1_11target_archE1200ELNS1_3gpuE4ELNS1_3repE0EEENS1_30default_config_static_selectorELNS0_4arch9wavefront6targetE1EEEvSY_,"axG",@progbits,_ZN7rocprim17ROCPRIM_400000_NS6detail17trampoline_kernelINS0_13select_configILj256ELj13ELNS0_17block_load_methodE3ELS4_3ELS4_3ELNS0_20block_scan_algorithmE0ELj4294967295EEENS1_25partition_config_selectorILNS1_17partition_subalgoE3EjNS0_10empty_typeEbEEZZNS1_14partition_implILS8_3ELb0ES6_jNS0_17counting_iteratorIjlEEPS9_SE_NS0_5tupleIJPjSE_EEENSF_IJSE_SE_EEES9_SG_JZNS1_25segmented_radix_sort_implINS0_14default_configELb1EPKhPhPKlPlN2at6native12_GLOBAL__N_18offset_tEEE10hipError_tPvRmT1_PNSt15iterator_traitsISY_E10value_typeET2_T3_PNSZ_IS14_E10value_typeET4_jRbjT5_S1A_jjP12ihipStream_tbEUljE_EEESV_SW_SX_S14_S18_S1A_T6_T7_T9_mT8_S1C_bDpT10_ENKUlT_T0_E_clISt17integral_constantIbLb1EES1O_IbLb0EEEEDaS1K_S1L_EUlS1K_E_NS1_11comp_targetILNS1_3genE10ELNS1_11target_archE1200ELNS1_3gpuE4ELNS1_3repE0EEENS1_30default_config_static_selectorELNS0_4arch9wavefront6targetE1EEEvSY_,comdat
	.globl	_ZN7rocprim17ROCPRIM_400000_NS6detail17trampoline_kernelINS0_13select_configILj256ELj13ELNS0_17block_load_methodE3ELS4_3ELS4_3ELNS0_20block_scan_algorithmE0ELj4294967295EEENS1_25partition_config_selectorILNS1_17partition_subalgoE3EjNS0_10empty_typeEbEEZZNS1_14partition_implILS8_3ELb0ES6_jNS0_17counting_iteratorIjlEEPS9_SE_NS0_5tupleIJPjSE_EEENSF_IJSE_SE_EEES9_SG_JZNS1_25segmented_radix_sort_implINS0_14default_configELb1EPKhPhPKlPlN2at6native12_GLOBAL__N_18offset_tEEE10hipError_tPvRmT1_PNSt15iterator_traitsISY_E10value_typeET2_T3_PNSZ_IS14_E10value_typeET4_jRbjT5_S1A_jjP12ihipStream_tbEUljE_EEESV_SW_SX_S14_S18_S1A_T6_T7_T9_mT8_S1C_bDpT10_ENKUlT_T0_E_clISt17integral_constantIbLb1EES1O_IbLb0EEEEDaS1K_S1L_EUlS1K_E_NS1_11comp_targetILNS1_3genE10ELNS1_11target_archE1200ELNS1_3gpuE4ELNS1_3repE0EEENS1_30default_config_static_selectorELNS0_4arch9wavefront6targetE1EEEvSY_ ; -- Begin function _ZN7rocprim17ROCPRIM_400000_NS6detail17trampoline_kernelINS0_13select_configILj256ELj13ELNS0_17block_load_methodE3ELS4_3ELS4_3ELNS0_20block_scan_algorithmE0ELj4294967295EEENS1_25partition_config_selectorILNS1_17partition_subalgoE3EjNS0_10empty_typeEbEEZZNS1_14partition_implILS8_3ELb0ES6_jNS0_17counting_iteratorIjlEEPS9_SE_NS0_5tupleIJPjSE_EEENSF_IJSE_SE_EEES9_SG_JZNS1_25segmented_radix_sort_implINS0_14default_configELb1EPKhPhPKlPlN2at6native12_GLOBAL__N_18offset_tEEE10hipError_tPvRmT1_PNSt15iterator_traitsISY_E10value_typeET2_T3_PNSZ_IS14_E10value_typeET4_jRbjT5_S1A_jjP12ihipStream_tbEUljE_EEESV_SW_SX_S14_S18_S1A_T6_T7_T9_mT8_S1C_bDpT10_ENKUlT_T0_E_clISt17integral_constantIbLb1EES1O_IbLb0EEEEDaS1K_S1L_EUlS1K_E_NS1_11comp_targetILNS1_3genE10ELNS1_11target_archE1200ELNS1_3gpuE4ELNS1_3repE0EEENS1_30default_config_static_selectorELNS0_4arch9wavefront6targetE1EEEvSY_
	.p2align	8
	.type	_ZN7rocprim17ROCPRIM_400000_NS6detail17trampoline_kernelINS0_13select_configILj256ELj13ELNS0_17block_load_methodE3ELS4_3ELS4_3ELNS0_20block_scan_algorithmE0ELj4294967295EEENS1_25partition_config_selectorILNS1_17partition_subalgoE3EjNS0_10empty_typeEbEEZZNS1_14partition_implILS8_3ELb0ES6_jNS0_17counting_iteratorIjlEEPS9_SE_NS0_5tupleIJPjSE_EEENSF_IJSE_SE_EEES9_SG_JZNS1_25segmented_radix_sort_implINS0_14default_configELb1EPKhPhPKlPlN2at6native12_GLOBAL__N_18offset_tEEE10hipError_tPvRmT1_PNSt15iterator_traitsISY_E10value_typeET2_T3_PNSZ_IS14_E10value_typeET4_jRbjT5_S1A_jjP12ihipStream_tbEUljE_EEESV_SW_SX_S14_S18_S1A_T6_T7_T9_mT8_S1C_bDpT10_ENKUlT_T0_E_clISt17integral_constantIbLb1EES1O_IbLb0EEEEDaS1K_S1L_EUlS1K_E_NS1_11comp_targetILNS1_3genE10ELNS1_11target_archE1200ELNS1_3gpuE4ELNS1_3repE0EEENS1_30default_config_static_selectorELNS0_4arch9wavefront6targetE1EEEvSY_,@function
_ZN7rocprim17ROCPRIM_400000_NS6detail17trampoline_kernelINS0_13select_configILj256ELj13ELNS0_17block_load_methodE3ELS4_3ELS4_3ELNS0_20block_scan_algorithmE0ELj4294967295EEENS1_25partition_config_selectorILNS1_17partition_subalgoE3EjNS0_10empty_typeEbEEZZNS1_14partition_implILS8_3ELb0ES6_jNS0_17counting_iteratorIjlEEPS9_SE_NS0_5tupleIJPjSE_EEENSF_IJSE_SE_EEES9_SG_JZNS1_25segmented_radix_sort_implINS0_14default_configELb1EPKhPhPKlPlN2at6native12_GLOBAL__N_18offset_tEEE10hipError_tPvRmT1_PNSt15iterator_traitsISY_E10value_typeET2_T3_PNSZ_IS14_E10value_typeET4_jRbjT5_S1A_jjP12ihipStream_tbEUljE_EEESV_SW_SX_S14_S18_S1A_T6_T7_T9_mT8_S1C_bDpT10_ENKUlT_T0_E_clISt17integral_constantIbLb1EES1O_IbLb0EEEEDaS1K_S1L_EUlS1K_E_NS1_11comp_targetILNS1_3genE10ELNS1_11target_archE1200ELNS1_3gpuE4ELNS1_3repE0EEENS1_30default_config_static_selectorELNS0_4arch9wavefront6targetE1EEEvSY_: ; @_ZN7rocprim17ROCPRIM_400000_NS6detail17trampoline_kernelINS0_13select_configILj256ELj13ELNS0_17block_load_methodE3ELS4_3ELS4_3ELNS0_20block_scan_algorithmE0ELj4294967295EEENS1_25partition_config_selectorILNS1_17partition_subalgoE3EjNS0_10empty_typeEbEEZZNS1_14partition_implILS8_3ELb0ES6_jNS0_17counting_iteratorIjlEEPS9_SE_NS0_5tupleIJPjSE_EEENSF_IJSE_SE_EEES9_SG_JZNS1_25segmented_radix_sort_implINS0_14default_configELb1EPKhPhPKlPlN2at6native12_GLOBAL__N_18offset_tEEE10hipError_tPvRmT1_PNSt15iterator_traitsISY_E10value_typeET2_T3_PNSZ_IS14_E10value_typeET4_jRbjT5_S1A_jjP12ihipStream_tbEUljE_EEESV_SW_SX_S14_S18_S1A_T6_T7_T9_mT8_S1C_bDpT10_ENKUlT_T0_E_clISt17integral_constantIbLb1EES1O_IbLb0EEEEDaS1K_S1L_EUlS1K_E_NS1_11comp_targetILNS1_3genE10ELNS1_11target_archE1200ELNS1_3gpuE4ELNS1_3repE0EEENS1_30default_config_static_selectorELNS0_4arch9wavefront6targetE1EEEvSY_
; %bb.0:
	.section	.rodata,"a",@progbits
	.p2align	6, 0x0
	.amdhsa_kernel _ZN7rocprim17ROCPRIM_400000_NS6detail17trampoline_kernelINS0_13select_configILj256ELj13ELNS0_17block_load_methodE3ELS4_3ELS4_3ELNS0_20block_scan_algorithmE0ELj4294967295EEENS1_25partition_config_selectorILNS1_17partition_subalgoE3EjNS0_10empty_typeEbEEZZNS1_14partition_implILS8_3ELb0ES6_jNS0_17counting_iteratorIjlEEPS9_SE_NS0_5tupleIJPjSE_EEENSF_IJSE_SE_EEES9_SG_JZNS1_25segmented_radix_sort_implINS0_14default_configELb1EPKhPhPKlPlN2at6native12_GLOBAL__N_18offset_tEEE10hipError_tPvRmT1_PNSt15iterator_traitsISY_E10value_typeET2_T3_PNSZ_IS14_E10value_typeET4_jRbjT5_S1A_jjP12ihipStream_tbEUljE_EEESV_SW_SX_S14_S18_S1A_T6_T7_T9_mT8_S1C_bDpT10_ENKUlT_T0_E_clISt17integral_constantIbLb1EES1O_IbLb0EEEEDaS1K_S1L_EUlS1K_E_NS1_11comp_targetILNS1_3genE10ELNS1_11target_archE1200ELNS1_3gpuE4ELNS1_3repE0EEENS1_30default_config_static_selectorELNS0_4arch9wavefront6targetE1EEEvSY_
		.amdhsa_group_segment_fixed_size 0
		.amdhsa_private_segment_fixed_size 0
		.amdhsa_kernarg_size 144
		.amdhsa_user_sgpr_count 6
		.amdhsa_user_sgpr_private_segment_buffer 1
		.amdhsa_user_sgpr_dispatch_ptr 0
		.amdhsa_user_sgpr_queue_ptr 0
		.amdhsa_user_sgpr_kernarg_segment_ptr 1
		.amdhsa_user_sgpr_dispatch_id 0
		.amdhsa_user_sgpr_flat_scratch_init 0
		.amdhsa_user_sgpr_kernarg_preload_length 0
		.amdhsa_user_sgpr_kernarg_preload_offset 0
		.amdhsa_user_sgpr_private_segment_size 0
		.amdhsa_uses_dynamic_stack 0
		.amdhsa_system_sgpr_private_segment_wavefront_offset 0
		.amdhsa_system_sgpr_workgroup_id_x 1
		.amdhsa_system_sgpr_workgroup_id_y 0
		.amdhsa_system_sgpr_workgroup_id_z 0
		.amdhsa_system_sgpr_workgroup_info 0
		.amdhsa_system_vgpr_workitem_id 0
		.amdhsa_next_free_vgpr 1
		.amdhsa_next_free_sgpr 0
		.amdhsa_accum_offset 4
		.amdhsa_reserve_vcc 0
		.amdhsa_reserve_flat_scratch 0
		.amdhsa_float_round_mode_32 0
		.amdhsa_float_round_mode_16_64 0
		.amdhsa_float_denorm_mode_32 3
		.amdhsa_float_denorm_mode_16_64 3
		.amdhsa_dx10_clamp 1
		.amdhsa_ieee_mode 1
		.amdhsa_fp16_overflow 0
		.amdhsa_tg_split 0
		.amdhsa_exception_fp_ieee_invalid_op 0
		.amdhsa_exception_fp_denorm_src 0
		.amdhsa_exception_fp_ieee_div_zero 0
		.amdhsa_exception_fp_ieee_overflow 0
		.amdhsa_exception_fp_ieee_underflow 0
		.amdhsa_exception_fp_ieee_inexact 0
		.amdhsa_exception_int_div_zero 0
	.end_amdhsa_kernel
	.section	.text._ZN7rocprim17ROCPRIM_400000_NS6detail17trampoline_kernelINS0_13select_configILj256ELj13ELNS0_17block_load_methodE3ELS4_3ELS4_3ELNS0_20block_scan_algorithmE0ELj4294967295EEENS1_25partition_config_selectorILNS1_17partition_subalgoE3EjNS0_10empty_typeEbEEZZNS1_14partition_implILS8_3ELb0ES6_jNS0_17counting_iteratorIjlEEPS9_SE_NS0_5tupleIJPjSE_EEENSF_IJSE_SE_EEES9_SG_JZNS1_25segmented_radix_sort_implINS0_14default_configELb1EPKhPhPKlPlN2at6native12_GLOBAL__N_18offset_tEEE10hipError_tPvRmT1_PNSt15iterator_traitsISY_E10value_typeET2_T3_PNSZ_IS14_E10value_typeET4_jRbjT5_S1A_jjP12ihipStream_tbEUljE_EEESV_SW_SX_S14_S18_S1A_T6_T7_T9_mT8_S1C_bDpT10_ENKUlT_T0_E_clISt17integral_constantIbLb1EES1O_IbLb0EEEEDaS1K_S1L_EUlS1K_E_NS1_11comp_targetILNS1_3genE10ELNS1_11target_archE1200ELNS1_3gpuE4ELNS1_3repE0EEENS1_30default_config_static_selectorELNS0_4arch9wavefront6targetE1EEEvSY_,"axG",@progbits,_ZN7rocprim17ROCPRIM_400000_NS6detail17trampoline_kernelINS0_13select_configILj256ELj13ELNS0_17block_load_methodE3ELS4_3ELS4_3ELNS0_20block_scan_algorithmE0ELj4294967295EEENS1_25partition_config_selectorILNS1_17partition_subalgoE3EjNS0_10empty_typeEbEEZZNS1_14partition_implILS8_3ELb0ES6_jNS0_17counting_iteratorIjlEEPS9_SE_NS0_5tupleIJPjSE_EEENSF_IJSE_SE_EEES9_SG_JZNS1_25segmented_radix_sort_implINS0_14default_configELb1EPKhPhPKlPlN2at6native12_GLOBAL__N_18offset_tEEE10hipError_tPvRmT1_PNSt15iterator_traitsISY_E10value_typeET2_T3_PNSZ_IS14_E10value_typeET4_jRbjT5_S1A_jjP12ihipStream_tbEUljE_EEESV_SW_SX_S14_S18_S1A_T6_T7_T9_mT8_S1C_bDpT10_ENKUlT_T0_E_clISt17integral_constantIbLb1EES1O_IbLb0EEEEDaS1K_S1L_EUlS1K_E_NS1_11comp_targetILNS1_3genE10ELNS1_11target_archE1200ELNS1_3gpuE4ELNS1_3repE0EEENS1_30default_config_static_selectorELNS0_4arch9wavefront6targetE1EEEvSY_,comdat
.Lfunc_end71:
	.size	_ZN7rocprim17ROCPRIM_400000_NS6detail17trampoline_kernelINS0_13select_configILj256ELj13ELNS0_17block_load_methodE3ELS4_3ELS4_3ELNS0_20block_scan_algorithmE0ELj4294967295EEENS1_25partition_config_selectorILNS1_17partition_subalgoE3EjNS0_10empty_typeEbEEZZNS1_14partition_implILS8_3ELb0ES6_jNS0_17counting_iteratorIjlEEPS9_SE_NS0_5tupleIJPjSE_EEENSF_IJSE_SE_EEES9_SG_JZNS1_25segmented_radix_sort_implINS0_14default_configELb1EPKhPhPKlPlN2at6native12_GLOBAL__N_18offset_tEEE10hipError_tPvRmT1_PNSt15iterator_traitsISY_E10value_typeET2_T3_PNSZ_IS14_E10value_typeET4_jRbjT5_S1A_jjP12ihipStream_tbEUljE_EEESV_SW_SX_S14_S18_S1A_T6_T7_T9_mT8_S1C_bDpT10_ENKUlT_T0_E_clISt17integral_constantIbLb1EES1O_IbLb0EEEEDaS1K_S1L_EUlS1K_E_NS1_11comp_targetILNS1_3genE10ELNS1_11target_archE1200ELNS1_3gpuE4ELNS1_3repE0EEENS1_30default_config_static_selectorELNS0_4arch9wavefront6targetE1EEEvSY_, .Lfunc_end71-_ZN7rocprim17ROCPRIM_400000_NS6detail17trampoline_kernelINS0_13select_configILj256ELj13ELNS0_17block_load_methodE3ELS4_3ELS4_3ELNS0_20block_scan_algorithmE0ELj4294967295EEENS1_25partition_config_selectorILNS1_17partition_subalgoE3EjNS0_10empty_typeEbEEZZNS1_14partition_implILS8_3ELb0ES6_jNS0_17counting_iteratorIjlEEPS9_SE_NS0_5tupleIJPjSE_EEENSF_IJSE_SE_EEES9_SG_JZNS1_25segmented_radix_sort_implINS0_14default_configELb1EPKhPhPKlPlN2at6native12_GLOBAL__N_18offset_tEEE10hipError_tPvRmT1_PNSt15iterator_traitsISY_E10value_typeET2_T3_PNSZ_IS14_E10value_typeET4_jRbjT5_S1A_jjP12ihipStream_tbEUljE_EEESV_SW_SX_S14_S18_S1A_T6_T7_T9_mT8_S1C_bDpT10_ENKUlT_T0_E_clISt17integral_constantIbLb1EES1O_IbLb0EEEEDaS1K_S1L_EUlS1K_E_NS1_11comp_targetILNS1_3genE10ELNS1_11target_archE1200ELNS1_3gpuE4ELNS1_3repE0EEENS1_30default_config_static_selectorELNS0_4arch9wavefront6targetE1EEEvSY_
                                        ; -- End function
	.section	.AMDGPU.csdata,"",@progbits
; Kernel info:
; codeLenInByte = 0
; NumSgprs: 4
; NumVgprs: 0
; NumAgprs: 0
; TotalNumVgprs: 0
; ScratchSize: 0
; MemoryBound: 0
; FloatMode: 240
; IeeeMode: 1
; LDSByteSize: 0 bytes/workgroup (compile time only)
; SGPRBlocks: 0
; VGPRBlocks: 0
; NumSGPRsForWavesPerEU: 4
; NumVGPRsForWavesPerEU: 1
; AccumOffset: 4
; Occupancy: 8
; WaveLimiterHint : 0
; COMPUTE_PGM_RSRC2:SCRATCH_EN: 0
; COMPUTE_PGM_RSRC2:USER_SGPR: 6
; COMPUTE_PGM_RSRC2:TRAP_HANDLER: 0
; COMPUTE_PGM_RSRC2:TGID_X_EN: 1
; COMPUTE_PGM_RSRC2:TGID_Y_EN: 0
; COMPUTE_PGM_RSRC2:TGID_Z_EN: 0
; COMPUTE_PGM_RSRC2:TIDIG_COMP_CNT: 0
; COMPUTE_PGM_RSRC3_GFX90A:ACCUM_OFFSET: 0
; COMPUTE_PGM_RSRC3_GFX90A:TG_SPLIT: 0
	.section	.text._ZN7rocprim17ROCPRIM_400000_NS6detail17trampoline_kernelINS0_13select_configILj256ELj13ELNS0_17block_load_methodE3ELS4_3ELS4_3ELNS0_20block_scan_algorithmE0ELj4294967295EEENS1_25partition_config_selectorILNS1_17partition_subalgoE3EjNS0_10empty_typeEbEEZZNS1_14partition_implILS8_3ELb0ES6_jNS0_17counting_iteratorIjlEEPS9_SE_NS0_5tupleIJPjSE_EEENSF_IJSE_SE_EEES9_SG_JZNS1_25segmented_radix_sort_implINS0_14default_configELb1EPKhPhPKlPlN2at6native12_GLOBAL__N_18offset_tEEE10hipError_tPvRmT1_PNSt15iterator_traitsISY_E10value_typeET2_T3_PNSZ_IS14_E10value_typeET4_jRbjT5_S1A_jjP12ihipStream_tbEUljE_EEESV_SW_SX_S14_S18_S1A_T6_T7_T9_mT8_S1C_bDpT10_ENKUlT_T0_E_clISt17integral_constantIbLb1EES1O_IbLb0EEEEDaS1K_S1L_EUlS1K_E_NS1_11comp_targetILNS1_3genE9ELNS1_11target_archE1100ELNS1_3gpuE3ELNS1_3repE0EEENS1_30default_config_static_selectorELNS0_4arch9wavefront6targetE1EEEvSY_,"axG",@progbits,_ZN7rocprim17ROCPRIM_400000_NS6detail17trampoline_kernelINS0_13select_configILj256ELj13ELNS0_17block_load_methodE3ELS4_3ELS4_3ELNS0_20block_scan_algorithmE0ELj4294967295EEENS1_25partition_config_selectorILNS1_17partition_subalgoE3EjNS0_10empty_typeEbEEZZNS1_14partition_implILS8_3ELb0ES6_jNS0_17counting_iteratorIjlEEPS9_SE_NS0_5tupleIJPjSE_EEENSF_IJSE_SE_EEES9_SG_JZNS1_25segmented_radix_sort_implINS0_14default_configELb1EPKhPhPKlPlN2at6native12_GLOBAL__N_18offset_tEEE10hipError_tPvRmT1_PNSt15iterator_traitsISY_E10value_typeET2_T3_PNSZ_IS14_E10value_typeET4_jRbjT5_S1A_jjP12ihipStream_tbEUljE_EEESV_SW_SX_S14_S18_S1A_T6_T7_T9_mT8_S1C_bDpT10_ENKUlT_T0_E_clISt17integral_constantIbLb1EES1O_IbLb0EEEEDaS1K_S1L_EUlS1K_E_NS1_11comp_targetILNS1_3genE9ELNS1_11target_archE1100ELNS1_3gpuE3ELNS1_3repE0EEENS1_30default_config_static_selectorELNS0_4arch9wavefront6targetE1EEEvSY_,comdat
	.globl	_ZN7rocprim17ROCPRIM_400000_NS6detail17trampoline_kernelINS0_13select_configILj256ELj13ELNS0_17block_load_methodE3ELS4_3ELS4_3ELNS0_20block_scan_algorithmE0ELj4294967295EEENS1_25partition_config_selectorILNS1_17partition_subalgoE3EjNS0_10empty_typeEbEEZZNS1_14partition_implILS8_3ELb0ES6_jNS0_17counting_iteratorIjlEEPS9_SE_NS0_5tupleIJPjSE_EEENSF_IJSE_SE_EEES9_SG_JZNS1_25segmented_radix_sort_implINS0_14default_configELb1EPKhPhPKlPlN2at6native12_GLOBAL__N_18offset_tEEE10hipError_tPvRmT1_PNSt15iterator_traitsISY_E10value_typeET2_T3_PNSZ_IS14_E10value_typeET4_jRbjT5_S1A_jjP12ihipStream_tbEUljE_EEESV_SW_SX_S14_S18_S1A_T6_T7_T9_mT8_S1C_bDpT10_ENKUlT_T0_E_clISt17integral_constantIbLb1EES1O_IbLb0EEEEDaS1K_S1L_EUlS1K_E_NS1_11comp_targetILNS1_3genE9ELNS1_11target_archE1100ELNS1_3gpuE3ELNS1_3repE0EEENS1_30default_config_static_selectorELNS0_4arch9wavefront6targetE1EEEvSY_ ; -- Begin function _ZN7rocprim17ROCPRIM_400000_NS6detail17trampoline_kernelINS0_13select_configILj256ELj13ELNS0_17block_load_methodE3ELS4_3ELS4_3ELNS0_20block_scan_algorithmE0ELj4294967295EEENS1_25partition_config_selectorILNS1_17partition_subalgoE3EjNS0_10empty_typeEbEEZZNS1_14partition_implILS8_3ELb0ES6_jNS0_17counting_iteratorIjlEEPS9_SE_NS0_5tupleIJPjSE_EEENSF_IJSE_SE_EEES9_SG_JZNS1_25segmented_radix_sort_implINS0_14default_configELb1EPKhPhPKlPlN2at6native12_GLOBAL__N_18offset_tEEE10hipError_tPvRmT1_PNSt15iterator_traitsISY_E10value_typeET2_T3_PNSZ_IS14_E10value_typeET4_jRbjT5_S1A_jjP12ihipStream_tbEUljE_EEESV_SW_SX_S14_S18_S1A_T6_T7_T9_mT8_S1C_bDpT10_ENKUlT_T0_E_clISt17integral_constantIbLb1EES1O_IbLb0EEEEDaS1K_S1L_EUlS1K_E_NS1_11comp_targetILNS1_3genE9ELNS1_11target_archE1100ELNS1_3gpuE3ELNS1_3repE0EEENS1_30default_config_static_selectorELNS0_4arch9wavefront6targetE1EEEvSY_
	.p2align	8
	.type	_ZN7rocprim17ROCPRIM_400000_NS6detail17trampoline_kernelINS0_13select_configILj256ELj13ELNS0_17block_load_methodE3ELS4_3ELS4_3ELNS0_20block_scan_algorithmE0ELj4294967295EEENS1_25partition_config_selectorILNS1_17partition_subalgoE3EjNS0_10empty_typeEbEEZZNS1_14partition_implILS8_3ELb0ES6_jNS0_17counting_iteratorIjlEEPS9_SE_NS0_5tupleIJPjSE_EEENSF_IJSE_SE_EEES9_SG_JZNS1_25segmented_radix_sort_implINS0_14default_configELb1EPKhPhPKlPlN2at6native12_GLOBAL__N_18offset_tEEE10hipError_tPvRmT1_PNSt15iterator_traitsISY_E10value_typeET2_T3_PNSZ_IS14_E10value_typeET4_jRbjT5_S1A_jjP12ihipStream_tbEUljE_EEESV_SW_SX_S14_S18_S1A_T6_T7_T9_mT8_S1C_bDpT10_ENKUlT_T0_E_clISt17integral_constantIbLb1EES1O_IbLb0EEEEDaS1K_S1L_EUlS1K_E_NS1_11comp_targetILNS1_3genE9ELNS1_11target_archE1100ELNS1_3gpuE3ELNS1_3repE0EEENS1_30default_config_static_selectorELNS0_4arch9wavefront6targetE1EEEvSY_,@function
_ZN7rocprim17ROCPRIM_400000_NS6detail17trampoline_kernelINS0_13select_configILj256ELj13ELNS0_17block_load_methodE3ELS4_3ELS4_3ELNS0_20block_scan_algorithmE0ELj4294967295EEENS1_25partition_config_selectorILNS1_17partition_subalgoE3EjNS0_10empty_typeEbEEZZNS1_14partition_implILS8_3ELb0ES6_jNS0_17counting_iteratorIjlEEPS9_SE_NS0_5tupleIJPjSE_EEENSF_IJSE_SE_EEES9_SG_JZNS1_25segmented_radix_sort_implINS0_14default_configELb1EPKhPhPKlPlN2at6native12_GLOBAL__N_18offset_tEEE10hipError_tPvRmT1_PNSt15iterator_traitsISY_E10value_typeET2_T3_PNSZ_IS14_E10value_typeET4_jRbjT5_S1A_jjP12ihipStream_tbEUljE_EEESV_SW_SX_S14_S18_S1A_T6_T7_T9_mT8_S1C_bDpT10_ENKUlT_T0_E_clISt17integral_constantIbLb1EES1O_IbLb0EEEEDaS1K_S1L_EUlS1K_E_NS1_11comp_targetILNS1_3genE9ELNS1_11target_archE1100ELNS1_3gpuE3ELNS1_3repE0EEENS1_30default_config_static_selectorELNS0_4arch9wavefront6targetE1EEEvSY_: ; @_ZN7rocprim17ROCPRIM_400000_NS6detail17trampoline_kernelINS0_13select_configILj256ELj13ELNS0_17block_load_methodE3ELS4_3ELS4_3ELNS0_20block_scan_algorithmE0ELj4294967295EEENS1_25partition_config_selectorILNS1_17partition_subalgoE3EjNS0_10empty_typeEbEEZZNS1_14partition_implILS8_3ELb0ES6_jNS0_17counting_iteratorIjlEEPS9_SE_NS0_5tupleIJPjSE_EEENSF_IJSE_SE_EEES9_SG_JZNS1_25segmented_radix_sort_implINS0_14default_configELb1EPKhPhPKlPlN2at6native12_GLOBAL__N_18offset_tEEE10hipError_tPvRmT1_PNSt15iterator_traitsISY_E10value_typeET2_T3_PNSZ_IS14_E10value_typeET4_jRbjT5_S1A_jjP12ihipStream_tbEUljE_EEESV_SW_SX_S14_S18_S1A_T6_T7_T9_mT8_S1C_bDpT10_ENKUlT_T0_E_clISt17integral_constantIbLb1EES1O_IbLb0EEEEDaS1K_S1L_EUlS1K_E_NS1_11comp_targetILNS1_3genE9ELNS1_11target_archE1100ELNS1_3gpuE3ELNS1_3repE0EEENS1_30default_config_static_selectorELNS0_4arch9wavefront6targetE1EEEvSY_
; %bb.0:
	.section	.rodata,"a",@progbits
	.p2align	6, 0x0
	.amdhsa_kernel _ZN7rocprim17ROCPRIM_400000_NS6detail17trampoline_kernelINS0_13select_configILj256ELj13ELNS0_17block_load_methodE3ELS4_3ELS4_3ELNS0_20block_scan_algorithmE0ELj4294967295EEENS1_25partition_config_selectorILNS1_17partition_subalgoE3EjNS0_10empty_typeEbEEZZNS1_14partition_implILS8_3ELb0ES6_jNS0_17counting_iteratorIjlEEPS9_SE_NS0_5tupleIJPjSE_EEENSF_IJSE_SE_EEES9_SG_JZNS1_25segmented_radix_sort_implINS0_14default_configELb1EPKhPhPKlPlN2at6native12_GLOBAL__N_18offset_tEEE10hipError_tPvRmT1_PNSt15iterator_traitsISY_E10value_typeET2_T3_PNSZ_IS14_E10value_typeET4_jRbjT5_S1A_jjP12ihipStream_tbEUljE_EEESV_SW_SX_S14_S18_S1A_T6_T7_T9_mT8_S1C_bDpT10_ENKUlT_T0_E_clISt17integral_constantIbLb1EES1O_IbLb0EEEEDaS1K_S1L_EUlS1K_E_NS1_11comp_targetILNS1_3genE9ELNS1_11target_archE1100ELNS1_3gpuE3ELNS1_3repE0EEENS1_30default_config_static_selectorELNS0_4arch9wavefront6targetE1EEEvSY_
		.amdhsa_group_segment_fixed_size 0
		.amdhsa_private_segment_fixed_size 0
		.amdhsa_kernarg_size 144
		.amdhsa_user_sgpr_count 6
		.amdhsa_user_sgpr_private_segment_buffer 1
		.amdhsa_user_sgpr_dispatch_ptr 0
		.amdhsa_user_sgpr_queue_ptr 0
		.amdhsa_user_sgpr_kernarg_segment_ptr 1
		.amdhsa_user_sgpr_dispatch_id 0
		.amdhsa_user_sgpr_flat_scratch_init 0
		.amdhsa_user_sgpr_kernarg_preload_length 0
		.amdhsa_user_sgpr_kernarg_preload_offset 0
		.amdhsa_user_sgpr_private_segment_size 0
		.amdhsa_uses_dynamic_stack 0
		.amdhsa_system_sgpr_private_segment_wavefront_offset 0
		.amdhsa_system_sgpr_workgroup_id_x 1
		.amdhsa_system_sgpr_workgroup_id_y 0
		.amdhsa_system_sgpr_workgroup_id_z 0
		.amdhsa_system_sgpr_workgroup_info 0
		.amdhsa_system_vgpr_workitem_id 0
		.amdhsa_next_free_vgpr 1
		.amdhsa_next_free_sgpr 0
		.amdhsa_accum_offset 4
		.amdhsa_reserve_vcc 0
		.amdhsa_reserve_flat_scratch 0
		.amdhsa_float_round_mode_32 0
		.amdhsa_float_round_mode_16_64 0
		.amdhsa_float_denorm_mode_32 3
		.amdhsa_float_denorm_mode_16_64 3
		.amdhsa_dx10_clamp 1
		.amdhsa_ieee_mode 1
		.amdhsa_fp16_overflow 0
		.amdhsa_tg_split 0
		.amdhsa_exception_fp_ieee_invalid_op 0
		.amdhsa_exception_fp_denorm_src 0
		.amdhsa_exception_fp_ieee_div_zero 0
		.amdhsa_exception_fp_ieee_overflow 0
		.amdhsa_exception_fp_ieee_underflow 0
		.amdhsa_exception_fp_ieee_inexact 0
		.amdhsa_exception_int_div_zero 0
	.end_amdhsa_kernel
	.section	.text._ZN7rocprim17ROCPRIM_400000_NS6detail17trampoline_kernelINS0_13select_configILj256ELj13ELNS0_17block_load_methodE3ELS4_3ELS4_3ELNS0_20block_scan_algorithmE0ELj4294967295EEENS1_25partition_config_selectorILNS1_17partition_subalgoE3EjNS0_10empty_typeEbEEZZNS1_14partition_implILS8_3ELb0ES6_jNS0_17counting_iteratorIjlEEPS9_SE_NS0_5tupleIJPjSE_EEENSF_IJSE_SE_EEES9_SG_JZNS1_25segmented_radix_sort_implINS0_14default_configELb1EPKhPhPKlPlN2at6native12_GLOBAL__N_18offset_tEEE10hipError_tPvRmT1_PNSt15iterator_traitsISY_E10value_typeET2_T3_PNSZ_IS14_E10value_typeET4_jRbjT5_S1A_jjP12ihipStream_tbEUljE_EEESV_SW_SX_S14_S18_S1A_T6_T7_T9_mT8_S1C_bDpT10_ENKUlT_T0_E_clISt17integral_constantIbLb1EES1O_IbLb0EEEEDaS1K_S1L_EUlS1K_E_NS1_11comp_targetILNS1_3genE9ELNS1_11target_archE1100ELNS1_3gpuE3ELNS1_3repE0EEENS1_30default_config_static_selectorELNS0_4arch9wavefront6targetE1EEEvSY_,"axG",@progbits,_ZN7rocprim17ROCPRIM_400000_NS6detail17trampoline_kernelINS0_13select_configILj256ELj13ELNS0_17block_load_methodE3ELS4_3ELS4_3ELNS0_20block_scan_algorithmE0ELj4294967295EEENS1_25partition_config_selectorILNS1_17partition_subalgoE3EjNS0_10empty_typeEbEEZZNS1_14partition_implILS8_3ELb0ES6_jNS0_17counting_iteratorIjlEEPS9_SE_NS0_5tupleIJPjSE_EEENSF_IJSE_SE_EEES9_SG_JZNS1_25segmented_radix_sort_implINS0_14default_configELb1EPKhPhPKlPlN2at6native12_GLOBAL__N_18offset_tEEE10hipError_tPvRmT1_PNSt15iterator_traitsISY_E10value_typeET2_T3_PNSZ_IS14_E10value_typeET4_jRbjT5_S1A_jjP12ihipStream_tbEUljE_EEESV_SW_SX_S14_S18_S1A_T6_T7_T9_mT8_S1C_bDpT10_ENKUlT_T0_E_clISt17integral_constantIbLb1EES1O_IbLb0EEEEDaS1K_S1L_EUlS1K_E_NS1_11comp_targetILNS1_3genE9ELNS1_11target_archE1100ELNS1_3gpuE3ELNS1_3repE0EEENS1_30default_config_static_selectorELNS0_4arch9wavefront6targetE1EEEvSY_,comdat
.Lfunc_end72:
	.size	_ZN7rocprim17ROCPRIM_400000_NS6detail17trampoline_kernelINS0_13select_configILj256ELj13ELNS0_17block_load_methodE3ELS4_3ELS4_3ELNS0_20block_scan_algorithmE0ELj4294967295EEENS1_25partition_config_selectorILNS1_17partition_subalgoE3EjNS0_10empty_typeEbEEZZNS1_14partition_implILS8_3ELb0ES6_jNS0_17counting_iteratorIjlEEPS9_SE_NS0_5tupleIJPjSE_EEENSF_IJSE_SE_EEES9_SG_JZNS1_25segmented_radix_sort_implINS0_14default_configELb1EPKhPhPKlPlN2at6native12_GLOBAL__N_18offset_tEEE10hipError_tPvRmT1_PNSt15iterator_traitsISY_E10value_typeET2_T3_PNSZ_IS14_E10value_typeET4_jRbjT5_S1A_jjP12ihipStream_tbEUljE_EEESV_SW_SX_S14_S18_S1A_T6_T7_T9_mT8_S1C_bDpT10_ENKUlT_T0_E_clISt17integral_constantIbLb1EES1O_IbLb0EEEEDaS1K_S1L_EUlS1K_E_NS1_11comp_targetILNS1_3genE9ELNS1_11target_archE1100ELNS1_3gpuE3ELNS1_3repE0EEENS1_30default_config_static_selectorELNS0_4arch9wavefront6targetE1EEEvSY_, .Lfunc_end72-_ZN7rocprim17ROCPRIM_400000_NS6detail17trampoline_kernelINS0_13select_configILj256ELj13ELNS0_17block_load_methodE3ELS4_3ELS4_3ELNS0_20block_scan_algorithmE0ELj4294967295EEENS1_25partition_config_selectorILNS1_17partition_subalgoE3EjNS0_10empty_typeEbEEZZNS1_14partition_implILS8_3ELb0ES6_jNS0_17counting_iteratorIjlEEPS9_SE_NS0_5tupleIJPjSE_EEENSF_IJSE_SE_EEES9_SG_JZNS1_25segmented_radix_sort_implINS0_14default_configELb1EPKhPhPKlPlN2at6native12_GLOBAL__N_18offset_tEEE10hipError_tPvRmT1_PNSt15iterator_traitsISY_E10value_typeET2_T3_PNSZ_IS14_E10value_typeET4_jRbjT5_S1A_jjP12ihipStream_tbEUljE_EEESV_SW_SX_S14_S18_S1A_T6_T7_T9_mT8_S1C_bDpT10_ENKUlT_T0_E_clISt17integral_constantIbLb1EES1O_IbLb0EEEEDaS1K_S1L_EUlS1K_E_NS1_11comp_targetILNS1_3genE9ELNS1_11target_archE1100ELNS1_3gpuE3ELNS1_3repE0EEENS1_30default_config_static_selectorELNS0_4arch9wavefront6targetE1EEEvSY_
                                        ; -- End function
	.section	.AMDGPU.csdata,"",@progbits
; Kernel info:
; codeLenInByte = 0
; NumSgprs: 4
; NumVgprs: 0
; NumAgprs: 0
; TotalNumVgprs: 0
; ScratchSize: 0
; MemoryBound: 0
; FloatMode: 240
; IeeeMode: 1
; LDSByteSize: 0 bytes/workgroup (compile time only)
; SGPRBlocks: 0
; VGPRBlocks: 0
; NumSGPRsForWavesPerEU: 4
; NumVGPRsForWavesPerEU: 1
; AccumOffset: 4
; Occupancy: 8
; WaveLimiterHint : 0
; COMPUTE_PGM_RSRC2:SCRATCH_EN: 0
; COMPUTE_PGM_RSRC2:USER_SGPR: 6
; COMPUTE_PGM_RSRC2:TRAP_HANDLER: 0
; COMPUTE_PGM_RSRC2:TGID_X_EN: 1
; COMPUTE_PGM_RSRC2:TGID_Y_EN: 0
; COMPUTE_PGM_RSRC2:TGID_Z_EN: 0
; COMPUTE_PGM_RSRC2:TIDIG_COMP_CNT: 0
; COMPUTE_PGM_RSRC3_GFX90A:ACCUM_OFFSET: 0
; COMPUTE_PGM_RSRC3_GFX90A:TG_SPLIT: 0
	.section	.text._ZN7rocprim17ROCPRIM_400000_NS6detail17trampoline_kernelINS0_13select_configILj256ELj13ELNS0_17block_load_methodE3ELS4_3ELS4_3ELNS0_20block_scan_algorithmE0ELj4294967295EEENS1_25partition_config_selectorILNS1_17partition_subalgoE3EjNS0_10empty_typeEbEEZZNS1_14partition_implILS8_3ELb0ES6_jNS0_17counting_iteratorIjlEEPS9_SE_NS0_5tupleIJPjSE_EEENSF_IJSE_SE_EEES9_SG_JZNS1_25segmented_radix_sort_implINS0_14default_configELb1EPKhPhPKlPlN2at6native12_GLOBAL__N_18offset_tEEE10hipError_tPvRmT1_PNSt15iterator_traitsISY_E10value_typeET2_T3_PNSZ_IS14_E10value_typeET4_jRbjT5_S1A_jjP12ihipStream_tbEUljE_EEESV_SW_SX_S14_S18_S1A_T6_T7_T9_mT8_S1C_bDpT10_ENKUlT_T0_E_clISt17integral_constantIbLb1EES1O_IbLb0EEEEDaS1K_S1L_EUlS1K_E_NS1_11comp_targetILNS1_3genE8ELNS1_11target_archE1030ELNS1_3gpuE2ELNS1_3repE0EEENS1_30default_config_static_selectorELNS0_4arch9wavefront6targetE1EEEvSY_,"axG",@progbits,_ZN7rocprim17ROCPRIM_400000_NS6detail17trampoline_kernelINS0_13select_configILj256ELj13ELNS0_17block_load_methodE3ELS4_3ELS4_3ELNS0_20block_scan_algorithmE0ELj4294967295EEENS1_25partition_config_selectorILNS1_17partition_subalgoE3EjNS0_10empty_typeEbEEZZNS1_14partition_implILS8_3ELb0ES6_jNS0_17counting_iteratorIjlEEPS9_SE_NS0_5tupleIJPjSE_EEENSF_IJSE_SE_EEES9_SG_JZNS1_25segmented_radix_sort_implINS0_14default_configELb1EPKhPhPKlPlN2at6native12_GLOBAL__N_18offset_tEEE10hipError_tPvRmT1_PNSt15iterator_traitsISY_E10value_typeET2_T3_PNSZ_IS14_E10value_typeET4_jRbjT5_S1A_jjP12ihipStream_tbEUljE_EEESV_SW_SX_S14_S18_S1A_T6_T7_T9_mT8_S1C_bDpT10_ENKUlT_T0_E_clISt17integral_constantIbLb1EES1O_IbLb0EEEEDaS1K_S1L_EUlS1K_E_NS1_11comp_targetILNS1_3genE8ELNS1_11target_archE1030ELNS1_3gpuE2ELNS1_3repE0EEENS1_30default_config_static_selectorELNS0_4arch9wavefront6targetE1EEEvSY_,comdat
	.globl	_ZN7rocprim17ROCPRIM_400000_NS6detail17trampoline_kernelINS0_13select_configILj256ELj13ELNS0_17block_load_methodE3ELS4_3ELS4_3ELNS0_20block_scan_algorithmE0ELj4294967295EEENS1_25partition_config_selectorILNS1_17partition_subalgoE3EjNS0_10empty_typeEbEEZZNS1_14partition_implILS8_3ELb0ES6_jNS0_17counting_iteratorIjlEEPS9_SE_NS0_5tupleIJPjSE_EEENSF_IJSE_SE_EEES9_SG_JZNS1_25segmented_radix_sort_implINS0_14default_configELb1EPKhPhPKlPlN2at6native12_GLOBAL__N_18offset_tEEE10hipError_tPvRmT1_PNSt15iterator_traitsISY_E10value_typeET2_T3_PNSZ_IS14_E10value_typeET4_jRbjT5_S1A_jjP12ihipStream_tbEUljE_EEESV_SW_SX_S14_S18_S1A_T6_T7_T9_mT8_S1C_bDpT10_ENKUlT_T0_E_clISt17integral_constantIbLb1EES1O_IbLb0EEEEDaS1K_S1L_EUlS1K_E_NS1_11comp_targetILNS1_3genE8ELNS1_11target_archE1030ELNS1_3gpuE2ELNS1_3repE0EEENS1_30default_config_static_selectorELNS0_4arch9wavefront6targetE1EEEvSY_ ; -- Begin function _ZN7rocprim17ROCPRIM_400000_NS6detail17trampoline_kernelINS0_13select_configILj256ELj13ELNS0_17block_load_methodE3ELS4_3ELS4_3ELNS0_20block_scan_algorithmE0ELj4294967295EEENS1_25partition_config_selectorILNS1_17partition_subalgoE3EjNS0_10empty_typeEbEEZZNS1_14partition_implILS8_3ELb0ES6_jNS0_17counting_iteratorIjlEEPS9_SE_NS0_5tupleIJPjSE_EEENSF_IJSE_SE_EEES9_SG_JZNS1_25segmented_radix_sort_implINS0_14default_configELb1EPKhPhPKlPlN2at6native12_GLOBAL__N_18offset_tEEE10hipError_tPvRmT1_PNSt15iterator_traitsISY_E10value_typeET2_T3_PNSZ_IS14_E10value_typeET4_jRbjT5_S1A_jjP12ihipStream_tbEUljE_EEESV_SW_SX_S14_S18_S1A_T6_T7_T9_mT8_S1C_bDpT10_ENKUlT_T0_E_clISt17integral_constantIbLb1EES1O_IbLb0EEEEDaS1K_S1L_EUlS1K_E_NS1_11comp_targetILNS1_3genE8ELNS1_11target_archE1030ELNS1_3gpuE2ELNS1_3repE0EEENS1_30default_config_static_selectorELNS0_4arch9wavefront6targetE1EEEvSY_
	.p2align	8
	.type	_ZN7rocprim17ROCPRIM_400000_NS6detail17trampoline_kernelINS0_13select_configILj256ELj13ELNS0_17block_load_methodE3ELS4_3ELS4_3ELNS0_20block_scan_algorithmE0ELj4294967295EEENS1_25partition_config_selectorILNS1_17partition_subalgoE3EjNS0_10empty_typeEbEEZZNS1_14partition_implILS8_3ELb0ES6_jNS0_17counting_iteratorIjlEEPS9_SE_NS0_5tupleIJPjSE_EEENSF_IJSE_SE_EEES9_SG_JZNS1_25segmented_radix_sort_implINS0_14default_configELb1EPKhPhPKlPlN2at6native12_GLOBAL__N_18offset_tEEE10hipError_tPvRmT1_PNSt15iterator_traitsISY_E10value_typeET2_T3_PNSZ_IS14_E10value_typeET4_jRbjT5_S1A_jjP12ihipStream_tbEUljE_EEESV_SW_SX_S14_S18_S1A_T6_T7_T9_mT8_S1C_bDpT10_ENKUlT_T0_E_clISt17integral_constantIbLb1EES1O_IbLb0EEEEDaS1K_S1L_EUlS1K_E_NS1_11comp_targetILNS1_3genE8ELNS1_11target_archE1030ELNS1_3gpuE2ELNS1_3repE0EEENS1_30default_config_static_selectorELNS0_4arch9wavefront6targetE1EEEvSY_,@function
_ZN7rocprim17ROCPRIM_400000_NS6detail17trampoline_kernelINS0_13select_configILj256ELj13ELNS0_17block_load_methodE3ELS4_3ELS4_3ELNS0_20block_scan_algorithmE0ELj4294967295EEENS1_25partition_config_selectorILNS1_17partition_subalgoE3EjNS0_10empty_typeEbEEZZNS1_14partition_implILS8_3ELb0ES6_jNS0_17counting_iteratorIjlEEPS9_SE_NS0_5tupleIJPjSE_EEENSF_IJSE_SE_EEES9_SG_JZNS1_25segmented_radix_sort_implINS0_14default_configELb1EPKhPhPKlPlN2at6native12_GLOBAL__N_18offset_tEEE10hipError_tPvRmT1_PNSt15iterator_traitsISY_E10value_typeET2_T3_PNSZ_IS14_E10value_typeET4_jRbjT5_S1A_jjP12ihipStream_tbEUljE_EEESV_SW_SX_S14_S18_S1A_T6_T7_T9_mT8_S1C_bDpT10_ENKUlT_T0_E_clISt17integral_constantIbLb1EES1O_IbLb0EEEEDaS1K_S1L_EUlS1K_E_NS1_11comp_targetILNS1_3genE8ELNS1_11target_archE1030ELNS1_3gpuE2ELNS1_3repE0EEENS1_30default_config_static_selectorELNS0_4arch9wavefront6targetE1EEEvSY_: ; @_ZN7rocprim17ROCPRIM_400000_NS6detail17trampoline_kernelINS0_13select_configILj256ELj13ELNS0_17block_load_methodE3ELS4_3ELS4_3ELNS0_20block_scan_algorithmE0ELj4294967295EEENS1_25partition_config_selectorILNS1_17partition_subalgoE3EjNS0_10empty_typeEbEEZZNS1_14partition_implILS8_3ELb0ES6_jNS0_17counting_iteratorIjlEEPS9_SE_NS0_5tupleIJPjSE_EEENSF_IJSE_SE_EEES9_SG_JZNS1_25segmented_radix_sort_implINS0_14default_configELb1EPKhPhPKlPlN2at6native12_GLOBAL__N_18offset_tEEE10hipError_tPvRmT1_PNSt15iterator_traitsISY_E10value_typeET2_T3_PNSZ_IS14_E10value_typeET4_jRbjT5_S1A_jjP12ihipStream_tbEUljE_EEESV_SW_SX_S14_S18_S1A_T6_T7_T9_mT8_S1C_bDpT10_ENKUlT_T0_E_clISt17integral_constantIbLb1EES1O_IbLb0EEEEDaS1K_S1L_EUlS1K_E_NS1_11comp_targetILNS1_3genE8ELNS1_11target_archE1030ELNS1_3gpuE2ELNS1_3repE0EEENS1_30default_config_static_selectorELNS0_4arch9wavefront6targetE1EEEvSY_
; %bb.0:
	.section	.rodata,"a",@progbits
	.p2align	6, 0x0
	.amdhsa_kernel _ZN7rocprim17ROCPRIM_400000_NS6detail17trampoline_kernelINS0_13select_configILj256ELj13ELNS0_17block_load_methodE3ELS4_3ELS4_3ELNS0_20block_scan_algorithmE0ELj4294967295EEENS1_25partition_config_selectorILNS1_17partition_subalgoE3EjNS0_10empty_typeEbEEZZNS1_14partition_implILS8_3ELb0ES6_jNS0_17counting_iteratorIjlEEPS9_SE_NS0_5tupleIJPjSE_EEENSF_IJSE_SE_EEES9_SG_JZNS1_25segmented_radix_sort_implINS0_14default_configELb1EPKhPhPKlPlN2at6native12_GLOBAL__N_18offset_tEEE10hipError_tPvRmT1_PNSt15iterator_traitsISY_E10value_typeET2_T3_PNSZ_IS14_E10value_typeET4_jRbjT5_S1A_jjP12ihipStream_tbEUljE_EEESV_SW_SX_S14_S18_S1A_T6_T7_T9_mT8_S1C_bDpT10_ENKUlT_T0_E_clISt17integral_constantIbLb1EES1O_IbLb0EEEEDaS1K_S1L_EUlS1K_E_NS1_11comp_targetILNS1_3genE8ELNS1_11target_archE1030ELNS1_3gpuE2ELNS1_3repE0EEENS1_30default_config_static_selectorELNS0_4arch9wavefront6targetE1EEEvSY_
		.amdhsa_group_segment_fixed_size 0
		.amdhsa_private_segment_fixed_size 0
		.amdhsa_kernarg_size 144
		.amdhsa_user_sgpr_count 6
		.amdhsa_user_sgpr_private_segment_buffer 1
		.amdhsa_user_sgpr_dispatch_ptr 0
		.amdhsa_user_sgpr_queue_ptr 0
		.amdhsa_user_sgpr_kernarg_segment_ptr 1
		.amdhsa_user_sgpr_dispatch_id 0
		.amdhsa_user_sgpr_flat_scratch_init 0
		.amdhsa_user_sgpr_kernarg_preload_length 0
		.amdhsa_user_sgpr_kernarg_preload_offset 0
		.amdhsa_user_sgpr_private_segment_size 0
		.amdhsa_uses_dynamic_stack 0
		.amdhsa_system_sgpr_private_segment_wavefront_offset 0
		.amdhsa_system_sgpr_workgroup_id_x 1
		.amdhsa_system_sgpr_workgroup_id_y 0
		.amdhsa_system_sgpr_workgroup_id_z 0
		.amdhsa_system_sgpr_workgroup_info 0
		.amdhsa_system_vgpr_workitem_id 0
		.amdhsa_next_free_vgpr 1
		.amdhsa_next_free_sgpr 0
		.amdhsa_accum_offset 4
		.amdhsa_reserve_vcc 0
		.amdhsa_reserve_flat_scratch 0
		.amdhsa_float_round_mode_32 0
		.amdhsa_float_round_mode_16_64 0
		.amdhsa_float_denorm_mode_32 3
		.amdhsa_float_denorm_mode_16_64 3
		.amdhsa_dx10_clamp 1
		.amdhsa_ieee_mode 1
		.amdhsa_fp16_overflow 0
		.amdhsa_tg_split 0
		.amdhsa_exception_fp_ieee_invalid_op 0
		.amdhsa_exception_fp_denorm_src 0
		.amdhsa_exception_fp_ieee_div_zero 0
		.amdhsa_exception_fp_ieee_overflow 0
		.amdhsa_exception_fp_ieee_underflow 0
		.amdhsa_exception_fp_ieee_inexact 0
		.amdhsa_exception_int_div_zero 0
	.end_amdhsa_kernel
	.section	.text._ZN7rocprim17ROCPRIM_400000_NS6detail17trampoline_kernelINS0_13select_configILj256ELj13ELNS0_17block_load_methodE3ELS4_3ELS4_3ELNS0_20block_scan_algorithmE0ELj4294967295EEENS1_25partition_config_selectorILNS1_17partition_subalgoE3EjNS0_10empty_typeEbEEZZNS1_14partition_implILS8_3ELb0ES6_jNS0_17counting_iteratorIjlEEPS9_SE_NS0_5tupleIJPjSE_EEENSF_IJSE_SE_EEES9_SG_JZNS1_25segmented_radix_sort_implINS0_14default_configELb1EPKhPhPKlPlN2at6native12_GLOBAL__N_18offset_tEEE10hipError_tPvRmT1_PNSt15iterator_traitsISY_E10value_typeET2_T3_PNSZ_IS14_E10value_typeET4_jRbjT5_S1A_jjP12ihipStream_tbEUljE_EEESV_SW_SX_S14_S18_S1A_T6_T7_T9_mT8_S1C_bDpT10_ENKUlT_T0_E_clISt17integral_constantIbLb1EES1O_IbLb0EEEEDaS1K_S1L_EUlS1K_E_NS1_11comp_targetILNS1_3genE8ELNS1_11target_archE1030ELNS1_3gpuE2ELNS1_3repE0EEENS1_30default_config_static_selectorELNS0_4arch9wavefront6targetE1EEEvSY_,"axG",@progbits,_ZN7rocprim17ROCPRIM_400000_NS6detail17trampoline_kernelINS0_13select_configILj256ELj13ELNS0_17block_load_methodE3ELS4_3ELS4_3ELNS0_20block_scan_algorithmE0ELj4294967295EEENS1_25partition_config_selectorILNS1_17partition_subalgoE3EjNS0_10empty_typeEbEEZZNS1_14partition_implILS8_3ELb0ES6_jNS0_17counting_iteratorIjlEEPS9_SE_NS0_5tupleIJPjSE_EEENSF_IJSE_SE_EEES9_SG_JZNS1_25segmented_radix_sort_implINS0_14default_configELb1EPKhPhPKlPlN2at6native12_GLOBAL__N_18offset_tEEE10hipError_tPvRmT1_PNSt15iterator_traitsISY_E10value_typeET2_T3_PNSZ_IS14_E10value_typeET4_jRbjT5_S1A_jjP12ihipStream_tbEUljE_EEESV_SW_SX_S14_S18_S1A_T6_T7_T9_mT8_S1C_bDpT10_ENKUlT_T0_E_clISt17integral_constantIbLb1EES1O_IbLb0EEEEDaS1K_S1L_EUlS1K_E_NS1_11comp_targetILNS1_3genE8ELNS1_11target_archE1030ELNS1_3gpuE2ELNS1_3repE0EEENS1_30default_config_static_selectorELNS0_4arch9wavefront6targetE1EEEvSY_,comdat
.Lfunc_end73:
	.size	_ZN7rocprim17ROCPRIM_400000_NS6detail17trampoline_kernelINS0_13select_configILj256ELj13ELNS0_17block_load_methodE3ELS4_3ELS4_3ELNS0_20block_scan_algorithmE0ELj4294967295EEENS1_25partition_config_selectorILNS1_17partition_subalgoE3EjNS0_10empty_typeEbEEZZNS1_14partition_implILS8_3ELb0ES6_jNS0_17counting_iteratorIjlEEPS9_SE_NS0_5tupleIJPjSE_EEENSF_IJSE_SE_EEES9_SG_JZNS1_25segmented_radix_sort_implINS0_14default_configELb1EPKhPhPKlPlN2at6native12_GLOBAL__N_18offset_tEEE10hipError_tPvRmT1_PNSt15iterator_traitsISY_E10value_typeET2_T3_PNSZ_IS14_E10value_typeET4_jRbjT5_S1A_jjP12ihipStream_tbEUljE_EEESV_SW_SX_S14_S18_S1A_T6_T7_T9_mT8_S1C_bDpT10_ENKUlT_T0_E_clISt17integral_constantIbLb1EES1O_IbLb0EEEEDaS1K_S1L_EUlS1K_E_NS1_11comp_targetILNS1_3genE8ELNS1_11target_archE1030ELNS1_3gpuE2ELNS1_3repE0EEENS1_30default_config_static_selectorELNS0_4arch9wavefront6targetE1EEEvSY_, .Lfunc_end73-_ZN7rocprim17ROCPRIM_400000_NS6detail17trampoline_kernelINS0_13select_configILj256ELj13ELNS0_17block_load_methodE3ELS4_3ELS4_3ELNS0_20block_scan_algorithmE0ELj4294967295EEENS1_25partition_config_selectorILNS1_17partition_subalgoE3EjNS0_10empty_typeEbEEZZNS1_14partition_implILS8_3ELb0ES6_jNS0_17counting_iteratorIjlEEPS9_SE_NS0_5tupleIJPjSE_EEENSF_IJSE_SE_EEES9_SG_JZNS1_25segmented_radix_sort_implINS0_14default_configELb1EPKhPhPKlPlN2at6native12_GLOBAL__N_18offset_tEEE10hipError_tPvRmT1_PNSt15iterator_traitsISY_E10value_typeET2_T3_PNSZ_IS14_E10value_typeET4_jRbjT5_S1A_jjP12ihipStream_tbEUljE_EEESV_SW_SX_S14_S18_S1A_T6_T7_T9_mT8_S1C_bDpT10_ENKUlT_T0_E_clISt17integral_constantIbLb1EES1O_IbLb0EEEEDaS1K_S1L_EUlS1K_E_NS1_11comp_targetILNS1_3genE8ELNS1_11target_archE1030ELNS1_3gpuE2ELNS1_3repE0EEENS1_30default_config_static_selectorELNS0_4arch9wavefront6targetE1EEEvSY_
                                        ; -- End function
	.section	.AMDGPU.csdata,"",@progbits
; Kernel info:
; codeLenInByte = 0
; NumSgprs: 4
; NumVgprs: 0
; NumAgprs: 0
; TotalNumVgprs: 0
; ScratchSize: 0
; MemoryBound: 0
; FloatMode: 240
; IeeeMode: 1
; LDSByteSize: 0 bytes/workgroup (compile time only)
; SGPRBlocks: 0
; VGPRBlocks: 0
; NumSGPRsForWavesPerEU: 4
; NumVGPRsForWavesPerEU: 1
; AccumOffset: 4
; Occupancy: 8
; WaveLimiterHint : 0
; COMPUTE_PGM_RSRC2:SCRATCH_EN: 0
; COMPUTE_PGM_RSRC2:USER_SGPR: 6
; COMPUTE_PGM_RSRC2:TRAP_HANDLER: 0
; COMPUTE_PGM_RSRC2:TGID_X_EN: 1
; COMPUTE_PGM_RSRC2:TGID_Y_EN: 0
; COMPUTE_PGM_RSRC2:TGID_Z_EN: 0
; COMPUTE_PGM_RSRC2:TIDIG_COMP_CNT: 0
; COMPUTE_PGM_RSRC3_GFX90A:ACCUM_OFFSET: 0
; COMPUTE_PGM_RSRC3_GFX90A:TG_SPLIT: 0
	.section	.text._ZN7rocprim17ROCPRIM_400000_NS6detail31init_lookback_scan_state_kernelINS1_19lookback_scan_stateIjLb0ELb1EEENS1_16block_id_wrapperIjLb1EEEEEvT_jT0_jPNS7_10value_typeE,"axG",@progbits,_ZN7rocprim17ROCPRIM_400000_NS6detail31init_lookback_scan_state_kernelINS1_19lookback_scan_stateIjLb0ELb1EEENS1_16block_id_wrapperIjLb1EEEEEvT_jT0_jPNS7_10value_typeE,comdat
	.protected	_ZN7rocprim17ROCPRIM_400000_NS6detail31init_lookback_scan_state_kernelINS1_19lookback_scan_stateIjLb0ELb1EEENS1_16block_id_wrapperIjLb1EEEEEvT_jT0_jPNS7_10value_typeE ; -- Begin function _ZN7rocprim17ROCPRIM_400000_NS6detail31init_lookback_scan_state_kernelINS1_19lookback_scan_stateIjLb0ELb1EEENS1_16block_id_wrapperIjLb1EEEEEvT_jT0_jPNS7_10value_typeE
	.globl	_ZN7rocprim17ROCPRIM_400000_NS6detail31init_lookback_scan_state_kernelINS1_19lookback_scan_stateIjLb0ELb1EEENS1_16block_id_wrapperIjLb1EEEEEvT_jT0_jPNS7_10value_typeE
	.p2align	8
	.type	_ZN7rocprim17ROCPRIM_400000_NS6detail31init_lookback_scan_state_kernelINS1_19lookback_scan_stateIjLb0ELb1EEENS1_16block_id_wrapperIjLb1EEEEEvT_jT0_jPNS7_10value_typeE,@function
_ZN7rocprim17ROCPRIM_400000_NS6detail31init_lookback_scan_state_kernelINS1_19lookback_scan_stateIjLb0ELb1EEENS1_16block_id_wrapperIjLb1EEEEEvT_jT0_jPNS7_10value_typeE: ; @_ZN7rocprim17ROCPRIM_400000_NS6detail31init_lookback_scan_state_kernelINS1_19lookback_scan_stateIjLb0ELb1EEENS1_16block_id_wrapperIjLb1EEEEEvT_jT0_jPNS7_10value_typeE
; %bb.0:
	s_load_dword s7, s[4:5], 0x34
	s_load_dwordx2 s[2:3], s[4:5], 0x20
	s_load_dwordx2 s[0:1], s[4:5], 0x0
	s_load_dword s10, s[4:5], 0x8
	s_waitcnt lgkmcnt(0)
	s_and_b32 s7, s7, 0xffff
	s_mul_i32 s6, s6, s7
	s_cmp_eq_u64 s[2:3], 0
	v_add_u32_e32 v0, s6, v0
	s_cbranch_scc1 .LBB74_6
; %bb.1:
	s_load_dword s8, s[4:5], 0x18
	s_mov_b32 s9, 0
	s_waitcnt lgkmcnt(0)
	s_cmp_lt_u32 s8, s10
	s_cselect_b32 s6, s8, 0
	v_cmp_eq_u32_e32 vcc, s6, v0
	s_and_saveexec_b64 s[6:7], vcc
	s_cbranch_execz .LBB74_5
; %bb.2:
	s_add_i32 s8, s8, 64
	s_lshl_b64 s[8:9], s[8:9], 3
	s_add_u32 s8, s0, s8
	s_addc_u32 s9, s1, s9
	v_mov_b32_e32 v4, 0
	global_load_dwordx2 v[2:3], v4, s[8:9] glc
	s_waitcnt vmcnt(0)
	v_and_b32_e32 v5, 0xff, v3
	v_cmp_ne_u64_e32 vcc, 0, v[4:5]
	s_cbranch_vccnz .LBB74_4
.LBB74_3:                               ; =>This Inner Loop Header: Depth=1
	global_load_dwordx2 v[2:3], v4, s[8:9] glc
	s_waitcnt vmcnt(0)
	v_and_b32_e32 v5, 0xff, v3
	v_cmp_eq_u64_e32 vcc, 0, v[4:5]
	s_cbranch_vccnz .LBB74_3
.LBB74_4:
	v_mov_b32_e32 v1, 0
	global_store_dword v1, v2, s[2:3]
.LBB74_5:
	s_or_b64 exec, exec, s[6:7]
.LBB74_6:
	v_cmp_eq_u32_e32 vcc, 0, v0
	s_and_saveexec_b64 s[2:3], vcc
	s_cbranch_execnz .LBB74_10
; %bb.7:
	s_or_b64 exec, exec, s[2:3]
	v_cmp_gt_u32_e32 vcc, s10, v0
	s_and_saveexec_b64 s[2:3], vcc
	s_cbranch_execnz .LBB74_11
.LBB74_8:
	s_or_b64 exec, exec, s[2:3]
	v_cmp_gt_u32_e32 vcc, 64, v0
	s_and_saveexec_b64 s[2:3], vcc
	s_cbranch_execnz .LBB74_12
.LBB74_9:
	s_endpgm
.LBB74_10:
	s_load_dwordx2 s[4:5], s[4:5], 0x10
	v_mov_b32_e32 v1, 0
	s_waitcnt lgkmcnt(0)
	global_store_dword v1, v1, s[4:5]
	s_or_b64 exec, exec, s[2:3]
	v_cmp_gt_u32_e32 vcc, s10, v0
	s_and_saveexec_b64 s[2:3], vcc
	s_cbranch_execz .LBB74_8
.LBB74_11:
	v_add_u32_e32 v2, 64, v0
	v_mov_b32_e32 v3, 0
	v_lshlrev_b64 v[4:5], 3, v[2:3]
	v_mov_b32_e32 v1, s1
	v_add_co_u32_e32 v4, vcc, s0, v4
	v_addc_co_u32_e32 v5, vcc, v1, v5, vcc
	v_mov_b32_e32 v2, v3
	global_store_dwordx2 v[4:5], v[2:3], off
	s_or_b64 exec, exec, s[2:3]
	v_cmp_gt_u32_e32 vcc, 64, v0
	s_and_saveexec_b64 s[2:3], vcc
	s_cbranch_execz .LBB74_9
.LBB74_12:
	v_mov_b32_e32 v1, 0
	v_lshlrev_b64 v[2:3], 3, v[0:1]
	v_mov_b32_e32 v0, s1
	v_add_co_u32_e32 v2, vcc, s0, v2
	v_addc_co_u32_e32 v3, vcc, v0, v3, vcc
	v_mov_b32_e32 v5, 0xff
	v_mov_b32_e32 v4, v1
	global_store_dwordx2 v[2:3], v[4:5], off
	s_endpgm
	.section	.rodata,"a",@progbits
	.p2align	6, 0x0
	.amdhsa_kernel _ZN7rocprim17ROCPRIM_400000_NS6detail31init_lookback_scan_state_kernelINS1_19lookback_scan_stateIjLb0ELb1EEENS1_16block_id_wrapperIjLb1EEEEEvT_jT0_jPNS7_10value_typeE
		.amdhsa_group_segment_fixed_size 0
		.amdhsa_private_segment_fixed_size 0
		.amdhsa_kernarg_size 296
		.amdhsa_user_sgpr_count 6
		.amdhsa_user_sgpr_private_segment_buffer 1
		.amdhsa_user_sgpr_dispatch_ptr 0
		.amdhsa_user_sgpr_queue_ptr 0
		.amdhsa_user_sgpr_kernarg_segment_ptr 1
		.amdhsa_user_sgpr_dispatch_id 0
		.amdhsa_user_sgpr_flat_scratch_init 0
		.amdhsa_user_sgpr_kernarg_preload_length 0
		.amdhsa_user_sgpr_kernarg_preload_offset 0
		.amdhsa_user_sgpr_private_segment_size 0
		.amdhsa_uses_dynamic_stack 0
		.amdhsa_system_sgpr_private_segment_wavefront_offset 0
		.amdhsa_system_sgpr_workgroup_id_x 1
		.amdhsa_system_sgpr_workgroup_id_y 0
		.amdhsa_system_sgpr_workgroup_id_z 0
		.amdhsa_system_sgpr_workgroup_info 0
		.amdhsa_system_vgpr_workitem_id 0
		.amdhsa_next_free_vgpr 6
		.amdhsa_next_free_sgpr 11
		.amdhsa_accum_offset 8
		.amdhsa_reserve_vcc 1
		.amdhsa_reserve_flat_scratch 0
		.amdhsa_float_round_mode_32 0
		.amdhsa_float_round_mode_16_64 0
		.amdhsa_float_denorm_mode_32 3
		.amdhsa_float_denorm_mode_16_64 3
		.amdhsa_dx10_clamp 1
		.amdhsa_ieee_mode 1
		.amdhsa_fp16_overflow 0
		.amdhsa_tg_split 0
		.amdhsa_exception_fp_ieee_invalid_op 0
		.amdhsa_exception_fp_denorm_src 0
		.amdhsa_exception_fp_ieee_div_zero 0
		.amdhsa_exception_fp_ieee_overflow 0
		.amdhsa_exception_fp_ieee_underflow 0
		.amdhsa_exception_fp_ieee_inexact 0
		.amdhsa_exception_int_div_zero 0
	.end_amdhsa_kernel
	.section	.text._ZN7rocprim17ROCPRIM_400000_NS6detail31init_lookback_scan_state_kernelINS1_19lookback_scan_stateIjLb0ELb1EEENS1_16block_id_wrapperIjLb1EEEEEvT_jT0_jPNS7_10value_typeE,"axG",@progbits,_ZN7rocprim17ROCPRIM_400000_NS6detail31init_lookback_scan_state_kernelINS1_19lookback_scan_stateIjLb0ELb1EEENS1_16block_id_wrapperIjLb1EEEEEvT_jT0_jPNS7_10value_typeE,comdat
.Lfunc_end74:
	.size	_ZN7rocprim17ROCPRIM_400000_NS6detail31init_lookback_scan_state_kernelINS1_19lookback_scan_stateIjLb0ELb1EEENS1_16block_id_wrapperIjLb1EEEEEvT_jT0_jPNS7_10value_typeE, .Lfunc_end74-_ZN7rocprim17ROCPRIM_400000_NS6detail31init_lookback_scan_state_kernelINS1_19lookback_scan_stateIjLb0ELb1EEENS1_16block_id_wrapperIjLb1EEEEEvT_jT0_jPNS7_10value_typeE
                                        ; -- End function
	.section	.AMDGPU.csdata,"",@progbits
; Kernel info:
; codeLenInByte = 380
; NumSgprs: 15
; NumVgprs: 6
; NumAgprs: 0
; TotalNumVgprs: 6
; ScratchSize: 0
; MemoryBound: 0
; FloatMode: 240
; IeeeMode: 1
; LDSByteSize: 0 bytes/workgroup (compile time only)
; SGPRBlocks: 1
; VGPRBlocks: 0
; NumSGPRsForWavesPerEU: 15
; NumVGPRsForWavesPerEU: 6
; AccumOffset: 8
; Occupancy: 8
; WaveLimiterHint : 0
; COMPUTE_PGM_RSRC2:SCRATCH_EN: 0
; COMPUTE_PGM_RSRC2:USER_SGPR: 6
; COMPUTE_PGM_RSRC2:TRAP_HANDLER: 0
; COMPUTE_PGM_RSRC2:TGID_X_EN: 1
; COMPUTE_PGM_RSRC2:TGID_Y_EN: 0
; COMPUTE_PGM_RSRC2:TGID_Z_EN: 0
; COMPUTE_PGM_RSRC2:TIDIG_COMP_CNT: 0
; COMPUTE_PGM_RSRC3_GFX90A:ACCUM_OFFSET: 1
; COMPUTE_PGM_RSRC3_GFX90A:TG_SPLIT: 0
	.section	.text._ZN7rocprim17ROCPRIM_400000_NS6detail17trampoline_kernelINS0_13select_configILj256ELj13ELNS0_17block_load_methodE3ELS4_3ELS4_3ELNS0_20block_scan_algorithmE0ELj4294967295EEENS1_25partition_config_selectorILNS1_17partition_subalgoE3EjNS0_10empty_typeEbEEZZNS1_14partition_implILS8_3ELb0ES6_jNS0_17counting_iteratorIjlEEPS9_SE_NS0_5tupleIJPjSE_EEENSF_IJSE_SE_EEES9_SG_JZNS1_25segmented_radix_sort_implINS0_14default_configELb1EPKhPhPKlPlN2at6native12_GLOBAL__N_18offset_tEEE10hipError_tPvRmT1_PNSt15iterator_traitsISY_E10value_typeET2_T3_PNSZ_IS14_E10value_typeET4_jRbjT5_S1A_jjP12ihipStream_tbEUljE_EEESV_SW_SX_S14_S18_S1A_T6_T7_T9_mT8_S1C_bDpT10_ENKUlT_T0_E_clISt17integral_constantIbLb0EES1O_IbLb1EEEEDaS1K_S1L_EUlS1K_E_NS1_11comp_targetILNS1_3genE0ELNS1_11target_archE4294967295ELNS1_3gpuE0ELNS1_3repE0EEENS1_30default_config_static_selectorELNS0_4arch9wavefront6targetE1EEEvSY_,"axG",@progbits,_ZN7rocprim17ROCPRIM_400000_NS6detail17trampoline_kernelINS0_13select_configILj256ELj13ELNS0_17block_load_methodE3ELS4_3ELS4_3ELNS0_20block_scan_algorithmE0ELj4294967295EEENS1_25partition_config_selectorILNS1_17partition_subalgoE3EjNS0_10empty_typeEbEEZZNS1_14partition_implILS8_3ELb0ES6_jNS0_17counting_iteratorIjlEEPS9_SE_NS0_5tupleIJPjSE_EEENSF_IJSE_SE_EEES9_SG_JZNS1_25segmented_radix_sort_implINS0_14default_configELb1EPKhPhPKlPlN2at6native12_GLOBAL__N_18offset_tEEE10hipError_tPvRmT1_PNSt15iterator_traitsISY_E10value_typeET2_T3_PNSZ_IS14_E10value_typeET4_jRbjT5_S1A_jjP12ihipStream_tbEUljE_EEESV_SW_SX_S14_S18_S1A_T6_T7_T9_mT8_S1C_bDpT10_ENKUlT_T0_E_clISt17integral_constantIbLb0EES1O_IbLb1EEEEDaS1K_S1L_EUlS1K_E_NS1_11comp_targetILNS1_3genE0ELNS1_11target_archE4294967295ELNS1_3gpuE0ELNS1_3repE0EEENS1_30default_config_static_selectorELNS0_4arch9wavefront6targetE1EEEvSY_,comdat
	.globl	_ZN7rocprim17ROCPRIM_400000_NS6detail17trampoline_kernelINS0_13select_configILj256ELj13ELNS0_17block_load_methodE3ELS4_3ELS4_3ELNS0_20block_scan_algorithmE0ELj4294967295EEENS1_25partition_config_selectorILNS1_17partition_subalgoE3EjNS0_10empty_typeEbEEZZNS1_14partition_implILS8_3ELb0ES6_jNS0_17counting_iteratorIjlEEPS9_SE_NS0_5tupleIJPjSE_EEENSF_IJSE_SE_EEES9_SG_JZNS1_25segmented_radix_sort_implINS0_14default_configELb1EPKhPhPKlPlN2at6native12_GLOBAL__N_18offset_tEEE10hipError_tPvRmT1_PNSt15iterator_traitsISY_E10value_typeET2_T3_PNSZ_IS14_E10value_typeET4_jRbjT5_S1A_jjP12ihipStream_tbEUljE_EEESV_SW_SX_S14_S18_S1A_T6_T7_T9_mT8_S1C_bDpT10_ENKUlT_T0_E_clISt17integral_constantIbLb0EES1O_IbLb1EEEEDaS1K_S1L_EUlS1K_E_NS1_11comp_targetILNS1_3genE0ELNS1_11target_archE4294967295ELNS1_3gpuE0ELNS1_3repE0EEENS1_30default_config_static_selectorELNS0_4arch9wavefront6targetE1EEEvSY_ ; -- Begin function _ZN7rocprim17ROCPRIM_400000_NS6detail17trampoline_kernelINS0_13select_configILj256ELj13ELNS0_17block_load_methodE3ELS4_3ELS4_3ELNS0_20block_scan_algorithmE0ELj4294967295EEENS1_25partition_config_selectorILNS1_17partition_subalgoE3EjNS0_10empty_typeEbEEZZNS1_14partition_implILS8_3ELb0ES6_jNS0_17counting_iteratorIjlEEPS9_SE_NS0_5tupleIJPjSE_EEENSF_IJSE_SE_EEES9_SG_JZNS1_25segmented_radix_sort_implINS0_14default_configELb1EPKhPhPKlPlN2at6native12_GLOBAL__N_18offset_tEEE10hipError_tPvRmT1_PNSt15iterator_traitsISY_E10value_typeET2_T3_PNSZ_IS14_E10value_typeET4_jRbjT5_S1A_jjP12ihipStream_tbEUljE_EEESV_SW_SX_S14_S18_S1A_T6_T7_T9_mT8_S1C_bDpT10_ENKUlT_T0_E_clISt17integral_constantIbLb0EES1O_IbLb1EEEEDaS1K_S1L_EUlS1K_E_NS1_11comp_targetILNS1_3genE0ELNS1_11target_archE4294967295ELNS1_3gpuE0ELNS1_3repE0EEENS1_30default_config_static_selectorELNS0_4arch9wavefront6targetE1EEEvSY_
	.p2align	8
	.type	_ZN7rocprim17ROCPRIM_400000_NS6detail17trampoline_kernelINS0_13select_configILj256ELj13ELNS0_17block_load_methodE3ELS4_3ELS4_3ELNS0_20block_scan_algorithmE0ELj4294967295EEENS1_25partition_config_selectorILNS1_17partition_subalgoE3EjNS0_10empty_typeEbEEZZNS1_14partition_implILS8_3ELb0ES6_jNS0_17counting_iteratorIjlEEPS9_SE_NS0_5tupleIJPjSE_EEENSF_IJSE_SE_EEES9_SG_JZNS1_25segmented_radix_sort_implINS0_14default_configELb1EPKhPhPKlPlN2at6native12_GLOBAL__N_18offset_tEEE10hipError_tPvRmT1_PNSt15iterator_traitsISY_E10value_typeET2_T3_PNSZ_IS14_E10value_typeET4_jRbjT5_S1A_jjP12ihipStream_tbEUljE_EEESV_SW_SX_S14_S18_S1A_T6_T7_T9_mT8_S1C_bDpT10_ENKUlT_T0_E_clISt17integral_constantIbLb0EES1O_IbLb1EEEEDaS1K_S1L_EUlS1K_E_NS1_11comp_targetILNS1_3genE0ELNS1_11target_archE4294967295ELNS1_3gpuE0ELNS1_3repE0EEENS1_30default_config_static_selectorELNS0_4arch9wavefront6targetE1EEEvSY_,@function
_ZN7rocprim17ROCPRIM_400000_NS6detail17trampoline_kernelINS0_13select_configILj256ELj13ELNS0_17block_load_methodE3ELS4_3ELS4_3ELNS0_20block_scan_algorithmE0ELj4294967295EEENS1_25partition_config_selectorILNS1_17partition_subalgoE3EjNS0_10empty_typeEbEEZZNS1_14partition_implILS8_3ELb0ES6_jNS0_17counting_iteratorIjlEEPS9_SE_NS0_5tupleIJPjSE_EEENSF_IJSE_SE_EEES9_SG_JZNS1_25segmented_radix_sort_implINS0_14default_configELb1EPKhPhPKlPlN2at6native12_GLOBAL__N_18offset_tEEE10hipError_tPvRmT1_PNSt15iterator_traitsISY_E10value_typeET2_T3_PNSZ_IS14_E10value_typeET4_jRbjT5_S1A_jjP12ihipStream_tbEUljE_EEESV_SW_SX_S14_S18_S1A_T6_T7_T9_mT8_S1C_bDpT10_ENKUlT_T0_E_clISt17integral_constantIbLb0EES1O_IbLb1EEEEDaS1K_S1L_EUlS1K_E_NS1_11comp_targetILNS1_3genE0ELNS1_11target_archE4294967295ELNS1_3gpuE0ELNS1_3repE0EEENS1_30default_config_static_selectorELNS0_4arch9wavefront6targetE1EEEvSY_: ; @_ZN7rocprim17ROCPRIM_400000_NS6detail17trampoline_kernelINS0_13select_configILj256ELj13ELNS0_17block_load_methodE3ELS4_3ELS4_3ELNS0_20block_scan_algorithmE0ELj4294967295EEENS1_25partition_config_selectorILNS1_17partition_subalgoE3EjNS0_10empty_typeEbEEZZNS1_14partition_implILS8_3ELb0ES6_jNS0_17counting_iteratorIjlEEPS9_SE_NS0_5tupleIJPjSE_EEENSF_IJSE_SE_EEES9_SG_JZNS1_25segmented_radix_sort_implINS0_14default_configELb1EPKhPhPKlPlN2at6native12_GLOBAL__N_18offset_tEEE10hipError_tPvRmT1_PNSt15iterator_traitsISY_E10value_typeET2_T3_PNSZ_IS14_E10value_typeET4_jRbjT5_S1A_jjP12ihipStream_tbEUljE_EEESV_SW_SX_S14_S18_S1A_T6_T7_T9_mT8_S1C_bDpT10_ENKUlT_T0_E_clISt17integral_constantIbLb0EES1O_IbLb1EEEEDaS1K_S1L_EUlS1K_E_NS1_11comp_targetILNS1_3genE0ELNS1_11target_archE4294967295ELNS1_3gpuE0ELNS1_3repE0EEENS1_30default_config_static_selectorELNS0_4arch9wavefront6targetE1EEEvSY_
; %bb.0:
	.section	.rodata,"a",@progbits
	.p2align	6, 0x0
	.amdhsa_kernel _ZN7rocprim17ROCPRIM_400000_NS6detail17trampoline_kernelINS0_13select_configILj256ELj13ELNS0_17block_load_methodE3ELS4_3ELS4_3ELNS0_20block_scan_algorithmE0ELj4294967295EEENS1_25partition_config_selectorILNS1_17partition_subalgoE3EjNS0_10empty_typeEbEEZZNS1_14partition_implILS8_3ELb0ES6_jNS0_17counting_iteratorIjlEEPS9_SE_NS0_5tupleIJPjSE_EEENSF_IJSE_SE_EEES9_SG_JZNS1_25segmented_radix_sort_implINS0_14default_configELb1EPKhPhPKlPlN2at6native12_GLOBAL__N_18offset_tEEE10hipError_tPvRmT1_PNSt15iterator_traitsISY_E10value_typeET2_T3_PNSZ_IS14_E10value_typeET4_jRbjT5_S1A_jjP12ihipStream_tbEUljE_EEESV_SW_SX_S14_S18_S1A_T6_T7_T9_mT8_S1C_bDpT10_ENKUlT_T0_E_clISt17integral_constantIbLb0EES1O_IbLb1EEEEDaS1K_S1L_EUlS1K_E_NS1_11comp_targetILNS1_3genE0ELNS1_11target_archE4294967295ELNS1_3gpuE0ELNS1_3repE0EEENS1_30default_config_static_selectorELNS0_4arch9wavefront6targetE1EEEvSY_
		.amdhsa_group_segment_fixed_size 0
		.amdhsa_private_segment_fixed_size 0
		.amdhsa_kernarg_size 152
		.amdhsa_user_sgpr_count 6
		.amdhsa_user_sgpr_private_segment_buffer 1
		.amdhsa_user_sgpr_dispatch_ptr 0
		.amdhsa_user_sgpr_queue_ptr 0
		.amdhsa_user_sgpr_kernarg_segment_ptr 1
		.amdhsa_user_sgpr_dispatch_id 0
		.amdhsa_user_sgpr_flat_scratch_init 0
		.amdhsa_user_sgpr_kernarg_preload_length 0
		.amdhsa_user_sgpr_kernarg_preload_offset 0
		.amdhsa_user_sgpr_private_segment_size 0
		.amdhsa_uses_dynamic_stack 0
		.amdhsa_system_sgpr_private_segment_wavefront_offset 0
		.amdhsa_system_sgpr_workgroup_id_x 1
		.amdhsa_system_sgpr_workgroup_id_y 0
		.amdhsa_system_sgpr_workgroup_id_z 0
		.amdhsa_system_sgpr_workgroup_info 0
		.amdhsa_system_vgpr_workitem_id 0
		.amdhsa_next_free_vgpr 1
		.amdhsa_next_free_sgpr 0
		.amdhsa_accum_offset 4
		.amdhsa_reserve_vcc 0
		.amdhsa_reserve_flat_scratch 0
		.amdhsa_float_round_mode_32 0
		.amdhsa_float_round_mode_16_64 0
		.amdhsa_float_denorm_mode_32 3
		.amdhsa_float_denorm_mode_16_64 3
		.amdhsa_dx10_clamp 1
		.amdhsa_ieee_mode 1
		.amdhsa_fp16_overflow 0
		.amdhsa_tg_split 0
		.amdhsa_exception_fp_ieee_invalid_op 0
		.amdhsa_exception_fp_denorm_src 0
		.amdhsa_exception_fp_ieee_div_zero 0
		.amdhsa_exception_fp_ieee_overflow 0
		.amdhsa_exception_fp_ieee_underflow 0
		.amdhsa_exception_fp_ieee_inexact 0
		.amdhsa_exception_int_div_zero 0
	.end_amdhsa_kernel
	.section	.text._ZN7rocprim17ROCPRIM_400000_NS6detail17trampoline_kernelINS0_13select_configILj256ELj13ELNS0_17block_load_methodE3ELS4_3ELS4_3ELNS0_20block_scan_algorithmE0ELj4294967295EEENS1_25partition_config_selectorILNS1_17partition_subalgoE3EjNS0_10empty_typeEbEEZZNS1_14partition_implILS8_3ELb0ES6_jNS0_17counting_iteratorIjlEEPS9_SE_NS0_5tupleIJPjSE_EEENSF_IJSE_SE_EEES9_SG_JZNS1_25segmented_radix_sort_implINS0_14default_configELb1EPKhPhPKlPlN2at6native12_GLOBAL__N_18offset_tEEE10hipError_tPvRmT1_PNSt15iterator_traitsISY_E10value_typeET2_T3_PNSZ_IS14_E10value_typeET4_jRbjT5_S1A_jjP12ihipStream_tbEUljE_EEESV_SW_SX_S14_S18_S1A_T6_T7_T9_mT8_S1C_bDpT10_ENKUlT_T0_E_clISt17integral_constantIbLb0EES1O_IbLb1EEEEDaS1K_S1L_EUlS1K_E_NS1_11comp_targetILNS1_3genE0ELNS1_11target_archE4294967295ELNS1_3gpuE0ELNS1_3repE0EEENS1_30default_config_static_selectorELNS0_4arch9wavefront6targetE1EEEvSY_,"axG",@progbits,_ZN7rocprim17ROCPRIM_400000_NS6detail17trampoline_kernelINS0_13select_configILj256ELj13ELNS0_17block_load_methodE3ELS4_3ELS4_3ELNS0_20block_scan_algorithmE0ELj4294967295EEENS1_25partition_config_selectorILNS1_17partition_subalgoE3EjNS0_10empty_typeEbEEZZNS1_14partition_implILS8_3ELb0ES6_jNS0_17counting_iteratorIjlEEPS9_SE_NS0_5tupleIJPjSE_EEENSF_IJSE_SE_EEES9_SG_JZNS1_25segmented_radix_sort_implINS0_14default_configELb1EPKhPhPKlPlN2at6native12_GLOBAL__N_18offset_tEEE10hipError_tPvRmT1_PNSt15iterator_traitsISY_E10value_typeET2_T3_PNSZ_IS14_E10value_typeET4_jRbjT5_S1A_jjP12ihipStream_tbEUljE_EEESV_SW_SX_S14_S18_S1A_T6_T7_T9_mT8_S1C_bDpT10_ENKUlT_T0_E_clISt17integral_constantIbLb0EES1O_IbLb1EEEEDaS1K_S1L_EUlS1K_E_NS1_11comp_targetILNS1_3genE0ELNS1_11target_archE4294967295ELNS1_3gpuE0ELNS1_3repE0EEENS1_30default_config_static_selectorELNS0_4arch9wavefront6targetE1EEEvSY_,comdat
.Lfunc_end75:
	.size	_ZN7rocprim17ROCPRIM_400000_NS6detail17trampoline_kernelINS0_13select_configILj256ELj13ELNS0_17block_load_methodE3ELS4_3ELS4_3ELNS0_20block_scan_algorithmE0ELj4294967295EEENS1_25partition_config_selectorILNS1_17partition_subalgoE3EjNS0_10empty_typeEbEEZZNS1_14partition_implILS8_3ELb0ES6_jNS0_17counting_iteratorIjlEEPS9_SE_NS0_5tupleIJPjSE_EEENSF_IJSE_SE_EEES9_SG_JZNS1_25segmented_radix_sort_implINS0_14default_configELb1EPKhPhPKlPlN2at6native12_GLOBAL__N_18offset_tEEE10hipError_tPvRmT1_PNSt15iterator_traitsISY_E10value_typeET2_T3_PNSZ_IS14_E10value_typeET4_jRbjT5_S1A_jjP12ihipStream_tbEUljE_EEESV_SW_SX_S14_S18_S1A_T6_T7_T9_mT8_S1C_bDpT10_ENKUlT_T0_E_clISt17integral_constantIbLb0EES1O_IbLb1EEEEDaS1K_S1L_EUlS1K_E_NS1_11comp_targetILNS1_3genE0ELNS1_11target_archE4294967295ELNS1_3gpuE0ELNS1_3repE0EEENS1_30default_config_static_selectorELNS0_4arch9wavefront6targetE1EEEvSY_, .Lfunc_end75-_ZN7rocprim17ROCPRIM_400000_NS6detail17trampoline_kernelINS0_13select_configILj256ELj13ELNS0_17block_load_methodE3ELS4_3ELS4_3ELNS0_20block_scan_algorithmE0ELj4294967295EEENS1_25partition_config_selectorILNS1_17partition_subalgoE3EjNS0_10empty_typeEbEEZZNS1_14partition_implILS8_3ELb0ES6_jNS0_17counting_iteratorIjlEEPS9_SE_NS0_5tupleIJPjSE_EEENSF_IJSE_SE_EEES9_SG_JZNS1_25segmented_radix_sort_implINS0_14default_configELb1EPKhPhPKlPlN2at6native12_GLOBAL__N_18offset_tEEE10hipError_tPvRmT1_PNSt15iterator_traitsISY_E10value_typeET2_T3_PNSZ_IS14_E10value_typeET4_jRbjT5_S1A_jjP12ihipStream_tbEUljE_EEESV_SW_SX_S14_S18_S1A_T6_T7_T9_mT8_S1C_bDpT10_ENKUlT_T0_E_clISt17integral_constantIbLb0EES1O_IbLb1EEEEDaS1K_S1L_EUlS1K_E_NS1_11comp_targetILNS1_3genE0ELNS1_11target_archE4294967295ELNS1_3gpuE0ELNS1_3repE0EEENS1_30default_config_static_selectorELNS0_4arch9wavefront6targetE1EEEvSY_
                                        ; -- End function
	.section	.AMDGPU.csdata,"",@progbits
; Kernel info:
; codeLenInByte = 0
; NumSgprs: 4
; NumVgprs: 0
; NumAgprs: 0
; TotalNumVgprs: 0
; ScratchSize: 0
; MemoryBound: 0
; FloatMode: 240
; IeeeMode: 1
; LDSByteSize: 0 bytes/workgroup (compile time only)
; SGPRBlocks: 0
; VGPRBlocks: 0
; NumSGPRsForWavesPerEU: 4
; NumVGPRsForWavesPerEU: 1
; AccumOffset: 4
; Occupancy: 8
; WaveLimiterHint : 0
; COMPUTE_PGM_RSRC2:SCRATCH_EN: 0
; COMPUTE_PGM_RSRC2:USER_SGPR: 6
; COMPUTE_PGM_RSRC2:TRAP_HANDLER: 0
; COMPUTE_PGM_RSRC2:TGID_X_EN: 1
; COMPUTE_PGM_RSRC2:TGID_Y_EN: 0
; COMPUTE_PGM_RSRC2:TGID_Z_EN: 0
; COMPUTE_PGM_RSRC2:TIDIG_COMP_CNT: 0
; COMPUTE_PGM_RSRC3_GFX90A:ACCUM_OFFSET: 0
; COMPUTE_PGM_RSRC3_GFX90A:TG_SPLIT: 0
	.section	.text._ZN7rocprim17ROCPRIM_400000_NS6detail17trampoline_kernelINS0_13select_configILj256ELj13ELNS0_17block_load_methodE3ELS4_3ELS4_3ELNS0_20block_scan_algorithmE0ELj4294967295EEENS1_25partition_config_selectorILNS1_17partition_subalgoE3EjNS0_10empty_typeEbEEZZNS1_14partition_implILS8_3ELb0ES6_jNS0_17counting_iteratorIjlEEPS9_SE_NS0_5tupleIJPjSE_EEENSF_IJSE_SE_EEES9_SG_JZNS1_25segmented_radix_sort_implINS0_14default_configELb1EPKhPhPKlPlN2at6native12_GLOBAL__N_18offset_tEEE10hipError_tPvRmT1_PNSt15iterator_traitsISY_E10value_typeET2_T3_PNSZ_IS14_E10value_typeET4_jRbjT5_S1A_jjP12ihipStream_tbEUljE_EEESV_SW_SX_S14_S18_S1A_T6_T7_T9_mT8_S1C_bDpT10_ENKUlT_T0_E_clISt17integral_constantIbLb0EES1O_IbLb1EEEEDaS1K_S1L_EUlS1K_E_NS1_11comp_targetILNS1_3genE5ELNS1_11target_archE942ELNS1_3gpuE9ELNS1_3repE0EEENS1_30default_config_static_selectorELNS0_4arch9wavefront6targetE1EEEvSY_,"axG",@progbits,_ZN7rocprim17ROCPRIM_400000_NS6detail17trampoline_kernelINS0_13select_configILj256ELj13ELNS0_17block_load_methodE3ELS4_3ELS4_3ELNS0_20block_scan_algorithmE0ELj4294967295EEENS1_25partition_config_selectorILNS1_17partition_subalgoE3EjNS0_10empty_typeEbEEZZNS1_14partition_implILS8_3ELb0ES6_jNS0_17counting_iteratorIjlEEPS9_SE_NS0_5tupleIJPjSE_EEENSF_IJSE_SE_EEES9_SG_JZNS1_25segmented_radix_sort_implINS0_14default_configELb1EPKhPhPKlPlN2at6native12_GLOBAL__N_18offset_tEEE10hipError_tPvRmT1_PNSt15iterator_traitsISY_E10value_typeET2_T3_PNSZ_IS14_E10value_typeET4_jRbjT5_S1A_jjP12ihipStream_tbEUljE_EEESV_SW_SX_S14_S18_S1A_T6_T7_T9_mT8_S1C_bDpT10_ENKUlT_T0_E_clISt17integral_constantIbLb0EES1O_IbLb1EEEEDaS1K_S1L_EUlS1K_E_NS1_11comp_targetILNS1_3genE5ELNS1_11target_archE942ELNS1_3gpuE9ELNS1_3repE0EEENS1_30default_config_static_selectorELNS0_4arch9wavefront6targetE1EEEvSY_,comdat
	.globl	_ZN7rocprim17ROCPRIM_400000_NS6detail17trampoline_kernelINS0_13select_configILj256ELj13ELNS0_17block_load_methodE3ELS4_3ELS4_3ELNS0_20block_scan_algorithmE0ELj4294967295EEENS1_25partition_config_selectorILNS1_17partition_subalgoE3EjNS0_10empty_typeEbEEZZNS1_14partition_implILS8_3ELb0ES6_jNS0_17counting_iteratorIjlEEPS9_SE_NS0_5tupleIJPjSE_EEENSF_IJSE_SE_EEES9_SG_JZNS1_25segmented_radix_sort_implINS0_14default_configELb1EPKhPhPKlPlN2at6native12_GLOBAL__N_18offset_tEEE10hipError_tPvRmT1_PNSt15iterator_traitsISY_E10value_typeET2_T3_PNSZ_IS14_E10value_typeET4_jRbjT5_S1A_jjP12ihipStream_tbEUljE_EEESV_SW_SX_S14_S18_S1A_T6_T7_T9_mT8_S1C_bDpT10_ENKUlT_T0_E_clISt17integral_constantIbLb0EES1O_IbLb1EEEEDaS1K_S1L_EUlS1K_E_NS1_11comp_targetILNS1_3genE5ELNS1_11target_archE942ELNS1_3gpuE9ELNS1_3repE0EEENS1_30default_config_static_selectorELNS0_4arch9wavefront6targetE1EEEvSY_ ; -- Begin function _ZN7rocprim17ROCPRIM_400000_NS6detail17trampoline_kernelINS0_13select_configILj256ELj13ELNS0_17block_load_methodE3ELS4_3ELS4_3ELNS0_20block_scan_algorithmE0ELj4294967295EEENS1_25partition_config_selectorILNS1_17partition_subalgoE3EjNS0_10empty_typeEbEEZZNS1_14partition_implILS8_3ELb0ES6_jNS0_17counting_iteratorIjlEEPS9_SE_NS0_5tupleIJPjSE_EEENSF_IJSE_SE_EEES9_SG_JZNS1_25segmented_radix_sort_implINS0_14default_configELb1EPKhPhPKlPlN2at6native12_GLOBAL__N_18offset_tEEE10hipError_tPvRmT1_PNSt15iterator_traitsISY_E10value_typeET2_T3_PNSZ_IS14_E10value_typeET4_jRbjT5_S1A_jjP12ihipStream_tbEUljE_EEESV_SW_SX_S14_S18_S1A_T6_T7_T9_mT8_S1C_bDpT10_ENKUlT_T0_E_clISt17integral_constantIbLb0EES1O_IbLb1EEEEDaS1K_S1L_EUlS1K_E_NS1_11comp_targetILNS1_3genE5ELNS1_11target_archE942ELNS1_3gpuE9ELNS1_3repE0EEENS1_30default_config_static_selectorELNS0_4arch9wavefront6targetE1EEEvSY_
	.p2align	8
	.type	_ZN7rocprim17ROCPRIM_400000_NS6detail17trampoline_kernelINS0_13select_configILj256ELj13ELNS0_17block_load_methodE3ELS4_3ELS4_3ELNS0_20block_scan_algorithmE0ELj4294967295EEENS1_25partition_config_selectorILNS1_17partition_subalgoE3EjNS0_10empty_typeEbEEZZNS1_14partition_implILS8_3ELb0ES6_jNS0_17counting_iteratorIjlEEPS9_SE_NS0_5tupleIJPjSE_EEENSF_IJSE_SE_EEES9_SG_JZNS1_25segmented_radix_sort_implINS0_14default_configELb1EPKhPhPKlPlN2at6native12_GLOBAL__N_18offset_tEEE10hipError_tPvRmT1_PNSt15iterator_traitsISY_E10value_typeET2_T3_PNSZ_IS14_E10value_typeET4_jRbjT5_S1A_jjP12ihipStream_tbEUljE_EEESV_SW_SX_S14_S18_S1A_T6_T7_T9_mT8_S1C_bDpT10_ENKUlT_T0_E_clISt17integral_constantIbLb0EES1O_IbLb1EEEEDaS1K_S1L_EUlS1K_E_NS1_11comp_targetILNS1_3genE5ELNS1_11target_archE942ELNS1_3gpuE9ELNS1_3repE0EEENS1_30default_config_static_selectorELNS0_4arch9wavefront6targetE1EEEvSY_,@function
_ZN7rocprim17ROCPRIM_400000_NS6detail17trampoline_kernelINS0_13select_configILj256ELj13ELNS0_17block_load_methodE3ELS4_3ELS4_3ELNS0_20block_scan_algorithmE0ELj4294967295EEENS1_25partition_config_selectorILNS1_17partition_subalgoE3EjNS0_10empty_typeEbEEZZNS1_14partition_implILS8_3ELb0ES6_jNS0_17counting_iteratorIjlEEPS9_SE_NS0_5tupleIJPjSE_EEENSF_IJSE_SE_EEES9_SG_JZNS1_25segmented_radix_sort_implINS0_14default_configELb1EPKhPhPKlPlN2at6native12_GLOBAL__N_18offset_tEEE10hipError_tPvRmT1_PNSt15iterator_traitsISY_E10value_typeET2_T3_PNSZ_IS14_E10value_typeET4_jRbjT5_S1A_jjP12ihipStream_tbEUljE_EEESV_SW_SX_S14_S18_S1A_T6_T7_T9_mT8_S1C_bDpT10_ENKUlT_T0_E_clISt17integral_constantIbLb0EES1O_IbLb1EEEEDaS1K_S1L_EUlS1K_E_NS1_11comp_targetILNS1_3genE5ELNS1_11target_archE942ELNS1_3gpuE9ELNS1_3repE0EEENS1_30default_config_static_selectorELNS0_4arch9wavefront6targetE1EEEvSY_: ; @_ZN7rocprim17ROCPRIM_400000_NS6detail17trampoline_kernelINS0_13select_configILj256ELj13ELNS0_17block_load_methodE3ELS4_3ELS4_3ELNS0_20block_scan_algorithmE0ELj4294967295EEENS1_25partition_config_selectorILNS1_17partition_subalgoE3EjNS0_10empty_typeEbEEZZNS1_14partition_implILS8_3ELb0ES6_jNS0_17counting_iteratorIjlEEPS9_SE_NS0_5tupleIJPjSE_EEENSF_IJSE_SE_EEES9_SG_JZNS1_25segmented_radix_sort_implINS0_14default_configELb1EPKhPhPKlPlN2at6native12_GLOBAL__N_18offset_tEEE10hipError_tPvRmT1_PNSt15iterator_traitsISY_E10value_typeET2_T3_PNSZ_IS14_E10value_typeET4_jRbjT5_S1A_jjP12ihipStream_tbEUljE_EEESV_SW_SX_S14_S18_S1A_T6_T7_T9_mT8_S1C_bDpT10_ENKUlT_T0_E_clISt17integral_constantIbLb0EES1O_IbLb1EEEEDaS1K_S1L_EUlS1K_E_NS1_11comp_targetILNS1_3genE5ELNS1_11target_archE942ELNS1_3gpuE9ELNS1_3repE0EEENS1_30default_config_static_selectorELNS0_4arch9wavefront6targetE1EEEvSY_
; %bb.0:
	.section	.rodata,"a",@progbits
	.p2align	6, 0x0
	.amdhsa_kernel _ZN7rocprim17ROCPRIM_400000_NS6detail17trampoline_kernelINS0_13select_configILj256ELj13ELNS0_17block_load_methodE3ELS4_3ELS4_3ELNS0_20block_scan_algorithmE0ELj4294967295EEENS1_25partition_config_selectorILNS1_17partition_subalgoE3EjNS0_10empty_typeEbEEZZNS1_14partition_implILS8_3ELb0ES6_jNS0_17counting_iteratorIjlEEPS9_SE_NS0_5tupleIJPjSE_EEENSF_IJSE_SE_EEES9_SG_JZNS1_25segmented_radix_sort_implINS0_14default_configELb1EPKhPhPKlPlN2at6native12_GLOBAL__N_18offset_tEEE10hipError_tPvRmT1_PNSt15iterator_traitsISY_E10value_typeET2_T3_PNSZ_IS14_E10value_typeET4_jRbjT5_S1A_jjP12ihipStream_tbEUljE_EEESV_SW_SX_S14_S18_S1A_T6_T7_T9_mT8_S1C_bDpT10_ENKUlT_T0_E_clISt17integral_constantIbLb0EES1O_IbLb1EEEEDaS1K_S1L_EUlS1K_E_NS1_11comp_targetILNS1_3genE5ELNS1_11target_archE942ELNS1_3gpuE9ELNS1_3repE0EEENS1_30default_config_static_selectorELNS0_4arch9wavefront6targetE1EEEvSY_
		.amdhsa_group_segment_fixed_size 0
		.amdhsa_private_segment_fixed_size 0
		.amdhsa_kernarg_size 152
		.amdhsa_user_sgpr_count 6
		.amdhsa_user_sgpr_private_segment_buffer 1
		.amdhsa_user_sgpr_dispatch_ptr 0
		.amdhsa_user_sgpr_queue_ptr 0
		.amdhsa_user_sgpr_kernarg_segment_ptr 1
		.amdhsa_user_sgpr_dispatch_id 0
		.amdhsa_user_sgpr_flat_scratch_init 0
		.amdhsa_user_sgpr_kernarg_preload_length 0
		.amdhsa_user_sgpr_kernarg_preload_offset 0
		.amdhsa_user_sgpr_private_segment_size 0
		.amdhsa_uses_dynamic_stack 0
		.amdhsa_system_sgpr_private_segment_wavefront_offset 0
		.amdhsa_system_sgpr_workgroup_id_x 1
		.amdhsa_system_sgpr_workgroup_id_y 0
		.amdhsa_system_sgpr_workgroup_id_z 0
		.amdhsa_system_sgpr_workgroup_info 0
		.amdhsa_system_vgpr_workitem_id 0
		.amdhsa_next_free_vgpr 1
		.amdhsa_next_free_sgpr 0
		.amdhsa_accum_offset 4
		.amdhsa_reserve_vcc 0
		.amdhsa_reserve_flat_scratch 0
		.amdhsa_float_round_mode_32 0
		.amdhsa_float_round_mode_16_64 0
		.amdhsa_float_denorm_mode_32 3
		.amdhsa_float_denorm_mode_16_64 3
		.amdhsa_dx10_clamp 1
		.amdhsa_ieee_mode 1
		.amdhsa_fp16_overflow 0
		.amdhsa_tg_split 0
		.amdhsa_exception_fp_ieee_invalid_op 0
		.amdhsa_exception_fp_denorm_src 0
		.amdhsa_exception_fp_ieee_div_zero 0
		.amdhsa_exception_fp_ieee_overflow 0
		.amdhsa_exception_fp_ieee_underflow 0
		.amdhsa_exception_fp_ieee_inexact 0
		.amdhsa_exception_int_div_zero 0
	.end_amdhsa_kernel
	.section	.text._ZN7rocprim17ROCPRIM_400000_NS6detail17trampoline_kernelINS0_13select_configILj256ELj13ELNS0_17block_load_methodE3ELS4_3ELS4_3ELNS0_20block_scan_algorithmE0ELj4294967295EEENS1_25partition_config_selectorILNS1_17partition_subalgoE3EjNS0_10empty_typeEbEEZZNS1_14partition_implILS8_3ELb0ES6_jNS0_17counting_iteratorIjlEEPS9_SE_NS0_5tupleIJPjSE_EEENSF_IJSE_SE_EEES9_SG_JZNS1_25segmented_radix_sort_implINS0_14default_configELb1EPKhPhPKlPlN2at6native12_GLOBAL__N_18offset_tEEE10hipError_tPvRmT1_PNSt15iterator_traitsISY_E10value_typeET2_T3_PNSZ_IS14_E10value_typeET4_jRbjT5_S1A_jjP12ihipStream_tbEUljE_EEESV_SW_SX_S14_S18_S1A_T6_T7_T9_mT8_S1C_bDpT10_ENKUlT_T0_E_clISt17integral_constantIbLb0EES1O_IbLb1EEEEDaS1K_S1L_EUlS1K_E_NS1_11comp_targetILNS1_3genE5ELNS1_11target_archE942ELNS1_3gpuE9ELNS1_3repE0EEENS1_30default_config_static_selectorELNS0_4arch9wavefront6targetE1EEEvSY_,"axG",@progbits,_ZN7rocprim17ROCPRIM_400000_NS6detail17trampoline_kernelINS0_13select_configILj256ELj13ELNS0_17block_load_methodE3ELS4_3ELS4_3ELNS0_20block_scan_algorithmE0ELj4294967295EEENS1_25partition_config_selectorILNS1_17partition_subalgoE3EjNS0_10empty_typeEbEEZZNS1_14partition_implILS8_3ELb0ES6_jNS0_17counting_iteratorIjlEEPS9_SE_NS0_5tupleIJPjSE_EEENSF_IJSE_SE_EEES9_SG_JZNS1_25segmented_radix_sort_implINS0_14default_configELb1EPKhPhPKlPlN2at6native12_GLOBAL__N_18offset_tEEE10hipError_tPvRmT1_PNSt15iterator_traitsISY_E10value_typeET2_T3_PNSZ_IS14_E10value_typeET4_jRbjT5_S1A_jjP12ihipStream_tbEUljE_EEESV_SW_SX_S14_S18_S1A_T6_T7_T9_mT8_S1C_bDpT10_ENKUlT_T0_E_clISt17integral_constantIbLb0EES1O_IbLb1EEEEDaS1K_S1L_EUlS1K_E_NS1_11comp_targetILNS1_3genE5ELNS1_11target_archE942ELNS1_3gpuE9ELNS1_3repE0EEENS1_30default_config_static_selectorELNS0_4arch9wavefront6targetE1EEEvSY_,comdat
.Lfunc_end76:
	.size	_ZN7rocprim17ROCPRIM_400000_NS6detail17trampoline_kernelINS0_13select_configILj256ELj13ELNS0_17block_load_methodE3ELS4_3ELS4_3ELNS0_20block_scan_algorithmE0ELj4294967295EEENS1_25partition_config_selectorILNS1_17partition_subalgoE3EjNS0_10empty_typeEbEEZZNS1_14partition_implILS8_3ELb0ES6_jNS0_17counting_iteratorIjlEEPS9_SE_NS0_5tupleIJPjSE_EEENSF_IJSE_SE_EEES9_SG_JZNS1_25segmented_radix_sort_implINS0_14default_configELb1EPKhPhPKlPlN2at6native12_GLOBAL__N_18offset_tEEE10hipError_tPvRmT1_PNSt15iterator_traitsISY_E10value_typeET2_T3_PNSZ_IS14_E10value_typeET4_jRbjT5_S1A_jjP12ihipStream_tbEUljE_EEESV_SW_SX_S14_S18_S1A_T6_T7_T9_mT8_S1C_bDpT10_ENKUlT_T0_E_clISt17integral_constantIbLb0EES1O_IbLb1EEEEDaS1K_S1L_EUlS1K_E_NS1_11comp_targetILNS1_3genE5ELNS1_11target_archE942ELNS1_3gpuE9ELNS1_3repE0EEENS1_30default_config_static_selectorELNS0_4arch9wavefront6targetE1EEEvSY_, .Lfunc_end76-_ZN7rocprim17ROCPRIM_400000_NS6detail17trampoline_kernelINS0_13select_configILj256ELj13ELNS0_17block_load_methodE3ELS4_3ELS4_3ELNS0_20block_scan_algorithmE0ELj4294967295EEENS1_25partition_config_selectorILNS1_17partition_subalgoE3EjNS0_10empty_typeEbEEZZNS1_14partition_implILS8_3ELb0ES6_jNS0_17counting_iteratorIjlEEPS9_SE_NS0_5tupleIJPjSE_EEENSF_IJSE_SE_EEES9_SG_JZNS1_25segmented_radix_sort_implINS0_14default_configELb1EPKhPhPKlPlN2at6native12_GLOBAL__N_18offset_tEEE10hipError_tPvRmT1_PNSt15iterator_traitsISY_E10value_typeET2_T3_PNSZ_IS14_E10value_typeET4_jRbjT5_S1A_jjP12ihipStream_tbEUljE_EEESV_SW_SX_S14_S18_S1A_T6_T7_T9_mT8_S1C_bDpT10_ENKUlT_T0_E_clISt17integral_constantIbLb0EES1O_IbLb1EEEEDaS1K_S1L_EUlS1K_E_NS1_11comp_targetILNS1_3genE5ELNS1_11target_archE942ELNS1_3gpuE9ELNS1_3repE0EEENS1_30default_config_static_selectorELNS0_4arch9wavefront6targetE1EEEvSY_
                                        ; -- End function
	.section	.AMDGPU.csdata,"",@progbits
; Kernel info:
; codeLenInByte = 0
; NumSgprs: 4
; NumVgprs: 0
; NumAgprs: 0
; TotalNumVgprs: 0
; ScratchSize: 0
; MemoryBound: 0
; FloatMode: 240
; IeeeMode: 1
; LDSByteSize: 0 bytes/workgroup (compile time only)
; SGPRBlocks: 0
; VGPRBlocks: 0
; NumSGPRsForWavesPerEU: 4
; NumVGPRsForWavesPerEU: 1
; AccumOffset: 4
; Occupancy: 8
; WaveLimiterHint : 0
; COMPUTE_PGM_RSRC2:SCRATCH_EN: 0
; COMPUTE_PGM_RSRC2:USER_SGPR: 6
; COMPUTE_PGM_RSRC2:TRAP_HANDLER: 0
; COMPUTE_PGM_RSRC2:TGID_X_EN: 1
; COMPUTE_PGM_RSRC2:TGID_Y_EN: 0
; COMPUTE_PGM_RSRC2:TGID_Z_EN: 0
; COMPUTE_PGM_RSRC2:TIDIG_COMP_CNT: 0
; COMPUTE_PGM_RSRC3_GFX90A:ACCUM_OFFSET: 0
; COMPUTE_PGM_RSRC3_GFX90A:TG_SPLIT: 0
	.section	.text._ZN7rocprim17ROCPRIM_400000_NS6detail17trampoline_kernelINS0_13select_configILj256ELj13ELNS0_17block_load_methodE3ELS4_3ELS4_3ELNS0_20block_scan_algorithmE0ELj4294967295EEENS1_25partition_config_selectorILNS1_17partition_subalgoE3EjNS0_10empty_typeEbEEZZNS1_14partition_implILS8_3ELb0ES6_jNS0_17counting_iteratorIjlEEPS9_SE_NS0_5tupleIJPjSE_EEENSF_IJSE_SE_EEES9_SG_JZNS1_25segmented_radix_sort_implINS0_14default_configELb1EPKhPhPKlPlN2at6native12_GLOBAL__N_18offset_tEEE10hipError_tPvRmT1_PNSt15iterator_traitsISY_E10value_typeET2_T3_PNSZ_IS14_E10value_typeET4_jRbjT5_S1A_jjP12ihipStream_tbEUljE_EEESV_SW_SX_S14_S18_S1A_T6_T7_T9_mT8_S1C_bDpT10_ENKUlT_T0_E_clISt17integral_constantIbLb0EES1O_IbLb1EEEEDaS1K_S1L_EUlS1K_E_NS1_11comp_targetILNS1_3genE4ELNS1_11target_archE910ELNS1_3gpuE8ELNS1_3repE0EEENS1_30default_config_static_selectorELNS0_4arch9wavefront6targetE1EEEvSY_,"axG",@progbits,_ZN7rocprim17ROCPRIM_400000_NS6detail17trampoline_kernelINS0_13select_configILj256ELj13ELNS0_17block_load_methodE3ELS4_3ELS4_3ELNS0_20block_scan_algorithmE0ELj4294967295EEENS1_25partition_config_selectorILNS1_17partition_subalgoE3EjNS0_10empty_typeEbEEZZNS1_14partition_implILS8_3ELb0ES6_jNS0_17counting_iteratorIjlEEPS9_SE_NS0_5tupleIJPjSE_EEENSF_IJSE_SE_EEES9_SG_JZNS1_25segmented_radix_sort_implINS0_14default_configELb1EPKhPhPKlPlN2at6native12_GLOBAL__N_18offset_tEEE10hipError_tPvRmT1_PNSt15iterator_traitsISY_E10value_typeET2_T3_PNSZ_IS14_E10value_typeET4_jRbjT5_S1A_jjP12ihipStream_tbEUljE_EEESV_SW_SX_S14_S18_S1A_T6_T7_T9_mT8_S1C_bDpT10_ENKUlT_T0_E_clISt17integral_constantIbLb0EES1O_IbLb1EEEEDaS1K_S1L_EUlS1K_E_NS1_11comp_targetILNS1_3genE4ELNS1_11target_archE910ELNS1_3gpuE8ELNS1_3repE0EEENS1_30default_config_static_selectorELNS0_4arch9wavefront6targetE1EEEvSY_,comdat
	.globl	_ZN7rocprim17ROCPRIM_400000_NS6detail17trampoline_kernelINS0_13select_configILj256ELj13ELNS0_17block_load_methodE3ELS4_3ELS4_3ELNS0_20block_scan_algorithmE0ELj4294967295EEENS1_25partition_config_selectorILNS1_17partition_subalgoE3EjNS0_10empty_typeEbEEZZNS1_14partition_implILS8_3ELb0ES6_jNS0_17counting_iteratorIjlEEPS9_SE_NS0_5tupleIJPjSE_EEENSF_IJSE_SE_EEES9_SG_JZNS1_25segmented_radix_sort_implINS0_14default_configELb1EPKhPhPKlPlN2at6native12_GLOBAL__N_18offset_tEEE10hipError_tPvRmT1_PNSt15iterator_traitsISY_E10value_typeET2_T3_PNSZ_IS14_E10value_typeET4_jRbjT5_S1A_jjP12ihipStream_tbEUljE_EEESV_SW_SX_S14_S18_S1A_T6_T7_T9_mT8_S1C_bDpT10_ENKUlT_T0_E_clISt17integral_constantIbLb0EES1O_IbLb1EEEEDaS1K_S1L_EUlS1K_E_NS1_11comp_targetILNS1_3genE4ELNS1_11target_archE910ELNS1_3gpuE8ELNS1_3repE0EEENS1_30default_config_static_selectorELNS0_4arch9wavefront6targetE1EEEvSY_ ; -- Begin function _ZN7rocprim17ROCPRIM_400000_NS6detail17trampoline_kernelINS0_13select_configILj256ELj13ELNS0_17block_load_methodE3ELS4_3ELS4_3ELNS0_20block_scan_algorithmE0ELj4294967295EEENS1_25partition_config_selectorILNS1_17partition_subalgoE3EjNS0_10empty_typeEbEEZZNS1_14partition_implILS8_3ELb0ES6_jNS0_17counting_iteratorIjlEEPS9_SE_NS0_5tupleIJPjSE_EEENSF_IJSE_SE_EEES9_SG_JZNS1_25segmented_radix_sort_implINS0_14default_configELb1EPKhPhPKlPlN2at6native12_GLOBAL__N_18offset_tEEE10hipError_tPvRmT1_PNSt15iterator_traitsISY_E10value_typeET2_T3_PNSZ_IS14_E10value_typeET4_jRbjT5_S1A_jjP12ihipStream_tbEUljE_EEESV_SW_SX_S14_S18_S1A_T6_T7_T9_mT8_S1C_bDpT10_ENKUlT_T0_E_clISt17integral_constantIbLb0EES1O_IbLb1EEEEDaS1K_S1L_EUlS1K_E_NS1_11comp_targetILNS1_3genE4ELNS1_11target_archE910ELNS1_3gpuE8ELNS1_3repE0EEENS1_30default_config_static_selectorELNS0_4arch9wavefront6targetE1EEEvSY_
	.p2align	8
	.type	_ZN7rocprim17ROCPRIM_400000_NS6detail17trampoline_kernelINS0_13select_configILj256ELj13ELNS0_17block_load_methodE3ELS4_3ELS4_3ELNS0_20block_scan_algorithmE0ELj4294967295EEENS1_25partition_config_selectorILNS1_17partition_subalgoE3EjNS0_10empty_typeEbEEZZNS1_14partition_implILS8_3ELb0ES6_jNS0_17counting_iteratorIjlEEPS9_SE_NS0_5tupleIJPjSE_EEENSF_IJSE_SE_EEES9_SG_JZNS1_25segmented_radix_sort_implINS0_14default_configELb1EPKhPhPKlPlN2at6native12_GLOBAL__N_18offset_tEEE10hipError_tPvRmT1_PNSt15iterator_traitsISY_E10value_typeET2_T3_PNSZ_IS14_E10value_typeET4_jRbjT5_S1A_jjP12ihipStream_tbEUljE_EEESV_SW_SX_S14_S18_S1A_T6_T7_T9_mT8_S1C_bDpT10_ENKUlT_T0_E_clISt17integral_constantIbLb0EES1O_IbLb1EEEEDaS1K_S1L_EUlS1K_E_NS1_11comp_targetILNS1_3genE4ELNS1_11target_archE910ELNS1_3gpuE8ELNS1_3repE0EEENS1_30default_config_static_selectorELNS0_4arch9wavefront6targetE1EEEvSY_,@function
_ZN7rocprim17ROCPRIM_400000_NS6detail17trampoline_kernelINS0_13select_configILj256ELj13ELNS0_17block_load_methodE3ELS4_3ELS4_3ELNS0_20block_scan_algorithmE0ELj4294967295EEENS1_25partition_config_selectorILNS1_17partition_subalgoE3EjNS0_10empty_typeEbEEZZNS1_14partition_implILS8_3ELb0ES6_jNS0_17counting_iteratorIjlEEPS9_SE_NS0_5tupleIJPjSE_EEENSF_IJSE_SE_EEES9_SG_JZNS1_25segmented_radix_sort_implINS0_14default_configELb1EPKhPhPKlPlN2at6native12_GLOBAL__N_18offset_tEEE10hipError_tPvRmT1_PNSt15iterator_traitsISY_E10value_typeET2_T3_PNSZ_IS14_E10value_typeET4_jRbjT5_S1A_jjP12ihipStream_tbEUljE_EEESV_SW_SX_S14_S18_S1A_T6_T7_T9_mT8_S1C_bDpT10_ENKUlT_T0_E_clISt17integral_constantIbLb0EES1O_IbLb1EEEEDaS1K_S1L_EUlS1K_E_NS1_11comp_targetILNS1_3genE4ELNS1_11target_archE910ELNS1_3gpuE8ELNS1_3repE0EEENS1_30default_config_static_selectorELNS0_4arch9wavefront6targetE1EEEvSY_: ; @_ZN7rocprim17ROCPRIM_400000_NS6detail17trampoline_kernelINS0_13select_configILj256ELj13ELNS0_17block_load_methodE3ELS4_3ELS4_3ELNS0_20block_scan_algorithmE0ELj4294967295EEENS1_25partition_config_selectorILNS1_17partition_subalgoE3EjNS0_10empty_typeEbEEZZNS1_14partition_implILS8_3ELb0ES6_jNS0_17counting_iteratorIjlEEPS9_SE_NS0_5tupleIJPjSE_EEENSF_IJSE_SE_EEES9_SG_JZNS1_25segmented_radix_sort_implINS0_14default_configELb1EPKhPhPKlPlN2at6native12_GLOBAL__N_18offset_tEEE10hipError_tPvRmT1_PNSt15iterator_traitsISY_E10value_typeET2_T3_PNSZ_IS14_E10value_typeET4_jRbjT5_S1A_jjP12ihipStream_tbEUljE_EEESV_SW_SX_S14_S18_S1A_T6_T7_T9_mT8_S1C_bDpT10_ENKUlT_T0_E_clISt17integral_constantIbLb0EES1O_IbLb1EEEEDaS1K_S1L_EUlS1K_E_NS1_11comp_targetILNS1_3genE4ELNS1_11target_archE910ELNS1_3gpuE8ELNS1_3repE0EEENS1_30default_config_static_selectorELNS0_4arch9wavefront6targetE1EEEvSY_
; %bb.0:
	s_load_dwordx2 s[28:29], s[4:5], 0x10
	s_load_dwordx2 s[24:25], s[4:5], 0x28
	;; [unrolled: 1-line block ×3, first 2 shown]
	s_load_dwordx4 s[20:23], s[4:5], 0x48
	s_load_dword s14, s[4:5], 0x90
	s_load_dwordx2 s[30:31], s[4:5], 0x68
	s_load_dwordx4 s[8:11], s[4:5], 0x80
	v_cmp_eq_u32_e64 s[0:1], 0, v0
	s_and_saveexec_b64 s[2:3], s[0:1]
	s_cbranch_execz .LBB77_4
; %bb.1:
	s_mov_b64 s[12:13], exec
	v_mbcnt_lo_u32_b32 v1, s12, 0
	v_mbcnt_hi_u32_b32 v1, s13, v1
	v_cmp_eq_u32_e32 vcc, 0, v1
                                        ; implicit-def: $vgpr2
	s_and_saveexec_b64 s[6:7], vcc
	s_cbranch_execz .LBB77_3
; %bb.2:
	s_load_dwordx2 s[16:17], s[4:5], 0x78
	s_bcnt1_i32_b64 s12, s[12:13]
	v_mov_b32_e32 v2, 0
	v_mov_b32_e32 v3, s12
	s_waitcnt lgkmcnt(0)
	global_atomic_add v2, v2, v3, s[16:17] glc
.LBB77_3:
	s_or_b64 exec, exec, s[6:7]
	s_waitcnt vmcnt(0)
	v_readfirstlane_b32 s6, v2
	v_add_u32_e32 v1, s6, v1
	v_mov_b32_e32 v2, 0
	ds_write_b32 v2, v1
.LBB77_4:
	s_or_b64 exec, exec, s[2:3]
	v_mov_b32_e32 v1, 0
	s_load_dword s2, s[4:5], 0x8
	s_load_dword s6, s[4:5], 0x70
	s_waitcnt lgkmcnt(0)
	s_barrier
	ds_read_b32 v2, v1
	s_waitcnt lgkmcnt(0)
	s_barrier
	global_load_dwordx2 v[20:21], v1, s[22:23]
	s_add_i32 s7, s2, s28
	s_movk_i32 s2, 0xd00
	s_add_i32 s4, s6, -1
	s_mulk_i32 s6, 0xd00
	v_mul_lo_u32 v34, v2, s2
	s_add_u32 s2, s28, s6
	v_readfirstlane_b32 s40, v2
	s_addc_u32 s3, s29, 0
	s_cmp_eq_u32 s40, s4
	v_pk_mov_b32 v[2:3], s[26:27], s[26:27] op_sel:[0,1]
	s_cselect_b64 s[22:23], -1, 0
	s_cmp_lg_u32 s40, s4
	v_cmp_lt_u64_e32 vcc, s[2:3], v[2:3]
	s_cselect_b64 s[2:3], -1, 0
	s_or_b64 s[4:5], vcc, s[2:3]
	v_add_u32_e32 v1, s7, v34
	s_mov_b64 s[2:3], -1
	s_and_b64 vcc, exec, s[4:5]
	v_add_u32_e32 v2, v1, v0
	v_lshlrev_b32_e32 v1, 2, v0
	s_cbranch_vccz .LBB77_6
; %bb.5:
	v_add_u32_e32 v3, 0x100, v2
	v_add_u32_e32 v4, 0x200, v2
	;; [unrolled: 1-line block ×12, first 2 shown]
	ds_write2st64_b32 v1, v2, v3 offset1:4
	ds_write2st64_b32 v1, v4, v5 offset0:8 offset1:12
	ds_write2st64_b32 v1, v6, v7 offset0:16 offset1:20
	;; [unrolled: 1-line block ×5, first 2 shown]
	ds_write_b32 v1, v14 offset:12288
	s_waitcnt lgkmcnt(0)
	s_barrier
	s_mov_b64 s[2:3], 0
.LBB77_6:
	s_andn2_b64 vcc, exec, s[2:3]
	s_add_i32 s6, s6, s28
	s_cbranch_vccnz .LBB77_8
; %bb.7:
	v_add_u32_e32 v3, 0x100, v2
	v_add_u32_e32 v4, 0x200, v2
	;; [unrolled: 1-line block ×12, first 2 shown]
	ds_write2st64_b32 v1, v2, v3 offset1:4
	ds_write2st64_b32 v1, v4, v5 offset0:8 offset1:12
	ds_write2st64_b32 v1, v6, v7 offset0:16 offset1:20
	;; [unrolled: 1-line block ×5, first 2 shown]
	ds_write_b32 v1, v14 offset:12288
	s_waitcnt lgkmcnt(0)
	s_barrier
.LBB77_8:
	v_mul_u32_u24_e32 v36, 13, v0
	v_lshlrev_b32_e32 v2, 2, v36
	ds_read2_b32 v[32:33], v2 offset1:1
	ds_read2_b32 v[30:31], v2 offset0:2 offset1:3
	ds_read2_b32 v[28:29], v2 offset0:4 offset1:5
	;; [unrolled: 1-line block ×5, first 2 shown]
	ds_read_b32 v35, v2 offset:48
	v_cndmask_b32_e64 v2, 0, 1, s[4:5]
	s_sub_i32 s33, s26, s6
	v_cmp_ne_u32_e64 s[2:3], 1, v2
	s_andn2_b64 vcc, exec, s[4:5]
	s_waitcnt lgkmcnt(0)
	s_barrier
	s_cbranch_vccnz .LBB77_10
; %bb.9:
	v_add_u32_e32 v2, s9, v32
	v_add_u32_e32 v3, s11, v32
	v_mul_lo_u32 v2, v2, s8
	v_mul_lo_u32 v3, v3, s10
	v_sub_u32_e32 v2, v2, v3
	v_add_u32_e32 v3, s9, v33
	v_add_u32_e32 v4, s11, v33
	v_mul_lo_u32 v3, v3, s8
	v_mul_lo_u32 v4, v4, s10
	v_sub_u32_e32 v3, v3, v4
	;; [unrolled: 5-line block ×6, first 2 shown]
	v_add_u32_e32 v8, s9, v26
	v_add_u32_e32 v9, s11, v26
	v_mul_lo_u32 v8, v8, s8
	v_mul_lo_u32 v9, v9, s10
	v_cmp_lt_u32_e32 vcc, s14, v2
	v_sub_u32_e32 v8, v8, v9
	v_add_u32_e32 v9, s9, v27
	v_add_u32_e32 v10, s11, v27
	v_cndmask_b32_e64 v2, 0, 1, vcc
	v_cmp_lt_u32_e32 vcc, s14, v3
	v_mul_lo_u32 v9, v9, s8
	v_mul_lo_u32 v10, v10, s10
	v_cndmask_b32_e64 v3, 0, 1, vcc
	v_cmp_lt_u32_e32 vcc, s14, v4
	v_sub_u32_e32 v9, v9, v10
	v_add_u32_e32 v10, s9, v24
	v_add_u32_e32 v11, s11, v24
	v_cndmask_b32_e64 v4, 0, 1, vcc
	v_cmp_lt_u32_e32 vcc, s14, v5
	v_mul_lo_u32 v10, v10, s8
	v_mul_lo_u32 v11, v11, s10
	v_cndmask_b32_e64 v5, 0, 1, vcc
	;; [unrolled: 9-line block ×4, first 2 shown]
	v_cmp_lt_u32_e32 vcc, s14, v10
	v_sub_u32_e32 v12, v12, v13
	v_add_u32_e32 v13, s9, v23
	v_add_u32_e32 v14, s11, v23
	v_lshlrev_b16_e32 v3, 8, v3
	v_cndmask_b32_e64 v10, 0, 1, vcc
	v_cmp_lt_u32_e32 vcc, s14, v11
	v_mul_lo_u32 v13, v13, s8
	v_mul_lo_u32 v14, v14, s10
	v_or_b32_e32 v2, v2, v3
	v_lshlrev_b16_e32 v3, 8, v5
	v_cndmask_b32_e64 v11, 0, 1, vcc
	v_cmp_lt_u32_e32 vcc, s14, v12
	v_sub_u32_e32 v13, v13, v14
	v_or_b32_sdwa v3, v4, v3 dst_sel:WORD_1 dst_unused:UNUSED_PAD src0_sel:DWORD src1_sel:DWORD
	v_cndmask_b32_e64 v12, 0, 1, vcc
	v_cmp_lt_u32_e32 vcc, s14, v13
	v_add_u32_e32 v14, s9, v35
	v_add_u32_e32 v15, s11, v35
	v_or_b32_sdwa v40, v2, v3 dst_sel:DWORD dst_unused:UNUSED_PAD src0_sel:WORD_0 src1_sel:DWORD
	v_lshlrev_b16_e32 v2, 8, v7
	v_lshlrev_b16_e32 v3, 8, v9
	v_cndmask_b32_e64 v13, 0, 1, vcc
	v_mul_lo_u32 v14, v14, s8
	v_mul_lo_u32 v15, v15, s10
	v_or_b32_e32 v2, v6, v2
	v_or_b32_sdwa v3, v8, v3 dst_sel:WORD_1 dst_unused:UNUSED_PAD src0_sel:DWORD src1_sel:DWORD
	v_sub_u32_e32 v14, v14, v15
	v_or_b32_sdwa v39, v2, v3 dst_sel:DWORD dst_unused:UNUSED_PAD src0_sel:WORD_0 src1_sel:DWORD
	v_lshlrev_b16_e32 v2, 8, v11
	v_lshlrev_b16_e32 v3, 8, v13
	v_cmp_lt_u32_e32 vcc, s14, v14
	v_or_b32_e32 v2, v10, v2
	v_or_b32_sdwa v3, v12, v3 dst_sel:WORD_1 dst_unused:UNUSED_PAD src0_sel:DWORD src1_sel:DWORD
	v_cndmask_b32_e64 v37, 0, 1, vcc
	v_or_b32_sdwa v38, v2, v3 dst_sel:DWORD dst_unused:UNUSED_PAD src0_sel:WORD_0 src1_sel:DWORD
	s_addk_i32 s33, 0xd00
	s_cbranch_execz .LBB77_11
	s_branch .LBB77_38
.LBB77_10:
                                        ; implicit-def: $vgpr37
                                        ; implicit-def: $vgpr38
                                        ; implicit-def: $vgpr39
                                        ; implicit-def: $vgpr40
	s_addk_i32 s33, 0xd00
.LBB77_11:
	v_cmp_gt_u32_e32 vcc, s33, v36
	v_mov_b32_e32 v3, 0
	v_mov_b32_e32 v2, 0
	s_and_saveexec_b64 s[4:5], vcc
; %bb.12:
	v_add_u32_e32 v2, s9, v32
	v_add_u32_e32 v4, s11, v32
	v_mul_lo_u32 v2, v2, s8
	v_mul_lo_u32 v4, v4, s10
	v_sub_u32_e32 v2, v2, v4
	v_cmp_lt_u32_e32 vcc, s14, v2
	v_cndmask_b32_e64 v2, 0, 1, vcc
; %bb.13:
	s_or_b64 exec, exec, s[4:5]
	v_add_u32_e32 v4, 1, v36
	v_cmp_gt_u32_e32 vcc, s33, v4
	s_and_saveexec_b64 s[4:5], vcc
; %bb.14:
	v_add_u32_e32 v3, s9, v33
	v_add_u32_e32 v4, s11, v33
	v_mul_lo_u32 v3, v3, s8
	v_mul_lo_u32 v4, v4, s10
	v_sub_u32_e32 v3, v3, v4
	v_cmp_lt_u32_e32 vcc, s14, v3
	v_cndmask_b32_e64 v3, 0, 1, vcc
; %bb.15:
	s_or_b64 exec, exec, s[4:5]
	v_add_u32_e32 v4, 2, v36
	v_cmp_gt_u32_e32 vcc, s33, v4
	v_mov_b32_e32 v5, 0
	v_mov_b32_e32 v4, 0
	s_and_saveexec_b64 s[4:5], vcc
; %bb.16:
	v_add_u32_e32 v4, s9, v30
	v_add_u32_e32 v6, s11, v30
	v_mul_lo_u32 v4, v4, s8
	v_mul_lo_u32 v6, v6, s10
	v_sub_u32_e32 v4, v4, v6
	v_cmp_lt_u32_e32 vcc, s14, v4
	v_cndmask_b32_e64 v4, 0, 1, vcc
; %bb.17:
	s_or_b64 exec, exec, s[4:5]
	v_add_u32_e32 v6, 3, v36
	v_cmp_gt_u32_e32 vcc, s33, v6
	s_and_saveexec_b64 s[4:5], vcc
; %bb.18:
	v_add_u32_e32 v5, s9, v31
	v_add_u32_e32 v6, s11, v31
	v_mul_lo_u32 v5, v5, s8
	v_mul_lo_u32 v6, v6, s10
	v_sub_u32_e32 v5, v5, v6
	v_cmp_lt_u32_e32 vcc, s14, v5
	v_cndmask_b32_e64 v5, 0, 1, vcc
; %bb.19:
	s_or_b64 exec, exec, s[4:5]
	v_add_u32_e32 v6, 4, v36
	;; [unrolled: 28-line block ×6, first 2 shown]
	v_cmp_gt_u32_e32 vcc, s33, v14
	v_mov_b32_e32 v37, 0
	s_and_saveexec_b64 s[4:5], vcc
; %bb.36:
	v_add_u32_e32 v14, s9, v35
	v_add_u32_e32 v15, s11, v35
	v_mul_lo_u32 v14, v14, s8
	v_mul_lo_u32 v15, v15, s10
	v_sub_u32_e32 v14, v14, v15
	v_cmp_lt_u32_e32 vcc, s14, v14
	v_cndmask_b32_e64 v37, 0, 1, vcc
; %bb.37:
	s_or_b64 exec, exec, s[4:5]
	v_lshlrev_b16_e32 v3, 8, v3
	v_or_b32_e32 v2, v2, v3
	v_lshlrev_b16_e32 v3, 8, v5
	v_or_b32_sdwa v3, v4, v3 dst_sel:WORD_1 dst_unused:UNUSED_PAD src0_sel:DWORD src1_sel:DWORD
	v_or_b32_sdwa v40, v2, v3 dst_sel:DWORD dst_unused:UNUSED_PAD src0_sel:WORD_0 src1_sel:DWORD
	v_lshlrev_b16_e32 v2, 8, v7
	v_lshlrev_b16_e32 v3, 8, v9
	v_or_b32_e32 v2, v6, v2
	v_or_b32_sdwa v3, v8, v3 dst_sel:WORD_1 dst_unused:UNUSED_PAD src0_sel:DWORD src1_sel:DWORD
	v_or_b32_sdwa v39, v2, v3 dst_sel:DWORD dst_unused:UNUSED_PAD src0_sel:WORD_0 src1_sel:DWORD
	v_lshlrev_b16_e32 v2, 8, v11
	v_lshlrev_b16_e32 v3, 8, v13
	v_or_b32_e32 v2, v10, v2
	v_or_b32_sdwa v3, v12, v3 dst_sel:WORD_1 dst_unused:UNUSED_PAD src0_sel:DWORD src1_sel:DWORD
	v_or_b32_sdwa v38, v2, v3 dst_sel:DWORD dst_unused:UNUSED_PAD src0_sel:WORD_0 src1_sel:DWORD
.LBB77_38:
	v_and_b32_e32 v44, 0xff, v40
	v_bfe_u32 v45, v40, 8, 8
	v_bfe_u32 v46, v40, 16, 8
	v_lshrrev_b32_e32 v43, 24, v40
	v_and_b32_e32 v47, 0xff, v39
	v_add3_u32 v3, v45, v44, v46
	v_bfe_u32 v48, v39, 8, 8
	v_bfe_u32 v49, v39, 16, 8
	v_add3_u32 v3, v3, v43, v47
	v_lshrrev_b32_e32 v42, 24, v39
	v_and_b32_e32 v50, 0xff, v38
	v_add3_u32 v3, v3, v48, v49
	v_bfe_u32 v51, v38, 8, 8
	v_bfe_u32 v52, v38, 16, 8
	v_add3_u32 v3, v3, v42, v50
	v_lshrrev_b32_e32 v41, 24, v38
	v_and_b32_e32 v2, 0xff, v37
	v_add3_u32 v3, v3, v51, v52
	v_add3_u32 v55, v3, v41, v2
	v_mbcnt_lo_u32_b32 v2, -1, 0
	v_mbcnt_hi_u32_b32 v53, -1, v2
	v_and_b32_e32 v2, 15, v53
	v_cmp_eq_u32_e64 s[16:17], 0, v2
	v_cmp_lt_u32_e64 s[14:15], 1, v2
	v_cmp_lt_u32_e64 s[12:13], 3, v2
	;; [unrolled: 1-line block ×3, first 2 shown]
	v_and_b32_e32 v2, 16, v53
	v_cmp_eq_u32_e64 s[8:9], 0, v2
	v_or_b32_e32 v2, 63, v0
	s_cmp_lg_u32 s40, 0
	v_cmp_lt_u32_e64 s[4:5], 31, v53
	v_lshrrev_b32_e32 v54, 6, v0
	v_cmp_eq_u32_e64 s[6:7], v2, v0
	s_cbranch_scc0 .LBB77_65
; %bb.39:
	v_mov_b32_dpp v2, v55 row_shr:1 row_mask:0xf bank_mask:0xf
	v_cndmask_b32_e64 v2, v2, 0, s[16:17]
	v_add_u32_e32 v2, v2, v55
	s_nop 1
	v_mov_b32_dpp v3, v2 row_shr:2 row_mask:0xf bank_mask:0xf
	v_cndmask_b32_e64 v3, 0, v3, s[14:15]
	v_add_u32_e32 v2, v2, v3
	s_nop 1
	;; [unrolled: 4-line block ×4, first 2 shown]
	v_mov_b32_dpp v3, v2 row_bcast:15 row_mask:0xf bank_mask:0xf
	v_cndmask_b32_e64 v3, v3, 0, s[8:9]
	v_add_u32_e32 v2, v2, v3
	s_nop 1
	v_mov_b32_dpp v3, v2 row_bcast:31 row_mask:0xf bank_mask:0xf
	v_cndmask_b32_e64 v3, 0, v3, s[4:5]
	v_add_u32_e32 v2, v2, v3
	s_and_saveexec_b64 s[18:19], s[6:7]
	s_cbranch_execz .LBB77_41
; %bb.40:
	v_lshlrev_b32_e32 v3, 2, v54
	ds_write_b32 v3, v2
.LBB77_41:
	s_or_b64 exec, exec, s[18:19]
	v_cmp_gt_u32_e32 vcc, 4, v0
	s_waitcnt lgkmcnt(0)
	s_barrier
	s_and_saveexec_b64 s[18:19], vcc
	s_cbranch_execz .LBB77_43
; %bb.42:
	ds_read_b32 v3, v1
	v_and_b32_e32 v4, 3, v53
	v_cmp_ne_u32_e32 vcc, 0, v4
	s_waitcnt lgkmcnt(0)
	v_mov_b32_dpp v5, v3 row_shr:1 row_mask:0xf bank_mask:0xf
	v_cndmask_b32_e32 v5, 0, v5, vcc
	v_add_u32_e32 v3, v5, v3
	v_cmp_lt_u32_e32 vcc, 1, v4
	s_nop 0
	v_mov_b32_dpp v5, v3 row_shr:2 row_mask:0xf bank_mask:0xf
	v_cndmask_b32_e32 v4, 0, v5, vcc
	v_add_u32_e32 v3, v3, v4
	ds_write_b32 v1, v3
.LBB77_43:
	s_or_b64 exec, exec, s[18:19]
	v_cmp_gt_u32_e32 vcc, 64, v0
	v_cmp_lt_u32_e64 s[18:19], 63, v0
	s_waitcnt lgkmcnt(0)
	s_barrier
	s_waitcnt lgkmcnt(0)
                                        ; implicit-def: $vgpr12
	s_and_saveexec_b64 s[34:35], s[18:19]
	s_cbranch_execz .LBB77_45
; %bb.44:
	v_lshl_add_u32 v3, v54, 2, -4
	ds_read_b32 v12, v3
	s_waitcnt lgkmcnt(0)
	v_add_u32_e32 v2, v12, v2
.LBB77_45:
	s_or_b64 exec, exec, s[34:35]
	v_add_u32_e32 v3, -1, v53
	v_and_b32_e32 v4, 64, v53
	v_cmp_lt_i32_e64 s[18:19], v3, v4
	v_cndmask_b32_e64 v3, v3, v53, s[18:19]
	v_lshlrev_b32_e32 v3, 2, v3
	ds_bpermute_b32 v13, v3, v2
	v_cmp_eq_u32_e64 s[18:19], 0, v53
	s_and_saveexec_b64 s[34:35], vcc
	s_cbranch_execz .LBB77_64
; %bb.46:
	v_mov_b32_e32 v9, 0
	ds_read_b32 v2, v9 offset:12
	s_and_saveexec_b64 s[36:37], s[18:19]
	s_cbranch_execz .LBB77_48
; %bb.47:
	s_add_i32 s38, s40, 64
	s_mov_b32 s39, 0
	s_lshl_b64 s[38:39], s[38:39], 3
	s_add_u32 s38, s30, s38
	v_mov_b32_e32 v3, 1
	s_addc_u32 s39, s31, s39
	s_waitcnt lgkmcnt(0)
	global_store_dwordx2 v9, v[2:3], s[38:39]
.LBB77_48:
	s_or_b64 exec, exec, s[36:37]
	v_xad_u32 v4, v53, -1, s40
	v_add_u32_e32 v8, 64, v4
	v_lshlrev_b64 v[6:7], 3, v[8:9]
	v_mov_b32_e32 v3, s31
	v_add_co_u32_e32 v10, vcc, s30, v6
	v_addc_co_u32_e32 v11, vcc, v3, v7, vcc
	global_load_dwordx2 v[6:7], v[10:11], off glc
	s_waitcnt vmcnt(0)
	v_cmp_eq_u16_sdwa s[38:39], v7, v9 src0_sel:BYTE_0 src1_sel:DWORD
	s_and_saveexec_b64 s[36:37], s[38:39]
	s_cbranch_execz .LBB77_52
; %bb.49:
	s_mov_b64 s[38:39], 0
	v_mov_b32_e32 v3, 0
.LBB77_50:                              ; =>This Inner Loop Header: Depth=1
	global_load_dwordx2 v[6:7], v[10:11], off glc
	s_waitcnt vmcnt(0)
	v_cmp_ne_u16_sdwa s[42:43], v7, v3 src0_sel:BYTE_0 src1_sel:DWORD
	s_or_b64 s[38:39], s[42:43], s[38:39]
	s_andn2_b64 exec, exec, s[38:39]
	s_cbranch_execnz .LBB77_50
; %bb.51:
	s_or_b64 exec, exec, s[38:39]
.LBB77_52:
	s_or_b64 exec, exec, s[36:37]
	v_and_b32_e32 v14, 63, v53
	v_mov_b32_e32 v3, 2
	v_cmp_ne_u32_e32 vcc, 63, v14
	v_cmp_eq_u16_sdwa s[36:37], v7, v3 src0_sel:BYTE_0 src1_sel:DWORD
	v_lshlrev_b64 v[8:9], v53, -1
	v_addc_co_u32_e32 v11, vcc, 0, v53, vcc
	v_and_b32_e32 v5, s37, v9
	v_lshlrev_b32_e32 v15, 2, v11
	v_or_b32_e32 v5, 0x80000000, v5
	ds_bpermute_b32 v11, v15, v6
	v_and_b32_e32 v10, s36, v8
	v_ffbl_b32_e32 v5, v5
	v_add_u32_e32 v5, 32, v5
	v_ffbl_b32_e32 v10, v10
	v_min_u32_e32 v5, v10, v5
	v_cmp_lt_u32_e32 vcc, v14, v5
	s_waitcnt lgkmcnt(0)
	v_cndmask_b32_e32 v10, 0, v11, vcc
	v_cmp_gt_u32_e32 vcc, 62, v14
	v_add_u32_e32 v6, v10, v6
	v_cndmask_b32_e64 v10, 0, 1, vcc
	v_lshlrev_b32_e32 v10, 1, v10
	v_add_lshl_u32 v16, v10, v53, 2
	ds_bpermute_b32 v10, v16, v6
	v_add_u32_e32 v17, 2, v14
	v_cmp_le_u32_e32 vcc, v17, v5
	v_add_u32_e32 v19, 4, v14
	v_add_u32_e32 v57, 8, v14
	s_waitcnt lgkmcnt(0)
	v_cndmask_b32_e32 v10, 0, v10, vcc
	v_cmp_gt_u32_e32 vcc, 60, v14
	v_add_u32_e32 v6, v6, v10
	v_cndmask_b32_e64 v10, 0, 1, vcc
	v_lshlrev_b32_e32 v10, 2, v10
	v_add_lshl_u32 v18, v10, v53, 2
	ds_bpermute_b32 v10, v18, v6
	v_cmp_le_u32_e32 vcc, v19, v5
	v_add_u32_e32 v60, 16, v14
	v_add_u32_e32 v62, 32, v14
	s_waitcnt lgkmcnt(0)
	v_cndmask_b32_e32 v10, 0, v10, vcc
	v_cmp_gt_u32_e32 vcc, 56, v14
	v_add_u32_e32 v6, v6, v10
	v_cndmask_b32_e64 v10, 0, 1, vcc
	v_lshlrev_b32_e32 v10, 3, v10
	v_add_lshl_u32 v56, v10, v53, 2
	ds_bpermute_b32 v10, v56, v6
	v_cmp_le_u32_e32 vcc, v57, v5
	s_waitcnt lgkmcnt(0)
	v_cndmask_b32_e32 v10, 0, v10, vcc
	v_cmp_gt_u32_e32 vcc, 48, v14
	v_add_u32_e32 v6, v6, v10
	v_cndmask_b32_e64 v10, 0, 1, vcc
	v_lshlrev_b32_e32 v10, 4, v10
	v_add_lshl_u32 v59, v10, v53, 2
	ds_bpermute_b32 v10, v59, v6
	v_cmp_le_u32_e32 vcc, v60, v5
	;; [unrolled: 9-line block ×3, first 2 shown]
	s_waitcnt lgkmcnt(0)
	v_cndmask_b32_e32 v5, 0, v10, vcc
	v_add_u32_e32 v6, v6, v5
	v_mov_b32_e32 v5, 0
	s_branch .LBB77_54
.LBB77_53:                              ;   in Loop: Header=BB77_54 Depth=1
	s_or_b64 exec, exec, s[36:37]
	v_cmp_eq_u16_sdwa s[36:37], v7, v3 src0_sel:BYTE_0 src1_sel:DWORD
	v_and_b32_e32 v10, s37, v9
	v_or_b32_e32 v10, 0x80000000, v10
	ds_bpermute_b32 v63, v15, v6
	v_and_b32_e32 v11, s36, v8
	v_ffbl_b32_e32 v10, v10
	v_add_u32_e32 v10, 32, v10
	v_ffbl_b32_e32 v11, v11
	v_min_u32_e32 v10, v11, v10
	v_cmp_lt_u32_e32 vcc, v14, v10
	s_waitcnt lgkmcnt(0)
	v_cndmask_b32_e32 v11, 0, v63, vcc
	v_add_u32_e32 v6, v11, v6
	ds_bpermute_b32 v11, v16, v6
	v_cmp_le_u32_e32 vcc, v17, v10
	v_subrev_u32_e32 v4, 64, v4
	s_waitcnt lgkmcnt(0)
	v_cndmask_b32_e32 v11, 0, v11, vcc
	v_add_u32_e32 v6, v6, v11
	ds_bpermute_b32 v11, v18, v6
	v_cmp_le_u32_e32 vcc, v19, v10
	s_waitcnt lgkmcnt(0)
	v_cndmask_b32_e32 v11, 0, v11, vcc
	v_add_u32_e32 v6, v6, v11
	ds_bpermute_b32 v11, v56, v6
	v_cmp_le_u32_e32 vcc, v57, v10
	;; [unrolled: 5-line block ×4, first 2 shown]
	s_waitcnt lgkmcnt(0)
	v_cndmask_b32_e32 v10, 0, v11, vcc
	v_add3_u32 v6, v10, v58, v6
.LBB77_54:                              ; =>This Loop Header: Depth=1
                                        ;     Child Loop BB77_57 Depth 2
	v_cmp_ne_u16_sdwa s[36:37], v7, v3 src0_sel:BYTE_0 src1_sel:DWORD
	v_cndmask_b32_e64 v7, 0, 1, s[36:37]
	;;#ASMSTART
	;;#ASMEND
	v_cmp_ne_u32_e32 vcc, 0, v7
	s_cmp_lg_u64 vcc, exec
	v_mov_b32_e32 v58, v6
	s_cbranch_scc1 .LBB77_59
; %bb.55:                               ;   in Loop: Header=BB77_54 Depth=1
	v_lshlrev_b64 v[6:7], 3, v[4:5]
	v_mov_b32_e32 v11, s31
	v_add_co_u32_e32 v10, vcc, s30, v6
	v_addc_co_u32_e32 v11, vcc, v11, v7, vcc
	global_load_dwordx2 v[6:7], v[10:11], off glc
	s_waitcnt vmcnt(0)
	v_cmp_eq_u16_sdwa s[38:39], v7, v5 src0_sel:BYTE_0 src1_sel:DWORD
	s_and_saveexec_b64 s[36:37], s[38:39]
	s_cbranch_execz .LBB77_53
; %bb.56:                               ;   in Loop: Header=BB77_54 Depth=1
	s_mov_b64 s[38:39], 0
.LBB77_57:                              ;   Parent Loop BB77_54 Depth=1
                                        ; =>  This Inner Loop Header: Depth=2
	global_load_dwordx2 v[6:7], v[10:11], off glc
	s_waitcnt vmcnt(0)
	v_cmp_ne_u16_sdwa s[42:43], v7, v5 src0_sel:BYTE_0 src1_sel:DWORD
	s_or_b64 s[38:39], s[42:43], s[38:39]
	s_andn2_b64 exec, exec, s[38:39]
	s_cbranch_execnz .LBB77_57
; %bb.58:                               ;   in Loop: Header=BB77_54 Depth=1
	s_or_b64 exec, exec, s[38:39]
	s_branch .LBB77_53
.LBB77_59:                              ;   in Loop: Header=BB77_54 Depth=1
                                        ; implicit-def: $vgpr6
                                        ; implicit-def: $vgpr7
	s_cbranch_execz .LBB77_54
; %bb.60:
	s_and_saveexec_b64 s[36:37], s[18:19]
	s_cbranch_execz .LBB77_62
; %bb.61:
	s_add_i32 s38, s40, 64
	s_mov_b32 s39, 0
	s_lshl_b64 s[38:39], s[38:39], 3
	s_add_u32 s38, s30, s38
	v_add_u32_e32 v4, v58, v2
	v_mov_b32_e32 v5, 2
	s_addc_u32 s39, s31, s39
	v_mov_b32_e32 v3, 0
	global_store_dwordx2 v3, v[4:5], s[38:39]
	s_movk_i32 s38, 0x3400
	v_add_u32_e64 v3, s38, 0
	ds_write2_b32 v3, v2, v58 offset1:2
.LBB77_62:
	s_or_b64 exec, exec, s[36:37]
	s_and_b64 exec, exec, s[0:1]
	s_cbranch_execz .LBB77_64
; %bb.63:
	v_mov_b32_e32 v2, 0
	ds_write_b32 v2, v58 offset:12
.LBB77_64:
	s_or_b64 exec, exec, s[34:35]
	v_mov_b32_e32 v2, 0
	s_waitcnt lgkmcnt(0)
	s_barrier
	ds_read_b32 v2, v2 offset:12
	v_cndmask_b32_e64 v3, v13, v12, s[18:19]
	v_cndmask_b32_e64 v3, v3, 0, s[0:1]
	s_movk_i32 s18, 0x3400
	v_add_u32_e64 v12, s18, 0
	s_waitcnt lgkmcnt(0)
	v_add_u32_e32 v2, v2, v3
	v_add_u32_e32 v3, v2, v44
	;; [unrolled: 1-line block ×9, first 2 shown]
	s_barrier
	ds_read2_b32 v[18:19], v12 offset1:2
	v_add_u32_e32 v11, v10, v50
	v_add_u32_e32 v12, v11, v51
	;; [unrolled: 1-line block ×4, first 2 shown]
	s_branch .LBB77_75
.LBB77_65:
                                        ; implicit-def: $vgpr19
                                        ; implicit-def: $vgpr2_vgpr3_vgpr4_vgpr5_vgpr6_vgpr7_vgpr8_vgpr9_vgpr10_vgpr11_vgpr12_vgpr13_vgpr14_vgpr15_vgpr16_vgpr17
	s_cbranch_execz .LBB77_75
; %bb.66:
	s_nop 0
	v_mov_b32_dpp v2, v55 row_shr:1 row_mask:0xf bank_mask:0xf
	v_cndmask_b32_e64 v2, v2, 0, s[16:17]
	v_add_u32_e32 v2, v2, v55
	s_nop 1
	v_mov_b32_dpp v3, v2 row_shr:2 row_mask:0xf bank_mask:0xf
	v_cndmask_b32_e64 v3, 0, v3, s[14:15]
	v_add_u32_e32 v2, v2, v3
	;; [unrolled: 4-line block ×4, first 2 shown]
	s_nop 1
	v_mov_b32_dpp v3, v2 row_bcast:15 row_mask:0xf bank_mask:0xf
	v_cndmask_b32_e64 v3, v3, 0, s[8:9]
	v_add_u32_e32 v2, v2, v3
	s_nop 1
	v_mov_b32_dpp v3, v2 row_bcast:31 row_mask:0xf bank_mask:0xf
	v_cndmask_b32_e64 v3, 0, v3, s[4:5]
	v_add_u32_e32 v2, v2, v3
	s_and_saveexec_b64 s[4:5], s[6:7]
	s_cbranch_execz .LBB77_68
; %bb.67:
	v_lshlrev_b32_e32 v3, 2, v54
	ds_write_b32 v3, v2
.LBB77_68:
	s_or_b64 exec, exec, s[4:5]
	v_cmp_gt_u32_e32 vcc, 4, v0
	s_waitcnt lgkmcnt(0)
	s_barrier
	s_and_saveexec_b64 s[4:5], vcc
	s_cbranch_execz .LBB77_70
; %bb.69:
	ds_read_b32 v3, v1
	v_and_b32_e32 v4, 3, v53
	v_cmp_ne_u32_e32 vcc, 0, v4
	s_waitcnt lgkmcnt(0)
	v_mov_b32_dpp v5, v3 row_shr:1 row_mask:0xf bank_mask:0xf
	v_cndmask_b32_e32 v5, 0, v5, vcc
	v_add_u32_e32 v3, v5, v3
	v_cmp_lt_u32_e32 vcc, 1, v4
	s_nop 0
	v_mov_b32_dpp v5, v3 row_shr:2 row_mask:0xf bank_mask:0xf
	v_cndmask_b32_e32 v4, 0, v5, vcc
	v_add_u32_e32 v3, v3, v4
	ds_write_b32 v1, v3
.LBB77_70:
	s_or_b64 exec, exec, s[4:5]
	v_cmp_lt_u32_e32 vcc, 63, v0
	v_mov_b32_e32 v4, 0
	v_mov_b32_e32 v3, 0
	s_waitcnt lgkmcnt(0)
	s_barrier
	s_and_saveexec_b64 s[4:5], vcc
	s_cbranch_execz .LBB77_72
; %bb.71:
	v_lshl_add_u32 v3, v54, 2, -4
	ds_read_b32 v3, v3
.LBB77_72:
	s_or_b64 exec, exec, s[4:5]
	v_add_u32_e32 v5, -1, v53
	v_and_b32_e32 v6, 64, v53
	v_cmp_lt_i32_e32 vcc, v5, v6
	v_cndmask_b32_e32 v5, v5, v53, vcc
	s_waitcnt lgkmcnt(0)
	v_add_u32_e32 v2, v3, v2
	v_lshlrev_b32_e32 v5, 2, v5
	ds_bpermute_b32 v2, v5, v2
	ds_read_b32 v18, v4 offset:12
	s_and_saveexec_b64 s[4:5], s[0:1]
	s_cbranch_execz .LBB77_74
; %bb.73:
	v_mov_b32_e32 v4, 0
	v_mov_b32_e32 v19, 2
	s_waitcnt lgkmcnt(0)
	global_store_dwordx2 v4, v[18:19], s[30:31] offset:512
.LBB77_74:
	s_or_b64 exec, exec, s[4:5]
	v_cmp_eq_u32_e32 vcc, 0, v53
	s_waitcnt lgkmcnt(1)
	v_cndmask_b32_e32 v2, v2, v3, vcc
	v_cndmask_b32_e64 v2, v2, 0, s[0:1]
	v_add_u32_e32 v3, v2, v44
	v_add_u32_e32 v4, v3, v45
	;; [unrolled: 1-line block ×11, first 2 shown]
	v_mov_b32_e32 v19, 0
	v_add_u32_e32 v14, v13, v41
	s_waitcnt lgkmcnt(0)
	s_barrier
.LBB77_75:
	s_waitcnt lgkmcnt(0)
	v_add_u32_e32 v36, v18, v36
	v_sub_u32_e32 v2, v2, v19
	v_and_b32_e32 v45, 1, v40
	v_sub_u32_e32 v44, v36, v2
	v_cmp_eq_u32_e32 vcc, 1, v45
	v_cndmask_b32_e32 v2, v44, v2, vcc
	v_lshlrev_b32_e32 v2, 2, v2
	v_lshrrev_b32_e32 v17, 8, v40
	ds_write_b32 v2, v32
	v_sub_u32_e32 v2, v3, v19
	v_sub_u32_e32 v3, v36, v2
	v_and_b32_e32 v17, 1, v17
	v_add_u32_e32 v3, 1, v3
	v_cmp_eq_u32_e32 vcc, 1, v17
	v_cndmask_b32_e32 v2, v3, v2, vcc
	v_lshlrev_b32_e32 v2, 2, v2
	ds_write_b32 v2, v33
	v_sub_u32_e32 v2, v4, v19
	v_mov_b32_e32 v4, 1
	v_sub_u32_e32 v3, v36, v2
	v_and_b32_sdwa v17, v4, v40 dst_sel:DWORD dst_unused:UNUSED_PAD src0_sel:DWORD src1_sel:WORD_1
	v_add_u32_e32 v3, 2, v3
	v_cmp_eq_u32_e32 vcc, 1, v17
	v_cndmask_b32_e32 v2, v3, v2, vcc
	v_lshlrev_b32_e32 v2, 2, v2
	ds_write_b32 v2, v30
	v_sub_u32_e32 v2, v5, v19
	v_sub_u32_e32 v3, v36, v2
	v_and_b32_e32 v5, 1, v43
	v_add_u32_e32 v3, 3, v3
	v_cmp_eq_u32_e32 vcc, 1, v5
	v_cndmask_b32_e32 v2, v3, v2, vcc
	v_lshlrev_b32_e32 v2, 2, v2
	ds_write_b32 v2, v31
	v_sub_u32_e32 v2, v6, v19
	v_sub_u32_e32 v3, v36, v2
	v_and_b32_e32 v5, 1, v39
	v_add_u32_e32 v3, 4, v3
	v_cmp_eq_u32_e32 vcc, 1, v5
	v_cndmask_b32_e32 v2, v3, v2, vcc
	v_lshlrev_b32_e32 v2, 2, v2
	v_lshrrev_b32_e32 v16, 8, v39
	ds_write_b32 v2, v28
	v_sub_u32_e32 v2, v7, v19
	v_sub_u32_e32 v3, v36, v2
	v_and_b32_e32 v5, 1, v16
	v_add_u32_e32 v3, 5, v3
	v_cmp_eq_u32_e32 vcc, 1, v5
	v_cndmask_b32_e32 v2, v3, v2, vcc
	v_lshlrev_b32_e32 v2, 2, v2
	ds_write_b32 v2, v29
	v_sub_u32_e32 v2, v8, v19
	v_sub_u32_e32 v3, v36, v2
	v_and_b32_sdwa v5, v4, v39 dst_sel:DWORD dst_unused:UNUSED_PAD src0_sel:DWORD src1_sel:WORD_1
	v_add_u32_e32 v3, 6, v3
	v_cmp_eq_u32_e32 vcc, 1, v5
	v_cndmask_b32_e32 v2, v3, v2, vcc
	v_lshlrev_b32_e32 v2, 2, v2
	ds_write_b32 v2, v26
	v_sub_u32_e32 v2, v9, v19
	v_sub_u32_e32 v3, v36, v2
	v_and_b32_e32 v5, 1, v42
	v_add_u32_e32 v3, 7, v3
	v_cmp_eq_u32_e32 vcc, 1, v5
	v_cndmask_b32_e32 v2, v3, v2, vcc
	v_lshlrev_b32_e32 v2, 2, v2
	ds_write_b32 v2, v27
	v_sub_u32_e32 v2, v10, v19
	v_sub_u32_e32 v3, v36, v2
	v_and_b32_e32 v5, 1, v38
	v_add_u32_e32 v3, 8, v3
	v_cmp_eq_u32_e32 vcc, 1, v5
	v_cndmask_b32_e32 v2, v3, v2, vcc
	v_lshlrev_b32_e32 v2, 2, v2
	v_lshrrev_b32_e32 v15, 8, v38
	ds_write_b32 v2, v24
	v_sub_u32_e32 v2, v11, v19
	v_sub_u32_e32 v3, v36, v2
	v_and_b32_e32 v5, 1, v15
	v_add_u32_e32 v3, 9, v3
	v_cmp_eq_u32_e32 vcc, 1, v5
	v_cndmask_b32_e32 v2, v3, v2, vcc
	v_lshlrev_b32_e32 v2, 2, v2
	ds_write_b32 v2, v25
	v_sub_u32_e32 v2, v12, v19
	v_sub_u32_e32 v3, v36, v2
	v_and_b32_sdwa v4, v4, v38 dst_sel:DWORD dst_unused:UNUSED_PAD src0_sel:DWORD src1_sel:WORD_1
	v_add_u32_e32 v3, 10, v3
	v_cmp_eq_u32_e32 vcc, 1, v4
	v_cndmask_b32_e32 v2, v3, v2, vcc
	v_lshlrev_b32_e32 v2, 2, v2
	ds_write_b32 v2, v22
	v_sub_u32_e32 v2, v13, v19
	v_sub_u32_e32 v3, v36, v2
	v_and_b32_e32 v4, 1, v41
	v_add_u32_e32 v3, 11, v3
	v_cmp_eq_u32_e32 vcc, 1, v4
	v_cndmask_b32_e32 v2, v3, v2, vcc
	v_lshlrev_b32_e32 v2, 2, v2
	ds_write_b32 v2, v23
	v_sub_u32_e32 v2, v14, v19
	v_sub_u32_e32 v3, v36, v2
	v_and_b32_e32 v4, 1, v37
	v_add_u32_e32 v3, 12, v3
	v_cmp_eq_u32_e32 vcc, 1, v4
	v_cndmask_b32_e32 v2, v3, v2, vcc
	v_lshlrev_b32_e32 v2, 2, v2
	ds_write_b32 v2, v35
	s_waitcnt lgkmcnt(0)
	s_barrier
	ds_read2st64_b32 v[12:13], v1 offset1:4
	ds_read2st64_b32 v[10:11], v1 offset0:8 offset1:12
	ds_read2st64_b32 v[8:9], v1 offset0:16 offset1:20
	ds_read2st64_b32 v[6:7], v1 offset0:24 offset1:28
	ds_read2st64_b32 v[4:5], v1 offset0:32 offset1:36
	ds_read2st64_b32 v[2:3], v1 offset0:40 offset1:44
	ds_read_b32 v17, v1 offset:12288
	s_waitcnt vmcnt(0)
	v_add_co_u32_e32 v1, vcc, v20, v19
	v_addc_co_u32_e32 v16, vcc, 0, v21, vcc
	v_mov_b32_e32 v14, s29
	v_add_co_u32_e32 v15, vcc, s28, v34
	v_addc_co_u32_e32 v14, vcc, 0, v14, vcc
	v_mov_b32_e32 v19, s27
	v_sub_co_u32_e32 v15, vcc, s26, v15
	v_subb_co_u32_e32 v14, vcc, v19, v14, vcc
	v_add_co_u32_e32 v15, vcc, v15, v18
	v_addc_co_u32_e32 v14, vcc, 0, v14, vcc
	s_and_b64 vcc, exec, s[2:3]
	v_add_co_u32_e64 v19, s[2:3], v15, v1
	v_or_b32_e32 v33, 0x100, v0
	v_or_b32_e32 v32, 0x200, v0
	;; [unrolled: 1-line block ×12, first 2 shown]
	v_addc_co_u32_e64 v20, s[2:3], v14, v16, s[2:3]
	s_cbranch_vccnz .LBB77_132
; %bb.76:
	v_cmp_ge_u32_e32 vcc, v0, v18
                                        ; implicit-def: $vgpr14_vgpr15
	s_and_saveexec_b64 s[2:3], vcc
	s_xor_b64 s[2:3], exec, s[2:3]
; %bb.77:
	v_not_b32_e32 v14, v0
	v_ashrrev_i32_e32 v15, 31, v14
	v_add_co_u32_e32 v14, vcc, v19, v14
	v_addc_co_u32_e32 v15, vcc, v20, v15, vcc
; %bb.78:
	s_andn2_saveexec_b64 s[2:3], s[2:3]
; %bb.79:
	v_add_co_u32_e32 v14, vcc, v1, v0
	v_addc_co_u32_e32 v15, vcc, 0, v16, vcc
; %bb.80:
	s_or_b64 exec, exec, s[2:3]
	v_lshlrev_b64 v[14:15], 2, v[14:15]
	v_mov_b32_e32 v21, s25
	v_add_co_u32_e32 v14, vcc, s24, v14
	v_addc_co_u32_e32 v15, vcc, v21, v15, vcc
	v_cmp_ge_u32_e32 vcc, v33, v18
	s_waitcnt lgkmcnt(6)
	global_store_dword v[14:15], v12, off
                                        ; implicit-def: $vgpr14_vgpr15
	s_and_saveexec_b64 s[2:3], vcc
	s_xor_b64 s[2:3], exec, s[2:3]
; %bb.81:
	v_xor_b32_e32 v14, 0xfffffeff, v0
	v_ashrrev_i32_e32 v15, 31, v14
	v_add_co_u32_e32 v14, vcc, v19, v14
	v_addc_co_u32_e32 v15, vcc, v20, v15, vcc
; %bb.82:
	s_andn2_saveexec_b64 s[2:3], s[2:3]
; %bb.83:
	v_add_co_u32_e32 v14, vcc, v1, v33
	v_addc_co_u32_e32 v15, vcc, 0, v16, vcc
; %bb.84:
	s_or_b64 exec, exec, s[2:3]
	v_lshlrev_b64 v[14:15], 2, v[14:15]
	v_mov_b32_e32 v21, s25
	v_add_co_u32_e32 v14, vcc, s24, v14
	v_addc_co_u32_e32 v15, vcc, v21, v15, vcc
	v_cmp_ge_u32_e32 vcc, v32, v18
	global_store_dword v[14:15], v13, off
                                        ; implicit-def: $vgpr14_vgpr15
	s_and_saveexec_b64 s[2:3], vcc
	s_xor_b64 s[2:3], exec, s[2:3]
; %bb.85:
	v_xor_b32_e32 v14, 0xfffffdff, v0
	v_ashrrev_i32_e32 v15, 31, v14
	v_add_co_u32_e32 v14, vcc, v19, v14
	v_addc_co_u32_e32 v15, vcc, v20, v15, vcc
; %bb.86:
	s_andn2_saveexec_b64 s[2:3], s[2:3]
; %bb.87:
	v_add_co_u32_e32 v14, vcc, v1, v32
	v_addc_co_u32_e32 v15, vcc, 0, v16, vcc
; %bb.88:
	s_or_b64 exec, exec, s[2:3]
	v_lshlrev_b64 v[14:15], 2, v[14:15]
	v_mov_b32_e32 v21, s25
	v_add_co_u32_e32 v14, vcc, s24, v14
	v_addc_co_u32_e32 v15, vcc, v21, v15, vcc
	v_cmp_ge_u32_e32 vcc, v31, v18
	s_waitcnt lgkmcnt(5)
	global_store_dword v[14:15], v10, off
                                        ; implicit-def: $vgpr14_vgpr15
	s_and_saveexec_b64 s[2:3], vcc
	s_xor_b64 s[2:3], exec, s[2:3]
; %bb.89:
	v_xor_b32_e32 v14, 0xfffffcff, v0
	v_ashrrev_i32_e32 v15, 31, v14
	v_add_co_u32_e32 v14, vcc, v19, v14
	v_addc_co_u32_e32 v15, vcc, v20, v15, vcc
; %bb.90:
	s_andn2_saveexec_b64 s[2:3], s[2:3]
; %bb.91:
	v_add_co_u32_e32 v14, vcc, v1, v31
	v_addc_co_u32_e32 v15, vcc, 0, v16, vcc
; %bb.92:
	s_or_b64 exec, exec, s[2:3]
	v_lshlrev_b64 v[14:15], 2, v[14:15]
	v_mov_b32_e32 v21, s25
	v_add_co_u32_e32 v14, vcc, s24, v14
	v_addc_co_u32_e32 v15, vcc, v21, v15, vcc
	v_cmp_ge_u32_e32 vcc, v30, v18
	global_store_dword v[14:15], v11, off
                                        ; implicit-def: $vgpr14_vgpr15
	s_and_saveexec_b64 s[2:3], vcc
	s_xor_b64 s[2:3], exec, s[2:3]
; %bb.93:
	v_xor_b32_e32 v14, 0xfffffbff, v0
	v_ashrrev_i32_e32 v15, 31, v14
	v_add_co_u32_e32 v14, vcc, v19, v14
	v_addc_co_u32_e32 v15, vcc, v20, v15, vcc
; %bb.94:
	s_andn2_saveexec_b64 s[2:3], s[2:3]
; %bb.95:
	v_add_co_u32_e32 v14, vcc, v1, v30
	v_addc_co_u32_e32 v15, vcc, 0, v16, vcc
; %bb.96:
	s_or_b64 exec, exec, s[2:3]
	v_lshlrev_b64 v[14:15], 2, v[14:15]
	v_mov_b32_e32 v21, s25
	v_add_co_u32_e32 v14, vcc, s24, v14
	v_addc_co_u32_e32 v15, vcc, v21, v15, vcc
	v_cmp_ge_u32_e32 vcc, v29, v18
	s_waitcnt lgkmcnt(4)
	global_store_dword v[14:15], v8, off
                                        ; implicit-def: $vgpr14_vgpr15
	s_and_saveexec_b64 s[2:3], vcc
	s_xor_b64 s[2:3], exec, s[2:3]
; %bb.97:
	v_xor_b32_e32 v14, 0xfffffaff, v0
	v_ashrrev_i32_e32 v15, 31, v14
	v_add_co_u32_e32 v14, vcc, v19, v14
	v_addc_co_u32_e32 v15, vcc, v20, v15, vcc
; %bb.98:
	s_andn2_saveexec_b64 s[2:3], s[2:3]
; %bb.99:
	v_add_co_u32_e32 v14, vcc, v1, v29
	v_addc_co_u32_e32 v15, vcc, 0, v16, vcc
; %bb.100:
	s_or_b64 exec, exec, s[2:3]
	v_lshlrev_b64 v[14:15], 2, v[14:15]
	v_mov_b32_e32 v21, s25
	v_add_co_u32_e32 v14, vcc, s24, v14
	v_addc_co_u32_e32 v15, vcc, v21, v15, vcc
	v_cmp_ge_u32_e32 vcc, v28, v18
	global_store_dword v[14:15], v9, off
                                        ; implicit-def: $vgpr14_vgpr15
	s_and_saveexec_b64 s[2:3], vcc
	s_xor_b64 s[2:3], exec, s[2:3]
; %bb.101:
	v_xor_b32_e32 v14, 0xfffff9ff, v0
	v_ashrrev_i32_e32 v15, 31, v14
	v_add_co_u32_e32 v14, vcc, v19, v14
	v_addc_co_u32_e32 v15, vcc, v20, v15, vcc
; %bb.102:
	s_andn2_saveexec_b64 s[2:3], s[2:3]
; %bb.103:
	v_add_co_u32_e32 v14, vcc, v1, v28
	v_addc_co_u32_e32 v15, vcc, 0, v16, vcc
; %bb.104:
	s_or_b64 exec, exec, s[2:3]
	v_lshlrev_b64 v[14:15], 2, v[14:15]
	v_mov_b32_e32 v21, s25
	v_add_co_u32_e32 v14, vcc, s24, v14
	v_addc_co_u32_e32 v15, vcc, v21, v15, vcc
	v_cmp_ge_u32_e32 vcc, v27, v18
	s_waitcnt lgkmcnt(3)
	global_store_dword v[14:15], v6, off
                                        ; implicit-def: $vgpr14_vgpr15
	s_and_saveexec_b64 s[2:3], vcc
	s_xor_b64 s[2:3], exec, s[2:3]
; %bb.105:
	v_xor_b32_e32 v14, 0xfffff8ff, v0
	v_ashrrev_i32_e32 v15, 31, v14
	v_add_co_u32_e32 v14, vcc, v19, v14
	v_addc_co_u32_e32 v15, vcc, v20, v15, vcc
; %bb.106:
	s_andn2_saveexec_b64 s[2:3], s[2:3]
; %bb.107:
	v_add_co_u32_e32 v14, vcc, v1, v27
	v_addc_co_u32_e32 v15, vcc, 0, v16, vcc
; %bb.108:
	s_or_b64 exec, exec, s[2:3]
	v_lshlrev_b64 v[14:15], 2, v[14:15]
	v_mov_b32_e32 v21, s25
	v_add_co_u32_e32 v14, vcc, s24, v14
	v_addc_co_u32_e32 v15, vcc, v21, v15, vcc
	v_cmp_ge_u32_e32 vcc, v26, v18
	global_store_dword v[14:15], v7, off
                                        ; implicit-def: $vgpr14_vgpr15
	s_and_saveexec_b64 s[2:3], vcc
	s_xor_b64 s[2:3], exec, s[2:3]
; %bb.109:
	v_xor_b32_e32 v14, 0xfffff7ff, v0
	v_ashrrev_i32_e32 v15, 31, v14
	v_add_co_u32_e32 v14, vcc, v19, v14
	v_addc_co_u32_e32 v15, vcc, v20, v15, vcc
; %bb.110:
	s_andn2_saveexec_b64 s[2:3], s[2:3]
; %bb.111:
	v_add_co_u32_e32 v14, vcc, v1, v26
	v_addc_co_u32_e32 v15, vcc, 0, v16, vcc
; %bb.112:
	s_or_b64 exec, exec, s[2:3]
	v_lshlrev_b64 v[14:15], 2, v[14:15]
	v_mov_b32_e32 v21, s25
	v_add_co_u32_e32 v14, vcc, s24, v14
	v_addc_co_u32_e32 v15, vcc, v21, v15, vcc
	v_cmp_ge_u32_e32 vcc, v25, v18
	s_waitcnt lgkmcnt(2)
	global_store_dword v[14:15], v4, off
                                        ; implicit-def: $vgpr14_vgpr15
	s_and_saveexec_b64 s[2:3], vcc
	s_xor_b64 s[2:3], exec, s[2:3]
; %bb.113:
	v_xor_b32_e32 v14, 0xfffff6ff, v0
	v_ashrrev_i32_e32 v15, 31, v14
	v_add_co_u32_e32 v14, vcc, v19, v14
	v_addc_co_u32_e32 v15, vcc, v20, v15, vcc
; %bb.114:
	s_andn2_saveexec_b64 s[2:3], s[2:3]
; %bb.115:
	v_add_co_u32_e32 v14, vcc, v1, v25
	v_addc_co_u32_e32 v15, vcc, 0, v16, vcc
; %bb.116:
	s_or_b64 exec, exec, s[2:3]
	v_lshlrev_b64 v[14:15], 2, v[14:15]
	v_mov_b32_e32 v21, s25
	v_add_co_u32_e32 v14, vcc, s24, v14
	v_addc_co_u32_e32 v15, vcc, v21, v15, vcc
	v_cmp_ge_u32_e32 vcc, v24, v18
	global_store_dword v[14:15], v5, off
                                        ; implicit-def: $vgpr14_vgpr15
	s_and_saveexec_b64 s[2:3], vcc
	s_xor_b64 s[2:3], exec, s[2:3]
; %bb.117:
	v_xor_b32_e32 v14, 0xfffff5ff, v0
	v_ashrrev_i32_e32 v15, 31, v14
	v_add_co_u32_e32 v14, vcc, v19, v14
	v_addc_co_u32_e32 v15, vcc, v20, v15, vcc
; %bb.118:
	s_andn2_saveexec_b64 s[2:3], s[2:3]
; %bb.119:
	v_add_co_u32_e32 v14, vcc, v1, v24
	v_addc_co_u32_e32 v15, vcc, 0, v16, vcc
; %bb.120:
	s_or_b64 exec, exec, s[2:3]
	v_lshlrev_b64 v[14:15], 2, v[14:15]
	v_mov_b32_e32 v21, s25
	v_add_co_u32_e32 v14, vcc, s24, v14
	v_addc_co_u32_e32 v15, vcc, v21, v15, vcc
	v_cmp_ge_u32_e32 vcc, v23, v18
	s_waitcnt lgkmcnt(1)
	global_store_dword v[14:15], v2, off
                                        ; implicit-def: $vgpr14_vgpr15
	s_and_saveexec_b64 s[2:3], vcc
	s_xor_b64 s[2:3], exec, s[2:3]
; %bb.121:
	v_xor_b32_e32 v14, 0xfffff4ff, v0
	v_ashrrev_i32_e32 v15, 31, v14
	v_add_co_u32_e32 v14, vcc, v19, v14
	v_addc_co_u32_e32 v15, vcc, v20, v15, vcc
; %bb.122:
	s_andn2_saveexec_b64 s[2:3], s[2:3]
; %bb.123:
	v_add_co_u32_e32 v14, vcc, v1, v23
	v_addc_co_u32_e32 v15, vcc, 0, v16, vcc
; %bb.124:
	s_or_b64 exec, exec, s[2:3]
	v_lshlrev_b64 v[14:15], 2, v[14:15]
	v_mov_b32_e32 v21, s25
	v_add_co_u32_e32 v14, vcc, s24, v14
	v_addc_co_u32_e32 v15, vcc, v21, v15, vcc
	v_cmp_ge_u32_e32 vcc, v22, v18
	global_store_dword v[14:15], v3, off
                                        ; implicit-def: $vgpr14_vgpr15
	s_and_saveexec_b64 s[2:3], vcc
	s_xor_b64 s[2:3], exec, s[2:3]
; %bb.125:
	v_xor_b32_e32 v14, 0xfffff3ff, v0
	v_ashrrev_i32_e32 v15, 31, v14
	v_add_co_u32_e32 v14, vcc, v19, v14
	v_addc_co_u32_e32 v15, vcc, v20, v15, vcc
; %bb.126:
	s_andn2_saveexec_b64 s[2:3], s[2:3]
; %bb.127:
	v_add_co_u32_e32 v14, vcc, v1, v22
	v_addc_co_u32_e32 v15, vcc, 0, v16, vcc
; %bb.128:
	s_or_b64 exec, exec, s[2:3]
	s_mov_b64 s[2:3], -1
.LBB77_129:
	s_and_saveexec_b64 s[4:5], s[2:3]
	s_cbranch_execz .LBB77_212
.LBB77_130:
	s_waitcnt lgkmcnt(1)
	v_lshlrev_b64 v[2:3], 2, v[14:15]
	v_mov_b32_e32 v0, s25
	v_add_co_u32_e32 v2, vcc, s24, v2
	v_addc_co_u32_e32 v3, vcc, v0, v3, vcc
	s_waitcnt lgkmcnt(0)
	global_store_dword v[2:3], v17, off
	s_or_b64 exec, exec, s[4:5]
	s_and_b64 s[0:1], s[0:1], s[22:23]
	s_and_saveexec_b64 s[2:3], s[0:1]
	s_cbranch_execnz .LBB77_213
.LBB77_131:
	s_endpgm
.LBB77_132:
	s_mov_b64 s[2:3], 0
                                        ; implicit-def: $vgpr14_vgpr15
	s_cbranch_execz .LBB77_129
; %bb.133:
	v_cmp_gt_u32_e32 vcc, s33, v0
	s_and_saveexec_b64 s[4:5], vcc
	s_cbranch_execz .LBB77_169
; %bb.134:
	v_cmp_ge_u32_e32 vcc, v0, v18
                                        ; implicit-def: $vgpr14_vgpr15
	s_and_saveexec_b64 s[6:7], vcc
	s_xor_b64 s[6:7], exec, s[6:7]
; %bb.135:
	v_not_b32_e32 v14, v0
	v_ashrrev_i32_e32 v15, 31, v14
	v_add_co_u32_e32 v14, vcc, v19, v14
	v_addc_co_u32_e32 v15, vcc, v20, v15, vcc
; %bb.136:
	s_andn2_saveexec_b64 s[6:7], s[6:7]
; %bb.137:
	v_add_co_u32_e32 v14, vcc, v1, v0
	v_addc_co_u32_e32 v15, vcc, 0, v16, vcc
; %bb.138:
	s_or_b64 exec, exec, s[6:7]
	v_lshlrev_b64 v[14:15], 2, v[14:15]
	v_mov_b32_e32 v21, s25
	v_add_co_u32_e32 v14, vcc, s24, v14
	v_addc_co_u32_e32 v15, vcc, v21, v15, vcc
	s_waitcnt lgkmcnt(6)
	global_store_dword v[14:15], v12, off
	s_or_b64 exec, exec, s[4:5]
	v_cmp_gt_u32_e32 vcc, s33, v33
	s_and_saveexec_b64 s[4:5], vcc
	s_cbranch_execnz .LBB77_170
.LBB77_139:
	s_or_b64 exec, exec, s[4:5]
	v_cmp_gt_u32_e32 vcc, s33, v32
	s_and_saveexec_b64 s[4:5], vcc
	s_cbranch_execz .LBB77_175
.LBB77_140:
	v_cmp_ge_u32_e32 vcc, v32, v18
                                        ; implicit-def: $vgpr12_vgpr13
	s_and_saveexec_b64 s[6:7], vcc
	s_xor_b64 s[6:7], exec, s[6:7]
	s_cbranch_execz .LBB77_142
; %bb.141:
	s_waitcnt lgkmcnt(6)
	v_xor_b32_e32 v12, 0xfffffdff, v0
	v_ashrrev_i32_e32 v13, 31, v12
	v_add_co_u32_e32 v12, vcc, v19, v12
	v_addc_co_u32_e32 v13, vcc, v20, v13, vcc
                                        ; implicit-def: $vgpr32
.LBB77_142:
	s_andn2_saveexec_b64 s[6:7], s[6:7]
	s_cbranch_execz .LBB77_144
; %bb.143:
	s_waitcnt lgkmcnt(6)
	v_add_co_u32_e32 v12, vcc, v1, v32
	v_addc_co_u32_e32 v13, vcc, 0, v16, vcc
.LBB77_144:
	s_or_b64 exec, exec, s[6:7]
	s_waitcnt lgkmcnt(6)
	v_lshlrev_b64 v[12:13], 2, v[12:13]
	v_mov_b32_e32 v14, s25
	v_add_co_u32_e32 v12, vcc, s24, v12
	v_addc_co_u32_e32 v13, vcc, v14, v13, vcc
	s_waitcnt lgkmcnt(5)
	global_store_dword v[12:13], v10, off
	s_or_b64 exec, exec, s[4:5]
	v_cmp_gt_u32_e32 vcc, s33, v31
	s_and_saveexec_b64 s[4:5], vcc
	s_cbranch_execnz .LBB77_176
.LBB77_145:
	s_or_b64 exec, exec, s[4:5]
	v_cmp_gt_u32_e32 vcc, s33, v30
	s_and_saveexec_b64 s[4:5], vcc
	s_cbranch_execz .LBB77_181
.LBB77_146:
	v_cmp_ge_u32_e32 vcc, v30, v18
                                        ; implicit-def: $vgpr10_vgpr11
	s_and_saveexec_b64 s[6:7], vcc
	s_xor_b64 s[6:7], exec, s[6:7]
	s_cbranch_execz .LBB77_148
; %bb.147:
	s_waitcnt lgkmcnt(5)
	v_xor_b32_e32 v10, 0xfffffbff, v0
	v_ashrrev_i32_e32 v11, 31, v10
	v_add_co_u32_e32 v10, vcc, v19, v10
	v_addc_co_u32_e32 v11, vcc, v20, v11, vcc
                                        ; implicit-def: $vgpr30
.LBB77_148:
	s_andn2_saveexec_b64 s[6:7], s[6:7]
	s_cbranch_execz .LBB77_150
; %bb.149:
	s_waitcnt lgkmcnt(5)
	v_add_co_u32_e32 v10, vcc, v1, v30
	v_addc_co_u32_e32 v11, vcc, 0, v16, vcc
.LBB77_150:
	s_or_b64 exec, exec, s[6:7]
	s_waitcnt lgkmcnt(5)
	v_lshlrev_b64 v[10:11], 2, v[10:11]
	v_mov_b32_e32 v12, s25
	v_add_co_u32_e32 v10, vcc, s24, v10
	v_addc_co_u32_e32 v11, vcc, v12, v11, vcc
	s_waitcnt lgkmcnt(4)
	global_store_dword v[10:11], v8, off
	s_or_b64 exec, exec, s[4:5]
	v_cmp_gt_u32_e32 vcc, s33, v29
	s_and_saveexec_b64 s[4:5], vcc
	s_cbranch_execnz .LBB77_182
.LBB77_151:
	s_or_b64 exec, exec, s[4:5]
	v_cmp_gt_u32_e32 vcc, s33, v28
	s_and_saveexec_b64 s[4:5], vcc
	s_cbranch_execz .LBB77_187
.LBB77_152:
	v_cmp_ge_u32_e32 vcc, v28, v18
                                        ; implicit-def: $vgpr8_vgpr9
	s_and_saveexec_b64 s[6:7], vcc
	s_xor_b64 s[6:7], exec, s[6:7]
	s_cbranch_execz .LBB77_154
; %bb.153:
	s_waitcnt lgkmcnt(4)
	v_xor_b32_e32 v8, 0xfffff9ff, v0
	v_ashrrev_i32_e32 v9, 31, v8
	v_add_co_u32_e32 v8, vcc, v19, v8
	v_addc_co_u32_e32 v9, vcc, v20, v9, vcc
                                        ; implicit-def: $vgpr28
.LBB77_154:
	s_andn2_saveexec_b64 s[6:7], s[6:7]
	s_cbranch_execz .LBB77_156
; %bb.155:
	s_waitcnt lgkmcnt(4)
	v_add_co_u32_e32 v8, vcc, v1, v28
	v_addc_co_u32_e32 v9, vcc, 0, v16, vcc
.LBB77_156:
	s_or_b64 exec, exec, s[6:7]
	s_waitcnt lgkmcnt(4)
	v_lshlrev_b64 v[8:9], 2, v[8:9]
	v_mov_b32_e32 v10, s25
	v_add_co_u32_e32 v8, vcc, s24, v8
	v_addc_co_u32_e32 v9, vcc, v10, v9, vcc
	s_waitcnt lgkmcnt(3)
	global_store_dword v[8:9], v6, off
	s_or_b64 exec, exec, s[4:5]
	v_cmp_gt_u32_e32 vcc, s33, v27
	s_and_saveexec_b64 s[4:5], vcc
	s_cbranch_execnz .LBB77_188
.LBB77_157:
	s_or_b64 exec, exec, s[4:5]
	v_cmp_gt_u32_e32 vcc, s33, v26
	s_and_saveexec_b64 s[4:5], vcc
	s_cbranch_execz .LBB77_193
.LBB77_158:
	v_cmp_ge_u32_e32 vcc, v26, v18
                                        ; implicit-def: $vgpr6_vgpr7
	s_and_saveexec_b64 s[6:7], vcc
	s_xor_b64 s[6:7], exec, s[6:7]
	s_cbranch_execz .LBB77_160
; %bb.159:
	s_waitcnt lgkmcnt(3)
	v_xor_b32_e32 v6, 0xfffff7ff, v0
	v_ashrrev_i32_e32 v7, 31, v6
	v_add_co_u32_e32 v6, vcc, v19, v6
	v_addc_co_u32_e32 v7, vcc, v20, v7, vcc
                                        ; implicit-def: $vgpr26
.LBB77_160:
	s_andn2_saveexec_b64 s[6:7], s[6:7]
	s_cbranch_execz .LBB77_162
; %bb.161:
	s_waitcnt lgkmcnt(3)
	v_add_co_u32_e32 v6, vcc, v1, v26
	v_addc_co_u32_e32 v7, vcc, 0, v16, vcc
.LBB77_162:
	s_or_b64 exec, exec, s[6:7]
	s_waitcnt lgkmcnt(3)
	v_lshlrev_b64 v[6:7], 2, v[6:7]
	v_mov_b32_e32 v8, s25
	v_add_co_u32_e32 v6, vcc, s24, v6
	v_addc_co_u32_e32 v7, vcc, v8, v7, vcc
	s_waitcnt lgkmcnt(2)
	global_store_dword v[6:7], v4, off
	s_or_b64 exec, exec, s[4:5]
	v_cmp_gt_u32_e32 vcc, s33, v25
	s_and_saveexec_b64 s[4:5], vcc
	s_cbranch_execnz .LBB77_194
.LBB77_163:
	s_or_b64 exec, exec, s[4:5]
	v_cmp_gt_u32_e32 vcc, s33, v24
	s_and_saveexec_b64 s[4:5], vcc
	s_cbranch_execz .LBB77_199
.LBB77_164:
	v_cmp_ge_u32_e32 vcc, v24, v18
                                        ; implicit-def: $vgpr4_vgpr5
	s_and_saveexec_b64 s[6:7], vcc
	s_xor_b64 s[6:7], exec, s[6:7]
	s_cbranch_execz .LBB77_166
; %bb.165:
	s_waitcnt lgkmcnt(2)
	v_xor_b32_e32 v4, 0xfffff5ff, v0
	v_ashrrev_i32_e32 v5, 31, v4
	v_add_co_u32_e32 v4, vcc, v19, v4
	v_addc_co_u32_e32 v5, vcc, v20, v5, vcc
                                        ; implicit-def: $vgpr24
.LBB77_166:
	s_andn2_saveexec_b64 s[6:7], s[6:7]
	s_cbranch_execz .LBB77_168
; %bb.167:
	s_waitcnt lgkmcnt(2)
	v_add_co_u32_e32 v4, vcc, v1, v24
	v_addc_co_u32_e32 v5, vcc, 0, v16, vcc
.LBB77_168:
	s_or_b64 exec, exec, s[6:7]
	s_waitcnt lgkmcnt(2)
	v_lshlrev_b64 v[4:5], 2, v[4:5]
	v_mov_b32_e32 v6, s25
	v_add_co_u32_e32 v4, vcc, s24, v4
	v_addc_co_u32_e32 v5, vcc, v6, v5, vcc
	s_waitcnt lgkmcnt(1)
	global_store_dword v[4:5], v2, off
	s_or_b64 exec, exec, s[4:5]
	v_cmp_gt_u32_e32 vcc, s33, v23
	s_and_saveexec_b64 s[4:5], vcc
	s_cbranch_execz .LBB77_205
	s_branch .LBB77_200
.LBB77_169:
	s_or_b64 exec, exec, s[4:5]
	v_cmp_gt_u32_e32 vcc, s33, v33
	s_and_saveexec_b64 s[4:5], vcc
	s_cbranch_execz .LBB77_139
.LBB77_170:
	v_cmp_ge_u32_e32 vcc, v33, v18
                                        ; implicit-def: $vgpr14_vgpr15
	s_and_saveexec_b64 s[6:7], vcc
	s_xor_b64 s[6:7], exec, s[6:7]
	s_cbranch_execz .LBB77_172
; %bb.171:
	s_waitcnt lgkmcnt(6)
	v_xor_b32_e32 v12, 0xfffffeff, v0
	v_ashrrev_i32_e32 v15, 31, v12
	v_add_co_u32_e32 v14, vcc, v19, v12
	v_addc_co_u32_e32 v15, vcc, v20, v15, vcc
                                        ; implicit-def: $vgpr33
.LBB77_172:
	s_andn2_saveexec_b64 s[6:7], s[6:7]
; %bb.173:
	v_add_co_u32_e32 v14, vcc, v1, v33
	v_addc_co_u32_e32 v15, vcc, 0, v16, vcc
; %bb.174:
	s_or_b64 exec, exec, s[6:7]
	v_lshlrev_b64 v[14:15], 2, v[14:15]
	s_waitcnt lgkmcnt(6)
	v_mov_b32_e32 v12, s25
	v_add_co_u32_e32 v14, vcc, s24, v14
	v_addc_co_u32_e32 v15, vcc, v12, v15, vcc
	global_store_dword v[14:15], v13, off
	s_or_b64 exec, exec, s[4:5]
	v_cmp_gt_u32_e32 vcc, s33, v32
	s_and_saveexec_b64 s[4:5], vcc
	s_cbranch_execnz .LBB77_140
.LBB77_175:
	s_or_b64 exec, exec, s[4:5]
	v_cmp_gt_u32_e32 vcc, s33, v31
	s_and_saveexec_b64 s[4:5], vcc
	s_cbranch_execz .LBB77_145
.LBB77_176:
	v_cmp_ge_u32_e32 vcc, v31, v18
                                        ; implicit-def: $vgpr12_vgpr13
	s_and_saveexec_b64 s[6:7], vcc
	s_xor_b64 s[6:7], exec, s[6:7]
	s_cbranch_execz .LBB77_178
; %bb.177:
	s_waitcnt lgkmcnt(5)
	v_xor_b32_e32 v10, 0xfffffcff, v0
	v_ashrrev_i32_e32 v13, 31, v10
	v_add_co_u32_e32 v12, vcc, v19, v10
	v_addc_co_u32_e32 v13, vcc, v20, v13, vcc
                                        ; implicit-def: $vgpr31
.LBB77_178:
	s_andn2_saveexec_b64 s[6:7], s[6:7]
	s_cbranch_execz .LBB77_180
; %bb.179:
	s_waitcnt lgkmcnt(6)
	v_add_co_u32_e32 v12, vcc, v1, v31
	v_addc_co_u32_e32 v13, vcc, 0, v16, vcc
.LBB77_180:
	s_or_b64 exec, exec, s[6:7]
	s_waitcnt lgkmcnt(6)
	v_lshlrev_b64 v[12:13], 2, v[12:13]
	s_waitcnt lgkmcnt(5)
	v_mov_b32_e32 v10, s25
	v_add_co_u32_e32 v12, vcc, s24, v12
	v_addc_co_u32_e32 v13, vcc, v10, v13, vcc
	global_store_dword v[12:13], v11, off
	s_or_b64 exec, exec, s[4:5]
	v_cmp_gt_u32_e32 vcc, s33, v30
	s_and_saveexec_b64 s[4:5], vcc
	s_cbranch_execnz .LBB77_146
.LBB77_181:
	s_or_b64 exec, exec, s[4:5]
	v_cmp_gt_u32_e32 vcc, s33, v29
	s_and_saveexec_b64 s[4:5], vcc
	s_cbranch_execz .LBB77_151
.LBB77_182:
	v_cmp_ge_u32_e32 vcc, v29, v18
                                        ; implicit-def: $vgpr10_vgpr11
	s_and_saveexec_b64 s[6:7], vcc
	s_xor_b64 s[6:7], exec, s[6:7]
	s_cbranch_execz .LBB77_184
; %bb.183:
	s_waitcnt lgkmcnt(4)
	v_xor_b32_e32 v8, 0xfffffaff, v0
	v_ashrrev_i32_e32 v11, 31, v8
	v_add_co_u32_e32 v10, vcc, v19, v8
	v_addc_co_u32_e32 v11, vcc, v20, v11, vcc
                                        ; implicit-def: $vgpr29
.LBB77_184:
	s_andn2_saveexec_b64 s[6:7], s[6:7]
	s_cbranch_execz .LBB77_186
; %bb.185:
	s_waitcnt lgkmcnt(5)
	v_add_co_u32_e32 v10, vcc, v1, v29
	v_addc_co_u32_e32 v11, vcc, 0, v16, vcc
.LBB77_186:
	s_or_b64 exec, exec, s[6:7]
	s_waitcnt lgkmcnt(5)
	v_lshlrev_b64 v[10:11], 2, v[10:11]
	s_waitcnt lgkmcnt(4)
	v_mov_b32_e32 v8, s25
	v_add_co_u32_e32 v10, vcc, s24, v10
	v_addc_co_u32_e32 v11, vcc, v8, v11, vcc
	global_store_dword v[10:11], v9, off
	s_or_b64 exec, exec, s[4:5]
	v_cmp_gt_u32_e32 vcc, s33, v28
	s_and_saveexec_b64 s[4:5], vcc
	s_cbranch_execnz .LBB77_152
.LBB77_187:
	s_or_b64 exec, exec, s[4:5]
	v_cmp_gt_u32_e32 vcc, s33, v27
	s_and_saveexec_b64 s[4:5], vcc
	s_cbranch_execz .LBB77_157
.LBB77_188:
	v_cmp_ge_u32_e32 vcc, v27, v18
                                        ; implicit-def: $vgpr8_vgpr9
	s_and_saveexec_b64 s[6:7], vcc
	s_xor_b64 s[6:7], exec, s[6:7]
	s_cbranch_execz .LBB77_190
; %bb.189:
	s_waitcnt lgkmcnt(3)
	v_xor_b32_e32 v6, 0xfffff8ff, v0
	v_ashrrev_i32_e32 v9, 31, v6
	v_add_co_u32_e32 v8, vcc, v19, v6
	v_addc_co_u32_e32 v9, vcc, v20, v9, vcc
                                        ; implicit-def: $vgpr27
.LBB77_190:
	s_andn2_saveexec_b64 s[6:7], s[6:7]
	s_cbranch_execz .LBB77_192
; %bb.191:
	s_waitcnt lgkmcnt(4)
	v_add_co_u32_e32 v8, vcc, v1, v27
	v_addc_co_u32_e32 v9, vcc, 0, v16, vcc
.LBB77_192:
	s_or_b64 exec, exec, s[6:7]
	s_waitcnt lgkmcnt(4)
	v_lshlrev_b64 v[8:9], 2, v[8:9]
	s_waitcnt lgkmcnt(3)
	v_mov_b32_e32 v6, s25
	v_add_co_u32_e32 v8, vcc, s24, v8
	v_addc_co_u32_e32 v9, vcc, v6, v9, vcc
	global_store_dword v[8:9], v7, off
	s_or_b64 exec, exec, s[4:5]
	v_cmp_gt_u32_e32 vcc, s33, v26
	s_and_saveexec_b64 s[4:5], vcc
	s_cbranch_execnz .LBB77_158
.LBB77_193:
	s_or_b64 exec, exec, s[4:5]
	v_cmp_gt_u32_e32 vcc, s33, v25
	s_and_saveexec_b64 s[4:5], vcc
	s_cbranch_execz .LBB77_163
.LBB77_194:
	v_cmp_ge_u32_e32 vcc, v25, v18
                                        ; implicit-def: $vgpr6_vgpr7
	s_and_saveexec_b64 s[6:7], vcc
	s_xor_b64 s[6:7], exec, s[6:7]
	s_cbranch_execz .LBB77_196
; %bb.195:
	s_waitcnt lgkmcnt(2)
	v_xor_b32_e32 v4, 0xfffff6ff, v0
	v_ashrrev_i32_e32 v7, 31, v4
	v_add_co_u32_e32 v6, vcc, v19, v4
	v_addc_co_u32_e32 v7, vcc, v20, v7, vcc
                                        ; implicit-def: $vgpr25
.LBB77_196:
	s_andn2_saveexec_b64 s[6:7], s[6:7]
	s_cbranch_execz .LBB77_198
; %bb.197:
	s_waitcnt lgkmcnt(3)
	v_add_co_u32_e32 v6, vcc, v1, v25
	v_addc_co_u32_e32 v7, vcc, 0, v16, vcc
.LBB77_198:
	s_or_b64 exec, exec, s[6:7]
	s_waitcnt lgkmcnt(3)
	v_lshlrev_b64 v[6:7], 2, v[6:7]
	s_waitcnt lgkmcnt(2)
	v_mov_b32_e32 v4, s25
	v_add_co_u32_e32 v6, vcc, s24, v6
	v_addc_co_u32_e32 v7, vcc, v4, v7, vcc
	global_store_dword v[6:7], v5, off
	s_or_b64 exec, exec, s[4:5]
	v_cmp_gt_u32_e32 vcc, s33, v24
	s_and_saveexec_b64 s[4:5], vcc
	s_cbranch_execnz .LBB77_164
.LBB77_199:
	s_or_b64 exec, exec, s[4:5]
	v_cmp_gt_u32_e32 vcc, s33, v23
	s_and_saveexec_b64 s[4:5], vcc
	s_cbranch_execz .LBB77_205
.LBB77_200:
	v_cmp_ge_u32_e32 vcc, v23, v18
                                        ; implicit-def: $vgpr4_vgpr5
	s_and_saveexec_b64 s[6:7], vcc
	s_xor_b64 s[6:7], exec, s[6:7]
	s_cbranch_execz .LBB77_202
; %bb.201:
	s_waitcnt lgkmcnt(1)
	v_xor_b32_e32 v2, 0xfffff4ff, v0
	v_ashrrev_i32_e32 v5, 31, v2
	v_add_co_u32_e32 v4, vcc, v19, v2
	v_addc_co_u32_e32 v5, vcc, v20, v5, vcc
                                        ; implicit-def: $vgpr23
.LBB77_202:
	s_andn2_saveexec_b64 s[6:7], s[6:7]
	s_cbranch_execz .LBB77_204
; %bb.203:
	s_waitcnt lgkmcnt(2)
	v_add_co_u32_e32 v4, vcc, v1, v23
	v_addc_co_u32_e32 v5, vcc, 0, v16, vcc
.LBB77_204:
	s_or_b64 exec, exec, s[6:7]
	s_waitcnt lgkmcnt(2)
	v_lshlrev_b64 v[4:5], 2, v[4:5]
	s_waitcnt lgkmcnt(1)
	v_mov_b32_e32 v2, s25
	v_add_co_u32_e32 v4, vcc, s24, v4
	v_addc_co_u32_e32 v5, vcc, v2, v5, vcc
	global_store_dword v[4:5], v3, off
.LBB77_205:
	s_or_b64 exec, exec, s[4:5]
	v_cmp_gt_u32_e32 vcc, s33, v22
                                        ; implicit-def: $vgpr14_vgpr15
	s_and_saveexec_b64 s[4:5], vcc
	s_cbranch_execz .LBB77_211
; %bb.206:
	v_cmp_ge_u32_e32 vcc, v22, v18
                                        ; implicit-def: $vgpr14_vgpr15
	s_and_saveexec_b64 s[6:7], vcc
	s_xor_b64 s[6:7], exec, s[6:7]
	s_cbranch_execz .LBB77_208
; %bb.207:
	v_xor_b32_e32 v0, 0xfffff3ff, v0
	s_waitcnt lgkmcnt(1)
	v_ashrrev_i32_e32 v2, 31, v0
	v_add_co_u32_e32 v14, vcc, v19, v0
	v_addc_co_u32_e32 v15, vcc, v20, v2, vcc
                                        ; implicit-def: $vgpr22
.LBB77_208:
	s_andn2_saveexec_b64 s[6:7], s[6:7]
; %bb.209:
	v_add_co_u32_e32 v14, vcc, v1, v22
	v_addc_co_u32_e32 v15, vcc, 0, v16, vcc
; %bb.210:
	s_or_b64 exec, exec, s[6:7]
	s_or_b64 s[2:3], s[2:3], exec
.LBB77_211:
	s_or_b64 exec, exec, s[4:5]
	s_and_saveexec_b64 s[4:5], s[2:3]
	s_cbranch_execnz .LBB77_130
.LBB77_212:
	s_or_b64 exec, exec, s[4:5]
	s_and_b64 s[0:1], s[0:1], s[22:23]
	s_and_saveexec_b64 s[2:3], s[0:1]
	s_cbranch_execz .LBB77_131
.LBB77_213:
	v_add_co_u32_e32 v0, vcc, v1, v18
	s_waitcnt lgkmcnt(1)
	v_mov_b32_e32 v2, 0
	v_addc_co_u32_e32 v1, vcc, 0, v16, vcc
	global_store_dwordx2 v2, v[0:1], s[20:21]
	s_endpgm
	.section	.rodata,"a",@progbits
	.p2align	6, 0x0
	.amdhsa_kernel _ZN7rocprim17ROCPRIM_400000_NS6detail17trampoline_kernelINS0_13select_configILj256ELj13ELNS0_17block_load_methodE3ELS4_3ELS4_3ELNS0_20block_scan_algorithmE0ELj4294967295EEENS1_25partition_config_selectorILNS1_17partition_subalgoE3EjNS0_10empty_typeEbEEZZNS1_14partition_implILS8_3ELb0ES6_jNS0_17counting_iteratorIjlEEPS9_SE_NS0_5tupleIJPjSE_EEENSF_IJSE_SE_EEES9_SG_JZNS1_25segmented_radix_sort_implINS0_14default_configELb1EPKhPhPKlPlN2at6native12_GLOBAL__N_18offset_tEEE10hipError_tPvRmT1_PNSt15iterator_traitsISY_E10value_typeET2_T3_PNSZ_IS14_E10value_typeET4_jRbjT5_S1A_jjP12ihipStream_tbEUljE_EEESV_SW_SX_S14_S18_S1A_T6_T7_T9_mT8_S1C_bDpT10_ENKUlT_T0_E_clISt17integral_constantIbLb0EES1O_IbLb1EEEEDaS1K_S1L_EUlS1K_E_NS1_11comp_targetILNS1_3genE4ELNS1_11target_archE910ELNS1_3gpuE8ELNS1_3repE0EEENS1_30default_config_static_selectorELNS0_4arch9wavefront6targetE1EEEvSY_
		.amdhsa_group_segment_fixed_size 13324
		.amdhsa_private_segment_fixed_size 0
		.amdhsa_kernarg_size 152
		.amdhsa_user_sgpr_count 6
		.amdhsa_user_sgpr_private_segment_buffer 1
		.amdhsa_user_sgpr_dispatch_ptr 0
		.amdhsa_user_sgpr_queue_ptr 0
		.amdhsa_user_sgpr_kernarg_segment_ptr 1
		.amdhsa_user_sgpr_dispatch_id 0
		.amdhsa_user_sgpr_flat_scratch_init 0
		.amdhsa_user_sgpr_kernarg_preload_length 0
		.amdhsa_user_sgpr_kernarg_preload_offset 0
		.amdhsa_user_sgpr_private_segment_size 0
		.amdhsa_uses_dynamic_stack 0
		.amdhsa_system_sgpr_private_segment_wavefront_offset 0
		.amdhsa_system_sgpr_workgroup_id_x 1
		.amdhsa_system_sgpr_workgroup_id_y 0
		.amdhsa_system_sgpr_workgroup_id_z 0
		.amdhsa_system_sgpr_workgroup_info 0
		.amdhsa_system_vgpr_workitem_id 0
		.amdhsa_next_free_vgpr 64
		.amdhsa_next_free_sgpr 44
		.amdhsa_accum_offset 64
		.amdhsa_reserve_vcc 1
		.amdhsa_reserve_flat_scratch 0
		.amdhsa_float_round_mode_32 0
		.amdhsa_float_round_mode_16_64 0
		.amdhsa_float_denorm_mode_32 3
		.amdhsa_float_denorm_mode_16_64 3
		.amdhsa_dx10_clamp 1
		.amdhsa_ieee_mode 1
		.amdhsa_fp16_overflow 0
		.amdhsa_tg_split 0
		.amdhsa_exception_fp_ieee_invalid_op 0
		.amdhsa_exception_fp_denorm_src 0
		.amdhsa_exception_fp_ieee_div_zero 0
		.amdhsa_exception_fp_ieee_overflow 0
		.amdhsa_exception_fp_ieee_underflow 0
		.amdhsa_exception_fp_ieee_inexact 0
		.amdhsa_exception_int_div_zero 0
	.end_amdhsa_kernel
	.section	.text._ZN7rocprim17ROCPRIM_400000_NS6detail17trampoline_kernelINS0_13select_configILj256ELj13ELNS0_17block_load_methodE3ELS4_3ELS4_3ELNS0_20block_scan_algorithmE0ELj4294967295EEENS1_25partition_config_selectorILNS1_17partition_subalgoE3EjNS0_10empty_typeEbEEZZNS1_14partition_implILS8_3ELb0ES6_jNS0_17counting_iteratorIjlEEPS9_SE_NS0_5tupleIJPjSE_EEENSF_IJSE_SE_EEES9_SG_JZNS1_25segmented_radix_sort_implINS0_14default_configELb1EPKhPhPKlPlN2at6native12_GLOBAL__N_18offset_tEEE10hipError_tPvRmT1_PNSt15iterator_traitsISY_E10value_typeET2_T3_PNSZ_IS14_E10value_typeET4_jRbjT5_S1A_jjP12ihipStream_tbEUljE_EEESV_SW_SX_S14_S18_S1A_T6_T7_T9_mT8_S1C_bDpT10_ENKUlT_T0_E_clISt17integral_constantIbLb0EES1O_IbLb1EEEEDaS1K_S1L_EUlS1K_E_NS1_11comp_targetILNS1_3genE4ELNS1_11target_archE910ELNS1_3gpuE8ELNS1_3repE0EEENS1_30default_config_static_selectorELNS0_4arch9wavefront6targetE1EEEvSY_,"axG",@progbits,_ZN7rocprim17ROCPRIM_400000_NS6detail17trampoline_kernelINS0_13select_configILj256ELj13ELNS0_17block_load_methodE3ELS4_3ELS4_3ELNS0_20block_scan_algorithmE0ELj4294967295EEENS1_25partition_config_selectorILNS1_17partition_subalgoE3EjNS0_10empty_typeEbEEZZNS1_14partition_implILS8_3ELb0ES6_jNS0_17counting_iteratorIjlEEPS9_SE_NS0_5tupleIJPjSE_EEENSF_IJSE_SE_EEES9_SG_JZNS1_25segmented_radix_sort_implINS0_14default_configELb1EPKhPhPKlPlN2at6native12_GLOBAL__N_18offset_tEEE10hipError_tPvRmT1_PNSt15iterator_traitsISY_E10value_typeET2_T3_PNSZ_IS14_E10value_typeET4_jRbjT5_S1A_jjP12ihipStream_tbEUljE_EEESV_SW_SX_S14_S18_S1A_T6_T7_T9_mT8_S1C_bDpT10_ENKUlT_T0_E_clISt17integral_constantIbLb0EES1O_IbLb1EEEEDaS1K_S1L_EUlS1K_E_NS1_11comp_targetILNS1_3genE4ELNS1_11target_archE910ELNS1_3gpuE8ELNS1_3repE0EEENS1_30default_config_static_selectorELNS0_4arch9wavefront6targetE1EEEvSY_,comdat
.Lfunc_end77:
	.size	_ZN7rocprim17ROCPRIM_400000_NS6detail17trampoline_kernelINS0_13select_configILj256ELj13ELNS0_17block_load_methodE3ELS4_3ELS4_3ELNS0_20block_scan_algorithmE0ELj4294967295EEENS1_25partition_config_selectorILNS1_17partition_subalgoE3EjNS0_10empty_typeEbEEZZNS1_14partition_implILS8_3ELb0ES6_jNS0_17counting_iteratorIjlEEPS9_SE_NS0_5tupleIJPjSE_EEENSF_IJSE_SE_EEES9_SG_JZNS1_25segmented_radix_sort_implINS0_14default_configELb1EPKhPhPKlPlN2at6native12_GLOBAL__N_18offset_tEEE10hipError_tPvRmT1_PNSt15iterator_traitsISY_E10value_typeET2_T3_PNSZ_IS14_E10value_typeET4_jRbjT5_S1A_jjP12ihipStream_tbEUljE_EEESV_SW_SX_S14_S18_S1A_T6_T7_T9_mT8_S1C_bDpT10_ENKUlT_T0_E_clISt17integral_constantIbLb0EES1O_IbLb1EEEEDaS1K_S1L_EUlS1K_E_NS1_11comp_targetILNS1_3genE4ELNS1_11target_archE910ELNS1_3gpuE8ELNS1_3repE0EEENS1_30default_config_static_selectorELNS0_4arch9wavefront6targetE1EEEvSY_, .Lfunc_end77-_ZN7rocprim17ROCPRIM_400000_NS6detail17trampoline_kernelINS0_13select_configILj256ELj13ELNS0_17block_load_methodE3ELS4_3ELS4_3ELNS0_20block_scan_algorithmE0ELj4294967295EEENS1_25partition_config_selectorILNS1_17partition_subalgoE3EjNS0_10empty_typeEbEEZZNS1_14partition_implILS8_3ELb0ES6_jNS0_17counting_iteratorIjlEEPS9_SE_NS0_5tupleIJPjSE_EEENSF_IJSE_SE_EEES9_SG_JZNS1_25segmented_radix_sort_implINS0_14default_configELb1EPKhPhPKlPlN2at6native12_GLOBAL__N_18offset_tEEE10hipError_tPvRmT1_PNSt15iterator_traitsISY_E10value_typeET2_T3_PNSZ_IS14_E10value_typeET4_jRbjT5_S1A_jjP12ihipStream_tbEUljE_EEESV_SW_SX_S14_S18_S1A_T6_T7_T9_mT8_S1C_bDpT10_ENKUlT_T0_E_clISt17integral_constantIbLb0EES1O_IbLb1EEEEDaS1K_S1L_EUlS1K_E_NS1_11comp_targetILNS1_3genE4ELNS1_11target_archE910ELNS1_3gpuE8ELNS1_3repE0EEENS1_30default_config_static_selectorELNS0_4arch9wavefront6targetE1EEEvSY_
                                        ; -- End function
	.section	.AMDGPU.csdata,"",@progbits
; Kernel info:
; codeLenInByte = 7816
; NumSgprs: 48
; NumVgprs: 64
; NumAgprs: 0
; TotalNumVgprs: 64
; ScratchSize: 0
; MemoryBound: 0
; FloatMode: 240
; IeeeMode: 1
; LDSByteSize: 13324 bytes/workgroup (compile time only)
; SGPRBlocks: 5
; VGPRBlocks: 7
; NumSGPRsForWavesPerEU: 48
; NumVGPRsForWavesPerEU: 64
; AccumOffset: 64
; Occupancy: 4
; WaveLimiterHint : 0
; COMPUTE_PGM_RSRC2:SCRATCH_EN: 0
; COMPUTE_PGM_RSRC2:USER_SGPR: 6
; COMPUTE_PGM_RSRC2:TRAP_HANDLER: 0
; COMPUTE_PGM_RSRC2:TGID_X_EN: 1
; COMPUTE_PGM_RSRC2:TGID_Y_EN: 0
; COMPUTE_PGM_RSRC2:TGID_Z_EN: 0
; COMPUTE_PGM_RSRC2:TIDIG_COMP_CNT: 0
; COMPUTE_PGM_RSRC3_GFX90A:ACCUM_OFFSET: 15
; COMPUTE_PGM_RSRC3_GFX90A:TG_SPLIT: 0
	.section	.text._ZN7rocprim17ROCPRIM_400000_NS6detail17trampoline_kernelINS0_13select_configILj256ELj13ELNS0_17block_load_methodE3ELS4_3ELS4_3ELNS0_20block_scan_algorithmE0ELj4294967295EEENS1_25partition_config_selectorILNS1_17partition_subalgoE3EjNS0_10empty_typeEbEEZZNS1_14partition_implILS8_3ELb0ES6_jNS0_17counting_iteratorIjlEEPS9_SE_NS0_5tupleIJPjSE_EEENSF_IJSE_SE_EEES9_SG_JZNS1_25segmented_radix_sort_implINS0_14default_configELb1EPKhPhPKlPlN2at6native12_GLOBAL__N_18offset_tEEE10hipError_tPvRmT1_PNSt15iterator_traitsISY_E10value_typeET2_T3_PNSZ_IS14_E10value_typeET4_jRbjT5_S1A_jjP12ihipStream_tbEUljE_EEESV_SW_SX_S14_S18_S1A_T6_T7_T9_mT8_S1C_bDpT10_ENKUlT_T0_E_clISt17integral_constantIbLb0EES1O_IbLb1EEEEDaS1K_S1L_EUlS1K_E_NS1_11comp_targetILNS1_3genE3ELNS1_11target_archE908ELNS1_3gpuE7ELNS1_3repE0EEENS1_30default_config_static_selectorELNS0_4arch9wavefront6targetE1EEEvSY_,"axG",@progbits,_ZN7rocprim17ROCPRIM_400000_NS6detail17trampoline_kernelINS0_13select_configILj256ELj13ELNS0_17block_load_methodE3ELS4_3ELS4_3ELNS0_20block_scan_algorithmE0ELj4294967295EEENS1_25partition_config_selectorILNS1_17partition_subalgoE3EjNS0_10empty_typeEbEEZZNS1_14partition_implILS8_3ELb0ES6_jNS0_17counting_iteratorIjlEEPS9_SE_NS0_5tupleIJPjSE_EEENSF_IJSE_SE_EEES9_SG_JZNS1_25segmented_radix_sort_implINS0_14default_configELb1EPKhPhPKlPlN2at6native12_GLOBAL__N_18offset_tEEE10hipError_tPvRmT1_PNSt15iterator_traitsISY_E10value_typeET2_T3_PNSZ_IS14_E10value_typeET4_jRbjT5_S1A_jjP12ihipStream_tbEUljE_EEESV_SW_SX_S14_S18_S1A_T6_T7_T9_mT8_S1C_bDpT10_ENKUlT_T0_E_clISt17integral_constantIbLb0EES1O_IbLb1EEEEDaS1K_S1L_EUlS1K_E_NS1_11comp_targetILNS1_3genE3ELNS1_11target_archE908ELNS1_3gpuE7ELNS1_3repE0EEENS1_30default_config_static_selectorELNS0_4arch9wavefront6targetE1EEEvSY_,comdat
	.globl	_ZN7rocprim17ROCPRIM_400000_NS6detail17trampoline_kernelINS0_13select_configILj256ELj13ELNS0_17block_load_methodE3ELS4_3ELS4_3ELNS0_20block_scan_algorithmE0ELj4294967295EEENS1_25partition_config_selectorILNS1_17partition_subalgoE3EjNS0_10empty_typeEbEEZZNS1_14partition_implILS8_3ELb0ES6_jNS0_17counting_iteratorIjlEEPS9_SE_NS0_5tupleIJPjSE_EEENSF_IJSE_SE_EEES9_SG_JZNS1_25segmented_radix_sort_implINS0_14default_configELb1EPKhPhPKlPlN2at6native12_GLOBAL__N_18offset_tEEE10hipError_tPvRmT1_PNSt15iterator_traitsISY_E10value_typeET2_T3_PNSZ_IS14_E10value_typeET4_jRbjT5_S1A_jjP12ihipStream_tbEUljE_EEESV_SW_SX_S14_S18_S1A_T6_T7_T9_mT8_S1C_bDpT10_ENKUlT_T0_E_clISt17integral_constantIbLb0EES1O_IbLb1EEEEDaS1K_S1L_EUlS1K_E_NS1_11comp_targetILNS1_3genE3ELNS1_11target_archE908ELNS1_3gpuE7ELNS1_3repE0EEENS1_30default_config_static_selectorELNS0_4arch9wavefront6targetE1EEEvSY_ ; -- Begin function _ZN7rocprim17ROCPRIM_400000_NS6detail17trampoline_kernelINS0_13select_configILj256ELj13ELNS0_17block_load_methodE3ELS4_3ELS4_3ELNS0_20block_scan_algorithmE0ELj4294967295EEENS1_25partition_config_selectorILNS1_17partition_subalgoE3EjNS0_10empty_typeEbEEZZNS1_14partition_implILS8_3ELb0ES6_jNS0_17counting_iteratorIjlEEPS9_SE_NS0_5tupleIJPjSE_EEENSF_IJSE_SE_EEES9_SG_JZNS1_25segmented_radix_sort_implINS0_14default_configELb1EPKhPhPKlPlN2at6native12_GLOBAL__N_18offset_tEEE10hipError_tPvRmT1_PNSt15iterator_traitsISY_E10value_typeET2_T3_PNSZ_IS14_E10value_typeET4_jRbjT5_S1A_jjP12ihipStream_tbEUljE_EEESV_SW_SX_S14_S18_S1A_T6_T7_T9_mT8_S1C_bDpT10_ENKUlT_T0_E_clISt17integral_constantIbLb0EES1O_IbLb1EEEEDaS1K_S1L_EUlS1K_E_NS1_11comp_targetILNS1_3genE3ELNS1_11target_archE908ELNS1_3gpuE7ELNS1_3repE0EEENS1_30default_config_static_selectorELNS0_4arch9wavefront6targetE1EEEvSY_
	.p2align	8
	.type	_ZN7rocprim17ROCPRIM_400000_NS6detail17trampoline_kernelINS0_13select_configILj256ELj13ELNS0_17block_load_methodE3ELS4_3ELS4_3ELNS0_20block_scan_algorithmE0ELj4294967295EEENS1_25partition_config_selectorILNS1_17partition_subalgoE3EjNS0_10empty_typeEbEEZZNS1_14partition_implILS8_3ELb0ES6_jNS0_17counting_iteratorIjlEEPS9_SE_NS0_5tupleIJPjSE_EEENSF_IJSE_SE_EEES9_SG_JZNS1_25segmented_radix_sort_implINS0_14default_configELb1EPKhPhPKlPlN2at6native12_GLOBAL__N_18offset_tEEE10hipError_tPvRmT1_PNSt15iterator_traitsISY_E10value_typeET2_T3_PNSZ_IS14_E10value_typeET4_jRbjT5_S1A_jjP12ihipStream_tbEUljE_EEESV_SW_SX_S14_S18_S1A_T6_T7_T9_mT8_S1C_bDpT10_ENKUlT_T0_E_clISt17integral_constantIbLb0EES1O_IbLb1EEEEDaS1K_S1L_EUlS1K_E_NS1_11comp_targetILNS1_3genE3ELNS1_11target_archE908ELNS1_3gpuE7ELNS1_3repE0EEENS1_30default_config_static_selectorELNS0_4arch9wavefront6targetE1EEEvSY_,@function
_ZN7rocprim17ROCPRIM_400000_NS6detail17trampoline_kernelINS0_13select_configILj256ELj13ELNS0_17block_load_methodE3ELS4_3ELS4_3ELNS0_20block_scan_algorithmE0ELj4294967295EEENS1_25partition_config_selectorILNS1_17partition_subalgoE3EjNS0_10empty_typeEbEEZZNS1_14partition_implILS8_3ELb0ES6_jNS0_17counting_iteratorIjlEEPS9_SE_NS0_5tupleIJPjSE_EEENSF_IJSE_SE_EEES9_SG_JZNS1_25segmented_radix_sort_implINS0_14default_configELb1EPKhPhPKlPlN2at6native12_GLOBAL__N_18offset_tEEE10hipError_tPvRmT1_PNSt15iterator_traitsISY_E10value_typeET2_T3_PNSZ_IS14_E10value_typeET4_jRbjT5_S1A_jjP12ihipStream_tbEUljE_EEESV_SW_SX_S14_S18_S1A_T6_T7_T9_mT8_S1C_bDpT10_ENKUlT_T0_E_clISt17integral_constantIbLb0EES1O_IbLb1EEEEDaS1K_S1L_EUlS1K_E_NS1_11comp_targetILNS1_3genE3ELNS1_11target_archE908ELNS1_3gpuE7ELNS1_3repE0EEENS1_30default_config_static_selectorELNS0_4arch9wavefront6targetE1EEEvSY_: ; @_ZN7rocprim17ROCPRIM_400000_NS6detail17trampoline_kernelINS0_13select_configILj256ELj13ELNS0_17block_load_methodE3ELS4_3ELS4_3ELNS0_20block_scan_algorithmE0ELj4294967295EEENS1_25partition_config_selectorILNS1_17partition_subalgoE3EjNS0_10empty_typeEbEEZZNS1_14partition_implILS8_3ELb0ES6_jNS0_17counting_iteratorIjlEEPS9_SE_NS0_5tupleIJPjSE_EEENSF_IJSE_SE_EEES9_SG_JZNS1_25segmented_radix_sort_implINS0_14default_configELb1EPKhPhPKlPlN2at6native12_GLOBAL__N_18offset_tEEE10hipError_tPvRmT1_PNSt15iterator_traitsISY_E10value_typeET2_T3_PNSZ_IS14_E10value_typeET4_jRbjT5_S1A_jjP12ihipStream_tbEUljE_EEESV_SW_SX_S14_S18_S1A_T6_T7_T9_mT8_S1C_bDpT10_ENKUlT_T0_E_clISt17integral_constantIbLb0EES1O_IbLb1EEEEDaS1K_S1L_EUlS1K_E_NS1_11comp_targetILNS1_3genE3ELNS1_11target_archE908ELNS1_3gpuE7ELNS1_3repE0EEENS1_30default_config_static_selectorELNS0_4arch9wavefront6targetE1EEEvSY_
; %bb.0:
	.section	.rodata,"a",@progbits
	.p2align	6, 0x0
	.amdhsa_kernel _ZN7rocprim17ROCPRIM_400000_NS6detail17trampoline_kernelINS0_13select_configILj256ELj13ELNS0_17block_load_methodE3ELS4_3ELS4_3ELNS0_20block_scan_algorithmE0ELj4294967295EEENS1_25partition_config_selectorILNS1_17partition_subalgoE3EjNS0_10empty_typeEbEEZZNS1_14partition_implILS8_3ELb0ES6_jNS0_17counting_iteratorIjlEEPS9_SE_NS0_5tupleIJPjSE_EEENSF_IJSE_SE_EEES9_SG_JZNS1_25segmented_radix_sort_implINS0_14default_configELb1EPKhPhPKlPlN2at6native12_GLOBAL__N_18offset_tEEE10hipError_tPvRmT1_PNSt15iterator_traitsISY_E10value_typeET2_T3_PNSZ_IS14_E10value_typeET4_jRbjT5_S1A_jjP12ihipStream_tbEUljE_EEESV_SW_SX_S14_S18_S1A_T6_T7_T9_mT8_S1C_bDpT10_ENKUlT_T0_E_clISt17integral_constantIbLb0EES1O_IbLb1EEEEDaS1K_S1L_EUlS1K_E_NS1_11comp_targetILNS1_3genE3ELNS1_11target_archE908ELNS1_3gpuE7ELNS1_3repE0EEENS1_30default_config_static_selectorELNS0_4arch9wavefront6targetE1EEEvSY_
		.amdhsa_group_segment_fixed_size 0
		.amdhsa_private_segment_fixed_size 0
		.amdhsa_kernarg_size 152
		.amdhsa_user_sgpr_count 6
		.amdhsa_user_sgpr_private_segment_buffer 1
		.amdhsa_user_sgpr_dispatch_ptr 0
		.amdhsa_user_sgpr_queue_ptr 0
		.amdhsa_user_sgpr_kernarg_segment_ptr 1
		.amdhsa_user_sgpr_dispatch_id 0
		.amdhsa_user_sgpr_flat_scratch_init 0
		.amdhsa_user_sgpr_kernarg_preload_length 0
		.amdhsa_user_sgpr_kernarg_preload_offset 0
		.amdhsa_user_sgpr_private_segment_size 0
		.amdhsa_uses_dynamic_stack 0
		.amdhsa_system_sgpr_private_segment_wavefront_offset 0
		.amdhsa_system_sgpr_workgroup_id_x 1
		.amdhsa_system_sgpr_workgroup_id_y 0
		.amdhsa_system_sgpr_workgroup_id_z 0
		.amdhsa_system_sgpr_workgroup_info 0
		.amdhsa_system_vgpr_workitem_id 0
		.amdhsa_next_free_vgpr 1
		.amdhsa_next_free_sgpr 0
		.amdhsa_accum_offset 4
		.amdhsa_reserve_vcc 0
		.amdhsa_reserve_flat_scratch 0
		.amdhsa_float_round_mode_32 0
		.amdhsa_float_round_mode_16_64 0
		.amdhsa_float_denorm_mode_32 3
		.amdhsa_float_denorm_mode_16_64 3
		.amdhsa_dx10_clamp 1
		.amdhsa_ieee_mode 1
		.amdhsa_fp16_overflow 0
		.amdhsa_tg_split 0
		.amdhsa_exception_fp_ieee_invalid_op 0
		.amdhsa_exception_fp_denorm_src 0
		.amdhsa_exception_fp_ieee_div_zero 0
		.amdhsa_exception_fp_ieee_overflow 0
		.amdhsa_exception_fp_ieee_underflow 0
		.amdhsa_exception_fp_ieee_inexact 0
		.amdhsa_exception_int_div_zero 0
	.end_amdhsa_kernel
	.section	.text._ZN7rocprim17ROCPRIM_400000_NS6detail17trampoline_kernelINS0_13select_configILj256ELj13ELNS0_17block_load_methodE3ELS4_3ELS4_3ELNS0_20block_scan_algorithmE0ELj4294967295EEENS1_25partition_config_selectorILNS1_17partition_subalgoE3EjNS0_10empty_typeEbEEZZNS1_14partition_implILS8_3ELb0ES6_jNS0_17counting_iteratorIjlEEPS9_SE_NS0_5tupleIJPjSE_EEENSF_IJSE_SE_EEES9_SG_JZNS1_25segmented_radix_sort_implINS0_14default_configELb1EPKhPhPKlPlN2at6native12_GLOBAL__N_18offset_tEEE10hipError_tPvRmT1_PNSt15iterator_traitsISY_E10value_typeET2_T3_PNSZ_IS14_E10value_typeET4_jRbjT5_S1A_jjP12ihipStream_tbEUljE_EEESV_SW_SX_S14_S18_S1A_T6_T7_T9_mT8_S1C_bDpT10_ENKUlT_T0_E_clISt17integral_constantIbLb0EES1O_IbLb1EEEEDaS1K_S1L_EUlS1K_E_NS1_11comp_targetILNS1_3genE3ELNS1_11target_archE908ELNS1_3gpuE7ELNS1_3repE0EEENS1_30default_config_static_selectorELNS0_4arch9wavefront6targetE1EEEvSY_,"axG",@progbits,_ZN7rocprim17ROCPRIM_400000_NS6detail17trampoline_kernelINS0_13select_configILj256ELj13ELNS0_17block_load_methodE3ELS4_3ELS4_3ELNS0_20block_scan_algorithmE0ELj4294967295EEENS1_25partition_config_selectorILNS1_17partition_subalgoE3EjNS0_10empty_typeEbEEZZNS1_14partition_implILS8_3ELb0ES6_jNS0_17counting_iteratorIjlEEPS9_SE_NS0_5tupleIJPjSE_EEENSF_IJSE_SE_EEES9_SG_JZNS1_25segmented_radix_sort_implINS0_14default_configELb1EPKhPhPKlPlN2at6native12_GLOBAL__N_18offset_tEEE10hipError_tPvRmT1_PNSt15iterator_traitsISY_E10value_typeET2_T3_PNSZ_IS14_E10value_typeET4_jRbjT5_S1A_jjP12ihipStream_tbEUljE_EEESV_SW_SX_S14_S18_S1A_T6_T7_T9_mT8_S1C_bDpT10_ENKUlT_T0_E_clISt17integral_constantIbLb0EES1O_IbLb1EEEEDaS1K_S1L_EUlS1K_E_NS1_11comp_targetILNS1_3genE3ELNS1_11target_archE908ELNS1_3gpuE7ELNS1_3repE0EEENS1_30default_config_static_selectorELNS0_4arch9wavefront6targetE1EEEvSY_,comdat
.Lfunc_end78:
	.size	_ZN7rocprim17ROCPRIM_400000_NS6detail17trampoline_kernelINS0_13select_configILj256ELj13ELNS0_17block_load_methodE3ELS4_3ELS4_3ELNS0_20block_scan_algorithmE0ELj4294967295EEENS1_25partition_config_selectorILNS1_17partition_subalgoE3EjNS0_10empty_typeEbEEZZNS1_14partition_implILS8_3ELb0ES6_jNS0_17counting_iteratorIjlEEPS9_SE_NS0_5tupleIJPjSE_EEENSF_IJSE_SE_EEES9_SG_JZNS1_25segmented_radix_sort_implINS0_14default_configELb1EPKhPhPKlPlN2at6native12_GLOBAL__N_18offset_tEEE10hipError_tPvRmT1_PNSt15iterator_traitsISY_E10value_typeET2_T3_PNSZ_IS14_E10value_typeET4_jRbjT5_S1A_jjP12ihipStream_tbEUljE_EEESV_SW_SX_S14_S18_S1A_T6_T7_T9_mT8_S1C_bDpT10_ENKUlT_T0_E_clISt17integral_constantIbLb0EES1O_IbLb1EEEEDaS1K_S1L_EUlS1K_E_NS1_11comp_targetILNS1_3genE3ELNS1_11target_archE908ELNS1_3gpuE7ELNS1_3repE0EEENS1_30default_config_static_selectorELNS0_4arch9wavefront6targetE1EEEvSY_, .Lfunc_end78-_ZN7rocprim17ROCPRIM_400000_NS6detail17trampoline_kernelINS0_13select_configILj256ELj13ELNS0_17block_load_methodE3ELS4_3ELS4_3ELNS0_20block_scan_algorithmE0ELj4294967295EEENS1_25partition_config_selectorILNS1_17partition_subalgoE3EjNS0_10empty_typeEbEEZZNS1_14partition_implILS8_3ELb0ES6_jNS0_17counting_iteratorIjlEEPS9_SE_NS0_5tupleIJPjSE_EEENSF_IJSE_SE_EEES9_SG_JZNS1_25segmented_radix_sort_implINS0_14default_configELb1EPKhPhPKlPlN2at6native12_GLOBAL__N_18offset_tEEE10hipError_tPvRmT1_PNSt15iterator_traitsISY_E10value_typeET2_T3_PNSZ_IS14_E10value_typeET4_jRbjT5_S1A_jjP12ihipStream_tbEUljE_EEESV_SW_SX_S14_S18_S1A_T6_T7_T9_mT8_S1C_bDpT10_ENKUlT_T0_E_clISt17integral_constantIbLb0EES1O_IbLb1EEEEDaS1K_S1L_EUlS1K_E_NS1_11comp_targetILNS1_3genE3ELNS1_11target_archE908ELNS1_3gpuE7ELNS1_3repE0EEENS1_30default_config_static_selectorELNS0_4arch9wavefront6targetE1EEEvSY_
                                        ; -- End function
	.section	.AMDGPU.csdata,"",@progbits
; Kernel info:
; codeLenInByte = 0
; NumSgprs: 4
; NumVgprs: 0
; NumAgprs: 0
; TotalNumVgprs: 0
; ScratchSize: 0
; MemoryBound: 0
; FloatMode: 240
; IeeeMode: 1
; LDSByteSize: 0 bytes/workgroup (compile time only)
; SGPRBlocks: 0
; VGPRBlocks: 0
; NumSGPRsForWavesPerEU: 4
; NumVGPRsForWavesPerEU: 1
; AccumOffset: 4
; Occupancy: 8
; WaveLimiterHint : 0
; COMPUTE_PGM_RSRC2:SCRATCH_EN: 0
; COMPUTE_PGM_RSRC2:USER_SGPR: 6
; COMPUTE_PGM_RSRC2:TRAP_HANDLER: 0
; COMPUTE_PGM_RSRC2:TGID_X_EN: 1
; COMPUTE_PGM_RSRC2:TGID_Y_EN: 0
; COMPUTE_PGM_RSRC2:TGID_Z_EN: 0
; COMPUTE_PGM_RSRC2:TIDIG_COMP_CNT: 0
; COMPUTE_PGM_RSRC3_GFX90A:ACCUM_OFFSET: 0
; COMPUTE_PGM_RSRC3_GFX90A:TG_SPLIT: 0
	.section	.text._ZN7rocprim17ROCPRIM_400000_NS6detail17trampoline_kernelINS0_13select_configILj256ELj13ELNS0_17block_load_methodE3ELS4_3ELS4_3ELNS0_20block_scan_algorithmE0ELj4294967295EEENS1_25partition_config_selectorILNS1_17partition_subalgoE3EjNS0_10empty_typeEbEEZZNS1_14partition_implILS8_3ELb0ES6_jNS0_17counting_iteratorIjlEEPS9_SE_NS0_5tupleIJPjSE_EEENSF_IJSE_SE_EEES9_SG_JZNS1_25segmented_radix_sort_implINS0_14default_configELb1EPKhPhPKlPlN2at6native12_GLOBAL__N_18offset_tEEE10hipError_tPvRmT1_PNSt15iterator_traitsISY_E10value_typeET2_T3_PNSZ_IS14_E10value_typeET4_jRbjT5_S1A_jjP12ihipStream_tbEUljE_EEESV_SW_SX_S14_S18_S1A_T6_T7_T9_mT8_S1C_bDpT10_ENKUlT_T0_E_clISt17integral_constantIbLb0EES1O_IbLb1EEEEDaS1K_S1L_EUlS1K_E_NS1_11comp_targetILNS1_3genE2ELNS1_11target_archE906ELNS1_3gpuE6ELNS1_3repE0EEENS1_30default_config_static_selectorELNS0_4arch9wavefront6targetE1EEEvSY_,"axG",@progbits,_ZN7rocprim17ROCPRIM_400000_NS6detail17trampoline_kernelINS0_13select_configILj256ELj13ELNS0_17block_load_methodE3ELS4_3ELS4_3ELNS0_20block_scan_algorithmE0ELj4294967295EEENS1_25partition_config_selectorILNS1_17partition_subalgoE3EjNS0_10empty_typeEbEEZZNS1_14partition_implILS8_3ELb0ES6_jNS0_17counting_iteratorIjlEEPS9_SE_NS0_5tupleIJPjSE_EEENSF_IJSE_SE_EEES9_SG_JZNS1_25segmented_radix_sort_implINS0_14default_configELb1EPKhPhPKlPlN2at6native12_GLOBAL__N_18offset_tEEE10hipError_tPvRmT1_PNSt15iterator_traitsISY_E10value_typeET2_T3_PNSZ_IS14_E10value_typeET4_jRbjT5_S1A_jjP12ihipStream_tbEUljE_EEESV_SW_SX_S14_S18_S1A_T6_T7_T9_mT8_S1C_bDpT10_ENKUlT_T0_E_clISt17integral_constantIbLb0EES1O_IbLb1EEEEDaS1K_S1L_EUlS1K_E_NS1_11comp_targetILNS1_3genE2ELNS1_11target_archE906ELNS1_3gpuE6ELNS1_3repE0EEENS1_30default_config_static_selectorELNS0_4arch9wavefront6targetE1EEEvSY_,comdat
	.globl	_ZN7rocprim17ROCPRIM_400000_NS6detail17trampoline_kernelINS0_13select_configILj256ELj13ELNS0_17block_load_methodE3ELS4_3ELS4_3ELNS0_20block_scan_algorithmE0ELj4294967295EEENS1_25partition_config_selectorILNS1_17partition_subalgoE3EjNS0_10empty_typeEbEEZZNS1_14partition_implILS8_3ELb0ES6_jNS0_17counting_iteratorIjlEEPS9_SE_NS0_5tupleIJPjSE_EEENSF_IJSE_SE_EEES9_SG_JZNS1_25segmented_radix_sort_implINS0_14default_configELb1EPKhPhPKlPlN2at6native12_GLOBAL__N_18offset_tEEE10hipError_tPvRmT1_PNSt15iterator_traitsISY_E10value_typeET2_T3_PNSZ_IS14_E10value_typeET4_jRbjT5_S1A_jjP12ihipStream_tbEUljE_EEESV_SW_SX_S14_S18_S1A_T6_T7_T9_mT8_S1C_bDpT10_ENKUlT_T0_E_clISt17integral_constantIbLb0EES1O_IbLb1EEEEDaS1K_S1L_EUlS1K_E_NS1_11comp_targetILNS1_3genE2ELNS1_11target_archE906ELNS1_3gpuE6ELNS1_3repE0EEENS1_30default_config_static_selectorELNS0_4arch9wavefront6targetE1EEEvSY_ ; -- Begin function _ZN7rocprim17ROCPRIM_400000_NS6detail17trampoline_kernelINS0_13select_configILj256ELj13ELNS0_17block_load_methodE3ELS4_3ELS4_3ELNS0_20block_scan_algorithmE0ELj4294967295EEENS1_25partition_config_selectorILNS1_17partition_subalgoE3EjNS0_10empty_typeEbEEZZNS1_14partition_implILS8_3ELb0ES6_jNS0_17counting_iteratorIjlEEPS9_SE_NS0_5tupleIJPjSE_EEENSF_IJSE_SE_EEES9_SG_JZNS1_25segmented_radix_sort_implINS0_14default_configELb1EPKhPhPKlPlN2at6native12_GLOBAL__N_18offset_tEEE10hipError_tPvRmT1_PNSt15iterator_traitsISY_E10value_typeET2_T3_PNSZ_IS14_E10value_typeET4_jRbjT5_S1A_jjP12ihipStream_tbEUljE_EEESV_SW_SX_S14_S18_S1A_T6_T7_T9_mT8_S1C_bDpT10_ENKUlT_T0_E_clISt17integral_constantIbLb0EES1O_IbLb1EEEEDaS1K_S1L_EUlS1K_E_NS1_11comp_targetILNS1_3genE2ELNS1_11target_archE906ELNS1_3gpuE6ELNS1_3repE0EEENS1_30default_config_static_selectorELNS0_4arch9wavefront6targetE1EEEvSY_
	.p2align	8
	.type	_ZN7rocprim17ROCPRIM_400000_NS6detail17trampoline_kernelINS0_13select_configILj256ELj13ELNS0_17block_load_methodE3ELS4_3ELS4_3ELNS0_20block_scan_algorithmE0ELj4294967295EEENS1_25partition_config_selectorILNS1_17partition_subalgoE3EjNS0_10empty_typeEbEEZZNS1_14partition_implILS8_3ELb0ES6_jNS0_17counting_iteratorIjlEEPS9_SE_NS0_5tupleIJPjSE_EEENSF_IJSE_SE_EEES9_SG_JZNS1_25segmented_radix_sort_implINS0_14default_configELb1EPKhPhPKlPlN2at6native12_GLOBAL__N_18offset_tEEE10hipError_tPvRmT1_PNSt15iterator_traitsISY_E10value_typeET2_T3_PNSZ_IS14_E10value_typeET4_jRbjT5_S1A_jjP12ihipStream_tbEUljE_EEESV_SW_SX_S14_S18_S1A_T6_T7_T9_mT8_S1C_bDpT10_ENKUlT_T0_E_clISt17integral_constantIbLb0EES1O_IbLb1EEEEDaS1K_S1L_EUlS1K_E_NS1_11comp_targetILNS1_3genE2ELNS1_11target_archE906ELNS1_3gpuE6ELNS1_3repE0EEENS1_30default_config_static_selectorELNS0_4arch9wavefront6targetE1EEEvSY_,@function
_ZN7rocprim17ROCPRIM_400000_NS6detail17trampoline_kernelINS0_13select_configILj256ELj13ELNS0_17block_load_methodE3ELS4_3ELS4_3ELNS0_20block_scan_algorithmE0ELj4294967295EEENS1_25partition_config_selectorILNS1_17partition_subalgoE3EjNS0_10empty_typeEbEEZZNS1_14partition_implILS8_3ELb0ES6_jNS0_17counting_iteratorIjlEEPS9_SE_NS0_5tupleIJPjSE_EEENSF_IJSE_SE_EEES9_SG_JZNS1_25segmented_radix_sort_implINS0_14default_configELb1EPKhPhPKlPlN2at6native12_GLOBAL__N_18offset_tEEE10hipError_tPvRmT1_PNSt15iterator_traitsISY_E10value_typeET2_T3_PNSZ_IS14_E10value_typeET4_jRbjT5_S1A_jjP12ihipStream_tbEUljE_EEESV_SW_SX_S14_S18_S1A_T6_T7_T9_mT8_S1C_bDpT10_ENKUlT_T0_E_clISt17integral_constantIbLb0EES1O_IbLb1EEEEDaS1K_S1L_EUlS1K_E_NS1_11comp_targetILNS1_3genE2ELNS1_11target_archE906ELNS1_3gpuE6ELNS1_3repE0EEENS1_30default_config_static_selectorELNS0_4arch9wavefront6targetE1EEEvSY_: ; @_ZN7rocprim17ROCPRIM_400000_NS6detail17trampoline_kernelINS0_13select_configILj256ELj13ELNS0_17block_load_methodE3ELS4_3ELS4_3ELNS0_20block_scan_algorithmE0ELj4294967295EEENS1_25partition_config_selectorILNS1_17partition_subalgoE3EjNS0_10empty_typeEbEEZZNS1_14partition_implILS8_3ELb0ES6_jNS0_17counting_iteratorIjlEEPS9_SE_NS0_5tupleIJPjSE_EEENSF_IJSE_SE_EEES9_SG_JZNS1_25segmented_radix_sort_implINS0_14default_configELb1EPKhPhPKlPlN2at6native12_GLOBAL__N_18offset_tEEE10hipError_tPvRmT1_PNSt15iterator_traitsISY_E10value_typeET2_T3_PNSZ_IS14_E10value_typeET4_jRbjT5_S1A_jjP12ihipStream_tbEUljE_EEESV_SW_SX_S14_S18_S1A_T6_T7_T9_mT8_S1C_bDpT10_ENKUlT_T0_E_clISt17integral_constantIbLb0EES1O_IbLb1EEEEDaS1K_S1L_EUlS1K_E_NS1_11comp_targetILNS1_3genE2ELNS1_11target_archE906ELNS1_3gpuE6ELNS1_3repE0EEENS1_30default_config_static_selectorELNS0_4arch9wavefront6targetE1EEEvSY_
; %bb.0:
	.section	.rodata,"a",@progbits
	.p2align	6, 0x0
	.amdhsa_kernel _ZN7rocprim17ROCPRIM_400000_NS6detail17trampoline_kernelINS0_13select_configILj256ELj13ELNS0_17block_load_methodE3ELS4_3ELS4_3ELNS0_20block_scan_algorithmE0ELj4294967295EEENS1_25partition_config_selectorILNS1_17partition_subalgoE3EjNS0_10empty_typeEbEEZZNS1_14partition_implILS8_3ELb0ES6_jNS0_17counting_iteratorIjlEEPS9_SE_NS0_5tupleIJPjSE_EEENSF_IJSE_SE_EEES9_SG_JZNS1_25segmented_radix_sort_implINS0_14default_configELb1EPKhPhPKlPlN2at6native12_GLOBAL__N_18offset_tEEE10hipError_tPvRmT1_PNSt15iterator_traitsISY_E10value_typeET2_T3_PNSZ_IS14_E10value_typeET4_jRbjT5_S1A_jjP12ihipStream_tbEUljE_EEESV_SW_SX_S14_S18_S1A_T6_T7_T9_mT8_S1C_bDpT10_ENKUlT_T0_E_clISt17integral_constantIbLb0EES1O_IbLb1EEEEDaS1K_S1L_EUlS1K_E_NS1_11comp_targetILNS1_3genE2ELNS1_11target_archE906ELNS1_3gpuE6ELNS1_3repE0EEENS1_30default_config_static_selectorELNS0_4arch9wavefront6targetE1EEEvSY_
		.amdhsa_group_segment_fixed_size 0
		.amdhsa_private_segment_fixed_size 0
		.amdhsa_kernarg_size 152
		.amdhsa_user_sgpr_count 6
		.amdhsa_user_sgpr_private_segment_buffer 1
		.amdhsa_user_sgpr_dispatch_ptr 0
		.amdhsa_user_sgpr_queue_ptr 0
		.amdhsa_user_sgpr_kernarg_segment_ptr 1
		.amdhsa_user_sgpr_dispatch_id 0
		.amdhsa_user_sgpr_flat_scratch_init 0
		.amdhsa_user_sgpr_kernarg_preload_length 0
		.amdhsa_user_sgpr_kernarg_preload_offset 0
		.amdhsa_user_sgpr_private_segment_size 0
		.amdhsa_uses_dynamic_stack 0
		.amdhsa_system_sgpr_private_segment_wavefront_offset 0
		.amdhsa_system_sgpr_workgroup_id_x 1
		.amdhsa_system_sgpr_workgroup_id_y 0
		.amdhsa_system_sgpr_workgroup_id_z 0
		.amdhsa_system_sgpr_workgroup_info 0
		.amdhsa_system_vgpr_workitem_id 0
		.amdhsa_next_free_vgpr 1
		.amdhsa_next_free_sgpr 0
		.amdhsa_accum_offset 4
		.amdhsa_reserve_vcc 0
		.amdhsa_reserve_flat_scratch 0
		.amdhsa_float_round_mode_32 0
		.amdhsa_float_round_mode_16_64 0
		.amdhsa_float_denorm_mode_32 3
		.amdhsa_float_denorm_mode_16_64 3
		.amdhsa_dx10_clamp 1
		.amdhsa_ieee_mode 1
		.amdhsa_fp16_overflow 0
		.amdhsa_tg_split 0
		.amdhsa_exception_fp_ieee_invalid_op 0
		.amdhsa_exception_fp_denorm_src 0
		.amdhsa_exception_fp_ieee_div_zero 0
		.amdhsa_exception_fp_ieee_overflow 0
		.amdhsa_exception_fp_ieee_underflow 0
		.amdhsa_exception_fp_ieee_inexact 0
		.amdhsa_exception_int_div_zero 0
	.end_amdhsa_kernel
	.section	.text._ZN7rocprim17ROCPRIM_400000_NS6detail17trampoline_kernelINS0_13select_configILj256ELj13ELNS0_17block_load_methodE3ELS4_3ELS4_3ELNS0_20block_scan_algorithmE0ELj4294967295EEENS1_25partition_config_selectorILNS1_17partition_subalgoE3EjNS0_10empty_typeEbEEZZNS1_14partition_implILS8_3ELb0ES6_jNS0_17counting_iteratorIjlEEPS9_SE_NS0_5tupleIJPjSE_EEENSF_IJSE_SE_EEES9_SG_JZNS1_25segmented_radix_sort_implINS0_14default_configELb1EPKhPhPKlPlN2at6native12_GLOBAL__N_18offset_tEEE10hipError_tPvRmT1_PNSt15iterator_traitsISY_E10value_typeET2_T3_PNSZ_IS14_E10value_typeET4_jRbjT5_S1A_jjP12ihipStream_tbEUljE_EEESV_SW_SX_S14_S18_S1A_T6_T7_T9_mT8_S1C_bDpT10_ENKUlT_T0_E_clISt17integral_constantIbLb0EES1O_IbLb1EEEEDaS1K_S1L_EUlS1K_E_NS1_11comp_targetILNS1_3genE2ELNS1_11target_archE906ELNS1_3gpuE6ELNS1_3repE0EEENS1_30default_config_static_selectorELNS0_4arch9wavefront6targetE1EEEvSY_,"axG",@progbits,_ZN7rocprim17ROCPRIM_400000_NS6detail17trampoline_kernelINS0_13select_configILj256ELj13ELNS0_17block_load_methodE3ELS4_3ELS4_3ELNS0_20block_scan_algorithmE0ELj4294967295EEENS1_25partition_config_selectorILNS1_17partition_subalgoE3EjNS0_10empty_typeEbEEZZNS1_14partition_implILS8_3ELb0ES6_jNS0_17counting_iteratorIjlEEPS9_SE_NS0_5tupleIJPjSE_EEENSF_IJSE_SE_EEES9_SG_JZNS1_25segmented_radix_sort_implINS0_14default_configELb1EPKhPhPKlPlN2at6native12_GLOBAL__N_18offset_tEEE10hipError_tPvRmT1_PNSt15iterator_traitsISY_E10value_typeET2_T3_PNSZ_IS14_E10value_typeET4_jRbjT5_S1A_jjP12ihipStream_tbEUljE_EEESV_SW_SX_S14_S18_S1A_T6_T7_T9_mT8_S1C_bDpT10_ENKUlT_T0_E_clISt17integral_constantIbLb0EES1O_IbLb1EEEEDaS1K_S1L_EUlS1K_E_NS1_11comp_targetILNS1_3genE2ELNS1_11target_archE906ELNS1_3gpuE6ELNS1_3repE0EEENS1_30default_config_static_selectorELNS0_4arch9wavefront6targetE1EEEvSY_,comdat
.Lfunc_end79:
	.size	_ZN7rocprim17ROCPRIM_400000_NS6detail17trampoline_kernelINS0_13select_configILj256ELj13ELNS0_17block_load_methodE3ELS4_3ELS4_3ELNS0_20block_scan_algorithmE0ELj4294967295EEENS1_25partition_config_selectorILNS1_17partition_subalgoE3EjNS0_10empty_typeEbEEZZNS1_14partition_implILS8_3ELb0ES6_jNS0_17counting_iteratorIjlEEPS9_SE_NS0_5tupleIJPjSE_EEENSF_IJSE_SE_EEES9_SG_JZNS1_25segmented_radix_sort_implINS0_14default_configELb1EPKhPhPKlPlN2at6native12_GLOBAL__N_18offset_tEEE10hipError_tPvRmT1_PNSt15iterator_traitsISY_E10value_typeET2_T3_PNSZ_IS14_E10value_typeET4_jRbjT5_S1A_jjP12ihipStream_tbEUljE_EEESV_SW_SX_S14_S18_S1A_T6_T7_T9_mT8_S1C_bDpT10_ENKUlT_T0_E_clISt17integral_constantIbLb0EES1O_IbLb1EEEEDaS1K_S1L_EUlS1K_E_NS1_11comp_targetILNS1_3genE2ELNS1_11target_archE906ELNS1_3gpuE6ELNS1_3repE0EEENS1_30default_config_static_selectorELNS0_4arch9wavefront6targetE1EEEvSY_, .Lfunc_end79-_ZN7rocprim17ROCPRIM_400000_NS6detail17trampoline_kernelINS0_13select_configILj256ELj13ELNS0_17block_load_methodE3ELS4_3ELS4_3ELNS0_20block_scan_algorithmE0ELj4294967295EEENS1_25partition_config_selectorILNS1_17partition_subalgoE3EjNS0_10empty_typeEbEEZZNS1_14partition_implILS8_3ELb0ES6_jNS0_17counting_iteratorIjlEEPS9_SE_NS0_5tupleIJPjSE_EEENSF_IJSE_SE_EEES9_SG_JZNS1_25segmented_radix_sort_implINS0_14default_configELb1EPKhPhPKlPlN2at6native12_GLOBAL__N_18offset_tEEE10hipError_tPvRmT1_PNSt15iterator_traitsISY_E10value_typeET2_T3_PNSZ_IS14_E10value_typeET4_jRbjT5_S1A_jjP12ihipStream_tbEUljE_EEESV_SW_SX_S14_S18_S1A_T6_T7_T9_mT8_S1C_bDpT10_ENKUlT_T0_E_clISt17integral_constantIbLb0EES1O_IbLb1EEEEDaS1K_S1L_EUlS1K_E_NS1_11comp_targetILNS1_3genE2ELNS1_11target_archE906ELNS1_3gpuE6ELNS1_3repE0EEENS1_30default_config_static_selectorELNS0_4arch9wavefront6targetE1EEEvSY_
                                        ; -- End function
	.section	.AMDGPU.csdata,"",@progbits
; Kernel info:
; codeLenInByte = 0
; NumSgprs: 4
; NumVgprs: 0
; NumAgprs: 0
; TotalNumVgprs: 0
; ScratchSize: 0
; MemoryBound: 0
; FloatMode: 240
; IeeeMode: 1
; LDSByteSize: 0 bytes/workgroup (compile time only)
; SGPRBlocks: 0
; VGPRBlocks: 0
; NumSGPRsForWavesPerEU: 4
; NumVGPRsForWavesPerEU: 1
; AccumOffset: 4
; Occupancy: 8
; WaveLimiterHint : 0
; COMPUTE_PGM_RSRC2:SCRATCH_EN: 0
; COMPUTE_PGM_RSRC2:USER_SGPR: 6
; COMPUTE_PGM_RSRC2:TRAP_HANDLER: 0
; COMPUTE_PGM_RSRC2:TGID_X_EN: 1
; COMPUTE_PGM_RSRC2:TGID_Y_EN: 0
; COMPUTE_PGM_RSRC2:TGID_Z_EN: 0
; COMPUTE_PGM_RSRC2:TIDIG_COMP_CNT: 0
; COMPUTE_PGM_RSRC3_GFX90A:ACCUM_OFFSET: 0
; COMPUTE_PGM_RSRC3_GFX90A:TG_SPLIT: 0
	.section	.text._ZN7rocprim17ROCPRIM_400000_NS6detail17trampoline_kernelINS0_13select_configILj256ELj13ELNS0_17block_load_methodE3ELS4_3ELS4_3ELNS0_20block_scan_algorithmE0ELj4294967295EEENS1_25partition_config_selectorILNS1_17partition_subalgoE3EjNS0_10empty_typeEbEEZZNS1_14partition_implILS8_3ELb0ES6_jNS0_17counting_iteratorIjlEEPS9_SE_NS0_5tupleIJPjSE_EEENSF_IJSE_SE_EEES9_SG_JZNS1_25segmented_radix_sort_implINS0_14default_configELb1EPKhPhPKlPlN2at6native12_GLOBAL__N_18offset_tEEE10hipError_tPvRmT1_PNSt15iterator_traitsISY_E10value_typeET2_T3_PNSZ_IS14_E10value_typeET4_jRbjT5_S1A_jjP12ihipStream_tbEUljE_EEESV_SW_SX_S14_S18_S1A_T6_T7_T9_mT8_S1C_bDpT10_ENKUlT_T0_E_clISt17integral_constantIbLb0EES1O_IbLb1EEEEDaS1K_S1L_EUlS1K_E_NS1_11comp_targetILNS1_3genE10ELNS1_11target_archE1200ELNS1_3gpuE4ELNS1_3repE0EEENS1_30default_config_static_selectorELNS0_4arch9wavefront6targetE1EEEvSY_,"axG",@progbits,_ZN7rocprim17ROCPRIM_400000_NS6detail17trampoline_kernelINS0_13select_configILj256ELj13ELNS0_17block_load_methodE3ELS4_3ELS4_3ELNS0_20block_scan_algorithmE0ELj4294967295EEENS1_25partition_config_selectorILNS1_17partition_subalgoE3EjNS0_10empty_typeEbEEZZNS1_14partition_implILS8_3ELb0ES6_jNS0_17counting_iteratorIjlEEPS9_SE_NS0_5tupleIJPjSE_EEENSF_IJSE_SE_EEES9_SG_JZNS1_25segmented_radix_sort_implINS0_14default_configELb1EPKhPhPKlPlN2at6native12_GLOBAL__N_18offset_tEEE10hipError_tPvRmT1_PNSt15iterator_traitsISY_E10value_typeET2_T3_PNSZ_IS14_E10value_typeET4_jRbjT5_S1A_jjP12ihipStream_tbEUljE_EEESV_SW_SX_S14_S18_S1A_T6_T7_T9_mT8_S1C_bDpT10_ENKUlT_T0_E_clISt17integral_constantIbLb0EES1O_IbLb1EEEEDaS1K_S1L_EUlS1K_E_NS1_11comp_targetILNS1_3genE10ELNS1_11target_archE1200ELNS1_3gpuE4ELNS1_3repE0EEENS1_30default_config_static_selectorELNS0_4arch9wavefront6targetE1EEEvSY_,comdat
	.globl	_ZN7rocprim17ROCPRIM_400000_NS6detail17trampoline_kernelINS0_13select_configILj256ELj13ELNS0_17block_load_methodE3ELS4_3ELS4_3ELNS0_20block_scan_algorithmE0ELj4294967295EEENS1_25partition_config_selectorILNS1_17partition_subalgoE3EjNS0_10empty_typeEbEEZZNS1_14partition_implILS8_3ELb0ES6_jNS0_17counting_iteratorIjlEEPS9_SE_NS0_5tupleIJPjSE_EEENSF_IJSE_SE_EEES9_SG_JZNS1_25segmented_radix_sort_implINS0_14default_configELb1EPKhPhPKlPlN2at6native12_GLOBAL__N_18offset_tEEE10hipError_tPvRmT1_PNSt15iterator_traitsISY_E10value_typeET2_T3_PNSZ_IS14_E10value_typeET4_jRbjT5_S1A_jjP12ihipStream_tbEUljE_EEESV_SW_SX_S14_S18_S1A_T6_T7_T9_mT8_S1C_bDpT10_ENKUlT_T0_E_clISt17integral_constantIbLb0EES1O_IbLb1EEEEDaS1K_S1L_EUlS1K_E_NS1_11comp_targetILNS1_3genE10ELNS1_11target_archE1200ELNS1_3gpuE4ELNS1_3repE0EEENS1_30default_config_static_selectorELNS0_4arch9wavefront6targetE1EEEvSY_ ; -- Begin function _ZN7rocprim17ROCPRIM_400000_NS6detail17trampoline_kernelINS0_13select_configILj256ELj13ELNS0_17block_load_methodE3ELS4_3ELS4_3ELNS0_20block_scan_algorithmE0ELj4294967295EEENS1_25partition_config_selectorILNS1_17partition_subalgoE3EjNS0_10empty_typeEbEEZZNS1_14partition_implILS8_3ELb0ES6_jNS0_17counting_iteratorIjlEEPS9_SE_NS0_5tupleIJPjSE_EEENSF_IJSE_SE_EEES9_SG_JZNS1_25segmented_radix_sort_implINS0_14default_configELb1EPKhPhPKlPlN2at6native12_GLOBAL__N_18offset_tEEE10hipError_tPvRmT1_PNSt15iterator_traitsISY_E10value_typeET2_T3_PNSZ_IS14_E10value_typeET4_jRbjT5_S1A_jjP12ihipStream_tbEUljE_EEESV_SW_SX_S14_S18_S1A_T6_T7_T9_mT8_S1C_bDpT10_ENKUlT_T0_E_clISt17integral_constantIbLb0EES1O_IbLb1EEEEDaS1K_S1L_EUlS1K_E_NS1_11comp_targetILNS1_3genE10ELNS1_11target_archE1200ELNS1_3gpuE4ELNS1_3repE0EEENS1_30default_config_static_selectorELNS0_4arch9wavefront6targetE1EEEvSY_
	.p2align	8
	.type	_ZN7rocprim17ROCPRIM_400000_NS6detail17trampoline_kernelINS0_13select_configILj256ELj13ELNS0_17block_load_methodE3ELS4_3ELS4_3ELNS0_20block_scan_algorithmE0ELj4294967295EEENS1_25partition_config_selectorILNS1_17partition_subalgoE3EjNS0_10empty_typeEbEEZZNS1_14partition_implILS8_3ELb0ES6_jNS0_17counting_iteratorIjlEEPS9_SE_NS0_5tupleIJPjSE_EEENSF_IJSE_SE_EEES9_SG_JZNS1_25segmented_radix_sort_implINS0_14default_configELb1EPKhPhPKlPlN2at6native12_GLOBAL__N_18offset_tEEE10hipError_tPvRmT1_PNSt15iterator_traitsISY_E10value_typeET2_T3_PNSZ_IS14_E10value_typeET4_jRbjT5_S1A_jjP12ihipStream_tbEUljE_EEESV_SW_SX_S14_S18_S1A_T6_T7_T9_mT8_S1C_bDpT10_ENKUlT_T0_E_clISt17integral_constantIbLb0EES1O_IbLb1EEEEDaS1K_S1L_EUlS1K_E_NS1_11comp_targetILNS1_3genE10ELNS1_11target_archE1200ELNS1_3gpuE4ELNS1_3repE0EEENS1_30default_config_static_selectorELNS0_4arch9wavefront6targetE1EEEvSY_,@function
_ZN7rocprim17ROCPRIM_400000_NS6detail17trampoline_kernelINS0_13select_configILj256ELj13ELNS0_17block_load_methodE3ELS4_3ELS4_3ELNS0_20block_scan_algorithmE0ELj4294967295EEENS1_25partition_config_selectorILNS1_17partition_subalgoE3EjNS0_10empty_typeEbEEZZNS1_14partition_implILS8_3ELb0ES6_jNS0_17counting_iteratorIjlEEPS9_SE_NS0_5tupleIJPjSE_EEENSF_IJSE_SE_EEES9_SG_JZNS1_25segmented_radix_sort_implINS0_14default_configELb1EPKhPhPKlPlN2at6native12_GLOBAL__N_18offset_tEEE10hipError_tPvRmT1_PNSt15iterator_traitsISY_E10value_typeET2_T3_PNSZ_IS14_E10value_typeET4_jRbjT5_S1A_jjP12ihipStream_tbEUljE_EEESV_SW_SX_S14_S18_S1A_T6_T7_T9_mT8_S1C_bDpT10_ENKUlT_T0_E_clISt17integral_constantIbLb0EES1O_IbLb1EEEEDaS1K_S1L_EUlS1K_E_NS1_11comp_targetILNS1_3genE10ELNS1_11target_archE1200ELNS1_3gpuE4ELNS1_3repE0EEENS1_30default_config_static_selectorELNS0_4arch9wavefront6targetE1EEEvSY_: ; @_ZN7rocprim17ROCPRIM_400000_NS6detail17trampoline_kernelINS0_13select_configILj256ELj13ELNS0_17block_load_methodE3ELS4_3ELS4_3ELNS0_20block_scan_algorithmE0ELj4294967295EEENS1_25partition_config_selectorILNS1_17partition_subalgoE3EjNS0_10empty_typeEbEEZZNS1_14partition_implILS8_3ELb0ES6_jNS0_17counting_iteratorIjlEEPS9_SE_NS0_5tupleIJPjSE_EEENSF_IJSE_SE_EEES9_SG_JZNS1_25segmented_radix_sort_implINS0_14default_configELb1EPKhPhPKlPlN2at6native12_GLOBAL__N_18offset_tEEE10hipError_tPvRmT1_PNSt15iterator_traitsISY_E10value_typeET2_T3_PNSZ_IS14_E10value_typeET4_jRbjT5_S1A_jjP12ihipStream_tbEUljE_EEESV_SW_SX_S14_S18_S1A_T6_T7_T9_mT8_S1C_bDpT10_ENKUlT_T0_E_clISt17integral_constantIbLb0EES1O_IbLb1EEEEDaS1K_S1L_EUlS1K_E_NS1_11comp_targetILNS1_3genE10ELNS1_11target_archE1200ELNS1_3gpuE4ELNS1_3repE0EEENS1_30default_config_static_selectorELNS0_4arch9wavefront6targetE1EEEvSY_
; %bb.0:
	.section	.rodata,"a",@progbits
	.p2align	6, 0x0
	.amdhsa_kernel _ZN7rocprim17ROCPRIM_400000_NS6detail17trampoline_kernelINS0_13select_configILj256ELj13ELNS0_17block_load_methodE3ELS4_3ELS4_3ELNS0_20block_scan_algorithmE0ELj4294967295EEENS1_25partition_config_selectorILNS1_17partition_subalgoE3EjNS0_10empty_typeEbEEZZNS1_14partition_implILS8_3ELb0ES6_jNS0_17counting_iteratorIjlEEPS9_SE_NS0_5tupleIJPjSE_EEENSF_IJSE_SE_EEES9_SG_JZNS1_25segmented_radix_sort_implINS0_14default_configELb1EPKhPhPKlPlN2at6native12_GLOBAL__N_18offset_tEEE10hipError_tPvRmT1_PNSt15iterator_traitsISY_E10value_typeET2_T3_PNSZ_IS14_E10value_typeET4_jRbjT5_S1A_jjP12ihipStream_tbEUljE_EEESV_SW_SX_S14_S18_S1A_T6_T7_T9_mT8_S1C_bDpT10_ENKUlT_T0_E_clISt17integral_constantIbLb0EES1O_IbLb1EEEEDaS1K_S1L_EUlS1K_E_NS1_11comp_targetILNS1_3genE10ELNS1_11target_archE1200ELNS1_3gpuE4ELNS1_3repE0EEENS1_30default_config_static_selectorELNS0_4arch9wavefront6targetE1EEEvSY_
		.amdhsa_group_segment_fixed_size 0
		.amdhsa_private_segment_fixed_size 0
		.amdhsa_kernarg_size 152
		.amdhsa_user_sgpr_count 6
		.amdhsa_user_sgpr_private_segment_buffer 1
		.amdhsa_user_sgpr_dispatch_ptr 0
		.amdhsa_user_sgpr_queue_ptr 0
		.amdhsa_user_sgpr_kernarg_segment_ptr 1
		.amdhsa_user_sgpr_dispatch_id 0
		.amdhsa_user_sgpr_flat_scratch_init 0
		.amdhsa_user_sgpr_kernarg_preload_length 0
		.amdhsa_user_sgpr_kernarg_preload_offset 0
		.amdhsa_user_sgpr_private_segment_size 0
		.amdhsa_uses_dynamic_stack 0
		.amdhsa_system_sgpr_private_segment_wavefront_offset 0
		.amdhsa_system_sgpr_workgroup_id_x 1
		.amdhsa_system_sgpr_workgroup_id_y 0
		.amdhsa_system_sgpr_workgroup_id_z 0
		.amdhsa_system_sgpr_workgroup_info 0
		.amdhsa_system_vgpr_workitem_id 0
		.amdhsa_next_free_vgpr 1
		.amdhsa_next_free_sgpr 0
		.amdhsa_accum_offset 4
		.amdhsa_reserve_vcc 0
		.amdhsa_reserve_flat_scratch 0
		.amdhsa_float_round_mode_32 0
		.amdhsa_float_round_mode_16_64 0
		.amdhsa_float_denorm_mode_32 3
		.amdhsa_float_denorm_mode_16_64 3
		.amdhsa_dx10_clamp 1
		.amdhsa_ieee_mode 1
		.amdhsa_fp16_overflow 0
		.amdhsa_tg_split 0
		.amdhsa_exception_fp_ieee_invalid_op 0
		.amdhsa_exception_fp_denorm_src 0
		.amdhsa_exception_fp_ieee_div_zero 0
		.amdhsa_exception_fp_ieee_overflow 0
		.amdhsa_exception_fp_ieee_underflow 0
		.amdhsa_exception_fp_ieee_inexact 0
		.amdhsa_exception_int_div_zero 0
	.end_amdhsa_kernel
	.section	.text._ZN7rocprim17ROCPRIM_400000_NS6detail17trampoline_kernelINS0_13select_configILj256ELj13ELNS0_17block_load_methodE3ELS4_3ELS4_3ELNS0_20block_scan_algorithmE0ELj4294967295EEENS1_25partition_config_selectorILNS1_17partition_subalgoE3EjNS0_10empty_typeEbEEZZNS1_14partition_implILS8_3ELb0ES6_jNS0_17counting_iteratorIjlEEPS9_SE_NS0_5tupleIJPjSE_EEENSF_IJSE_SE_EEES9_SG_JZNS1_25segmented_radix_sort_implINS0_14default_configELb1EPKhPhPKlPlN2at6native12_GLOBAL__N_18offset_tEEE10hipError_tPvRmT1_PNSt15iterator_traitsISY_E10value_typeET2_T3_PNSZ_IS14_E10value_typeET4_jRbjT5_S1A_jjP12ihipStream_tbEUljE_EEESV_SW_SX_S14_S18_S1A_T6_T7_T9_mT8_S1C_bDpT10_ENKUlT_T0_E_clISt17integral_constantIbLb0EES1O_IbLb1EEEEDaS1K_S1L_EUlS1K_E_NS1_11comp_targetILNS1_3genE10ELNS1_11target_archE1200ELNS1_3gpuE4ELNS1_3repE0EEENS1_30default_config_static_selectorELNS0_4arch9wavefront6targetE1EEEvSY_,"axG",@progbits,_ZN7rocprim17ROCPRIM_400000_NS6detail17trampoline_kernelINS0_13select_configILj256ELj13ELNS0_17block_load_methodE3ELS4_3ELS4_3ELNS0_20block_scan_algorithmE0ELj4294967295EEENS1_25partition_config_selectorILNS1_17partition_subalgoE3EjNS0_10empty_typeEbEEZZNS1_14partition_implILS8_3ELb0ES6_jNS0_17counting_iteratorIjlEEPS9_SE_NS0_5tupleIJPjSE_EEENSF_IJSE_SE_EEES9_SG_JZNS1_25segmented_radix_sort_implINS0_14default_configELb1EPKhPhPKlPlN2at6native12_GLOBAL__N_18offset_tEEE10hipError_tPvRmT1_PNSt15iterator_traitsISY_E10value_typeET2_T3_PNSZ_IS14_E10value_typeET4_jRbjT5_S1A_jjP12ihipStream_tbEUljE_EEESV_SW_SX_S14_S18_S1A_T6_T7_T9_mT8_S1C_bDpT10_ENKUlT_T0_E_clISt17integral_constantIbLb0EES1O_IbLb1EEEEDaS1K_S1L_EUlS1K_E_NS1_11comp_targetILNS1_3genE10ELNS1_11target_archE1200ELNS1_3gpuE4ELNS1_3repE0EEENS1_30default_config_static_selectorELNS0_4arch9wavefront6targetE1EEEvSY_,comdat
.Lfunc_end80:
	.size	_ZN7rocprim17ROCPRIM_400000_NS6detail17trampoline_kernelINS0_13select_configILj256ELj13ELNS0_17block_load_methodE3ELS4_3ELS4_3ELNS0_20block_scan_algorithmE0ELj4294967295EEENS1_25partition_config_selectorILNS1_17partition_subalgoE3EjNS0_10empty_typeEbEEZZNS1_14partition_implILS8_3ELb0ES6_jNS0_17counting_iteratorIjlEEPS9_SE_NS0_5tupleIJPjSE_EEENSF_IJSE_SE_EEES9_SG_JZNS1_25segmented_radix_sort_implINS0_14default_configELb1EPKhPhPKlPlN2at6native12_GLOBAL__N_18offset_tEEE10hipError_tPvRmT1_PNSt15iterator_traitsISY_E10value_typeET2_T3_PNSZ_IS14_E10value_typeET4_jRbjT5_S1A_jjP12ihipStream_tbEUljE_EEESV_SW_SX_S14_S18_S1A_T6_T7_T9_mT8_S1C_bDpT10_ENKUlT_T0_E_clISt17integral_constantIbLb0EES1O_IbLb1EEEEDaS1K_S1L_EUlS1K_E_NS1_11comp_targetILNS1_3genE10ELNS1_11target_archE1200ELNS1_3gpuE4ELNS1_3repE0EEENS1_30default_config_static_selectorELNS0_4arch9wavefront6targetE1EEEvSY_, .Lfunc_end80-_ZN7rocprim17ROCPRIM_400000_NS6detail17trampoline_kernelINS0_13select_configILj256ELj13ELNS0_17block_load_methodE3ELS4_3ELS4_3ELNS0_20block_scan_algorithmE0ELj4294967295EEENS1_25partition_config_selectorILNS1_17partition_subalgoE3EjNS0_10empty_typeEbEEZZNS1_14partition_implILS8_3ELb0ES6_jNS0_17counting_iteratorIjlEEPS9_SE_NS0_5tupleIJPjSE_EEENSF_IJSE_SE_EEES9_SG_JZNS1_25segmented_radix_sort_implINS0_14default_configELb1EPKhPhPKlPlN2at6native12_GLOBAL__N_18offset_tEEE10hipError_tPvRmT1_PNSt15iterator_traitsISY_E10value_typeET2_T3_PNSZ_IS14_E10value_typeET4_jRbjT5_S1A_jjP12ihipStream_tbEUljE_EEESV_SW_SX_S14_S18_S1A_T6_T7_T9_mT8_S1C_bDpT10_ENKUlT_T0_E_clISt17integral_constantIbLb0EES1O_IbLb1EEEEDaS1K_S1L_EUlS1K_E_NS1_11comp_targetILNS1_3genE10ELNS1_11target_archE1200ELNS1_3gpuE4ELNS1_3repE0EEENS1_30default_config_static_selectorELNS0_4arch9wavefront6targetE1EEEvSY_
                                        ; -- End function
	.section	.AMDGPU.csdata,"",@progbits
; Kernel info:
; codeLenInByte = 0
; NumSgprs: 4
; NumVgprs: 0
; NumAgprs: 0
; TotalNumVgprs: 0
; ScratchSize: 0
; MemoryBound: 0
; FloatMode: 240
; IeeeMode: 1
; LDSByteSize: 0 bytes/workgroup (compile time only)
; SGPRBlocks: 0
; VGPRBlocks: 0
; NumSGPRsForWavesPerEU: 4
; NumVGPRsForWavesPerEU: 1
; AccumOffset: 4
; Occupancy: 8
; WaveLimiterHint : 0
; COMPUTE_PGM_RSRC2:SCRATCH_EN: 0
; COMPUTE_PGM_RSRC2:USER_SGPR: 6
; COMPUTE_PGM_RSRC2:TRAP_HANDLER: 0
; COMPUTE_PGM_RSRC2:TGID_X_EN: 1
; COMPUTE_PGM_RSRC2:TGID_Y_EN: 0
; COMPUTE_PGM_RSRC2:TGID_Z_EN: 0
; COMPUTE_PGM_RSRC2:TIDIG_COMP_CNT: 0
; COMPUTE_PGM_RSRC3_GFX90A:ACCUM_OFFSET: 0
; COMPUTE_PGM_RSRC3_GFX90A:TG_SPLIT: 0
	.section	.text._ZN7rocprim17ROCPRIM_400000_NS6detail17trampoline_kernelINS0_13select_configILj256ELj13ELNS0_17block_load_methodE3ELS4_3ELS4_3ELNS0_20block_scan_algorithmE0ELj4294967295EEENS1_25partition_config_selectorILNS1_17partition_subalgoE3EjNS0_10empty_typeEbEEZZNS1_14partition_implILS8_3ELb0ES6_jNS0_17counting_iteratorIjlEEPS9_SE_NS0_5tupleIJPjSE_EEENSF_IJSE_SE_EEES9_SG_JZNS1_25segmented_radix_sort_implINS0_14default_configELb1EPKhPhPKlPlN2at6native12_GLOBAL__N_18offset_tEEE10hipError_tPvRmT1_PNSt15iterator_traitsISY_E10value_typeET2_T3_PNSZ_IS14_E10value_typeET4_jRbjT5_S1A_jjP12ihipStream_tbEUljE_EEESV_SW_SX_S14_S18_S1A_T6_T7_T9_mT8_S1C_bDpT10_ENKUlT_T0_E_clISt17integral_constantIbLb0EES1O_IbLb1EEEEDaS1K_S1L_EUlS1K_E_NS1_11comp_targetILNS1_3genE9ELNS1_11target_archE1100ELNS1_3gpuE3ELNS1_3repE0EEENS1_30default_config_static_selectorELNS0_4arch9wavefront6targetE1EEEvSY_,"axG",@progbits,_ZN7rocprim17ROCPRIM_400000_NS6detail17trampoline_kernelINS0_13select_configILj256ELj13ELNS0_17block_load_methodE3ELS4_3ELS4_3ELNS0_20block_scan_algorithmE0ELj4294967295EEENS1_25partition_config_selectorILNS1_17partition_subalgoE3EjNS0_10empty_typeEbEEZZNS1_14partition_implILS8_3ELb0ES6_jNS0_17counting_iteratorIjlEEPS9_SE_NS0_5tupleIJPjSE_EEENSF_IJSE_SE_EEES9_SG_JZNS1_25segmented_radix_sort_implINS0_14default_configELb1EPKhPhPKlPlN2at6native12_GLOBAL__N_18offset_tEEE10hipError_tPvRmT1_PNSt15iterator_traitsISY_E10value_typeET2_T3_PNSZ_IS14_E10value_typeET4_jRbjT5_S1A_jjP12ihipStream_tbEUljE_EEESV_SW_SX_S14_S18_S1A_T6_T7_T9_mT8_S1C_bDpT10_ENKUlT_T0_E_clISt17integral_constantIbLb0EES1O_IbLb1EEEEDaS1K_S1L_EUlS1K_E_NS1_11comp_targetILNS1_3genE9ELNS1_11target_archE1100ELNS1_3gpuE3ELNS1_3repE0EEENS1_30default_config_static_selectorELNS0_4arch9wavefront6targetE1EEEvSY_,comdat
	.globl	_ZN7rocprim17ROCPRIM_400000_NS6detail17trampoline_kernelINS0_13select_configILj256ELj13ELNS0_17block_load_methodE3ELS4_3ELS4_3ELNS0_20block_scan_algorithmE0ELj4294967295EEENS1_25partition_config_selectorILNS1_17partition_subalgoE3EjNS0_10empty_typeEbEEZZNS1_14partition_implILS8_3ELb0ES6_jNS0_17counting_iteratorIjlEEPS9_SE_NS0_5tupleIJPjSE_EEENSF_IJSE_SE_EEES9_SG_JZNS1_25segmented_radix_sort_implINS0_14default_configELb1EPKhPhPKlPlN2at6native12_GLOBAL__N_18offset_tEEE10hipError_tPvRmT1_PNSt15iterator_traitsISY_E10value_typeET2_T3_PNSZ_IS14_E10value_typeET4_jRbjT5_S1A_jjP12ihipStream_tbEUljE_EEESV_SW_SX_S14_S18_S1A_T6_T7_T9_mT8_S1C_bDpT10_ENKUlT_T0_E_clISt17integral_constantIbLb0EES1O_IbLb1EEEEDaS1K_S1L_EUlS1K_E_NS1_11comp_targetILNS1_3genE9ELNS1_11target_archE1100ELNS1_3gpuE3ELNS1_3repE0EEENS1_30default_config_static_selectorELNS0_4arch9wavefront6targetE1EEEvSY_ ; -- Begin function _ZN7rocprim17ROCPRIM_400000_NS6detail17trampoline_kernelINS0_13select_configILj256ELj13ELNS0_17block_load_methodE3ELS4_3ELS4_3ELNS0_20block_scan_algorithmE0ELj4294967295EEENS1_25partition_config_selectorILNS1_17partition_subalgoE3EjNS0_10empty_typeEbEEZZNS1_14partition_implILS8_3ELb0ES6_jNS0_17counting_iteratorIjlEEPS9_SE_NS0_5tupleIJPjSE_EEENSF_IJSE_SE_EEES9_SG_JZNS1_25segmented_radix_sort_implINS0_14default_configELb1EPKhPhPKlPlN2at6native12_GLOBAL__N_18offset_tEEE10hipError_tPvRmT1_PNSt15iterator_traitsISY_E10value_typeET2_T3_PNSZ_IS14_E10value_typeET4_jRbjT5_S1A_jjP12ihipStream_tbEUljE_EEESV_SW_SX_S14_S18_S1A_T6_T7_T9_mT8_S1C_bDpT10_ENKUlT_T0_E_clISt17integral_constantIbLb0EES1O_IbLb1EEEEDaS1K_S1L_EUlS1K_E_NS1_11comp_targetILNS1_3genE9ELNS1_11target_archE1100ELNS1_3gpuE3ELNS1_3repE0EEENS1_30default_config_static_selectorELNS0_4arch9wavefront6targetE1EEEvSY_
	.p2align	8
	.type	_ZN7rocprim17ROCPRIM_400000_NS6detail17trampoline_kernelINS0_13select_configILj256ELj13ELNS0_17block_load_methodE3ELS4_3ELS4_3ELNS0_20block_scan_algorithmE0ELj4294967295EEENS1_25partition_config_selectorILNS1_17partition_subalgoE3EjNS0_10empty_typeEbEEZZNS1_14partition_implILS8_3ELb0ES6_jNS0_17counting_iteratorIjlEEPS9_SE_NS0_5tupleIJPjSE_EEENSF_IJSE_SE_EEES9_SG_JZNS1_25segmented_radix_sort_implINS0_14default_configELb1EPKhPhPKlPlN2at6native12_GLOBAL__N_18offset_tEEE10hipError_tPvRmT1_PNSt15iterator_traitsISY_E10value_typeET2_T3_PNSZ_IS14_E10value_typeET4_jRbjT5_S1A_jjP12ihipStream_tbEUljE_EEESV_SW_SX_S14_S18_S1A_T6_T7_T9_mT8_S1C_bDpT10_ENKUlT_T0_E_clISt17integral_constantIbLb0EES1O_IbLb1EEEEDaS1K_S1L_EUlS1K_E_NS1_11comp_targetILNS1_3genE9ELNS1_11target_archE1100ELNS1_3gpuE3ELNS1_3repE0EEENS1_30default_config_static_selectorELNS0_4arch9wavefront6targetE1EEEvSY_,@function
_ZN7rocprim17ROCPRIM_400000_NS6detail17trampoline_kernelINS0_13select_configILj256ELj13ELNS0_17block_load_methodE3ELS4_3ELS4_3ELNS0_20block_scan_algorithmE0ELj4294967295EEENS1_25partition_config_selectorILNS1_17partition_subalgoE3EjNS0_10empty_typeEbEEZZNS1_14partition_implILS8_3ELb0ES6_jNS0_17counting_iteratorIjlEEPS9_SE_NS0_5tupleIJPjSE_EEENSF_IJSE_SE_EEES9_SG_JZNS1_25segmented_radix_sort_implINS0_14default_configELb1EPKhPhPKlPlN2at6native12_GLOBAL__N_18offset_tEEE10hipError_tPvRmT1_PNSt15iterator_traitsISY_E10value_typeET2_T3_PNSZ_IS14_E10value_typeET4_jRbjT5_S1A_jjP12ihipStream_tbEUljE_EEESV_SW_SX_S14_S18_S1A_T6_T7_T9_mT8_S1C_bDpT10_ENKUlT_T0_E_clISt17integral_constantIbLb0EES1O_IbLb1EEEEDaS1K_S1L_EUlS1K_E_NS1_11comp_targetILNS1_3genE9ELNS1_11target_archE1100ELNS1_3gpuE3ELNS1_3repE0EEENS1_30default_config_static_selectorELNS0_4arch9wavefront6targetE1EEEvSY_: ; @_ZN7rocprim17ROCPRIM_400000_NS6detail17trampoline_kernelINS0_13select_configILj256ELj13ELNS0_17block_load_methodE3ELS4_3ELS4_3ELNS0_20block_scan_algorithmE0ELj4294967295EEENS1_25partition_config_selectorILNS1_17partition_subalgoE3EjNS0_10empty_typeEbEEZZNS1_14partition_implILS8_3ELb0ES6_jNS0_17counting_iteratorIjlEEPS9_SE_NS0_5tupleIJPjSE_EEENSF_IJSE_SE_EEES9_SG_JZNS1_25segmented_radix_sort_implINS0_14default_configELb1EPKhPhPKlPlN2at6native12_GLOBAL__N_18offset_tEEE10hipError_tPvRmT1_PNSt15iterator_traitsISY_E10value_typeET2_T3_PNSZ_IS14_E10value_typeET4_jRbjT5_S1A_jjP12ihipStream_tbEUljE_EEESV_SW_SX_S14_S18_S1A_T6_T7_T9_mT8_S1C_bDpT10_ENKUlT_T0_E_clISt17integral_constantIbLb0EES1O_IbLb1EEEEDaS1K_S1L_EUlS1K_E_NS1_11comp_targetILNS1_3genE9ELNS1_11target_archE1100ELNS1_3gpuE3ELNS1_3repE0EEENS1_30default_config_static_selectorELNS0_4arch9wavefront6targetE1EEEvSY_
; %bb.0:
	.section	.rodata,"a",@progbits
	.p2align	6, 0x0
	.amdhsa_kernel _ZN7rocprim17ROCPRIM_400000_NS6detail17trampoline_kernelINS0_13select_configILj256ELj13ELNS0_17block_load_methodE3ELS4_3ELS4_3ELNS0_20block_scan_algorithmE0ELj4294967295EEENS1_25partition_config_selectorILNS1_17partition_subalgoE3EjNS0_10empty_typeEbEEZZNS1_14partition_implILS8_3ELb0ES6_jNS0_17counting_iteratorIjlEEPS9_SE_NS0_5tupleIJPjSE_EEENSF_IJSE_SE_EEES9_SG_JZNS1_25segmented_radix_sort_implINS0_14default_configELb1EPKhPhPKlPlN2at6native12_GLOBAL__N_18offset_tEEE10hipError_tPvRmT1_PNSt15iterator_traitsISY_E10value_typeET2_T3_PNSZ_IS14_E10value_typeET4_jRbjT5_S1A_jjP12ihipStream_tbEUljE_EEESV_SW_SX_S14_S18_S1A_T6_T7_T9_mT8_S1C_bDpT10_ENKUlT_T0_E_clISt17integral_constantIbLb0EES1O_IbLb1EEEEDaS1K_S1L_EUlS1K_E_NS1_11comp_targetILNS1_3genE9ELNS1_11target_archE1100ELNS1_3gpuE3ELNS1_3repE0EEENS1_30default_config_static_selectorELNS0_4arch9wavefront6targetE1EEEvSY_
		.amdhsa_group_segment_fixed_size 0
		.amdhsa_private_segment_fixed_size 0
		.amdhsa_kernarg_size 152
		.amdhsa_user_sgpr_count 6
		.amdhsa_user_sgpr_private_segment_buffer 1
		.amdhsa_user_sgpr_dispatch_ptr 0
		.amdhsa_user_sgpr_queue_ptr 0
		.amdhsa_user_sgpr_kernarg_segment_ptr 1
		.amdhsa_user_sgpr_dispatch_id 0
		.amdhsa_user_sgpr_flat_scratch_init 0
		.amdhsa_user_sgpr_kernarg_preload_length 0
		.amdhsa_user_sgpr_kernarg_preload_offset 0
		.amdhsa_user_sgpr_private_segment_size 0
		.amdhsa_uses_dynamic_stack 0
		.amdhsa_system_sgpr_private_segment_wavefront_offset 0
		.amdhsa_system_sgpr_workgroup_id_x 1
		.amdhsa_system_sgpr_workgroup_id_y 0
		.amdhsa_system_sgpr_workgroup_id_z 0
		.amdhsa_system_sgpr_workgroup_info 0
		.amdhsa_system_vgpr_workitem_id 0
		.amdhsa_next_free_vgpr 1
		.amdhsa_next_free_sgpr 0
		.amdhsa_accum_offset 4
		.amdhsa_reserve_vcc 0
		.amdhsa_reserve_flat_scratch 0
		.amdhsa_float_round_mode_32 0
		.amdhsa_float_round_mode_16_64 0
		.amdhsa_float_denorm_mode_32 3
		.amdhsa_float_denorm_mode_16_64 3
		.amdhsa_dx10_clamp 1
		.amdhsa_ieee_mode 1
		.amdhsa_fp16_overflow 0
		.amdhsa_tg_split 0
		.amdhsa_exception_fp_ieee_invalid_op 0
		.amdhsa_exception_fp_denorm_src 0
		.amdhsa_exception_fp_ieee_div_zero 0
		.amdhsa_exception_fp_ieee_overflow 0
		.amdhsa_exception_fp_ieee_underflow 0
		.amdhsa_exception_fp_ieee_inexact 0
		.amdhsa_exception_int_div_zero 0
	.end_amdhsa_kernel
	.section	.text._ZN7rocprim17ROCPRIM_400000_NS6detail17trampoline_kernelINS0_13select_configILj256ELj13ELNS0_17block_load_methodE3ELS4_3ELS4_3ELNS0_20block_scan_algorithmE0ELj4294967295EEENS1_25partition_config_selectorILNS1_17partition_subalgoE3EjNS0_10empty_typeEbEEZZNS1_14partition_implILS8_3ELb0ES6_jNS0_17counting_iteratorIjlEEPS9_SE_NS0_5tupleIJPjSE_EEENSF_IJSE_SE_EEES9_SG_JZNS1_25segmented_radix_sort_implINS0_14default_configELb1EPKhPhPKlPlN2at6native12_GLOBAL__N_18offset_tEEE10hipError_tPvRmT1_PNSt15iterator_traitsISY_E10value_typeET2_T3_PNSZ_IS14_E10value_typeET4_jRbjT5_S1A_jjP12ihipStream_tbEUljE_EEESV_SW_SX_S14_S18_S1A_T6_T7_T9_mT8_S1C_bDpT10_ENKUlT_T0_E_clISt17integral_constantIbLb0EES1O_IbLb1EEEEDaS1K_S1L_EUlS1K_E_NS1_11comp_targetILNS1_3genE9ELNS1_11target_archE1100ELNS1_3gpuE3ELNS1_3repE0EEENS1_30default_config_static_selectorELNS0_4arch9wavefront6targetE1EEEvSY_,"axG",@progbits,_ZN7rocprim17ROCPRIM_400000_NS6detail17trampoline_kernelINS0_13select_configILj256ELj13ELNS0_17block_load_methodE3ELS4_3ELS4_3ELNS0_20block_scan_algorithmE0ELj4294967295EEENS1_25partition_config_selectorILNS1_17partition_subalgoE3EjNS0_10empty_typeEbEEZZNS1_14partition_implILS8_3ELb0ES6_jNS0_17counting_iteratorIjlEEPS9_SE_NS0_5tupleIJPjSE_EEENSF_IJSE_SE_EEES9_SG_JZNS1_25segmented_radix_sort_implINS0_14default_configELb1EPKhPhPKlPlN2at6native12_GLOBAL__N_18offset_tEEE10hipError_tPvRmT1_PNSt15iterator_traitsISY_E10value_typeET2_T3_PNSZ_IS14_E10value_typeET4_jRbjT5_S1A_jjP12ihipStream_tbEUljE_EEESV_SW_SX_S14_S18_S1A_T6_T7_T9_mT8_S1C_bDpT10_ENKUlT_T0_E_clISt17integral_constantIbLb0EES1O_IbLb1EEEEDaS1K_S1L_EUlS1K_E_NS1_11comp_targetILNS1_3genE9ELNS1_11target_archE1100ELNS1_3gpuE3ELNS1_3repE0EEENS1_30default_config_static_selectorELNS0_4arch9wavefront6targetE1EEEvSY_,comdat
.Lfunc_end81:
	.size	_ZN7rocprim17ROCPRIM_400000_NS6detail17trampoline_kernelINS0_13select_configILj256ELj13ELNS0_17block_load_methodE3ELS4_3ELS4_3ELNS0_20block_scan_algorithmE0ELj4294967295EEENS1_25partition_config_selectorILNS1_17partition_subalgoE3EjNS0_10empty_typeEbEEZZNS1_14partition_implILS8_3ELb0ES6_jNS0_17counting_iteratorIjlEEPS9_SE_NS0_5tupleIJPjSE_EEENSF_IJSE_SE_EEES9_SG_JZNS1_25segmented_radix_sort_implINS0_14default_configELb1EPKhPhPKlPlN2at6native12_GLOBAL__N_18offset_tEEE10hipError_tPvRmT1_PNSt15iterator_traitsISY_E10value_typeET2_T3_PNSZ_IS14_E10value_typeET4_jRbjT5_S1A_jjP12ihipStream_tbEUljE_EEESV_SW_SX_S14_S18_S1A_T6_T7_T9_mT8_S1C_bDpT10_ENKUlT_T0_E_clISt17integral_constantIbLb0EES1O_IbLb1EEEEDaS1K_S1L_EUlS1K_E_NS1_11comp_targetILNS1_3genE9ELNS1_11target_archE1100ELNS1_3gpuE3ELNS1_3repE0EEENS1_30default_config_static_selectorELNS0_4arch9wavefront6targetE1EEEvSY_, .Lfunc_end81-_ZN7rocprim17ROCPRIM_400000_NS6detail17trampoline_kernelINS0_13select_configILj256ELj13ELNS0_17block_load_methodE3ELS4_3ELS4_3ELNS0_20block_scan_algorithmE0ELj4294967295EEENS1_25partition_config_selectorILNS1_17partition_subalgoE3EjNS0_10empty_typeEbEEZZNS1_14partition_implILS8_3ELb0ES6_jNS0_17counting_iteratorIjlEEPS9_SE_NS0_5tupleIJPjSE_EEENSF_IJSE_SE_EEES9_SG_JZNS1_25segmented_radix_sort_implINS0_14default_configELb1EPKhPhPKlPlN2at6native12_GLOBAL__N_18offset_tEEE10hipError_tPvRmT1_PNSt15iterator_traitsISY_E10value_typeET2_T3_PNSZ_IS14_E10value_typeET4_jRbjT5_S1A_jjP12ihipStream_tbEUljE_EEESV_SW_SX_S14_S18_S1A_T6_T7_T9_mT8_S1C_bDpT10_ENKUlT_T0_E_clISt17integral_constantIbLb0EES1O_IbLb1EEEEDaS1K_S1L_EUlS1K_E_NS1_11comp_targetILNS1_3genE9ELNS1_11target_archE1100ELNS1_3gpuE3ELNS1_3repE0EEENS1_30default_config_static_selectorELNS0_4arch9wavefront6targetE1EEEvSY_
                                        ; -- End function
	.section	.AMDGPU.csdata,"",@progbits
; Kernel info:
; codeLenInByte = 0
; NumSgprs: 4
; NumVgprs: 0
; NumAgprs: 0
; TotalNumVgprs: 0
; ScratchSize: 0
; MemoryBound: 0
; FloatMode: 240
; IeeeMode: 1
; LDSByteSize: 0 bytes/workgroup (compile time only)
; SGPRBlocks: 0
; VGPRBlocks: 0
; NumSGPRsForWavesPerEU: 4
; NumVGPRsForWavesPerEU: 1
; AccumOffset: 4
; Occupancy: 8
; WaveLimiterHint : 0
; COMPUTE_PGM_RSRC2:SCRATCH_EN: 0
; COMPUTE_PGM_RSRC2:USER_SGPR: 6
; COMPUTE_PGM_RSRC2:TRAP_HANDLER: 0
; COMPUTE_PGM_RSRC2:TGID_X_EN: 1
; COMPUTE_PGM_RSRC2:TGID_Y_EN: 0
; COMPUTE_PGM_RSRC2:TGID_Z_EN: 0
; COMPUTE_PGM_RSRC2:TIDIG_COMP_CNT: 0
; COMPUTE_PGM_RSRC3_GFX90A:ACCUM_OFFSET: 0
; COMPUTE_PGM_RSRC3_GFX90A:TG_SPLIT: 0
	.section	.text._ZN7rocprim17ROCPRIM_400000_NS6detail17trampoline_kernelINS0_13select_configILj256ELj13ELNS0_17block_load_methodE3ELS4_3ELS4_3ELNS0_20block_scan_algorithmE0ELj4294967295EEENS1_25partition_config_selectorILNS1_17partition_subalgoE3EjNS0_10empty_typeEbEEZZNS1_14partition_implILS8_3ELb0ES6_jNS0_17counting_iteratorIjlEEPS9_SE_NS0_5tupleIJPjSE_EEENSF_IJSE_SE_EEES9_SG_JZNS1_25segmented_radix_sort_implINS0_14default_configELb1EPKhPhPKlPlN2at6native12_GLOBAL__N_18offset_tEEE10hipError_tPvRmT1_PNSt15iterator_traitsISY_E10value_typeET2_T3_PNSZ_IS14_E10value_typeET4_jRbjT5_S1A_jjP12ihipStream_tbEUljE_EEESV_SW_SX_S14_S18_S1A_T6_T7_T9_mT8_S1C_bDpT10_ENKUlT_T0_E_clISt17integral_constantIbLb0EES1O_IbLb1EEEEDaS1K_S1L_EUlS1K_E_NS1_11comp_targetILNS1_3genE8ELNS1_11target_archE1030ELNS1_3gpuE2ELNS1_3repE0EEENS1_30default_config_static_selectorELNS0_4arch9wavefront6targetE1EEEvSY_,"axG",@progbits,_ZN7rocprim17ROCPRIM_400000_NS6detail17trampoline_kernelINS0_13select_configILj256ELj13ELNS0_17block_load_methodE3ELS4_3ELS4_3ELNS0_20block_scan_algorithmE0ELj4294967295EEENS1_25partition_config_selectorILNS1_17partition_subalgoE3EjNS0_10empty_typeEbEEZZNS1_14partition_implILS8_3ELb0ES6_jNS0_17counting_iteratorIjlEEPS9_SE_NS0_5tupleIJPjSE_EEENSF_IJSE_SE_EEES9_SG_JZNS1_25segmented_radix_sort_implINS0_14default_configELb1EPKhPhPKlPlN2at6native12_GLOBAL__N_18offset_tEEE10hipError_tPvRmT1_PNSt15iterator_traitsISY_E10value_typeET2_T3_PNSZ_IS14_E10value_typeET4_jRbjT5_S1A_jjP12ihipStream_tbEUljE_EEESV_SW_SX_S14_S18_S1A_T6_T7_T9_mT8_S1C_bDpT10_ENKUlT_T0_E_clISt17integral_constantIbLb0EES1O_IbLb1EEEEDaS1K_S1L_EUlS1K_E_NS1_11comp_targetILNS1_3genE8ELNS1_11target_archE1030ELNS1_3gpuE2ELNS1_3repE0EEENS1_30default_config_static_selectorELNS0_4arch9wavefront6targetE1EEEvSY_,comdat
	.globl	_ZN7rocprim17ROCPRIM_400000_NS6detail17trampoline_kernelINS0_13select_configILj256ELj13ELNS0_17block_load_methodE3ELS4_3ELS4_3ELNS0_20block_scan_algorithmE0ELj4294967295EEENS1_25partition_config_selectorILNS1_17partition_subalgoE3EjNS0_10empty_typeEbEEZZNS1_14partition_implILS8_3ELb0ES6_jNS0_17counting_iteratorIjlEEPS9_SE_NS0_5tupleIJPjSE_EEENSF_IJSE_SE_EEES9_SG_JZNS1_25segmented_radix_sort_implINS0_14default_configELb1EPKhPhPKlPlN2at6native12_GLOBAL__N_18offset_tEEE10hipError_tPvRmT1_PNSt15iterator_traitsISY_E10value_typeET2_T3_PNSZ_IS14_E10value_typeET4_jRbjT5_S1A_jjP12ihipStream_tbEUljE_EEESV_SW_SX_S14_S18_S1A_T6_T7_T9_mT8_S1C_bDpT10_ENKUlT_T0_E_clISt17integral_constantIbLb0EES1O_IbLb1EEEEDaS1K_S1L_EUlS1K_E_NS1_11comp_targetILNS1_3genE8ELNS1_11target_archE1030ELNS1_3gpuE2ELNS1_3repE0EEENS1_30default_config_static_selectorELNS0_4arch9wavefront6targetE1EEEvSY_ ; -- Begin function _ZN7rocprim17ROCPRIM_400000_NS6detail17trampoline_kernelINS0_13select_configILj256ELj13ELNS0_17block_load_methodE3ELS4_3ELS4_3ELNS0_20block_scan_algorithmE0ELj4294967295EEENS1_25partition_config_selectorILNS1_17partition_subalgoE3EjNS0_10empty_typeEbEEZZNS1_14partition_implILS8_3ELb0ES6_jNS0_17counting_iteratorIjlEEPS9_SE_NS0_5tupleIJPjSE_EEENSF_IJSE_SE_EEES9_SG_JZNS1_25segmented_radix_sort_implINS0_14default_configELb1EPKhPhPKlPlN2at6native12_GLOBAL__N_18offset_tEEE10hipError_tPvRmT1_PNSt15iterator_traitsISY_E10value_typeET2_T3_PNSZ_IS14_E10value_typeET4_jRbjT5_S1A_jjP12ihipStream_tbEUljE_EEESV_SW_SX_S14_S18_S1A_T6_T7_T9_mT8_S1C_bDpT10_ENKUlT_T0_E_clISt17integral_constantIbLb0EES1O_IbLb1EEEEDaS1K_S1L_EUlS1K_E_NS1_11comp_targetILNS1_3genE8ELNS1_11target_archE1030ELNS1_3gpuE2ELNS1_3repE0EEENS1_30default_config_static_selectorELNS0_4arch9wavefront6targetE1EEEvSY_
	.p2align	8
	.type	_ZN7rocprim17ROCPRIM_400000_NS6detail17trampoline_kernelINS0_13select_configILj256ELj13ELNS0_17block_load_methodE3ELS4_3ELS4_3ELNS0_20block_scan_algorithmE0ELj4294967295EEENS1_25partition_config_selectorILNS1_17partition_subalgoE3EjNS0_10empty_typeEbEEZZNS1_14partition_implILS8_3ELb0ES6_jNS0_17counting_iteratorIjlEEPS9_SE_NS0_5tupleIJPjSE_EEENSF_IJSE_SE_EEES9_SG_JZNS1_25segmented_radix_sort_implINS0_14default_configELb1EPKhPhPKlPlN2at6native12_GLOBAL__N_18offset_tEEE10hipError_tPvRmT1_PNSt15iterator_traitsISY_E10value_typeET2_T3_PNSZ_IS14_E10value_typeET4_jRbjT5_S1A_jjP12ihipStream_tbEUljE_EEESV_SW_SX_S14_S18_S1A_T6_T7_T9_mT8_S1C_bDpT10_ENKUlT_T0_E_clISt17integral_constantIbLb0EES1O_IbLb1EEEEDaS1K_S1L_EUlS1K_E_NS1_11comp_targetILNS1_3genE8ELNS1_11target_archE1030ELNS1_3gpuE2ELNS1_3repE0EEENS1_30default_config_static_selectorELNS0_4arch9wavefront6targetE1EEEvSY_,@function
_ZN7rocprim17ROCPRIM_400000_NS6detail17trampoline_kernelINS0_13select_configILj256ELj13ELNS0_17block_load_methodE3ELS4_3ELS4_3ELNS0_20block_scan_algorithmE0ELj4294967295EEENS1_25partition_config_selectorILNS1_17partition_subalgoE3EjNS0_10empty_typeEbEEZZNS1_14partition_implILS8_3ELb0ES6_jNS0_17counting_iteratorIjlEEPS9_SE_NS0_5tupleIJPjSE_EEENSF_IJSE_SE_EEES9_SG_JZNS1_25segmented_radix_sort_implINS0_14default_configELb1EPKhPhPKlPlN2at6native12_GLOBAL__N_18offset_tEEE10hipError_tPvRmT1_PNSt15iterator_traitsISY_E10value_typeET2_T3_PNSZ_IS14_E10value_typeET4_jRbjT5_S1A_jjP12ihipStream_tbEUljE_EEESV_SW_SX_S14_S18_S1A_T6_T7_T9_mT8_S1C_bDpT10_ENKUlT_T0_E_clISt17integral_constantIbLb0EES1O_IbLb1EEEEDaS1K_S1L_EUlS1K_E_NS1_11comp_targetILNS1_3genE8ELNS1_11target_archE1030ELNS1_3gpuE2ELNS1_3repE0EEENS1_30default_config_static_selectorELNS0_4arch9wavefront6targetE1EEEvSY_: ; @_ZN7rocprim17ROCPRIM_400000_NS6detail17trampoline_kernelINS0_13select_configILj256ELj13ELNS0_17block_load_methodE3ELS4_3ELS4_3ELNS0_20block_scan_algorithmE0ELj4294967295EEENS1_25partition_config_selectorILNS1_17partition_subalgoE3EjNS0_10empty_typeEbEEZZNS1_14partition_implILS8_3ELb0ES6_jNS0_17counting_iteratorIjlEEPS9_SE_NS0_5tupleIJPjSE_EEENSF_IJSE_SE_EEES9_SG_JZNS1_25segmented_radix_sort_implINS0_14default_configELb1EPKhPhPKlPlN2at6native12_GLOBAL__N_18offset_tEEE10hipError_tPvRmT1_PNSt15iterator_traitsISY_E10value_typeET2_T3_PNSZ_IS14_E10value_typeET4_jRbjT5_S1A_jjP12ihipStream_tbEUljE_EEESV_SW_SX_S14_S18_S1A_T6_T7_T9_mT8_S1C_bDpT10_ENKUlT_T0_E_clISt17integral_constantIbLb0EES1O_IbLb1EEEEDaS1K_S1L_EUlS1K_E_NS1_11comp_targetILNS1_3genE8ELNS1_11target_archE1030ELNS1_3gpuE2ELNS1_3repE0EEENS1_30default_config_static_selectorELNS0_4arch9wavefront6targetE1EEEvSY_
; %bb.0:
	.section	.rodata,"a",@progbits
	.p2align	6, 0x0
	.amdhsa_kernel _ZN7rocprim17ROCPRIM_400000_NS6detail17trampoline_kernelINS0_13select_configILj256ELj13ELNS0_17block_load_methodE3ELS4_3ELS4_3ELNS0_20block_scan_algorithmE0ELj4294967295EEENS1_25partition_config_selectorILNS1_17partition_subalgoE3EjNS0_10empty_typeEbEEZZNS1_14partition_implILS8_3ELb0ES6_jNS0_17counting_iteratorIjlEEPS9_SE_NS0_5tupleIJPjSE_EEENSF_IJSE_SE_EEES9_SG_JZNS1_25segmented_radix_sort_implINS0_14default_configELb1EPKhPhPKlPlN2at6native12_GLOBAL__N_18offset_tEEE10hipError_tPvRmT1_PNSt15iterator_traitsISY_E10value_typeET2_T3_PNSZ_IS14_E10value_typeET4_jRbjT5_S1A_jjP12ihipStream_tbEUljE_EEESV_SW_SX_S14_S18_S1A_T6_T7_T9_mT8_S1C_bDpT10_ENKUlT_T0_E_clISt17integral_constantIbLb0EES1O_IbLb1EEEEDaS1K_S1L_EUlS1K_E_NS1_11comp_targetILNS1_3genE8ELNS1_11target_archE1030ELNS1_3gpuE2ELNS1_3repE0EEENS1_30default_config_static_selectorELNS0_4arch9wavefront6targetE1EEEvSY_
		.amdhsa_group_segment_fixed_size 0
		.amdhsa_private_segment_fixed_size 0
		.amdhsa_kernarg_size 152
		.amdhsa_user_sgpr_count 6
		.amdhsa_user_sgpr_private_segment_buffer 1
		.amdhsa_user_sgpr_dispatch_ptr 0
		.amdhsa_user_sgpr_queue_ptr 0
		.amdhsa_user_sgpr_kernarg_segment_ptr 1
		.amdhsa_user_sgpr_dispatch_id 0
		.amdhsa_user_sgpr_flat_scratch_init 0
		.amdhsa_user_sgpr_kernarg_preload_length 0
		.amdhsa_user_sgpr_kernarg_preload_offset 0
		.amdhsa_user_sgpr_private_segment_size 0
		.amdhsa_uses_dynamic_stack 0
		.amdhsa_system_sgpr_private_segment_wavefront_offset 0
		.amdhsa_system_sgpr_workgroup_id_x 1
		.amdhsa_system_sgpr_workgroup_id_y 0
		.amdhsa_system_sgpr_workgroup_id_z 0
		.amdhsa_system_sgpr_workgroup_info 0
		.amdhsa_system_vgpr_workitem_id 0
		.amdhsa_next_free_vgpr 1
		.amdhsa_next_free_sgpr 0
		.amdhsa_accum_offset 4
		.amdhsa_reserve_vcc 0
		.amdhsa_reserve_flat_scratch 0
		.amdhsa_float_round_mode_32 0
		.amdhsa_float_round_mode_16_64 0
		.amdhsa_float_denorm_mode_32 3
		.amdhsa_float_denorm_mode_16_64 3
		.amdhsa_dx10_clamp 1
		.amdhsa_ieee_mode 1
		.amdhsa_fp16_overflow 0
		.amdhsa_tg_split 0
		.amdhsa_exception_fp_ieee_invalid_op 0
		.amdhsa_exception_fp_denorm_src 0
		.amdhsa_exception_fp_ieee_div_zero 0
		.amdhsa_exception_fp_ieee_overflow 0
		.amdhsa_exception_fp_ieee_underflow 0
		.amdhsa_exception_fp_ieee_inexact 0
		.amdhsa_exception_int_div_zero 0
	.end_amdhsa_kernel
	.section	.text._ZN7rocprim17ROCPRIM_400000_NS6detail17trampoline_kernelINS0_13select_configILj256ELj13ELNS0_17block_load_methodE3ELS4_3ELS4_3ELNS0_20block_scan_algorithmE0ELj4294967295EEENS1_25partition_config_selectorILNS1_17partition_subalgoE3EjNS0_10empty_typeEbEEZZNS1_14partition_implILS8_3ELb0ES6_jNS0_17counting_iteratorIjlEEPS9_SE_NS0_5tupleIJPjSE_EEENSF_IJSE_SE_EEES9_SG_JZNS1_25segmented_radix_sort_implINS0_14default_configELb1EPKhPhPKlPlN2at6native12_GLOBAL__N_18offset_tEEE10hipError_tPvRmT1_PNSt15iterator_traitsISY_E10value_typeET2_T3_PNSZ_IS14_E10value_typeET4_jRbjT5_S1A_jjP12ihipStream_tbEUljE_EEESV_SW_SX_S14_S18_S1A_T6_T7_T9_mT8_S1C_bDpT10_ENKUlT_T0_E_clISt17integral_constantIbLb0EES1O_IbLb1EEEEDaS1K_S1L_EUlS1K_E_NS1_11comp_targetILNS1_3genE8ELNS1_11target_archE1030ELNS1_3gpuE2ELNS1_3repE0EEENS1_30default_config_static_selectorELNS0_4arch9wavefront6targetE1EEEvSY_,"axG",@progbits,_ZN7rocprim17ROCPRIM_400000_NS6detail17trampoline_kernelINS0_13select_configILj256ELj13ELNS0_17block_load_methodE3ELS4_3ELS4_3ELNS0_20block_scan_algorithmE0ELj4294967295EEENS1_25partition_config_selectorILNS1_17partition_subalgoE3EjNS0_10empty_typeEbEEZZNS1_14partition_implILS8_3ELb0ES6_jNS0_17counting_iteratorIjlEEPS9_SE_NS0_5tupleIJPjSE_EEENSF_IJSE_SE_EEES9_SG_JZNS1_25segmented_radix_sort_implINS0_14default_configELb1EPKhPhPKlPlN2at6native12_GLOBAL__N_18offset_tEEE10hipError_tPvRmT1_PNSt15iterator_traitsISY_E10value_typeET2_T3_PNSZ_IS14_E10value_typeET4_jRbjT5_S1A_jjP12ihipStream_tbEUljE_EEESV_SW_SX_S14_S18_S1A_T6_T7_T9_mT8_S1C_bDpT10_ENKUlT_T0_E_clISt17integral_constantIbLb0EES1O_IbLb1EEEEDaS1K_S1L_EUlS1K_E_NS1_11comp_targetILNS1_3genE8ELNS1_11target_archE1030ELNS1_3gpuE2ELNS1_3repE0EEENS1_30default_config_static_selectorELNS0_4arch9wavefront6targetE1EEEvSY_,comdat
.Lfunc_end82:
	.size	_ZN7rocprim17ROCPRIM_400000_NS6detail17trampoline_kernelINS0_13select_configILj256ELj13ELNS0_17block_load_methodE3ELS4_3ELS4_3ELNS0_20block_scan_algorithmE0ELj4294967295EEENS1_25partition_config_selectorILNS1_17partition_subalgoE3EjNS0_10empty_typeEbEEZZNS1_14partition_implILS8_3ELb0ES6_jNS0_17counting_iteratorIjlEEPS9_SE_NS0_5tupleIJPjSE_EEENSF_IJSE_SE_EEES9_SG_JZNS1_25segmented_radix_sort_implINS0_14default_configELb1EPKhPhPKlPlN2at6native12_GLOBAL__N_18offset_tEEE10hipError_tPvRmT1_PNSt15iterator_traitsISY_E10value_typeET2_T3_PNSZ_IS14_E10value_typeET4_jRbjT5_S1A_jjP12ihipStream_tbEUljE_EEESV_SW_SX_S14_S18_S1A_T6_T7_T9_mT8_S1C_bDpT10_ENKUlT_T0_E_clISt17integral_constantIbLb0EES1O_IbLb1EEEEDaS1K_S1L_EUlS1K_E_NS1_11comp_targetILNS1_3genE8ELNS1_11target_archE1030ELNS1_3gpuE2ELNS1_3repE0EEENS1_30default_config_static_selectorELNS0_4arch9wavefront6targetE1EEEvSY_, .Lfunc_end82-_ZN7rocprim17ROCPRIM_400000_NS6detail17trampoline_kernelINS0_13select_configILj256ELj13ELNS0_17block_load_methodE3ELS4_3ELS4_3ELNS0_20block_scan_algorithmE0ELj4294967295EEENS1_25partition_config_selectorILNS1_17partition_subalgoE3EjNS0_10empty_typeEbEEZZNS1_14partition_implILS8_3ELb0ES6_jNS0_17counting_iteratorIjlEEPS9_SE_NS0_5tupleIJPjSE_EEENSF_IJSE_SE_EEES9_SG_JZNS1_25segmented_radix_sort_implINS0_14default_configELb1EPKhPhPKlPlN2at6native12_GLOBAL__N_18offset_tEEE10hipError_tPvRmT1_PNSt15iterator_traitsISY_E10value_typeET2_T3_PNSZ_IS14_E10value_typeET4_jRbjT5_S1A_jjP12ihipStream_tbEUljE_EEESV_SW_SX_S14_S18_S1A_T6_T7_T9_mT8_S1C_bDpT10_ENKUlT_T0_E_clISt17integral_constantIbLb0EES1O_IbLb1EEEEDaS1K_S1L_EUlS1K_E_NS1_11comp_targetILNS1_3genE8ELNS1_11target_archE1030ELNS1_3gpuE2ELNS1_3repE0EEENS1_30default_config_static_selectorELNS0_4arch9wavefront6targetE1EEEvSY_
                                        ; -- End function
	.section	.AMDGPU.csdata,"",@progbits
; Kernel info:
; codeLenInByte = 0
; NumSgprs: 4
; NumVgprs: 0
; NumAgprs: 0
; TotalNumVgprs: 0
; ScratchSize: 0
; MemoryBound: 0
; FloatMode: 240
; IeeeMode: 1
; LDSByteSize: 0 bytes/workgroup (compile time only)
; SGPRBlocks: 0
; VGPRBlocks: 0
; NumSGPRsForWavesPerEU: 4
; NumVGPRsForWavesPerEU: 1
; AccumOffset: 4
; Occupancy: 8
; WaveLimiterHint : 0
; COMPUTE_PGM_RSRC2:SCRATCH_EN: 0
; COMPUTE_PGM_RSRC2:USER_SGPR: 6
; COMPUTE_PGM_RSRC2:TRAP_HANDLER: 0
; COMPUTE_PGM_RSRC2:TGID_X_EN: 1
; COMPUTE_PGM_RSRC2:TGID_Y_EN: 0
; COMPUTE_PGM_RSRC2:TGID_Z_EN: 0
; COMPUTE_PGM_RSRC2:TIDIG_COMP_CNT: 0
; COMPUTE_PGM_RSRC3_GFX90A:ACCUM_OFFSET: 0
; COMPUTE_PGM_RSRC3_GFX90A:TG_SPLIT: 0
	.section	.text._ZN7rocprim17ROCPRIM_400000_NS6detail17trampoline_kernelINS0_14default_configENS1_36segmented_radix_sort_config_selectorIhlEEZNS1_25segmented_radix_sort_implIS3_Lb1EPKhPhPKlPlN2at6native12_GLOBAL__N_18offset_tEEE10hipError_tPvRmT1_PNSt15iterator_traitsISK_E10value_typeET2_T3_PNSL_ISQ_E10value_typeET4_jRbjT5_SW_jjP12ihipStream_tbEUlT_E_NS1_11comp_targetILNS1_3genE0ELNS1_11target_archE4294967295ELNS1_3gpuE0ELNS1_3repE0EEENS1_30default_config_static_selectorELNS0_4arch9wavefront6targetE1EEEvSK_,"axG",@progbits,_ZN7rocprim17ROCPRIM_400000_NS6detail17trampoline_kernelINS0_14default_configENS1_36segmented_radix_sort_config_selectorIhlEEZNS1_25segmented_radix_sort_implIS3_Lb1EPKhPhPKlPlN2at6native12_GLOBAL__N_18offset_tEEE10hipError_tPvRmT1_PNSt15iterator_traitsISK_E10value_typeET2_T3_PNSL_ISQ_E10value_typeET4_jRbjT5_SW_jjP12ihipStream_tbEUlT_E_NS1_11comp_targetILNS1_3genE0ELNS1_11target_archE4294967295ELNS1_3gpuE0ELNS1_3repE0EEENS1_30default_config_static_selectorELNS0_4arch9wavefront6targetE1EEEvSK_,comdat
	.globl	_ZN7rocprim17ROCPRIM_400000_NS6detail17trampoline_kernelINS0_14default_configENS1_36segmented_radix_sort_config_selectorIhlEEZNS1_25segmented_radix_sort_implIS3_Lb1EPKhPhPKlPlN2at6native12_GLOBAL__N_18offset_tEEE10hipError_tPvRmT1_PNSt15iterator_traitsISK_E10value_typeET2_T3_PNSL_ISQ_E10value_typeET4_jRbjT5_SW_jjP12ihipStream_tbEUlT_E_NS1_11comp_targetILNS1_3genE0ELNS1_11target_archE4294967295ELNS1_3gpuE0ELNS1_3repE0EEENS1_30default_config_static_selectorELNS0_4arch9wavefront6targetE1EEEvSK_ ; -- Begin function _ZN7rocprim17ROCPRIM_400000_NS6detail17trampoline_kernelINS0_14default_configENS1_36segmented_radix_sort_config_selectorIhlEEZNS1_25segmented_radix_sort_implIS3_Lb1EPKhPhPKlPlN2at6native12_GLOBAL__N_18offset_tEEE10hipError_tPvRmT1_PNSt15iterator_traitsISK_E10value_typeET2_T3_PNSL_ISQ_E10value_typeET4_jRbjT5_SW_jjP12ihipStream_tbEUlT_E_NS1_11comp_targetILNS1_3genE0ELNS1_11target_archE4294967295ELNS1_3gpuE0ELNS1_3repE0EEENS1_30default_config_static_selectorELNS0_4arch9wavefront6targetE1EEEvSK_
	.p2align	8
	.type	_ZN7rocprim17ROCPRIM_400000_NS6detail17trampoline_kernelINS0_14default_configENS1_36segmented_radix_sort_config_selectorIhlEEZNS1_25segmented_radix_sort_implIS3_Lb1EPKhPhPKlPlN2at6native12_GLOBAL__N_18offset_tEEE10hipError_tPvRmT1_PNSt15iterator_traitsISK_E10value_typeET2_T3_PNSL_ISQ_E10value_typeET4_jRbjT5_SW_jjP12ihipStream_tbEUlT_E_NS1_11comp_targetILNS1_3genE0ELNS1_11target_archE4294967295ELNS1_3gpuE0ELNS1_3repE0EEENS1_30default_config_static_selectorELNS0_4arch9wavefront6targetE1EEEvSK_,@function
_ZN7rocprim17ROCPRIM_400000_NS6detail17trampoline_kernelINS0_14default_configENS1_36segmented_radix_sort_config_selectorIhlEEZNS1_25segmented_radix_sort_implIS3_Lb1EPKhPhPKlPlN2at6native12_GLOBAL__N_18offset_tEEE10hipError_tPvRmT1_PNSt15iterator_traitsISK_E10value_typeET2_T3_PNSL_ISQ_E10value_typeET4_jRbjT5_SW_jjP12ihipStream_tbEUlT_E_NS1_11comp_targetILNS1_3genE0ELNS1_11target_archE4294967295ELNS1_3gpuE0ELNS1_3repE0EEENS1_30default_config_static_selectorELNS0_4arch9wavefront6targetE1EEEvSK_: ; @_ZN7rocprim17ROCPRIM_400000_NS6detail17trampoline_kernelINS0_14default_configENS1_36segmented_radix_sort_config_selectorIhlEEZNS1_25segmented_radix_sort_implIS3_Lb1EPKhPhPKlPlN2at6native12_GLOBAL__N_18offset_tEEE10hipError_tPvRmT1_PNSt15iterator_traitsISK_E10value_typeET2_T3_PNSL_ISQ_E10value_typeET4_jRbjT5_SW_jjP12ihipStream_tbEUlT_E_NS1_11comp_targetILNS1_3genE0ELNS1_11target_archE4294967295ELNS1_3gpuE0ELNS1_3repE0EEENS1_30default_config_static_selectorELNS0_4arch9wavefront6targetE1EEEvSK_
; %bb.0:
	.section	.rodata,"a",@progbits
	.p2align	6, 0x0
	.amdhsa_kernel _ZN7rocprim17ROCPRIM_400000_NS6detail17trampoline_kernelINS0_14default_configENS1_36segmented_radix_sort_config_selectorIhlEEZNS1_25segmented_radix_sort_implIS3_Lb1EPKhPhPKlPlN2at6native12_GLOBAL__N_18offset_tEEE10hipError_tPvRmT1_PNSt15iterator_traitsISK_E10value_typeET2_T3_PNSL_ISQ_E10value_typeET4_jRbjT5_SW_jjP12ihipStream_tbEUlT_E_NS1_11comp_targetILNS1_3genE0ELNS1_11target_archE4294967295ELNS1_3gpuE0ELNS1_3repE0EEENS1_30default_config_static_selectorELNS0_4arch9wavefront6targetE1EEEvSK_
		.amdhsa_group_segment_fixed_size 0
		.amdhsa_private_segment_fixed_size 0
		.amdhsa_kernarg_size 96
		.amdhsa_user_sgpr_count 6
		.amdhsa_user_sgpr_private_segment_buffer 1
		.amdhsa_user_sgpr_dispatch_ptr 0
		.amdhsa_user_sgpr_queue_ptr 0
		.amdhsa_user_sgpr_kernarg_segment_ptr 1
		.amdhsa_user_sgpr_dispatch_id 0
		.amdhsa_user_sgpr_flat_scratch_init 0
		.amdhsa_user_sgpr_kernarg_preload_length 0
		.amdhsa_user_sgpr_kernarg_preload_offset 0
		.amdhsa_user_sgpr_private_segment_size 0
		.amdhsa_uses_dynamic_stack 0
		.amdhsa_system_sgpr_private_segment_wavefront_offset 0
		.amdhsa_system_sgpr_workgroup_id_x 1
		.amdhsa_system_sgpr_workgroup_id_y 0
		.amdhsa_system_sgpr_workgroup_id_z 0
		.amdhsa_system_sgpr_workgroup_info 0
		.amdhsa_system_vgpr_workitem_id 0
		.amdhsa_next_free_vgpr 1
		.amdhsa_next_free_sgpr 0
		.amdhsa_accum_offset 4
		.amdhsa_reserve_vcc 0
		.amdhsa_reserve_flat_scratch 0
		.amdhsa_float_round_mode_32 0
		.amdhsa_float_round_mode_16_64 0
		.amdhsa_float_denorm_mode_32 3
		.amdhsa_float_denorm_mode_16_64 3
		.amdhsa_dx10_clamp 1
		.amdhsa_ieee_mode 1
		.amdhsa_fp16_overflow 0
		.amdhsa_tg_split 0
		.amdhsa_exception_fp_ieee_invalid_op 0
		.amdhsa_exception_fp_denorm_src 0
		.amdhsa_exception_fp_ieee_div_zero 0
		.amdhsa_exception_fp_ieee_overflow 0
		.amdhsa_exception_fp_ieee_underflow 0
		.amdhsa_exception_fp_ieee_inexact 0
		.amdhsa_exception_int_div_zero 0
	.end_amdhsa_kernel
	.section	.text._ZN7rocprim17ROCPRIM_400000_NS6detail17trampoline_kernelINS0_14default_configENS1_36segmented_radix_sort_config_selectorIhlEEZNS1_25segmented_radix_sort_implIS3_Lb1EPKhPhPKlPlN2at6native12_GLOBAL__N_18offset_tEEE10hipError_tPvRmT1_PNSt15iterator_traitsISK_E10value_typeET2_T3_PNSL_ISQ_E10value_typeET4_jRbjT5_SW_jjP12ihipStream_tbEUlT_E_NS1_11comp_targetILNS1_3genE0ELNS1_11target_archE4294967295ELNS1_3gpuE0ELNS1_3repE0EEENS1_30default_config_static_selectorELNS0_4arch9wavefront6targetE1EEEvSK_,"axG",@progbits,_ZN7rocprim17ROCPRIM_400000_NS6detail17trampoline_kernelINS0_14default_configENS1_36segmented_radix_sort_config_selectorIhlEEZNS1_25segmented_radix_sort_implIS3_Lb1EPKhPhPKlPlN2at6native12_GLOBAL__N_18offset_tEEE10hipError_tPvRmT1_PNSt15iterator_traitsISK_E10value_typeET2_T3_PNSL_ISQ_E10value_typeET4_jRbjT5_SW_jjP12ihipStream_tbEUlT_E_NS1_11comp_targetILNS1_3genE0ELNS1_11target_archE4294967295ELNS1_3gpuE0ELNS1_3repE0EEENS1_30default_config_static_selectorELNS0_4arch9wavefront6targetE1EEEvSK_,comdat
.Lfunc_end83:
	.size	_ZN7rocprim17ROCPRIM_400000_NS6detail17trampoline_kernelINS0_14default_configENS1_36segmented_radix_sort_config_selectorIhlEEZNS1_25segmented_radix_sort_implIS3_Lb1EPKhPhPKlPlN2at6native12_GLOBAL__N_18offset_tEEE10hipError_tPvRmT1_PNSt15iterator_traitsISK_E10value_typeET2_T3_PNSL_ISQ_E10value_typeET4_jRbjT5_SW_jjP12ihipStream_tbEUlT_E_NS1_11comp_targetILNS1_3genE0ELNS1_11target_archE4294967295ELNS1_3gpuE0ELNS1_3repE0EEENS1_30default_config_static_selectorELNS0_4arch9wavefront6targetE1EEEvSK_, .Lfunc_end83-_ZN7rocprim17ROCPRIM_400000_NS6detail17trampoline_kernelINS0_14default_configENS1_36segmented_radix_sort_config_selectorIhlEEZNS1_25segmented_radix_sort_implIS3_Lb1EPKhPhPKlPlN2at6native12_GLOBAL__N_18offset_tEEE10hipError_tPvRmT1_PNSt15iterator_traitsISK_E10value_typeET2_T3_PNSL_ISQ_E10value_typeET4_jRbjT5_SW_jjP12ihipStream_tbEUlT_E_NS1_11comp_targetILNS1_3genE0ELNS1_11target_archE4294967295ELNS1_3gpuE0ELNS1_3repE0EEENS1_30default_config_static_selectorELNS0_4arch9wavefront6targetE1EEEvSK_
                                        ; -- End function
	.section	.AMDGPU.csdata,"",@progbits
; Kernel info:
; codeLenInByte = 0
; NumSgprs: 4
; NumVgprs: 0
; NumAgprs: 0
; TotalNumVgprs: 0
; ScratchSize: 0
; MemoryBound: 0
; FloatMode: 240
; IeeeMode: 1
; LDSByteSize: 0 bytes/workgroup (compile time only)
; SGPRBlocks: 0
; VGPRBlocks: 0
; NumSGPRsForWavesPerEU: 4
; NumVGPRsForWavesPerEU: 1
; AccumOffset: 4
; Occupancy: 8
; WaveLimiterHint : 0
; COMPUTE_PGM_RSRC2:SCRATCH_EN: 0
; COMPUTE_PGM_RSRC2:USER_SGPR: 6
; COMPUTE_PGM_RSRC2:TRAP_HANDLER: 0
; COMPUTE_PGM_RSRC2:TGID_X_EN: 1
; COMPUTE_PGM_RSRC2:TGID_Y_EN: 0
; COMPUTE_PGM_RSRC2:TGID_Z_EN: 0
; COMPUTE_PGM_RSRC2:TIDIG_COMP_CNT: 0
; COMPUTE_PGM_RSRC3_GFX90A:ACCUM_OFFSET: 0
; COMPUTE_PGM_RSRC3_GFX90A:TG_SPLIT: 0
	.section	.text._ZN7rocprim17ROCPRIM_400000_NS6detail17trampoline_kernelINS0_14default_configENS1_36segmented_radix_sort_config_selectorIhlEEZNS1_25segmented_radix_sort_implIS3_Lb1EPKhPhPKlPlN2at6native12_GLOBAL__N_18offset_tEEE10hipError_tPvRmT1_PNSt15iterator_traitsISK_E10value_typeET2_T3_PNSL_ISQ_E10value_typeET4_jRbjT5_SW_jjP12ihipStream_tbEUlT_E_NS1_11comp_targetILNS1_3genE5ELNS1_11target_archE942ELNS1_3gpuE9ELNS1_3repE0EEENS1_30default_config_static_selectorELNS0_4arch9wavefront6targetE1EEEvSK_,"axG",@progbits,_ZN7rocprim17ROCPRIM_400000_NS6detail17trampoline_kernelINS0_14default_configENS1_36segmented_radix_sort_config_selectorIhlEEZNS1_25segmented_radix_sort_implIS3_Lb1EPKhPhPKlPlN2at6native12_GLOBAL__N_18offset_tEEE10hipError_tPvRmT1_PNSt15iterator_traitsISK_E10value_typeET2_T3_PNSL_ISQ_E10value_typeET4_jRbjT5_SW_jjP12ihipStream_tbEUlT_E_NS1_11comp_targetILNS1_3genE5ELNS1_11target_archE942ELNS1_3gpuE9ELNS1_3repE0EEENS1_30default_config_static_selectorELNS0_4arch9wavefront6targetE1EEEvSK_,comdat
	.globl	_ZN7rocprim17ROCPRIM_400000_NS6detail17trampoline_kernelINS0_14default_configENS1_36segmented_radix_sort_config_selectorIhlEEZNS1_25segmented_radix_sort_implIS3_Lb1EPKhPhPKlPlN2at6native12_GLOBAL__N_18offset_tEEE10hipError_tPvRmT1_PNSt15iterator_traitsISK_E10value_typeET2_T3_PNSL_ISQ_E10value_typeET4_jRbjT5_SW_jjP12ihipStream_tbEUlT_E_NS1_11comp_targetILNS1_3genE5ELNS1_11target_archE942ELNS1_3gpuE9ELNS1_3repE0EEENS1_30default_config_static_selectorELNS0_4arch9wavefront6targetE1EEEvSK_ ; -- Begin function _ZN7rocprim17ROCPRIM_400000_NS6detail17trampoline_kernelINS0_14default_configENS1_36segmented_radix_sort_config_selectorIhlEEZNS1_25segmented_radix_sort_implIS3_Lb1EPKhPhPKlPlN2at6native12_GLOBAL__N_18offset_tEEE10hipError_tPvRmT1_PNSt15iterator_traitsISK_E10value_typeET2_T3_PNSL_ISQ_E10value_typeET4_jRbjT5_SW_jjP12ihipStream_tbEUlT_E_NS1_11comp_targetILNS1_3genE5ELNS1_11target_archE942ELNS1_3gpuE9ELNS1_3repE0EEENS1_30default_config_static_selectorELNS0_4arch9wavefront6targetE1EEEvSK_
	.p2align	8
	.type	_ZN7rocprim17ROCPRIM_400000_NS6detail17trampoline_kernelINS0_14default_configENS1_36segmented_radix_sort_config_selectorIhlEEZNS1_25segmented_radix_sort_implIS3_Lb1EPKhPhPKlPlN2at6native12_GLOBAL__N_18offset_tEEE10hipError_tPvRmT1_PNSt15iterator_traitsISK_E10value_typeET2_T3_PNSL_ISQ_E10value_typeET4_jRbjT5_SW_jjP12ihipStream_tbEUlT_E_NS1_11comp_targetILNS1_3genE5ELNS1_11target_archE942ELNS1_3gpuE9ELNS1_3repE0EEENS1_30default_config_static_selectorELNS0_4arch9wavefront6targetE1EEEvSK_,@function
_ZN7rocprim17ROCPRIM_400000_NS6detail17trampoline_kernelINS0_14default_configENS1_36segmented_radix_sort_config_selectorIhlEEZNS1_25segmented_radix_sort_implIS3_Lb1EPKhPhPKlPlN2at6native12_GLOBAL__N_18offset_tEEE10hipError_tPvRmT1_PNSt15iterator_traitsISK_E10value_typeET2_T3_PNSL_ISQ_E10value_typeET4_jRbjT5_SW_jjP12ihipStream_tbEUlT_E_NS1_11comp_targetILNS1_3genE5ELNS1_11target_archE942ELNS1_3gpuE9ELNS1_3repE0EEENS1_30default_config_static_selectorELNS0_4arch9wavefront6targetE1EEEvSK_: ; @_ZN7rocprim17ROCPRIM_400000_NS6detail17trampoline_kernelINS0_14default_configENS1_36segmented_radix_sort_config_selectorIhlEEZNS1_25segmented_radix_sort_implIS3_Lb1EPKhPhPKlPlN2at6native12_GLOBAL__N_18offset_tEEE10hipError_tPvRmT1_PNSt15iterator_traitsISK_E10value_typeET2_T3_PNSL_ISQ_E10value_typeET4_jRbjT5_SW_jjP12ihipStream_tbEUlT_E_NS1_11comp_targetILNS1_3genE5ELNS1_11target_archE942ELNS1_3gpuE9ELNS1_3repE0EEENS1_30default_config_static_selectorELNS0_4arch9wavefront6targetE1EEEvSK_
; %bb.0:
	.section	.rodata,"a",@progbits
	.p2align	6, 0x0
	.amdhsa_kernel _ZN7rocprim17ROCPRIM_400000_NS6detail17trampoline_kernelINS0_14default_configENS1_36segmented_radix_sort_config_selectorIhlEEZNS1_25segmented_radix_sort_implIS3_Lb1EPKhPhPKlPlN2at6native12_GLOBAL__N_18offset_tEEE10hipError_tPvRmT1_PNSt15iterator_traitsISK_E10value_typeET2_T3_PNSL_ISQ_E10value_typeET4_jRbjT5_SW_jjP12ihipStream_tbEUlT_E_NS1_11comp_targetILNS1_3genE5ELNS1_11target_archE942ELNS1_3gpuE9ELNS1_3repE0EEENS1_30default_config_static_selectorELNS0_4arch9wavefront6targetE1EEEvSK_
		.amdhsa_group_segment_fixed_size 0
		.amdhsa_private_segment_fixed_size 0
		.amdhsa_kernarg_size 96
		.amdhsa_user_sgpr_count 6
		.amdhsa_user_sgpr_private_segment_buffer 1
		.amdhsa_user_sgpr_dispatch_ptr 0
		.amdhsa_user_sgpr_queue_ptr 0
		.amdhsa_user_sgpr_kernarg_segment_ptr 1
		.amdhsa_user_sgpr_dispatch_id 0
		.amdhsa_user_sgpr_flat_scratch_init 0
		.amdhsa_user_sgpr_kernarg_preload_length 0
		.amdhsa_user_sgpr_kernarg_preload_offset 0
		.amdhsa_user_sgpr_private_segment_size 0
		.amdhsa_uses_dynamic_stack 0
		.amdhsa_system_sgpr_private_segment_wavefront_offset 0
		.amdhsa_system_sgpr_workgroup_id_x 1
		.amdhsa_system_sgpr_workgroup_id_y 0
		.amdhsa_system_sgpr_workgroup_id_z 0
		.amdhsa_system_sgpr_workgroup_info 0
		.amdhsa_system_vgpr_workitem_id 0
		.amdhsa_next_free_vgpr 1
		.amdhsa_next_free_sgpr 0
		.amdhsa_accum_offset 4
		.amdhsa_reserve_vcc 0
		.amdhsa_reserve_flat_scratch 0
		.amdhsa_float_round_mode_32 0
		.amdhsa_float_round_mode_16_64 0
		.amdhsa_float_denorm_mode_32 3
		.amdhsa_float_denorm_mode_16_64 3
		.amdhsa_dx10_clamp 1
		.amdhsa_ieee_mode 1
		.amdhsa_fp16_overflow 0
		.amdhsa_tg_split 0
		.amdhsa_exception_fp_ieee_invalid_op 0
		.amdhsa_exception_fp_denorm_src 0
		.amdhsa_exception_fp_ieee_div_zero 0
		.amdhsa_exception_fp_ieee_overflow 0
		.amdhsa_exception_fp_ieee_underflow 0
		.amdhsa_exception_fp_ieee_inexact 0
		.amdhsa_exception_int_div_zero 0
	.end_amdhsa_kernel
	.section	.text._ZN7rocprim17ROCPRIM_400000_NS6detail17trampoline_kernelINS0_14default_configENS1_36segmented_radix_sort_config_selectorIhlEEZNS1_25segmented_radix_sort_implIS3_Lb1EPKhPhPKlPlN2at6native12_GLOBAL__N_18offset_tEEE10hipError_tPvRmT1_PNSt15iterator_traitsISK_E10value_typeET2_T3_PNSL_ISQ_E10value_typeET4_jRbjT5_SW_jjP12ihipStream_tbEUlT_E_NS1_11comp_targetILNS1_3genE5ELNS1_11target_archE942ELNS1_3gpuE9ELNS1_3repE0EEENS1_30default_config_static_selectorELNS0_4arch9wavefront6targetE1EEEvSK_,"axG",@progbits,_ZN7rocprim17ROCPRIM_400000_NS6detail17trampoline_kernelINS0_14default_configENS1_36segmented_radix_sort_config_selectorIhlEEZNS1_25segmented_radix_sort_implIS3_Lb1EPKhPhPKlPlN2at6native12_GLOBAL__N_18offset_tEEE10hipError_tPvRmT1_PNSt15iterator_traitsISK_E10value_typeET2_T3_PNSL_ISQ_E10value_typeET4_jRbjT5_SW_jjP12ihipStream_tbEUlT_E_NS1_11comp_targetILNS1_3genE5ELNS1_11target_archE942ELNS1_3gpuE9ELNS1_3repE0EEENS1_30default_config_static_selectorELNS0_4arch9wavefront6targetE1EEEvSK_,comdat
.Lfunc_end84:
	.size	_ZN7rocprim17ROCPRIM_400000_NS6detail17trampoline_kernelINS0_14default_configENS1_36segmented_radix_sort_config_selectorIhlEEZNS1_25segmented_radix_sort_implIS3_Lb1EPKhPhPKlPlN2at6native12_GLOBAL__N_18offset_tEEE10hipError_tPvRmT1_PNSt15iterator_traitsISK_E10value_typeET2_T3_PNSL_ISQ_E10value_typeET4_jRbjT5_SW_jjP12ihipStream_tbEUlT_E_NS1_11comp_targetILNS1_3genE5ELNS1_11target_archE942ELNS1_3gpuE9ELNS1_3repE0EEENS1_30default_config_static_selectorELNS0_4arch9wavefront6targetE1EEEvSK_, .Lfunc_end84-_ZN7rocprim17ROCPRIM_400000_NS6detail17trampoline_kernelINS0_14default_configENS1_36segmented_radix_sort_config_selectorIhlEEZNS1_25segmented_radix_sort_implIS3_Lb1EPKhPhPKlPlN2at6native12_GLOBAL__N_18offset_tEEE10hipError_tPvRmT1_PNSt15iterator_traitsISK_E10value_typeET2_T3_PNSL_ISQ_E10value_typeET4_jRbjT5_SW_jjP12ihipStream_tbEUlT_E_NS1_11comp_targetILNS1_3genE5ELNS1_11target_archE942ELNS1_3gpuE9ELNS1_3repE0EEENS1_30default_config_static_selectorELNS0_4arch9wavefront6targetE1EEEvSK_
                                        ; -- End function
	.section	.AMDGPU.csdata,"",@progbits
; Kernel info:
; codeLenInByte = 0
; NumSgprs: 4
; NumVgprs: 0
; NumAgprs: 0
; TotalNumVgprs: 0
; ScratchSize: 0
; MemoryBound: 0
; FloatMode: 240
; IeeeMode: 1
; LDSByteSize: 0 bytes/workgroup (compile time only)
; SGPRBlocks: 0
; VGPRBlocks: 0
; NumSGPRsForWavesPerEU: 4
; NumVGPRsForWavesPerEU: 1
; AccumOffset: 4
; Occupancy: 8
; WaveLimiterHint : 0
; COMPUTE_PGM_RSRC2:SCRATCH_EN: 0
; COMPUTE_PGM_RSRC2:USER_SGPR: 6
; COMPUTE_PGM_RSRC2:TRAP_HANDLER: 0
; COMPUTE_PGM_RSRC2:TGID_X_EN: 1
; COMPUTE_PGM_RSRC2:TGID_Y_EN: 0
; COMPUTE_PGM_RSRC2:TGID_Z_EN: 0
; COMPUTE_PGM_RSRC2:TIDIG_COMP_CNT: 0
; COMPUTE_PGM_RSRC3_GFX90A:ACCUM_OFFSET: 0
; COMPUTE_PGM_RSRC3_GFX90A:TG_SPLIT: 0
	.text
	.p2align	2                               ; -- Begin function _ZN7rocprim17ROCPRIM_400000_NS6detail40segmented_radix_sort_single_block_helperIhlLj256ELj8ELb1EE4sortIPKhPhPKlPlEEbT_T0_T1_T2_jjjjRNS3_12storage_typeE
	.type	_ZN7rocprim17ROCPRIM_400000_NS6detail40segmented_radix_sort_single_block_helperIhlLj256ELj8ELb1EE4sortIPKhPhPKlPlEEbT_T0_T1_T2_jjjjRNS3_12storage_typeE,@function
_ZN7rocprim17ROCPRIM_400000_NS6detail40segmented_radix_sort_single_block_helperIhlLj256ELj8ELb1EE4sortIPKhPhPKlPlEEbT_T0_T1_T2_jjjjRNS3_12storage_typeE: ; @_ZN7rocprim17ROCPRIM_400000_NS6detail40segmented_radix_sort_single_block_helperIhlLj256ELj8ELb1EE4sortIPKhPhPKlPlEEbT_T0_T1_T2_jjjjRNS3_12storage_typeE
; %bb.0:
	s_waitcnt vmcnt(0) expcnt(0) lgkmcnt(0)
	s_or_saveexec_b64 s[4:5], -1
	buffer_store_dword v40, off, s[0:3], s32 ; 4-byte Folded Spill
	s_mov_b64 exec, s[4:5]
	v_writelane_b32 v40, s34, 0
	v_writelane_b32 v40, s35, 1
	;; [unrolled: 1-line block ×15, first 2 shown]
	v_sub_u32_e32 v103, v9, v8
	s_movk_i32 s4, 0x801
	v_cmp_gt_u32_e32 vcc, s4, v103
	s_and_saveexec_b64 s[38:39], vcc
	s_cbranch_execz .LBB85_199
; %bb.1:
	s_movk_i32 s4, 0x400
	v_cmp_lt_u32_e32 vcc, s4, v103
	v_bfe_u32 v15, v31, 10, 10
	v_bfe_u32 v18, v31, 20, 10
	v_mbcnt_lo_u32_b32 v14, -1, 0
	s_and_saveexec_b64 s[4:5], vcc
	s_xor_b64 s[40:41], exec, s[4:5]
	s_cbranch_execz .LBB85_79
; %bb.2:
	s_load_dwordx2 s[4:5], s[8:9], 0x0
	v_mov_b32_e32 v9, 0
	v_add_co_u32_e32 v0, vcc, v0, v8
	v_mbcnt_hi_u32_b32 v17, -1, v14
	s_waitcnt lgkmcnt(0)
	s_cmp_lt_u32 s12, s4
	s_cselect_b32 s6, 12, 18
	s_cmp_lt_u32 s13, s5
	s_cselect_b32 s4, 14, 20
	s_add_u32 s4, s8, s4
	s_addc_u32 s5, s9, 0
	s_add_u32 s6, s8, s6
	global_load_ushort v21, v9, s[4:5]
	s_addc_u32 s7, s9, 0
	global_load_ushort v22, v9, s[6:7]
	v_addc_co_u32_e32 v1, vcc, 0, v1, vcc
	v_and_b32_e32 v16, 63, v17
	v_and_b32_e32 v20, 0x3ff, v31
	v_add_co_u32_e32 v14, vcc, v0, v16
	v_addc_co_u32_e32 v23, vcc, 0, v1, vcc
	s_mov_b32 s4, 0
	s_mov_b32 s5, s4
	v_mov_b32_e32 v19, v9
	s_waitcnt vmcnt(1)
	v_mad_u32_u24 v0, v18, v21, v15
	s_waitcnt vmcnt(0)
	v_mad_u64_u32 v[0:1], s[6:7], v0, v22, v[20:21]
	v_lshlrev_b32_e32 v1, 3, v0
	v_and_b32_e32 v18, 0xfffffe00, v1
	v_add_co_u32_e32 v22, vcc, v14, v18
	v_addc_co_u32_e32 v23, vcc, 0, v23, vcc
	v_or_b32_e32 v1, v18, v16
	v_cmp_lt_u32_e32 vcc, v1, v103
	v_pk_mov_b32 v[14:15], s[4:5], s[4:5] op_sel:[0,1]
	s_and_saveexec_b64 s[6:7], vcc
	s_cbranch_execz .LBB85_4
; %bb.3:
	flat_load_ubyte v14, v[22:23]
	v_mov_b32_e32 v15, s4
	s_waitcnt vmcnt(0) lgkmcnt(0)
	v_and_b32_e32 v14, 0xffff, v14
.LBB85_4:
	s_or_b64 exec, exec, s[6:7]
	v_or_b32_e32 v21, 64, v1
	v_cmp_lt_u32_e64 s[4:5], v21, v103
	s_and_saveexec_b64 s[6:7], s[4:5]
	s_cbranch_execz .LBB85_6
; %bb.5:
	flat_load_ubyte v21, v[22:23] offset:64
	s_mov_b32 s10, 0x7060004
	s_waitcnt vmcnt(0) lgkmcnt(0)
	v_perm_b32 v14, v14, v21, s10
.LBB85_6:
	s_or_b64 exec, exec, s[6:7]
	v_or_b32_e32 v21, 0x80, v1
	v_cmp_lt_u32_e64 s[6:7], v21, v103
	s_and_saveexec_b64 s[10:11], s[6:7]
	s_cbranch_execz .LBB85_8
; %bb.7:
	flat_load_ubyte v21, v[22:23] offset:128
	s_movk_i32 s14, 0xff00
	v_and_b32_sdwa v24, v14, s14 dst_sel:DWORD dst_unused:UNUSED_PAD src0_sel:WORD_1 src1_sel:DWORD
	s_mov_b32 s14, 0xffff
	s_waitcnt vmcnt(0) lgkmcnt(0)
	v_or_b32_sdwa v21, v21, v24 dst_sel:WORD_1 dst_unused:UNUSED_PAD src0_sel:DWORD src1_sel:DWORD
	v_and_or_b32 v14, v14, s14, v21
.LBB85_8:
	s_or_b64 exec, exec, s[10:11]
	v_or_b32_e32 v21, 0xc0, v1
	v_cmp_lt_u32_e64 s[10:11], v21, v103
	s_and_saveexec_b64 s[14:15], s[10:11]
	s_cbranch_execz .LBB85_10
; %bb.9:
	flat_load_ubyte v21, v[22:23] offset:192
	s_movk_i32 s16, 0xff
	v_and_b32_sdwa v24, v14, s16 dst_sel:DWORD dst_unused:UNUSED_PAD src0_sel:WORD_1 src1_sel:DWORD
	s_mov_b32 s16, 0xffff
	s_waitcnt vmcnt(0) lgkmcnt(0)
	v_lshlrev_b16_e32 v21, 8, v21
	v_or_b32_sdwa v21, v24, v21 dst_sel:WORD_1 dst_unused:UNUSED_PAD src0_sel:DWORD src1_sel:DWORD
	v_and_or_b32 v14, v14, s16, v21
.LBB85_10:
	s_or_b64 exec, exec, s[14:15]
	v_or_b32_e32 v21, 0x100, v1
	v_cmp_lt_u32_e64 s[20:21], v21, v103
	s_and_saveexec_b64 s[14:15], s[20:21]
	s_cbranch_execz .LBB85_12
; %bb.11:
	flat_load_ubyte v21, v[22:23] offset:256
	s_mov_b32 s16, 0x3020104
	s_waitcnt vmcnt(0) lgkmcnt(0)
	v_perm_b32 v15, v21, v15, s16
.LBB85_12:
	s_or_b64 exec, exec, s[14:15]
	v_or_b32_e32 v21, 0x140, v1
	v_cmp_lt_u32_e64 s[14:15], v21, v103
	s_and_saveexec_b64 s[16:17], s[14:15]
	s_cbranch_execz .LBB85_14
; %bb.13:
	flat_load_ubyte v21, v[22:23] offset:320
	s_mov_b32 s18, 0x7060004
	s_waitcnt vmcnt(0) lgkmcnt(0)
	v_perm_b32 v15, v15, v21, s18
.LBB85_14:
	;; [unrolled: 11-line block ×4, first 2 shown]
	s_or_b64 exec, exec, s[22:23]
	v_lshlrev_b64 v[22:23], 3, v[8:9]
	v_add_co_u32_e64 v1, s[22:23], v4, v22
	v_addc_co_u32_e64 v4, s[22:23], v5, v23, s[22:23]
	v_lshlrev_b32_e32 v5, 3, v16
	v_add_co_u32_e64 v1, s[22:23], v1, v5
	v_addc_co_u32_e64 v9, s[22:23], 0, v4, s[22:23]
	v_lshlrev_b64 v[4:5], 3, v[18:19]
	v_add_co_u32_e64 v4, s[22:23], v1, v4
	v_addc_co_u32_e64 v5, s[22:23], v9, v5, s[22:23]
                                        ; implicit-def: $vgpr18_vgpr19
	s_and_saveexec_b64 s[22:23], vcc
	s_cbranch_execnz .LBB85_112
; %bb.19:
	s_or_b64 exec, exec, s[22:23]
                                        ; implicit-def: $vgpr70_vgpr71
	s_and_saveexec_b64 s[22:23], s[4:5]
	s_cbranch_execnz .LBB85_113
.LBB85_20:
	s_or_b64 exec, exec, s[22:23]
                                        ; implicit-def: $vgpr80_vgpr81
	s_and_saveexec_b64 s[4:5], s[6:7]
	s_cbranch_execnz .LBB85_114
.LBB85_21:
	s_or_b64 exec, exec, s[4:5]
                                        ; implicit-def: $vgpr82_vgpr83
	s_and_saveexec_b64 s[4:5], s[10:11]
	s_cbranch_execnz .LBB85_115
.LBB85_22:
	s_or_b64 exec, exec, s[4:5]
                                        ; implicit-def: $vgpr84_vgpr85
	s_and_saveexec_b64 s[4:5], s[20:21]
	s_cbranch_execnz .LBB85_116
.LBB85_23:
	s_or_b64 exec, exec, s[4:5]
                                        ; implicit-def: $vgpr96_vgpr97
	s_and_saveexec_b64 s[4:5], s[14:15]
	s_cbranch_execnz .LBB85_117
.LBB85_24:
	s_or_b64 exec, exec, s[4:5]
                                        ; implicit-def: $vgpr116_vgpr117
	s_and_saveexec_b64 s[4:5], s[16:17]
	s_cbranch_execnz .LBB85_118
.LBB85_25:
	s_or_b64 exec, exec, s[4:5]
                                        ; implicit-def: $vgpr146_vgpr147
	s_and_saveexec_b64 s[4:5], s[18:19]
	s_cbranch_execz .LBB85_27
.LBB85_26:
	flat_load_dwordx2 v[146:147], v[4:5] offset:3584
.LBB85_27:
	s_or_b64 exec, exec, s[4:5]
	v_lshrrev_b32_e32 v1, 8, v14
	v_mov_b32_e32 v4, -1
	v_xor_b32_sdwa v31, v1, v4 dst_sel:BYTE_1 dst_unused:UNUSED_PAD src0_sel:DWORD src1_sel:DWORD
	v_lshrrev_b32_e32 v1, 8, v15
	v_xor_b32_sdwa v37, v1, v4 dst_sel:BYTE_1 dst_unused:UNUSED_PAD src0_sel:DWORD src1_sel:DWORD
	v_add_co_u32_e32 v1, vcc, 16, v12
	v_xor_b32_sdwa v34, v14, v4 dst_sel:DWORD dst_unused:UNUSED_PAD src0_sel:WORD_1 src1_sel:DWORD
	v_xor_b32_sdwa v35, v14, v4 dst_sel:BYTE_1 dst_unused:UNUSED_PAD src0_sel:BYTE_3 src1_sel:DWORD
	v_xor_b32_e32 v36, -1, v15
	v_xor_b32_sdwa v38, v15, v4 dst_sel:DWORD dst_unused:UNUSED_PAD src0_sel:WORD_1 src1_sel:DWORD
	v_xor_b32_sdwa v15, v15, v4 dst_sel:BYTE_1 dst_unused:UNUSED_PAD src0_sel:BYTE_3 src1_sel:DWORD
	v_addc_co_u32_e32 v9, vcc, 0, v13, vcc
	v_lshlrev_b32_e32 v4, 4, v20
	v_add_co_u32_e32 v4, vcc, v12, v4
	s_getpc_b64 s[4:5]
	s_add_u32 s4, s4, _ZN7rocprim17ROCPRIM_400000_NS16block_radix_sortIhLj256ELj8ElLj1ELj1ELj8ELNS0_26block_radix_rank_algorithmE2ELNS0_18block_padding_hintE2ELNS0_4arch9wavefront6targetE1EE19radix_bits_per_passE@rel32@lo+4
	s_addc_u32 s5, s5, _ZN7rocprim17ROCPRIM_400000_NS16block_radix_sortIhLj256ELj8ElLj1ELj1ELj8ELNS0_26block_radix_rank_algorithmE2ELNS0_18block_padding_hintE2ELNS0_4arch9wavefront6targetE1EE19radix_bits_per_passE@rel32@hi+12
	v_addc_co_u32_e32 v5, vcc, 0, v13, vcc
	v_and_b32_e32 v24, 15, v17
	s_load_dword s46, s[4:5], 0x0
	v_cmp_eq_u32_e32 vcc, 0, v24
	v_cmp_lt_u32_e64 s[4:5], 1, v24
	v_cmp_lt_u32_e64 s[6:7], 3, v24
	;; [unrolled: 1-line block ×3, first 2 shown]
	v_and_b32_e32 v24, 16, v17
	v_cmp_eq_u32_e64 s[30:31], 0, v24
	v_and_b32_e32 v24, 0x3c0, v20
	v_min_u32_e32 v24, 0xc0, v24
	v_or_b32_e32 v24, 63, v24
	v_cmp_eq_u32_e64 s[16:17], v24, v20
	v_add_u32_e32 v24, -1, v17
	v_and_b32_e32 v25, 64, v17
	v_cmp_lt_i32_e64 s[22:23], v24, v25
	v_lshrrev_b32_e32 v28, 6, v20
	v_cndmask_b32_e64 v24, v24, v17, s[22:23]
	v_xor_b32_e32 v30, -1, v14
	v_mov_b32_e32 v14, 0
	v_lshlrev_b32_e32 v113, 2, v24
	v_lshlrev_b32_e32 v24, 2, v28
	v_add_co_u32_e64 v24, s[26:27], v12, v24
	v_add_u32_e32 v28, -1, v28
	v_mov_b32_e32 v29, v14
	v_lshlrev_b32_e32 v26, 2, v20
	v_addc_co_u32_e64 v25, s[26:27], 0, v13, s[26:27]
	v_lshlrev_b64 v[28:29], 2, v[28:29]
	v_add_co_u32_e64 v26, s[26:27], v12, v26
	v_add_co_u32_e64 v32, s[34:35], v12, v28
	v_cmp_lt_u32_e64 s[14:15], 31, v17
	v_cmp_eq_u32_e64 s[22:23], 0, v17
	v_addc_co_u32_e64 v27, s[26:27], 0, v13, s[26:27]
	v_and_b32_e32 v17, 3, v17
	v_addc_co_u32_e64 v33, s[34:35], v13, v29, s[34:35]
	v_cmp_eq_u32_e64 s[26:27], 0, v17
	v_cmp_lt_u32_e64 s[28:29], 1, v17
	v_lshlrev_b32_e32 v17, 3, v20
	s_movk_i32 s34, 0x1e00
	v_and_or_b32 v16, v17, s34, v16
	v_add_co_u32_e64 v54, s[34:35], v12, v16
	v_addc_co_u32_e64 v55, s[34:35], 0, v13, s[34:35]
	v_mad_u64_u32 v[64:65], s[34:35], v16, 7, v[54:55]
	v_or_b32_sdwa v16, v30, v31 dst_sel:DWORD dst_unused:UNUSED_PAD src0_sel:BYTE_0 src1_sel:DWORD
	v_or_b32_sdwa v17, v34, v35 dst_sel:WORD_1 dst_unused:UNUSED_PAD src0_sel:BYTE_0 src1_sel:DWORD
	v_or_b32_sdwa v66, v16, v17 dst_sel:DWORD dst_unused:UNUSED_PAD src0_sel:WORD_0 src1_sel:DWORD
	v_or_b32_sdwa v16, v36, v37 dst_sel:DWORD dst_unused:UNUSED_PAD src0_sel:BYTE_0 src1_sel:DWORD
	v_or_b32_sdwa v15, v38, v15 dst_sel:WORD_1 dst_unused:UNUSED_PAD src0_sel:BYTE_0 src1_sel:DWORD
	v_lshrrev_b32_e32 v21, 6, v0
	v_cmp_gt_u32_e64 s[18:19], 4, v20
	v_cmp_lt_u32_e64 s[20:21], 63, v20
	v_cmp_eq_u32_e64 s[24:25], 0, v20
	v_or_b32_sdwa v67, v16, v15 dst_sel:DWORD dst_unused:UNUSED_PAD src0_sel:WORD_0 src1_sel:DWORD
	v_sub_u32_e32 v115, v11, v10
	s_mov_b64 s[42:43], 0
	s_waitcnt lgkmcnt(0)
	s_barrier
	s_branch .LBB85_29
.LBB85_28:                              ;   in Loop: Header=BB85_29 Depth=1
	s_or_b64 exec, exec, s[36:37]
	s_and_b64 s[34:35], exec, s[44:45]
	s_or_b64 s[42:43], s[34:35], s[42:43]
	s_andn2_b64 exec, exec, s[42:43]
	s_cbranch_execz .LBB85_53
.LBB85_29:                              ; =>This Inner Loop Header: Depth=1
	s_waitcnt vmcnt(0)
	v_pk_mov_b32 v[52:53], v[18:19], v[18:19] op_sel:[0,1]
	v_min_u32_e32 v18, s46, v115
	v_mov_b32_e32 v15, v14
	v_mov_b32_e32 v16, v14
	;; [unrolled: 1-line block ×3, first 2 shown]
	flat_store_dwordx4 v[4:5], v[14:17] offset:16
	v_pk_mov_b32 v[50:51], v[70:71], v[70:71] op_sel:[0,1]
	v_lshlrev_b32_e64 v15, v18, -1
	v_not_b32_e32 v18, v15
	v_lshrrev_b32_sdwa v15, v10, v66 dst_sel:DWORD dst_unused:UNUSED_PAD src0_sel:DWORD src1_sel:BYTE_0
	v_and_b32_e32 v16, v15, v18
	v_lshlrev_b32_e32 v15, 2, v16
	v_add_lshl_u32 v15, v15, v21, 2
	v_add_co_u32_e64 v70, s[34:35], v1, v15
	v_addc_co_u32_e64 v71, s[34:35], 0, v9, s[34:35]
	v_and_b32_e32 v15, 1, v16
	v_add_co_u32_e64 v17, s[34:35], -1, v15
	v_addc_co_u32_e64 v19, s[34:35], 0, -1, s[34:35]
	v_cmp_ne_u32_e64 s[34:35], 0, v15
	v_xor_b32_e32 v15, s35, v19
	v_and_b32_e32 v19, exec_hi, v15
	v_lshlrev_b32_e32 v15, 30, v16
	v_xor_b32_e32 v17, s34, v17
	v_cmp_gt_i64_e64 s[34:35], 0, v[14:15]
	v_not_b32_e32 v15, v15
	v_ashrrev_i32_e32 v15, 31, v15
	v_and_b32_e32 v17, exec_lo, v17
	v_xor_b32_e32 v68, s35, v15
	v_xor_b32_e32 v15, s34, v15
	v_and_b32_e32 v17, v17, v15
	v_lshlrev_b32_e32 v15, 29, v16
	v_cmp_gt_i64_e64 s[34:35], 0, v[14:15]
	v_not_b32_e32 v15, v15
	v_ashrrev_i32_e32 v15, 31, v15
	v_and_b32_e32 v19, v19, v68
	v_xor_b32_e32 v68, s35, v15
	v_xor_b32_e32 v15, s34, v15
	v_and_b32_e32 v17, v17, v15
	v_lshlrev_b32_e32 v15, 28, v16
	v_cmp_gt_i64_e64 s[34:35], 0, v[14:15]
	v_not_b32_e32 v15, v15
	v_ashrrev_i32_e32 v15, 31, v15
	v_and_b32_e32 v19, v19, v68
	;; [unrolled: 8-line block ×5, first 2 shown]
	v_xor_b32_e32 v68, s35, v15
	v_xor_b32_e32 v15, s34, v15
	v_and_b32_e32 v19, v19, v68
	v_and_b32_e32 v68, v17, v15
	v_lshlrev_b32_e32 v15, 24, v16
	v_cmp_gt_i64_e64 s[34:35], 0, v[14:15]
	v_not_b32_e32 v15, v15
	v_ashrrev_i32_e32 v15, 31, v15
	v_xor_b32_e32 v16, s35, v15
	v_xor_b32_e32 v15, s34, v15
	v_and_b32_e32 v17, v19, v16
	v_and_b32_e32 v16, v68, v15
	v_mbcnt_lo_u32_b32 v15, v16, 0
	v_mbcnt_hi_u32_b32 v102, v17, v15
	v_cmp_eq_u32_e64 s[34:35], 0, v102
	v_cmp_ne_u64_e64 s[36:37], 0, v[16:17]
	v_pk_mov_b32 v[48:49], v[80:81], v[80:81] op_sel:[0,1]
	v_pk_mov_b32 v[38:39], v[82:83], v[82:83] op_sel:[0,1]
	v_pk_mov_b32 v[36:37], v[84:85], v[84:85] op_sel:[0,1]
	v_pk_mov_b32 v[34:35], v[96:97], v[96:97] op_sel:[0,1]
	v_pk_mov_b32 v[30:31], v[116:117], v[116:117] op_sel:[0,1]
	v_pk_mov_b32 v[28:29], v[146:147], v[146:147] op_sel:[0,1]
	s_and_b64 s[36:37], s[36:37], s[34:35]
	s_waitcnt lgkmcnt(0)
	s_barrier
	s_waitcnt lgkmcnt(0)
	; wave barrier
	s_and_saveexec_b64 s[34:35], s[36:37]
	s_cbranch_execz .LBB85_31
; %bb.30:                               ;   in Loop: Header=BB85_29 Depth=1
	v_bcnt_u32_b32 v15, v16, 0
	v_bcnt_u32_b32 v15, v17, v15
	flat_store_dword v[70:71], v15
.LBB85_31:                              ;   in Loop: Header=BB85_29 Depth=1
	s_or_b64 exec, exec, s[34:35]
	v_lshrrev_b32_sdwa v15, v10, v66 dst_sel:DWORD dst_unused:UNUSED_PAD src0_sel:DWORD src1_sel:BYTE_1
	v_and_b32_e32 v16, v15, v18
	v_lshlrev_b32_e32 v15, 2, v16
	v_add_lshl_u32 v15, v15, v21, 2
	v_add_co_u32_e64 v80, s[34:35], v1, v15
	v_addc_co_u32_e64 v81, s[34:35], 0, v9, s[34:35]
	; wave barrier
	flat_load_dword v112, v[80:81]
	v_and_b32_e32 v15, 1, v16
	v_add_co_u32_e64 v17, s[34:35], -1, v15
	v_addc_co_u32_e64 v19, s[34:35], 0, -1, s[34:35]
	v_cmp_ne_u32_e64 s[34:35], 0, v15
	v_xor_b32_e32 v15, s35, v19
	v_and_b32_e32 v19, exec_hi, v15
	v_lshlrev_b32_e32 v15, 30, v16
	v_xor_b32_e32 v17, s34, v17
	v_cmp_gt_i64_e64 s[34:35], 0, v[14:15]
	v_not_b32_e32 v15, v15
	v_pk_mov_b32 v[68:69], v[66:67], v[66:67] op_sel:[0,1]
	v_ashrrev_i32_e32 v15, 31, v15
	v_and_b32_e32 v17, exec_lo, v17
	v_xor_b32_e32 v68, s35, v15
	v_xor_b32_e32 v15, s34, v15
	v_and_b32_e32 v17, v17, v15
	v_lshlrev_b32_e32 v15, 29, v16
	v_cmp_gt_i64_e64 s[34:35], 0, v[14:15]
	v_not_b32_e32 v15, v15
	v_ashrrev_i32_e32 v15, 31, v15
	v_and_b32_e32 v19, v19, v68
	v_xor_b32_e32 v68, s35, v15
	v_xor_b32_e32 v15, s34, v15
	v_and_b32_e32 v17, v17, v15
	v_lshlrev_b32_e32 v15, 28, v16
	v_cmp_gt_i64_e64 s[34:35], 0, v[14:15]
	v_not_b32_e32 v15, v15
	v_ashrrev_i32_e32 v15, 31, v15
	v_and_b32_e32 v19, v19, v68
	;; [unrolled: 8-line block ×5, first 2 shown]
	v_xor_b32_e32 v68, s35, v15
	v_xor_b32_e32 v15, s34, v15
	v_and_b32_e32 v19, v19, v68
	v_and_b32_e32 v68, v17, v15
	v_lshlrev_b32_e32 v15, 24, v16
	v_cmp_gt_i64_e64 s[34:35], 0, v[14:15]
	v_not_b32_e32 v15, v15
	v_ashrrev_i32_e32 v15, 31, v15
	v_xor_b32_e32 v16, s35, v15
	v_xor_b32_e32 v15, s34, v15
	v_and_b32_e32 v17, v19, v16
	v_and_b32_e32 v16, v68, v15
	v_mbcnt_lo_u32_b32 v15, v16, 0
	v_mbcnt_hi_u32_b32 v68, v17, v15
	v_cmp_eq_u32_e64 s[34:35], 0, v68
	v_cmp_ne_u64_e64 s[36:37], 0, v[16:17]
	s_and_b64 s[36:37], s[36:37], s[34:35]
	; wave barrier
	s_and_saveexec_b64 s[34:35], s[36:37]
	s_cbranch_execz .LBB85_33
; %bb.32:                               ;   in Loop: Header=BB85_29 Depth=1
	v_bcnt_u32_b32 v15, v16, 0
	v_bcnt_u32_b32 v15, v17, v15
	s_waitcnt vmcnt(0) lgkmcnt(0)
	v_add_u32_e32 v15, v112, v15
	flat_store_dword v[80:81], v15
.LBB85_33:                              ;   in Loop: Header=BB85_29 Depth=1
	s_or_b64 exec, exec, s[34:35]
	v_lshrrev_b32_sdwa v15, v10, v66 dst_sel:DWORD dst_unused:UNUSED_PAD src0_sel:DWORD src1_sel:BYTE_2
	v_and_b32_e32 v16, v15, v18
	v_lshlrev_b32_e32 v15, 2, v16
	v_add_lshl_u32 v15, v15, v21, 2
	v_add_co_u32_e64 v82, s[34:35], v1, v15
	v_addc_co_u32_e64 v83, s[34:35], 0, v9, s[34:35]
	; wave barrier
	flat_load_dword v116, v[82:83]
	v_and_b32_e32 v15, 1, v16
	v_add_co_u32_e64 v17, s[34:35], -1, v15
	v_addc_co_u32_e64 v19, s[34:35], 0, -1, s[34:35]
	v_cmp_ne_u32_e64 s[34:35], 0, v15
	v_xor_b32_e32 v15, s35, v19
	v_and_b32_e32 v19, exec_hi, v15
	v_lshlrev_b32_e32 v15, 30, v16
	v_xor_b32_e32 v17, s34, v17
	v_cmp_gt_i64_e64 s[34:35], 0, v[14:15]
	v_not_b32_e32 v15, v15
	v_ashrrev_i32_e32 v15, 31, v15
	v_and_b32_e32 v17, exec_lo, v17
	v_xor_b32_e32 v84, s35, v15
	v_xor_b32_e32 v15, s34, v15
	v_and_b32_e32 v17, v17, v15
	v_lshlrev_b32_e32 v15, 29, v16
	v_cmp_gt_i64_e64 s[34:35], 0, v[14:15]
	v_not_b32_e32 v15, v15
	v_ashrrev_i32_e32 v15, 31, v15
	v_and_b32_e32 v19, v19, v84
	v_xor_b32_e32 v84, s35, v15
	v_xor_b32_e32 v15, s34, v15
	v_and_b32_e32 v17, v17, v15
	v_lshlrev_b32_e32 v15, 28, v16
	v_cmp_gt_i64_e64 s[34:35], 0, v[14:15]
	v_not_b32_e32 v15, v15
	v_ashrrev_i32_e32 v15, 31, v15
	v_and_b32_e32 v19, v19, v84
	;; [unrolled: 8-line block ×5, first 2 shown]
	v_xor_b32_e32 v84, s35, v15
	v_xor_b32_e32 v15, s34, v15
	v_and_b32_e32 v19, v19, v84
	v_and_b32_e32 v84, v17, v15
	v_lshlrev_b32_e32 v15, 24, v16
	v_cmp_gt_i64_e64 s[34:35], 0, v[14:15]
	v_not_b32_e32 v15, v15
	v_ashrrev_i32_e32 v15, 31, v15
	v_xor_b32_e32 v16, s35, v15
	v_xor_b32_e32 v15, s34, v15
	v_and_b32_e32 v17, v19, v16
	v_and_b32_e32 v16, v84, v15
	v_mbcnt_lo_u32_b32 v15, v16, 0
	v_mbcnt_hi_u32_b32 v117, v17, v15
	v_cmp_eq_u32_e64 s[34:35], 0, v117
	v_cmp_ne_u64_e64 s[36:37], 0, v[16:17]
	s_and_b64 s[36:37], s[36:37], s[34:35]
	; wave barrier
	s_and_saveexec_b64 s[34:35], s[36:37]
	s_cbranch_execz .LBB85_35
; %bb.34:                               ;   in Loop: Header=BB85_29 Depth=1
	v_bcnt_u32_b32 v15, v16, 0
	v_bcnt_u32_b32 v15, v17, v15
	s_waitcnt vmcnt(0) lgkmcnt(0)
	v_add_u32_e32 v15, v116, v15
	flat_store_dword v[82:83], v15
.LBB85_35:                              ;   in Loop: Header=BB85_29 Depth=1
	s_or_b64 exec, exec, s[34:35]
	v_alignbit_b32 v15, v67, v66, 24
	v_lshrrev_b32_sdwa v15, v10, v15 dst_sel:DWORD dst_unused:UNUSED_PAD src0_sel:DWORD src1_sel:BYTE_0
	v_and_b32_e32 v16, v15, v18
	v_lshlrev_b32_e32 v15, 2, v16
	v_add_lshl_u32 v15, v15, v21, 2
	v_add_co_u32_e64 v84, s[34:35], v1, v15
	v_addc_co_u32_e64 v85, s[34:35], 0, v9, s[34:35]
	; wave barrier
	flat_load_dword v118, v[84:85]
	v_and_b32_e32 v15, 1, v16
	v_add_co_u32_e64 v17, s[34:35], -1, v15
	v_addc_co_u32_e64 v19, s[34:35], 0, -1, s[34:35]
	v_cmp_ne_u32_e64 s[34:35], 0, v15
	v_xor_b32_e32 v15, s35, v19
	v_and_b32_e32 v19, exec_hi, v15
	v_lshlrev_b32_e32 v15, 30, v16
	v_xor_b32_e32 v17, s34, v17
	v_cmp_gt_i64_e64 s[34:35], 0, v[14:15]
	v_not_b32_e32 v15, v15
	v_ashrrev_i32_e32 v15, 31, v15
	v_and_b32_e32 v17, exec_lo, v17
	v_xor_b32_e32 v86, s35, v15
	v_xor_b32_e32 v15, s34, v15
	v_and_b32_e32 v17, v17, v15
	v_lshlrev_b32_e32 v15, 29, v16
	v_cmp_gt_i64_e64 s[34:35], 0, v[14:15]
	v_not_b32_e32 v15, v15
	v_ashrrev_i32_e32 v15, 31, v15
	v_and_b32_e32 v19, v19, v86
	v_xor_b32_e32 v86, s35, v15
	v_xor_b32_e32 v15, s34, v15
	v_and_b32_e32 v17, v17, v15
	v_lshlrev_b32_e32 v15, 28, v16
	v_cmp_gt_i64_e64 s[34:35], 0, v[14:15]
	v_not_b32_e32 v15, v15
	v_ashrrev_i32_e32 v15, 31, v15
	v_and_b32_e32 v19, v19, v86
	;; [unrolled: 8-line block ×5, first 2 shown]
	v_xor_b32_e32 v86, s35, v15
	v_xor_b32_e32 v15, s34, v15
	v_and_b32_e32 v19, v19, v86
	v_and_b32_e32 v86, v17, v15
	v_lshlrev_b32_e32 v15, 24, v16
	v_cmp_gt_i64_e64 s[34:35], 0, v[14:15]
	v_not_b32_e32 v15, v15
	v_ashrrev_i32_e32 v15, 31, v15
	v_xor_b32_e32 v16, s35, v15
	v_xor_b32_e32 v15, s34, v15
	v_and_b32_e32 v17, v19, v16
	v_and_b32_e32 v16, v86, v15
	v_mbcnt_lo_u32_b32 v15, v16, 0
	v_mbcnt_hi_u32_b32 v119, v17, v15
	v_cmp_eq_u32_e64 s[34:35], 0, v119
	v_cmp_ne_u64_e64 s[36:37], 0, v[16:17]
	s_and_b64 s[36:37], s[36:37], s[34:35]
	; wave barrier
	s_and_saveexec_b64 s[34:35], s[36:37]
	s_cbranch_execz .LBB85_37
; %bb.36:                               ;   in Loop: Header=BB85_29 Depth=1
	v_bcnt_u32_b32 v15, v16, 0
	v_bcnt_u32_b32 v15, v17, v15
	s_waitcnt vmcnt(0) lgkmcnt(0)
	v_add_u32_e32 v15, v118, v15
	flat_store_dword v[84:85], v15
.LBB85_37:                              ;   in Loop: Header=BB85_29 Depth=1
	s_or_b64 exec, exec, s[34:35]
	v_lshrrev_b32_sdwa v15, v10, v67 dst_sel:DWORD dst_unused:UNUSED_PAD src0_sel:DWORD src1_sel:BYTE_0
	v_and_b32_e32 v16, v15, v18
	v_lshlrev_b32_e32 v15, 2, v16
	v_add_lshl_u32 v15, v15, v21, 2
	v_add_co_u32_e64 v86, s[34:35], v1, v15
	v_addc_co_u32_e64 v87, s[34:35], 0, v9, s[34:35]
	; wave barrier
	flat_load_dword v128, v[86:87]
	v_and_b32_e32 v15, 1, v16
	v_add_co_u32_e64 v17, s[34:35], -1, v15
	v_addc_co_u32_e64 v19, s[34:35], 0, -1, s[34:35]
	v_cmp_ne_u32_e64 s[34:35], 0, v15
	v_xor_b32_e32 v15, s35, v19
	v_and_b32_e32 v19, exec_hi, v15
	v_lshlrev_b32_e32 v15, 30, v16
	v_xor_b32_e32 v17, s34, v17
	v_cmp_gt_i64_e64 s[34:35], 0, v[14:15]
	v_not_b32_e32 v15, v15
	v_ashrrev_i32_e32 v15, 31, v15
	v_and_b32_e32 v17, exec_lo, v17
	v_xor_b32_e32 v96, s35, v15
	v_xor_b32_e32 v15, s34, v15
	v_and_b32_e32 v17, v17, v15
	v_lshlrev_b32_e32 v15, 29, v16
	v_cmp_gt_i64_e64 s[34:35], 0, v[14:15]
	v_not_b32_e32 v15, v15
	v_ashrrev_i32_e32 v15, 31, v15
	v_and_b32_e32 v19, v19, v96
	v_xor_b32_e32 v96, s35, v15
	v_xor_b32_e32 v15, s34, v15
	v_and_b32_e32 v17, v17, v15
	v_lshlrev_b32_e32 v15, 28, v16
	v_cmp_gt_i64_e64 s[34:35], 0, v[14:15]
	v_not_b32_e32 v15, v15
	v_ashrrev_i32_e32 v15, 31, v15
	v_and_b32_e32 v19, v19, v96
	;; [unrolled: 8-line block ×5, first 2 shown]
	v_xor_b32_e32 v96, s35, v15
	v_xor_b32_e32 v15, s34, v15
	v_and_b32_e32 v19, v19, v96
	v_and_b32_e32 v96, v17, v15
	v_lshlrev_b32_e32 v15, 24, v16
	v_cmp_gt_i64_e64 s[34:35], 0, v[14:15]
	v_not_b32_e32 v15, v15
	v_ashrrev_i32_e32 v15, 31, v15
	v_xor_b32_e32 v16, s35, v15
	v_xor_b32_e32 v15, s34, v15
	v_and_b32_e32 v17, v19, v16
	v_and_b32_e32 v16, v96, v15
	v_mbcnt_lo_u32_b32 v15, v16, 0
	v_mbcnt_hi_u32_b32 v129, v17, v15
	v_cmp_eq_u32_e64 s[34:35], 0, v129
	v_cmp_ne_u64_e64 s[36:37], 0, v[16:17]
	s_and_b64 s[36:37], s[36:37], s[34:35]
	; wave barrier
	s_and_saveexec_b64 s[34:35], s[36:37]
	s_cbranch_execz .LBB85_39
; %bb.38:                               ;   in Loop: Header=BB85_29 Depth=1
	v_bcnt_u32_b32 v15, v16, 0
	v_bcnt_u32_b32 v15, v17, v15
	s_waitcnt vmcnt(0) lgkmcnt(0)
	v_add_u32_e32 v15, v128, v15
	flat_store_dword v[86:87], v15
.LBB85_39:                              ;   in Loop: Header=BB85_29 Depth=1
	s_or_b64 exec, exec, s[34:35]
	v_lshrrev_b32_sdwa v15, v10, v67 dst_sel:DWORD dst_unused:UNUSED_PAD src0_sel:DWORD src1_sel:BYTE_1
	v_and_b32_e32 v16, v15, v18
	v_lshlrev_b32_e32 v15, 2, v16
	v_add_lshl_u32 v15, v15, v21, 2
	v_add_co_u32_e64 v96, s[34:35], v1, v15
	v_addc_co_u32_e64 v97, s[34:35], 0, v9, s[34:35]
	; wave barrier
	flat_load_dword v130, v[96:97]
	v_and_b32_e32 v15, 1, v16
	v_add_co_u32_e64 v17, s[34:35], -1, v15
	v_addc_co_u32_e64 v19, s[34:35], 0, -1, s[34:35]
	v_cmp_ne_u32_e64 s[34:35], 0, v15
	v_xor_b32_e32 v15, s35, v19
	v_and_b32_e32 v19, exec_hi, v15
	v_lshlrev_b32_e32 v15, 30, v16
	v_xor_b32_e32 v17, s34, v17
	v_cmp_gt_i64_e64 s[34:35], 0, v[14:15]
	v_not_b32_e32 v15, v15
	v_ashrrev_i32_e32 v15, 31, v15
	v_and_b32_e32 v17, exec_lo, v17
	v_xor_b32_e32 v98, s35, v15
	v_xor_b32_e32 v15, s34, v15
	v_and_b32_e32 v17, v17, v15
	v_lshlrev_b32_e32 v15, 29, v16
	v_cmp_gt_i64_e64 s[34:35], 0, v[14:15]
	v_not_b32_e32 v15, v15
	v_ashrrev_i32_e32 v15, 31, v15
	v_and_b32_e32 v19, v19, v98
	v_xor_b32_e32 v98, s35, v15
	v_xor_b32_e32 v15, s34, v15
	v_and_b32_e32 v17, v17, v15
	v_lshlrev_b32_e32 v15, 28, v16
	v_cmp_gt_i64_e64 s[34:35], 0, v[14:15]
	v_not_b32_e32 v15, v15
	v_ashrrev_i32_e32 v15, 31, v15
	v_and_b32_e32 v19, v19, v98
	;; [unrolled: 8-line block ×5, first 2 shown]
	v_xor_b32_e32 v98, s35, v15
	v_xor_b32_e32 v15, s34, v15
	v_and_b32_e32 v19, v19, v98
	v_and_b32_e32 v98, v17, v15
	v_lshlrev_b32_e32 v15, 24, v16
	v_cmp_gt_i64_e64 s[34:35], 0, v[14:15]
	v_not_b32_e32 v15, v15
	v_ashrrev_i32_e32 v15, 31, v15
	v_xor_b32_e32 v16, s35, v15
	v_xor_b32_e32 v15, s34, v15
	v_and_b32_e32 v17, v19, v16
	v_and_b32_e32 v16, v98, v15
	v_mbcnt_lo_u32_b32 v15, v16, 0
	v_mbcnt_hi_u32_b32 v131, v17, v15
	v_cmp_eq_u32_e64 s[34:35], 0, v131
	v_cmp_ne_u64_e64 s[36:37], 0, v[16:17]
	s_and_b64 s[36:37], s[36:37], s[34:35]
	; wave barrier
	s_and_saveexec_b64 s[34:35], s[36:37]
	s_cbranch_execz .LBB85_41
; %bb.40:                               ;   in Loop: Header=BB85_29 Depth=1
	v_bcnt_u32_b32 v15, v16, 0
	v_bcnt_u32_b32 v15, v17, v15
	s_waitcnt vmcnt(0) lgkmcnt(0)
	v_add_u32_e32 v15, v130, v15
	flat_store_dword v[96:97], v15
.LBB85_41:                              ;   in Loop: Header=BB85_29 Depth=1
	s_or_b64 exec, exec, s[34:35]
	v_lshrrev_b32_sdwa v15, v10, v67 dst_sel:DWORD dst_unused:UNUSED_PAD src0_sel:DWORD src1_sel:BYTE_2
	v_and_b32_e32 v16, v15, v18
	v_lshlrev_b32_e32 v15, 2, v16
	v_add_lshl_u32 v15, v15, v21, 2
	v_add_co_u32_e64 v98, s[34:35], v1, v15
	v_addc_co_u32_e64 v99, s[34:35], 0, v9, s[34:35]
	; wave barrier
	flat_load_dword v134, v[98:99]
	v_and_b32_e32 v15, 1, v16
	v_add_co_u32_e64 v17, s[34:35], -1, v15
	v_addc_co_u32_e64 v19, s[34:35], 0, -1, s[34:35]
	v_cmp_ne_u32_e64 s[34:35], 0, v15
	v_xor_b32_e32 v15, s35, v19
	v_and_b32_e32 v19, exec_hi, v15
	v_lshlrev_b32_e32 v15, 30, v16
	v_xor_b32_e32 v17, s34, v17
	v_cmp_gt_i64_e64 s[34:35], 0, v[14:15]
	v_not_b32_e32 v15, v15
	v_ashrrev_i32_e32 v15, 31, v15
	v_and_b32_e32 v17, exec_lo, v17
	v_xor_b32_e32 v100, s35, v15
	v_xor_b32_e32 v15, s34, v15
	v_and_b32_e32 v17, v17, v15
	v_lshlrev_b32_e32 v15, 29, v16
	v_cmp_gt_i64_e64 s[34:35], 0, v[14:15]
	v_not_b32_e32 v15, v15
	v_ashrrev_i32_e32 v15, 31, v15
	v_and_b32_e32 v19, v19, v100
	v_xor_b32_e32 v100, s35, v15
	v_xor_b32_e32 v15, s34, v15
	v_and_b32_e32 v17, v17, v15
	v_lshlrev_b32_e32 v15, 28, v16
	v_cmp_gt_i64_e64 s[34:35], 0, v[14:15]
	v_not_b32_e32 v15, v15
	v_ashrrev_i32_e32 v15, 31, v15
	v_and_b32_e32 v19, v19, v100
	;; [unrolled: 8-line block ×5, first 2 shown]
	v_xor_b32_e32 v100, s35, v15
	v_xor_b32_e32 v15, s34, v15
	v_and_b32_e32 v19, v19, v100
	v_and_b32_e32 v100, v17, v15
	v_lshlrev_b32_e32 v15, 24, v16
	v_cmp_gt_i64_e64 s[34:35], 0, v[14:15]
	v_not_b32_e32 v15, v15
	v_ashrrev_i32_e32 v15, 31, v15
	v_xor_b32_e32 v16, s35, v15
	v_xor_b32_e32 v15, s34, v15
	v_and_b32_e32 v17, v19, v16
	v_and_b32_e32 v16, v100, v15
	v_mbcnt_lo_u32_b32 v15, v16, 0
	v_mbcnt_hi_u32_b32 v135, v17, v15
	v_cmp_eq_u32_e64 s[34:35], 0, v135
	v_cmp_ne_u64_e64 s[36:37], 0, v[16:17]
	s_and_b64 s[36:37], s[36:37], s[34:35]
	; wave barrier
	s_and_saveexec_b64 s[34:35], s[36:37]
	s_cbranch_execz .LBB85_43
; %bb.42:                               ;   in Loop: Header=BB85_29 Depth=1
	v_bcnt_u32_b32 v15, v16, 0
	v_bcnt_u32_b32 v15, v17, v15
	s_waitcnt vmcnt(0) lgkmcnt(0)
	v_add_u32_e32 v15, v134, v15
	flat_store_dword v[98:99], v15
.LBB85_43:                              ;   in Loop: Header=BB85_29 Depth=1
	s_or_b64 exec, exec, s[34:35]
	v_lshrrev_b32_e32 v162, 24, v67
	v_lshrrev_b32_e32 v15, v10, v162
	v_and_b32_e32 v16, v15, v18
	v_lshlrev_b32_e32 v15, 2, v16
	v_add_lshl_u32 v15, v15, v21, 2
	v_add_co_u32_e64 v100, s[34:35], v1, v15
	v_addc_co_u32_e64 v101, s[34:35], 0, v9, s[34:35]
	; wave barrier
	flat_load_dword v144, v[100:101]
	v_and_b32_e32 v15, 1, v16
	v_add_co_u32_e64 v17, s[34:35], -1, v15
	v_addc_co_u32_e64 v18, s[34:35], 0, -1, s[34:35]
	v_cmp_ne_u32_e64 s[34:35], 0, v15
	v_xor_b32_e32 v15, s35, v18
	v_and_b32_e32 v18, exec_hi, v15
	v_lshlrev_b32_e32 v15, 30, v16
	v_xor_b32_e32 v17, s34, v17
	v_cmp_gt_i64_e64 s[34:35], 0, v[14:15]
	v_not_b32_e32 v15, v15
	v_ashrrev_i32_e32 v15, 31, v15
	v_and_b32_e32 v17, exec_lo, v17
	v_xor_b32_e32 v19, s35, v15
	v_xor_b32_e32 v15, s34, v15
	v_and_b32_e32 v17, v17, v15
	v_lshlrev_b32_e32 v15, 29, v16
	v_cmp_gt_i64_e64 s[34:35], 0, v[14:15]
	v_not_b32_e32 v15, v15
	v_ashrrev_i32_e32 v15, 31, v15
	v_and_b32_e32 v18, v18, v19
	v_xor_b32_e32 v19, s35, v15
	v_xor_b32_e32 v15, s34, v15
	v_and_b32_e32 v17, v17, v15
	v_lshlrev_b32_e32 v15, 28, v16
	v_cmp_gt_i64_e64 s[34:35], 0, v[14:15]
	v_not_b32_e32 v15, v15
	v_ashrrev_i32_e32 v15, 31, v15
	v_and_b32_e32 v18, v18, v19
	;; [unrolled: 8-line block ×5, first 2 shown]
	v_xor_b32_e32 v19, s35, v15
	v_xor_b32_e32 v15, s34, v15
	v_and_b32_e32 v18, v18, v19
	v_and_b32_e32 v19, v17, v15
	v_lshlrev_b32_e32 v15, 24, v16
	v_cmp_gt_i64_e64 s[34:35], 0, v[14:15]
	v_not_b32_e32 v15, v15
	v_ashrrev_i32_e32 v15, 31, v15
	v_xor_b32_e32 v16, s35, v15
	v_xor_b32_e32 v15, s34, v15
	v_and_b32_e32 v17, v18, v16
	v_and_b32_e32 v16, v19, v15
	v_mbcnt_lo_u32_b32 v15, v16, 0
	v_mbcnt_hi_u32_b32 v145, v17, v15
	v_cmp_eq_u32_e64 s[34:35], 0, v145
	v_cmp_ne_u64_e64 s[36:37], 0, v[16:17]
	s_and_b64 s[36:37], s[36:37], s[34:35]
	; wave barrier
	s_and_saveexec_b64 s[34:35], s[36:37]
	s_cbranch_execz .LBB85_45
; %bb.44:                               ;   in Loop: Header=BB85_29 Depth=1
	v_bcnt_u32_b32 v15, v16, 0
	v_bcnt_u32_b32 v15, v17, v15
	s_waitcnt vmcnt(0) lgkmcnt(0)
	v_add_u32_e32 v15, v144, v15
	flat_store_dword v[100:101], v15
.LBB85_45:                              ;   in Loop: Header=BB85_29 Depth=1
	s_or_b64 exec, exec, s[34:35]
	; wave barrier
	s_waitcnt lgkmcnt(0)
	s_barrier
	flat_load_dwordx4 v[16:19], v[4:5] offset:16
	s_waitcnt vmcnt(0) lgkmcnt(0)
	v_add_u32_e32 v15, v17, v16
	v_add3_u32 v15, v15, v18, v19
	s_nop 1
	v_mov_b32_dpp v19, v15 row_shr:1 row_mask:0xf bank_mask:0xf
	v_cndmask_b32_e64 v19, v19, 0, vcc
	v_add_u32_e32 v15, v19, v15
	s_nop 1
	v_mov_b32_dpp v19, v15 row_shr:2 row_mask:0xf bank_mask:0xf
	v_cndmask_b32_e64 v19, 0, v19, s[4:5]
	v_add_u32_e32 v15, v15, v19
	s_nop 1
	v_mov_b32_dpp v19, v15 row_shr:4 row_mask:0xf bank_mask:0xf
	v_cndmask_b32_e64 v19, 0, v19, s[6:7]
	;; [unrolled: 4-line block ×3, first 2 shown]
	v_add_u32_e32 v15, v15, v19
	s_nop 1
	v_mov_b32_dpp v19, v15 row_bcast:15 row_mask:0xf bank_mask:0xf
	v_cndmask_b32_e64 v19, v19, 0, s[30:31]
	v_add_u32_e32 v15, v15, v19
	s_nop 1
	v_mov_b32_dpp v19, v15 row_bcast:31 row_mask:0xf bank_mask:0xf
	v_cndmask_b32_e64 v19, 0, v19, s[14:15]
	v_add_u32_e32 v15, v15, v19
	s_and_saveexec_b64 s[34:35], s[16:17]
	s_cbranch_execz .LBB85_47
; %bb.46:                               ;   in Loop: Header=BB85_29 Depth=1
	flat_store_dword v[24:25], v15
.LBB85_47:                              ;   in Loop: Header=BB85_29 Depth=1
	s_or_b64 exec, exec, s[34:35]
	s_waitcnt lgkmcnt(0)
	s_barrier
	s_and_saveexec_b64 s[34:35], s[18:19]
	s_cbranch_execz .LBB85_49
; %bb.48:                               ;   in Loop: Header=BB85_29 Depth=1
	flat_load_dword v19, v[26:27]
	s_waitcnt vmcnt(0) lgkmcnt(0)
	s_nop 0
	v_mov_b32_dpp v114, v19 row_shr:1 row_mask:0xf bank_mask:0xf
	v_cndmask_b32_e64 v114, v114, 0, s[26:27]
	v_add_u32_e32 v19, v114, v19
	s_nop 1
	v_mov_b32_dpp v114, v19 row_shr:2 row_mask:0xf bank_mask:0xf
	v_cndmask_b32_e64 v114, 0, v114, s[28:29]
	v_add_u32_e32 v19, v19, v114
	flat_store_dword v[26:27], v19
.LBB85_49:                              ;   in Loop: Header=BB85_29 Depth=1
	s_or_b64 exec, exec, s[34:35]
	v_mov_b32_e32 v19, 0
	s_waitcnt lgkmcnt(0)
	s_barrier
	s_and_saveexec_b64 s[34:35], s[20:21]
	s_cbranch_execz .LBB85_51
; %bb.50:                               ;   in Loop: Header=BB85_29 Depth=1
	flat_load_dword v19, v[32:33]
.LBB85_51:                              ;   in Loop: Header=BB85_29 Depth=1
	s_or_b64 exec, exec, s[34:35]
	s_waitcnt vmcnt(0) lgkmcnt(0)
	v_add_u32_e32 v15, v19, v15
	ds_bpermute_b32 v15, v113, v15
	v_add_u32_e32 v10, 8, v10
	v_lshrrev_b64 v[132:133], 24, v[66:67]
	v_cmp_lt_u32_e64 s[34:35], v10, v11
	s_mov_b64 s[44:45], -1
	s_waitcnt lgkmcnt(0)
	v_cndmask_b32_e64 v15, v15, v19, s[22:23]
	v_cndmask_b32_e64 v146, v15, 0, s[24:25]
	v_add_u32_e32 v147, v146, v16
	v_add_u32_e32 v148, v147, v17
	;; [unrolled: 1-line block ×3, first 2 shown]
	flat_store_dwordx4 v[4:5], v[146:149] offset:16
	s_waitcnt lgkmcnt(0)
	s_barrier
	flat_load_dword v16, v[70:71]
	flat_load_dword v18, v[80:81]
	;; [unrolled: 1-line block ×8, first 2 shown]
	v_mov_b32_e32 v87, v66
	v_lshrrev_b32_e32 v99, 8, v66
	v_lshrrev_b32_e32 v101, 16, v66
	;; [unrolled: 1-line block ×4, first 2 shown]
	s_waitcnt lgkmcnt(0)
                                        ; implicit-def: $vgpr70_vgpr71
                                        ; implicit-def: $vgpr80_vgpr81
                                        ; implicit-def: $vgpr82_vgpr83
                                        ; implicit-def: $vgpr84_vgpr85
                                        ; implicit-def: $vgpr96_vgpr97
	s_waitcnt vmcnt(0) lgkmcnt(0)
	v_add_u32_e32 v114, v16, v102
	v_add3_u32 v112, v68, v112, v18
	v_add3_u32 v102, v117, v116, v19
	;; [unrolled: 1-line block ×3, first 2 shown]
	v_add_co_u32_e64 v118, s[36:37], v12, v114
	v_addc_co_u32_e64 v119, s[36:37], 0, v13, s[36:37]
	v_add3_u32 v98, v129, v128, v147
	v_add_co_u32_e64 v128, s[36:37], v12, v112
	v_addc_co_u32_e64 v129, s[36:37], 0, v13, s[36:37]
	v_add3_u32 v86, v131, v130, v148
	;; [unrolled: 3-line block ×4, first 2 shown]
	v_add_co_u32_e64 v144, s[36:37], v12, v98
	v_addc_co_u32_e64 v145, s[36:37], 0, v13, s[36:37]
	v_add_co_u32_e64 v148, s[36:37], v12, v86
	v_addc_co_u32_e64 v149, s[36:37], 0, v13, s[36:37]
	v_add_co_u32_e64 v150, s[36:37], v12, v68
	v_addc_co_u32_e64 v151, s[36:37], 0, v13, s[36:37]
	v_add_co_u32_e64 v160, s[36:37], v12, v16
	v_addc_co_u32_e64 v161, s[36:37], 0, v13, s[36:37]
                                        ; implicit-def: $vgpr18_vgpr19
                                        ; implicit-def: $vgpr116_vgpr117
                                        ; implicit-def: $vgpr146_vgpr147
	s_and_saveexec_b64 s[36:37], s[34:35]
	s_cbranch_execz .LBB85_28
; %bb.52:                               ;   in Loop: Header=BB85_29 Depth=1
	v_mad_u64_u32 v[18:19], s[34:35], v114, 7, v[118:119]
	s_barrier
	flat_store_byte v[118:119], v66
	flat_store_byte v[128:129], v99
	flat_store_byte v[130:131], v101
	flat_store_byte v[134:135], v132
	flat_store_byte v[144:145], v69
	flat_store_byte v[148:149], v15
	flat_store_byte v[150:151], v17
	flat_store_byte v[160:161], v162
	s_waitcnt lgkmcnt(0)
	s_barrier
	flat_load_ubyte v66, v[54:55]
	flat_load_ubyte v67, v[54:55] offset:64
	flat_load_ubyte v133, v[54:55] offset:128
	;; [unrolled: 1-line block ×7, first 2 shown]
	s_waitcnt lgkmcnt(0)
	s_barrier
	flat_store_dwordx2 v[18:19], v[52:53]
	v_mad_u64_u32 v[18:19], s[34:35], v112, 7, v[128:129]
	flat_store_dwordx2 v[18:19], v[50:51]
	v_mad_u64_u32 v[18:19], s[34:35], v102, 7, v[130:131]
	;; [unrolled: 2-line block ×7, first 2 shown]
	flat_store_dwordx2 v[18:19], v[28:29]
	s_waitcnt lgkmcnt(0)
	s_barrier
	flat_load_dwordx2 v[18:19], v[64:65]
	flat_load_dwordx2 v[70:71], v[64:65] offset:512
	flat_load_dwordx2 v[80:81], v[64:65] offset:1024
	;; [unrolled: 1-line block ×7, first 2 shown]
	v_add_u32_e32 v115, -8, v115
	s_xor_b64 s[44:45], exec, -1
	s_waitcnt lgkmcnt(0)
	s_barrier
	s_waitcnt vmcnt(0)
	v_lshlrev_b16_e32 v67, 8, v67
	v_or_b32_e32 v66, v66, v67
	v_lshlrev_b16_e32 v163, 8, v163
	v_or_b32_sdwa v67, v133, v163 dst_sel:WORD_1 dst_unused:UNUSED_PAD src0_sel:DWORD src1_sel:DWORD
	v_lshlrev_b16_e32 v165, 8, v165
	v_or_b32_e32 v133, v164, v165
	v_lshlrev_b16_e32 v167, 8, v167
	v_or_b32_sdwa v163, v166, v167 dst_sel:WORD_1 dst_unused:UNUSED_PAD src0_sel:DWORD src1_sel:DWORD
	v_or_b32_sdwa v66, v66, v67 dst_sel:DWORD dst_unused:UNUSED_PAD src0_sel:WORD_0 src1_sel:DWORD
	v_or_b32_sdwa v67, v133, v163 dst_sel:DWORD dst_unused:UNUSED_PAD src0_sel:WORD_0 src1_sel:DWORD
	s_branch .LBB85_28
.LBB85_53:
	s_or_b64 exec, exec, s[42:43]
	v_add_co_u32_e32 v4, vcc, v12, v20
	v_addc_co_u32_e32 v5, vcc, 0, v13, vcc
	v_mad_u64_u32 v[10:11], s[4:5], v114, 7, v[118:119]
	s_barrier
	flat_store_byte v[118:119], v87
	flat_store_byte v[128:129], v99
	;; [unrolled: 1-line block ×8, first 2 shown]
	s_waitcnt lgkmcnt(0)
	s_barrier
	flat_load_ubyte v65, v[4:5]
	flat_load_ubyte v64, v[4:5] offset:256
	flat_load_ubyte v55, v[4:5] offset:512
	;; [unrolled: 1-line block ×7, first 2 shown]
	s_waitcnt lgkmcnt(0)
	s_barrier
	flat_store_dwordx2 v[10:11], v[52:53]
	v_mad_u64_u32 v[10:11], s[4:5], v112, 7, v[128:129]
	flat_store_dwordx2 v[10:11], v[50:51]
	v_mad_u64_u32 v[10:11], s[4:5], v102, 7, v[130:131]
	;; [unrolled: 2-line block ×7, first 2 shown]
	v_mad_u64_u32 v[4:5], s[4:5], v20, 7, v[4:5]
	s_movk_i32 s4, 0x1000
	flat_store_dwordx2 v[10:11], v[28:29]
	v_add_co_u32_e32 v10, vcc, s4, v4
	v_mov_b32_e32 v1, 0x2000
	v_addc_co_u32_e32 v11, vcc, 0, v5, vcc
	v_lshl_or_b32 v1, v20, 3, v1
	v_add_co_u32_e32 v28, vcc, v12, v1
	s_movk_i32 s4, 0x2000
	v_addc_co_u32_e32 v29, vcc, 0, v13, vcc
	v_add_co_u32_e32 v30, vcc, s4, v4
	v_addc_co_u32_e32 v31, vcc, 0, v5, vcc
	s_movk_i32 s4, 0x3000
	v_add_co_u32_e32 v34, vcc, s4, v4
	s_waitcnt lgkmcnt(0)
	s_barrier
	flat_load_dwordx2 v[26:27], v[4:5]
	flat_load_dwordx2 v[24:25], v[4:5] offset:2048
	flat_load_dwordx2 v[18:19], v[10:11]
	flat_load_dwordx2 v[14:15], v[10:11] offset:2048
	v_addc_co_u32_e32 v35, vcc, 0, v5, vcc
	flat_load_dwordx2 v[16:17], v[28:29]
	flat_load_dwordx2 v[12:13], v[30:31] offset:2048
	flat_load_dwordx2 v[10:11], v[34:35]
	flat_load_dwordx2 v[4:5], v[34:35] offset:2048
	v_add_co_u32_e32 v2, vcc, v2, v8
	v_addc_co_u32_e32 v3, vcc, 0, v3, vcc
	v_add_co_u32_e32 v2, vcc, v2, v0
	v_addc_co_u32_e32 v3, vcc, 0, v3, vcc
	v_mov_b32_e32 v1, 0
	v_cmp_lt_u32_e32 vcc, v0, v103
	s_waitcnt lgkmcnt(0)
	s_barrier
	s_and_saveexec_b64 s[4:5], vcc
	s_cbranch_execz .LBB85_55
; %bb.54:
	s_waitcnt vmcnt(0)
	v_xor_b32_e32 v8, -1, v65
	flat_store_byte v[2:3], v8
.LBB85_55:
	s_or_b64 exec, exec, s[4:5]
	v_add_u32_e32 v8, 0x100, v0
	v_cmp_lt_u32_e64 s[14:15], v8, v103
	s_and_saveexec_b64 s[4:5], s[14:15]
	s_cbranch_execz .LBB85_57
; %bb.56:
	s_waitcnt vmcnt(0)
	v_xor_b32_e32 v8, -1, v64
	flat_store_byte v[2:3], v8 offset:256
.LBB85_57:
	s_or_b64 exec, exec, s[4:5]
	v_add_u32_e32 v8, 0x200, v0
	v_cmp_lt_u32_e64 s[18:19], v8, v103
	s_and_saveexec_b64 s[4:5], s[18:19]
	s_cbranch_execz .LBB85_59
; %bb.58:
	s_waitcnt vmcnt(0)
	v_xor_b32_e32 v8, -1, v55
	flat_store_byte v[2:3], v8 offset:512
.LBB85_59:
	;; [unrolled: 10-line block ×7, first 2 shown]
	s_or_b64 exec, exec, s[22:23]
	v_add_co_u32_e64 v2, s[22:23], v6, v22
	v_addc_co_u32_e64 v3, s[22:23], v7, v23, s[22:23]
	v_lshlrev_b64 v[0:1], 3, v[0:1]
	v_add_co_u32_e64 v0, s[22:23], v2, v0
	v_addc_co_u32_e64 v1, s[22:23], v3, v1, s[22:23]
	s_and_saveexec_b64 s[22:23], vcc
	s_cbranch_execnz .LBB85_119
; %bb.70:
	s_or_b64 exec, exec, s[22:23]
	s_and_saveexec_b64 s[22:23], s[14:15]
	s_cbranch_execnz .LBB85_120
.LBB85_71:
	s_or_b64 exec, exec, s[22:23]
	s_and_saveexec_b64 s[14:15], s[18:19]
	s_cbranch_execnz .LBB85_121
.LBB85_72:
	s_or_b64 exec, exec, s[14:15]
	s_and_saveexec_b64 s[14:15], s[16:17]
	s_cbranch_execnz .LBB85_122
.LBB85_73:
	s_or_b64 exec, exec, s[14:15]
	s_and_saveexec_b64 s[14:15], s[20:21]
	s_cbranch_execnz .LBB85_123
.LBB85_74:
	s_or_b64 exec, exec, s[14:15]
	s_and_saveexec_b64 s[14:15], s[10:11]
	s_cbranch_execnz .LBB85_124
.LBB85_75:
	s_or_b64 exec, exec, s[14:15]
	s_and_saveexec_b64 s[10:11], s[6:7]
	s_cbranch_execnz .LBB85_125
.LBB85_76:
	s_or_b64 exec, exec, s[10:11]
	s_and_saveexec_b64 s[6:7], s[4:5]
	s_cbranch_execz .LBB85_78
.LBB85_77:
	v_add_co_u32_e32 v0, vcc, 0x3000, v0
	v_addc_co_u32_e32 v1, vcc, 0, v1, vcc
	s_waitcnt vmcnt(0)
	flat_store_dwordx2 v[0:1], v[4:5] offset:2048
.LBB85_78:
	s_or_b64 exec, exec, s[6:7]
                                        ; implicit-def: $vgpr103
                                        ; implicit-def: $vgpr0
                                        ; implicit-def: $vgpr1
                                        ; implicit-def: $vgpr2
                                        ; implicit-def: $vgpr3
                                        ; implicit-def: $vgpr4
                                        ; implicit-def: $vgpr5
                                        ; implicit-def: $vgpr6
                                        ; implicit-def: $vgpr7
                                        ; implicit-def: $vgpr8
                                        ; implicit-def: $vgpr10
                                        ; implicit-def: $vgpr11
                                        ; implicit-def: $vgpr12
                                        ; implicit-def: $vgpr13
                                        ; implicit-def: $vgpr31
                                        ; implicit-def: $vgpr15
                                        ; implicit-def: $vgpr18
                                        ; implicit-def: $vgpr14
.LBB85_79:
	s_andn2_saveexec_b64 s[4:5], s[40:41]
	s_cbranch_execz .LBB85_199
; %bb.80:
	s_movk_i32 s4, 0x200
	v_cmp_lt_u32_e32 vcc, s4, v103
	s_and_saveexec_b64 s[4:5], vcc
	s_xor_b64 s[40:41], exec, s[4:5]
	s_cbranch_execz .LBB85_140
; %bb.81:
	s_load_dwordx2 s[4:5], s[8:9], 0x0
	s_waitcnt vmcnt(0)
	v_mov_b32_e32 v9, 0
	v_add_co_u32_e32 v0, vcc, v0, v8
	v_mbcnt_hi_u32_b32 v32, -1, v14
	s_waitcnt lgkmcnt(0)
	s_cmp_lt_u32 s12, s4
	s_cselect_b32 s6, 12, 18
	s_cmp_lt_u32 s13, s5
	s_cselect_b32 s4, 14, 20
	s_add_u32 s4, s8, s4
	s_addc_u32 s5, s9, 0
	s_add_u32 s6, s8, s6
	global_load_ushort v16, v9, s[4:5]
	s_addc_u32 s7, s9, 0
	global_load_ushort v19, v9, s[6:7]
	v_addc_co_u32_e32 v1, vcc, 0, v1, vcc
	v_and_b32_e32 v14, 63, v32
	v_and_b32_e32 v22, 0x3ff, v31
	v_add_co_u32_e32 v20, vcc, v0, v14
	v_addc_co_u32_e32 v21, vcc, 0, v1, vcc
	v_mov_b32_e32 v17, v9
	s_waitcnt vmcnt(1)
	v_mad_u32_u24 v0, v18, v16, v15
	s_waitcnt vmcnt(0)
	v_mad_u64_u32 v[0:1], s[4:5], v0, v19, v[22:23]
	v_lshlrev_b32_e32 v1, 2, v0
	v_and_b32_e32 v16, 0xffffff00, v1
	v_add_co_u32_e32 v18, vcc, v20, v16
	v_addc_co_u32_e32 v19, vcc, 0, v21, vcc
	v_or_b32_e32 v15, v16, v14
	v_cmp_lt_u32_e32 vcc, v15, v103
	v_mov_b32_e32 v1, v9
	s_and_saveexec_b64 s[4:5], vcc
	s_cbranch_execz .LBB85_83
; %bb.82:
	flat_load_ubyte v1, v[18:19]
.LBB85_83:
	s_or_b64 exec, exec, s[4:5]
	v_or_b32_e32 v20, 64, v15
	v_cmp_lt_u32_e64 s[4:5], v20, v103
	s_and_saveexec_b64 s[6:7], s[4:5]
	s_cbranch_execz .LBB85_85
; %bb.84:
	flat_load_ubyte v20, v[18:19] offset:64
	s_waitcnt vmcnt(0) lgkmcnt(0)
	v_lshlrev_b16_e32 v20, 8, v20
	v_or_b32_e32 v1, v1, v20
	v_and_b32_e32 v1, 0xffff, v1
.LBB85_85:
	s_or_b64 exec, exec, s[6:7]
	v_or_b32_e32 v20, 0x80, v15
	v_cmp_lt_u32_e64 s[6:7], v20, v103
	s_and_saveexec_b64 s[10:11], s[6:7]
	s_cbranch_execz .LBB85_87
; %bb.86:
	flat_load_ubyte v20, v[18:19] offset:128
	s_waitcnt vmcnt(0) lgkmcnt(0)
	v_lshl_or_b32 v1, v20, 16, v1
.LBB85_87:
	s_or_b64 exec, exec, s[10:11]
	v_or_b32_e32 v15, 0xc0, v15
	v_cmp_lt_u32_e64 s[10:11], v15, v103
	s_and_saveexec_b64 s[14:15], s[10:11]
	s_cbranch_execz .LBB85_89
; %bb.88:
	flat_load_ubyte v15, v[18:19] offset:192
	s_mov_b32 s16, 0xffff
	s_waitcnt vmcnt(0) lgkmcnt(0)
	v_lshlrev_b16_e32 v15, 8, v15
	v_or_b32_sdwa v15, v1, v15 dst_sel:WORD_1 dst_unused:UNUSED_PAD src0_sel:WORD_1 src1_sel:DWORD
	v_and_or_b32 v1, v1, s16, v15
.LBB85_89:
	s_or_b64 exec, exec, s[14:15]
	v_lshlrev_b64 v[24:25], 3, v[8:9]
	v_add_co_u32_e64 v4, s[14:15], v4, v24
	v_addc_co_u32_e64 v5, s[14:15], v5, v25, s[14:15]
	v_lshlrev_b32_e32 v9, 3, v14
	v_add_co_u32_e64 v9, s[14:15], v4, v9
	v_addc_co_u32_e64 v15, s[14:15], 0, v5, s[14:15]
	v_lshlrev_b64 v[4:5], 3, v[16:17]
	v_add_co_u32_e64 v4, s[14:15], v9, v4
	v_addc_co_u32_e64 v5, s[14:15], v15, v5, s[14:15]
                                        ; implicit-def: $vgpr18_vgpr19
	s_and_saveexec_b64 s[14:15], vcc
	s_cbranch_execnz .LBB85_164
; %bb.90:
	s_or_b64 exec, exec, s[14:15]
                                        ; implicit-def: $vgpr20_vgpr21
	s_and_saveexec_b64 s[14:15], s[4:5]
	s_cbranch_execnz .LBB85_165
.LBB85_91:
	s_or_b64 exec, exec, s[14:15]
                                        ; implicit-def: $vgpr54_vgpr55
	s_and_saveexec_b64 s[4:5], s[6:7]
	s_cbranch_execnz .LBB85_166
.LBB85_92:
	s_or_b64 exec, exec, s[4:5]
                                        ; implicit-def: $vgpr64_vgpr65
	s_and_saveexec_b64 s[4:5], s[10:11]
	s_cbranch_execz .LBB85_94
.LBB85_93:
	flat_load_dwordx2 v[64:65], v[4:5] offset:1536
.LBB85_94:
	s_or_b64 exec, exec, s[4:5]
	s_waitcnt vmcnt(0) lgkmcnt(0)
	v_lshrrev_b32_e32 v5, 8, v1
	v_mov_b32_e32 v9, -1
	v_xor_b32_e32 v4, -1, v1
	v_xor_b32_sdwa v5, v5, v9 dst_sel:BYTE_1 dst_unused:UNUSED_PAD src0_sel:DWORD src1_sel:DWORD
	v_xor_b32_sdwa v15, v1, v9 dst_sel:DWORD dst_unused:UNUSED_PAD src0_sel:WORD_1 src1_sel:DWORD
	v_xor_b32_sdwa v1, v1, v9 dst_sel:BYTE_1 dst_unused:UNUSED_PAD src0_sel:BYTE_3 src1_sel:DWORD
	v_or_b32_sdwa v4, v4, v5 dst_sel:DWORD dst_unused:UNUSED_PAD src0_sel:BYTE_0 src1_sel:DWORD
	v_or_b32_sdwa v1, v15, v1 dst_sel:WORD_1 dst_unused:UNUSED_PAD src0_sel:BYTE_0 src1_sel:DWORD
	v_or_b32_sdwa v81, v4, v1 dst_sel:DWORD dst_unused:UNUSED_PAD src0_sel:WORD_0 src1_sel:DWORD
	v_add_co_u32_e32 v1, vcc, 16, v12
	v_and_b32_e32 v16, 0x3c0, v22
	v_addc_co_u32_e32 v9, vcc, 0, v13, vcc
	v_lshlrev_b32_e32 v15, 4, v22
	v_min_u32_e32 v16, 0xc0, v16
	v_add_co_u32_e32 v26, vcc, v12, v15
	v_or_b32_e32 v16, 63, v16
	s_getpc_b64 s[4:5]
	s_add_u32 s4, s4, _ZN7rocprim17ROCPRIM_400000_NS16block_radix_sortIhLj256ELj4ElLj1ELj1ELj8ELNS0_26block_radix_rank_algorithmE2ELNS0_18block_padding_hintE2ELNS0_4arch9wavefront6targetE1EE19radix_bits_per_passE@rel32@lo+4
	s_addc_u32 s5, s5, _ZN7rocprim17ROCPRIM_400000_NS16block_radix_sortIhLj256ELj4ElLj1ELj1ELj8ELNS0_26block_radix_rank_algorithmE2ELNS0_18block_padding_hintE2ELNS0_4arch9wavefront6targetE1EE19radix_bits_per_passE@rel32@hi+12
	v_addc_co_u32_e32 v27, vcc, 0, v13, vcc
	v_and_b32_e32 v15, 15, v32
	v_cmp_eq_u32_e64 s[16:17], v16, v22
	v_add_u32_e32 v16, -1, v32
	v_and_b32_e32 v17, 64, v32
	s_load_dword s46, s[4:5], 0x0
	v_cmp_eq_u32_e32 vcc, 0, v15
	v_cmp_lt_u32_e64 s[4:5], 1, v15
	v_cmp_lt_u32_e64 s[6:7], 3, v15
	;; [unrolled: 1-line block ×3, first 2 shown]
	v_and_b32_e32 v15, 16, v32
	v_cmp_lt_i32_e64 s[22:23], v16, v17
	v_cmp_eq_u32_e64 s[30:31], 0, v15
	v_lshrrev_b32_e32 v15, 6, v22
	v_cndmask_b32_e64 v16, v16, v32, s[22:23]
	v_lshlrev_b32_e32 v71, 2, v16
	v_lshlrev_b32_e32 v16, 2, v15
	v_add_co_u32_e64 v28, s[26:27], v12, v16
	v_lshlrev_b32_e32 v5, 2, v22
	v_addc_co_u32_e64 v29, s[26:27], 0, v13, s[26:27]
	v_add_co_u32_e64 v30, s[26:27], v12, v5
	v_mov_b32_e32 v4, 0
	v_addc_co_u32_e64 v31, s[26:27], 0, v13, s[26:27]
	v_and_b32_e32 v16, 3, v32
	v_cmp_eq_u32_e64 s[26:27], 0, v16
	v_cmp_lt_u32_e64 s[28:29], 1, v16
	v_add_u32_e32 v16, -1, v15
	v_mov_b32_e32 v17, v4
	v_lshlrev_b64 v[16:17], 2, v[16:17]
	v_cmp_lt_u32_e64 s[14:15], 31, v32
	v_cmp_eq_u32_e64 s[22:23], 0, v32
	v_add_co_u32_e64 v32, s[34:35], v12, v16
	v_addc_co_u32_e64 v33, s[34:35], v13, v17, s[34:35]
	s_movk_i32 s34, 0xf00
	v_and_or_b32 v5, v5, s34, v14
	v_add_co_u32_e64 v50, s[34:35], v12, v5
	v_addc_co_u32_e64 v51, s[34:35], 0, v13, s[34:35]
	v_lshrrev_b32_e32 v23, 6, v0
	v_cmp_gt_u32_e64 s[18:19], 4, v22
	v_cmp_lt_u32_e64 s[20:21], 63, v22
	v_cmp_eq_u32_e64 s[24:25], 0, v22
	v_mad_u64_u32 v[52:53], s[34:35], v5, 7, v[50:51]
	v_sub_u32_e32 v98, v11, v10
	s_mov_b64 s[42:43], 0
	v_mov_b32_e32 v14, 0
	v_mov_b32_e32 v15, v4
	;; [unrolled: 1-line block ×4, first 2 shown]
	s_waitcnt lgkmcnt(0)
	s_barrier
	s_branch .LBB85_96
.LBB85_95:                              ;   in Loop: Header=BB85_96 Depth=1
	s_or_b64 exec, exec, s[36:37]
	s_and_b64 s[34:35], exec, s[44:45]
	s_or_b64 s[42:43], s[34:35], s[42:43]
	s_andn2_b64 exec, exec, s[42:43]
	s_cbranch_execz .LBB85_126
.LBB85_96:                              ; =>This Inner Loop Header: Depth=1
	v_min_u32_e32 v5, s46, v98
	v_lshlrev_b32_e64 v5, v5, -1
	v_pk_mov_b32 v[38:39], v[20:21], v[20:21] op_sel:[0,1]
	v_not_b32_e32 v20, v5
	v_lshrrev_b32_sdwa v5, v10, v81 dst_sel:DWORD dst_unused:UNUSED_PAD src0_sel:DWORD src1_sel:BYTE_0
	v_pk_mov_b32 v[48:49], v[18:19], v[18:19] op_sel:[0,1]
	v_and_b32_e32 v18, v5, v20
	v_lshlrev_b32_e32 v5, 2, v18
	v_add_lshl_u32 v5, v5, v23, 2
	v_pk_mov_b32 v[36:37], v[54:55], v[54:55] op_sel:[0,1]
	v_add_co_u32_e64 v54, s[34:35], v1, v5
	v_addc_co_u32_e64 v55, s[34:35], 0, v9, s[34:35]
	v_and_b32_e32 v5, 1, v18
	v_add_co_u32_e64 v19, s[34:35], -1, v5
	v_addc_co_u32_e64 v21, s[34:35], 0, -1, s[34:35]
	v_cmp_ne_u32_e64 s[34:35], 0, v5
	v_xor_b32_e32 v5, s35, v21
	v_and_b32_e32 v21, exec_hi, v5
	v_lshlrev_b32_e32 v5, 30, v18
	v_xor_b32_e32 v19, s34, v19
	v_cmp_gt_i64_e64 s[34:35], 0, v[4:5]
	v_not_b32_e32 v5, v5
	v_ashrrev_i32_e32 v5, 31, v5
	v_pk_mov_b32 v[34:35], v[64:65], v[64:65] op_sel:[0,1]
	v_and_b32_e32 v19, exec_lo, v19
	v_xor_b32_e32 v64, s35, v5
	v_xor_b32_e32 v5, s34, v5
	v_and_b32_e32 v19, v19, v5
	v_lshlrev_b32_e32 v5, 29, v18
	v_cmp_gt_i64_e64 s[34:35], 0, v[4:5]
	v_not_b32_e32 v5, v5
	v_ashrrev_i32_e32 v5, 31, v5
	v_and_b32_e32 v21, v21, v64
	v_xor_b32_e32 v64, s35, v5
	v_xor_b32_e32 v5, s34, v5
	v_and_b32_e32 v19, v19, v5
	v_lshlrev_b32_e32 v5, 28, v18
	v_cmp_gt_i64_e64 s[34:35], 0, v[4:5]
	v_not_b32_e32 v5, v5
	v_ashrrev_i32_e32 v5, 31, v5
	v_and_b32_e32 v21, v21, v64
	v_xor_b32_e32 v64, s35, v5
	v_xor_b32_e32 v5, s34, v5
	v_and_b32_e32 v19, v19, v5
	v_lshlrev_b32_e32 v5, 27, v18
	v_cmp_gt_i64_e64 s[34:35], 0, v[4:5]
	v_not_b32_e32 v5, v5
	v_ashrrev_i32_e32 v5, 31, v5
	v_and_b32_e32 v21, v21, v64
	v_xor_b32_e32 v64, s35, v5
	v_xor_b32_e32 v5, s34, v5
	v_and_b32_e32 v19, v19, v5
	v_lshlrev_b32_e32 v5, 26, v18
	v_cmp_gt_i64_e64 s[34:35], 0, v[4:5]
	v_not_b32_e32 v5, v5
	v_ashrrev_i32_e32 v5, 31, v5
	v_and_b32_e32 v21, v21, v64
	v_xor_b32_e32 v64, s35, v5
	v_xor_b32_e32 v5, s34, v5
	v_and_b32_e32 v19, v19, v5
	v_lshlrev_b32_e32 v5, 25, v18
	v_cmp_gt_i64_e64 s[34:35], 0, v[4:5]
	v_not_b32_e32 v5, v5
	v_ashrrev_i32_e32 v5, 31, v5
	v_and_b32_e32 v21, v21, v64
	v_xor_b32_e32 v64, s35, v5
	v_xor_b32_e32 v5, s34, v5
	v_and_b32_e32 v21, v21, v64
	v_and_b32_e32 v64, v19, v5
	v_lshlrev_b32_e32 v5, 24, v18
	v_cmp_gt_i64_e64 s[34:35], 0, v[4:5]
	v_not_b32_e32 v5, v5
	v_ashrrev_i32_e32 v5, 31, v5
	v_xor_b32_e32 v18, s35, v5
	v_xor_b32_e32 v5, s34, v5
	v_and_b32_e32 v19, v21, v18
	v_and_b32_e32 v18, v64, v5
	v_mbcnt_lo_u32_b32 v5, v18, 0
	v_mbcnt_hi_u32_b32 v70, v19, v5
	v_cmp_eq_u32_e64 s[34:35], 0, v70
	v_cmp_ne_u64_e64 s[36:37], 0, v[18:19]
	s_and_b64 s[36:37], s[36:37], s[34:35]
	flat_store_dwordx4 v[26:27], v[14:17] offset:16
	s_waitcnt lgkmcnt(0)
	s_barrier
	s_waitcnt lgkmcnt(0)
	; wave barrier
	s_and_saveexec_b64 s[34:35], s[36:37]
	s_cbranch_execz .LBB85_98
; %bb.97:                               ;   in Loop: Header=BB85_96 Depth=1
	v_bcnt_u32_b32 v5, v18, 0
	v_bcnt_u32_b32 v5, v19, v5
	flat_store_dword v[54:55], v5
.LBB85_98:                              ;   in Loop: Header=BB85_96 Depth=1
	s_or_b64 exec, exec, s[34:35]
	v_lshrrev_b32_sdwa v5, v10, v81 dst_sel:DWORD dst_unused:UNUSED_PAD src0_sel:DWORD src1_sel:BYTE_1
	v_and_b32_e32 v18, v5, v20
	v_lshlrev_b32_e32 v5, 2, v18
	v_add_lshl_u32 v5, v5, v23, 2
	v_add_co_u32_e64 v64, s[34:35], v1, v5
	v_addc_co_u32_e64 v65, s[34:35], 0, v9, s[34:35]
	; wave barrier
	flat_load_dword v82, v[64:65]
	v_and_b32_e32 v5, 1, v18
	v_add_co_u32_e64 v19, s[34:35], -1, v5
	v_addc_co_u32_e64 v21, s[34:35], 0, -1, s[34:35]
	v_cmp_ne_u32_e64 s[34:35], 0, v5
	v_xor_b32_e32 v5, s35, v21
	v_and_b32_e32 v21, exec_hi, v5
	v_lshlrev_b32_e32 v5, 30, v18
	v_xor_b32_e32 v19, s34, v19
	v_cmp_gt_i64_e64 s[34:35], 0, v[4:5]
	v_not_b32_e32 v5, v5
	v_ashrrev_i32_e32 v5, 31, v5
	v_and_b32_e32 v19, exec_lo, v19
	v_xor_b32_e32 v66, s35, v5
	v_xor_b32_e32 v5, s34, v5
	v_and_b32_e32 v19, v19, v5
	v_lshlrev_b32_e32 v5, 29, v18
	v_cmp_gt_i64_e64 s[34:35], 0, v[4:5]
	v_not_b32_e32 v5, v5
	v_ashrrev_i32_e32 v5, 31, v5
	v_and_b32_e32 v21, v21, v66
	v_xor_b32_e32 v66, s35, v5
	v_xor_b32_e32 v5, s34, v5
	v_and_b32_e32 v19, v19, v5
	v_lshlrev_b32_e32 v5, 28, v18
	v_cmp_gt_i64_e64 s[34:35], 0, v[4:5]
	v_not_b32_e32 v5, v5
	v_ashrrev_i32_e32 v5, 31, v5
	v_and_b32_e32 v21, v21, v66
	;; [unrolled: 8-line block ×5, first 2 shown]
	v_xor_b32_e32 v66, s35, v5
	v_xor_b32_e32 v5, s34, v5
	v_and_b32_e32 v21, v21, v66
	v_and_b32_e32 v66, v19, v5
	v_lshlrev_b32_e32 v5, 24, v18
	v_cmp_gt_i64_e64 s[34:35], 0, v[4:5]
	v_not_b32_e32 v5, v5
	v_ashrrev_i32_e32 v5, 31, v5
	v_xor_b32_e32 v18, s35, v5
	v_xor_b32_e32 v5, s34, v5
	v_and_b32_e32 v19, v21, v18
	v_and_b32_e32 v18, v66, v5
	v_mbcnt_lo_u32_b32 v5, v18, 0
	v_mbcnt_hi_u32_b32 v83, v19, v5
	v_cmp_eq_u32_e64 s[34:35], 0, v83
	v_cmp_ne_u64_e64 s[36:37], 0, v[18:19]
	s_and_b64 s[36:37], s[36:37], s[34:35]
	; wave barrier
	s_and_saveexec_b64 s[34:35], s[36:37]
	s_cbranch_execz .LBB85_100
; %bb.99:                               ;   in Loop: Header=BB85_96 Depth=1
	v_bcnt_u32_b32 v5, v18, 0
	v_bcnt_u32_b32 v5, v19, v5
	s_waitcnt vmcnt(0) lgkmcnt(0)
	v_add_u32_e32 v5, v82, v5
	flat_store_dword v[64:65], v5
.LBB85_100:                             ;   in Loop: Header=BB85_96 Depth=1
	s_or_b64 exec, exec, s[34:35]
	v_lshrrev_b32_sdwa v5, v10, v81 dst_sel:DWORD dst_unused:UNUSED_PAD src0_sel:DWORD src1_sel:BYTE_2
	v_and_b32_e32 v18, v5, v20
	v_lshlrev_b32_e32 v5, 2, v18
	v_add_lshl_u32 v5, v5, v23, 2
	v_add_co_u32_e64 v66, s[34:35], v1, v5
	v_addc_co_u32_e64 v67, s[34:35], 0, v9, s[34:35]
	; wave barrier
	flat_load_dword v84, v[66:67]
	v_and_b32_e32 v5, 1, v18
	v_add_co_u32_e64 v19, s[34:35], -1, v5
	v_addc_co_u32_e64 v21, s[34:35], 0, -1, s[34:35]
	v_cmp_ne_u32_e64 s[34:35], 0, v5
	v_xor_b32_e32 v5, s35, v21
	v_and_b32_e32 v21, exec_hi, v5
	v_lshlrev_b32_e32 v5, 30, v18
	v_xor_b32_e32 v19, s34, v19
	v_cmp_gt_i64_e64 s[34:35], 0, v[4:5]
	v_not_b32_e32 v5, v5
	v_ashrrev_i32_e32 v5, 31, v5
	v_and_b32_e32 v19, exec_lo, v19
	v_xor_b32_e32 v68, s35, v5
	v_xor_b32_e32 v5, s34, v5
	v_and_b32_e32 v19, v19, v5
	v_lshlrev_b32_e32 v5, 29, v18
	v_cmp_gt_i64_e64 s[34:35], 0, v[4:5]
	v_not_b32_e32 v5, v5
	v_ashrrev_i32_e32 v5, 31, v5
	v_and_b32_e32 v21, v21, v68
	v_xor_b32_e32 v68, s35, v5
	v_xor_b32_e32 v5, s34, v5
	v_and_b32_e32 v19, v19, v5
	v_lshlrev_b32_e32 v5, 28, v18
	v_cmp_gt_i64_e64 s[34:35], 0, v[4:5]
	v_not_b32_e32 v5, v5
	v_ashrrev_i32_e32 v5, 31, v5
	v_and_b32_e32 v21, v21, v68
	;; [unrolled: 8-line block ×5, first 2 shown]
	v_xor_b32_e32 v68, s35, v5
	v_xor_b32_e32 v5, s34, v5
	v_and_b32_e32 v21, v21, v68
	v_and_b32_e32 v68, v19, v5
	v_lshlrev_b32_e32 v5, 24, v18
	v_cmp_gt_i64_e64 s[34:35], 0, v[4:5]
	v_not_b32_e32 v5, v5
	v_ashrrev_i32_e32 v5, 31, v5
	v_xor_b32_e32 v18, s35, v5
	v_xor_b32_e32 v5, s34, v5
	v_and_b32_e32 v19, v21, v18
	v_and_b32_e32 v18, v68, v5
	v_mbcnt_lo_u32_b32 v5, v18, 0
	v_mbcnt_hi_u32_b32 v85, v19, v5
	v_cmp_eq_u32_e64 s[34:35], 0, v85
	v_cmp_ne_u64_e64 s[36:37], 0, v[18:19]
	s_and_b64 s[36:37], s[36:37], s[34:35]
	; wave barrier
	s_and_saveexec_b64 s[34:35], s[36:37]
	s_cbranch_execz .LBB85_102
; %bb.101:                              ;   in Loop: Header=BB85_96 Depth=1
	v_bcnt_u32_b32 v5, v18, 0
	v_bcnt_u32_b32 v5, v19, v5
	s_waitcnt vmcnt(0) lgkmcnt(0)
	v_add_u32_e32 v5, v84, v5
	flat_store_dword v[66:67], v5
.LBB85_102:                             ;   in Loop: Header=BB85_96 Depth=1
	s_or_b64 exec, exec, s[34:35]
	v_lshrrev_b32_e32 v99, 24, v81
	v_lshrrev_b32_e32 v5, v10, v99
	v_and_b32_e32 v18, v5, v20
	v_lshlrev_b32_e32 v5, 2, v18
	v_add_lshl_u32 v5, v5, v23, 2
	v_add_co_u32_e64 v68, s[34:35], v1, v5
	v_addc_co_u32_e64 v69, s[34:35], 0, v9, s[34:35]
	; wave barrier
	flat_load_dword v86, v[68:69]
	v_and_b32_e32 v5, 1, v18
	v_add_co_u32_e64 v19, s[34:35], -1, v5
	v_addc_co_u32_e64 v20, s[34:35], 0, -1, s[34:35]
	v_cmp_ne_u32_e64 s[34:35], 0, v5
	v_xor_b32_e32 v5, s35, v20
	v_and_b32_e32 v20, exec_hi, v5
	v_lshlrev_b32_e32 v5, 30, v18
	v_xor_b32_e32 v19, s34, v19
	v_cmp_gt_i64_e64 s[34:35], 0, v[4:5]
	v_not_b32_e32 v5, v5
	v_ashrrev_i32_e32 v5, 31, v5
	v_and_b32_e32 v19, exec_lo, v19
	v_xor_b32_e32 v21, s35, v5
	v_xor_b32_e32 v5, s34, v5
	v_and_b32_e32 v19, v19, v5
	v_lshlrev_b32_e32 v5, 29, v18
	v_cmp_gt_i64_e64 s[34:35], 0, v[4:5]
	v_not_b32_e32 v5, v5
	v_ashrrev_i32_e32 v5, 31, v5
	v_and_b32_e32 v20, v20, v21
	v_xor_b32_e32 v21, s35, v5
	v_xor_b32_e32 v5, s34, v5
	v_and_b32_e32 v19, v19, v5
	v_lshlrev_b32_e32 v5, 28, v18
	v_cmp_gt_i64_e64 s[34:35], 0, v[4:5]
	v_not_b32_e32 v5, v5
	v_ashrrev_i32_e32 v5, 31, v5
	v_and_b32_e32 v20, v20, v21
	v_xor_b32_e32 v21, s35, v5
	v_xor_b32_e32 v5, s34, v5
	v_and_b32_e32 v19, v19, v5
	v_lshlrev_b32_e32 v5, 27, v18
	v_cmp_gt_i64_e64 s[34:35], 0, v[4:5]
	v_not_b32_e32 v5, v5
	v_ashrrev_i32_e32 v5, 31, v5
	v_and_b32_e32 v20, v20, v21
	v_xor_b32_e32 v21, s35, v5
	v_xor_b32_e32 v5, s34, v5
	v_and_b32_e32 v19, v19, v5
	v_lshlrev_b32_e32 v5, 26, v18
	v_cmp_gt_i64_e64 s[34:35], 0, v[4:5]
	v_not_b32_e32 v5, v5
	v_ashrrev_i32_e32 v5, 31, v5
	v_and_b32_e32 v20, v20, v21
	v_xor_b32_e32 v21, s35, v5
	v_xor_b32_e32 v5, s34, v5
	v_and_b32_e32 v19, v19, v5
	v_lshlrev_b32_e32 v5, 25, v18
	v_cmp_gt_i64_e64 s[34:35], 0, v[4:5]
	v_not_b32_e32 v5, v5
	v_ashrrev_i32_e32 v5, 31, v5
	v_and_b32_e32 v20, v20, v21
	v_xor_b32_e32 v21, s35, v5
	v_xor_b32_e32 v5, s34, v5
	v_and_b32_e32 v20, v20, v21
	v_and_b32_e32 v21, v19, v5
	v_lshlrev_b32_e32 v5, 24, v18
	v_cmp_gt_i64_e64 s[34:35], 0, v[4:5]
	v_not_b32_e32 v5, v5
	v_ashrrev_i32_e32 v5, 31, v5
	v_xor_b32_e32 v18, s35, v5
	v_xor_b32_e32 v5, s34, v5
	v_and_b32_e32 v19, v20, v18
	v_and_b32_e32 v18, v21, v5
	v_mbcnt_lo_u32_b32 v5, v18, 0
	v_mbcnt_hi_u32_b32 v87, v19, v5
	v_cmp_eq_u32_e64 s[34:35], 0, v87
	v_cmp_ne_u64_e64 s[36:37], 0, v[18:19]
	s_and_b64 s[36:37], s[36:37], s[34:35]
	; wave barrier
	s_and_saveexec_b64 s[34:35], s[36:37]
	s_cbranch_execz .LBB85_104
; %bb.103:                              ;   in Loop: Header=BB85_96 Depth=1
	v_bcnt_u32_b32 v5, v18, 0
	v_bcnt_u32_b32 v5, v19, v5
	s_waitcnt vmcnt(0) lgkmcnt(0)
	v_add_u32_e32 v5, v86, v5
	flat_store_dword v[68:69], v5
.LBB85_104:                             ;   in Loop: Header=BB85_96 Depth=1
	s_or_b64 exec, exec, s[34:35]
	; wave barrier
	s_waitcnt lgkmcnt(0)
	s_barrier
	flat_load_dwordx4 v[18:21], v[26:27] offset:16
	s_waitcnt vmcnt(0) lgkmcnt(0)
	v_add_u32_e32 v5, v19, v18
	v_add3_u32 v5, v5, v20, v21
	s_nop 1
	v_mov_b32_dpp v21, v5 row_shr:1 row_mask:0xf bank_mask:0xf
	v_cndmask_b32_e64 v21, v21, 0, vcc
	v_add_u32_e32 v5, v21, v5
	s_nop 1
	v_mov_b32_dpp v21, v5 row_shr:2 row_mask:0xf bank_mask:0xf
	v_cndmask_b32_e64 v21, 0, v21, s[4:5]
	v_add_u32_e32 v5, v5, v21
	s_nop 1
	v_mov_b32_dpp v21, v5 row_shr:4 row_mask:0xf bank_mask:0xf
	v_cndmask_b32_e64 v21, 0, v21, s[6:7]
	;; [unrolled: 4-line block ×3, first 2 shown]
	v_add_u32_e32 v5, v5, v21
	s_nop 1
	v_mov_b32_dpp v21, v5 row_bcast:15 row_mask:0xf bank_mask:0xf
	v_cndmask_b32_e64 v21, v21, 0, s[30:31]
	v_add_u32_e32 v5, v5, v21
	s_nop 1
	v_mov_b32_dpp v21, v5 row_bcast:31 row_mask:0xf bank_mask:0xf
	v_cndmask_b32_e64 v21, 0, v21, s[14:15]
	v_add_u32_e32 v5, v5, v21
	s_and_saveexec_b64 s[34:35], s[16:17]
	s_cbranch_execz .LBB85_106
; %bb.105:                              ;   in Loop: Header=BB85_96 Depth=1
	flat_store_dword v[28:29], v5
.LBB85_106:                             ;   in Loop: Header=BB85_96 Depth=1
	s_or_b64 exec, exec, s[34:35]
	s_waitcnt lgkmcnt(0)
	s_barrier
	s_and_saveexec_b64 s[34:35], s[18:19]
	s_cbranch_execz .LBB85_108
; %bb.107:                              ;   in Loop: Header=BB85_96 Depth=1
	flat_load_dword v21, v[30:31]
	s_waitcnt vmcnt(0) lgkmcnt(0)
	s_nop 0
	v_mov_b32_dpp v80, v21 row_shr:1 row_mask:0xf bank_mask:0xf
	v_cndmask_b32_e64 v80, v80, 0, s[26:27]
	v_add_u32_e32 v21, v80, v21
	s_nop 1
	v_mov_b32_dpp v80, v21 row_shr:2 row_mask:0xf bank_mask:0xf
	v_cndmask_b32_e64 v80, 0, v80, s[28:29]
	v_add_u32_e32 v21, v21, v80
	flat_store_dword v[30:31], v21
.LBB85_108:                             ;   in Loop: Header=BB85_96 Depth=1
	s_or_b64 exec, exec, s[34:35]
	v_mov_b32_e32 v21, 0
	s_waitcnt lgkmcnt(0)
	s_barrier
	s_and_saveexec_b64 s[34:35], s[20:21]
	s_cbranch_execz .LBB85_110
; %bb.109:                              ;   in Loop: Header=BB85_96 Depth=1
	flat_load_dword v21, v[32:33]
.LBB85_110:                             ;   in Loop: Header=BB85_96 Depth=1
	s_or_b64 exec, exec, s[34:35]
	s_waitcnt vmcnt(0) lgkmcnt(0)
	v_add_u32_e32 v5, v21, v5
	ds_bpermute_b32 v5, v71, v5
	v_add_u32_e32 v10, 8, v10
	v_cmp_lt_u32_e64 s[34:35], v10, v11
	s_mov_b64 s[44:45], -1
	s_waitcnt lgkmcnt(0)
	v_cndmask_b32_e64 v5, v5, v21, s[22:23]
	v_cndmask_b32_e64 v112, v5, 0, s[24:25]
	v_add_u32_e32 v113, v112, v18
	v_add_u32_e32 v114, v113, v19
	;; [unrolled: 1-line block ×3, first 2 shown]
	flat_store_dwordx4 v[26:27], v[112:115] offset:16
	s_waitcnt lgkmcnt(0)
	s_barrier
	flat_load_dword v18, v[54:55]
	flat_load_dword v19, v[64:65]
	;; [unrolled: 1-line block ×4, first 2 shown]
	v_mov_b32_e32 v5, v81
	v_lshrrev_b32_e32 v67, 8, v81
	v_lshrrev_b32_e32 v69, 16, v81
	s_waitcnt lgkmcnt(0)
                                        ; implicit-def: $vgpr54_vgpr55
                                        ; implicit-def: $vgpr64_vgpr65
	s_waitcnt vmcnt(0) lgkmcnt(0)
	v_add_u32_e32 v80, v18, v70
	v_add3_u32 v70, v83, v82, v19
	v_add_co_u32_e64 v82, s[36:37], v12, v80
	v_addc_co_u32_e64 v83, s[36:37], 0, v13, s[36:37]
	v_add3_u32 v68, v85, v84, v20
	v_add_co_u32_e64 v84, s[36:37], v12, v70
	v_addc_co_u32_e64 v85, s[36:37], 0, v13, s[36:37]
	;; [unrolled: 3-line block ×3, first 2 shown]
	v_add_co_u32_e64 v96, s[36:37], v12, v66
	v_addc_co_u32_e64 v97, s[36:37], 0, v13, s[36:37]
                                        ; implicit-def: $vgpr18_vgpr19
                                        ; implicit-def: $vgpr20_vgpr21
	s_and_saveexec_b64 s[36:37], s[34:35]
	s_cbranch_execz .LBB85_95
; %bb.111:                              ;   in Loop: Header=BB85_96 Depth=1
	v_mad_u64_u32 v[18:19], s[34:35], v80, 7, v[82:83]
	s_barrier
	flat_store_byte v[82:83], v81
	flat_store_byte v[84:85], v67
	flat_store_byte v[86:87], v69
	flat_store_byte v[96:97], v99
	s_waitcnt lgkmcnt(0)
	s_barrier
	flat_load_ubyte v81, v[50:51]
	flat_load_ubyte v100, v[50:51] offset:64
	flat_load_ubyte v101, v[50:51] offset:128
	;; [unrolled: 1-line block ×3, first 2 shown]
	s_waitcnt lgkmcnt(0)
	s_barrier
	flat_store_dwordx2 v[18:19], v[48:49]
	v_mad_u64_u32 v[18:19], s[34:35], v70, 7, v[84:85]
	flat_store_dwordx2 v[18:19], v[38:39]
	v_mad_u64_u32 v[18:19], s[34:35], v68, 7, v[86:87]
	;; [unrolled: 2-line block ×3, first 2 shown]
	flat_store_dwordx2 v[18:19], v[34:35]
	s_waitcnt lgkmcnt(0)
	s_barrier
	flat_load_dwordx2 v[18:19], v[52:53]
	flat_load_dwordx2 v[20:21], v[52:53] offset:512
	flat_load_dwordx2 v[54:55], v[52:53] offset:1024
	;; [unrolled: 1-line block ×3, first 2 shown]
	v_add_u32_e32 v98, -8, v98
	s_xor_b64 s[44:45], exec, -1
	s_waitcnt lgkmcnt(0)
	s_barrier
	s_waitcnt vmcnt(0)
	v_lshlrev_b16_e32 v100, 8, v100
	v_or_b32_e32 v81, v81, v100
	v_lshlrev_b16_e32 v102, 8, v102
	v_or_b32_sdwa v100, v101, v102 dst_sel:WORD_1 dst_unused:UNUSED_PAD src0_sel:DWORD src1_sel:DWORD
	v_or_b32_sdwa v81, v81, v100 dst_sel:DWORD dst_unused:UNUSED_PAD src0_sel:WORD_0 src1_sel:DWORD
	s_branch .LBB85_95
.LBB85_112:
	flat_load_dwordx2 v[18:19], v[4:5]
	s_or_b64 exec, exec, s[22:23]
                                        ; implicit-def: $vgpr70_vgpr71
	s_and_saveexec_b64 s[22:23], s[4:5]
	s_cbranch_execz .LBB85_20
.LBB85_113:
	flat_load_dwordx2 v[70:71], v[4:5] offset:512
	s_or_b64 exec, exec, s[22:23]
                                        ; implicit-def: $vgpr80_vgpr81
	s_and_saveexec_b64 s[4:5], s[6:7]
	s_cbranch_execz .LBB85_21
.LBB85_114:
	flat_load_dwordx2 v[80:81], v[4:5] offset:1024
	s_or_b64 exec, exec, s[4:5]
                                        ; implicit-def: $vgpr82_vgpr83
	s_and_saveexec_b64 s[4:5], s[10:11]
	s_cbranch_execz .LBB85_22
.LBB85_115:
	flat_load_dwordx2 v[82:83], v[4:5] offset:1536
	s_or_b64 exec, exec, s[4:5]
                                        ; implicit-def: $vgpr84_vgpr85
	s_and_saveexec_b64 s[4:5], s[20:21]
	s_cbranch_execz .LBB85_23
.LBB85_116:
	flat_load_dwordx2 v[84:85], v[4:5] offset:2048
	s_or_b64 exec, exec, s[4:5]
                                        ; implicit-def: $vgpr96_vgpr97
	s_and_saveexec_b64 s[4:5], s[14:15]
	s_cbranch_execz .LBB85_24
.LBB85_117:
	flat_load_dwordx2 v[96:97], v[4:5] offset:2560
	s_or_b64 exec, exec, s[4:5]
                                        ; implicit-def: $vgpr116_vgpr117
	s_and_saveexec_b64 s[4:5], s[16:17]
	s_cbranch_execz .LBB85_25
.LBB85_118:
	flat_load_dwordx2 v[116:117], v[4:5] offset:3072
	s_or_b64 exec, exec, s[4:5]
                                        ; implicit-def: $vgpr146_vgpr147
	s_and_saveexec_b64 s[4:5], s[18:19]
	s_cbranch_execnz .LBB85_26
	s_branch .LBB85_27
.LBB85_119:
	s_waitcnt vmcnt(0)
	flat_store_dwordx2 v[0:1], v[26:27]
	s_or_b64 exec, exec, s[22:23]
	s_and_saveexec_b64 s[22:23], s[14:15]
	s_cbranch_execz .LBB85_71
.LBB85_120:
	s_waitcnt vmcnt(0)
	flat_store_dwordx2 v[0:1], v[24:25] offset:2048
	s_or_b64 exec, exec, s[22:23]
	s_and_saveexec_b64 s[14:15], s[18:19]
	s_cbranch_execz .LBB85_72
.LBB85_121:
	v_add_co_u32_e32 v2, vcc, 0x1000, v0
	v_addc_co_u32_e32 v3, vcc, 0, v1, vcc
	s_waitcnt vmcnt(0)
	flat_store_dwordx2 v[2:3], v[18:19]
	s_or_b64 exec, exec, s[14:15]
	s_and_saveexec_b64 s[14:15], s[16:17]
	s_cbranch_execz .LBB85_73
.LBB85_122:
	v_add_co_u32_e32 v2, vcc, 0x1000, v0
	v_addc_co_u32_e32 v3, vcc, 0, v1, vcc
	s_waitcnt vmcnt(0)
	flat_store_dwordx2 v[2:3], v[14:15] offset:2048
	s_or_b64 exec, exec, s[14:15]
	s_and_saveexec_b64 s[14:15], s[20:21]
	s_cbranch_execz .LBB85_74
.LBB85_123:
	v_add_co_u32_e32 v2, vcc, 0x2000, v0
	v_addc_co_u32_e32 v3, vcc, 0, v1, vcc
	s_waitcnt vmcnt(0)
	flat_store_dwordx2 v[2:3], v[16:17]
	s_or_b64 exec, exec, s[14:15]
	s_and_saveexec_b64 s[14:15], s[10:11]
	s_cbranch_execz .LBB85_75
.LBB85_124:
	v_add_co_u32_e32 v2, vcc, 0x2000, v0
	v_addc_co_u32_e32 v3, vcc, 0, v1, vcc
	s_waitcnt vmcnt(0)
	flat_store_dwordx2 v[2:3], v[12:13] offset:2048
	s_or_b64 exec, exec, s[14:15]
	s_and_saveexec_b64 s[10:11], s[6:7]
	s_cbranch_execz .LBB85_76
.LBB85_125:
	v_add_co_u32_e32 v2, vcc, 0x3000, v0
	v_addc_co_u32_e32 v3, vcc, 0, v1, vcc
	s_waitcnt vmcnt(0)
	flat_store_dwordx2 v[2:3], v[10:11]
	s_or_b64 exec, exec, s[10:11]
	s_and_saveexec_b64 s[6:7], s[4:5]
	s_cbranch_execnz .LBB85_77
	s_branch .LBB85_78
.LBB85_126:
	s_or_b64 exec, exec, s[42:43]
	v_add_co_u32_e32 v4, vcc, v12, v22
	s_barrier
	flat_store_byte v[82:83], v5
	flat_store_byte v[84:85], v67
	;; [unrolled: 1-line block ×4, first 2 shown]
	v_addc_co_u32_e32 v5, vcc, 0, v13, vcc
	v_mad_u64_u32 v[10:11], s[4:5], v80, 7, v[82:83]
	s_waitcnt lgkmcnt(0)
	s_barrier
	flat_load_ubyte v18, v[4:5]
	flat_load_ubyte v17, v[4:5] offset:256
	flat_load_ubyte v16, v[4:5] offset:512
	flat_load_ubyte v9, v[4:5] offset:768
	s_waitcnt lgkmcnt(0)
	s_barrier
	flat_store_dwordx2 v[10:11], v[48:49]
	v_mad_u64_u32 v[10:11], s[4:5], v70, 7, v[84:85]
	flat_store_dwordx2 v[10:11], v[38:39]
	v_mad_u64_u32 v[10:11], s[4:5], v68, 7, v[86:87]
	flat_store_dwordx2 v[10:11], v[36:37]
	v_mad_u64_u32 v[10:11], s[4:5], v66, 7, v[96:97]
	v_mad_u64_u32 v[20:21], s[4:5], v22, 7, v[4:5]
	s_movk_i32 s4, 0x1000
	v_add_co_u32_e32 v22, vcc, s4, v20
	flat_store_dwordx2 v[10:11], v[34:35]
	s_waitcnt lgkmcnt(0)
	s_barrier
	v_addc_co_u32_e32 v23, vcc, 0, v21, vcc
	flat_load_dwordx2 v[14:15], v[20:21]
	flat_load_dwordx2 v[12:13], v[20:21] offset:2048
	flat_load_dwordx2 v[10:11], v[22:23]
	flat_load_dwordx2 v[4:5], v[22:23] offset:2048
	v_add_co_u32_e32 v2, vcc, v2, v8
	v_addc_co_u32_e32 v3, vcc, 0, v3, vcc
	v_add_co_u32_e32 v2, vcc, v2, v0
	v_addc_co_u32_e32 v3, vcc, 0, v3, vcc
	v_mov_b32_e32 v1, 0
	v_cmp_lt_u32_e32 vcc, v0, v103
	s_waitcnt lgkmcnt(0)
	s_barrier
	s_and_saveexec_b64 s[4:5], vcc
	s_cbranch_execz .LBB85_128
; %bb.127:
	s_waitcnt vmcnt(0)
	v_xor_b32_e32 v8, -1, v18
	flat_store_byte v[2:3], v8
.LBB85_128:
	s_or_b64 exec, exec, s[4:5]
	v_add_u32_e32 v8, 0x100, v0
	v_cmp_lt_u32_e64 s[4:5], v8, v103
	s_and_saveexec_b64 s[6:7], s[4:5]
	s_cbranch_execz .LBB85_130
; %bb.129:
	s_waitcnt vmcnt(0)
	v_xor_b32_e32 v8, -1, v17
	flat_store_byte v[2:3], v8 offset:256
.LBB85_130:
	s_or_b64 exec, exec, s[6:7]
	v_add_u32_e32 v8, 0x200, v0
	v_cmp_lt_u32_e64 s[10:11], v8, v103
	s_and_saveexec_b64 s[6:7], s[10:11]
	s_cbranch_execz .LBB85_132
; %bb.131:
	s_waitcnt vmcnt(0)
	v_xor_b32_e32 v8, -1, v16
	flat_store_byte v[2:3], v8 offset:512
.LBB85_132:
	;; [unrolled: 10-line block ×3, first 2 shown]
	s_or_b64 exec, exec, s[14:15]
	v_add_co_u32_e64 v2, s[14:15], v6, v24
	v_addc_co_u32_e64 v3, s[14:15], v7, v25, s[14:15]
	v_lshlrev_b64 v[0:1], 3, v[0:1]
	v_add_co_u32_e64 v0, s[14:15], v2, v0
	v_addc_co_u32_e64 v1, s[14:15], v3, v1, s[14:15]
	s_and_saveexec_b64 s[14:15], vcc
	s_cbranch_execnz .LBB85_167
; %bb.135:
	s_or_b64 exec, exec, s[14:15]
	s_and_saveexec_b64 s[14:15], s[4:5]
	s_cbranch_execnz .LBB85_168
.LBB85_136:
	s_or_b64 exec, exec, s[14:15]
	s_and_saveexec_b64 s[4:5], s[10:11]
	s_cbranch_execnz .LBB85_169
.LBB85_137:
	s_or_b64 exec, exec, s[4:5]
	s_and_saveexec_b64 s[4:5], s[6:7]
	s_cbranch_execz .LBB85_139
.LBB85_138:
	v_add_co_u32_e32 v0, vcc, 0x1000, v0
	v_addc_co_u32_e32 v1, vcc, 0, v1, vcc
	s_waitcnt vmcnt(0)
	flat_store_dwordx2 v[0:1], v[4:5] offset:2048
.LBB85_139:
	s_or_b64 exec, exec, s[4:5]
                                        ; implicit-def: $vgpr103
                                        ; implicit-def: $vgpr0
                                        ; implicit-def: $vgpr1
                                        ; implicit-def: $vgpr2
                                        ; implicit-def: $vgpr3
                                        ; implicit-def: $vgpr4
                                        ; implicit-def: $vgpr5
                                        ; implicit-def: $vgpr6
                                        ; implicit-def: $vgpr7
                                        ; implicit-def: $vgpr8
                                        ; implicit-def: $vgpr10
                                        ; implicit-def: $vgpr11
                                        ; implicit-def: $vgpr12
                                        ; implicit-def: $vgpr13
                                        ; implicit-def: $vgpr31
                                        ; implicit-def: $vgpr15
                                        ; implicit-def: $vgpr18
                                        ; implicit-def: $vgpr14
.LBB85_140:
	s_andn2_saveexec_b64 s[4:5], s[40:41]
	s_cbranch_execz .LBB85_199
; %bb.141:
	s_load_dwordx2 s[4:5], s[8:9], 0x0
	s_waitcnt vmcnt(0)
	v_mov_b32_e32 v9, 0
	v_and_b32_e32 v24, 0x3ff, v31
	s_waitcnt lgkmcnt(0)
	s_cmp_lt_u32 s12, s4
	s_cselect_b32 s6, 12, 18
	s_cmp_lt_u32 s13, s5
	s_cselect_b32 s4, 14, 20
	s_add_u32 s4, s8, s4
	s_addc_u32 s5, s9, 0
	global_load_ushort v16, v9, s[4:5]
	s_add_u32 s4, s8, s6
	s_addc_u32 s5, s9, 0
	global_load_ushort v17, v9, s[4:5]
	s_movk_i32 s4, 0x100
	v_cmp_lt_u32_e32 vcc, s4, v103
	s_waitcnt vmcnt(1)
	v_mad_u32_u24 v15, v18, v16, v15
	s_waitcnt vmcnt(0)
	v_mad_u64_u32 v[22:23], s[4:5], v15, v17, v[24:25]
	s_and_saveexec_b64 s[4:5], vcc
	s_xor_b64 s[34:35], exec, s[4:5]
	s_cbranch_execz .LBB85_179
; %bb.142:
	v_add_co_u32_e32 v0, vcc, v0, v8
	v_mbcnt_hi_u32_b32 v15, -1, v14
	v_addc_co_u32_e32 v1, vcc, 0, v1, vcc
	v_and_b32_e32 v14, 63, v15
	v_lshlrev_b32_e32 v16, 1, v22
	v_add_co_u32_e32 v0, vcc, v0, v14
	v_and_b32_e32 v16, 0xffffff80, v16
	v_addc_co_u32_e32 v1, vcc, 0, v1, vcc
	v_add_co_u32_e32 v0, vcc, v0, v16
	v_addc_co_u32_e32 v1, vcc, 0, v1, vcc
	v_or_b32_e32 v18, v14, v16
	v_mov_b32_e32 v17, 0
	v_cmp_lt_u32_e32 vcc, v18, v103
	v_mov_b32_e32 v23, v9
	s_and_saveexec_b64 s[4:5], vcc
	s_cbranch_execz .LBB85_144
; %bb.143:
	flat_load_ubyte v23, v[0:1]
.LBB85_144:
	s_or_b64 exec, exec, s[4:5]
	v_or_b32_e32 v18, 64, v18
	v_cmp_lt_u32_e64 s[4:5], v18, v103
	s_and_saveexec_b64 s[6:7], s[4:5]
	s_cbranch_execz .LBB85_146
; %bb.145:
	flat_load_ubyte v0, v[0:1] offset:64
	s_waitcnt vmcnt(0) lgkmcnt(0)
	v_lshlrev_b16_e32 v0, 8, v0
	v_or_b32_e32 v0, v23, v0
	v_and_b32_e32 v23, 0xffff, v0
.LBB85_146:
	s_or_b64 exec, exec, s[6:7]
	v_lshlrev_b64 v[0:1], 3, v[8:9]
	v_add_co_u32_e64 v4, s[6:7], v4, v0
	v_addc_co_u32_e64 v5, s[6:7], v5, v1, s[6:7]
	v_lshlrev_b32_e32 v9, 3, v14
	v_add_co_u32_e64 v9, s[6:7], v4, v9
	v_addc_co_u32_e64 v18, s[6:7], 0, v5, s[6:7]
	v_lshlrev_b64 v[4:5], 3, v[16:17]
	v_add_co_u32_e64 v4, s[6:7], v9, v4
	v_addc_co_u32_e64 v5, s[6:7], v18, v5, s[6:7]
                                        ; implicit-def: $vgpr18_vgpr19
	s_and_saveexec_b64 s[6:7], vcc
	s_cbranch_execz .LBB85_148
; %bb.147:
	flat_load_dwordx2 v[18:19], v[4:5]
.LBB85_148:
	s_or_b64 exec, exec, s[6:7]
                                        ; implicit-def: $vgpr20_vgpr21
	s_and_saveexec_b64 s[6:7], s[4:5]
	s_cbranch_execz .LBB85_150
; %bb.149:
	flat_load_dwordx2 v[20:21], v[4:5] offset:512
.LBB85_150:
	s_or_b64 exec, exec, s[6:7]
	v_add_co_u32_e32 v9, vcc, 16, v12
	v_and_b32_e32 v17, 0x3c0, v24
	s_waitcnt vmcnt(0) lgkmcnt(0)
	v_xor_b32_e32 v4, -1, v23
	v_addc_co_u32_e32 v23, vcc, 0, v13, vcc
	v_lshlrev_b32_e32 v16, 4, v24
	v_min_u32_e32 v17, 0xc0, v17
	v_add_co_u32_e32 v26, vcc, v12, v16
	v_or_b32_e32 v17, 63, v17
	s_getpc_b64 s[4:5]
	s_add_u32 s4, s4, _ZN7rocprim17ROCPRIM_400000_NS16block_radix_sortIhLj256ELj2ElLj1ELj1ELj8ELNS0_26block_radix_rank_algorithmE2ELNS0_18block_padding_hintE2ELNS0_4arch9wavefront6targetE1EE19radix_bits_per_passE@rel32@lo+4
	s_addc_u32 s5, s5, _ZN7rocprim17ROCPRIM_400000_NS16block_radix_sortIhLj256ELj2ElLj1ELj1ELj8ELNS0_26block_radix_rank_algorithmE2ELNS0_18block_padding_hintE2ELNS0_4arch9wavefront6targetE1EE19radix_bits_per_passE@rel32@hi+12
	v_addc_co_u32_e32 v27, vcc, 0, v13, vcc
	v_and_b32_e32 v16, 15, v15
	v_cmp_eq_u32_e64 s[14:15], v17, v24
	v_add_u32_e32 v17, -1, v15
	v_and_b32_e32 v28, 64, v15
	s_load_dword s42, s[4:5], 0x0
	v_cmp_eq_u32_e32 vcc, 0, v16
	v_cmp_lt_u32_e64 s[4:5], 1, v16
	v_cmp_lt_u32_e64 s[6:7], 3, v16
	v_cmp_lt_u32_e64 s[8:9], 7, v16
	v_and_b32_e32 v16, 16, v15
	v_cmp_lt_i32_e64 s[20:21], v17, v28
	v_cmp_eq_u32_e64 s[10:11], 0, v16
	v_lshrrev_b32_e32 v16, 6, v24
	v_cndmask_b32_e64 v17, v17, v15, s[20:21]
	v_and_b32_e32 v66, 0xffff, v4
	v_mov_b32_e32 v4, 0
	v_lshlrev_b32_e32 v67, 2, v17
	v_lshlrev_b32_e32 v17, 2, v16
	v_add_co_u32_e64 v28, s[24:25], v12, v17
	v_add_u32_e32 v16, -1, v16
	v_mov_b32_e32 v17, v4
	v_lshlrev_b32_e32 v5, 2, v24
	v_addc_co_u32_e64 v29, s[24:25], 0, v13, s[24:25]
	v_lshlrev_b64 v[16:17], 2, v[16:17]
	v_add_co_u32_e64 v30, s[24:25], v12, v5
	v_add_co_u32_e64 v32, s[28:29], v12, v16
	v_addc_co_u32_e64 v31, s[24:25], 0, v13, s[24:25]
	v_and_b32_e32 v5, 3, v15
	v_addc_co_u32_e64 v33, s[28:29], v13, v17, s[28:29]
	v_cmp_eq_u32_e64 s[24:25], 0, v5
	v_cmp_lt_u32_e64 s[26:27], 1, v5
	v_lshlrev_b32_e32 v5, 1, v24
	s_movk_i32 s28, 0x780
	v_and_or_b32 v5, v5, s28, v14
	v_add_co_u32_e64 v38, s[28:29], v12, v5
	v_addc_co_u32_e64 v39, s[28:29], 0, v13, s[28:29]
	v_lshrrev_b32_e32 v25, 6, v22
	v_cmp_lt_u32_e64 s[12:13], 31, v15
	v_cmp_gt_u32_e64 s[16:17], 4, v24
	v_cmp_lt_u32_e64 s[18:19], 63, v24
	v_cmp_eq_u32_e64 s[20:21], 0, v15
	v_cmp_eq_u32_e64 s[22:23], 0, v24
	v_mad_u64_u32 v[48:49], s[28:29], v5, 7, v[38:39]
	v_sub_u32_e32 v68, v11, v10
	s_mov_b64 s[36:37], 0
	v_mov_b32_e32 v14, 0
	v_mov_b32_e32 v15, v4
	;; [unrolled: 1-line block ×4, first 2 shown]
	s_waitcnt lgkmcnt(0)
	s_barrier
	s_branch .LBB85_152
.LBB85_151:                             ;   in Loop: Header=BB85_152 Depth=1
	s_or_b64 exec, exec, s[30:31]
	s_and_b64 s[28:29], exec, s[40:41]
	s_or_b64 s[36:37], s[28:29], s[36:37]
	s_andn2_b64 exec, exec, s[36:37]
	s_cbranch_execz .LBB85_170
.LBB85_152:                             ; =>This Inner Loop Header: Depth=1
	v_min_u32_e32 v5, s42, v68
	v_lshlrev_b32_e64 v5, v5, -1
	v_pk_mov_b32 v[34:35], v[20:21], v[20:21] op_sel:[0,1]
	v_not_b32_e32 v20, v5
	v_lshrrev_b32_sdwa v5, v10, v66 dst_sel:DWORD dst_unused:UNUSED_PAD src0_sel:DWORD src1_sel:BYTE_0
	v_pk_mov_b32 v[36:37], v[18:19], v[18:19] op_sel:[0,1]
	v_and_b32_e32 v18, v5, v20
	v_lshlrev_b32_e32 v5, 2, v18
	v_add_lshl_u32 v5, v5, v25, 2
	v_add_co_u32_e64 v50, s[28:29], v9, v5
	v_addc_co_u32_e64 v51, s[28:29], 0, v23, s[28:29]
	v_and_b32_e32 v5, 1, v18
	v_add_co_u32_e64 v19, s[28:29], -1, v5
	v_addc_co_u32_e64 v21, s[28:29], 0, -1, s[28:29]
	v_cmp_ne_u32_e64 s[28:29], 0, v5
	v_xor_b32_e32 v5, s29, v21
	v_and_b32_e32 v21, exec_hi, v5
	v_lshlrev_b32_e32 v5, 30, v18
	v_xor_b32_e32 v19, s28, v19
	v_cmp_gt_i64_e64 s[28:29], 0, v[4:5]
	v_not_b32_e32 v5, v5
	v_ashrrev_i32_e32 v5, 31, v5
	v_and_b32_e32 v19, exec_lo, v19
	v_xor_b32_e32 v52, s29, v5
	v_xor_b32_e32 v5, s28, v5
	v_and_b32_e32 v19, v19, v5
	v_lshlrev_b32_e32 v5, 29, v18
	v_cmp_gt_i64_e64 s[28:29], 0, v[4:5]
	v_not_b32_e32 v5, v5
	v_ashrrev_i32_e32 v5, 31, v5
	v_and_b32_e32 v21, v21, v52
	v_xor_b32_e32 v52, s29, v5
	v_xor_b32_e32 v5, s28, v5
	v_and_b32_e32 v19, v19, v5
	v_lshlrev_b32_e32 v5, 28, v18
	v_cmp_gt_i64_e64 s[28:29], 0, v[4:5]
	v_not_b32_e32 v5, v5
	v_ashrrev_i32_e32 v5, 31, v5
	v_and_b32_e32 v21, v21, v52
	v_xor_b32_e32 v52, s29, v5
	v_xor_b32_e32 v5, s28, v5
	v_and_b32_e32 v19, v19, v5
	v_lshlrev_b32_e32 v5, 27, v18
	v_cmp_gt_i64_e64 s[28:29], 0, v[4:5]
	v_not_b32_e32 v5, v5
	v_ashrrev_i32_e32 v5, 31, v5
	v_and_b32_e32 v21, v21, v52
	v_xor_b32_e32 v52, s29, v5
	v_xor_b32_e32 v5, s28, v5
	v_and_b32_e32 v19, v19, v5
	v_lshlrev_b32_e32 v5, 26, v18
	v_cmp_gt_i64_e64 s[28:29], 0, v[4:5]
	v_not_b32_e32 v5, v5
	v_ashrrev_i32_e32 v5, 31, v5
	v_and_b32_e32 v21, v21, v52
	v_xor_b32_e32 v52, s29, v5
	v_xor_b32_e32 v5, s28, v5
	v_and_b32_e32 v19, v19, v5
	v_lshlrev_b32_e32 v5, 25, v18
	v_cmp_gt_i64_e64 s[28:29], 0, v[4:5]
	v_not_b32_e32 v5, v5
	v_ashrrev_i32_e32 v5, 31, v5
	v_and_b32_e32 v21, v21, v52
	v_xor_b32_e32 v52, s29, v5
	v_xor_b32_e32 v5, s28, v5
	v_and_b32_e32 v21, v21, v52
	v_and_b32_e32 v52, v19, v5
	v_lshlrev_b32_e32 v5, 24, v18
	v_cmp_gt_i64_e64 s[28:29], 0, v[4:5]
	v_not_b32_e32 v5, v5
	v_ashrrev_i32_e32 v5, 31, v5
	v_xor_b32_e32 v18, s29, v5
	v_xor_b32_e32 v5, s28, v5
	v_and_b32_e32 v19, v21, v18
	v_and_b32_e32 v18, v52, v5
	v_mbcnt_lo_u32_b32 v5, v18, 0
	v_mbcnt_hi_u32_b32 v54, v19, v5
	v_cmp_eq_u32_e64 s[28:29], 0, v54
	v_cmp_ne_u64_e64 s[30:31], 0, v[18:19]
	s_and_b64 s[30:31], s[30:31], s[28:29]
	flat_store_dwordx4 v[26:27], v[14:17] offset:16
	s_waitcnt lgkmcnt(0)
	s_barrier
	s_waitcnt lgkmcnt(0)
	; wave barrier
	s_and_saveexec_b64 s[28:29], s[30:31]
	s_cbranch_execz .LBB85_154
; %bb.153:                              ;   in Loop: Header=BB85_152 Depth=1
	v_bcnt_u32_b32 v5, v18, 0
	v_bcnt_u32_b32 v5, v19, v5
	flat_store_dword v[50:51], v5
.LBB85_154:                             ;   in Loop: Header=BB85_152 Depth=1
	s_or_b64 exec, exec, s[28:29]
	v_lshrrev_b16_e32 v69, 8, v66
	v_lshrrev_b32_e32 v5, v10, v69
	v_and_b32_e32 v18, v5, v20
	v_lshlrev_b32_e32 v5, 2, v18
	v_add_lshl_u32 v5, v5, v25, 2
	v_add_co_u32_e64 v52, s[28:29], v9, v5
	v_addc_co_u32_e64 v53, s[28:29], 0, v23, s[28:29]
	; wave barrier
	flat_load_dword v55, v[52:53]
	v_and_b32_e32 v5, 1, v18
	v_add_co_u32_e64 v19, s[28:29], -1, v5
	v_addc_co_u32_e64 v20, s[28:29], 0, -1, s[28:29]
	v_cmp_ne_u32_e64 s[28:29], 0, v5
	v_xor_b32_e32 v5, s29, v20
	v_and_b32_e32 v20, exec_hi, v5
	v_lshlrev_b32_e32 v5, 30, v18
	v_xor_b32_e32 v19, s28, v19
	v_cmp_gt_i64_e64 s[28:29], 0, v[4:5]
	v_not_b32_e32 v5, v5
	v_ashrrev_i32_e32 v5, 31, v5
	v_and_b32_e32 v19, exec_lo, v19
	v_xor_b32_e32 v21, s29, v5
	v_xor_b32_e32 v5, s28, v5
	v_and_b32_e32 v19, v19, v5
	v_lshlrev_b32_e32 v5, 29, v18
	v_cmp_gt_i64_e64 s[28:29], 0, v[4:5]
	v_not_b32_e32 v5, v5
	v_ashrrev_i32_e32 v5, 31, v5
	v_and_b32_e32 v20, v20, v21
	v_xor_b32_e32 v21, s29, v5
	v_xor_b32_e32 v5, s28, v5
	v_and_b32_e32 v19, v19, v5
	v_lshlrev_b32_e32 v5, 28, v18
	v_cmp_gt_i64_e64 s[28:29], 0, v[4:5]
	v_not_b32_e32 v5, v5
	v_ashrrev_i32_e32 v5, 31, v5
	v_and_b32_e32 v20, v20, v21
	v_xor_b32_e32 v21, s29, v5
	v_xor_b32_e32 v5, s28, v5
	v_and_b32_e32 v19, v19, v5
	v_lshlrev_b32_e32 v5, 27, v18
	v_cmp_gt_i64_e64 s[28:29], 0, v[4:5]
	v_not_b32_e32 v5, v5
	v_ashrrev_i32_e32 v5, 31, v5
	v_and_b32_e32 v20, v20, v21
	v_xor_b32_e32 v21, s29, v5
	v_xor_b32_e32 v5, s28, v5
	v_and_b32_e32 v19, v19, v5
	v_lshlrev_b32_e32 v5, 26, v18
	v_cmp_gt_i64_e64 s[28:29], 0, v[4:5]
	v_not_b32_e32 v5, v5
	v_ashrrev_i32_e32 v5, 31, v5
	v_and_b32_e32 v20, v20, v21
	v_xor_b32_e32 v21, s29, v5
	v_xor_b32_e32 v5, s28, v5
	v_and_b32_e32 v19, v19, v5
	v_lshlrev_b32_e32 v5, 25, v18
	v_cmp_gt_i64_e64 s[28:29], 0, v[4:5]
	v_not_b32_e32 v5, v5
	v_ashrrev_i32_e32 v5, 31, v5
	v_and_b32_e32 v20, v20, v21
	v_xor_b32_e32 v21, s29, v5
	v_xor_b32_e32 v5, s28, v5
	v_and_b32_e32 v20, v20, v21
	v_and_b32_e32 v21, v19, v5
	v_lshlrev_b32_e32 v5, 24, v18
	v_cmp_gt_i64_e64 s[28:29], 0, v[4:5]
	v_not_b32_e32 v5, v5
	v_ashrrev_i32_e32 v5, 31, v5
	v_xor_b32_e32 v18, s29, v5
	v_xor_b32_e32 v5, s28, v5
	v_and_b32_e32 v19, v20, v18
	v_and_b32_e32 v18, v21, v5
	v_mbcnt_lo_u32_b32 v5, v18, 0
	v_mbcnt_hi_u32_b32 v5, v19, v5
	v_cmp_eq_u32_e64 s[28:29], 0, v5
	v_cmp_ne_u64_e64 s[30:31], 0, v[18:19]
	s_and_b64 s[30:31], s[30:31], s[28:29]
	; wave barrier
	s_and_saveexec_b64 s[28:29], s[30:31]
	s_cbranch_execz .LBB85_156
; %bb.155:                              ;   in Loop: Header=BB85_152 Depth=1
	v_bcnt_u32_b32 v18, v18, 0
	v_bcnt_u32_b32 v18, v19, v18
	s_waitcnt vmcnt(0) lgkmcnt(0)
	v_add_u32_e32 v18, v55, v18
	flat_store_dword v[52:53], v18
.LBB85_156:                             ;   in Loop: Header=BB85_152 Depth=1
	s_or_b64 exec, exec, s[28:29]
	; wave barrier
	s_waitcnt lgkmcnt(0)
	s_barrier
	flat_load_dwordx4 v[18:21], v[26:27] offset:16
	s_waitcnt vmcnt(0) lgkmcnt(0)
	v_add_u32_e32 v64, v19, v18
	v_add3_u32 v21, v64, v20, v21
	s_nop 1
	v_mov_b32_dpp v64, v21 row_shr:1 row_mask:0xf bank_mask:0xf
	v_cndmask_b32_e64 v64, v64, 0, vcc
	v_add_u32_e32 v21, v64, v21
	s_nop 1
	v_mov_b32_dpp v64, v21 row_shr:2 row_mask:0xf bank_mask:0xf
	v_cndmask_b32_e64 v64, 0, v64, s[4:5]
	v_add_u32_e32 v21, v21, v64
	s_nop 1
	v_mov_b32_dpp v64, v21 row_shr:4 row_mask:0xf bank_mask:0xf
	v_cndmask_b32_e64 v64, 0, v64, s[6:7]
	;; [unrolled: 4-line block ×3, first 2 shown]
	v_add_u32_e32 v21, v21, v64
	s_nop 1
	v_mov_b32_dpp v64, v21 row_bcast:15 row_mask:0xf bank_mask:0xf
	v_cndmask_b32_e64 v64, v64, 0, s[10:11]
	v_add_u32_e32 v21, v21, v64
	s_nop 1
	v_mov_b32_dpp v64, v21 row_bcast:31 row_mask:0xf bank_mask:0xf
	v_cndmask_b32_e64 v64, 0, v64, s[12:13]
	v_add_u32_e32 v21, v21, v64
	s_and_saveexec_b64 s[28:29], s[14:15]
	s_cbranch_execz .LBB85_158
; %bb.157:                              ;   in Loop: Header=BB85_152 Depth=1
	flat_store_dword v[28:29], v21
.LBB85_158:                             ;   in Loop: Header=BB85_152 Depth=1
	s_or_b64 exec, exec, s[28:29]
	s_waitcnt lgkmcnt(0)
	s_barrier
	s_and_saveexec_b64 s[28:29], s[16:17]
	s_cbranch_execz .LBB85_160
; %bb.159:                              ;   in Loop: Header=BB85_152 Depth=1
	flat_load_dword v64, v[30:31]
	s_waitcnt vmcnt(0) lgkmcnt(0)
	s_nop 0
	v_mov_b32_dpp v65, v64 row_shr:1 row_mask:0xf bank_mask:0xf
	v_cndmask_b32_e64 v65, v65, 0, s[24:25]
	v_add_u32_e32 v64, v65, v64
	s_nop 1
	v_mov_b32_dpp v65, v64 row_shr:2 row_mask:0xf bank_mask:0xf
	v_cndmask_b32_e64 v65, 0, v65, s[26:27]
	v_add_u32_e32 v64, v64, v65
	flat_store_dword v[30:31], v64
.LBB85_160:                             ;   in Loop: Header=BB85_152 Depth=1
	s_or_b64 exec, exec, s[28:29]
	v_mov_b32_e32 v64, 0
	s_waitcnt lgkmcnt(0)
	s_barrier
	s_and_saveexec_b64 s[28:29], s[18:19]
	s_cbranch_execz .LBB85_162
; %bb.161:                              ;   in Loop: Header=BB85_152 Depth=1
	flat_load_dword v64, v[32:33]
.LBB85_162:                             ;   in Loop: Header=BB85_152 Depth=1
	s_or_b64 exec, exec, s[28:29]
	s_waitcnt vmcnt(0) lgkmcnt(0)
	v_add_u32_e32 v21, v64, v21
	ds_bpermute_b32 v21, v67, v21
	v_add_u32_e32 v10, 8, v10
	v_cmp_lt_u32_e64 s[28:29], v10, v11
	s_mov_b64 s[40:41], -1
	s_waitcnt lgkmcnt(0)
	v_cndmask_b32_e64 v21, v21, v64, s[20:21]
	v_cndmask_b32_e64 v80, v21, 0, s[22:23]
	v_add_u32_e32 v81, v80, v18
	v_add_u32_e32 v82, v81, v19
	;; [unrolled: 1-line block ×3, first 2 shown]
	flat_store_dwordx4 v[26:27], v[80:83] offset:16
	s_waitcnt lgkmcnt(0)
	s_barrier
	flat_load_dword v18, v[50:51]
	flat_load_dword v19, v[52:53]
	v_mov_b32_e32 v51, v66
	s_waitcnt lgkmcnt(0)
                                        ; implicit-def: $vgpr20_vgpr21
	s_waitcnt vmcnt(0) lgkmcnt(0)
	v_add_u32_e32 v52, v18, v54
	v_add_co_u32_e64 v54, s[30:31], v12, v52
	v_add3_u32 v50, v5, v55, v19
	v_addc_co_u32_e64 v55, s[30:31], 0, v13, s[30:31]
	v_add_co_u32_e64 v64, s[30:31], v12, v50
	v_addc_co_u32_e64 v65, s[30:31], 0, v13, s[30:31]
                                        ; implicit-def: $vgpr18_vgpr19
	s_and_saveexec_b64 s[30:31], s[28:29]
	s_cbranch_execz .LBB85_151
; %bb.163:                              ;   in Loop: Header=BB85_152 Depth=1
	s_barrier
	flat_store_byte v[54:55], v66
	flat_store_byte v[64:65], v69
	s_waitcnt lgkmcnt(0)
	s_barrier
	flat_load_ubyte v5, v[38:39]
	flat_load_ubyte v53, v[38:39] offset:64
	v_mad_u64_u32 v[18:19], s[28:29], v52, 7, v[54:55]
	s_waitcnt lgkmcnt(0)
	s_barrier
	flat_store_dwordx2 v[18:19], v[36:37]
	v_mad_u64_u32 v[18:19], s[28:29], v50, 7, v[64:65]
	flat_store_dwordx2 v[18:19], v[34:35]
	s_waitcnt lgkmcnt(0)
	s_barrier
	flat_load_dwordx2 v[18:19], v[48:49]
	flat_load_dwordx2 v[20:21], v[48:49] offset:512
	v_add_u32_e32 v68, -8, v68
	s_xor_b64 s[40:41], exec, -1
	s_waitcnt lgkmcnt(0)
	s_barrier
	s_waitcnt vmcnt(0)
	v_lshlrev_b16_e32 v53, 8, v53
	v_or_b32_e32 v5, v5, v53
	v_and_b32_e32 v66, 0xffff, v5
	s_branch .LBB85_151
.LBB85_164:
	flat_load_dwordx2 v[18:19], v[4:5]
	s_or_b64 exec, exec, s[14:15]
                                        ; implicit-def: $vgpr20_vgpr21
	s_and_saveexec_b64 s[14:15], s[4:5]
	s_cbranch_execz .LBB85_91
.LBB85_165:
	flat_load_dwordx2 v[20:21], v[4:5] offset:512
	s_or_b64 exec, exec, s[14:15]
                                        ; implicit-def: $vgpr54_vgpr55
	s_and_saveexec_b64 s[4:5], s[6:7]
	s_cbranch_execz .LBB85_92
.LBB85_166:
	flat_load_dwordx2 v[54:55], v[4:5] offset:1024
	s_or_b64 exec, exec, s[4:5]
                                        ; implicit-def: $vgpr64_vgpr65
	s_and_saveexec_b64 s[4:5], s[10:11]
	s_cbranch_execnz .LBB85_93
	s_branch .LBB85_94
.LBB85_167:
	s_waitcnt vmcnt(0)
	flat_store_dwordx2 v[0:1], v[14:15]
	s_or_b64 exec, exec, s[14:15]
	s_and_saveexec_b64 s[14:15], s[4:5]
	s_cbranch_execz .LBB85_136
.LBB85_168:
	s_waitcnt vmcnt(0)
	flat_store_dwordx2 v[0:1], v[12:13] offset:2048
	s_or_b64 exec, exec, s[14:15]
	s_and_saveexec_b64 s[4:5], s[10:11]
	s_cbranch_execz .LBB85_137
.LBB85_169:
	v_add_co_u32_e32 v2, vcc, 0x1000, v0
	v_addc_co_u32_e32 v3, vcc, 0, v1, vcc
	s_waitcnt vmcnt(0)
	flat_store_dwordx2 v[2:3], v[10:11]
	s_or_b64 exec, exec, s[4:5]
	s_and_saveexec_b64 s[4:5], s[6:7]
	s_cbranch_execnz .LBB85_138
	s_branch .LBB85_139
.LBB85_170:
	s_or_b64 exec, exec, s[36:37]
	v_add_co_u32_e32 v4, vcc, v12, v24
	v_addc_co_u32_e32 v5, vcc, 0, v13, vcc
	v_mad_u64_u32 v[10:11], s[4:5], v52, 7, v[54:55]
	s_barrier
	flat_store_byte v[54:55], v51
	flat_store_byte v[64:65], v69
	s_waitcnt lgkmcnt(0)
	s_barrier
	flat_load_ubyte v12, v[4:5]
	flat_load_ubyte v9, v[4:5] offset:256
	s_waitcnt lgkmcnt(0)
	s_barrier
	flat_store_dwordx2 v[10:11], v[36:37]
	v_mad_u64_u32 v[10:11], s[4:5], v50, 7, v[64:65]
	v_mad_u64_u32 v[14:15], s[4:5], v24, 7, v[4:5]
	flat_store_dwordx2 v[10:11], v[34:35]
	s_waitcnt lgkmcnt(0)
	s_barrier
	flat_load_dwordx2 v[10:11], v[14:15]
	flat_load_dwordx2 v[4:5], v[14:15] offset:2048
	v_add_co_u32_e32 v2, vcc, v2, v8
	v_addc_co_u32_e32 v3, vcc, 0, v3, vcc
	v_add_co_u32_e32 v2, vcc, v2, v22
	v_addc_co_u32_e32 v3, vcc, 0, v3, vcc
	v_mov_b32_e32 v23, 0
	v_cmp_lt_u32_e32 vcc, v22, v103
	s_waitcnt lgkmcnt(0)
	s_barrier
	s_and_saveexec_b64 s[4:5], vcc
	s_cbranch_execz .LBB85_172
; %bb.171:
	s_waitcnt vmcnt(0)
	v_xor_b32_e32 v8, -1, v12
	flat_store_byte v[2:3], v8
.LBB85_172:
	s_or_b64 exec, exec, s[4:5]
	v_add_u32_e32 v8, 0x100, v22
	v_cmp_lt_u32_e64 s[4:5], v8, v103
	s_and_saveexec_b64 s[6:7], s[4:5]
	s_cbranch_execz .LBB85_174
; %bb.173:
	s_waitcnt vmcnt(0)
	v_xor_b32_e32 v8, -1, v9
	flat_store_byte v[2:3], v8 offset:256
.LBB85_174:
	s_or_b64 exec, exec, s[6:7]
	v_add_co_u32_e64 v2, s[6:7], v6, v0
	v_addc_co_u32_e64 v3, s[6:7], v7, v1, s[6:7]
	v_lshlrev_b64 v[0:1], 3, v[22:23]
	v_add_co_u32_e64 v0, s[6:7], v2, v0
	v_addc_co_u32_e64 v1, s[6:7], v3, v1, s[6:7]
	s_and_saveexec_b64 s[6:7], vcc
	s_cbranch_execz .LBB85_176
; %bb.175:
	s_waitcnt vmcnt(0)
	flat_store_dwordx2 v[0:1], v[10:11]
.LBB85_176:
	s_or_b64 exec, exec, s[6:7]
	s_and_saveexec_b64 s[6:7], s[4:5]
	s_cbranch_execz .LBB85_178
; %bb.177:
	s_waitcnt vmcnt(0)
	flat_store_dwordx2 v[0:1], v[4:5] offset:2048
.LBB85_178:
	s_or_b64 exec, exec, s[6:7]
                                        ; implicit-def: $vgpr24
                                        ; implicit-def: $vgpr22_vgpr23
                                        ; implicit-def: $vgpr8_vgpr9
                                        ; implicit-def: $vgpr103
                                        ; implicit-def: $vgpr0
                                        ; implicit-def: $vgpr1
                                        ; implicit-def: $vgpr2
                                        ; implicit-def: $vgpr3
                                        ; implicit-def: $vgpr4
                                        ; implicit-def: $vgpr5
                                        ; implicit-def: $vgpr6
                                        ; implicit-def: $vgpr7
                                        ; implicit-def: $vgpr10
                                        ; implicit-def: $vgpr11
                                        ; implicit-def: $vgpr12
                                        ; implicit-def: $vgpr13
                                        ; implicit-def: $vgpr14
.LBB85_179:
	s_andn2_saveexec_b64 s[4:5], s[34:35]
	s_cbranch_execz .LBB85_199
; %bb.180:
	v_mbcnt_hi_u32_b32 v17, -1, v14
	v_bfi_b32 v15, 63, v17, v22
	v_and_b32_e32 v16, 63, v17
	v_and_b32_e32 v14, 0xffffffc0, v22
	v_cmp_lt_u32_e32 vcc, v15, v103
	v_mov_b32_e32 v21, 0xff
	s_and_saveexec_b64 s[6:7], vcc
	s_cbranch_execz .LBB85_182
; %bb.181:
	v_add_co_u32_e64 v0, s[4:5], v0, v8
	v_addc_co_u32_e64 v1, s[4:5], 0, v1, s[4:5]
	v_add_co_u32_e64 v0, s[4:5], v0, v16
	v_addc_co_u32_e64 v1, s[4:5], 0, v1, s[4:5]
	v_add_co_u32_e64 v0, s[4:5], v0, v14
	v_addc_co_u32_e64 v1, s[4:5], 0, v1, s[4:5]
	flat_load_ubyte v0, v[0:1]
	s_waitcnt vmcnt(0) lgkmcnt(0)
	v_xor_b32_e32 v21, -1, v0
.LBB85_182:
	s_or_b64 exec, exec, s[6:7]
	s_waitcnt vmcnt(0)
	v_lshlrev_b64 v[0:1], 3, v[8:9]
                                        ; implicit-def: $vgpr18_vgpr19
	s_and_saveexec_b64 s[4:5], vcc
	s_cbranch_execz .LBB85_184
; %bb.183:
	v_add_co_u32_e32 v4, vcc, v4, v0
	v_addc_co_u32_e32 v5, vcc, v5, v1, vcc
	v_lshlrev_b32_e32 v9, 3, v16
	v_mov_b32_e32 v15, 0
	v_add_co_u32_e32 v9, vcc, v4, v9
	v_addc_co_u32_e32 v18, vcc, 0, v5, vcc
	v_lshlrev_b64 v[4:5], 3, v[14:15]
	v_add_co_u32_e32 v4, vcc, v9, v4
	v_addc_co_u32_e32 v5, vcc, v18, v5, vcc
	flat_load_dwordx2 v[18:19], v[4:5]
.LBB85_184:
	s_or_b64 exec, exec, s[4:5]
	v_add_co_u32_e32 v9, vcc, 16, v12
	v_and_b32_e32 v20, 0x3c0, v24
	v_addc_co_u32_e32 v23, vcc, 0, v13, vcc
	v_lshlrev_b32_e32 v14, 4, v24
	v_min_u32_e32 v15, 0xc0, v20
	v_add_co_u32_e32 v26, vcc, v12, v14
	v_or_b32_e32 v15, 63, v15
	s_getpc_b64 s[4:5]
	s_add_u32 s4, s4, _ZN7rocprim17ROCPRIM_400000_NS16block_radix_sortIhLj256ELj1ElLj1ELj1ELj8ELNS0_26block_radix_rank_algorithmE2ELNS0_18block_padding_hintE2ELNS0_4arch9wavefront6targetE1EE19radix_bits_per_passE@rel32@lo+4
	s_addc_u32 s5, s5, _ZN7rocprim17ROCPRIM_400000_NS16block_radix_sortIhLj256ELj1ElLj1ELj1ELj8ELNS0_26block_radix_rank_algorithmE2ELNS0_18block_padding_hintE2ELNS0_4arch9wavefront6targetE1EE19radix_bits_per_passE@rel32@hi+12
	v_addc_co_u32_e32 v27, vcc, 0, v13, vcc
	v_and_b32_e32 v14, 15, v17
	v_cmp_eq_u32_e64 s[14:15], v15, v24
	v_add_u32_e32 v15, -1, v17
	v_and_b32_e32 v28, 64, v17
	s_load_dword s40, s[4:5], 0x0
	v_cmp_eq_u32_e32 vcc, 0, v14
	v_cmp_lt_u32_e64 s[4:5], 1, v14
	v_cmp_lt_u32_e64 s[6:7], 3, v14
	;; [unrolled: 1-line block ×3, first 2 shown]
	v_and_b32_e32 v14, 16, v17
	v_cmp_lt_i32_e64 s[20:21], v15, v28
	v_cmp_eq_u32_e64 s[10:11], 0, v14
	v_lshrrev_b32_e32 v14, 6, v24
	v_cndmask_b32_e64 v15, v15, v17, s[20:21]
	v_lshlrev_b32_e32 v50, 2, v15
	v_lshlrev_b32_e32 v15, 2, v14
	v_mov_b32_e32 v4, 0
	v_add_co_u32_e64 v28, s[24:25], v12, v15
	v_lshlrev_b32_e32 v5, 2, v24
	v_addc_co_u32_e64 v29, s[24:25], 0, v13, s[24:25]
	v_add_u32_e32 v14, -1, v14
	v_mov_b32_e32 v15, v4
	v_add_co_u32_e64 v30, s[24:25], v12, v5
	v_lshlrev_b64 v[14:15], 2, v[14:15]
	v_addc_co_u32_e64 v31, s[24:25], 0, v13, s[24:25]
	v_and_b32_e32 v5, 3, v17
	v_add_co_u32_e64 v32, s[28:29], v12, v14
	v_cmp_eq_u32_e64 s[24:25], 0, v5
	v_cmp_lt_u32_e64 s[26:27], 1, v5
	v_addc_co_u32_e64 v33, s[28:29], v13, v15, s[28:29]
	v_or_b32_e32 v5, v16, v20
	v_add_co_u32_e64 v36, s[28:29], v12, v5
	v_addc_co_u32_e64 v37, s[28:29], 0, v13, s[28:29]
	v_lshrrev_b32_e32 v25, 6, v22
	v_cmp_lt_u32_e64 s[12:13], 31, v17
	v_cmp_gt_u32_e64 s[16:17], 4, v24
	v_cmp_lt_u32_e64 s[18:19], 63, v24
	v_cmp_eq_u32_e64 s[20:21], 0, v17
	v_cmp_eq_u32_e64 s[22:23], 0, v24
	v_mad_u64_u32 v[38:39], s[28:29], v5, 7, v[36:37]
	v_sub_u32_e32 v51, v11, v10
	s_mov_b64 s[34:35], 0
	v_mov_b32_e32 v14, 0
	v_mov_b32_e32 v15, v4
	;; [unrolled: 1-line block ×4, first 2 shown]
	s_waitcnt lgkmcnt(0)
	s_barrier
	s_branch .LBB85_186
.LBB85_185:                             ;   in Loop: Header=BB85_186 Depth=1
	s_or_b64 exec, exec, s[30:31]
	s_and_b64 s[28:29], exec, s[36:37]
	s_or_b64 s[34:35], s[28:29], s[34:35]
	s_andn2_b64 exec, exec, s[34:35]
	s_cbranch_execz .LBB85_196
.LBB85_186:                             ; =>This Inner Loop Header: Depth=1
	s_waitcnt vmcnt(0)
	v_mov_b32_e32 v52, v21
	s_waitcnt vmcnt(0)
	v_pk_mov_b32 v[34:35], v[18:19], v[18:19] op_sel:[0,1]
	v_min_u32_e32 v5, s40, v51
	v_lshrrev_b32_sdwa v18, v10, v52 dst_sel:DWORD dst_unused:UNUSED_PAD src0_sel:DWORD src1_sel:BYTE_0
	v_bfe_u32 v18, v18, 0, v5
	v_lshlrev_b32_e32 v5, 2, v18
	v_add_lshl_u32 v5, v5, v25, 2
	v_add_co_u32_e64 v48, s[28:29], v9, v5
	v_addc_co_u32_e64 v49, s[28:29], 0, v23, s[28:29]
	v_and_b32_e32 v5, 1, v18
	v_add_co_u32_e64 v19, s[28:29], -1, v5
	v_addc_co_u32_e64 v20, s[28:29], 0, -1, s[28:29]
	v_cmp_ne_u32_e64 s[28:29], 0, v5
	v_xor_b32_e32 v5, s29, v20
	v_and_b32_e32 v20, exec_hi, v5
	v_lshlrev_b32_e32 v5, 30, v18
	v_xor_b32_e32 v19, s28, v19
	v_cmp_gt_i64_e64 s[28:29], 0, v[4:5]
	v_not_b32_e32 v5, v5
	v_ashrrev_i32_e32 v5, 31, v5
	v_and_b32_e32 v19, exec_lo, v19
	v_xor_b32_e32 v21, s29, v5
	v_xor_b32_e32 v5, s28, v5
	v_and_b32_e32 v19, v19, v5
	v_lshlrev_b32_e32 v5, 29, v18
	v_cmp_gt_i64_e64 s[28:29], 0, v[4:5]
	v_not_b32_e32 v5, v5
	v_ashrrev_i32_e32 v5, 31, v5
	v_and_b32_e32 v20, v20, v21
	v_xor_b32_e32 v21, s29, v5
	v_xor_b32_e32 v5, s28, v5
	v_and_b32_e32 v19, v19, v5
	v_lshlrev_b32_e32 v5, 28, v18
	v_cmp_gt_i64_e64 s[28:29], 0, v[4:5]
	v_not_b32_e32 v5, v5
	v_ashrrev_i32_e32 v5, 31, v5
	v_and_b32_e32 v20, v20, v21
	;; [unrolled: 8-line block ×5, first 2 shown]
	v_xor_b32_e32 v21, s29, v5
	v_xor_b32_e32 v5, s28, v5
	v_and_b32_e32 v20, v20, v21
	v_and_b32_e32 v21, v19, v5
	v_lshlrev_b32_e32 v5, 24, v18
	v_cmp_gt_i64_e64 s[28:29], 0, v[4:5]
	v_not_b32_e32 v5, v5
	v_ashrrev_i32_e32 v5, 31, v5
	v_xor_b32_e32 v18, s29, v5
	v_xor_b32_e32 v5, s28, v5
	v_and_b32_e32 v19, v20, v18
	v_and_b32_e32 v18, v21, v5
	v_mbcnt_lo_u32_b32 v5, v18, 0
	v_mbcnt_hi_u32_b32 v5, v19, v5
	v_cmp_eq_u32_e64 s[28:29], 0, v5
	v_cmp_ne_u64_e64 s[30:31], 0, v[18:19]
	s_and_b64 s[30:31], s[30:31], s[28:29]
	flat_store_dwordx4 v[26:27], v[14:17] offset:16
	s_waitcnt lgkmcnt(0)
	s_barrier
	s_waitcnt lgkmcnt(0)
	; wave barrier
	s_and_saveexec_b64 s[28:29], s[30:31]
	s_cbranch_execz .LBB85_188
; %bb.187:                              ;   in Loop: Header=BB85_186 Depth=1
	v_bcnt_u32_b32 v18, v18, 0
	v_bcnt_u32_b32 v18, v19, v18
	flat_store_dword v[48:49], v18
.LBB85_188:                             ;   in Loop: Header=BB85_186 Depth=1
	s_or_b64 exec, exec, s[28:29]
	; wave barrier
	s_waitcnt lgkmcnt(0)
	s_barrier
	flat_load_dwordx4 v[18:21], v[26:27] offset:16
	s_waitcnt vmcnt(0) lgkmcnt(0)
	v_add_u32_e32 v53, v19, v18
	v_add3_u32 v21, v53, v20, v21
	s_nop 1
	v_mov_b32_dpp v53, v21 row_shr:1 row_mask:0xf bank_mask:0xf
	v_cndmask_b32_e64 v53, v53, 0, vcc
	v_add_u32_e32 v21, v53, v21
	s_nop 1
	v_mov_b32_dpp v53, v21 row_shr:2 row_mask:0xf bank_mask:0xf
	v_cndmask_b32_e64 v53, 0, v53, s[4:5]
	v_add_u32_e32 v21, v21, v53
	s_nop 1
	v_mov_b32_dpp v53, v21 row_shr:4 row_mask:0xf bank_mask:0xf
	v_cndmask_b32_e64 v53, 0, v53, s[6:7]
	;; [unrolled: 4-line block ×3, first 2 shown]
	v_add_u32_e32 v21, v21, v53
	s_nop 1
	v_mov_b32_dpp v53, v21 row_bcast:15 row_mask:0xf bank_mask:0xf
	v_cndmask_b32_e64 v53, v53, 0, s[10:11]
	v_add_u32_e32 v21, v21, v53
	s_nop 1
	v_mov_b32_dpp v53, v21 row_bcast:31 row_mask:0xf bank_mask:0xf
	v_cndmask_b32_e64 v53, 0, v53, s[12:13]
	v_add_u32_e32 v21, v21, v53
	s_and_saveexec_b64 s[28:29], s[14:15]
	s_cbranch_execz .LBB85_190
; %bb.189:                              ;   in Loop: Header=BB85_186 Depth=1
	flat_store_dword v[28:29], v21
.LBB85_190:                             ;   in Loop: Header=BB85_186 Depth=1
	s_or_b64 exec, exec, s[28:29]
	s_waitcnt lgkmcnt(0)
	s_barrier
	s_and_saveexec_b64 s[28:29], s[16:17]
	s_cbranch_execz .LBB85_192
; %bb.191:                              ;   in Loop: Header=BB85_186 Depth=1
	flat_load_dword v53, v[30:31]
	s_waitcnt vmcnt(0) lgkmcnt(0)
	s_nop 0
	v_mov_b32_dpp v54, v53 row_shr:1 row_mask:0xf bank_mask:0xf
	v_cndmask_b32_e64 v54, v54, 0, s[24:25]
	v_add_u32_e32 v53, v54, v53
	s_nop 1
	v_mov_b32_dpp v54, v53 row_shr:2 row_mask:0xf bank_mask:0xf
	v_cndmask_b32_e64 v54, 0, v54, s[26:27]
	v_add_u32_e32 v53, v53, v54
	flat_store_dword v[30:31], v53
.LBB85_192:                             ;   in Loop: Header=BB85_186 Depth=1
	s_or_b64 exec, exec, s[28:29]
	v_mov_b32_e32 v53, 0
	s_waitcnt lgkmcnt(0)
	s_barrier
	s_and_saveexec_b64 s[28:29], s[18:19]
	s_cbranch_execz .LBB85_194
; %bb.193:                              ;   in Loop: Header=BB85_186 Depth=1
	flat_load_dword v53, v[32:33]
.LBB85_194:                             ;   in Loop: Header=BB85_186 Depth=1
	s_or_b64 exec, exec, s[28:29]
	s_waitcnt vmcnt(0) lgkmcnt(0)
	v_add_u32_e32 v21, v53, v21
	ds_bpermute_b32 v21, v50, v21
	v_add_u32_e32 v10, 8, v10
	v_cmp_lt_u32_e64 s[28:29], v10, v11
	s_mov_b64 s[36:37], -1
	s_waitcnt lgkmcnt(0)
	v_cndmask_b32_e64 v21, v21, v53, s[20:21]
	v_cndmask_b32_e64 v64, v21, 0, s[22:23]
	v_add_u32_e32 v65, v64, v18
	v_add_u32_e32 v66, v65, v19
	;; [unrolled: 1-line block ×3, first 2 shown]
	flat_store_dwordx4 v[26:27], v[64:67] offset:16
	s_waitcnt lgkmcnt(0)
	s_barrier
	flat_load_dword v18, v[48:49]
	s_waitcnt lgkmcnt(0)
                                        ; implicit-def: $vgpr21
	s_waitcnt vmcnt(0) lgkmcnt(0)
	v_add_u32_e32 v20, v18, v5
	v_add_co_u32_e64 v48, s[30:31], v12, v20
	v_addc_co_u32_e64 v49, s[30:31], 0, v13, s[30:31]
                                        ; implicit-def: $vgpr18_vgpr19
	s_and_saveexec_b64 s[30:31], s[28:29]
	s_cbranch_execz .LBB85_185
; %bb.195:                              ;   in Loop: Header=BB85_186 Depth=1
	v_mad_u64_u32 v[18:19], s[28:29], v20, 7, v[48:49]
	s_barrier
	flat_store_byte v[48:49], v52
	s_waitcnt lgkmcnt(0)
	s_barrier
	flat_load_ubyte v21, v[36:37]
	s_waitcnt lgkmcnt(0)
	s_barrier
	flat_store_dwordx2 v[18:19], v[34:35]
	s_waitcnt lgkmcnt(0)
	s_barrier
	flat_load_dwordx2 v[18:19], v[38:39]
	v_add_u32_e32 v51, -8, v51
	s_xor_b64 s[36:37], exec, -1
	s_waitcnt lgkmcnt(0)
	s_barrier
	s_branch .LBB85_185
.LBB85_196:
	s_or_b64 exec, exec, s[34:35]
	v_add_co_u32_e32 v4, vcc, v12, v24
	v_addc_co_u32_e32 v5, vcc, 0, v13, vcc
	s_barrier
	flat_store_byte v[48:49], v52
	s_waitcnt lgkmcnt(0)
	s_barrier
	flat_load_ubyte v9, v[4:5]
	v_mad_u64_u32 v[10:11], s[4:5], v20, 7, v[48:49]
	v_mad_u64_u32 v[4:5], s[4:5], v24, 7, v[4:5]
	s_waitcnt lgkmcnt(0)
	s_barrier
	flat_store_dwordx2 v[10:11], v[34:35]
	s_waitcnt lgkmcnt(0)
	s_barrier
	flat_load_dwordx2 v[4:5], v[4:5]
	v_cmp_lt_u32_e32 vcc, v22, v103
	s_waitcnt lgkmcnt(0)
	s_barrier
	s_and_saveexec_b64 s[4:5], vcc
	s_cbranch_execz .LBB85_198
; %bb.197:
	v_add_co_u32_e32 v6, vcc, v6, v0
	v_mov_b32_e32 v23, 0
	v_addc_co_u32_e32 v7, vcc, v7, v1, vcc
	v_lshlrev_b64 v[0:1], 3, v[22:23]
	v_add_co_u32_e32 v0, vcc, v6, v0
	v_addc_co_u32_e32 v1, vcc, v7, v1, vcc
	v_add_co_u32_e32 v2, vcc, v2, v8
	v_addc_co_u32_e32 v3, vcc, 0, v3, vcc
	v_add_co_u32_e32 v2, vcc, v2, v22
	s_waitcnt vmcnt(0)
	v_xor_b32_e32 v6, -1, v9
	v_addc_co_u32_e32 v3, vcc, 0, v3, vcc
	flat_store_byte v[2:3], v6
	flat_store_dwordx2 v[0:1], v[4:5]
.LBB85_198:
	s_or_b64 exec, exec, s[4:5]
.LBB85_199:
	s_or_b64 exec, exec, s[38:39]
	v_readlane_b32 s30, v40, 13
	v_readlane_b32 s31, v40, 14
	;; [unrolled: 1-line block ×15, first 2 shown]
	s_or_saveexec_b64 s[4:5], -1
	buffer_load_dword v40, off, s[0:3], s32 ; 4-byte Folded Reload
	s_mov_b64 exec, s[4:5]
	s_waitcnt vmcnt(0) lgkmcnt(0)
	s_setpc_b64 s[30:31]
.Lfunc_end85:
	.size	_ZN7rocprim17ROCPRIM_400000_NS6detail40segmented_radix_sort_single_block_helperIhlLj256ELj8ELb1EE4sortIPKhPhPKlPlEEbT_T0_T1_T2_jjjjRNS3_12storage_typeE, .Lfunc_end85-_ZN7rocprim17ROCPRIM_400000_NS6detail40segmented_radix_sort_single_block_helperIhlLj256ELj8ELb1EE4sortIPKhPhPKlPlEEbT_T0_T1_T2_jjjjRNS3_12storage_typeE
                                        ; -- End function
	.section	.AMDGPU.csdata,"",@progbits
; Function info:
; codeLenInByte = 16116
; NumSgprs: 51
; NumVgprs: 168
; NumAgprs: 0
; TotalNumVgprs: 168
; ScratchSize: 8
; MemoryBound: 1
	.section	.text._ZN7rocprim17ROCPRIM_400000_NS6detail17trampoline_kernelINS0_14default_configENS1_36segmented_radix_sort_config_selectorIhlEEZNS1_25segmented_radix_sort_implIS3_Lb1EPKhPhPKlPlN2at6native12_GLOBAL__N_18offset_tEEE10hipError_tPvRmT1_PNSt15iterator_traitsISK_E10value_typeET2_T3_PNSL_ISQ_E10value_typeET4_jRbjT5_SW_jjP12ihipStream_tbEUlT_E_NS1_11comp_targetILNS1_3genE4ELNS1_11target_archE910ELNS1_3gpuE8ELNS1_3repE0EEENS1_30default_config_static_selectorELNS0_4arch9wavefront6targetE1EEEvSK_,"axG",@progbits,_ZN7rocprim17ROCPRIM_400000_NS6detail17trampoline_kernelINS0_14default_configENS1_36segmented_radix_sort_config_selectorIhlEEZNS1_25segmented_radix_sort_implIS3_Lb1EPKhPhPKlPlN2at6native12_GLOBAL__N_18offset_tEEE10hipError_tPvRmT1_PNSt15iterator_traitsISK_E10value_typeET2_T3_PNSL_ISQ_E10value_typeET4_jRbjT5_SW_jjP12ihipStream_tbEUlT_E_NS1_11comp_targetILNS1_3genE4ELNS1_11target_archE910ELNS1_3gpuE8ELNS1_3repE0EEENS1_30default_config_static_selectorELNS0_4arch9wavefront6targetE1EEEvSK_,comdat
	.globl	_ZN7rocprim17ROCPRIM_400000_NS6detail17trampoline_kernelINS0_14default_configENS1_36segmented_radix_sort_config_selectorIhlEEZNS1_25segmented_radix_sort_implIS3_Lb1EPKhPhPKlPlN2at6native12_GLOBAL__N_18offset_tEEE10hipError_tPvRmT1_PNSt15iterator_traitsISK_E10value_typeET2_T3_PNSL_ISQ_E10value_typeET4_jRbjT5_SW_jjP12ihipStream_tbEUlT_E_NS1_11comp_targetILNS1_3genE4ELNS1_11target_archE910ELNS1_3gpuE8ELNS1_3repE0EEENS1_30default_config_static_selectorELNS0_4arch9wavefront6targetE1EEEvSK_ ; -- Begin function _ZN7rocprim17ROCPRIM_400000_NS6detail17trampoline_kernelINS0_14default_configENS1_36segmented_radix_sort_config_selectorIhlEEZNS1_25segmented_radix_sort_implIS3_Lb1EPKhPhPKlPlN2at6native12_GLOBAL__N_18offset_tEEE10hipError_tPvRmT1_PNSt15iterator_traitsISK_E10value_typeET2_T3_PNSL_ISQ_E10value_typeET4_jRbjT5_SW_jjP12ihipStream_tbEUlT_E_NS1_11comp_targetILNS1_3genE4ELNS1_11target_archE910ELNS1_3gpuE8ELNS1_3repE0EEENS1_30default_config_static_selectorELNS0_4arch9wavefront6targetE1EEEvSK_
	.p2align	8
	.type	_ZN7rocprim17ROCPRIM_400000_NS6detail17trampoline_kernelINS0_14default_configENS1_36segmented_radix_sort_config_selectorIhlEEZNS1_25segmented_radix_sort_implIS3_Lb1EPKhPhPKlPlN2at6native12_GLOBAL__N_18offset_tEEE10hipError_tPvRmT1_PNSt15iterator_traitsISK_E10value_typeET2_T3_PNSL_ISQ_E10value_typeET4_jRbjT5_SW_jjP12ihipStream_tbEUlT_E_NS1_11comp_targetILNS1_3genE4ELNS1_11target_archE910ELNS1_3gpuE8ELNS1_3repE0EEENS1_30default_config_static_selectorELNS0_4arch9wavefront6targetE1EEEvSK_,@function
_ZN7rocprim17ROCPRIM_400000_NS6detail17trampoline_kernelINS0_14default_configENS1_36segmented_radix_sort_config_selectorIhlEEZNS1_25segmented_radix_sort_implIS3_Lb1EPKhPhPKlPlN2at6native12_GLOBAL__N_18offset_tEEE10hipError_tPvRmT1_PNSt15iterator_traitsISK_E10value_typeET2_T3_PNSL_ISQ_E10value_typeET4_jRbjT5_SW_jjP12ihipStream_tbEUlT_E_NS1_11comp_targetILNS1_3genE4ELNS1_11target_archE910ELNS1_3gpuE8ELNS1_3repE0EEENS1_30default_config_static_selectorELNS0_4arch9wavefront6targetE1EEEvSK_: ; @_ZN7rocprim17ROCPRIM_400000_NS6detail17trampoline_kernelINS0_14default_configENS1_36segmented_radix_sort_config_selectorIhlEEZNS1_25segmented_radix_sort_implIS3_Lb1EPKhPhPKlPlN2at6native12_GLOBAL__N_18offset_tEEE10hipError_tPvRmT1_PNSt15iterator_traitsISK_E10value_typeET2_T3_PNSL_ISQ_E10value_typeET4_jRbjT5_SW_jjP12ihipStream_tbEUlT_E_NS1_11comp_targetILNS1_3genE4ELNS1_11target_archE910ELNS1_3gpuE8ELNS1_3repE0EEENS1_30default_config_static_selectorELNS0_4arch9wavefront6targetE1EEEvSK_
; %bb.0:
	s_add_u32 flat_scratch_lo, s6, s10
	s_addc_u32 flat_scratch_hi, s7, 0
	s_mov_b32 s33, s9
	s_mov_b64 s[48:49], s[4:5]
	s_mov_b32 s50, s8
	s_load_dwordx2 s[8:9], s[4:5], 0x38
	s_nop 0
	s_load_dwordx4 s[4:7], s[4:5], 0x40
	s_add_u32 s0, s0, s10
	s_mov_b32 s11, 0
	s_mov_b32 s10, s50
	s_addc_u32 s1, s1, 0
	s_lshl_b64 s[10:11], s[10:11], 2
	s_waitcnt lgkmcnt(0)
	s_add_u32 s8, s8, s10
	s_addc_u32 s9, s9, s11
	s_load_dword s8, s[8:9], 0x0
	s_mov_b32 s32, 0
	s_waitcnt lgkmcnt(0)
	s_add_i32 s51, s8, s5
	s_add_i32 s76, s8, s7
	s_mul_i32 s51, s51, s4
	s_mul_i32 s76, s76, s6
	s_cmp_le_u32 s76, s51
	s_cbranch_scc1 .LBB86_678
; %bb.1:
	s_load_dword s4, s[48:49], 0x30
	s_load_dwordx4 s[64:67], s[48:49], 0x20
	s_load_dwordx4 s[68:71], s[48:49], 0x50
	s_load_dwordx8 s[56:63], s[48:49], 0x0
	s_waitcnt lgkmcnt(0)
	s_bitcmp1_b32 s4, 0
	s_cselect_b64 s[54:55], -1, 0
	s_sub_i32 s71, s76, s51
	s_cmpk_lt_u32 s71, 0x801
	s_mov_b64 s[4:5], -1
	s_cbranch_scc0 .LBB86_7
; %bb.2:
	s_and_b32 s4, s68, 1
	v_cndmask_b32_e64 v1, 0, 1, s[54:55]
	v_cmp_ne_u32_e32 vcc, s4, v1
	s_mov_b64 s[4:5], -1
	s_cbranch_vccnz .LBB86_4
; %bb.3:
	s_add_u32 s8, s48, 0x60
	s_mov_b64 s[4:5], src_shared_base
	s_addc_u32 s9, s49, 0
	s_mov_b32 s12, s50
	s_mov_b32 s13, s33
	v_mov_b32_e32 v31, v0
	v_mov_b32_e32 v41, v0
	;; [unrolled: 1-line block ×16, first 2 shown]
	s_getpc_b64 s[6:7]
	s_add_u32 s6, s6, _ZN7rocprim17ROCPRIM_400000_NS6detail40segmented_radix_sort_single_block_helperIhlLj256ELj8ELb1EE4sortIPKhPhPKlPlEEbT_T0_T1_T2_jjjjRNS3_12storage_typeE@rel32@lo+4
	s_addc_u32 s7, s7, _ZN7rocprim17ROCPRIM_400000_NS6detail40segmented_radix_sort_single_block_helperIhlLj256ELj8ELb1EE4sortIPKhPhPKlPlEEbT_T0_T1_T2_jjjjRNS3_12storage_typeE@rel32@hi+12
	s_swappc_b64 s[30:31], s[6:7]
	v_mov_b32_e32 v0, v41
	s_mov_b64 s[4:5], 0
.LBB86_4:
	s_andn2_b64 vcc, exec, s[4:5]
	s_cbranch_vccnz .LBB86_6
; %bb.5:
	s_add_u32 s8, s48, 0x60
	s_mov_b64 s[4:5], src_shared_base
	s_addc_u32 s9, s49, 0
	s_mov_b32 s12, s50
	s_mov_b32 s13, s33
	v_mov_b32_e32 v31, v0
	v_mov_b32_e32 v41, v0
	;; [unrolled: 1-line block ×16, first 2 shown]
	s_getpc_b64 s[6:7]
	s_add_u32 s6, s6, _ZN7rocprim17ROCPRIM_400000_NS6detail40segmented_radix_sort_single_block_helperIhlLj256ELj8ELb1EE4sortIPKhPhPKlPlEEbT_T0_T1_T2_jjjjRNS3_12storage_typeE@rel32@lo+4
	s_addc_u32 s7, s7, _ZN7rocprim17ROCPRIM_400000_NS6detail40segmented_radix_sort_single_block_helperIhlLj256ELj8ELb1EE4sortIPKhPhPKlPlEEbT_T0_T1_T2_jjjjRNS3_12storage_typeE@rel32@hi+12
	s_swappc_b64 s[30:31], s[6:7]
	v_mov_b32_e32 v0, v41
.LBB86_6:
	s_mov_b64 s[4:5], 0
.LBB86_7:
	s_andn2_b64 vcc, exec, s[4:5]
	s_cbranch_vccnz .LBB86_678
; %bb.8:
	s_cmp_ge_u32 s69, s70
	s_cbranch_scc1 .LBB86_678
; %bb.9:
	v_and_b32_e32 v2, 0x3ff, v0
	v_mov_b32_e32 v1, s61
	v_add_co_u32_e32 v28, vcc, s60, v2
	v_addc_co_u32_e32 v29, vcc, 0, v1, vcc
	v_or_b32_e32 v1, 63, v2
	v_cmp_eq_u32_e64 s[6:7], v1, v2
	v_lshrrev_b32_e32 v1, 4, v2
	v_and_b32_e32 v35, 12, v1
	v_lshlrev_b32_e32 v1, 3, v2
	v_bfe_u32 v40, v0, 20, 10
	v_bfe_u32 v41, v0, 10, 10
	v_mul_u32_u24_e32 v0, 5, v2
	v_mov_b32_e32 v43, 0x410
	v_and_b32_e32 v39, 0x600, v1
	v_lshl_add_u32 v44, v0, 2, v43
	v_lshlrev_b32_e32 v0, 4, v2
	v_sub_u32_e32 v45, 0, v0
	v_lshlrev_b32_e32 v0, 3, v39
	v_mov_b32_e32 v1, s67
	v_add_co_u32_e32 v46, vcc, s66, v0
	v_addc_co_u32_e32 v47, vcc, 0, v1, vcc
	v_mov_b32_e32 v1, s61
	v_add_co_u32_e32 v48, vcc, s60, v39
	v_addc_co_u32_e32 v49, vcc, 0, v1, vcc
	;; [unrolled: 3-line block ×7, first 2 shown]
	v_lshlrev_b32_e32 v3, 2, v2
	v_mov_b32_e32 v0, s57
	v_add_co_u32_e32 v61, vcc, s56, v39
	s_movk_i32 s4, 0x100
	v_mad_u32_u24 v34, v2, 12, v3
	s_add_u32 s74, s48, 0x60
	s_movk_i32 s68, 0xff
	v_addc_co_u32_e32 v62, vcc, 0, v0, vcc
	v_mbcnt_lo_u32_b32 v0, -1, 0
	s_mov_b32 s73, 0
	v_mov_b32_e32 v4, 0
	v_or_b32_e32 v24, 0x100, v2
	v_or_b32_e32 v25, 0x200, v2
	;; [unrolled: 1-line block ×3, first 2 shown]
	v_and_b32_e32 v27, 3, v2
	v_or_b32_e32 v30, 0x400, v2
	v_or_b32_e32 v31, 0x500, v2
	;; [unrolled: 1-line block ×4, first 2 shown]
	v_cmp_gt_u32_e64 s[4:5], s4, v2
	v_or_b32_e32 v36, 0x4400, v35
	v_cmp_gt_u32_e64 s[8:9], 4, v2
	v_add_u32_e32 v37, 0x4400, v3
	v_cmp_lt_u32_e64 s[10:11], 63, v2
	v_add_u32_e32 v38, 0x43fc, v35
	s_addc_u32 s75, s49, 0
	v_add_u32_e32 v42, v34, v3
	v_cmp_eq_u32_e64 s[12:13], 0, v2
	v_cmp_ne_u32_e64 s[14:15], s68, v2
	v_mul_u32_u24_e32 v50, 7, v2
	v_mov_b32_e32 v63, 1
	s_mov_b32 s77, 0xffff
	s_mov_b32 s78, 0x7060004
	s_movk_i32 s79, 0xff00
	s_mov_b32 s80, 0x3020104
	s_mov_b32 s81, 0x7000504
	;; [unrolled: 1-line block ×3, first 2 shown]
	v_mbcnt_hi_u32_b32 v64, -1, v0
	v_mov_b32_e32 v65, -1
	s_mov_b32 s83, s69
	s_branch .LBB86_12
.LBB86_10:                              ;   in Loop: Header=BB86_12 Depth=1
	s_waitcnt lgkmcnt(0)
	s_barrier
.LBB86_11:                              ;   in Loop: Header=BB86_12 Depth=1
	s_add_i32 s83, s83, 8
	s_cmp_ge_u32 s83, s70
	s_cbranch_scc1 .LBB86_678
.LBB86_12:                              ; =>This Loop Header: Depth=1
                                        ;     Child Loop BB86_16 Depth 2
                                        ;     Child Loop BB86_66 Depth 2
	;; [unrolled: 1-line block ×8, first 2 shown]
	s_sub_i32 s16, s70, s83
	s_min_u32 s16, s16, 8
	s_lshl_b32 s16, -1, s16
	s_xor_b64 s[54:55], s[54:55], -1
	s_not_b32 s84, s16
	s_cmp_lg_u32 s83, s69
	s_mov_b64 s[16:17], -1
	ds_write2st64_b32 v3, v4, v4 offset1:4
	ds_write2st64_b32 v3, v4, v4 offset0:8 offset1:12
	s_waitcnt lgkmcnt(0)
	s_cbranch_scc0 .LBB86_346
; %bb.13:                               ;   in Loop: Header=BB86_12 Depth=1
	s_and_b64 vcc, exec, s[54:55]
	s_cbranch_vccz .LBB86_179
; %bb.14:                               ;   in Loop: Header=BB86_12 Depth=1
	s_mov_b32 s20, s71
	s_mov_b32 s22, s51
	s_barrier
	s_waitcnt lgkmcnt(0)
                                        ; implicit-def: $vgpr5
                                        ; implicit-def: $vgpr6
                                        ; implicit-def: $vgpr7
                                        ; implicit-def: $vgpr8
                                        ; implicit-def: $vgpr9
                                        ; implicit-def: $vgpr10
                                        ; implicit-def: $vgpr11
                                        ; implicit-def: $vgpr12
	s_branch .LBB86_16
.LBB86_15:                              ;   in Loop: Header=BB86_16 Depth=2
	s_or_b64 exec, exec, s[16:17]
	s_addk_i32 s20, 0xf800
	s_cmp_ge_u32 s21, s76
	s_mov_b32 s22, s21
	s_cbranch_scc1 .LBB86_54
.LBB86_16:                              ;   Parent Loop BB86_12 Depth=1
                                        ; =>  This Inner Loop Header: Depth=2
	s_add_i32 s21, s22, 0x800
	s_cmp_gt_u32 s21, s76
	s_cbranch_scc1 .LBB86_19
; %bb.17:                               ;   in Loop: Header=BB86_16 Depth=2
	v_add_co_u32_e32 v0, vcc, s22, v28
	v_addc_co_u32_e32 v1, vcc, 0, v29, vcc
	global_load_ubyte v20, v[0:1], off offset:1536
	global_load_ubyte v19, v[0:1], off offset:1280
	;; [unrolled: 1-line block ×6, first 2 shown]
	global_load_ubyte v14, v[0:1], off
	v_add_co_u32_e32 v0, vcc, 0x700, v0
	v_addc_co_u32_e32 v1, vcc, 0, v1, vcc
	s_mov_b64 s[16:17], -1
	s_movk_i32 s25, 0x800
	s_cbranch_execz .LBB86_20
; %bb.18:                               ;   in Loop: Header=BB86_16 Depth=2
                                        ; implicit-def: $vgpr5
                                        ; implicit-def: $vgpr6
                                        ; implicit-def: $vgpr7
                                        ; implicit-def: $vgpr8
                                        ; implicit-def: $vgpr9
                                        ; implicit-def: $vgpr10
                                        ; implicit-def: $vgpr11
                                        ; implicit-def: $vgpr12
	v_mov_b32_e32 v13, s20
	s_and_saveexec_b64 s[18:19], s[16:17]
	s_cbranch_execnz .LBB86_31
	s_branch .LBB86_32
.LBB86_19:                              ;   in Loop: Header=BB86_16 Depth=2
	s_mov_b64 s[16:17], 0
                                        ; implicit-def: $sgpr25
                                        ; implicit-def: $vgpr14
                                        ; implicit-def: $vgpr15
                                        ; implicit-def: $vgpr16
                                        ; implicit-def: $vgpr17
                                        ; implicit-def: $vgpr18
                                        ; implicit-def: $vgpr19
                                        ; implicit-def: $vgpr20
                                        ; implicit-def: $vgpr0_vgpr1
.LBB86_20:                              ;   in Loop: Header=BB86_16 Depth=2
	s_add_u32 s23, s60, s22
	s_addc_u32 s24, s61, 0
	v_cmp_gt_u32_e32 vcc, s20, v2
	s_and_saveexec_b64 s[18:19], vcc
	s_cbranch_execz .LBB86_48
; %bb.21:                               ;   in Loop: Header=BB86_16 Depth=2
	v_mov_b32_e32 v1, s24
	v_add_co_u32_e32 v0, vcc, s23, v2
	v_addc_co_u32_e32 v1, vcc, 0, v1, vcc
	global_load_ubyte v5, v[0:1], off
	s_or_b64 exec, exec, s[18:19]
	v_cmp_gt_u32_e32 vcc, s20, v24
	s_and_saveexec_b64 s[18:19], vcc
	s_cbranch_execnz .LBB86_49
.LBB86_22:                              ;   in Loop: Header=BB86_16 Depth=2
	s_or_b64 exec, exec, s[18:19]
	v_cmp_gt_u32_e32 vcc, s20, v25
	s_and_saveexec_b64 s[18:19], vcc
	s_cbranch_execz .LBB86_50
.LBB86_23:                              ;   in Loop: Header=BB86_16 Depth=2
	v_mov_b32_e32 v1, s24
	v_add_co_u32_e32 v0, vcc, s23, v2
	v_addc_co_u32_e32 v1, vcc, 0, v1, vcc
	global_load_ubyte v7, v[0:1], off offset:512
	s_or_b64 exec, exec, s[18:19]
	v_cmp_gt_u32_e32 vcc, s20, v26
	s_and_saveexec_b64 s[18:19], vcc
	s_cbranch_execnz .LBB86_51
.LBB86_24:                              ;   in Loop: Header=BB86_16 Depth=2
	s_or_b64 exec, exec, s[18:19]
	v_cmp_gt_u32_e32 vcc, s20, v30
	s_and_saveexec_b64 s[18:19], vcc
	s_cbranch_execz .LBB86_52
.LBB86_25:                              ;   in Loop: Header=BB86_16 Depth=2
	v_mov_b32_e32 v1, s24
	v_add_co_u32_e32 v0, vcc, s23, v2
	v_addc_co_u32_e32 v1, vcc, 0, v1, vcc
	global_load_ubyte v9, v[0:1], off offset:1024
	s_or_b64 exec, exec, s[18:19]
	v_cmp_gt_u32_e32 vcc, s20, v31
	s_and_saveexec_b64 s[18:19], vcc
	s_cbranch_execnz .LBB86_53
.LBB86_26:                              ;   in Loop: Header=BB86_16 Depth=2
	s_or_b64 exec, exec, s[18:19]
	v_cmp_gt_u32_e32 vcc, s20, v32
	s_and_saveexec_b64 s[18:19], vcc
	s_cbranch_execz .LBB86_28
.LBB86_27:                              ;   in Loop: Header=BB86_16 Depth=2
	v_mov_b32_e32 v1, s24
	v_add_co_u32_e32 v0, vcc, s23, v2
	v_addc_co_u32_e32 v1, vcc, 0, v1, vcc
	global_load_ubyte v11, v[0:1], off offset:1536
.LBB86_28:                              ;   in Loop: Header=BB86_16 Depth=2
	s_or_b64 exec, exec, s[18:19]
	v_cmp_gt_u32_e32 vcc, s20, v33
                                        ; implicit-def: $sgpr25
                                        ; implicit-def: $vgpr0_vgpr1
	s_and_saveexec_b64 s[18:19], vcc
	s_cbranch_execz .LBB86_30
; %bb.29:                               ;   in Loop: Header=BB86_16 Depth=2
	v_mov_b32_e32 v0, s24
	v_add_co_u32_e32 v1, vcc, s23, v2
	s_waitcnt vmcnt(0)
	v_addc_co_u32_e32 v12, vcc, 0, v0, vcc
	v_add_co_u32_e32 v0, vcc, 0x700, v1
	s_sub_i32 s25, s76, s22
	v_addc_co_u32_e32 v1, vcc, 0, v12, vcc
	s_or_b64 s[16:17], s[16:17], exec
                                        ; implicit-def: $vgpr12
.LBB86_30:                              ;   in Loop: Header=BB86_16 Depth=2
	s_or_b64 exec, exec, s[18:19]
	s_waitcnt vmcnt(0)
	v_mov_b32_e32 v14, v5
	v_mov_b32_e32 v15, v6
	v_mov_b32_e32 v16, v7
	v_mov_b32_e32 v17, v8
	v_mov_b32_e32 v18, v9
	v_mov_b32_e32 v19, v10
	v_mov_b32_e32 v20, v11
	v_mov_b32_e32 v13, s20
	s_and_saveexec_b64 s[18:19], s[16:17]
	s_cbranch_execz .LBB86_32
.LBB86_31:                              ;   in Loop: Header=BB86_16 Depth=2
	global_load_ubyte v12, v[0:1], off
	v_mov_b32_e32 v13, s25
	s_waitcnt vmcnt(1)
	v_mov_b32_e32 v5, v14
	v_mov_b32_e32 v6, v15
	;; [unrolled: 1-line block ×7, first 2 shown]
.LBB86_32:                              ;   in Loop: Header=BB86_16 Depth=2
	s_or_b64 exec, exec, s[18:19]
	v_cmp_lt_u32_e32 vcc, v2, v13
	s_and_saveexec_b64 s[16:17], vcc
	s_cbranch_execz .LBB86_40
; %bb.33:                               ;   in Loop: Header=BB86_16 Depth=2
	v_xor_b32_e32 v0, -1, v5
	v_lshrrev_b32_sdwa v0, s83, v0 dst_sel:DWORD dst_unused:UNUSED_PAD src0_sel:DWORD src1_sel:BYTE_0
	v_and_b32_e32 v0, s84, v0
	v_lshlrev_b32_e32 v1, 2, v27
	v_lshl_or_b32 v0, v0, 4, v1
	ds_add_u32 v0, v63
	s_or_b64 exec, exec, s[16:17]
	v_cmp_lt_u32_e32 vcc, v24, v13
	s_and_saveexec_b64 s[16:17], vcc
	s_cbranch_execnz .LBB86_41
.LBB86_34:                              ;   in Loop: Header=BB86_16 Depth=2
	s_or_b64 exec, exec, s[16:17]
	v_cmp_lt_u32_e32 vcc, v25, v13
	s_and_saveexec_b64 s[16:17], vcc
	s_cbranch_execz .LBB86_42
.LBB86_35:                              ;   in Loop: Header=BB86_16 Depth=2
	v_xor_b32_e32 v0, -1, v7
	v_lshrrev_b32_sdwa v0, s83, v0 dst_sel:DWORD dst_unused:UNUSED_PAD src0_sel:DWORD src1_sel:BYTE_0
	v_and_b32_e32 v0, s84, v0
	v_lshlrev_b32_e32 v1, 2, v27
	v_lshl_or_b32 v0, v0, 4, v1
	ds_add_u32 v0, v63
	s_or_b64 exec, exec, s[16:17]
	v_cmp_lt_u32_e32 vcc, v26, v13
	s_and_saveexec_b64 s[16:17], vcc
	s_cbranch_execnz .LBB86_43
.LBB86_36:                              ;   in Loop: Header=BB86_16 Depth=2
	s_or_b64 exec, exec, s[16:17]
	v_cmp_lt_u32_e32 vcc, v30, v13
	s_and_saveexec_b64 s[16:17], vcc
	s_cbranch_execz .LBB86_44
.LBB86_37:                              ;   in Loop: Header=BB86_16 Depth=2
	v_xor_b32_e32 v0, -1, v9
	v_lshrrev_b32_sdwa v0, s83, v0 dst_sel:DWORD dst_unused:UNUSED_PAD src0_sel:DWORD src1_sel:BYTE_0
	v_and_b32_e32 v0, s84, v0
	v_lshlrev_b32_e32 v1, 2, v27
	v_lshl_or_b32 v0, v0, 4, v1
	ds_add_u32 v0, v63
	s_or_b64 exec, exec, s[16:17]
	v_cmp_lt_u32_e32 vcc, v31, v13
	s_and_saveexec_b64 s[16:17], vcc
	s_cbranch_execnz .LBB86_45
.LBB86_38:                              ;   in Loop: Header=BB86_16 Depth=2
	s_or_b64 exec, exec, s[16:17]
	v_cmp_lt_u32_e32 vcc, v32, v13
	s_and_saveexec_b64 s[16:17], vcc
	s_cbranch_execz .LBB86_46
.LBB86_39:                              ;   in Loop: Header=BB86_16 Depth=2
	v_xor_b32_e32 v0, -1, v11
	v_lshrrev_b32_sdwa v0, s83, v0 dst_sel:DWORD dst_unused:UNUSED_PAD src0_sel:DWORD src1_sel:BYTE_0
	v_and_b32_e32 v0, s84, v0
	v_lshlrev_b32_e32 v1, 2, v27
	v_lshl_or_b32 v0, v0, 4, v1
	ds_add_u32 v0, v63
	s_or_b64 exec, exec, s[16:17]
	v_cmp_lt_u32_e32 vcc, v33, v13
	s_and_saveexec_b64 s[16:17], vcc
	s_cbranch_execz .LBB86_15
	s_branch .LBB86_47
.LBB86_40:                              ;   in Loop: Header=BB86_16 Depth=2
	s_or_b64 exec, exec, s[16:17]
	v_cmp_lt_u32_e32 vcc, v24, v13
	s_and_saveexec_b64 s[16:17], vcc
	s_cbranch_execz .LBB86_34
.LBB86_41:                              ;   in Loop: Header=BB86_16 Depth=2
	v_xor_b32_e32 v0, -1, v6
	v_lshrrev_b32_sdwa v0, s83, v0 dst_sel:DWORD dst_unused:UNUSED_PAD src0_sel:DWORD src1_sel:BYTE_0
	v_and_b32_e32 v0, s84, v0
	v_lshlrev_b32_e32 v1, 2, v27
	v_lshl_or_b32 v0, v0, 4, v1
	ds_add_u32 v0, v63
	s_or_b64 exec, exec, s[16:17]
	v_cmp_lt_u32_e32 vcc, v25, v13
	s_and_saveexec_b64 s[16:17], vcc
	s_cbranch_execnz .LBB86_35
.LBB86_42:                              ;   in Loop: Header=BB86_16 Depth=2
	s_or_b64 exec, exec, s[16:17]
	v_cmp_lt_u32_e32 vcc, v26, v13
	s_and_saveexec_b64 s[16:17], vcc
	s_cbranch_execz .LBB86_36
.LBB86_43:                              ;   in Loop: Header=BB86_16 Depth=2
	v_xor_b32_e32 v0, -1, v8
	v_lshrrev_b32_sdwa v0, s83, v0 dst_sel:DWORD dst_unused:UNUSED_PAD src0_sel:DWORD src1_sel:BYTE_0
	v_and_b32_e32 v0, s84, v0
	v_lshlrev_b32_e32 v1, 2, v27
	v_lshl_or_b32 v0, v0, 4, v1
	ds_add_u32 v0, v63
	s_or_b64 exec, exec, s[16:17]
	v_cmp_lt_u32_e32 vcc, v30, v13
	s_and_saveexec_b64 s[16:17], vcc
	s_cbranch_execnz .LBB86_37
.LBB86_44:                              ;   in Loop: Header=BB86_16 Depth=2
	s_or_b64 exec, exec, s[16:17]
	v_cmp_lt_u32_e32 vcc, v31, v13
	s_and_saveexec_b64 s[16:17], vcc
	s_cbranch_execz .LBB86_38
.LBB86_45:                              ;   in Loop: Header=BB86_16 Depth=2
	v_xor_b32_e32 v0, -1, v10
	v_lshrrev_b32_sdwa v0, s83, v0 dst_sel:DWORD dst_unused:UNUSED_PAD src0_sel:DWORD src1_sel:BYTE_0
	v_and_b32_e32 v0, s84, v0
	v_lshlrev_b32_e32 v1, 2, v27
	v_lshl_or_b32 v0, v0, 4, v1
	ds_add_u32 v0, v63
	s_or_b64 exec, exec, s[16:17]
	v_cmp_lt_u32_e32 vcc, v32, v13
	s_and_saveexec_b64 s[16:17], vcc
	s_cbranch_execnz .LBB86_39
.LBB86_46:                              ;   in Loop: Header=BB86_16 Depth=2
	s_or_b64 exec, exec, s[16:17]
	v_cmp_lt_u32_e32 vcc, v33, v13
	s_and_saveexec_b64 s[16:17], vcc
	s_cbranch_execz .LBB86_15
.LBB86_47:                              ;   in Loop: Header=BB86_16 Depth=2
	s_waitcnt vmcnt(0)
	v_xor_b32_e32 v0, -1, v12
	v_lshrrev_b32_sdwa v0, s83, v0 dst_sel:DWORD dst_unused:UNUSED_PAD src0_sel:DWORD src1_sel:BYTE_0
	v_and_b32_e32 v0, s84, v0
	v_lshlrev_b32_e32 v1, 2, v27
	v_lshl_or_b32 v0, v0, 4, v1
	ds_add_u32 v0, v63
	s_branch .LBB86_15
.LBB86_48:                              ;   in Loop: Header=BB86_16 Depth=2
	s_or_b64 exec, exec, s[18:19]
	v_cmp_gt_u32_e32 vcc, s20, v24
	s_and_saveexec_b64 s[18:19], vcc
	s_cbranch_execz .LBB86_22
.LBB86_49:                              ;   in Loop: Header=BB86_16 Depth=2
	v_mov_b32_e32 v1, s24
	v_add_co_u32_e32 v0, vcc, s23, v2
	v_addc_co_u32_e32 v1, vcc, 0, v1, vcc
	global_load_ubyte v6, v[0:1], off offset:256
	s_or_b64 exec, exec, s[18:19]
	v_cmp_gt_u32_e32 vcc, s20, v25
	s_and_saveexec_b64 s[18:19], vcc
	s_cbranch_execnz .LBB86_23
.LBB86_50:                              ;   in Loop: Header=BB86_16 Depth=2
	s_or_b64 exec, exec, s[18:19]
	v_cmp_gt_u32_e32 vcc, s20, v26
	s_and_saveexec_b64 s[18:19], vcc
	s_cbranch_execz .LBB86_24
.LBB86_51:                              ;   in Loop: Header=BB86_16 Depth=2
	v_mov_b32_e32 v1, s24
	v_add_co_u32_e32 v0, vcc, s23, v2
	v_addc_co_u32_e32 v1, vcc, 0, v1, vcc
	global_load_ubyte v8, v[0:1], off offset:768
	s_or_b64 exec, exec, s[18:19]
	v_cmp_gt_u32_e32 vcc, s20, v30
	s_and_saveexec_b64 s[18:19], vcc
	s_cbranch_execnz .LBB86_25
.LBB86_52:                              ;   in Loop: Header=BB86_16 Depth=2
	s_or_b64 exec, exec, s[18:19]
	v_cmp_gt_u32_e32 vcc, s20, v31
	s_and_saveexec_b64 s[18:19], vcc
	s_cbranch_execz .LBB86_26
.LBB86_53:                              ;   in Loop: Header=BB86_16 Depth=2
	v_mov_b32_e32 v1, s24
	v_add_co_u32_e32 v0, vcc, s23, v2
	v_addc_co_u32_e32 v1, vcc, 0, v1, vcc
	global_load_ubyte v10, v[0:1], off offset:1280
	s_or_b64 exec, exec, s[18:19]
	v_cmp_gt_u32_e32 vcc, s20, v32
	s_and_saveexec_b64 s[18:19], vcc
	s_cbranch_execz .LBB86_28
	s_branch .LBB86_27
.LBB86_54:                              ;   in Loop: Header=BB86_12 Depth=1
	v_mov_b32_e32 v0, 0
	s_waitcnt lgkmcnt(0)
	s_barrier
	s_and_saveexec_b64 s[16:17], s[4:5]
	s_cbranch_execz .LBB86_56
; %bb.55:                               ;   in Loop: Header=BB86_12 Depth=1
	ds_read2_b64 v[6:9], v34 offset1:1
	s_waitcnt lgkmcnt(0)
	v_add_u32_e32 v0, v7, v6
	v_add3_u32 v0, v0, v8, v9
.LBB86_56:                              ;   in Loop: Header=BB86_12 Depth=1
	s_or_b64 exec, exec, s[16:17]
	v_and_b32_e32 v1, 15, v64
	v_mov_b32_dpp v5, v0 row_shr:1 row_mask:0xf bank_mask:0xf
	v_cmp_eq_u32_e64 s[16:17], 0, v1
	v_cndmask_b32_e64 v5, v5, 0, s[16:17]
	v_add_u32_e32 v0, v5, v0
	v_cmp_lt_u32_e64 s[18:19], 1, v1
	v_cmp_lt_u32_e64 s[20:21], 3, v1
	v_mov_b32_dpp v5, v0 row_shr:2 row_mask:0xf bank_mask:0xf
	v_cndmask_b32_e64 v5, 0, v5, s[18:19]
	v_add_u32_e32 v0, v0, v5
	v_cmp_lt_u32_e64 s[22:23], 7, v1
	v_cmp_lt_u32_e64 s[26:27], 31, v64
	v_mov_b32_dpp v5, v0 row_shr:4 row_mask:0xf bank_mask:0xf
	v_cndmask_b32_e64 v5, 0, v5, s[20:21]
	v_add_u32_e32 v0, v0, v5
	v_and_b32_e32 v6, 16, v64
	v_cmp_eq_u32_e64 s[24:25], 0, v6
	v_mov_b32_dpp v5, v0 row_shr:8 row_mask:0xf bank_mask:0xf
	v_cndmask_b32_e64 v1, 0, v5, s[22:23]
	v_add_u32_e32 v0, v0, v1
	v_bfe_i32 v5, v64, 4, 1
	s_nop 0
	v_mov_b32_dpp v1, v0 row_bcast:15 row_mask:0xf bank_mask:0xf
	v_and_b32_e32 v1, v5, v1
	v_add_u32_e32 v0, v0, v1
	s_nop 1
	v_mov_b32_dpp v1, v0 row_bcast:31 row_mask:0xf bank_mask:0xf
	v_cndmask_b32_e64 v1, 0, v1, s[26:27]
	v_add_u32_e32 v1, v0, v1
	s_and_saveexec_b64 s[28:29], s[6:7]
	s_cbranch_execz .LBB86_58
; %bb.57:                               ;   in Loop: Header=BB86_12 Depth=1
	ds_write_b32 v36, v1
.LBB86_58:                              ;   in Loop: Header=BB86_12 Depth=1
	s_or_b64 exec, exec, s[28:29]
	v_and_b32_e32 v0, 3, v64
	s_waitcnt lgkmcnt(0)
	s_barrier
	s_and_saveexec_b64 s[28:29], s[8:9]
	s_cbranch_execz .LBB86_60
; %bb.59:                               ;   in Loop: Header=BB86_12 Depth=1
	ds_read_b32 v5, v37
	v_cmp_ne_u32_e32 vcc, 0, v0
	s_waitcnt lgkmcnt(0)
	v_mov_b32_dpp v6, v5 row_shr:1 row_mask:0xf bank_mask:0xf
	v_cndmask_b32_e32 v6, 0, v6, vcc
	v_add_u32_e32 v5, v6, v5
	v_cmp_lt_u32_e32 vcc, 1, v0
	s_nop 0
	v_mov_b32_dpp v6, v5 row_shr:2 row_mask:0xf bank_mask:0xf
	v_cndmask_b32_e32 v6, 0, v6, vcc
	v_add_u32_e32 v5, v5, v6
	ds_write_b32 v37, v5
.LBB86_60:                              ;   in Loop: Header=BB86_12 Depth=1
	s_or_b64 exec, exec, s[28:29]
	v_mov_b32_e32 v5, 0
	s_waitcnt lgkmcnt(0)
	s_barrier
	s_and_saveexec_b64 s[28:29], s[10:11]
	s_cbranch_execz .LBB86_62
; %bb.61:                               ;   in Loop: Header=BB86_12 Depth=1
	ds_read_b32 v5, v38
.LBB86_62:                              ;   in Loop: Header=BB86_12 Depth=1
	s_or_b64 exec, exec, s[28:29]
	v_add_u32_e32 v6, -1, v64
	v_and_b32_e32 v7, 64, v64
	v_cmp_lt_i32_e32 vcc, v6, v7
	v_cndmask_b32_e32 v6, v6, v64, vcc
	s_waitcnt lgkmcnt(0)
	v_add_u32_e32 v1, v5, v1
	v_lshlrev_b32_e32 v66, 2, v6
	ds_bpermute_b32 v1, v66, v1
	v_cmp_eq_u32_e64 s[28:29], 0, v64
	s_waitcnt lgkmcnt(0)
	s_barrier
	s_and_saveexec_b64 s[30:31], s[4:5]
	s_cbranch_execz .LBB86_64
; %bb.63:                               ;   in Loop: Header=BB86_12 Depth=1
	v_cndmask_b32_e64 v1, v1, v5, s[28:29]
	v_add_u32_e32 v1, s51, v1
	ds_write_b32 v3, v1
.LBB86_64:                              ;   in Loop: Header=BB86_12 Depth=1
	s_or_b64 exec, exec, s[30:31]
	s_load_dword s30, s[74:75], 0x4
	s_load_dword s36, s[74:75], 0xc
	s_waitcnt vmcnt(6)
	v_and_b32_e32 v20, 63, v64
	v_add_co_u32_e32 v75, vcc, v48, v20
	s_waitcnt lgkmcnt(0)
	s_cmp_lt_u32 s33, s30
	s_cselect_b32 s30, 14, 20
	s_add_u32 s30, s74, s30
	s_addc_u32 s31, s75, 0
	global_load_ushort v5, v4, s[30:31]
	v_lshlrev_b32_e32 v21, 3, v20
	v_addc_co_u32_e32 v77, vcc, 0, v49, vcc
	v_add_co_u32_e32 v78, vcc, v46, v21
	v_addc_co_u32_e32 v79, vcc, 0, v47, vcc
	s_and_b32 s36, s36, 0xffff
	v_or_b32_e32 v73, v20, v39
	v_add_co_u32_e32 v87, vcc, 0x1c0, v75
	v_cmp_eq_u32_e64 s[30:31], 0, v0
	v_cmp_lt_u32_e64 s[34:35], 1, v0
	s_mov_b32 s85, s71
	v_or_b32_e32 v80, 64, v73
	v_or_b32_e32 v81, 0x80, v73
	;; [unrolled: 1-line block ×7, first 2 shown]
	v_addc_co_u32_e32 v88, vcc, 0, v77, vcc
	s_mov_b32 s72, s51
                                        ; implicit-def: $vgpr0_vgpr1
                                        ; implicit-def: $vgpr6_vgpr7
                                        ; implicit-def: $vgpr8_vgpr9
                                        ; implicit-def: $vgpr10_vgpr11
                                        ; implicit-def: $vgpr12_vgpr13
                                        ; implicit-def: $vgpr14_vgpr15
                                        ; implicit-def: $vgpr16_vgpr17
                                        ; implicit-def: $vgpr18_vgpr19
                                        ; implicit-def: $vgpr67
                                        ; implicit-def: $vgpr68
                                        ; implicit-def: $vgpr69
                                        ; implicit-def: $vgpr70
                                        ; implicit-def: $vgpr71
                                        ; implicit-def: $vgpr72
                                        ; implicit-def: $vgpr74
                                        ; implicit-def: $vgpr76
	s_waitcnt vmcnt(0)
	v_mad_u32_u24 v5, v40, v5, v41
	v_mad_u64_u32 v[20:21], s[36:37], v5, s36, v[2:3]
	v_lshrrev_b32_e32 v89, 6, v20
	s_branch .LBB86_66
.LBB86_65:                              ;   in Loop: Header=BB86_66 Depth=2
	s_or_b64 exec, exec, s[36:37]
	s_addk_i32 s85, 0xf800
	s_cmp_lt_u32 s86, s76
	s_mov_b32 s72, s86
	s_cbranch_scc0 .LBB86_178
.LBB86_66:                              ;   Parent Loop BB86_12 Depth=1
                                        ; =>  This Inner Loop Header: Depth=2
	s_add_i32 s86, s72, 0x800
	s_cmp_gt_u32 s86, s76
	s_cbranch_scc1 .LBB86_68
; %bb.67:                               ;   in Loop: Header=BB86_66 Depth=2
	v_add_co_u32_e32 v20, vcc, s72, v75
	v_addc_co_u32_e32 v21, vcc, 0, v77, vcc
	global_load_ubyte v5, v[20:21], off offset:64
	global_load_ubyte v22, v[20:21], off offset:192
	;; [unrolled: 1-line block ×3, first 2 shown]
	global_load_ubyte v90, v[20:21], off
	global_load_ubyte v91, v[20:21], off offset:128
	global_load_ubyte v92, v[20:21], off offset:256
	s_nop 0
	global_load_ubyte v21, v[20:21], off offset:384
	s_mov_b64 s[36:37], -1
	s_movk_i32 s40, 0x800
	s_waitcnt vmcnt(6)
	v_lshlrev_b16_e32 v5, 8, v5
	s_waitcnt vmcnt(5)
	v_lshlrev_b16_e32 v20, 8, v22
	;; [unrolled: 2-line block ×3, first 2 shown]
	s_waitcnt vmcnt(3)
	v_or_b32_e32 v5, v90, v5
	s_waitcnt vmcnt(2)
	v_or_b32_sdwa v20, v91, v20 dst_sel:WORD_1 dst_unused:UNUSED_PAD src0_sel:DWORD src1_sel:DWORD
	s_waitcnt vmcnt(1)
	v_or_b32_e32 v22, v92, v22
	v_or_b32_sdwa v20, v5, v20 dst_sel:DWORD dst_unused:UNUSED_PAD src0_sel:WORD_0 src1_sel:DWORD
	v_and_b32_e32 v5, 0xffff, v22
	s_waitcnt vmcnt(0)
	v_lshl_or_b32 v21, v21, 16, v5
	s_cbranch_execz .LBB86_69
	s_branch .LBB86_78
.LBB86_68:                              ;   in Loop: Header=BB86_66 Depth=2
	s_mov_b64 s[36:37], 0
                                        ; implicit-def: $sgpr40
                                        ; implicit-def: $vgpr20_vgpr21
.LBB86_69:                              ;   in Loop: Header=BB86_66 Depth=2
	v_add_co_u32_e32 v22, vcc, s72, v75
	v_addc_co_u32_e32 v23, vcc, 0, v77, vcc
	s_mov_b32 s36, s73
	s_mov_b32 s37, s73
	v_cmp_gt_u32_e32 vcc, s85, v73
	v_pk_mov_b32 v[20:21], s[36:37], s[36:37] op_sel:[0,1]
	s_and_saveexec_b64 s[36:37], vcc
	s_cbranch_execz .LBB86_172
; %bb.70:                               ;   in Loop: Header=BB86_66 Depth=2
	global_load_ubyte v5, v[22:23], off
	v_mov_b32_e32 v21, s73
	s_waitcnt vmcnt(0)
	v_and_b32_e32 v20, 0xffff, v5
	s_or_b64 exec, exec, s[36:37]
	v_cmp_gt_u32_e32 vcc, s85, v80
	s_and_saveexec_b64 s[36:37], vcc
	s_cbranch_execnz .LBB86_173
.LBB86_71:                              ;   in Loop: Header=BB86_66 Depth=2
	s_or_b64 exec, exec, s[36:37]
	v_cmp_gt_u32_e32 vcc, s85, v81
	s_and_saveexec_b64 s[36:37], vcc
	s_cbranch_execz .LBB86_174
.LBB86_72:                              ;   in Loop: Header=BB86_66 Depth=2
	global_load_ubyte v5, v[22:23], off offset:128
	v_and_b32_sdwa v90, v20, s79 dst_sel:DWORD dst_unused:UNUSED_PAD src0_sel:WORD_1 src1_sel:DWORD
	s_waitcnt vmcnt(0)
	v_or_b32_sdwa v5, v5, v90 dst_sel:WORD_1 dst_unused:UNUSED_PAD src0_sel:DWORD src1_sel:DWORD
	v_and_or_b32 v20, v20, s77, v5
	s_or_b64 exec, exec, s[36:37]
	v_cmp_gt_u32_e32 vcc, s85, v82
	s_and_saveexec_b64 s[36:37], vcc
	s_cbranch_execnz .LBB86_175
.LBB86_73:                              ;   in Loop: Header=BB86_66 Depth=2
	s_or_b64 exec, exec, s[36:37]
	v_cmp_gt_u32_e32 vcc, s85, v83
	s_and_saveexec_b64 s[36:37], vcc
	s_cbranch_execz .LBB86_176
.LBB86_74:                              ;   in Loop: Header=BB86_66 Depth=2
	global_load_ubyte v5, v[22:23], off offset:256
	s_waitcnt vmcnt(0)
	v_perm_b32 v21, v5, v21, s80
	s_or_b64 exec, exec, s[36:37]
	v_cmp_gt_u32_e32 vcc, s85, v84
	s_and_saveexec_b64 s[36:37], vcc
	s_cbranch_execnz .LBB86_177
.LBB86_75:                              ;   in Loop: Header=BB86_66 Depth=2
	s_or_b64 exec, exec, s[36:37]
	v_cmp_gt_u32_e32 vcc, s85, v85
	s_and_saveexec_b64 s[36:37], vcc
	s_cbranch_execz .LBB86_77
.LBB86_76:                              ;   in Loop: Header=BB86_66 Depth=2
	global_load_ubyte v5, v[22:23], off offset:384
	s_waitcnt vmcnt(0)
	v_perm_b32 v21, v21, v5, s81
.LBB86_77:                              ;   in Loop: Header=BB86_66 Depth=2
	s_or_b64 exec, exec, s[36:37]
	s_sub_i32 s40, s76, s72
	v_cmp_gt_u32_e64 s[36:37], s85, v86
.LBB86_78:                              ;   in Loop: Header=BB86_66 Depth=2
	v_mov_b32_e32 v90, s85
	s_and_saveexec_b64 s[38:39], s[36:37]
	s_cbranch_execz .LBB86_80
; %bb.79:                               ;   in Loop: Header=BB86_66 Depth=2
	v_mov_b32_e32 v5, s73
	v_add_co_u32_e32 v22, vcc, s72, v87
	v_addc_co_u32_e32 v23, vcc, v88, v5, vcc
	global_load_ubyte v5, v[22:23], off
	v_mov_b32_e32 v90, s40
	s_waitcnt vmcnt(0)
	v_perm_b32 v21, v21, v5, s82
.LBB86_80:                              ;   in Loop: Header=BB86_66 Depth=2
	s_or_b64 exec, exec, s[38:39]
	v_xor_b32_e32 v91, -1, v20
	v_add_u32_e32 v5, 0x410, v42
	ds_write2_b32 v5, v4, v4 offset1:1
	ds_write2_b32 v44, v4, v4 offset0:2 offset1:3
	ds_write_b32 v44, v4 offset:16
	v_lshrrev_b32_sdwa v5, s83, v91 dst_sel:DWORD dst_unused:UNUSED_PAD src0_sel:DWORD src1_sel:BYTE_0
	v_and_b32_e32 v22, s84, v5
	v_mad_u32_u24 v5, v22, 5, v89
	v_lshl_add_u32 v92, v5, 2, v43
	v_and_b32_e32 v5, 1, v22
	v_add_co_u32_e32 v23, vcc, -1, v5
	v_addc_co_u32_e64 v93, s[36:37], 0, -1, vcc
	v_cmp_ne_u32_e32 vcc, 0, v5
	v_xor_b32_e32 v5, vcc_hi, v93
	v_and_b32_e32 v93, exec_hi, v5
	v_lshlrev_b32_e32 v5, 30, v22
	v_xor_b32_e32 v23, vcc_lo, v23
	v_cmp_gt_i64_e32 vcc, 0, v[4:5]
	v_not_b32_e32 v5, v5
	v_ashrrev_i32_e32 v5, 31, v5
	v_and_b32_e32 v23, exec_lo, v23
	v_xor_b32_e32 v94, vcc_hi, v5
	v_xor_b32_e32 v5, vcc_lo, v5
	v_and_b32_e32 v23, v23, v5
	v_lshlrev_b32_e32 v5, 29, v22
	v_cmp_gt_i64_e32 vcc, 0, v[4:5]
	v_not_b32_e32 v5, v5
	v_ashrrev_i32_e32 v5, 31, v5
	v_and_b32_e32 v93, v93, v94
	v_xor_b32_e32 v94, vcc_hi, v5
	v_xor_b32_e32 v5, vcc_lo, v5
	v_and_b32_e32 v23, v23, v5
	v_lshlrev_b32_e32 v5, 28, v22
	v_cmp_gt_i64_e32 vcc, 0, v[4:5]
	v_not_b32_e32 v5, v5
	v_ashrrev_i32_e32 v5, 31, v5
	v_and_b32_e32 v93, v93, v94
	;; [unrolled: 8-line block ×5, first 2 shown]
	v_xor_b32_e32 v94, vcc_hi, v5
	v_xor_b32_e32 v5, vcc_lo, v5
	v_and_b32_e32 v93, v93, v94
	v_and_b32_e32 v94, v23, v5
	v_lshlrev_b32_e32 v5, 24, v22
	v_cmp_gt_i64_e32 vcc, 0, v[4:5]
	v_not_b32_e32 v5, v5
	v_ashrrev_i32_e32 v5, 31, v5
	v_xor_b32_e32 v22, vcc_hi, v5
	v_xor_b32_e32 v5, vcc_lo, v5
	v_and_b32_e32 v23, v93, v22
	v_and_b32_e32 v22, v94, v5
	v_mbcnt_lo_u32_b32 v5, v22, 0
	v_mbcnt_hi_u32_b32 v93, v23, v5
	v_cmp_eq_u32_e32 vcc, 0, v93
	v_cmp_ne_u64_e64 s[36:37], 0, v[22:23]
	s_and_b64 s[38:39], s[36:37], vcc
	s_waitcnt lgkmcnt(0)
	s_barrier
	s_waitcnt lgkmcnt(0)
	; wave barrier
	s_and_saveexec_b64 s[36:37], s[38:39]
	s_cbranch_execz .LBB86_82
; %bb.81:                               ;   in Loop: Header=BB86_66 Depth=2
	v_bcnt_u32_b32 v5, v22, 0
	v_bcnt_u32_b32 v5, v23, v5
	ds_write_b32 v92, v5
.LBB86_82:                              ;   in Loop: Header=BB86_66 Depth=2
	s_or_b64 exec, exec, s[36:37]
	v_lshrrev_b32_e32 v5, 8, v20
	v_xor_b32_e32 v94, -1, v5
	v_lshrrev_b32_sdwa v5, s83, v94 dst_sel:DWORD dst_unused:UNUSED_PAD src0_sel:DWORD src1_sel:BYTE_0
	v_and_b32_e32 v22, s84, v5
	v_mul_u32_u24_e32 v5, 5, v22
	v_add_lshl_u32 v5, v5, v89, 2
	; wave barrier
	v_add_u32_e32 v96, 0x410, v5
	ds_read_b32 v95, v5 offset:1040
	v_and_b32_e32 v5, 1, v22
	v_add_co_u32_e32 v23, vcc, -1, v5
	v_addc_co_u32_e64 v97, s[36:37], 0, -1, vcc
	v_cmp_ne_u32_e32 vcc, 0, v5
	v_xor_b32_e32 v5, vcc_hi, v97
	v_and_b32_e32 v97, exec_hi, v5
	v_lshlrev_b32_e32 v5, 30, v22
	v_xor_b32_e32 v23, vcc_lo, v23
	v_cmp_gt_i64_e32 vcc, 0, v[4:5]
	v_not_b32_e32 v5, v5
	v_ashrrev_i32_e32 v5, 31, v5
	v_and_b32_e32 v23, exec_lo, v23
	v_xor_b32_e32 v98, vcc_hi, v5
	v_xor_b32_e32 v5, vcc_lo, v5
	v_and_b32_e32 v23, v23, v5
	v_lshlrev_b32_e32 v5, 29, v22
	v_cmp_gt_i64_e32 vcc, 0, v[4:5]
	v_not_b32_e32 v5, v5
	v_ashrrev_i32_e32 v5, 31, v5
	v_and_b32_e32 v97, v97, v98
	v_xor_b32_e32 v98, vcc_hi, v5
	v_xor_b32_e32 v5, vcc_lo, v5
	v_and_b32_e32 v23, v23, v5
	v_lshlrev_b32_e32 v5, 28, v22
	v_cmp_gt_i64_e32 vcc, 0, v[4:5]
	v_not_b32_e32 v5, v5
	v_ashrrev_i32_e32 v5, 31, v5
	v_and_b32_e32 v97, v97, v98
	;; [unrolled: 8-line block ×5, first 2 shown]
	v_xor_b32_e32 v98, vcc_hi, v5
	v_xor_b32_e32 v5, vcc_lo, v5
	v_and_b32_e32 v97, v97, v98
	v_and_b32_e32 v98, v23, v5
	v_lshlrev_b32_e32 v5, 24, v22
	v_cmp_gt_i64_e32 vcc, 0, v[4:5]
	v_not_b32_e32 v5, v5
	v_ashrrev_i32_e32 v5, 31, v5
	v_xor_b32_e32 v22, vcc_hi, v5
	v_xor_b32_e32 v5, vcc_lo, v5
	v_and_b32_e32 v23, v97, v22
	v_and_b32_e32 v22, v98, v5
	v_mbcnt_lo_u32_b32 v5, v22, 0
	v_mbcnt_hi_u32_b32 v97, v23, v5
	v_cmp_eq_u32_e32 vcc, 0, v97
	v_cmp_ne_u64_e64 s[36:37], 0, v[22:23]
	s_and_b64 s[38:39], s[36:37], vcc
	; wave barrier
	s_and_saveexec_b64 s[36:37], s[38:39]
	s_cbranch_execz .LBB86_84
; %bb.83:                               ;   in Loop: Header=BB86_66 Depth=2
	v_bcnt_u32_b32 v5, v22, 0
	v_bcnt_u32_b32 v5, v23, v5
	s_waitcnt lgkmcnt(0)
	v_add_u32_e32 v5, v95, v5
	ds_write_b32 v96, v5
.LBB86_84:                              ;   in Loop: Header=BB86_66 Depth=2
	s_or_b64 exec, exec, s[36:37]
	v_xor_b32_sdwa v98, v20, v65 dst_sel:DWORD dst_unused:UNUSED_PAD src0_sel:WORD_1 src1_sel:DWORD
	v_lshrrev_b32_sdwa v5, s83, v98 dst_sel:DWORD dst_unused:UNUSED_PAD src0_sel:DWORD src1_sel:BYTE_0
	v_and_b32_e32 v22, s84, v5
	v_mul_u32_u24_e32 v5, 5, v22
	v_add_lshl_u32 v5, v5, v89, 2
	; wave barrier
	v_add_u32_e32 v100, 0x410, v5
	ds_read_b32 v99, v5 offset:1040
	v_and_b32_e32 v5, 1, v22
	v_add_co_u32_e32 v23, vcc, -1, v5
	v_addc_co_u32_e64 v101, s[36:37], 0, -1, vcc
	v_cmp_ne_u32_e32 vcc, 0, v5
	v_xor_b32_e32 v5, vcc_hi, v101
	v_and_b32_e32 v101, exec_hi, v5
	v_lshlrev_b32_e32 v5, 30, v22
	v_xor_b32_e32 v23, vcc_lo, v23
	v_cmp_gt_i64_e32 vcc, 0, v[4:5]
	v_not_b32_e32 v5, v5
	v_ashrrev_i32_e32 v5, 31, v5
	v_and_b32_e32 v23, exec_lo, v23
	v_xor_b32_e32 v102, vcc_hi, v5
	v_xor_b32_e32 v5, vcc_lo, v5
	v_and_b32_e32 v23, v23, v5
	v_lshlrev_b32_e32 v5, 29, v22
	v_cmp_gt_i64_e32 vcc, 0, v[4:5]
	v_not_b32_e32 v5, v5
	v_ashrrev_i32_e32 v5, 31, v5
	v_and_b32_e32 v101, v101, v102
	v_xor_b32_e32 v102, vcc_hi, v5
	v_xor_b32_e32 v5, vcc_lo, v5
	v_and_b32_e32 v23, v23, v5
	v_lshlrev_b32_e32 v5, 28, v22
	v_cmp_gt_i64_e32 vcc, 0, v[4:5]
	v_not_b32_e32 v5, v5
	v_ashrrev_i32_e32 v5, 31, v5
	v_and_b32_e32 v101, v101, v102
	v_xor_b32_e32 v102, vcc_hi, v5
	v_xor_b32_e32 v5, vcc_lo, v5
	v_and_b32_e32 v23, v23, v5
	v_lshlrev_b32_e32 v5, 27, v22
	v_cmp_gt_i64_e32 vcc, 0, v[4:5]
	v_not_b32_e32 v5, v5
	v_ashrrev_i32_e32 v5, 31, v5
	v_and_b32_e32 v101, v101, v102
	v_xor_b32_e32 v102, vcc_hi, v5
	v_xor_b32_e32 v5, vcc_lo, v5
	v_and_b32_e32 v23, v23, v5
	v_lshlrev_b32_e32 v5, 26, v22
	v_cmp_gt_i64_e32 vcc, 0, v[4:5]
	v_not_b32_e32 v5, v5
	v_ashrrev_i32_e32 v5, 31, v5
	v_and_b32_e32 v101, v101, v102
	v_xor_b32_e32 v102, vcc_hi, v5
	v_xor_b32_e32 v5, vcc_lo, v5
	v_and_b32_e32 v23, v23, v5
	v_lshlrev_b32_e32 v5, 25, v22
	v_cmp_gt_i64_e32 vcc, 0, v[4:5]
	v_not_b32_e32 v5, v5
	v_ashrrev_i32_e32 v5, 31, v5
	v_and_b32_e32 v101, v101, v102
	v_xor_b32_e32 v102, vcc_hi, v5
	v_xor_b32_e32 v5, vcc_lo, v5
	v_and_b32_e32 v101, v101, v102
	v_and_b32_e32 v102, v23, v5
	v_lshlrev_b32_e32 v5, 24, v22
	v_cmp_gt_i64_e32 vcc, 0, v[4:5]
	v_not_b32_e32 v5, v5
	v_ashrrev_i32_e32 v5, 31, v5
	v_xor_b32_e32 v22, vcc_hi, v5
	v_xor_b32_e32 v5, vcc_lo, v5
	v_and_b32_e32 v23, v101, v22
	v_and_b32_e32 v22, v102, v5
	v_mbcnt_lo_u32_b32 v5, v22, 0
	v_mbcnt_hi_u32_b32 v101, v23, v5
	v_cmp_eq_u32_e32 vcc, 0, v101
	v_cmp_ne_u64_e64 s[36:37], 0, v[22:23]
	s_and_b64 s[38:39], s[36:37], vcc
	; wave barrier
	s_and_saveexec_b64 s[36:37], s[38:39]
	s_cbranch_execz .LBB86_86
; %bb.85:                               ;   in Loop: Header=BB86_66 Depth=2
	v_bcnt_u32_b32 v5, v22, 0
	v_bcnt_u32_b32 v5, v23, v5
	s_waitcnt lgkmcnt(0)
	v_add_u32_e32 v5, v99, v5
	ds_write_b32 v100, v5
.LBB86_86:                              ;   in Loop: Header=BB86_66 Depth=2
	s_or_b64 exec, exec, s[36:37]
	v_lshrrev_b64 v[22:23], 24, v[20:21]
	v_xor_b32_e32 v102, -1, v22
	v_lshrrev_b32_sdwa v5, s83, v102 dst_sel:DWORD dst_unused:UNUSED_PAD src0_sel:DWORD src1_sel:BYTE_0
	v_and_b32_e32 v20, s84, v5
	v_mul_u32_u24_e32 v5, 5, v20
	v_add_lshl_u32 v5, v5, v89, 2
	; wave barrier
	v_add_u32_e32 v104, 0x410, v5
	ds_read_b32 v103, v5 offset:1040
	v_and_b32_e32 v5, 1, v20
	v_add_co_u32_e32 v22, vcc, -1, v5
	v_addc_co_u32_e64 v23, s[36:37], 0, -1, vcc
	v_cmp_ne_u32_e32 vcc, 0, v5
	v_xor_b32_e32 v5, vcc_hi, v23
	v_and_b32_e32 v23, exec_hi, v5
	v_lshlrev_b32_e32 v5, 30, v20
	v_xor_b32_e32 v22, vcc_lo, v22
	v_cmp_gt_i64_e32 vcc, 0, v[4:5]
	v_not_b32_e32 v5, v5
	v_ashrrev_i32_e32 v5, 31, v5
	v_and_b32_e32 v22, exec_lo, v22
	v_xor_b32_e32 v105, vcc_hi, v5
	v_xor_b32_e32 v5, vcc_lo, v5
	v_and_b32_e32 v22, v22, v5
	v_lshlrev_b32_e32 v5, 29, v20
	v_cmp_gt_i64_e32 vcc, 0, v[4:5]
	v_not_b32_e32 v5, v5
	v_ashrrev_i32_e32 v5, 31, v5
	v_and_b32_e32 v23, v23, v105
	v_xor_b32_e32 v105, vcc_hi, v5
	v_xor_b32_e32 v5, vcc_lo, v5
	v_and_b32_e32 v22, v22, v5
	v_lshlrev_b32_e32 v5, 28, v20
	v_cmp_gt_i64_e32 vcc, 0, v[4:5]
	v_not_b32_e32 v5, v5
	v_ashrrev_i32_e32 v5, 31, v5
	v_and_b32_e32 v23, v23, v105
	;; [unrolled: 8-line block ×5, first 2 shown]
	v_xor_b32_e32 v105, vcc_hi, v5
	v_xor_b32_e32 v5, vcc_lo, v5
	v_and_b32_e32 v22, v22, v5
	v_lshlrev_b32_e32 v5, 24, v20
	v_cmp_gt_i64_e32 vcc, 0, v[4:5]
	v_not_b32_e32 v5, v5
	v_ashrrev_i32_e32 v5, 31, v5
	v_xor_b32_e32 v20, vcc_hi, v5
	v_xor_b32_e32 v5, vcc_lo, v5
	v_and_b32_e32 v23, v23, v105
	v_and_b32_e32 v22, v22, v5
	;; [unrolled: 1-line block ×3, first 2 shown]
	v_mbcnt_lo_u32_b32 v5, v22, 0
	v_mbcnt_hi_u32_b32 v105, v23, v5
	v_cmp_eq_u32_e32 vcc, 0, v105
	v_cmp_ne_u64_e64 s[36:37], 0, v[22:23]
	s_and_b64 s[38:39], s[36:37], vcc
	; wave barrier
	s_and_saveexec_b64 s[36:37], s[38:39]
	s_cbranch_execz .LBB86_88
; %bb.87:                               ;   in Loop: Header=BB86_66 Depth=2
	v_bcnt_u32_b32 v5, v22, 0
	v_bcnt_u32_b32 v5, v23, v5
	s_waitcnt lgkmcnt(0)
	v_add_u32_e32 v5, v103, v5
	ds_write_b32 v104, v5
.LBB86_88:                              ;   in Loop: Header=BB86_66 Depth=2
	s_or_b64 exec, exec, s[36:37]
	v_xor_b32_e32 v106, -1, v21
	v_lshrrev_b32_sdwa v5, s83, v106 dst_sel:DWORD dst_unused:UNUSED_PAD src0_sel:DWORD src1_sel:BYTE_0
	v_and_b32_e32 v20, s84, v5
	v_mul_u32_u24_e32 v5, 5, v20
	v_add_lshl_u32 v5, v5, v89, 2
	; wave barrier
	v_add_u32_e32 v108, 0x410, v5
	ds_read_b32 v107, v5 offset:1040
	v_and_b32_e32 v5, 1, v20
	v_add_co_u32_e32 v22, vcc, -1, v5
	v_addc_co_u32_e64 v23, s[36:37], 0, -1, vcc
	v_cmp_ne_u32_e32 vcc, 0, v5
	v_xor_b32_e32 v5, vcc_hi, v23
	v_and_b32_e32 v23, exec_hi, v5
	v_lshlrev_b32_e32 v5, 30, v20
	v_xor_b32_e32 v22, vcc_lo, v22
	v_cmp_gt_i64_e32 vcc, 0, v[4:5]
	v_not_b32_e32 v5, v5
	v_ashrrev_i32_e32 v5, 31, v5
	v_and_b32_e32 v22, exec_lo, v22
	v_xor_b32_e32 v109, vcc_hi, v5
	v_xor_b32_e32 v5, vcc_lo, v5
	v_and_b32_e32 v22, v22, v5
	v_lshlrev_b32_e32 v5, 29, v20
	v_cmp_gt_i64_e32 vcc, 0, v[4:5]
	v_not_b32_e32 v5, v5
	v_ashrrev_i32_e32 v5, 31, v5
	v_and_b32_e32 v23, v23, v109
	v_xor_b32_e32 v109, vcc_hi, v5
	v_xor_b32_e32 v5, vcc_lo, v5
	v_and_b32_e32 v22, v22, v5
	v_lshlrev_b32_e32 v5, 28, v20
	v_cmp_gt_i64_e32 vcc, 0, v[4:5]
	v_not_b32_e32 v5, v5
	v_ashrrev_i32_e32 v5, 31, v5
	v_and_b32_e32 v23, v23, v109
	;; [unrolled: 8-line block ×5, first 2 shown]
	v_xor_b32_e32 v109, vcc_hi, v5
	v_xor_b32_e32 v5, vcc_lo, v5
	v_and_b32_e32 v22, v22, v5
	v_lshlrev_b32_e32 v5, 24, v20
	v_cmp_gt_i64_e32 vcc, 0, v[4:5]
	v_not_b32_e32 v5, v5
	v_ashrrev_i32_e32 v5, 31, v5
	v_xor_b32_e32 v20, vcc_hi, v5
	v_xor_b32_e32 v5, vcc_lo, v5
	v_and_b32_e32 v23, v23, v109
	v_and_b32_e32 v22, v22, v5
	;; [unrolled: 1-line block ×3, first 2 shown]
	v_mbcnt_lo_u32_b32 v5, v22, 0
	v_mbcnt_hi_u32_b32 v109, v23, v5
	v_cmp_eq_u32_e32 vcc, 0, v109
	v_cmp_ne_u64_e64 s[36:37], 0, v[22:23]
	s_and_b64 s[38:39], s[36:37], vcc
	; wave barrier
	s_and_saveexec_b64 s[36:37], s[38:39]
	s_cbranch_execz .LBB86_90
; %bb.89:                               ;   in Loop: Header=BB86_66 Depth=2
	v_bcnt_u32_b32 v5, v22, 0
	v_bcnt_u32_b32 v5, v23, v5
	s_waitcnt lgkmcnt(0)
	v_add_u32_e32 v5, v107, v5
	ds_write_b32 v108, v5
.LBB86_90:                              ;   in Loop: Header=BB86_66 Depth=2
	s_or_b64 exec, exec, s[36:37]
	v_lshrrev_b32_e32 v5, 8, v21
	v_xor_b32_e32 v110, -1, v5
	v_lshrrev_b32_sdwa v5, s83, v110 dst_sel:DWORD dst_unused:UNUSED_PAD src0_sel:DWORD src1_sel:BYTE_0
	v_and_b32_e32 v20, s84, v5
	v_mul_u32_u24_e32 v5, 5, v20
	v_add_lshl_u32 v5, v5, v89, 2
	; wave barrier
	v_add_u32_e32 v112, 0x410, v5
	ds_read_b32 v111, v5 offset:1040
	v_and_b32_e32 v5, 1, v20
	v_add_co_u32_e32 v22, vcc, -1, v5
	v_addc_co_u32_e64 v23, s[36:37], 0, -1, vcc
	v_cmp_ne_u32_e32 vcc, 0, v5
	v_xor_b32_e32 v5, vcc_hi, v23
	v_and_b32_e32 v23, exec_hi, v5
	v_lshlrev_b32_e32 v5, 30, v20
	v_xor_b32_e32 v22, vcc_lo, v22
	v_cmp_gt_i64_e32 vcc, 0, v[4:5]
	v_not_b32_e32 v5, v5
	v_ashrrev_i32_e32 v5, 31, v5
	v_and_b32_e32 v22, exec_lo, v22
	v_xor_b32_e32 v113, vcc_hi, v5
	v_xor_b32_e32 v5, vcc_lo, v5
	v_and_b32_e32 v22, v22, v5
	v_lshlrev_b32_e32 v5, 29, v20
	v_cmp_gt_i64_e32 vcc, 0, v[4:5]
	v_not_b32_e32 v5, v5
	v_ashrrev_i32_e32 v5, 31, v5
	v_and_b32_e32 v23, v23, v113
	v_xor_b32_e32 v113, vcc_hi, v5
	v_xor_b32_e32 v5, vcc_lo, v5
	v_and_b32_e32 v22, v22, v5
	v_lshlrev_b32_e32 v5, 28, v20
	v_cmp_gt_i64_e32 vcc, 0, v[4:5]
	v_not_b32_e32 v5, v5
	v_ashrrev_i32_e32 v5, 31, v5
	v_and_b32_e32 v23, v23, v113
	v_xor_b32_e32 v113, vcc_hi, v5
	v_xor_b32_e32 v5, vcc_lo, v5
	v_and_b32_e32 v22, v22, v5
	v_lshlrev_b32_e32 v5, 27, v20
	v_cmp_gt_i64_e32 vcc, 0, v[4:5]
	v_not_b32_e32 v5, v5
	v_ashrrev_i32_e32 v5, 31, v5
	v_and_b32_e32 v23, v23, v113
	v_xor_b32_e32 v113, vcc_hi, v5
	v_xor_b32_e32 v5, vcc_lo, v5
	v_and_b32_e32 v22, v22, v5
	v_lshlrev_b32_e32 v5, 26, v20
	v_cmp_gt_i64_e32 vcc, 0, v[4:5]
	v_not_b32_e32 v5, v5
	v_ashrrev_i32_e32 v5, 31, v5
	v_and_b32_e32 v23, v23, v113
	v_xor_b32_e32 v113, vcc_hi, v5
	v_xor_b32_e32 v5, vcc_lo, v5
	v_and_b32_e32 v22, v22, v5
	v_lshlrev_b32_e32 v5, 25, v20
	v_cmp_gt_i64_e32 vcc, 0, v[4:5]
	v_not_b32_e32 v5, v5
	v_ashrrev_i32_e32 v5, 31, v5
	v_and_b32_e32 v23, v23, v113
	v_xor_b32_e32 v113, vcc_hi, v5
	v_xor_b32_e32 v5, vcc_lo, v5
	v_and_b32_e32 v22, v22, v5
	v_lshlrev_b32_e32 v5, 24, v20
	v_cmp_gt_i64_e32 vcc, 0, v[4:5]
	v_not_b32_e32 v5, v5
	v_ashrrev_i32_e32 v5, 31, v5
	v_xor_b32_e32 v20, vcc_hi, v5
	v_xor_b32_e32 v5, vcc_lo, v5
	v_and_b32_e32 v23, v23, v113
	v_and_b32_e32 v22, v22, v5
	;; [unrolled: 1-line block ×3, first 2 shown]
	v_mbcnt_lo_u32_b32 v5, v22, 0
	v_mbcnt_hi_u32_b32 v113, v23, v5
	v_cmp_eq_u32_e32 vcc, 0, v113
	v_cmp_ne_u64_e64 s[36:37], 0, v[22:23]
	s_and_b64 s[38:39], s[36:37], vcc
	; wave barrier
	s_and_saveexec_b64 s[36:37], s[38:39]
	s_cbranch_execz .LBB86_92
; %bb.91:                               ;   in Loop: Header=BB86_66 Depth=2
	v_bcnt_u32_b32 v5, v22, 0
	v_bcnt_u32_b32 v5, v23, v5
	s_waitcnt lgkmcnt(0)
	v_add_u32_e32 v5, v111, v5
	ds_write_b32 v112, v5
.LBB86_92:                              ;   in Loop: Header=BB86_66 Depth=2
	s_or_b64 exec, exec, s[36:37]
	v_xor_b32_sdwa v114, v21, v65 dst_sel:DWORD dst_unused:UNUSED_PAD src0_sel:WORD_1 src1_sel:DWORD
	v_lshrrev_b32_sdwa v5, s83, v114 dst_sel:DWORD dst_unused:UNUSED_PAD src0_sel:DWORD src1_sel:BYTE_0
	v_and_b32_e32 v20, s84, v5
	v_mul_u32_u24_e32 v5, 5, v20
	v_add_lshl_u32 v5, v5, v89, 2
	; wave barrier
	v_add_u32_e32 v116, 0x410, v5
	ds_read_b32 v115, v5 offset:1040
	v_and_b32_e32 v5, 1, v20
	v_add_co_u32_e32 v22, vcc, -1, v5
	v_addc_co_u32_e64 v23, s[36:37], 0, -1, vcc
	v_cmp_ne_u32_e32 vcc, 0, v5
	v_xor_b32_e32 v5, vcc_hi, v23
	v_and_b32_e32 v23, exec_hi, v5
	v_lshlrev_b32_e32 v5, 30, v20
	v_xor_b32_e32 v22, vcc_lo, v22
	v_cmp_gt_i64_e32 vcc, 0, v[4:5]
	v_not_b32_e32 v5, v5
	v_ashrrev_i32_e32 v5, 31, v5
	v_and_b32_e32 v22, exec_lo, v22
	v_xor_b32_e32 v117, vcc_hi, v5
	v_xor_b32_e32 v5, vcc_lo, v5
	v_and_b32_e32 v22, v22, v5
	v_lshlrev_b32_e32 v5, 29, v20
	v_cmp_gt_i64_e32 vcc, 0, v[4:5]
	v_not_b32_e32 v5, v5
	v_ashrrev_i32_e32 v5, 31, v5
	v_and_b32_e32 v23, v23, v117
	v_xor_b32_e32 v117, vcc_hi, v5
	v_xor_b32_e32 v5, vcc_lo, v5
	v_and_b32_e32 v22, v22, v5
	v_lshlrev_b32_e32 v5, 28, v20
	v_cmp_gt_i64_e32 vcc, 0, v[4:5]
	v_not_b32_e32 v5, v5
	v_ashrrev_i32_e32 v5, 31, v5
	v_and_b32_e32 v23, v23, v117
	;; [unrolled: 8-line block ×5, first 2 shown]
	v_xor_b32_e32 v117, vcc_hi, v5
	v_xor_b32_e32 v5, vcc_lo, v5
	v_and_b32_e32 v22, v22, v5
	v_lshlrev_b32_e32 v5, 24, v20
	v_cmp_gt_i64_e32 vcc, 0, v[4:5]
	v_not_b32_e32 v5, v5
	v_ashrrev_i32_e32 v5, 31, v5
	v_xor_b32_e32 v20, vcc_hi, v5
	v_xor_b32_e32 v5, vcc_lo, v5
	v_and_b32_e32 v23, v23, v117
	v_and_b32_e32 v22, v22, v5
	;; [unrolled: 1-line block ×3, first 2 shown]
	v_mbcnt_lo_u32_b32 v5, v22, 0
	v_mbcnt_hi_u32_b32 v117, v23, v5
	v_cmp_eq_u32_e32 vcc, 0, v117
	v_cmp_ne_u64_e64 s[36:37], 0, v[22:23]
	s_and_b64 s[38:39], s[36:37], vcc
	; wave barrier
	s_and_saveexec_b64 s[36:37], s[38:39]
	s_cbranch_execz .LBB86_94
; %bb.93:                               ;   in Loop: Header=BB86_66 Depth=2
	v_bcnt_u32_b32 v5, v22, 0
	v_bcnt_u32_b32 v5, v23, v5
	s_waitcnt lgkmcnt(0)
	v_add_u32_e32 v5, v115, v5
	ds_write_b32 v116, v5
.LBB86_94:                              ;   in Loop: Header=BB86_66 Depth=2
	s_or_b64 exec, exec, s[36:37]
	v_xor_b32_sdwa v118, v21, v65 dst_sel:DWORD dst_unused:UNUSED_PAD src0_sel:BYTE_3 src1_sel:DWORD
	v_lshrrev_b32_sdwa v5, s83, v118 dst_sel:DWORD dst_unused:UNUSED_PAD src0_sel:DWORD src1_sel:BYTE_0
	v_and_b32_e32 v20, s84, v5
	v_mul_u32_u24_e32 v5, 5, v20
	v_add_lshl_u32 v5, v5, v89, 2
	; wave barrier
	v_add_u32_e32 v120, 0x410, v5
	ds_read_b32 v119, v5 offset:1040
	v_and_b32_e32 v5, 1, v20
	v_add_co_u32_e32 v21, vcc, -1, v5
	v_addc_co_u32_e64 v22, s[36:37], 0, -1, vcc
	v_cmp_ne_u32_e32 vcc, 0, v5
	v_xor_b32_e32 v5, vcc_hi, v22
	v_and_b32_e32 v22, exec_hi, v5
	v_lshlrev_b32_e32 v5, 30, v20
	v_xor_b32_e32 v21, vcc_lo, v21
	v_cmp_gt_i64_e32 vcc, 0, v[4:5]
	v_not_b32_e32 v5, v5
	v_ashrrev_i32_e32 v5, 31, v5
	v_and_b32_e32 v21, exec_lo, v21
	v_xor_b32_e32 v23, vcc_hi, v5
	v_xor_b32_e32 v5, vcc_lo, v5
	v_and_b32_e32 v21, v21, v5
	v_lshlrev_b32_e32 v5, 29, v20
	v_cmp_gt_i64_e32 vcc, 0, v[4:5]
	v_not_b32_e32 v5, v5
	v_ashrrev_i32_e32 v5, 31, v5
	v_and_b32_e32 v22, v22, v23
	v_xor_b32_e32 v23, vcc_hi, v5
	v_xor_b32_e32 v5, vcc_lo, v5
	v_and_b32_e32 v21, v21, v5
	v_lshlrev_b32_e32 v5, 28, v20
	v_cmp_gt_i64_e32 vcc, 0, v[4:5]
	v_not_b32_e32 v5, v5
	v_ashrrev_i32_e32 v5, 31, v5
	v_and_b32_e32 v22, v22, v23
	;; [unrolled: 8-line block ×5, first 2 shown]
	v_xor_b32_e32 v23, vcc_hi, v5
	v_xor_b32_e32 v5, vcc_lo, v5
	v_and_b32_e32 v22, v22, v23
	v_and_b32_e32 v23, v21, v5
	v_lshlrev_b32_e32 v5, 24, v20
	v_cmp_gt_i64_e32 vcc, 0, v[4:5]
	v_not_b32_e32 v5, v5
	v_ashrrev_i32_e32 v5, 31, v5
	v_xor_b32_e32 v20, vcc_hi, v5
	v_xor_b32_e32 v5, vcc_lo, v5
	v_and_b32_e32 v21, v22, v20
	v_and_b32_e32 v20, v23, v5
	v_mbcnt_lo_u32_b32 v5, v20, 0
	v_mbcnt_hi_u32_b32 v121, v21, v5
	v_cmp_eq_u32_e32 vcc, 0, v121
	v_cmp_ne_u64_e64 s[36:37], 0, v[20:21]
	s_and_b64 s[38:39], s[36:37], vcc
	; wave barrier
	s_and_saveexec_b64 s[36:37], s[38:39]
	s_cbranch_execz .LBB86_96
; %bb.95:                               ;   in Loop: Header=BB86_66 Depth=2
	v_bcnt_u32_b32 v5, v20, 0
	v_bcnt_u32_b32 v5, v21, v5
	s_waitcnt lgkmcnt(0)
	v_add_u32_e32 v5, v119, v5
	ds_write_b32 v120, v5
.LBB86_96:                              ;   in Loop: Header=BB86_66 Depth=2
	s_or_b64 exec, exec, s[36:37]
	; wave barrier
	s_waitcnt lgkmcnt(0)
	s_barrier
	ds_read_b32 v5, v42 offset:1040
	ds_read2_b32 v[22:23], v44 offset0:1 offset1:2
	ds_read2_b32 v[20:21], v44 offset0:3 offset1:4
	s_waitcnt lgkmcnt(1)
	v_add3_u32 v122, v22, v5, v23
	s_waitcnt lgkmcnt(0)
	v_add3_u32 v21, v122, v20, v21
	s_nop 1
	v_mov_b32_dpp v122, v21 row_shr:1 row_mask:0xf bank_mask:0xf
	v_cndmask_b32_e64 v122, v122, 0, s[16:17]
	v_add_u32_e32 v21, v122, v21
	s_nop 1
	v_mov_b32_dpp v122, v21 row_shr:2 row_mask:0xf bank_mask:0xf
	v_cndmask_b32_e64 v122, 0, v122, s[18:19]
	v_add_u32_e32 v21, v21, v122
	;; [unrolled: 4-line block ×4, first 2 shown]
	s_nop 1
	v_mov_b32_dpp v122, v21 row_bcast:15 row_mask:0xf bank_mask:0xf
	v_cndmask_b32_e64 v122, v122, 0, s[24:25]
	v_add_u32_e32 v21, v21, v122
	s_nop 1
	v_mov_b32_dpp v122, v21 row_bcast:31 row_mask:0xf bank_mask:0xf
	v_cndmask_b32_e64 v122, 0, v122, s[26:27]
	v_add_u32_e32 v21, v21, v122
	s_and_saveexec_b64 s[36:37], s[6:7]
	s_cbranch_execz .LBB86_98
; %bb.97:                               ;   in Loop: Header=BB86_66 Depth=2
	ds_write_b32 v35, v21 offset:1024
.LBB86_98:                              ;   in Loop: Header=BB86_66 Depth=2
	s_or_b64 exec, exec, s[36:37]
	s_waitcnt lgkmcnt(0)
	s_barrier
	s_and_saveexec_b64 s[36:37], s[8:9]
	s_cbranch_execz .LBB86_100
; %bb.99:                               ;   in Loop: Header=BB86_66 Depth=2
	v_add_u32_e32 v122, v42, v45
	ds_read_b32 v123, v122 offset:1024
	s_waitcnt lgkmcnt(0)
	s_nop 0
	v_mov_b32_dpp v124, v123 row_shr:1 row_mask:0xf bank_mask:0xf
	v_cndmask_b32_e64 v124, v124, 0, s[30:31]
	v_add_u32_e32 v123, v124, v123
	s_nop 1
	v_mov_b32_dpp v124, v123 row_shr:2 row_mask:0xf bank_mask:0xf
	v_cndmask_b32_e64 v124, 0, v124, s[34:35]
	v_add_u32_e32 v123, v123, v124
	ds_write_b32 v122, v123 offset:1024
.LBB86_100:                             ;   in Loop: Header=BB86_66 Depth=2
	s_or_b64 exec, exec, s[36:37]
	v_mov_b32_e32 v122, 0
	s_waitcnt lgkmcnt(0)
	s_barrier
	s_and_saveexec_b64 s[36:37], s[10:11]
	s_cbranch_execz .LBB86_102
; %bb.101:                              ;   in Loop: Header=BB86_66 Depth=2
	ds_read_b32 v122, v35 offset:1020
.LBB86_102:                             ;   in Loop: Header=BB86_66 Depth=2
	s_or_b64 exec, exec, s[36:37]
	s_waitcnt lgkmcnt(0)
	v_add_u32_e32 v21, v122, v21
	ds_bpermute_b32 v21, v66, v21
	s_waitcnt lgkmcnt(0)
	v_cndmask_b32_e64 v21, v21, v122, s[28:29]
	v_cndmask_b32_e64 v21, v21, 0, s[12:13]
	v_add_u32_e32 v5, v21, v5
	ds_write_b32 v42, v21 offset:1040
	v_add_u32_e32 v21, v5, v22
	v_add_u32_e32 v22, v21, v23
	ds_write2_b32 v44, v5, v21 offset0:1 offset1:2
	v_add_u32_e32 v5, v22, v20
	ds_write2_b32 v44, v22, v5 offset0:3 offset1:4
	s_waitcnt lgkmcnt(0)
	s_barrier
	ds_read_b32 v20, v96
	ds_read_b32 v21, v100
	;; [unrolled: 1-line block ×8, first 2 shown]
	ds_read_b32 v96, v42 offset:1040
	v_mov_b32_e32 v5, 0x800
	s_and_saveexec_b64 s[36:37], s[14:15]
	s_cbranch_execz .LBB86_104
; %bb.103:                              ;   in Loop: Header=BB86_66 Depth=2
	ds_read_b32 v5, v42 offset:1060
.LBB86_104:                             ;   in Loop: Header=BB86_66 Depth=2
	s_or_b64 exec, exec, s[36:37]
	s_waitcnt lgkmcnt(0)
	s_barrier
	s_and_saveexec_b64 s[36:37], s[4:5]
	s_cbranch_execz .LBB86_106
; %bb.105:                              ;   in Loop: Header=BB86_66 Depth=2
	ds_read_b32 v100, v3
	s_waitcnt lgkmcnt(0)
	v_sub_u32_e32 v96, v100, v96
	ds_write_b32 v3, v96
.LBB86_106:                             ;   in Loop: Header=BB86_66 Depth=2
	s_or_b64 exec, exec, s[36:37]
	v_add_u32_e32 v100, v92, v93
	v_add3_u32 v97, v97, v95, v20
	v_add3_u32 v96, v101, v99, v21
	;; [unrolled: 1-line block ×7, first 2 shown]
	v_cmp_lt_u32_e64 s[48:49], v2, v90
	ds_write_b8 v100, v91 offset:1024
	ds_write_b8 v97, v94 offset:1024
	;; [unrolled: 1-line block ×8, first 2 shown]
	s_waitcnt lgkmcnt(0)
	s_barrier
	s_and_saveexec_b64 s[36:37], s[48:49]
	s_cbranch_execz .LBB86_114
; %bb.107:                              ;   in Loop: Header=BB86_66 Depth=2
	ds_read_u8 v20, v2 offset:1024
	s_waitcnt lgkmcnt(0)
	v_lshrrev_b32_sdwa v21, s83, v20 dst_sel:DWORD dst_unused:UNUSED_PAD src0_sel:DWORD src1_sel:BYTE_0
	v_and_b32_e32 v21, s84, v21
	v_lshlrev_b32_e32 v21, 2, v21
	ds_read_b32 v21, v21
	v_xor_b32_e32 v20, -1, v20
	s_waitcnt lgkmcnt(0)
	v_add_u32_e32 v21, v21, v2
	global_store_byte v21, v20, s[58:59]
	s_or_b64 exec, exec, s[36:37]
	v_cmp_lt_u32_e64 s[46:47], v24, v90
	s_and_saveexec_b64 s[36:37], s[46:47]
	s_cbranch_execnz .LBB86_115
.LBB86_108:                             ;   in Loop: Header=BB86_66 Depth=2
	s_or_b64 exec, exec, s[36:37]
	v_cmp_lt_u32_e64 s[44:45], v25, v90
	s_and_saveexec_b64 s[36:37], s[44:45]
	s_cbranch_execz .LBB86_116
.LBB86_109:                             ;   in Loop: Header=BB86_66 Depth=2
	ds_read_u8 v20, v30 offset:512
	s_waitcnt lgkmcnt(0)
	v_lshrrev_b32_sdwa v21, s83, v20 dst_sel:DWORD dst_unused:UNUSED_PAD src0_sel:DWORD src1_sel:BYTE_0
	v_and_b32_e32 v21, s84, v21
	v_lshlrev_b32_e32 v21, 2, v21
	ds_read_b32 v21, v21
	v_xor_b32_e32 v20, -1, v20
	s_waitcnt lgkmcnt(0)
	v_add_u32_e32 v21, v21, v25
	global_store_byte v21, v20, s[58:59]
	s_or_b64 exec, exec, s[36:37]
	v_cmp_lt_u32_e64 s[42:43], v26, v90
	s_and_saveexec_b64 s[36:37], s[42:43]
	s_cbranch_execnz .LBB86_117
.LBB86_110:                             ;   in Loop: Header=BB86_66 Depth=2
	s_or_b64 exec, exec, s[36:37]
	v_cmp_lt_u32_e64 s[40:41], v30, v90
	s_and_saveexec_b64 s[36:37], s[40:41]
	s_cbranch_execz .LBB86_118
.LBB86_111:                             ;   in Loop: Header=BB86_66 Depth=2
	ds_read_u8 v20, v30 offset:1024
	s_waitcnt lgkmcnt(0)
	v_lshrrev_b32_sdwa v21, s83, v20 dst_sel:DWORD dst_unused:UNUSED_PAD src0_sel:DWORD src1_sel:BYTE_0
	v_and_b32_e32 v21, s84, v21
	v_lshlrev_b32_e32 v21, 2, v21
	ds_read_b32 v21, v21
	v_xor_b32_e32 v20, -1, v20
	s_waitcnt lgkmcnt(0)
	v_add_u32_e32 v21, v21, v30
	global_store_byte v21, v20, s[58:59]
	s_or_b64 exec, exec, s[36:37]
	v_cmp_lt_u32_e64 s[38:39], v31, v90
	s_and_saveexec_b64 s[36:37], s[38:39]
	s_cbranch_execnz .LBB86_119
.LBB86_112:                             ;   in Loop: Header=BB86_66 Depth=2
	s_or_b64 exec, exec, s[36:37]
	v_cmp_lt_u32_e64 s[36:37], v32, v90
	s_and_saveexec_b64 s[52:53], s[36:37]
	s_cbranch_execz .LBB86_120
.LBB86_113:                             ;   in Loop: Header=BB86_66 Depth=2
	ds_read_u8 v20, v30 offset:1536
	s_waitcnt lgkmcnt(0)
	v_lshrrev_b32_sdwa v21, s83, v20 dst_sel:DWORD dst_unused:UNUSED_PAD src0_sel:DWORD src1_sel:BYTE_0
	v_and_b32_e32 v21, s84, v21
	v_lshlrev_b32_e32 v21, 2, v21
	ds_read_b32 v21, v21
	v_xor_b32_e32 v20, -1, v20
	s_waitcnt lgkmcnt(0)
	v_add_u32_e32 v21, v21, v32
	global_store_byte v21, v20, s[58:59]
	s_or_b64 exec, exec, s[52:53]
	v_cmp_lt_u32_e32 vcc, v33, v90
	s_and_saveexec_b64 s[52:53], vcc
	s_cbranch_execnz .LBB86_121
	s_branch .LBB86_122
.LBB86_114:                             ;   in Loop: Header=BB86_66 Depth=2
	s_or_b64 exec, exec, s[36:37]
	v_cmp_lt_u32_e64 s[46:47], v24, v90
	s_and_saveexec_b64 s[36:37], s[46:47]
	s_cbranch_execz .LBB86_108
.LBB86_115:                             ;   in Loop: Header=BB86_66 Depth=2
	ds_read_u8 v20, v30 offset:256
	s_waitcnt lgkmcnt(0)
	v_lshrrev_b32_sdwa v21, s83, v20 dst_sel:DWORD dst_unused:UNUSED_PAD src0_sel:DWORD src1_sel:BYTE_0
	v_and_b32_e32 v21, s84, v21
	v_lshlrev_b32_e32 v21, 2, v21
	ds_read_b32 v21, v21
	v_xor_b32_e32 v20, -1, v20
	s_waitcnt lgkmcnt(0)
	v_add_u32_e32 v21, v21, v24
	global_store_byte v21, v20, s[58:59]
	s_or_b64 exec, exec, s[36:37]
	v_cmp_lt_u32_e64 s[44:45], v25, v90
	s_and_saveexec_b64 s[36:37], s[44:45]
	s_cbranch_execnz .LBB86_109
.LBB86_116:                             ;   in Loop: Header=BB86_66 Depth=2
	s_or_b64 exec, exec, s[36:37]
	v_cmp_lt_u32_e64 s[42:43], v26, v90
	s_and_saveexec_b64 s[36:37], s[42:43]
	s_cbranch_execz .LBB86_110
.LBB86_117:                             ;   in Loop: Header=BB86_66 Depth=2
	ds_read_u8 v20, v30 offset:768
	s_waitcnt lgkmcnt(0)
	v_lshrrev_b32_sdwa v21, s83, v20 dst_sel:DWORD dst_unused:UNUSED_PAD src0_sel:DWORD src1_sel:BYTE_0
	v_and_b32_e32 v21, s84, v21
	v_lshlrev_b32_e32 v21, 2, v21
	ds_read_b32 v21, v21
	v_xor_b32_e32 v20, -1, v20
	s_waitcnt lgkmcnt(0)
	v_add_u32_e32 v21, v21, v26
	global_store_byte v21, v20, s[58:59]
	s_or_b64 exec, exec, s[36:37]
	v_cmp_lt_u32_e64 s[40:41], v30, v90
	s_and_saveexec_b64 s[36:37], s[40:41]
	s_cbranch_execnz .LBB86_111
.LBB86_118:                             ;   in Loop: Header=BB86_66 Depth=2
	s_or_b64 exec, exec, s[36:37]
	v_cmp_lt_u32_e64 s[38:39], v31, v90
	s_and_saveexec_b64 s[36:37], s[38:39]
	s_cbranch_execz .LBB86_112
.LBB86_119:                             ;   in Loop: Header=BB86_66 Depth=2
	ds_read_u8 v20, v30 offset:1280
	s_waitcnt lgkmcnt(0)
	v_lshrrev_b32_sdwa v21, s83, v20 dst_sel:DWORD dst_unused:UNUSED_PAD src0_sel:DWORD src1_sel:BYTE_0
	v_and_b32_e32 v21, s84, v21
	v_lshlrev_b32_e32 v21, 2, v21
	ds_read_b32 v21, v21
	v_xor_b32_e32 v20, -1, v20
	s_waitcnt lgkmcnt(0)
	v_add_u32_e32 v21, v21, v31
	global_store_byte v21, v20, s[58:59]
	s_or_b64 exec, exec, s[36:37]
	v_cmp_lt_u32_e64 s[36:37], v32, v90
	s_and_saveexec_b64 s[52:53], s[36:37]
	s_cbranch_execnz .LBB86_113
.LBB86_120:                             ;   in Loop: Header=BB86_66 Depth=2
	s_or_b64 exec, exec, s[52:53]
	v_cmp_lt_u32_e32 vcc, v33, v90
	s_and_saveexec_b64 s[52:53], vcc
	s_cbranch_execz .LBB86_122
.LBB86_121:                             ;   in Loop: Header=BB86_66 Depth=2
	ds_read_u8 v20, v30 offset:1792
	s_waitcnt lgkmcnt(0)
	v_lshrrev_b32_sdwa v21, s83, v20 dst_sel:DWORD dst_unused:UNUSED_PAD src0_sel:DWORD src1_sel:BYTE_0
	v_and_b32_e32 v21, s84, v21
	v_lshlrev_b32_e32 v21, 2, v21
	ds_read_b32 v21, v21
	v_xor_b32_e32 v20, -1, v20
	s_waitcnt lgkmcnt(0)
	v_add_u32_e32 v21, v21, v33
	global_store_byte v21, v20, s[58:59]
.LBB86_122:                             ;   in Loop: Header=BB86_66 Depth=2
	s_or_b64 exec, exec, s[52:53]
	s_lshl_b64 s[52:53], s[72:73], 3
	v_mov_b32_e32 v21, s53
	v_add_co_u32_e64 v20, s[52:53], s52, v78
	v_addc_co_u32_e64 v21, s[52:53], v79, v21, s[52:53]
	v_cmp_lt_u32_e64 s[52:53], v73, v90
	s_and_saveexec_b64 s[62:63], s[52:53]
	s_xor_b64 s[52:53], exec, s[62:63]
	s_cbranch_execz .LBB86_138
; %bb.123:                              ;   in Loop: Header=BB86_66 Depth=2
	global_load_dwordx2 v[18:19], v[20:21], off
	s_or_b64 exec, exec, s[52:53]
	v_cmp_lt_u32_e64 s[52:53], v80, v90
	s_and_saveexec_b64 s[62:63], s[52:53]
	s_cbranch_execnz .LBB86_139
.LBB86_124:                             ;   in Loop: Header=BB86_66 Depth=2
	s_or_b64 exec, exec, s[62:63]
	v_cmp_lt_u32_e64 s[52:53], v81, v90
	s_and_saveexec_b64 s[62:63], s[52:53]
	s_cbranch_execz .LBB86_140
.LBB86_125:                             ;   in Loop: Header=BB86_66 Depth=2
	global_load_dwordx2 v[14:15], v[20:21], off offset:1024
	s_or_b64 exec, exec, s[62:63]
	v_cmp_lt_u32_e64 s[52:53], v82, v90
	s_and_saveexec_b64 s[62:63], s[52:53]
	s_cbranch_execnz .LBB86_141
.LBB86_126:                             ;   in Loop: Header=BB86_66 Depth=2
	s_or_b64 exec, exec, s[62:63]
	v_cmp_lt_u32_e64 s[52:53], v83, v90
	s_and_saveexec_b64 s[62:63], s[52:53]
	s_cbranch_execz .LBB86_142
.LBB86_127:                             ;   in Loop: Header=BB86_66 Depth=2
	global_load_dwordx2 v[10:11], v[20:21], off offset:2048
	s_or_b64 exec, exec, s[62:63]
	v_cmp_lt_u32_e64 s[52:53], v84, v90
	s_and_saveexec_b64 s[62:63], s[52:53]
	s_cbranch_execnz .LBB86_143
.LBB86_128:                             ;   in Loop: Header=BB86_66 Depth=2
	s_or_b64 exec, exec, s[62:63]
	v_cmp_lt_u32_e64 s[52:53], v85, v90
	s_and_saveexec_b64 s[62:63], s[52:53]
	s_cbranch_execz .LBB86_144
.LBB86_129:                             ;   in Loop: Header=BB86_66 Depth=2
	global_load_dwordx2 v[6:7], v[20:21], off offset:3072
	s_or_b64 exec, exec, s[62:63]
	v_cmp_lt_u32_e64 s[52:53], v86, v90
	s_and_saveexec_b64 s[62:63], s[52:53]
	s_cbranch_execnz .LBB86_145
.LBB86_130:                             ;   in Loop: Header=BB86_66 Depth=2
	s_or_b64 exec, exec, s[62:63]
	s_and_saveexec_b64 s[52:53], s[48:49]
	s_cbranch_execz .LBB86_146
.LBB86_131:                             ;   in Loop: Header=BB86_66 Depth=2
	ds_read_u8 v20, v2 offset:1024
	s_waitcnt lgkmcnt(0)
	v_lshrrev_b32_e32 v20, s83, v20
	v_and_b32_e32 v76, s84, v20
	s_or_b64 exec, exec, s[52:53]
	s_and_saveexec_b64 s[52:53], s[46:47]
	s_cbranch_execnz .LBB86_147
.LBB86_132:                             ;   in Loop: Header=BB86_66 Depth=2
	s_or_b64 exec, exec, s[52:53]
	s_and_saveexec_b64 s[52:53], s[44:45]
	s_cbranch_execz .LBB86_148
.LBB86_133:                             ;   in Loop: Header=BB86_66 Depth=2
	ds_read_u8 v20, v30 offset:512
	s_waitcnt lgkmcnt(0)
	v_lshrrev_b32_e32 v20, s83, v20
	v_and_b32_e32 v72, s84, v20
	s_or_b64 exec, exec, s[52:53]
	s_and_saveexec_b64 s[52:53], s[42:43]
	s_cbranch_execnz .LBB86_149
.LBB86_134:                             ;   in Loop: Header=BB86_66 Depth=2
	s_or_b64 exec, exec, s[52:53]
	s_and_saveexec_b64 s[52:53], s[40:41]
	s_cbranch_execz .LBB86_150
.LBB86_135:                             ;   in Loop: Header=BB86_66 Depth=2
	ds_read_u8 v20, v30 offset:1024
	s_waitcnt lgkmcnt(0)
	v_lshrrev_b32_e32 v20, s83, v20
	v_and_b32_e32 v70, s84, v20
	s_or_b64 exec, exec, s[52:53]
	s_and_saveexec_b64 s[52:53], s[38:39]
	s_cbranch_execnz .LBB86_151
.LBB86_136:                             ;   in Loop: Header=BB86_66 Depth=2
	s_or_b64 exec, exec, s[52:53]
	s_and_saveexec_b64 s[52:53], s[36:37]
	s_cbranch_execz .LBB86_152
.LBB86_137:                             ;   in Loop: Header=BB86_66 Depth=2
	ds_read_u8 v20, v30 offset:1536
	s_waitcnt lgkmcnt(0)
	v_lshrrev_b32_e32 v20, s83, v20
	v_and_b32_e32 v68, s84, v20
	s_or_b64 exec, exec, s[52:53]
	s_and_saveexec_b64 s[52:53], vcc
	s_cbranch_execnz .LBB86_153
	s_branch .LBB86_154
.LBB86_138:                             ;   in Loop: Header=BB86_66 Depth=2
	s_or_b64 exec, exec, s[52:53]
	v_cmp_lt_u32_e64 s[52:53], v80, v90
	s_and_saveexec_b64 s[62:63], s[52:53]
	s_cbranch_execz .LBB86_124
.LBB86_139:                             ;   in Loop: Header=BB86_66 Depth=2
	global_load_dwordx2 v[16:17], v[20:21], off offset:512
	s_or_b64 exec, exec, s[62:63]
	v_cmp_lt_u32_e64 s[52:53], v81, v90
	s_and_saveexec_b64 s[62:63], s[52:53]
	s_cbranch_execnz .LBB86_125
.LBB86_140:                             ;   in Loop: Header=BB86_66 Depth=2
	s_or_b64 exec, exec, s[62:63]
	v_cmp_lt_u32_e64 s[52:53], v82, v90
	s_and_saveexec_b64 s[62:63], s[52:53]
	s_cbranch_execz .LBB86_126
.LBB86_141:                             ;   in Loop: Header=BB86_66 Depth=2
	global_load_dwordx2 v[12:13], v[20:21], off offset:1536
	s_or_b64 exec, exec, s[62:63]
	v_cmp_lt_u32_e64 s[52:53], v83, v90
	s_and_saveexec_b64 s[62:63], s[52:53]
	s_cbranch_execnz .LBB86_127
.LBB86_142:                             ;   in Loop: Header=BB86_66 Depth=2
	s_or_b64 exec, exec, s[62:63]
	v_cmp_lt_u32_e64 s[52:53], v84, v90
	s_and_saveexec_b64 s[62:63], s[52:53]
	s_cbranch_execz .LBB86_128
.LBB86_143:                             ;   in Loop: Header=BB86_66 Depth=2
	global_load_dwordx2 v[8:9], v[20:21], off offset:2560
	s_or_b64 exec, exec, s[62:63]
	v_cmp_lt_u32_e64 s[52:53], v85, v90
	s_and_saveexec_b64 s[62:63], s[52:53]
	s_cbranch_execnz .LBB86_129
.LBB86_144:                             ;   in Loop: Header=BB86_66 Depth=2
	s_or_b64 exec, exec, s[62:63]
	v_cmp_lt_u32_e64 s[52:53], v86, v90
	s_and_saveexec_b64 s[62:63], s[52:53]
	s_cbranch_execz .LBB86_130
.LBB86_145:                             ;   in Loop: Header=BB86_66 Depth=2
	global_load_dwordx2 v[0:1], v[20:21], off offset:3584
	s_or_b64 exec, exec, s[62:63]
	s_and_saveexec_b64 s[52:53], s[48:49]
	s_cbranch_execnz .LBB86_131
.LBB86_146:                             ;   in Loop: Header=BB86_66 Depth=2
	s_or_b64 exec, exec, s[52:53]
	s_and_saveexec_b64 s[52:53], s[46:47]
	s_cbranch_execz .LBB86_132
.LBB86_147:                             ;   in Loop: Header=BB86_66 Depth=2
	ds_read_u8 v20, v30 offset:256
	s_waitcnt lgkmcnt(0)
	v_lshrrev_b32_e32 v20, s83, v20
	v_and_b32_e32 v74, s84, v20
	s_or_b64 exec, exec, s[52:53]
	s_and_saveexec_b64 s[52:53], s[44:45]
	s_cbranch_execnz .LBB86_133
.LBB86_148:                             ;   in Loop: Header=BB86_66 Depth=2
	s_or_b64 exec, exec, s[52:53]
	s_and_saveexec_b64 s[52:53], s[42:43]
	s_cbranch_execz .LBB86_134
.LBB86_149:                             ;   in Loop: Header=BB86_66 Depth=2
	ds_read_u8 v20, v30 offset:768
	s_waitcnt lgkmcnt(0)
	v_lshrrev_b32_e32 v20, s83, v20
	v_and_b32_e32 v71, s84, v20
	s_or_b64 exec, exec, s[52:53]
	s_and_saveexec_b64 s[52:53], s[40:41]
	s_cbranch_execnz .LBB86_135
.LBB86_150:                             ;   in Loop: Header=BB86_66 Depth=2
	s_or_b64 exec, exec, s[52:53]
	s_and_saveexec_b64 s[52:53], s[38:39]
	s_cbranch_execz .LBB86_136
.LBB86_151:                             ;   in Loop: Header=BB86_66 Depth=2
	ds_read_u8 v20, v30 offset:1280
	s_waitcnt lgkmcnt(0)
	v_lshrrev_b32_e32 v20, s83, v20
	v_and_b32_e32 v69, s84, v20
	s_or_b64 exec, exec, s[52:53]
	s_and_saveexec_b64 s[52:53], s[36:37]
	s_cbranch_execnz .LBB86_137
.LBB86_152:                             ;   in Loop: Header=BB86_66 Depth=2
	s_or_b64 exec, exec, s[52:53]
	s_and_saveexec_b64 s[52:53], vcc
	s_cbranch_execz .LBB86_154
.LBB86_153:                             ;   in Loop: Header=BB86_66 Depth=2
	ds_read_u8 v20, v30 offset:1792
	s_waitcnt lgkmcnt(0)
	v_lshrrev_b32_e32 v20, s83, v20
	v_and_b32_e32 v67, s84, v20
.LBB86_154:                             ;   in Loop: Header=BB86_66 Depth=2
	s_or_b64 exec, exec, s[52:53]
	v_lshlrev_b32_e32 v20, 3, v100
	s_barrier
	s_waitcnt vmcnt(0)
	ds_write_b64 v20, v[18:19] offset:1024
	v_lshlrev_b32_e32 v20, 3, v97
	ds_write_b64 v20, v[16:17] offset:1024
	v_lshlrev_b32_e32 v20, 3, v96
	;; [unrolled: 2-line block ×7, first 2 shown]
	ds_write_b64 v20, v[0:1] offset:1024
	s_waitcnt lgkmcnt(0)
	s_barrier
	s_and_saveexec_b64 s[52:53], s[48:49]
	s_cbranch_execz .LBB86_162
; %bb.155:                              ;   in Loop: Header=BB86_66 Depth=2
	v_lshlrev_b32_e32 v20, 2, v76
	ds_read_b32 v22, v20
	v_add_u32_e32 v20, v2, v50
	ds_read_b64 v[20:21], v20 offset:1024
	v_mov_b32_e32 v23, v4
	v_mov_b32_e32 v90, s65
	s_waitcnt lgkmcnt(1)
	v_add_u32_e32 v22, v22, v2
	v_lshlrev_b64 v[22:23], 3, v[22:23]
	v_add_co_u32_e64 v22, s[48:49], s64, v22
	v_addc_co_u32_e64 v23, s[48:49], v90, v23, s[48:49]
	s_waitcnt lgkmcnt(0)
	global_store_dwordx2 v[22:23], v[20:21], off
	s_or_b64 exec, exec, s[52:53]
	s_and_saveexec_b64 s[48:49], s[46:47]
	s_cbranch_execnz .LBB86_163
.LBB86_156:                             ;   in Loop: Header=BB86_66 Depth=2
	s_or_b64 exec, exec, s[48:49]
	s_and_saveexec_b64 s[46:47], s[44:45]
	s_cbranch_execz .LBB86_164
.LBB86_157:                             ;   in Loop: Header=BB86_66 Depth=2
	v_lshlrev_b32_e32 v20, 2, v72
	ds_read_b32 v22, v20
	v_add_u32_e32 v20, v30, v50
	ds_read_b64 v[20:21], v20 offset:4096
	v_mov_b32_e32 v23, v4
	v_mov_b32_e32 v90, s65
	s_waitcnt lgkmcnt(1)
	v_add_u32_e32 v22, v22, v25
	v_lshlrev_b64 v[22:23], 3, v[22:23]
	v_add_co_u32_e64 v22, s[44:45], s64, v22
	v_addc_co_u32_e64 v23, s[44:45], v90, v23, s[44:45]
	s_waitcnt lgkmcnt(0)
	global_store_dwordx2 v[22:23], v[20:21], off
	s_or_b64 exec, exec, s[46:47]
	s_and_saveexec_b64 s[44:45], s[42:43]
	s_cbranch_execnz .LBB86_165
.LBB86_158:                             ;   in Loop: Header=BB86_66 Depth=2
	s_or_b64 exec, exec, s[44:45]
	s_and_saveexec_b64 s[42:43], s[40:41]
	s_cbranch_execz .LBB86_166
.LBB86_159:                             ;   in Loop: Header=BB86_66 Depth=2
	v_lshlrev_b32_e32 v20, 2, v70
	ds_read_b32 v22, v20
	v_add_u32_e32 v20, v30, v50
	ds_read_b64 v[20:21], v20 offset:8192
	v_mov_b32_e32 v23, v4
	v_mov_b32_e32 v90, s65
	s_waitcnt lgkmcnt(1)
	v_add_u32_e32 v22, v22, v30
	v_lshlrev_b64 v[22:23], 3, v[22:23]
	v_add_co_u32_e64 v22, s[40:41], s64, v22
	v_addc_co_u32_e64 v23, s[40:41], v90, v23, s[40:41]
	s_waitcnt lgkmcnt(0)
	global_store_dwordx2 v[22:23], v[20:21], off
	s_or_b64 exec, exec, s[42:43]
	s_and_saveexec_b64 s[40:41], s[38:39]
	s_cbranch_execnz .LBB86_167
.LBB86_160:                             ;   in Loop: Header=BB86_66 Depth=2
	s_or_b64 exec, exec, s[40:41]
	s_and_saveexec_b64 s[38:39], s[36:37]
	s_cbranch_execz .LBB86_168
.LBB86_161:                             ;   in Loop: Header=BB86_66 Depth=2
	v_lshlrev_b32_e32 v20, 2, v68
	ds_read_b32 v22, v20
	v_add_u32_e32 v20, v30, v50
	ds_read_b64 v[20:21], v20 offset:12288
	v_mov_b32_e32 v23, v4
	v_mov_b32_e32 v90, s65
	s_waitcnt lgkmcnt(1)
	v_add_u32_e32 v22, v22, v32
	v_lshlrev_b64 v[22:23], 3, v[22:23]
	v_add_co_u32_e64 v22, s[36:37], s64, v22
	v_addc_co_u32_e64 v23, s[36:37], v90, v23, s[36:37]
	s_waitcnt lgkmcnt(0)
	global_store_dwordx2 v[22:23], v[20:21], off
	s_or_b64 exec, exec, s[38:39]
	s_and_saveexec_b64 s[36:37], vcc
	s_cbranch_execnz .LBB86_169
	s_branch .LBB86_170
.LBB86_162:                             ;   in Loop: Header=BB86_66 Depth=2
	s_or_b64 exec, exec, s[52:53]
	s_and_saveexec_b64 s[48:49], s[46:47]
	s_cbranch_execz .LBB86_156
.LBB86_163:                             ;   in Loop: Header=BB86_66 Depth=2
	v_lshlrev_b32_e32 v20, 2, v74
	ds_read_b32 v22, v20
	v_add_u32_e32 v20, v30, v50
	ds_read_b64 v[20:21], v20 offset:2048
	v_mov_b32_e32 v23, v4
	v_mov_b32_e32 v90, s65
	s_waitcnt lgkmcnt(1)
	v_add_u32_e32 v22, v22, v24
	v_lshlrev_b64 v[22:23], 3, v[22:23]
	v_add_co_u32_e64 v22, s[46:47], s64, v22
	v_addc_co_u32_e64 v23, s[46:47], v90, v23, s[46:47]
	s_waitcnt lgkmcnt(0)
	global_store_dwordx2 v[22:23], v[20:21], off
	s_or_b64 exec, exec, s[48:49]
	s_and_saveexec_b64 s[46:47], s[44:45]
	s_cbranch_execnz .LBB86_157
.LBB86_164:                             ;   in Loop: Header=BB86_66 Depth=2
	s_or_b64 exec, exec, s[46:47]
	s_and_saveexec_b64 s[44:45], s[42:43]
	s_cbranch_execz .LBB86_158
.LBB86_165:                             ;   in Loop: Header=BB86_66 Depth=2
	v_lshlrev_b32_e32 v20, 2, v71
	ds_read_b32 v22, v20
	v_add_u32_e32 v20, v30, v50
	ds_read_b64 v[20:21], v20 offset:6144
	v_mov_b32_e32 v23, v4
	v_mov_b32_e32 v90, s65
	s_waitcnt lgkmcnt(1)
	v_add_u32_e32 v22, v22, v26
	v_lshlrev_b64 v[22:23], 3, v[22:23]
	v_add_co_u32_e64 v22, s[42:43], s64, v22
	v_addc_co_u32_e64 v23, s[42:43], v90, v23, s[42:43]
	s_waitcnt lgkmcnt(0)
	global_store_dwordx2 v[22:23], v[20:21], off
	s_or_b64 exec, exec, s[44:45]
	s_and_saveexec_b64 s[42:43], s[40:41]
	s_cbranch_execnz .LBB86_159
.LBB86_166:                             ;   in Loop: Header=BB86_66 Depth=2
	s_or_b64 exec, exec, s[42:43]
	s_and_saveexec_b64 s[40:41], s[38:39]
	s_cbranch_execz .LBB86_160
.LBB86_167:                             ;   in Loop: Header=BB86_66 Depth=2
	v_lshlrev_b32_e32 v20, 2, v69
	ds_read_b32 v22, v20
	v_add_u32_e32 v20, v30, v50
	ds_read_b64 v[20:21], v20 offset:10240
	v_mov_b32_e32 v23, v4
	v_mov_b32_e32 v90, s65
	s_waitcnt lgkmcnt(1)
	v_add_u32_e32 v22, v22, v31
	v_lshlrev_b64 v[22:23], 3, v[22:23]
	v_add_co_u32_e64 v22, s[38:39], s64, v22
	v_addc_co_u32_e64 v23, s[38:39], v90, v23, s[38:39]
	s_waitcnt lgkmcnt(0)
	global_store_dwordx2 v[22:23], v[20:21], off
	s_or_b64 exec, exec, s[40:41]
	s_and_saveexec_b64 s[38:39], s[36:37]
	s_cbranch_execnz .LBB86_161
.LBB86_168:                             ;   in Loop: Header=BB86_66 Depth=2
	s_or_b64 exec, exec, s[38:39]
	s_and_saveexec_b64 s[36:37], vcc
	s_cbranch_execz .LBB86_170
.LBB86_169:                             ;   in Loop: Header=BB86_66 Depth=2
	v_lshlrev_b32_e32 v20, 2, v67
	ds_read_b32 v22, v20
	v_add_u32_e32 v20, v30, v50
	ds_read_b64 v[20:21], v20 offset:14336
	v_mov_b32_e32 v23, v4
	v_mov_b32_e32 v90, s65
	s_waitcnt lgkmcnt(1)
	v_add_u32_e32 v22, v22, v33
	v_lshlrev_b64 v[22:23], 3, v[22:23]
	v_add_co_u32_e32 v22, vcc, s64, v22
	v_addc_co_u32_e32 v23, vcc, v90, v23, vcc
	s_waitcnt lgkmcnt(0)
	global_store_dwordx2 v[22:23], v[20:21], off
.LBB86_170:                             ;   in Loop: Header=BB86_66 Depth=2
	s_or_b64 exec, exec, s[36:37]
	s_barrier
	s_and_saveexec_b64 s[36:37], s[4:5]
	s_cbranch_execz .LBB86_65
; %bb.171:                              ;   in Loop: Header=BB86_66 Depth=2
	ds_read_b32 v20, v3
	s_waitcnt lgkmcnt(0)
	v_add_u32_e32 v5, v20, v5
	ds_write_b32 v3, v5
	s_branch .LBB86_65
.LBB86_172:                             ;   in Loop: Header=BB86_66 Depth=2
	s_or_b64 exec, exec, s[36:37]
	v_cmp_gt_u32_e32 vcc, s85, v80
	s_and_saveexec_b64 s[36:37], vcc
	s_cbranch_execz .LBB86_71
.LBB86_173:                             ;   in Loop: Header=BB86_66 Depth=2
	global_load_ubyte v5, v[22:23], off offset:64
	s_waitcnt vmcnt(0)
	v_perm_b32 v20, v20, v5, s78
	s_or_b64 exec, exec, s[36:37]
	v_cmp_gt_u32_e32 vcc, s85, v81
	s_and_saveexec_b64 s[36:37], vcc
	s_cbranch_execnz .LBB86_72
.LBB86_174:                             ;   in Loop: Header=BB86_66 Depth=2
	s_or_b64 exec, exec, s[36:37]
	v_cmp_gt_u32_e32 vcc, s85, v82
	s_and_saveexec_b64 s[36:37], vcc
	s_cbranch_execz .LBB86_73
.LBB86_175:                             ;   in Loop: Header=BB86_66 Depth=2
	global_load_ubyte v5, v[22:23], off offset:192
	v_and_b32_sdwa v90, v20, s68 dst_sel:DWORD dst_unused:UNUSED_PAD src0_sel:WORD_1 src1_sel:DWORD
	s_waitcnt vmcnt(0)
	v_lshlrev_b16_e32 v5, 8, v5
	v_or_b32_sdwa v5, v90, v5 dst_sel:WORD_1 dst_unused:UNUSED_PAD src0_sel:DWORD src1_sel:DWORD
	v_and_or_b32 v20, v20, s77, v5
	s_or_b64 exec, exec, s[36:37]
	v_cmp_gt_u32_e32 vcc, s85, v83
	s_and_saveexec_b64 s[36:37], vcc
	s_cbranch_execnz .LBB86_74
.LBB86_176:                             ;   in Loop: Header=BB86_66 Depth=2
	s_or_b64 exec, exec, s[36:37]
	v_cmp_gt_u32_e32 vcc, s85, v84
	s_and_saveexec_b64 s[36:37], vcc
	s_cbranch_execz .LBB86_75
.LBB86_177:                             ;   in Loop: Header=BB86_66 Depth=2
	global_load_ubyte v5, v[22:23], off offset:320
	s_waitcnt vmcnt(0)
	v_perm_b32 v21, v21, v5, s78
	s_or_b64 exec, exec, s[36:37]
	v_cmp_gt_u32_e32 vcc, s85, v85
	s_and_saveexec_b64 s[36:37], vcc
	s_cbranch_execnz .LBB86_76
	s_branch .LBB86_77
.LBB86_178:                             ;   in Loop: Header=BB86_12 Depth=1
	s_waitcnt lgkmcnt(0)
	s_barrier
	s_mov_b64 s[16:17], 0
.LBB86_179:                             ;   in Loop: Header=BB86_12 Depth=1
	s_and_b64 vcc, exec, s[16:17]
	s_cbranch_vccz .LBB86_345
; %bb.180:                              ;   in Loop: Header=BB86_12 Depth=1
	s_mov_b32 s20, s71
	s_mov_b32 s22, s51
	s_barrier
	s_waitcnt lgkmcnt(0)
                                        ; implicit-def: $vgpr5
                                        ; implicit-def: $vgpr6
                                        ; implicit-def: $vgpr7
                                        ; implicit-def: $vgpr8
                                        ; implicit-def: $vgpr9
                                        ; implicit-def: $vgpr10
                                        ; implicit-def: $vgpr11
                                        ; implicit-def: $vgpr12
	s_branch .LBB86_182
.LBB86_181:                             ;   in Loop: Header=BB86_182 Depth=2
	s_or_b64 exec, exec, s[16:17]
	s_addk_i32 s20, 0xf800
	s_cmp_ge_u32 s21, s76
	s_mov_b32 s22, s21
	s_cbranch_scc1 .LBB86_220
.LBB86_182:                             ;   Parent Loop BB86_12 Depth=1
                                        ; =>  This Inner Loop Header: Depth=2
	s_add_i32 s21, s22, 0x800
	s_cmp_gt_u32 s21, s76
	s_cbranch_scc1 .LBB86_185
; %bb.183:                              ;   in Loop: Header=BB86_182 Depth=2
	v_add_co_u32_e32 v0, vcc, s22, v51
	v_addc_co_u32_e32 v1, vcc, 0, v52, vcc
	global_load_ubyte v20, v[0:1], off offset:1536
	global_load_ubyte v19, v[0:1], off offset:1280
	;; [unrolled: 1-line block ×6, first 2 shown]
	global_load_ubyte v14, v[0:1], off
	v_add_co_u32_e32 v0, vcc, 0x700, v0
	v_addc_co_u32_e32 v1, vcc, 0, v1, vcc
	s_mov_b64 s[16:17], -1
	s_movk_i32 s25, 0x800
	s_cbranch_execz .LBB86_186
; %bb.184:                              ;   in Loop: Header=BB86_182 Depth=2
                                        ; implicit-def: $vgpr5
                                        ; implicit-def: $vgpr6
                                        ; implicit-def: $vgpr7
                                        ; implicit-def: $vgpr8
                                        ; implicit-def: $vgpr9
                                        ; implicit-def: $vgpr10
                                        ; implicit-def: $vgpr11
                                        ; implicit-def: $vgpr12
	v_mov_b32_e32 v13, s20
	s_and_saveexec_b64 s[18:19], s[16:17]
	s_cbranch_execnz .LBB86_197
	s_branch .LBB86_198
.LBB86_185:                             ;   in Loop: Header=BB86_182 Depth=2
	s_mov_b64 s[16:17], 0
                                        ; implicit-def: $sgpr25
                                        ; implicit-def: $vgpr14
                                        ; implicit-def: $vgpr15
                                        ; implicit-def: $vgpr16
                                        ; implicit-def: $vgpr17
                                        ; implicit-def: $vgpr18
                                        ; implicit-def: $vgpr19
                                        ; implicit-def: $vgpr20
                                        ; implicit-def: $vgpr0_vgpr1
.LBB86_186:                             ;   in Loop: Header=BB86_182 Depth=2
	s_add_u32 s23, s58, s22
	s_addc_u32 s24, s59, 0
	v_cmp_gt_u32_e32 vcc, s20, v2
	s_and_saveexec_b64 s[18:19], vcc
	s_cbranch_execz .LBB86_214
; %bb.187:                              ;   in Loop: Header=BB86_182 Depth=2
	v_mov_b32_e32 v1, s24
	v_add_co_u32_e32 v0, vcc, s23, v2
	v_addc_co_u32_e32 v1, vcc, 0, v1, vcc
	global_load_ubyte v5, v[0:1], off
	s_or_b64 exec, exec, s[18:19]
	v_cmp_gt_u32_e32 vcc, s20, v24
	s_and_saveexec_b64 s[18:19], vcc
	s_cbranch_execnz .LBB86_215
.LBB86_188:                             ;   in Loop: Header=BB86_182 Depth=2
	s_or_b64 exec, exec, s[18:19]
	v_cmp_gt_u32_e32 vcc, s20, v25
	s_and_saveexec_b64 s[18:19], vcc
	s_cbranch_execz .LBB86_216
.LBB86_189:                             ;   in Loop: Header=BB86_182 Depth=2
	v_mov_b32_e32 v1, s24
	v_add_co_u32_e32 v0, vcc, s23, v2
	v_addc_co_u32_e32 v1, vcc, 0, v1, vcc
	global_load_ubyte v7, v[0:1], off offset:512
	s_or_b64 exec, exec, s[18:19]
	v_cmp_gt_u32_e32 vcc, s20, v26
	s_and_saveexec_b64 s[18:19], vcc
	s_cbranch_execnz .LBB86_217
.LBB86_190:                             ;   in Loop: Header=BB86_182 Depth=2
	s_or_b64 exec, exec, s[18:19]
	v_cmp_gt_u32_e32 vcc, s20, v30
	s_and_saveexec_b64 s[18:19], vcc
	s_cbranch_execz .LBB86_218
.LBB86_191:                             ;   in Loop: Header=BB86_182 Depth=2
	v_mov_b32_e32 v1, s24
	v_add_co_u32_e32 v0, vcc, s23, v2
	v_addc_co_u32_e32 v1, vcc, 0, v1, vcc
	global_load_ubyte v9, v[0:1], off offset:1024
	s_or_b64 exec, exec, s[18:19]
	v_cmp_gt_u32_e32 vcc, s20, v31
	s_and_saveexec_b64 s[18:19], vcc
	s_cbranch_execnz .LBB86_219
.LBB86_192:                             ;   in Loop: Header=BB86_182 Depth=2
	s_or_b64 exec, exec, s[18:19]
	v_cmp_gt_u32_e32 vcc, s20, v32
	s_and_saveexec_b64 s[18:19], vcc
	s_cbranch_execz .LBB86_194
.LBB86_193:                             ;   in Loop: Header=BB86_182 Depth=2
	v_mov_b32_e32 v1, s24
	v_add_co_u32_e32 v0, vcc, s23, v2
	v_addc_co_u32_e32 v1, vcc, 0, v1, vcc
	global_load_ubyte v11, v[0:1], off offset:1536
.LBB86_194:                             ;   in Loop: Header=BB86_182 Depth=2
	s_or_b64 exec, exec, s[18:19]
	v_cmp_gt_u32_e32 vcc, s20, v33
                                        ; implicit-def: $sgpr25
                                        ; implicit-def: $vgpr0_vgpr1
	s_and_saveexec_b64 s[18:19], vcc
	s_cbranch_execz .LBB86_196
; %bb.195:                              ;   in Loop: Header=BB86_182 Depth=2
	v_mov_b32_e32 v0, s24
	v_add_co_u32_e32 v1, vcc, s23, v2
	s_waitcnt vmcnt(0)
	v_addc_co_u32_e32 v12, vcc, 0, v0, vcc
	v_add_co_u32_e32 v0, vcc, 0x700, v1
	s_sub_i32 s25, s76, s22
	v_addc_co_u32_e32 v1, vcc, 0, v12, vcc
	s_or_b64 s[16:17], s[16:17], exec
                                        ; implicit-def: $vgpr12
.LBB86_196:                             ;   in Loop: Header=BB86_182 Depth=2
	s_or_b64 exec, exec, s[18:19]
	s_waitcnt vmcnt(0)
	v_mov_b32_e32 v14, v5
	v_mov_b32_e32 v15, v6
	;; [unrolled: 1-line block ×8, first 2 shown]
	s_and_saveexec_b64 s[18:19], s[16:17]
	s_cbranch_execz .LBB86_198
.LBB86_197:                             ;   in Loop: Header=BB86_182 Depth=2
	global_load_ubyte v12, v[0:1], off
	v_mov_b32_e32 v13, s25
	s_waitcnt vmcnt(1)
	v_mov_b32_e32 v5, v14
	v_mov_b32_e32 v6, v15
	;; [unrolled: 1-line block ×7, first 2 shown]
.LBB86_198:                             ;   in Loop: Header=BB86_182 Depth=2
	s_or_b64 exec, exec, s[18:19]
	v_cmp_lt_u32_e32 vcc, v2, v13
	s_and_saveexec_b64 s[16:17], vcc
	s_cbranch_execz .LBB86_206
; %bb.199:                              ;   in Loop: Header=BB86_182 Depth=2
	v_xor_b32_e32 v0, -1, v5
	v_lshrrev_b32_sdwa v0, s83, v0 dst_sel:DWORD dst_unused:UNUSED_PAD src0_sel:DWORD src1_sel:BYTE_0
	v_and_b32_e32 v0, s84, v0
	v_lshlrev_b32_e32 v1, 2, v27
	v_lshl_or_b32 v0, v0, 4, v1
	ds_add_u32 v0, v63
	s_or_b64 exec, exec, s[16:17]
	v_cmp_lt_u32_e32 vcc, v24, v13
	s_and_saveexec_b64 s[16:17], vcc
	s_cbranch_execnz .LBB86_207
.LBB86_200:                             ;   in Loop: Header=BB86_182 Depth=2
	s_or_b64 exec, exec, s[16:17]
	v_cmp_lt_u32_e32 vcc, v25, v13
	s_and_saveexec_b64 s[16:17], vcc
	s_cbranch_execz .LBB86_208
.LBB86_201:                             ;   in Loop: Header=BB86_182 Depth=2
	v_xor_b32_e32 v0, -1, v7
	v_lshrrev_b32_sdwa v0, s83, v0 dst_sel:DWORD dst_unused:UNUSED_PAD src0_sel:DWORD src1_sel:BYTE_0
	v_and_b32_e32 v0, s84, v0
	v_lshlrev_b32_e32 v1, 2, v27
	v_lshl_or_b32 v0, v0, 4, v1
	ds_add_u32 v0, v63
	s_or_b64 exec, exec, s[16:17]
	v_cmp_lt_u32_e32 vcc, v26, v13
	s_and_saveexec_b64 s[16:17], vcc
	s_cbranch_execnz .LBB86_209
.LBB86_202:                             ;   in Loop: Header=BB86_182 Depth=2
	s_or_b64 exec, exec, s[16:17]
	v_cmp_lt_u32_e32 vcc, v30, v13
	s_and_saveexec_b64 s[16:17], vcc
	s_cbranch_execz .LBB86_210
.LBB86_203:                             ;   in Loop: Header=BB86_182 Depth=2
	v_xor_b32_e32 v0, -1, v9
	v_lshrrev_b32_sdwa v0, s83, v0 dst_sel:DWORD dst_unused:UNUSED_PAD src0_sel:DWORD src1_sel:BYTE_0
	v_and_b32_e32 v0, s84, v0
	v_lshlrev_b32_e32 v1, 2, v27
	v_lshl_or_b32 v0, v0, 4, v1
	ds_add_u32 v0, v63
	s_or_b64 exec, exec, s[16:17]
	v_cmp_lt_u32_e32 vcc, v31, v13
	s_and_saveexec_b64 s[16:17], vcc
	s_cbranch_execnz .LBB86_211
.LBB86_204:                             ;   in Loop: Header=BB86_182 Depth=2
	s_or_b64 exec, exec, s[16:17]
	v_cmp_lt_u32_e32 vcc, v32, v13
	s_and_saveexec_b64 s[16:17], vcc
	s_cbranch_execz .LBB86_212
.LBB86_205:                             ;   in Loop: Header=BB86_182 Depth=2
	v_xor_b32_e32 v0, -1, v11
	v_lshrrev_b32_sdwa v0, s83, v0 dst_sel:DWORD dst_unused:UNUSED_PAD src0_sel:DWORD src1_sel:BYTE_0
	v_and_b32_e32 v0, s84, v0
	v_lshlrev_b32_e32 v1, 2, v27
	v_lshl_or_b32 v0, v0, 4, v1
	ds_add_u32 v0, v63
	s_or_b64 exec, exec, s[16:17]
	v_cmp_lt_u32_e32 vcc, v33, v13
	s_and_saveexec_b64 s[16:17], vcc
	s_cbranch_execz .LBB86_181
	s_branch .LBB86_213
.LBB86_206:                             ;   in Loop: Header=BB86_182 Depth=2
	s_or_b64 exec, exec, s[16:17]
	v_cmp_lt_u32_e32 vcc, v24, v13
	s_and_saveexec_b64 s[16:17], vcc
	s_cbranch_execz .LBB86_200
.LBB86_207:                             ;   in Loop: Header=BB86_182 Depth=2
	v_xor_b32_e32 v0, -1, v6
	v_lshrrev_b32_sdwa v0, s83, v0 dst_sel:DWORD dst_unused:UNUSED_PAD src0_sel:DWORD src1_sel:BYTE_0
	v_and_b32_e32 v0, s84, v0
	v_lshlrev_b32_e32 v1, 2, v27
	v_lshl_or_b32 v0, v0, 4, v1
	ds_add_u32 v0, v63
	s_or_b64 exec, exec, s[16:17]
	v_cmp_lt_u32_e32 vcc, v25, v13
	s_and_saveexec_b64 s[16:17], vcc
	s_cbranch_execnz .LBB86_201
.LBB86_208:                             ;   in Loop: Header=BB86_182 Depth=2
	s_or_b64 exec, exec, s[16:17]
	v_cmp_lt_u32_e32 vcc, v26, v13
	s_and_saveexec_b64 s[16:17], vcc
	s_cbranch_execz .LBB86_202
.LBB86_209:                             ;   in Loop: Header=BB86_182 Depth=2
	v_xor_b32_e32 v0, -1, v8
	v_lshrrev_b32_sdwa v0, s83, v0 dst_sel:DWORD dst_unused:UNUSED_PAD src0_sel:DWORD src1_sel:BYTE_0
	v_and_b32_e32 v0, s84, v0
	v_lshlrev_b32_e32 v1, 2, v27
	v_lshl_or_b32 v0, v0, 4, v1
	ds_add_u32 v0, v63
	s_or_b64 exec, exec, s[16:17]
	v_cmp_lt_u32_e32 vcc, v30, v13
	s_and_saveexec_b64 s[16:17], vcc
	s_cbranch_execnz .LBB86_203
.LBB86_210:                             ;   in Loop: Header=BB86_182 Depth=2
	s_or_b64 exec, exec, s[16:17]
	v_cmp_lt_u32_e32 vcc, v31, v13
	s_and_saveexec_b64 s[16:17], vcc
	s_cbranch_execz .LBB86_204
.LBB86_211:                             ;   in Loop: Header=BB86_182 Depth=2
	v_xor_b32_e32 v0, -1, v10
	v_lshrrev_b32_sdwa v0, s83, v0 dst_sel:DWORD dst_unused:UNUSED_PAD src0_sel:DWORD src1_sel:BYTE_0
	v_and_b32_e32 v0, s84, v0
	v_lshlrev_b32_e32 v1, 2, v27
	v_lshl_or_b32 v0, v0, 4, v1
	ds_add_u32 v0, v63
	s_or_b64 exec, exec, s[16:17]
	v_cmp_lt_u32_e32 vcc, v32, v13
	s_and_saveexec_b64 s[16:17], vcc
	s_cbranch_execnz .LBB86_205
.LBB86_212:                             ;   in Loop: Header=BB86_182 Depth=2
	s_or_b64 exec, exec, s[16:17]
	v_cmp_lt_u32_e32 vcc, v33, v13
	s_and_saveexec_b64 s[16:17], vcc
	s_cbranch_execz .LBB86_181
.LBB86_213:                             ;   in Loop: Header=BB86_182 Depth=2
	s_waitcnt vmcnt(0)
	v_xor_b32_e32 v0, -1, v12
	v_lshrrev_b32_sdwa v0, s83, v0 dst_sel:DWORD dst_unused:UNUSED_PAD src0_sel:DWORD src1_sel:BYTE_0
	v_and_b32_e32 v0, s84, v0
	v_lshlrev_b32_e32 v1, 2, v27
	v_lshl_or_b32 v0, v0, 4, v1
	ds_add_u32 v0, v63
	s_branch .LBB86_181
.LBB86_214:                             ;   in Loop: Header=BB86_182 Depth=2
	s_or_b64 exec, exec, s[18:19]
	v_cmp_gt_u32_e32 vcc, s20, v24
	s_and_saveexec_b64 s[18:19], vcc
	s_cbranch_execz .LBB86_188
.LBB86_215:                             ;   in Loop: Header=BB86_182 Depth=2
	v_mov_b32_e32 v1, s24
	v_add_co_u32_e32 v0, vcc, s23, v2
	v_addc_co_u32_e32 v1, vcc, 0, v1, vcc
	global_load_ubyte v6, v[0:1], off offset:256
	s_or_b64 exec, exec, s[18:19]
	v_cmp_gt_u32_e32 vcc, s20, v25
	s_and_saveexec_b64 s[18:19], vcc
	s_cbranch_execnz .LBB86_189
.LBB86_216:                             ;   in Loop: Header=BB86_182 Depth=2
	s_or_b64 exec, exec, s[18:19]
	v_cmp_gt_u32_e32 vcc, s20, v26
	s_and_saveexec_b64 s[18:19], vcc
	s_cbranch_execz .LBB86_190
.LBB86_217:                             ;   in Loop: Header=BB86_182 Depth=2
	v_mov_b32_e32 v1, s24
	v_add_co_u32_e32 v0, vcc, s23, v2
	v_addc_co_u32_e32 v1, vcc, 0, v1, vcc
	global_load_ubyte v8, v[0:1], off offset:768
	s_or_b64 exec, exec, s[18:19]
	v_cmp_gt_u32_e32 vcc, s20, v30
	s_and_saveexec_b64 s[18:19], vcc
	s_cbranch_execnz .LBB86_191
.LBB86_218:                             ;   in Loop: Header=BB86_182 Depth=2
	s_or_b64 exec, exec, s[18:19]
	v_cmp_gt_u32_e32 vcc, s20, v31
	s_and_saveexec_b64 s[18:19], vcc
	s_cbranch_execz .LBB86_192
.LBB86_219:                             ;   in Loop: Header=BB86_182 Depth=2
	v_mov_b32_e32 v1, s24
	v_add_co_u32_e32 v0, vcc, s23, v2
	v_addc_co_u32_e32 v1, vcc, 0, v1, vcc
	global_load_ubyte v10, v[0:1], off offset:1280
	s_or_b64 exec, exec, s[18:19]
	v_cmp_gt_u32_e32 vcc, s20, v32
	s_and_saveexec_b64 s[18:19], vcc
	s_cbranch_execz .LBB86_194
	s_branch .LBB86_193
.LBB86_220:                             ;   in Loop: Header=BB86_12 Depth=1
	v_mov_b32_e32 v0, 0
	s_waitcnt lgkmcnt(0)
	s_barrier
	s_and_saveexec_b64 s[16:17], s[4:5]
	s_cbranch_execz .LBB86_222
; %bb.221:                              ;   in Loop: Header=BB86_12 Depth=1
	ds_read2_b64 v[6:9], v34 offset1:1
	s_waitcnt lgkmcnt(0)
	v_add_u32_e32 v0, v7, v6
	v_add3_u32 v0, v0, v8, v9
.LBB86_222:                             ;   in Loop: Header=BB86_12 Depth=1
	s_or_b64 exec, exec, s[16:17]
	v_and_b32_e32 v1, 15, v64
	v_mov_b32_dpp v5, v0 row_shr:1 row_mask:0xf bank_mask:0xf
	v_cmp_eq_u32_e64 s[16:17], 0, v1
	v_cndmask_b32_e64 v5, v5, 0, s[16:17]
	v_add_u32_e32 v0, v5, v0
	v_cmp_lt_u32_e64 s[18:19], 1, v1
	v_cmp_lt_u32_e64 s[20:21], 3, v1
	v_mov_b32_dpp v5, v0 row_shr:2 row_mask:0xf bank_mask:0xf
	v_cndmask_b32_e64 v5, 0, v5, s[18:19]
	v_add_u32_e32 v0, v0, v5
	v_cmp_lt_u32_e64 s[22:23], 7, v1
	v_cmp_lt_u32_e64 s[26:27], 31, v64
	v_mov_b32_dpp v5, v0 row_shr:4 row_mask:0xf bank_mask:0xf
	v_cndmask_b32_e64 v5, 0, v5, s[20:21]
	v_add_u32_e32 v0, v0, v5
	v_and_b32_e32 v6, 16, v64
	v_cmp_eq_u32_e64 s[24:25], 0, v6
	v_mov_b32_dpp v5, v0 row_shr:8 row_mask:0xf bank_mask:0xf
	v_cndmask_b32_e64 v1, 0, v5, s[22:23]
	v_add_u32_e32 v0, v0, v1
	v_bfe_i32 v5, v64, 4, 1
	s_nop 0
	v_mov_b32_dpp v1, v0 row_bcast:15 row_mask:0xf bank_mask:0xf
	v_and_b32_e32 v1, v5, v1
	v_add_u32_e32 v0, v0, v1
	s_nop 1
	v_mov_b32_dpp v1, v0 row_bcast:31 row_mask:0xf bank_mask:0xf
	v_cndmask_b32_e64 v1, 0, v1, s[26:27]
	v_add_u32_e32 v1, v0, v1
	s_and_saveexec_b64 s[28:29], s[6:7]
	s_cbranch_execz .LBB86_224
; %bb.223:                              ;   in Loop: Header=BB86_12 Depth=1
	ds_write_b32 v36, v1
.LBB86_224:                             ;   in Loop: Header=BB86_12 Depth=1
	s_or_b64 exec, exec, s[28:29]
	v_and_b32_e32 v0, 3, v64
	s_waitcnt lgkmcnt(0)
	s_barrier
	s_and_saveexec_b64 s[28:29], s[8:9]
	s_cbranch_execz .LBB86_226
; %bb.225:                              ;   in Loop: Header=BB86_12 Depth=1
	ds_read_b32 v5, v37
	v_cmp_ne_u32_e32 vcc, 0, v0
	s_waitcnt lgkmcnt(0)
	v_mov_b32_dpp v6, v5 row_shr:1 row_mask:0xf bank_mask:0xf
	v_cndmask_b32_e32 v6, 0, v6, vcc
	v_add_u32_e32 v5, v6, v5
	v_cmp_lt_u32_e32 vcc, 1, v0
	s_nop 0
	v_mov_b32_dpp v6, v5 row_shr:2 row_mask:0xf bank_mask:0xf
	v_cndmask_b32_e32 v6, 0, v6, vcc
	v_add_u32_e32 v5, v5, v6
	ds_write_b32 v37, v5
.LBB86_226:                             ;   in Loop: Header=BB86_12 Depth=1
	s_or_b64 exec, exec, s[28:29]
	v_mov_b32_e32 v5, 0
	s_waitcnt lgkmcnt(0)
	s_barrier
	s_and_saveexec_b64 s[28:29], s[10:11]
	s_cbranch_execz .LBB86_228
; %bb.227:                              ;   in Loop: Header=BB86_12 Depth=1
	ds_read_b32 v5, v38
.LBB86_228:                             ;   in Loop: Header=BB86_12 Depth=1
	s_or_b64 exec, exec, s[28:29]
	v_add_u32_e32 v6, -1, v64
	v_and_b32_e32 v7, 64, v64
	v_cmp_lt_i32_e32 vcc, v6, v7
	v_cndmask_b32_e32 v6, v6, v64, vcc
	s_waitcnt lgkmcnt(0)
	v_add_u32_e32 v1, v5, v1
	v_lshlrev_b32_e32 v66, 2, v6
	ds_bpermute_b32 v1, v66, v1
	v_cmp_eq_u32_e64 s[28:29], 0, v64
	s_waitcnt lgkmcnt(0)
	s_barrier
	s_and_saveexec_b64 s[30:31], s[4:5]
	s_cbranch_execz .LBB86_230
; %bb.229:                              ;   in Loop: Header=BB86_12 Depth=1
	v_cndmask_b32_e64 v1, v1, v5, s[28:29]
	v_add_u32_e32 v1, s51, v1
	ds_write_b32 v3, v1
.LBB86_230:                             ;   in Loop: Header=BB86_12 Depth=1
	s_or_b64 exec, exec, s[30:31]
	s_load_dwordx2 s[30:31], s[74:75], 0x0
	v_and_b32_e32 v21, 63, v64
	v_add_co_u32_e32 v75, vcc, v55, v21
	v_lshlrev_b32_e32 v22, 3, v21
	s_waitcnt lgkmcnt(0)
	s_cmp_lt_u32 s50, s30
	s_cselect_b32 s34, 12, 18
	s_cmp_lt_u32 s33, s31
	s_cselect_b32 s30, 14, 20
	s_add_u32 s30, s74, s30
	s_addc_u32 s31, s75, 0
	s_add_u32 s34, s74, s34
	global_load_ushort v5, v4, s[30:31]
	s_addc_u32 s35, s75, 0
	global_load_ushort v20, v4, s[34:35]
	v_addc_co_u32_e32 v77, vcc, 0, v56, vcc
	v_add_co_u32_e32 v78, vcc, v53, v22
	v_addc_co_u32_e32 v79, vcc, 0, v54, vcc
	v_or_b32_e32 v73, v21, v39
	v_add_co_u32_e32 v87, vcc, 0x1c0, v75
	v_cmp_eq_u32_e64 s[30:31], 0, v0
	v_cmp_lt_u32_e64 s[34:35], 1, v0
	s_mov_b32 s85, s71
	v_or_b32_e32 v80, 64, v73
	v_or_b32_e32 v81, 0x80, v73
	;; [unrolled: 1-line block ×7, first 2 shown]
	v_addc_co_u32_e32 v88, vcc, 0, v77, vcc
	s_mov_b32 s72, s51
                                        ; implicit-def: $vgpr0_vgpr1
                                        ; implicit-def: $vgpr6_vgpr7
                                        ; implicit-def: $vgpr8_vgpr9
                                        ; implicit-def: $vgpr10_vgpr11
                                        ; implicit-def: $vgpr12_vgpr13
                                        ; implicit-def: $vgpr14_vgpr15
                                        ; implicit-def: $vgpr16_vgpr17
                                        ; implicit-def: $vgpr18_vgpr19
                                        ; implicit-def: $vgpr67
                                        ; implicit-def: $vgpr68
                                        ; implicit-def: $vgpr69
                                        ; implicit-def: $vgpr70
                                        ; implicit-def: $vgpr71
                                        ; implicit-def: $vgpr72
                                        ; implicit-def: $vgpr74
                                        ; implicit-def: $vgpr76
	s_waitcnt vmcnt(1)
	v_mad_u32_u24 v5, v40, v5, v41
	s_waitcnt vmcnt(0)
	v_mad_u64_u32 v[20:21], s[36:37], v5, v20, v[2:3]
	v_lshrrev_b32_e32 v89, 6, v20
	s_branch .LBB86_232
.LBB86_231:                             ;   in Loop: Header=BB86_232 Depth=2
	s_or_b64 exec, exec, s[36:37]
	s_addk_i32 s85, 0xf800
	s_cmp_lt_u32 s86, s76
	s_mov_b32 s72, s86
	s_cbranch_scc0 .LBB86_344
.LBB86_232:                             ;   Parent Loop BB86_12 Depth=1
                                        ; =>  This Inner Loop Header: Depth=2
	s_add_i32 s86, s72, 0x800
	s_cmp_gt_u32 s86, s76
	s_cbranch_scc1 .LBB86_234
; %bb.233:                              ;   in Loop: Header=BB86_232 Depth=2
	v_add_co_u32_e32 v20, vcc, s72, v75
	v_addc_co_u32_e32 v21, vcc, 0, v77, vcc
	global_load_ubyte v5, v[20:21], off offset:64
	global_load_ubyte v22, v[20:21], off offset:192
	;; [unrolled: 1-line block ×3, first 2 shown]
	global_load_ubyte v90, v[20:21], off
	global_load_ubyte v91, v[20:21], off offset:128
	global_load_ubyte v92, v[20:21], off offset:256
	s_nop 0
	global_load_ubyte v21, v[20:21], off offset:384
	s_mov_b64 s[36:37], -1
	s_movk_i32 s40, 0x800
	s_waitcnt vmcnt(6)
	v_lshlrev_b16_e32 v5, 8, v5
	s_waitcnt vmcnt(5)
	v_lshlrev_b16_e32 v20, 8, v22
	;; [unrolled: 2-line block ×3, first 2 shown]
	s_waitcnt vmcnt(3)
	v_or_b32_e32 v5, v90, v5
	s_waitcnt vmcnt(2)
	v_or_b32_sdwa v20, v91, v20 dst_sel:WORD_1 dst_unused:UNUSED_PAD src0_sel:DWORD src1_sel:DWORD
	s_waitcnt vmcnt(1)
	v_or_b32_e32 v22, v92, v22
	v_or_b32_sdwa v20, v5, v20 dst_sel:DWORD dst_unused:UNUSED_PAD src0_sel:WORD_0 src1_sel:DWORD
	v_and_b32_e32 v5, 0xffff, v22
	s_waitcnt vmcnt(0)
	v_lshl_or_b32 v21, v21, 16, v5
	s_cbranch_execz .LBB86_235
	s_branch .LBB86_244
.LBB86_234:                             ;   in Loop: Header=BB86_232 Depth=2
	s_mov_b64 s[36:37], 0
                                        ; implicit-def: $sgpr40
                                        ; implicit-def: $vgpr20_vgpr21
.LBB86_235:                             ;   in Loop: Header=BB86_232 Depth=2
	v_add_co_u32_e32 v22, vcc, s72, v75
	v_addc_co_u32_e32 v23, vcc, 0, v77, vcc
	s_mov_b32 s36, s73
	s_mov_b32 s37, s73
	v_cmp_gt_u32_e32 vcc, s85, v73
	v_pk_mov_b32 v[20:21], s[36:37], s[36:37] op_sel:[0,1]
	s_and_saveexec_b64 s[36:37], vcc
	s_cbranch_execz .LBB86_338
; %bb.236:                              ;   in Loop: Header=BB86_232 Depth=2
	global_load_ubyte v5, v[22:23], off
	v_mov_b32_e32 v21, s73
	s_waitcnt vmcnt(0)
	v_and_b32_e32 v20, 0xffff, v5
	s_or_b64 exec, exec, s[36:37]
	v_cmp_gt_u32_e32 vcc, s85, v80
	s_and_saveexec_b64 s[36:37], vcc
	s_cbranch_execnz .LBB86_339
.LBB86_237:                             ;   in Loop: Header=BB86_232 Depth=2
	s_or_b64 exec, exec, s[36:37]
	v_cmp_gt_u32_e32 vcc, s85, v81
	s_and_saveexec_b64 s[36:37], vcc
	s_cbranch_execz .LBB86_340
.LBB86_238:                             ;   in Loop: Header=BB86_232 Depth=2
	global_load_ubyte v5, v[22:23], off offset:128
	v_and_b32_sdwa v90, v20, s79 dst_sel:DWORD dst_unused:UNUSED_PAD src0_sel:WORD_1 src1_sel:DWORD
	s_waitcnt vmcnt(0)
	v_or_b32_sdwa v5, v5, v90 dst_sel:WORD_1 dst_unused:UNUSED_PAD src0_sel:DWORD src1_sel:DWORD
	v_and_or_b32 v20, v20, s77, v5
	s_or_b64 exec, exec, s[36:37]
	v_cmp_gt_u32_e32 vcc, s85, v82
	s_and_saveexec_b64 s[36:37], vcc
	s_cbranch_execnz .LBB86_341
.LBB86_239:                             ;   in Loop: Header=BB86_232 Depth=2
	s_or_b64 exec, exec, s[36:37]
	v_cmp_gt_u32_e32 vcc, s85, v83
	s_and_saveexec_b64 s[36:37], vcc
	s_cbranch_execz .LBB86_342
.LBB86_240:                             ;   in Loop: Header=BB86_232 Depth=2
	global_load_ubyte v5, v[22:23], off offset:256
	s_waitcnt vmcnt(0)
	v_perm_b32 v21, v5, v21, s80
	s_or_b64 exec, exec, s[36:37]
	v_cmp_gt_u32_e32 vcc, s85, v84
	s_and_saveexec_b64 s[36:37], vcc
	s_cbranch_execnz .LBB86_343
.LBB86_241:                             ;   in Loop: Header=BB86_232 Depth=2
	s_or_b64 exec, exec, s[36:37]
	v_cmp_gt_u32_e32 vcc, s85, v85
	s_and_saveexec_b64 s[36:37], vcc
	s_cbranch_execz .LBB86_243
.LBB86_242:                             ;   in Loop: Header=BB86_232 Depth=2
	global_load_ubyte v5, v[22:23], off offset:384
	s_waitcnt vmcnt(0)
	v_perm_b32 v21, v21, v5, s81
.LBB86_243:                             ;   in Loop: Header=BB86_232 Depth=2
	s_or_b64 exec, exec, s[36:37]
	s_sub_i32 s40, s76, s72
	v_cmp_gt_u32_e64 s[36:37], s85, v86
.LBB86_244:                             ;   in Loop: Header=BB86_232 Depth=2
	v_mov_b32_e32 v90, s85
	s_and_saveexec_b64 s[38:39], s[36:37]
	s_cbranch_execz .LBB86_246
; %bb.245:                              ;   in Loop: Header=BB86_232 Depth=2
	v_mov_b32_e32 v5, s73
	v_add_co_u32_e32 v22, vcc, s72, v87
	v_addc_co_u32_e32 v23, vcc, v88, v5, vcc
	global_load_ubyte v5, v[22:23], off
	v_mov_b32_e32 v90, s40
	s_waitcnt vmcnt(0)
	v_perm_b32 v21, v21, v5, s82
.LBB86_246:                             ;   in Loop: Header=BB86_232 Depth=2
	s_or_b64 exec, exec, s[38:39]
	v_xor_b32_e32 v91, -1, v20
	v_add_u32_e32 v5, 0x410, v42
	ds_write2_b32 v5, v4, v4 offset1:1
	ds_write2_b32 v44, v4, v4 offset0:2 offset1:3
	ds_write_b32 v44, v4 offset:16
	v_lshrrev_b32_sdwa v5, s83, v91 dst_sel:DWORD dst_unused:UNUSED_PAD src0_sel:DWORD src1_sel:BYTE_0
	v_and_b32_e32 v22, s84, v5
	v_mad_u32_u24 v5, v22, 5, v89
	v_lshl_add_u32 v92, v5, 2, v43
	v_and_b32_e32 v5, 1, v22
	v_add_co_u32_e32 v23, vcc, -1, v5
	v_addc_co_u32_e64 v93, s[36:37], 0, -1, vcc
	v_cmp_ne_u32_e32 vcc, 0, v5
	v_xor_b32_e32 v5, vcc_hi, v93
	v_and_b32_e32 v93, exec_hi, v5
	v_lshlrev_b32_e32 v5, 30, v22
	v_xor_b32_e32 v23, vcc_lo, v23
	v_cmp_gt_i64_e32 vcc, 0, v[4:5]
	v_not_b32_e32 v5, v5
	v_ashrrev_i32_e32 v5, 31, v5
	v_and_b32_e32 v23, exec_lo, v23
	v_xor_b32_e32 v94, vcc_hi, v5
	v_xor_b32_e32 v5, vcc_lo, v5
	v_and_b32_e32 v23, v23, v5
	v_lshlrev_b32_e32 v5, 29, v22
	v_cmp_gt_i64_e32 vcc, 0, v[4:5]
	v_not_b32_e32 v5, v5
	v_ashrrev_i32_e32 v5, 31, v5
	v_and_b32_e32 v93, v93, v94
	v_xor_b32_e32 v94, vcc_hi, v5
	v_xor_b32_e32 v5, vcc_lo, v5
	v_and_b32_e32 v23, v23, v5
	v_lshlrev_b32_e32 v5, 28, v22
	v_cmp_gt_i64_e32 vcc, 0, v[4:5]
	v_not_b32_e32 v5, v5
	v_ashrrev_i32_e32 v5, 31, v5
	v_and_b32_e32 v93, v93, v94
	;; [unrolled: 8-line block ×5, first 2 shown]
	v_xor_b32_e32 v94, vcc_hi, v5
	v_xor_b32_e32 v5, vcc_lo, v5
	v_and_b32_e32 v93, v93, v94
	v_and_b32_e32 v94, v23, v5
	v_lshlrev_b32_e32 v5, 24, v22
	v_cmp_gt_i64_e32 vcc, 0, v[4:5]
	v_not_b32_e32 v5, v5
	v_ashrrev_i32_e32 v5, 31, v5
	v_xor_b32_e32 v22, vcc_hi, v5
	v_xor_b32_e32 v5, vcc_lo, v5
	v_and_b32_e32 v23, v93, v22
	v_and_b32_e32 v22, v94, v5
	v_mbcnt_lo_u32_b32 v5, v22, 0
	v_mbcnt_hi_u32_b32 v93, v23, v5
	v_cmp_eq_u32_e32 vcc, 0, v93
	v_cmp_ne_u64_e64 s[36:37], 0, v[22:23]
	s_and_b64 s[38:39], s[36:37], vcc
	s_waitcnt lgkmcnt(0)
	s_barrier
	s_waitcnt lgkmcnt(0)
	; wave barrier
	s_and_saveexec_b64 s[36:37], s[38:39]
	s_cbranch_execz .LBB86_248
; %bb.247:                              ;   in Loop: Header=BB86_232 Depth=2
	v_bcnt_u32_b32 v5, v22, 0
	v_bcnt_u32_b32 v5, v23, v5
	ds_write_b32 v92, v5
.LBB86_248:                             ;   in Loop: Header=BB86_232 Depth=2
	s_or_b64 exec, exec, s[36:37]
	v_lshrrev_b32_e32 v5, 8, v20
	v_xor_b32_e32 v94, -1, v5
	v_lshrrev_b32_sdwa v5, s83, v94 dst_sel:DWORD dst_unused:UNUSED_PAD src0_sel:DWORD src1_sel:BYTE_0
	v_and_b32_e32 v22, s84, v5
	v_mul_u32_u24_e32 v5, 5, v22
	v_add_lshl_u32 v5, v5, v89, 2
	; wave barrier
	v_add_u32_e32 v96, 0x410, v5
	ds_read_b32 v95, v5 offset:1040
	v_and_b32_e32 v5, 1, v22
	v_add_co_u32_e32 v23, vcc, -1, v5
	v_addc_co_u32_e64 v97, s[36:37], 0, -1, vcc
	v_cmp_ne_u32_e32 vcc, 0, v5
	v_xor_b32_e32 v5, vcc_hi, v97
	v_and_b32_e32 v97, exec_hi, v5
	v_lshlrev_b32_e32 v5, 30, v22
	v_xor_b32_e32 v23, vcc_lo, v23
	v_cmp_gt_i64_e32 vcc, 0, v[4:5]
	v_not_b32_e32 v5, v5
	v_ashrrev_i32_e32 v5, 31, v5
	v_and_b32_e32 v23, exec_lo, v23
	v_xor_b32_e32 v98, vcc_hi, v5
	v_xor_b32_e32 v5, vcc_lo, v5
	v_and_b32_e32 v23, v23, v5
	v_lshlrev_b32_e32 v5, 29, v22
	v_cmp_gt_i64_e32 vcc, 0, v[4:5]
	v_not_b32_e32 v5, v5
	v_ashrrev_i32_e32 v5, 31, v5
	v_and_b32_e32 v97, v97, v98
	v_xor_b32_e32 v98, vcc_hi, v5
	v_xor_b32_e32 v5, vcc_lo, v5
	v_and_b32_e32 v23, v23, v5
	v_lshlrev_b32_e32 v5, 28, v22
	v_cmp_gt_i64_e32 vcc, 0, v[4:5]
	v_not_b32_e32 v5, v5
	v_ashrrev_i32_e32 v5, 31, v5
	v_and_b32_e32 v97, v97, v98
	;; [unrolled: 8-line block ×5, first 2 shown]
	v_xor_b32_e32 v98, vcc_hi, v5
	v_xor_b32_e32 v5, vcc_lo, v5
	v_and_b32_e32 v97, v97, v98
	v_and_b32_e32 v98, v23, v5
	v_lshlrev_b32_e32 v5, 24, v22
	v_cmp_gt_i64_e32 vcc, 0, v[4:5]
	v_not_b32_e32 v5, v5
	v_ashrrev_i32_e32 v5, 31, v5
	v_xor_b32_e32 v22, vcc_hi, v5
	v_xor_b32_e32 v5, vcc_lo, v5
	v_and_b32_e32 v23, v97, v22
	v_and_b32_e32 v22, v98, v5
	v_mbcnt_lo_u32_b32 v5, v22, 0
	v_mbcnt_hi_u32_b32 v97, v23, v5
	v_cmp_eq_u32_e32 vcc, 0, v97
	v_cmp_ne_u64_e64 s[36:37], 0, v[22:23]
	s_and_b64 s[38:39], s[36:37], vcc
	; wave barrier
	s_and_saveexec_b64 s[36:37], s[38:39]
	s_cbranch_execz .LBB86_250
; %bb.249:                              ;   in Loop: Header=BB86_232 Depth=2
	v_bcnt_u32_b32 v5, v22, 0
	v_bcnt_u32_b32 v5, v23, v5
	s_waitcnt lgkmcnt(0)
	v_add_u32_e32 v5, v95, v5
	ds_write_b32 v96, v5
.LBB86_250:                             ;   in Loop: Header=BB86_232 Depth=2
	s_or_b64 exec, exec, s[36:37]
	v_xor_b32_sdwa v98, v20, v65 dst_sel:DWORD dst_unused:UNUSED_PAD src0_sel:WORD_1 src1_sel:DWORD
	v_lshrrev_b32_sdwa v5, s83, v98 dst_sel:DWORD dst_unused:UNUSED_PAD src0_sel:DWORD src1_sel:BYTE_0
	v_and_b32_e32 v22, s84, v5
	v_mul_u32_u24_e32 v5, 5, v22
	v_add_lshl_u32 v5, v5, v89, 2
	; wave barrier
	v_add_u32_e32 v100, 0x410, v5
	ds_read_b32 v99, v5 offset:1040
	v_and_b32_e32 v5, 1, v22
	v_add_co_u32_e32 v23, vcc, -1, v5
	v_addc_co_u32_e64 v101, s[36:37], 0, -1, vcc
	v_cmp_ne_u32_e32 vcc, 0, v5
	v_xor_b32_e32 v5, vcc_hi, v101
	v_and_b32_e32 v101, exec_hi, v5
	v_lshlrev_b32_e32 v5, 30, v22
	v_xor_b32_e32 v23, vcc_lo, v23
	v_cmp_gt_i64_e32 vcc, 0, v[4:5]
	v_not_b32_e32 v5, v5
	v_ashrrev_i32_e32 v5, 31, v5
	v_and_b32_e32 v23, exec_lo, v23
	v_xor_b32_e32 v102, vcc_hi, v5
	v_xor_b32_e32 v5, vcc_lo, v5
	v_and_b32_e32 v23, v23, v5
	v_lshlrev_b32_e32 v5, 29, v22
	v_cmp_gt_i64_e32 vcc, 0, v[4:5]
	v_not_b32_e32 v5, v5
	v_ashrrev_i32_e32 v5, 31, v5
	v_and_b32_e32 v101, v101, v102
	v_xor_b32_e32 v102, vcc_hi, v5
	v_xor_b32_e32 v5, vcc_lo, v5
	v_and_b32_e32 v23, v23, v5
	v_lshlrev_b32_e32 v5, 28, v22
	v_cmp_gt_i64_e32 vcc, 0, v[4:5]
	v_not_b32_e32 v5, v5
	v_ashrrev_i32_e32 v5, 31, v5
	v_and_b32_e32 v101, v101, v102
	;; [unrolled: 8-line block ×5, first 2 shown]
	v_xor_b32_e32 v102, vcc_hi, v5
	v_xor_b32_e32 v5, vcc_lo, v5
	v_and_b32_e32 v101, v101, v102
	v_and_b32_e32 v102, v23, v5
	v_lshlrev_b32_e32 v5, 24, v22
	v_cmp_gt_i64_e32 vcc, 0, v[4:5]
	v_not_b32_e32 v5, v5
	v_ashrrev_i32_e32 v5, 31, v5
	v_xor_b32_e32 v22, vcc_hi, v5
	v_xor_b32_e32 v5, vcc_lo, v5
	v_and_b32_e32 v23, v101, v22
	v_and_b32_e32 v22, v102, v5
	v_mbcnt_lo_u32_b32 v5, v22, 0
	v_mbcnt_hi_u32_b32 v101, v23, v5
	v_cmp_eq_u32_e32 vcc, 0, v101
	v_cmp_ne_u64_e64 s[36:37], 0, v[22:23]
	s_and_b64 s[38:39], s[36:37], vcc
	; wave barrier
	s_and_saveexec_b64 s[36:37], s[38:39]
	s_cbranch_execz .LBB86_252
; %bb.251:                              ;   in Loop: Header=BB86_232 Depth=2
	v_bcnt_u32_b32 v5, v22, 0
	v_bcnt_u32_b32 v5, v23, v5
	s_waitcnt lgkmcnt(0)
	v_add_u32_e32 v5, v99, v5
	ds_write_b32 v100, v5
.LBB86_252:                             ;   in Loop: Header=BB86_232 Depth=2
	s_or_b64 exec, exec, s[36:37]
	v_lshrrev_b64 v[22:23], 24, v[20:21]
	v_xor_b32_e32 v102, -1, v22
	v_lshrrev_b32_sdwa v5, s83, v102 dst_sel:DWORD dst_unused:UNUSED_PAD src0_sel:DWORD src1_sel:BYTE_0
	v_and_b32_e32 v20, s84, v5
	v_mul_u32_u24_e32 v5, 5, v20
	v_add_lshl_u32 v5, v5, v89, 2
	; wave barrier
	v_add_u32_e32 v104, 0x410, v5
	ds_read_b32 v103, v5 offset:1040
	v_and_b32_e32 v5, 1, v20
	v_add_co_u32_e32 v22, vcc, -1, v5
	v_addc_co_u32_e64 v23, s[36:37], 0, -1, vcc
	v_cmp_ne_u32_e32 vcc, 0, v5
	v_xor_b32_e32 v5, vcc_hi, v23
	v_and_b32_e32 v23, exec_hi, v5
	v_lshlrev_b32_e32 v5, 30, v20
	v_xor_b32_e32 v22, vcc_lo, v22
	v_cmp_gt_i64_e32 vcc, 0, v[4:5]
	v_not_b32_e32 v5, v5
	v_ashrrev_i32_e32 v5, 31, v5
	v_and_b32_e32 v22, exec_lo, v22
	v_xor_b32_e32 v105, vcc_hi, v5
	v_xor_b32_e32 v5, vcc_lo, v5
	v_and_b32_e32 v22, v22, v5
	v_lshlrev_b32_e32 v5, 29, v20
	v_cmp_gt_i64_e32 vcc, 0, v[4:5]
	v_not_b32_e32 v5, v5
	v_ashrrev_i32_e32 v5, 31, v5
	v_and_b32_e32 v23, v23, v105
	v_xor_b32_e32 v105, vcc_hi, v5
	v_xor_b32_e32 v5, vcc_lo, v5
	v_and_b32_e32 v22, v22, v5
	v_lshlrev_b32_e32 v5, 28, v20
	v_cmp_gt_i64_e32 vcc, 0, v[4:5]
	v_not_b32_e32 v5, v5
	v_ashrrev_i32_e32 v5, 31, v5
	v_and_b32_e32 v23, v23, v105
	;; [unrolled: 8-line block ×5, first 2 shown]
	v_xor_b32_e32 v105, vcc_hi, v5
	v_xor_b32_e32 v5, vcc_lo, v5
	v_and_b32_e32 v22, v22, v5
	v_lshlrev_b32_e32 v5, 24, v20
	v_cmp_gt_i64_e32 vcc, 0, v[4:5]
	v_not_b32_e32 v5, v5
	v_ashrrev_i32_e32 v5, 31, v5
	v_xor_b32_e32 v20, vcc_hi, v5
	v_xor_b32_e32 v5, vcc_lo, v5
	v_and_b32_e32 v23, v23, v105
	v_and_b32_e32 v22, v22, v5
	;; [unrolled: 1-line block ×3, first 2 shown]
	v_mbcnt_lo_u32_b32 v5, v22, 0
	v_mbcnt_hi_u32_b32 v105, v23, v5
	v_cmp_eq_u32_e32 vcc, 0, v105
	v_cmp_ne_u64_e64 s[36:37], 0, v[22:23]
	s_and_b64 s[38:39], s[36:37], vcc
	; wave barrier
	s_and_saveexec_b64 s[36:37], s[38:39]
	s_cbranch_execz .LBB86_254
; %bb.253:                              ;   in Loop: Header=BB86_232 Depth=2
	v_bcnt_u32_b32 v5, v22, 0
	v_bcnt_u32_b32 v5, v23, v5
	s_waitcnt lgkmcnt(0)
	v_add_u32_e32 v5, v103, v5
	ds_write_b32 v104, v5
.LBB86_254:                             ;   in Loop: Header=BB86_232 Depth=2
	s_or_b64 exec, exec, s[36:37]
	v_xor_b32_e32 v106, -1, v21
	v_lshrrev_b32_sdwa v5, s83, v106 dst_sel:DWORD dst_unused:UNUSED_PAD src0_sel:DWORD src1_sel:BYTE_0
	v_and_b32_e32 v20, s84, v5
	v_mul_u32_u24_e32 v5, 5, v20
	v_add_lshl_u32 v5, v5, v89, 2
	; wave barrier
	v_add_u32_e32 v108, 0x410, v5
	ds_read_b32 v107, v5 offset:1040
	v_and_b32_e32 v5, 1, v20
	v_add_co_u32_e32 v22, vcc, -1, v5
	v_addc_co_u32_e64 v23, s[36:37], 0, -1, vcc
	v_cmp_ne_u32_e32 vcc, 0, v5
	v_xor_b32_e32 v5, vcc_hi, v23
	v_and_b32_e32 v23, exec_hi, v5
	v_lshlrev_b32_e32 v5, 30, v20
	v_xor_b32_e32 v22, vcc_lo, v22
	v_cmp_gt_i64_e32 vcc, 0, v[4:5]
	v_not_b32_e32 v5, v5
	v_ashrrev_i32_e32 v5, 31, v5
	v_and_b32_e32 v22, exec_lo, v22
	v_xor_b32_e32 v109, vcc_hi, v5
	v_xor_b32_e32 v5, vcc_lo, v5
	v_and_b32_e32 v22, v22, v5
	v_lshlrev_b32_e32 v5, 29, v20
	v_cmp_gt_i64_e32 vcc, 0, v[4:5]
	v_not_b32_e32 v5, v5
	v_ashrrev_i32_e32 v5, 31, v5
	v_and_b32_e32 v23, v23, v109
	v_xor_b32_e32 v109, vcc_hi, v5
	v_xor_b32_e32 v5, vcc_lo, v5
	v_and_b32_e32 v22, v22, v5
	v_lshlrev_b32_e32 v5, 28, v20
	v_cmp_gt_i64_e32 vcc, 0, v[4:5]
	v_not_b32_e32 v5, v5
	v_ashrrev_i32_e32 v5, 31, v5
	v_and_b32_e32 v23, v23, v109
	;; [unrolled: 8-line block ×5, first 2 shown]
	v_xor_b32_e32 v109, vcc_hi, v5
	v_xor_b32_e32 v5, vcc_lo, v5
	v_and_b32_e32 v22, v22, v5
	v_lshlrev_b32_e32 v5, 24, v20
	v_cmp_gt_i64_e32 vcc, 0, v[4:5]
	v_not_b32_e32 v5, v5
	v_ashrrev_i32_e32 v5, 31, v5
	v_xor_b32_e32 v20, vcc_hi, v5
	v_xor_b32_e32 v5, vcc_lo, v5
	v_and_b32_e32 v23, v23, v109
	v_and_b32_e32 v22, v22, v5
	;; [unrolled: 1-line block ×3, first 2 shown]
	v_mbcnt_lo_u32_b32 v5, v22, 0
	v_mbcnt_hi_u32_b32 v109, v23, v5
	v_cmp_eq_u32_e32 vcc, 0, v109
	v_cmp_ne_u64_e64 s[36:37], 0, v[22:23]
	s_and_b64 s[38:39], s[36:37], vcc
	; wave barrier
	s_and_saveexec_b64 s[36:37], s[38:39]
	s_cbranch_execz .LBB86_256
; %bb.255:                              ;   in Loop: Header=BB86_232 Depth=2
	v_bcnt_u32_b32 v5, v22, 0
	v_bcnt_u32_b32 v5, v23, v5
	s_waitcnt lgkmcnt(0)
	v_add_u32_e32 v5, v107, v5
	ds_write_b32 v108, v5
.LBB86_256:                             ;   in Loop: Header=BB86_232 Depth=2
	s_or_b64 exec, exec, s[36:37]
	v_lshrrev_b32_e32 v5, 8, v21
	v_xor_b32_e32 v110, -1, v5
	v_lshrrev_b32_sdwa v5, s83, v110 dst_sel:DWORD dst_unused:UNUSED_PAD src0_sel:DWORD src1_sel:BYTE_0
	v_and_b32_e32 v20, s84, v5
	v_mul_u32_u24_e32 v5, 5, v20
	v_add_lshl_u32 v5, v5, v89, 2
	; wave barrier
	v_add_u32_e32 v112, 0x410, v5
	ds_read_b32 v111, v5 offset:1040
	v_and_b32_e32 v5, 1, v20
	v_add_co_u32_e32 v22, vcc, -1, v5
	v_addc_co_u32_e64 v23, s[36:37], 0, -1, vcc
	v_cmp_ne_u32_e32 vcc, 0, v5
	v_xor_b32_e32 v5, vcc_hi, v23
	v_and_b32_e32 v23, exec_hi, v5
	v_lshlrev_b32_e32 v5, 30, v20
	v_xor_b32_e32 v22, vcc_lo, v22
	v_cmp_gt_i64_e32 vcc, 0, v[4:5]
	v_not_b32_e32 v5, v5
	v_ashrrev_i32_e32 v5, 31, v5
	v_and_b32_e32 v22, exec_lo, v22
	v_xor_b32_e32 v113, vcc_hi, v5
	v_xor_b32_e32 v5, vcc_lo, v5
	v_and_b32_e32 v22, v22, v5
	v_lshlrev_b32_e32 v5, 29, v20
	v_cmp_gt_i64_e32 vcc, 0, v[4:5]
	v_not_b32_e32 v5, v5
	v_ashrrev_i32_e32 v5, 31, v5
	v_and_b32_e32 v23, v23, v113
	v_xor_b32_e32 v113, vcc_hi, v5
	v_xor_b32_e32 v5, vcc_lo, v5
	v_and_b32_e32 v22, v22, v5
	v_lshlrev_b32_e32 v5, 28, v20
	v_cmp_gt_i64_e32 vcc, 0, v[4:5]
	v_not_b32_e32 v5, v5
	v_ashrrev_i32_e32 v5, 31, v5
	v_and_b32_e32 v23, v23, v113
	;; [unrolled: 8-line block ×5, first 2 shown]
	v_xor_b32_e32 v113, vcc_hi, v5
	v_xor_b32_e32 v5, vcc_lo, v5
	v_and_b32_e32 v22, v22, v5
	v_lshlrev_b32_e32 v5, 24, v20
	v_cmp_gt_i64_e32 vcc, 0, v[4:5]
	v_not_b32_e32 v5, v5
	v_ashrrev_i32_e32 v5, 31, v5
	v_xor_b32_e32 v20, vcc_hi, v5
	v_xor_b32_e32 v5, vcc_lo, v5
	v_and_b32_e32 v23, v23, v113
	v_and_b32_e32 v22, v22, v5
	;; [unrolled: 1-line block ×3, first 2 shown]
	v_mbcnt_lo_u32_b32 v5, v22, 0
	v_mbcnt_hi_u32_b32 v113, v23, v5
	v_cmp_eq_u32_e32 vcc, 0, v113
	v_cmp_ne_u64_e64 s[36:37], 0, v[22:23]
	s_and_b64 s[38:39], s[36:37], vcc
	; wave barrier
	s_and_saveexec_b64 s[36:37], s[38:39]
	s_cbranch_execz .LBB86_258
; %bb.257:                              ;   in Loop: Header=BB86_232 Depth=2
	v_bcnt_u32_b32 v5, v22, 0
	v_bcnt_u32_b32 v5, v23, v5
	s_waitcnt lgkmcnt(0)
	v_add_u32_e32 v5, v111, v5
	ds_write_b32 v112, v5
.LBB86_258:                             ;   in Loop: Header=BB86_232 Depth=2
	s_or_b64 exec, exec, s[36:37]
	v_xor_b32_sdwa v114, v21, v65 dst_sel:DWORD dst_unused:UNUSED_PAD src0_sel:WORD_1 src1_sel:DWORD
	v_lshrrev_b32_sdwa v5, s83, v114 dst_sel:DWORD dst_unused:UNUSED_PAD src0_sel:DWORD src1_sel:BYTE_0
	v_and_b32_e32 v20, s84, v5
	v_mul_u32_u24_e32 v5, 5, v20
	v_add_lshl_u32 v5, v5, v89, 2
	; wave barrier
	v_add_u32_e32 v116, 0x410, v5
	ds_read_b32 v115, v5 offset:1040
	v_and_b32_e32 v5, 1, v20
	v_add_co_u32_e32 v22, vcc, -1, v5
	v_addc_co_u32_e64 v23, s[36:37], 0, -1, vcc
	v_cmp_ne_u32_e32 vcc, 0, v5
	v_xor_b32_e32 v5, vcc_hi, v23
	v_and_b32_e32 v23, exec_hi, v5
	v_lshlrev_b32_e32 v5, 30, v20
	v_xor_b32_e32 v22, vcc_lo, v22
	v_cmp_gt_i64_e32 vcc, 0, v[4:5]
	v_not_b32_e32 v5, v5
	v_ashrrev_i32_e32 v5, 31, v5
	v_and_b32_e32 v22, exec_lo, v22
	v_xor_b32_e32 v117, vcc_hi, v5
	v_xor_b32_e32 v5, vcc_lo, v5
	v_and_b32_e32 v22, v22, v5
	v_lshlrev_b32_e32 v5, 29, v20
	v_cmp_gt_i64_e32 vcc, 0, v[4:5]
	v_not_b32_e32 v5, v5
	v_ashrrev_i32_e32 v5, 31, v5
	v_and_b32_e32 v23, v23, v117
	v_xor_b32_e32 v117, vcc_hi, v5
	v_xor_b32_e32 v5, vcc_lo, v5
	v_and_b32_e32 v22, v22, v5
	v_lshlrev_b32_e32 v5, 28, v20
	v_cmp_gt_i64_e32 vcc, 0, v[4:5]
	v_not_b32_e32 v5, v5
	v_ashrrev_i32_e32 v5, 31, v5
	v_and_b32_e32 v23, v23, v117
	;; [unrolled: 8-line block ×5, first 2 shown]
	v_xor_b32_e32 v117, vcc_hi, v5
	v_xor_b32_e32 v5, vcc_lo, v5
	v_and_b32_e32 v22, v22, v5
	v_lshlrev_b32_e32 v5, 24, v20
	v_cmp_gt_i64_e32 vcc, 0, v[4:5]
	v_not_b32_e32 v5, v5
	v_ashrrev_i32_e32 v5, 31, v5
	v_xor_b32_e32 v20, vcc_hi, v5
	v_xor_b32_e32 v5, vcc_lo, v5
	v_and_b32_e32 v23, v23, v117
	v_and_b32_e32 v22, v22, v5
	v_and_b32_e32 v23, v23, v20
	v_mbcnt_lo_u32_b32 v5, v22, 0
	v_mbcnt_hi_u32_b32 v117, v23, v5
	v_cmp_eq_u32_e32 vcc, 0, v117
	v_cmp_ne_u64_e64 s[36:37], 0, v[22:23]
	s_and_b64 s[38:39], s[36:37], vcc
	; wave barrier
	s_and_saveexec_b64 s[36:37], s[38:39]
	s_cbranch_execz .LBB86_260
; %bb.259:                              ;   in Loop: Header=BB86_232 Depth=2
	v_bcnt_u32_b32 v5, v22, 0
	v_bcnt_u32_b32 v5, v23, v5
	s_waitcnt lgkmcnt(0)
	v_add_u32_e32 v5, v115, v5
	ds_write_b32 v116, v5
.LBB86_260:                             ;   in Loop: Header=BB86_232 Depth=2
	s_or_b64 exec, exec, s[36:37]
	v_xor_b32_sdwa v118, v21, v65 dst_sel:DWORD dst_unused:UNUSED_PAD src0_sel:BYTE_3 src1_sel:DWORD
	v_lshrrev_b32_sdwa v5, s83, v118 dst_sel:DWORD dst_unused:UNUSED_PAD src0_sel:DWORD src1_sel:BYTE_0
	v_and_b32_e32 v20, s84, v5
	v_mul_u32_u24_e32 v5, 5, v20
	v_add_lshl_u32 v5, v5, v89, 2
	; wave barrier
	v_add_u32_e32 v120, 0x410, v5
	ds_read_b32 v119, v5 offset:1040
	v_and_b32_e32 v5, 1, v20
	v_add_co_u32_e32 v21, vcc, -1, v5
	v_addc_co_u32_e64 v22, s[36:37], 0, -1, vcc
	v_cmp_ne_u32_e32 vcc, 0, v5
	v_xor_b32_e32 v5, vcc_hi, v22
	v_and_b32_e32 v22, exec_hi, v5
	v_lshlrev_b32_e32 v5, 30, v20
	v_xor_b32_e32 v21, vcc_lo, v21
	v_cmp_gt_i64_e32 vcc, 0, v[4:5]
	v_not_b32_e32 v5, v5
	v_ashrrev_i32_e32 v5, 31, v5
	v_and_b32_e32 v21, exec_lo, v21
	v_xor_b32_e32 v23, vcc_hi, v5
	v_xor_b32_e32 v5, vcc_lo, v5
	v_and_b32_e32 v21, v21, v5
	v_lshlrev_b32_e32 v5, 29, v20
	v_cmp_gt_i64_e32 vcc, 0, v[4:5]
	v_not_b32_e32 v5, v5
	v_ashrrev_i32_e32 v5, 31, v5
	v_and_b32_e32 v22, v22, v23
	v_xor_b32_e32 v23, vcc_hi, v5
	v_xor_b32_e32 v5, vcc_lo, v5
	v_and_b32_e32 v21, v21, v5
	v_lshlrev_b32_e32 v5, 28, v20
	v_cmp_gt_i64_e32 vcc, 0, v[4:5]
	v_not_b32_e32 v5, v5
	v_ashrrev_i32_e32 v5, 31, v5
	v_and_b32_e32 v22, v22, v23
	;; [unrolled: 8-line block ×5, first 2 shown]
	v_xor_b32_e32 v23, vcc_hi, v5
	v_xor_b32_e32 v5, vcc_lo, v5
	v_and_b32_e32 v22, v22, v23
	v_and_b32_e32 v23, v21, v5
	v_lshlrev_b32_e32 v5, 24, v20
	v_cmp_gt_i64_e32 vcc, 0, v[4:5]
	v_not_b32_e32 v5, v5
	v_ashrrev_i32_e32 v5, 31, v5
	v_xor_b32_e32 v20, vcc_hi, v5
	v_xor_b32_e32 v5, vcc_lo, v5
	v_and_b32_e32 v21, v22, v20
	v_and_b32_e32 v20, v23, v5
	v_mbcnt_lo_u32_b32 v5, v20, 0
	v_mbcnt_hi_u32_b32 v121, v21, v5
	v_cmp_eq_u32_e32 vcc, 0, v121
	v_cmp_ne_u64_e64 s[36:37], 0, v[20:21]
	s_and_b64 s[38:39], s[36:37], vcc
	; wave barrier
	s_and_saveexec_b64 s[36:37], s[38:39]
	s_cbranch_execz .LBB86_262
; %bb.261:                              ;   in Loop: Header=BB86_232 Depth=2
	v_bcnt_u32_b32 v5, v20, 0
	v_bcnt_u32_b32 v5, v21, v5
	s_waitcnt lgkmcnt(0)
	v_add_u32_e32 v5, v119, v5
	ds_write_b32 v120, v5
.LBB86_262:                             ;   in Loop: Header=BB86_232 Depth=2
	s_or_b64 exec, exec, s[36:37]
	; wave barrier
	s_waitcnt lgkmcnt(0)
	s_barrier
	ds_read_b32 v5, v42 offset:1040
	ds_read2_b32 v[22:23], v44 offset0:1 offset1:2
	ds_read2_b32 v[20:21], v44 offset0:3 offset1:4
	s_waitcnt lgkmcnt(1)
	v_add3_u32 v122, v22, v5, v23
	s_waitcnt lgkmcnt(0)
	v_add3_u32 v21, v122, v20, v21
	s_nop 1
	v_mov_b32_dpp v122, v21 row_shr:1 row_mask:0xf bank_mask:0xf
	v_cndmask_b32_e64 v122, v122, 0, s[16:17]
	v_add_u32_e32 v21, v122, v21
	s_nop 1
	v_mov_b32_dpp v122, v21 row_shr:2 row_mask:0xf bank_mask:0xf
	v_cndmask_b32_e64 v122, 0, v122, s[18:19]
	v_add_u32_e32 v21, v21, v122
	;; [unrolled: 4-line block ×4, first 2 shown]
	s_nop 1
	v_mov_b32_dpp v122, v21 row_bcast:15 row_mask:0xf bank_mask:0xf
	v_cndmask_b32_e64 v122, v122, 0, s[24:25]
	v_add_u32_e32 v21, v21, v122
	s_nop 1
	v_mov_b32_dpp v122, v21 row_bcast:31 row_mask:0xf bank_mask:0xf
	v_cndmask_b32_e64 v122, 0, v122, s[26:27]
	v_add_u32_e32 v21, v21, v122
	s_and_saveexec_b64 s[36:37], s[6:7]
	s_cbranch_execz .LBB86_264
; %bb.263:                              ;   in Loop: Header=BB86_232 Depth=2
	ds_write_b32 v35, v21 offset:1024
.LBB86_264:                             ;   in Loop: Header=BB86_232 Depth=2
	s_or_b64 exec, exec, s[36:37]
	s_waitcnt lgkmcnt(0)
	s_barrier
	s_and_saveexec_b64 s[36:37], s[8:9]
	s_cbranch_execz .LBB86_266
; %bb.265:                              ;   in Loop: Header=BB86_232 Depth=2
	v_add_u32_e32 v122, v42, v45
	ds_read_b32 v123, v122 offset:1024
	s_waitcnt lgkmcnt(0)
	s_nop 0
	v_mov_b32_dpp v124, v123 row_shr:1 row_mask:0xf bank_mask:0xf
	v_cndmask_b32_e64 v124, v124, 0, s[30:31]
	v_add_u32_e32 v123, v124, v123
	s_nop 1
	v_mov_b32_dpp v124, v123 row_shr:2 row_mask:0xf bank_mask:0xf
	v_cndmask_b32_e64 v124, 0, v124, s[34:35]
	v_add_u32_e32 v123, v123, v124
	ds_write_b32 v122, v123 offset:1024
.LBB86_266:                             ;   in Loop: Header=BB86_232 Depth=2
	s_or_b64 exec, exec, s[36:37]
	v_mov_b32_e32 v122, 0
	s_waitcnt lgkmcnt(0)
	s_barrier
	s_and_saveexec_b64 s[36:37], s[10:11]
	s_cbranch_execz .LBB86_268
; %bb.267:                              ;   in Loop: Header=BB86_232 Depth=2
	ds_read_b32 v122, v35 offset:1020
.LBB86_268:                             ;   in Loop: Header=BB86_232 Depth=2
	s_or_b64 exec, exec, s[36:37]
	s_waitcnt lgkmcnt(0)
	v_add_u32_e32 v21, v122, v21
	ds_bpermute_b32 v21, v66, v21
	s_waitcnt lgkmcnt(0)
	v_cndmask_b32_e64 v21, v21, v122, s[28:29]
	v_cndmask_b32_e64 v21, v21, 0, s[12:13]
	v_add_u32_e32 v5, v21, v5
	ds_write_b32 v42, v21 offset:1040
	v_add_u32_e32 v21, v5, v22
	v_add_u32_e32 v22, v21, v23
	ds_write2_b32 v44, v5, v21 offset0:1 offset1:2
	v_add_u32_e32 v5, v22, v20
	ds_write2_b32 v44, v22, v5 offset0:3 offset1:4
	s_waitcnt lgkmcnt(0)
	s_barrier
	ds_read_b32 v20, v96
	ds_read_b32 v21, v100
	;; [unrolled: 1-line block ×8, first 2 shown]
	ds_read_b32 v96, v42 offset:1040
	v_mov_b32_e32 v5, 0x800
	s_and_saveexec_b64 s[36:37], s[14:15]
	s_cbranch_execz .LBB86_270
; %bb.269:                              ;   in Loop: Header=BB86_232 Depth=2
	ds_read_b32 v5, v42 offset:1060
.LBB86_270:                             ;   in Loop: Header=BB86_232 Depth=2
	s_or_b64 exec, exec, s[36:37]
	s_waitcnt lgkmcnt(0)
	s_barrier
	s_and_saveexec_b64 s[36:37], s[4:5]
	s_cbranch_execz .LBB86_272
; %bb.271:                              ;   in Loop: Header=BB86_232 Depth=2
	ds_read_b32 v100, v3
	s_waitcnt lgkmcnt(0)
	v_sub_u32_e32 v96, v100, v96
	ds_write_b32 v3, v96
.LBB86_272:                             ;   in Loop: Header=BB86_232 Depth=2
	s_or_b64 exec, exec, s[36:37]
	v_add_u32_e32 v100, v92, v93
	v_add3_u32 v97, v97, v95, v20
	v_add3_u32 v96, v101, v99, v21
	;; [unrolled: 1-line block ×7, first 2 shown]
	v_cmp_lt_u32_e64 s[48:49], v2, v90
	ds_write_b8 v100, v91 offset:1024
	ds_write_b8 v97, v94 offset:1024
	;; [unrolled: 1-line block ×8, first 2 shown]
	s_waitcnt lgkmcnt(0)
	s_barrier
	s_and_saveexec_b64 s[36:37], s[48:49]
	s_cbranch_execz .LBB86_280
; %bb.273:                              ;   in Loop: Header=BB86_232 Depth=2
	ds_read_u8 v20, v2 offset:1024
	s_waitcnt lgkmcnt(0)
	v_lshrrev_b32_sdwa v21, s83, v20 dst_sel:DWORD dst_unused:UNUSED_PAD src0_sel:DWORD src1_sel:BYTE_0
	v_and_b32_e32 v21, s84, v21
	v_lshlrev_b32_e32 v21, 2, v21
	ds_read_b32 v21, v21
	v_xor_b32_e32 v20, -1, v20
	s_waitcnt lgkmcnt(0)
	v_add_u32_e32 v21, v21, v2
	global_store_byte v21, v20, s[60:61]
	s_or_b64 exec, exec, s[36:37]
	v_cmp_lt_u32_e64 s[46:47], v24, v90
	s_and_saveexec_b64 s[36:37], s[46:47]
	s_cbranch_execnz .LBB86_281
.LBB86_274:                             ;   in Loop: Header=BB86_232 Depth=2
	s_or_b64 exec, exec, s[36:37]
	v_cmp_lt_u32_e64 s[44:45], v25, v90
	s_and_saveexec_b64 s[36:37], s[44:45]
	s_cbranch_execz .LBB86_282
.LBB86_275:                             ;   in Loop: Header=BB86_232 Depth=2
	ds_read_u8 v20, v30 offset:512
	s_waitcnt lgkmcnt(0)
	v_lshrrev_b32_sdwa v21, s83, v20 dst_sel:DWORD dst_unused:UNUSED_PAD src0_sel:DWORD src1_sel:BYTE_0
	v_and_b32_e32 v21, s84, v21
	v_lshlrev_b32_e32 v21, 2, v21
	ds_read_b32 v21, v21
	v_xor_b32_e32 v20, -1, v20
	s_waitcnt lgkmcnt(0)
	v_add_u32_e32 v21, v21, v25
	global_store_byte v21, v20, s[60:61]
	s_or_b64 exec, exec, s[36:37]
	v_cmp_lt_u32_e64 s[42:43], v26, v90
	s_and_saveexec_b64 s[36:37], s[42:43]
	s_cbranch_execnz .LBB86_283
.LBB86_276:                             ;   in Loop: Header=BB86_232 Depth=2
	s_or_b64 exec, exec, s[36:37]
	v_cmp_lt_u32_e64 s[40:41], v30, v90
	s_and_saveexec_b64 s[36:37], s[40:41]
	s_cbranch_execz .LBB86_284
.LBB86_277:                             ;   in Loop: Header=BB86_232 Depth=2
	ds_read_u8 v20, v30 offset:1024
	s_waitcnt lgkmcnt(0)
	v_lshrrev_b32_sdwa v21, s83, v20 dst_sel:DWORD dst_unused:UNUSED_PAD src0_sel:DWORD src1_sel:BYTE_0
	v_and_b32_e32 v21, s84, v21
	v_lshlrev_b32_e32 v21, 2, v21
	ds_read_b32 v21, v21
	v_xor_b32_e32 v20, -1, v20
	s_waitcnt lgkmcnt(0)
	v_add_u32_e32 v21, v21, v30
	global_store_byte v21, v20, s[60:61]
	s_or_b64 exec, exec, s[36:37]
	v_cmp_lt_u32_e64 s[38:39], v31, v90
	s_and_saveexec_b64 s[36:37], s[38:39]
	s_cbranch_execnz .LBB86_285
.LBB86_278:                             ;   in Loop: Header=BB86_232 Depth=2
	s_or_b64 exec, exec, s[36:37]
	v_cmp_lt_u32_e64 s[36:37], v32, v90
	s_and_saveexec_b64 s[52:53], s[36:37]
	s_cbranch_execz .LBB86_286
.LBB86_279:                             ;   in Loop: Header=BB86_232 Depth=2
	ds_read_u8 v20, v30 offset:1536
	s_waitcnt lgkmcnt(0)
	v_lshrrev_b32_sdwa v21, s83, v20 dst_sel:DWORD dst_unused:UNUSED_PAD src0_sel:DWORD src1_sel:BYTE_0
	v_and_b32_e32 v21, s84, v21
	v_lshlrev_b32_e32 v21, 2, v21
	ds_read_b32 v21, v21
	v_xor_b32_e32 v20, -1, v20
	s_waitcnt lgkmcnt(0)
	v_add_u32_e32 v21, v21, v32
	global_store_byte v21, v20, s[60:61]
	s_or_b64 exec, exec, s[52:53]
	v_cmp_lt_u32_e32 vcc, v33, v90
	s_and_saveexec_b64 s[52:53], vcc
	s_cbranch_execnz .LBB86_287
	s_branch .LBB86_288
.LBB86_280:                             ;   in Loop: Header=BB86_232 Depth=2
	s_or_b64 exec, exec, s[36:37]
	v_cmp_lt_u32_e64 s[46:47], v24, v90
	s_and_saveexec_b64 s[36:37], s[46:47]
	s_cbranch_execz .LBB86_274
.LBB86_281:                             ;   in Loop: Header=BB86_232 Depth=2
	ds_read_u8 v20, v30 offset:256
	s_waitcnt lgkmcnt(0)
	v_lshrrev_b32_sdwa v21, s83, v20 dst_sel:DWORD dst_unused:UNUSED_PAD src0_sel:DWORD src1_sel:BYTE_0
	v_and_b32_e32 v21, s84, v21
	v_lshlrev_b32_e32 v21, 2, v21
	ds_read_b32 v21, v21
	v_xor_b32_e32 v20, -1, v20
	s_waitcnt lgkmcnt(0)
	v_add_u32_e32 v21, v21, v24
	global_store_byte v21, v20, s[60:61]
	s_or_b64 exec, exec, s[36:37]
	v_cmp_lt_u32_e64 s[44:45], v25, v90
	s_and_saveexec_b64 s[36:37], s[44:45]
	s_cbranch_execnz .LBB86_275
.LBB86_282:                             ;   in Loop: Header=BB86_232 Depth=2
	s_or_b64 exec, exec, s[36:37]
	v_cmp_lt_u32_e64 s[42:43], v26, v90
	s_and_saveexec_b64 s[36:37], s[42:43]
	s_cbranch_execz .LBB86_276
.LBB86_283:                             ;   in Loop: Header=BB86_232 Depth=2
	ds_read_u8 v20, v30 offset:768
	s_waitcnt lgkmcnt(0)
	v_lshrrev_b32_sdwa v21, s83, v20 dst_sel:DWORD dst_unused:UNUSED_PAD src0_sel:DWORD src1_sel:BYTE_0
	v_and_b32_e32 v21, s84, v21
	v_lshlrev_b32_e32 v21, 2, v21
	ds_read_b32 v21, v21
	v_xor_b32_e32 v20, -1, v20
	s_waitcnt lgkmcnt(0)
	v_add_u32_e32 v21, v21, v26
	global_store_byte v21, v20, s[60:61]
	s_or_b64 exec, exec, s[36:37]
	v_cmp_lt_u32_e64 s[40:41], v30, v90
	s_and_saveexec_b64 s[36:37], s[40:41]
	s_cbranch_execnz .LBB86_277
.LBB86_284:                             ;   in Loop: Header=BB86_232 Depth=2
	s_or_b64 exec, exec, s[36:37]
	v_cmp_lt_u32_e64 s[38:39], v31, v90
	s_and_saveexec_b64 s[36:37], s[38:39]
	s_cbranch_execz .LBB86_278
.LBB86_285:                             ;   in Loop: Header=BB86_232 Depth=2
	ds_read_u8 v20, v30 offset:1280
	s_waitcnt lgkmcnt(0)
	v_lshrrev_b32_sdwa v21, s83, v20 dst_sel:DWORD dst_unused:UNUSED_PAD src0_sel:DWORD src1_sel:BYTE_0
	v_and_b32_e32 v21, s84, v21
	v_lshlrev_b32_e32 v21, 2, v21
	ds_read_b32 v21, v21
	v_xor_b32_e32 v20, -1, v20
	s_waitcnt lgkmcnt(0)
	v_add_u32_e32 v21, v21, v31
	global_store_byte v21, v20, s[60:61]
	s_or_b64 exec, exec, s[36:37]
	v_cmp_lt_u32_e64 s[36:37], v32, v90
	s_and_saveexec_b64 s[52:53], s[36:37]
	s_cbranch_execnz .LBB86_279
.LBB86_286:                             ;   in Loop: Header=BB86_232 Depth=2
	s_or_b64 exec, exec, s[52:53]
	v_cmp_lt_u32_e32 vcc, v33, v90
	s_and_saveexec_b64 s[52:53], vcc
	s_cbranch_execz .LBB86_288
.LBB86_287:                             ;   in Loop: Header=BB86_232 Depth=2
	ds_read_u8 v20, v30 offset:1792
	s_waitcnt lgkmcnt(0)
	v_lshrrev_b32_sdwa v21, s83, v20 dst_sel:DWORD dst_unused:UNUSED_PAD src0_sel:DWORD src1_sel:BYTE_0
	v_and_b32_e32 v21, s84, v21
	v_lshlrev_b32_e32 v21, 2, v21
	ds_read_b32 v21, v21
	v_xor_b32_e32 v20, -1, v20
	s_waitcnt lgkmcnt(0)
	v_add_u32_e32 v21, v21, v33
	global_store_byte v21, v20, s[60:61]
.LBB86_288:                             ;   in Loop: Header=BB86_232 Depth=2
	s_or_b64 exec, exec, s[52:53]
	s_lshl_b64 s[52:53], s[72:73], 3
	v_mov_b32_e32 v21, s53
	v_add_co_u32_e64 v20, s[52:53], s52, v78
	v_addc_co_u32_e64 v21, s[52:53], v79, v21, s[52:53]
	v_cmp_lt_u32_e64 s[52:53], v73, v90
	s_and_saveexec_b64 s[62:63], s[52:53]
	s_xor_b64 s[52:53], exec, s[62:63]
	s_cbranch_execz .LBB86_304
; %bb.289:                              ;   in Loop: Header=BB86_232 Depth=2
	global_load_dwordx2 v[18:19], v[20:21], off
	s_or_b64 exec, exec, s[52:53]
	v_cmp_lt_u32_e64 s[52:53], v80, v90
	s_and_saveexec_b64 s[62:63], s[52:53]
	s_cbranch_execnz .LBB86_305
.LBB86_290:                             ;   in Loop: Header=BB86_232 Depth=2
	s_or_b64 exec, exec, s[62:63]
	v_cmp_lt_u32_e64 s[52:53], v81, v90
	s_and_saveexec_b64 s[62:63], s[52:53]
	s_cbranch_execz .LBB86_306
.LBB86_291:                             ;   in Loop: Header=BB86_232 Depth=2
	global_load_dwordx2 v[14:15], v[20:21], off offset:1024
	s_or_b64 exec, exec, s[62:63]
	v_cmp_lt_u32_e64 s[52:53], v82, v90
	s_and_saveexec_b64 s[62:63], s[52:53]
	s_cbranch_execnz .LBB86_307
.LBB86_292:                             ;   in Loop: Header=BB86_232 Depth=2
	s_or_b64 exec, exec, s[62:63]
	v_cmp_lt_u32_e64 s[52:53], v83, v90
	s_and_saveexec_b64 s[62:63], s[52:53]
	s_cbranch_execz .LBB86_308
.LBB86_293:                             ;   in Loop: Header=BB86_232 Depth=2
	global_load_dwordx2 v[10:11], v[20:21], off offset:2048
	s_or_b64 exec, exec, s[62:63]
	v_cmp_lt_u32_e64 s[52:53], v84, v90
	s_and_saveexec_b64 s[62:63], s[52:53]
	s_cbranch_execnz .LBB86_309
.LBB86_294:                             ;   in Loop: Header=BB86_232 Depth=2
	s_or_b64 exec, exec, s[62:63]
	v_cmp_lt_u32_e64 s[52:53], v85, v90
	s_and_saveexec_b64 s[62:63], s[52:53]
	s_cbranch_execz .LBB86_310
.LBB86_295:                             ;   in Loop: Header=BB86_232 Depth=2
	global_load_dwordx2 v[6:7], v[20:21], off offset:3072
	s_or_b64 exec, exec, s[62:63]
	v_cmp_lt_u32_e64 s[52:53], v86, v90
	s_and_saveexec_b64 s[62:63], s[52:53]
	s_cbranch_execnz .LBB86_311
.LBB86_296:                             ;   in Loop: Header=BB86_232 Depth=2
	s_or_b64 exec, exec, s[62:63]
	s_and_saveexec_b64 s[52:53], s[48:49]
	s_cbranch_execz .LBB86_312
.LBB86_297:                             ;   in Loop: Header=BB86_232 Depth=2
	ds_read_u8 v20, v2 offset:1024
	s_waitcnt lgkmcnt(0)
	v_lshrrev_b32_e32 v20, s83, v20
	v_and_b32_e32 v76, s84, v20
	s_or_b64 exec, exec, s[52:53]
	s_and_saveexec_b64 s[52:53], s[46:47]
	s_cbranch_execnz .LBB86_313
.LBB86_298:                             ;   in Loop: Header=BB86_232 Depth=2
	s_or_b64 exec, exec, s[52:53]
	s_and_saveexec_b64 s[52:53], s[44:45]
	s_cbranch_execz .LBB86_314
.LBB86_299:                             ;   in Loop: Header=BB86_232 Depth=2
	ds_read_u8 v20, v30 offset:512
	s_waitcnt lgkmcnt(0)
	v_lshrrev_b32_e32 v20, s83, v20
	v_and_b32_e32 v72, s84, v20
	s_or_b64 exec, exec, s[52:53]
	s_and_saveexec_b64 s[52:53], s[42:43]
	s_cbranch_execnz .LBB86_315
.LBB86_300:                             ;   in Loop: Header=BB86_232 Depth=2
	s_or_b64 exec, exec, s[52:53]
	s_and_saveexec_b64 s[52:53], s[40:41]
	s_cbranch_execz .LBB86_316
.LBB86_301:                             ;   in Loop: Header=BB86_232 Depth=2
	ds_read_u8 v20, v30 offset:1024
	s_waitcnt lgkmcnt(0)
	v_lshrrev_b32_e32 v20, s83, v20
	v_and_b32_e32 v70, s84, v20
	s_or_b64 exec, exec, s[52:53]
	s_and_saveexec_b64 s[52:53], s[38:39]
	s_cbranch_execnz .LBB86_317
.LBB86_302:                             ;   in Loop: Header=BB86_232 Depth=2
	s_or_b64 exec, exec, s[52:53]
	s_and_saveexec_b64 s[52:53], s[36:37]
	s_cbranch_execz .LBB86_318
.LBB86_303:                             ;   in Loop: Header=BB86_232 Depth=2
	ds_read_u8 v20, v30 offset:1536
	s_waitcnt lgkmcnt(0)
	v_lshrrev_b32_e32 v20, s83, v20
	v_and_b32_e32 v68, s84, v20
	s_or_b64 exec, exec, s[52:53]
	s_and_saveexec_b64 s[52:53], vcc
	s_cbranch_execnz .LBB86_319
	s_branch .LBB86_320
.LBB86_304:                             ;   in Loop: Header=BB86_232 Depth=2
	s_or_b64 exec, exec, s[52:53]
	v_cmp_lt_u32_e64 s[52:53], v80, v90
	s_and_saveexec_b64 s[62:63], s[52:53]
	s_cbranch_execz .LBB86_290
.LBB86_305:                             ;   in Loop: Header=BB86_232 Depth=2
	global_load_dwordx2 v[16:17], v[20:21], off offset:512
	s_or_b64 exec, exec, s[62:63]
	v_cmp_lt_u32_e64 s[52:53], v81, v90
	s_and_saveexec_b64 s[62:63], s[52:53]
	s_cbranch_execnz .LBB86_291
.LBB86_306:                             ;   in Loop: Header=BB86_232 Depth=2
	s_or_b64 exec, exec, s[62:63]
	v_cmp_lt_u32_e64 s[52:53], v82, v90
	s_and_saveexec_b64 s[62:63], s[52:53]
	s_cbranch_execz .LBB86_292
.LBB86_307:                             ;   in Loop: Header=BB86_232 Depth=2
	global_load_dwordx2 v[12:13], v[20:21], off offset:1536
	s_or_b64 exec, exec, s[62:63]
	v_cmp_lt_u32_e64 s[52:53], v83, v90
	s_and_saveexec_b64 s[62:63], s[52:53]
	s_cbranch_execnz .LBB86_293
.LBB86_308:                             ;   in Loop: Header=BB86_232 Depth=2
	s_or_b64 exec, exec, s[62:63]
	v_cmp_lt_u32_e64 s[52:53], v84, v90
	s_and_saveexec_b64 s[62:63], s[52:53]
	s_cbranch_execz .LBB86_294
.LBB86_309:                             ;   in Loop: Header=BB86_232 Depth=2
	global_load_dwordx2 v[8:9], v[20:21], off offset:2560
	s_or_b64 exec, exec, s[62:63]
	v_cmp_lt_u32_e64 s[52:53], v85, v90
	s_and_saveexec_b64 s[62:63], s[52:53]
	s_cbranch_execnz .LBB86_295
.LBB86_310:                             ;   in Loop: Header=BB86_232 Depth=2
	s_or_b64 exec, exec, s[62:63]
	v_cmp_lt_u32_e64 s[52:53], v86, v90
	s_and_saveexec_b64 s[62:63], s[52:53]
	s_cbranch_execz .LBB86_296
.LBB86_311:                             ;   in Loop: Header=BB86_232 Depth=2
	global_load_dwordx2 v[0:1], v[20:21], off offset:3584
	s_or_b64 exec, exec, s[62:63]
	s_and_saveexec_b64 s[52:53], s[48:49]
	s_cbranch_execnz .LBB86_297
.LBB86_312:                             ;   in Loop: Header=BB86_232 Depth=2
	s_or_b64 exec, exec, s[52:53]
	s_and_saveexec_b64 s[52:53], s[46:47]
	s_cbranch_execz .LBB86_298
.LBB86_313:                             ;   in Loop: Header=BB86_232 Depth=2
	ds_read_u8 v20, v30 offset:256
	s_waitcnt lgkmcnt(0)
	v_lshrrev_b32_e32 v20, s83, v20
	v_and_b32_e32 v74, s84, v20
	s_or_b64 exec, exec, s[52:53]
	s_and_saveexec_b64 s[52:53], s[44:45]
	s_cbranch_execnz .LBB86_299
.LBB86_314:                             ;   in Loop: Header=BB86_232 Depth=2
	s_or_b64 exec, exec, s[52:53]
	s_and_saveexec_b64 s[52:53], s[42:43]
	s_cbranch_execz .LBB86_300
.LBB86_315:                             ;   in Loop: Header=BB86_232 Depth=2
	ds_read_u8 v20, v30 offset:768
	s_waitcnt lgkmcnt(0)
	v_lshrrev_b32_e32 v20, s83, v20
	v_and_b32_e32 v71, s84, v20
	s_or_b64 exec, exec, s[52:53]
	s_and_saveexec_b64 s[52:53], s[40:41]
	s_cbranch_execnz .LBB86_301
.LBB86_316:                             ;   in Loop: Header=BB86_232 Depth=2
	s_or_b64 exec, exec, s[52:53]
	s_and_saveexec_b64 s[52:53], s[38:39]
	s_cbranch_execz .LBB86_302
.LBB86_317:                             ;   in Loop: Header=BB86_232 Depth=2
	ds_read_u8 v20, v30 offset:1280
	s_waitcnt lgkmcnt(0)
	v_lshrrev_b32_e32 v20, s83, v20
	v_and_b32_e32 v69, s84, v20
	s_or_b64 exec, exec, s[52:53]
	s_and_saveexec_b64 s[52:53], s[36:37]
	s_cbranch_execnz .LBB86_303
.LBB86_318:                             ;   in Loop: Header=BB86_232 Depth=2
	s_or_b64 exec, exec, s[52:53]
	s_and_saveexec_b64 s[52:53], vcc
	s_cbranch_execz .LBB86_320
.LBB86_319:                             ;   in Loop: Header=BB86_232 Depth=2
	ds_read_u8 v20, v30 offset:1792
	s_waitcnt lgkmcnt(0)
	v_lshrrev_b32_e32 v20, s83, v20
	v_and_b32_e32 v67, s84, v20
.LBB86_320:                             ;   in Loop: Header=BB86_232 Depth=2
	s_or_b64 exec, exec, s[52:53]
	v_lshlrev_b32_e32 v20, 3, v100
	s_barrier
	s_waitcnt vmcnt(0)
	ds_write_b64 v20, v[18:19] offset:1024
	v_lshlrev_b32_e32 v20, 3, v97
	ds_write_b64 v20, v[16:17] offset:1024
	v_lshlrev_b32_e32 v20, 3, v96
	ds_write_b64 v20, v[14:15] offset:1024
	v_lshlrev_b32_e32 v20, 3, v95
	ds_write_b64 v20, v[12:13] offset:1024
	v_lshlrev_b32_e32 v20, 3, v93
	ds_write_b64 v20, v[10:11] offset:1024
	v_lshlrev_b32_e32 v20, 3, v92
	ds_write_b64 v20, v[8:9] offset:1024
	v_lshlrev_b32_e32 v20, 3, v23
	ds_write_b64 v20, v[6:7] offset:1024
	v_lshlrev_b32_e32 v20, 3, v22
	ds_write_b64 v20, v[0:1] offset:1024
	s_waitcnt lgkmcnt(0)
	s_barrier
	s_and_saveexec_b64 s[52:53], s[48:49]
	s_cbranch_execz .LBB86_328
; %bb.321:                              ;   in Loop: Header=BB86_232 Depth=2
	v_lshlrev_b32_e32 v20, 2, v76
	ds_read_b32 v22, v20
	v_add_u32_e32 v20, v2, v50
	ds_read_b64 v[20:21], v20 offset:1024
	v_mov_b32_e32 v23, v4
	v_mov_b32_e32 v90, s67
	s_waitcnt lgkmcnt(1)
	v_add_u32_e32 v22, v22, v2
	v_lshlrev_b64 v[22:23], 3, v[22:23]
	v_add_co_u32_e64 v22, s[48:49], s66, v22
	v_addc_co_u32_e64 v23, s[48:49], v90, v23, s[48:49]
	s_waitcnt lgkmcnt(0)
	global_store_dwordx2 v[22:23], v[20:21], off
	s_or_b64 exec, exec, s[52:53]
	s_and_saveexec_b64 s[48:49], s[46:47]
	s_cbranch_execnz .LBB86_329
.LBB86_322:                             ;   in Loop: Header=BB86_232 Depth=2
	s_or_b64 exec, exec, s[48:49]
	s_and_saveexec_b64 s[46:47], s[44:45]
	s_cbranch_execz .LBB86_330
.LBB86_323:                             ;   in Loop: Header=BB86_232 Depth=2
	v_lshlrev_b32_e32 v20, 2, v72
	ds_read_b32 v22, v20
	v_add_u32_e32 v20, v30, v50
	ds_read_b64 v[20:21], v20 offset:4096
	v_mov_b32_e32 v23, v4
	v_mov_b32_e32 v90, s67
	s_waitcnt lgkmcnt(1)
	v_add_u32_e32 v22, v22, v25
	v_lshlrev_b64 v[22:23], 3, v[22:23]
	v_add_co_u32_e64 v22, s[44:45], s66, v22
	v_addc_co_u32_e64 v23, s[44:45], v90, v23, s[44:45]
	s_waitcnt lgkmcnt(0)
	global_store_dwordx2 v[22:23], v[20:21], off
	s_or_b64 exec, exec, s[46:47]
	s_and_saveexec_b64 s[44:45], s[42:43]
	s_cbranch_execnz .LBB86_331
.LBB86_324:                             ;   in Loop: Header=BB86_232 Depth=2
	s_or_b64 exec, exec, s[44:45]
	s_and_saveexec_b64 s[42:43], s[40:41]
	s_cbranch_execz .LBB86_332
.LBB86_325:                             ;   in Loop: Header=BB86_232 Depth=2
	v_lshlrev_b32_e32 v20, 2, v70
	ds_read_b32 v22, v20
	v_add_u32_e32 v20, v30, v50
	ds_read_b64 v[20:21], v20 offset:8192
	v_mov_b32_e32 v23, v4
	v_mov_b32_e32 v90, s67
	s_waitcnt lgkmcnt(1)
	v_add_u32_e32 v22, v22, v30
	v_lshlrev_b64 v[22:23], 3, v[22:23]
	v_add_co_u32_e64 v22, s[40:41], s66, v22
	v_addc_co_u32_e64 v23, s[40:41], v90, v23, s[40:41]
	s_waitcnt lgkmcnt(0)
	global_store_dwordx2 v[22:23], v[20:21], off
	s_or_b64 exec, exec, s[42:43]
	s_and_saveexec_b64 s[40:41], s[38:39]
	s_cbranch_execnz .LBB86_333
.LBB86_326:                             ;   in Loop: Header=BB86_232 Depth=2
	s_or_b64 exec, exec, s[40:41]
	s_and_saveexec_b64 s[38:39], s[36:37]
	s_cbranch_execz .LBB86_334
.LBB86_327:                             ;   in Loop: Header=BB86_232 Depth=2
	v_lshlrev_b32_e32 v20, 2, v68
	ds_read_b32 v22, v20
	v_add_u32_e32 v20, v30, v50
	ds_read_b64 v[20:21], v20 offset:12288
	v_mov_b32_e32 v23, v4
	v_mov_b32_e32 v90, s67
	s_waitcnt lgkmcnt(1)
	v_add_u32_e32 v22, v22, v32
	v_lshlrev_b64 v[22:23], 3, v[22:23]
	v_add_co_u32_e64 v22, s[36:37], s66, v22
	v_addc_co_u32_e64 v23, s[36:37], v90, v23, s[36:37]
	s_waitcnt lgkmcnt(0)
	global_store_dwordx2 v[22:23], v[20:21], off
	s_or_b64 exec, exec, s[38:39]
	s_and_saveexec_b64 s[36:37], vcc
	s_cbranch_execnz .LBB86_335
	s_branch .LBB86_336
.LBB86_328:                             ;   in Loop: Header=BB86_232 Depth=2
	s_or_b64 exec, exec, s[52:53]
	s_and_saveexec_b64 s[48:49], s[46:47]
	s_cbranch_execz .LBB86_322
.LBB86_329:                             ;   in Loop: Header=BB86_232 Depth=2
	v_lshlrev_b32_e32 v20, 2, v74
	ds_read_b32 v22, v20
	v_add_u32_e32 v20, v30, v50
	ds_read_b64 v[20:21], v20 offset:2048
	v_mov_b32_e32 v23, v4
	v_mov_b32_e32 v90, s67
	s_waitcnt lgkmcnt(1)
	v_add_u32_e32 v22, v22, v24
	v_lshlrev_b64 v[22:23], 3, v[22:23]
	v_add_co_u32_e64 v22, s[46:47], s66, v22
	v_addc_co_u32_e64 v23, s[46:47], v90, v23, s[46:47]
	s_waitcnt lgkmcnt(0)
	global_store_dwordx2 v[22:23], v[20:21], off
	s_or_b64 exec, exec, s[48:49]
	s_and_saveexec_b64 s[46:47], s[44:45]
	s_cbranch_execnz .LBB86_323
.LBB86_330:                             ;   in Loop: Header=BB86_232 Depth=2
	s_or_b64 exec, exec, s[46:47]
	s_and_saveexec_b64 s[44:45], s[42:43]
	s_cbranch_execz .LBB86_324
.LBB86_331:                             ;   in Loop: Header=BB86_232 Depth=2
	v_lshlrev_b32_e32 v20, 2, v71
	ds_read_b32 v22, v20
	v_add_u32_e32 v20, v30, v50
	ds_read_b64 v[20:21], v20 offset:6144
	v_mov_b32_e32 v23, v4
	v_mov_b32_e32 v90, s67
	s_waitcnt lgkmcnt(1)
	v_add_u32_e32 v22, v22, v26
	v_lshlrev_b64 v[22:23], 3, v[22:23]
	v_add_co_u32_e64 v22, s[42:43], s66, v22
	v_addc_co_u32_e64 v23, s[42:43], v90, v23, s[42:43]
	s_waitcnt lgkmcnt(0)
	global_store_dwordx2 v[22:23], v[20:21], off
	s_or_b64 exec, exec, s[44:45]
	s_and_saveexec_b64 s[42:43], s[40:41]
	s_cbranch_execnz .LBB86_325
.LBB86_332:                             ;   in Loop: Header=BB86_232 Depth=2
	s_or_b64 exec, exec, s[42:43]
	s_and_saveexec_b64 s[40:41], s[38:39]
	s_cbranch_execz .LBB86_326
.LBB86_333:                             ;   in Loop: Header=BB86_232 Depth=2
	v_lshlrev_b32_e32 v20, 2, v69
	ds_read_b32 v22, v20
	v_add_u32_e32 v20, v30, v50
	ds_read_b64 v[20:21], v20 offset:10240
	v_mov_b32_e32 v23, v4
	v_mov_b32_e32 v90, s67
	s_waitcnt lgkmcnt(1)
	v_add_u32_e32 v22, v22, v31
	v_lshlrev_b64 v[22:23], 3, v[22:23]
	v_add_co_u32_e64 v22, s[38:39], s66, v22
	v_addc_co_u32_e64 v23, s[38:39], v90, v23, s[38:39]
	s_waitcnt lgkmcnt(0)
	global_store_dwordx2 v[22:23], v[20:21], off
	s_or_b64 exec, exec, s[40:41]
	s_and_saveexec_b64 s[38:39], s[36:37]
	s_cbranch_execnz .LBB86_327
.LBB86_334:                             ;   in Loop: Header=BB86_232 Depth=2
	s_or_b64 exec, exec, s[38:39]
	s_and_saveexec_b64 s[36:37], vcc
	s_cbranch_execz .LBB86_336
.LBB86_335:                             ;   in Loop: Header=BB86_232 Depth=2
	v_lshlrev_b32_e32 v20, 2, v67
	ds_read_b32 v22, v20
	v_add_u32_e32 v20, v30, v50
	ds_read_b64 v[20:21], v20 offset:14336
	v_mov_b32_e32 v23, v4
	v_mov_b32_e32 v90, s67
	s_waitcnt lgkmcnt(1)
	v_add_u32_e32 v22, v22, v33
	v_lshlrev_b64 v[22:23], 3, v[22:23]
	v_add_co_u32_e32 v22, vcc, s66, v22
	v_addc_co_u32_e32 v23, vcc, v90, v23, vcc
	s_waitcnt lgkmcnt(0)
	global_store_dwordx2 v[22:23], v[20:21], off
.LBB86_336:                             ;   in Loop: Header=BB86_232 Depth=2
	s_or_b64 exec, exec, s[36:37]
	s_barrier
	s_and_saveexec_b64 s[36:37], s[4:5]
	s_cbranch_execz .LBB86_231
; %bb.337:                              ;   in Loop: Header=BB86_232 Depth=2
	ds_read_b32 v20, v3
	s_waitcnt lgkmcnt(0)
	v_add_u32_e32 v5, v20, v5
	ds_write_b32 v3, v5
	s_branch .LBB86_231
.LBB86_338:                             ;   in Loop: Header=BB86_232 Depth=2
	s_or_b64 exec, exec, s[36:37]
	v_cmp_gt_u32_e32 vcc, s85, v80
	s_and_saveexec_b64 s[36:37], vcc
	s_cbranch_execz .LBB86_237
.LBB86_339:                             ;   in Loop: Header=BB86_232 Depth=2
	global_load_ubyte v5, v[22:23], off offset:64
	s_waitcnt vmcnt(0)
	v_perm_b32 v20, v20, v5, s78
	s_or_b64 exec, exec, s[36:37]
	v_cmp_gt_u32_e32 vcc, s85, v81
	s_and_saveexec_b64 s[36:37], vcc
	s_cbranch_execnz .LBB86_238
.LBB86_340:                             ;   in Loop: Header=BB86_232 Depth=2
	s_or_b64 exec, exec, s[36:37]
	v_cmp_gt_u32_e32 vcc, s85, v82
	s_and_saveexec_b64 s[36:37], vcc
	s_cbranch_execz .LBB86_239
.LBB86_341:                             ;   in Loop: Header=BB86_232 Depth=2
	global_load_ubyte v5, v[22:23], off offset:192
	v_and_b32_sdwa v90, v20, s68 dst_sel:DWORD dst_unused:UNUSED_PAD src0_sel:WORD_1 src1_sel:DWORD
	s_waitcnt vmcnt(0)
	v_lshlrev_b16_e32 v5, 8, v5
	v_or_b32_sdwa v5, v90, v5 dst_sel:WORD_1 dst_unused:UNUSED_PAD src0_sel:DWORD src1_sel:DWORD
	v_and_or_b32 v20, v20, s77, v5
	s_or_b64 exec, exec, s[36:37]
	v_cmp_gt_u32_e32 vcc, s85, v83
	s_and_saveexec_b64 s[36:37], vcc
	s_cbranch_execnz .LBB86_240
.LBB86_342:                             ;   in Loop: Header=BB86_232 Depth=2
	s_or_b64 exec, exec, s[36:37]
	v_cmp_gt_u32_e32 vcc, s85, v84
	s_and_saveexec_b64 s[36:37], vcc
	s_cbranch_execz .LBB86_241
.LBB86_343:                             ;   in Loop: Header=BB86_232 Depth=2
	global_load_ubyte v5, v[22:23], off offset:320
	s_waitcnt vmcnt(0)
	v_perm_b32 v21, v21, v5, s78
	s_or_b64 exec, exec, s[36:37]
	v_cmp_gt_u32_e32 vcc, s85, v85
	s_and_saveexec_b64 s[36:37], vcc
	s_cbranch_execnz .LBB86_242
	s_branch .LBB86_243
.LBB86_344:                             ;   in Loop: Header=BB86_12 Depth=1
	s_waitcnt lgkmcnt(0)
	s_barrier
.LBB86_345:                             ;   in Loop: Header=BB86_12 Depth=1
	s_mov_b64 s[16:17], 0
.LBB86_346:                             ;   in Loop: Header=BB86_12 Depth=1
	s_andn2_b64 vcc, exec, s[16:17]
	s_cbranch_vccnz .LBB86_11
; %bb.347:                              ;   in Loop: Header=BB86_12 Depth=1
	s_mov_b64 s[16:17], -1
	s_and_b64 vcc, exec, s[54:55]
	s_cbranch_vccz .LBB86_513
; %bb.348:                              ;   in Loop: Header=BB86_12 Depth=1
	s_mov_b32 s20, s71
	s_mov_b32 s22, s51
	s_barrier
	s_waitcnt lgkmcnt(0)
                                        ; implicit-def: $vgpr5
                                        ; implicit-def: $vgpr6
                                        ; implicit-def: $vgpr7
                                        ; implicit-def: $vgpr8
                                        ; implicit-def: $vgpr9
                                        ; implicit-def: $vgpr10
                                        ; implicit-def: $vgpr11
                                        ; implicit-def: $vgpr12
	s_branch .LBB86_350
.LBB86_349:                             ;   in Loop: Header=BB86_350 Depth=2
	s_or_b64 exec, exec, s[16:17]
	s_addk_i32 s20, 0xf800
	s_cmp_ge_u32 s21, s76
	s_mov_b32 s22, s21
	s_cbranch_scc1 .LBB86_388
.LBB86_350:                             ;   Parent Loop BB86_12 Depth=1
                                        ; =>  This Inner Loop Header: Depth=2
	s_add_i32 s21, s22, 0x800
	s_cmp_gt_u32 s21, s76
	s_cbranch_scc1 .LBB86_353
; %bb.351:                              ;   in Loop: Header=BB86_350 Depth=2
	v_add_co_u32_e32 v0, vcc, s22, v57
	v_addc_co_u32_e32 v1, vcc, 0, v58, vcc
	global_load_ubyte v20, v[0:1], off offset:1536
	global_load_ubyte v19, v[0:1], off offset:1280
	global_load_ubyte v18, v[0:1], off offset:1024
	global_load_ubyte v17, v[0:1], off offset:768
	global_load_ubyte v16, v[0:1], off offset:512
	global_load_ubyte v15, v[0:1], off offset:256
	global_load_ubyte v14, v[0:1], off
	v_add_co_u32_e32 v0, vcc, 0x700, v0
	v_addc_co_u32_e32 v1, vcc, 0, v1, vcc
	s_mov_b64 s[16:17], -1
	s_movk_i32 s25, 0x800
	s_cbranch_execz .LBB86_354
; %bb.352:                              ;   in Loop: Header=BB86_350 Depth=2
                                        ; implicit-def: $vgpr5
                                        ; implicit-def: $vgpr6
                                        ; implicit-def: $vgpr7
                                        ; implicit-def: $vgpr8
                                        ; implicit-def: $vgpr9
                                        ; implicit-def: $vgpr10
                                        ; implicit-def: $vgpr11
                                        ; implicit-def: $vgpr12
	v_mov_b32_e32 v13, s20
	s_and_saveexec_b64 s[18:19], s[16:17]
	s_cbranch_execnz .LBB86_365
	s_branch .LBB86_366
.LBB86_353:                             ;   in Loop: Header=BB86_350 Depth=2
	s_mov_b64 s[16:17], 0
                                        ; implicit-def: $sgpr25
                                        ; implicit-def: $vgpr14
                                        ; implicit-def: $vgpr15
                                        ; implicit-def: $vgpr16
                                        ; implicit-def: $vgpr17
                                        ; implicit-def: $vgpr18
                                        ; implicit-def: $vgpr19
                                        ; implicit-def: $vgpr20
                                        ; implicit-def: $vgpr0_vgpr1
.LBB86_354:                             ;   in Loop: Header=BB86_350 Depth=2
	s_add_u32 s23, s56, s22
	s_addc_u32 s24, s57, 0
	v_cmp_gt_u32_e32 vcc, s20, v2
	s_and_saveexec_b64 s[18:19], vcc
	s_cbranch_execz .LBB86_382
; %bb.355:                              ;   in Loop: Header=BB86_350 Depth=2
	v_mov_b32_e32 v1, s24
	v_add_co_u32_e32 v0, vcc, s23, v2
	v_addc_co_u32_e32 v1, vcc, 0, v1, vcc
	global_load_ubyte v5, v[0:1], off
	s_or_b64 exec, exec, s[18:19]
	v_cmp_gt_u32_e32 vcc, s20, v24
	s_and_saveexec_b64 s[18:19], vcc
	s_cbranch_execnz .LBB86_383
.LBB86_356:                             ;   in Loop: Header=BB86_350 Depth=2
	s_or_b64 exec, exec, s[18:19]
	v_cmp_gt_u32_e32 vcc, s20, v25
	s_and_saveexec_b64 s[18:19], vcc
	s_cbranch_execz .LBB86_384
.LBB86_357:                             ;   in Loop: Header=BB86_350 Depth=2
	v_mov_b32_e32 v1, s24
	v_add_co_u32_e32 v0, vcc, s23, v2
	v_addc_co_u32_e32 v1, vcc, 0, v1, vcc
	global_load_ubyte v7, v[0:1], off offset:512
	s_or_b64 exec, exec, s[18:19]
	v_cmp_gt_u32_e32 vcc, s20, v26
	s_and_saveexec_b64 s[18:19], vcc
	s_cbranch_execnz .LBB86_385
.LBB86_358:                             ;   in Loop: Header=BB86_350 Depth=2
	s_or_b64 exec, exec, s[18:19]
	v_cmp_gt_u32_e32 vcc, s20, v30
	s_and_saveexec_b64 s[18:19], vcc
	s_cbranch_execz .LBB86_386
.LBB86_359:                             ;   in Loop: Header=BB86_350 Depth=2
	v_mov_b32_e32 v1, s24
	v_add_co_u32_e32 v0, vcc, s23, v2
	v_addc_co_u32_e32 v1, vcc, 0, v1, vcc
	global_load_ubyte v9, v[0:1], off offset:1024
	s_or_b64 exec, exec, s[18:19]
	v_cmp_gt_u32_e32 vcc, s20, v31
	s_and_saveexec_b64 s[18:19], vcc
	s_cbranch_execnz .LBB86_387
.LBB86_360:                             ;   in Loop: Header=BB86_350 Depth=2
	s_or_b64 exec, exec, s[18:19]
	v_cmp_gt_u32_e32 vcc, s20, v32
	s_and_saveexec_b64 s[18:19], vcc
	s_cbranch_execz .LBB86_362
.LBB86_361:                             ;   in Loop: Header=BB86_350 Depth=2
	v_mov_b32_e32 v1, s24
	v_add_co_u32_e32 v0, vcc, s23, v2
	v_addc_co_u32_e32 v1, vcc, 0, v1, vcc
	global_load_ubyte v11, v[0:1], off offset:1536
.LBB86_362:                             ;   in Loop: Header=BB86_350 Depth=2
	s_or_b64 exec, exec, s[18:19]
	v_cmp_gt_u32_e32 vcc, s20, v33
                                        ; implicit-def: $sgpr25
                                        ; implicit-def: $vgpr0_vgpr1
	s_and_saveexec_b64 s[18:19], vcc
	s_cbranch_execz .LBB86_364
; %bb.363:                              ;   in Loop: Header=BB86_350 Depth=2
	v_mov_b32_e32 v0, s24
	v_add_co_u32_e32 v1, vcc, s23, v2
	s_waitcnt vmcnt(0)
	v_addc_co_u32_e32 v12, vcc, 0, v0, vcc
	v_add_co_u32_e32 v0, vcc, 0x700, v1
	s_sub_i32 s25, s76, s22
	v_addc_co_u32_e32 v1, vcc, 0, v12, vcc
	s_or_b64 s[16:17], s[16:17], exec
                                        ; implicit-def: $vgpr12
.LBB86_364:                             ;   in Loop: Header=BB86_350 Depth=2
	s_or_b64 exec, exec, s[18:19]
	s_waitcnt vmcnt(0)
	v_mov_b32_e32 v14, v5
	v_mov_b32_e32 v15, v6
	;; [unrolled: 1-line block ×8, first 2 shown]
	s_and_saveexec_b64 s[18:19], s[16:17]
	s_cbranch_execz .LBB86_366
.LBB86_365:                             ;   in Loop: Header=BB86_350 Depth=2
	global_load_ubyte v12, v[0:1], off
	v_mov_b32_e32 v13, s25
	s_waitcnt vmcnt(1)
	v_mov_b32_e32 v5, v14
	v_mov_b32_e32 v6, v15
	v_mov_b32_e32 v7, v16
	v_mov_b32_e32 v8, v17
	v_mov_b32_e32 v9, v18
	v_mov_b32_e32 v10, v19
	v_mov_b32_e32 v11, v20
.LBB86_366:                             ;   in Loop: Header=BB86_350 Depth=2
	s_or_b64 exec, exec, s[18:19]
	v_cmp_lt_u32_e32 vcc, v2, v13
	s_and_saveexec_b64 s[16:17], vcc
	s_cbranch_execz .LBB86_374
; %bb.367:                              ;   in Loop: Header=BB86_350 Depth=2
	v_xor_b32_e32 v0, -1, v5
	v_lshrrev_b32_sdwa v0, s69, v0 dst_sel:DWORD dst_unused:UNUSED_PAD src0_sel:DWORD src1_sel:BYTE_0
	v_and_b32_e32 v0, s84, v0
	v_lshlrev_b32_e32 v1, 2, v27
	v_lshl_or_b32 v0, v0, 4, v1
	ds_add_u32 v0, v63
	s_or_b64 exec, exec, s[16:17]
	v_cmp_lt_u32_e32 vcc, v24, v13
	s_and_saveexec_b64 s[16:17], vcc
	s_cbranch_execnz .LBB86_375
.LBB86_368:                             ;   in Loop: Header=BB86_350 Depth=2
	s_or_b64 exec, exec, s[16:17]
	v_cmp_lt_u32_e32 vcc, v25, v13
	s_and_saveexec_b64 s[16:17], vcc
	s_cbranch_execz .LBB86_376
.LBB86_369:                             ;   in Loop: Header=BB86_350 Depth=2
	v_xor_b32_e32 v0, -1, v7
	v_lshrrev_b32_sdwa v0, s69, v0 dst_sel:DWORD dst_unused:UNUSED_PAD src0_sel:DWORD src1_sel:BYTE_0
	v_and_b32_e32 v0, s84, v0
	v_lshlrev_b32_e32 v1, 2, v27
	v_lshl_or_b32 v0, v0, 4, v1
	ds_add_u32 v0, v63
	s_or_b64 exec, exec, s[16:17]
	v_cmp_lt_u32_e32 vcc, v26, v13
	s_and_saveexec_b64 s[16:17], vcc
	s_cbranch_execnz .LBB86_377
.LBB86_370:                             ;   in Loop: Header=BB86_350 Depth=2
	s_or_b64 exec, exec, s[16:17]
	v_cmp_lt_u32_e32 vcc, v30, v13
	s_and_saveexec_b64 s[16:17], vcc
	s_cbranch_execz .LBB86_378
.LBB86_371:                             ;   in Loop: Header=BB86_350 Depth=2
	v_xor_b32_e32 v0, -1, v9
	v_lshrrev_b32_sdwa v0, s69, v0 dst_sel:DWORD dst_unused:UNUSED_PAD src0_sel:DWORD src1_sel:BYTE_0
	v_and_b32_e32 v0, s84, v0
	v_lshlrev_b32_e32 v1, 2, v27
	v_lshl_or_b32 v0, v0, 4, v1
	ds_add_u32 v0, v63
	s_or_b64 exec, exec, s[16:17]
	v_cmp_lt_u32_e32 vcc, v31, v13
	s_and_saveexec_b64 s[16:17], vcc
	s_cbranch_execnz .LBB86_379
.LBB86_372:                             ;   in Loop: Header=BB86_350 Depth=2
	s_or_b64 exec, exec, s[16:17]
	v_cmp_lt_u32_e32 vcc, v32, v13
	s_and_saveexec_b64 s[16:17], vcc
	s_cbranch_execz .LBB86_380
.LBB86_373:                             ;   in Loop: Header=BB86_350 Depth=2
	v_xor_b32_e32 v0, -1, v11
	v_lshrrev_b32_sdwa v0, s69, v0 dst_sel:DWORD dst_unused:UNUSED_PAD src0_sel:DWORD src1_sel:BYTE_0
	v_and_b32_e32 v0, s84, v0
	v_lshlrev_b32_e32 v1, 2, v27
	v_lshl_or_b32 v0, v0, 4, v1
	ds_add_u32 v0, v63
	s_or_b64 exec, exec, s[16:17]
	v_cmp_lt_u32_e32 vcc, v33, v13
	s_and_saveexec_b64 s[16:17], vcc
	s_cbranch_execz .LBB86_349
	s_branch .LBB86_381
.LBB86_374:                             ;   in Loop: Header=BB86_350 Depth=2
	s_or_b64 exec, exec, s[16:17]
	v_cmp_lt_u32_e32 vcc, v24, v13
	s_and_saveexec_b64 s[16:17], vcc
	s_cbranch_execz .LBB86_368
.LBB86_375:                             ;   in Loop: Header=BB86_350 Depth=2
	v_xor_b32_e32 v0, -1, v6
	v_lshrrev_b32_sdwa v0, s69, v0 dst_sel:DWORD dst_unused:UNUSED_PAD src0_sel:DWORD src1_sel:BYTE_0
	v_and_b32_e32 v0, s84, v0
	v_lshlrev_b32_e32 v1, 2, v27
	v_lshl_or_b32 v0, v0, 4, v1
	ds_add_u32 v0, v63
	s_or_b64 exec, exec, s[16:17]
	v_cmp_lt_u32_e32 vcc, v25, v13
	s_and_saveexec_b64 s[16:17], vcc
	s_cbranch_execnz .LBB86_369
.LBB86_376:                             ;   in Loop: Header=BB86_350 Depth=2
	s_or_b64 exec, exec, s[16:17]
	v_cmp_lt_u32_e32 vcc, v26, v13
	s_and_saveexec_b64 s[16:17], vcc
	s_cbranch_execz .LBB86_370
.LBB86_377:                             ;   in Loop: Header=BB86_350 Depth=2
	v_xor_b32_e32 v0, -1, v8
	v_lshrrev_b32_sdwa v0, s69, v0 dst_sel:DWORD dst_unused:UNUSED_PAD src0_sel:DWORD src1_sel:BYTE_0
	v_and_b32_e32 v0, s84, v0
	v_lshlrev_b32_e32 v1, 2, v27
	v_lshl_or_b32 v0, v0, 4, v1
	ds_add_u32 v0, v63
	s_or_b64 exec, exec, s[16:17]
	v_cmp_lt_u32_e32 vcc, v30, v13
	s_and_saveexec_b64 s[16:17], vcc
	s_cbranch_execnz .LBB86_371
.LBB86_378:                             ;   in Loop: Header=BB86_350 Depth=2
	s_or_b64 exec, exec, s[16:17]
	v_cmp_lt_u32_e32 vcc, v31, v13
	s_and_saveexec_b64 s[16:17], vcc
	s_cbranch_execz .LBB86_372
.LBB86_379:                             ;   in Loop: Header=BB86_350 Depth=2
	v_xor_b32_e32 v0, -1, v10
	v_lshrrev_b32_sdwa v0, s69, v0 dst_sel:DWORD dst_unused:UNUSED_PAD src0_sel:DWORD src1_sel:BYTE_0
	v_and_b32_e32 v0, s84, v0
	v_lshlrev_b32_e32 v1, 2, v27
	v_lshl_or_b32 v0, v0, 4, v1
	ds_add_u32 v0, v63
	s_or_b64 exec, exec, s[16:17]
	v_cmp_lt_u32_e32 vcc, v32, v13
	s_and_saveexec_b64 s[16:17], vcc
	s_cbranch_execnz .LBB86_373
.LBB86_380:                             ;   in Loop: Header=BB86_350 Depth=2
	s_or_b64 exec, exec, s[16:17]
	v_cmp_lt_u32_e32 vcc, v33, v13
	s_and_saveexec_b64 s[16:17], vcc
	s_cbranch_execz .LBB86_349
.LBB86_381:                             ;   in Loop: Header=BB86_350 Depth=2
	s_waitcnt vmcnt(0)
	v_xor_b32_e32 v0, -1, v12
	v_lshrrev_b32_sdwa v0, s69, v0 dst_sel:DWORD dst_unused:UNUSED_PAD src0_sel:DWORD src1_sel:BYTE_0
	v_and_b32_e32 v0, s84, v0
	v_lshlrev_b32_e32 v1, 2, v27
	v_lshl_or_b32 v0, v0, 4, v1
	ds_add_u32 v0, v63
	s_branch .LBB86_349
.LBB86_382:                             ;   in Loop: Header=BB86_350 Depth=2
	s_or_b64 exec, exec, s[18:19]
	v_cmp_gt_u32_e32 vcc, s20, v24
	s_and_saveexec_b64 s[18:19], vcc
	s_cbranch_execz .LBB86_356
.LBB86_383:                             ;   in Loop: Header=BB86_350 Depth=2
	v_mov_b32_e32 v1, s24
	v_add_co_u32_e32 v0, vcc, s23, v2
	v_addc_co_u32_e32 v1, vcc, 0, v1, vcc
	global_load_ubyte v6, v[0:1], off offset:256
	s_or_b64 exec, exec, s[18:19]
	v_cmp_gt_u32_e32 vcc, s20, v25
	s_and_saveexec_b64 s[18:19], vcc
	s_cbranch_execnz .LBB86_357
.LBB86_384:                             ;   in Loop: Header=BB86_350 Depth=2
	s_or_b64 exec, exec, s[18:19]
	v_cmp_gt_u32_e32 vcc, s20, v26
	s_and_saveexec_b64 s[18:19], vcc
	s_cbranch_execz .LBB86_358
.LBB86_385:                             ;   in Loop: Header=BB86_350 Depth=2
	v_mov_b32_e32 v1, s24
	v_add_co_u32_e32 v0, vcc, s23, v2
	v_addc_co_u32_e32 v1, vcc, 0, v1, vcc
	global_load_ubyte v8, v[0:1], off offset:768
	s_or_b64 exec, exec, s[18:19]
	v_cmp_gt_u32_e32 vcc, s20, v30
	s_and_saveexec_b64 s[18:19], vcc
	s_cbranch_execnz .LBB86_359
.LBB86_386:                             ;   in Loop: Header=BB86_350 Depth=2
	s_or_b64 exec, exec, s[18:19]
	v_cmp_gt_u32_e32 vcc, s20, v31
	s_and_saveexec_b64 s[18:19], vcc
	s_cbranch_execz .LBB86_360
.LBB86_387:                             ;   in Loop: Header=BB86_350 Depth=2
	v_mov_b32_e32 v1, s24
	v_add_co_u32_e32 v0, vcc, s23, v2
	v_addc_co_u32_e32 v1, vcc, 0, v1, vcc
	global_load_ubyte v10, v[0:1], off offset:1280
	s_or_b64 exec, exec, s[18:19]
	v_cmp_gt_u32_e32 vcc, s20, v32
	s_and_saveexec_b64 s[18:19], vcc
	s_cbranch_execz .LBB86_362
	s_branch .LBB86_361
.LBB86_388:                             ;   in Loop: Header=BB86_12 Depth=1
	v_mov_b32_e32 v0, 0
	s_waitcnt lgkmcnt(0)
	s_barrier
	s_and_saveexec_b64 s[16:17], s[4:5]
	s_cbranch_execz .LBB86_390
; %bb.389:                              ;   in Loop: Header=BB86_12 Depth=1
	ds_read2_b64 v[6:9], v34 offset1:1
	s_waitcnt lgkmcnt(0)
	v_add_u32_e32 v0, v7, v6
	v_add3_u32 v0, v0, v8, v9
.LBB86_390:                             ;   in Loop: Header=BB86_12 Depth=1
	s_or_b64 exec, exec, s[16:17]
	v_and_b32_e32 v1, 15, v64
	v_mov_b32_dpp v5, v0 row_shr:1 row_mask:0xf bank_mask:0xf
	v_cmp_eq_u32_e64 s[16:17], 0, v1
	v_cndmask_b32_e64 v5, v5, 0, s[16:17]
	v_add_u32_e32 v0, v5, v0
	v_cmp_lt_u32_e64 s[18:19], 1, v1
	v_cmp_lt_u32_e64 s[20:21], 3, v1
	v_mov_b32_dpp v5, v0 row_shr:2 row_mask:0xf bank_mask:0xf
	v_cndmask_b32_e64 v5, 0, v5, s[18:19]
	v_add_u32_e32 v0, v0, v5
	v_cmp_lt_u32_e64 s[22:23], 7, v1
	v_cmp_lt_u32_e64 s[26:27], 31, v64
	v_mov_b32_dpp v5, v0 row_shr:4 row_mask:0xf bank_mask:0xf
	v_cndmask_b32_e64 v5, 0, v5, s[20:21]
	v_add_u32_e32 v0, v0, v5
	v_and_b32_e32 v6, 16, v64
	v_cmp_eq_u32_e64 s[24:25], 0, v6
	v_mov_b32_dpp v5, v0 row_shr:8 row_mask:0xf bank_mask:0xf
	v_cndmask_b32_e64 v1, 0, v5, s[22:23]
	v_add_u32_e32 v0, v0, v1
	v_bfe_i32 v5, v64, 4, 1
	s_nop 0
	v_mov_b32_dpp v1, v0 row_bcast:15 row_mask:0xf bank_mask:0xf
	v_and_b32_e32 v1, v5, v1
	v_add_u32_e32 v0, v0, v1
	s_nop 1
	v_mov_b32_dpp v1, v0 row_bcast:31 row_mask:0xf bank_mask:0xf
	v_cndmask_b32_e64 v1, 0, v1, s[26:27]
	v_add_u32_e32 v1, v0, v1
	s_and_saveexec_b64 s[28:29], s[6:7]
	s_cbranch_execz .LBB86_392
; %bb.391:                              ;   in Loop: Header=BB86_12 Depth=1
	ds_write_b32 v36, v1
.LBB86_392:                             ;   in Loop: Header=BB86_12 Depth=1
	s_or_b64 exec, exec, s[28:29]
	v_and_b32_e32 v0, 3, v64
	s_waitcnt lgkmcnt(0)
	s_barrier
	s_and_saveexec_b64 s[28:29], s[8:9]
	s_cbranch_execz .LBB86_394
; %bb.393:                              ;   in Loop: Header=BB86_12 Depth=1
	ds_read_b32 v5, v37
	v_cmp_ne_u32_e32 vcc, 0, v0
	s_waitcnt lgkmcnt(0)
	v_mov_b32_dpp v6, v5 row_shr:1 row_mask:0xf bank_mask:0xf
	v_cndmask_b32_e32 v6, 0, v6, vcc
	v_add_u32_e32 v5, v6, v5
	v_cmp_lt_u32_e32 vcc, 1, v0
	s_nop 0
	v_mov_b32_dpp v6, v5 row_shr:2 row_mask:0xf bank_mask:0xf
	v_cndmask_b32_e32 v6, 0, v6, vcc
	v_add_u32_e32 v5, v5, v6
	ds_write_b32 v37, v5
.LBB86_394:                             ;   in Loop: Header=BB86_12 Depth=1
	s_or_b64 exec, exec, s[28:29]
	v_mov_b32_e32 v5, 0
	s_waitcnt lgkmcnt(0)
	s_barrier
	s_and_saveexec_b64 s[28:29], s[10:11]
	s_cbranch_execz .LBB86_396
; %bb.395:                              ;   in Loop: Header=BB86_12 Depth=1
	ds_read_b32 v5, v38
.LBB86_396:                             ;   in Loop: Header=BB86_12 Depth=1
	s_or_b64 exec, exec, s[28:29]
	v_add_u32_e32 v6, -1, v64
	v_and_b32_e32 v7, 64, v64
	v_cmp_lt_i32_e32 vcc, v6, v7
	v_cndmask_b32_e32 v6, v6, v64, vcc
	s_waitcnt lgkmcnt(0)
	v_add_u32_e32 v1, v5, v1
	v_lshlrev_b32_e32 v66, 2, v6
	ds_bpermute_b32 v1, v66, v1
	v_cmp_eq_u32_e64 s[28:29], 0, v64
	s_waitcnt lgkmcnt(0)
	s_barrier
	s_and_saveexec_b64 s[30:31], s[4:5]
	s_cbranch_execz .LBB86_398
; %bb.397:                              ;   in Loop: Header=BB86_12 Depth=1
	v_cndmask_b32_e64 v1, v1, v5, s[28:29]
	v_add_u32_e32 v1, s51, v1
	ds_write_b32 v3, v1
.LBB86_398:                             ;   in Loop: Header=BB86_12 Depth=1
	s_or_b64 exec, exec, s[30:31]
	s_load_dwordx2 s[30:31], s[74:75], 0x0
	v_and_b32_e32 v21, 63, v64
	v_add_co_u32_e32 v75, vcc, v61, v21
	v_lshlrev_b32_e32 v22, 3, v21
	s_waitcnt lgkmcnt(0)
	s_cmp_lt_u32 s50, s30
	s_cselect_b32 s34, 12, 18
	s_cmp_lt_u32 s33, s31
	s_cselect_b32 s30, 14, 20
	s_add_u32 s30, s74, s30
	s_addc_u32 s31, s75, 0
	s_add_u32 s34, s74, s34
	global_load_ushort v5, v4, s[30:31]
	s_addc_u32 s35, s75, 0
	global_load_ushort v20, v4, s[34:35]
	v_addc_co_u32_e32 v77, vcc, 0, v62, vcc
	v_add_co_u32_e32 v78, vcc, v59, v22
	v_addc_co_u32_e32 v79, vcc, 0, v60, vcc
	v_or_b32_e32 v73, v21, v39
	v_add_co_u32_e32 v87, vcc, 0x1c0, v75
	v_cmp_eq_u32_e64 s[30:31], 0, v0
	v_cmp_lt_u32_e64 s[34:35], 1, v0
	s_mov_b32 s85, s71
	v_or_b32_e32 v80, 64, v73
	v_or_b32_e32 v81, 0x80, v73
	;; [unrolled: 1-line block ×7, first 2 shown]
	v_addc_co_u32_e32 v88, vcc, 0, v77, vcc
	s_mov_b32 s72, s51
                                        ; implicit-def: $vgpr0_vgpr1
                                        ; implicit-def: $vgpr6_vgpr7
                                        ; implicit-def: $vgpr8_vgpr9
                                        ; implicit-def: $vgpr10_vgpr11
                                        ; implicit-def: $vgpr12_vgpr13
                                        ; implicit-def: $vgpr14_vgpr15
                                        ; implicit-def: $vgpr16_vgpr17
                                        ; implicit-def: $vgpr18_vgpr19
                                        ; implicit-def: $vgpr67
                                        ; implicit-def: $vgpr68
                                        ; implicit-def: $vgpr69
                                        ; implicit-def: $vgpr70
                                        ; implicit-def: $vgpr71
                                        ; implicit-def: $vgpr72
                                        ; implicit-def: $vgpr74
                                        ; implicit-def: $vgpr76
	s_waitcnt vmcnt(1)
	v_mad_u32_u24 v5, v40, v5, v41
	s_waitcnt vmcnt(0)
	v_mad_u64_u32 v[20:21], s[36:37], v5, v20, v[2:3]
	v_lshrrev_b32_e32 v89, 6, v20
	s_branch .LBB86_400
.LBB86_399:                             ;   in Loop: Header=BB86_400 Depth=2
	s_or_b64 exec, exec, s[36:37]
	s_addk_i32 s85, 0xf800
	s_cmp_lt_u32 s86, s76
	s_mov_b32 s72, s86
	s_cbranch_scc0 .LBB86_512
.LBB86_400:                             ;   Parent Loop BB86_12 Depth=1
                                        ; =>  This Inner Loop Header: Depth=2
	s_add_i32 s86, s72, 0x800
	s_cmp_gt_u32 s86, s76
	s_cbranch_scc1 .LBB86_402
; %bb.401:                              ;   in Loop: Header=BB86_400 Depth=2
	v_add_co_u32_e32 v20, vcc, s72, v75
	v_addc_co_u32_e32 v21, vcc, 0, v77, vcc
	global_load_ubyte v5, v[20:21], off offset:64
	global_load_ubyte v22, v[20:21], off offset:192
	;; [unrolled: 1-line block ×3, first 2 shown]
	global_load_ubyte v90, v[20:21], off
	global_load_ubyte v91, v[20:21], off offset:128
	global_load_ubyte v92, v[20:21], off offset:256
	s_nop 0
	global_load_ubyte v21, v[20:21], off offset:384
	s_mov_b64 s[36:37], -1
	s_movk_i32 s40, 0x800
	s_waitcnt vmcnt(6)
	v_lshlrev_b16_e32 v5, 8, v5
	s_waitcnt vmcnt(5)
	v_lshlrev_b16_e32 v20, 8, v22
	;; [unrolled: 2-line block ×3, first 2 shown]
	s_waitcnt vmcnt(3)
	v_or_b32_e32 v5, v90, v5
	s_waitcnt vmcnt(2)
	v_or_b32_sdwa v20, v91, v20 dst_sel:WORD_1 dst_unused:UNUSED_PAD src0_sel:DWORD src1_sel:DWORD
	s_waitcnt vmcnt(1)
	v_or_b32_e32 v22, v92, v22
	v_or_b32_sdwa v20, v5, v20 dst_sel:DWORD dst_unused:UNUSED_PAD src0_sel:WORD_0 src1_sel:DWORD
	v_and_b32_e32 v5, 0xffff, v22
	s_waitcnt vmcnt(0)
	v_lshl_or_b32 v21, v21, 16, v5
	s_cbranch_execz .LBB86_403
	s_branch .LBB86_412
.LBB86_402:                             ;   in Loop: Header=BB86_400 Depth=2
	s_mov_b64 s[36:37], 0
                                        ; implicit-def: $sgpr40
                                        ; implicit-def: $vgpr20_vgpr21
.LBB86_403:                             ;   in Loop: Header=BB86_400 Depth=2
	v_add_co_u32_e32 v22, vcc, s72, v75
	v_addc_co_u32_e32 v23, vcc, 0, v77, vcc
	s_mov_b32 s36, s73
	s_mov_b32 s37, s73
	v_cmp_gt_u32_e32 vcc, s85, v73
	v_pk_mov_b32 v[20:21], s[36:37], s[36:37] op_sel:[0,1]
	s_and_saveexec_b64 s[36:37], vcc
	s_cbranch_execz .LBB86_506
; %bb.404:                              ;   in Loop: Header=BB86_400 Depth=2
	global_load_ubyte v5, v[22:23], off
	v_mov_b32_e32 v21, s73
	s_waitcnt vmcnt(0)
	v_and_b32_e32 v20, 0xffff, v5
	s_or_b64 exec, exec, s[36:37]
	v_cmp_gt_u32_e32 vcc, s85, v80
	s_and_saveexec_b64 s[36:37], vcc
	s_cbranch_execnz .LBB86_507
.LBB86_405:                             ;   in Loop: Header=BB86_400 Depth=2
	s_or_b64 exec, exec, s[36:37]
	v_cmp_gt_u32_e32 vcc, s85, v81
	s_and_saveexec_b64 s[36:37], vcc
	s_cbranch_execz .LBB86_508
.LBB86_406:                             ;   in Loop: Header=BB86_400 Depth=2
	global_load_ubyte v5, v[22:23], off offset:128
	v_and_b32_sdwa v90, v20, s79 dst_sel:DWORD dst_unused:UNUSED_PAD src0_sel:WORD_1 src1_sel:DWORD
	s_waitcnt vmcnt(0)
	v_or_b32_sdwa v5, v5, v90 dst_sel:WORD_1 dst_unused:UNUSED_PAD src0_sel:DWORD src1_sel:DWORD
	v_and_or_b32 v20, v20, s77, v5
	s_or_b64 exec, exec, s[36:37]
	v_cmp_gt_u32_e32 vcc, s85, v82
	s_and_saveexec_b64 s[36:37], vcc
	s_cbranch_execnz .LBB86_509
.LBB86_407:                             ;   in Loop: Header=BB86_400 Depth=2
	s_or_b64 exec, exec, s[36:37]
	v_cmp_gt_u32_e32 vcc, s85, v83
	s_and_saveexec_b64 s[36:37], vcc
	s_cbranch_execz .LBB86_510
.LBB86_408:                             ;   in Loop: Header=BB86_400 Depth=2
	global_load_ubyte v5, v[22:23], off offset:256
	s_waitcnt vmcnt(0)
	v_perm_b32 v21, v5, v21, s80
	s_or_b64 exec, exec, s[36:37]
	v_cmp_gt_u32_e32 vcc, s85, v84
	s_and_saveexec_b64 s[36:37], vcc
	s_cbranch_execnz .LBB86_511
.LBB86_409:                             ;   in Loop: Header=BB86_400 Depth=2
	s_or_b64 exec, exec, s[36:37]
	v_cmp_gt_u32_e32 vcc, s85, v85
	s_and_saveexec_b64 s[36:37], vcc
	s_cbranch_execz .LBB86_411
.LBB86_410:                             ;   in Loop: Header=BB86_400 Depth=2
	global_load_ubyte v5, v[22:23], off offset:384
	s_waitcnt vmcnt(0)
	v_perm_b32 v21, v21, v5, s81
.LBB86_411:                             ;   in Loop: Header=BB86_400 Depth=2
	s_or_b64 exec, exec, s[36:37]
	s_sub_i32 s40, s76, s72
	v_cmp_gt_u32_e64 s[36:37], s85, v86
.LBB86_412:                             ;   in Loop: Header=BB86_400 Depth=2
	v_mov_b32_e32 v90, s85
	s_and_saveexec_b64 s[38:39], s[36:37]
	s_cbranch_execz .LBB86_414
; %bb.413:                              ;   in Loop: Header=BB86_400 Depth=2
	v_mov_b32_e32 v5, s73
	v_add_co_u32_e32 v22, vcc, s72, v87
	v_addc_co_u32_e32 v23, vcc, v88, v5, vcc
	global_load_ubyte v5, v[22:23], off
	v_mov_b32_e32 v90, s40
	s_waitcnt vmcnt(0)
	v_perm_b32 v21, v21, v5, s82
.LBB86_414:                             ;   in Loop: Header=BB86_400 Depth=2
	s_or_b64 exec, exec, s[38:39]
	v_xor_b32_e32 v91, -1, v20
	v_add_u32_e32 v5, 0x410, v42
	ds_write2_b32 v5, v4, v4 offset1:1
	ds_write2_b32 v44, v4, v4 offset0:2 offset1:3
	ds_write_b32 v44, v4 offset:16
	v_lshrrev_b32_sdwa v5, s69, v91 dst_sel:DWORD dst_unused:UNUSED_PAD src0_sel:DWORD src1_sel:BYTE_0
	v_and_b32_e32 v22, s84, v5
	v_mad_u32_u24 v5, v22, 5, v89
	v_lshl_add_u32 v92, v5, 2, v43
	v_and_b32_e32 v5, 1, v22
	v_add_co_u32_e32 v23, vcc, -1, v5
	v_addc_co_u32_e64 v93, s[36:37], 0, -1, vcc
	v_cmp_ne_u32_e32 vcc, 0, v5
	v_xor_b32_e32 v5, vcc_hi, v93
	v_and_b32_e32 v93, exec_hi, v5
	v_lshlrev_b32_e32 v5, 30, v22
	v_xor_b32_e32 v23, vcc_lo, v23
	v_cmp_gt_i64_e32 vcc, 0, v[4:5]
	v_not_b32_e32 v5, v5
	v_ashrrev_i32_e32 v5, 31, v5
	v_and_b32_e32 v23, exec_lo, v23
	v_xor_b32_e32 v94, vcc_hi, v5
	v_xor_b32_e32 v5, vcc_lo, v5
	v_and_b32_e32 v23, v23, v5
	v_lshlrev_b32_e32 v5, 29, v22
	v_cmp_gt_i64_e32 vcc, 0, v[4:5]
	v_not_b32_e32 v5, v5
	v_ashrrev_i32_e32 v5, 31, v5
	v_and_b32_e32 v93, v93, v94
	v_xor_b32_e32 v94, vcc_hi, v5
	v_xor_b32_e32 v5, vcc_lo, v5
	v_and_b32_e32 v23, v23, v5
	v_lshlrev_b32_e32 v5, 28, v22
	v_cmp_gt_i64_e32 vcc, 0, v[4:5]
	v_not_b32_e32 v5, v5
	v_ashrrev_i32_e32 v5, 31, v5
	v_and_b32_e32 v93, v93, v94
	;; [unrolled: 8-line block ×5, first 2 shown]
	v_xor_b32_e32 v94, vcc_hi, v5
	v_xor_b32_e32 v5, vcc_lo, v5
	v_and_b32_e32 v93, v93, v94
	v_and_b32_e32 v94, v23, v5
	v_lshlrev_b32_e32 v5, 24, v22
	v_cmp_gt_i64_e32 vcc, 0, v[4:5]
	v_not_b32_e32 v5, v5
	v_ashrrev_i32_e32 v5, 31, v5
	v_xor_b32_e32 v22, vcc_hi, v5
	v_xor_b32_e32 v5, vcc_lo, v5
	v_and_b32_e32 v23, v93, v22
	v_and_b32_e32 v22, v94, v5
	v_mbcnt_lo_u32_b32 v5, v22, 0
	v_mbcnt_hi_u32_b32 v93, v23, v5
	v_cmp_eq_u32_e32 vcc, 0, v93
	v_cmp_ne_u64_e64 s[36:37], 0, v[22:23]
	s_and_b64 s[38:39], s[36:37], vcc
	s_waitcnt lgkmcnt(0)
	s_barrier
	s_waitcnt lgkmcnt(0)
	; wave barrier
	s_and_saveexec_b64 s[36:37], s[38:39]
	s_cbranch_execz .LBB86_416
; %bb.415:                              ;   in Loop: Header=BB86_400 Depth=2
	v_bcnt_u32_b32 v5, v22, 0
	v_bcnt_u32_b32 v5, v23, v5
	ds_write_b32 v92, v5
.LBB86_416:                             ;   in Loop: Header=BB86_400 Depth=2
	s_or_b64 exec, exec, s[36:37]
	v_lshrrev_b32_e32 v5, 8, v20
	v_xor_b32_e32 v94, -1, v5
	v_lshrrev_b32_sdwa v5, s69, v94 dst_sel:DWORD dst_unused:UNUSED_PAD src0_sel:DWORD src1_sel:BYTE_0
	v_and_b32_e32 v22, s84, v5
	v_mul_u32_u24_e32 v5, 5, v22
	v_add_lshl_u32 v5, v5, v89, 2
	; wave barrier
	v_add_u32_e32 v96, 0x410, v5
	ds_read_b32 v95, v5 offset:1040
	v_and_b32_e32 v5, 1, v22
	v_add_co_u32_e32 v23, vcc, -1, v5
	v_addc_co_u32_e64 v97, s[36:37], 0, -1, vcc
	v_cmp_ne_u32_e32 vcc, 0, v5
	v_xor_b32_e32 v5, vcc_hi, v97
	v_and_b32_e32 v97, exec_hi, v5
	v_lshlrev_b32_e32 v5, 30, v22
	v_xor_b32_e32 v23, vcc_lo, v23
	v_cmp_gt_i64_e32 vcc, 0, v[4:5]
	v_not_b32_e32 v5, v5
	v_ashrrev_i32_e32 v5, 31, v5
	v_and_b32_e32 v23, exec_lo, v23
	v_xor_b32_e32 v98, vcc_hi, v5
	v_xor_b32_e32 v5, vcc_lo, v5
	v_and_b32_e32 v23, v23, v5
	v_lshlrev_b32_e32 v5, 29, v22
	v_cmp_gt_i64_e32 vcc, 0, v[4:5]
	v_not_b32_e32 v5, v5
	v_ashrrev_i32_e32 v5, 31, v5
	v_and_b32_e32 v97, v97, v98
	v_xor_b32_e32 v98, vcc_hi, v5
	v_xor_b32_e32 v5, vcc_lo, v5
	v_and_b32_e32 v23, v23, v5
	v_lshlrev_b32_e32 v5, 28, v22
	v_cmp_gt_i64_e32 vcc, 0, v[4:5]
	v_not_b32_e32 v5, v5
	v_ashrrev_i32_e32 v5, 31, v5
	v_and_b32_e32 v97, v97, v98
	;; [unrolled: 8-line block ×5, first 2 shown]
	v_xor_b32_e32 v98, vcc_hi, v5
	v_xor_b32_e32 v5, vcc_lo, v5
	v_and_b32_e32 v97, v97, v98
	v_and_b32_e32 v98, v23, v5
	v_lshlrev_b32_e32 v5, 24, v22
	v_cmp_gt_i64_e32 vcc, 0, v[4:5]
	v_not_b32_e32 v5, v5
	v_ashrrev_i32_e32 v5, 31, v5
	v_xor_b32_e32 v22, vcc_hi, v5
	v_xor_b32_e32 v5, vcc_lo, v5
	v_and_b32_e32 v23, v97, v22
	v_and_b32_e32 v22, v98, v5
	v_mbcnt_lo_u32_b32 v5, v22, 0
	v_mbcnt_hi_u32_b32 v97, v23, v5
	v_cmp_eq_u32_e32 vcc, 0, v97
	v_cmp_ne_u64_e64 s[36:37], 0, v[22:23]
	s_and_b64 s[38:39], s[36:37], vcc
	; wave barrier
	s_and_saveexec_b64 s[36:37], s[38:39]
	s_cbranch_execz .LBB86_418
; %bb.417:                              ;   in Loop: Header=BB86_400 Depth=2
	v_bcnt_u32_b32 v5, v22, 0
	v_bcnt_u32_b32 v5, v23, v5
	s_waitcnt lgkmcnt(0)
	v_add_u32_e32 v5, v95, v5
	ds_write_b32 v96, v5
.LBB86_418:                             ;   in Loop: Header=BB86_400 Depth=2
	s_or_b64 exec, exec, s[36:37]
	v_xor_b32_sdwa v98, v20, v65 dst_sel:DWORD dst_unused:UNUSED_PAD src0_sel:WORD_1 src1_sel:DWORD
	v_lshrrev_b32_sdwa v5, s69, v98 dst_sel:DWORD dst_unused:UNUSED_PAD src0_sel:DWORD src1_sel:BYTE_0
	v_and_b32_e32 v22, s84, v5
	v_mul_u32_u24_e32 v5, 5, v22
	v_add_lshl_u32 v5, v5, v89, 2
	; wave barrier
	v_add_u32_e32 v100, 0x410, v5
	ds_read_b32 v99, v5 offset:1040
	v_and_b32_e32 v5, 1, v22
	v_add_co_u32_e32 v23, vcc, -1, v5
	v_addc_co_u32_e64 v101, s[36:37], 0, -1, vcc
	v_cmp_ne_u32_e32 vcc, 0, v5
	v_xor_b32_e32 v5, vcc_hi, v101
	v_and_b32_e32 v101, exec_hi, v5
	v_lshlrev_b32_e32 v5, 30, v22
	v_xor_b32_e32 v23, vcc_lo, v23
	v_cmp_gt_i64_e32 vcc, 0, v[4:5]
	v_not_b32_e32 v5, v5
	v_ashrrev_i32_e32 v5, 31, v5
	v_and_b32_e32 v23, exec_lo, v23
	v_xor_b32_e32 v102, vcc_hi, v5
	v_xor_b32_e32 v5, vcc_lo, v5
	v_and_b32_e32 v23, v23, v5
	v_lshlrev_b32_e32 v5, 29, v22
	v_cmp_gt_i64_e32 vcc, 0, v[4:5]
	v_not_b32_e32 v5, v5
	v_ashrrev_i32_e32 v5, 31, v5
	v_and_b32_e32 v101, v101, v102
	v_xor_b32_e32 v102, vcc_hi, v5
	v_xor_b32_e32 v5, vcc_lo, v5
	v_and_b32_e32 v23, v23, v5
	v_lshlrev_b32_e32 v5, 28, v22
	v_cmp_gt_i64_e32 vcc, 0, v[4:5]
	v_not_b32_e32 v5, v5
	v_ashrrev_i32_e32 v5, 31, v5
	v_and_b32_e32 v101, v101, v102
	;; [unrolled: 8-line block ×5, first 2 shown]
	v_xor_b32_e32 v102, vcc_hi, v5
	v_xor_b32_e32 v5, vcc_lo, v5
	v_and_b32_e32 v101, v101, v102
	v_and_b32_e32 v102, v23, v5
	v_lshlrev_b32_e32 v5, 24, v22
	v_cmp_gt_i64_e32 vcc, 0, v[4:5]
	v_not_b32_e32 v5, v5
	v_ashrrev_i32_e32 v5, 31, v5
	v_xor_b32_e32 v22, vcc_hi, v5
	v_xor_b32_e32 v5, vcc_lo, v5
	v_and_b32_e32 v23, v101, v22
	v_and_b32_e32 v22, v102, v5
	v_mbcnt_lo_u32_b32 v5, v22, 0
	v_mbcnt_hi_u32_b32 v101, v23, v5
	v_cmp_eq_u32_e32 vcc, 0, v101
	v_cmp_ne_u64_e64 s[36:37], 0, v[22:23]
	s_and_b64 s[38:39], s[36:37], vcc
	; wave barrier
	s_and_saveexec_b64 s[36:37], s[38:39]
	s_cbranch_execz .LBB86_420
; %bb.419:                              ;   in Loop: Header=BB86_400 Depth=2
	v_bcnt_u32_b32 v5, v22, 0
	v_bcnt_u32_b32 v5, v23, v5
	s_waitcnt lgkmcnt(0)
	v_add_u32_e32 v5, v99, v5
	ds_write_b32 v100, v5
.LBB86_420:                             ;   in Loop: Header=BB86_400 Depth=2
	s_or_b64 exec, exec, s[36:37]
	v_lshrrev_b64 v[22:23], 24, v[20:21]
	v_xor_b32_e32 v102, -1, v22
	v_lshrrev_b32_sdwa v5, s69, v102 dst_sel:DWORD dst_unused:UNUSED_PAD src0_sel:DWORD src1_sel:BYTE_0
	v_and_b32_e32 v20, s84, v5
	v_mul_u32_u24_e32 v5, 5, v20
	v_add_lshl_u32 v5, v5, v89, 2
	; wave barrier
	v_add_u32_e32 v104, 0x410, v5
	ds_read_b32 v103, v5 offset:1040
	v_and_b32_e32 v5, 1, v20
	v_add_co_u32_e32 v22, vcc, -1, v5
	v_addc_co_u32_e64 v23, s[36:37], 0, -1, vcc
	v_cmp_ne_u32_e32 vcc, 0, v5
	v_xor_b32_e32 v5, vcc_hi, v23
	v_and_b32_e32 v23, exec_hi, v5
	v_lshlrev_b32_e32 v5, 30, v20
	v_xor_b32_e32 v22, vcc_lo, v22
	v_cmp_gt_i64_e32 vcc, 0, v[4:5]
	v_not_b32_e32 v5, v5
	v_ashrrev_i32_e32 v5, 31, v5
	v_and_b32_e32 v22, exec_lo, v22
	v_xor_b32_e32 v105, vcc_hi, v5
	v_xor_b32_e32 v5, vcc_lo, v5
	v_and_b32_e32 v22, v22, v5
	v_lshlrev_b32_e32 v5, 29, v20
	v_cmp_gt_i64_e32 vcc, 0, v[4:5]
	v_not_b32_e32 v5, v5
	v_ashrrev_i32_e32 v5, 31, v5
	v_and_b32_e32 v23, v23, v105
	v_xor_b32_e32 v105, vcc_hi, v5
	v_xor_b32_e32 v5, vcc_lo, v5
	v_and_b32_e32 v22, v22, v5
	v_lshlrev_b32_e32 v5, 28, v20
	v_cmp_gt_i64_e32 vcc, 0, v[4:5]
	v_not_b32_e32 v5, v5
	v_ashrrev_i32_e32 v5, 31, v5
	v_and_b32_e32 v23, v23, v105
	;; [unrolled: 8-line block ×5, first 2 shown]
	v_xor_b32_e32 v105, vcc_hi, v5
	v_xor_b32_e32 v5, vcc_lo, v5
	v_and_b32_e32 v22, v22, v5
	v_lshlrev_b32_e32 v5, 24, v20
	v_cmp_gt_i64_e32 vcc, 0, v[4:5]
	v_not_b32_e32 v5, v5
	v_ashrrev_i32_e32 v5, 31, v5
	v_xor_b32_e32 v20, vcc_hi, v5
	v_xor_b32_e32 v5, vcc_lo, v5
	v_and_b32_e32 v23, v23, v105
	v_and_b32_e32 v22, v22, v5
	;; [unrolled: 1-line block ×3, first 2 shown]
	v_mbcnt_lo_u32_b32 v5, v22, 0
	v_mbcnt_hi_u32_b32 v105, v23, v5
	v_cmp_eq_u32_e32 vcc, 0, v105
	v_cmp_ne_u64_e64 s[36:37], 0, v[22:23]
	s_and_b64 s[38:39], s[36:37], vcc
	; wave barrier
	s_and_saveexec_b64 s[36:37], s[38:39]
	s_cbranch_execz .LBB86_422
; %bb.421:                              ;   in Loop: Header=BB86_400 Depth=2
	v_bcnt_u32_b32 v5, v22, 0
	v_bcnt_u32_b32 v5, v23, v5
	s_waitcnt lgkmcnt(0)
	v_add_u32_e32 v5, v103, v5
	ds_write_b32 v104, v5
.LBB86_422:                             ;   in Loop: Header=BB86_400 Depth=2
	s_or_b64 exec, exec, s[36:37]
	v_xor_b32_e32 v106, -1, v21
	v_lshrrev_b32_sdwa v5, s69, v106 dst_sel:DWORD dst_unused:UNUSED_PAD src0_sel:DWORD src1_sel:BYTE_0
	v_and_b32_e32 v20, s84, v5
	v_mul_u32_u24_e32 v5, 5, v20
	v_add_lshl_u32 v5, v5, v89, 2
	; wave barrier
	v_add_u32_e32 v108, 0x410, v5
	ds_read_b32 v107, v5 offset:1040
	v_and_b32_e32 v5, 1, v20
	v_add_co_u32_e32 v22, vcc, -1, v5
	v_addc_co_u32_e64 v23, s[36:37], 0, -1, vcc
	v_cmp_ne_u32_e32 vcc, 0, v5
	v_xor_b32_e32 v5, vcc_hi, v23
	v_and_b32_e32 v23, exec_hi, v5
	v_lshlrev_b32_e32 v5, 30, v20
	v_xor_b32_e32 v22, vcc_lo, v22
	v_cmp_gt_i64_e32 vcc, 0, v[4:5]
	v_not_b32_e32 v5, v5
	v_ashrrev_i32_e32 v5, 31, v5
	v_and_b32_e32 v22, exec_lo, v22
	v_xor_b32_e32 v109, vcc_hi, v5
	v_xor_b32_e32 v5, vcc_lo, v5
	v_and_b32_e32 v22, v22, v5
	v_lshlrev_b32_e32 v5, 29, v20
	v_cmp_gt_i64_e32 vcc, 0, v[4:5]
	v_not_b32_e32 v5, v5
	v_ashrrev_i32_e32 v5, 31, v5
	v_and_b32_e32 v23, v23, v109
	v_xor_b32_e32 v109, vcc_hi, v5
	v_xor_b32_e32 v5, vcc_lo, v5
	v_and_b32_e32 v22, v22, v5
	v_lshlrev_b32_e32 v5, 28, v20
	v_cmp_gt_i64_e32 vcc, 0, v[4:5]
	v_not_b32_e32 v5, v5
	v_ashrrev_i32_e32 v5, 31, v5
	v_and_b32_e32 v23, v23, v109
	;; [unrolled: 8-line block ×5, first 2 shown]
	v_xor_b32_e32 v109, vcc_hi, v5
	v_xor_b32_e32 v5, vcc_lo, v5
	v_and_b32_e32 v22, v22, v5
	v_lshlrev_b32_e32 v5, 24, v20
	v_cmp_gt_i64_e32 vcc, 0, v[4:5]
	v_not_b32_e32 v5, v5
	v_ashrrev_i32_e32 v5, 31, v5
	v_xor_b32_e32 v20, vcc_hi, v5
	v_xor_b32_e32 v5, vcc_lo, v5
	v_and_b32_e32 v23, v23, v109
	v_and_b32_e32 v22, v22, v5
	;; [unrolled: 1-line block ×3, first 2 shown]
	v_mbcnt_lo_u32_b32 v5, v22, 0
	v_mbcnt_hi_u32_b32 v109, v23, v5
	v_cmp_eq_u32_e32 vcc, 0, v109
	v_cmp_ne_u64_e64 s[36:37], 0, v[22:23]
	s_and_b64 s[38:39], s[36:37], vcc
	; wave barrier
	s_and_saveexec_b64 s[36:37], s[38:39]
	s_cbranch_execz .LBB86_424
; %bb.423:                              ;   in Loop: Header=BB86_400 Depth=2
	v_bcnt_u32_b32 v5, v22, 0
	v_bcnt_u32_b32 v5, v23, v5
	s_waitcnt lgkmcnt(0)
	v_add_u32_e32 v5, v107, v5
	ds_write_b32 v108, v5
.LBB86_424:                             ;   in Loop: Header=BB86_400 Depth=2
	s_or_b64 exec, exec, s[36:37]
	v_lshrrev_b32_e32 v5, 8, v21
	v_xor_b32_e32 v110, -1, v5
	v_lshrrev_b32_sdwa v5, s69, v110 dst_sel:DWORD dst_unused:UNUSED_PAD src0_sel:DWORD src1_sel:BYTE_0
	v_and_b32_e32 v20, s84, v5
	v_mul_u32_u24_e32 v5, 5, v20
	v_add_lshl_u32 v5, v5, v89, 2
	; wave barrier
	v_add_u32_e32 v112, 0x410, v5
	ds_read_b32 v111, v5 offset:1040
	v_and_b32_e32 v5, 1, v20
	v_add_co_u32_e32 v22, vcc, -1, v5
	v_addc_co_u32_e64 v23, s[36:37], 0, -1, vcc
	v_cmp_ne_u32_e32 vcc, 0, v5
	v_xor_b32_e32 v5, vcc_hi, v23
	v_and_b32_e32 v23, exec_hi, v5
	v_lshlrev_b32_e32 v5, 30, v20
	v_xor_b32_e32 v22, vcc_lo, v22
	v_cmp_gt_i64_e32 vcc, 0, v[4:5]
	v_not_b32_e32 v5, v5
	v_ashrrev_i32_e32 v5, 31, v5
	v_and_b32_e32 v22, exec_lo, v22
	v_xor_b32_e32 v113, vcc_hi, v5
	v_xor_b32_e32 v5, vcc_lo, v5
	v_and_b32_e32 v22, v22, v5
	v_lshlrev_b32_e32 v5, 29, v20
	v_cmp_gt_i64_e32 vcc, 0, v[4:5]
	v_not_b32_e32 v5, v5
	v_ashrrev_i32_e32 v5, 31, v5
	v_and_b32_e32 v23, v23, v113
	v_xor_b32_e32 v113, vcc_hi, v5
	v_xor_b32_e32 v5, vcc_lo, v5
	v_and_b32_e32 v22, v22, v5
	v_lshlrev_b32_e32 v5, 28, v20
	v_cmp_gt_i64_e32 vcc, 0, v[4:5]
	v_not_b32_e32 v5, v5
	v_ashrrev_i32_e32 v5, 31, v5
	v_and_b32_e32 v23, v23, v113
	;; [unrolled: 8-line block ×5, first 2 shown]
	v_xor_b32_e32 v113, vcc_hi, v5
	v_xor_b32_e32 v5, vcc_lo, v5
	v_and_b32_e32 v22, v22, v5
	v_lshlrev_b32_e32 v5, 24, v20
	v_cmp_gt_i64_e32 vcc, 0, v[4:5]
	v_not_b32_e32 v5, v5
	v_ashrrev_i32_e32 v5, 31, v5
	v_xor_b32_e32 v20, vcc_hi, v5
	v_xor_b32_e32 v5, vcc_lo, v5
	v_and_b32_e32 v23, v23, v113
	v_and_b32_e32 v22, v22, v5
	;; [unrolled: 1-line block ×3, first 2 shown]
	v_mbcnt_lo_u32_b32 v5, v22, 0
	v_mbcnt_hi_u32_b32 v113, v23, v5
	v_cmp_eq_u32_e32 vcc, 0, v113
	v_cmp_ne_u64_e64 s[36:37], 0, v[22:23]
	s_and_b64 s[38:39], s[36:37], vcc
	; wave barrier
	s_and_saveexec_b64 s[36:37], s[38:39]
	s_cbranch_execz .LBB86_426
; %bb.425:                              ;   in Loop: Header=BB86_400 Depth=2
	v_bcnt_u32_b32 v5, v22, 0
	v_bcnt_u32_b32 v5, v23, v5
	s_waitcnt lgkmcnt(0)
	v_add_u32_e32 v5, v111, v5
	ds_write_b32 v112, v5
.LBB86_426:                             ;   in Loop: Header=BB86_400 Depth=2
	s_or_b64 exec, exec, s[36:37]
	v_xor_b32_sdwa v114, v21, v65 dst_sel:DWORD dst_unused:UNUSED_PAD src0_sel:WORD_1 src1_sel:DWORD
	v_lshrrev_b32_sdwa v5, s69, v114 dst_sel:DWORD dst_unused:UNUSED_PAD src0_sel:DWORD src1_sel:BYTE_0
	v_and_b32_e32 v20, s84, v5
	v_mul_u32_u24_e32 v5, 5, v20
	v_add_lshl_u32 v5, v5, v89, 2
	; wave barrier
	v_add_u32_e32 v116, 0x410, v5
	ds_read_b32 v115, v5 offset:1040
	v_and_b32_e32 v5, 1, v20
	v_add_co_u32_e32 v22, vcc, -1, v5
	v_addc_co_u32_e64 v23, s[36:37], 0, -1, vcc
	v_cmp_ne_u32_e32 vcc, 0, v5
	v_xor_b32_e32 v5, vcc_hi, v23
	v_and_b32_e32 v23, exec_hi, v5
	v_lshlrev_b32_e32 v5, 30, v20
	v_xor_b32_e32 v22, vcc_lo, v22
	v_cmp_gt_i64_e32 vcc, 0, v[4:5]
	v_not_b32_e32 v5, v5
	v_ashrrev_i32_e32 v5, 31, v5
	v_and_b32_e32 v22, exec_lo, v22
	v_xor_b32_e32 v117, vcc_hi, v5
	v_xor_b32_e32 v5, vcc_lo, v5
	v_and_b32_e32 v22, v22, v5
	v_lshlrev_b32_e32 v5, 29, v20
	v_cmp_gt_i64_e32 vcc, 0, v[4:5]
	v_not_b32_e32 v5, v5
	v_ashrrev_i32_e32 v5, 31, v5
	v_and_b32_e32 v23, v23, v117
	v_xor_b32_e32 v117, vcc_hi, v5
	v_xor_b32_e32 v5, vcc_lo, v5
	v_and_b32_e32 v22, v22, v5
	v_lshlrev_b32_e32 v5, 28, v20
	v_cmp_gt_i64_e32 vcc, 0, v[4:5]
	v_not_b32_e32 v5, v5
	v_ashrrev_i32_e32 v5, 31, v5
	v_and_b32_e32 v23, v23, v117
	;; [unrolled: 8-line block ×5, first 2 shown]
	v_xor_b32_e32 v117, vcc_hi, v5
	v_xor_b32_e32 v5, vcc_lo, v5
	v_and_b32_e32 v22, v22, v5
	v_lshlrev_b32_e32 v5, 24, v20
	v_cmp_gt_i64_e32 vcc, 0, v[4:5]
	v_not_b32_e32 v5, v5
	v_ashrrev_i32_e32 v5, 31, v5
	v_xor_b32_e32 v20, vcc_hi, v5
	v_xor_b32_e32 v5, vcc_lo, v5
	v_and_b32_e32 v23, v23, v117
	v_and_b32_e32 v22, v22, v5
	;; [unrolled: 1-line block ×3, first 2 shown]
	v_mbcnt_lo_u32_b32 v5, v22, 0
	v_mbcnt_hi_u32_b32 v117, v23, v5
	v_cmp_eq_u32_e32 vcc, 0, v117
	v_cmp_ne_u64_e64 s[36:37], 0, v[22:23]
	s_and_b64 s[38:39], s[36:37], vcc
	; wave barrier
	s_and_saveexec_b64 s[36:37], s[38:39]
	s_cbranch_execz .LBB86_428
; %bb.427:                              ;   in Loop: Header=BB86_400 Depth=2
	v_bcnt_u32_b32 v5, v22, 0
	v_bcnt_u32_b32 v5, v23, v5
	s_waitcnt lgkmcnt(0)
	v_add_u32_e32 v5, v115, v5
	ds_write_b32 v116, v5
.LBB86_428:                             ;   in Loop: Header=BB86_400 Depth=2
	s_or_b64 exec, exec, s[36:37]
	v_xor_b32_sdwa v118, v21, v65 dst_sel:DWORD dst_unused:UNUSED_PAD src0_sel:BYTE_3 src1_sel:DWORD
	v_lshrrev_b32_sdwa v5, s69, v118 dst_sel:DWORD dst_unused:UNUSED_PAD src0_sel:DWORD src1_sel:BYTE_0
	v_and_b32_e32 v20, s84, v5
	v_mul_u32_u24_e32 v5, 5, v20
	v_add_lshl_u32 v5, v5, v89, 2
	; wave barrier
	v_add_u32_e32 v120, 0x410, v5
	ds_read_b32 v119, v5 offset:1040
	v_and_b32_e32 v5, 1, v20
	v_add_co_u32_e32 v21, vcc, -1, v5
	v_addc_co_u32_e64 v22, s[36:37], 0, -1, vcc
	v_cmp_ne_u32_e32 vcc, 0, v5
	v_xor_b32_e32 v5, vcc_hi, v22
	v_and_b32_e32 v22, exec_hi, v5
	v_lshlrev_b32_e32 v5, 30, v20
	v_xor_b32_e32 v21, vcc_lo, v21
	v_cmp_gt_i64_e32 vcc, 0, v[4:5]
	v_not_b32_e32 v5, v5
	v_ashrrev_i32_e32 v5, 31, v5
	v_and_b32_e32 v21, exec_lo, v21
	v_xor_b32_e32 v23, vcc_hi, v5
	v_xor_b32_e32 v5, vcc_lo, v5
	v_and_b32_e32 v21, v21, v5
	v_lshlrev_b32_e32 v5, 29, v20
	v_cmp_gt_i64_e32 vcc, 0, v[4:5]
	v_not_b32_e32 v5, v5
	v_ashrrev_i32_e32 v5, 31, v5
	v_and_b32_e32 v22, v22, v23
	v_xor_b32_e32 v23, vcc_hi, v5
	v_xor_b32_e32 v5, vcc_lo, v5
	v_and_b32_e32 v21, v21, v5
	v_lshlrev_b32_e32 v5, 28, v20
	v_cmp_gt_i64_e32 vcc, 0, v[4:5]
	v_not_b32_e32 v5, v5
	v_ashrrev_i32_e32 v5, 31, v5
	v_and_b32_e32 v22, v22, v23
	;; [unrolled: 8-line block ×5, first 2 shown]
	v_xor_b32_e32 v23, vcc_hi, v5
	v_xor_b32_e32 v5, vcc_lo, v5
	v_and_b32_e32 v22, v22, v23
	v_and_b32_e32 v23, v21, v5
	v_lshlrev_b32_e32 v5, 24, v20
	v_cmp_gt_i64_e32 vcc, 0, v[4:5]
	v_not_b32_e32 v5, v5
	v_ashrrev_i32_e32 v5, 31, v5
	v_xor_b32_e32 v20, vcc_hi, v5
	v_xor_b32_e32 v5, vcc_lo, v5
	v_and_b32_e32 v21, v22, v20
	v_and_b32_e32 v20, v23, v5
	v_mbcnt_lo_u32_b32 v5, v20, 0
	v_mbcnt_hi_u32_b32 v121, v21, v5
	v_cmp_eq_u32_e32 vcc, 0, v121
	v_cmp_ne_u64_e64 s[36:37], 0, v[20:21]
	s_and_b64 s[38:39], s[36:37], vcc
	; wave barrier
	s_and_saveexec_b64 s[36:37], s[38:39]
	s_cbranch_execz .LBB86_430
; %bb.429:                              ;   in Loop: Header=BB86_400 Depth=2
	v_bcnt_u32_b32 v5, v20, 0
	v_bcnt_u32_b32 v5, v21, v5
	s_waitcnt lgkmcnt(0)
	v_add_u32_e32 v5, v119, v5
	ds_write_b32 v120, v5
.LBB86_430:                             ;   in Loop: Header=BB86_400 Depth=2
	s_or_b64 exec, exec, s[36:37]
	; wave barrier
	s_waitcnt lgkmcnt(0)
	s_barrier
	ds_read_b32 v5, v42 offset:1040
	ds_read2_b32 v[22:23], v44 offset0:1 offset1:2
	ds_read2_b32 v[20:21], v44 offset0:3 offset1:4
	s_waitcnt lgkmcnt(1)
	v_add3_u32 v122, v22, v5, v23
	s_waitcnt lgkmcnt(0)
	v_add3_u32 v21, v122, v20, v21
	s_nop 1
	v_mov_b32_dpp v122, v21 row_shr:1 row_mask:0xf bank_mask:0xf
	v_cndmask_b32_e64 v122, v122, 0, s[16:17]
	v_add_u32_e32 v21, v122, v21
	s_nop 1
	v_mov_b32_dpp v122, v21 row_shr:2 row_mask:0xf bank_mask:0xf
	v_cndmask_b32_e64 v122, 0, v122, s[18:19]
	v_add_u32_e32 v21, v21, v122
	;; [unrolled: 4-line block ×4, first 2 shown]
	s_nop 1
	v_mov_b32_dpp v122, v21 row_bcast:15 row_mask:0xf bank_mask:0xf
	v_cndmask_b32_e64 v122, v122, 0, s[24:25]
	v_add_u32_e32 v21, v21, v122
	s_nop 1
	v_mov_b32_dpp v122, v21 row_bcast:31 row_mask:0xf bank_mask:0xf
	v_cndmask_b32_e64 v122, 0, v122, s[26:27]
	v_add_u32_e32 v21, v21, v122
	s_and_saveexec_b64 s[36:37], s[6:7]
	s_cbranch_execz .LBB86_432
; %bb.431:                              ;   in Loop: Header=BB86_400 Depth=2
	ds_write_b32 v35, v21 offset:1024
.LBB86_432:                             ;   in Loop: Header=BB86_400 Depth=2
	s_or_b64 exec, exec, s[36:37]
	s_waitcnt lgkmcnt(0)
	s_barrier
	s_and_saveexec_b64 s[36:37], s[8:9]
	s_cbranch_execz .LBB86_434
; %bb.433:                              ;   in Loop: Header=BB86_400 Depth=2
	v_add_u32_e32 v122, v42, v45
	ds_read_b32 v123, v122 offset:1024
	s_waitcnt lgkmcnt(0)
	s_nop 0
	v_mov_b32_dpp v124, v123 row_shr:1 row_mask:0xf bank_mask:0xf
	v_cndmask_b32_e64 v124, v124, 0, s[30:31]
	v_add_u32_e32 v123, v124, v123
	s_nop 1
	v_mov_b32_dpp v124, v123 row_shr:2 row_mask:0xf bank_mask:0xf
	v_cndmask_b32_e64 v124, 0, v124, s[34:35]
	v_add_u32_e32 v123, v123, v124
	ds_write_b32 v122, v123 offset:1024
.LBB86_434:                             ;   in Loop: Header=BB86_400 Depth=2
	s_or_b64 exec, exec, s[36:37]
	v_mov_b32_e32 v122, 0
	s_waitcnt lgkmcnt(0)
	s_barrier
	s_and_saveexec_b64 s[36:37], s[10:11]
	s_cbranch_execz .LBB86_436
; %bb.435:                              ;   in Loop: Header=BB86_400 Depth=2
	ds_read_b32 v122, v35 offset:1020
.LBB86_436:                             ;   in Loop: Header=BB86_400 Depth=2
	s_or_b64 exec, exec, s[36:37]
	s_waitcnt lgkmcnt(0)
	v_add_u32_e32 v21, v122, v21
	ds_bpermute_b32 v21, v66, v21
	s_waitcnt lgkmcnt(0)
	v_cndmask_b32_e64 v21, v21, v122, s[28:29]
	v_cndmask_b32_e64 v21, v21, 0, s[12:13]
	v_add_u32_e32 v5, v21, v5
	ds_write_b32 v42, v21 offset:1040
	v_add_u32_e32 v21, v5, v22
	v_add_u32_e32 v22, v21, v23
	ds_write2_b32 v44, v5, v21 offset0:1 offset1:2
	v_add_u32_e32 v5, v22, v20
	ds_write2_b32 v44, v22, v5 offset0:3 offset1:4
	s_waitcnt lgkmcnt(0)
	s_barrier
	ds_read_b32 v20, v96
	ds_read_b32 v21, v100
	;; [unrolled: 1-line block ×8, first 2 shown]
	ds_read_b32 v96, v42 offset:1040
	v_mov_b32_e32 v5, 0x800
	s_and_saveexec_b64 s[36:37], s[14:15]
	s_cbranch_execz .LBB86_438
; %bb.437:                              ;   in Loop: Header=BB86_400 Depth=2
	ds_read_b32 v5, v42 offset:1060
.LBB86_438:                             ;   in Loop: Header=BB86_400 Depth=2
	s_or_b64 exec, exec, s[36:37]
	s_waitcnt lgkmcnt(0)
	s_barrier
	s_and_saveexec_b64 s[36:37], s[4:5]
	s_cbranch_execz .LBB86_440
; %bb.439:                              ;   in Loop: Header=BB86_400 Depth=2
	ds_read_b32 v100, v3
	s_waitcnt lgkmcnt(0)
	v_sub_u32_e32 v96, v100, v96
	ds_write_b32 v3, v96
.LBB86_440:                             ;   in Loop: Header=BB86_400 Depth=2
	s_or_b64 exec, exec, s[36:37]
	v_add_u32_e32 v100, v92, v93
	v_add3_u32 v97, v97, v95, v20
	v_add3_u32 v96, v101, v99, v21
	v_add3_u32 v95, v105, v103, v22
	v_add3_u32 v93, v109, v107, v23
	v_add3_u32 v92, v113, v111, v104
	v_add3_u32 v23, v117, v115, v108
	v_add3_u32 v22, v121, v119, v112
	v_cmp_lt_u32_e64 s[48:49], v2, v90
	ds_write_b8 v100, v91 offset:1024
	ds_write_b8 v97, v94 offset:1024
	;; [unrolled: 1-line block ×8, first 2 shown]
	s_waitcnt lgkmcnt(0)
	s_barrier
	s_and_saveexec_b64 s[36:37], s[48:49]
	s_cbranch_execz .LBB86_448
; %bb.441:                              ;   in Loop: Header=BB86_400 Depth=2
	ds_read_u8 v20, v2 offset:1024
	s_waitcnt lgkmcnt(0)
	v_lshrrev_b32_sdwa v21, s69, v20 dst_sel:DWORD dst_unused:UNUSED_PAD src0_sel:DWORD src1_sel:BYTE_0
	v_and_b32_e32 v21, s84, v21
	v_lshlrev_b32_e32 v21, 2, v21
	ds_read_b32 v21, v21
	v_xor_b32_e32 v20, -1, v20
	s_waitcnt lgkmcnt(0)
	v_add_u32_e32 v21, v21, v2
	global_store_byte v21, v20, s[58:59]
	s_or_b64 exec, exec, s[36:37]
	v_cmp_lt_u32_e64 s[46:47], v24, v90
	s_and_saveexec_b64 s[36:37], s[46:47]
	s_cbranch_execnz .LBB86_449
.LBB86_442:                             ;   in Loop: Header=BB86_400 Depth=2
	s_or_b64 exec, exec, s[36:37]
	v_cmp_lt_u32_e64 s[44:45], v25, v90
	s_and_saveexec_b64 s[36:37], s[44:45]
	s_cbranch_execz .LBB86_450
.LBB86_443:                             ;   in Loop: Header=BB86_400 Depth=2
	ds_read_u8 v20, v30 offset:512
	s_waitcnt lgkmcnt(0)
	v_lshrrev_b32_sdwa v21, s69, v20 dst_sel:DWORD dst_unused:UNUSED_PAD src0_sel:DWORD src1_sel:BYTE_0
	v_and_b32_e32 v21, s84, v21
	v_lshlrev_b32_e32 v21, 2, v21
	ds_read_b32 v21, v21
	v_xor_b32_e32 v20, -1, v20
	s_waitcnt lgkmcnt(0)
	v_add_u32_e32 v21, v21, v25
	global_store_byte v21, v20, s[58:59]
	s_or_b64 exec, exec, s[36:37]
	v_cmp_lt_u32_e64 s[42:43], v26, v90
	s_and_saveexec_b64 s[36:37], s[42:43]
	s_cbranch_execnz .LBB86_451
.LBB86_444:                             ;   in Loop: Header=BB86_400 Depth=2
	s_or_b64 exec, exec, s[36:37]
	v_cmp_lt_u32_e64 s[40:41], v30, v90
	s_and_saveexec_b64 s[36:37], s[40:41]
	s_cbranch_execz .LBB86_452
.LBB86_445:                             ;   in Loop: Header=BB86_400 Depth=2
	ds_read_u8 v20, v30 offset:1024
	s_waitcnt lgkmcnt(0)
	v_lshrrev_b32_sdwa v21, s69, v20 dst_sel:DWORD dst_unused:UNUSED_PAD src0_sel:DWORD src1_sel:BYTE_0
	v_and_b32_e32 v21, s84, v21
	v_lshlrev_b32_e32 v21, 2, v21
	ds_read_b32 v21, v21
	v_xor_b32_e32 v20, -1, v20
	s_waitcnt lgkmcnt(0)
	v_add_u32_e32 v21, v21, v30
	global_store_byte v21, v20, s[58:59]
	s_or_b64 exec, exec, s[36:37]
	v_cmp_lt_u32_e64 s[38:39], v31, v90
	s_and_saveexec_b64 s[36:37], s[38:39]
	s_cbranch_execnz .LBB86_453
.LBB86_446:                             ;   in Loop: Header=BB86_400 Depth=2
	s_or_b64 exec, exec, s[36:37]
	v_cmp_lt_u32_e64 s[36:37], v32, v90
	s_and_saveexec_b64 s[52:53], s[36:37]
	s_cbranch_execz .LBB86_454
.LBB86_447:                             ;   in Loop: Header=BB86_400 Depth=2
	ds_read_u8 v20, v30 offset:1536
	s_waitcnt lgkmcnt(0)
	v_lshrrev_b32_sdwa v21, s69, v20 dst_sel:DWORD dst_unused:UNUSED_PAD src0_sel:DWORD src1_sel:BYTE_0
	v_and_b32_e32 v21, s84, v21
	v_lshlrev_b32_e32 v21, 2, v21
	ds_read_b32 v21, v21
	v_xor_b32_e32 v20, -1, v20
	s_waitcnt lgkmcnt(0)
	v_add_u32_e32 v21, v21, v32
	global_store_byte v21, v20, s[58:59]
	s_or_b64 exec, exec, s[52:53]
	v_cmp_lt_u32_e32 vcc, v33, v90
	s_and_saveexec_b64 s[52:53], vcc
	s_cbranch_execnz .LBB86_455
	s_branch .LBB86_456
.LBB86_448:                             ;   in Loop: Header=BB86_400 Depth=2
	s_or_b64 exec, exec, s[36:37]
	v_cmp_lt_u32_e64 s[46:47], v24, v90
	s_and_saveexec_b64 s[36:37], s[46:47]
	s_cbranch_execz .LBB86_442
.LBB86_449:                             ;   in Loop: Header=BB86_400 Depth=2
	ds_read_u8 v20, v30 offset:256
	s_waitcnt lgkmcnt(0)
	v_lshrrev_b32_sdwa v21, s69, v20 dst_sel:DWORD dst_unused:UNUSED_PAD src0_sel:DWORD src1_sel:BYTE_0
	v_and_b32_e32 v21, s84, v21
	v_lshlrev_b32_e32 v21, 2, v21
	ds_read_b32 v21, v21
	v_xor_b32_e32 v20, -1, v20
	s_waitcnt lgkmcnt(0)
	v_add_u32_e32 v21, v21, v24
	global_store_byte v21, v20, s[58:59]
	s_or_b64 exec, exec, s[36:37]
	v_cmp_lt_u32_e64 s[44:45], v25, v90
	s_and_saveexec_b64 s[36:37], s[44:45]
	s_cbranch_execnz .LBB86_443
.LBB86_450:                             ;   in Loop: Header=BB86_400 Depth=2
	s_or_b64 exec, exec, s[36:37]
	v_cmp_lt_u32_e64 s[42:43], v26, v90
	s_and_saveexec_b64 s[36:37], s[42:43]
	s_cbranch_execz .LBB86_444
.LBB86_451:                             ;   in Loop: Header=BB86_400 Depth=2
	ds_read_u8 v20, v30 offset:768
	s_waitcnt lgkmcnt(0)
	v_lshrrev_b32_sdwa v21, s69, v20 dst_sel:DWORD dst_unused:UNUSED_PAD src0_sel:DWORD src1_sel:BYTE_0
	v_and_b32_e32 v21, s84, v21
	v_lshlrev_b32_e32 v21, 2, v21
	ds_read_b32 v21, v21
	v_xor_b32_e32 v20, -1, v20
	s_waitcnt lgkmcnt(0)
	v_add_u32_e32 v21, v21, v26
	global_store_byte v21, v20, s[58:59]
	s_or_b64 exec, exec, s[36:37]
	v_cmp_lt_u32_e64 s[40:41], v30, v90
	s_and_saveexec_b64 s[36:37], s[40:41]
	s_cbranch_execnz .LBB86_445
.LBB86_452:                             ;   in Loop: Header=BB86_400 Depth=2
	s_or_b64 exec, exec, s[36:37]
	v_cmp_lt_u32_e64 s[38:39], v31, v90
	s_and_saveexec_b64 s[36:37], s[38:39]
	s_cbranch_execz .LBB86_446
.LBB86_453:                             ;   in Loop: Header=BB86_400 Depth=2
	ds_read_u8 v20, v30 offset:1280
	s_waitcnt lgkmcnt(0)
	v_lshrrev_b32_sdwa v21, s69, v20 dst_sel:DWORD dst_unused:UNUSED_PAD src0_sel:DWORD src1_sel:BYTE_0
	v_and_b32_e32 v21, s84, v21
	v_lshlrev_b32_e32 v21, 2, v21
	ds_read_b32 v21, v21
	v_xor_b32_e32 v20, -1, v20
	s_waitcnt lgkmcnt(0)
	v_add_u32_e32 v21, v21, v31
	global_store_byte v21, v20, s[58:59]
	s_or_b64 exec, exec, s[36:37]
	v_cmp_lt_u32_e64 s[36:37], v32, v90
	s_and_saveexec_b64 s[52:53], s[36:37]
	s_cbranch_execnz .LBB86_447
.LBB86_454:                             ;   in Loop: Header=BB86_400 Depth=2
	s_or_b64 exec, exec, s[52:53]
	v_cmp_lt_u32_e32 vcc, v33, v90
	s_and_saveexec_b64 s[52:53], vcc
	s_cbranch_execz .LBB86_456
.LBB86_455:                             ;   in Loop: Header=BB86_400 Depth=2
	ds_read_u8 v20, v30 offset:1792
	s_waitcnt lgkmcnt(0)
	v_lshrrev_b32_sdwa v21, s69, v20 dst_sel:DWORD dst_unused:UNUSED_PAD src0_sel:DWORD src1_sel:BYTE_0
	v_and_b32_e32 v21, s84, v21
	v_lshlrev_b32_e32 v21, 2, v21
	ds_read_b32 v21, v21
	v_xor_b32_e32 v20, -1, v20
	s_waitcnt lgkmcnt(0)
	v_add_u32_e32 v21, v21, v33
	global_store_byte v21, v20, s[58:59]
.LBB86_456:                             ;   in Loop: Header=BB86_400 Depth=2
	s_or_b64 exec, exec, s[52:53]
	s_lshl_b64 s[52:53], s[72:73], 3
	v_mov_b32_e32 v21, s53
	v_add_co_u32_e64 v20, s[52:53], s52, v78
	v_addc_co_u32_e64 v21, s[52:53], v79, v21, s[52:53]
	v_cmp_lt_u32_e64 s[52:53], v73, v90
	s_and_saveexec_b64 s[62:63], s[52:53]
	s_xor_b64 s[52:53], exec, s[62:63]
	s_cbranch_execz .LBB86_472
; %bb.457:                              ;   in Loop: Header=BB86_400 Depth=2
	global_load_dwordx2 v[18:19], v[20:21], off
	s_or_b64 exec, exec, s[52:53]
	v_cmp_lt_u32_e64 s[52:53], v80, v90
	s_and_saveexec_b64 s[62:63], s[52:53]
	s_cbranch_execnz .LBB86_473
.LBB86_458:                             ;   in Loop: Header=BB86_400 Depth=2
	s_or_b64 exec, exec, s[62:63]
	v_cmp_lt_u32_e64 s[52:53], v81, v90
	s_and_saveexec_b64 s[62:63], s[52:53]
	s_cbranch_execz .LBB86_474
.LBB86_459:                             ;   in Loop: Header=BB86_400 Depth=2
	global_load_dwordx2 v[14:15], v[20:21], off offset:1024
	s_or_b64 exec, exec, s[62:63]
	v_cmp_lt_u32_e64 s[52:53], v82, v90
	s_and_saveexec_b64 s[62:63], s[52:53]
	s_cbranch_execnz .LBB86_475
.LBB86_460:                             ;   in Loop: Header=BB86_400 Depth=2
	s_or_b64 exec, exec, s[62:63]
	v_cmp_lt_u32_e64 s[52:53], v83, v90
	s_and_saveexec_b64 s[62:63], s[52:53]
	s_cbranch_execz .LBB86_476
.LBB86_461:                             ;   in Loop: Header=BB86_400 Depth=2
	global_load_dwordx2 v[10:11], v[20:21], off offset:2048
	s_or_b64 exec, exec, s[62:63]
	v_cmp_lt_u32_e64 s[52:53], v84, v90
	s_and_saveexec_b64 s[62:63], s[52:53]
	s_cbranch_execnz .LBB86_477
.LBB86_462:                             ;   in Loop: Header=BB86_400 Depth=2
	s_or_b64 exec, exec, s[62:63]
	v_cmp_lt_u32_e64 s[52:53], v85, v90
	s_and_saveexec_b64 s[62:63], s[52:53]
	s_cbranch_execz .LBB86_478
.LBB86_463:                             ;   in Loop: Header=BB86_400 Depth=2
	global_load_dwordx2 v[6:7], v[20:21], off offset:3072
	s_or_b64 exec, exec, s[62:63]
	v_cmp_lt_u32_e64 s[52:53], v86, v90
	s_and_saveexec_b64 s[62:63], s[52:53]
	s_cbranch_execnz .LBB86_479
.LBB86_464:                             ;   in Loop: Header=BB86_400 Depth=2
	s_or_b64 exec, exec, s[62:63]
	s_and_saveexec_b64 s[52:53], s[48:49]
	s_cbranch_execz .LBB86_480
.LBB86_465:                             ;   in Loop: Header=BB86_400 Depth=2
	ds_read_u8 v20, v2 offset:1024
	s_waitcnt lgkmcnt(0)
	v_lshrrev_b32_e32 v20, s69, v20
	v_and_b32_e32 v76, s84, v20
	s_or_b64 exec, exec, s[52:53]
	s_and_saveexec_b64 s[52:53], s[46:47]
	s_cbranch_execnz .LBB86_481
.LBB86_466:                             ;   in Loop: Header=BB86_400 Depth=2
	s_or_b64 exec, exec, s[52:53]
	s_and_saveexec_b64 s[52:53], s[44:45]
	s_cbranch_execz .LBB86_482
.LBB86_467:                             ;   in Loop: Header=BB86_400 Depth=2
	ds_read_u8 v20, v30 offset:512
	s_waitcnt lgkmcnt(0)
	v_lshrrev_b32_e32 v20, s69, v20
	v_and_b32_e32 v72, s84, v20
	s_or_b64 exec, exec, s[52:53]
	s_and_saveexec_b64 s[52:53], s[42:43]
	s_cbranch_execnz .LBB86_483
.LBB86_468:                             ;   in Loop: Header=BB86_400 Depth=2
	s_or_b64 exec, exec, s[52:53]
	s_and_saveexec_b64 s[52:53], s[40:41]
	s_cbranch_execz .LBB86_484
.LBB86_469:                             ;   in Loop: Header=BB86_400 Depth=2
	ds_read_u8 v20, v30 offset:1024
	s_waitcnt lgkmcnt(0)
	v_lshrrev_b32_e32 v20, s69, v20
	v_and_b32_e32 v70, s84, v20
	s_or_b64 exec, exec, s[52:53]
	s_and_saveexec_b64 s[52:53], s[38:39]
	s_cbranch_execnz .LBB86_485
.LBB86_470:                             ;   in Loop: Header=BB86_400 Depth=2
	s_or_b64 exec, exec, s[52:53]
	s_and_saveexec_b64 s[52:53], s[36:37]
	s_cbranch_execz .LBB86_486
.LBB86_471:                             ;   in Loop: Header=BB86_400 Depth=2
	ds_read_u8 v20, v30 offset:1536
	s_waitcnt lgkmcnt(0)
	v_lshrrev_b32_e32 v20, s69, v20
	v_and_b32_e32 v68, s84, v20
	s_or_b64 exec, exec, s[52:53]
	s_and_saveexec_b64 s[52:53], vcc
	s_cbranch_execnz .LBB86_487
	s_branch .LBB86_488
.LBB86_472:                             ;   in Loop: Header=BB86_400 Depth=2
	s_or_b64 exec, exec, s[52:53]
	v_cmp_lt_u32_e64 s[52:53], v80, v90
	s_and_saveexec_b64 s[62:63], s[52:53]
	s_cbranch_execz .LBB86_458
.LBB86_473:                             ;   in Loop: Header=BB86_400 Depth=2
	global_load_dwordx2 v[16:17], v[20:21], off offset:512
	s_or_b64 exec, exec, s[62:63]
	v_cmp_lt_u32_e64 s[52:53], v81, v90
	s_and_saveexec_b64 s[62:63], s[52:53]
	s_cbranch_execnz .LBB86_459
.LBB86_474:                             ;   in Loop: Header=BB86_400 Depth=2
	s_or_b64 exec, exec, s[62:63]
	v_cmp_lt_u32_e64 s[52:53], v82, v90
	s_and_saveexec_b64 s[62:63], s[52:53]
	s_cbranch_execz .LBB86_460
.LBB86_475:                             ;   in Loop: Header=BB86_400 Depth=2
	global_load_dwordx2 v[12:13], v[20:21], off offset:1536
	s_or_b64 exec, exec, s[62:63]
	v_cmp_lt_u32_e64 s[52:53], v83, v90
	s_and_saveexec_b64 s[62:63], s[52:53]
	s_cbranch_execnz .LBB86_461
.LBB86_476:                             ;   in Loop: Header=BB86_400 Depth=2
	s_or_b64 exec, exec, s[62:63]
	v_cmp_lt_u32_e64 s[52:53], v84, v90
	s_and_saveexec_b64 s[62:63], s[52:53]
	s_cbranch_execz .LBB86_462
.LBB86_477:                             ;   in Loop: Header=BB86_400 Depth=2
	global_load_dwordx2 v[8:9], v[20:21], off offset:2560
	s_or_b64 exec, exec, s[62:63]
	v_cmp_lt_u32_e64 s[52:53], v85, v90
	s_and_saveexec_b64 s[62:63], s[52:53]
	s_cbranch_execnz .LBB86_463
.LBB86_478:                             ;   in Loop: Header=BB86_400 Depth=2
	s_or_b64 exec, exec, s[62:63]
	v_cmp_lt_u32_e64 s[52:53], v86, v90
	s_and_saveexec_b64 s[62:63], s[52:53]
	s_cbranch_execz .LBB86_464
.LBB86_479:                             ;   in Loop: Header=BB86_400 Depth=2
	global_load_dwordx2 v[0:1], v[20:21], off offset:3584
	s_or_b64 exec, exec, s[62:63]
	s_and_saveexec_b64 s[52:53], s[48:49]
	s_cbranch_execnz .LBB86_465
.LBB86_480:                             ;   in Loop: Header=BB86_400 Depth=2
	s_or_b64 exec, exec, s[52:53]
	s_and_saveexec_b64 s[52:53], s[46:47]
	s_cbranch_execz .LBB86_466
.LBB86_481:                             ;   in Loop: Header=BB86_400 Depth=2
	ds_read_u8 v20, v30 offset:256
	s_waitcnt lgkmcnt(0)
	v_lshrrev_b32_e32 v20, s69, v20
	v_and_b32_e32 v74, s84, v20
	s_or_b64 exec, exec, s[52:53]
	s_and_saveexec_b64 s[52:53], s[44:45]
	s_cbranch_execnz .LBB86_467
.LBB86_482:                             ;   in Loop: Header=BB86_400 Depth=2
	s_or_b64 exec, exec, s[52:53]
	s_and_saveexec_b64 s[52:53], s[42:43]
	s_cbranch_execz .LBB86_468
.LBB86_483:                             ;   in Loop: Header=BB86_400 Depth=2
	ds_read_u8 v20, v30 offset:768
	s_waitcnt lgkmcnt(0)
	v_lshrrev_b32_e32 v20, s69, v20
	v_and_b32_e32 v71, s84, v20
	s_or_b64 exec, exec, s[52:53]
	s_and_saveexec_b64 s[52:53], s[40:41]
	s_cbranch_execnz .LBB86_469
.LBB86_484:                             ;   in Loop: Header=BB86_400 Depth=2
	s_or_b64 exec, exec, s[52:53]
	s_and_saveexec_b64 s[52:53], s[38:39]
	s_cbranch_execz .LBB86_470
.LBB86_485:                             ;   in Loop: Header=BB86_400 Depth=2
	ds_read_u8 v20, v30 offset:1280
	s_waitcnt lgkmcnt(0)
	v_lshrrev_b32_e32 v20, s69, v20
	v_and_b32_e32 v69, s84, v20
	s_or_b64 exec, exec, s[52:53]
	s_and_saveexec_b64 s[52:53], s[36:37]
	s_cbranch_execnz .LBB86_471
.LBB86_486:                             ;   in Loop: Header=BB86_400 Depth=2
	s_or_b64 exec, exec, s[52:53]
	s_and_saveexec_b64 s[52:53], vcc
	s_cbranch_execz .LBB86_488
.LBB86_487:                             ;   in Loop: Header=BB86_400 Depth=2
	ds_read_u8 v20, v30 offset:1792
	s_waitcnt lgkmcnt(0)
	v_lshrrev_b32_e32 v20, s69, v20
	v_and_b32_e32 v67, s84, v20
.LBB86_488:                             ;   in Loop: Header=BB86_400 Depth=2
	s_or_b64 exec, exec, s[52:53]
	v_lshlrev_b32_e32 v20, 3, v100
	s_barrier
	s_waitcnt vmcnt(0)
	ds_write_b64 v20, v[18:19] offset:1024
	v_lshlrev_b32_e32 v20, 3, v97
	ds_write_b64 v20, v[16:17] offset:1024
	v_lshlrev_b32_e32 v20, 3, v96
	;; [unrolled: 2-line block ×7, first 2 shown]
	ds_write_b64 v20, v[0:1] offset:1024
	s_waitcnt lgkmcnt(0)
	s_barrier
	s_and_saveexec_b64 s[52:53], s[48:49]
	s_cbranch_execz .LBB86_496
; %bb.489:                              ;   in Loop: Header=BB86_400 Depth=2
	v_lshlrev_b32_e32 v20, 2, v76
	ds_read_b32 v22, v20
	v_add_u32_e32 v20, v2, v50
	ds_read_b64 v[20:21], v20 offset:1024
	v_mov_b32_e32 v23, v4
	v_mov_b32_e32 v90, s65
	s_waitcnt lgkmcnt(1)
	v_add_u32_e32 v22, v22, v2
	v_lshlrev_b64 v[22:23], 3, v[22:23]
	v_add_co_u32_e64 v22, s[48:49], s64, v22
	v_addc_co_u32_e64 v23, s[48:49], v90, v23, s[48:49]
	s_waitcnt lgkmcnt(0)
	global_store_dwordx2 v[22:23], v[20:21], off
	s_or_b64 exec, exec, s[52:53]
	s_and_saveexec_b64 s[48:49], s[46:47]
	s_cbranch_execnz .LBB86_497
.LBB86_490:                             ;   in Loop: Header=BB86_400 Depth=2
	s_or_b64 exec, exec, s[48:49]
	s_and_saveexec_b64 s[46:47], s[44:45]
	s_cbranch_execz .LBB86_498
.LBB86_491:                             ;   in Loop: Header=BB86_400 Depth=2
	v_lshlrev_b32_e32 v20, 2, v72
	ds_read_b32 v22, v20
	v_add_u32_e32 v20, v30, v50
	ds_read_b64 v[20:21], v20 offset:4096
	v_mov_b32_e32 v23, v4
	v_mov_b32_e32 v90, s65
	s_waitcnt lgkmcnt(1)
	v_add_u32_e32 v22, v22, v25
	v_lshlrev_b64 v[22:23], 3, v[22:23]
	v_add_co_u32_e64 v22, s[44:45], s64, v22
	v_addc_co_u32_e64 v23, s[44:45], v90, v23, s[44:45]
	s_waitcnt lgkmcnt(0)
	global_store_dwordx2 v[22:23], v[20:21], off
	s_or_b64 exec, exec, s[46:47]
	s_and_saveexec_b64 s[44:45], s[42:43]
	s_cbranch_execnz .LBB86_499
.LBB86_492:                             ;   in Loop: Header=BB86_400 Depth=2
	s_or_b64 exec, exec, s[44:45]
	s_and_saveexec_b64 s[42:43], s[40:41]
	s_cbranch_execz .LBB86_500
.LBB86_493:                             ;   in Loop: Header=BB86_400 Depth=2
	v_lshlrev_b32_e32 v20, 2, v70
	ds_read_b32 v22, v20
	v_add_u32_e32 v20, v30, v50
	ds_read_b64 v[20:21], v20 offset:8192
	v_mov_b32_e32 v23, v4
	v_mov_b32_e32 v90, s65
	s_waitcnt lgkmcnt(1)
	v_add_u32_e32 v22, v22, v30
	v_lshlrev_b64 v[22:23], 3, v[22:23]
	v_add_co_u32_e64 v22, s[40:41], s64, v22
	v_addc_co_u32_e64 v23, s[40:41], v90, v23, s[40:41]
	s_waitcnt lgkmcnt(0)
	global_store_dwordx2 v[22:23], v[20:21], off
	s_or_b64 exec, exec, s[42:43]
	s_and_saveexec_b64 s[40:41], s[38:39]
	s_cbranch_execnz .LBB86_501
.LBB86_494:                             ;   in Loop: Header=BB86_400 Depth=2
	s_or_b64 exec, exec, s[40:41]
	s_and_saveexec_b64 s[38:39], s[36:37]
	s_cbranch_execz .LBB86_502
.LBB86_495:                             ;   in Loop: Header=BB86_400 Depth=2
	v_lshlrev_b32_e32 v20, 2, v68
	ds_read_b32 v22, v20
	v_add_u32_e32 v20, v30, v50
	ds_read_b64 v[20:21], v20 offset:12288
	v_mov_b32_e32 v23, v4
	v_mov_b32_e32 v90, s65
	s_waitcnt lgkmcnt(1)
	v_add_u32_e32 v22, v22, v32
	v_lshlrev_b64 v[22:23], 3, v[22:23]
	v_add_co_u32_e64 v22, s[36:37], s64, v22
	v_addc_co_u32_e64 v23, s[36:37], v90, v23, s[36:37]
	s_waitcnt lgkmcnt(0)
	global_store_dwordx2 v[22:23], v[20:21], off
	s_or_b64 exec, exec, s[38:39]
	s_and_saveexec_b64 s[36:37], vcc
	s_cbranch_execnz .LBB86_503
	s_branch .LBB86_504
.LBB86_496:                             ;   in Loop: Header=BB86_400 Depth=2
	s_or_b64 exec, exec, s[52:53]
	s_and_saveexec_b64 s[48:49], s[46:47]
	s_cbranch_execz .LBB86_490
.LBB86_497:                             ;   in Loop: Header=BB86_400 Depth=2
	v_lshlrev_b32_e32 v20, 2, v74
	ds_read_b32 v22, v20
	v_add_u32_e32 v20, v30, v50
	ds_read_b64 v[20:21], v20 offset:2048
	v_mov_b32_e32 v23, v4
	v_mov_b32_e32 v90, s65
	s_waitcnt lgkmcnt(1)
	v_add_u32_e32 v22, v22, v24
	v_lshlrev_b64 v[22:23], 3, v[22:23]
	v_add_co_u32_e64 v22, s[46:47], s64, v22
	v_addc_co_u32_e64 v23, s[46:47], v90, v23, s[46:47]
	s_waitcnt lgkmcnt(0)
	global_store_dwordx2 v[22:23], v[20:21], off
	s_or_b64 exec, exec, s[48:49]
	s_and_saveexec_b64 s[46:47], s[44:45]
	s_cbranch_execnz .LBB86_491
.LBB86_498:                             ;   in Loop: Header=BB86_400 Depth=2
	s_or_b64 exec, exec, s[46:47]
	s_and_saveexec_b64 s[44:45], s[42:43]
	s_cbranch_execz .LBB86_492
.LBB86_499:                             ;   in Loop: Header=BB86_400 Depth=2
	v_lshlrev_b32_e32 v20, 2, v71
	ds_read_b32 v22, v20
	v_add_u32_e32 v20, v30, v50
	ds_read_b64 v[20:21], v20 offset:6144
	v_mov_b32_e32 v23, v4
	v_mov_b32_e32 v90, s65
	s_waitcnt lgkmcnt(1)
	v_add_u32_e32 v22, v22, v26
	v_lshlrev_b64 v[22:23], 3, v[22:23]
	v_add_co_u32_e64 v22, s[42:43], s64, v22
	v_addc_co_u32_e64 v23, s[42:43], v90, v23, s[42:43]
	s_waitcnt lgkmcnt(0)
	global_store_dwordx2 v[22:23], v[20:21], off
	s_or_b64 exec, exec, s[44:45]
	s_and_saveexec_b64 s[42:43], s[40:41]
	s_cbranch_execnz .LBB86_493
.LBB86_500:                             ;   in Loop: Header=BB86_400 Depth=2
	s_or_b64 exec, exec, s[42:43]
	s_and_saveexec_b64 s[40:41], s[38:39]
	s_cbranch_execz .LBB86_494
.LBB86_501:                             ;   in Loop: Header=BB86_400 Depth=2
	v_lshlrev_b32_e32 v20, 2, v69
	ds_read_b32 v22, v20
	v_add_u32_e32 v20, v30, v50
	ds_read_b64 v[20:21], v20 offset:10240
	v_mov_b32_e32 v23, v4
	v_mov_b32_e32 v90, s65
	s_waitcnt lgkmcnt(1)
	v_add_u32_e32 v22, v22, v31
	v_lshlrev_b64 v[22:23], 3, v[22:23]
	v_add_co_u32_e64 v22, s[38:39], s64, v22
	v_addc_co_u32_e64 v23, s[38:39], v90, v23, s[38:39]
	s_waitcnt lgkmcnt(0)
	global_store_dwordx2 v[22:23], v[20:21], off
	s_or_b64 exec, exec, s[40:41]
	s_and_saveexec_b64 s[38:39], s[36:37]
	s_cbranch_execnz .LBB86_495
.LBB86_502:                             ;   in Loop: Header=BB86_400 Depth=2
	s_or_b64 exec, exec, s[38:39]
	s_and_saveexec_b64 s[36:37], vcc
	s_cbranch_execz .LBB86_504
.LBB86_503:                             ;   in Loop: Header=BB86_400 Depth=2
	v_lshlrev_b32_e32 v20, 2, v67
	ds_read_b32 v22, v20
	v_add_u32_e32 v20, v30, v50
	ds_read_b64 v[20:21], v20 offset:14336
	v_mov_b32_e32 v23, v4
	v_mov_b32_e32 v90, s65
	s_waitcnt lgkmcnt(1)
	v_add_u32_e32 v22, v22, v33
	v_lshlrev_b64 v[22:23], 3, v[22:23]
	v_add_co_u32_e32 v22, vcc, s64, v22
	v_addc_co_u32_e32 v23, vcc, v90, v23, vcc
	s_waitcnt lgkmcnt(0)
	global_store_dwordx2 v[22:23], v[20:21], off
.LBB86_504:                             ;   in Loop: Header=BB86_400 Depth=2
	s_or_b64 exec, exec, s[36:37]
	s_barrier
	s_and_saveexec_b64 s[36:37], s[4:5]
	s_cbranch_execz .LBB86_399
; %bb.505:                              ;   in Loop: Header=BB86_400 Depth=2
	ds_read_b32 v20, v3
	s_waitcnt lgkmcnt(0)
	v_add_u32_e32 v5, v20, v5
	ds_write_b32 v3, v5
	s_branch .LBB86_399
.LBB86_506:                             ;   in Loop: Header=BB86_400 Depth=2
	s_or_b64 exec, exec, s[36:37]
	v_cmp_gt_u32_e32 vcc, s85, v80
	s_and_saveexec_b64 s[36:37], vcc
	s_cbranch_execz .LBB86_405
.LBB86_507:                             ;   in Loop: Header=BB86_400 Depth=2
	global_load_ubyte v5, v[22:23], off offset:64
	s_waitcnt vmcnt(0)
	v_perm_b32 v20, v20, v5, s78
	s_or_b64 exec, exec, s[36:37]
	v_cmp_gt_u32_e32 vcc, s85, v81
	s_and_saveexec_b64 s[36:37], vcc
	s_cbranch_execnz .LBB86_406
.LBB86_508:                             ;   in Loop: Header=BB86_400 Depth=2
	s_or_b64 exec, exec, s[36:37]
	v_cmp_gt_u32_e32 vcc, s85, v82
	s_and_saveexec_b64 s[36:37], vcc
	s_cbranch_execz .LBB86_407
.LBB86_509:                             ;   in Loop: Header=BB86_400 Depth=2
	global_load_ubyte v5, v[22:23], off offset:192
	v_and_b32_sdwa v90, v20, s68 dst_sel:DWORD dst_unused:UNUSED_PAD src0_sel:WORD_1 src1_sel:DWORD
	s_waitcnt vmcnt(0)
	v_lshlrev_b16_e32 v5, 8, v5
	v_or_b32_sdwa v5, v90, v5 dst_sel:WORD_1 dst_unused:UNUSED_PAD src0_sel:DWORD src1_sel:DWORD
	v_and_or_b32 v20, v20, s77, v5
	s_or_b64 exec, exec, s[36:37]
	v_cmp_gt_u32_e32 vcc, s85, v83
	s_and_saveexec_b64 s[36:37], vcc
	s_cbranch_execnz .LBB86_408
.LBB86_510:                             ;   in Loop: Header=BB86_400 Depth=2
	s_or_b64 exec, exec, s[36:37]
	v_cmp_gt_u32_e32 vcc, s85, v84
	s_and_saveexec_b64 s[36:37], vcc
	s_cbranch_execz .LBB86_409
.LBB86_511:                             ;   in Loop: Header=BB86_400 Depth=2
	global_load_ubyte v5, v[22:23], off offset:320
	s_waitcnt vmcnt(0)
	v_perm_b32 v21, v21, v5, s78
	s_or_b64 exec, exec, s[36:37]
	v_cmp_gt_u32_e32 vcc, s85, v85
	s_and_saveexec_b64 s[36:37], vcc
	s_cbranch_execnz .LBB86_410
	s_branch .LBB86_411
.LBB86_512:                             ;   in Loop: Header=BB86_12 Depth=1
	s_waitcnt lgkmcnt(0)
	s_barrier
	s_mov_b64 s[16:17], 0
.LBB86_513:                             ;   in Loop: Header=BB86_12 Depth=1
	s_and_b64 vcc, exec, s[16:17]
	s_cbranch_vccz .LBB86_11
; %bb.514:                              ;   in Loop: Header=BB86_12 Depth=1
	s_mov_b32 s20, s71
	s_mov_b32 s22, s51
	s_barrier
	s_waitcnt lgkmcnt(0)
                                        ; implicit-def: $vgpr5
                                        ; implicit-def: $vgpr6
                                        ; implicit-def: $vgpr7
                                        ; implicit-def: $vgpr8
                                        ; implicit-def: $vgpr9
                                        ; implicit-def: $vgpr10
                                        ; implicit-def: $vgpr11
                                        ; implicit-def: $vgpr12
	s_branch .LBB86_516
.LBB86_515:                             ;   in Loop: Header=BB86_516 Depth=2
	s_or_b64 exec, exec, s[16:17]
	s_addk_i32 s20, 0xf800
	s_cmp_ge_u32 s21, s76
	s_mov_b32 s22, s21
	s_cbranch_scc1 .LBB86_554
.LBB86_516:                             ;   Parent Loop BB86_12 Depth=1
                                        ; =>  This Inner Loop Header: Depth=2
	s_add_i32 s21, s22, 0x800
	s_cmp_gt_u32 s21, s76
	s_cbranch_scc1 .LBB86_519
; %bb.517:                              ;   in Loop: Header=BB86_516 Depth=2
	v_add_co_u32_e32 v0, vcc, s22, v57
	v_addc_co_u32_e32 v1, vcc, 0, v58, vcc
	global_load_ubyte v20, v[0:1], off offset:1536
	global_load_ubyte v19, v[0:1], off offset:1280
	;; [unrolled: 1-line block ×6, first 2 shown]
	global_load_ubyte v14, v[0:1], off
	v_add_co_u32_e32 v0, vcc, 0x700, v0
	v_addc_co_u32_e32 v1, vcc, 0, v1, vcc
	s_mov_b64 s[16:17], -1
	s_movk_i32 s25, 0x800
	s_cbranch_execz .LBB86_520
; %bb.518:                              ;   in Loop: Header=BB86_516 Depth=2
                                        ; implicit-def: $vgpr5
                                        ; implicit-def: $vgpr6
                                        ; implicit-def: $vgpr7
                                        ; implicit-def: $vgpr8
                                        ; implicit-def: $vgpr9
                                        ; implicit-def: $vgpr10
                                        ; implicit-def: $vgpr11
                                        ; implicit-def: $vgpr12
	v_mov_b32_e32 v13, s20
	s_and_saveexec_b64 s[18:19], s[16:17]
	s_cbranch_execnz .LBB86_531
	s_branch .LBB86_532
.LBB86_519:                             ;   in Loop: Header=BB86_516 Depth=2
	s_mov_b64 s[16:17], 0
                                        ; implicit-def: $sgpr25
                                        ; implicit-def: $vgpr14
                                        ; implicit-def: $vgpr15
                                        ; implicit-def: $vgpr16
                                        ; implicit-def: $vgpr17
                                        ; implicit-def: $vgpr18
                                        ; implicit-def: $vgpr19
                                        ; implicit-def: $vgpr20
                                        ; implicit-def: $vgpr0_vgpr1
.LBB86_520:                             ;   in Loop: Header=BB86_516 Depth=2
	s_add_u32 s23, s56, s22
	s_addc_u32 s24, s57, 0
	v_cmp_gt_u32_e32 vcc, s20, v2
	s_and_saveexec_b64 s[18:19], vcc
	s_cbranch_execz .LBB86_548
; %bb.521:                              ;   in Loop: Header=BB86_516 Depth=2
	v_mov_b32_e32 v1, s24
	v_add_co_u32_e32 v0, vcc, s23, v2
	v_addc_co_u32_e32 v1, vcc, 0, v1, vcc
	global_load_ubyte v5, v[0:1], off
	s_or_b64 exec, exec, s[18:19]
	v_cmp_gt_u32_e32 vcc, s20, v24
	s_and_saveexec_b64 s[18:19], vcc
	s_cbranch_execnz .LBB86_549
.LBB86_522:                             ;   in Loop: Header=BB86_516 Depth=2
	s_or_b64 exec, exec, s[18:19]
	v_cmp_gt_u32_e32 vcc, s20, v25
	s_and_saveexec_b64 s[18:19], vcc
	s_cbranch_execz .LBB86_550
.LBB86_523:                             ;   in Loop: Header=BB86_516 Depth=2
	v_mov_b32_e32 v1, s24
	v_add_co_u32_e32 v0, vcc, s23, v2
	v_addc_co_u32_e32 v1, vcc, 0, v1, vcc
	global_load_ubyte v7, v[0:1], off offset:512
	s_or_b64 exec, exec, s[18:19]
	v_cmp_gt_u32_e32 vcc, s20, v26
	s_and_saveexec_b64 s[18:19], vcc
	s_cbranch_execnz .LBB86_551
.LBB86_524:                             ;   in Loop: Header=BB86_516 Depth=2
	s_or_b64 exec, exec, s[18:19]
	v_cmp_gt_u32_e32 vcc, s20, v30
	s_and_saveexec_b64 s[18:19], vcc
	s_cbranch_execz .LBB86_552
.LBB86_525:                             ;   in Loop: Header=BB86_516 Depth=2
	v_mov_b32_e32 v1, s24
	v_add_co_u32_e32 v0, vcc, s23, v2
	v_addc_co_u32_e32 v1, vcc, 0, v1, vcc
	global_load_ubyte v9, v[0:1], off offset:1024
	s_or_b64 exec, exec, s[18:19]
	v_cmp_gt_u32_e32 vcc, s20, v31
	s_and_saveexec_b64 s[18:19], vcc
	s_cbranch_execnz .LBB86_553
.LBB86_526:                             ;   in Loop: Header=BB86_516 Depth=2
	s_or_b64 exec, exec, s[18:19]
	v_cmp_gt_u32_e32 vcc, s20, v32
	s_and_saveexec_b64 s[18:19], vcc
	s_cbranch_execz .LBB86_528
.LBB86_527:                             ;   in Loop: Header=BB86_516 Depth=2
	v_mov_b32_e32 v1, s24
	v_add_co_u32_e32 v0, vcc, s23, v2
	v_addc_co_u32_e32 v1, vcc, 0, v1, vcc
	global_load_ubyte v11, v[0:1], off offset:1536
.LBB86_528:                             ;   in Loop: Header=BB86_516 Depth=2
	s_or_b64 exec, exec, s[18:19]
	v_cmp_gt_u32_e32 vcc, s20, v33
                                        ; implicit-def: $sgpr25
                                        ; implicit-def: $vgpr0_vgpr1
	s_and_saveexec_b64 s[18:19], vcc
	s_cbranch_execz .LBB86_530
; %bb.529:                              ;   in Loop: Header=BB86_516 Depth=2
	v_mov_b32_e32 v0, s24
	v_add_co_u32_e32 v1, vcc, s23, v2
	s_waitcnt vmcnt(0)
	v_addc_co_u32_e32 v12, vcc, 0, v0, vcc
	v_add_co_u32_e32 v0, vcc, 0x700, v1
	s_sub_i32 s25, s76, s22
	v_addc_co_u32_e32 v1, vcc, 0, v12, vcc
	s_or_b64 s[16:17], s[16:17], exec
                                        ; implicit-def: $vgpr12
.LBB86_530:                             ;   in Loop: Header=BB86_516 Depth=2
	s_or_b64 exec, exec, s[18:19]
	s_waitcnt vmcnt(0)
	v_mov_b32_e32 v14, v5
	v_mov_b32_e32 v15, v6
	;; [unrolled: 1-line block ×8, first 2 shown]
	s_and_saveexec_b64 s[18:19], s[16:17]
	s_cbranch_execz .LBB86_532
.LBB86_531:                             ;   in Loop: Header=BB86_516 Depth=2
	global_load_ubyte v12, v[0:1], off
	v_mov_b32_e32 v13, s25
	s_waitcnt vmcnt(1)
	v_mov_b32_e32 v5, v14
	v_mov_b32_e32 v6, v15
	;; [unrolled: 1-line block ×7, first 2 shown]
.LBB86_532:                             ;   in Loop: Header=BB86_516 Depth=2
	s_or_b64 exec, exec, s[18:19]
	v_cmp_lt_u32_e32 vcc, v2, v13
	v_lshlrev_b32_e32 v0, 2, v27
	s_and_saveexec_b64 s[16:17], vcc
	s_cbranch_execz .LBB86_540
; %bb.533:                              ;   in Loop: Header=BB86_516 Depth=2
	v_xor_b32_e32 v1, -1, v5
	v_lshrrev_b32_sdwa v1, s69, v1 dst_sel:DWORD dst_unused:UNUSED_PAD src0_sel:DWORD src1_sel:BYTE_0
	v_and_b32_e32 v1, s84, v1
	v_lshl_or_b32 v1, v1, 4, v0
	ds_add_u32 v1, v63
	s_or_b64 exec, exec, s[16:17]
	v_cmp_lt_u32_e32 vcc, v24, v13
	s_and_saveexec_b64 s[16:17], vcc
	s_cbranch_execnz .LBB86_541
.LBB86_534:                             ;   in Loop: Header=BB86_516 Depth=2
	s_or_b64 exec, exec, s[16:17]
	v_cmp_lt_u32_e32 vcc, v25, v13
	s_and_saveexec_b64 s[16:17], vcc
	s_cbranch_execz .LBB86_542
.LBB86_535:                             ;   in Loop: Header=BB86_516 Depth=2
	v_xor_b32_e32 v1, -1, v7
	v_lshrrev_b32_sdwa v1, s69, v1 dst_sel:DWORD dst_unused:UNUSED_PAD src0_sel:DWORD src1_sel:BYTE_0
	v_and_b32_e32 v1, s84, v1
	v_lshl_or_b32 v1, v1, 4, v0
	ds_add_u32 v1, v63
	s_or_b64 exec, exec, s[16:17]
	v_cmp_lt_u32_e32 vcc, v26, v13
	s_and_saveexec_b64 s[16:17], vcc
	s_cbranch_execnz .LBB86_543
.LBB86_536:                             ;   in Loop: Header=BB86_516 Depth=2
	s_or_b64 exec, exec, s[16:17]
	v_cmp_lt_u32_e32 vcc, v30, v13
	s_and_saveexec_b64 s[16:17], vcc
	s_cbranch_execz .LBB86_544
.LBB86_537:                             ;   in Loop: Header=BB86_516 Depth=2
	v_xor_b32_e32 v1, -1, v9
	v_lshrrev_b32_sdwa v1, s69, v1 dst_sel:DWORD dst_unused:UNUSED_PAD src0_sel:DWORD src1_sel:BYTE_0
	v_and_b32_e32 v1, s84, v1
	v_lshl_or_b32 v1, v1, 4, v0
	ds_add_u32 v1, v63
	s_or_b64 exec, exec, s[16:17]
	v_cmp_lt_u32_e32 vcc, v31, v13
	s_and_saveexec_b64 s[16:17], vcc
	s_cbranch_execnz .LBB86_545
.LBB86_538:                             ;   in Loop: Header=BB86_516 Depth=2
	s_or_b64 exec, exec, s[16:17]
	v_cmp_lt_u32_e32 vcc, v32, v13
	s_and_saveexec_b64 s[16:17], vcc
	s_cbranch_execz .LBB86_546
.LBB86_539:                             ;   in Loop: Header=BB86_516 Depth=2
	v_xor_b32_e32 v1, -1, v11
	v_lshrrev_b32_sdwa v1, s69, v1 dst_sel:DWORD dst_unused:UNUSED_PAD src0_sel:DWORD src1_sel:BYTE_0
	v_and_b32_e32 v1, s84, v1
	v_lshl_or_b32 v1, v1, 4, v0
	ds_add_u32 v1, v63
	s_or_b64 exec, exec, s[16:17]
	v_cmp_lt_u32_e32 vcc, v33, v13
	s_and_saveexec_b64 s[16:17], vcc
	s_cbranch_execz .LBB86_515
	s_branch .LBB86_547
.LBB86_540:                             ;   in Loop: Header=BB86_516 Depth=2
	s_or_b64 exec, exec, s[16:17]
	v_cmp_lt_u32_e32 vcc, v24, v13
	s_and_saveexec_b64 s[16:17], vcc
	s_cbranch_execz .LBB86_534
.LBB86_541:                             ;   in Loop: Header=BB86_516 Depth=2
	v_xor_b32_e32 v1, -1, v6
	v_lshrrev_b32_sdwa v1, s69, v1 dst_sel:DWORD dst_unused:UNUSED_PAD src0_sel:DWORD src1_sel:BYTE_0
	v_and_b32_e32 v1, s84, v1
	v_lshl_or_b32 v1, v1, 4, v0
	ds_add_u32 v1, v63
	s_or_b64 exec, exec, s[16:17]
	v_cmp_lt_u32_e32 vcc, v25, v13
	s_and_saveexec_b64 s[16:17], vcc
	s_cbranch_execnz .LBB86_535
.LBB86_542:                             ;   in Loop: Header=BB86_516 Depth=2
	s_or_b64 exec, exec, s[16:17]
	v_cmp_lt_u32_e32 vcc, v26, v13
	s_and_saveexec_b64 s[16:17], vcc
	s_cbranch_execz .LBB86_536
.LBB86_543:                             ;   in Loop: Header=BB86_516 Depth=2
	v_xor_b32_e32 v1, -1, v8
	v_lshrrev_b32_sdwa v1, s69, v1 dst_sel:DWORD dst_unused:UNUSED_PAD src0_sel:DWORD src1_sel:BYTE_0
	v_and_b32_e32 v1, s84, v1
	v_lshl_or_b32 v1, v1, 4, v0
	ds_add_u32 v1, v63
	s_or_b64 exec, exec, s[16:17]
	v_cmp_lt_u32_e32 vcc, v30, v13
	s_and_saveexec_b64 s[16:17], vcc
	s_cbranch_execnz .LBB86_537
.LBB86_544:                             ;   in Loop: Header=BB86_516 Depth=2
	s_or_b64 exec, exec, s[16:17]
	v_cmp_lt_u32_e32 vcc, v31, v13
	s_and_saveexec_b64 s[16:17], vcc
	s_cbranch_execz .LBB86_538
.LBB86_545:                             ;   in Loop: Header=BB86_516 Depth=2
	v_xor_b32_e32 v1, -1, v10
	v_lshrrev_b32_sdwa v1, s69, v1 dst_sel:DWORD dst_unused:UNUSED_PAD src0_sel:DWORD src1_sel:BYTE_0
	v_and_b32_e32 v1, s84, v1
	v_lshl_or_b32 v1, v1, 4, v0
	ds_add_u32 v1, v63
	s_or_b64 exec, exec, s[16:17]
	v_cmp_lt_u32_e32 vcc, v32, v13
	s_and_saveexec_b64 s[16:17], vcc
	s_cbranch_execnz .LBB86_539
.LBB86_546:                             ;   in Loop: Header=BB86_516 Depth=2
	s_or_b64 exec, exec, s[16:17]
	v_cmp_lt_u32_e32 vcc, v33, v13
	s_and_saveexec_b64 s[16:17], vcc
	s_cbranch_execz .LBB86_515
.LBB86_547:                             ;   in Loop: Header=BB86_516 Depth=2
	s_waitcnt vmcnt(0)
	v_xor_b32_e32 v1, -1, v12
	v_lshrrev_b32_sdwa v1, s69, v1 dst_sel:DWORD dst_unused:UNUSED_PAD src0_sel:DWORD src1_sel:BYTE_0
	v_and_b32_e32 v1, s84, v1
	v_lshl_or_b32 v0, v1, 4, v0
	ds_add_u32 v0, v63
	s_branch .LBB86_515
.LBB86_548:                             ;   in Loop: Header=BB86_516 Depth=2
	s_or_b64 exec, exec, s[18:19]
	v_cmp_gt_u32_e32 vcc, s20, v24
	s_and_saveexec_b64 s[18:19], vcc
	s_cbranch_execz .LBB86_522
.LBB86_549:                             ;   in Loop: Header=BB86_516 Depth=2
	v_mov_b32_e32 v1, s24
	v_add_co_u32_e32 v0, vcc, s23, v2
	v_addc_co_u32_e32 v1, vcc, 0, v1, vcc
	global_load_ubyte v6, v[0:1], off offset:256
	s_or_b64 exec, exec, s[18:19]
	v_cmp_gt_u32_e32 vcc, s20, v25
	s_and_saveexec_b64 s[18:19], vcc
	s_cbranch_execnz .LBB86_523
.LBB86_550:                             ;   in Loop: Header=BB86_516 Depth=2
	s_or_b64 exec, exec, s[18:19]
	v_cmp_gt_u32_e32 vcc, s20, v26
	s_and_saveexec_b64 s[18:19], vcc
	s_cbranch_execz .LBB86_524
.LBB86_551:                             ;   in Loop: Header=BB86_516 Depth=2
	v_mov_b32_e32 v1, s24
	v_add_co_u32_e32 v0, vcc, s23, v2
	v_addc_co_u32_e32 v1, vcc, 0, v1, vcc
	global_load_ubyte v8, v[0:1], off offset:768
	s_or_b64 exec, exec, s[18:19]
	v_cmp_gt_u32_e32 vcc, s20, v30
	s_and_saveexec_b64 s[18:19], vcc
	s_cbranch_execnz .LBB86_525
.LBB86_552:                             ;   in Loop: Header=BB86_516 Depth=2
	s_or_b64 exec, exec, s[18:19]
	v_cmp_gt_u32_e32 vcc, s20, v31
	s_and_saveexec_b64 s[18:19], vcc
	s_cbranch_execz .LBB86_526
.LBB86_553:                             ;   in Loop: Header=BB86_516 Depth=2
	v_mov_b32_e32 v1, s24
	v_add_co_u32_e32 v0, vcc, s23, v2
	v_addc_co_u32_e32 v1, vcc, 0, v1, vcc
	global_load_ubyte v10, v[0:1], off offset:1280
	s_or_b64 exec, exec, s[18:19]
	v_cmp_gt_u32_e32 vcc, s20, v32
	s_and_saveexec_b64 s[18:19], vcc
	s_cbranch_execz .LBB86_528
	s_branch .LBB86_527
.LBB86_554:                             ;   in Loop: Header=BB86_12 Depth=1
	v_mov_b32_e32 v0, 0
	s_waitcnt lgkmcnt(0)
	s_barrier
	s_and_saveexec_b64 s[16:17], s[4:5]
	s_cbranch_execz .LBB86_556
; %bb.555:                              ;   in Loop: Header=BB86_12 Depth=1
	ds_read2_b64 v[6:9], v34 offset1:1
	s_waitcnt lgkmcnt(0)
	v_add_u32_e32 v0, v7, v6
	v_add3_u32 v0, v0, v8, v9
.LBB86_556:                             ;   in Loop: Header=BB86_12 Depth=1
	s_or_b64 exec, exec, s[16:17]
	v_and_b32_e32 v1, 15, v64
	v_mov_b32_dpp v5, v0 row_shr:1 row_mask:0xf bank_mask:0xf
	v_cmp_eq_u32_e64 s[16:17], 0, v1
	v_cndmask_b32_e64 v5, v5, 0, s[16:17]
	v_add_u32_e32 v0, v5, v0
	v_cmp_lt_u32_e64 s[18:19], 1, v1
	v_cmp_lt_u32_e64 s[20:21], 3, v1
	v_mov_b32_dpp v5, v0 row_shr:2 row_mask:0xf bank_mask:0xf
	v_cndmask_b32_e64 v5, 0, v5, s[18:19]
	v_add_u32_e32 v0, v0, v5
	v_cmp_lt_u32_e64 s[22:23], 7, v1
	v_cmp_lt_u32_e64 s[26:27], 31, v64
	v_mov_b32_dpp v5, v0 row_shr:4 row_mask:0xf bank_mask:0xf
	v_cndmask_b32_e64 v5, 0, v5, s[20:21]
	v_add_u32_e32 v0, v0, v5
	v_and_b32_e32 v6, 16, v64
	v_cmp_eq_u32_e64 s[24:25], 0, v6
	v_mov_b32_dpp v5, v0 row_shr:8 row_mask:0xf bank_mask:0xf
	v_cndmask_b32_e64 v1, 0, v5, s[22:23]
	v_add_u32_e32 v0, v0, v1
	v_bfe_i32 v5, v64, 4, 1
	s_nop 0
	v_mov_b32_dpp v1, v0 row_bcast:15 row_mask:0xf bank_mask:0xf
	v_and_b32_e32 v1, v5, v1
	v_add_u32_e32 v0, v0, v1
	s_nop 1
	v_mov_b32_dpp v1, v0 row_bcast:31 row_mask:0xf bank_mask:0xf
	v_cndmask_b32_e64 v1, 0, v1, s[26:27]
	v_add_u32_e32 v1, v0, v1
	s_and_saveexec_b64 s[28:29], s[6:7]
	s_cbranch_execz .LBB86_558
; %bb.557:                              ;   in Loop: Header=BB86_12 Depth=1
	ds_write_b32 v36, v1
.LBB86_558:                             ;   in Loop: Header=BB86_12 Depth=1
	s_or_b64 exec, exec, s[28:29]
	v_and_b32_e32 v0, 3, v64
	s_waitcnt lgkmcnt(0)
	s_barrier
	s_and_saveexec_b64 s[28:29], s[8:9]
	s_cbranch_execz .LBB86_560
; %bb.559:                              ;   in Loop: Header=BB86_12 Depth=1
	ds_read_b32 v5, v37
	v_cmp_ne_u32_e32 vcc, 0, v0
	s_waitcnt lgkmcnt(0)
	v_mov_b32_dpp v6, v5 row_shr:1 row_mask:0xf bank_mask:0xf
	v_cndmask_b32_e32 v6, 0, v6, vcc
	v_add_u32_e32 v5, v6, v5
	v_cmp_lt_u32_e32 vcc, 1, v0
	s_nop 0
	v_mov_b32_dpp v6, v5 row_shr:2 row_mask:0xf bank_mask:0xf
	v_cndmask_b32_e32 v6, 0, v6, vcc
	v_add_u32_e32 v5, v5, v6
	ds_write_b32 v37, v5
.LBB86_560:                             ;   in Loop: Header=BB86_12 Depth=1
	s_or_b64 exec, exec, s[28:29]
	v_mov_b32_e32 v5, 0
	s_waitcnt lgkmcnt(0)
	s_barrier
	s_and_saveexec_b64 s[28:29], s[10:11]
	s_cbranch_execz .LBB86_562
; %bb.561:                              ;   in Loop: Header=BB86_12 Depth=1
	ds_read_b32 v5, v38
.LBB86_562:                             ;   in Loop: Header=BB86_12 Depth=1
	s_or_b64 exec, exec, s[28:29]
	v_add_u32_e32 v6, -1, v64
	v_and_b32_e32 v7, 64, v64
	v_cmp_lt_i32_e32 vcc, v6, v7
	v_cndmask_b32_e32 v6, v6, v64, vcc
	s_waitcnt lgkmcnt(0)
	v_add_u32_e32 v1, v5, v1
	v_lshlrev_b32_e32 v66, 2, v6
	ds_bpermute_b32 v1, v66, v1
	v_cmp_eq_u32_e64 s[28:29], 0, v64
	s_waitcnt lgkmcnt(0)
	s_barrier
	s_and_saveexec_b64 s[30:31], s[4:5]
	s_cbranch_execz .LBB86_564
; %bb.563:                              ;   in Loop: Header=BB86_12 Depth=1
	v_cndmask_b32_e64 v1, v1, v5, s[28:29]
	v_add_u32_e32 v1, s51, v1
	ds_write_b32 v3, v1
.LBB86_564:                             ;   in Loop: Header=BB86_12 Depth=1
	s_or_b64 exec, exec, s[30:31]
	s_load_dwordx2 s[30:31], s[74:75], 0x0
	v_and_b32_e32 v21, 63, v64
	v_add_co_u32_e32 v75, vcc, v61, v21
	v_lshlrev_b32_e32 v22, 3, v21
	s_waitcnt lgkmcnt(0)
	s_cmp_lt_u32 s50, s30
	s_cselect_b32 s34, 12, 18
	s_cmp_lt_u32 s33, s31
	s_cselect_b32 s30, 14, 20
	s_add_u32 s30, s74, s30
	s_addc_u32 s31, s75, 0
	s_add_u32 s34, s74, s34
	global_load_ushort v5, v4, s[30:31]
	s_addc_u32 s35, s75, 0
	global_load_ushort v20, v4, s[34:35]
	v_addc_co_u32_e32 v77, vcc, 0, v62, vcc
	v_add_co_u32_e32 v78, vcc, v59, v22
	v_addc_co_u32_e32 v79, vcc, 0, v60, vcc
	v_or_b32_e32 v73, v21, v39
	v_add_co_u32_e32 v87, vcc, 0x1c0, v75
	v_cmp_eq_u32_e64 s[30:31], 0, v0
	v_cmp_lt_u32_e64 s[34:35], 1, v0
	s_mov_b32 s85, s71
	v_or_b32_e32 v80, 64, v73
	v_or_b32_e32 v81, 0x80, v73
	;; [unrolled: 1-line block ×7, first 2 shown]
	v_addc_co_u32_e32 v88, vcc, 0, v77, vcc
	s_mov_b32 s72, s51
                                        ; implicit-def: $vgpr0_vgpr1
                                        ; implicit-def: $vgpr6_vgpr7
                                        ; implicit-def: $vgpr8_vgpr9
                                        ; implicit-def: $vgpr10_vgpr11
                                        ; implicit-def: $vgpr12_vgpr13
                                        ; implicit-def: $vgpr14_vgpr15
                                        ; implicit-def: $vgpr16_vgpr17
                                        ; implicit-def: $vgpr18_vgpr19
                                        ; implicit-def: $vgpr67
                                        ; implicit-def: $vgpr68
                                        ; implicit-def: $vgpr69
                                        ; implicit-def: $vgpr70
                                        ; implicit-def: $vgpr71
                                        ; implicit-def: $vgpr72
                                        ; implicit-def: $vgpr74
                                        ; implicit-def: $vgpr76
	s_waitcnt vmcnt(1)
	v_mad_u32_u24 v5, v40, v5, v41
	s_waitcnt vmcnt(0)
	v_mad_u64_u32 v[20:21], s[36:37], v5, v20, v[2:3]
	v_lshrrev_b32_e32 v89, 6, v20
	s_branch .LBB86_566
.LBB86_565:                             ;   in Loop: Header=BB86_566 Depth=2
	s_or_b64 exec, exec, s[36:37]
	s_addk_i32 s85, 0xf800
	s_cmp_lt_u32 s86, s76
	s_mov_b32 s72, s86
	s_cbranch_scc0 .LBB86_10
.LBB86_566:                             ;   Parent Loop BB86_12 Depth=1
                                        ; =>  This Inner Loop Header: Depth=2
	s_add_i32 s86, s72, 0x800
	s_cmp_gt_u32 s86, s76
	s_cbranch_scc1 .LBB86_568
; %bb.567:                              ;   in Loop: Header=BB86_566 Depth=2
	v_add_co_u32_e32 v20, vcc, s72, v75
	v_addc_co_u32_e32 v21, vcc, 0, v77, vcc
	global_load_ubyte v5, v[20:21], off offset:64
	global_load_ubyte v22, v[20:21], off offset:192
	global_load_ubyte v23, v[20:21], off offset:320
	global_load_ubyte v90, v[20:21], off
	global_load_ubyte v91, v[20:21], off offset:128
	global_load_ubyte v92, v[20:21], off offset:256
	s_nop 0
	global_load_ubyte v21, v[20:21], off offset:384
	s_mov_b64 s[36:37], -1
	s_movk_i32 s40, 0x800
	s_waitcnt vmcnt(6)
	v_lshlrev_b16_e32 v5, 8, v5
	s_waitcnt vmcnt(5)
	v_lshlrev_b16_e32 v20, 8, v22
	;; [unrolled: 2-line block ×3, first 2 shown]
	s_waitcnt vmcnt(3)
	v_or_b32_e32 v5, v90, v5
	s_waitcnt vmcnt(2)
	v_or_b32_sdwa v20, v91, v20 dst_sel:WORD_1 dst_unused:UNUSED_PAD src0_sel:DWORD src1_sel:DWORD
	s_waitcnt vmcnt(1)
	v_or_b32_e32 v22, v92, v22
	v_or_b32_sdwa v20, v5, v20 dst_sel:DWORD dst_unused:UNUSED_PAD src0_sel:WORD_0 src1_sel:DWORD
	v_and_b32_e32 v5, 0xffff, v22
	s_waitcnt vmcnt(0)
	v_lshl_or_b32 v21, v21, 16, v5
	s_cbranch_execz .LBB86_569
	s_branch .LBB86_578
.LBB86_568:                             ;   in Loop: Header=BB86_566 Depth=2
	s_mov_b64 s[36:37], 0
                                        ; implicit-def: $sgpr40
                                        ; implicit-def: $vgpr20_vgpr21
.LBB86_569:                             ;   in Loop: Header=BB86_566 Depth=2
	v_add_co_u32_e32 v22, vcc, s72, v75
	v_addc_co_u32_e32 v23, vcc, 0, v77, vcc
	s_mov_b32 s36, s73
	s_mov_b32 s37, s73
	v_cmp_gt_u32_e32 vcc, s85, v73
	v_pk_mov_b32 v[20:21], s[36:37], s[36:37] op_sel:[0,1]
	s_and_saveexec_b64 s[36:37], vcc
	s_cbranch_execz .LBB86_672
; %bb.570:                              ;   in Loop: Header=BB86_566 Depth=2
	global_load_ubyte v5, v[22:23], off
	v_mov_b32_e32 v21, s73
	s_waitcnt vmcnt(0)
	v_and_b32_e32 v20, 0xffff, v5
	s_or_b64 exec, exec, s[36:37]
	v_cmp_gt_u32_e32 vcc, s85, v80
	s_and_saveexec_b64 s[36:37], vcc
	s_cbranch_execnz .LBB86_673
.LBB86_571:                             ;   in Loop: Header=BB86_566 Depth=2
	s_or_b64 exec, exec, s[36:37]
	v_cmp_gt_u32_e32 vcc, s85, v81
	s_and_saveexec_b64 s[36:37], vcc
	s_cbranch_execz .LBB86_674
.LBB86_572:                             ;   in Loop: Header=BB86_566 Depth=2
	global_load_ubyte v5, v[22:23], off offset:128
	v_and_b32_sdwa v90, v20, s79 dst_sel:DWORD dst_unused:UNUSED_PAD src0_sel:WORD_1 src1_sel:DWORD
	s_waitcnt vmcnt(0)
	v_or_b32_sdwa v5, v5, v90 dst_sel:WORD_1 dst_unused:UNUSED_PAD src0_sel:DWORD src1_sel:DWORD
	v_and_or_b32 v20, v20, s77, v5
	s_or_b64 exec, exec, s[36:37]
	v_cmp_gt_u32_e32 vcc, s85, v82
	s_and_saveexec_b64 s[36:37], vcc
	s_cbranch_execnz .LBB86_675
.LBB86_573:                             ;   in Loop: Header=BB86_566 Depth=2
	s_or_b64 exec, exec, s[36:37]
	v_cmp_gt_u32_e32 vcc, s85, v83
	s_and_saveexec_b64 s[36:37], vcc
	s_cbranch_execz .LBB86_676
.LBB86_574:                             ;   in Loop: Header=BB86_566 Depth=2
	global_load_ubyte v5, v[22:23], off offset:256
	s_waitcnt vmcnt(0)
	v_perm_b32 v21, v5, v21, s80
	s_or_b64 exec, exec, s[36:37]
	v_cmp_gt_u32_e32 vcc, s85, v84
	s_and_saveexec_b64 s[36:37], vcc
	s_cbranch_execnz .LBB86_677
.LBB86_575:                             ;   in Loop: Header=BB86_566 Depth=2
	s_or_b64 exec, exec, s[36:37]
	v_cmp_gt_u32_e32 vcc, s85, v85
	s_and_saveexec_b64 s[36:37], vcc
	s_cbranch_execz .LBB86_577
.LBB86_576:                             ;   in Loop: Header=BB86_566 Depth=2
	global_load_ubyte v5, v[22:23], off offset:384
	s_waitcnt vmcnt(0)
	v_perm_b32 v21, v21, v5, s81
.LBB86_577:                             ;   in Loop: Header=BB86_566 Depth=2
	s_or_b64 exec, exec, s[36:37]
	s_sub_i32 s40, s76, s72
	v_cmp_gt_u32_e64 s[36:37], s85, v86
.LBB86_578:                             ;   in Loop: Header=BB86_566 Depth=2
	v_mov_b32_e32 v90, s85
	s_and_saveexec_b64 s[38:39], s[36:37]
	s_cbranch_execz .LBB86_580
; %bb.579:                              ;   in Loop: Header=BB86_566 Depth=2
	v_mov_b32_e32 v5, s73
	v_add_co_u32_e32 v22, vcc, s72, v87
	v_addc_co_u32_e32 v23, vcc, v88, v5, vcc
	global_load_ubyte v5, v[22:23], off
	v_mov_b32_e32 v90, s40
	s_waitcnt vmcnt(0)
	v_perm_b32 v21, v21, v5, s82
.LBB86_580:                             ;   in Loop: Header=BB86_566 Depth=2
	s_or_b64 exec, exec, s[38:39]
	v_xor_b32_e32 v91, -1, v20
	v_add_u32_e32 v5, 0x410, v42
	ds_write2_b32 v5, v4, v4 offset1:1
	ds_write2_b32 v44, v4, v4 offset0:2 offset1:3
	ds_write_b32 v44, v4 offset:16
	v_lshrrev_b32_sdwa v5, s69, v91 dst_sel:DWORD dst_unused:UNUSED_PAD src0_sel:DWORD src1_sel:BYTE_0
	v_and_b32_e32 v22, s84, v5
	v_mad_u32_u24 v5, v22, 5, v89
	v_lshl_add_u32 v92, v5, 2, v43
	v_and_b32_e32 v5, 1, v22
	v_add_co_u32_e32 v23, vcc, -1, v5
	v_addc_co_u32_e64 v93, s[36:37], 0, -1, vcc
	v_cmp_ne_u32_e32 vcc, 0, v5
	v_xor_b32_e32 v5, vcc_hi, v93
	v_and_b32_e32 v93, exec_hi, v5
	v_lshlrev_b32_e32 v5, 30, v22
	v_xor_b32_e32 v23, vcc_lo, v23
	v_cmp_gt_i64_e32 vcc, 0, v[4:5]
	v_not_b32_e32 v5, v5
	v_ashrrev_i32_e32 v5, 31, v5
	v_and_b32_e32 v23, exec_lo, v23
	v_xor_b32_e32 v94, vcc_hi, v5
	v_xor_b32_e32 v5, vcc_lo, v5
	v_and_b32_e32 v23, v23, v5
	v_lshlrev_b32_e32 v5, 29, v22
	v_cmp_gt_i64_e32 vcc, 0, v[4:5]
	v_not_b32_e32 v5, v5
	v_ashrrev_i32_e32 v5, 31, v5
	v_and_b32_e32 v93, v93, v94
	v_xor_b32_e32 v94, vcc_hi, v5
	v_xor_b32_e32 v5, vcc_lo, v5
	v_and_b32_e32 v23, v23, v5
	v_lshlrev_b32_e32 v5, 28, v22
	v_cmp_gt_i64_e32 vcc, 0, v[4:5]
	v_not_b32_e32 v5, v5
	v_ashrrev_i32_e32 v5, 31, v5
	v_and_b32_e32 v93, v93, v94
	;; [unrolled: 8-line block ×5, first 2 shown]
	v_xor_b32_e32 v94, vcc_hi, v5
	v_xor_b32_e32 v5, vcc_lo, v5
	v_and_b32_e32 v93, v93, v94
	v_and_b32_e32 v94, v23, v5
	v_lshlrev_b32_e32 v5, 24, v22
	v_cmp_gt_i64_e32 vcc, 0, v[4:5]
	v_not_b32_e32 v5, v5
	v_ashrrev_i32_e32 v5, 31, v5
	v_xor_b32_e32 v22, vcc_hi, v5
	v_xor_b32_e32 v5, vcc_lo, v5
	v_and_b32_e32 v23, v93, v22
	v_and_b32_e32 v22, v94, v5
	v_mbcnt_lo_u32_b32 v5, v22, 0
	v_mbcnt_hi_u32_b32 v93, v23, v5
	v_cmp_eq_u32_e32 vcc, 0, v93
	v_cmp_ne_u64_e64 s[36:37], 0, v[22:23]
	s_and_b64 s[38:39], s[36:37], vcc
	s_waitcnt lgkmcnt(0)
	s_barrier
	s_waitcnt lgkmcnt(0)
	; wave barrier
	s_and_saveexec_b64 s[36:37], s[38:39]
	s_cbranch_execz .LBB86_582
; %bb.581:                              ;   in Loop: Header=BB86_566 Depth=2
	v_bcnt_u32_b32 v5, v22, 0
	v_bcnt_u32_b32 v5, v23, v5
	ds_write_b32 v92, v5
.LBB86_582:                             ;   in Loop: Header=BB86_566 Depth=2
	s_or_b64 exec, exec, s[36:37]
	v_lshrrev_b32_e32 v5, 8, v20
	v_xor_b32_e32 v94, -1, v5
	v_lshrrev_b32_sdwa v5, s69, v94 dst_sel:DWORD dst_unused:UNUSED_PAD src0_sel:DWORD src1_sel:BYTE_0
	v_and_b32_e32 v22, s84, v5
	v_mul_u32_u24_e32 v5, 5, v22
	v_add_lshl_u32 v5, v5, v89, 2
	; wave barrier
	v_add_u32_e32 v96, 0x410, v5
	ds_read_b32 v95, v5 offset:1040
	v_and_b32_e32 v5, 1, v22
	v_add_co_u32_e32 v23, vcc, -1, v5
	v_addc_co_u32_e64 v97, s[36:37], 0, -1, vcc
	v_cmp_ne_u32_e32 vcc, 0, v5
	v_xor_b32_e32 v5, vcc_hi, v97
	v_and_b32_e32 v97, exec_hi, v5
	v_lshlrev_b32_e32 v5, 30, v22
	v_xor_b32_e32 v23, vcc_lo, v23
	v_cmp_gt_i64_e32 vcc, 0, v[4:5]
	v_not_b32_e32 v5, v5
	v_ashrrev_i32_e32 v5, 31, v5
	v_and_b32_e32 v23, exec_lo, v23
	v_xor_b32_e32 v98, vcc_hi, v5
	v_xor_b32_e32 v5, vcc_lo, v5
	v_and_b32_e32 v23, v23, v5
	v_lshlrev_b32_e32 v5, 29, v22
	v_cmp_gt_i64_e32 vcc, 0, v[4:5]
	v_not_b32_e32 v5, v5
	v_ashrrev_i32_e32 v5, 31, v5
	v_and_b32_e32 v97, v97, v98
	v_xor_b32_e32 v98, vcc_hi, v5
	v_xor_b32_e32 v5, vcc_lo, v5
	v_and_b32_e32 v23, v23, v5
	v_lshlrev_b32_e32 v5, 28, v22
	v_cmp_gt_i64_e32 vcc, 0, v[4:5]
	v_not_b32_e32 v5, v5
	v_ashrrev_i32_e32 v5, 31, v5
	v_and_b32_e32 v97, v97, v98
	;; [unrolled: 8-line block ×5, first 2 shown]
	v_xor_b32_e32 v98, vcc_hi, v5
	v_xor_b32_e32 v5, vcc_lo, v5
	v_and_b32_e32 v97, v97, v98
	v_and_b32_e32 v98, v23, v5
	v_lshlrev_b32_e32 v5, 24, v22
	v_cmp_gt_i64_e32 vcc, 0, v[4:5]
	v_not_b32_e32 v5, v5
	v_ashrrev_i32_e32 v5, 31, v5
	v_xor_b32_e32 v22, vcc_hi, v5
	v_xor_b32_e32 v5, vcc_lo, v5
	v_and_b32_e32 v23, v97, v22
	v_and_b32_e32 v22, v98, v5
	v_mbcnt_lo_u32_b32 v5, v22, 0
	v_mbcnt_hi_u32_b32 v97, v23, v5
	v_cmp_eq_u32_e32 vcc, 0, v97
	v_cmp_ne_u64_e64 s[36:37], 0, v[22:23]
	s_and_b64 s[38:39], s[36:37], vcc
	; wave barrier
	s_and_saveexec_b64 s[36:37], s[38:39]
	s_cbranch_execz .LBB86_584
; %bb.583:                              ;   in Loop: Header=BB86_566 Depth=2
	v_bcnt_u32_b32 v5, v22, 0
	v_bcnt_u32_b32 v5, v23, v5
	s_waitcnt lgkmcnt(0)
	v_add_u32_e32 v5, v95, v5
	ds_write_b32 v96, v5
.LBB86_584:                             ;   in Loop: Header=BB86_566 Depth=2
	s_or_b64 exec, exec, s[36:37]
	v_xor_b32_sdwa v98, v20, v65 dst_sel:DWORD dst_unused:UNUSED_PAD src0_sel:WORD_1 src1_sel:DWORD
	v_lshrrev_b32_sdwa v5, s69, v98 dst_sel:DWORD dst_unused:UNUSED_PAD src0_sel:DWORD src1_sel:BYTE_0
	v_and_b32_e32 v22, s84, v5
	v_mul_u32_u24_e32 v5, 5, v22
	v_add_lshl_u32 v5, v5, v89, 2
	; wave barrier
	v_add_u32_e32 v100, 0x410, v5
	ds_read_b32 v99, v5 offset:1040
	v_and_b32_e32 v5, 1, v22
	v_add_co_u32_e32 v23, vcc, -1, v5
	v_addc_co_u32_e64 v101, s[36:37], 0, -1, vcc
	v_cmp_ne_u32_e32 vcc, 0, v5
	v_xor_b32_e32 v5, vcc_hi, v101
	v_and_b32_e32 v101, exec_hi, v5
	v_lshlrev_b32_e32 v5, 30, v22
	v_xor_b32_e32 v23, vcc_lo, v23
	v_cmp_gt_i64_e32 vcc, 0, v[4:5]
	v_not_b32_e32 v5, v5
	v_ashrrev_i32_e32 v5, 31, v5
	v_and_b32_e32 v23, exec_lo, v23
	v_xor_b32_e32 v102, vcc_hi, v5
	v_xor_b32_e32 v5, vcc_lo, v5
	v_and_b32_e32 v23, v23, v5
	v_lshlrev_b32_e32 v5, 29, v22
	v_cmp_gt_i64_e32 vcc, 0, v[4:5]
	v_not_b32_e32 v5, v5
	v_ashrrev_i32_e32 v5, 31, v5
	v_and_b32_e32 v101, v101, v102
	v_xor_b32_e32 v102, vcc_hi, v5
	v_xor_b32_e32 v5, vcc_lo, v5
	v_and_b32_e32 v23, v23, v5
	v_lshlrev_b32_e32 v5, 28, v22
	v_cmp_gt_i64_e32 vcc, 0, v[4:5]
	v_not_b32_e32 v5, v5
	v_ashrrev_i32_e32 v5, 31, v5
	v_and_b32_e32 v101, v101, v102
	;; [unrolled: 8-line block ×5, first 2 shown]
	v_xor_b32_e32 v102, vcc_hi, v5
	v_xor_b32_e32 v5, vcc_lo, v5
	v_and_b32_e32 v101, v101, v102
	v_and_b32_e32 v102, v23, v5
	v_lshlrev_b32_e32 v5, 24, v22
	v_cmp_gt_i64_e32 vcc, 0, v[4:5]
	v_not_b32_e32 v5, v5
	v_ashrrev_i32_e32 v5, 31, v5
	v_xor_b32_e32 v22, vcc_hi, v5
	v_xor_b32_e32 v5, vcc_lo, v5
	v_and_b32_e32 v23, v101, v22
	v_and_b32_e32 v22, v102, v5
	v_mbcnt_lo_u32_b32 v5, v22, 0
	v_mbcnt_hi_u32_b32 v101, v23, v5
	v_cmp_eq_u32_e32 vcc, 0, v101
	v_cmp_ne_u64_e64 s[36:37], 0, v[22:23]
	s_and_b64 s[38:39], s[36:37], vcc
	; wave barrier
	s_and_saveexec_b64 s[36:37], s[38:39]
	s_cbranch_execz .LBB86_586
; %bb.585:                              ;   in Loop: Header=BB86_566 Depth=2
	v_bcnt_u32_b32 v5, v22, 0
	v_bcnt_u32_b32 v5, v23, v5
	s_waitcnt lgkmcnt(0)
	v_add_u32_e32 v5, v99, v5
	ds_write_b32 v100, v5
.LBB86_586:                             ;   in Loop: Header=BB86_566 Depth=2
	s_or_b64 exec, exec, s[36:37]
	v_lshrrev_b64 v[22:23], 24, v[20:21]
	v_xor_b32_e32 v102, -1, v22
	v_lshrrev_b32_sdwa v5, s69, v102 dst_sel:DWORD dst_unused:UNUSED_PAD src0_sel:DWORD src1_sel:BYTE_0
	v_and_b32_e32 v20, s84, v5
	v_mul_u32_u24_e32 v5, 5, v20
	v_add_lshl_u32 v5, v5, v89, 2
	; wave barrier
	v_add_u32_e32 v104, 0x410, v5
	ds_read_b32 v103, v5 offset:1040
	v_and_b32_e32 v5, 1, v20
	v_add_co_u32_e32 v22, vcc, -1, v5
	v_addc_co_u32_e64 v23, s[36:37], 0, -1, vcc
	v_cmp_ne_u32_e32 vcc, 0, v5
	v_xor_b32_e32 v5, vcc_hi, v23
	v_and_b32_e32 v23, exec_hi, v5
	v_lshlrev_b32_e32 v5, 30, v20
	v_xor_b32_e32 v22, vcc_lo, v22
	v_cmp_gt_i64_e32 vcc, 0, v[4:5]
	v_not_b32_e32 v5, v5
	v_ashrrev_i32_e32 v5, 31, v5
	v_and_b32_e32 v22, exec_lo, v22
	v_xor_b32_e32 v105, vcc_hi, v5
	v_xor_b32_e32 v5, vcc_lo, v5
	v_and_b32_e32 v22, v22, v5
	v_lshlrev_b32_e32 v5, 29, v20
	v_cmp_gt_i64_e32 vcc, 0, v[4:5]
	v_not_b32_e32 v5, v5
	v_ashrrev_i32_e32 v5, 31, v5
	v_and_b32_e32 v23, v23, v105
	v_xor_b32_e32 v105, vcc_hi, v5
	v_xor_b32_e32 v5, vcc_lo, v5
	v_and_b32_e32 v22, v22, v5
	v_lshlrev_b32_e32 v5, 28, v20
	v_cmp_gt_i64_e32 vcc, 0, v[4:5]
	v_not_b32_e32 v5, v5
	v_ashrrev_i32_e32 v5, 31, v5
	v_and_b32_e32 v23, v23, v105
	v_xor_b32_e32 v105, vcc_hi, v5
	v_xor_b32_e32 v5, vcc_lo, v5
	v_and_b32_e32 v22, v22, v5
	v_lshlrev_b32_e32 v5, 27, v20
	v_cmp_gt_i64_e32 vcc, 0, v[4:5]
	v_not_b32_e32 v5, v5
	v_ashrrev_i32_e32 v5, 31, v5
	v_and_b32_e32 v23, v23, v105
	v_xor_b32_e32 v105, vcc_hi, v5
	v_xor_b32_e32 v5, vcc_lo, v5
	v_and_b32_e32 v22, v22, v5
	v_lshlrev_b32_e32 v5, 26, v20
	v_cmp_gt_i64_e32 vcc, 0, v[4:5]
	v_not_b32_e32 v5, v5
	v_ashrrev_i32_e32 v5, 31, v5
	v_and_b32_e32 v23, v23, v105
	v_xor_b32_e32 v105, vcc_hi, v5
	v_xor_b32_e32 v5, vcc_lo, v5
	v_and_b32_e32 v22, v22, v5
	v_lshlrev_b32_e32 v5, 25, v20
	v_cmp_gt_i64_e32 vcc, 0, v[4:5]
	v_not_b32_e32 v5, v5
	v_ashrrev_i32_e32 v5, 31, v5
	v_and_b32_e32 v23, v23, v105
	v_xor_b32_e32 v105, vcc_hi, v5
	v_xor_b32_e32 v5, vcc_lo, v5
	v_and_b32_e32 v22, v22, v5
	v_lshlrev_b32_e32 v5, 24, v20
	v_cmp_gt_i64_e32 vcc, 0, v[4:5]
	v_not_b32_e32 v5, v5
	v_ashrrev_i32_e32 v5, 31, v5
	v_xor_b32_e32 v20, vcc_hi, v5
	v_xor_b32_e32 v5, vcc_lo, v5
	v_and_b32_e32 v23, v23, v105
	v_and_b32_e32 v22, v22, v5
	;; [unrolled: 1-line block ×3, first 2 shown]
	v_mbcnt_lo_u32_b32 v5, v22, 0
	v_mbcnt_hi_u32_b32 v105, v23, v5
	v_cmp_eq_u32_e32 vcc, 0, v105
	v_cmp_ne_u64_e64 s[36:37], 0, v[22:23]
	s_and_b64 s[38:39], s[36:37], vcc
	; wave barrier
	s_and_saveexec_b64 s[36:37], s[38:39]
	s_cbranch_execz .LBB86_588
; %bb.587:                              ;   in Loop: Header=BB86_566 Depth=2
	v_bcnt_u32_b32 v5, v22, 0
	v_bcnt_u32_b32 v5, v23, v5
	s_waitcnt lgkmcnt(0)
	v_add_u32_e32 v5, v103, v5
	ds_write_b32 v104, v5
.LBB86_588:                             ;   in Loop: Header=BB86_566 Depth=2
	s_or_b64 exec, exec, s[36:37]
	v_xor_b32_e32 v106, -1, v21
	v_lshrrev_b32_sdwa v5, s69, v106 dst_sel:DWORD dst_unused:UNUSED_PAD src0_sel:DWORD src1_sel:BYTE_0
	v_and_b32_e32 v20, s84, v5
	v_mul_u32_u24_e32 v5, 5, v20
	v_add_lshl_u32 v5, v5, v89, 2
	; wave barrier
	v_add_u32_e32 v108, 0x410, v5
	ds_read_b32 v107, v5 offset:1040
	v_and_b32_e32 v5, 1, v20
	v_add_co_u32_e32 v22, vcc, -1, v5
	v_addc_co_u32_e64 v23, s[36:37], 0, -1, vcc
	v_cmp_ne_u32_e32 vcc, 0, v5
	v_xor_b32_e32 v5, vcc_hi, v23
	v_and_b32_e32 v23, exec_hi, v5
	v_lshlrev_b32_e32 v5, 30, v20
	v_xor_b32_e32 v22, vcc_lo, v22
	v_cmp_gt_i64_e32 vcc, 0, v[4:5]
	v_not_b32_e32 v5, v5
	v_ashrrev_i32_e32 v5, 31, v5
	v_and_b32_e32 v22, exec_lo, v22
	v_xor_b32_e32 v109, vcc_hi, v5
	v_xor_b32_e32 v5, vcc_lo, v5
	v_and_b32_e32 v22, v22, v5
	v_lshlrev_b32_e32 v5, 29, v20
	v_cmp_gt_i64_e32 vcc, 0, v[4:5]
	v_not_b32_e32 v5, v5
	v_ashrrev_i32_e32 v5, 31, v5
	v_and_b32_e32 v23, v23, v109
	v_xor_b32_e32 v109, vcc_hi, v5
	v_xor_b32_e32 v5, vcc_lo, v5
	v_and_b32_e32 v22, v22, v5
	v_lshlrev_b32_e32 v5, 28, v20
	v_cmp_gt_i64_e32 vcc, 0, v[4:5]
	v_not_b32_e32 v5, v5
	v_ashrrev_i32_e32 v5, 31, v5
	v_and_b32_e32 v23, v23, v109
	;; [unrolled: 8-line block ×5, first 2 shown]
	v_xor_b32_e32 v109, vcc_hi, v5
	v_xor_b32_e32 v5, vcc_lo, v5
	v_and_b32_e32 v22, v22, v5
	v_lshlrev_b32_e32 v5, 24, v20
	v_cmp_gt_i64_e32 vcc, 0, v[4:5]
	v_not_b32_e32 v5, v5
	v_ashrrev_i32_e32 v5, 31, v5
	v_xor_b32_e32 v20, vcc_hi, v5
	v_xor_b32_e32 v5, vcc_lo, v5
	v_and_b32_e32 v23, v23, v109
	v_and_b32_e32 v22, v22, v5
	;; [unrolled: 1-line block ×3, first 2 shown]
	v_mbcnt_lo_u32_b32 v5, v22, 0
	v_mbcnt_hi_u32_b32 v109, v23, v5
	v_cmp_eq_u32_e32 vcc, 0, v109
	v_cmp_ne_u64_e64 s[36:37], 0, v[22:23]
	s_and_b64 s[38:39], s[36:37], vcc
	; wave barrier
	s_and_saveexec_b64 s[36:37], s[38:39]
	s_cbranch_execz .LBB86_590
; %bb.589:                              ;   in Loop: Header=BB86_566 Depth=2
	v_bcnt_u32_b32 v5, v22, 0
	v_bcnt_u32_b32 v5, v23, v5
	s_waitcnt lgkmcnt(0)
	v_add_u32_e32 v5, v107, v5
	ds_write_b32 v108, v5
.LBB86_590:                             ;   in Loop: Header=BB86_566 Depth=2
	s_or_b64 exec, exec, s[36:37]
	v_lshrrev_b32_e32 v5, 8, v21
	v_xor_b32_e32 v110, -1, v5
	v_lshrrev_b32_sdwa v5, s69, v110 dst_sel:DWORD dst_unused:UNUSED_PAD src0_sel:DWORD src1_sel:BYTE_0
	v_and_b32_e32 v20, s84, v5
	v_mul_u32_u24_e32 v5, 5, v20
	v_add_lshl_u32 v5, v5, v89, 2
	; wave barrier
	v_add_u32_e32 v112, 0x410, v5
	ds_read_b32 v111, v5 offset:1040
	v_and_b32_e32 v5, 1, v20
	v_add_co_u32_e32 v22, vcc, -1, v5
	v_addc_co_u32_e64 v23, s[36:37], 0, -1, vcc
	v_cmp_ne_u32_e32 vcc, 0, v5
	v_xor_b32_e32 v5, vcc_hi, v23
	v_and_b32_e32 v23, exec_hi, v5
	v_lshlrev_b32_e32 v5, 30, v20
	v_xor_b32_e32 v22, vcc_lo, v22
	v_cmp_gt_i64_e32 vcc, 0, v[4:5]
	v_not_b32_e32 v5, v5
	v_ashrrev_i32_e32 v5, 31, v5
	v_and_b32_e32 v22, exec_lo, v22
	v_xor_b32_e32 v113, vcc_hi, v5
	v_xor_b32_e32 v5, vcc_lo, v5
	v_and_b32_e32 v22, v22, v5
	v_lshlrev_b32_e32 v5, 29, v20
	v_cmp_gt_i64_e32 vcc, 0, v[4:5]
	v_not_b32_e32 v5, v5
	v_ashrrev_i32_e32 v5, 31, v5
	v_and_b32_e32 v23, v23, v113
	v_xor_b32_e32 v113, vcc_hi, v5
	v_xor_b32_e32 v5, vcc_lo, v5
	v_and_b32_e32 v22, v22, v5
	v_lshlrev_b32_e32 v5, 28, v20
	v_cmp_gt_i64_e32 vcc, 0, v[4:5]
	v_not_b32_e32 v5, v5
	v_ashrrev_i32_e32 v5, 31, v5
	v_and_b32_e32 v23, v23, v113
	;; [unrolled: 8-line block ×5, first 2 shown]
	v_xor_b32_e32 v113, vcc_hi, v5
	v_xor_b32_e32 v5, vcc_lo, v5
	v_and_b32_e32 v22, v22, v5
	v_lshlrev_b32_e32 v5, 24, v20
	v_cmp_gt_i64_e32 vcc, 0, v[4:5]
	v_not_b32_e32 v5, v5
	v_ashrrev_i32_e32 v5, 31, v5
	v_xor_b32_e32 v20, vcc_hi, v5
	v_xor_b32_e32 v5, vcc_lo, v5
	v_and_b32_e32 v23, v23, v113
	v_and_b32_e32 v22, v22, v5
	;; [unrolled: 1-line block ×3, first 2 shown]
	v_mbcnt_lo_u32_b32 v5, v22, 0
	v_mbcnt_hi_u32_b32 v113, v23, v5
	v_cmp_eq_u32_e32 vcc, 0, v113
	v_cmp_ne_u64_e64 s[36:37], 0, v[22:23]
	s_and_b64 s[38:39], s[36:37], vcc
	; wave barrier
	s_and_saveexec_b64 s[36:37], s[38:39]
	s_cbranch_execz .LBB86_592
; %bb.591:                              ;   in Loop: Header=BB86_566 Depth=2
	v_bcnt_u32_b32 v5, v22, 0
	v_bcnt_u32_b32 v5, v23, v5
	s_waitcnt lgkmcnt(0)
	v_add_u32_e32 v5, v111, v5
	ds_write_b32 v112, v5
.LBB86_592:                             ;   in Loop: Header=BB86_566 Depth=2
	s_or_b64 exec, exec, s[36:37]
	v_xor_b32_sdwa v114, v21, v65 dst_sel:DWORD dst_unused:UNUSED_PAD src0_sel:WORD_1 src1_sel:DWORD
	v_lshrrev_b32_sdwa v5, s69, v114 dst_sel:DWORD dst_unused:UNUSED_PAD src0_sel:DWORD src1_sel:BYTE_0
	v_and_b32_e32 v20, s84, v5
	v_mul_u32_u24_e32 v5, 5, v20
	v_add_lshl_u32 v5, v5, v89, 2
	; wave barrier
	v_add_u32_e32 v116, 0x410, v5
	ds_read_b32 v115, v5 offset:1040
	v_and_b32_e32 v5, 1, v20
	v_add_co_u32_e32 v22, vcc, -1, v5
	v_addc_co_u32_e64 v23, s[36:37], 0, -1, vcc
	v_cmp_ne_u32_e32 vcc, 0, v5
	v_xor_b32_e32 v5, vcc_hi, v23
	v_and_b32_e32 v23, exec_hi, v5
	v_lshlrev_b32_e32 v5, 30, v20
	v_xor_b32_e32 v22, vcc_lo, v22
	v_cmp_gt_i64_e32 vcc, 0, v[4:5]
	v_not_b32_e32 v5, v5
	v_ashrrev_i32_e32 v5, 31, v5
	v_and_b32_e32 v22, exec_lo, v22
	v_xor_b32_e32 v117, vcc_hi, v5
	v_xor_b32_e32 v5, vcc_lo, v5
	v_and_b32_e32 v22, v22, v5
	v_lshlrev_b32_e32 v5, 29, v20
	v_cmp_gt_i64_e32 vcc, 0, v[4:5]
	v_not_b32_e32 v5, v5
	v_ashrrev_i32_e32 v5, 31, v5
	v_and_b32_e32 v23, v23, v117
	v_xor_b32_e32 v117, vcc_hi, v5
	v_xor_b32_e32 v5, vcc_lo, v5
	v_and_b32_e32 v22, v22, v5
	v_lshlrev_b32_e32 v5, 28, v20
	v_cmp_gt_i64_e32 vcc, 0, v[4:5]
	v_not_b32_e32 v5, v5
	v_ashrrev_i32_e32 v5, 31, v5
	v_and_b32_e32 v23, v23, v117
	v_xor_b32_e32 v117, vcc_hi, v5
	v_xor_b32_e32 v5, vcc_lo, v5
	v_and_b32_e32 v22, v22, v5
	v_lshlrev_b32_e32 v5, 27, v20
	v_cmp_gt_i64_e32 vcc, 0, v[4:5]
	v_not_b32_e32 v5, v5
	v_ashrrev_i32_e32 v5, 31, v5
	v_and_b32_e32 v23, v23, v117
	v_xor_b32_e32 v117, vcc_hi, v5
	v_xor_b32_e32 v5, vcc_lo, v5
	v_and_b32_e32 v22, v22, v5
	v_lshlrev_b32_e32 v5, 26, v20
	v_cmp_gt_i64_e32 vcc, 0, v[4:5]
	v_not_b32_e32 v5, v5
	v_ashrrev_i32_e32 v5, 31, v5
	v_and_b32_e32 v23, v23, v117
	v_xor_b32_e32 v117, vcc_hi, v5
	v_xor_b32_e32 v5, vcc_lo, v5
	v_and_b32_e32 v22, v22, v5
	v_lshlrev_b32_e32 v5, 25, v20
	v_cmp_gt_i64_e32 vcc, 0, v[4:5]
	v_not_b32_e32 v5, v5
	v_ashrrev_i32_e32 v5, 31, v5
	v_and_b32_e32 v23, v23, v117
	v_xor_b32_e32 v117, vcc_hi, v5
	v_xor_b32_e32 v5, vcc_lo, v5
	v_and_b32_e32 v22, v22, v5
	v_lshlrev_b32_e32 v5, 24, v20
	v_cmp_gt_i64_e32 vcc, 0, v[4:5]
	v_not_b32_e32 v5, v5
	v_ashrrev_i32_e32 v5, 31, v5
	v_xor_b32_e32 v20, vcc_hi, v5
	v_xor_b32_e32 v5, vcc_lo, v5
	v_and_b32_e32 v23, v23, v117
	v_and_b32_e32 v22, v22, v5
	;; [unrolled: 1-line block ×3, first 2 shown]
	v_mbcnt_lo_u32_b32 v5, v22, 0
	v_mbcnt_hi_u32_b32 v117, v23, v5
	v_cmp_eq_u32_e32 vcc, 0, v117
	v_cmp_ne_u64_e64 s[36:37], 0, v[22:23]
	s_and_b64 s[38:39], s[36:37], vcc
	; wave barrier
	s_and_saveexec_b64 s[36:37], s[38:39]
	s_cbranch_execz .LBB86_594
; %bb.593:                              ;   in Loop: Header=BB86_566 Depth=2
	v_bcnt_u32_b32 v5, v22, 0
	v_bcnt_u32_b32 v5, v23, v5
	s_waitcnt lgkmcnt(0)
	v_add_u32_e32 v5, v115, v5
	ds_write_b32 v116, v5
.LBB86_594:                             ;   in Loop: Header=BB86_566 Depth=2
	s_or_b64 exec, exec, s[36:37]
	v_xor_b32_sdwa v118, v21, v65 dst_sel:DWORD dst_unused:UNUSED_PAD src0_sel:BYTE_3 src1_sel:DWORD
	v_lshrrev_b32_sdwa v5, s69, v118 dst_sel:DWORD dst_unused:UNUSED_PAD src0_sel:DWORD src1_sel:BYTE_0
	v_and_b32_e32 v20, s84, v5
	v_mul_u32_u24_e32 v5, 5, v20
	v_add_lshl_u32 v5, v5, v89, 2
	; wave barrier
	v_add_u32_e32 v120, 0x410, v5
	ds_read_b32 v119, v5 offset:1040
	v_and_b32_e32 v5, 1, v20
	v_add_co_u32_e32 v21, vcc, -1, v5
	v_addc_co_u32_e64 v22, s[36:37], 0, -1, vcc
	v_cmp_ne_u32_e32 vcc, 0, v5
	v_xor_b32_e32 v5, vcc_hi, v22
	v_and_b32_e32 v22, exec_hi, v5
	v_lshlrev_b32_e32 v5, 30, v20
	v_xor_b32_e32 v21, vcc_lo, v21
	v_cmp_gt_i64_e32 vcc, 0, v[4:5]
	v_not_b32_e32 v5, v5
	v_ashrrev_i32_e32 v5, 31, v5
	v_and_b32_e32 v21, exec_lo, v21
	v_xor_b32_e32 v23, vcc_hi, v5
	v_xor_b32_e32 v5, vcc_lo, v5
	v_and_b32_e32 v21, v21, v5
	v_lshlrev_b32_e32 v5, 29, v20
	v_cmp_gt_i64_e32 vcc, 0, v[4:5]
	v_not_b32_e32 v5, v5
	v_ashrrev_i32_e32 v5, 31, v5
	v_and_b32_e32 v22, v22, v23
	v_xor_b32_e32 v23, vcc_hi, v5
	v_xor_b32_e32 v5, vcc_lo, v5
	v_and_b32_e32 v21, v21, v5
	v_lshlrev_b32_e32 v5, 28, v20
	v_cmp_gt_i64_e32 vcc, 0, v[4:5]
	v_not_b32_e32 v5, v5
	v_ashrrev_i32_e32 v5, 31, v5
	v_and_b32_e32 v22, v22, v23
	;; [unrolled: 8-line block ×5, first 2 shown]
	v_xor_b32_e32 v23, vcc_hi, v5
	v_xor_b32_e32 v5, vcc_lo, v5
	v_and_b32_e32 v22, v22, v23
	v_and_b32_e32 v23, v21, v5
	v_lshlrev_b32_e32 v5, 24, v20
	v_cmp_gt_i64_e32 vcc, 0, v[4:5]
	v_not_b32_e32 v5, v5
	v_ashrrev_i32_e32 v5, 31, v5
	v_xor_b32_e32 v20, vcc_hi, v5
	v_xor_b32_e32 v5, vcc_lo, v5
	v_and_b32_e32 v21, v22, v20
	v_and_b32_e32 v20, v23, v5
	v_mbcnt_lo_u32_b32 v5, v20, 0
	v_mbcnt_hi_u32_b32 v121, v21, v5
	v_cmp_eq_u32_e32 vcc, 0, v121
	v_cmp_ne_u64_e64 s[36:37], 0, v[20:21]
	s_and_b64 s[38:39], s[36:37], vcc
	; wave barrier
	s_and_saveexec_b64 s[36:37], s[38:39]
	s_cbranch_execz .LBB86_596
; %bb.595:                              ;   in Loop: Header=BB86_566 Depth=2
	v_bcnt_u32_b32 v5, v20, 0
	v_bcnt_u32_b32 v5, v21, v5
	s_waitcnt lgkmcnt(0)
	v_add_u32_e32 v5, v119, v5
	ds_write_b32 v120, v5
.LBB86_596:                             ;   in Loop: Header=BB86_566 Depth=2
	s_or_b64 exec, exec, s[36:37]
	; wave barrier
	s_waitcnt lgkmcnt(0)
	s_barrier
	ds_read_b32 v5, v42 offset:1040
	ds_read2_b32 v[22:23], v44 offset0:1 offset1:2
	ds_read2_b32 v[20:21], v44 offset0:3 offset1:4
	s_waitcnt lgkmcnt(1)
	v_add3_u32 v122, v22, v5, v23
	s_waitcnt lgkmcnt(0)
	v_add3_u32 v21, v122, v20, v21
	s_nop 1
	v_mov_b32_dpp v122, v21 row_shr:1 row_mask:0xf bank_mask:0xf
	v_cndmask_b32_e64 v122, v122, 0, s[16:17]
	v_add_u32_e32 v21, v122, v21
	s_nop 1
	v_mov_b32_dpp v122, v21 row_shr:2 row_mask:0xf bank_mask:0xf
	v_cndmask_b32_e64 v122, 0, v122, s[18:19]
	v_add_u32_e32 v21, v21, v122
	;; [unrolled: 4-line block ×4, first 2 shown]
	s_nop 1
	v_mov_b32_dpp v122, v21 row_bcast:15 row_mask:0xf bank_mask:0xf
	v_cndmask_b32_e64 v122, v122, 0, s[24:25]
	v_add_u32_e32 v21, v21, v122
	s_nop 1
	v_mov_b32_dpp v122, v21 row_bcast:31 row_mask:0xf bank_mask:0xf
	v_cndmask_b32_e64 v122, 0, v122, s[26:27]
	v_add_u32_e32 v21, v21, v122
	s_and_saveexec_b64 s[36:37], s[6:7]
	s_cbranch_execz .LBB86_598
; %bb.597:                              ;   in Loop: Header=BB86_566 Depth=2
	ds_write_b32 v35, v21 offset:1024
.LBB86_598:                             ;   in Loop: Header=BB86_566 Depth=2
	s_or_b64 exec, exec, s[36:37]
	s_waitcnt lgkmcnt(0)
	s_barrier
	s_and_saveexec_b64 s[36:37], s[8:9]
	s_cbranch_execz .LBB86_600
; %bb.599:                              ;   in Loop: Header=BB86_566 Depth=2
	v_add_u32_e32 v122, v42, v45
	ds_read_b32 v123, v122 offset:1024
	s_waitcnt lgkmcnt(0)
	s_nop 0
	v_mov_b32_dpp v124, v123 row_shr:1 row_mask:0xf bank_mask:0xf
	v_cndmask_b32_e64 v124, v124, 0, s[30:31]
	v_add_u32_e32 v123, v124, v123
	s_nop 1
	v_mov_b32_dpp v124, v123 row_shr:2 row_mask:0xf bank_mask:0xf
	v_cndmask_b32_e64 v124, 0, v124, s[34:35]
	v_add_u32_e32 v123, v123, v124
	ds_write_b32 v122, v123 offset:1024
.LBB86_600:                             ;   in Loop: Header=BB86_566 Depth=2
	s_or_b64 exec, exec, s[36:37]
	v_mov_b32_e32 v122, 0
	s_waitcnt lgkmcnt(0)
	s_barrier
	s_and_saveexec_b64 s[36:37], s[10:11]
	s_cbranch_execz .LBB86_602
; %bb.601:                              ;   in Loop: Header=BB86_566 Depth=2
	ds_read_b32 v122, v35 offset:1020
.LBB86_602:                             ;   in Loop: Header=BB86_566 Depth=2
	s_or_b64 exec, exec, s[36:37]
	s_waitcnt lgkmcnt(0)
	v_add_u32_e32 v21, v122, v21
	ds_bpermute_b32 v21, v66, v21
	s_waitcnt lgkmcnt(0)
	v_cndmask_b32_e64 v21, v21, v122, s[28:29]
	v_cndmask_b32_e64 v21, v21, 0, s[12:13]
	v_add_u32_e32 v5, v21, v5
	ds_write_b32 v42, v21 offset:1040
	v_add_u32_e32 v21, v5, v22
	v_add_u32_e32 v22, v21, v23
	ds_write2_b32 v44, v5, v21 offset0:1 offset1:2
	v_add_u32_e32 v5, v22, v20
	ds_write2_b32 v44, v22, v5 offset0:3 offset1:4
	s_waitcnt lgkmcnt(0)
	s_barrier
	ds_read_b32 v20, v96
	ds_read_b32 v21, v100
	;; [unrolled: 1-line block ×8, first 2 shown]
	ds_read_b32 v96, v42 offset:1040
	v_mov_b32_e32 v5, 0x800
	s_and_saveexec_b64 s[36:37], s[14:15]
	s_cbranch_execz .LBB86_604
; %bb.603:                              ;   in Loop: Header=BB86_566 Depth=2
	ds_read_b32 v5, v42 offset:1060
.LBB86_604:                             ;   in Loop: Header=BB86_566 Depth=2
	s_or_b64 exec, exec, s[36:37]
	s_waitcnt lgkmcnt(0)
	s_barrier
	s_and_saveexec_b64 s[36:37], s[4:5]
	s_cbranch_execz .LBB86_606
; %bb.605:                              ;   in Loop: Header=BB86_566 Depth=2
	ds_read_b32 v100, v3
	s_waitcnt lgkmcnt(0)
	v_sub_u32_e32 v96, v100, v96
	ds_write_b32 v3, v96
.LBB86_606:                             ;   in Loop: Header=BB86_566 Depth=2
	s_or_b64 exec, exec, s[36:37]
	v_add_u32_e32 v100, v92, v93
	v_add3_u32 v97, v97, v95, v20
	v_add3_u32 v96, v101, v99, v21
	;; [unrolled: 1-line block ×7, first 2 shown]
	v_cmp_lt_u32_e64 s[48:49], v2, v90
	ds_write_b8 v100, v91 offset:1024
	ds_write_b8 v97, v94 offset:1024
	;; [unrolled: 1-line block ×8, first 2 shown]
	s_waitcnt lgkmcnt(0)
	s_barrier
	s_and_saveexec_b64 s[36:37], s[48:49]
	s_cbranch_execz .LBB86_614
; %bb.607:                              ;   in Loop: Header=BB86_566 Depth=2
	ds_read_u8 v20, v2 offset:1024
	s_waitcnt lgkmcnt(0)
	v_lshrrev_b32_sdwa v21, s69, v20 dst_sel:DWORD dst_unused:UNUSED_PAD src0_sel:DWORD src1_sel:BYTE_0
	v_and_b32_e32 v21, s84, v21
	v_lshlrev_b32_e32 v21, 2, v21
	ds_read_b32 v21, v21
	v_xor_b32_e32 v20, -1, v20
	s_waitcnt lgkmcnt(0)
	v_add_u32_e32 v21, v21, v2
	global_store_byte v21, v20, s[60:61]
	s_or_b64 exec, exec, s[36:37]
	v_cmp_lt_u32_e64 s[46:47], v24, v90
	s_and_saveexec_b64 s[36:37], s[46:47]
	s_cbranch_execnz .LBB86_615
.LBB86_608:                             ;   in Loop: Header=BB86_566 Depth=2
	s_or_b64 exec, exec, s[36:37]
	v_cmp_lt_u32_e64 s[44:45], v25, v90
	s_and_saveexec_b64 s[36:37], s[44:45]
	s_cbranch_execz .LBB86_616
.LBB86_609:                             ;   in Loop: Header=BB86_566 Depth=2
	ds_read_u8 v20, v30 offset:512
	s_waitcnt lgkmcnt(0)
	v_lshrrev_b32_sdwa v21, s69, v20 dst_sel:DWORD dst_unused:UNUSED_PAD src0_sel:DWORD src1_sel:BYTE_0
	v_and_b32_e32 v21, s84, v21
	v_lshlrev_b32_e32 v21, 2, v21
	ds_read_b32 v21, v21
	v_xor_b32_e32 v20, -1, v20
	s_waitcnt lgkmcnt(0)
	v_add_u32_e32 v21, v21, v25
	global_store_byte v21, v20, s[60:61]
	s_or_b64 exec, exec, s[36:37]
	v_cmp_lt_u32_e64 s[42:43], v26, v90
	s_and_saveexec_b64 s[36:37], s[42:43]
	s_cbranch_execnz .LBB86_617
.LBB86_610:                             ;   in Loop: Header=BB86_566 Depth=2
	s_or_b64 exec, exec, s[36:37]
	v_cmp_lt_u32_e64 s[40:41], v30, v90
	s_and_saveexec_b64 s[36:37], s[40:41]
	s_cbranch_execz .LBB86_618
.LBB86_611:                             ;   in Loop: Header=BB86_566 Depth=2
	ds_read_u8 v20, v30 offset:1024
	s_waitcnt lgkmcnt(0)
	v_lshrrev_b32_sdwa v21, s69, v20 dst_sel:DWORD dst_unused:UNUSED_PAD src0_sel:DWORD src1_sel:BYTE_0
	v_and_b32_e32 v21, s84, v21
	v_lshlrev_b32_e32 v21, 2, v21
	ds_read_b32 v21, v21
	v_xor_b32_e32 v20, -1, v20
	s_waitcnt lgkmcnt(0)
	v_add_u32_e32 v21, v21, v30
	global_store_byte v21, v20, s[60:61]
	s_or_b64 exec, exec, s[36:37]
	v_cmp_lt_u32_e64 s[38:39], v31, v90
	s_and_saveexec_b64 s[36:37], s[38:39]
	s_cbranch_execnz .LBB86_619
.LBB86_612:                             ;   in Loop: Header=BB86_566 Depth=2
	s_or_b64 exec, exec, s[36:37]
	v_cmp_lt_u32_e64 s[36:37], v32, v90
	s_and_saveexec_b64 s[52:53], s[36:37]
	s_cbranch_execz .LBB86_620
.LBB86_613:                             ;   in Loop: Header=BB86_566 Depth=2
	ds_read_u8 v20, v30 offset:1536
	s_waitcnt lgkmcnt(0)
	v_lshrrev_b32_sdwa v21, s69, v20 dst_sel:DWORD dst_unused:UNUSED_PAD src0_sel:DWORD src1_sel:BYTE_0
	v_and_b32_e32 v21, s84, v21
	v_lshlrev_b32_e32 v21, 2, v21
	ds_read_b32 v21, v21
	v_xor_b32_e32 v20, -1, v20
	s_waitcnt lgkmcnt(0)
	v_add_u32_e32 v21, v21, v32
	global_store_byte v21, v20, s[60:61]
	s_or_b64 exec, exec, s[52:53]
	v_cmp_lt_u32_e32 vcc, v33, v90
	s_and_saveexec_b64 s[52:53], vcc
	s_cbranch_execnz .LBB86_621
	s_branch .LBB86_622
.LBB86_614:                             ;   in Loop: Header=BB86_566 Depth=2
	s_or_b64 exec, exec, s[36:37]
	v_cmp_lt_u32_e64 s[46:47], v24, v90
	s_and_saveexec_b64 s[36:37], s[46:47]
	s_cbranch_execz .LBB86_608
.LBB86_615:                             ;   in Loop: Header=BB86_566 Depth=2
	ds_read_u8 v20, v30 offset:256
	s_waitcnt lgkmcnt(0)
	v_lshrrev_b32_sdwa v21, s69, v20 dst_sel:DWORD dst_unused:UNUSED_PAD src0_sel:DWORD src1_sel:BYTE_0
	v_and_b32_e32 v21, s84, v21
	v_lshlrev_b32_e32 v21, 2, v21
	ds_read_b32 v21, v21
	v_xor_b32_e32 v20, -1, v20
	s_waitcnt lgkmcnt(0)
	v_add_u32_e32 v21, v21, v24
	global_store_byte v21, v20, s[60:61]
	s_or_b64 exec, exec, s[36:37]
	v_cmp_lt_u32_e64 s[44:45], v25, v90
	s_and_saveexec_b64 s[36:37], s[44:45]
	s_cbranch_execnz .LBB86_609
.LBB86_616:                             ;   in Loop: Header=BB86_566 Depth=2
	s_or_b64 exec, exec, s[36:37]
	v_cmp_lt_u32_e64 s[42:43], v26, v90
	s_and_saveexec_b64 s[36:37], s[42:43]
	s_cbranch_execz .LBB86_610
.LBB86_617:                             ;   in Loop: Header=BB86_566 Depth=2
	ds_read_u8 v20, v30 offset:768
	s_waitcnt lgkmcnt(0)
	v_lshrrev_b32_sdwa v21, s69, v20 dst_sel:DWORD dst_unused:UNUSED_PAD src0_sel:DWORD src1_sel:BYTE_0
	v_and_b32_e32 v21, s84, v21
	v_lshlrev_b32_e32 v21, 2, v21
	ds_read_b32 v21, v21
	v_xor_b32_e32 v20, -1, v20
	s_waitcnt lgkmcnt(0)
	v_add_u32_e32 v21, v21, v26
	global_store_byte v21, v20, s[60:61]
	s_or_b64 exec, exec, s[36:37]
	v_cmp_lt_u32_e64 s[40:41], v30, v90
	s_and_saveexec_b64 s[36:37], s[40:41]
	s_cbranch_execnz .LBB86_611
.LBB86_618:                             ;   in Loop: Header=BB86_566 Depth=2
	s_or_b64 exec, exec, s[36:37]
	v_cmp_lt_u32_e64 s[38:39], v31, v90
	s_and_saveexec_b64 s[36:37], s[38:39]
	s_cbranch_execz .LBB86_612
.LBB86_619:                             ;   in Loop: Header=BB86_566 Depth=2
	ds_read_u8 v20, v30 offset:1280
	s_waitcnt lgkmcnt(0)
	v_lshrrev_b32_sdwa v21, s69, v20 dst_sel:DWORD dst_unused:UNUSED_PAD src0_sel:DWORD src1_sel:BYTE_0
	v_and_b32_e32 v21, s84, v21
	v_lshlrev_b32_e32 v21, 2, v21
	ds_read_b32 v21, v21
	v_xor_b32_e32 v20, -1, v20
	s_waitcnt lgkmcnt(0)
	v_add_u32_e32 v21, v21, v31
	global_store_byte v21, v20, s[60:61]
	s_or_b64 exec, exec, s[36:37]
	v_cmp_lt_u32_e64 s[36:37], v32, v90
	s_and_saveexec_b64 s[52:53], s[36:37]
	s_cbranch_execnz .LBB86_613
.LBB86_620:                             ;   in Loop: Header=BB86_566 Depth=2
	s_or_b64 exec, exec, s[52:53]
	v_cmp_lt_u32_e32 vcc, v33, v90
	s_and_saveexec_b64 s[52:53], vcc
	s_cbranch_execz .LBB86_622
.LBB86_621:                             ;   in Loop: Header=BB86_566 Depth=2
	ds_read_u8 v20, v30 offset:1792
	s_waitcnt lgkmcnt(0)
	v_lshrrev_b32_sdwa v21, s69, v20 dst_sel:DWORD dst_unused:UNUSED_PAD src0_sel:DWORD src1_sel:BYTE_0
	v_and_b32_e32 v21, s84, v21
	v_lshlrev_b32_e32 v21, 2, v21
	ds_read_b32 v21, v21
	v_xor_b32_e32 v20, -1, v20
	s_waitcnt lgkmcnt(0)
	v_add_u32_e32 v21, v21, v33
	global_store_byte v21, v20, s[60:61]
.LBB86_622:                             ;   in Loop: Header=BB86_566 Depth=2
	s_or_b64 exec, exec, s[52:53]
	s_lshl_b64 s[52:53], s[72:73], 3
	v_mov_b32_e32 v21, s53
	v_add_co_u32_e64 v20, s[52:53], s52, v78
	v_addc_co_u32_e64 v21, s[52:53], v79, v21, s[52:53]
	v_cmp_lt_u32_e64 s[52:53], v73, v90
	s_and_saveexec_b64 s[62:63], s[52:53]
	s_xor_b64 s[52:53], exec, s[62:63]
	s_cbranch_execz .LBB86_638
; %bb.623:                              ;   in Loop: Header=BB86_566 Depth=2
	global_load_dwordx2 v[18:19], v[20:21], off
	s_or_b64 exec, exec, s[52:53]
	v_cmp_lt_u32_e64 s[52:53], v80, v90
	s_and_saveexec_b64 s[62:63], s[52:53]
	s_cbranch_execnz .LBB86_639
.LBB86_624:                             ;   in Loop: Header=BB86_566 Depth=2
	s_or_b64 exec, exec, s[62:63]
	v_cmp_lt_u32_e64 s[52:53], v81, v90
	s_and_saveexec_b64 s[62:63], s[52:53]
	s_cbranch_execz .LBB86_640
.LBB86_625:                             ;   in Loop: Header=BB86_566 Depth=2
	global_load_dwordx2 v[14:15], v[20:21], off offset:1024
	s_or_b64 exec, exec, s[62:63]
	v_cmp_lt_u32_e64 s[52:53], v82, v90
	s_and_saveexec_b64 s[62:63], s[52:53]
	s_cbranch_execnz .LBB86_641
.LBB86_626:                             ;   in Loop: Header=BB86_566 Depth=2
	s_or_b64 exec, exec, s[62:63]
	v_cmp_lt_u32_e64 s[52:53], v83, v90
	s_and_saveexec_b64 s[62:63], s[52:53]
	s_cbranch_execz .LBB86_642
.LBB86_627:                             ;   in Loop: Header=BB86_566 Depth=2
	global_load_dwordx2 v[10:11], v[20:21], off offset:2048
	s_or_b64 exec, exec, s[62:63]
	v_cmp_lt_u32_e64 s[52:53], v84, v90
	s_and_saveexec_b64 s[62:63], s[52:53]
	s_cbranch_execnz .LBB86_643
.LBB86_628:                             ;   in Loop: Header=BB86_566 Depth=2
	s_or_b64 exec, exec, s[62:63]
	v_cmp_lt_u32_e64 s[52:53], v85, v90
	s_and_saveexec_b64 s[62:63], s[52:53]
	s_cbranch_execz .LBB86_644
.LBB86_629:                             ;   in Loop: Header=BB86_566 Depth=2
	global_load_dwordx2 v[6:7], v[20:21], off offset:3072
	s_or_b64 exec, exec, s[62:63]
	v_cmp_lt_u32_e64 s[52:53], v86, v90
	s_and_saveexec_b64 s[62:63], s[52:53]
	s_cbranch_execnz .LBB86_645
.LBB86_630:                             ;   in Loop: Header=BB86_566 Depth=2
	s_or_b64 exec, exec, s[62:63]
	s_and_saveexec_b64 s[52:53], s[48:49]
	s_cbranch_execz .LBB86_646
.LBB86_631:                             ;   in Loop: Header=BB86_566 Depth=2
	ds_read_u8 v20, v2 offset:1024
	s_waitcnt lgkmcnt(0)
	v_lshrrev_b32_e32 v20, s69, v20
	v_and_b32_e32 v76, s84, v20
	s_or_b64 exec, exec, s[52:53]
	s_and_saveexec_b64 s[52:53], s[46:47]
	s_cbranch_execnz .LBB86_647
.LBB86_632:                             ;   in Loop: Header=BB86_566 Depth=2
	s_or_b64 exec, exec, s[52:53]
	s_and_saveexec_b64 s[52:53], s[44:45]
	s_cbranch_execz .LBB86_648
.LBB86_633:                             ;   in Loop: Header=BB86_566 Depth=2
	ds_read_u8 v20, v30 offset:512
	s_waitcnt lgkmcnt(0)
	v_lshrrev_b32_e32 v20, s69, v20
	v_and_b32_e32 v72, s84, v20
	s_or_b64 exec, exec, s[52:53]
	s_and_saveexec_b64 s[52:53], s[42:43]
	s_cbranch_execnz .LBB86_649
.LBB86_634:                             ;   in Loop: Header=BB86_566 Depth=2
	s_or_b64 exec, exec, s[52:53]
	s_and_saveexec_b64 s[52:53], s[40:41]
	s_cbranch_execz .LBB86_650
.LBB86_635:                             ;   in Loop: Header=BB86_566 Depth=2
	ds_read_u8 v20, v30 offset:1024
	s_waitcnt lgkmcnt(0)
	v_lshrrev_b32_e32 v20, s69, v20
	v_and_b32_e32 v70, s84, v20
	s_or_b64 exec, exec, s[52:53]
	s_and_saveexec_b64 s[52:53], s[38:39]
	s_cbranch_execnz .LBB86_651
.LBB86_636:                             ;   in Loop: Header=BB86_566 Depth=2
	s_or_b64 exec, exec, s[52:53]
	s_and_saveexec_b64 s[52:53], s[36:37]
	s_cbranch_execz .LBB86_652
.LBB86_637:                             ;   in Loop: Header=BB86_566 Depth=2
	ds_read_u8 v20, v30 offset:1536
	s_waitcnt lgkmcnt(0)
	v_lshrrev_b32_e32 v20, s69, v20
	v_and_b32_e32 v68, s84, v20
	s_or_b64 exec, exec, s[52:53]
	s_and_saveexec_b64 s[52:53], vcc
	s_cbranch_execnz .LBB86_653
	s_branch .LBB86_654
.LBB86_638:                             ;   in Loop: Header=BB86_566 Depth=2
	s_or_b64 exec, exec, s[52:53]
	v_cmp_lt_u32_e64 s[52:53], v80, v90
	s_and_saveexec_b64 s[62:63], s[52:53]
	s_cbranch_execz .LBB86_624
.LBB86_639:                             ;   in Loop: Header=BB86_566 Depth=2
	global_load_dwordx2 v[16:17], v[20:21], off offset:512
	s_or_b64 exec, exec, s[62:63]
	v_cmp_lt_u32_e64 s[52:53], v81, v90
	s_and_saveexec_b64 s[62:63], s[52:53]
	s_cbranch_execnz .LBB86_625
.LBB86_640:                             ;   in Loop: Header=BB86_566 Depth=2
	s_or_b64 exec, exec, s[62:63]
	v_cmp_lt_u32_e64 s[52:53], v82, v90
	s_and_saveexec_b64 s[62:63], s[52:53]
	s_cbranch_execz .LBB86_626
.LBB86_641:                             ;   in Loop: Header=BB86_566 Depth=2
	global_load_dwordx2 v[12:13], v[20:21], off offset:1536
	s_or_b64 exec, exec, s[62:63]
	v_cmp_lt_u32_e64 s[52:53], v83, v90
	s_and_saveexec_b64 s[62:63], s[52:53]
	s_cbranch_execnz .LBB86_627
.LBB86_642:                             ;   in Loop: Header=BB86_566 Depth=2
	s_or_b64 exec, exec, s[62:63]
	v_cmp_lt_u32_e64 s[52:53], v84, v90
	s_and_saveexec_b64 s[62:63], s[52:53]
	s_cbranch_execz .LBB86_628
.LBB86_643:                             ;   in Loop: Header=BB86_566 Depth=2
	global_load_dwordx2 v[8:9], v[20:21], off offset:2560
	s_or_b64 exec, exec, s[62:63]
	v_cmp_lt_u32_e64 s[52:53], v85, v90
	s_and_saveexec_b64 s[62:63], s[52:53]
	s_cbranch_execnz .LBB86_629
.LBB86_644:                             ;   in Loop: Header=BB86_566 Depth=2
	s_or_b64 exec, exec, s[62:63]
	v_cmp_lt_u32_e64 s[52:53], v86, v90
	s_and_saveexec_b64 s[62:63], s[52:53]
	s_cbranch_execz .LBB86_630
.LBB86_645:                             ;   in Loop: Header=BB86_566 Depth=2
	global_load_dwordx2 v[0:1], v[20:21], off offset:3584
	s_or_b64 exec, exec, s[62:63]
	s_and_saveexec_b64 s[52:53], s[48:49]
	s_cbranch_execnz .LBB86_631
.LBB86_646:                             ;   in Loop: Header=BB86_566 Depth=2
	s_or_b64 exec, exec, s[52:53]
	s_and_saveexec_b64 s[52:53], s[46:47]
	s_cbranch_execz .LBB86_632
.LBB86_647:                             ;   in Loop: Header=BB86_566 Depth=2
	ds_read_u8 v20, v30 offset:256
	s_waitcnt lgkmcnt(0)
	v_lshrrev_b32_e32 v20, s69, v20
	v_and_b32_e32 v74, s84, v20
	s_or_b64 exec, exec, s[52:53]
	s_and_saveexec_b64 s[52:53], s[44:45]
	s_cbranch_execnz .LBB86_633
.LBB86_648:                             ;   in Loop: Header=BB86_566 Depth=2
	s_or_b64 exec, exec, s[52:53]
	s_and_saveexec_b64 s[52:53], s[42:43]
	s_cbranch_execz .LBB86_634
.LBB86_649:                             ;   in Loop: Header=BB86_566 Depth=2
	ds_read_u8 v20, v30 offset:768
	s_waitcnt lgkmcnt(0)
	v_lshrrev_b32_e32 v20, s69, v20
	v_and_b32_e32 v71, s84, v20
	s_or_b64 exec, exec, s[52:53]
	s_and_saveexec_b64 s[52:53], s[40:41]
	s_cbranch_execnz .LBB86_635
.LBB86_650:                             ;   in Loop: Header=BB86_566 Depth=2
	s_or_b64 exec, exec, s[52:53]
	s_and_saveexec_b64 s[52:53], s[38:39]
	s_cbranch_execz .LBB86_636
.LBB86_651:                             ;   in Loop: Header=BB86_566 Depth=2
	ds_read_u8 v20, v30 offset:1280
	s_waitcnt lgkmcnt(0)
	v_lshrrev_b32_e32 v20, s69, v20
	v_and_b32_e32 v69, s84, v20
	s_or_b64 exec, exec, s[52:53]
	s_and_saveexec_b64 s[52:53], s[36:37]
	s_cbranch_execnz .LBB86_637
.LBB86_652:                             ;   in Loop: Header=BB86_566 Depth=2
	s_or_b64 exec, exec, s[52:53]
	s_and_saveexec_b64 s[52:53], vcc
	s_cbranch_execz .LBB86_654
.LBB86_653:                             ;   in Loop: Header=BB86_566 Depth=2
	ds_read_u8 v20, v30 offset:1792
	s_waitcnt lgkmcnt(0)
	v_lshrrev_b32_e32 v20, s69, v20
	v_and_b32_e32 v67, s84, v20
.LBB86_654:                             ;   in Loop: Header=BB86_566 Depth=2
	s_or_b64 exec, exec, s[52:53]
	v_lshlrev_b32_e32 v20, 3, v100
	s_barrier
	s_waitcnt vmcnt(0)
	ds_write_b64 v20, v[18:19] offset:1024
	v_lshlrev_b32_e32 v20, 3, v97
	ds_write_b64 v20, v[16:17] offset:1024
	v_lshlrev_b32_e32 v20, 3, v96
	;; [unrolled: 2-line block ×7, first 2 shown]
	ds_write_b64 v20, v[0:1] offset:1024
	s_waitcnt lgkmcnt(0)
	s_barrier
	s_and_saveexec_b64 s[52:53], s[48:49]
	s_cbranch_execz .LBB86_662
; %bb.655:                              ;   in Loop: Header=BB86_566 Depth=2
	v_lshlrev_b32_e32 v20, 2, v76
	ds_read_b32 v22, v20
	v_add_u32_e32 v20, v2, v50
	ds_read_b64 v[20:21], v20 offset:1024
	v_mov_b32_e32 v23, v4
	v_mov_b32_e32 v90, s67
	s_waitcnt lgkmcnt(1)
	v_add_u32_e32 v22, v22, v2
	v_lshlrev_b64 v[22:23], 3, v[22:23]
	v_add_co_u32_e64 v22, s[48:49], s66, v22
	v_addc_co_u32_e64 v23, s[48:49], v90, v23, s[48:49]
	s_waitcnt lgkmcnt(0)
	global_store_dwordx2 v[22:23], v[20:21], off
	s_or_b64 exec, exec, s[52:53]
	v_add_u32_e32 v20, v30, v50
	s_and_saveexec_b64 s[48:49], s[46:47]
	s_cbranch_execnz .LBB86_663
.LBB86_656:                             ;   in Loop: Header=BB86_566 Depth=2
	s_or_b64 exec, exec, s[48:49]
	s_and_saveexec_b64 s[46:47], s[44:45]
	s_cbranch_execz .LBB86_664
.LBB86_657:                             ;   in Loop: Header=BB86_566 Depth=2
	v_lshlrev_b32_e32 v21, 2, v72
	ds_read_b32 v21, v21
	ds_read_b64 v[22:23], v20 offset:4096
	v_mov_b32_e32 v91, v4
	v_mov_b32_e32 v92, s67
	s_waitcnt lgkmcnt(1)
	v_add_u32_e32 v90, v21, v25
	v_lshlrev_b64 v[90:91], 3, v[90:91]
	v_add_co_u32_e64 v90, s[44:45], s66, v90
	v_addc_co_u32_e64 v91, s[44:45], v92, v91, s[44:45]
	s_waitcnt lgkmcnt(0)
	global_store_dwordx2 v[90:91], v[22:23], off
	s_or_b64 exec, exec, s[46:47]
	s_and_saveexec_b64 s[44:45], s[42:43]
	s_cbranch_execnz .LBB86_665
.LBB86_658:                             ;   in Loop: Header=BB86_566 Depth=2
	s_or_b64 exec, exec, s[44:45]
	s_and_saveexec_b64 s[42:43], s[40:41]
	s_cbranch_execz .LBB86_666
.LBB86_659:                             ;   in Loop: Header=BB86_566 Depth=2
	v_lshlrev_b32_e32 v21, 2, v70
	ds_read_b32 v21, v21
	ds_read_b64 v[22:23], v20 offset:8192
	v_mov_b32_e32 v91, v4
	v_mov_b32_e32 v92, s67
	s_waitcnt lgkmcnt(1)
	v_add_u32_e32 v90, v21, v30
	v_lshlrev_b64 v[90:91], 3, v[90:91]
	v_add_co_u32_e64 v90, s[40:41], s66, v90
	v_addc_co_u32_e64 v91, s[40:41], v92, v91, s[40:41]
	s_waitcnt lgkmcnt(0)
	global_store_dwordx2 v[90:91], v[22:23], off
	s_or_b64 exec, exec, s[42:43]
	s_and_saveexec_b64 s[40:41], s[38:39]
	s_cbranch_execnz .LBB86_667
.LBB86_660:                             ;   in Loop: Header=BB86_566 Depth=2
	s_or_b64 exec, exec, s[40:41]
	s_and_saveexec_b64 s[38:39], s[36:37]
	s_cbranch_execz .LBB86_668
.LBB86_661:                             ;   in Loop: Header=BB86_566 Depth=2
	v_lshlrev_b32_e32 v21, 2, v68
	ds_read_b32 v21, v21
	ds_read_b64 v[22:23], v20 offset:12288
	v_mov_b32_e32 v91, v4
	v_mov_b32_e32 v92, s67
	s_waitcnt lgkmcnt(1)
	v_add_u32_e32 v90, v21, v32
	v_lshlrev_b64 v[90:91], 3, v[90:91]
	v_add_co_u32_e64 v90, s[36:37], s66, v90
	v_addc_co_u32_e64 v91, s[36:37], v92, v91, s[36:37]
	s_waitcnt lgkmcnt(0)
	global_store_dwordx2 v[90:91], v[22:23], off
	s_or_b64 exec, exec, s[38:39]
	s_and_saveexec_b64 s[36:37], vcc
	s_cbranch_execnz .LBB86_669
	s_branch .LBB86_670
.LBB86_662:                             ;   in Loop: Header=BB86_566 Depth=2
	s_or_b64 exec, exec, s[52:53]
	v_add_u32_e32 v20, v30, v50
	s_and_saveexec_b64 s[48:49], s[46:47]
	s_cbranch_execz .LBB86_656
.LBB86_663:                             ;   in Loop: Header=BB86_566 Depth=2
	v_lshlrev_b32_e32 v21, 2, v74
	ds_read_b32 v21, v21
	ds_read_b64 v[22:23], v20 offset:2048
	v_mov_b32_e32 v91, v4
	v_mov_b32_e32 v92, s67
	s_waitcnt lgkmcnt(1)
	v_add_u32_e32 v90, v21, v24
	v_lshlrev_b64 v[90:91], 3, v[90:91]
	v_add_co_u32_e64 v90, s[46:47], s66, v90
	v_addc_co_u32_e64 v91, s[46:47], v92, v91, s[46:47]
	s_waitcnt lgkmcnt(0)
	global_store_dwordx2 v[90:91], v[22:23], off
	s_or_b64 exec, exec, s[48:49]
	s_and_saveexec_b64 s[46:47], s[44:45]
	s_cbranch_execnz .LBB86_657
.LBB86_664:                             ;   in Loop: Header=BB86_566 Depth=2
	s_or_b64 exec, exec, s[46:47]
	s_and_saveexec_b64 s[44:45], s[42:43]
	s_cbranch_execz .LBB86_658
.LBB86_665:                             ;   in Loop: Header=BB86_566 Depth=2
	v_lshlrev_b32_e32 v21, 2, v71
	ds_read_b32 v21, v21
	ds_read_b64 v[22:23], v20 offset:6144
	v_mov_b32_e32 v91, v4
	v_mov_b32_e32 v92, s67
	s_waitcnt lgkmcnt(1)
	v_add_u32_e32 v90, v21, v26
	v_lshlrev_b64 v[90:91], 3, v[90:91]
	v_add_co_u32_e64 v90, s[42:43], s66, v90
	v_addc_co_u32_e64 v91, s[42:43], v92, v91, s[42:43]
	s_waitcnt lgkmcnt(0)
	global_store_dwordx2 v[90:91], v[22:23], off
	s_or_b64 exec, exec, s[44:45]
	s_and_saveexec_b64 s[42:43], s[40:41]
	s_cbranch_execnz .LBB86_659
.LBB86_666:                             ;   in Loop: Header=BB86_566 Depth=2
	s_or_b64 exec, exec, s[42:43]
	s_and_saveexec_b64 s[40:41], s[38:39]
	s_cbranch_execz .LBB86_660
.LBB86_667:                             ;   in Loop: Header=BB86_566 Depth=2
	v_lshlrev_b32_e32 v21, 2, v69
	ds_read_b32 v21, v21
	ds_read_b64 v[22:23], v20 offset:10240
	v_mov_b32_e32 v91, v4
	v_mov_b32_e32 v92, s67
	s_waitcnt lgkmcnt(1)
	v_add_u32_e32 v90, v21, v31
	v_lshlrev_b64 v[90:91], 3, v[90:91]
	v_add_co_u32_e64 v90, s[38:39], s66, v90
	v_addc_co_u32_e64 v91, s[38:39], v92, v91, s[38:39]
	s_waitcnt lgkmcnt(0)
	global_store_dwordx2 v[90:91], v[22:23], off
	s_or_b64 exec, exec, s[40:41]
	s_and_saveexec_b64 s[38:39], s[36:37]
	s_cbranch_execnz .LBB86_661
.LBB86_668:                             ;   in Loop: Header=BB86_566 Depth=2
	s_or_b64 exec, exec, s[38:39]
	s_and_saveexec_b64 s[36:37], vcc
	s_cbranch_execz .LBB86_670
.LBB86_669:                             ;   in Loop: Header=BB86_566 Depth=2
	v_lshlrev_b32_e32 v21, 2, v67
	ds_read_b32 v22, v21
	ds_read_b64 v[20:21], v20 offset:14336
	v_mov_b32_e32 v23, v4
	v_mov_b32_e32 v90, s67
	s_waitcnt lgkmcnt(1)
	v_add_u32_e32 v22, v22, v33
	v_lshlrev_b64 v[22:23], 3, v[22:23]
	v_add_co_u32_e32 v22, vcc, s66, v22
	v_addc_co_u32_e32 v23, vcc, v90, v23, vcc
	s_waitcnt lgkmcnt(0)
	global_store_dwordx2 v[22:23], v[20:21], off
.LBB86_670:                             ;   in Loop: Header=BB86_566 Depth=2
	s_or_b64 exec, exec, s[36:37]
	s_barrier
	s_and_saveexec_b64 s[36:37], s[4:5]
	s_cbranch_execz .LBB86_565
; %bb.671:                              ;   in Loop: Header=BB86_566 Depth=2
	ds_read_b32 v20, v3
	s_waitcnt lgkmcnt(0)
	v_add_u32_e32 v5, v20, v5
	ds_write_b32 v3, v5
	s_branch .LBB86_565
.LBB86_672:                             ;   in Loop: Header=BB86_566 Depth=2
	s_or_b64 exec, exec, s[36:37]
	v_cmp_gt_u32_e32 vcc, s85, v80
	s_and_saveexec_b64 s[36:37], vcc
	s_cbranch_execz .LBB86_571
.LBB86_673:                             ;   in Loop: Header=BB86_566 Depth=2
	global_load_ubyte v5, v[22:23], off offset:64
	s_waitcnt vmcnt(0)
	v_perm_b32 v20, v20, v5, s78
	s_or_b64 exec, exec, s[36:37]
	v_cmp_gt_u32_e32 vcc, s85, v81
	s_and_saveexec_b64 s[36:37], vcc
	s_cbranch_execnz .LBB86_572
.LBB86_674:                             ;   in Loop: Header=BB86_566 Depth=2
	s_or_b64 exec, exec, s[36:37]
	v_cmp_gt_u32_e32 vcc, s85, v82
	s_and_saveexec_b64 s[36:37], vcc
	s_cbranch_execz .LBB86_573
.LBB86_675:                             ;   in Loop: Header=BB86_566 Depth=2
	global_load_ubyte v5, v[22:23], off offset:192
	v_and_b32_sdwa v90, v20, s68 dst_sel:DWORD dst_unused:UNUSED_PAD src0_sel:WORD_1 src1_sel:DWORD
	s_waitcnt vmcnt(0)
	v_lshlrev_b16_e32 v5, 8, v5
	v_or_b32_sdwa v5, v90, v5 dst_sel:WORD_1 dst_unused:UNUSED_PAD src0_sel:DWORD src1_sel:DWORD
	v_and_or_b32 v20, v20, s77, v5
	s_or_b64 exec, exec, s[36:37]
	v_cmp_gt_u32_e32 vcc, s85, v83
	s_and_saveexec_b64 s[36:37], vcc
	s_cbranch_execnz .LBB86_574
.LBB86_676:                             ;   in Loop: Header=BB86_566 Depth=2
	s_or_b64 exec, exec, s[36:37]
	v_cmp_gt_u32_e32 vcc, s85, v84
	s_and_saveexec_b64 s[36:37], vcc
	s_cbranch_execz .LBB86_575
.LBB86_677:                             ;   in Loop: Header=BB86_566 Depth=2
	global_load_ubyte v5, v[22:23], off offset:320
	s_waitcnt vmcnt(0)
	v_perm_b32 v21, v21, v5, s78
	s_or_b64 exec, exec, s[36:37]
	v_cmp_gt_u32_e32 vcc, s85, v85
	s_and_saveexec_b64 s[36:37], vcc
	s_cbranch_execnz .LBB86_576
	s_branch .LBB86_577
.LBB86_678:
	s_endpgm
	.section	.rodata,"a",@progbits
	.p2align	6, 0x0
	.amdhsa_kernel _ZN7rocprim17ROCPRIM_400000_NS6detail17trampoline_kernelINS0_14default_configENS1_36segmented_radix_sort_config_selectorIhlEEZNS1_25segmented_radix_sort_implIS3_Lb1EPKhPhPKlPlN2at6native12_GLOBAL__N_18offset_tEEE10hipError_tPvRmT1_PNSt15iterator_traitsISK_E10value_typeET2_T3_PNSL_ISQ_E10value_typeET4_jRbjT5_SW_jjP12ihipStream_tbEUlT_E_NS1_11comp_targetILNS1_3genE4ELNS1_11target_archE910ELNS1_3gpuE8ELNS1_3repE0EEENS1_30default_config_static_selectorELNS0_4arch9wavefront6targetE1EEEvSK_
		.amdhsa_group_segment_fixed_size 17424
		.amdhsa_private_segment_fixed_size 8
		.amdhsa_kernarg_size 352
		.amdhsa_user_sgpr_count 8
		.amdhsa_user_sgpr_private_segment_buffer 1
		.amdhsa_user_sgpr_dispatch_ptr 0
		.amdhsa_user_sgpr_queue_ptr 0
		.amdhsa_user_sgpr_kernarg_segment_ptr 1
		.amdhsa_user_sgpr_dispatch_id 0
		.amdhsa_user_sgpr_flat_scratch_init 1
		.amdhsa_user_sgpr_kernarg_preload_length 0
		.amdhsa_user_sgpr_kernarg_preload_offset 0
		.amdhsa_user_sgpr_private_segment_size 0
		.amdhsa_uses_dynamic_stack 0
		.amdhsa_system_sgpr_private_segment_wavefront_offset 1
		.amdhsa_system_sgpr_workgroup_id_x 1
		.amdhsa_system_sgpr_workgroup_id_y 1
		.amdhsa_system_sgpr_workgroup_id_z 0
		.amdhsa_system_sgpr_workgroup_info 0
		.amdhsa_system_vgpr_workitem_id 2
		.amdhsa_next_free_vgpr 168
		.amdhsa_next_free_sgpr 87
		.amdhsa_accum_offset 168
		.amdhsa_reserve_vcc 1
		.amdhsa_reserve_flat_scratch 1
		.amdhsa_float_round_mode_32 0
		.amdhsa_float_round_mode_16_64 0
		.amdhsa_float_denorm_mode_32 3
		.amdhsa_float_denorm_mode_16_64 3
		.amdhsa_dx10_clamp 1
		.amdhsa_ieee_mode 1
		.amdhsa_fp16_overflow 0
		.amdhsa_tg_split 0
		.amdhsa_exception_fp_ieee_invalid_op 0
		.amdhsa_exception_fp_denorm_src 0
		.amdhsa_exception_fp_ieee_div_zero 0
		.amdhsa_exception_fp_ieee_overflow 0
		.amdhsa_exception_fp_ieee_underflow 0
		.amdhsa_exception_fp_ieee_inexact 0
		.amdhsa_exception_int_div_zero 0
	.end_amdhsa_kernel
	.section	.text._ZN7rocprim17ROCPRIM_400000_NS6detail17trampoline_kernelINS0_14default_configENS1_36segmented_radix_sort_config_selectorIhlEEZNS1_25segmented_radix_sort_implIS3_Lb1EPKhPhPKlPlN2at6native12_GLOBAL__N_18offset_tEEE10hipError_tPvRmT1_PNSt15iterator_traitsISK_E10value_typeET2_T3_PNSL_ISQ_E10value_typeET4_jRbjT5_SW_jjP12ihipStream_tbEUlT_E_NS1_11comp_targetILNS1_3genE4ELNS1_11target_archE910ELNS1_3gpuE8ELNS1_3repE0EEENS1_30default_config_static_selectorELNS0_4arch9wavefront6targetE1EEEvSK_,"axG",@progbits,_ZN7rocprim17ROCPRIM_400000_NS6detail17trampoline_kernelINS0_14default_configENS1_36segmented_radix_sort_config_selectorIhlEEZNS1_25segmented_radix_sort_implIS3_Lb1EPKhPhPKlPlN2at6native12_GLOBAL__N_18offset_tEEE10hipError_tPvRmT1_PNSt15iterator_traitsISK_E10value_typeET2_T3_PNSL_ISQ_E10value_typeET4_jRbjT5_SW_jjP12ihipStream_tbEUlT_E_NS1_11comp_targetILNS1_3genE4ELNS1_11target_archE910ELNS1_3gpuE8ELNS1_3repE0EEENS1_30default_config_static_selectorELNS0_4arch9wavefront6targetE1EEEvSK_,comdat
.Lfunc_end86:
	.size	_ZN7rocprim17ROCPRIM_400000_NS6detail17trampoline_kernelINS0_14default_configENS1_36segmented_radix_sort_config_selectorIhlEEZNS1_25segmented_radix_sort_implIS3_Lb1EPKhPhPKlPlN2at6native12_GLOBAL__N_18offset_tEEE10hipError_tPvRmT1_PNSt15iterator_traitsISK_E10value_typeET2_T3_PNSL_ISQ_E10value_typeET4_jRbjT5_SW_jjP12ihipStream_tbEUlT_E_NS1_11comp_targetILNS1_3genE4ELNS1_11target_archE910ELNS1_3gpuE8ELNS1_3repE0EEENS1_30default_config_static_selectorELNS0_4arch9wavefront6targetE1EEEvSK_, .Lfunc_end86-_ZN7rocprim17ROCPRIM_400000_NS6detail17trampoline_kernelINS0_14default_configENS1_36segmented_radix_sort_config_selectorIhlEEZNS1_25segmented_radix_sort_implIS3_Lb1EPKhPhPKlPlN2at6native12_GLOBAL__N_18offset_tEEE10hipError_tPvRmT1_PNSt15iterator_traitsISK_E10value_typeET2_T3_PNSL_ISQ_E10value_typeET4_jRbjT5_SW_jjP12ihipStream_tbEUlT_E_NS1_11comp_targetILNS1_3genE4ELNS1_11target_archE910ELNS1_3gpuE8ELNS1_3repE0EEENS1_30default_config_static_selectorELNS0_4arch9wavefront6targetE1EEEvSK_
                                        ; -- End function
	.section	.AMDGPU.csdata,"",@progbits
; Kernel info:
; codeLenInByte = 36124
; NumSgprs: 93
; NumVgprs: 168
; NumAgprs: 0
; TotalNumVgprs: 168
; ScratchSize: 8
; MemoryBound: 0
; FloatMode: 240
; IeeeMode: 1
; LDSByteSize: 17424 bytes/workgroup (compile time only)
; SGPRBlocks: 11
; VGPRBlocks: 20
; NumSGPRsForWavesPerEU: 93
; NumVGPRsForWavesPerEU: 168
; AccumOffset: 168
; Occupancy: 3
; WaveLimiterHint : 1
; COMPUTE_PGM_RSRC2:SCRATCH_EN: 1
; COMPUTE_PGM_RSRC2:USER_SGPR: 8
; COMPUTE_PGM_RSRC2:TRAP_HANDLER: 0
; COMPUTE_PGM_RSRC2:TGID_X_EN: 1
; COMPUTE_PGM_RSRC2:TGID_Y_EN: 1
; COMPUTE_PGM_RSRC2:TGID_Z_EN: 0
; COMPUTE_PGM_RSRC2:TIDIG_COMP_CNT: 2
; COMPUTE_PGM_RSRC3_GFX90A:ACCUM_OFFSET: 41
; COMPUTE_PGM_RSRC3_GFX90A:TG_SPLIT: 0
	.section	.text._ZN7rocprim17ROCPRIM_400000_NS6detail17trampoline_kernelINS0_14default_configENS1_36segmented_radix_sort_config_selectorIhlEEZNS1_25segmented_radix_sort_implIS3_Lb1EPKhPhPKlPlN2at6native12_GLOBAL__N_18offset_tEEE10hipError_tPvRmT1_PNSt15iterator_traitsISK_E10value_typeET2_T3_PNSL_ISQ_E10value_typeET4_jRbjT5_SW_jjP12ihipStream_tbEUlT_E_NS1_11comp_targetILNS1_3genE3ELNS1_11target_archE908ELNS1_3gpuE7ELNS1_3repE0EEENS1_30default_config_static_selectorELNS0_4arch9wavefront6targetE1EEEvSK_,"axG",@progbits,_ZN7rocprim17ROCPRIM_400000_NS6detail17trampoline_kernelINS0_14default_configENS1_36segmented_radix_sort_config_selectorIhlEEZNS1_25segmented_radix_sort_implIS3_Lb1EPKhPhPKlPlN2at6native12_GLOBAL__N_18offset_tEEE10hipError_tPvRmT1_PNSt15iterator_traitsISK_E10value_typeET2_T3_PNSL_ISQ_E10value_typeET4_jRbjT5_SW_jjP12ihipStream_tbEUlT_E_NS1_11comp_targetILNS1_3genE3ELNS1_11target_archE908ELNS1_3gpuE7ELNS1_3repE0EEENS1_30default_config_static_selectorELNS0_4arch9wavefront6targetE1EEEvSK_,comdat
	.globl	_ZN7rocprim17ROCPRIM_400000_NS6detail17trampoline_kernelINS0_14default_configENS1_36segmented_radix_sort_config_selectorIhlEEZNS1_25segmented_radix_sort_implIS3_Lb1EPKhPhPKlPlN2at6native12_GLOBAL__N_18offset_tEEE10hipError_tPvRmT1_PNSt15iterator_traitsISK_E10value_typeET2_T3_PNSL_ISQ_E10value_typeET4_jRbjT5_SW_jjP12ihipStream_tbEUlT_E_NS1_11comp_targetILNS1_3genE3ELNS1_11target_archE908ELNS1_3gpuE7ELNS1_3repE0EEENS1_30default_config_static_selectorELNS0_4arch9wavefront6targetE1EEEvSK_ ; -- Begin function _ZN7rocprim17ROCPRIM_400000_NS6detail17trampoline_kernelINS0_14default_configENS1_36segmented_radix_sort_config_selectorIhlEEZNS1_25segmented_radix_sort_implIS3_Lb1EPKhPhPKlPlN2at6native12_GLOBAL__N_18offset_tEEE10hipError_tPvRmT1_PNSt15iterator_traitsISK_E10value_typeET2_T3_PNSL_ISQ_E10value_typeET4_jRbjT5_SW_jjP12ihipStream_tbEUlT_E_NS1_11comp_targetILNS1_3genE3ELNS1_11target_archE908ELNS1_3gpuE7ELNS1_3repE0EEENS1_30default_config_static_selectorELNS0_4arch9wavefront6targetE1EEEvSK_
	.p2align	8
	.type	_ZN7rocprim17ROCPRIM_400000_NS6detail17trampoline_kernelINS0_14default_configENS1_36segmented_radix_sort_config_selectorIhlEEZNS1_25segmented_radix_sort_implIS3_Lb1EPKhPhPKlPlN2at6native12_GLOBAL__N_18offset_tEEE10hipError_tPvRmT1_PNSt15iterator_traitsISK_E10value_typeET2_T3_PNSL_ISQ_E10value_typeET4_jRbjT5_SW_jjP12ihipStream_tbEUlT_E_NS1_11comp_targetILNS1_3genE3ELNS1_11target_archE908ELNS1_3gpuE7ELNS1_3repE0EEENS1_30default_config_static_selectorELNS0_4arch9wavefront6targetE1EEEvSK_,@function
_ZN7rocprim17ROCPRIM_400000_NS6detail17trampoline_kernelINS0_14default_configENS1_36segmented_radix_sort_config_selectorIhlEEZNS1_25segmented_radix_sort_implIS3_Lb1EPKhPhPKlPlN2at6native12_GLOBAL__N_18offset_tEEE10hipError_tPvRmT1_PNSt15iterator_traitsISK_E10value_typeET2_T3_PNSL_ISQ_E10value_typeET4_jRbjT5_SW_jjP12ihipStream_tbEUlT_E_NS1_11comp_targetILNS1_3genE3ELNS1_11target_archE908ELNS1_3gpuE7ELNS1_3repE0EEENS1_30default_config_static_selectorELNS0_4arch9wavefront6targetE1EEEvSK_: ; @_ZN7rocprim17ROCPRIM_400000_NS6detail17trampoline_kernelINS0_14default_configENS1_36segmented_radix_sort_config_selectorIhlEEZNS1_25segmented_radix_sort_implIS3_Lb1EPKhPhPKlPlN2at6native12_GLOBAL__N_18offset_tEEE10hipError_tPvRmT1_PNSt15iterator_traitsISK_E10value_typeET2_T3_PNSL_ISQ_E10value_typeET4_jRbjT5_SW_jjP12ihipStream_tbEUlT_E_NS1_11comp_targetILNS1_3genE3ELNS1_11target_archE908ELNS1_3gpuE7ELNS1_3repE0EEENS1_30default_config_static_selectorELNS0_4arch9wavefront6targetE1EEEvSK_
; %bb.0:
	.section	.rodata,"a",@progbits
	.p2align	6, 0x0
	.amdhsa_kernel _ZN7rocprim17ROCPRIM_400000_NS6detail17trampoline_kernelINS0_14default_configENS1_36segmented_radix_sort_config_selectorIhlEEZNS1_25segmented_radix_sort_implIS3_Lb1EPKhPhPKlPlN2at6native12_GLOBAL__N_18offset_tEEE10hipError_tPvRmT1_PNSt15iterator_traitsISK_E10value_typeET2_T3_PNSL_ISQ_E10value_typeET4_jRbjT5_SW_jjP12ihipStream_tbEUlT_E_NS1_11comp_targetILNS1_3genE3ELNS1_11target_archE908ELNS1_3gpuE7ELNS1_3repE0EEENS1_30default_config_static_selectorELNS0_4arch9wavefront6targetE1EEEvSK_
		.amdhsa_group_segment_fixed_size 0
		.amdhsa_private_segment_fixed_size 0
		.amdhsa_kernarg_size 96
		.amdhsa_user_sgpr_count 6
		.amdhsa_user_sgpr_private_segment_buffer 1
		.amdhsa_user_sgpr_dispatch_ptr 0
		.amdhsa_user_sgpr_queue_ptr 0
		.amdhsa_user_sgpr_kernarg_segment_ptr 1
		.amdhsa_user_sgpr_dispatch_id 0
		.amdhsa_user_sgpr_flat_scratch_init 0
		.amdhsa_user_sgpr_kernarg_preload_length 0
		.amdhsa_user_sgpr_kernarg_preload_offset 0
		.amdhsa_user_sgpr_private_segment_size 0
		.amdhsa_uses_dynamic_stack 0
		.amdhsa_system_sgpr_private_segment_wavefront_offset 0
		.amdhsa_system_sgpr_workgroup_id_x 1
		.amdhsa_system_sgpr_workgroup_id_y 0
		.amdhsa_system_sgpr_workgroup_id_z 0
		.amdhsa_system_sgpr_workgroup_info 0
		.amdhsa_system_vgpr_workitem_id 0
		.amdhsa_next_free_vgpr 1
		.amdhsa_next_free_sgpr 0
		.amdhsa_accum_offset 4
		.amdhsa_reserve_vcc 0
		.amdhsa_reserve_flat_scratch 0
		.amdhsa_float_round_mode_32 0
		.amdhsa_float_round_mode_16_64 0
		.amdhsa_float_denorm_mode_32 3
		.amdhsa_float_denorm_mode_16_64 3
		.amdhsa_dx10_clamp 1
		.amdhsa_ieee_mode 1
		.amdhsa_fp16_overflow 0
		.amdhsa_tg_split 0
		.amdhsa_exception_fp_ieee_invalid_op 0
		.amdhsa_exception_fp_denorm_src 0
		.amdhsa_exception_fp_ieee_div_zero 0
		.amdhsa_exception_fp_ieee_overflow 0
		.amdhsa_exception_fp_ieee_underflow 0
		.amdhsa_exception_fp_ieee_inexact 0
		.amdhsa_exception_int_div_zero 0
	.end_amdhsa_kernel
	.section	.text._ZN7rocprim17ROCPRIM_400000_NS6detail17trampoline_kernelINS0_14default_configENS1_36segmented_radix_sort_config_selectorIhlEEZNS1_25segmented_radix_sort_implIS3_Lb1EPKhPhPKlPlN2at6native12_GLOBAL__N_18offset_tEEE10hipError_tPvRmT1_PNSt15iterator_traitsISK_E10value_typeET2_T3_PNSL_ISQ_E10value_typeET4_jRbjT5_SW_jjP12ihipStream_tbEUlT_E_NS1_11comp_targetILNS1_3genE3ELNS1_11target_archE908ELNS1_3gpuE7ELNS1_3repE0EEENS1_30default_config_static_selectorELNS0_4arch9wavefront6targetE1EEEvSK_,"axG",@progbits,_ZN7rocprim17ROCPRIM_400000_NS6detail17trampoline_kernelINS0_14default_configENS1_36segmented_radix_sort_config_selectorIhlEEZNS1_25segmented_radix_sort_implIS3_Lb1EPKhPhPKlPlN2at6native12_GLOBAL__N_18offset_tEEE10hipError_tPvRmT1_PNSt15iterator_traitsISK_E10value_typeET2_T3_PNSL_ISQ_E10value_typeET4_jRbjT5_SW_jjP12ihipStream_tbEUlT_E_NS1_11comp_targetILNS1_3genE3ELNS1_11target_archE908ELNS1_3gpuE7ELNS1_3repE0EEENS1_30default_config_static_selectorELNS0_4arch9wavefront6targetE1EEEvSK_,comdat
.Lfunc_end87:
	.size	_ZN7rocprim17ROCPRIM_400000_NS6detail17trampoline_kernelINS0_14default_configENS1_36segmented_radix_sort_config_selectorIhlEEZNS1_25segmented_radix_sort_implIS3_Lb1EPKhPhPKlPlN2at6native12_GLOBAL__N_18offset_tEEE10hipError_tPvRmT1_PNSt15iterator_traitsISK_E10value_typeET2_T3_PNSL_ISQ_E10value_typeET4_jRbjT5_SW_jjP12ihipStream_tbEUlT_E_NS1_11comp_targetILNS1_3genE3ELNS1_11target_archE908ELNS1_3gpuE7ELNS1_3repE0EEENS1_30default_config_static_selectorELNS0_4arch9wavefront6targetE1EEEvSK_, .Lfunc_end87-_ZN7rocprim17ROCPRIM_400000_NS6detail17trampoline_kernelINS0_14default_configENS1_36segmented_radix_sort_config_selectorIhlEEZNS1_25segmented_radix_sort_implIS3_Lb1EPKhPhPKlPlN2at6native12_GLOBAL__N_18offset_tEEE10hipError_tPvRmT1_PNSt15iterator_traitsISK_E10value_typeET2_T3_PNSL_ISQ_E10value_typeET4_jRbjT5_SW_jjP12ihipStream_tbEUlT_E_NS1_11comp_targetILNS1_3genE3ELNS1_11target_archE908ELNS1_3gpuE7ELNS1_3repE0EEENS1_30default_config_static_selectorELNS0_4arch9wavefront6targetE1EEEvSK_
                                        ; -- End function
	.section	.AMDGPU.csdata,"",@progbits
; Kernel info:
; codeLenInByte = 0
; NumSgprs: 4
; NumVgprs: 0
; NumAgprs: 0
; TotalNumVgprs: 0
; ScratchSize: 0
; MemoryBound: 0
; FloatMode: 240
; IeeeMode: 1
; LDSByteSize: 0 bytes/workgroup (compile time only)
; SGPRBlocks: 0
; VGPRBlocks: 0
; NumSGPRsForWavesPerEU: 4
; NumVGPRsForWavesPerEU: 1
; AccumOffset: 4
; Occupancy: 8
; WaveLimiterHint : 0
; COMPUTE_PGM_RSRC2:SCRATCH_EN: 0
; COMPUTE_PGM_RSRC2:USER_SGPR: 6
; COMPUTE_PGM_RSRC2:TRAP_HANDLER: 0
; COMPUTE_PGM_RSRC2:TGID_X_EN: 1
; COMPUTE_PGM_RSRC2:TGID_Y_EN: 0
; COMPUTE_PGM_RSRC2:TGID_Z_EN: 0
; COMPUTE_PGM_RSRC2:TIDIG_COMP_CNT: 0
; COMPUTE_PGM_RSRC3_GFX90A:ACCUM_OFFSET: 0
; COMPUTE_PGM_RSRC3_GFX90A:TG_SPLIT: 0
	.section	.text._ZN7rocprim17ROCPRIM_400000_NS6detail17trampoline_kernelINS0_14default_configENS1_36segmented_radix_sort_config_selectorIhlEEZNS1_25segmented_radix_sort_implIS3_Lb1EPKhPhPKlPlN2at6native12_GLOBAL__N_18offset_tEEE10hipError_tPvRmT1_PNSt15iterator_traitsISK_E10value_typeET2_T3_PNSL_ISQ_E10value_typeET4_jRbjT5_SW_jjP12ihipStream_tbEUlT_E_NS1_11comp_targetILNS1_3genE2ELNS1_11target_archE906ELNS1_3gpuE6ELNS1_3repE0EEENS1_30default_config_static_selectorELNS0_4arch9wavefront6targetE1EEEvSK_,"axG",@progbits,_ZN7rocprim17ROCPRIM_400000_NS6detail17trampoline_kernelINS0_14default_configENS1_36segmented_radix_sort_config_selectorIhlEEZNS1_25segmented_radix_sort_implIS3_Lb1EPKhPhPKlPlN2at6native12_GLOBAL__N_18offset_tEEE10hipError_tPvRmT1_PNSt15iterator_traitsISK_E10value_typeET2_T3_PNSL_ISQ_E10value_typeET4_jRbjT5_SW_jjP12ihipStream_tbEUlT_E_NS1_11comp_targetILNS1_3genE2ELNS1_11target_archE906ELNS1_3gpuE6ELNS1_3repE0EEENS1_30default_config_static_selectorELNS0_4arch9wavefront6targetE1EEEvSK_,comdat
	.globl	_ZN7rocprim17ROCPRIM_400000_NS6detail17trampoline_kernelINS0_14default_configENS1_36segmented_radix_sort_config_selectorIhlEEZNS1_25segmented_radix_sort_implIS3_Lb1EPKhPhPKlPlN2at6native12_GLOBAL__N_18offset_tEEE10hipError_tPvRmT1_PNSt15iterator_traitsISK_E10value_typeET2_T3_PNSL_ISQ_E10value_typeET4_jRbjT5_SW_jjP12ihipStream_tbEUlT_E_NS1_11comp_targetILNS1_3genE2ELNS1_11target_archE906ELNS1_3gpuE6ELNS1_3repE0EEENS1_30default_config_static_selectorELNS0_4arch9wavefront6targetE1EEEvSK_ ; -- Begin function _ZN7rocprim17ROCPRIM_400000_NS6detail17trampoline_kernelINS0_14default_configENS1_36segmented_radix_sort_config_selectorIhlEEZNS1_25segmented_radix_sort_implIS3_Lb1EPKhPhPKlPlN2at6native12_GLOBAL__N_18offset_tEEE10hipError_tPvRmT1_PNSt15iterator_traitsISK_E10value_typeET2_T3_PNSL_ISQ_E10value_typeET4_jRbjT5_SW_jjP12ihipStream_tbEUlT_E_NS1_11comp_targetILNS1_3genE2ELNS1_11target_archE906ELNS1_3gpuE6ELNS1_3repE0EEENS1_30default_config_static_selectorELNS0_4arch9wavefront6targetE1EEEvSK_
	.p2align	8
	.type	_ZN7rocprim17ROCPRIM_400000_NS6detail17trampoline_kernelINS0_14default_configENS1_36segmented_radix_sort_config_selectorIhlEEZNS1_25segmented_radix_sort_implIS3_Lb1EPKhPhPKlPlN2at6native12_GLOBAL__N_18offset_tEEE10hipError_tPvRmT1_PNSt15iterator_traitsISK_E10value_typeET2_T3_PNSL_ISQ_E10value_typeET4_jRbjT5_SW_jjP12ihipStream_tbEUlT_E_NS1_11comp_targetILNS1_3genE2ELNS1_11target_archE906ELNS1_3gpuE6ELNS1_3repE0EEENS1_30default_config_static_selectorELNS0_4arch9wavefront6targetE1EEEvSK_,@function
_ZN7rocprim17ROCPRIM_400000_NS6detail17trampoline_kernelINS0_14default_configENS1_36segmented_radix_sort_config_selectorIhlEEZNS1_25segmented_radix_sort_implIS3_Lb1EPKhPhPKlPlN2at6native12_GLOBAL__N_18offset_tEEE10hipError_tPvRmT1_PNSt15iterator_traitsISK_E10value_typeET2_T3_PNSL_ISQ_E10value_typeET4_jRbjT5_SW_jjP12ihipStream_tbEUlT_E_NS1_11comp_targetILNS1_3genE2ELNS1_11target_archE906ELNS1_3gpuE6ELNS1_3repE0EEENS1_30default_config_static_selectorELNS0_4arch9wavefront6targetE1EEEvSK_: ; @_ZN7rocprim17ROCPRIM_400000_NS6detail17trampoline_kernelINS0_14default_configENS1_36segmented_radix_sort_config_selectorIhlEEZNS1_25segmented_radix_sort_implIS3_Lb1EPKhPhPKlPlN2at6native12_GLOBAL__N_18offset_tEEE10hipError_tPvRmT1_PNSt15iterator_traitsISK_E10value_typeET2_T3_PNSL_ISQ_E10value_typeET4_jRbjT5_SW_jjP12ihipStream_tbEUlT_E_NS1_11comp_targetILNS1_3genE2ELNS1_11target_archE906ELNS1_3gpuE6ELNS1_3repE0EEENS1_30default_config_static_selectorELNS0_4arch9wavefront6targetE1EEEvSK_
; %bb.0:
	.section	.rodata,"a",@progbits
	.p2align	6, 0x0
	.amdhsa_kernel _ZN7rocprim17ROCPRIM_400000_NS6detail17trampoline_kernelINS0_14default_configENS1_36segmented_radix_sort_config_selectorIhlEEZNS1_25segmented_radix_sort_implIS3_Lb1EPKhPhPKlPlN2at6native12_GLOBAL__N_18offset_tEEE10hipError_tPvRmT1_PNSt15iterator_traitsISK_E10value_typeET2_T3_PNSL_ISQ_E10value_typeET4_jRbjT5_SW_jjP12ihipStream_tbEUlT_E_NS1_11comp_targetILNS1_3genE2ELNS1_11target_archE906ELNS1_3gpuE6ELNS1_3repE0EEENS1_30default_config_static_selectorELNS0_4arch9wavefront6targetE1EEEvSK_
		.amdhsa_group_segment_fixed_size 0
		.amdhsa_private_segment_fixed_size 0
		.amdhsa_kernarg_size 96
		.amdhsa_user_sgpr_count 6
		.amdhsa_user_sgpr_private_segment_buffer 1
		.amdhsa_user_sgpr_dispatch_ptr 0
		.amdhsa_user_sgpr_queue_ptr 0
		.amdhsa_user_sgpr_kernarg_segment_ptr 1
		.amdhsa_user_sgpr_dispatch_id 0
		.amdhsa_user_sgpr_flat_scratch_init 0
		.amdhsa_user_sgpr_kernarg_preload_length 0
		.amdhsa_user_sgpr_kernarg_preload_offset 0
		.amdhsa_user_sgpr_private_segment_size 0
		.amdhsa_uses_dynamic_stack 0
		.amdhsa_system_sgpr_private_segment_wavefront_offset 0
		.amdhsa_system_sgpr_workgroup_id_x 1
		.amdhsa_system_sgpr_workgroup_id_y 0
		.amdhsa_system_sgpr_workgroup_id_z 0
		.amdhsa_system_sgpr_workgroup_info 0
		.amdhsa_system_vgpr_workitem_id 0
		.amdhsa_next_free_vgpr 1
		.amdhsa_next_free_sgpr 0
		.amdhsa_accum_offset 4
		.amdhsa_reserve_vcc 0
		.amdhsa_reserve_flat_scratch 0
		.amdhsa_float_round_mode_32 0
		.amdhsa_float_round_mode_16_64 0
		.amdhsa_float_denorm_mode_32 3
		.amdhsa_float_denorm_mode_16_64 3
		.amdhsa_dx10_clamp 1
		.amdhsa_ieee_mode 1
		.amdhsa_fp16_overflow 0
		.amdhsa_tg_split 0
		.amdhsa_exception_fp_ieee_invalid_op 0
		.amdhsa_exception_fp_denorm_src 0
		.amdhsa_exception_fp_ieee_div_zero 0
		.amdhsa_exception_fp_ieee_overflow 0
		.amdhsa_exception_fp_ieee_underflow 0
		.amdhsa_exception_fp_ieee_inexact 0
		.amdhsa_exception_int_div_zero 0
	.end_amdhsa_kernel
	.section	.text._ZN7rocprim17ROCPRIM_400000_NS6detail17trampoline_kernelINS0_14default_configENS1_36segmented_radix_sort_config_selectorIhlEEZNS1_25segmented_radix_sort_implIS3_Lb1EPKhPhPKlPlN2at6native12_GLOBAL__N_18offset_tEEE10hipError_tPvRmT1_PNSt15iterator_traitsISK_E10value_typeET2_T3_PNSL_ISQ_E10value_typeET4_jRbjT5_SW_jjP12ihipStream_tbEUlT_E_NS1_11comp_targetILNS1_3genE2ELNS1_11target_archE906ELNS1_3gpuE6ELNS1_3repE0EEENS1_30default_config_static_selectorELNS0_4arch9wavefront6targetE1EEEvSK_,"axG",@progbits,_ZN7rocprim17ROCPRIM_400000_NS6detail17trampoline_kernelINS0_14default_configENS1_36segmented_radix_sort_config_selectorIhlEEZNS1_25segmented_radix_sort_implIS3_Lb1EPKhPhPKlPlN2at6native12_GLOBAL__N_18offset_tEEE10hipError_tPvRmT1_PNSt15iterator_traitsISK_E10value_typeET2_T3_PNSL_ISQ_E10value_typeET4_jRbjT5_SW_jjP12ihipStream_tbEUlT_E_NS1_11comp_targetILNS1_3genE2ELNS1_11target_archE906ELNS1_3gpuE6ELNS1_3repE0EEENS1_30default_config_static_selectorELNS0_4arch9wavefront6targetE1EEEvSK_,comdat
.Lfunc_end88:
	.size	_ZN7rocprim17ROCPRIM_400000_NS6detail17trampoline_kernelINS0_14default_configENS1_36segmented_radix_sort_config_selectorIhlEEZNS1_25segmented_radix_sort_implIS3_Lb1EPKhPhPKlPlN2at6native12_GLOBAL__N_18offset_tEEE10hipError_tPvRmT1_PNSt15iterator_traitsISK_E10value_typeET2_T3_PNSL_ISQ_E10value_typeET4_jRbjT5_SW_jjP12ihipStream_tbEUlT_E_NS1_11comp_targetILNS1_3genE2ELNS1_11target_archE906ELNS1_3gpuE6ELNS1_3repE0EEENS1_30default_config_static_selectorELNS0_4arch9wavefront6targetE1EEEvSK_, .Lfunc_end88-_ZN7rocprim17ROCPRIM_400000_NS6detail17trampoline_kernelINS0_14default_configENS1_36segmented_radix_sort_config_selectorIhlEEZNS1_25segmented_radix_sort_implIS3_Lb1EPKhPhPKlPlN2at6native12_GLOBAL__N_18offset_tEEE10hipError_tPvRmT1_PNSt15iterator_traitsISK_E10value_typeET2_T3_PNSL_ISQ_E10value_typeET4_jRbjT5_SW_jjP12ihipStream_tbEUlT_E_NS1_11comp_targetILNS1_3genE2ELNS1_11target_archE906ELNS1_3gpuE6ELNS1_3repE0EEENS1_30default_config_static_selectorELNS0_4arch9wavefront6targetE1EEEvSK_
                                        ; -- End function
	.section	.AMDGPU.csdata,"",@progbits
; Kernel info:
; codeLenInByte = 0
; NumSgprs: 4
; NumVgprs: 0
; NumAgprs: 0
; TotalNumVgprs: 0
; ScratchSize: 0
; MemoryBound: 0
; FloatMode: 240
; IeeeMode: 1
; LDSByteSize: 0 bytes/workgroup (compile time only)
; SGPRBlocks: 0
; VGPRBlocks: 0
; NumSGPRsForWavesPerEU: 4
; NumVGPRsForWavesPerEU: 1
; AccumOffset: 4
; Occupancy: 8
; WaveLimiterHint : 0
; COMPUTE_PGM_RSRC2:SCRATCH_EN: 0
; COMPUTE_PGM_RSRC2:USER_SGPR: 6
; COMPUTE_PGM_RSRC2:TRAP_HANDLER: 0
; COMPUTE_PGM_RSRC2:TGID_X_EN: 1
; COMPUTE_PGM_RSRC2:TGID_Y_EN: 0
; COMPUTE_PGM_RSRC2:TGID_Z_EN: 0
; COMPUTE_PGM_RSRC2:TIDIG_COMP_CNT: 0
; COMPUTE_PGM_RSRC3_GFX90A:ACCUM_OFFSET: 0
; COMPUTE_PGM_RSRC3_GFX90A:TG_SPLIT: 0
	.section	.text._ZN7rocprim17ROCPRIM_400000_NS6detail17trampoline_kernelINS0_14default_configENS1_36segmented_radix_sort_config_selectorIhlEEZNS1_25segmented_radix_sort_implIS3_Lb1EPKhPhPKlPlN2at6native12_GLOBAL__N_18offset_tEEE10hipError_tPvRmT1_PNSt15iterator_traitsISK_E10value_typeET2_T3_PNSL_ISQ_E10value_typeET4_jRbjT5_SW_jjP12ihipStream_tbEUlT_E_NS1_11comp_targetILNS1_3genE10ELNS1_11target_archE1201ELNS1_3gpuE5ELNS1_3repE0EEENS1_30default_config_static_selectorELNS0_4arch9wavefront6targetE1EEEvSK_,"axG",@progbits,_ZN7rocprim17ROCPRIM_400000_NS6detail17trampoline_kernelINS0_14default_configENS1_36segmented_radix_sort_config_selectorIhlEEZNS1_25segmented_radix_sort_implIS3_Lb1EPKhPhPKlPlN2at6native12_GLOBAL__N_18offset_tEEE10hipError_tPvRmT1_PNSt15iterator_traitsISK_E10value_typeET2_T3_PNSL_ISQ_E10value_typeET4_jRbjT5_SW_jjP12ihipStream_tbEUlT_E_NS1_11comp_targetILNS1_3genE10ELNS1_11target_archE1201ELNS1_3gpuE5ELNS1_3repE0EEENS1_30default_config_static_selectorELNS0_4arch9wavefront6targetE1EEEvSK_,comdat
	.globl	_ZN7rocprim17ROCPRIM_400000_NS6detail17trampoline_kernelINS0_14default_configENS1_36segmented_radix_sort_config_selectorIhlEEZNS1_25segmented_radix_sort_implIS3_Lb1EPKhPhPKlPlN2at6native12_GLOBAL__N_18offset_tEEE10hipError_tPvRmT1_PNSt15iterator_traitsISK_E10value_typeET2_T3_PNSL_ISQ_E10value_typeET4_jRbjT5_SW_jjP12ihipStream_tbEUlT_E_NS1_11comp_targetILNS1_3genE10ELNS1_11target_archE1201ELNS1_3gpuE5ELNS1_3repE0EEENS1_30default_config_static_selectorELNS0_4arch9wavefront6targetE1EEEvSK_ ; -- Begin function _ZN7rocprim17ROCPRIM_400000_NS6detail17trampoline_kernelINS0_14default_configENS1_36segmented_radix_sort_config_selectorIhlEEZNS1_25segmented_radix_sort_implIS3_Lb1EPKhPhPKlPlN2at6native12_GLOBAL__N_18offset_tEEE10hipError_tPvRmT1_PNSt15iterator_traitsISK_E10value_typeET2_T3_PNSL_ISQ_E10value_typeET4_jRbjT5_SW_jjP12ihipStream_tbEUlT_E_NS1_11comp_targetILNS1_3genE10ELNS1_11target_archE1201ELNS1_3gpuE5ELNS1_3repE0EEENS1_30default_config_static_selectorELNS0_4arch9wavefront6targetE1EEEvSK_
	.p2align	8
	.type	_ZN7rocprim17ROCPRIM_400000_NS6detail17trampoline_kernelINS0_14default_configENS1_36segmented_radix_sort_config_selectorIhlEEZNS1_25segmented_radix_sort_implIS3_Lb1EPKhPhPKlPlN2at6native12_GLOBAL__N_18offset_tEEE10hipError_tPvRmT1_PNSt15iterator_traitsISK_E10value_typeET2_T3_PNSL_ISQ_E10value_typeET4_jRbjT5_SW_jjP12ihipStream_tbEUlT_E_NS1_11comp_targetILNS1_3genE10ELNS1_11target_archE1201ELNS1_3gpuE5ELNS1_3repE0EEENS1_30default_config_static_selectorELNS0_4arch9wavefront6targetE1EEEvSK_,@function
_ZN7rocprim17ROCPRIM_400000_NS6detail17trampoline_kernelINS0_14default_configENS1_36segmented_radix_sort_config_selectorIhlEEZNS1_25segmented_radix_sort_implIS3_Lb1EPKhPhPKlPlN2at6native12_GLOBAL__N_18offset_tEEE10hipError_tPvRmT1_PNSt15iterator_traitsISK_E10value_typeET2_T3_PNSL_ISQ_E10value_typeET4_jRbjT5_SW_jjP12ihipStream_tbEUlT_E_NS1_11comp_targetILNS1_3genE10ELNS1_11target_archE1201ELNS1_3gpuE5ELNS1_3repE0EEENS1_30default_config_static_selectorELNS0_4arch9wavefront6targetE1EEEvSK_: ; @_ZN7rocprim17ROCPRIM_400000_NS6detail17trampoline_kernelINS0_14default_configENS1_36segmented_radix_sort_config_selectorIhlEEZNS1_25segmented_radix_sort_implIS3_Lb1EPKhPhPKlPlN2at6native12_GLOBAL__N_18offset_tEEE10hipError_tPvRmT1_PNSt15iterator_traitsISK_E10value_typeET2_T3_PNSL_ISQ_E10value_typeET4_jRbjT5_SW_jjP12ihipStream_tbEUlT_E_NS1_11comp_targetILNS1_3genE10ELNS1_11target_archE1201ELNS1_3gpuE5ELNS1_3repE0EEENS1_30default_config_static_selectorELNS0_4arch9wavefront6targetE1EEEvSK_
; %bb.0:
	.section	.rodata,"a",@progbits
	.p2align	6, 0x0
	.amdhsa_kernel _ZN7rocprim17ROCPRIM_400000_NS6detail17trampoline_kernelINS0_14default_configENS1_36segmented_radix_sort_config_selectorIhlEEZNS1_25segmented_radix_sort_implIS3_Lb1EPKhPhPKlPlN2at6native12_GLOBAL__N_18offset_tEEE10hipError_tPvRmT1_PNSt15iterator_traitsISK_E10value_typeET2_T3_PNSL_ISQ_E10value_typeET4_jRbjT5_SW_jjP12ihipStream_tbEUlT_E_NS1_11comp_targetILNS1_3genE10ELNS1_11target_archE1201ELNS1_3gpuE5ELNS1_3repE0EEENS1_30default_config_static_selectorELNS0_4arch9wavefront6targetE1EEEvSK_
		.amdhsa_group_segment_fixed_size 0
		.amdhsa_private_segment_fixed_size 0
		.amdhsa_kernarg_size 96
		.amdhsa_user_sgpr_count 6
		.amdhsa_user_sgpr_private_segment_buffer 1
		.amdhsa_user_sgpr_dispatch_ptr 0
		.amdhsa_user_sgpr_queue_ptr 0
		.amdhsa_user_sgpr_kernarg_segment_ptr 1
		.amdhsa_user_sgpr_dispatch_id 0
		.amdhsa_user_sgpr_flat_scratch_init 0
		.amdhsa_user_sgpr_kernarg_preload_length 0
		.amdhsa_user_sgpr_kernarg_preload_offset 0
		.amdhsa_user_sgpr_private_segment_size 0
		.amdhsa_uses_dynamic_stack 0
		.amdhsa_system_sgpr_private_segment_wavefront_offset 0
		.amdhsa_system_sgpr_workgroup_id_x 1
		.amdhsa_system_sgpr_workgroup_id_y 0
		.amdhsa_system_sgpr_workgroup_id_z 0
		.amdhsa_system_sgpr_workgroup_info 0
		.amdhsa_system_vgpr_workitem_id 0
		.amdhsa_next_free_vgpr 1
		.amdhsa_next_free_sgpr 0
		.amdhsa_accum_offset 4
		.amdhsa_reserve_vcc 0
		.amdhsa_reserve_flat_scratch 0
		.amdhsa_float_round_mode_32 0
		.amdhsa_float_round_mode_16_64 0
		.amdhsa_float_denorm_mode_32 3
		.amdhsa_float_denorm_mode_16_64 3
		.amdhsa_dx10_clamp 1
		.amdhsa_ieee_mode 1
		.amdhsa_fp16_overflow 0
		.amdhsa_tg_split 0
		.amdhsa_exception_fp_ieee_invalid_op 0
		.amdhsa_exception_fp_denorm_src 0
		.amdhsa_exception_fp_ieee_div_zero 0
		.amdhsa_exception_fp_ieee_overflow 0
		.amdhsa_exception_fp_ieee_underflow 0
		.amdhsa_exception_fp_ieee_inexact 0
		.amdhsa_exception_int_div_zero 0
	.end_amdhsa_kernel
	.section	.text._ZN7rocprim17ROCPRIM_400000_NS6detail17trampoline_kernelINS0_14default_configENS1_36segmented_radix_sort_config_selectorIhlEEZNS1_25segmented_radix_sort_implIS3_Lb1EPKhPhPKlPlN2at6native12_GLOBAL__N_18offset_tEEE10hipError_tPvRmT1_PNSt15iterator_traitsISK_E10value_typeET2_T3_PNSL_ISQ_E10value_typeET4_jRbjT5_SW_jjP12ihipStream_tbEUlT_E_NS1_11comp_targetILNS1_3genE10ELNS1_11target_archE1201ELNS1_3gpuE5ELNS1_3repE0EEENS1_30default_config_static_selectorELNS0_4arch9wavefront6targetE1EEEvSK_,"axG",@progbits,_ZN7rocprim17ROCPRIM_400000_NS6detail17trampoline_kernelINS0_14default_configENS1_36segmented_radix_sort_config_selectorIhlEEZNS1_25segmented_radix_sort_implIS3_Lb1EPKhPhPKlPlN2at6native12_GLOBAL__N_18offset_tEEE10hipError_tPvRmT1_PNSt15iterator_traitsISK_E10value_typeET2_T3_PNSL_ISQ_E10value_typeET4_jRbjT5_SW_jjP12ihipStream_tbEUlT_E_NS1_11comp_targetILNS1_3genE10ELNS1_11target_archE1201ELNS1_3gpuE5ELNS1_3repE0EEENS1_30default_config_static_selectorELNS0_4arch9wavefront6targetE1EEEvSK_,comdat
.Lfunc_end89:
	.size	_ZN7rocprim17ROCPRIM_400000_NS6detail17trampoline_kernelINS0_14default_configENS1_36segmented_radix_sort_config_selectorIhlEEZNS1_25segmented_radix_sort_implIS3_Lb1EPKhPhPKlPlN2at6native12_GLOBAL__N_18offset_tEEE10hipError_tPvRmT1_PNSt15iterator_traitsISK_E10value_typeET2_T3_PNSL_ISQ_E10value_typeET4_jRbjT5_SW_jjP12ihipStream_tbEUlT_E_NS1_11comp_targetILNS1_3genE10ELNS1_11target_archE1201ELNS1_3gpuE5ELNS1_3repE0EEENS1_30default_config_static_selectorELNS0_4arch9wavefront6targetE1EEEvSK_, .Lfunc_end89-_ZN7rocprim17ROCPRIM_400000_NS6detail17trampoline_kernelINS0_14default_configENS1_36segmented_radix_sort_config_selectorIhlEEZNS1_25segmented_radix_sort_implIS3_Lb1EPKhPhPKlPlN2at6native12_GLOBAL__N_18offset_tEEE10hipError_tPvRmT1_PNSt15iterator_traitsISK_E10value_typeET2_T3_PNSL_ISQ_E10value_typeET4_jRbjT5_SW_jjP12ihipStream_tbEUlT_E_NS1_11comp_targetILNS1_3genE10ELNS1_11target_archE1201ELNS1_3gpuE5ELNS1_3repE0EEENS1_30default_config_static_selectorELNS0_4arch9wavefront6targetE1EEEvSK_
                                        ; -- End function
	.section	.AMDGPU.csdata,"",@progbits
; Kernel info:
; codeLenInByte = 0
; NumSgprs: 4
; NumVgprs: 0
; NumAgprs: 0
; TotalNumVgprs: 0
; ScratchSize: 0
; MemoryBound: 0
; FloatMode: 240
; IeeeMode: 1
; LDSByteSize: 0 bytes/workgroup (compile time only)
; SGPRBlocks: 0
; VGPRBlocks: 0
; NumSGPRsForWavesPerEU: 4
; NumVGPRsForWavesPerEU: 1
; AccumOffset: 4
; Occupancy: 8
; WaveLimiterHint : 0
; COMPUTE_PGM_RSRC2:SCRATCH_EN: 0
; COMPUTE_PGM_RSRC2:USER_SGPR: 6
; COMPUTE_PGM_RSRC2:TRAP_HANDLER: 0
; COMPUTE_PGM_RSRC2:TGID_X_EN: 1
; COMPUTE_PGM_RSRC2:TGID_Y_EN: 0
; COMPUTE_PGM_RSRC2:TGID_Z_EN: 0
; COMPUTE_PGM_RSRC2:TIDIG_COMP_CNT: 0
; COMPUTE_PGM_RSRC3_GFX90A:ACCUM_OFFSET: 0
; COMPUTE_PGM_RSRC3_GFX90A:TG_SPLIT: 0
	.section	.text._ZN7rocprim17ROCPRIM_400000_NS6detail17trampoline_kernelINS0_14default_configENS1_36segmented_radix_sort_config_selectorIhlEEZNS1_25segmented_radix_sort_implIS3_Lb1EPKhPhPKlPlN2at6native12_GLOBAL__N_18offset_tEEE10hipError_tPvRmT1_PNSt15iterator_traitsISK_E10value_typeET2_T3_PNSL_ISQ_E10value_typeET4_jRbjT5_SW_jjP12ihipStream_tbEUlT_E_NS1_11comp_targetILNS1_3genE10ELNS1_11target_archE1200ELNS1_3gpuE4ELNS1_3repE0EEENS1_30default_config_static_selectorELNS0_4arch9wavefront6targetE1EEEvSK_,"axG",@progbits,_ZN7rocprim17ROCPRIM_400000_NS6detail17trampoline_kernelINS0_14default_configENS1_36segmented_radix_sort_config_selectorIhlEEZNS1_25segmented_radix_sort_implIS3_Lb1EPKhPhPKlPlN2at6native12_GLOBAL__N_18offset_tEEE10hipError_tPvRmT1_PNSt15iterator_traitsISK_E10value_typeET2_T3_PNSL_ISQ_E10value_typeET4_jRbjT5_SW_jjP12ihipStream_tbEUlT_E_NS1_11comp_targetILNS1_3genE10ELNS1_11target_archE1200ELNS1_3gpuE4ELNS1_3repE0EEENS1_30default_config_static_selectorELNS0_4arch9wavefront6targetE1EEEvSK_,comdat
	.globl	_ZN7rocprim17ROCPRIM_400000_NS6detail17trampoline_kernelINS0_14default_configENS1_36segmented_radix_sort_config_selectorIhlEEZNS1_25segmented_radix_sort_implIS3_Lb1EPKhPhPKlPlN2at6native12_GLOBAL__N_18offset_tEEE10hipError_tPvRmT1_PNSt15iterator_traitsISK_E10value_typeET2_T3_PNSL_ISQ_E10value_typeET4_jRbjT5_SW_jjP12ihipStream_tbEUlT_E_NS1_11comp_targetILNS1_3genE10ELNS1_11target_archE1200ELNS1_3gpuE4ELNS1_3repE0EEENS1_30default_config_static_selectorELNS0_4arch9wavefront6targetE1EEEvSK_ ; -- Begin function _ZN7rocprim17ROCPRIM_400000_NS6detail17trampoline_kernelINS0_14default_configENS1_36segmented_radix_sort_config_selectorIhlEEZNS1_25segmented_radix_sort_implIS3_Lb1EPKhPhPKlPlN2at6native12_GLOBAL__N_18offset_tEEE10hipError_tPvRmT1_PNSt15iterator_traitsISK_E10value_typeET2_T3_PNSL_ISQ_E10value_typeET4_jRbjT5_SW_jjP12ihipStream_tbEUlT_E_NS1_11comp_targetILNS1_3genE10ELNS1_11target_archE1200ELNS1_3gpuE4ELNS1_3repE0EEENS1_30default_config_static_selectorELNS0_4arch9wavefront6targetE1EEEvSK_
	.p2align	8
	.type	_ZN7rocprim17ROCPRIM_400000_NS6detail17trampoline_kernelINS0_14default_configENS1_36segmented_radix_sort_config_selectorIhlEEZNS1_25segmented_radix_sort_implIS3_Lb1EPKhPhPKlPlN2at6native12_GLOBAL__N_18offset_tEEE10hipError_tPvRmT1_PNSt15iterator_traitsISK_E10value_typeET2_T3_PNSL_ISQ_E10value_typeET4_jRbjT5_SW_jjP12ihipStream_tbEUlT_E_NS1_11comp_targetILNS1_3genE10ELNS1_11target_archE1200ELNS1_3gpuE4ELNS1_3repE0EEENS1_30default_config_static_selectorELNS0_4arch9wavefront6targetE1EEEvSK_,@function
_ZN7rocprim17ROCPRIM_400000_NS6detail17trampoline_kernelINS0_14default_configENS1_36segmented_radix_sort_config_selectorIhlEEZNS1_25segmented_radix_sort_implIS3_Lb1EPKhPhPKlPlN2at6native12_GLOBAL__N_18offset_tEEE10hipError_tPvRmT1_PNSt15iterator_traitsISK_E10value_typeET2_T3_PNSL_ISQ_E10value_typeET4_jRbjT5_SW_jjP12ihipStream_tbEUlT_E_NS1_11comp_targetILNS1_3genE10ELNS1_11target_archE1200ELNS1_3gpuE4ELNS1_3repE0EEENS1_30default_config_static_selectorELNS0_4arch9wavefront6targetE1EEEvSK_: ; @_ZN7rocprim17ROCPRIM_400000_NS6detail17trampoline_kernelINS0_14default_configENS1_36segmented_radix_sort_config_selectorIhlEEZNS1_25segmented_radix_sort_implIS3_Lb1EPKhPhPKlPlN2at6native12_GLOBAL__N_18offset_tEEE10hipError_tPvRmT1_PNSt15iterator_traitsISK_E10value_typeET2_T3_PNSL_ISQ_E10value_typeET4_jRbjT5_SW_jjP12ihipStream_tbEUlT_E_NS1_11comp_targetILNS1_3genE10ELNS1_11target_archE1200ELNS1_3gpuE4ELNS1_3repE0EEENS1_30default_config_static_selectorELNS0_4arch9wavefront6targetE1EEEvSK_
; %bb.0:
	.section	.rodata,"a",@progbits
	.p2align	6, 0x0
	.amdhsa_kernel _ZN7rocprim17ROCPRIM_400000_NS6detail17trampoline_kernelINS0_14default_configENS1_36segmented_radix_sort_config_selectorIhlEEZNS1_25segmented_radix_sort_implIS3_Lb1EPKhPhPKlPlN2at6native12_GLOBAL__N_18offset_tEEE10hipError_tPvRmT1_PNSt15iterator_traitsISK_E10value_typeET2_T3_PNSL_ISQ_E10value_typeET4_jRbjT5_SW_jjP12ihipStream_tbEUlT_E_NS1_11comp_targetILNS1_3genE10ELNS1_11target_archE1200ELNS1_3gpuE4ELNS1_3repE0EEENS1_30default_config_static_selectorELNS0_4arch9wavefront6targetE1EEEvSK_
		.amdhsa_group_segment_fixed_size 0
		.amdhsa_private_segment_fixed_size 0
		.amdhsa_kernarg_size 96
		.amdhsa_user_sgpr_count 6
		.amdhsa_user_sgpr_private_segment_buffer 1
		.amdhsa_user_sgpr_dispatch_ptr 0
		.amdhsa_user_sgpr_queue_ptr 0
		.amdhsa_user_sgpr_kernarg_segment_ptr 1
		.amdhsa_user_sgpr_dispatch_id 0
		.amdhsa_user_sgpr_flat_scratch_init 0
		.amdhsa_user_sgpr_kernarg_preload_length 0
		.amdhsa_user_sgpr_kernarg_preload_offset 0
		.amdhsa_user_sgpr_private_segment_size 0
		.amdhsa_uses_dynamic_stack 0
		.amdhsa_system_sgpr_private_segment_wavefront_offset 0
		.amdhsa_system_sgpr_workgroup_id_x 1
		.amdhsa_system_sgpr_workgroup_id_y 0
		.amdhsa_system_sgpr_workgroup_id_z 0
		.amdhsa_system_sgpr_workgroup_info 0
		.amdhsa_system_vgpr_workitem_id 0
		.amdhsa_next_free_vgpr 1
		.amdhsa_next_free_sgpr 0
		.amdhsa_accum_offset 4
		.amdhsa_reserve_vcc 0
		.amdhsa_reserve_flat_scratch 0
		.amdhsa_float_round_mode_32 0
		.amdhsa_float_round_mode_16_64 0
		.amdhsa_float_denorm_mode_32 3
		.amdhsa_float_denorm_mode_16_64 3
		.amdhsa_dx10_clamp 1
		.amdhsa_ieee_mode 1
		.amdhsa_fp16_overflow 0
		.amdhsa_tg_split 0
		.amdhsa_exception_fp_ieee_invalid_op 0
		.amdhsa_exception_fp_denorm_src 0
		.amdhsa_exception_fp_ieee_div_zero 0
		.amdhsa_exception_fp_ieee_overflow 0
		.amdhsa_exception_fp_ieee_underflow 0
		.amdhsa_exception_fp_ieee_inexact 0
		.amdhsa_exception_int_div_zero 0
	.end_amdhsa_kernel
	.section	.text._ZN7rocprim17ROCPRIM_400000_NS6detail17trampoline_kernelINS0_14default_configENS1_36segmented_radix_sort_config_selectorIhlEEZNS1_25segmented_radix_sort_implIS3_Lb1EPKhPhPKlPlN2at6native12_GLOBAL__N_18offset_tEEE10hipError_tPvRmT1_PNSt15iterator_traitsISK_E10value_typeET2_T3_PNSL_ISQ_E10value_typeET4_jRbjT5_SW_jjP12ihipStream_tbEUlT_E_NS1_11comp_targetILNS1_3genE10ELNS1_11target_archE1200ELNS1_3gpuE4ELNS1_3repE0EEENS1_30default_config_static_selectorELNS0_4arch9wavefront6targetE1EEEvSK_,"axG",@progbits,_ZN7rocprim17ROCPRIM_400000_NS6detail17trampoline_kernelINS0_14default_configENS1_36segmented_radix_sort_config_selectorIhlEEZNS1_25segmented_radix_sort_implIS3_Lb1EPKhPhPKlPlN2at6native12_GLOBAL__N_18offset_tEEE10hipError_tPvRmT1_PNSt15iterator_traitsISK_E10value_typeET2_T3_PNSL_ISQ_E10value_typeET4_jRbjT5_SW_jjP12ihipStream_tbEUlT_E_NS1_11comp_targetILNS1_3genE10ELNS1_11target_archE1200ELNS1_3gpuE4ELNS1_3repE0EEENS1_30default_config_static_selectorELNS0_4arch9wavefront6targetE1EEEvSK_,comdat
.Lfunc_end90:
	.size	_ZN7rocprim17ROCPRIM_400000_NS6detail17trampoline_kernelINS0_14default_configENS1_36segmented_radix_sort_config_selectorIhlEEZNS1_25segmented_radix_sort_implIS3_Lb1EPKhPhPKlPlN2at6native12_GLOBAL__N_18offset_tEEE10hipError_tPvRmT1_PNSt15iterator_traitsISK_E10value_typeET2_T3_PNSL_ISQ_E10value_typeET4_jRbjT5_SW_jjP12ihipStream_tbEUlT_E_NS1_11comp_targetILNS1_3genE10ELNS1_11target_archE1200ELNS1_3gpuE4ELNS1_3repE0EEENS1_30default_config_static_selectorELNS0_4arch9wavefront6targetE1EEEvSK_, .Lfunc_end90-_ZN7rocprim17ROCPRIM_400000_NS6detail17trampoline_kernelINS0_14default_configENS1_36segmented_radix_sort_config_selectorIhlEEZNS1_25segmented_radix_sort_implIS3_Lb1EPKhPhPKlPlN2at6native12_GLOBAL__N_18offset_tEEE10hipError_tPvRmT1_PNSt15iterator_traitsISK_E10value_typeET2_T3_PNSL_ISQ_E10value_typeET4_jRbjT5_SW_jjP12ihipStream_tbEUlT_E_NS1_11comp_targetILNS1_3genE10ELNS1_11target_archE1200ELNS1_3gpuE4ELNS1_3repE0EEENS1_30default_config_static_selectorELNS0_4arch9wavefront6targetE1EEEvSK_
                                        ; -- End function
	.section	.AMDGPU.csdata,"",@progbits
; Kernel info:
; codeLenInByte = 0
; NumSgprs: 4
; NumVgprs: 0
; NumAgprs: 0
; TotalNumVgprs: 0
; ScratchSize: 0
; MemoryBound: 0
; FloatMode: 240
; IeeeMode: 1
; LDSByteSize: 0 bytes/workgroup (compile time only)
; SGPRBlocks: 0
; VGPRBlocks: 0
; NumSGPRsForWavesPerEU: 4
; NumVGPRsForWavesPerEU: 1
; AccumOffset: 4
; Occupancy: 8
; WaveLimiterHint : 0
; COMPUTE_PGM_RSRC2:SCRATCH_EN: 0
; COMPUTE_PGM_RSRC2:USER_SGPR: 6
; COMPUTE_PGM_RSRC2:TRAP_HANDLER: 0
; COMPUTE_PGM_RSRC2:TGID_X_EN: 1
; COMPUTE_PGM_RSRC2:TGID_Y_EN: 0
; COMPUTE_PGM_RSRC2:TGID_Z_EN: 0
; COMPUTE_PGM_RSRC2:TIDIG_COMP_CNT: 0
; COMPUTE_PGM_RSRC3_GFX90A:ACCUM_OFFSET: 0
; COMPUTE_PGM_RSRC3_GFX90A:TG_SPLIT: 0
	.section	.text._ZN7rocprim17ROCPRIM_400000_NS6detail17trampoline_kernelINS0_14default_configENS1_36segmented_radix_sort_config_selectorIhlEEZNS1_25segmented_radix_sort_implIS3_Lb1EPKhPhPKlPlN2at6native12_GLOBAL__N_18offset_tEEE10hipError_tPvRmT1_PNSt15iterator_traitsISK_E10value_typeET2_T3_PNSL_ISQ_E10value_typeET4_jRbjT5_SW_jjP12ihipStream_tbEUlT_E_NS1_11comp_targetILNS1_3genE9ELNS1_11target_archE1100ELNS1_3gpuE3ELNS1_3repE0EEENS1_30default_config_static_selectorELNS0_4arch9wavefront6targetE1EEEvSK_,"axG",@progbits,_ZN7rocprim17ROCPRIM_400000_NS6detail17trampoline_kernelINS0_14default_configENS1_36segmented_radix_sort_config_selectorIhlEEZNS1_25segmented_radix_sort_implIS3_Lb1EPKhPhPKlPlN2at6native12_GLOBAL__N_18offset_tEEE10hipError_tPvRmT1_PNSt15iterator_traitsISK_E10value_typeET2_T3_PNSL_ISQ_E10value_typeET4_jRbjT5_SW_jjP12ihipStream_tbEUlT_E_NS1_11comp_targetILNS1_3genE9ELNS1_11target_archE1100ELNS1_3gpuE3ELNS1_3repE0EEENS1_30default_config_static_selectorELNS0_4arch9wavefront6targetE1EEEvSK_,comdat
	.globl	_ZN7rocprim17ROCPRIM_400000_NS6detail17trampoline_kernelINS0_14default_configENS1_36segmented_radix_sort_config_selectorIhlEEZNS1_25segmented_radix_sort_implIS3_Lb1EPKhPhPKlPlN2at6native12_GLOBAL__N_18offset_tEEE10hipError_tPvRmT1_PNSt15iterator_traitsISK_E10value_typeET2_T3_PNSL_ISQ_E10value_typeET4_jRbjT5_SW_jjP12ihipStream_tbEUlT_E_NS1_11comp_targetILNS1_3genE9ELNS1_11target_archE1100ELNS1_3gpuE3ELNS1_3repE0EEENS1_30default_config_static_selectorELNS0_4arch9wavefront6targetE1EEEvSK_ ; -- Begin function _ZN7rocprim17ROCPRIM_400000_NS6detail17trampoline_kernelINS0_14default_configENS1_36segmented_radix_sort_config_selectorIhlEEZNS1_25segmented_radix_sort_implIS3_Lb1EPKhPhPKlPlN2at6native12_GLOBAL__N_18offset_tEEE10hipError_tPvRmT1_PNSt15iterator_traitsISK_E10value_typeET2_T3_PNSL_ISQ_E10value_typeET4_jRbjT5_SW_jjP12ihipStream_tbEUlT_E_NS1_11comp_targetILNS1_3genE9ELNS1_11target_archE1100ELNS1_3gpuE3ELNS1_3repE0EEENS1_30default_config_static_selectorELNS0_4arch9wavefront6targetE1EEEvSK_
	.p2align	8
	.type	_ZN7rocprim17ROCPRIM_400000_NS6detail17trampoline_kernelINS0_14default_configENS1_36segmented_radix_sort_config_selectorIhlEEZNS1_25segmented_radix_sort_implIS3_Lb1EPKhPhPKlPlN2at6native12_GLOBAL__N_18offset_tEEE10hipError_tPvRmT1_PNSt15iterator_traitsISK_E10value_typeET2_T3_PNSL_ISQ_E10value_typeET4_jRbjT5_SW_jjP12ihipStream_tbEUlT_E_NS1_11comp_targetILNS1_3genE9ELNS1_11target_archE1100ELNS1_3gpuE3ELNS1_3repE0EEENS1_30default_config_static_selectorELNS0_4arch9wavefront6targetE1EEEvSK_,@function
_ZN7rocprim17ROCPRIM_400000_NS6detail17trampoline_kernelINS0_14default_configENS1_36segmented_radix_sort_config_selectorIhlEEZNS1_25segmented_radix_sort_implIS3_Lb1EPKhPhPKlPlN2at6native12_GLOBAL__N_18offset_tEEE10hipError_tPvRmT1_PNSt15iterator_traitsISK_E10value_typeET2_T3_PNSL_ISQ_E10value_typeET4_jRbjT5_SW_jjP12ihipStream_tbEUlT_E_NS1_11comp_targetILNS1_3genE9ELNS1_11target_archE1100ELNS1_3gpuE3ELNS1_3repE0EEENS1_30default_config_static_selectorELNS0_4arch9wavefront6targetE1EEEvSK_: ; @_ZN7rocprim17ROCPRIM_400000_NS6detail17trampoline_kernelINS0_14default_configENS1_36segmented_radix_sort_config_selectorIhlEEZNS1_25segmented_radix_sort_implIS3_Lb1EPKhPhPKlPlN2at6native12_GLOBAL__N_18offset_tEEE10hipError_tPvRmT1_PNSt15iterator_traitsISK_E10value_typeET2_T3_PNSL_ISQ_E10value_typeET4_jRbjT5_SW_jjP12ihipStream_tbEUlT_E_NS1_11comp_targetILNS1_3genE9ELNS1_11target_archE1100ELNS1_3gpuE3ELNS1_3repE0EEENS1_30default_config_static_selectorELNS0_4arch9wavefront6targetE1EEEvSK_
; %bb.0:
	.section	.rodata,"a",@progbits
	.p2align	6, 0x0
	.amdhsa_kernel _ZN7rocprim17ROCPRIM_400000_NS6detail17trampoline_kernelINS0_14default_configENS1_36segmented_radix_sort_config_selectorIhlEEZNS1_25segmented_radix_sort_implIS3_Lb1EPKhPhPKlPlN2at6native12_GLOBAL__N_18offset_tEEE10hipError_tPvRmT1_PNSt15iterator_traitsISK_E10value_typeET2_T3_PNSL_ISQ_E10value_typeET4_jRbjT5_SW_jjP12ihipStream_tbEUlT_E_NS1_11comp_targetILNS1_3genE9ELNS1_11target_archE1100ELNS1_3gpuE3ELNS1_3repE0EEENS1_30default_config_static_selectorELNS0_4arch9wavefront6targetE1EEEvSK_
		.amdhsa_group_segment_fixed_size 0
		.amdhsa_private_segment_fixed_size 0
		.amdhsa_kernarg_size 96
		.amdhsa_user_sgpr_count 6
		.amdhsa_user_sgpr_private_segment_buffer 1
		.amdhsa_user_sgpr_dispatch_ptr 0
		.amdhsa_user_sgpr_queue_ptr 0
		.amdhsa_user_sgpr_kernarg_segment_ptr 1
		.amdhsa_user_sgpr_dispatch_id 0
		.amdhsa_user_sgpr_flat_scratch_init 0
		.amdhsa_user_sgpr_kernarg_preload_length 0
		.amdhsa_user_sgpr_kernarg_preload_offset 0
		.amdhsa_user_sgpr_private_segment_size 0
		.amdhsa_uses_dynamic_stack 0
		.amdhsa_system_sgpr_private_segment_wavefront_offset 0
		.amdhsa_system_sgpr_workgroup_id_x 1
		.amdhsa_system_sgpr_workgroup_id_y 0
		.amdhsa_system_sgpr_workgroup_id_z 0
		.amdhsa_system_sgpr_workgroup_info 0
		.amdhsa_system_vgpr_workitem_id 0
		.amdhsa_next_free_vgpr 1
		.amdhsa_next_free_sgpr 0
		.amdhsa_accum_offset 4
		.amdhsa_reserve_vcc 0
		.amdhsa_reserve_flat_scratch 0
		.amdhsa_float_round_mode_32 0
		.amdhsa_float_round_mode_16_64 0
		.amdhsa_float_denorm_mode_32 3
		.amdhsa_float_denorm_mode_16_64 3
		.amdhsa_dx10_clamp 1
		.amdhsa_ieee_mode 1
		.amdhsa_fp16_overflow 0
		.amdhsa_tg_split 0
		.amdhsa_exception_fp_ieee_invalid_op 0
		.amdhsa_exception_fp_denorm_src 0
		.amdhsa_exception_fp_ieee_div_zero 0
		.amdhsa_exception_fp_ieee_overflow 0
		.amdhsa_exception_fp_ieee_underflow 0
		.amdhsa_exception_fp_ieee_inexact 0
		.amdhsa_exception_int_div_zero 0
	.end_amdhsa_kernel
	.section	.text._ZN7rocprim17ROCPRIM_400000_NS6detail17trampoline_kernelINS0_14default_configENS1_36segmented_radix_sort_config_selectorIhlEEZNS1_25segmented_radix_sort_implIS3_Lb1EPKhPhPKlPlN2at6native12_GLOBAL__N_18offset_tEEE10hipError_tPvRmT1_PNSt15iterator_traitsISK_E10value_typeET2_T3_PNSL_ISQ_E10value_typeET4_jRbjT5_SW_jjP12ihipStream_tbEUlT_E_NS1_11comp_targetILNS1_3genE9ELNS1_11target_archE1100ELNS1_3gpuE3ELNS1_3repE0EEENS1_30default_config_static_selectorELNS0_4arch9wavefront6targetE1EEEvSK_,"axG",@progbits,_ZN7rocprim17ROCPRIM_400000_NS6detail17trampoline_kernelINS0_14default_configENS1_36segmented_radix_sort_config_selectorIhlEEZNS1_25segmented_radix_sort_implIS3_Lb1EPKhPhPKlPlN2at6native12_GLOBAL__N_18offset_tEEE10hipError_tPvRmT1_PNSt15iterator_traitsISK_E10value_typeET2_T3_PNSL_ISQ_E10value_typeET4_jRbjT5_SW_jjP12ihipStream_tbEUlT_E_NS1_11comp_targetILNS1_3genE9ELNS1_11target_archE1100ELNS1_3gpuE3ELNS1_3repE0EEENS1_30default_config_static_selectorELNS0_4arch9wavefront6targetE1EEEvSK_,comdat
.Lfunc_end91:
	.size	_ZN7rocprim17ROCPRIM_400000_NS6detail17trampoline_kernelINS0_14default_configENS1_36segmented_radix_sort_config_selectorIhlEEZNS1_25segmented_radix_sort_implIS3_Lb1EPKhPhPKlPlN2at6native12_GLOBAL__N_18offset_tEEE10hipError_tPvRmT1_PNSt15iterator_traitsISK_E10value_typeET2_T3_PNSL_ISQ_E10value_typeET4_jRbjT5_SW_jjP12ihipStream_tbEUlT_E_NS1_11comp_targetILNS1_3genE9ELNS1_11target_archE1100ELNS1_3gpuE3ELNS1_3repE0EEENS1_30default_config_static_selectorELNS0_4arch9wavefront6targetE1EEEvSK_, .Lfunc_end91-_ZN7rocprim17ROCPRIM_400000_NS6detail17trampoline_kernelINS0_14default_configENS1_36segmented_radix_sort_config_selectorIhlEEZNS1_25segmented_radix_sort_implIS3_Lb1EPKhPhPKlPlN2at6native12_GLOBAL__N_18offset_tEEE10hipError_tPvRmT1_PNSt15iterator_traitsISK_E10value_typeET2_T3_PNSL_ISQ_E10value_typeET4_jRbjT5_SW_jjP12ihipStream_tbEUlT_E_NS1_11comp_targetILNS1_3genE9ELNS1_11target_archE1100ELNS1_3gpuE3ELNS1_3repE0EEENS1_30default_config_static_selectorELNS0_4arch9wavefront6targetE1EEEvSK_
                                        ; -- End function
	.section	.AMDGPU.csdata,"",@progbits
; Kernel info:
; codeLenInByte = 0
; NumSgprs: 4
; NumVgprs: 0
; NumAgprs: 0
; TotalNumVgprs: 0
; ScratchSize: 0
; MemoryBound: 0
; FloatMode: 240
; IeeeMode: 1
; LDSByteSize: 0 bytes/workgroup (compile time only)
; SGPRBlocks: 0
; VGPRBlocks: 0
; NumSGPRsForWavesPerEU: 4
; NumVGPRsForWavesPerEU: 1
; AccumOffset: 4
; Occupancy: 8
; WaveLimiterHint : 0
; COMPUTE_PGM_RSRC2:SCRATCH_EN: 0
; COMPUTE_PGM_RSRC2:USER_SGPR: 6
; COMPUTE_PGM_RSRC2:TRAP_HANDLER: 0
; COMPUTE_PGM_RSRC2:TGID_X_EN: 1
; COMPUTE_PGM_RSRC2:TGID_Y_EN: 0
; COMPUTE_PGM_RSRC2:TGID_Z_EN: 0
; COMPUTE_PGM_RSRC2:TIDIG_COMP_CNT: 0
; COMPUTE_PGM_RSRC3_GFX90A:ACCUM_OFFSET: 0
; COMPUTE_PGM_RSRC3_GFX90A:TG_SPLIT: 0
	.section	.text._ZN7rocprim17ROCPRIM_400000_NS6detail17trampoline_kernelINS0_14default_configENS1_36segmented_radix_sort_config_selectorIhlEEZNS1_25segmented_radix_sort_implIS3_Lb1EPKhPhPKlPlN2at6native12_GLOBAL__N_18offset_tEEE10hipError_tPvRmT1_PNSt15iterator_traitsISK_E10value_typeET2_T3_PNSL_ISQ_E10value_typeET4_jRbjT5_SW_jjP12ihipStream_tbEUlT_E_NS1_11comp_targetILNS1_3genE8ELNS1_11target_archE1030ELNS1_3gpuE2ELNS1_3repE0EEENS1_30default_config_static_selectorELNS0_4arch9wavefront6targetE1EEEvSK_,"axG",@progbits,_ZN7rocprim17ROCPRIM_400000_NS6detail17trampoline_kernelINS0_14default_configENS1_36segmented_radix_sort_config_selectorIhlEEZNS1_25segmented_radix_sort_implIS3_Lb1EPKhPhPKlPlN2at6native12_GLOBAL__N_18offset_tEEE10hipError_tPvRmT1_PNSt15iterator_traitsISK_E10value_typeET2_T3_PNSL_ISQ_E10value_typeET4_jRbjT5_SW_jjP12ihipStream_tbEUlT_E_NS1_11comp_targetILNS1_3genE8ELNS1_11target_archE1030ELNS1_3gpuE2ELNS1_3repE0EEENS1_30default_config_static_selectorELNS0_4arch9wavefront6targetE1EEEvSK_,comdat
	.globl	_ZN7rocprim17ROCPRIM_400000_NS6detail17trampoline_kernelINS0_14default_configENS1_36segmented_radix_sort_config_selectorIhlEEZNS1_25segmented_radix_sort_implIS3_Lb1EPKhPhPKlPlN2at6native12_GLOBAL__N_18offset_tEEE10hipError_tPvRmT1_PNSt15iterator_traitsISK_E10value_typeET2_T3_PNSL_ISQ_E10value_typeET4_jRbjT5_SW_jjP12ihipStream_tbEUlT_E_NS1_11comp_targetILNS1_3genE8ELNS1_11target_archE1030ELNS1_3gpuE2ELNS1_3repE0EEENS1_30default_config_static_selectorELNS0_4arch9wavefront6targetE1EEEvSK_ ; -- Begin function _ZN7rocprim17ROCPRIM_400000_NS6detail17trampoline_kernelINS0_14default_configENS1_36segmented_radix_sort_config_selectorIhlEEZNS1_25segmented_radix_sort_implIS3_Lb1EPKhPhPKlPlN2at6native12_GLOBAL__N_18offset_tEEE10hipError_tPvRmT1_PNSt15iterator_traitsISK_E10value_typeET2_T3_PNSL_ISQ_E10value_typeET4_jRbjT5_SW_jjP12ihipStream_tbEUlT_E_NS1_11comp_targetILNS1_3genE8ELNS1_11target_archE1030ELNS1_3gpuE2ELNS1_3repE0EEENS1_30default_config_static_selectorELNS0_4arch9wavefront6targetE1EEEvSK_
	.p2align	8
	.type	_ZN7rocprim17ROCPRIM_400000_NS6detail17trampoline_kernelINS0_14default_configENS1_36segmented_radix_sort_config_selectorIhlEEZNS1_25segmented_radix_sort_implIS3_Lb1EPKhPhPKlPlN2at6native12_GLOBAL__N_18offset_tEEE10hipError_tPvRmT1_PNSt15iterator_traitsISK_E10value_typeET2_T3_PNSL_ISQ_E10value_typeET4_jRbjT5_SW_jjP12ihipStream_tbEUlT_E_NS1_11comp_targetILNS1_3genE8ELNS1_11target_archE1030ELNS1_3gpuE2ELNS1_3repE0EEENS1_30default_config_static_selectorELNS0_4arch9wavefront6targetE1EEEvSK_,@function
_ZN7rocprim17ROCPRIM_400000_NS6detail17trampoline_kernelINS0_14default_configENS1_36segmented_radix_sort_config_selectorIhlEEZNS1_25segmented_radix_sort_implIS3_Lb1EPKhPhPKlPlN2at6native12_GLOBAL__N_18offset_tEEE10hipError_tPvRmT1_PNSt15iterator_traitsISK_E10value_typeET2_T3_PNSL_ISQ_E10value_typeET4_jRbjT5_SW_jjP12ihipStream_tbEUlT_E_NS1_11comp_targetILNS1_3genE8ELNS1_11target_archE1030ELNS1_3gpuE2ELNS1_3repE0EEENS1_30default_config_static_selectorELNS0_4arch9wavefront6targetE1EEEvSK_: ; @_ZN7rocprim17ROCPRIM_400000_NS6detail17trampoline_kernelINS0_14default_configENS1_36segmented_radix_sort_config_selectorIhlEEZNS1_25segmented_radix_sort_implIS3_Lb1EPKhPhPKlPlN2at6native12_GLOBAL__N_18offset_tEEE10hipError_tPvRmT1_PNSt15iterator_traitsISK_E10value_typeET2_T3_PNSL_ISQ_E10value_typeET4_jRbjT5_SW_jjP12ihipStream_tbEUlT_E_NS1_11comp_targetILNS1_3genE8ELNS1_11target_archE1030ELNS1_3gpuE2ELNS1_3repE0EEENS1_30default_config_static_selectorELNS0_4arch9wavefront6targetE1EEEvSK_
; %bb.0:
	.section	.rodata,"a",@progbits
	.p2align	6, 0x0
	.amdhsa_kernel _ZN7rocprim17ROCPRIM_400000_NS6detail17trampoline_kernelINS0_14default_configENS1_36segmented_radix_sort_config_selectorIhlEEZNS1_25segmented_radix_sort_implIS3_Lb1EPKhPhPKlPlN2at6native12_GLOBAL__N_18offset_tEEE10hipError_tPvRmT1_PNSt15iterator_traitsISK_E10value_typeET2_T3_PNSL_ISQ_E10value_typeET4_jRbjT5_SW_jjP12ihipStream_tbEUlT_E_NS1_11comp_targetILNS1_3genE8ELNS1_11target_archE1030ELNS1_3gpuE2ELNS1_3repE0EEENS1_30default_config_static_selectorELNS0_4arch9wavefront6targetE1EEEvSK_
		.amdhsa_group_segment_fixed_size 0
		.amdhsa_private_segment_fixed_size 0
		.amdhsa_kernarg_size 96
		.amdhsa_user_sgpr_count 6
		.amdhsa_user_sgpr_private_segment_buffer 1
		.amdhsa_user_sgpr_dispatch_ptr 0
		.amdhsa_user_sgpr_queue_ptr 0
		.amdhsa_user_sgpr_kernarg_segment_ptr 1
		.amdhsa_user_sgpr_dispatch_id 0
		.amdhsa_user_sgpr_flat_scratch_init 0
		.amdhsa_user_sgpr_kernarg_preload_length 0
		.amdhsa_user_sgpr_kernarg_preload_offset 0
		.amdhsa_user_sgpr_private_segment_size 0
		.amdhsa_uses_dynamic_stack 0
		.amdhsa_system_sgpr_private_segment_wavefront_offset 0
		.amdhsa_system_sgpr_workgroup_id_x 1
		.amdhsa_system_sgpr_workgroup_id_y 0
		.amdhsa_system_sgpr_workgroup_id_z 0
		.amdhsa_system_sgpr_workgroup_info 0
		.amdhsa_system_vgpr_workitem_id 0
		.amdhsa_next_free_vgpr 1
		.amdhsa_next_free_sgpr 0
		.amdhsa_accum_offset 4
		.amdhsa_reserve_vcc 0
		.amdhsa_reserve_flat_scratch 0
		.amdhsa_float_round_mode_32 0
		.amdhsa_float_round_mode_16_64 0
		.amdhsa_float_denorm_mode_32 3
		.amdhsa_float_denorm_mode_16_64 3
		.amdhsa_dx10_clamp 1
		.amdhsa_ieee_mode 1
		.amdhsa_fp16_overflow 0
		.amdhsa_tg_split 0
		.amdhsa_exception_fp_ieee_invalid_op 0
		.amdhsa_exception_fp_denorm_src 0
		.amdhsa_exception_fp_ieee_div_zero 0
		.amdhsa_exception_fp_ieee_overflow 0
		.amdhsa_exception_fp_ieee_underflow 0
		.amdhsa_exception_fp_ieee_inexact 0
		.amdhsa_exception_int_div_zero 0
	.end_amdhsa_kernel
	.section	.text._ZN7rocprim17ROCPRIM_400000_NS6detail17trampoline_kernelINS0_14default_configENS1_36segmented_radix_sort_config_selectorIhlEEZNS1_25segmented_radix_sort_implIS3_Lb1EPKhPhPKlPlN2at6native12_GLOBAL__N_18offset_tEEE10hipError_tPvRmT1_PNSt15iterator_traitsISK_E10value_typeET2_T3_PNSL_ISQ_E10value_typeET4_jRbjT5_SW_jjP12ihipStream_tbEUlT_E_NS1_11comp_targetILNS1_3genE8ELNS1_11target_archE1030ELNS1_3gpuE2ELNS1_3repE0EEENS1_30default_config_static_selectorELNS0_4arch9wavefront6targetE1EEEvSK_,"axG",@progbits,_ZN7rocprim17ROCPRIM_400000_NS6detail17trampoline_kernelINS0_14default_configENS1_36segmented_radix_sort_config_selectorIhlEEZNS1_25segmented_radix_sort_implIS3_Lb1EPKhPhPKlPlN2at6native12_GLOBAL__N_18offset_tEEE10hipError_tPvRmT1_PNSt15iterator_traitsISK_E10value_typeET2_T3_PNSL_ISQ_E10value_typeET4_jRbjT5_SW_jjP12ihipStream_tbEUlT_E_NS1_11comp_targetILNS1_3genE8ELNS1_11target_archE1030ELNS1_3gpuE2ELNS1_3repE0EEENS1_30default_config_static_selectorELNS0_4arch9wavefront6targetE1EEEvSK_,comdat
.Lfunc_end92:
	.size	_ZN7rocprim17ROCPRIM_400000_NS6detail17trampoline_kernelINS0_14default_configENS1_36segmented_radix_sort_config_selectorIhlEEZNS1_25segmented_radix_sort_implIS3_Lb1EPKhPhPKlPlN2at6native12_GLOBAL__N_18offset_tEEE10hipError_tPvRmT1_PNSt15iterator_traitsISK_E10value_typeET2_T3_PNSL_ISQ_E10value_typeET4_jRbjT5_SW_jjP12ihipStream_tbEUlT_E_NS1_11comp_targetILNS1_3genE8ELNS1_11target_archE1030ELNS1_3gpuE2ELNS1_3repE0EEENS1_30default_config_static_selectorELNS0_4arch9wavefront6targetE1EEEvSK_, .Lfunc_end92-_ZN7rocprim17ROCPRIM_400000_NS6detail17trampoline_kernelINS0_14default_configENS1_36segmented_radix_sort_config_selectorIhlEEZNS1_25segmented_radix_sort_implIS3_Lb1EPKhPhPKlPlN2at6native12_GLOBAL__N_18offset_tEEE10hipError_tPvRmT1_PNSt15iterator_traitsISK_E10value_typeET2_T3_PNSL_ISQ_E10value_typeET4_jRbjT5_SW_jjP12ihipStream_tbEUlT_E_NS1_11comp_targetILNS1_3genE8ELNS1_11target_archE1030ELNS1_3gpuE2ELNS1_3repE0EEENS1_30default_config_static_selectorELNS0_4arch9wavefront6targetE1EEEvSK_
                                        ; -- End function
	.section	.AMDGPU.csdata,"",@progbits
; Kernel info:
; codeLenInByte = 0
; NumSgprs: 4
; NumVgprs: 0
; NumAgprs: 0
; TotalNumVgprs: 0
; ScratchSize: 0
; MemoryBound: 0
; FloatMode: 240
; IeeeMode: 1
; LDSByteSize: 0 bytes/workgroup (compile time only)
; SGPRBlocks: 0
; VGPRBlocks: 0
; NumSGPRsForWavesPerEU: 4
; NumVGPRsForWavesPerEU: 1
; AccumOffset: 4
; Occupancy: 8
; WaveLimiterHint : 0
; COMPUTE_PGM_RSRC2:SCRATCH_EN: 0
; COMPUTE_PGM_RSRC2:USER_SGPR: 6
; COMPUTE_PGM_RSRC2:TRAP_HANDLER: 0
; COMPUTE_PGM_RSRC2:TGID_X_EN: 1
; COMPUTE_PGM_RSRC2:TGID_Y_EN: 0
; COMPUTE_PGM_RSRC2:TGID_Z_EN: 0
; COMPUTE_PGM_RSRC2:TIDIG_COMP_CNT: 0
; COMPUTE_PGM_RSRC3_GFX90A:ACCUM_OFFSET: 0
; COMPUTE_PGM_RSRC3_GFX90A:TG_SPLIT: 0
	.section	.text._ZN7rocprim17ROCPRIM_400000_NS6detail17trampoline_kernelINS0_14default_configENS1_36segmented_radix_sort_config_selectorIhlEEZNS1_25segmented_radix_sort_implIS3_Lb1EPKhPhPKlPlN2at6native12_GLOBAL__N_18offset_tEEE10hipError_tPvRmT1_PNSt15iterator_traitsISK_E10value_typeET2_T3_PNSL_ISQ_E10value_typeET4_jRbjT5_SW_jjP12ihipStream_tbEUlT_E0_NS1_11comp_targetILNS1_3genE0ELNS1_11target_archE4294967295ELNS1_3gpuE0ELNS1_3repE0EEENS1_60segmented_radix_sort_warp_sort_medium_config_static_selectorELNS0_4arch9wavefront6targetE1EEEvSK_,"axG",@progbits,_ZN7rocprim17ROCPRIM_400000_NS6detail17trampoline_kernelINS0_14default_configENS1_36segmented_radix_sort_config_selectorIhlEEZNS1_25segmented_radix_sort_implIS3_Lb1EPKhPhPKlPlN2at6native12_GLOBAL__N_18offset_tEEE10hipError_tPvRmT1_PNSt15iterator_traitsISK_E10value_typeET2_T3_PNSL_ISQ_E10value_typeET4_jRbjT5_SW_jjP12ihipStream_tbEUlT_E0_NS1_11comp_targetILNS1_3genE0ELNS1_11target_archE4294967295ELNS1_3gpuE0ELNS1_3repE0EEENS1_60segmented_radix_sort_warp_sort_medium_config_static_selectorELNS0_4arch9wavefront6targetE1EEEvSK_,comdat
	.globl	_ZN7rocprim17ROCPRIM_400000_NS6detail17trampoline_kernelINS0_14default_configENS1_36segmented_radix_sort_config_selectorIhlEEZNS1_25segmented_radix_sort_implIS3_Lb1EPKhPhPKlPlN2at6native12_GLOBAL__N_18offset_tEEE10hipError_tPvRmT1_PNSt15iterator_traitsISK_E10value_typeET2_T3_PNSL_ISQ_E10value_typeET4_jRbjT5_SW_jjP12ihipStream_tbEUlT_E0_NS1_11comp_targetILNS1_3genE0ELNS1_11target_archE4294967295ELNS1_3gpuE0ELNS1_3repE0EEENS1_60segmented_radix_sort_warp_sort_medium_config_static_selectorELNS0_4arch9wavefront6targetE1EEEvSK_ ; -- Begin function _ZN7rocprim17ROCPRIM_400000_NS6detail17trampoline_kernelINS0_14default_configENS1_36segmented_radix_sort_config_selectorIhlEEZNS1_25segmented_radix_sort_implIS3_Lb1EPKhPhPKlPlN2at6native12_GLOBAL__N_18offset_tEEE10hipError_tPvRmT1_PNSt15iterator_traitsISK_E10value_typeET2_T3_PNSL_ISQ_E10value_typeET4_jRbjT5_SW_jjP12ihipStream_tbEUlT_E0_NS1_11comp_targetILNS1_3genE0ELNS1_11target_archE4294967295ELNS1_3gpuE0ELNS1_3repE0EEENS1_60segmented_radix_sort_warp_sort_medium_config_static_selectorELNS0_4arch9wavefront6targetE1EEEvSK_
	.p2align	8
	.type	_ZN7rocprim17ROCPRIM_400000_NS6detail17trampoline_kernelINS0_14default_configENS1_36segmented_radix_sort_config_selectorIhlEEZNS1_25segmented_radix_sort_implIS3_Lb1EPKhPhPKlPlN2at6native12_GLOBAL__N_18offset_tEEE10hipError_tPvRmT1_PNSt15iterator_traitsISK_E10value_typeET2_T3_PNSL_ISQ_E10value_typeET4_jRbjT5_SW_jjP12ihipStream_tbEUlT_E0_NS1_11comp_targetILNS1_3genE0ELNS1_11target_archE4294967295ELNS1_3gpuE0ELNS1_3repE0EEENS1_60segmented_radix_sort_warp_sort_medium_config_static_selectorELNS0_4arch9wavefront6targetE1EEEvSK_,@function
_ZN7rocprim17ROCPRIM_400000_NS6detail17trampoline_kernelINS0_14default_configENS1_36segmented_radix_sort_config_selectorIhlEEZNS1_25segmented_radix_sort_implIS3_Lb1EPKhPhPKlPlN2at6native12_GLOBAL__N_18offset_tEEE10hipError_tPvRmT1_PNSt15iterator_traitsISK_E10value_typeET2_T3_PNSL_ISQ_E10value_typeET4_jRbjT5_SW_jjP12ihipStream_tbEUlT_E0_NS1_11comp_targetILNS1_3genE0ELNS1_11target_archE4294967295ELNS1_3gpuE0ELNS1_3repE0EEENS1_60segmented_radix_sort_warp_sort_medium_config_static_selectorELNS0_4arch9wavefront6targetE1EEEvSK_: ; @_ZN7rocprim17ROCPRIM_400000_NS6detail17trampoline_kernelINS0_14default_configENS1_36segmented_radix_sort_config_selectorIhlEEZNS1_25segmented_radix_sort_implIS3_Lb1EPKhPhPKlPlN2at6native12_GLOBAL__N_18offset_tEEE10hipError_tPvRmT1_PNSt15iterator_traitsISK_E10value_typeET2_T3_PNSL_ISQ_E10value_typeET4_jRbjT5_SW_jjP12ihipStream_tbEUlT_E0_NS1_11comp_targetILNS1_3genE0ELNS1_11target_archE4294967295ELNS1_3gpuE0ELNS1_3repE0EEENS1_60segmented_radix_sort_warp_sort_medium_config_static_selectorELNS0_4arch9wavefront6targetE1EEEvSK_
; %bb.0:
	.section	.rodata,"a",@progbits
	.p2align	6, 0x0
	.amdhsa_kernel _ZN7rocprim17ROCPRIM_400000_NS6detail17trampoline_kernelINS0_14default_configENS1_36segmented_radix_sort_config_selectorIhlEEZNS1_25segmented_radix_sort_implIS3_Lb1EPKhPhPKlPlN2at6native12_GLOBAL__N_18offset_tEEE10hipError_tPvRmT1_PNSt15iterator_traitsISK_E10value_typeET2_T3_PNSL_ISQ_E10value_typeET4_jRbjT5_SW_jjP12ihipStream_tbEUlT_E0_NS1_11comp_targetILNS1_3genE0ELNS1_11target_archE4294967295ELNS1_3gpuE0ELNS1_3repE0EEENS1_60segmented_radix_sort_warp_sort_medium_config_static_selectorELNS0_4arch9wavefront6targetE1EEEvSK_
		.amdhsa_group_segment_fixed_size 0
		.amdhsa_private_segment_fixed_size 0
		.amdhsa_kernarg_size 88
		.amdhsa_user_sgpr_count 6
		.amdhsa_user_sgpr_private_segment_buffer 1
		.amdhsa_user_sgpr_dispatch_ptr 0
		.amdhsa_user_sgpr_queue_ptr 0
		.amdhsa_user_sgpr_kernarg_segment_ptr 1
		.amdhsa_user_sgpr_dispatch_id 0
		.amdhsa_user_sgpr_flat_scratch_init 0
		.amdhsa_user_sgpr_kernarg_preload_length 0
		.amdhsa_user_sgpr_kernarg_preload_offset 0
		.amdhsa_user_sgpr_private_segment_size 0
		.amdhsa_uses_dynamic_stack 0
		.amdhsa_system_sgpr_private_segment_wavefront_offset 0
		.amdhsa_system_sgpr_workgroup_id_x 1
		.amdhsa_system_sgpr_workgroup_id_y 0
		.amdhsa_system_sgpr_workgroup_id_z 0
		.amdhsa_system_sgpr_workgroup_info 0
		.amdhsa_system_vgpr_workitem_id 0
		.amdhsa_next_free_vgpr 1
		.amdhsa_next_free_sgpr 0
		.amdhsa_accum_offset 4
		.amdhsa_reserve_vcc 0
		.amdhsa_reserve_flat_scratch 0
		.amdhsa_float_round_mode_32 0
		.amdhsa_float_round_mode_16_64 0
		.amdhsa_float_denorm_mode_32 3
		.amdhsa_float_denorm_mode_16_64 3
		.amdhsa_dx10_clamp 1
		.amdhsa_ieee_mode 1
		.amdhsa_fp16_overflow 0
		.amdhsa_tg_split 0
		.amdhsa_exception_fp_ieee_invalid_op 0
		.amdhsa_exception_fp_denorm_src 0
		.amdhsa_exception_fp_ieee_div_zero 0
		.amdhsa_exception_fp_ieee_overflow 0
		.amdhsa_exception_fp_ieee_underflow 0
		.amdhsa_exception_fp_ieee_inexact 0
		.amdhsa_exception_int_div_zero 0
	.end_amdhsa_kernel
	.section	.text._ZN7rocprim17ROCPRIM_400000_NS6detail17trampoline_kernelINS0_14default_configENS1_36segmented_radix_sort_config_selectorIhlEEZNS1_25segmented_radix_sort_implIS3_Lb1EPKhPhPKlPlN2at6native12_GLOBAL__N_18offset_tEEE10hipError_tPvRmT1_PNSt15iterator_traitsISK_E10value_typeET2_T3_PNSL_ISQ_E10value_typeET4_jRbjT5_SW_jjP12ihipStream_tbEUlT_E0_NS1_11comp_targetILNS1_3genE0ELNS1_11target_archE4294967295ELNS1_3gpuE0ELNS1_3repE0EEENS1_60segmented_radix_sort_warp_sort_medium_config_static_selectorELNS0_4arch9wavefront6targetE1EEEvSK_,"axG",@progbits,_ZN7rocprim17ROCPRIM_400000_NS6detail17trampoline_kernelINS0_14default_configENS1_36segmented_radix_sort_config_selectorIhlEEZNS1_25segmented_radix_sort_implIS3_Lb1EPKhPhPKlPlN2at6native12_GLOBAL__N_18offset_tEEE10hipError_tPvRmT1_PNSt15iterator_traitsISK_E10value_typeET2_T3_PNSL_ISQ_E10value_typeET4_jRbjT5_SW_jjP12ihipStream_tbEUlT_E0_NS1_11comp_targetILNS1_3genE0ELNS1_11target_archE4294967295ELNS1_3gpuE0ELNS1_3repE0EEENS1_60segmented_radix_sort_warp_sort_medium_config_static_selectorELNS0_4arch9wavefront6targetE1EEEvSK_,comdat
.Lfunc_end93:
	.size	_ZN7rocprim17ROCPRIM_400000_NS6detail17trampoline_kernelINS0_14default_configENS1_36segmented_radix_sort_config_selectorIhlEEZNS1_25segmented_radix_sort_implIS3_Lb1EPKhPhPKlPlN2at6native12_GLOBAL__N_18offset_tEEE10hipError_tPvRmT1_PNSt15iterator_traitsISK_E10value_typeET2_T3_PNSL_ISQ_E10value_typeET4_jRbjT5_SW_jjP12ihipStream_tbEUlT_E0_NS1_11comp_targetILNS1_3genE0ELNS1_11target_archE4294967295ELNS1_3gpuE0ELNS1_3repE0EEENS1_60segmented_radix_sort_warp_sort_medium_config_static_selectorELNS0_4arch9wavefront6targetE1EEEvSK_, .Lfunc_end93-_ZN7rocprim17ROCPRIM_400000_NS6detail17trampoline_kernelINS0_14default_configENS1_36segmented_radix_sort_config_selectorIhlEEZNS1_25segmented_radix_sort_implIS3_Lb1EPKhPhPKlPlN2at6native12_GLOBAL__N_18offset_tEEE10hipError_tPvRmT1_PNSt15iterator_traitsISK_E10value_typeET2_T3_PNSL_ISQ_E10value_typeET4_jRbjT5_SW_jjP12ihipStream_tbEUlT_E0_NS1_11comp_targetILNS1_3genE0ELNS1_11target_archE4294967295ELNS1_3gpuE0ELNS1_3repE0EEENS1_60segmented_radix_sort_warp_sort_medium_config_static_selectorELNS0_4arch9wavefront6targetE1EEEvSK_
                                        ; -- End function
	.section	.AMDGPU.csdata,"",@progbits
; Kernel info:
; codeLenInByte = 0
; NumSgprs: 4
; NumVgprs: 0
; NumAgprs: 0
; TotalNumVgprs: 0
; ScratchSize: 0
; MemoryBound: 0
; FloatMode: 240
; IeeeMode: 1
; LDSByteSize: 0 bytes/workgroup (compile time only)
; SGPRBlocks: 0
; VGPRBlocks: 0
; NumSGPRsForWavesPerEU: 4
; NumVGPRsForWavesPerEU: 1
; AccumOffset: 4
; Occupancy: 8
; WaveLimiterHint : 0
; COMPUTE_PGM_RSRC2:SCRATCH_EN: 0
; COMPUTE_PGM_RSRC2:USER_SGPR: 6
; COMPUTE_PGM_RSRC2:TRAP_HANDLER: 0
; COMPUTE_PGM_RSRC2:TGID_X_EN: 1
; COMPUTE_PGM_RSRC2:TGID_Y_EN: 0
; COMPUTE_PGM_RSRC2:TGID_Z_EN: 0
; COMPUTE_PGM_RSRC2:TIDIG_COMP_CNT: 0
; COMPUTE_PGM_RSRC3_GFX90A:ACCUM_OFFSET: 0
; COMPUTE_PGM_RSRC3_GFX90A:TG_SPLIT: 0
	.section	.text._ZN7rocprim17ROCPRIM_400000_NS6detail17trampoline_kernelINS0_14default_configENS1_36segmented_radix_sort_config_selectorIhlEEZNS1_25segmented_radix_sort_implIS3_Lb1EPKhPhPKlPlN2at6native12_GLOBAL__N_18offset_tEEE10hipError_tPvRmT1_PNSt15iterator_traitsISK_E10value_typeET2_T3_PNSL_ISQ_E10value_typeET4_jRbjT5_SW_jjP12ihipStream_tbEUlT_E0_NS1_11comp_targetILNS1_3genE5ELNS1_11target_archE942ELNS1_3gpuE9ELNS1_3repE0EEENS1_60segmented_radix_sort_warp_sort_medium_config_static_selectorELNS0_4arch9wavefront6targetE1EEEvSK_,"axG",@progbits,_ZN7rocprim17ROCPRIM_400000_NS6detail17trampoline_kernelINS0_14default_configENS1_36segmented_radix_sort_config_selectorIhlEEZNS1_25segmented_radix_sort_implIS3_Lb1EPKhPhPKlPlN2at6native12_GLOBAL__N_18offset_tEEE10hipError_tPvRmT1_PNSt15iterator_traitsISK_E10value_typeET2_T3_PNSL_ISQ_E10value_typeET4_jRbjT5_SW_jjP12ihipStream_tbEUlT_E0_NS1_11comp_targetILNS1_3genE5ELNS1_11target_archE942ELNS1_3gpuE9ELNS1_3repE0EEENS1_60segmented_radix_sort_warp_sort_medium_config_static_selectorELNS0_4arch9wavefront6targetE1EEEvSK_,comdat
	.globl	_ZN7rocprim17ROCPRIM_400000_NS6detail17trampoline_kernelINS0_14default_configENS1_36segmented_radix_sort_config_selectorIhlEEZNS1_25segmented_radix_sort_implIS3_Lb1EPKhPhPKlPlN2at6native12_GLOBAL__N_18offset_tEEE10hipError_tPvRmT1_PNSt15iterator_traitsISK_E10value_typeET2_T3_PNSL_ISQ_E10value_typeET4_jRbjT5_SW_jjP12ihipStream_tbEUlT_E0_NS1_11comp_targetILNS1_3genE5ELNS1_11target_archE942ELNS1_3gpuE9ELNS1_3repE0EEENS1_60segmented_radix_sort_warp_sort_medium_config_static_selectorELNS0_4arch9wavefront6targetE1EEEvSK_ ; -- Begin function _ZN7rocprim17ROCPRIM_400000_NS6detail17trampoline_kernelINS0_14default_configENS1_36segmented_radix_sort_config_selectorIhlEEZNS1_25segmented_radix_sort_implIS3_Lb1EPKhPhPKlPlN2at6native12_GLOBAL__N_18offset_tEEE10hipError_tPvRmT1_PNSt15iterator_traitsISK_E10value_typeET2_T3_PNSL_ISQ_E10value_typeET4_jRbjT5_SW_jjP12ihipStream_tbEUlT_E0_NS1_11comp_targetILNS1_3genE5ELNS1_11target_archE942ELNS1_3gpuE9ELNS1_3repE0EEENS1_60segmented_radix_sort_warp_sort_medium_config_static_selectorELNS0_4arch9wavefront6targetE1EEEvSK_
	.p2align	8
	.type	_ZN7rocprim17ROCPRIM_400000_NS6detail17trampoline_kernelINS0_14default_configENS1_36segmented_radix_sort_config_selectorIhlEEZNS1_25segmented_radix_sort_implIS3_Lb1EPKhPhPKlPlN2at6native12_GLOBAL__N_18offset_tEEE10hipError_tPvRmT1_PNSt15iterator_traitsISK_E10value_typeET2_T3_PNSL_ISQ_E10value_typeET4_jRbjT5_SW_jjP12ihipStream_tbEUlT_E0_NS1_11comp_targetILNS1_3genE5ELNS1_11target_archE942ELNS1_3gpuE9ELNS1_3repE0EEENS1_60segmented_radix_sort_warp_sort_medium_config_static_selectorELNS0_4arch9wavefront6targetE1EEEvSK_,@function
_ZN7rocprim17ROCPRIM_400000_NS6detail17trampoline_kernelINS0_14default_configENS1_36segmented_radix_sort_config_selectorIhlEEZNS1_25segmented_radix_sort_implIS3_Lb1EPKhPhPKlPlN2at6native12_GLOBAL__N_18offset_tEEE10hipError_tPvRmT1_PNSt15iterator_traitsISK_E10value_typeET2_T3_PNSL_ISQ_E10value_typeET4_jRbjT5_SW_jjP12ihipStream_tbEUlT_E0_NS1_11comp_targetILNS1_3genE5ELNS1_11target_archE942ELNS1_3gpuE9ELNS1_3repE0EEENS1_60segmented_radix_sort_warp_sort_medium_config_static_selectorELNS0_4arch9wavefront6targetE1EEEvSK_: ; @_ZN7rocprim17ROCPRIM_400000_NS6detail17trampoline_kernelINS0_14default_configENS1_36segmented_radix_sort_config_selectorIhlEEZNS1_25segmented_radix_sort_implIS3_Lb1EPKhPhPKlPlN2at6native12_GLOBAL__N_18offset_tEEE10hipError_tPvRmT1_PNSt15iterator_traitsISK_E10value_typeET2_T3_PNSL_ISQ_E10value_typeET4_jRbjT5_SW_jjP12ihipStream_tbEUlT_E0_NS1_11comp_targetILNS1_3genE5ELNS1_11target_archE942ELNS1_3gpuE9ELNS1_3repE0EEENS1_60segmented_radix_sort_warp_sort_medium_config_static_selectorELNS0_4arch9wavefront6targetE1EEEvSK_
; %bb.0:
	.section	.rodata,"a",@progbits
	.p2align	6, 0x0
	.amdhsa_kernel _ZN7rocprim17ROCPRIM_400000_NS6detail17trampoline_kernelINS0_14default_configENS1_36segmented_radix_sort_config_selectorIhlEEZNS1_25segmented_radix_sort_implIS3_Lb1EPKhPhPKlPlN2at6native12_GLOBAL__N_18offset_tEEE10hipError_tPvRmT1_PNSt15iterator_traitsISK_E10value_typeET2_T3_PNSL_ISQ_E10value_typeET4_jRbjT5_SW_jjP12ihipStream_tbEUlT_E0_NS1_11comp_targetILNS1_3genE5ELNS1_11target_archE942ELNS1_3gpuE9ELNS1_3repE0EEENS1_60segmented_radix_sort_warp_sort_medium_config_static_selectorELNS0_4arch9wavefront6targetE1EEEvSK_
		.amdhsa_group_segment_fixed_size 0
		.amdhsa_private_segment_fixed_size 0
		.amdhsa_kernarg_size 88
		.amdhsa_user_sgpr_count 6
		.amdhsa_user_sgpr_private_segment_buffer 1
		.amdhsa_user_sgpr_dispatch_ptr 0
		.amdhsa_user_sgpr_queue_ptr 0
		.amdhsa_user_sgpr_kernarg_segment_ptr 1
		.amdhsa_user_sgpr_dispatch_id 0
		.amdhsa_user_sgpr_flat_scratch_init 0
		.amdhsa_user_sgpr_kernarg_preload_length 0
		.amdhsa_user_sgpr_kernarg_preload_offset 0
		.amdhsa_user_sgpr_private_segment_size 0
		.amdhsa_uses_dynamic_stack 0
		.amdhsa_system_sgpr_private_segment_wavefront_offset 0
		.amdhsa_system_sgpr_workgroup_id_x 1
		.amdhsa_system_sgpr_workgroup_id_y 0
		.amdhsa_system_sgpr_workgroup_id_z 0
		.amdhsa_system_sgpr_workgroup_info 0
		.amdhsa_system_vgpr_workitem_id 0
		.amdhsa_next_free_vgpr 1
		.amdhsa_next_free_sgpr 0
		.amdhsa_accum_offset 4
		.amdhsa_reserve_vcc 0
		.amdhsa_reserve_flat_scratch 0
		.amdhsa_float_round_mode_32 0
		.amdhsa_float_round_mode_16_64 0
		.amdhsa_float_denorm_mode_32 3
		.amdhsa_float_denorm_mode_16_64 3
		.amdhsa_dx10_clamp 1
		.amdhsa_ieee_mode 1
		.amdhsa_fp16_overflow 0
		.amdhsa_tg_split 0
		.amdhsa_exception_fp_ieee_invalid_op 0
		.amdhsa_exception_fp_denorm_src 0
		.amdhsa_exception_fp_ieee_div_zero 0
		.amdhsa_exception_fp_ieee_overflow 0
		.amdhsa_exception_fp_ieee_underflow 0
		.amdhsa_exception_fp_ieee_inexact 0
		.amdhsa_exception_int_div_zero 0
	.end_amdhsa_kernel
	.section	.text._ZN7rocprim17ROCPRIM_400000_NS6detail17trampoline_kernelINS0_14default_configENS1_36segmented_radix_sort_config_selectorIhlEEZNS1_25segmented_radix_sort_implIS3_Lb1EPKhPhPKlPlN2at6native12_GLOBAL__N_18offset_tEEE10hipError_tPvRmT1_PNSt15iterator_traitsISK_E10value_typeET2_T3_PNSL_ISQ_E10value_typeET4_jRbjT5_SW_jjP12ihipStream_tbEUlT_E0_NS1_11comp_targetILNS1_3genE5ELNS1_11target_archE942ELNS1_3gpuE9ELNS1_3repE0EEENS1_60segmented_radix_sort_warp_sort_medium_config_static_selectorELNS0_4arch9wavefront6targetE1EEEvSK_,"axG",@progbits,_ZN7rocprim17ROCPRIM_400000_NS6detail17trampoline_kernelINS0_14default_configENS1_36segmented_radix_sort_config_selectorIhlEEZNS1_25segmented_radix_sort_implIS3_Lb1EPKhPhPKlPlN2at6native12_GLOBAL__N_18offset_tEEE10hipError_tPvRmT1_PNSt15iterator_traitsISK_E10value_typeET2_T3_PNSL_ISQ_E10value_typeET4_jRbjT5_SW_jjP12ihipStream_tbEUlT_E0_NS1_11comp_targetILNS1_3genE5ELNS1_11target_archE942ELNS1_3gpuE9ELNS1_3repE0EEENS1_60segmented_radix_sort_warp_sort_medium_config_static_selectorELNS0_4arch9wavefront6targetE1EEEvSK_,comdat
.Lfunc_end94:
	.size	_ZN7rocprim17ROCPRIM_400000_NS6detail17trampoline_kernelINS0_14default_configENS1_36segmented_radix_sort_config_selectorIhlEEZNS1_25segmented_radix_sort_implIS3_Lb1EPKhPhPKlPlN2at6native12_GLOBAL__N_18offset_tEEE10hipError_tPvRmT1_PNSt15iterator_traitsISK_E10value_typeET2_T3_PNSL_ISQ_E10value_typeET4_jRbjT5_SW_jjP12ihipStream_tbEUlT_E0_NS1_11comp_targetILNS1_3genE5ELNS1_11target_archE942ELNS1_3gpuE9ELNS1_3repE0EEENS1_60segmented_radix_sort_warp_sort_medium_config_static_selectorELNS0_4arch9wavefront6targetE1EEEvSK_, .Lfunc_end94-_ZN7rocprim17ROCPRIM_400000_NS6detail17trampoline_kernelINS0_14default_configENS1_36segmented_radix_sort_config_selectorIhlEEZNS1_25segmented_radix_sort_implIS3_Lb1EPKhPhPKlPlN2at6native12_GLOBAL__N_18offset_tEEE10hipError_tPvRmT1_PNSt15iterator_traitsISK_E10value_typeET2_T3_PNSL_ISQ_E10value_typeET4_jRbjT5_SW_jjP12ihipStream_tbEUlT_E0_NS1_11comp_targetILNS1_3genE5ELNS1_11target_archE942ELNS1_3gpuE9ELNS1_3repE0EEENS1_60segmented_radix_sort_warp_sort_medium_config_static_selectorELNS0_4arch9wavefront6targetE1EEEvSK_
                                        ; -- End function
	.section	.AMDGPU.csdata,"",@progbits
; Kernel info:
; codeLenInByte = 0
; NumSgprs: 4
; NumVgprs: 0
; NumAgprs: 0
; TotalNumVgprs: 0
; ScratchSize: 0
; MemoryBound: 0
; FloatMode: 240
; IeeeMode: 1
; LDSByteSize: 0 bytes/workgroup (compile time only)
; SGPRBlocks: 0
; VGPRBlocks: 0
; NumSGPRsForWavesPerEU: 4
; NumVGPRsForWavesPerEU: 1
; AccumOffset: 4
; Occupancy: 8
; WaveLimiterHint : 0
; COMPUTE_PGM_RSRC2:SCRATCH_EN: 0
; COMPUTE_PGM_RSRC2:USER_SGPR: 6
; COMPUTE_PGM_RSRC2:TRAP_HANDLER: 0
; COMPUTE_PGM_RSRC2:TGID_X_EN: 1
; COMPUTE_PGM_RSRC2:TGID_Y_EN: 0
; COMPUTE_PGM_RSRC2:TGID_Z_EN: 0
; COMPUTE_PGM_RSRC2:TIDIG_COMP_CNT: 0
; COMPUTE_PGM_RSRC3_GFX90A:ACCUM_OFFSET: 0
; COMPUTE_PGM_RSRC3_GFX90A:TG_SPLIT: 0
	.text
	.p2align	2                               ; -- Begin function _ZN7rocprim17ROCPRIM_400000_NS6detail26segmented_warp_sort_helperINS1_20WarpSortHelperConfigILj16ELj8ELj256EEEhlLi256ELb1EvE4sortIPKhPhPKlPlEEvT_T0_T1_T2_jjjjRNS5_12storage_typeE
	.type	_ZN7rocprim17ROCPRIM_400000_NS6detail26segmented_warp_sort_helperINS1_20WarpSortHelperConfigILj16ELj8ELj256EEEhlLi256ELb1EvE4sortIPKhPhPKlPlEEvT_T0_T1_T2_jjjjRNS5_12storage_typeE,@function
_ZN7rocprim17ROCPRIM_400000_NS6detail26segmented_warp_sort_helperINS1_20WarpSortHelperConfigILj16ELj8ELj256EEEhlLi256ELb1EvE4sortIPKhPhPKlPlEEvT_T0_T1_T2_jjjjRNS5_12storage_typeE: ; @_ZN7rocprim17ROCPRIM_400000_NS6detail26segmented_warp_sort_helperINS1_20WarpSortHelperConfigILj16ELj8ELj256EEEhlLi256ELb1EvE4sortIPKhPhPKlPlEEvT_T0_T1_T2_jjjjRNS5_12storage_typeE
; %bb.0:
	s_waitcnt vmcnt(0) expcnt(0) lgkmcnt(0)
	s_or_saveexec_b64 s[4:5], -1
	buffer_store_dword v40, off, s[0:3], s32 ; 4-byte Folded Spill
	s_mov_b64 exec, s[4:5]
	v_writelane_b32 v40, s34, 0
	v_writelane_b32 v40, s35, 1
	;; [unrolled: 1-line block ×12, first 2 shown]
	v_add_co_u32_e32 v12, vcc, v0, v8
	v_mbcnt_lo_u32_b32 v0, -1, 0
	v_mbcnt_hi_u32_b32 v0, -1, v0
	v_addc_co_u32_e32 v13, vcc, 0, v1, vcc
	v_lshlrev_b32_e32 v1, 3, v0
	v_and_b32_e32 v0, 0x78, v1
	s_mov_b32 s4, 0
	v_add_co_u32_e32 v12, vcc, v12, v0
	v_sub_u32_e32 v14, v9, v8
	v_addc_co_u32_e32 v13, vcc, 0, v13, vcc
	s_mov_b32 s5, s4
	v_mov_b32_e32 v9, 0
	v_cmp_lt_u32_e32 vcc, v0, v14
	v_pk_mov_b32 v[24:25], s[4:5], s[4:5] op_sel:[0,1]
	s_and_saveexec_b64 s[6:7], vcc
	s_cbranch_execz .LBB95_2
; %bb.1:
	flat_load_ubyte v15, v[12:13]
	v_mov_b32_e32 v25, s4
	s_waitcnt vmcnt(0) lgkmcnt(0)
	v_and_b32_e32 v24, 0xffff, v15
.LBB95_2:
	s_or_b64 exec, exec, s[6:7]
	v_or_b32_e32 v15, 1, v0
	v_cmp_lt_u32_e64 s[4:5], v15, v14
	s_and_saveexec_b64 s[6:7], s[4:5]
	s_cbranch_execz .LBB95_4
; %bb.3:
	flat_load_ubyte v15, v[12:13] offset:1
	s_mov_b32 s10, 0x7060004
	s_waitcnt vmcnt(0) lgkmcnt(0)
	v_perm_b32 v24, v24, v15, s10
.LBB95_4:
	s_or_b64 exec, exec, s[6:7]
	v_or_b32_e32 v15, 2, v0
	v_cmp_lt_u32_e64 s[6:7], v15, v14
	s_and_saveexec_b64 s[10:11], s[6:7]
	s_cbranch_execz .LBB95_6
; %bb.5:
	flat_load_ubyte v15, v[12:13] offset:2
	s_movk_i32 s14, 0xff00
	v_and_b32_sdwa v16, v24, s14 dst_sel:DWORD dst_unused:UNUSED_PAD src0_sel:WORD_1 src1_sel:DWORD
	s_mov_b32 s14, 0xffff
	s_waitcnt vmcnt(0) lgkmcnt(0)
	v_or_b32_sdwa v15, v15, v16 dst_sel:WORD_1 dst_unused:UNUSED_PAD src0_sel:DWORD src1_sel:DWORD
	v_and_or_b32 v24, v24, s14, v15
.LBB95_6:
	s_or_b64 exec, exec, s[10:11]
	v_or_b32_e32 v15, 3, v0
	v_cmp_lt_u32_e64 s[18:19], v15, v14
	s_and_saveexec_b64 s[10:11], s[18:19]
	s_cbranch_execz .LBB95_8
; %bb.7:
	flat_load_ubyte v15, v[12:13] offset:3
	s_movk_i32 s14, 0xff
	v_and_b32_sdwa v16, v24, s14 dst_sel:DWORD dst_unused:UNUSED_PAD src0_sel:WORD_1 src1_sel:DWORD
	s_mov_b32 s14, 0xffff
	s_waitcnt vmcnt(0) lgkmcnt(0)
	v_lshlrev_b16_e32 v15, 8, v15
	v_or_b32_sdwa v15, v16, v15 dst_sel:WORD_1 dst_unused:UNUSED_PAD src0_sel:DWORD src1_sel:DWORD
	v_and_or_b32 v24, v24, s14, v15
.LBB95_8:
	s_or_b64 exec, exec, s[10:11]
	v_or_b32_e32 v15, 4, v0
	v_cmp_lt_u32_e64 s[10:11], v15, v14
	s_and_saveexec_b64 s[14:15], s[10:11]
	s_cbranch_execz .LBB95_10
; %bb.9:
	flat_load_ubyte v15, v[12:13] offset:4
	s_mov_b32 s16, 0x3020104
	s_waitcnt vmcnt(0) lgkmcnt(0)
	v_perm_b32 v25, v15, v25, s16
.LBB95_10:
	s_or_b64 exec, exec, s[14:15]
	v_or_b32_e32 v15, 5, v0
	v_cmp_lt_u32_e64 s[24:25], v15, v14
	s_and_saveexec_b64 s[14:15], s[24:25]
	s_cbranch_execz .LBB95_12
; %bb.11:
	flat_load_ubyte v15, v[12:13] offset:5
	s_mov_b32 s16, 0x7060004
	s_waitcnt vmcnt(0) lgkmcnt(0)
	v_perm_b32 v25, v25, v15, s16
.LBB95_12:
	;; [unrolled: 11-line block ×4, first 2 shown]
	s_or_b64 exec, exec, s[20:21]
	v_lshlrev_b64 v[12:13], 3, v[8:9]
	v_add_co_u32_e64 v4, s[20:21], v4, v12
	v_addc_co_u32_e64 v5, s[20:21], v5, v13, s[20:21]
	v_lshlrev_b32_e32 v9, 3, v0
	v_add_co_u32_e64 v32, s[20:21], v4, v9
	v_addc_co_u32_e64 v33, s[20:21], 0, v5, s[20:21]
	; wave barrier
                                        ; implicit-def: $vgpr4_vgpr5
	s_and_saveexec_b64 s[20:21], vcc
	s_cbranch_execnz .LBB95_136
; %bb.17:
	s_or_b64 exec, exec, s[20:21]
                                        ; implicit-def: $vgpr16_vgpr17
	s_and_saveexec_b64 s[20:21], s[4:5]
	s_cbranch_execnz .LBB95_137
.LBB95_18:
	s_or_b64 exec, exec, s[20:21]
                                        ; implicit-def: $vgpr14_vgpr15
	s_and_saveexec_b64 s[20:21], s[6:7]
	s_cbranch_execnz .LBB95_138
.LBB95_19:
	s_or_b64 exec, exec, s[20:21]
                                        ; implicit-def: $vgpr18_vgpr19
	s_and_saveexec_b64 s[20:21], s[18:19]
	s_cbranch_execnz .LBB95_139
.LBB95_20:
	s_or_b64 exec, exec, s[20:21]
                                        ; implicit-def: $vgpr20_vgpr21
	s_and_saveexec_b64 s[20:21], s[10:11]
	s_cbranch_execnz .LBB95_140
.LBB95_21:
	s_or_b64 exec, exec, s[20:21]
                                        ; implicit-def: $vgpr22_vgpr23
	s_and_saveexec_b64 s[20:21], s[24:25]
	s_cbranch_execnz .LBB95_141
.LBB95_22:
	s_or_b64 exec, exec, s[20:21]
                                        ; implicit-def: $vgpr26_vgpr27
	s_and_saveexec_b64 s[20:21], s[14:15]
	s_cbranch_execnz .LBB95_142
.LBB95_23:
	s_or_b64 exec, exec, s[20:21]
                                        ; implicit-def: $vgpr28_vgpr29
	s_and_saveexec_b64 s[20:21], s[16:17]
	s_cbranch_execz .LBB95_25
.LBB95_24:
	flat_load_dwordx2 v[28:29], v[32:33] offset:56
.LBB95_25:
	s_or_b64 exec, exec, s[20:21]
	v_cmp_ne_u32_e64 s[20:21], 0, v10
	v_cmp_ne_u32_e64 s[22:23], 8, v11
	s_or_b64 s[20:21], s[20:21], s[22:23]
	v_bfe_u32 v32, v31, 10, 10
	v_bfe_u32 v33, v31, 20, 10
	; wave barrier
	s_and_saveexec_b64 s[22:23], s[20:21]
	s_xor_b64 s[38:39], exec, s[22:23]
	s_cbranch_execz .LBB95_71
; %bb.26:
	s_load_dwordx2 s[20:21], s[8:9], 0x0
	v_mov_b32_e32 v30, 0
	v_lshlrev_b32_e64 v11, v11, -1
	v_lshlrev_b32_e64 v10, v10, -1
	v_and_b32_e32 v31, 0x3ff, v31
	s_waitcnt lgkmcnt(0)
	s_cmp_lt_u32 s12, s20
	s_cselect_b32 s22, 12, 18
	s_cmp_lt_u32 s13, s21
	s_cselect_b32 s20, 14, 20
	s_add_u32 s20, s8, s20
	s_addc_u32 s21, s9, 0
	s_add_u32 s22, s8, s22
	s_addc_u32 s23, s9, 0
	global_load_ushort v34, v30, s[20:21]
	global_load_ushort v35, v30, s[22:23]
	v_xor_b32_e32 v30, v11, v10
	s_movk_i32 s26, 0x800
	s_waitcnt vmcnt(0)
	v_mad_u32_u24 v10, v33, v34, v32
	v_mul_lo_u32 v10, v10, v35
	v_add_lshl_u32 v31, v10, v31, 3
	v_cmp_gt_u32_e64 s[20:21], s26, v31
	s_and_saveexec_b64 s[22:23], s[20:21]
	s_cbranch_execz .LBB95_30
; %bb.27:
	s_mov_b32 s30, 0xc0c0001
	v_lshrrev_b32_e32 v11, 8, v24
	v_perm_b32 v10, 0, v24, s30
	s_mov_b32 s31, 0xffff0000
	v_and_b32_e32 v11, v11, v30
	v_and_b32_e32 v32, v24, v30
	v_and_or_b32 v10, v24, s31, v10
	v_cmp_gt_u16_sdwa s[20:21], v11, v32 src0_sel:BYTE_0 src1_sel:BYTE_0
	v_cndmask_b32_e64 v10, v24, v10, s[20:21]
	v_cndmask_b32_e64 v11, v16, v4, s[20:21]
	;; [unrolled: 1-line block ×3, first 2 shown]
	v_lshrrev_b32_e32 v16, 16, v10
	v_cndmask_b32_e64 v32, v17, v5, s[20:21]
	v_cndmask_b32_e64 v5, v5, v17, s[20:21]
	v_perm_b32 v17, 0, v16, s30
	v_and_b32_sdwa v24, v10, v30 dst_sel:DWORD dst_unused:UNUSED_PAD src0_sel:BYTE_3 src1_sel:DWORD
	v_and_b32_e32 v16, v16, v30
	v_cmp_gt_u16_sdwa s[20:21], v24, v16 src0_sel:DWORD src1_sel:BYTE_0
	v_lshlrev_b32_e32 v17, 16, v17
	s_mov_b32 s28, 0xffff
	v_cndmask_b32_e64 v16, v18, v14, s[20:21]
	v_cndmask_b32_e64 v14, v14, v18, s[20:21]
	v_lshrrev_b32_e32 v18, 8, v25
	v_and_or_b32 v17, v10, s28, v17
	v_cndmask_b32_e64 v24, v19, v15, s[20:21]
	v_cndmask_b32_e64 v15, v15, v19, s[20:21]
	s_mov_b32 s36, 0x7060405
	v_and_b32_e32 v18, v18, v30
	v_and_b32_e32 v19, v25, v30
	v_cndmask_b32_e64 v10, v10, v17, s[20:21]
	v_perm_b32 v17, v25, v25, s36
	v_cmp_gt_u16_sdwa s[20:21], v18, v19 src0_sel:BYTE_0 src1_sel:BYTE_0
	v_cndmask_b32_e64 v17, v25, v17, s[20:21]
	v_cndmask_b32_e64 v18, v20, v22, s[20:21]
	;; [unrolled: 1-line block ×5, first 2 shown]
	v_and_b32_sdwa v22, v17, v30 dst_sel:DWORD dst_unused:UNUSED_PAD src0_sel:BYTE_3 src1_sel:DWORD
	v_and_b32_sdwa v23, v17, v30 dst_sel:DWORD dst_unused:UNUSED_PAD src0_sel:WORD_1 src1_sel:DWORD
	s_mov_b32 s34, 0x6070504
	v_perm_b32 v25, v17, v17, s34
	v_cmp_gt_u16_sdwa s[20:21], v22, v23 src0_sel:DWORD src1_sel:BYTE_0
	v_cndmask_b32_e64 v17, v17, v25, s[20:21]
	v_lshrrev_b32_e32 v25, 8, v10
	v_cndmask_b32_e64 v22, v26, v28, s[20:21]
	v_cndmask_b32_e64 v26, v28, v26, s[20:21]
	v_and_b32_sdwa v28, v10, v30 dst_sel:DWORD dst_unused:UNUSED_PAD src0_sel:WORD_1 src1_sel:DWORD
	v_and_b32_e32 v25, v25, v30
	s_mov_b32 s29, 0x7050604
	v_cndmask_b32_e64 v23, v27, v29, s[20:21]
	v_cndmask_b32_e64 v27, v29, v27, s[20:21]
	v_perm_b32 v29, v10, v10, s29
	v_cmp_gt_u16_sdwa s[20:21], v28, v25 src0_sel:BYTE_0 src1_sel:BYTE_0
	s_movk_i32 s27, 0xff
	v_cndmask_b32_e64 v10, v10, v29, s[20:21]
	v_cndmask_b32_e64 v25, v15, v32, s[20:21]
	v_cndmask_b32_e64 v15, v32, v15, s[20:21]
	v_and_b32_sdwa v29, v10, s27 dst_sel:DWORD dst_unused:UNUSED_PAD src0_sel:WORD_1 src1_sel:DWORD
	v_lshlrev_b16_e32 v32, 8, v17
	s_mov_b32 s35, 0x3020107
	v_or_b32_sdwa v29, v29, v32 dst_sel:WORD_1 dst_unused:UNUSED_PAD src0_sel:DWORD src1_sel:DWORD
	v_and_b32_e32 v32, v17, v30
	v_and_b32_sdwa v33, v10, v30 dst_sel:DWORD dst_unused:UNUSED_PAD src0_sel:BYTE_3 src1_sel:DWORD
	v_cndmask_b32_e64 v28, v14, v11, s[20:21]
	v_cndmask_b32_e64 v11, v11, v14, s[20:21]
	v_perm_b32 v14, v10, v17, s35
	v_cmp_gt_u16_sdwa s[20:21], v32, v33 src0_sel:BYTE_0 src1_sel:DWORD
	v_cndmask_b32_e64 v14, v17, v14, s[20:21]
	v_lshrrev_b32_e32 v17, 8, v14
	v_and_or_b32 v29, v10, s28, v29
	v_cndmask_b32_e64 v33, v16, v18, s[20:21]
	v_cndmask_b32_e64 v16, v18, v16, s[20:21]
	v_and_b32_sdwa v18, v14, v30 dst_sel:DWORD dst_unused:UNUSED_PAD src0_sel:WORD_1 src1_sel:DWORD
	v_and_b32_e32 v17, v17, v30
	v_cndmask_b32_e64 v32, v24, v19, s[20:21]
	v_cndmask_b32_e64 v19, v19, v24, s[20:21]
	;; [unrolled: 1-line block ×3, first 2 shown]
	v_cmp_gt_u16_sdwa s[20:21], v18, v17 src0_sel:BYTE_0 src1_sel:BYTE_0
	v_perm_b32 v24, v14, v14, s29
	v_cndmask_b32_e64 v17, v21, v23, s[20:21]
	v_cndmask_b32_e64 v21, v23, v21, s[20:21]
	v_lshrrev_b32_e32 v23, 8, v10
	v_cndmask_b32_e64 v18, v20, v22, s[20:21]
	v_cndmask_b32_e64 v20, v22, v20, s[20:21]
	;; [unrolled: 1-line block ×3, first 2 shown]
	v_perm_b32 v22, 0, v10, s30
	v_and_b32_e32 v23, v23, v30
	v_and_b32_e32 v24, v10, v30
	v_and_or_b32 v22, v10, s31, v22
	v_cmp_gt_u16_sdwa s[20:21], v23, v24 src0_sel:BYTE_0 src1_sel:BYTE_0
	v_cndmask_b32_e64 v10, v10, v22, s[20:21]
	v_cndmask_b32_e64 v23, v11, v4, s[20:21]
	v_cndmask_b32_e64 v4, v4, v11, s[20:21]
	v_lshrrev_b32_e32 v11, 16, v10
	v_cndmask_b32_e64 v24, v15, v5, s[20:21]
	v_cndmask_b32_e64 v5, v5, v15, s[20:21]
	v_perm_b32 v15, 0, v11, s30
	v_and_b32_sdwa v22, v10, v30 dst_sel:DWORD dst_unused:UNUSED_PAD src0_sel:BYTE_3 src1_sel:DWORD
	v_and_b32_e32 v11, v11, v30
	v_lshlrev_b32_e32 v15, 16, v15
	v_cmp_gt_u16_sdwa s[20:21], v22, v11 src0_sel:DWORD src1_sel:BYTE_0
	v_lshrrev_b32_e32 v29, 8, v14
	v_and_or_b32 v15, v10, s28, v15
	v_cndmask_b32_e64 v22, v32, v25, s[20:21]
	v_cndmask_b32_e64 v25, v25, v32, s[20:21]
	v_and_b32_e32 v29, v29, v30
	v_and_b32_e32 v32, v14, v30
	v_cndmask_b32_e64 v11, v33, v28, s[20:21]
	v_cndmask_b32_e64 v28, v28, v33, s[20:21]
	;; [unrolled: 1-line block ×3, first 2 shown]
	v_perm_b32 v15, v14, v14, s36
	v_cmp_gt_u16_sdwa s[20:21], v29, v32 src0_sel:BYTE_0 src1_sel:BYTE_0
	v_cndmask_b32_e64 v14, v14, v15, s[20:21]
	v_cndmask_b32_e64 v29, v16, v18, s[20:21]
	;; [unrolled: 1-line block ×3, first 2 shown]
	v_and_b32_sdwa v15, v14, v30 dst_sel:DWORD dst_unused:UNUSED_PAD src0_sel:BYTE_3 src1_sel:DWORD
	v_and_b32_sdwa v18, v14, v30 dst_sel:DWORD dst_unused:UNUSED_PAD src0_sel:WORD_1 src1_sel:DWORD
	v_cndmask_b32_e64 v32, v19, v17, s[20:21]
	v_cndmask_b32_e64 v17, v17, v19, s[20:21]
	v_perm_b32 v19, v14, v14, s34
	v_cmp_gt_u16_sdwa s[20:21], v15, v18 src0_sel:DWORD src1_sel:BYTE_0
	v_cndmask_b32_e64 v14, v14, v19, s[20:21]
	v_lshrrev_b32_e32 v19, 8, v10
	v_cndmask_b32_e64 v15, v20, v26, s[20:21]
	v_cndmask_b32_e64 v20, v26, v20, s[20:21]
	v_and_b32_sdwa v26, v10, v30 dst_sel:DWORD dst_unused:UNUSED_PAD src0_sel:WORD_1 src1_sel:DWORD
	v_and_b32_e32 v19, v19, v30
	v_cndmask_b32_e64 v18, v21, v27, s[20:21]
	v_cndmask_b32_e64 v21, v27, v21, s[20:21]
	v_perm_b32 v27, v10, v10, s29
	v_cmp_gt_u16_sdwa s[20:21], v26, v19 src0_sel:BYTE_0 src1_sel:BYTE_0
	v_cndmask_b32_e64 v10, v10, v27, s[20:21]
	v_cndmask_b32_e64 v26, v28, v23, s[20:21]
	;; [unrolled: 1-line block ×3, first 2 shown]
	v_and_b32_sdwa v27, v10, s27 dst_sel:DWORD dst_unused:UNUSED_PAD src0_sel:WORD_1 src1_sel:DWORD
	v_lshlrev_b16_e32 v28, 8, v14
	v_or_b32_sdwa v27, v27, v28 dst_sel:WORD_1 dst_unused:UNUSED_PAD src0_sel:DWORD src1_sel:DWORD
	v_and_b32_e32 v28, v14, v30
	v_and_b32_sdwa v33, v10, v30 dst_sel:DWORD dst_unused:UNUSED_PAD src0_sel:BYTE_3 src1_sel:DWORD
	v_cndmask_b32_e64 v19, v25, v24, s[20:21]
	v_cndmask_b32_e64 v24, v24, v25, s[20:21]
	v_perm_b32 v25, v10, v14, s35
	v_cmp_gt_u16_sdwa s[20:21], v28, v33 src0_sel:BYTE_0 src1_sel:DWORD
	v_cndmask_b32_e64 v14, v14, v25, s[20:21]
	v_and_or_b32 v27, v10, s28, v27
	v_lshrrev_b32_e32 v25, 8, v14
	v_cndmask_b32_e64 v10, v10, v27, s[20:21]
	v_and_b32_sdwa v27, v14, v30 dst_sel:DWORD dst_unused:UNUSED_PAD src0_sel:WORD_1 src1_sel:DWORD
	v_and_b32_e32 v25, v25, v30
	v_cndmask_b32_e64 v28, v22, v32, s[20:21]
	v_cndmask_b32_e64 v33, v11, v29, s[20:21]
	;; [unrolled: 1-line block ×4, first 2 shown]
	v_cmp_gt_u16_sdwa s[20:21], v27, v25 src0_sel:BYTE_0 src1_sel:BYTE_0
	v_perm_b32 v29, v14, v14, s29
	v_cndmask_b32_e64 v25, v17, v18, s[20:21]
	v_cndmask_b32_e64 v17, v18, v17, s[20:21]
	v_lshrrev_b32_e32 v18, 8, v10
	v_cndmask_b32_e64 v27, v16, v15, s[20:21]
	v_cndmask_b32_e64 v15, v15, v16, s[20:21]
	;; [unrolled: 1-line block ×3, first 2 shown]
	v_perm_b32 v16, 0, v10, s30
	v_and_b32_e32 v18, v18, v30
	v_and_b32_e32 v29, v10, v30
	v_and_or_b32 v16, v10, s31, v16
	v_cmp_gt_u16_sdwa s[20:21], v18, v29 src0_sel:BYTE_0 src1_sel:BYTE_0
	v_cndmask_b32_e64 v10, v10, v16, s[20:21]
	v_lshrrev_b32_e32 v16, 16, v10
	v_cndmask_b32_e64 v18, v23, v4, s[20:21]
	v_cndmask_b32_e64 v29, v24, v5, s[20:21]
	;; [unrolled: 1-line block ×4, first 2 shown]
	v_perm_b32 v23, 0, v16, s30
	v_and_b32_sdwa v24, v10, v30 dst_sel:DWORD dst_unused:UNUSED_PAD src0_sel:BYTE_3 src1_sel:DWORD
	v_and_b32_e32 v16, v16, v30
	v_cmp_gt_u16_sdwa s[20:21], v24, v16 src0_sel:DWORD src1_sel:BYTE_0
	v_lshlrev_b32_e32 v23, 16, v23
	v_cndmask_b32_e64 v24, v28, v19, s[20:21]
	v_cndmask_b32_e64 v19, v19, v28, s[20:21]
	v_lshrrev_b32_e32 v28, 8, v14
	v_and_or_b32 v23, v10, s28, v23
	v_and_b32_e32 v28, v28, v30
	v_and_b32_e32 v32, v14, v30
	v_cndmask_b32_e64 v16, v33, v26, s[20:21]
	v_cndmask_b32_e64 v26, v26, v33, s[20:21]
	;; [unrolled: 1-line block ×3, first 2 shown]
	v_perm_b32 v23, v14, v14, s36
	v_cmp_gt_u16_sdwa s[20:21], v28, v32 src0_sel:BYTE_0 src1_sel:BYTE_0
	v_cndmask_b32_e64 v14, v14, v23, s[20:21]
	v_cndmask_b32_e64 v32, v22, v25, s[20:21]
	;; [unrolled: 1-line block ×3, first 2 shown]
	v_and_b32_sdwa v23, v14, v30 dst_sel:DWORD dst_unused:UNUSED_PAD src0_sel:BYTE_3 src1_sel:DWORD
	v_and_b32_sdwa v25, v14, v30 dst_sel:DWORD dst_unused:UNUSED_PAD src0_sel:WORD_1 src1_sel:DWORD
	v_cndmask_b32_e64 v28, v11, v27, s[20:21]
	v_cndmask_b32_e64 v11, v27, v11, s[20:21]
	v_cmp_gt_u16_sdwa s[20:21], v23, v25 src0_sel:DWORD src1_sel:BYTE_0
	v_cndmask_b32_e64 v23, v15, v20, s[20:21]
	v_cndmask_b32_e64 v15, v20, v15, s[20:21]
	v_lshrrev_b32_e32 v20, 8, v10
	v_perm_b32 v27, v14, v14, s34
	v_cndmask_b32_e64 v25, v17, v21, s[20:21]
	v_cndmask_b32_e64 v17, v21, v17, s[20:21]
	v_and_b32_sdwa v21, v10, v30 dst_sel:DWORD dst_unused:UNUSED_PAD src0_sel:WORD_1 src1_sel:DWORD
	v_and_b32_e32 v20, v20, v30
	v_cndmask_b32_e64 v14, v14, v27, s[20:21]
	v_perm_b32 v27, v10, v10, s29
	v_cmp_gt_u16_sdwa s[20:21], v21, v20 src0_sel:BYTE_0 src1_sel:BYTE_0
	v_cndmask_b32_e64 v10, v10, v27, s[20:21]
	v_cndmask_b32_e64 v20, v19, v29, s[20:21]
	;; [unrolled: 1-line block ×3, first 2 shown]
	v_and_b32_sdwa v27, v10, s27 dst_sel:DWORD dst_unused:UNUSED_PAD src0_sel:WORD_1 src1_sel:DWORD
	v_lshlrev_b16_e32 v29, 8, v14
	v_or_b32_sdwa v27, v27, v29 dst_sel:WORD_1 dst_unused:UNUSED_PAD src0_sel:DWORD src1_sel:DWORD
	v_and_b32_e32 v29, v14, v30
	v_and_b32_sdwa v33, v10, v30 dst_sel:DWORD dst_unused:UNUSED_PAD src0_sel:BYTE_3 src1_sel:DWORD
	v_cndmask_b32_e64 v21, v26, v18, s[20:21]
	v_cndmask_b32_e64 v18, v18, v26, s[20:21]
	v_perm_b32 v26, v10, v14, s35
	v_cmp_gt_u16_sdwa s[20:21], v29, v33 src0_sel:BYTE_0 src1_sel:DWORD
	v_cndmask_b32_e64 v14, v14, v26, s[20:21]
	v_and_or_b32 v27, v10, s28, v27
	v_lshrrev_b32_e32 v26, 8, v14
	v_cndmask_b32_e64 v10, v10, v27, s[20:21]
	v_and_b32_sdwa v27, v14, v30 dst_sel:DWORD dst_unused:UNUSED_PAD src0_sel:WORD_1 src1_sel:DWORD
	v_and_b32_e32 v26, v26, v30
	v_cndmask_b32_e64 v29, v24, v32, s[20:21]
	v_cndmask_b32_e64 v33, v16, v28, s[20:21]
	;; [unrolled: 1-line block ×4, first 2 shown]
	v_cmp_gt_u16_sdwa s[20:21], v27, v26 src0_sel:BYTE_0 src1_sel:BYTE_0
	v_perm_b32 v28, v14, v14, s29
	v_cndmask_b32_e64 v26, v22, v25, s[20:21]
	v_cndmask_b32_e64 v25, v25, v22, s[20:21]
	v_lshrrev_b32_e32 v22, 8, v10
	v_cndmask_b32_e64 v27, v11, v23, s[20:21]
	v_cndmask_b32_e64 v32, v23, v11, s[20:21]
	;; [unrolled: 1-line block ×3, first 2 shown]
	v_perm_b32 v14, 0, v10, s30
	v_and_b32_e32 v22, v22, v30
	v_and_b32_e32 v23, v10, v30
	v_and_or_b32 v14, v10, s31, v14
	v_cmp_gt_u16_sdwa s[20:21], v22, v23 src0_sel:BYTE_0 src1_sel:BYTE_0
	v_cndmask_b32_e64 v10, v10, v14, s[20:21]
	v_lshrrev_b32_e32 v14, 16, v10
	v_cndmask_b32_e64 v34, v18, v4, s[20:21]
	v_cndmask_b32_e64 v35, v19, v5, s[20:21]
	;; [unrolled: 1-line block ×4, first 2 shown]
	v_perm_b32 v18, 0, v14, s30
	v_and_b32_sdwa v19, v10, v30 dst_sel:DWORD dst_unused:UNUSED_PAD src0_sel:BYTE_3 src1_sel:DWORD
	v_and_b32_e32 v14, v14, v30
	v_lshlrev_b32_e32 v18, 16, v18
	v_cmp_gt_u16_sdwa s[20:21], v19, v14 src0_sel:DWORD src1_sel:BYTE_0
	v_lshrrev_b32_e32 v14, 8, v11
	v_and_or_b32 v18, v10, s28, v18
	v_cndmask_b32_e64 v36, v33, v21, s[20:21]
	v_cndmask_b32_e64 v19, v21, v33, s[20:21]
	v_and_b32_e32 v14, v14, v30
	v_and_b32_e32 v21, v11, v30
	v_cndmask_b32_e64 v37, v29, v20, s[20:21]
	v_cndmask_b32_e64 v20, v20, v29, s[20:21]
	;; [unrolled: 1-line block ×3, first 2 shown]
	v_perm_b32 v10, v11, v11, s36
	v_cmp_gt_u16_sdwa s[20:21], v14, v21 src0_sel:BYTE_0 src1_sel:BYTE_0
	v_cndmask_b32_e64 v14, v11, v10, s[20:21]
	v_and_b32_sdwa v10, v14, v30 dst_sel:DWORD dst_unused:UNUSED_PAD src0_sel:BYTE_3 src1_sel:DWORD
	v_and_b32_sdwa v11, v14, v30 dst_sel:DWORD dst_unused:UNUSED_PAD src0_sel:WORD_1 src1_sel:DWORD
	v_cndmask_b32_e64 v33, v16, v27, s[20:21]
	v_cndmask_b32_e64 v21, v24, v26, s[20:21]
	;; [unrolled: 1-line block ×4, first 2 shown]
	v_perm_b32 v16, v14, v14, s34
	v_cmp_gt_u16_sdwa s[20:21], v10, v11 src0_sel:DWORD src1_sel:BYTE_0
	v_cndmask_b32_e64 v24, v14, v16, s[20:21]
	v_lshrrev_b32_e32 v14, 8, v18
	v_cndmask_b32_e64 v10, v32, v15, s[20:21]
	v_cndmask_b32_e64 v28, v15, v32, s[20:21]
	v_and_b32_sdwa v15, v18, v30 dst_sel:DWORD dst_unused:UNUSED_PAD src0_sel:WORD_1 src1_sel:DWORD
	v_and_b32_e32 v14, v14, v30
	v_cndmask_b32_e64 v11, v25, v17, s[20:21]
	v_cndmask_b32_e64 v29, v17, v25, s[20:21]
	v_perm_b32 v25, v18, v18, s29
	v_cmp_gt_u16_sdwa s[20:21], v15, v14 src0_sel:BYTE_0 src1_sel:BYTE_0
	v_cndmask_b32_e64 v26, v18, v25, s[20:21]
	v_cndmask_b32_e64 v14, v19, v34, s[20:21]
	;; [unrolled: 1-line block ×3, first 2 shown]
	v_and_b32_sdwa v18, v26, s27 dst_sel:DWORD dst_unused:UNUSED_PAD src0_sel:WORD_1 src1_sel:DWORD
	v_lshlrev_b16_e32 v19, 8, v24
	v_cndmask_b32_e64 v15, v20, v35, s[20:21]
	v_cndmask_b32_e64 v17, v35, v20, s[20:21]
	v_or_b32_sdwa v18, v18, v19 dst_sel:WORD_1 dst_unused:UNUSED_PAD src0_sel:DWORD src1_sel:DWORD
	v_and_b32_e32 v19, v24, v30
	v_and_b32_sdwa v20, v26, v30 dst_sel:DWORD dst_unused:UNUSED_PAD src0_sel:BYTE_3 src1_sel:DWORD
	v_perm_b32 v25, v26, v24, s35
	v_cmp_gt_u16_sdwa s[20:21], v19, v20 src0_sel:BYTE_0 src1_sel:DWORD
	v_and_or_b32 v27, v26, s28, v18
	v_cndmask_b32_e64 v25, v24, v25, s[20:21]
	v_cndmask_b32_e64 v24, v26, v27, s[20:21]
	v_lshrrev_b32_e32 v26, 8, v25
	v_and_b32_sdwa v27, v25, v30 dst_sel:DWORD dst_unused:UNUSED_PAD src0_sel:WORD_1 src1_sel:DWORD
	v_and_b32_e32 v26, v26, v30
	v_cndmask_b32_e64 v19, v37, v21, s[20:21]
	v_cndmask_b32_e64 v18, v36, v33, s[20:21]
	;; [unrolled: 1-line block ×4, first 2 shown]
	v_cmp_gt_u16_sdwa s[30:31], v27, v26 src0_sel:BYTE_0 src1_sel:BYTE_0
	v_pk_mov_b32 v[26:27], v[10:11], v[10:11] op_sel:[0,1]
	s_and_saveexec_b64 s[20:21], s[30:31]
; %bb.28:
	v_perm_b32 v25, v25, v25, s29
	v_pk_mov_b32 v[26:27], v[22:23], v[22:23] op_sel:[0,1]
	v_pk_mov_b32 v[22:23], v[10:11], v[10:11] op_sel:[0,1]
; %bb.29:
	s_or_b64 exec, exec, s[20:21]
.LBB95_30:
	s_or_b64 exec, exec, s[22:23]
	v_and_b32_e32 v32, 0xfffffe00, v31
	v_lshrrev_b64 v[10:11], 24, v[24:25]
	v_sub_u32_e64 v33, s26, v32 clamp
	v_or_b32_e32 v11, 8, v1
	v_min_u32_e32 v51, v33, v11
	v_add_u32_e32 v11, 8, v51
	v_and_b32_e32 v48, 0x3f0, v1
	v_min_u32_e32 v52, v33, v11
	v_and_b32_e32 v11, 8, v1
	v_min_u32_e32 v50, v33, v11
	v_sub_u32_e32 v11, v51, v48
	v_sub_u32_e32 v53, v52, v51
	v_lshlrev_b32_e32 v31, 3, v32
	v_sub_u32_e64 v54, v50, v53 clamp
	v_min_u32_e32 v11, v50, v11
	v_add_u32_e32 v34, v32, v1
	v_lshl_add_u32 v35, v1, 3, v31
	v_lshrrev_b32_e32 v36, 8, v24
	v_lshrrev_b32_e32 v37, 16, v24
	v_lshrrev_b32_e32 v38, 8, v25
	v_lshrrev_b32_e32 v39, 16, v25
	v_lshrrev_b32_e32 v49, 24, v25
	v_cmp_lt_u32_e64 s[20:21], v54, v11
	ds_write_b8 v34, v24
	ds_write_b64 v35, v[4:5] offset:2048
	ds_write_b8 v34, v36 offset:1
	ds_write_b64 v35, v[16:17] offset:2056
	ds_write_b8 v34, v37 offset:2
	;; [unrolled: 2-line block ×7, first 2 shown]
	ds_write_b64 v35, v[28:29] offset:2104
	; wave barrier
	s_and_saveexec_b64 s[22:23], s[20:21]
	s_cbranch_execz .LBB95_34
; %bb.31:
	v_add_u32_e32 v53, v32, v48
	v_add3_u32 v55, v32, v51, v50
	s_mov_b64 s[26:27], 0
.LBB95_32:                              ; =>This Inner Loop Header: Depth=1
	v_add_u32_e32 v64, v11, v54
	v_lshrrev_b32_e32 v64, 1, v64
	v_add_u32_e32 v65, v53, v64
	v_xad_u32 v66, v64, -1, v55
	ds_read_u8 v66, v66
	ds_read_u8 v65, v65
	v_add_u32_e32 v67, 1, v64
	s_waitcnt lgkmcnt(1)
	v_and_b32_e32 v66, v66, v30
	s_waitcnt lgkmcnt(0)
	v_and_b32_e32 v65, v65, v30
	v_cmp_gt_u16_sdwa s[20:21], v66, v65 src0_sel:BYTE_0 src1_sel:BYTE_0
	v_cndmask_b32_e64 v11, v11, v64, s[20:21]
	v_cndmask_b32_e64 v54, v67, v54, s[20:21]
	v_cmp_ge_u32_e64 s[20:21], v54, v11
	s_or_b64 s[26:27], s[20:21], s[26:27]
	s_andn2_b64 exec, exec, s[26:27]
	s_cbranch_execnz .LBB95_32
; %bb.33:
	s_or_b64 exec, exec, s[26:27]
.LBB95_34:
	s_or_b64 exec, exec, s[22:23]
	v_add_u32_e32 v53, v54, v48
	v_add_u32_e32 v48, v51, v50
	v_sub_u32_e32 v54, v48, v54
	v_cmp_le_u32_e64 s[20:21], v53, v51
	v_cmp_le_u32_e64 s[22:23], v54, v52
	v_add_u32_e32 v11, 0x800, v35
	s_or_b64 s[20:21], s[20:21], s[22:23]
	v_mov_b32_e32 v48, v24
	v_mov_b32_e32 v50, v25
	s_and_saveexec_b64 s[40:41], s[20:21]
	s_cbranch_execz .LBB95_40
; %bb.35:
	v_cmp_lt_u32_e64 s[20:21], v53, v51
                                        ; implicit-def: $vgpr10
	s_and_saveexec_b64 s[22:23], s[20:21]
	s_cbranch_execz .LBB95_37
; %bb.36:
	v_add_u32_e32 v4, v32, v53
	ds_read_u8 v10, v4
.LBB95_37:
	s_or_b64 exec, exec, s[22:23]
	v_cmp_ge_u32_e64 s[22:23], v54, v52
	v_cmp_lt_u32_e64 s[26:27], v54, v52
                                        ; implicit-def: $vgpr24
	s_and_saveexec_b64 s[28:29], s[26:27]
	s_cbranch_execz .LBB95_39
; %bb.38:
	v_add_u32_e32 v4, v32, v54
	ds_read_u8 v24, v4
.LBB95_39:
	s_or_b64 exec, exec, s[28:29]
	s_waitcnt lgkmcnt(0)
	v_and_b32_e32 v4, v24, v30
	v_and_b32_e32 v5, v10, v30
	v_cmp_le_u16_sdwa s[26:27], v4, v5 src0_sel:BYTE_0 src1_sel:BYTE_0
	s_and_b64 s[20:21], s[20:21], s[26:27]
	s_or_b64 s[20:21], s[22:23], s[20:21]
	v_cndmask_b32_e64 v4, v54, v53, s[20:21]
	v_cndmask_b32_e64 v5, v52, v51, s[20:21]
	v_add_u32_e32 v14, 1, v4
	v_add_u32_e32 v5, -1, v5
	v_min_u32_e32 v5, v14, v5
	v_add_u32_e32 v5, v32, v5
	ds_read_u8 v5, v5
	v_lshl_add_u32 v4, v4, 3, v31
	v_cndmask_b32_e64 v48, v24, v10, s[20:21]
	s_waitcnt lgkmcnt(0)
	v_cndmask_b32_e64 v25, v5, v24, s[20:21]
	v_cndmask_b32_e64 v26, v10, v5, s[20:21]
	;; [unrolled: 1-line block ×4, first 2 shown]
	v_and_b32_e32 v15, v25, v30
	v_and_b32_e32 v16, v26, v30
	v_cmp_lt_u32_e64 s[26:27], v14, v51
	v_cmp_le_u16_sdwa s[28:29], v15, v16 src0_sel:BYTE_0 src1_sel:BYTE_0
	v_cmp_ge_u32_e64 s[22:23], v5, v52
	s_and_b64 s[26:27], s[26:27], s[28:29]
	s_or_b64 s[22:23], s[22:23], s[26:27]
	v_cndmask_b32_e64 v15, v5, v14, s[22:23]
	v_cndmask_b32_e64 v16, v52, v51, s[22:23]
	v_add_u32_e32 v17, 1, v15
	v_add_u32_e32 v16, -1, v16
	v_min_u32_e32 v16, v17, v16
	v_add_u32_e32 v16, v32, v16
	ds_read_u8 v16, v16
	v_cndmask_b32_e64 v14, v14, v17, s[22:23]
	v_cmp_lt_u32_e64 s[28:29], v14, v51
	s_waitcnt lgkmcnt(0)
	v_cndmask_b32_e64 v27, v16, v25, s[22:23]
	v_cndmask_b32_e64 v28, v26, v16, s[22:23]
	;; [unrolled: 1-line block ×3, first 2 shown]
	v_and_b32_e32 v5, v27, v30
	v_and_b32_e32 v17, v28, v30
	v_cmp_le_u16_sdwa s[30:31], v5, v17 src0_sel:BYTE_0 src1_sel:BYTE_0
	v_cmp_ge_u32_e64 s[26:27], v16, v52
	s_and_b64 s[28:29], s[28:29], s[30:31]
	s_or_b64 s[26:27], s[26:27], s[28:29]
	v_cndmask_b32_e64 v18, v16, v14, s[26:27]
	v_cndmask_b32_e64 v5, v52, v51, s[26:27]
	v_add_u32_e32 v17, 1, v18
	v_add_u32_e32 v5, -1, v5
	v_min_u32_e32 v5, v17, v5
	v_add_u32_e32 v5, v32, v5
	ds_read_u8 v19, v5
	v_cndmask_b32_e64 v20, v14, v17, s[26:27]
	v_cmp_lt_u32_e64 s[30:31], v20, v51
	ds_read_b64 v[4:5], v4 offset:2048
	s_waitcnt lgkmcnt(1)
	v_cndmask_b32_e64 v29, v19, v27, s[26:27]
	v_cndmask_b32_e64 v38, v28, v19, s[26:27]
	;; [unrolled: 1-line block ×3, first 2 shown]
	v_and_b32_e32 v14, v29, v30
	v_and_b32_e32 v16, v38, v30
	v_cmp_le_u16_sdwa s[34:35], v14, v16 src0_sel:BYTE_0 src1_sel:BYTE_0
	v_cmp_ge_u32_e64 s[28:29], v19, v52
	s_and_b64 s[30:31], s[30:31], s[34:35]
	s_or_b64 s[28:29], s[28:29], s[30:31]
	v_cndmask_b32_e64 v21, v19, v20, s[28:29]
	v_cndmask_b32_e64 v14, v52, v51, s[28:29]
	v_add_u32_e32 v22, 1, v21
	v_add_u32_e32 v14, -1, v14
	v_min_u32_e32 v14, v22, v14
	v_add_u32_e32 v14, v32, v14
	ds_read_u8 v23, v14
	v_lshl_add_u32 v14, v15, 3, v31
	ds_read_b64 v[16:17], v14 offset:2048
	v_lshl_add_u32 v14, v18, 3, v31
	ds_read_b64 v[14:15], v14 offset:2048
	s_waitcnt lgkmcnt(2)
	v_cndmask_b32_e64 v39, v23, v29, s[28:29]
	v_cndmask_b32_e64 v49, v38, v23, s[28:29]
	;; [unrolled: 1-line block ×4, first 2 shown]
	v_and_b32_e32 v18, v39, v30
	v_and_b32_e32 v19, v49, v30
	v_cmp_lt_u32_e64 s[34:35], v22, v51
	v_cmp_le_u16_sdwa s[36:37], v18, v19 src0_sel:BYTE_0 src1_sel:BYTE_0
	v_cmp_ge_u32_e64 s[30:31], v23, v52
	s_and_b64 s[34:35], s[34:35], s[36:37]
	s_or_b64 s[30:31], s[30:31], s[34:35]
	v_cndmask_b32_e64 v20, v23, v22, s[30:31]
	v_cndmask_b32_e64 v18, v52, v51, s[30:31]
	v_add_u32_e32 v36, 1, v20
	v_add_u32_e32 v18, -1, v18
	v_min_u32_e32 v18, v36, v18
	v_add_u32_e32 v18, v32, v18
	ds_read_u8 v37, v18
	v_cndmask_b32_e64 v50, v36, v23, s[30:31]
	v_cndmask_b32_e64 v55, v22, v36, s[30:31]
	v_cmp_lt_u32_e64 s[36:37], v55, v51
	v_cmp_ge_u32_e64 s[34:35], v50, v52
	s_waitcnt lgkmcnt(0)
	v_cndmask_b32_e64 v53, v37, v39, s[30:31]
	v_cndmask_b32_e64 v54, v49, v37, s[30:31]
	v_and_b32_e32 v22, v53, v30
	v_and_b32_e32 v23, v54, v30
	v_cmp_le_u16_sdwa s[42:43], v22, v23 src0_sel:BYTE_0 src1_sel:BYTE_0
	s_and_b64 s[36:37], s[36:37], s[42:43]
	s_or_b64 s[34:35], s[34:35], s[36:37]
	v_cndmask_b32_e64 v22, v50, v55, s[34:35]
	v_cndmask_b32_e64 v23, v52, v51, s[34:35]
	v_lshl_add_u32 v36, v22, 3, v31
	v_add_u32_e32 v64, 1, v22
	v_add_u32_e32 v22, -1, v23
	v_min_u32_e32 v22, v64, v22
	v_lshl_add_u32 v18, v21, 3, v31
	v_lshl_add_u32 v20, v20, 3, v31
	v_add_u32_e32 v22, v32, v22
	ds_read_b64 v[18:19], v18 offset:2048
	ds_read_b64 v[20:21], v20 offset:2048
	ds_read_u8 v65, v22
	ds_read_b64 v[22:23], v36 offset:2048
	v_cndmask_b32_e64 v36, v25, v26, s[22:23]
	v_cndmask_b32_e64 v55, v55, v64, s[34:35]
	;; [unrolled: 1-line block ×3, first 2 shown]
	s_waitcnt lgkmcnt(1)
	v_cndmask_b32_e64 v24, v65, v53, s[34:35]
	v_cndmask_b32_e64 v25, v54, v65, s[34:35]
	v_and_b32_e32 v10, v24, v30
	v_and_b32_e32 v26, v25, v30
	v_cndmask_b32_e64 v28, v64, v50, s[34:35]
	v_cmp_lt_u32_e64 s[22:23], v55, v51
	v_cmp_le_u16_sdwa s[26:27], v10, v26 src0_sel:BYTE_0 src1_sel:BYTE_0
	v_cmp_ge_u32_e64 s[20:21], v28, v52
	s_and_b64 s[22:23], s[22:23], s[26:27]
	s_or_b64 s[20:21], s[20:21], s[22:23]
	v_cndmask_b32_e64 v10, v28, v55, s[20:21]
	v_cndmask_b32_e64 v26, v52, v51, s[20:21]
	v_lshl_add_u32 v27, v10, 3, v31
	v_add_u32_e32 v64, 1, v10
	v_add_u32_e32 v10, -1, v26
	v_min_u32_e32 v10, v64, v10
	v_add_u32_e32 v10, v32, v10
	ds_read_b64 v[26:27], v27 offset:2048
	ds_read_u8 v65, v10
	v_cndmask_b32_e64 v10, v29, v38, s[28:29]
	v_cndmask_b32_e64 v50, v39, v49, s[30:31]
	;; [unrolled: 1-line block ×4, first 2 shown]
	s_waitcnt lgkmcnt(0)
	v_cndmask_b32_e64 v24, v65, v24, s[20:21]
	v_cndmask_b32_e64 v25, v25, v65, s[20:21]
	v_cmp_lt_u32_e64 s[22:23], v29, v51
	v_and_b32_e32 v49, v24, v30
	v_and_b32_e32 v51, v25, v30
	v_cndmask_b32_e64 v28, v64, v28, s[20:21]
	v_cmp_le_u16_sdwa s[26:27], v49, v51 src0_sel:BYTE_0 src1_sel:BYTE_0
	v_cmp_ge_u32_e64 s[20:21], v28, v52
	s_and_b64 s[22:23], s[22:23], s[26:27]
	s_or_b64 s[20:21], s[20:21], s[22:23]
	v_cndmask_b32_e64 v28, v28, v29, s[20:21]
	v_cndmask_b32_e64 v38, v53, v54, s[34:35]
	v_cndmask_b32_e64 v49, v24, v25, s[20:21]
	v_lshl_add_u32 v28, v28, 3, v31
	v_lshlrev_b16_e32 v24, 8, v49
	v_lshlrev_b16_e32 v25, 8, v38
	ds_read_b64 v[28:29], v28 offset:2048
	v_or_b32_sdwa v24, v39, v24 dst_sel:WORD_1 dst_unused:UNUSED_PAD src0_sel:BYTE_0 src1_sel:DWORD
	v_or_b32_sdwa v25, v50, v25 dst_sel:DWORD dst_unused:UNUSED_PAD src0_sel:BYTE_0 src1_sel:DWORD
	v_or_b32_sdwa v25, v25, v24 dst_sel:DWORD dst_unused:UNUSED_PAD src0_sel:WORD_0 src1_sel:DWORD
	v_lshlrev_b16_e32 v24, 8, v10
	v_lshlrev_b16_e32 v51, 8, v36
	v_or_b32_sdwa v24, v37, v24 dst_sel:WORD_1 dst_unused:UNUSED_PAD src0_sel:BYTE_0 src1_sel:DWORD
	v_or_b32_sdwa v51, v48, v51 dst_sel:DWORD dst_unused:UNUSED_PAD src0_sel:BYTE_0 src1_sel:DWORD
	v_or_b32_sdwa v24, v51, v24 dst_sel:DWORD dst_unused:UNUSED_PAD src0_sel:WORD_0 src1_sel:DWORD
.LBB95_40:
	s_or_b64 exec, exec, s[40:41]
	v_and_b32_e32 v53, 0x3e0, v1
	v_or_b32_e32 v51, 16, v53
	v_min_u32_e32 v51, v33, v51
	v_add_u32_e32 v52, 16, v51
	v_min_u32_e32 v52, v33, v52
	v_and_b32_e32 v54, 24, v1
	v_min_u32_e32 v54, v33, v54
	v_sub_u32_e32 v64, v51, v53
	v_sub_u32_e32 v55, v52, v51
	v_sub_u32_e64 v55, v54, v55 clamp
	v_min_u32_e32 v64, v54, v64
	v_cmp_lt_u32_e64 s[20:21], v55, v64
	; wave barrier
	ds_write_b8 v34, v48
	ds_write_b64 v35, v[4:5] offset:2048
	ds_write_b8 v34, v36 offset:1
	ds_write_b64 v11, v[16:17] offset:8
	ds_write_b8 v34, v37 offset:2
	;; [unrolled: 2-line block ×7, first 2 shown]
	s_waitcnt lgkmcnt(14)
	ds_write_b64 v11, v[28:29] offset:56
	; wave barrier
	s_and_saveexec_b64 s[22:23], s[20:21]
	s_cbranch_execz .LBB95_44
; %bb.41:
	v_add_u32_e32 v65, v32, v53
	v_add3_u32 v66, v32, v51, v54
	s_mov_b64 s[26:27], 0
.LBB95_42:                              ; =>This Inner Loop Header: Depth=1
	v_add_u32_e32 v67, v64, v55
	v_lshrrev_b32_e32 v67, 1, v67
	v_add_u32_e32 v68, v65, v67
	v_xad_u32 v69, v67, -1, v66
	ds_read_u8 v69, v69
	ds_read_u8 v68, v68
	v_add_u32_e32 v70, 1, v67
	s_waitcnt lgkmcnt(1)
	v_and_b32_e32 v69, v69, v30
	s_waitcnt lgkmcnt(0)
	v_and_b32_e32 v68, v68, v30
	v_cmp_gt_u16_sdwa s[20:21], v69, v68 src0_sel:BYTE_0 src1_sel:BYTE_0
	v_cndmask_b32_e64 v64, v64, v67, s[20:21]
	v_cndmask_b32_e64 v55, v70, v55, s[20:21]
	v_cmp_ge_u32_e64 s[20:21], v55, v64
	s_or_b64 s[26:27], s[20:21], s[26:27]
	s_andn2_b64 exec, exec, s[26:27]
	s_cbranch_execnz .LBB95_42
; %bb.43:
	s_or_b64 exec, exec, s[26:27]
.LBB95_44:
	s_or_b64 exec, exec, s[22:23]
	v_add_u32_e32 v54, v51, v54
	v_add_u32_e32 v53, v55, v53
	v_sub_u32_e32 v54, v54, v55
	v_cmp_le_u32_e64 s[20:21], v53, v51
	v_cmp_le_u32_e64 s[22:23], v54, v52
	s_or_b64 s[20:21], s[20:21], s[22:23]
	s_and_saveexec_b64 s[40:41], s[20:21]
	s_cbranch_execz .LBB95_50
; %bb.45:
	v_cmp_lt_u32_e64 s[20:21], v53, v51
                                        ; implicit-def: $vgpr10
	s_and_saveexec_b64 s[22:23], s[20:21]
	s_cbranch_execz .LBB95_47
; %bb.46:
	v_add_u32_e32 v4, v32, v53
	ds_read_u8 v10, v4
.LBB95_47:
	s_or_b64 exec, exec, s[22:23]
	v_cmp_ge_u32_e64 s[22:23], v54, v52
	v_cmp_lt_u32_e64 s[26:27], v54, v52
                                        ; implicit-def: $vgpr24
	s_and_saveexec_b64 s[28:29], s[26:27]
	s_cbranch_execz .LBB95_49
; %bb.48:
	v_add_u32_e32 v4, v32, v54
	ds_read_u8 v24, v4
.LBB95_49:
	s_or_b64 exec, exec, s[28:29]
	s_waitcnt lgkmcnt(0)
	v_and_b32_e32 v4, v24, v30
	v_and_b32_e32 v5, v10, v30
	v_cmp_le_u16_sdwa s[26:27], v4, v5 src0_sel:BYTE_0 src1_sel:BYTE_0
	s_and_b64 s[20:21], s[20:21], s[26:27]
	s_or_b64 s[20:21], s[22:23], s[20:21]
	v_cndmask_b32_e64 v4, v54, v53, s[20:21]
	v_cndmask_b32_e64 v5, v52, v51, s[20:21]
	v_add_u32_e32 v14, 1, v4
	v_add_u32_e32 v5, -1, v5
	v_min_u32_e32 v5, v14, v5
	v_add_u32_e32 v5, v32, v5
	ds_read_u8 v5, v5
	v_lshl_add_u32 v4, v4, 3, v31
	v_cndmask_b32_e64 v48, v24, v10, s[20:21]
	s_waitcnt lgkmcnt(0)
	v_cndmask_b32_e64 v25, v5, v24, s[20:21]
	v_cndmask_b32_e64 v26, v10, v5, s[20:21]
	;; [unrolled: 1-line block ×4, first 2 shown]
	v_and_b32_e32 v15, v25, v30
	v_and_b32_e32 v16, v26, v30
	v_cmp_lt_u32_e64 s[26:27], v14, v51
	v_cmp_le_u16_sdwa s[28:29], v15, v16 src0_sel:BYTE_0 src1_sel:BYTE_0
	v_cmp_ge_u32_e64 s[22:23], v5, v52
	s_and_b64 s[26:27], s[26:27], s[28:29]
	s_or_b64 s[22:23], s[22:23], s[26:27]
	v_cndmask_b32_e64 v15, v5, v14, s[22:23]
	v_cndmask_b32_e64 v16, v52, v51, s[22:23]
	v_add_u32_e32 v17, 1, v15
	v_add_u32_e32 v16, -1, v16
	v_min_u32_e32 v16, v17, v16
	v_add_u32_e32 v16, v32, v16
	ds_read_u8 v16, v16
	v_cndmask_b32_e64 v14, v14, v17, s[22:23]
	v_cmp_lt_u32_e64 s[28:29], v14, v51
	s_waitcnt lgkmcnt(0)
	v_cndmask_b32_e64 v27, v16, v25, s[22:23]
	v_cndmask_b32_e64 v28, v26, v16, s[22:23]
	;; [unrolled: 1-line block ×3, first 2 shown]
	v_and_b32_e32 v5, v27, v30
	v_and_b32_e32 v17, v28, v30
	v_cmp_le_u16_sdwa s[30:31], v5, v17 src0_sel:BYTE_0 src1_sel:BYTE_0
	v_cmp_ge_u32_e64 s[26:27], v16, v52
	s_and_b64 s[28:29], s[28:29], s[30:31]
	s_or_b64 s[26:27], s[26:27], s[28:29]
	v_cndmask_b32_e64 v18, v16, v14, s[26:27]
	v_cndmask_b32_e64 v5, v52, v51, s[26:27]
	v_add_u32_e32 v17, 1, v18
	v_add_u32_e32 v5, -1, v5
	v_min_u32_e32 v5, v17, v5
	v_add_u32_e32 v5, v32, v5
	ds_read_u8 v19, v5
	v_cndmask_b32_e64 v20, v14, v17, s[26:27]
	v_cmp_lt_u32_e64 s[30:31], v20, v51
	ds_read_b64 v[4:5], v4 offset:2048
	s_waitcnt lgkmcnt(1)
	v_cndmask_b32_e64 v29, v19, v27, s[26:27]
	v_cndmask_b32_e64 v38, v28, v19, s[26:27]
	;; [unrolled: 1-line block ×3, first 2 shown]
	v_and_b32_e32 v14, v29, v30
	v_and_b32_e32 v16, v38, v30
	v_cmp_le_u16_sdwa s[34:35], v14, v16 src0_sel:BYTE_0 src1_sel:BYTE_0
	v_cmp_ge_u32_e64 s[28:29], v19, v52
	s_and_b64 s[30:31], s[30:31], s[34:35]
	s_or_b64 s[28:29], s[28:29], s[30:31]
	v_cndmask_b32_e64 v21, v19, v20, s[28:29]
	v_cndmask_b32_e64 v14, v52, v51, s[28:29]
	v_add_u32_e32 v22, 1, v21
	v_add_u32_e32 v14, -1, v14
	v_min_u32_e32 v14, v22, v14
	v_add_u32_e32 v14, v32, v14
	ds_read_u8 v23, v14
	v_lshl_add_u32 v14, v15, 3, v31
	ds_read_b64 v[16:17], v14 offset:2048
	v_lshl_add_u32 v14, v18, 3, v31
	ds_read_b64 v[14:15], v14 offset:2048
	s_waitcnt lgkmcnt(2)
	v_cndmask_b32_e64 v39, v23, v29, s[28:29]
	v_cndmask_b32_e64 v49, v38, v23, s[28:29]
	;; [unrolled: 1-line block ×4, first 2 shown]
	v_and_b32_e32 v18, v39, v30
	v_and_b32_e32 v19, v49, v30
	v_cmp_lt_u32_e64 s[34:35], v22, v51
	v_cmp_le_u16_sdwa s[36:37], v18, v19 src0_sel:BYTE_0 src1_sel:BYTE_0
	v_cmp_ge_u32_e64 s[30:31], v23, v52
	s_and_b64 s[34:35], s[34:35], s[36:37]
	s_or_b64 s[30:31], s[30:31], s[34:35]
	v_cndmask_b32_e64 v20, v23, v22, s[30:31]
	v_cndmask_b32_e64 v18, v52, v51, s[30:31]
	v_add_u32_e32 v36, 1, v20
	v_add_u32_e32 v18, -1, v18
	v_min_u32_e32 v18, v36, v18
	v_add_u32_e32 v18, v32, v18
	ds_read_u8 v37, v18
	v_cndmask_b32_e64 v50, v36, v23, s[30:31]
	v_cndmask_b32_e64 v55, v22, v36, s[30:31]
	v_cmp_lt_u32_e64 s[36:37], v55, v51
	v_cmp_ge_u32_e64 s[34:35], v50, v52
	s_waitcnt lgkmcnt(0)
	v_cndmask_b32_e64 v53, v37, v39, s[30:31]
	v_cndmask_b32_e64 v54, v49, v37, s[30:31]
	v_and_b32_e32 v22, v53, v30
	v_and_b32_e32 v23, v54, v30
	v_cmp_le_u16_sdwa s[42:43], v22, v23 src0_sel:BYTE_0 src1_sel:BYTE_0
	s_and_b64 s[36:37], s[36:37], s[42:43]
	s_or_b64 s[34:35], s[34:35], s[36:37]
	v_cndmask_b32_e64 v22, v50, v55, s[34:35]
	v_cndmask_b32_e64 v23, v52, v51, s[34:35]
	v_lshl_add_u32 v36, v22, 3, v31
	v_add_u32_e32 v64, 1, v22
	v_add_u32_e32 v22, -1, v23
	v_min_u32_e32 v22, v64, v22
	v_lshl_add_u32 v18, v21, 3, v31
	v_lshl_add_u32 v20, v20, 3, v31
	v_add_u32_e32 v22, v32, v22
	ds_read_b64 v[18:19], v18 offset:2048
	ds_read_b64 v[20:21], v20 offset:2048
	ds_read_u8 v65, v22
	ds_read_b64 v[22:23], v36 offset:2048
	v_cndmask_b32_e64 v36, v25, v26, s[22:23]
	v_cndmask_b32_e64 v55, v55, v64, s[34:35]
	;; [unrolled: 1-line block ×3, first 2 shown]
	s_waitcnt lgkmcnt(1)
	v_cndmask_b32_e64 v24, v65, v53, s[34:35]
	v_cndmask_b32_e64 v25, v54, v65, s[34:35]
	v_and_b32_e32 v10, v24, v30
	v_and_b32_e32 v26, v25, v30
	v_cndmask_b32_e64 v28, v64, v50, s[34:35]
	v_cmp_lt_u32_e64 s[22:23], v55, v51
	v_cmp_le_u16_sdwa s[26:27], v10, v26 src0_sel:BYTE_0 src1_sel:BYTE_0
	v_cmp_ge_u32_e64 s[20:21], v28, v52
	s_and_b64 s[22:23], s[22:23], s[26:27]
	s_or_b64 s[20:21], s[20:21], s[22:23]
	v_cndmask_b32_e64 v10, v28, v55, s[20:21]
	v_cndmask_b32_e64 v26, v52, v51, s[20:21]
	v_lshl_add_u32 v27, v10, 3, v31
	v_add_u32_e32 v64, 1, v10
	v_add_u32_e32 v10, -1, v26
	v_min_u32_e32 v10, v64, v10
	v_add_u32_e32 v10, v32, v10
	ds_read_b64 v[26:27], v27 offset:2048
	ds_read_u8 v65, v10
	v_cndmask_b32_e64 v10, v29, v38, s[28:29]
	v_cndmask_b32_e64 v50, v39, v49, s[30:31]
	;; [unrolled: 1-line block ×4, first 2 shown]
	s_waitcnt lgkmcnt(0)
	v_cndmask_b32_e64 v24, v65, v24, s[20:21]
	v_cndmask_b32_e64 v25, v25, v65, s[20:21]
	v_cmp_lt_u32_e64 s[22:23], v29, v51
	v_and_b32_e32 v49, v24, v30
	v_and_b32_e32 v51, v25, v30
	v_cndmask_b32_e64 v28, v64, v28, s[20:21]
	v_cmp_le_u16_sdwa s[26:27], v49, v51 src0_sel:BYTE_0 src1_sel:BYTE_0
	v_cmp_ge_u32_e64 s[20:21], v28, v52
	s_and_b64 s[22:23], s[22:23], s[26:27]
	s_or_b64 s[20:21], s[20:21], s[22:23]
	v_cndmask_b32_e64 v28, v28, v29, s[20:21]
	v_cndmask_b32_e64 v38, v53, v54, s[34:35]
	;; [unrolled: 1-line block ×3, first 2 shown]
	v_lshl_add_u32 v28, v28, 3, v31
	v_lshlrev_b16_e32 v24, 8, v49
	v_lshlrev_b16_e32 v25, 8, v38
	ds_read_b64 v[28:29], v28 offset:2048
	v_or_b32_sdwa v24, v39, v24 dst_sel:WORD_1 dst_unused:UNUSED_PAD src0_sel:BYTE_0 src1_sel:DWORD
	v_or_b32_sdwa v25, v50, v25 dst_sel:DWORD dst_unused:UNUSED_PAD src0_sel:BYTE_0 src1_sel:DWORD
	v_or_b32_sdwa v25, v25, v24 dst_sel:DWORD dst_unused:UNUSED_PAD src0_sel:WORD_0 src1_sel:DWORD
	v_lshlrev_b16_e32 v24, 8, v10
	v_lshlrev_b16_e32 v51, 8, v36
	v_or_b32_sdwa v24, v37, v24 dst_sel:WORD_1 dst_unused:UNUSED_PAD src0_sel:BYTE_0 src1_sel:DWORD
	v_or_b32_sdwa v51, v48, v51 dst_sel:DWORD dst_unused:UNUSED_PAD src0_sel:BYTE_0 src1_sel:DWORD
	v_or_b32_sdwa v24, v51, v24 dst_sel:DWORD dst_unused:UNUSED_PAD src0_sel:WORD_0 src1_sel:DWORD
.LBB95_50:
	s_or_b64 exec, exec, s[40:41]
	v_and_b32_e32 v53, 0x3c0, v1
	v_or_b32_e32 v51, 32, v53
	v_min_u32_e32 v51, v33, v51
	v_add_u32_e32 v52, 32, v51
	v_min_u32_e32 v52, v33, v52
	v_and_b32_e32 v54, 56, v1
	v_min_u32_e32 v54, v33, v54
	v_sub_u32_e32 v64, v51, v53
	v_sub_u32_e32 v55, v52, v51
	v_sub_u32_e64 v55, v54, v55 clamp
	v_min_u32_e32 v64, v54, v64
	v_cmp_lt_u32_e64 s[20:21], v55, v64
	; wave barrier
	ds_write_b8 v34, v48
	ds_write_b64 v35, v[4:5] offset:2048
	ds_write_b8 v34, v36 offset:1
	ds_write_b64 v11, v[16:17] offset:8
	ds_write_b8 v34, v37 offset:2
	;; [unrolled: 2-line block ×7, first 2 shown]
	s_waitcnt lgkmcnt(14)
	ds_write_b64 v11, v[28:29] offset:56
	; wave barrier
	s_and_saveexec_b64 s[22:23], s[20:21]
	s_cbranch_execz .LBB95_54
; %bb.51:
	v_add_u32_e32 v65, v32, v53
	v_add3_u32 v66, v32, v51, v54
	s_mov_b64 s[26:27], 0
.LBB95_52:                              ; =>This Inner Loop Header: Depth=1
	v_add_u32_e32 v67, v64, v55
	v_lshrrev_b32_e32 v67, 1, v67
	v_add_u32_e32 v68, v65, v67
	v_xad_u32 v69, v67, -1, v66
	ds_read_u8 v69, v69
	ds_read_u8 v68, v68
	v_add_u32_e32 v70, 1, v67
	s_waitcnt lgkmcnt(1)
	v_and_b32_e32 v69, v69, v30
	s_waitcnt lgkmcnt(0)
	v_and_b32_e32 v68, v68, v30
	v_cmp_gt_u16_sdwa s[20:21], v69, v68 src0_sel:BYTE_0 src1_sel:BYTE_0
	v_cndmask_b32_e64 v64, v64, v67, s[20:21]
	v_cndmask_b32_e64 v55, v70, v55, s[20:21]
	v_cmp_ge_u32_e64 s[20:21], v55, v64
	s_or_b64 s[26:27], s[20:21], s[26:27]
	s_andn2_b64 exec, exec, s[26:27]
	s_cbranch_execnz .LBB95_52
; %bb.53:
	s_or_b64 exec, exec, s[26:27]
.LBB95_54:
	s_or_b64 exec, exec, s[22:23]
	v_add_u32_e32 v54, v51, v54
	v_add_u32_e32 v53, v55, v53
	v_sub_u32_e32 v54, v54, v55
	v_cmp_le_u32_e64 s[20:21], v53, v51
	v_cmp_le_u32_e64 s[22:23], v54, v52
	s_or_b64 s[20:21], s[20:21], s[22:23]
	s_and_saveexec_b64 s[40:41], s[20:21]
	s_cbranch_execz .LBB95_60
; %bb.55:
	v_cmp_lt_u32_e64 s[20:21], v53, v51
                                        ; implicit-def: $vgpr10
	s_and_saveexec_b64 s[22:23], s[20:21]
	s_cbranch_execz .LBB95_57
; %bb.56:
	v_add_u32_e32 v4, v32, v53
	ds_read_u8 v10, v4
.LBB95_57:
	s_or_b64 exec, exec, s[22:23]
	v_cmp_ge_u32_e64 s[22:23], v54, v52
	v_cmp_lt_u32_e64 s[26:27], v54, v52
                                        ; implicit-def: $vgpr24
	s_and_saveexec_b64 s[28:29], s[26:27]
	s_cbranch_execz .LBB95_59
; %bb.58:
	v_add_u32_e32 v4, v32, v54
	ds_read_u8 v24, v4
.LBB95_59:
	s_or_b64 exec, exec, s[28:29]
	s_waitcnt lgkmcnt(0)
	v_and_b32_e32 v4, v24, v30
	v_and_b32_e32 v5, v10, v30
	v_cmp_le_u16_sdwa s[26:27], v4, v5 src0_sel:BYTE_0 src1_sel:BYTE_0
	s_and_b64 s[20:21], s[20:21], s[26:27]
	s_or_b64 s[20:21], s[22:23], s[20:21]
	v_cndmask_b32_e64 v4, v54, v53, s[20:21]
	v_cndmask_b32_e64 v5, v52, v51, s[20:21]
	v_add_u32_e32 v14, 1, v4
	v_add_u32_e32 v5, -1, v5
	v_min_u32_e32 v5, v14, v5
	v_add_u32_e32 v5, v32, v5
	ds_read_u8 v5, v5
	v_lshl_add_u32 v4, v4, 3, v31
	v_cndmask_b32_e64 v48, v24, v10, s[20:21]
	s_waitcnt lgkmcnt(0)
	v_cndmask_b32_e64 v25, v5, v24, s[20:21]
	v_cndmask_b32_e64 v26, v10, v5, s[20:21]
	;; [unrolled: 1-line block ×4, first 2 shown]
	v_and_b32_e32 v15, v25, v30
	v_and_b32_e32 v16, v26, v30
	v_cmp_lt_u32_e64 s[26:27], v14, v51
	v_cmp_le_u16_sdwa s[28:29], v15, v16 src0_sel:BYTE_0 src1_sel:BYTE_0
	v_cmp_ge_u32_e64 s[22:23], v5, v52
	s_and_b64 s[26:27], s[26:27], s[28:29]
	s_or_b64 s[22:23], s[22:23], s[26:27]
	v_cndmask_b32_e64 v15, v5, v14, s[22:23]
	v_cndmask_b32_e64 v16, v52, v51, s[22:23]
	v_add_u32_e32 v17, 1, v15
	v_add_u32_e32 v16, -1, v16
	v_min_u32_e32 v16, v17, v16
	v_add_u32_e32 v16, v32, v16
	ds_read_u8 v16, v16
	v_cndmask_b32_e64 v14, v14, v17, s[22:23]
	v_cmp_lt_u32_e64 s[28:29], v14, v51
	s_waitcnt lgkmcnt(0)
	v_cndmask_b32_e64 v27, v16, v25, s[22:23]
	v_cndmask_b32_e64 v28, v26, v16, s[22:23]
	;; [unrolled: 1-line block ×3, first 2 shown]
	v_and_b32_e32 v5, v27, v30
	v_and_b32_e32 v17, v28, v30
	v_cmp_le_u16_sdwa s[30:31], v5, v17 src0_sel:BYTE_0 src1_sel:BYTE_0
	v_cmp_ge_u32_e64 s[26:27], v16, v52
	s_and_b64 s[28:29], s[28:29], s[30:31]
	s_or_b64 s[26:27], s[26:27], s[28:29]
	v_cndmask_b32_e64 v18, v16, v14, s[26:27]
	v_cndmask_b32_e64 v5, v52, v51, s[26:27]
	v_add_u32_e32 v17, 1, v18
	v_add_u32_e32 v5, -1, v5
	v_min_u32_e32 v5, v17, v5
	v_add_u32_e32 v5, v32, v5
	ds_read_u8 v19, v5
	v_cndmask_b32_e64 v20, v14, v17, s[26:27]
	v_cmp_lt_u32_e64 s[30:31], v20, v51
	ds_read_b64 v[4:5], v4 offset:2048
	s_waitcnt lgkmcnt(1)
	v_cndmask_b32_e64 v29, v19, v27, s[26:27]
	v_cndmask_b32_e64 v38, v28, v19, s[26:27]
	;; [unrolled: 1-line block ×3, first 2 shown]
	v_and_b32_e32 v14, v29, v30
	v_and_b32_e32 v16, v38, v30
	v_cmp_le_u16_sdwa s[34:35], v14, v16 src0_sel:BYTE_0 src1_sel:BYTE_0
	v_cmp_ge_u32_e64 s[28:29], v19, v52
	s_and_b64 s[30:31], s[30:31], s[34:35]
	s_or_b64 s[28:29], s[28:29], s[30:31]
	v_cndmask_b32_e64 v21, v19, v20, s[28:29]
	v_cndmask_b32_e64 v14, v52, v51, s[28:29]
	v_add_u32_e32 v22, 1, v21
	v_add_u32_e32 v14, -1, v14
	v_min_u32_e32 v14, v22, v14
	v_add_u32_e32 v14, v32, v14
	ds_read_u8 v23, v14
	v_lshl_add_u32 v14, v15, 3, v31
	ds_read_b64 v[16:17], v14 offset:2048
	v_lshl_add_u32 v14, v18, 3, v31
	ds_read_b64 v[14:15], v14 offset:2048
	s_waitcnt lgkmcnt(2)
	v_cndmask_b32_e64 v39, v23, v29, s[28:29]
	v_cndmask_b32_e64 v49, v38, v23, s[28:29]
	;; [unrolled: 1-line block ×4, first 2 shown]
	v_and_b32_e32 v18, v39, v30
	v_and_b32_e32 v19, v49, v30
	v_cmp_lt_u32_e64 s[34:35], v22, v51
	v_cmp_le_u16_sdwa s[36:37], v18, v19 src0_sel:BYTE_0 src1_sel:BYTE_0
	v_cmp_ge_u32_e64 s[30:31], v23, v52
	s_and_b64 s[34:35], s[34:35], s[36:37]
	s_or_b64 s[30:31], s[30:31], s[34:35]
	v_cndmask_b32_e64 v20, v23, v22, s[30:31]
	v_cndmask_b32_e64 v18, v52, v51, s[30:31]
	v_add_u32_e32 v36, 1, v20
	v_add_u32_e32 v18, -1, v18
	v_min_u32_e32 v18, v36, v18
	v_add_u32_e32 v18, v32, v18
	ds_read_u8 v37, v18
	v_cndmask_b32_e64 v50, v36, v23, s[30:31]
	v_cndmask_b32_e64 v55, v22, v36, s[30:31]
	v_cmp_lt_u32_e64 s[36:37], v55, v51
	v_cmp_ge_u32_e64 s[34:35], v50, v52
	s_waitcnt lgkmcnt(0)
	v_cndmask_b32_e64 v53, v37, v39, s[30:31]
	v_cndmask_b32_e64 v54, v49, v37, s[30:31]
	v_and_b32_e32 v22, v53, v30
	v_and_b32_e32 v23, v54, v30
	v_cmp_le_u16_sdwa s[42:43], v22, v23 src0_sel:BYTE_0 src1_sel:BYTE_0
	s_and_b64 s[36:37], s[36:37], s[42:43]
	s_or_b64 s[34:35], s[34:35], s[36:37]
	v_cndmask_b32_e64 v22, v50, v55, s[34:35]
	v_cndmask_b32_e64 v23, v52, v51, s[34:35]
	v_lshl_add_u32 v36, v22, 3, v31
	v_add_u32_e32 v64, 1, v22
	v_add_u32_e32 v22, -1, v23
	v_min_u32_e32 v22, v64, v22
	v_lshl_add_u32 v18, v21, 3, v31
	v_lshl_add_u32 v20, v20, 3, v31
	v_add_u32_e32 v22, v32, v22
	ds_read_b64 v[18:19], v18 offset:2048
	ds_read_b64 v[20:21], v20 offset:2048
	ds_read_u8 v65, v22
	ds_read_b64 v[22:23], v36 offset:2048
	v_cndmask_b32_e64 v36, v25, v26, s[22:23]
	v_cndmask_b32_e64 v55, v55, v64, s[34:35]
	;; [unrolled: 1-line block ×3, first 2 shown]
	s_waitcnt lgkmcnt(1)
	v_cndmask_b32_e64 v24, v65, v53, s[34:35]
	v_cndmask_b32_e64 v25, v54, v65, s[34:35]
	v_and_b32_e32 v10, v24, v30
	v_and_b32_e32 v26, v25, v30
	v_cndmask_b32_e64 v28, v64, v50, s[34:35]
	v_cmp_lt_u32_e64 s[22:23], v55, v51
	v_cmp_le_u16_sdwa s[26:27], v10, v26 src0_sel:BYTE_0 src1_sel:BYTE_0
	v_cmp_ge_u32_e64 s[20:21], v28, v52
	s_and_b64 s[22:23], s[22:23], s[26:27]
	s_or_b64 s[20:21], s[20:21], s[22:23]
	v_cndmask_b32_e64 v10, v28, v55, s[20:21]
	v_cndmask_b32_e64 v26, v52, v51, s[20:21]
	v_lshl_add_u32 v27, v10, 3, v31
	v_add_u32_e32 v64, 1, v10
	v_add_u32_e32 v10, -1, v26
	v_min_u32_e32 v10, v64, v10
	v_add_u32_e32 v10, v32, v10
	ds_read_b64 v[26:27], v27 offset:2048
	ds_read_u8 v65, v10
	v_cndmask_b32_e64 v10, v29, v38, s[28:29]
	v_cndmask_b32_e64 v50, v39, v49, s[30:31]
	;; [unrolled: 1-line block ×4, first 2 shown]
	s_waitcnt lgkmcnt(0)
	v_cndmask_b32_e64 v24, v65, v24, s[20:21]
	v_cndmask_b32_e64 v25, v25, v65, s[20:21]
	v_cmp_lt_u32_e64 s[22:23], v29, v51
	v_and_b32_e32 v49, v24, v30
	v_and_b32_e32 v51, v25, v30
	v_cndmask_b32_e64 v28, v64, v28, s[20:21]
	v_cmp_le_u16_sdwa s[26:27], v49, v51 src0_sel:BYTE_0 src1_sel:BYTE_0
	v_cmp_ge_u32_e64 s[20:21], v28, v52
	s_and_b64 s[22:23], s[22:23], s[26:27]
	s_or_b64 s[20:21], s[20:21], s[22:23]
	v_cndmask_b32_e64 v28, v28, v29, s[20:21]
	v_cndmask_b32_e64 v38, v53, v54, s[34:35]
	;; [unrolled: 1-line block ×3, first 2 shown]
	v_lshl_add_u32 v28, v28, 3, v31
	v_lshlrev_b16_e32 v24, 8, v49
	v_lshlrev_b16_e32 v25, 8, v38
	ds_read_b64 v[28:29], v28 offset:2048
	v_or_b32_sdwa v24, v39, v24 dst_sel:WORD_1 dst_unused:UNUSED_PAD src0_sel:BYTE_0 src1_sel:DWORD
	v_or_b32_sdwa v25, v50, v25 dst_sel:DWORD dst_unused:UNUSED_PAD src0_sel:BYTE_0 src1_sel:DWORD
	v_or_b32_sdwa v25, v25, v24 dst_sel:DWORD dst_unused:UNUSED_PAD src0_sel:WORD_0 src1_sel:DWORD
	v_lshlrev_b16_e32 v24, 8, v10
	v_lshlrev_b16_e32 v51, 8, v36
	v_or_b32_sdwa v24, v37, v24 dst_sel:WORD_1 dst_unused:UNUSED_PAD src0_sel:BYTE_0 src1_sel:DWORD
	v_or_b32_sdwa v51, v48, v51 dst_sel:DWORD dst_unused:UNUSED_PAD src0_sel:BYTE_0 src1_sel:DWORD
	v_or_b32_sdwa v24, v51, v24 dst_sel:DWORD dst_unused:UNUSED_PAD src0_sel:WORD_0 src1_sel:DWORD
.LBB95_60:
	s_or_b64 exec, exec, s[40:41]
	; wave barrier
	ds_write_b8 v34, v48
	ds_write_b64 v35, v[4:5] offset:2048
	ds_write_b8 v34, v36 offset:1
	ds_write_b64 v11, v[16:17] offset:8
	ds_write_b8 v34, v37 offset:2
	;; [unrolled: 2-line block ×7, first 2 shown]
	s_waitcnt lgkmcnt(14)
	ds_write_b64 v11, v[28:29] offset:56
	v_and_b32_e32 v11, 0x380, v1
	v_or_b32_e32 v1, 64, v11
	v_min_u32_e32 v1, v33, v1
	v_add_u32_e32 v10, 64, v1
	v_min_u32_e32 v10, v33, v10
	v_min_u32_e32 v34, v33, v0
	v_sub_u32_e32 v33, v1, v11
	v_sub_u32_e32 v35, v10, v1
	v_sub_u32_e64 v35, v34, v35 clamp
	v_min_u32_e32 v33, v34, v33
	v_cmp_lt_u32_e64 s[20:21], v35, v33
	; wave barrier
	s_and_saveexec_b64 s[22:23], s[20:21]
	s_cbranch_execz .LBB95_64
; %bb.61:
	v_add_u32_e32 v36, v32, v11
	v_add3_u32 v37, v32, v1, v34
	s_mov_b64 s[26:27], 0
.LBB95_62:                              ; =>This Inner Loop Header: Depth=1
	v_add_u32_e32 v38, v33, v35
	v_lshrrev_b32_e32 v38, 1, v38
	v_add_u32_e32 v39, v36, v38
	v_xad_u32 v48, v38, -1, v37
	ds_read_u8 v48, v48
	ds_read_u8 v39, v39
	v_add_u32_e32 v49, 1, v38
	s_waitcnt lgkmcnt(1)
	v_and_b32_e32 v48, v48, v30
	s_waitcnt lgkmcnt(0)
	v_and_b32_e32 v39, v39, v30
	v_cmp_gt_u16_sdwa s[20:21], v48, v39 src0_sel:BYTE_0 src1_sel:BYTE_0
	v_cndmask_b32_e64 v33, v33, v38, s[20:21]
	v_cndmask_b32_e64 v35, v49, v35, s[20:21]
	v_cmp_ge_u32_e64 s[20:21], v35, v33
	s_or_b64 s[26:27], s[20:21], s[26:27]
	s_andn2_b64 exec, exec, s[26:27]
	s_cbranch_execnz .LBB95_62
; %bb.63:
	s_or_b64 exec, exec, s[26:27]
.LBB95_64:
	s_or_b64 exec, exec, s[22:23]
	v_add_u32_e32 v33, v35, v11
	v_add_u32_e32 v11, v1, v34
	v_sub_u32_e32 v34, v11, v35
	v_cmp_le_u32_e64 s[20:21], v33, v1
	v_cmp_le_u32_e64 s[22:23], v34, v10
	s_or_b64 s[20:21], s[20:21], s[22:23]
	s_and_saveexec_b64 s[40:41], s[20:21]
	s_cbranch_execz .LBB95_70
; %bb.65:
	v_cmp_lt_u32_e64 s[20:21], v33, v1
                                        ; implicit-def: $vgpr11
	s_and_saveexec_b64 s[22:23], s[20:21]
	s_cbranch_execz .LBB95_67
; %bb.66:
	v_add_u32_e32 v4, v32, v33
	ds_read_u8 v11, v4
.LBB95_67:
	s_or_b64 exec, exec, s[22:23]
	v_cmp_ge_u32_e64 s[22:23], v34, v10
	v_cmp_lt_u32_e64 s[26:27], v34, v10
                                        ; implicit-def: $vgpr24
	s_and_saveexec_b64 s[28:29], s[26:27]
	s_cbranch_execz .LBB95_69
; %bb.68:
	v_add_u32_e32 v4, v32, v34
	ds_read_u8 v24, v4
.LBB95_69:
	s_or_b64 exec, exec, s[28:29]
	s_waitcnt lgkmcnt(0)
	v_and_b32_e32 v4, v24, v30
	v_and_b32_e32 v5, v11, v30
	v_cmp_le_u16_sdwa s[26:27], v4, v5 src0_sel:BYTE_0 src1_sel:BYTE_0
	s_and_b64 s[20:21], s[20:21], s[26:27]
	s_or_b64 s[20:21], s[22:23], s[20:21]
	v_cndmask_b32_e64 v4, v34, v33, s[20:21]
	v_cndmask_b32_e64 v5, v10, v1, s[20:21]
	v_add_u32_e32 v14, 1, v4
	v_add_u32_e32 v5, -1, v5
	v_min_u32_e32 v5, v14, v5
	v_add_u32_e32 v5, v32, v5
	ds_read_u8 v5, v5
	v_lshl_add_u32 v4, v4, 3, v31
	s_waitcnt lgkmcnt(0)
	v_cndmask_b32_e64 v25, v5, v24, s[20:21]
	v_cndmask_b32_e64 v26, v11, v5, s[20:21]
	;; [unrolled: 1-line block ×4, first 2 shown]
	v_and_b32_e32 v15, v25, v30
	v_and_b32_e32 v16, v26, v30
	v_cmp_lt_u32_e64 s[26:27], v14, v1
	v_cmp_le_u16_sdwa s[28:29], v15, v16 src0_sel:BYTE_0 src1_sel:BYTE_0
	v_cmp_ge_u32_e64 s[22:23], v5, v10
	s_and_b64 s[26:27], s[26:27], s[28:29]
	s_or_b64 s[22:23], s[22:23], s[26:27]
	v_cndmask_b32_e64 v15, v5, v14, s[22:23]
	v_cndmask_b32_e64 v16, v10, v1, s[22:23]
	v_add_u32_e32 v17, 1, v15
	v_add_u32_e32 v16, -1, v16
	v_min_u32_e32 v16, v17, v16
	v_add_u32_e32 v16, v32, v16
	ds_read_u8 v16, v16
	v_cndmask_b32_e64 v14, v14, v17, s[22:23]
	v_cmp_lt_u32_e64 s[28:29], v14, v1
	v_cndmask_b32_e64 v11, v24, v11, s[20:21]
	v_cndmask_b32_e64 v24, v25, v26, s[22:23]
	s_waitcnt lgkmcnt(0)
	v_cndmask_b32_e64 v27, v16, v25, s[22:23]
	v_cndmask_b32_e64 v28, v26, v16, s[22:23]
	;; [unrolled: 1-line block ×3, first 2 shown]
	v_and_b32_e32 v5, v27, v30
	v_and_b32_e32 v17, v28, v30
	v_cmp_le_u16_sdwa s[30:31], v5, v17 src0_sel:BYTE_0 src1_sel:BYTE_0
	v_cmp_ge_u32_e64 s[26:27], v16, v10
	s_and_b64 s[28:29], s[28:29], s[30:31]
	s_or_b64 s[26:27], s[26:27], s[28:29]
	v_cndmask_b32_e64 v18, v16, v14, s[26:27]
	v_cndmask_b32_e64 v5, v10, v1, s[26:27]
	v_add_u32_e32 v17, 1, v18
	v_add_u32_e32 v5, -1, v5
	v_min_u32_e32 v5, v17, v5
	v_add_u32_e32 v5, v32, v5
	ds_read_u8 v19, v5
	v_cndmask_b32_e64 v20, v14, v17, s[26:27]
	v_cmp_lt_u32_e64 s[30:31], v20, v1
	ds_read_b64 v[4:5], v4 offset:2048
	s_waitcnt lgkmcnt(1)
	v_cndmask_b32_e64 v29, v19, v27, s[26:27]
	v_cndmask_b32_e64 v33, v28, v19, s[26:27]
	;; [unrolled: 1-line block ×3, first 2 shown]
	v_and_b32_e32 v14, v29, v30
	v_and_b32_e32 v16, v33, v30
	v_cmp_le_u16_sdwa s[34:35], v14, v16 src0_sel:BYTE_0 src1_sel:BYTE_0
	v_cmp_ge_u32_e64 s[28:29], v19, v10
	s_and_b64 s[30:31], s[30:31], s[34:35]
	s_or_b64 s[28:29], s[28:29], s[30:31]
	v_cndmask_b32_e64 v21, v19, v20, s[28:29]
	v_cndmask_b32_e64 v14, v10, v1, s[28:29]
	v_add_u32_e32 v22, 1, v21
	v_add_u32_e32 v14, -1, v14
	v_min_u32_e32 v14, v22, v14
	v_add_u32_e32 v14, v32, v14
	ds_read_u8 v23, v14
	v_lshl_add_u32 v14, v15, 3, v31
	ds_read_b64 v[16:17], v14 offset:2048
	v_lshl_add_u32 v14, v18, 3, v31
	ds_read_b64 v[14:15], v14 offset:2048
	s_waitcnt lgkmcnt(2)
	v_cndmask_b32_e64 v34, v23, v29, s[28:29]
	v_cndmask_b32_e64 v35, v33, v23, s[28:29]
	;; [unrolled: 1-line block ×4, first 2 shown]
	v_and_b32_e32 v18, v34, v30
	v_and_b32_e32 v19, v35, v30
	v_cmp_lt_u32_e64 s[34:35], v22, v1
	v_cmp_le_u16_sdwa s[36:37], v18, v19 src0_sel:BYTE_0 src1_sel:BYTE_0
	v_cmp_ge_u32_e64 s[30:31], v23, v10
	s_and_b64 s[34:35], s[34:35], s[36:37]
	s_or_b64 s[30:31], s[30:31], s[34:35]
	v_cndmask_b32_e64 v20, v23, v22, s[30:31]
	v_cndmask_b32_e64 v18, v10, v1, s[30:31]
	v_add_u32_e32 v36, 1, v20
	v_add_u32_e32 v18, -1, v18
	v_min_u32_e32 v18, v36, v18
	v_add_u32_e32 v18, v32, v18
	ds_read_u8 v37, v18
	v_cndmask_b32_e64 v39, v36, v23, s[30:31]
	v_cndmask_b32_e64 v36, v22, v36, s[30:31]
	v_cmp_lt_u32_e64 s[36:37], v36, v1
	v_cmp_ge_u32_e64 s[34:35], v39, v10
	s_waitcnt lgkmcnt(0)
	v_cndmask_b32_e64 v38, v37, v34, s[30:31]
	v_cndmask_b32_e64 v37, v35, v37, s[30:31]
	v_and_b32_e32 v22, v38, v30
	v_and_b32_e32 v23, v37, v30
	v_cmp_le_u16_sdwa s[42:43], v22, v23 src0_sel:BYTE_0 src1_sel:BYTE_0
	s_and_b64 s[36:37], s[36:37], s[42:43]
	s_or_b64 s[34:35], s[34:35], s[36:37]
	v_cndmask_b32_e64 v22, v39, v36, s[34:35]
	v_cndmask_b32_e64 v23, v10, v1, s[34:35]
	v_lshl_add_u32 v48, v22, 3, v31
	v_add_u32_e32 v49, 1, v22
	v_add_u32_e32 v22, -1, v23
	v_min_u32_e32 v22, v49, v22
	v_lshl_add_u32 v18, v21, 3, v31
	v_lshl_add_u32 v20, v20, 3, v31
	v_add_u32_e32 v22, v32, v22
	ds_read_b64 v[18:19], v18 offset:2048
	ds_read_b64 v[20:21], v20 offset:2048
	ds_read_u8 v50, v22
	ds_read_b64 v[22:23], v48 offset:2048
	v_cndmask_b32_e64 v48, v27, v28, s[26:27]
	v_cndmask_b32_e64 v36, v36, v49, s[34:35]
	;; [unrolled: 1-line block ×3, first 2 shown]
	s_waitcnt lgkmcnt(1)
	v_cndmask_b32_e64 v25, v50, v38, s[34:35]
	v_cndmask_b32_e64 v28, v37, v50, s[34:35]
	v_and_b32_e32 v26, v25, v30
	v_and_b32_e32 v27, v28, v30
	v_cmp_lt_u32_e64 s[22:23], v36, v1
	v_cmp_le_u16_sdwa s[26:27], v26, v27 src0_sel:BYTE_0 src1_sel:BYTE_0
	v_cmp_ge_u32_e64 s[20:21], v39, v10
	s_and_b64 s[22:23], s[22:23], s[26:27]
	s_or_b64 s[20:21], s[20:21], s[22:23]
	v_cndmask_b32_e64 v26, v39, v36, s[20:21]
	v_cndmask_b32_e64 v27, v10, v1, s[20:21]
	v_lshl_add_u32 v49, v26, 3, v31
	v_add_u32_e32 v50, 1, v26
	v_add_u32_e32 v26, -1, v27
	v_min_u32_e32 v26, v50, v26
	v_add_u32_e32 v32, v32, v26
	ds_read_b64 v[26:27], v49 offset:2048
	ds_read_u8 v32, v32
	v_cndmask_b32_e64 v29, v29, v33, s[28:29]
	v_cndmask_b32_e64 v33, v34, v35, s[30:31]
	;; [unrolled: 1-line block ×4, first 2 shown]
	s_waitcnt lgkmcnt(0)
	v_cndmask_b32_e64 v25, v32, v25, s[20:21]
	v_cndmask_b32_e64 v28, v28, v32, s[20:21]
	;; [unrolled: 1-line block ×3, first 2 shown]
	v_cmp_ge_u32_e64 s[20:21], v32, v10
	v_cmp_lt_u32_e64 s[22:23], v36, v1
	v_and_b32_e32 v1, v25, v30
	v_and_b32_e32 v10, v28, v30
	v_cmp_le_u16_sdwa s[26:27], v1, v10 src0_sel:BYTE_0 src1_sel:BYTE_0
	s_and_b64 s[22:23], s[22:23], s[26:27]
	s_or_b64 s[20:21], s[20:21], s[22:23]
	v_cndmask_b32_e64 v34, v38, v37, s[34:35]
	v_cndmask_b32_e64 v10, v25, v28, s[20:21]
	;; [unrolled: 1-line block ×3, first 2 shown]
	v_lshlrev_b16_e32 v10, 8, v10
	v_lshlrev_b16_e32 v25, 8, v34
	v_or_b32_sdwa v10, v35, v10 dst_sel:WORD_1 dst_unused:UNUSED_PAD src0_sel:BYTE_0 src1_sel:DWORD
	v_or_b32_sdwa v25, v33, v25 dst_sel:DWORD dst_unused:UNUSED_PAD src0_sel:BYTE_0 src1_sel:DWORD
	v_lshl_add_u32 v1, v1, 3, v31
	v_or_b32_sdwa v25, v25, v10 dst_sel:DWORD dst_unused:UNUSED_PAD src0_sel:WORD_0 src1_sel:DWORD
	v_lshlrev_b16_e32 v10, 8, v29
	ds_read_b64 v[28:29], v1 offset:2048
	v_or_b32_sdwa v1, v48, v10 dst_sel:WORD_1 dst_unused:UNUSED_PAD src0_sel:BYTE_0 src1_sel:DWORD
	v_lshlrev_b16_e32 v10, 8, v24
	v_or_b32_sdwa v10, v11, v10 dst_sel:DWORD dst_unused:UNUSED_PAD src0_sel:BYTE_0 src1_sel:DWORD
	v_or_b32_sdwa v24, v10, v1 dst_sel:DWORD dst_unused:UNUSED_PAD src0_sel:WORD_0 src1_sel:DWORD
.LBB95_70:
	s_or_b64 exec, exec, s[40:41]
	; wave barrier
	s_waitcnt lgkmcnt(0)
	s_barrier
                                        ; implicit-def: $vgpr1
                                        ; implicit-def: $vgpr31
                                        ; implicit-def: $vgpr32
                                        ; implicit-def: $vgpr33
.LBB95_71:
	s_andn2_saveexec_b64 s[34:35], s[38:39]
	s_cbranch_execz .LBB95_117
; %bb.72:
	s_load_dwordx2 s[20:21], s[8:9], 0x0
	v_mov_b32_e32 v10, 0
	s_waitcnt lgkmcnt(0)
	s_cmp_lt_u32 s12, s20
	s_cselect_b32 s20, 12, 18
	s_cmp_lt_u32 s13, s21
	s_cselect_b32 s12, 14, 20
	s_add_u32 s12, s8, s12
	s_addc_u32 s13, s9, 0
	s_add_u32 s8, s8, s20
	s_addc_u32 s9, s9, 0
	global_load_ushort v11, v10, s[12:13]
	global_load_ushort v30, v10, s[8:9]
	v_and_b32_e32 v10, 0x3ff, v31
	s_movk_i32 s20, 0x800
	s_waitcnt vmcnt(0)
	v_mad_u32_u24 v11, v33, v11, v32
	v_mul_lo_u32 v11, v11, v30
	v_add_lshl_u32 v30, v11, v10, 3
	v_cmp_gt_u32_e64 s[8:9], s20, v30
	s_and_saveexec_b64 s[12:13], s[8:9]
	s_cbranch_execz .LBB95_76
; %bb.73:
	s_mov_b32 s26, 0xc0c0001
	v_perm_b32 v10, 0, v24, s26
	s_mov_b32 s27, 0xffff0000
	v_lshrrev_b32_e32 v11, 8, v24
	v_and_or_b32 v10, v24, s27, v10
	v_cmp_gt_u16_sdwa s[8:9], v11, v24 src0_sel:BYTE_0 src1_sel:BYTE_0
	v_cndmask_b32_e64 v10, v24, v10, s[8:9]
	v_cndmask_b32_e64 v11, v16, v4, s[8:9]
	;; [unrolled: 1-line block ×3, first 2 shown]
	v_lshrrev_b32_e32 v16, 16, v10
	v_cndmask_b32_e64 v31, v17, v5, s[8:9]
	v_cndmask_b32_e64 v5, v5, v17, s[8:9]
	v_perm_b32 v17, 0, v16, s26
	v_lshlrev_b32_e32 v17, 16, v17
	s_mov_b32 s22, 0xffff
	v_cmp_gt_u16_sdwa s[8:9], v10, v16 src0_sel:BYTE_3 src1_sel:BYTE_0
	v_and_or_b32 v17, v10, s22, v17
	v_cndmask_b32_e64 v16, v18, v14, s[8:9]
	v_cndmask_b32_e64 v14, v14, v18, s[8:9]
	s_mov_b32 s30, 0x7060405
	v_lshrrev_b32_e32 v18, 8, v25
	v_cndmask_b32_e64 v24, v19, v15, s[8:9]
	v_cndmask_b32_e64 v15, v15, v19, s[8:9]
	;; [unrolled: 1-line block ×3, first 2 shown]
	v_perm_b32 v17, v25, v25, s30
	v_cmp_gt_u16_sdwa s[8:9], v18, v25 src0_sel:BYTE_0 src1_sel:BYTE_0
	s_movk_i32 s21, 0xff
	v_cndmask_b32_e64 v17, v25, v17, s[8:9]
	v_cndmask_b32_e64 v18, v20, v22, s[8:9]
	;; [unrolled: 1-line block ×3, first 2 shown]
	v_and_b32_sdwa v22, v17, s21 dst_sel:DWORD dst_unused:UNUSED_PAD src0_sel:WORD_1 src1_sel:DWORD
	s_mov_b32 s28, 0x6070504
	v_cndmask_b32_e64 v19, v21, v23, s[8:9]
	v_cndmask_b32_e64 v21, v23, v21, s[8:9]
	v_perm_b32 v23, v17, v17, s28
	v_cmp_gt_u16_sdwa s[8:9], v17, v22 src0_sel:BYTE_3 src1_sel:DWORD
	v_cndmask_b32_e64 v22, v26, v28, s[8:9]
	v_cndmask_b32_e64 v26, v28, v26, s[8:9]
	;; [unrolled: 1-line block ×3, first 2 shown]
	v_and_b32_sdwa v23, v10, s21 dst_sel:DWORD dst_unused:UNUSED_PAD src0_sel:WORD_1 src1_sel:DWORD
	v_lshrrev_b32_e32 v28, 8, v10
	s_mov_b32 s23, 0x7050604
	v_cndmask_b32_e64 v25, v27, v29, s[8:9]
	v_cndmask_b32_e64 v27, v29, v27, s[8:9]
	v_perm_b32 v29, v10, v10, s23
	v_cmp_gt_u16_sdwa s[8:9], v23, v28 src0_sel:DWORD src1_sel:BYTE_0
	v_cndmask_b32_e64 v10, v10, v29, s[8:9]
	s_mov_b32 s29, 0x3020107
	v_cndmask_b32_e64 v23, v15, v31, s[8:9]
	v_cndmask_b32_e64 v28, v14, v11, s[8:9]
	;; [unrolled: 1-line block ×4, first 2 shown]
	v_perm_b32 v14, v10, v17, s29
	v_and_b32_sdwa v29, v10, s21 dst_sel:DWORD dst_unused:UNUSED_PAD src0_sel:WORD_1 src1_sel:DWORD
	v_lshlrev_b16_e32 v31, 8, v17
	v_cmp_gt_u16_sdwa s[8:9], v17, v10 src0_sel:BYTE_0 src1_sel:BYTE_3
	v_or_b32_sdwa v29, v29, v31 dst_sel:WORD_1 dst_unused:UNUSED_PAD src0_sel:DWORD src1_sel:DWORD
	v_cndmask_b32_e64 v14, v17, v14, s[8:9]
	v_and_or_b32 v29, v10, s22, v29
	v_cndmask_b32_e64 v32, v16, v18, s[8:9]
	v_cndmask_b32_e64 v16, v18, v16, s[8:9]
	v_and_b32_sdwa v17, v14, s21 dst_sel:DWORD dst_unused:UNUSED_PAD src0_sel:WORD_1 src1_sel:DWORD
	v_lshrrev_b32_e32 v18, 8, v14
	v_cndmask_b32_e64 v31, v24, v19, s[8:9]
	v_cndmask_b32_e64 v19, v19, v24, s[8:9]
	v_cndmask_b32_e64 v10, v10, v29, s[8:9]
	v_perm_b32 v24, v14, v14, s23
	v_cmp_gt_u16_sdwa s[8:9], v17, v18 src0_sel:DWORD src1_sel:BYTE_0
	v_cndmask_b32_e64 v18, v20, v22, s[8:9]
	v_cndmask_b32_e64 v20, v22, v20, s[8:9]
	;; [unrolled: 1-line block ×3, first 2 shown]
	v_perm_b32 v22, 0, v10, s26
	v_lshrrev_b32_e32 v24, 8, v10
	v_cndmask_b32_e64 v17, v21, v25, s[8:9]
	v_cndmask_b32_e64 v21, v25, v21, s[8:9]
	v_and_or_b32 v22, v10, s27, v22
	v_cmp_gt_u16_sdwa s[8:9], v24, v10 src0_sel:BYTE_0 src1_sel:BYTE_0
	v_cndmask_b32_e64 v10, v10, v22, s[8:9]
	v_cndmask_b32_e64 v24, v11, v4, s[8:9]
	;; [unrolled: 1-line block ×3, first 2 shown]
	v_lshrrev_b32_e32 v11, 16, v10
	v_cndmask_b32_e64 v25, v15, v5, s[8:9]
	v_cndmask_b32_e64 v5, v5, v15, s[8:9]
	v_perm_b32 v15, 0, v11, s26
	v_lshlrev_b32_e32 v15, 16, v15
	v_and_or_b32 v15, v10, s22, v15
	v_cmp_gt_u16_sdwa s[8:9], v10, v11 src0_sel:BYTE_3 src1_sel:BYTE_0
	v_lshrrev_b32_e32 v29, 8, v14
	v_cndmask_b32_e64 v11, v32, v28, s[8:9]
	v_cndmask_b32_e64 v22, v31, v23, s[8:9]
	;; [unrolled: 1-line block ×5, first 2 shown]
	v_perm_b32 v15, v14, v14, s30
	v_cmp_gt_u16_sdwa s[8:9], v29, v14 src0_sel:BYTE_0 src1_sel:BYTE_0
	v_cndmask_b32_e64 v14, v14, v15, s[8:9]
	v_and_b32_sdwa v15, v14, s21 dst_sel:DWORD dst_unused:UNUSED_PAD src0_sel:WORD_1 src1_sel:DWORD
	v_cndmask_b32_e64 v29, v16, v18, s[8:9]
	v_cndmask_b32_e64 v31, v19, v17, s[8:9]
	v_cndmask_b32_e64 v16, v18, v16, s[8:9]
	v_cndmask_b32_e64 v17, v17, v19, s[8:9]
	v_perm_b32 v18, v14, v14, s28
	v_cmp_gt_u16_sdwa s[8:9], v14, v15 src0_sel:BYTE_3 src1_sel:DWORD
	v_cndmask_b32_e64 v15, v20, v26, s[8:9]
	v_cndmask_b32_e64 v20, v26, v20, s[8:9]
	;; [unrolled: 1-line block ×3, first 2 shown]
	v_and_b32_sdwa v18, v10, s21 dst_sel:DWORD dst_unused:UNUSED_PAD src0_sel:WORD_1 src1_sel:DWORD
	v_lshrrev_b32_e32 v26, 8, v10
	v_cndmask_b32_e64 v19, v21, v27, s[8:9]
	v_cndmask_b32_e64 v21, v27, v21, s[8:9]
	v_perm_b32 v27, v10, v10, s23
	v_cmp_gt_u16_sdwa s[8:9], v18, v26 src0_sel:DWORD src1_sel:BYTE_0
	v_cndmask_b32_e64 v10, v10, v27, s[8:9]
	v_cndmask_b32_e64 v26, v28, v24, s[8:9]
	;; [unrolled: 1-line block ×3, first 2 shown]
	v_and_b32_sdwa v27, v10, s21 dst_sel:DWORD dst_unused:UNUSED_PAD src0_sel:WORD_1 src1_sel:DWORD
	v_lshlrev_b16_e32 v28, 8, v14
	v_cndmask_b32_e64 v18, v23, v25, s[8:9]
	v_cndmask_b32_e64 v23, v25, v23, s[8:9]
	v_perm_b32 v25, v10, v14, s29
	v_or_b32_sdwa v27, v27, v28 dst_sel:WORD_1 dst_unused:UNUSED_PAD src0_sel:DWORD src1_sel:DWORD
	v_cmp_gt_u16_sdwa s[8:9], v14, v10 src0_sel:BYTE_0 src1_sel:BYTE_3
	v_and_or_b32 v27, v10, s22, v27
	v_cndmask_b32_e64 v14, v14, v25, s[8:9]
	v_cndmask_b32_e64 v10, v10, v27, s[8:9]
	v_and_b32_sdwa v25, v14, s21 dst_sel:DWORD dst_unused:UNUSED_PAD src0_sel:WORD_1 src1_sel:DWORD
	v_lshrrev_b32_e32 v27, 8, v14
	v_cndmask_b32_e64 v28, v22, v31, s[8:9]
	v_cndmask_b32_e64 v32, v11, v29, s[8:9]
	;; [unrolled: 1-line block ×4, first 2 shown]
	v_cmp_gt_u16_sdwa s[8:9], v25, v27 src0_sel:DWORD src1_sel:BYTE_0
	v_perm_b32 v29, v14, v14, s23
	v_cndmask_b32_e64 v25, v17, v19, s[8:9]
	v_cndmask_b32_e64 v27, v16, v15, s[8:9]
	;; [unrolled: 1-line block ×4, first 2 shown]
	v_perm_b32 v16, 0, v10, s26
	v_lshrrev_b32_e32 v19, 8, v10
	v_cndmask_b32_e64 v14, v14, v29, s[8:9]
	v_and_or_b32 v16, v10, s27, v16
	v_cmp_gt_u16_sdwa s[8:9], v19, v10 src0_sel:BYTE_0 src1_sel:BYTE_0
	v_cndmask_b32_e64 v10, v10, v16, s[8:9]
	v_lshrrev_b32_e32 v16, 16, v10
	v_cndmask_b32_e64 v29, v23, v5, s[8:9]
	v_cndmask_b32_e64 v5, v5, v23, s[8:9]
	v_perm_b32 v23, 0, v16, s26
	v_cndmask_b32_e64 v19, v24, v4, s[8:9]
	v_cndmask_b32_e64 v4, v4, v24, s[8:9]
	v_lshlrev_b32_e32 v23, 16, v23
	v_cmp_gt_u16_sdwa s[8:9], v10, v16 src0_sel:BYTE_3 src1_sel:BYTE_0
	v_and_or_b32 v23, v10, s22, v23
	v_cndmask_b32_e64 v24, v28, v18, s[8:9]
	v_cndmask_b32_e64 v18, v18, v28, s[8:9]
	v_lshrrev_b32_e32 v28, 8, v14
	v_cndmask_b32_e64 v16, v32, v26, s[8:9]
	v_cndmask_b32_e64 v26, v26, v32, s[8:9]
	;; [unrolled: 1-line block ×3, first 2 shown]
	v_perm_b32 v23, v14, v14, s30
	v_cmp_gt_u16_sdwa s[8:9], v28, v14 src0_sel:BYTE_0 src1_sel:BYTE_0
	v_cndmask_b32_e64 v14, v14, v23, s[8:9]
	v_and_b32_sdwa v23, v14, s21 dst_sel:DWORD dst_unused:UNUSED_PAD src0_sel:WORD_1 src1_sel:DWORD
	v_cndmask_b32_e64 v28, v11, v27, s[8:9]
	v_cndmask_b32_e64 v31, v22, v25, s[8:9]
	;; [unrolled: 1-line block ×4, first 2 shown]
	v_cmp_gt_u16_sdwa s[8:9], v14, v23 src0_sel:BYTE_3 src1_sel:DWORD
	v_perm_b32 v25, v14, v14, s28
	v_cndmask_b32_e64 v23, v15, v20, s[8:9]
	v_cndmask_b32_e64 v27, v17, v21, s[8:9]
	;; [unrolled: 1-line block ×4, first 2 shown]
	v_and_b32_sdwa v20, v10, s21 dst_sel:DWORD dst_unused:UNUSED_PAD src0_sel:WORD_1 src1_sel:DWORD
	v_lshrrev_b32_e32 v21, 8, v10
	v_cndmask_b32_e64 v14, v14, v25, s[8:9]
	v_perm_b32 v25, v10, v10, s23
	v_cmp_gt_u16_sdwa s[8:9], v20, v21 src0_sel:DWORD src1_sel:BYTE_0
	v_cndmask_b32_e64 v10, v10, v25, s[8:9]
	v_cndmask_b32_e64 v20, v18, v29, s[8:9]
	;; [unrolled: 1-line block ×5, first 2 shown]
	v_and_b32_sdwa v26, v10, s21 dst_sel:DWORD dst_unused:UNUSED_PAD src0_sel:WORD_1 src1_sel:DWORD
	v_lshlrev_b16_e32 v29, 8, v14
	v_perm_b32 v25, v10, v14, s29
	v_or_b32_sdwa v26, v26, v29 dst_sel:WORD_1 dst_unused:UNUSED_PAD src0_sel:DWORD src1_sel:DWORD
	v_cmp_gt_u16_sdwa s[8:9], v14, v10 src0_sel:BYTE_0 src1_sel:BYTE_3
	v_and_or_b32 v26, v10, s22, v26
	v_cndmask_b32_e64 v14, v14, v25, s[8:9]
	v_cndmask_b32_e64 v10, v10, v26, s[8:9]
	v_and_b32_sdwa v25, v14, s21 dst_sel:DWORD dst_unused:UNUSED_PAD src0_sel:WORD_1 src1_sel:DWORD
	v_lshrrev_b32_e32 v26, 8, v14
	v_cndmask_b32_e64 v29, v24, v31, s[8:9]
	v_cndmask_b32_e64 v32, v16, v28, s[8:9]
	;; [unrolled: 1-line block ×4, first 2 shown]
	v_perm_b32 v28, v14, v14, s23
	v_cmp_gt_u16_sdwa s[8:9], v25, v26 src0_sel:DWORD src1_sel:BYTE_0
	v_cndmask_b32_e64 v25, v22, v27, s[8:9]
	v_cndmask_b32_e64 v26, v11, v23, s[8:9]
	;; [unrolled: 1-line block ×5, first 2 shown]
	v_perm_b32 v14, 0, v10, s26
	v_lshrrev_b32_e32 v22, 8, v10
	v_and_or_b32 v14, v10, s27, v14
	v_cmp_gt_u16_sdwa s[8:9], v22, v10 src0_sel:BYTE_0 src1_sel:BYTE_0
	v_cndmask_b32_e64 v10, v10, v14, s[8:9]
	v_lshrrev_b32_e32 v14, 16, v10
	v_cndmask_b32_e64 v34, v18, v5, s[8:9]
	v_cndmask_b32_e64 v5, v5, v18, s[8:9]
	v_perm_b32 v18, 0, v14, s26
	v_lshlrev_b32_e32 v18, 16, v18
	v_cndmask_b32_e64 v33, v19, v4, s[8:9]
	v_cndmask_b32_e64 v4, v4, v19, s[8:9]
	v_and_or_b32 v18, v10, s22, v18
	v_cmp_gt_u16_sdwa s[8:9], v10, v14 src0_sel:BYTE_3 src1_sel:BYTE_0
	v_lshrrev_b32_e32 v14, 8, v11
	v_cndmask_b32_e64 v35, v32, v21, s[8:9]
	v_cndmask_b32_e64 v36, v29, v20, s[8:9]
	v_cndmask_b32_e64 v19, v21, v32, s[8:9]
	v_cndmask_b32_e64 v20, v20, v29, s[8:9]
	v_cndmask_b32_e64 v18, v10, v18, s[8:9]
	v_perm_b32 v10, v11, v11, s30
	v_cmp_gt_u16_sdwa s[8:9], v14, v11 src0_sel:BYTE_0 src1_sel:BYTE_0
	v_cndmask_b32_e64 v14, v11, v10, s[8:9]
	v_and_b32_sdwa v10, v14, s21 dst_sel:DWORD dst_unused:UNUSED_PAD src0_sel:WORD_1 src1_sel:DWORD
	v_cndmask_b32_e64 v32, v16, v26, s[8:9]
	v_cndmask_b32_e64 v21, v24, v25, s[8:9]
	;; [unrolled: 1-line block ×4, first 2 shown]
	v_perm_b32 v16, v14, v14, s28
	v_cmp_gt_u16_sdwa s[8:9], v14, v10 src0_sel:BYTE_3 src1_sel:DWORD
	v_cndmask_b32_e64 v10, v31, v15, s[8:9]
	v_cndmask_b32_e64 v28, v15, v31, s[8:9]
	;; [unrolled: 1-line block ×3, first 2 shown]
	v_and_b32_sdwa v14, v18, s21 dst_sel:DWORD dst_unused:UNUSED_PAD src0_sel:WORD_1 src1_sel:DWORD
	v_lshrrev_b32_e32 v15, 8, v18
	v_cndmask_b32_e64 v11, v27, v17, s[8:9]
	v_cndmask_b32_e64 v29, v17, v27, s[8:9]
	v_perm_b32 v25, v18, v18, s23
	v_cmp_gt_u16_sdwa s[8:9], v14, v15 src0_sel:DWORD src1_sel:BYTE_0
	v_cndmask_b32_e64 v26, v18, v25, s[8:9]
	v_cndmask_b32_e64 v14, v19, v33, s[8:9]
	v_cndmask_b32_e64 v16, v33, v19, s[8:9]
	v_and_b32_sdwa v18, v26, s21 dst_sel:DWORD dst_unused:UNUSED_PAD src0_sel:WORD_1 src1_sel:DWORD
	v_lshlrev_b16_e32 v19, 8, v24
	v_cndmask_b32_e64 v15, v20, v34, s[8:9]
	v_cndmask_b32_e64 v17, v34, v20, s[8:9]
	v_perm_b32 v25, v26, v24, s29
	v_or_b32_sdwa v18, v18, v19 dst_sel:WORD_1 dst_unused:UNUSED_PAD src0_sel:DWORD src1_sel:DWORD
	v_cmp_gt_u16_sdwa s[8:9], v24, v26 src0_sel:BYTE_0 src1_sel:BYTE_3
	v_and_or_b32 v27, v26, s22, v18
	v_cndmask_b32_e64 v25, v24, v25, s[8:9]
	v_cndmask_b32_e64 v24, v26, v27, s[8:9]
	v_and_b32_sdwa v26, v25, s21 dst_sel:DWORD dst_unused:UNUSED_PAD src0_sel:WORD_1 src1_sel:DWORD
	v_lshrrev_b32_e32 v27, 8, v25
	v_cndmask_b32_e64 v19, v36, v21, s[8:9]
	v_cndmask_b32_e64 v18, v35, v32, s[8:9]
	;; [unrolled: 1-line block ×4, first 2 shown]
	v_cmp_gt_u16_sdwa s[26:27], v26, v27 src0_sel:DWORD src1_sel:BYTE_0
	v_pk_mov_b32 v[26:27], v[10:11], v[10:11] op_sel:[0,1]
	s_and_saveexec_b64 s[8:9], s[26:27]
; %bb.74:
	v_perm_b32 v25, v25, v25, s23
	v_pk_mov_b32 v[26:27], v[22:23], v[22:23] op_sel:[0,1]
	v_pk_mov_b32 v[22:23], v[10:11], v[10:11] op_sel:[0,1]
; %bb.75:
	s_or_b64 exec, exec, s[8:9]
.LBB95_76:
	s_or_b64 exec, exec, s[12:13]
	v_and_b32_e32 v31, 0xfffffe00, v30
	v_lshrrev_b64 v[10:11], 24, v[24:25]
	v_sub_u32_e64 v32, s20, v31 clamp
	v_or_b32_e32 v11, 8, v1
	v_min_u32_e32 v50, v32, v11
	v_add_u32_e32 v11, 8, v50
	v_and_b32_e32 v39, 0x3f0, v1
	v_min_u32_e32 v51, v32, v11
	v_and_b32_e32 v11, 8, v1
	v_min_u32_e32 v49, v32, v11
	v_sub_u32_e32 v11, v50, v39
	v_sub_u32_e32 v52, v51, v50
	v_lshlrev_b32_e32 v30, 3, v31
	v_sub_u32_e64 v53, v49, v52 clamp
	v_min_u32_e32 v11, v49, v11
	v_add_u32_e32 v33, v31, v1
	v_lshl_add_u32 v34, v1, 3, v30
	v_lshrrev_b32_e32 v35, 8, v24
	v_lshrrev_b32_e32 v36, 16, v24
	;; [unrolled: 1-line block ×5, first 2 shown]
	v_cmp_lt_u32_e64 s[8:9], v53, v11
	ds_write_b8 v33, v24
	ds_write_b64 v34, v[4:5] offset:2048
	ds_write_b8 v33, v35 offset:1
	ds_write_b64 v34, v[16:17] offset:2056
	ds_write_b8 v33, v36 offset:2
	;; [unrolled: 2-line block ×7, first 2 shown]
	ds_write_b64 v34, v[28:29] offset:2104
	; wave barrier
	s_and_saveexec_b64 s[12:13], s[8:9]
	s_cbranch_execz .LBB95_80
; %bb.77:
	v_add_u32_e32 v52, v31, v39
	v_add3_u32 v54, v31, v50, v49
	s_mov_b64 s[20:21], 0
.LBB95_78:                              ; =>This Inner Loop Header: Depth=1
	v_add_u32_e32 v55, v11, v53
	v_lshrrev_b32_e32 v55, 1, v55
	v_add_u32_e32 v64, v52, v55
	v_xad_u32 v65, v55, -1, v54
	ds_read_u8 v64, v64
	ds_read_u8 v65, v65
	v_add_u32_e32 v66, 1, v55
	s_waitcnt lgkmcnt(0)
	v_cmp_gt_u16_e64 s[8:9], v65, v64
	v_cndmask_b32_e64 v11, v11, v55, s[8:9]
	v_cndmask_b32_e64 v53, v66, v53, s[8:9]
	v_cmp_ge_u32_e64 s[8:9], v53, v11
	s_or_b64 s[20:21], s[8:9], s[20:21]
	s_andn2_b64 exec, exec, s[20:21]
	s_cbranch_execnz .LBB95_78
; %bb.79:
	s_or_b64 exec, exec, s[20:21]
.LBB95_80:
	s_or_b64 exec, exec, s[12:13]
	v_add_u32_e32 v52, v53, v39
	v_add_u32_e32 v39, v50, v49
	v_sub_u32_e32 v53, v39, v53
	v_cmp_le_u32_e64 s[8:9], v52, v50
	v_cmp_le_u32_e64 s[12:13], v53, v51
	v_add_u32_e32 v11, 0x800, v34
	s_or_b64 s[8:9], s[8:9], s[12:13]
	v_mov_b32_e32 v39, v24
	v_mov_b32_e32 v49, v25
	s_and_saveexec_b64 s[36:37], s[8:9]
	s_cbranch_execz .LBB95_86
; %bb.81:
	v_cmp_lt_u32_e64 s[8:9], v52, v50
                                        ; implicit-def: $vgpr10
	s_and_saveexec_b64 s[12:13], s[8:9]
	s_cbranch_execz .LBB95_83
; %bb.82:
	v_add_u32_e32 v4, v31, v52
	ds_read_u8 v10, v4
.LBB95_83:
	s_or_b64 exec, exec, s[12:13]
	v_cmp_ge_u32_e64 s[20:21], v53, v51
	v_cmp_lt_u32_e64 s[12:13], v53, v51
                                        ; implicit-def: $vgpr24
	s_and_saveexec_b64 s[22:23], s[12:13]
	s_cbranch_execz .LBB95_85
; %bb.84:
	v_add_u32_e32 v4, v31, v53
	ds_read_u8 v24, v4
.LBB95_85:
	s_or_b64 exec, exec, s[22:23]
	s_waitcnt lgkmcnt(0)
	v_cmp_le_u16_sdwa s[12:13], v24, v10 src0_sel:BYTE_0 src1_sel:BYTE_0
	s_and_b64 s[8:9], s[8:9], s[12:13]
	s_or_b64 s[8:9], s[20:21], s[8:9]
	v_cndmask_b32_e64 v4, v53, v52, s[8:9]
	v_cndmask_b32_e64 v5, v51, v50, s[8:9]
	v_add_u32_e32 v14, 1, v4
	v_add_u32_e32 v5, -1, v5
	v_min_u32_e32 v5, v14, v5
	v_add_u32_e32 v5, v31, v5
	ds_read_u8 v5, v5
	v_cndmask_b32_e64 v15, v14, v53, s[8:9]
	v_cmp_ge_u32_e64 s[12:13], v15, v51
	v_lshl_add_u32 v4, v4, 3, v30
	v_cndmask_b32_e64 v39, v24, v10, s[8:9]
	s_waitcnt lgkmcnt(0)
	v_cndmask_b32_e64 v25, v5, v24, s[8:9]
	v_cndmask_b32_e64 v26, v10, v5, s[8:9]
	;; [unrolled: 1-line block ×3, first 2 shown]
	v_cmp_lt_u32_e64 s[20:21], v5, v50
	v_cmp_le_u16_sdwa s[22:23], v25, v26 src0_sel:BYTE_0 src1_sel:BYTE_0
	s_and_b64 s[20:21], s[20:21], s[22:23]
	s_or_b64 s[20:21], s[12:13], s[20:21]
	v_cndmask_b32_e64 v14, v15, v5, s[20:21]
	v_cndmask_b32_e64 v16, v51, v50, s[20:21]
	v_add_u32_e32 v17, 1, v14
	v_add_u32_e32 v16, -1, v16
	v_min_u32_e32 v16, v17, v16
	v_add_u32_e32 v16, v31, v16
	ds_read_u8 v16, v16
	v_cndmask_b32_e64 v15, v17, v15, s[20:21]
	v_cmp_ge_u32_e64 s[12:13], v15, v51
	v_lshl_add_u32 v14, v14, 3, v30
	s_waitcnt lgkmcnt(0)
	v_cndmask_b32_e64 v27, v16, v25, s[20:21]
	v_cndmask_b32_e64 v28, v26, v16, s[20:21]
	;; [unrolled: 1-line block ×3, first 2 shown]
	v_cmp_lt_u32_e64 s[22:23], v16, v50
	v_cmp_le_u16_sdwa s[26:27], v27, v28 src0_sel:BYTE_0 src1_sel:BYTE_0
	s_and_b64 s[22:23], s[22:23], s[26:27]
	s_or_b64 s[12:13], s[12:13], s[22:23]
	v_cndmask_b32_e64 v18, v15, v16, s[12:13]
	v_cndmask_b32_e64 v5, v51, v50, s[12:13]
	v_add_u32_e32 v17, 1, v18
	v_add_u32_e32 v5, -1, v5
	v_min_u32_e32 v5, v17, v5
	v_add_u32_e32 v5, v31, v5
	ds_read_u8 v19, v5
	v_cndmask_b32_e64 v20, v16, v17, s[12:13]
	v_cmp_lt_u32_e64 s[26:27], v20, v50
	ds_read_b64 v[4:5], v4 offset:2048
	s_waitcnt lgkmcnt(1)
	v_cndmask_b32_e64 v29, v19, v27, s[12:13]
	v_cndmask_b32_e64 v37, v28, v19, s[12:13]
	;; [unrolled: 1-line block ×3, first 2 shown]
	ds_read_b64 v[16:17], v14 offset:2048
	v_cmp_le_u16_sdwa s[28:29], v29, v37 src0_sel:BYTE_0 src1_sel:BYTE_0
	v_cmp_ge_u32_e64 s[22:23], v19, v51
	s_and_b64 s[26:27], s[26:27], s[28:29]
	s_or_b64 s[22:23], s[22:23], s[26:27]
	v_cndmask_b32_e64 v21, v19, v20, s[22:23]
	v_cndmask_b32_e64 v15, v51, v50, s[22:23]
	v_add_u32_e32 v22, 1, v21
	v_add_u32_e32 v15, -1, v15
	v_min_u32_e32 v15, v22, v15
	v_add_u32_e32 v15, v31, v15
	ds_read_u8 v23, v15
	v_lshl_add_u32 v14, v18, 3, v30
	ds_read_b64 v[14:15], v14 offset:2048
	s_waitcnt lgkmcnt(1)
	v_cndmask_b32_e64 v38, v23, v29, s[22:23]
	v_cndmask_b32_e64 v48, v37, v23, s[22:23]
	;; [unrolled: 1-line block ×4, first 2 shown]
	v_cmp_lt_u32_e64 s[28:29], v22, v50
	v_cmp_le_u16_sdwa s[30:31], v38, v48 src0_sel:BYTE_0 src1_sel:BYTE_0
	v_cmp_ge_u32_e64 s[26:27], v23, v51
	s_and_b64 s[28:29], s[28:29], s[30:31]
	s_or_b64 s[26:27], s[26:27], s[28:29]
	v_cndmask_b32_e64 v20, v23, v22, s[26:27]
	v_cndmask_b32_e64 v18, v51, v50, s[26:27]
	v_add_u32_e32 v35, 1, v20
	v_add_u32_e32 v18, -1, v18
	v_min_u32_e32 v18, v35, v18
	v_add_u32_e32 v18, v31, v18
	ds_read_u8 v36, v18
	v_cndmask_b32_e64 v54, v22, v35, s[26:27]
	v_cndmask_b32_e64 v49, v35, v23, s[26:27]
	v_cmp_lt_u32_e64 s[30:31], v54, v50
	v_cmp_ge_u32_e64 s[28:29], v49, v51
	s_waitcnt lgkmcnt(0)
	v_cndmask_b32_e64 v52, v36, v38, s[26:27]
	v_cndmask_b32_e64 v53, v48, v36, s[26:27]
	v_cmp_le_u16_sdwa s[38:39], v52, v53 src0_sel:BYTE_0 src1_sel:BYTE_0
	s_and_b64 s[30:31], s[30:31], s[38:39]
	s_or_b64 s[28:29], s[28:29], s[30:31]
	v_cndmask_b32_e64 v22, v49, v54, s[28:29]
	v_cndmask_b32_e64 v23, v51, v50, s[28:29]
	v_lshl_add_u32 v35, v22, 3, v30
	v_add_u32_e32 v55, 1, v22
	v_add_u32_e32 v22, -1, v23
	v_min_u32_e32 v22, v55, v22
	v_lshl_add_u32 v18, v21, 3, v30
	v_lshl_add_u32 v20, v20, 3, v30
	v_add_u32_e32 v22, v31, v22
	ds_read_b64 v[18:19], v18 offset:2048
	ds_read_b64 v[20:21], v20 offset:2048
	ds_read_u8 v64, v22
	ds_read_b64 v[22:23], v35 offset:2048
	v_cndmask_b32_e64 v35, v25, v26, s[20:21]
	v_cndmask_b32_e64 v54, v54, v55, s[28:29]
	v_cndmask_b32_e64 v36, v27, v28, s[12:13]
	s_waitcnt lgkmcnt(1)
	v_cndmask_b32_e64 v24, v64, v52, s[28:29]
	v_cndmask_b32_e64 v25, v53, v64, s[28:29]
	;; [unrolled: 1-line block ×3, first 2 shown]
	v_cmp_lt_u32_e64 s[12:13], v54, v50
	v_cmp_le_u16_sdwa s[20:21], v24, v25 src0_sel:BYTE_0 src1_sel:BYTE_0
	v_cmp_ge_u32_e64 s[8:9], v28, v51
	s_and_b64 s[12:13], s[12:13], s[20:21]
	s_or_b64 s[8:9], s[8:9], s[12:13]
	v_cndmask_b32_e64 v10, v28, v54, s[8:9]
	v_cndmask_b32_e64 v26, v51, v50, s[8:9]
	v_lshl_add_u32 v27, v10, 3, v30
	v_add_u32_e32 v55, 1, v10
	v_add_u32_e32 v10, -1, v26
	v_min_u32_e32 v10, v55, v10
	v_add_u32_e32 v10, v31, v10
	ds_read_b64 v[26:27], v27 offset:2048
	ds_read_u8 v64, v10
	v_cndmask_b32_e64 v10, v29, v37, s[22:23]
	v_cndmask_b32_e64 v49, v38, v48, s[26:27]
	;; [unrolled: 1-line block ×4, first 2 shown]
	s_waitcnt lgkmcnt(0)
	v_cndmask_b32_e64 v24, v64, v24, s[8:9]
	v_cndmask_b32_e64 v25, v25, v64, s[8:9]
	;; [unrolled: 1-line block ×3, first 2 shown]
	v_cmp_lt_u32_e64 s[12:13], v29, v50
	v_cmp_le_u16_sdwa s[20:21], v24, v25 src0_sel:BYTE_0 src1_sel:BYTE_0
	v_cmp_ge_u32_e64 s[8:9], v28, v51
	s_and_b64 s[12:13], s[12:13], s[20:21]
	s_or_b64 s[8:9], s[8:9], s[12:13]
	v_cndmask_b32_e64 v28, v28, v29, s[8:9]
	v_cndmask_b32_e64 v37, v52, v53, s[28:29]
	;; [unrolled: 1-line block ×3, first 2 shown]
	v_lshl_add_u32 v28, v28, 3, v30
	v_lshlrev_b16_e32 v24, 8, v48
	v_lshlrev_b16_e32 v25, 8, v37
	ds_read_b64 v[28:29], v28 offset:2048
	v_or_b32_sdwa v24, v38, v24 dst_sel:WORD_1 dst_unused:UNUSED_PAD src0_sel:BYTE_0 src1_sel:DWORD
	v_or_b32_sdwa v25, v49, v25 dst_sel:DWORD dst_unused:UNUSED_PAD src0_sel:BYTE_0 src1_sel:DWORD
	v_or_b32_sdwa v25, v25, v24 dst_sel:DWORD dst_unused:UNUSED_PAD src0_sel:WORD_0 src1_sel:DWORD
	v_lshlrev_b16_e32 v24, 8, v10
	v_lshlrev_b16_e32 v50, 8, v35
	v_or_b32_sdwa v24, v36, v24 dst_sel:WORD_1 dst_unused:UNUSED_PAD src0_sel:BYTE_0 src1_sel:DWORD
	v_or_b32_sdwa v50, v39, v50 dst_sel:DWORD dst_unused:UNUSED_PAD src0_sel:BYTE_0 src1_sel:DWORD
	v_or_b32_sdwa v24, v50, v24 dst_sel:DWORD dst_unused:UNUSED_PAD src0_sel:WORD_0 src1_sel:DWORD
.LBB95_86:
	s_or_b64 exec, exec, s[36:37]
	v_and_b32_e32 v52, 0x3e0, v1
	v_or_b32_e32 v50, 16, v52
	v_min_u32_e32 v50, v32, v50
	v_add_u32_e32 v51, 16, v50
	v_min_u32_e32 v51, v32, v51
	v_and_b32_e32 v53, 24, v1
	v_min_u32_e32 v53, v32, v53
	v_sub_u32_e32 v55, v50, v52
	v_sub_u32_e32 v54, v51, v50
	v_sub_u32_e64 v54, v53, v54 clamp
	v_min_u32_e32 v55, v53, v55
	v_cmp_lt_u32_e64 s[8:9], v54, v55
	; wave barrier
	ds_write_b8 v33, v39
	ds_write_b64 v34, v[4:5] offset:2048
	ds_write_b8 v33, v35 offset:1
	ds_write_b64 v11, v[16:17] offset:8
	ds_write_b8 v33, v36 offset:2
	;; [unrolled: 2-line block ×7, first 2 shown]
	s_waitcnt lgkmcnt(14)
	ds_write_b64 v11, v[28:29] offset:56
	; wave barrier
	s_and_saveexec_b64 s[12:13], s[8:9]
	s_cbranch_execz .LBB95_90
; %bb.87:
	v_add_u32_e32 v64, v31, v52
	v_add3_u32 v65, v31, v50, v53
	s_mov_b64 s[20:21], 0
.LBB95_88:                              ; =>This Inner Loop Header: Depth=1
	v_add_u32_e32 v66, v55, v54
	v_lshrrev_b32_e32 v66, 1, v66
	v_add_u32_e32 v67, v64, v66
	v_xad_u32 v68, v66, -1, v65
	ds_read_u8 v67, v67
	ds_read_u8 v68, v68
	v_add_u32_e32 v69, 1, v66
	s_waitcnt lgkmcnt(0)
	v_cmp_gt_u16_e64 s[8:9], v68, v67
	v_cndmask_b32_e64 v55, v55, v66, s[8:9]
	v_cndmask_b32_e64 v54, v69, v54, s[8:9]
	v_cmp_ge_u32_e64 s[8:9], v54, v55
	s_or_b64 s[20:21], s[8:9], s[20:21]
	s_andn2_b64 exec, exec, s[20:21]
	s_cbranch_execnz .LBB95_88
; %bb.89:
	s_or_b64 exec, exec, s[20:21]
.LBB95_90:
	s_or_b64 exec, exec, s[12:13]
	v_add_u32_e32 v53, v50, v53
	v_add_u32_e32 v52, v54, v52
	v_sub_u32_e32 v53, v53, v54
	v_cmp_le_u32_e64 s[8:9], v52, v50
	v_cmp_le_u32_e64 s[12:13], v53, v51
	s_or_b64 s[8:9], s[8:9], s[12:13]
	s_and_saveexec_b64 s[36:37], s[8:9]
	s_cbranch_execz .LBB95_96
; %bb.91:
	v_cmp_lt_u32_e64 s[8:9], v52, v50
                                        ; implicit-def: $vgpr10
	s_and_saveexec_b64 s[12:13], s[8:9]
	s_cbranch_execz .LBB95_93
; %bb.92:
	v_add_u32_e32 v4, v31, v52
	ds_read_u8 v10, v4
.LBB95_93:
	s_or_b64 exec, exec, s[12:13]
	v_cmp_ge_u32_e64 s[20:21], v53, v51
	v_cmp_lt_u32_e64 s[12:13], v53, v51
                                        ; implicit-def: $vgpr24
	s_and_saveexec_b64 s[22:23], s[12:13]
	s_cbranch_execz .LBB95_95
; %bb.94:
	v_add_u32_e32 v4, v31, v53
	ds_read_u8 v24, v4
.LBB95_95:
	s_or_b64 exec, exec, s[22:23]
	s_waitcnt lgkmcnt(0)
	v_cmp_le_u16_sdwa s[12:13], v24, v10 src0_sel:BYTE_0 src1_sel:BYTE_0
	s_and_b64 s[8:9], s[8:9], s[12:13]
	s_or_b64 s[8:9], s[20:21], s[8:9]
	v_cndmask_b32_e64 v4, v53, v52, s[8:9]
	v_cndmask_b32_e64 v5, v51, v50, s[8:9]
	v_add_u32_e32 v14, 1, v4
	v_add_u32_e32 v5, -1, v5
	v_min_u32_e32 v5, v14, v5
	v_add_u32_e32 v5, v31, v5
	ds_read_u8 v5, v5
	v_cndmask_b32_e64 v15, v14, v53, s[8:9]
	v_cmp_ge_u32_e64 s[12:13], v15, v51
	v_lshl_add_u32 v4, v4, 3, v30
	v_cndmask_b32_e64 v39, v24, v10, s[8:9]
	s_waitcnt lgkmcnt(0)
	v_cndmask_b32_e64 v25, v5, v24, s[8:9]
	v_cndmask_b32_e64 v26, v10, v5, s[8:9]
	;; [unrolled: 1-line block ×3, first 2 shown]
	v_cmp_lt_u32_e64 s[20:21], v5, v50
	v_cmp_le_u16_sdwa s[22:23], v25, v26 src0_sel:BYTE_0 src1_sel:BYTE_0
	s_and_b64 s[20:21], s[20:21], s[22:23]
	s_or_b64 s[20:21], s[12:13], s[20:21]
	v_cndmask_b32_e64 v14, v15, v5, s[20:21]
	v_cndmask_b32_e64 v16, v51, v50, s[20:21]
	v_add_u32_e32 v17, 1, v14
	v_add_u32_e32 v16, -1, v16
	v_min_u32_e32 v16, v17, v16
	v_add_u32_e32 v16, v31, v16
	ds_read_u8 v16, v16
	v_cndmask_b32_e64 v15, v17, v15, s[20:21]
	v_cmp_ge_u32_e64 s[12:13], v15, v51
	v_lshl_add_u32 v14, v14, 3, v30
	s_waitcnt lgkmcnt(0)
	v_cndmask_b32_e64 v27, v16, v25, s[20:21]
	v_cndmask_b32_e64 v28, v26, v16, s[20:21]
	;; [unrolled: 1-line block ×3, first 2 shown]
	v_cmp_lt_u32_e64 s[22:23], v16, v50
	v_cmp_le_u16_sdwa s[26:27], v27, v28 src0_sel:BYTE_0 src1_sel:BYTE_0
	s_and_b64 s[22:23], s[22:23], s[26:27]
	s_or_b64 s[12:13], s[12:13], s[22:23]
	v_cndmask_b32_e64 v18, v15, v16, s[12:13]
	v_cndmask_b32_e64 v5, v51, v50, s[12:13]
	v_add_u32_e32 v17, 1, v18
	v_add_u32_e32 v5, -1, v5
	v_min_u32_e32 v5, v17, v5
	v_add_u32_e32 v5, v31, v5
	ds_read_u8 v19, v5
	v_cndmask_b32_e64 v20, v16, v17, s[12:13]
	v_cmp_lt_u32_e64 s[26:27], v20, v50
	ds_read_b64 v[4:5], v4 offset:2048
	s_waitcnt lgkmcnt(1)
	v_cndmask_b32_e64 v29, v19, v27, s[12:13]
	v_cndmask_b32_e64 v37, v28, v19, s[12:13]
	;; [unrolled: 1-line block ×3, first 2 shown]
	ds_read_b64 v[16:17], v14 offset:2048
	v_cmp_le_u16_sdwa s[28:29], v29, v37 src0_sel:BYTE_0 src1_sel:BYTE_0
	v_cmp_ge_u32_e64 s[22:23], v19, v51
	s_and_b64 s[26:27], s[26:27], s[28:29]
	s_or_b64 s[22:23], s[22:23], s[26:27]
	v_cndmask_b32_e64 v21, v19, v20, s[22:23]
	v_cndmask_b32_e64 v15, v51, v50, s[22:23]
	v_add_u32_e32 v22, 1, v21
	v_add_u32_e32 v15, -1, v15
	v_min_u32_e32 v15, v22, v15
	v_add_u32_e32 v15, v31, v15
	ds_read_u8 v23, v15
	v_lshl_add_u32 v14, v18, 3, v30
	ds_read_b64 v[14:15], v14 offset:2048
	s_waitcnt lgkmcnt(1)
	v_cndmask_b32_e64 v38, v23, v29, s[22:23]
	v_cndmask_b32_e64 v48, v37, v23, s[22:23]
	;; [unrolled: 1-line block ×4, first 2 shown]
	v_cmp_lt_u32_e64 s[28:29], v22, v50
	v_cmp_le_u16_sdwa s[30:31], v38, v48 src0_sel:BYTE_0 src1_sel:BYTE_0
	v_cmp_ge_u32_e64 s[26:27], v23, v51
	s_and_b64 s[28:29], s[28:29], s[30:31]
	s_or_b64 s[26:27], s[26:27], s[28:29]
	v_cndmask_b32_e64 v20, v23, v22, s[26:27]
	v_cndmask_b32_e64 v18, v51, v50, s[26:27]
	v_add_u32_e32 v35, 1, v20
	v_add_u32_e32 v18, -1, v18
	v_min_u32_e32 v18, v35, v18
	v_add_u32_e32 v18, v31, v18
	ds_read_u8 v36, v18
	v_cndmask_b32_e64 v54, v22, v35, s[26:27]
	v_cndmask_b32_e64 v49, v35, v23, s[26:27]
	v_cmp_lt_u32_e64 s[30:31], v54, v50
	v_cmp_ge_u32_e64 s[28:29], v49, v51
	s_waitcnt lgkmcnt(0)
	v_cndmask_b32_e64 v52, v36, v38, s[26:27]
	v_cndmask_b32_e64 v53, v48, v36, s[26:27]
	v_cmp_le_u16_sdwa s[38:39], v52, v53 src0_sel:BYTE_0 src1_sel:BYTE_0
	s_and_b64 s[30:31], s[30:31], s[38:39]
	s_or_b64 s[28:29], s[28:29], s[30:31]
	v_cndmask_b32_e64 v22, v49, v54, s[28:29]
	v_cndmask_b32_e64 v23, v51, v50, s[28:29]
	v_lshl_add_u32 v35, v22, 3, v30
	v_add_u32_e32 v55, 1, v22
	v_add_u32_e32 v22, -1, v23
	v_min_u32_e32 v22, v55, v22
	v_lshl_add_u32 v18, v21, 3, v30
	v_lshl_add_u32 v20, v20, 3, v30
	v_add_u32_e32 v22, v31, v22
	ds_read_b64 v[18:19], v18 offset:2048
	ds_read_b64 v[20:21], v20 offset:2048
	ds_read_u8 v64, v22
	ds_read_b64 v[22:23], v35 offset:2048
	v_cndmask_b32_e64 v35, v25, v26, s[20:21]
	v_cndmask_b32_e64 v54, v54, v55, s[28:29]
	;; [unrolled: 1-line block ×3, first 2 shown]
	s_waitcnt lgkmcnt(1)
	v_cndmask_b32_e64 v24, v64, v52, s[28:29]
	v_cndmask_b32_e64 v25, v53, v64, s[28:29]
	;; [unrolled: 1-line block ×3, first 2 shown]
	v_cmp_lt_u32_e64 s[12:13], v54, v50
	v_cmp_le_u16_sdwa s[20:21], v24, v25 src0_sel:BYTE_0 src1_sel:BYTE_0
	v_cmp_ge_u32_e64 s[8:9], v28, v51
	s_and_b64 s[12:13], s[12:13], s[20:21]
	s_or_b64 s[8:9], s[8:9], s[12:13]
	v_cndmask_b32_e64 v10, v28, v54, s[8:9]
	v_cndmask_b32_e64 v26, v51, v50, s[8:9]
	v_lshl_add_u32 v27, v10, 3, v30
	v_add_u32_e32 v55, 1, v10
	v_add_u32_e32 v10, -1, v26
	v_min_u32_e32 v10, v55, v10
	v_add_u32_e32 v10, v31, v10
	ds_read_b64 v[26:27], v27 offset:2048
	ds_read_u8 v64, v10
	v_cndmask_b32_e64 v10, v29, v37, s[22:23]
	v_cndmask_b32_e64 v49, v38, v48, s[26:27]
	;; [unrolled: 1-line block ×4, first 2 shown]
	s_waitcnt lgkmcnt(0)
	v_cndmask_b32_e64 v24, v64, v24, s[8:9]
	v_cndmask_b32_e64 v25, v25, v64, s[8:9]
	v_cndmask_b32_e64 v28, v55, v28, s[8:9]
	v_cmp_lt_u32_e64 s[12:13], v29, v50
	v_cmp_le_u16_sdwa s[20:21], v24, v25 src0_sel:BYTE_0 src1_sel:BYTE_0
	v_cmp_ge_u32_e64 s[8:9], v28, v51
	s_and_b64 s[12:13], s[12:13], s[20:21]
	s_or_b64 s[8:9], s[8:9], s[12:13]
	v_cndmask_b32_e64 v28, v28, v29, s[8:9]
	v_cndmask_b32_e64 v37, v52, v53, s[28:29]
	;; [unrolled: 1-line block ×3, first 2 shown]
	v_lshl_add_u32 v28, v28, 3, v30
	v_lshlrev_b16_e32 v24, 8, v48
	v_lshlrev_b16_e32 v25, 8, v37
	ds_read_b64 v[28:29], v28 offset:2048
	v_or_b32_sdwa v24, v38, v24 dst_sel:WORD_1 dst_unused:UNUSED_PAD src0_sel:BYTE_0 src1_sel:DWORD
	v_or_b32_sdwa v25, v49, v25 dst_sel:DWORD dst_unused:UNUSED_PAD src0_sel:BYTE_0 src1_sel:DWORD
	v_or_b32_sdwa v25, v25, v24 dst_sel:DWORD dst_unused:UNUSED_PAD src0_sel:WORD_0 src1_sel:DWORD
	v_lshlrev_b16_e32 v24, 8, v10
	v_lshlrev_b16_e32 v50, 8, v35
	v_or_b32_sdwa v24, v36, v24 dst_sel:WORD_1 dst_unused:UNUSED_PAD src0_sel:BYTE_0 src1_sel:DWORD
	v_or_b32_sdwa v50, v39, v50 dst_sel:DWORD dst_unused:UNUSED_PAD src0_sel:BYTE_0 src1_sel:DWORD
	v_or_b32_sdwa v24, v50, v24 dst_sel:DWORD dst_unused:UNUSED_PAD src0_sel:WORD_0 src1_sel:DWORD
.LBB95_96:
	s_or_b64 exec, exec, s[36:37]
	v_and_b32_e32 v52, 0x3c0, v1
	v_or_b32_e32 v50, 32, v52
	v_min_u32_e32 v50, v32, v50
	v_add_u32_e32 v51, 32, v50
	v_min_u32_e32 v51, v32, v51
	v_and_b32_e32 v53, 56, v1
	v_min_u32_e32 v53, v32, v53
	v_sub_u32_e32 v55, v50, v52
	v_sub_u32_e32 v54, v51, v50
	v_sub_u32_e64 v54, v53, v54 clamp
	v_min_u32_e32 v55, v53, v55
	v_cmp_lt_u32_e64 s[8:9], v54, v55
	; wave barrier
	ds_write_b8 v33, v39
	ds_write_b64 v34, v[4:5] offset:2048
	ds_write_b8 v33, v35 offset:1
	ds_write_b64 v11, v[16:17] offset:8
	ds_write_b8 v33, v36 offset:2
	;; [unrolled: 2-line block ×7, first 2 shown]
	s_waitcnt lgkmcnt(14)
	ds_write_b64 v11, v[28:29] offset:56
	; wave barrier
	s_and_saveexec_b64 s[12:13], s[8:9]
	s_cbranch_execz .LBB95_100
; %bb.97:
	v_add_u32_e32 v64, v31, v52
	v_add3_u32 v65, v31, v50, v53
	s_mov_b64 s[20:21], 0
.LBB95_98:                              ; =>This Inner Loop Header: Depth=1
	v_add_u32_e32 v66, v55, v54
	v_lshrrev_b32_e32 v66, 1, v66
	v_add_u32_e32 v67, v64, v66
	v_xad_u32 v68, v66, -1, v65
	ds_read_u8 v67, v67
	ds_read_u8 v68, v68
	v_add_u32_e32 v69, 1, v66
	s_waitcnt lgkmcnt(0)
	v_cmp_gt_u16_e64 s[8:9], v68, v67
	v_cndmask_b32_e64 v55, v55, v66, s[8:9]
	v_cndmask_b32_e64 v54, v69, v54, s[8:9]
	v_cmp_ge_u32_e64 s[8:9], v54, v55
	s_or_b64 s[20:21], s[8:9], s[20:21]
	s_andn2_b64 exec, exec, s[20:21]
	s_cbranch_execnz .LBB95_98
; %bb.99:
	s_or_b64 exec, exec, s[20:21]
.LBB95_100:
	s_or_b64 exec, exec, s[12:13]
	v_add_u32_e32 v53, v50, v53
	v_add_u32_e32 v52, v54, v52
	v_sub_u32_e32 v53, v53, v54
	v_cmp_le_u32_e64 s[8:9], v52, v50
	v_cmp_le_u32_e64 s[12:13], v53, v51
	s_or_b64 s[8:9], s[8:9], s[12:13]
	s_and_saveexec_b64 s[36:37], s[8:9]
	s_cbranch_execz .LBB95_106
; %bb.101:
	v_cmp_lt_u32_e64 s[8:9], v52, v50
                                        ; implicit-def: $vgpr10
	s_and_saveexec_b64 s[12:13], s[8:9]
	s_cbranch_execz .LBB95_103
; %bb.102:
	v_add_u32_e32 v4, v31, v52
	ds_read_u8 v10, v4
.LBB95_103:
	s_or_b64 exec, exec, s[12:13]
	v_cmp_ge_u32_e64 s[20:21], v53, v51
	v_cmp_lt_u32_e64 s[12:13], v53, v51
                                        ; implicit-def: $vgpr24
	s_and_saveexec_b64 s[22:23], s[12:13]
	s_cbranch_execz .LBB95_105
; %bb.104:
	v_add_u32_e32 v4, v31, v53
	ds_read_u8 v24, v4
.LBB95_105:
	s_or_b64 exec, exec, s[22:23]
	s_waitcnt lgkmcnt(0)
	v_cmp_le_u16_sdwa s[12:13], v24, v10 src0_sel:BYTE_0 src1_sel:BYTE_0
	s_and_b64 s[8:9], s[8:9], s[12:13]
	s_or_b64 s[8:9], s[20:21], s[8:9]
	v_cndmask_b32_e64 v4, v53, v52, s[8:9]
	v_cndmask_b32_e64 v5, v51, v50, s[8:9]
	v_add_u32_e32 v14, 1, v4
	v_add_u32_e32 v5, -1, v5
	v_min_u32_e32 v5, v14, v5
	v_add_u32_e32 v5, v31, v5
	ds_read_u8 v5, v5
	v_cndmask_b32_e64 v15, v14, v53, s[8:9]
	v_cmp_ge_u32_e64 s[12:13], v15, v51
	v_lshl_add_u32 v4, v4, 3, v30
	v_cndmask_b32_e64 v39, v24, v10, s[8:9]
	s_waitcnt lgkmcnt(0)
	v_cndmask_b32_e64 v25, v5, v24, s[8:9]
	v_cndmask_b32_e64 v26, v10, v5, s[8:9]
	;; [unrolled: 1-line block ×3, first 2 shown]
	v_cmp_lt_u32_e64 s[20:21], v5, v50
	v_cmp_le_u16_sdwa s[22:23], v25, v26 src0_sel:BYTE_0 src1_sel:BYTE_0
	s_and_b64 s[20:21], s[20:21], s[22:23]
	s_or_b64 s[20:21], s[12:13], s[20:21]
	v_cndmask_b32_e64 v14, v15, v5, s[20:21]
	v_cndmask_b32_e64 v16, v51, v50, s[20:21]
	v_add_u32_e32 v17, 1, v14
	v_add_u32_e32 v16, -1, v16
	v_min_u32_e32 v16, v17, v16
	v_add_u32_e32 v16, v31, v16
	ds_read_u8 v16, v16
	v_cndmask_b32_e64 v15, v17, v15, s[20:21]
	v_cmp_ge_u32_e64 s[12:13], v15, v51
	v_lshl_add_u32 v14, v14, 3, v30
	s_waitcnt lgkmcnt(0)
	v_cndmask_b32_e64 v27, v16, v25, s[20:21]
	v_cndmask_b32_e64 v28, v26, v16, s[20:21]
	;; [unrolled: 1-line block ×3, first 2 shown]
	v_cmp_lt_u32_e64 s[22:23], v16, v50
	v_cmp_le_u16_sdwa s[26:27], v27, v28 src0_sel:BYTE_0 src1_sel:BYTE_0
	s_and_b64 s[22:23], s[22:23], s[26:27]
	s_or_b64 s[12:13], s[12:13], s[22:23]
	v_cndmask_b32_e64 v18, v15, v16, s[12:13]
	v_cndmask_b32_e64 v5, v51, v50, s[12:13]
	v_add_u32_e32 v17, 1, v18
	v_add_u32_e32 v5, -1, v5
	v_min_u32_e32 v5, v17, v5
	v_add_u32_e32 v5, v31, v5
	ds_read_u8 v19, v5
	v_cndmask_b32_e64 v20, v16, v17, s[12:13]
	v_cmp_lt_u32_e64 s[26:27], v20, v50
	ds_read_b64 v[4:5], v4 offset:2048
	s_waitcnt lgkmcnt(1)
	v_cndmask_b32_e64 v29, v19, v27, s[12:13]
	v_cndmask_b32_e64 v37, v28, v19, s[12:13]
	;; [unrolled: 1-line block ×3, first 2 shown]
	ds_read_b64 v[16:17], v14 offset:2048
	v_cmp_le_u16_sdwa s[28:29], v29, v37 src0_sel:BYTE_0 src1_sel:BYTE_0
	v_cmp_ge_u32_e64 s[22:23], v19, v51
	s_and_b64 s[26:27], s[26:27], s[28:29]
	s_or_b64 s[22:23], s[22:23], s[26:27]
	v_cndmask_b32_e64 v21, v19, v20, s[22:23]
	v_cndmask_b32_e64 v15, v51, v50, s[22:23]
	v_add_u32_e32 v22, 1, v21
	v_add_u32_e32 v15, -1, v15
	v_min_u32_e32 v15, v22, v15
	v_add_u32_e32 v15, v31, v15
	ds_read_u8 v23, v15
	v_lshl_add_u32 v14, v18, 3, v30
	ds_read_b64 v[14:15], v14 offset:2048
	s_waitcnt lgkmcnt(1)
	v_cndmask_b32_e64 v38, v23, v29, s[22:23]
	v_cndmask_b32_e64 v48, v37, v23, s[22:23]
	;; [unrolled: 1-line block ×4, first 2 shown]
	v_cmp_lt_u32_e64 s[28:29], v22, v50
	v_cmp_le_u16_sdwa s[30:31], v38, v48 src0_sel:BYTE_0 src1_sel:BYTE_0
	v_cmp_ge_u32_e64 s[26:27], v23, v51
	s_and_b64 s[28:29], s[28:29], s[30:31]
	s_or_b64 s[26:27], s[26:27], s[28:29]
	v_cndmask_b32_e64 v20, v23, v22, s[26:27]
	v_cndmask_b32_e64 v18, v51, v50, s[26:27]
	v_add_u32_e32 v35, 1, v20
	v_add_u32_e32 v18, -1, v18
	v_min_u32_e32 v18, v35, v18
	v_add_u32_e32 v18, v31, v18
	ds_read_u8 v36, v18
	v_cndmask_b32_e64 v54, v22, v35, s[26:27]
	v_cndmask_b32_e64 v49, v35, v23, s[26:27]
	v_cmp_lt_u32_e64 s[30:31], v54, v50
	v_cmp_ge_u32_e64 s[28:29], v49, v51
	s_waitcnt lgkmcnt(0)
	v_cndmask_b32_e64 v52, v36, v38, s[26:27]
	v_cndmask_b32_e64 v53, v48, v36, s[26:27]
	v_cmp_le_u16_sdwa s[38:39], v52, v53 src0_sel:BYTE_0 src1_sel:BYTE_0
	s_and_b64 s[30:31], s[30:31], s[38:39]
	s_or_b64 s[28:29], s[28:29], s[30:31]
	v_cndmask_b32_e64 v22, v49, v54, s[28:29]
	v_cndmask_b32_e64 v23, v51, v50, s[28:29]
	v_lshl_add_u32 v35, v22, 3, v30
	v_add_u32_e32 v55, 1, v22
	v_add_u32_e32 v22, -1, v23
	v_min_u32_e32 v22, v55, v22
	v_lshl_add_u32 v18, v21, 3, v30
	v_lshl_add_u32 v20, v20, 3, v30
	v_add_u32_e32 v22, v31, v22
	ds_read_b64 v[18:19], v18 offset:2048
	ds_read_b64 v[20:21], v20 offset:2048
	ds_read_u8 v64, v22
	ds_read_b64 v[22:23], v35 offset:2048
	v_cndmask_b32_e64 v35, v25, v26, s[20:21]
	v_cndmask_b32_e64 v54, v54, v55, s[28:29]
	;; [unrolled: 1-line block ×3, first 2 shown]
	s_waitcnt lgkmcnt(1)
	v_cndmask_b32_e64 v24, v64, v52, s[28:29]
	v_cndmask_b32_e64 v25, v53, v64, s[28:29]
	;; [unrolled: 1-line block ×3, first 2 shown]
	v_cmp_lt_u32_e64 s[12:13], v54, v50
	v_cmp_le_u16_sdwa s[20:21], v24, v25 src0_sel:BYTE_0 src1_sel:BYTE_0
	v_cmp_ge_u32_e64 s[8:9], v28, v51
	s_and_b64 s[12:13], s[12:13], s[20:21]
	s_or_b64 s[8:9], s[8:9], s[12:13]
	v_cndmask_b32_e64 v10, v28, v54, s[8:9]
	v_cndmask_b32_e64 v26, v51, v50, s[8:9]
	v_lshl_add_u32 v27, v10, 3, v30
	v_add_u32_e32 v55, 1, v10
	v_add_u32_e32 v10, -1, v26
	v_min_u32_e32 v10, v55, v10
	v_add_u32_e32 v10, v31, v10
	ds_read_b64 v[26:27], v27 offset:2048
	ds_read_u8 v64, v10
	v_cndmask_b32_e64 v10, v29, v37, s[22:23]
	v_cndmask_b32_e64 v49, v38, v48, s[26:27]
	;; [unrolled: 1-line block ×4, first 2 shown]
	s_waitcnt lgkmcnt(0)
	v_cndmask_b32_e64 v24, v64, v24, s[8:9]
	v_cndmask_b32_e64 v25, v25, v64, s[8:9]
	;; [unrolled: 1-line block ×3, first 2 shown]
	v_cmp_lt_u32_e64 s[12:13], v29, v50
	v_cmp_le_u16_sdwa s[20:21], v24, v25 src0_sel:BYTE_0 src1_sel:BYTE_0
	v_cmp_ge_u32_e64 s[8:9], v28, v51
	s_and_b64 s[12:13], s[12:13], s[20:21]
	s_or_b64 s[8:9], s[8:9], s[12:13]
	v_cndmask_b32_e64 v28, v28, v29, s[8:9]
	v_cndmask_b32_e64 v37, v52, v53, s[28:29]
	;; [unrolled: 1-line block ×3, first 2 shown]
	v_lshl_add_u32 v28, v28, 3, v30
	v_lshlrev_b16_e32 v24, 8, v48
	v_lshlrev_b16_e32 v25, 8, v37
	ds_read_b64 v[28:29], v28 offset:2048
	v_or_b32_sdwa v24, v38, v24 dst_sel:WORD_1 dst_unused:UNUSED_PAD src0_sel:BYTE_0 src1_sel:DWORD
	v_or_b32_sdwa v25, v49, v25 dst_sel:DWORD dst_unused:UNUSED_PAD src0_sel:BYTE_0 src1_sel:DWORD
	v_or_b32_sdwa v25, v25, v24 dst_sel:DWORD dst_unused:UNUSED_PAD src0_sel:WORD_0 src1_sel:DWORD
	v_lshlrev_b16_e32 v24, 8, v10
	v_lshlrev_b16_e32 v50, 8, v35
	v_or_b32_sdwa v24, v36, v24 dst_sel:WORD_1 dst_unused:UNUSED_PAD src0_sel:BYTE_0 src1_sel:DWORD
	v_or_b32_sdwa v50, v39, v50 dst_sel:DWORD dst_unused:UNUSED_PAD src0_sel:BYTE_0 src1_sel:DWORD
	v_or_b32_sdwa v24, v50, v24 dst_sel:DWORD dst_unused:UNUSED_PAD src0_sel:WORD_0 src1_sel:DWORD
.LBB95_106:
	s_or_b64 exec, exec, s[36:37]
	; wave barrier
	ds_write_b8 v33, v39
	ds_write_b64 v34, v[4:5] offset:2048
	ds_write_b8 v33, v35 offset:1
	ds_write_b64 v11, v[16:17] offset:8
	ds_write_b8 v33, v36 offset:2
	;; [unrolled: 2-line block ×7, first 2 shown]
	s_waitcnt lgkmcnt(14)
	ds_write_b64 v11, v[28:29] offset:56
	v_and_b32_e32 v11, 0x380, v1
	v_or_b32_e32 v1, 64, v11
	v_min_u32_e32 v1, v32, v1
	v_add_u32_e32 v10, 64, v1
	v_min_u32_e32 v10, v32, v10
	v_min_u32_e32 v33, v32, v0
	v_sub_u32_e32 v32, v1, v11
	v_sub_u32_e32 v34, v10, v1
	v_sub_u32_e64 v34, v33, v34 clamp
	v_min_u32_e32 v32, v33, v32
	v_cmp_lt_u32_e64 s[8:9], v34, v32
	; wave barrier
	s_and_saveexec_b64 s[12:13], s[8:9]
	s_cbranch_execz .LBB95_110
; %bb.107:
	v_add_u32_e32 v35, v31, v11
	v_add3_u32 v36, v31, v1, v33
	s_mov_b64 s[20:21], 0
.LBB95_108:                             ; =>This Inner Loop Header: Depth=1
	v_add_u32_e32 v37, v32, v34
	v_lshrrev_b32_e32 v37, 1, v37
	v_add_u32_e32 v38, v35, v37
	v_xad_u32 v39, v37, -1, v36
	ds_read_u8 v38, v38
	ds_read_u8 v39, v39
	v_add_u32_e32 v48, 1, v37
	s_waitcnt lgkmcnt(0)
	v_cmp_gt_u16_e64 s[8:9], v39, v38
	v_cndmask_b32_e64 v32, v32, v37, s[8:9]
	v_cndmask_b32_e64 v34, v48, v34, s[8:9]
	v_cmp_ge_u32_e64 s[8:9], v34, v32
	s_or_b64 s[20:21], s[8:9], s[20:21]
	s_andn2_b64 exec, exec, s[20:21]
	s_cbranch_execnz .LBB95_108
; %bb.109:
	s_or_b64 exec, exec, s[20:21]
.LBB95_110:
	s_or_b64 exec, exec, s[12:13]
	v_add_u32_e32 v32, v34, v11
	v_add_u32_e32 v11, v1, v33
	v_sub_u32_e32 v33, v11, v34
	v_cmp_le_u32_e64 s[8:9], v32, v1
	v_cmp_le_u32_e64 s[12:13], v33, v10
	s_or_b64 s[8:9], s[8:9], s[12:13]
	s_and_saveexec_b64 s[36:37], s[8:9]
	s_cbranch_execz .LBB95_116
; %bb.111:
	v_cmp_lt_u32_e64 s[8:9], v32, v1
                                        ; implicit-def: $vgpr11
	s_and_saveexec_b64 s[12:13], s[8:9]
	s_cbranch_execz .LBB95_113
; %bb.112:
	v_add_u32_e32 v4, v31, v32
	ds_read_u8 v11, v4
.LBB95_113:
	s_or_b64 exec, exec, s[12:13]
	v_cmp_ge_u32_e64 s[20:21], v33, v10
	v_cmp_lt_u32_e64 s[12:13], v33, v10
                                        ; implicit-def: $vgpr24
	s_and_saveexec_b64 s[22:23], s[12:13]
	s_cbranch_execz .LBB95_115
; %bb.114:
	v_add_u32_e32 v4, v31, v33
	ds_read_u8 v24, v4
.LBB95_115:
	s_or_b64 exec, exec, s[22:23]
	s_waitcnt lgkmcnt(0)
	v_cmp_le_u16_sdwa s[12:13], v24, v11 src0_sel:BYTE_0 src1_sel:BYTE_0
	s_and_b64 s[8:9], s[8:9], s[12:13]
	s_or_b64 s[8:9], s[20:21], s[8:9]
	v_cndmask_b32_e64 v4, v33, v32, s[8:9]
	v_cndmask_b32_e64 v5, v10, v1, s[8:9]
	v_add_u32_e32 v14, 1, v4
	v_add_u32_e32 v5, -1, v5
	v_min_u32_e32 v5, v14, v5
	v_add_u32_e32 v5, v31, v5
	ds_read_u8 v5, v5
	v_cndmask_b32_e64 v15, v14, v33, s[8:9]
	v_cmp_ge_u32_e64 s[12:13], v15, v10
	v_lshl_add_u32 v4, v4, 3, v30
	s_waitcnt lgkmcnt(0)
	v_cndmask_b32_e64 v25, v5, v24, s[8:9]
	v_cndmask_b32_e64 v26, v11, v5, s[8:9]
	;; [unrolled: 1-line block ×3, first 2 shown]
	v_cmp_lt_u32_e64 s[20:21], v5, v1
	v_cmp_le_u16_sdwa s[22:23], v25, v26 src0_sel:BYTE_0 src1_sel:BYTE_0
	s_and_b64 s[20:21], s[20:21], s[22:23]
	s_or_b64 s[20:21], s[12:13], s[20:21]
	v_cndmask_b32_e64 v14, v15, v5, s[20:21]
	v_cndmask_b32_e64 v16, v10, v1, s[20:21]
	v_add_u32_e32 v17, 1, v14
	v_add_u32_e32 v16, -1, v16
	v_min_u32_e32 v16, v17, v16
	v_add_u32_e32 v16, v31, v16
	ds_read_u8 v16, v16
	v_cndmask_b32_e64 v15, v17, v15, s[20:21]
	v_cmp_ge_u32_e64 s[12:13], v15, v10
	v_lshl_add_u32 v14, v14, 3, v30
	v_cndmask_b32_e64 v11, v24, v11, s[8:9]
	s_waitcnt lgkmcnt(0)
	v_cndmask_b32_e64 v27, v16, v25, s[20:21]
	v_cndmask_b32_e64 v28, v26, v16, s[20:21]
	v_cndmask_b32_e64 v16, v5, v17, s[20:21]
	v_cmp_lt_u32_e64 s[22:23], v16, v1
	v_cmp_le_u16_sdwa s[26:27], v27, v28 src0_sel:BYTE_0 src1_sel:BYTE_0
	s_and_b64 s[22:23], s[22:23], s[26:27]
	s_or_b64 s[12:13], s[12:13], s[22:23]
	v_cndmask_b32_e64 v18, v15, v16, s[12:13]
	v_cndmask_b32_e64 v5, v10, v1, s[12:13]
	v_add_u32_e32 v17, 1, v18
	v_add_u32_e32 v5, -1, v5
	v_min_u32_e32 v5, v17, v5
	v_add_u32_e32 v5, v31, v5
	ds_read_u8 v19, v5
	v_cndmask_b32_e64 v20, v16, v17, s[12:13]
	v_cmp_lt_u32_e64 s[26:27], v20, v1
	ds_read_b64 v[4:5], v4 offset:2048
	v_cndmask_b32_e64 v24, v25, v26, s[20:21]
	s_waitcnt lgkmcnt(1)
	v_cndmask_b32_e64 v29, v19, v27, s[12:13]
	v_cndmask_b32_e64 v32, v28, v19, s[12:13]
	;; [unrolled: 1-line block ×3, first 2 shown]
	ds_read_b64 v[16:17], v14 offset:2048
	v_cmp_le_u16_sdwa s[28:29], v29, v32 src0_sel:BYTE_0 src1_sel:BYTE_0
	v_cmp_ge_u32_e64 s[22:23], v19, v10
	s_and_b64 s[26:27], s[26:27], s[28:29]
	s_or_b64 s[22:23], s[22:23], s[26:27]
	v_cndmask_b32_e64 v21, v19, v20, s[22:23]
	v_cndmask_b32_e64 v15, v10, v1, s[22:23]
	v_add_u32_e32 v22, 1, v21
	v_add_u32_e32 v15, -1, v15
	v_min_u32_e32 v15, v22, v15
	v_add_u32_e32 v15, v31, v15
	ds_read_u8 v23, v15
	v_lshl_add_u32 v14, v18, 3, v30
	ds_read_b64 v[14:15], v14 offset:2048
	s_waitcnt lgkmcnt(1)
	v_cndmask_b32_e64 v33, v23, v29, s[22:23]
	v_cndmask_b32_e64 v34, v32, v23, s[22:23]
	;; [unrolled: 1-line block ×4, first 2 shown]
	v_cmp_lt_u32_e64 s[28:29], v22, v1
	v_cmp_le_u16_sdwa s[30:31], v33, v34 src0_sel:BYTE_0 src1_sel:BYTE_0
	v_cmp_ge_u32_e64 s[26:27], v23, v10
	s_and_b64 s[28:29], s[28:29], s[30:31]
	s_or_b64 s[26:27], s[26:27], s[28:29]
	v_cndmask_b32_e64 v20, v23, v22, s[26:27]
	v_cndmask_b32_e64 v18, v10, v1, s[26:27]
	v_add_u32_e32 v35, 1, v20
	v_add_u32_e32 v18, -1, v18
	v_min_u32_e32 v18, v35, v18
	v_add_u32_e32 v18, v31, v18
	ds_read_u8 v36, v18
	v_cndmask_b32_e64 v38, v35, v23, s[26:27]
	v_cndmask_b32_e64 v35, v22, v35, s[26:27]
	v_cmp_lt_u32_e64 s[30:31], v35, v1
	v_cmp_ge_u32_e64 s[28:29], v38, v10
	s_waitcnt lgkmcnt(0)
	v_cndmask_b32_e64 v37, v36, v33, s[26:27]
	v_cndmask_b32_e64 v36, v34, v36, s[26:27]
	v_cmp_le_u16_sdwa s[38:39], v37, v36 src0_sel:BYTE_0 src1_sel:BYTE_0
	s_and_b64 s[30:31], s[30:31], s[38:39]
	s_or_b64 s[28:29], s[28:29], s[30:31]
	v_cndmask_b32_e64 v22, v38, v35, s[28:29]
	v_cndmask_b32_e64 v23, v10, v1, s[28:29]
	v_lshl_add_u32 v39, v22, 3, v30
	v_add_u32_e32 v48, 1, v22
	v_add_u32_e32 v22, -1, v23
	v_min_u32_e32 v22, v48, v22
	v_lshl_add_u32 v18, v21, 3, v30
	v_lshl_add_u32 v20, v20, 3, v30
	v_add_u32_e32 v22, v31, v22
	ds_read_b64 v[18:19], v18 offset:2048
	ds_read_b64 v[20:21], v20 offset:2048
	ds_read_u8 v49, v22
	ds_read_b64 v[22:23], v39 offset:2048
	v_cndmask_b32_e64 v39, v27, v28, s[12:13]
	v_cndmask_b32_e64 v35, v35, v48, s[28:29]
	v_cndmask_b32_e64 v38, v48, v38, s[28:29]
	s_waitcnt lgkmcnt(1)
	v_cndmask_b32_e64 v25, v49, v37, s[28:29]
	v_cndmask_b32_e64 v28, v36, v49, s[28:29]
	v_cmp_lt_u32_e64 s[12:13], v35, v1
	v_cmp_le_u16_sdwa s[20:21], v25, v28 src0_sel:BYTE_0 src1_sel:BYTE_0
	v_cmp_ge_u32_e64 s[8:9], v38, v10
	s_and_b64 s[12:13], s[12:13], s[20:21]
	s_or_b64 s[8:9], s[8:9], s[12:13]
	v_cndmask_b32_e64 v26, v38, v35, s[8:9]
	v_cndmask_b32_e64 v27, v10, v1, s[8:9]
	v_lshl_add_u32 v48, v26, 3, v30
	v_add_u32_e32 v49, 1, v26
	v_add_u32_e32 v26, -1, v27
	v_min_u32_e32 v26, v49, v26
	v_add_u32_e32 v31, v31, v26
	ds_read_b64 v[26:27], v48 offset:2048
	ds_read_u8 v31, v31
	v_cndmask_b32_e64 v29, v29, v32, s[22:23]
	v_cndmask_b32_e64 v32, v33, v34, s[26:27]
	v_cndmask_b32_e64 v34, v25, v28, s[8:9]
	v_cndmask_b32_e64 v35, v35, v49, s[8:9]
	s_waitcnt lgkmcnt(0)
	v_cndmask_b32_e64 v25, v31, v25, s[8:9]
	v_cndmask_b32_e64 v28, v28, v31, s[8:9]
	;; [unrolled: 1-line block ×3, first 2 shown]
	v_cmp_lt_u32_e64 s[12:13], v35, v1
	v_cmp_le_u16_sdwa s[20:21], v25, v28 src0_sel:BYTE_0 src1_sel:BYTE_0
	v_cmp_ge_u32_e64 s[8:9], v31, v10
	s_and_b64 s[12:13], s[12:13], s[20:21]
	s_or_b64 s[8:9], s[8:9], s[12:13]
	v_cndmask_b32_e64 v33, v37, v36, s[28:29]
	v_cndmask_b32_e64 v10, v25, v28, s[8:9]
	;; [unrolled: 1-line block ×3, first 2 shown]
	v_lshlrev_b16_e32 v10, 8, v10
	v_lshlrev_b16_e32 v25, 8, v33
	v_or_b32_sdwa v10, v34, v10 dst_sel:WORD_1 dst_unused:UNUSED_PAD src0_sel:BYTE_0 src1_sel:DWORD
	v_or_b32_sdwa v25, v32, v25 dst_sel:DWORD dst_unused:UNUSED_PAD src0_sel:BYTE_0 src1_sel:DWORD
	v_lshl_add_u32 v1, v1, 3, v30
	v_or_b32_sdwa v25, v25, v10 dst_sel:DWORD dst_unused:UNUSED_PAD src0_sel:WORD_0 src1_sel:DWORD
	v_lshlrev_b16_e32 v10, 8, v29
	ds_read_b64 v[28:29], v1 offset:2048
	v_or_b32_sdwa v1, v39, v10 dst_sel:WORD_1 dst_unused:UNUSED_PAD src0_sel:BYTE_0 src1_sel:DWORD
	v_lshlrev_b16_e32 v10, 8, v24
	v_or_b32_sdwa v10, v11, v10 dst_sel:DWORD dst_unused:UNUSED_PAD src0_sel:BYTE_0 src1_sel:DWORD
	v_or_b32_sdwa v24, v10, v1 dst_sel:DWORD dst_unused:UNUSED_PAD src0_sel:WORD_0 src1_sel:DWORD
.LBB95_116:
	s_or_b64 exec, exec, s[36:37]
	; wave barrier
	s_waitcnt lgkmcnt(0)
	s_barrier
.LBB95_117:
	s_or_b64 exec, exec, s[34:35]
	v_add_co_u32_e64 v1, s[8:9], v2, v8
	v_addc_co_u32_e64 v2, s[8:9], 0, v3, s[8:9]
	v_add_co_u32_e64 v0, s[8:9], v1, v0
	v_addc_co_u32_e64 v1, s[8:9], 0, v2, s[8:9]
	s_waitcnt lgkmcnt(0)
	; wave barrier
	s_and_saveexec_b64 s[8:9], vcc
	s_cbranch_execnz .LBB95_143
; %bb.118:
	s_or_b64 exec, exec, s[8:9]
	s_and_saveexec_b64 s[8:9], s[4:5]
	s_cbranch_execnz .LBB95_144
.LBB95_119:
	s_or_b64 exec, exec, s[8:9]
	s_and_saveexec_b64 s[8:9], s[6:7]
	s_cbranch_execnz .LBB95_145
.LBB95_120:
	s_or_b64 exec, exec, s[8:9]
	s_and_saveexec_b64 s[8:9], s[18:19]
	s_cbranch_execnz .LBB95_146
.LBB95_121:
	s_or_b64 exec, exec, s[8:9]
	s_and_saveexec_b64 s[8:9], s[10:11]
	s_cbranch_execnz .LBB95_147
.LBB95_122:
	s_or_b64 exec, exec, s[8:9]
	s_and_saveexec_b64 s[8:9], s[24:25]
	s_cbranch_execnz .LBB95_148
.LBB95_123:
	s_or_b64 exec, exec, s[8:9]
	s_and_saveexec_b64 s[8:9], s[14:15]
	s_cbranch_execnz .LBB95_149
.LBB95_124:
	s_or_b64 exec, exec, s[8:9]
	s_and_saveexec_b64 s[8:9], s[16:17]
	s_cbranch_execz .LBB95_126
.LBB95_125:
	v_lshrrev_b32_e32 v2, 24, v25
	flat_store_byte v[0:1], v2 offset:7
.LBB95_126:
	s_or_b64 exec, exec, s[8:9]
	v_add_co_u32_e64 v0, s[8:9], v6, v12
	v_addc_co_u32_e64 v1, s[8:9], v7, v13, s[8:9]
	v_add_co_u32_e64 v0, s[8:9], v0, v9
	v_addc_co_u32_e64 v1, s[8:9], 0, v1, s[8:9]
	; wave barrier
	s_and_saveexec_b64 s[8:9], vcc
	s_cbranch_execnz .LBB95_150
; %bb.127:
	s_or_b64 exec, exec, s[8:9]
	s_and_saveexec_b64 s[8:9], s[4:5]
	s_cbranch_execnz .LBB95_151
.LBB95_128:
	s_or_b64 exec, exec, s[8:9]
	s_and_saveexec_b64 s[4:5], s[6:7]
	s_cbranch_execnz .LBB95_152
.LBB95_129:
	s_or_b64 exec, exec, s[4:5]
	s_and_saveexec_b64 s[4:5], s[18:19]
	s_cbranch_execnz .LBB95_153
.LBB95_130:
	s_or_b64 exec, exec, s[4:5]
	s_and_saveexec_b64 s[4:5], s[10:11]
	s_cbranch_execnz .LBB95_154
.LBB95_131:
	s_or_b64 exec, exec, s[4:5]
	s_and_saveexec_b64 s[4:5], s[24:25]
	s_cbranch_execnz .LBB95_155
.LBB95_132:
	s_or_b64 exec, exec, s[4:5]
	s_and_saveexec_b64 s[4:5], s[14:15]
	s_cbranch_execnz .LBB95_156
.LBB95_133:
	s_or_b64 exec, exec, s[4:5]
	s_and_saveexec_b64 s[4:5], s[16:17]
	s_cbranch_execz .LBB95_135
.LBB95_134:
	s_waitcnt vmcnt(0) lgkmcnt(0)
	flat_store_dwordx2 v[0:1], v[28:29] offset:56
.LBB95_135:
	s_or_b64 exec, exec, s[4:5]
	v_readlane_b32 s30, v40, 10
	v_readlane_b32 s31, v40, 11
	;; [unrolled: 1-line block ×12, first 2 shown]
	s_or_saveexec_b64 s[4:5], -1
	buffer_load_dword v40, off, s[0:3], s32 ; 4-byte Folded Reload
	s_mov_b64 exec, s[4:5]
	s_waitcnt vmcnt(0) lgkmcnt(0)
	s_setpc_b64 s[30:31]
.LBB95_136:
	flat_load_dwordx2 v[4:5], v[32:33]
	s_or_b64 exec, exec, s[20:21]
                                        ; implicit-def: $vgpr16_vgpr17
	s_and_saveexec_b64 s[20:21], s[4:5]
	s_cbranch_execz .LBB95_18
.LBB95_137:
	flat_load_dwordx2 v[16:17], v[32:33] offset:8
	s_or_b64 exec, exec, s[20:21]
                                        ; implicit-def: $vgpr14_vgpr15
	s_and_saveexec_b64 s[20:21], s[6:7]
	s_cbranch_execz .LBB95_19
.LBB95_138:
	flat_load_dwordx2 v[14:15], v[32:33] offset:16
	s_or_b64 exec, exec, s[20:21]
                                        ; implicit-def: $vgpr18_vgpr19
	s_and_saveexec_b64 s[20:21], s[18:19]
	s_cbranch_execz .LBB95_20
.LBB95_139:
	flat_load_dwordx2 v[18:19], v[32:33] offset:24
	s_or_b64 exec, exec, s[20:21]
                                        ; implicit-def: $vgpr20_vgpr21
	s_and_saveexec_b64 s[20:21], s[10:11]
	s_cbranch_execz .LBB95_21
.LBB95_140:
	flat_load_dwordx2 v[20:21], v[32:33] offset:32
	s_or_b64 exec, exec, s[20:21]
                                        ; implicit-def: $vgpr22_vgpr23
	s_and_saveexec_b64 s[20:21], s[24:25]
	s_cbranch_execz .LBB95_22
.LBB95_141:
	flat_load_dwordx2 v[22:23], v[32:33] offset:40
	s_or_b64 exec, exec, s[20:21]
                                        ; implicit-def: $vgpr26_vgpr27
	s_and_saveexec_b64 s[20:21], s[14:15]
	s_cbranch_execz .LBB95_23
.LBB95_142:
	flat_load_dwordx2 v[26:27], v[32:33] offset:48
	s_or_b64 exec, exec, s[20:21]
                                        ; implicit-def: $vgpr28_vgpr29
	s_and_saveexec_b64 s[20:21], s[16:17]
	s_cbranch_execnz .LBB95_24
	s_branch .LBB95_25
.LBB95_143:
	flat_store_byte v[0:1], v24
	s_or_b64 exec, exec, s[8:9]
	s_and_saveexec_b64 s[8:9], s[4:5]
	s_cbranch_execz .LBB95_119
.LBB95_144:
	v_lshrrev_b32_e32 v2, 8, v24
	flat_store_byte v[0:1], v2 offset:1
	s_or_b64 exec, exec, s[8:9]
	s_and_saveexec_b64 s[8:9], s[6:7]
	s_cbranch_execz .LBB95_120
.LBB95_145:
	flat_store_byte_d16_hi v[0:1], v24 offset:2
	s_or_b64 exec, exec, s[8:9]
	s_and_saveexec_b64 s[8:9], s[18:19]
	s_cbranch_execz .LBB95_121
.LBB95_146:
	v_lshrrev_b32_e32 v2, 24, v24
	flat_store_byte v[0:1], v2 offset:3
	s_or_b64 exec, exec, s[8:9]
	s_and_saveexec_b64 s[8:9], s[10:11]
	s_cbranch_execz .LBB95_122
.LBB95_147:
	flat_store_byte v[0:1], v25 offset:4
	s_or_b64 exec, exec, s[8:9]
	s_and_saveexec_b64 s[8:9], s[24:25]
	s_cbranch_execz .LBB95_123
.LBB95_148:
	v_lshrrev_b32_e32 v2, 8, v25
	flat_store_byte v[0:1], v2 offset:5
	s_or_b64 exec, exec, s[8:9]
	s_and_saveexec_b64 s[8:9], s[14:15]
	s_cbranch_execz .LBB95_124
.LBB95_149:
	flat_store_byte_d16_hi v[0:1], v25 offset:6
	s_or_b64 exec, exec, s[8:9]
	s_and_saveexec_b64 s[8:9], s[16:17]
	s_cbranch_execnz .LBB95_125
	s_branch .LBB95_126
.LBB95_150:
	s_waitcnt vmcnt(0) lgkmcnt(0)
	flat_store_dwordx2 v[0:1], v[4:5]
	s_or_b64 exec, exec, s[8:9]
	s_and_saveexec_b64 s[8:9], s[4:5]
	s_cbranch_execz .LBB95_128
.LBB95_151:
	s_waitcnt vmcnt(0) lgkmcnt(0)
	flat_store_dwordx2 v[0:1], v[16:17] offset:8
	s_or_b64 exec, exec, s[8:9]
	s_and_saveexec_b64 s[4:5], s[6:7]
	s_cbranch_execz .LBB95_129
.LBB95_152:
	s_waitcnt vmcnt(0) lgkmcnt(0)
	flat_store_dwordx2 v[0:1], v[14:15] offset:16
	s_or_b64 exec, exec, s[4:5]
	s_and_saveexec_b64 s[4:5], s[18:19]
	s_cbranch_execz .LBB95_130
.LBB95_153:
	s_waitcnt vmcnt(0) lgkmcnt(0)
	flat_store_dwordx2 v[0:1], v[18:19] offset:24
	s_or_b64 exec, exec, s[4:5]
	s_and_saveexec_b64 s[4:5], s[10:11]
	s_cbranch_execz .LBB95_131
.LBB95_154:
	s_waitcnt vmcnt(0) lgkmcnt(0)
	flat_store_dwordx2 v[0:1], v[20:21] offset:32
	s_or_b64 exec, exec, s[4:5]
	s_and_saveexec_b64 s[4:5], s[24:25]
	s_cbranch_execz .LBB95_132
.LBB95_155:
	s_waitcnt vmcnt(0) lgkmcnt(0)
	flat_store_dwordx2 v[0:1], v[22:23] offset:40
	s_or_b64 exec, exec, s[4:5]
	s_and_saveexec_b64 s[4:5], s[14:15]
	s_cbranch_execz .LBB95_133
.LBB95_156:
	s_waitcnt vmcnt(0) lgkmcnt(0)
	flat_store_dwordx2 v[0:1], v[26:27] offset:48
	s_or_b64 exec, exec, s[4:5]
	s_and_saveexec_b64 s[4:5], s[16:17]
	s_cbranch_execnz .LBB95_134
	s_branch .LBB95_135
.Lfunc_end95:
	.size	_ZN7rocprim17ROCPRIM_400000_NS6detail26segmented_warp_sort_helperINS1_20WarpSortHelperConfigILj16ELj8ELj256EEEhlLi256ELb1EvE4sortIPKhPhPKlPlEEvT_T0_T1_T2_jjjjRNS5_12storage_typeE, .Lfunc_end95-_ZN7rocprim17ROCPRIM_400000_NS6detail26segmented_warp_sort_helperINS1_20WarpSortHelperConfigILj16ELj8ELj256EEEhlLi256ELb1EvE4sortIPKhPhPKlPlEEvT_T0_T1_T2_jjjjRNS5_12storage_typeE
                                        ; -- End function
	.section	.AMDGPU.csdata,"",@progbits
; Function info:
; codeLenInByte = 18448
; NumSgprs: 48
; NumVgprs: 71
; NumAgprs: 0
; TotalNumVgprs: 71
; ScratchSize: 8
; MemoryBound: 0
	.section	.text._ZN7rocprim17ROCPRIM_400000_NS6detail17trampoline_kernelINS0_14default_configENS1_36segmented_radix_sort_config_selectorIhlEEZNS1_25segmented_radix_sort_implIS3_Lb1EPKhPhPKlPlN2at6native12_GLOBAL__N_18offset_tEEE10hipError_tPvRmT1_PNSt15iterator_traitsISK_E10value_typeET2_T3_PNSL_ISQ_E10value_typeET4_jRbjT5_SW_jjP12ihipStream_tbEUlT_E0_NS1_11comp_targetILNS1_3genE4ELNS1_11target_archE910ELNS1_3gpuE8ELNS1_3repE0EEENS1_60segmented_radix_sort_warp_sort_medium_config_static_selectorELNS0_4arch9wavefront6targetE1EEEvSK_,"axG",@progbits,_ZN7rocprim17ROCPRIM_400000_NS6detail17trampoline_kernelINS0_14default_configENS1_36segmented_radix_sort_config_selectorIhlEEZNS1_25segmented_radix_sort_implIS3_Lb1EPKhPhPKlPlN2at6native12_GLOBAL__N_18offset_tEEE10hipError_tPvRmT1_PNSt15iterator_traitsISK_E10value_typeET2_T3_PNSL_ISQ_E10value_typeET4_jRbjT5_SW_jjP12ihipStream_tbEUlT_E0_NS1_11comp_targetILNS1_3genE4ELNS1_11target_archE910ELNS1_3gpuE8ELNS1_3repE0EEENS1_60segmented_radix_sort_warp_sort_medium_config_static_selectorELNS0_4arch9wavefront6targetE1EEEvSK_,comdat
	.globl	_ZN7rocprim17ROCPRIM_400000_NS6detail17trampoline_kernelINS0_14default_configENS1_36segmented_radix_sort_config_selectorIhlEEZNS1_25segmented_radix_sort_implIS3_Lb1EPKhPhPKlPlN2at6native12_GLOBAL__N_18offset_tEEE10hipError_tPvRmT1_PNSt15iterator_traitsISK_E10value_typeET2_T3_PNSL_ISQ_E10value_typeET4_jRbjT5_SW_jjP12ihipStream_tbEUlT_E0_NS1_11comp_targetILNS1_3genE4ELNS1_11target_archE910ELNS1_3gpuE8ELNS1_3repE0EEENS1_60segmented_radix_sort_warp_sort_medium_config_static_selectorELNS0_4arch9wavefront6targetE1EEEvSK_ ; -- Begin function _ZN7rocprim17ROCPRIM_400000_NS6detail17trampoline_kernelINS0_14default_configENS1_36segmented_radix_sort_config_selectorIhlEEZNS1_25segmented_radix_sort_implIS3_Lb1EPKhPhPKlPlN2at6native12_GLOBAL__N_18offset_tEEE10hipError_tPvRmT1_PNSt15iterator_traitsISK_E10value_typeET2_T3_PNSL_ISQ_E10value_typeET4_jRbjT5_SW_jjP12ihipStream_tbEUlT_E0_NS1_11comp_targetILNS1_3genE4ELNS1_11target_archE910ELNS1_3gpuE8ELNS1_3repE0EEENS1_60segmented_radix_sort_warp_sort_medium_config_static_selectorELNS0_4arch9wavefront6targetE1EEEvSK_
	.p2align	8
	.type	_ZN7rocprim17ROCPRIM_400000_NS6detail17trampoline_kernelINS0_14default_configENS1_36segmented_radix_sort_config_selectorIhlEEZNS1_25segmented_radix_sort_implIS3_Lb1EPKhPhPKlPlN2at6native12_GLOBAL__N_18offset_tEEE10hipError_tPvRmT1_PNSt15iterator_traitsISK_E10value_typeET2_T3_PNSL_ISQ_E10value_typeET4_jRbjT5_SW_jjP12ihipStream_tbEUlT_E0_NS1_11comp_targetILNS1_3genE4ELNS1_11target_archE910ELNS1_3gpuE8ELNS1_3repE0EEENS1_60segmented_radix_sort_warp_sort_medium_config_static_selectorELNS0_4arch9wavefront6targetE1EEEvSK_,@function
_ZN7rocprim17ROCPRIM_400000_NS6detail17trampoline_kernelINS0_14default_configENS1_36segmented_radix_sort_config_selectorIhlEEZNS1_25segmented_radix_sort_implIS3_Lb1EPKhPhPKlPlN2at6native12_GLOBAL__N_18offset_tEEE10hipError_tPvRmT1_PNSt15iterator_traitsISK_E10value_typeET2_T3_PNSL_ISQ_E10value_typeET4_jRbjT5_SW_jjP12ihipStream_tbEUlT_E0_NS1_11comp_targetILNS1_3genE4ELNS1_11target_archE910ELNS1_3gpuE8ELNS1_3repE0EEENS1_60segmented_radix_sort_warp_sort_medium_config_static_selectorELNS0_4arch9wavefront6targetE1EEEvSK_: ; @_ZN7rocprim17ROCPRIM_400000_NS6detail17trampoline_kernelINS0_14default_configENS1_36segmented_radix_sort_config_selectorIhlEEZNS1_25segmented_radix_sort_implIS3_Lb1EPKhPhPKlPlN2at6native12_GLOBAL__N_18offset_tEEE10hipError_tPvRmT1_PNSt15iterator_traitsISK_E10value_typeET2_T3_PNSL_ISQ_E10value_typeET4_jRbjT5_SW_jjP12ihipStream_tbEUlT_E0_NS1_11comp_targetILNS1_3genE4ELNS1_11target_archE910ELNS1_3gpuE8ELNS1_3repE0EEENS1_60segmented_radix_sort_warp_sort_medium_config_static_selectorELNS0_4arch9wavefront6targetE1EEEvSK_
; %bb.0:
	s_add_u32 flat_scratch_lo, s6, s10
	s_addc_u32 flat_scratch_hi, s7, 0
	s_add_u32 s0, s0, s10
	s_load_dword s6, s[4:5], 0x64
	s_load_dword s10, s[4:5], 0x34
	s_addc_u32 s1, s1, 0
	v_bfe_u32 v1, v0, 10, 10
	v_bfe_u32 v2, v0, 20, 10
	s_waitcnt lgkmcnt(0)
	s_lshr_b32 s7, s6, 16
	s_and_b32 s6, s6, 0xffff
	v_mad_u32_u24 v1, v2, s7, v1
	v_and_b32_e32 v2, 0x3ff, v0
	v_mad_u64_u32 v[2:3], s[6:7], v1, s6, v[2:3]
	v_lshrrev_b32_e32 v1, 4, v2
	v_lshl_add_u32 v2, s8, 4, v1
	v_cmp_gt_u32_e32 vcc, s10, v2
	s_mov_b32 s32, 0
	s_and_saveexec_b64 s[6:7], vcc
	s_cbranch_execz .LBB96_6
; %bb.1:
	s_load_dwordx2 s[6:7], s[4:5], 0x38
	s_load_dwordx4 s[12:15], s[4:5], 0x40
	v_mov_b32_e32 v3, 0
	v_lshlrev_b64 v[2:3], 2, v[2:3]
	s_waitcnt lgkmcnt(0)
	v_mov_b32_e32 v1, s7
	v_add_co_u32_e32 v2, vcc, s6, v2
	v_addc_co_u32_e32 v3, vcc, v1, v3, vcc
	global_load_dword v1, v[2:3], off
	s_waitcnt vmcnt(0)
	v_add_u32_e32 v2, s13, v1
	v_add_u32_e32 v1, s15, v1
	v_mul_lo_u32 v8, v2, s12
	v_mul_lo_u32 v41, v1, s14
	v_cmp_gt_u32_e32 vcc, v41, v8
	s_and_b64 exec, exec, vcc
	s_cbranch_execz .LBB96_6
; %bb.2:
	s_load_dwordx4 s[56:59], s[4:5], 0x20
	s_load_dword s6, s[4:5], 0x30
	s_load_dwordx8 s[48:55], s[4:5], 0x0
	s_load_dwordx2 s[46:47], s[4:5], 0x50
	s_mov_b32 s44, s8
	s_mov_b32 s33, s9
	s_waitcnt lgkmcnt(0)
	s_bitcmp0_b32 s6, 0
	s_mov_b64 s[6:7], -1
	s_cbranch_scc0 .LBB96_4
; %bb.3:
	s_add_u32 s8, s4, 0x58
	s_addc_u32 s9, s5, 0
	s_mov_b32 s12, s44
	s_mov_b32 s13, s33
	v_mov_b32_e32 v31, v0
	v_mov_b32_e32 v42, v0
	v_mov_b32_e32 v0, s48
	v_mov_b32_e32 v1, s49
	v_mov_b32_e32 v2, s50
	v_mov_b32_e32 v3, s51
	v_mov_b32_e32 v4, s54
	v_mov_b32_e32 v5, s55
	v_mov_b32_e32 v6, s56
	v_mov_b32_e32 v7, s57
	v_mov_b32_e32 v9, v41
	v_mov_b32_e32 v10, s46
	v_mov_b32_e32 v11, s47
	s_getpc_b64 s[6:7]
	s_add_u32 s6, s6, _ZN7rocprim17ROCPRIM_400000_NS6detail26segmented_warp_sort_helperINS1_20WarpSortHelperConfigILj16ELj8ELj256EEEhlLi256ELb1EvE4sortIPKhPhPKlPlEEvT_T0_T1_T2_jjjjRNS5_12storage_typeE@rel32@lo+4
	s_addc_u32 s7, s7, _ZN7rocprim17ROCPRIM_400000_NS6detail26segmented_warp_sort_helperINS1_20WarpSortHelperConfigILj16ELj8ELj256EEEhlLi256ELb1EvE4sortIPKhPhPKlPlEEvT_T0_T1_T2_jjjjRNS5_12storage_typeE@rel32@hi+12
	s_mov_b64 s[50:51], s[4:5]
	s_swappc_b64 s[30:31], s[6:7]
	v_mov_b32_e32 v0, v42
	s_mov_b64 s[4:5], s[50:51]
	s_mov_b64 s[6:7], 0
.LBB96_4:
	s_andn2_b64 vcc, exec, s[6:7]
	s_cbranch_vccnz .LBB96_6
; %bb.5:
	s_add_u32 s8, s4, 0x58
	s_addc_u32 s9, s5, 0
	s_mov_b32 s12, s44
	s_mov_b32 s13, s33
	v_mov_b32_e32 v31, v0
	v_mov_b32_e32 v0, s48
	;; [unrolled: 1-line block ×12, first 2 shown]
	s_getpc_b64 s[4:5]
	s_add_u32 s4, s4, _ZN7rocprim17ROCPRIM_400000_NS6detail26segmented_warp_sort_helperINS1_20WarpSortHelperConfigILj16ELj8ELj256EEEhlLi256ELb1EvE4sortIPKhPhPKlPlEEvT_T0_T1_T2_jjjjRNS5_12storage_typeE@rel32@lo+4
	s_addc_u32 s5, s5, _ZN7rocprim17ROCPRIM_400000_NS6detail26segmented_warp_sort_helperINS1_20WarpSortHelperConfigILj16ELj8ELj256EEEhlLi256ELb1EvE4sortIPKhPhPKlPlEEvT_T0_T1_T2_jjjjRNS5_12storage_typeE@rel32@hi+12
	s_swappc_b64 s[30:31], s[4:5]
.LBB96_6:
	s_endpgm
	.section	.rodata,"a",@progbits
	.p2align	6, 0x0
	.amdhsa_kernel _ZN7rocprim17ROCPRIM_400000_NS6detail17trampoline_kernelINS0_14default_configENS1_36segmented_radix_sort_config_selectorIhlEEZNS1_25segmented_radix_sort_implIS3_Lb1EPKhPhPKlPlN2at6native12_GLOBAL__N_18offset_tEEE10hipError_tPvRmT1_PNSt15iterator_traitsISK_E10value_typeET2_T3_PNSL_ISQ_E10value_typeET4_jRbjT5_SW_jjP12ihipStream_tbEUlT_E0_NS1_11comp_targetILNS1_3genE4ELNS1_11target_archE910ELNS1_3gpuE8ELNS1_3repE0EEENS1_60segmented_radix_sort_warp_sort_medium_config_static_selectorELNS0_4arch9wavefront6targetE1EEEvSK_
		.amdhsa_group_segment_fixed_size 18432
		.amdhsa_private_segment_fixed_size 8
		.amdhsa_kernarg_size 344
		.amdhsa_user_sgpr_count 8
		.amdhsa_user_sgpr_private_segment_buffer 1
		.amdhsa_user_sgpr_dispatch_ptr 0
		.amdhsa_user_sgpr_queue_ptr 0
		.amdhsa_user_sgpr_kernarg_segment_ptr 1
		.amdhsa_user_sgpr_dispatch_id 0
		.amdhsa_user_sgpr_flat_scratch_init 1
		.amdhsa_user_sgpr_kernarg_preload_length 0
		.amdhsa_user_sgpr_kernarg_preload_offset 0
		.amdhsa_user_sgpr_private_segment_size 0
		.amdhsa_uses_dynamic_stack 0
		.amdhsa_system_sgpr_private_segment_wavefront_offset 1
		.amdhsa_system_sgpr_workgroup_id_x 1
		.amdhsa_system_sgpr_workgroup_id_y 1
		.amdhsa_system_sgpr_workgroup_id_z 0
		.amdhsa_system_sgpr_workgroup_info 0
		.amdhsa_system_vgpr_workitem_id 2
		.amdhsa_next_free_vgpr 71
		.amdhsa_next_free_sgpr 60
		.amdhsa_accum_offset 72
		.amdhsa_reserve_vcc 1
		.amdhsa_reserve_flat_scratch 1
		.amdhsa_float_round_mode_32 0
		.amdhsa_float_round_mode_16_64 0
		.amdhsa_float_denorm_mode_32 3
		.amdhsa_float_denorm_mode_16_64 3
		.amdhsa_dx10_clamp 1
		.amdhsa_ieee_mode 1
		.amdhsa_fp16_overflow 0
		.amdhsa_tg_split 0
		.amdhsa_exception_fp_ieee_invalid_op 0
		.amdhsa_exception_fp_denorm_src 0
		.amdhsa_exception_fp_ieee_div_zero 0
		.amdhsa_exception_fp_ieee_overflow 0
		.amdhsa_exception_fp_ieee_underflow 0
		.amdhsa_exception_fp_ieee_inexact 0
		.amdhsa_exception_int_div_zero 0
	.end_amdhsa_kernel
	.section	.text._ZN7rocprim17ROCPRIM_400000_NS6detail17trampoline_kernelINS0_14default_configENS1_36segmented_radix_sort_config_selectorIhlEEZNS1_25segmented_radix_sort_implIS3_Lb1EPKhPhPKlPlN2at6native12_GLOBAL__N_18offset_tEEE10hipError_tPvRmT1_PNSt15iterator_traitsISK_E10value_typeET2_T3_PNSL_ISQ_E10value_typeET4_jRbjT5_SW_jjP12ihipStream_tbEUlT_E0_NS1_11comp_targetILNS1_3genE4ELNS1_11target_archE910ELNS1_3gpuE8ELNS1_3repE0EEENS1_60segmented_radix_sort_warp_sort_medium_config_static_selectorELNS0_4arch9wavefront6targetE1EEEvSK_,"axG",@progbits,_ZN7rocprim17ROCPRIM_400000_NS6detail17trampoline_kernelINS0_14default_configENS1_36segmented_radix_sort_config_selectorIhlEEZNS1_25segmented_radix_sort_implIS3_Lb1EPKhPhPKlPlN2at6native12_GLOBAL__N_18offset_tEEE10hipError_tPvRmT1_PNSt15iterator_traitsISK_E10value_typeET2_T3_PNSL_ISQ_E10value_typeET4_jRbjT5_SW_jjP12ihipStream_tbEUlT_E0_NS1_11comp_targetILNS1_3genE4ELNS1_11target_archE910ELNS1_3gpuE8ELNS1_3repE0EEENS1_60segmented_radix_sort_warp_sort_medium_config_static_selectorELNS0_4arch9wavefront6targetE1EEEvSK_,comdat
.Lfunc_end96:
	.size	_ZN7rocprim17ROCPRIM_400000_NS6detail17trampoline_kernelINS0_14default_configENS1_36segmented_radix_sort_config_selectorIhlEEZNS1_25segmented_radix_sort_implIS3_Lb1EPKhPhPKlPlN2at6native12_GLOBAL__N_18offset_tEEE10hipError_tPvRmT1_PNSt15iterator_traitsISK_E10value_typeET2_T3_PNSL_ISQ_E10value_typeET4_jRbjT5_SW_jjP12ihipStream_tbEUlT_E0_NS1_11comp_targetILNS1_3genE4ELNS1_11target_archE910ELNS1_3gpuE8ELNS1_3repE0EEENS1_60segmented_radix_sort_warp_sort_medium_config_static_selectorELNS0_4arch9wavefront6targetE1EEEvSK_, .Lfunc_end96-_ZN7rocprim17ROCPRIM_400000_NS6detail17trampoline_kernelINS0_14default_configENS1_36segmented_radix_sort_config_selectorIhlEEZNS1_25segmented_radix_sort_implIS3_Lb1EPKhPhPKlPlN2at6native12_GLOBAL__N_18offset_tEEE10hipError_tPvRmT1_PNSt15iterator_traitsISK_E10value_typeET2_T3_PNSL_ISQ_E10value_typeET4_jRbjT5_SW_jjP12ihipStream_tbEUlT_E0_NS1_11comp_targetILNS1_3genE4ELNS1_11target_archE910ELNS1_3gpuE8ELNS1_3repE0EEENS1_60segmented_radix_sort_warp_sort_medium_config_static_selectorELNS0_4arch9wavefront6targetE1EEEvSK_
                                        ; -- End function
	.section	.AMDGPU.csdata,"",@progbits
; Kernel info:
; codeLenInByte = 480
; NumSgprs: 66
; NumVgprs: 71
; NumAgprs: 0
; TotalNumVgprs: 71
; ScratchSize: 8
; MemoryBound: 0
; FloatMode: 240
; IeeeMode: 1
; LDSByteSize: 18432 bytes/workgroup (compile time only)
; SGPRBlocks: 8
; VGPRBlocks: 8
; NumSGPRsForWavesPerEU: 66
; NumVGPRsForWavesPerEU: 71
; AccumOffset: 72
; Occupancy: 3
; WaveLimiterHint : 0
; COMPUTE_PGM_RSRC2:SCRATCH_EN: 1
; COMPUTE_PGM_RSRC2:USER_SGPR: 8
; COMPUTE_PGM_RSRC2:TRAP_HANDLER: 0
; COMPUTE_PGM_RSRC2:TGID_X_EN: 1
; COMPUTE_PGM_RSRC2:TGID_Y_EN: 1
; COMPUTE_PGM_RSRC2:TGID_Z_EN: 0
; COMPUTE_PGM_RSRC2:TIDIG_COMP_CNT: 2
; COMPUTE_PGM_RSRC3_GFX90A:ACCUM_OFFSET: 17
; COMPUTE_PGM_RSRC3_GFX90A:TG_SPLIT: 0
	.section	.text._ZN7rocprim17ROCPRIM_400000_NS6detail17trampoline_kernelINS0_14default_configENS1_36segmented_radix_sort_config_selectorIhlEEZNS1_25segmented_radix_sort_implIS3_Lb1EPKhPhPKlPlN2at6native12_GLOBAL__N_18offset_tEEE10hipError_tPvRmT1_PNSt15iterator_traitsISK_E10value_typeET2_T3_PNSL_ISQ_E10value_typeET4_jRbjT5_SW_jjP12ihipStream_tbEUlT_E0_NS1_11comp_targetILNS1_3genE3ELNS1_11target_archE908ELNS1_3gpuE7ELNS1_3repE0EEENS1_60segmented_radix_sort_warp_sort_medium_config_static_selectorELNS0_4arch9wavefront6targetE1EEEvSK_,"axG",@progbits,_ZN7rocprim17ROCPRIM_400000_NS6detail17trampoline_kernelINS0_14default_configENS1_36segmented_radix_sort_config_selectorIhlEEZNS1_25segmented_radix_sort_implIS3_Lb1EPKhPhPKlPlN2at6native12_GLOBAL__N_18offset_tEEE10hipError_tPvRmT1_PNSt15iterator_traitsISK_E10value_typeET2_T3_PNSL_ISQ_E10value_typeET4_jRbjT5_SW_jjP12ihipStream_tbEUlT_E0_NS1_11comp_targetILNS1_3genE3ELNS1_11target_archE908ELNS1_3gpuE7ELNS1_3repE0EEENS1_60segmented_radix_sort_warp_sort_medium_config_static_selectorELNS0_4arch9wavefront6targetE1EEEvSK_,comdat
	.globl	_ZN7rocprim17ROCPRIM_400000_NS6detail17trampoline_kernelINS0_14default_configENS1_36segmented_radix_sort_config_selectorIhlEEZNS1_25segmented_radix_sort_implIS3_Lb1EPKhPhPKlPlN2at6native12_GLOBAL__N_18offset_tEEE10hipError_tPvRmT1_PNSt15iterator_traitsISK_E10value_typeET2_T3_PNSL_ISQ_E10value_typeET4_jRbjT5_SW_jjP12ihipStream_tbEUlT_E0_NS1_11comp_targetILNS1_3genE3ELNS1_11target_archE908ELNS1_3gpuE7ELNS1_3repE0EEENS1_60segmented_radix_sort_warp_sort_medium_config_static_selectorELNS0_4arch9wavefront6targetE1EEEvSK_ ; -- Begin function _ZN7rocprim17ROCPRIM_400000_NS6detail17trampoline_kernelINS0_14default_configENS1_36segmented_radix_sort_config_selectorIhlEEZNS1_25segmented_radix_sort_implIS3_Lb1EPKhPhPKlPlN2at6native12_GLOBAL__N_18offset_tEEE10hipError_tPvRmT1_PNSt15iterator_traitsISK_E10value_typeET2_T3_PNSL_ISQ_E10value_typeET4_jRbjT5_SW_jjP12ihipStream_tbEUlT_E0_NS1_11comp_targetILNS1_3genE3ELNS1_11target_archE908ELNS1_3gpuE7ELNS1_3repE0EEENS1_60segmented_radix_sort_warp_sort_medium_config_static_selectorELNS0_4arch9wavefront6targetE1EEEvSK_
	.p2align	8
	.type	_ZN7rocprim17ROCPRIM_400000_NS6detail17trampoline_kernelINS0_14default_configENS1_36segmented_radix_sort_config_selectorIhlEEZNS1_25segmented_radix_sort_implIS3_Lb1EPKhPhPKlPlN2at6native12_GLOBAL__N_18offset_tEEE10hipError_tPvRmT1_PNSt15iterator_traitsISK_E10value_typeET2_T3_PNSL_ISQ_E10value_typeET4_jRbjT5_SW_jjP12ihipStream_tbEUlT_E0_NS1_11comp_targetILNS1_3genE3ELNS1_11target_archE908ELNS1_3gpuE7ELNS1_3repE0EEENS1_60segmented_radix_sort_warp_sort_medium_config_static_selectorELNS0_4arch9wavefront6targetE1EEEvSK_,@function
_ZN7rocprim17ROCPRIM_400000_NS6detail17trampoline_kernelINS0_14default_configENS1_36segmented_radix_sort_config_selectorIhlEEZNS1_25segmented_radix_sort_implIS3_Lb1EPKhPhPKlPlN2at6native12_GLOBAL__N_18offset_tEEE10hipError_tPvRmT1_PNSt15iterator_traitsISK_E10value_typeET2_T3_PNSL_ISQ_E10value_typeET4_jRbjT5_SW_jjP12ihipStream_tbEUlT_E0_NS1_11comp_targetILNS1_3genE3ELNS1_11target_archE908ELNS1_3gpuE7ELNS1_3repE0EEENS1_60segmented_radix_sort_warp_sort_medium_config_static_selectorELNS0_4arch9wavefront6targetE1EEEvSK_: ; @_ZN7rocprim17ROCPRIM_400000_NS6detail17trampoline_kernelINS0_14default_configENS1_36segmented_radix_sort_config_selectorIhlEEZNS1_25segmented_radix_sort_implIS3_Lb1EPKhPhPKlPlN2at6native12_GLOBAL__N_18offset_tEEE10hipError_tPvRmT1_PNSt15iterator_traitsISK_E10value_typeET2_T3_PNSL_ISQ_E10value_typeET4_jRbjT5_SW_jjP12ihipStream_tbEUlT_E0_NS1_11comp_targetILNS1_3genE3ELNS1_11target_archE908ELNS1_3gpuE7ELNS1_3repE0EEENS1_60segmented_radix_sort_warp_sort_medium_config_static_selectorELNS0_4arch9wavefront6targetE1EEEvSK_
; %bb.0:
	.section	.rodata,"a",@progbits
	.p2align	6, 0x0
	.amdhsa_kernel _ZN7rocprim17ROCPRIM_400000_NS6detail17trampoline_kernelINS0_14default_configENS1_36segmented_radix_sort_config_selectorIhlEEZNS1_25segmented_radix_sort_implIS3_Lb1EPKhPhPKlPlN2at6native12_GLOBAL__N_18offset_tEEE10hipError_tPvRmT1_PNSt15iterator_traitsISK_E10value_typeET2_T3_PNSL_ISQ_E10value_typeET4_jRbjT5_SW_jjP12ihipStream_tbEUlT_E0_NS1_11comp_targetILNS1_3genE3ELNS1_11target_archE908ELNS1_3gpuE7ELNS1_3repE0EEENS1_60segmented_radix_sort_warp_sort_medium_config_static_selectorELNS0_4arch9wavefront6targetE1EEEvSK_
		.amdhsa_group_segment_fixed_size 0
		.amdhsa_private_segment_fixed_size 0
		.amdhsa_kernarg_size 88
		.amdhsa_user_sgpr_count 6
		.amdhsa_user_sgpr_private_segment_buffer 1
		.amdhsa_user_sgpr_dispatch_ptr 0
		.amdhsa_user_sgpr_queue_ptr 0
		.amdhsa_user_sgpr_kernarg_segment_ptr 1
		.amdhsa_user_sgpr_dispatch_id 0
		.amdhsa_user_sgpr_flat_scratch_init 0
		.amdhsa_user_sgpr_kernarg_preload_length 0
		.amdhsa_user_sgpr_kernarg_preload_offset 0
		.amdhsa_user_sgpr_private_segment_size 0
		.amdhsa_uses_dynamic_stack 0
		.amdhsa_system_sgpr_private_segment_wavefront_offset 0
		.amdhsa_system_sgpr_workgroup_id_x 1
		.amdhsa_system_sgpr_workgroup_id_y 0
		.amdhsa_system_sgpr_workgroup_id_z 0
		.amdhsa_system_sgpr_workgroup_info 0
		.amdhsa_system_vgpr_workitem_id 0
		.amdhsa_next_free_vgpr 1
		.amdhsa_next_free_sgpr 0
		.amdhsa_accum_offset 4
		.amdhsa_reserve_vcc 0
		.amdhsa_reserve_flat_scratch 0
		.amdhsa_float_round_mode_32 0
		.amdhsa_float_round_mode_16_64 0
		.amdhsa_float_denorm_mode_32 3
		.amdhsa_float_denorm_mode_16_64 3
		.amdhsa_dx10_clamp 1
		.amdhsa_ieee_mode 1
		.amdhsa_fp16_overflow 0
		.amdhsa_tg_split 0
		.amdhsa_exception_fp_ieee_invalid_op 0
		.amdhsa_exception_fp_denorm_src 0
		.amdhsa_exception_fp_ieee_div_zero 0
		.amdhsa_exception_fp_ieee_overflow 0
		.amdhsa_exception_fp_ieee_underflow 0
		.amdhsa_exception_fp_ieee_inexact 0
		.amdhsa_exception_int_div_zero 0
	.end_amdhsa_kernel
	.section	.text._ZN7rocprim17ROCPRIM_400000_NS6detail17trampoline_kernelINS0_14default_configENS1_36segmented_radix_sort_config_selectorIhlEEZNS1_25segmented_radix_sort_implIS3_Lb1EPKhPhPKlPlN2at6native12_GLOBAL__N_18offset_tEEE10hipError_tPvRmT1_PNSt15iterator_traitsISK_E10value_typeET2_T3_PNSL_ISQ_E10value_typeET4_jRbjT5_SW_jjP12ihipStream_tbEUlT_E0_NS1_11comp_targetILNS1_3genE3ELNS1_11target_archE908ELNS1_3gpuE7ELNS1_3repE0EEENS1_60segmented_radix_sort_warp_sort_medium_config_static_selectorELNS0_4arch9wavefront6targetE1EEEvSK_,"axG",@progbits,_ZN7rocprim17ROCPRIM_400000_NS6detail17trampoline_kernelINS0_14default_configENS1_36segmented_radix_sort_config_selectorIhlEEZNS1_25segmented_radix_sort_implIS3_Lb1EPKhPhPKlPlN2at6native12_GLOBAL__N_18offset_tEEE10hipError_tPvRmT1_PNSt15iterator_traitsISK_E10value_typeET2_T3_PNSL_ISQ_E10value_typeET4_jRbjT5_SW_jjP12ihipStream_tbEUlT_E0_NS1_11comp_targetILNS1_3genE3ELNS1_11target_archE908ELNS1_3gpuE7ELNS1_3repE0EEENS1_60segmented_radix_sort_warp_sort_medium_config_static_selectorELNS0_4arch9wavefront6targetE1EEEvSK_,comdat
.Lfunc_end97:
	.size	_ZN7rocprim17ROCPRIM_400000_NS6detail17trampoline_kernelINS0_14default_configENS1_36segmented_radix_sort_config_selectorIhlEEZNS1_25segmented_radix_sort_implIS3_Lb1EPKhPhPKlPlN2at6native12_GLOBAL__N_18offset_tEEE10hipError_tPvRmT1_PNSt15iterator_traitsISK_E10value_typeET2_T3_PNSL_ISQ_E10value_typeET4_jRbjT5_SW_jjP12ihipStream_tbEUlT_E0_NS1_11comp_targetILNS1_3genE3ELNS1_11target_archE908ELNS1_3gpuE7ELNS1_3repE0EEENS1_60segmented_radix_sort_warp_sort_medium_config_static_selectorELNS0_4arch9wavefront6targetE1EEEvSK_, .Lfunc_end97-_ZN7rocprim17ROCPRIM_400000_NS6detail17trampoline_kernelINS0_14default_configENS1_36segmented_radix_sort_config_selectorIhlEEZNS1_25segmented_radix_sort_implIS3_Lb1EPKhPhPKlPlN2at6native12_GLOBAL__N_18offset_tEEE10hipError_tPvRmT1_PNSt15iterator_traitsISK_E10value_typeET2_T3_PNSL_ISQ_E10value_typeET4_jRbjT5_SW_jjP12ihipStream_tbEUlT_E0_NS1_11comp_targetILNS1_3genE3ELNS1_11target_archE908ELNS1_3gpuE7ELNS1_3repE0EEENS1_60segmented_radix_sort_warp_sort_medium_config_static_selectorELNS0_4arch9wavefront6targetE1EEEvSK_
                                        ; -- End function
	.section	.AMDGPU.csdata,"",@progbits
; Kernel info:
; codeLenInByte = 0
; NumSgprs: 4
; NumVgprs: 0
; NumAgprs: 0
; TotalNumVgprs: 0
; ScratchSize: 0
; MemoryBound: 0
; FloatMode: 240
; IeeeMode: 1
; LDSByteSize: 0 bytes/workgroup (compile time only)
; SGPRBlocks: 0
; VGPRBlocks: 0
; NumSGPRsForWavesPerEU: 4
; NumVGPRsForWavesPerEU: 1
; AccumOffset: 4
; Occupancy: 8
; WaveLimiterHint : 0
; COMPUTE_PGM_RSRC2:SCRATCH_EN: 0
; COMPUTE_PGM_RSRC2:USER_SGPR: 6
; COMPUTE_PGM_RSRC2:TRAP_HANDLER: 0
; COMPUTE_PGM_RSRC2:TGID_X_EN: 1
; COMPUTE_PGM_RSRC2:TGID_Y_EN: 0
; COMPUTE_PGM_RSRC2:TGID_Z_EN: 0
; COMPUTE_PGM_RSRC2:TIDIG_COMP_CNT: 0
; COMPUTE_PGM_RSRC3_GFX90A:ACCUM_OFFSET: 0
; COMPUTE_PGM_RSRC3_GFX90A:TG_SPLIT: 0
	.section	.text._ZN7rocprim17ROCPRIM_400000_NS6detail17trampoline_kernelINS0_14default_configENS1_36segmented_radix_sort_config_selectorIhlEEZNS1_25segmented_radix_sort_implIS3_Lb1EPKhPhPKlPlN2at6native12_GLOBAL__N_18offset_tEEE10hipError_tPvRmT1_PNSt15iterator_traitsISK_E10value_typeET2_T3_PNSL_ISQ_E10value_typeET4_jRbjT5_SW_jjP12ihipStream_tbEUlT_E0_NS1_11comp_targetILNS1_3genE2ELNS1_11target_archE906ELNS1_3gpuE6ELNS1_3repE0EEENS1_60segmented_radix_sort_warp_sort_medium_config_static_selectorELNS0_4arch9wavefront6targetE1EEEvSK_,"axG",@progbits,_ZN7rocprim17ROCPRIM_400000_NS6detail17trampoline_kernelINS0_14default_configENS1_36segmented_radix_sort_config_selectorIhlEEZNS1_25segmented_radix_sort_implIS3_Lb1EPKhPhPKlPlN2at6native12_GLOBAL__N_18offset_tEEE10hipError_tPvRmT1_PNSt15iterator_traitsISK_E10value_typeET2_T3_PNSL_ISQ_E10value_typeET4_jRbjT5_SW_jjP12ihipStream_tbEUlT_E0_NS1_11comp_targetILNS1_3genE2ELNS1_11target_archE906ELNS1_3gpuE6ELNS1_3repE0EEENS1_60segmented_radix_sort_warp_sort_medium_config_static_selectorELNS0_4arch9wavefront6targetE1EEEvSK_,comdat
	.globl	_ZN7rocprim17ROCPRIM_400000_NS6detail17trampoline_kernelINS0_14default_configENS1_36segmented_radix_sort_config_selectorIhlEEZNS1_25segmented_radix_sort_implIS3_Lb1EPKhPhPKlPlN2at6native12_GLOBAL__N_18offset_tEEE10hipError_tPvRmT1_PNSt15iterator_traitsISK_E10value_typeET2_T3_PNSL_ISQ_E10value_typeET4_jRbjT5_SW_jjP12ihipStream_tbEUlT_E0_NS1_11comp_targetILNS1_3genE2ELNS1_11target_archE906ELNS1_3gpuE6ELNS1_3repE0EEENS1_60segmented_radix_sort_warp_sort_medium_config_static_selectorELNS0_4arch9wavefront6targetE1EEEvSK_ ; -- Begin function _ZN7rocprim17ROCPRIM_400000_NS6detail17trampoline_kernelINS0_14default_configENS1_36segmented_radix_sort_config_selectorIhlEEZNS1_25segmented_radix_sort_implIS3_Lb1EPKhPhPKlPlN2at6native12_GLOBAL__N_18offset_tEEE10hipError_tPvRmT1_PNSt15iterator_traitsISK_E10value_typeET2_T3_PNSL_ISQ_E10value_typeET4_jRbjT5_SW_jjP12ihipStream_tbEUlT_E0_NS1_11comp_targetILNS1_3genE2ELNS1_11target_archE906ELNS1_3gpuE6ELNS1_3repE0EEENS1_60segmented_radix_sort_warp_sort_medium_config_static_selectorELNS0_4arch9wavefront6targetE1EEEvSK_
	.p2align	8
	.type	_ZN7rocprim17ROCPRIM_400000_NS6detail17trampoline_kernelINS0_14default_configENS1_36segmented_radix_sort_config_selectorIhlEEZNS1_25segmented_radix_sort_implIS3_Lb1EPKhPhPKlPlN2at6native12_GLOBAL__N_18offset_tEEE10hipError_tPvRmT1_PNSt15iterator_traitsISK_E10value_typeET2_T3_PNSL_ISQ_E10value_typeET4_jRbjT5_SW_jjP12ihipStream_tbEUlT_E0_NS1_11comp_targetILNS1_3genE2ELNS1_11target_archE906ELNS1_3gpuE6ELNS1_3repE0EEENS1_60segmented_radix_sort_warp_sort_medium_config_static_selectorELNS0_4arch9wavefront6targetE1EEEvSK_,@function
_ZN7rocprim17ROCPRIM_400000_NS6detail17trampoline_kernelINS0_14default_configENS1_36segmented_radix_sort_config_selectorIhlEEZNS1_25segmented_radix_sort_implIS3_Lb1EPKhPhPKlPlN2at6native12_GLOBAL__N_18offset_tEEE10hipError_tPvRmT1_PNSt15iterator_traitsISK_E10value_typeET2_T3_PNSL_ISQ_E10value_typeET4_jRbjT5_SW_jjP12ihipStream_tbEUlT_E0_NS1_11comp_targetILNS1_3genE2ELNS1_11target_archE906ELNS1_3gpuE6ELNS1_3repE0EEENS1_60segmented_radix_sort_warp_sort_medium_config_static_selectorELNS0_4arch9wavefront6targetE1EEEvSK_: ; @_ZN7rocprim17ROCPRIM_400000_NS6detail17trampoline_kernelINS0_14default_configENS1_36segmented_radix_sort_config_selectorIhlEEZNS1_25segmented_radix_sort_implIS3_Lb1EPKhPhPKlPlN2at6native12_GLOBAL__N_18offset_tEEE10hipError_tPvRmT1_PNSt15iterator_traitsISK_E10value_typeET2_T3_PNSL_ISQ_E10value_typeET4_jRbjT5_SW_jjP12ihipStream_tbEUlT_E0_NS1_11comp_targetILNS1_3genE2ELNS1_11target_archE906ELNS1_3gpuE6ELNS1_3repE0EEENS1_60segmented_radix_sort_warp_sort_medium_config_static_selectorELNS0_4arch9wavefront6targetE1EEEvSK_
; %bb.0:
	.section	.rodata,"a",@progbits
	.p2align	6, 0x0
	.amdhsa_kernel _ZN7rocprim17ROCPRIM_400000_NS6detail17trampoline_kernelINS0_14default_configENS1_36segmented_radix_sort_config_selectorIhlEEZNS1_25segmented_radix_sort_implIS3_Lb1EPKhPhPKlPlN2at6native12_GLOBAL__N_18offset_tEEE10hipError_tPvRmT1_PNSt15iterator_traitsISK_E10value_typeET2_T3_PNSL_ISQ_E10value_typeET4_jRbjT5_SW_jjP12ihipStream_tbEUlT_E0_NS1_11comp_targetILNS1_3genE2ELNS1_11target_archE906ELNS1_3gpuE6ELNS1_3repE0EEENS1_60segmented_radix_sort_warp_sort_medium_config_static_selectorELNS0_4arch9wavefront6targetE1EEEvSK_
		.amdhsa_group_segment_fixed_size 0
		.amdhsa_private_segment_fixed_size 0
		.amdhsa_kernarg_size 88
		.amdhsa_user_sgpr_count 6
		.amdhsa_user_sgpr_private_segment_buffer 1
		.amdhsa_user_sgpr_dispatch_ptr 0
		.amdhsa_user_sgpr_queue_ptr 0
		.amdhsa_user_sgpr_kernarg_segment_ptr 1
		.amdhsa_user_sgpr_dispatch_id 0
		.amdhsa_user_sgpr_flat_scratch_init 0
		.amdhsa_user_sgpr_kernarg_preload_length 0
		.amdhsa_user_sgpr_kernarg_preload_offset 0
		.amdhsa_user_sgpr_private_segment_size 0
		.amdhsa_uses_dynamic_stack 0
		.amdhsa_system_sgpr_private_segment_wavefront_offset 0
		.amdhsa_system_sgpr_workgroup_id_x 1
		.amdhsa_system_sgpr_workgroup_id_y 0
		.amdhsa_system_sgpr_workgroup_id_z 0
		.amdhsa_system_sgpr_workgroup_info 0
		.amdhsa_system_vgpr_workitem_id 0
		.amdhsa_next_free_vgpr 1
		.amdhsa_next_free_sgpr 0
		.amdhsa_accum_offset 4
		.amdhsa_reserve_vcc 0
		.amdhsa_reserve_flat_scratch 0
		.amdhsa_float_round_mode_32 0
		.amdhsa_float_round_mode_16_64 0
		.amdhsa_float_denorm_mode_32 3
		.amdhsa_float_denorm_mode_16_64 3
		.amdhsa_dx10_clamp 1
		.amdhsa_ieee_mode 1
		.amdhsa_fp16_overflow 0
		.amdhsa_tg_split 0
		.amdhsa_exception_fp_ieee_invalid_op 0
		.amdhsa_exception_fp_denorm_src 0
		.amdhsa_exception_fp_ieee_div_zero 0
		.amdhsa_exception_fp_ieee_overflow 0
		.amdhsa_exception_fp_ieee_underflow 0
		.amdhsa_exception_fp_ieee_inexact 0
		.amdhsa_exception_int_div_zero 0
	.end_amdhsa_kernel
	.section	.text._ZN7rocprim17ROCPRIM_400000_NS6detail17trampoline_kernelINS0_14default_configENS1_36segmented_radix_sort_config_selectorIhlEEZNS1_25segmented_radix_sort_implIS3_Lb1EPKhPhPKlPlN2at6native12_GLOBAL__N_18offset_tEEE10hipError_tPvRmT1_PNSt15iterator_traitsISK_E10value_typeET2_T3_PNSL_ISQ_E10value_typeET4_jRbjT5_SW_jjP12ihipStream_tbEUlT_E0_NS1_11comp_targetILNS1_3genE2ELNS1_11target_archE906ELNS1_3gpuE6ELNS1_3repE0EEENS1_60segmented_radix_sort_warp_sort_medium_config_static_selectorELNS0_4arch9wavefront6targetE1EEEvSK_,"axG",@progbits,_ZN7rocprim17ROCPRIM_400000_NS6detail17trampoline_kernelINS0_14default_configENS1_36segmented_radix_sort_config_selectorIhlEEZNS1_25segmented_radix_sort_implIS3_Lb1EPKhPhPKlPlN2at6native12_GLOBAL__N_18offset_tEEE10hipError_tPvRmT1_PNSt15iterator_traitsISK_E10value_typeET2_T3_PNSL_ISQ_E10value_typeET4_jRbjT5_SW_jjP12ihipStream_tbEUlT_E0_NS1_11comp_targetILNS1_3genE2ELNS1_11target_archE906ELNS1_3gpuE6ELNS1_3repE0EEENS1_60segmented_radix_sort_warp_sort_medium_config_static_selectorELNS0_4arch9wavefront6targetE1EEEvSK_,comdat
.Lfunc_end98:
	.size	_ZN7rocprim17ROCPRIM_400000_NS6detail17trampoline_kernelINS0_14default_configENS1_36segmented_radix_sort_config_selectorIhlEEZNS1_25segmented_radix_sort_implIS3_Lb1EPKhPhPKlPlN2at6native12_GLOBAL__N_18offset_tEEE10hipError_tPvRmT1_PNSt15iterator_traitsISK_E10value_typeET2_T3_PNSL_ISQ_E10value_typeET4_jRbjT5_SW_jjP12ihipStream_tbEUlT_E0_NS1_11comp_targetILNS1_3genE2ELNS1_11target_archE906ELNS1_3gpuE6ELNS1_3repE0EEENS1_60segmented_radix_sort_warp_sort_medium_config_static_selectorELNS0_4arch9wavefront6targetE1EEEvSK_, .Lfunc_end98-_ZN7rocprim17ROCPRIM_400000_NS6detail17trampoline_kernelINS0_14default_configENS1_36segmented_radix_sort_config_selectorIhlEEZNS1_25segmented_radix_sort_implIS3_Lb1EPKhPhPKlPlN2at6native12_GLOBAL__N_18offset_tEEE10hipError_tPvRmT1_PNSt15iterator_traitsISK_E10value_typeET2_T3_PNSL_ISQ_E10value_typeET4_jRbjT5_SW_jjP12ihipStream_tbEUlT_E0_NS1_11comp_targetILNS1_3genE2ELNS1_11target_archE906ELNS1_3gpuE6ELNS1_3repE0EEENS1_60segmented_radix_sort_warp_sort_medium_config_static_selectorELNS0_4arch9wavefront6targetE1EEEvSK_
                                        ; -- End function
	.section	.AMDGPU.csdata,"",@progbits
; Kernel info:
; codeLenInByte = 0
; NumSgprs: 4
; NumVgprs: 0
; NumAgprs: 0
; TotalNumVgprs: 0
; ScratchSize: 0
; MemoryBound: 0
; FloatMode: 240
; IeeeMode: 1
; LDSByteSize: 0 bytes/workgroup (compile time only)
; SGPRBlocks: 0
; VGPRBlocks: 0
; NumSGPRsForWavesPerEU: 4
; NumVGPRsForWavesPerEU: 1
; AccumOffset: 4
; Occupancy: 8
; WaveLimiterHint : 0
; COMPUTE_PGM_RSRC2:SCRATCH_EN: 0
; COMPUTE_PGM_RSRC2:USER_SGPR: 6
; COMPUTE_PGM_RSRC2:TRAP_HANDLER: 0
; COMPUTE_PGM_RSRC2:TGID_X_EN: 1
; COMPUTE_PGM_RSRC2:TGID_Y_EN: 0
; COMPUTE_PGM_RSRC2:TGID_Z_EN: 0
; COMPUTE_PGM_RSRC2:TIDIG_COMP_CNT: 0
; COMPUTE_PGM_RSRC3_GFX90A:ACCUM_OFFSET: 0
; COMPUTE_PGM_RSRC3_GFX90A:TG_SPLIT: 0
	.section	.text._ZN7rocprim17ROCPRIM_400000_NS6detail17trampoline_kernelINS0_14default_configENS1_36segmented_radix_sort_config_selectorIhlEEZNS1_25segmented_radix_sort_implIS3_Lb1EPKhPhPKlPlN2at6native12_GLOBAL__N_18offset_tEEE10hipError_tPvRmT1_PNSt15iterator_traitsISK_E10value_typeET2_T3_PNSL_ISQ_E10value_typeET4_jRbjT5_SW_jjP12ihipStream_tbEUlT_E0_NS1_11comp_targetILNS1_3genE10ELNS1_11target_archE1201ELNS1_3gpuE5ELNS1_3repE0EEENS1_60segmented_radix_sort_warp_sort_medium_config_static_selectorELNS0_4arch9wavefront6targetE1EEEvSK_,"axG",@progbits,_ZN7rocprim17ROCPRIM_400000_NS6detail17trampoline_kernelINS0_14default_configENS1_36segmented_radix_sort_config_selectorIhlEEZNS1_25segmented_radix_sort_implIS3_Lb1EPKhPhPKlPlN2at6native12_GLOBAL__N_18offset_tEEE10hipError_tPvRmT1_PNSt15iterator_traitsISK_E10value_typeET2_T3_PNSL_ISQ_E10value_typeET4_jRbjT5_SW_jjP12ihipStream_tbEUlT_E0_NS1_11comp_targetILNS1_3genE10ELNS1_11target_archE1201ELNS1_3gpuE5ELNS1_3repE0EEENS1_60segmented_radix_sort_warp_sort_medium_config_static_selectorELNS0_4arch9wavefront6targetE1EEEvSK_,comdat
	.globl	_ZN7rocprim17ROCPRIM_400000_NS6detail17trampoline_kernelINS0_14default_configENS1_36segmented_radix_sort_config_selectorIhlEEZNS1_25segmented_radix_sort_implIS3_Lb1EPKhPhPKlPlN2at6native12_GLOBAL__N_18offset_tEEE10hipError_tPvRmT1_PNSt15iterator_traitsISK_E10value_typeET2_T3_PNSL_ISQ_E10value_typeET4_jRbjT5_SW_jjP12ihipStream_tbEUlT_E0_NS1_11comp_targetILNS1_3genE10ELNS1_11target_archE1201ELNS1_3gpuE5ELNS1_3repE0EEENS1_60segmented_radix_sort_warp_sort_medium_config_static_selectorELNS0_4arch9wavefront6targetE1EEEvSK_ ; -- Begin function _ZN7rocprim17ROCPRIM_400000_NS6detail17trampoline_kernelINS0_14default_configENS1_36segmented_radix_sort_config_selectorIhlEEZNS1_25segmented_radix_sort_implIS3_Lb1EPKhPhPKlPlN2at6native12_GLOBAL__N_18offset_tEEE10hipError_tPvRmT1_PNSt15iterator_traitsISK_E10value_typeET2_T3_PNSL_ISQ_E10value_typeET4_jRbjT5_SW_jjP12ihipStream_tbEUlT_E0_NS1_11comp_targetILNS1_3genE10ELNS1_11target_archE1201ELNS1_3gpuE5ELNS1_3repE0EEENS1_60segmented_radix_sort_warp_sort_medium_config_static_selectorELNS0_4arch9wavefront6targetE1EEEvSK_
	.p2align	8
	.type	_ZN7rocprim17ROCPRIM_400000_NS6detail17trampoline_kernelINS0_14default_configENS1_36segmented_radix_sort_config_selectorIhlEEZNS1_25segmented_radix_sort_implIS3_Lb1EPKhPhPKlPlN2at6native12_GLOBAL__N_18offset_tEEE10hipError_tPvRmT1_PNSt15iterator_traitsISK_E10value_typeET2_T3_PNSL_ISQ_E10value_typeET4_jRbjT5_SW_jjP12ihipStream_tbEUlT_E0_NS1_11comp_targetILNS1_3genE10ELNS1_11target_archE1201ELNS1_3gpuE5ELNS1_3repE0EEENS1_60segmented_radix_sort_warp_sort_medium_config_static_selectorELNS0_4arch9wavefront6targetE1EEEvSK_,@function
_ZN7rocprim17ROCPRIM_400000_NS6detail17trampoline_kernelINS0_14default_configENS1_36segmented_radix_sort_config_selectorIhlEEZNS1_25segmented_radix_sort_implIS3_Lb1EPKhPhPKlPlN2at6native12_GLOBAL__N_18offset_tEEE10hipError_tPvRmT1_PNSt15iterator_traitsISK_E10value_typeET2_T3_PNSL_ISQ_E10value_typeET4_jRbjT5_SW_jjP12ihipStream_tbEUlT_E0_NS1_11comp_targetILNS1_3genE10ELNS1_11target_archE1201ELNS1_3gpuE5ELNS1_3repE0EEENS1_60segmented_radix_sort_warp_sort_medium_config_static_selectorELNS0_4arch9wavefront6targetE1EEEvSK_: ; @_ZN7rocprim17ROCPRIM_400000_NS6detail17trampoline_kernelINS0_14default_configENS1_36segmented_radix_sort_config_selectorIhlEEZNS1_25segmented_radix_sort_implIS3_Lb1EPKhPhPKlPlN2at6native12_GLOBAL__N_18offset_tEEE10hipError_tPvRmT1_PNSt15iterator_traitsISK_E10value_typeET2_T3_PNSL_ISQ_E10value_typeET4_jRbjT5_SW_jjP12ihipStream_tbEUlT_E0_NS1_11comp_targetILNS1_3genE10ELNS1_11target_archE1201ELNS1_3gpuE5ELNS1_3repE0EEENS1_60segmented_radix_sort_warp_sort_medium_config_static_selectorELNS0_4arch9wavefront6targetE1EEEvSK_
; %bb.0:
	.section	.rodata,"a",@progbits
	.p2align	6, 0x0
	.amdhsa_kernel _ZN7rocprim17ROCPRIM_400000_NS6detail17trampoline_kernelINS0_14default_configENS1_36segmented_radix_sort_config_selectorIhlEEZNS1_25segmented_radix_sort_implIS3_Lb1EPKhPhPKlPlN2at6native12_GLOBAL__N_18offset_tEEE10hipError_tPvRmT1_PNSt15iterator_traitsISK_E10value_typeET2_T3_PNSL_ISQ_E10value_typeET4_jRbjT5_SW_jjP12ihipStream_tbEUlT_E0_NS1_11comp_targetILNS1_3genE10ELNS1_11target_archE1201ELNS1_3gpuE5ELNS1_3repE0EEENS1_60segmented_radix_sort_warp_sort_medium_config_static_selectorELNS0_4arch9wavefront6targetE1EEEvSK_
		.amdhsa_group_segment_fixed_size 0
		.amdhsa_private_segment_fixed_size 0
		.amdhsa_kernarg_size 88
		.amdhsa_user_sgpr_count 6
		.amdhsa_user_sgpr_private_segment_buffer 1
		.amdhsa_user_sgpr_dispatch_ptr 0
		.amdhsa_user_sgpr_queue_ptr 0
		.amdhsa_user_sgpr_kernarg_segment_ptr 1
		.amdhsa_user_sgpr_dispatch_id 0
		.amdhsa_user_sgpr_flat_scratch_init 0
		.amdhsa_user_sgpr_kernarg_preload_length 0
		.amdhsa_user_sgpr_kernarg_preload_offset 0
		.amdhsa_user_sgpr_private_segment_size 0
		.amdhsa_uses_dynamic_stack 0
		.amdhsa_system_sgpr_private_segment_wavefront_offset 0
		.amdhsa_system_sgpr_workgroup_id_x 1
		.amdhsa_system_sgpr_workgroup_id_y 0
		.amdhsa_system_sgpr_workgroup_id_z 0
		.amdhsa_system_sgpr_workgroup_info 0
		.amdhsa_system_vgpr_workitem_id 0
		.amdhsa_next_free_vgpr 1
		.amdhsa_next_free_sgpr 0
		.amdhsa_accum_offset 4
		.amdhsa_reserve_vcc 0
		.amdhsa_reserve_flat_scratch 0
		.amdhsa_float_round_mode_32 0
		.amdhsa_float_round_mode_16_64 0
		.amdhsa_float_denorm_mode_32 3
		.amdhsa_float_denorm_mode_16_64 3
		.amdhsa_dx10_clamp 1
		.amdhsa_ieee_mode 1
		.amdhsa_fp16_overflow 0
		.amdhsa_tg_split 0
		.amdhsa_exception_fp_ieee_invalid_op 0
		.amdhsa_exception_fp_denorm_src 0
		.amdhsa_exception_fp_ieee_div_zero 0
		.amdhsa_exception_fp_ieee_overflow 0
		.amdhsa_exception_fp_ieee_underflow 0
		.amdhsa_exception_fp_ieee_inexact 0
		.amdhsa_exception_int_div_zero 0
	.end_amdhsa_kernel
	.section	.text._ZN7rocprim17ROCPRIM_400000_NS6detail17trampoline_kernelINS0_14default_configENS1_36segmented_radix_sort_config_selectorIhlEEZNS1_25segmented_radix_sort_implIS3_Lb1EPKhPhPKlPlN2at6native12_GLOBAL__N_18offset_tEEE10hipError_tPvRmT1_PNSt15iterator_traitsISK_E10value_typeET2_T3_PNSL_ISQ_E10value_typeET4_jRbjT5_SW_jjP12ihipStream_tbEUlT_E0_NS1_11comp_targetILNS1_3genE10ELNS1_11target_archE1201ELNS1_3gpuE5ELNS1_3repE0EEENS1_60segmented_radix_sort_warp_sort_medium_config_static_selectorELNS0_4arch9wavefront6targetE1EEEvSK_,"axG",@progbits,_ZN7rocprim17ROCPRIM_400000_NS6detail17trampoline_kernelINS0_14default_configENS1_36segmented_radix_sort_config_selectorIhlEEZNS1_25segmented_radix_sort_implIS3_Lb1EPKhPhPKlPlN2at6native12_GLOBAL__N_18offset_tEEE10hipError_tPvRmT1_PNSt15iterator_traitsISK_E10value_typeET2_T3_PNSL_ISQ_E10value_typeET4_jRbjT5_SW_jjP12ihipStream_tbEUlT_E0_NS1_11comp_targetILNS1_3genE10ELNS1_11target_archE1201ELNS1_3gpuE5ELNS1_3repE0EEENS1_60segmented_radix_sort_warp_sort_medium_config_static_selectorELNS0_4arch9wavefront6targetE1EEEvSK_,comdat
.Lfunc_end99:
	.size	_ZN7rocprim17ROCPRIM_400000_NS6detail17trampoline_kernelINS0_14default_configENS1_36segmented_radix_sort_config_selectorIhlEEZNS1_25segmented_radix_sort_implIS3_Lb1EPKhPhPKlPlN2at6native12_GLOBAL__N_18offset_tEEE10hipError_tPvRmT1_PNSt15iterator_traitsISK_E10value_typeET2_T3_PNSL_ISQ_E10value_typeET4_jRbjT5_SW_jjP12ihipStream_tbEUlT_E0_NS1_11comp_targetILNS1_3genE10ELNS1_11target_archE1201ELNS1_3gpuE5ELNS1_3repE0EEENS1_60segmented_radix_sort_warp_sort_medium_config_static_selectorELNS0_4arch9wavefront6targetE1EEEvSK_, .Lfunc_end99-_ZN7rocprim17ROCPRIM_400000_NS6detail17trampoline_kernelINS0_14default_configENS1_36segmented_radix_sort_config_selectorIhlEEZNS1_25segmented_radix_sort_implIS3_Lb1EPKhPhPKlPlN2at6native12_GLOBAL__N_18offset_tEEE10hipError_tPvRmT1_PNSt15iterator_traitsISK_E10value_typeET2_T3_PNSL_ISQ_E10value_typeET4_jRbjT5_SW_jjP12ihipStream_tbEUlT_E0_NS1_11comp_targetILNS1_3genE10ELNS1_11target_archE1201ELNS1_3gpuE5ELNS1_3repE0EEENS1_60segmented_radix_sort_warp_sort_medium_config_static_selectorELNS0_4arch9wavefront6targetE1EEEvSK_
                                        ; -- End function
	.section	.AMDGPU.csdata,"",@progbits
; Kernel info:
; codeLenInByte = 0
; NumSgprs: 4
; NumVgprs: 0
; NumAgprs: 0
; TotalNumVgprs: 0
; ScratchSize: 0
; MemoryBound: 0
; FloatMode: 240
; IeeeMode: 1
; LDSByteSize: 0 bytes/workgroup (compile time only)
; SGPRBlocks: 0
; VGPRBlocks: 0
; NumSGPRsForWavesPerEU: 4
; NumVGPRsForWavesPerEU: 1
; AccumOffset: 4
; Occupancy: 8
; WaveLimiterHint : 0
; COMPUTE_PGM_RSRC2:SCRATCH_EN: 0
; COMPUTE_PGM_RSRC2:USER_SGPR: 6
; COMPUTE_PGM_RSRC2:TRAP_HANDLER: 0
; COMPUTE_PGM_RSRC2:TGID_X_EN: 1
; COMPUTE_PGM_RSRC2:TGID_Y_EN: 0
; COMPUTE_PGM_RSRC2:TGID_Z_EN: 0
; COMPUTE_PGM_RSRC2:TIDIG_COMP_CNT: 0
; COMPUTE_PGM_RSRC3_GFX90A:ACCUM_OFFSET: 0
; COMPUTE_PGM_RSRC3_GFX90A:TG_SPLIT: 0
	.section	.text._ZN7rocprim17ROCPRIM_400000_NS6detail17trampoline_kernelINS0_14default_configENS1_36segmented_radix_sort_config_selectorIhlEEZNS1_25segmented_radix_sort_implIS3_Lb1EPKhPhPKlPlN2at6native12_GLOBAL__N_18offset_tEEE10hipError_tPvRmT1_PNSt15iterator_traitsISK_E10value_typeET2_T3_PNSL_ISQ_E10value_typeET4_jRbjT5_SW_jjP12ihipStream_tbEUlT_E0_NS1_11comp_targetILNS1_3genE10ELNS1_11target_archE1200ELNS1_3gpuE4ELNS1_3repE0EEENS1_60segmented_radix_sort_warp_sort_medium_config_static_selectorELNS0_4arch9wavefront6targetE1EEEvSK_,"axG",@progbits,_ZN7rocprim17ROCPRIM_400000_NS6detail17trampoline_kernelINS0_14default_configENS1_36segmented_radix_sort_config_selectorIhlEEZNS1_25segmented_radix_sort_implIS3_Lb1EPKhPhPKlPlN2at6native12_GLOBAL__N_18offset_tEEE10hipError_tPvRmT1_PNSt15iterator_traitsISK_E10value_typeET2_T3_PNSL_ISQ_E10value_typeET4_jRbjT5_SW_jjP12ihipStream_tbEUlT_E0_NS1_11comp_targetILNS1_3genE10ELNS1_11target_archE1200ELNS1_3gpuE4ELNS1_3repE0EEENS1_60segmented_radix_sort_warp_sort_medium_config_static_selectorELNS0_4arch9wavefront6targetE1EEEvSK_,comdat
	.globl	_ZN7rocprim17ROCPRIM_400000_NS6detail17trampoline_kernelINS0_14default_configENS1_36segmented_radix_sort_config_selectorIhlEEZNS1_25segmented_radix_sort_implIS3_Lb1EPKhPhPKlPlN2at6native12_GLOBAL__N_18offset_tEEE10hipError_tPvRmT1_PNSt15iterator_traitsISK_E10value_typeET2_T3_PNSL_ISQ_E10value_typeET4_jRbjT5_SW_jjP12ihipStream_tbEUlT_E0_NS1_11comp_targetILNS1_3genE10ELNS1_11target_archE1200ELNS1_3gpuE4ELNS1_3repE0EEENS1_60segmented_radix_sort_warp_sort_medium_config_static_selectorELNS0_4arch9wavefront6targetE1EEEvSK_ ; -- Begin function _ZN7rocprim17ROCPRIM_400000_NS6detail17trampoline_kernelINS0_14default_configENS1_36segmented_radix_sort_config_selectorIhlEEZNS1_25segmented_radix_sort_implIS3_Lb1EPKhPhPKlPlN2at6native12_GLOBAL__N_18offset_tEEE10hipError_tPvRmT1_PNSt15iterator_traitsISK_E10value_typeET2_T3_PNSL_ISQ_E10value_typeET4_jRbjT5_SW_jjP12ihipStream_tbEUlT_E0_NS1_11comp_targetILNS1_3genE10ELNS1_11target_archE1200ELNS1_3gpuE4ELNS1_3repE0EEENS1_60segmented_radix_sort_warp_sort_medium_config_static_selectorELNS0_4arch9wavefront6targetE1EEEvSK_
	.p2align	8
	.type	_ZN7rocprim17ROCPRIM_400000_NS6detail17trampoline_kernelINS0_14default_configENS1_36segmented_radix_sort_config_selectorIhlEEZNS1_25segmented_radix_sort_implIS3_Lb1EPKhPhPKlPlN2at6native12_GLOBAL__N_18offset_tEEE10hipError_tPvRmT1_PNSt15iterator_traitsISK_E10value_typeET2_T3_PNSL_ISQ_E10value_typeET4_jRbjT5_SW_jjP12ihipStream_tbEUlT_E0_NS1_11comp_targetILNS1_3genE10ELNS1_11target_archE1200ELNS1_3gpuE4ELNS1_3repE0EEENS1_60segmented_radix_sort_warp_sort_medium_config_static_selectorELNS0_4arch9wavefront6targetE1EEEvSK_,@function
_ZN7rocprim17ROCPRIM_400000_NS6detail17trampoline_kernelINS0_14default_configENS1_36segmented_radix_sort_config_selectorIhlEEZNS1_25segmented_radix_sort_implIS3_Lb1EPKhPhPKlPlN2at6native12_GLOBAL__N_18offset_tEEE10hipError_tPvRmT1_PNSt15iterator_traitsISK_E10value_typeET2_T3_PNSL_ISQ_E10value_typeET4_jRbjT5_SW_jjP12ihipStream_tbEUlT_E0_NS1_11comp_targetILNS1_3genE10ELNS1_11target_archE1200ELNS1_3gpuE4ELNS1_3repE0EEENS1_60segmented_radix_sort_warp_sort_medium_config_static_selectorELNS0_4arch9wavefront6targetE1EEEvSK_: ; @_ZN7rocprim17ROCPRIM_400000_NS6detail17trampoline_kernelINS0_14default_configENS1_36segmented_radix_sort_config_selectorIhlEEZNS1_25segmented_radix_sort_implIS3_Lb1EPKhPhPKlPlN2at6native12_GLOBAL__N_18offset_tEEE10hipError_tPvRmT1_PNSt15iterator_traitsISK_E10value_typeET2_T3_PNSL_ISQ_E10value_typeET4_jRbjT5_SW_jjP12ihipStream_tbEUlT_E0_NS1_11comp_targetILNS1_3genE10ELNS1_11target_archE1200ELNS1_3gpuE4ELNS1_3repE0EEENS1_60segmented_radix_sort_warp_sort_medium_config_static_selectorELNS0_4arch9wavefront6targetE1EEEvSK_
; %bb.0:
	.section	.rodata,"a",@progbits
	.p2align	6, 0x0
	.amdhsa_kernel _ZN7rocprim17ROCPRIM_400000_NS6detail17trampoline_kernelINS0_14default_configENS1_36segmented_radix_sort_config_selectorIhlEEZNS1_25segmented_radix_sort_implIS3_Lb1EPKhPhPKlPlN2at6native12_GLOBAL__N_18offset_tEEE10hipError_tPvRmT1_PNSt15iterator_traitsISK_E10value_typeET2_T3_PNSL_ISQ_E10value_typeET4_jRbjT5_SW_jjP12ihipStream_tbEUlT_E0_NS1_11comp_targetILNS1_3genE10ELNS1_11target_archE1200ELNS1_3gpuE4ELNS1_3repE0EEENS1_60segmented_radix_sort_warp_sort_medium_config_static_selectorELNS0_4arch9wavefront6targetE1EEEvSK_
		.amdhsa_group_segment_fixed_size 0
		.amdhsa_private_segment_fixed_size 0
		.amdhsa_kernarg_size 88
		.amdhsa_user_sgpr_count 6
		.amdhsa_user_sgpr_private_segment_buffer 1
		.amdhsa_user_sgpr_dispatch_ptr 0
		.amdhsa_user_sgpr_queue_ptr 0
		.amdhsa_user_sgpr_kernarg_segment_ptr 1
		.amdhsa_user_sgpr_dispatch_id 0
		.amdhsa_user_sgpr_flat_scratch_init 0
		.amdhsa_user_sgpr_kernarg_preload_length 0
		.amdhsa_user_sgpr_kernarg_preload_offset 0
		.amdhsa_user_sgpr_private_segment_size 0
		.amdhsa_uses_dynamic_stack 0
		.amdhsa_system_sgpr_private_segment_wavefront_offset 0
		.amdhsa_system_sgpr_workgroup_id_x 1
		.amdhsa_system_sgpr_workgroup_id_y 0
		.amdhsa_system_sgpr_workgroup_id_z 0
		.amdhsa_system_sgpr_workgroup_info 0
		.amdhsa_system_vgpr_workitem_id 0
		.amdhsa_next_free_vgpr 1
		.amdhsa_next_free_sgpr 0
		.amdhsa_accum_offset 4
		.amdhsa_reserve_vcc 0
		.amdhsa_reserve_flat_scratch 0
		.amdhsa_float_round_mode_32 0
		.amdhsa_float_round_mode_16_64 0
		.amdhsa_float_denorm_mode_32 3
		.amdhsa_float_denorm_mode_16_64 3
		.amdhsa_dx10_clamp 1
		.amdhsa_ieee_mode 1
		.amdhsa_fp16_overflow 0
		.amdhsa_tg_split 0
		.amdhsa_exception_fp_ieee_invalid_op 0
		.amdhsa_exception_fp_denorm_src 0
		.amdhsa_exception_fp_ieee_div_zero 0
		.amdhsa_exception_fp_ieee_overflow 0
		.amdhsa_exception_fp_ieee_underflow 0
		.amdhsa_exception_fp_ieee_inexact 0
		.amdhsa_exception_int_div_zero 0
	.end_amdhsa_kernel
	.section	.text._ZN7rocprim17ROCPRIM_400000_NS6detail17trampoline_kernelINS0_14default_configENS1_36segmented_radix_sort_config_selectorIhlEEZNS1_25segmented_radix_sort_implIS3_Lb1EPKhPhPKlPlN2at6native12_GLOBAL__N_18offset_tEEE10hipError_tPvRmT1_PNSt15iterator_traitsISK_E10value_typeET2_T3_PNSL_ISQ_E10value_typeET4_jRbjT5_SW_jjP12ihipStream_tbEUlT_E0_NS1_11comp_targetILNS1_3genE10ELNS1_11target_archE1200ELNS1_3gpuE4ELNS1_3repE0EEENS1_60segmented_radix_sort_warp_sort_medium_config_static_selectorELNS0_4arch9wavefront6targetE1EEEvSK_,"axG",@progbits,_ZN7rocprim17ROCPRIM_400000_NS6detail17trampoline_kernelINS0_14default_configENS1_36segmented_radix_sort_config_selectorIhlEEZNS1_25segmented_radix_sort_implIS3_Lb1EPKhPhPKlPlN2at6native12_GLOBAL__N_18offset_tEEE10hipError_tPvRmT1_PNSt15iterator_traitsISK_E10value_typeET2_T3_PNSL_ISQ_E10value_typeET4_jRbjT5_SW_jjP12ihipStream_tbEUlT_E0_NS1_11comp_targetILNS1_3genE10ELNS1_11target_archE1200ELNS1_3gpuE4ELNS1_3repE0EEENS1_60segmented_radix_sort_warp_sort_medium_config_static_selectorELNS0_4arch9wavefront6targetE1EEEvSK_,comdat
.Lfunc_end100:
	.size	_ZN7rocprim17ROCPRIM_400000_NS6detail17trampoline_kernelINS0_14default_configENS1_36segmented_radix_sort_config_selectorIhlEEZNS1_25segmented_radix_sort_implIS3_Lb1EPKhPhPKlPlN2at6native12_GLOBAL__N_18offset_tEEE10hipError_tPvRmT1_PNSt15iterator_traitsISK_E10value_typeET2_T3_PNSL_ISQ_E10value_typeET4_jRbjT5_SW_jjP12ihipStream_tbEUlT_E0_NS1_11comp_targetILNS1_3genE10ELNS1_11target_archE1200ELNS1_3gpuE4ELNS1_3repE0EEENS1_60segmented_radix_sort_warp_sort_medium_config_static_selectorELNS0_4arch9wavefront6targetE1EEEvSK_, .Lfunc_end100-_ZN7rocprim17ROCPRIM_400000_NS6detail17trampoline_kernelINS0_14default_configENS1_36segmented_radix_sort_config_selectorIhlEEZNS1_25segmented_radix_sort_implIS3_Lb1EPKhPhPKlPlN2at6native12_GLOBAL__N_18offset_tEEE10hipError_tPvRmT1_PNSt15iterator_traitsISK_E10value_typeET2_T3_PNSL_ISQ_E10value_typeET4_jRbjT5_SW_jjP12ihipStream_tbEUlT_E0_NS1_11comp_targetILNS1_3genE10ELNS1_11target_archE1200ELNS1_3gpuE4ELNS1_3repE0EEENS1_60segmented_radix_sort_warp_sort_medium_config_static_selectorELNS0_4arch9wavefront6targetE1EEEvSK_
                                        ; -- End function
	.section	.AMDGPU.csdata,"",@progbits
; Kernel info:
; codeLenInByte = 0
; NumSgprs: 4
; NumVgprs: 0
; NumAgprs: 0
; TotalNumVgprs: 0
; ScratchSize: 0
; MemoryBound: 0
; FloatMode: 240
; IeeeMode: 1
; LDSByteSize: 0 bytes/workgroup (compile time only)
; SGPRBlocks: 0
; VGPRBlocks: 0
; NumSGPRsForWavesPerEU: 4
; NumVGPRsForWavesPerEU: 1
; AccumOffset: 4
; Occupancy: 8
; WaveLimiterHint : 0
; COMPUTE_PGM_RSRC2:SCRATCH_EN: 0
; COMPUTE_PGM_RSRC2:USER_SGPR: 6
; COMPUTE_PGM_RSRC2:TRAP_HANDLER: 0
; COMPUTE_PGM_RSRC2:TGID_X_EN: 1
; COMPUTE_PGM_RSRC2:TGID_Y_EN: 0
; COMPUTE_PGM_RSRC2:TGID_Z_EN: 0
; COMPUTE_PGM_RSRC2:TIDIG_COMP_CNT: 0
; COMPUTE_PGM_RSRC3_GFX90A:ACCUM_OFFSET: 0
; COMPUTE_PGM_RSRC3_GFX90A:TG_SPLIT: 0
	.section	.text._ZN7rocprim17ROCPRIM_400000_NS6detail17trampoline_kernelINS0_14default_configENS1_36segmented_radix_sort_config_selectorIhlEEZNS1_25segmented_radix_sort_implIS3_Lb1EPKhPhPKlPlN2at6native12_GLOBAL__N_18offset_tEEE10hipError_tPvRmT1_PNSt15iterator_traitsISK_E10value_typeET2_T3_PNSL_ISQ_E10value_typeET4_jRbjT5_SW_jjP12ihipStream_tbEUlT_E0_NS1_11comp_targetILNS1_3genE9ELNS1_11target_archE1100ELNS1_3gpuE3ELNS1_3repE0EEENS1_60segmented_radix_sort_warp_sort_medium_config_static_selectorELNS0_4arch9wavefront6targetE1EEEvSK_,"axG",@progbits,_ZN7rocprim17ROCPRIM_400000_NS6detail17trampoline_kernelINS0_14default_configENS1_36segmented_radix_sort_config_selectorIhlEEZNS1_25segmented_radix_sort_implIS3_Lb1EPKhPhPKlPlN2at6native12_GLOBAL__N_18offset_tEEE10hipError_tPvRmT1_PNSt15iterator_traitsISK_E10value_typeET2_T3_PNSL_ISQ_E10value_typeET4_jRbjT5_SW_jjP12ihipStream_tbEUlT_E0_NS1_11comp_targetILNS1_3genE9ELNS1_11target_archE1100ELNS1_3gpuE3ELNS1_3repE0EEENS1_60segmented_radix_sort_warp_sort_medium_config_static_selectorELNS0_4arch9wavefront6targetE1EEEvSK_,comdat
	.globl	_ZN7rocprim17ROCPRIM_400000_NS6detail17trampoline_kernelINS0_14default_configENS1_36segmented_radix_sort_config_selectorIhlEEZNS1_25segmented_radix_sort_implIS3_Lb1EPKhPhPKlPlN2at6native12_GLOBAL__N_18offset_tEEE10hipError_tPvRmT1_PNSt15iterator_traitsISK_E10value_typeET2_T3_PNSL_ISQ_E10value_typeET4_jRbjT5_SW_jjP12ihipStream_tbEUlT_E0_NS1_11comp_targetILNS1_3genE9ELNS1_11target_archE1100ELNS1_3gpuE3ELNS1_3repE0EEENS1_60segmented_radix_sort_warp_sort_medium_config_static_selectorELNS0_4arch9wavefront6targetE1EEEvSK_ ; -- Begin function _ZN7rocprim17ROCPRIM_400000_NS6detail17trampoline_kernelINS0_14default_configENS1_36segmented_radix_sort_config_selectorIhlEEZNS1_25segmented_radix_sort_implIS3_Lb1EPKhPhPKlPlN2at6native12_GLOBAL__N_18offset_tEEE10hipError_tPvRmT1_PNSt15iterator_traitsISK_E10value_typeET2_T3_PNSL_ISQ_E10value_typeET4_jRbjT5_SW_jjP12ihipStream_tbEUlT_E0_NS1_11comp_targetILNS1_3genE9ELNS1_11target_archE1100ELNS1_3gpuE3ELNS1_3repE0EEENS1_60segmented_radix_sort_warp_sort_medium_config_static_selectorELNS0_4arch9wavefront6targetE1EEEvSK_
	.p2align	8
	.type	_ZN7rocprim17ROCPRIM_400000_NS6detail17trampoline_kernelINS0_14default_configENS1_36segmented_radix_sort_config_selectorIhlEEZNS1_25segmented_radix_sort_implIS3_Lb1EPKhPhPKlPlN2at6native12_GLOBAL__N_18offset_tEEE10hipError_tPvRmT1_PNSt15iterator_traitsISK_E10value_typeET2_T3_PNSL_ISQ_E10value_typeET4_jRbjT5_SW_jjP12ihipStream_tbEUlT_E0_NS1_11comp_targetILNS1_3genE9ELNS1_11target_archE1100ELNS1_3gpuE3ELNS1_3repE0EEENS1_60segmented_radix_sort_warp_sort_medium_config_static_selectorELNS0_4arch9wavefront6targetE1EEEvSK_,@function
_ZN7rocprim17ROCPRIM_400000_NS6detail17trampoline_kernelINS0_14default_configENS1_36segmented_radix_sort_config_selectorIhlEEZNS1_25segmented_radix_sort_implIS3_Lb1EPKhPhPKlPlN2at6native12_GLOBAL__N_18offset_tEEE10hipError_tPvRmT1_PNSt15iterator_traitsISK_E10value_typeET2_T3_PNSL_ISQ_E10value_typeET4_jRbjT5_SW_jjP12ihipStream_tbEUlT_E0_NS1_11comp_targetILNS1_3genE9ELNS1_11target_archE1100ELNS1_3gpuE3ELNS1_3repE0EEENS1_60segmented_radix_sort_warp_sort_medium_config_static_selectorELNS0_4arch9wavefront6targetE1EEEvSK_: ; @_ZN7rocprim17ROCPRIM_400000_NS6detail17trampoline_kernelINS0_14default_configENS1_36segmented_radix_sort_config_selectorIhlEEZNS1_25segmented_radix_sort_implIS3_Lb1EPKhPhPKlPlN2at6native12_GLOBAL__N_18offset_tEEE10hipError_tPvRmT1_PNSt15iterator_traitsISK_E10value_typeET2_T3_PNSL_ISQ_E10value_typeET4_jRbjT5_SW_jjP12ihipStream_tbEUlT_E0_NS1_11comp_targetILNS1_3genE9ELNS1_11target_archE1100ELNS1_3gpuE3ELNS1_3repE0EEENS1_60segmented_radix_sort_warp_sort_medium_config_static_selectorELNS0_4arch9wavefront6targetE1EEEvSK_
; %bb.0:
	.section	.rodata,"a",@progbits
	.p2align	6, 0x0
	.amdhsa_kernel _ZN7rocprim17ROCPRIM_400000_NS6detail17trampoline_kernelINS0_14default_configENS1_36segmented_radix_sort_config_selectorIhlEEZNS1_25segmented_radix_sort_implIS3_Lb1EPKhPhPKlPlN2at6native12_GLOBAL__N_18offset_tEEE10hipError_tPvRmT1_PNSt15iterator_traitsISK_E10value_typeET2_T3_PNSL_ISQ_E10value_typeET4_jRbjT5_SW_jjP12ihipStream_tbEUlT_E0_NS1_11comp_targetILNS1_3genE9ELNS1_11target_archE1100ELNS1_3gpuE3ELNS1_3repE0EEENS1_60segmented_radix_sort_warp_sort_medium_config_static_selectorELNS0_4arch9wavefront6targetE1EEEvSK_
		.amdhsa_group_segment_fixed_size 0
		.amdhsa_private_segment_fixed_size 0
		.amdhsa_kernarg_size 88
		.amdhsa_user_sgpr_count 6
		.amdhsa_user_sgpr_private_segment_buffer 1
		.amdhsa_user_sgpr_dispatch_ptr 0
		.amdhsa_user_sgpr_queue_ptr 0
		.amdhsa_user_sgpr_kernarg_segment_ptr 1
		.amdhsa_user_sgpr_dispatch_id 0
		.amdhsa_user_sgpr_flat_scratch_init 0
		.amdhsa_user_sgpr_kernarg_preload_length 0
		.amdhsa_user_sgpr_kernarg_preload_offset 0
		.amdhsa_user_sgpr_private_segment_size 0
		.amdhsa_uses_dynamic_stack 0
		.amdhsa_system_sgpr_private_segment_wavefront_offset 0
		.amdhsa_system_sgpr_workgroup_id_x 1
		.amdhsa_system_sgpr_workgroup_id_y 0
		.amdhsa_system_sgpr_workgroup_id_z 0
		.amdhsa_system_sgpr_workgroup_info 0
		.amdhsa_system_vgpr_workitem_id 0
		.amdhsa_next_free_vgpr 1
		.amdhsa_next_free_sgpr 0
		.amdhsa_accum_offset 4
		.amdhsa_reserve_vcc 0
		.amdhsa_reserve_flat_scratch 0
		.amdhsa_float_round_mode_32 0
		.amdhsa_float_round_mode_16_64 0
		.amdhsa_float_denorm_mode_32 3
		.amdhsa_float_denorm_mode_16_64 3
		.amdhsa_dx10_clamp 1
		.amdhsa_ieee_mode 1
		.amdhsa_fp16_overflow 0
		.amdhsa_tg_split 0
		.amdhsa_exception_fp_ieee_invalid_op 0
		.amdhsa_exception_fp_denorm_src 0
		.amdhsa_exception_fp_ieee_div_zero 0
		.amdhsa_exception_fp_ieee_overflow 0
		.amdhsa_exception_fp_ieee_underflow 0
		.amdhsa_exception_fp_ieee_inexact 0
		.amdhsa_exception_int_div_zero 0
	.end_amdhsa_kernel
	.section	.text._ZN7rocprim17ROCPRIM_400000_NS6detail17trampoline_kernelINS0_14default_configENS1_36segmented_radix_sort_config_selectorIhlEEZNS1_25segmented_radix_sort_implIS3_Lb1EPKhPhPKlPlN2at6native12_GLOBAL__N_18offset_tEEE10hipError_tPvRmT1_PNSt15iterator_traitsISK_E10value_typeET2_T3_PNSL_ISQ_E10value_typeET4_jRbjT5_SW_jjP12ihipStream_tbEUlT_E0_NS1_11comp_targetILNS1_3genE9ELNS1_11target_archE1100ELNS1_3gpuE3ELNS1_3repE0EEENS1_60segmented_radix_sort_warp_sort_medium_config_static_selectorELNS0_4arch9wavefront6targetE1EEEvSK_,"axG",@progbits,_ZN7rocprim17ROCPRIM_400000_NS6detail17trampoline_kernelINS0_14default_configENS1_36segmented_radix_sort_config_selectorIhlEEZNS1_25segmented_radix_sort_implIS3_Lb1EPKhPhPKlPlN2at6native12_GLOBAL__N_18offset_tEEE10hipError_tPvRmT1_PNSt15iterator_traitsISK_E10value_typeET2_T3_PNSL_ISQ_E10value_typeET4_jRbjT5_SW_jjP12ihipStream_tbEUlT_E0_NS1_11comp_targetILNS1_3genE9ELNS1_11target_archE1100ELNS1_3gpuE3ELNS1_3repE0EEENS1_60segmented_radix_sort_warp_sort_medium_config_static_selectorELNS0_4arch9wavefront6targetE1EEEvSK_,comdat
.Lfunc_end101:
	.size	_ZN7rocprim17ROCPRIM_400000_NS6detail17trampoline_kernelINS0_14default_configENS1_36segmented_radix_sort_config_selectorIhlEEZNS1_25segmented_radix_sort_implIS3_Lb1EPKhPhPKlPlN2at6native12_GLOBAL__N_18offset_tEEE10hipError_tPvRmT1_PNSt15iterator_traitsISK_E10value_typeET2_T3_PNSL_ISQ_E10value_typeET4_jRbjT5_SW_jjP12ihipStream_tbEUlT_E0_NS1_11comp_targetILNS1_3genE9ELNS1_11target_archE1100ELNS1_3gpuE3ELNS1_3repE0EEENS1_60segmented_radix_sort_warp_sort_medium_config_static_selectorELNS0_4arch9wavefront6targetE1EEEvSK_, .Lfunc_end101-_ZN7rocprim17ROCPRIM_400000_NS6detail17trampoline_kernelINS0_14default_configENS1_36segmented_radix_sort_config_selectorIhlEEZNS1_25segmented_radix_sort_implIS3_Lb1EPKhPhPKlPlN2at6native12_GLOBAL__N_18offset_tEEE10hipError_tPvRmT1_PNSt15iterator_traitsISK_E10value_typeET2_T3_PNSL_ISQ_E10value_typeET4_jRbjT5_SW_jjP12ihipStream_tbEUlT_E0_NS1_11comp_targetILNS1_3genE9ELNS1_11target_archE1100ELNS1_3gpuE3ELNS1_3repE0EEENS1_60segmented_radix_sort_warp_sort_medium_config_static_selectorELNS0_4arch9wavefront6targetE1EEEvSK_
                                        ; -- End function
	.section	.AMDGPU.csdata,"",@progbits
; Kernel info:
; codeLenInByte = 0
; NumSgprs: 4
; NumVgprs: 0
; NumAgprs: 0
; TotalNumVgprs: 0
; ScratchSize: 0
; MemoryBound: 0
; FloatMode: 240
; IeeeMode: 1
; LDSByteSize: 0 bytes/workgroup (compile time only)
; SGPRBlocks: 0
; VGPRBlocks: 0
; NumSGPRsForWavesPerEU: 4
; NumVGPRsForWavesPerEU: 1
; AccumOffset: 4
; Occupancy: 8
; WaveLimiterHint : 0
; COMPUTE_PGM_RSRC2:SCRATCH_EN: 0
; COMPUTE_PGM_RSRC2:USER_SGPR: 6
; COMPUTE_PGM_RSRC2:TRAP_HANDLER: 0
; COMPUTE_PGM_RSRC2:TGID_X_EN: 1
; COMPUTE_PGM_RSRC2:TGID_Y_EN: 0
; COMPUTE_PGM_RSRC2:TGID_Z_EN: 0
; COMPUTE_PGM_RSRC2:TIDIG_COMP_CNT: 0
; COMPUTE_PGM_RSRC3_GFX90A:ACCUM_OFFSET: 0
; COMPUTE_PGM_RSRC3_GFX90A:TG_SPLIT: 0
	.section	.text._ZN7rocprim17ROCPRIM_400000_NS6detail17trampoline_kernelINS0_14default_configENS1_36segmented_radix_sort_config_selectorIhlEEZNS1_25segmented_radix_sort_implIS3_Lb1EPKhPhPKlPlN2at6native12_GLOBAL__N_18offset_tEEE10hipError_tPvRmT1_PNSt15iterator_traitsISK_E10value_typeET2_T3_PNSL_ISQ_E10value_typeET4_jRbjT5_SW_jjP12ihipStream_tbEUlT_E0_NS1_11comp_targetILNS1_3genE8ELNS1_11target_archE1030ELNS1_3gpuE2ELNS1_3repE0EEENS1_60segmented_radix_sort_warp_sort_medium_config_static_selectorELNS0_4arch9wavefront6targetE1EEEvSK_,"axG",@progbits,_ZN7rocprim17ROCPRIM_400000_NS6detail17trampoline_kernelINS0_14default_configENS1_36segmented_radix_sort_config_selectorIhlEEZNS1_25segmented_radix_sort_implIS3_Lb1EPKhPhPKlPlN2at6native12_GLOBAL__N_18offset_tEEE10hipError_tPvRmT1_PNSt15iterator_traitsISK_E10value_typeET2_T3_PNSL_ISQ_E10value_typeET4_jRbjT5_SW_jjP12ihipStream_tbEUlT_E0_NS1_11comp_targetILNS1_3genE8ELNS1_11target_archE1030ELNS1_3gpuE2ELNS1_3repE0EEENS1_60segmented_radix_sort_warp_sort_medium_config_static_selectorELNS0_4arch9wavefront6targetE1EEEvSK_,comdat
	.globl	_ZN7rocprim17ROCPRIM_400000_NS6detail17trampoline_kernelINS0_14default_configENS1_36segmented_radix_sort_config_selectorIhlEEZNS1_25segmented_radix_sort_implIS3_Lb1EPKhPhPKlPlN2at6native12_GLOBAL__N_18offset_tEEE10hipError_tPvRmT1_PNSt15iterator_traitsISK_E10value_typeET2_T3_PNSL_ISQ_E10value_typeET4_jRbjT5_SW_jjP12ihipStream_tbEUlT_E0_NS1_11comp_targetILNS1_3genE8ELNS1_11target_archE1030ELNS1_3gpuE2ELNS1_3repE0EEENS1_60segmented_radix_sort_warp_sort_medium_config_static_selectorELNS0_4arch9wavefront6targetE1EEEvSK_ ; -- Begin function _ZN7rocprim17ROCPRIM_400000_NS6detail17trampoline_kernelINS0_14default_configENS1_36segmented_radix_sort_config_selectorIhlEEZNS1_25segmented_radix_sort_implIS3_Lb1EPKhPhPKlPlN2at6native12_GLOBAL__N_18offset_tEEE10hipError_tPvRmT1_PNSt15iterator_traitsISK_E10value_typeET2_T3_PNSL_ISQ_E10value_typeET4_jRbjT5_SW_jjP12ihipStream_tbEUlT_E0_NS1_11comp_targetILNS1_3genE8ELNS1_11target_archE1030ELNS1_3gpuE2ELNS1_3repE0EEENS1_60segmented_radix_sort_warp_sort_medium_config_static_selectorELNS0_4arch9wavefront6targetE1EEEvSK_
	.p2align	8
	.type	_ZN7rocprim17ROCPRIM_400000_NS6detail17trampoline_kernelINS0_14default_configENS1_36segmented_radix_sort_config_selectorIhlEEZNS1_25segmented_radix_sort_implIS3_Lb1EPKhPhPKlPlN2at6native12_GLOBAL__N_18offset_tEEE10hipError_tPvRmT1_PNSt15iterator_traitsISK_E10value_typeET2_T3_PNSL_ISQ_E10value_typeET4_jRbjT5_SW_jjP12ihipStream_tbEUlT_E0_NS1_11comp_targetILNS1_3genE8ELNS1_11target_archE1030ELNS1_3gpuE2ELNS1_3repE0EEENS1_60segmented_radix_sort_warp_sort_medium_config_static_selectorELNS0_4arch9wavefront6targetE1EEEvSK_,@function
_ZN7rocprim17ROCPRIM_400000_NS6detail17trampoline_kernelINS0_14default_configENS1_36segmented_radix_sort_config_selectorIhlEEZNS1_25segmented_radix_sort_implIS3_Lb1EPKhPhPKlPlN2at6native12_GLOBAL__N_18offset_tEEE10hipError_tPvRmT1_PNSt15iterator_traitsISK_E10value_typeET2_T3_PNSL_ISQ_E10value_typeET4_jRbjT5_SW_jjP12ihipStream_tbEUlT_E0_NS1_11comp_targetILNS1_3genE8ELNS1_11target_archE1030ELNS1_3gpuE2ELNS1_3repE0EEENS1_60segmented_radix_sort_warp_sort_medium_config_static_selectorELNS0_4arch9wavefront6targetE1EEEvSK_: ; @_ZN7rocprim17ROCPRIM_400000_NS6detail17trampoline_kernelINS0_14default_configENS1_36segmented_radix_sort_config_selectorIhlEEZNS1_25segmented_radix_sort_implIS3_Lb1EPKhPhPKlPlN2at6native12_GLOBAL__N_18offset_tEEE10hipError_tPvRmT1_PNSt15iterator_traitsISK_E10value_typeET2_T3_PNSL_ISQ_E10value_typeET4_jRbjT5_SW_jjP12ihipStream_tbEUlT_E0_NS1_11comp_targetILNS1_3genE8ELNS1_11target_archE1030ELNS1_3gpuE2ELNS1_3repE0EEENS1_60segmented_radix_sort_warp_sort_medium_config_static_selectorELNS0_4arch9wavefront6targetE1EEEvSK_
; %bb.0:
	.section	.rodata,"a",@progbits
	.p2align	6, 0x0
	.amdhsa_kernel _ZN7rocprim17ROCPRIM_400000_NS6detail17trampoline_kernelINS0_14default_configENS1_36segmented_radix_sort_config_selectorIhlEEZNS1_25segmented_radix_sort_implIS3_Lb1EPKhPhPKlPlN2at6native12_GLOBAL__N_18offset_tEEE10hipError_tPvRmT1_PNSt15iterator_traitsISK_E10value_typeET2_T3_PNSL_ISQ_E10value_typeET4_jRbjT5_SW_jjP12ihipStream_tbEUlT_E0_NS1_11comp_targetILNS1_3genE8ELNS1_11target_archE1030ELNS1_3gpuE2ELNS1_3repE0EEENS1_60segmented_radix_sort_warp_sort_medium_config_static_selectorELNS0_4arch9wavefront6targetE1EEEvSK_
		.amdhsa_group_segment_fixed_size 0
		.amdhsa_private_segment_fixed_size 0
		.amdhsa_kernarg_size 88
		.amdhsa_user_sgpr_count 6
		.amdhsa_user_sgpr_private_segment_buffer 1
		.amdhsa_user_sgpr_dispatch_ptr 0
		.amdhsa_user_sgpr_queue_ptr 0
		.amdhsa_user_sgpr_kernarg_segment_ptr 1
		.amdhsa_user_sgpr_dispatch_id 0
		.amdhsa_user_sgpr_flat_scratch_init 0
		.amdhsa_user_sgpr_kernarg_preload_length 0
		.amdhsa_user_sgpr_kernarg_preload_offset 0
		.amdhsa_user_sgpr_private_segment_size 0
		.amdhsa_uses_dynamic_stack 0
		.amdhsa_system_sgpr_private_segment_wavefront_offset 0
		.amdhsa_system_sgpr_workgroup_id_x 1
		.amdhsa_system_sgpr_workgroup_id_y 0
		.amdhsa_system_sgpr_workgroup_id_z 0
		.amdhsa_system_sgpr_workgroup_info 0
		.amdhsa_system_vgpr_workitem_id 0
		.amdhsa_next_free_vgpr 1
		.amdhsa_next_free_sgpr 0
		.amdhsa_accum_offset 4
		.amdhsa_reserve_vcc 0
		.amdhsa_reserve_flat_scratch 0
		.amdhsa_float_round_mode_32 0
		.amdhsa_float_round_mode_16_64 0
		.amdhsa_float_denorm_mode_32 3
		.amdhsa_float_denorm_mode_16_64 3
		.amdhsa_dx10_clamp 1
		.amdhsa_ieee_mode 1
		.amdhsa_fp16_overflow 0
		.amdhsa_tg_split 0
		.amdhsa_exception_fp_ieee_invalid_op 0
		.amdhsa_exception_fp_denorm_src 0
		.amdhsa_exception_fp_ieee_div_zero 0
		.amdhsa_exception_fp_ieee_overflow 0
		.amdhsa_exception_fp_ieee_underflow 0
		.amdhsa_exception_fp_ieee_inexact 0
		.amdhsa_exception_int_div_zero 0
	.end_amdhsa_kernel
	.section	.text._ZN7rocprim17ROCPRIM_400000_NS6detail17trampoline_kernelINS0_14default_configENS1_36segmented_radix_sort_config_selectorIhlEEZNS1_25segmented_radix_sort_implIS3_Lb1EPKhPhPKlPlN2at6native12_GLOBAL__N_18offset_tEEE10hipError_tPvRmT1_PNSt15iterator_traitsISK_E10value_typeET2_T3_PNSL_ISQ_E10value_typeET4_jRbjT5_SW_jjP12ihipStream_tbEUlT_E0_NS1_11comp_targetILNS1_3genE8ELNS1_11target_archE1030ELNS1_3gpuE2ELNS1_3repE0EEENS1_60segmented_radix_sort_warp_sort_medium_config_static_selectorELNS0_4arch9wavefront6targetE1EEEvSK_,"axG",@progbits,_ZN7rocprim17ROCPRIM_400000_NS6detail17trampoline_kernelINS0_14default_configENS1_36segmented_radix_sort_config_selectorIhlEEZNS1_25segmented_radix_sort_implIS3_Lb1EPKhPhPKlPlN2at6native12_GLOBAL__N_18offset_tEEE10hipError_tPvRmT1_PNSt15iterator_traitsISK_E10value_typeET2_T3_PNSL_ISQ_E10value_typeET4_jRbjT5_SW_jjP12ihipStream_tbEUlT_E0_NS1_11comp_targetILNS1_3genE8ELNS1_11target_archE1030ELNS1_3gpuE2ELNS1_3repE0EEENS1_60segmented_radix_sort_warp_sort_medium_config_static_selectorELNS0_4arch9wavefront6targetE1EEEvSK_,comdat
.Lfunc_end102:
	.size	_ZN7rocprim17ROCPRIM_400000_NS6detail17trampoline_kernelINS0_14default_configENS1_36segmented_radix_sort_config_selectorIhlEEZNS1_25segmented_radix_sort_implIS3_Lb1EPKhPhPKlPlN2at6native12_GLOBAL__N_18offset_tEEE10hipError_tPvRmT1_PNSt15iterator_traitsISK_E10value_typeET2_T3_PNSL_ISQ_E10value_typeET4_jRbjT5_SW_jjP12ihipStream_tbEUlT_E0_NS1_11comp_targetILNS1_3genE8ELNS1_11target_archE1030ELNS1_3gpuE2ELNS1_3repE0EEENS1_60segmented_radix_sort_warp_sort_medium_config_static_selectorELNS0_4arch9wavefront6targetE1EEEvSK_, .Lfunc_end102-_ZN7rocprim17ROCPRIM_400000_NS6detail17trampoline_kernelINS0_14default_configENS1_36segmented_radix_sort_config_selectorIhlEEZNS1_25segmented_radix_sort_implIS3_Lb1EPKhPhPKlPlN2at6native12_GLOBAL__N_18offset_tEEE10hipError_tPvRmT1_PNSt15iterator_traitsISK_E10value_typeET2_T3_PNSL_ISQ_E10value_typeET4_jRbjT5_SW_jjP12ihipStream_tbEUlT_E0_NS1_11comp_targetILNS1_3genE8ELNS1_11target_archE1030ELNS1_3gpuE2ELNS1_3repE0EEENS1_60segmented_radix_sort_warp_sort_medium_config_static_selectorELNS0_4arch9wavefront6targetE1EEEvSK_
                                        ; -- End function
	.section	.AMDGPU.csdata,"",@progbits
; Kernel info:
; codeLenInByte = 0
; NumSgprs: 4
; NumVgprs: 0
; NumAgprs: 0
; TotalNumVgprs: 0
; ScratchSize: 0
; MemoryBound: 0
; FloatMode: 240
; IeeeMode: 1
; LDSByteSize: 0 bytes/workgroup (compile time only)
; SGPRBlocks: 0
; VGPRBlocks: 0
; NumSGPRsForWavesPerEU: 4
; NumVGPRsForWavesPerEU: 1
; AccumOffset: 4
; Occupancy: 8
; WaveLimiterHint : 0
; COMPUTE_PGM_RSRC2:SCRATCH_EN: 0
; COMPUTE_PGM_RSRC2:USER_SGPR: 6
; COMPUTE_PGM_RSRC2:TRAP_HANDLER: 0
; COMPUTE_PGM_RSRC2:TGID_X_EN: 1
; COMPUTE_PGM_RSRC2:TGID_Y_EN: 0
; COMPUTE_PGM_RSRC2:TGID_Z_EN: 0
; COMPUTE_PGM_RSRC2:TIDIG_COMP_CNT: 0
; COMPUTE_PGM_RSRC3_GFX90A:ACCUM_OFFSET: 0
; COMPUTE_PGM_RSRC3_GFX90A:TG_SPLIT: 0
	.section	.text._ZN7rocprim17ROCPRIM_400000_NS6detail17trampoline_kernelINS0_14default_configENS1_36segmented_radix_sort_config_selectorIhlEEZNS1_25segmented_radix_sort_implIS3_Lb1EPKhPhPKlPlN2at6native12_GLOBAL__N_18offset_tEEE10hipError_tPvRmT1_PNSt15iterator_traitsISK_E10value_typeET2_T3_PNSL_ISQ_E10value_typeET4_jRbjT5_SW_jjP12ihipStream_tbEUlT_E1_NS1_11comp_targetILNS1_3genE0ELNS1_11target_archE4294967295ELNS1_3gpuE0ELNS1_3repE0EEENS1_59segmented_radix_sort_warp_sort_small_config_static_selectorELNS0_4arch9wavefront6targetE1EEEvSK_,"axG",@progbits,_ZN7rocprim17ROCPRIM_400000_NS6detail17trampoline_kernelINS0_14default_configENS1_36segmented_radix_sort_config_selectorIhlEEZNS1_25segmented_radix_sort_implIS3_Lb1EPKhPhPKlPlN2at6native12_GLOBAL__N_18offset_tEEE10hipError_tPvRmT1_PNSt15iterator_traitsISK_E10value_typeET2_T3_PNSL_ISQ_E10value_typeET4_jRbjT5_SW_jjP12ihipStream_tbEUlT_E1_NS1_11comp_targetILNS1_3genE0ELNS1_11target_archE4294967295ELNS1_3gpuE0ELNS1_3repE0EEENS1_59segmented_radix_sort_warp_sort_small_config_static_selectorELNS0_4arch9wavefront6targetE1EEEvSK_,comdat
	.globl	_ZN7rocprim17ROCPRIM_400000_NS6detail17trampoline_kernelINS0_14default_configENS1_36segmented_radix_sort_config_selectorIhlEEZNS1_25segmented_radix_sort_implIS3_Lb1EPKhPhPKlPlN2at6native12_GLOBAL__N_18offset_tEEE10hipError_tPvRmT1_PNSt15iterator_traitsISK_E10value_typeET2_T3_PNSL_ISQ_E10value_typeET4_jRbjT5_SW_jjP12ihipStream_tbEUlT_E1_NS1_11comp_targetILNS1_3genE0ELNS1_11target_archE4294967295ELNS1_3gpuE0ELNS1_3repE0EEENS1_59segmented_radix_sort_warp_sort_small_config_static_selectorELNS0_4arch9wavefront6targetE1EEEvSK_ ; -- Begin function _ZN7rocprim17ROCPRIM_400000_NS6detail17trampoline_kernelINS0_14default_configENS1_36segmented_radix_sort_config_selectorIhlEEZNS1_25segmented_radix_sort_implIS3_Lb1EPKhPhPKlPlN2at6native12_GLOBAL__N_18offset_tEEE10hipError_tPvRmT1_PNSt15iterator_traitsISK_E10value_typeET2_T3_PNSL_ISQ_E10value_typeET4_jRbjT5_SW_jjP12ihipStream_tbEUlT_E1_NS1_11comp_targetILNS1_3genE0ELNS1_11target_archE4294967295ELNS1_3gpuE0ELNS1_3repE0EEENS1_59segmented_radix_sort_warp_sort_small_config_static_selectorELNS0_4arch9wavefront6targetE1EEEvSK_
	.p2align	8
	.type	_ZN7rocprim17ROCPRIM_400000_NS6detail17trampoline_kernelINS0_14default_configENS1_36segmented_radix_sort_config_selectorIhlEEZNS1_25segmented_radix_sort_implIS3_Lb1EPKhPhPKlPlN2at6native12_GLOBAL__N_18offset_tEEE10hipError_tPvRmT1_PNSt15iterator_traitsISK_E10value_typeET2_T3_PNSL_ISQ_E10value_typeET4_jRbjT5_SW_jjP12ihipStream_tbEUlT_E1_NS1_11comp_targetILNS1_3genE0ELNS1_11target_archE4294967295ELNS1_3gpuE0ELNS1_3repE0EEENS1_59segmented_radix_sort_warp_sort_small_config_static_selectorELNS0_4arch9wavefront6targetE1EEEvSK_,@function
_ZN7rocprim17ROCPRIM_400000_NS6detail17trampoline_kernelINS0_14default_configENS1_36segmented_radix_sort_config_selectorIhlEEZNS1_25segmented_radix_sort_implIS3_Lb1EPKhPhPKlPlN2at6native12_GLOBAL__N_18offset_tEEE10hipError_tPvRmT1_PNSt15iterator_traitsISK_E10value_typeET2_T3_PNSL_ISQ_E10value_typeET4_jRbjT5_SW_jjP12ihipStream_tbEUlT_E1_NS1_11comp_targetILNS1_3genE0ELNS1_11target_archE4294967295ELNS1_3gpuE0ELNS1_3repE0EEENS1_59segmented_radix_sort_warp_sort_small_config_static_selectorELNS0_4arch9wavefront6targetE1EEEvSK_: ; @_ZN7rocprim17ROCPRIM_400000_NS6detail17trampoline_kernelINS0_14default_configENS1_36segmented_radix_sort_config_selectorIhlEEZNS1_25segmented_radix_sort_implIS3_Lb1EPKhPhPKlPlN2at6native12_GLOBAL__N_18offset_tEEE10hipError_tPvRmT1_PNSt15iterator_traitsISK_E10value_typeET2_T3_PNSL_ISQ_E10value_typeET4_jRbjT5_SW_jjP12ihipStream_tbEUlT_E1_NS1_11comp_targetILNS1_3genE0ELNS1_11target_archE4294967295ELNS1_3gpuE0ELNS1_3repE0EEENS1_59segmented_radix_sort_warp_sort_small_config_static_selectorELNS0_4arch9wavefront6targetE1EEEvSK_
; %bb.0:
	.section	.rodata,"a",@progbits
	.p2align	6, 0x0
	.amdhsa_kernel _ZN7rocprim17ROCPRIM_400000_NS6detail17trampoline_kernelINS0_14default_configENS1_36segmented_radix_sort_config_selectorIhlEEZNS1_25segmented_radix_sort_implIS3_Lb1EPKhPhPKlPlN2at6native12_GLOBAL__N_18offset_tEEE10hipError_tPvRmT1_PNSt15iterator_traitsISK_E10value_typeET2_T3_PNSL_ISQ_E10value_typeET4_jRbjT5_SW_jjP12ihipStream_tbEUlT_E1_NS1_11comp_targetILNS1_3genE0ELNS1_11target_archE4294967295ELNS1_3gpuE0ELNS1_3repE0EEENS1_59segmented_radix_sort_warp_sort_small_config_static_selectorELNS0_4arch9wavefront6targetE1EEEvSK_
		.amdhsa_group_segment_fixed_size 0
		.amdhsa_private_segment_fixed_size 0
		.amdhsa_kernarg_size 88
		.amdhsa_user_sgpr_count 6
		.amdhsa_user_sgpr_private_segment_buffer 1
		.amdhsa_user_sgpr_dispatch_ptr 0
		.amdhsa_user_sgpr_queue_ptr 0
		.amdhsa_user_sgpr_kernarg_segment_ptr 1
		.amdhsa_user_sgpr_dispatch_id 0
		.amdhsa_user_sgpr_flat_scratch_init 0
		.amdhsa_user_sgpr_kernarg_preload_length 0
		.amdhsa_user_sgpr_kernarg_preload_offset 0
		.amdhsa_user_sgpr_private_segment_size 0
		.amdhsa_uses_dynamic_stack 0
		.amdhsa_system_sgpr_private_segment_wavefront_offset 0
		.amdhsa_system_sgpr_workgroup_id_x 1
		.amdhsa_system_sgpr_workgroup_id_y 0
		.amdhsa_system_sgpr_workgroup_id_z 0
		.amdhsa_system_sgpr_workgroup_info 0
		.amdhsa_system_vgpr_workitem_id 0
		.amdhsa_next_free_vgpr 1
		.amdhsa_next_free_sgpr 0
		.amdhsa_accum_offset 4
		.amdhsa_reserve_vcc 0
		.amdhsa_reserve_flat_scratch 0
		.amdhsa_float_round_mode_32 0
		.amdhsa_float_round_mode_16_64 0
		.amdhsa_float_denorm_mode_32 3
		.amdhsa_float_denorm_mode_16_64 3
		.amdhsa_dx10_clamp 1
		.amdhsa_ieee_mode 1
		.amdhsa_fp16_overflow 0
		.amdhsa_tg_split 0
		.amdhsa_exception_fp_ieee_invalid_op 0
		.amdhsa_exception_fp_denorm_src 0
		.amdhsa_exception_fp_ieee_div_zero 0
		.amdhsa_exception_fp_ieee_overflow 0
		.amdhsa_exception_fp_ieee_underflow 0
		.amdhsa_exception_fp_ieee_inexact 0
		.amdhsa_exception_int_div_zero 0
	.end_amdhsa_kernel
	.section	.text._ZN7rocprim17ROCPRIM_400000_NS6detail17trampoline_kernelINS0_14default_configENS1_36segmented_radix_sort_config_selectorIhlEEZNS1_25segmented_radix_sort_implIS3_Lb1EPKhPhPKlPlN2at6native12_GLOBAL__N_18offset_tEEE10hipError_tPvRmT1_PNSt15iterator_traitsISK_E10value_typeET2_T3_PNSL_ISQ_E10value_typeET4_jRbjT5_SW_jjP12ihipStream_tbEUlT_E1_NS1_11comp_targetILNS1_3genE0ELNS1_11target_archE4294967295ELNS1_3gpuE0ELNS1_3repE0EEENS1_59segmented_radix_sort_warp_sort_small_config_static_selectorELNS0_4arch9wavefront6targetE1EEEvSK_,"axG",@progbits,_ZN7rocprim17ROCPRIM_400000_NS6detail17trampoline_kernelINS0_14default_configENS1_36segmented_radix_sort_config_selectorIhlEEZNS1_25segmented_radix_sort_implIS3_Lb1EPKhPhPKlPlN2at6native12_GLOBAL__N_18offset_tEEE10hipError_tPvRmT1_PNSt15iterator_traitsISK_E10value_typeET2_T3_PNSL_ISQ_E10value_typeET4_jRbjT5_SW_jjP12ihipStream_tbEUlT_E1_NS1_11comp_targetILNS1_3genE0ELNS1_11target_archE4294967295ELNS1_3gpuE0ELNS1_3repE0EEENS1_59segmented_radix_sort_warp_sort_small_config_static_selectorELNS0_4arch9wavefront6targetE1EEEvSK_,comdat
.Lfunc_end103:
	.size	_ZN7rocprim17ROCPRIM_400000_NS6detail17trampoline_kernelINS0_14default_configENS1_36segmented_radix_sort_config_selectorIhlEEZNS1_25segmented_radix_sort_implIS3_Lb1EPKhPhPKlPlN2at6native12_GLOBAL__N_18offset_tEEE10hipError_tPvRmT1_PNSt15iterator_traitsISK_E10value_typeET2_T3_PNSL_ISQ_E10value_typeET4_jRbjT5_SW_jjP12ihipStream_tbEUlT_E1_NS1_11comp_targetILNS1_3genE0ELNS1_11target_archE4294967295ELNS1_3gpuE0ELNS1_3repE0EEENS1_59segmented_radix_sort_warp_sort_small_config_static_selectorELNS0_4arch9wavefront6targetE1EEEvSK_, .Lfunc_end103-_ZN7rocprim17ROCPRIM_400000_NS6detail17trampoline_kernelINS0_14default_configENS1_36segmented_radix_sort_config_selectorIhlEEZNS1_25segmented_radix_sort_implIS3_Lb1EPKhPhPKlPlN2at6native12_GLOBAL__N_18offset_tEEE10hipError_tPvRmT1_PNSt15iterator_traitsISK_E10value_typeET2_T3_PNSL_ISQ_E10value_typeET4_jRbjT5_SW_jjP12ihipStream_tbEUlT_E1_NS1_11comp_targetILNS1_3genE0ELNS1_11target_archE4294967295ELNS1_3gpuE0ELNS1_3repE0EEENS1_59segmented_radix_sort_warp_sort_small_config_static_selectorELNS0_4arch9wavefront6targetE1EEEvSK_
                                        ; -- End function
	.section	.AMDGPU.csdata,"",@progbits
; Kernel info:
; codeLenInByte = 0
; NumSgprs: 4
; NumVgprs: 0
; NumAgprs: 0
; TotalNumVgprs: 0
; ScratchSize: 0
; MemoryBound: 0
; FloatMode: 240
; IeeeMode: 1
; LDSByteSize: 0 bytes/workgroup (compile time only)
; SGPRBlocks: 0
; VGPRBlocks: 0
; NumSGPRsForWavesPerEU: 4
; NumVGPRsForWavesPerEU: 1
; AccumOffset: 4
; Occupancy: 8
; WaveLimiterHint : 0
; COMPUTE_PGM_RSRC2:SCRATCH_EN: 0
; COMPUTE_PGM_RSRC2:USER_SGPR: 6
; COMPUTE_PGM_RSRC2:TRAP_HANDLER: 0
; COMPUTE_PGM_RSRC2:TGID_X_EN: 1
; COMPUTE_PGM_RSRC2:TGID_Y_EN: 0
; COMPUTE_PGM_RSRC2:TGID_Z_EN: 0
; COMPUTE_PGM_RSRC2:TIDIG_COMP_CNT: 0
; COMPUTE_PGM_RSRC3_GFX90A:ACCUM_OFFSET: 0
; COMPUTE_PGM_RSRC3_GFX90A:TG_SPLIT: 0
	.section	.text._ZN7rocprim17ROCPRIM_400000_NS6detail17trampoline_kernelINS0_14default_configENS1_36segmented_radix_sort_config_selectorIhlEEZNS1_25segmented_radix_sort_implIS3_Lb1EPKhPhPKlPlN2at6native12_GLOBAL__N_18offset_tEEE10hipError_tPvRmT1_PNSt15iterator_traitsISK_E10value_typeET2_T3_PNSL_ISQ_E10value_typeET4_jRbjT5_SW_jjP12ihipStream_tbEUlT_E1_NS1_11comp_targetILNS1_3genE5ELNS1_11target_archE942ELNS1_3gpuE9ELNS1_3repE0EEENS1_59segmented_radix_sort_warp_sort_small_config_static_selectorELNS0_4arch9wavefront6targetE1EEEvSK_,"axG",@progbits,_ZN7rocprim17ROCPRIM_400000_NS6detail17trampoline_kernelINS0_14default_configENS1_36segmented_radix_sort_config_selectorIhlEEZNS1_25segmented_radix_sort_implIS3_Lb1EPKhPhPKlPlN2at6native12_GLOBAL__N_18offset_tEEE10hipError_tPvRmT1_PNSt15iterator_traitsISK_E10value_typeET2_T3_PNSL_ISQ_E10value_typeET4_jRbjT5_SW_jjP12ihipStream_tbEUlT_E1_NS1_11comp_targetILNS1_3genE5ELNS1_11target_archE942ELNS1_3gpuE9ELNS1_3repE0EEENS1_59segmented_radix_sort_warp_sort_small_config_static_selectorELNS0_4arch9wavefront6targetE1EEEvSK_,comdat
	.globl	_ZN7rocprim17ROCPRIM_400000_NS6detail17trampoline_kernelINS0_14default_configENS1_36segmented_radix_sort_config_selectorIhlEEZNS1_25segmented_radix_sort_implIS3_Lb1EPKhPhPKlPlN2at6native12_GLOBAL__N_18offset_tEEE10hipError_tPvRmT1_PNSt15iterator_traitsISK_E10value_typeET2_T3_PNSL_ISQ_E10value_typeET4_jRbjT5_SW_jjP12ihipStream_tbEUlT_E1_NS1_11comp_targetILNS1_3genE5ELNS1_11target_archE942ELNS1_3gpuE9ELNS1_3repE0EEENS1_59segmented_radix_sort_warp_sort_small_config_static_selectorELNS0_4arch9wavefront6targetE1EEEvSK_ ; -- Begin function _ZN7rocprim17ROCPRIM_400000_NS6detail17trampoline_kernelINS0_14default_configENS1_36segmented_radix_sort_config_selectorIhlEEZNS1_25segmented_radix_sort_implIS3_Lb1EPKhPhPKlPlN2at6native12_GLOBAL__N_18offset_tEEE10hipError_tPvRmT1_PNSt15iterator_traitsISK_E10value_typeET2_T3_PNSL_ISQ_E10value_typeET4_jRbjT5_SW_jjP12ihipStream_tbEUlT_E1_NS1_11comp_targetILNS1_3genE5ELNS1_11target_archE942ELNS1_3gpuE9ELNS1_3repE0EEENS1_59segmented_radix_sort_warp_sort_small_config_static_selectorELNS0_4arch9wavefront6targetE1EEEvSK_
	.p2align	8
	.type	_ZN7rocprim17ROCPRIM_400000_NS6detail17trampoline_kernelINS0_14default_configENS1_36segmented_radix_sort_config_selectorIhlEEZNS1_25segmented_radix_sort_implIS3_Lb1EPKhPhPKlPlN2at6native12_GLOBAL__N_18offset_tEEE10hipError_tPvRmT1_PNSt15iterator_traitsISK_E10value_typeET2_T3_PNSL_ISQ_E10value_typeET4_jRbjT5_SW_jjP12ihipStream_tbEUlT_E1_NS1_11comp_targetILNS1_3genE5ELNS1_11target_archE942ELNS1_3gpuE9ELNS1_3repE0EEENS1_59segmented_radix_sort_warp_sort_small_config_static_selectorELNS0_4arch9wavefront6targetE1EEEvSK_,@function
_ZN7rocprim17ROCPRIM_400000_NS6detail17trampoline_kernelINS0_14default_configENS1_36segmented_radix_sort_config_selectorIhlEEZNS1_25segmented_radix_sort_implIS3_Lb1EPKhPhPKlPlN2at6native12_GLOBAL__N_18offset_tEEE10hipError_tPvRmT1_PNSt15iterator_traitsISK_E10value_typeET2_T3_PNSL_ISQ_E10value_typeET4_jRbjT5_SW_jjP12ihipStream_tbEUlT_E1_NS1_11comp_targetILNS1_3genE5ELNS1_11target_archE942ELNS1_3gpuE9ELNS1_3repE0EEENS1_59segmented_radix_sort_warp_sort_small_config_static_selectorELNS0_4arch9wavefront6targetE1EEEvSK_: ; @_ZN7rocprim17ROCPRIM_400000_NS6detail17trampoline_kernelINS0_14default_configENS1_36segmented_radix_sort_config_selectorIhlEEZNS1_25segmented_radix_sort_implIS3_Lb1EPKhPhPKlPlN2at6native12_GLOBAL__N_18offset_tEEE10hipError_tPvRmT1_PNSt15iterator_traitsISK_E10value_typeET2_T3_PNSL_ISQ_E10value_typeET4_jRbjT5_SW_jjP12ihipStream_tbEUlT_E1_NS1_11comp_targetILNS1_3genE5ELNS1_11target_archE942ELNS1_3gpuE9ELNS1_3repE0EEENS1_59segmented_radix_sort_warp_sort_small_config_static_selectorELNS0_4arch9wavefront6targetE1EEEvSK_
; %bb.0:
	.section	.rodata,"a",@progbits
	.p2align	6, 0x0
	.amdhsa_kernel _ZN7rocprim17ROCPRIM_400000_NS6detail17trampoline_kernelINS0_14default_configENS1_36segmented_radix_sort_config_selectorIhlEEZNS1_25segmented_radix_sort_implIS3_Lb1EPKhPhPKlPlN2at6native12_GLOBAL__N_18offset_tEEE10hipError_tPvRmT1_PNSt15iterator_traitsISK_E10value_typeET2_T3_PNSL_ISQ_E10value_typeET4_jRbjT5_SW_jjP12ihipStream_tbEUlT_E1_NS1_11comp_targetILNS1_3genE5ELNS1_11target_archE942ELNS1_3gpuE9ELNS1_3repE0EEENS1_59segmented_radix_sort_warp_sort_small_config_static_selectorELNS0_4arch9wavefront6targetE1EEEvSK_
		.amdhsa_group_segment_fixed_size 0
		.amdhsa_private_segment_fixed_size 0
		.amdhsa_kernarg_size 88
		.amdhsa_user_sgpr_count 6
		.amdhsa_user_sgpr_private_segment_buffer 1
		.amdhsa_user_sgpr_dispatch_ptr 0
		.amdhsa_user_sgpr_queue_ptr 0
		.amdhsa_user_sgpr_kernarg_segment_ptr 1
		.amdhsa_user_sgpr_dispatch_id 0
		.amdhsa_user_sgpr_flat_scratch_init 0
		.amdhsa_user_sgpr_kernarg_preload_length 0
		.amdhsa_user_sgpr_kernarg_preload_offset 0
		.amdhsa_user_sgpr_private_segment_size 0
		.amdhsa_uses_dynamic_stack 0
		.amdhsa_system_sgpr_private_segment_wavefront_offset 0
		.amdhsa_system_sgpr_workgroup_id_x 1
		.amdhsa_system_sgpr_workgroup_id_y 0
		.amdhsa_system_sgpr_workgroup_id_z 0
		.amdhsa_system_sgpr_workgroup_info 0
		.amdhsa_system_vgpr_workitem_id 0
		.amdhsa_next_free_vgpr 1
		.amdhsa_next_free_sgpr 0
		.amdhsa_accum_offset 4
		.amdhsa_reserve_vcc 0
		.amdhsa_reserve_flat_scratch 0
		.amdhsa_float_round_mode_32 0
		.amdhsa_float_round_mode_16_64 0
		.amdhsa_float_denorm_mode_32 3
		.amdhsa_float_denorm_mode_16_64 3
		.amdhsa_dx10_clamp 1
		.amdhsa_ieee_mode 1
		.amdhsa_fp16_overflow 0
		.amdhsa_tg_split 0
		.amdhsa_exception_fp_ieee_invalid_op 0
		.amdhsa_exception_fp_denorm_src 0
		.amdhsa_exception_fp_ieee_div_zero 0
		.amdhsa_exception_fp_ieee_overflow 0
		.amdhsa_exception_fp_ieee_underflow 0
		.amdhsa_exception_fp_ieee_inexact 0
		.amdhsa_exception_int_div_zero 0
	.end_amdhsa_kernel
	.section	.text._ZN7rocprim17ROCPRIM_400000_NS6detail17trampoline_kernelINS0_14default_configENS1_36segmented_radix_sort_config_selectorIhlEEZNS1_25segmented_radix_sort_implIS3_Lb1EPKhPhPKlPlN2at6native12_GLOBAL__N_18offset_tEEE10hipError_tPvRmT1_PNSt15iterator_traitsISK_E10value_typeET2_T3_PNSL_ISQ_E10value_typeET4_jRbjT5_SW_jjP12ihipStream_tbEUlT_E1_NS1_11comp_targetILNS1_3genE5ELNS1_11target_archE942ELNS1_3gpuE9ELNS1_3repE0EEENS1_59segmented_radix_sort_warp_sort_small_config_static_selectorELNS0_4arch9wavefront6targetE1EEEvSK_,"axG",@progbits,_ZN7rocprim17ROCPRIM_400000_NS6detail17trampoline_kernelINS0_14default_configENS1_36segmented_radix_sort_config_selectorIhlEEZNS1_25segmented_radix_sort_implIS3_Lb1EPKhPhPKlPlN2at6native12_GLOBAL__N_18offset_tEEE10hipError_tPvRmT1_PNSt15iterator_traitsISK_E10value_typeET2_T3_PNSL_ISQ_E10value_typeET4_jRbjT5_SW_jjP12ihipStream_tbEUlT_E1_NS1_11comp_targetILNS1_3genE5ELNS1_11target_archE942ELNS1_3gpuE9ELNS1_3repE0EEENS1_59segmented_radix_sort_warp_sort_small_config_static_selectorELNS0_4arch9wavefront6targetE1EEEvSK_,comdat
.Lfunc_end104:
	.size	_ZN7rocprim17ROCPRIM_400000_NS6detail17trampoline_kernelINS0_14default_configENS1_36segmented_radix_sort_config_selectorIhlEEZNS1_25segmented_radix_sort_implIS3_Lb1EPKhPhPKlPlN2at6native12_GLOBAL__N_18offset_tEEE10hipError_tPvRmT1_PNSt15iterator_traitsISK_E10value_typeET2_T3_PNSL_ISQ_E10value_typeET4_jRbjT5_SW_jjP12ihipStream_tbEUlT_E1_NS1_11comp_targetILNS1_3genE5ELNS1_11target_archE942ELNS1_3gpuE9ELNS1_3repE0EEENS1_59segmented_radix_sort_warp_sort_small_config_static_selectorELNS0_4arch9wavefront6targetE1EEEvSK_, .Lfunc_end104-_ZN7rocprim17ROCPRIM_400000_NS6detail17trampoline_kernelINS0_14default_configENS1_36segmented_radix_sort_config_selectorIhlEEZNS1_25segmented_radix_sort_implIS3_Lb1EPKhPhPKlPlN2at6native12_GLOBAL__N_18offset_tEEE10hipError_tPvRmT1_PNSt15iterator_traitsISK_E10value_typeET2_T3_PNSL_ISQ_E10value_typeET4_jRbjT5_SW_jjP12ihipStream_tbEUlT_E1_NS1_11comp_targetILNS1_3genE5ELNS1_11target_archE942ELNS1_3gpuE9ELNS1_3repE0EEENS1_59segmented_radix_sort_warp_sort_small_config_static_selectorELNS0_4arch9wavefront6targetE1EEEvSK_
                                        ; -- End function
	.section	.AMDGPU.csdata,"",@progbits
; Kernel info:
; codeLenInByte = 0
; NumSgprs: 4
; NumVgprs: 0
; NumAgprs: 0
; TotalNumVgprs: 0
; ScratchSize: 0
; MemoryBound: 0
; FloatMode: 240
; IeeeMode: 1
; LDSByteSize: 0 bytes/workgroup (compile time only)
; SGPRBlocks: 0
; VGPRBlocks: 0
; NumSGPRsForWavesPerEU: 4
; NumVGPRsForWavesPerEU: 1
; AccumOffset: 4
; Occupancy: 8
; WaveLimiterHint : 0
; COMPUTE_PGM_RSRC2:SCRATCH_EN: 0
; COMPUTE_PGM_RSRC2:USER_SGPR: 6
; COMPUTE_PGM_RSRC2:TRAP_HANDLER: 0
; COMPUTE_PGM_RSRC2:TGID_X_EN: 1
; COMPUTE_PGM_RSRC2:TGID_Y_EN: 0
; COMPUTE_PGM_RSRC2:TGID_Z_EN: 0
; COMPUTE_PGM_RSRC2:TIDIG_COMP_CNT: 0
; COMPUTE_PGM_RSRC3_GFX90A:ACCUM_OFFSET: 0
; COMPUTE_PGM_RSRC3_GFX90A:TG_SPLIT: 0
	.text
	.p2align	2                               ; -- Begin function _ZN7rocprim17ROCPRIM_400000_NS6detail26segmented_warp_sort_helperINS1_20WarpSortHelperConfigILj8ELj4ELj256EEEhlLi256ELb1EvE4sortIPKhPhPKlPlEEvT_T0_T1_T2_jjjjRNS5_12storage_typeE
	.type	_ZN7rocprim17ROCPRIM_400000_NS6detail26segmented_warp_sort_helperINS1_20WarpSortHelperConfigILj8ELj4ELj256EEEhlLi256ELb1EvE4sortIPKhPhPKlPlEEvT_T0_T1_T2_jjjjRNS5_12storage_typeE,@function
_ZN7rocprim17ROCPRIM_400000_NS6detail26segmented_warp_sort_helperINS1_20WarpSortHelperConfigILj8ELj4ELj256EEEhlLi256ELb1EvE4sortIPKhPhPKlPlEEvT_T0_T1_T2_jjjjRNS5_12storage_typeE: ; @_ZN7rocprim17ROCPRIM_400000_NS6detail26segmented_warp_sort_helperINS1_20WarpSortHelperConfigILj8ELj4ELj256EEEhlLi256ELb1EvE4sortIPKhPhPKlPlEEvT_T0_T1_T2_jjjjRNS5_12storage_typeE
; %bb.0:
	s_waitcnt vmcnt(0) expcnt(0) lgkmcnt(0)
	v_add_co_u32_e32 v14, vcc, v0, v8
	v_mbcnt_lo_u32_b32 v0, -1, 0
	v_mbcnt_hi_u32_b32 v0, -1, v0
	v_addc_co_u32_e32 v15, vcc, 0, v1, vcc
	v_lshlrev_b32_e32 v1, 2, v0
	v_and_b32_e32 v0, 28, v1
	v_sub_u32_e32 v16, v9, v8
	v_mov_b32_e32 v9, 0
	v_add_co_u32_e32 v14, vcc, v14, v0
	v_addc_co_u32_e32 v15, vcc, 0, v15, vcc
	v_cmp_lt_u32_e64 s[4:5], v0, v16
	v_mov_b32_e32 v28, v9
	s_and_saveexec_b64 s[6:7], s[4:5]
	s_cbranch_execz .LBB105_2
; %bb.1:
	flat_load_ubyte v28, v[14:15]
.LBB105_2:
	s_or_b64 exec, exec, s[6:7]
	v_or_b32_e32 v17, 1, v0
	v_cmp_lt_u32_e64 s[6:7], v17, v16
	s_and_saveexec_b64 s[10:11], s[6:7]
	s_cbranch_execz .LBB105_4
; %bb.3:
	flat_load_ubyte v17, v[14:15] offset:1
	s_waitcnt vmcnt(0) lgkmcnt(0)
	v_lshlrev_b16_e32 v17, 8, v17
	v_or_b32_e32 v17, v28, v17
	v_and_b32_e32 v28, 0xffff, v17
.LBB105_4:
	s_or_b64 exec, exec, s[10:11]
	v_or_b32_e32 v17, 2, v0
	v_cmp_lt_u32_e64 s[16:17], v17, v16
	s_and_saveexec_b64 s[10:11], s[16:17]
	s_cbranch_execz .LBB105_6
; %bb.5:
	flat_load_ubyte v17, v[14:15] offset:2
	s_waitcnt vmcnt(0) lgkmcnt(0)
	v_lshl_or_b32 v28, v17, 16, v28
.LBB105_6:
	s_or_b64 exec, exec, s[10:11]
	v_or_b32_e32 v17, 3, v0
	v_cmp_lt_u32_e64 s[10:11], v17, v16
	s_and_saveexec_b64 s[14:15], s[10:11]
	s_cbranch_execz .LBB105_8
; %bb.7:
	flat_load_ubyte v14, v[14:15] offset:3
	s_mov_b32 s18, 0xffff
	s_waitcnt vmcnt(0) lgkmcnt(0)
	v_lshlrev_b16_e32 v14, 8, v14
	v_or_b32_sdwa v14, v28, v14 dst_sel:WORD_1 dst_unused:UNUSED_PAD src0_sel:WORD_1 src1_sel:DWORD
	v_and_or_b32 v28, v28, s18, v14
.LBB105_8:
	s_or_b64 exec, exec, s[14:15]
	v_lshlrev_b64 v[22:23], 3, v[8:9]
	v_add_co_u32_e32 v4, vcc, v4, v22
	v_addc_co_u32_e32 v5, vcc, v5, v23, vcc
	v_lshlrev_b32_e32 v9, 3, v0
	v_add_co_u32_e32 v4, vcc, v4, v9
	v_addc_co_u32_e32 v5, vcc, 0, v5, vcc
	; wave barrier
                                        ; implicit-def: $vgpr14_vgpr15
	s_and_saveexec_b64 s[14:15], s[4:5]
	s_cbranch_execnz .LBB105_107
; %bb.9:
	s_or_b64 exec, exec, s[14:15]
	s_and_saveexec_b64 s[14:15], s[6:7]
	s_cbranch_execnz .LBB105_108
.LBB105_10:
	s_or_b64 exec, exec, s[14:15]
                                        ; implicit-def: $vgpr18_vgpr19
	s_and_saveexec_b64 s[14:15], s[16:17]
	s_cbranch_execnz .LBB105_109
.LBB105_11:
	s_or_b64 exec, exec, s[14:15]
	s_and_saveexec_b64 s[14:15], s[10:11]
	s_cbranch_execz .LBB105_13
.LBB105_12:
	flat_load_dwordx2 v[20:21], v[4:5] offset:24
.LBB105_13:
	s_or_b64 exec, exec, s[14:15]
	v_cmp_ne_u32_e32 vcc, 0, v10
	v_cmp_ne_u32_e64 s[14:15], 8, v11
	s_or_b64 s[14:15], vcc, s[14:15]
	v_bfe_u32 v4, v31, 10, 10
	v_bfe_u32 v5, v31, 20, 10
	; wave barrier
	s_and_saveexec_b64 s[18:19], s[14:15]
	s_xor_b64 s[24:25], exec, s[18:19]
	s_cbranch_execz .LBB105_55
; %bb.14:
	s_load_dwordx2 s[14:15], s[8:9], 0x0
	v_mov_b32_e32 v24, 0
	v_lshlrev_b32_e64 v11, v11, -1
	v_lshlrev_b32_e64 v10, v10, -1
	v_xor_b32_e32 v29, v11, v10
	s_waitcnt lgkmcnt(0)
	s_cmp_lt_u32 s12, s14
	s_cselect_b32 s18, 12, 18
	s_cmp_lt_u32 s13, s15
	s_cselect_b32 s14, 14, 20
	s_add_u32 s14, s8, s14
	s_addc_u32 s15, s9, 0
	s_add_u32 s18, s8, s18
	s_addc_u32 s19, s9, 0
	global_load_ushort v25, v24, s[14:15]
	global_load_ushort v26, v24, s[18:19]
	v_and_b32_e32 v24, 0x3ff, v31
	s_movk_i32 s14, 0x400
	s_waitcnt vmcnt(0)
	v_mad_u32_u24 v4, v5, v25, v4
	v_mul_lo_u32 v4, v4, v26
	v_add_lshl_u32 v26, v4, v24, 2
	v_cmp_gt_u32_e32 vcc, s14, v26
	s_and_saveexec_b64 s[18:19], vcc
	s_cbranch_execz .LBB105_24
; %bb.15:
	v_lshrrev_b32_e32 v5, 8, v28
	s_mov_b32 s14, 0x7060405
	v_and_b32_e32 v5, v5, v29
	v_and_b32_e32 v10, v28, v29
	v_perm_b32 v4, v28, v28, s14
	v_cmp_gt_u16_sdwa vcc, v5, v10 src0_sel:BYTE_0 src1_sel:BYTE_0
	v_cndmask_b32_e32 v24, v28, v4, vcc
	v_lshrrev_b32_e32 v25, 16, v24
	v_lshrrev_b32_e32 v11, 24, v24
	v_and_b32_e32 v27, v11, v29
	v_and_b32_e32 v10, v25, v29
	v_cmp_gt_u16_sdwa s[20:21], v27, v10 src0_sel:DWORD src1_sel:BYTE_0
	v_pk_mov_b32 v[4:5], v[18:19], v[18:19] op_sel:[0,1]
	s_and_saveexec_b64 s[14:15], s[20:21]
; %bb.16:
	s_mov_b32 s20, 0x6070504
	v_perm_b32 v24, v24, v24, s20
	v_pk_mov_b32 v[4:5], v[20:21], v[20:21] op_sel:[0,1]
	v_pk_mov_b32 v[20:21], v[18:19], v[18:19] op_sel:[0,1]
	v_mov_b32_e32 v10, v27
	v_mov_b32_e32 v25, v11
; %bb.17:
	s_or_b64 exec, exec, s[14:15]
	v_lshrrev_b32_e32 v28, 8, v24
	v_cndmask_b32_e32 v19, v17, v15, vcc
	v_cndmask_b32_e32 v18, v16, v14, vcc
	v_and_b32_e32 v27, v28, v29
	v_cmp_gt_u16_sdwa s[14:15], v10, v27 src0_sel:BYTE_0 src1_sel:BYTE_0
	v_pk_mov_b32 v[10:11], v[18:19], v[18:19] op_sel:[0,1]
	s_and_saveexec_b64 s[20:21], s[14:15]
	s_xor_b64 s[14:15], exec, s[20:21]
; %bb.18:
	s_mov_b32 s20, 0x7050004
	v_and_b32_e32 v27, v25, v29
	v_perm_b32 v24, v24, v25, s20
	v_pk_mov_b32 v[10:11], v[4:5], v[4:5] op_sel:[0,1]
	v_pk_mov_b32 v[4:5], v[18:19], v[18:19] op_sel:[0,1]
	v_mov_b32_e32 v28, v25
; %bb.19:
	s_or_b64 exec, exec, s[14:15]
	s_mov_b32 s14, 0x3020004
	v_and_b32_e32 v19, v24, v29
	v_perm_b32 v18, v28, v24, s14
	v_cmp_gt_u16_sdwa s[14:15], v27, v19 src0_sel:BYTE_0 src1_sel:BYTE_0
	v_cndmask_b32_e64 v28, v24, v18, s[14:15]
	v_lshrrev_b32_e32 v27, 16, v28
	v_lshrrev_b32_e32 v19, 24, v28
	v_and_b32_e32 v30, v19, v29
	v_and_b32_e32 v18, v27, v29
	v_cmp_gt_u16_sdwa s[22:23], v30, v18 src0_sel:DWORD src1_sel:BYTE_0
	v_pk_mov_b32 v[24:25], v[4:5], v[4:5] op_sel:[0,1]
	s_and_saveexec_b64 s[20:21], s[22:23]
; %bb.20:
	s_mov_b32 s22, 0x6070504
	v_perm_b32 v28, v28, v28, s22
	v_pk_mov_b32 v[24:25], v[20:21], v[20:21] op_sel:[0,1]
	v_pk_mov_b32 v[20:21], v[4:5], v[4:5] op_sel:[0,1]
	v_mov_b32_e32 v18, v30
	v_mov_b32_e32 v27, v19
; %bb.21:
	s_or_b64 exec, exec, s[20:21]
	v_cndmask_b32_e32 v4, v14, v16, vcc
	v_cndmask_b32_e64 v14, v4, v10, s[14:15]
	v_cndmask_b32_e64 v16, v10, v4, s[14:15]
	v_lshrrev_b32_e32 v4, 8, v28
	v_cndmask_b32_e32 v5, v15, v17, vcc
	v_and_b32_e32 v4, v4, v29
	v_cndmask_b32_e64 v15, v5, v11, s[14:15]
	v_cndmask_b32_e64 v17, v11, v5, s[14:15]
	v_cmp_gt_u16_sdwa s[20:21], v18, v4 src0_sel:BYTE_0 src1_sel:BYTE_0
	v_pk_mov_b32 v[18:19], v[24:25], v[24:25] op_sel:[0,1]
	s_and_saveexec_b64 s[14:15], s[20:21]
; %bb.22:
	s_mov_b32 s20, 0x7050004
	v_perm_b32 v28, v28, v27, s20
	v_pk_mov_b32 v[18:19], v[16:17], v[16:17] op_sel:[0,1]
	v_pk_mov_b32 v[16:17], v[24:25], v[24:25] op_sel:[0,1]
; %bb.23:
	s_or_b64 exec, exec, s[14:15]
.LBB105_24:
	s_or_b64 exec, exec, s[18:19]
	v_and_b32_e32 v4, 0xffffff00, v26
	v_add_co_u32_e32 v10, vcc, v12, v4
	s_movk_i32 s18, 0x400
	v_addc_co_u32_e32 v11, vcc, 0, v13, vcc
	v_sub_u32_e64 v30, s18, v4 clamp
	v_add_co_u32_e32 v12, vcc, v10, v1
	v_or_b32_e32 v31, 4, v1
	v_mad_u64_u32 v[4:5], s[14:15], v4, 7, v[10:11]
	v_addc_co_u32_e32 v13, vcc, 0, v11, vcc
	v_lshlrev_b32_e32 v24, 3, v1
	v_min_u32_e32 v31, v30, v31
	v_add_co_u32_e32 v26, vcc, v4, v24
	v_add_u32_e32 v32, 4, v31
	v_addc_co_u32_e32 v27, vcc, 0, v5, vcc
	v_and_b32_e32 v36, 0x1f8, v1
	v_min_u32_e32 v32, v30, v32
	v_and_b32_e32 v33, 4, v1
	v_add_co_u32_e32 v24, vcc, s18, v26
	v_min_u32_e32 v38, v30, v33
	v_sub_u32_e32 v33, v31, v36
	v_sub_u32_e32 v34, v32, v31
	v_addc_co_u32_e32 v25, vcc, 0, v27, vcc
	v_sub_u32_e64 v39, v38, v34 clamp
	v_min_u32_e32 v33, v38, v33
	v_cmp_lt_u32_e32 vcc, v39, v33
	flat_store_dwordx4 v[26:27], v[14:17] offset:1024
	flat_store_dword v[12:13], v28
	flat_store_dwordx4 v[26:27], v[18:21] offset:1040
	; wave barrier
	s_and_saveexec_b64 s[14:15], vcc
	s_cbranch_execz .LBB105_28
; %bb.25:
	v_add_co_u32_e32 v34, vcc, v10, v36
	v_addc_co_u32_e32 v35, vcc, 0, v11, vcc
	v_add_co_u32_e32 v37, vcc, v10, v31
	v_addc_co_u32_e32 v48, vcc, 0, v11, vcc
	s_mov_b64 s[18:19], 0
.LBB105_26:                             ; =>This Inner Loop Header: Depth=1
	v_add_u32_e32 v49, v33, v39
	v_lshrrev_b32_e32 v49, 1, v49
	v_add_co_u32_e32 v50, vcc, v34, v49
	v_xad_u32 v52, v49, -1, v38
	v_addc_co_u32_e32 v51, vcc, 0, v35, vcc
	v_add_co_u32_e32 v52, vcc, v37, v52
	v_addc_co_u32_e32 v53, vcc, 0, v48, vcc
	flat_load_ubyte v54, v[50:51]
	flat_load_ubyte v55, v[52:53]
	v_add_u32_e32 v50, 1, v49
	s_waitcnt vmcnt(0) lgkmcnt(0)
	v_and_b32_e32 v51, v54, v29
	v_and_b32_e32 v52, v55, v29
	v_cmp_gt_u16_sdwa vcc, v52, v51 src0_sel:BYTE_0 src1_sel:BYTE_0
	v_cndmask_b32_e32 v33, v33, v49, vcc
	v_cndmask_b32_e32 v39, v50, v39, vcc
	v_cmp_ge_u32_e32 vcc, v39, v33
	s_or_b64 s[18:19], vcc, s[18:19]
	s_andn2_b64 exec, exec, s[18:19]
	s_cbranch_execnz .LBB105_26
; %bb.27:
	s_or_b64 exec, exec, s[18:19]
.LBB105_28:
	s_or_b64 exec, exec, s[14:15]
	v_add_u32_e32 v37, v39, v36
	v_add_u32_e32 v36, v31, v38
	v_sub_u32_e32 v38, v36, v39
	v_cmp_le_u32_e32 vcc, v37, v31
	v_cmp_le_u32_e64 s[14:15], v38, v32
	v_lshrrev_b32_e32 v33, 16, v28
	v_lshrrev_b32_e32 v34, 8, v28
	;; [unrolled: 1-line block ×3, first 2 shown]
	s_or_b64 s[14:15], vcc, s[14:15]
	v_mov_b32_e32 v36, v28
	s_and_saveexec_b64 s[26:27], s[14:15]
	s_cbranch_execz .LBB105_34
; %bb.29:
	v_cmp_lt_u32_e32 vcc, v37, v31
                                        ; implicit-def: $vgpr28
	s_and_saveexec_b64 s[18:19], vcc
	s_cbranch_execz .LBB105_31
; %bb.30:
	v_add_co_u32_e64 v14, s[14:15], v10, v37
	v_addc_co_u32_e64 v15, s[14:15], 0, v11, s[14:15]
	flat_load_ubyte v28, v[14:15]
.LBB105_31:
	s_or_b64 exec, exec, s[18:19]
	v_cmp_ge_u32_e64 s[14:15], v38, v32
	v_cmp_lt_u32_e64 s[18:19], v38, v32
                                        ; implicit-def: $vgpr33
	s_and_saveexec_b64 s[20:21], s[18:19]
	s_cbranch_execz .LBB105_33
; %bb.32:
	v_add_co_u32_e64 v14, s[18:19], v10, v38
	v_addc_co_u32_e64 v15, s[18:19], 0, v11, s[18:19]
	flat_load_ubyte v33, v[14:15]
.LBB105_33:
	s_or_b64 exec, exec, s[20:21]
	s_waitcnt vmcnt(0) lgkmcnt(0)
	v_and_b32_e32 v14, v33, v29
	v_and_b32_e32 v15, v28, v29
	v_cmp_le_u16_sdwa s[18:19], v14, v15 src0_sel:BYTE_0 src1_sel:BYTE_0
	s_and_b64 s[18:19], vcc, s[18:19]
	s_or_b64 vcc, s[14:15], s[18:19]
	v_cndmask_b32_e32 v20, v38, v37, vcc
	v_cndmask_b32_e32 v14, v32, v31, vcc
	v_add_u32_e32 v16, 1, v20
	v_add_u32_e32 v14, -1, v14
	v_min_u32_e32 v14, v16, v14
	v_add_co_u32_e64 v14, s[14:15], v10, v14
	v_addc_co_u32_e64 v15, s[14:15], 0, v11, s[14:15]
	flat_load_ubyte v17, v[14:15]
	v_cndmask_b32_e32 v18, v16, v38, vcc
	v_cndmask_b32_e32 v19, v37, v16, vcc
	v_cmp_lt_u32_e64 s[18:19], v19, v31
	v_cmp_ge_u32_e64 s[14:15], v18, v32
	v_mov_b32_e32 v21, 0
	v_lshlrev_b64 v[14:15], 3, v[20:21]
	s_waitcnt vmcnt(0) lgkmcnt(0)
	v_cndmask_b32_e32 v34, v17, v33, vcc
	v_cndmask_b32_e32 v35, v28, v17, vcc
	v_and_b32_e32 v16, v34, v29
	v_and_b32_e32 v17, v35, v29
	v_cmp_le_u16_sdwa s[20:21], v16, v17 src0_sel:BYTE_0 src1_sel:BYTE_0
	s_and_b64 s[18:19], s[18:19], s[20:21]
	s_or_b64 s[14:15], s[14:15], s[18:19]
	v_cndmask_b32_e64 v20, v18, v19, s[14:15]
	v_cndmask_b32_e64 v16, v32, v31, s[14:15]
	v_add_u32_e32 v36, 1, v20
	v_add_u32_e32 v16, -1, v16
	v_min_u32_e32 v16, v36, v16
	v_add_co_u32_e64 v16, s[18:19], v10, v16
	v_addc_co_u32_e64 v17, s[18:19], 0, v11, s[18:19]
	flat_load_ubyte v37, v[16:17]
	v_cndmask_b32_e64 v38, v36, v18, s[14:15]
	v_cndmask_b32_e64 v36, v19, v36, s[14:15]
	v_cmp_lt_u32_e64 s[20:21], v36, v31
	v_cmp_ge_u32_e64 s[18:19], v38, v32
	v_lshlrev_b64 v[16:17], 3, v[20:21]
	s_waitcnt vmcnt(0) lgkmcnt(0)
	v_cndmask_b32_e64 v39, v37, v34, s[14:15]
	v_cndmask_b32_e64 v37, v35, v37, s[14:15]
	v_and_b32_e32 v18, v39, v29
	v_and_b32_e32 v19, v37, v29
	v_cmp_le_u16_sdwa s[22:23], v18, v19 src0_sel:BYTE_0 src1_sel:BYTE_0
	s_and_b64 s[20:21], s[20:21], s[22:23]
	s_or_b64 s[18:19], s[18:19], s[20:21]
	v_cndmask_b32_e64 v20, v38, v36, s[18:19]
	v_cndmask_b32_e64 v18, v32, v31, s[18:19]
	v_add_u32_e32 v48, 1, v20
	v_add_u32_e32 v18, -1, v18
	v_min_u32_e32 v18, v48, v18
	v_add_co_u32_e64 v18, s[20:21], v10, v18
	v_addc_co_u32_e64 v19, s[20:21], 0, v11, s[20:21]
	flat_load_ubyte v49, v[18:19]
	v_add_co_u32_e64 v14, s[20:21], v4, v14
	v_addc_co_u32_e64 v15, s[20:21], v5, v15, s[20:21]
	v_add_co_u32_e64 v16, s[20:21], v4, v16
	v_addc_co_u32_e64 v17, s[20:21], v5, v17, s[20:21]
	flat_load_dwordx2 v[16:17], v[16:17] offset:1024
	v_lshlrev_b64 v[18:19], 3, v[20:21]
	flat_load_dwordx2 v[14:15], v[14:15] offset:1024
	v_add_co_u32_e64 v18, s[20:21], v4, v18
	v_addc_co_u32_e64 v19, s[20:21], v5, v19, s[20:21]
	v_cndmask_b32_e64 v20, v48, v38, s[18:19]
	v_cndmask_b32_e64 v36, v36, v48, s[18:19]
	v_cmp_ge_u32_e64 s[20:21], v20, v32
	v_cmp_lt_u32_e64 s[22:23], v36, v31
	flat_load_dwordx2 v[18:19], v[18:19] offset:1024
	v_cndmask_b32_e64 v34, v34, v35, s[14:15]
	s_waitcnt vmcnt(0) lgkmcnt(0)
	v_cndmask_b32_e64 v31, v49, v39, s[18:19]
	v_cndmask_b32_e64 v32, v37, v49, s[18:19]
	v_and_b32_e32 v38, v31, v29
	v_and_b32_e32 v48, v32, v29
	v_cmp_le_u16_sdwa s[28:29], v38, v48 src0_sel:BYTE_0 src1_sel:BYTE_0
	s_and_b64 s[22:23], s[22:23], s[28:29]
	s_or_b64 s[20:21], s[20:21], s[22:23]
	v_cndmask_b32_e64 v20, v20, v36, s[20:21]
	v_lshlrev_b64 v[20:21], 3, v[20:21]
	v_add_co_u32_e64 v20, s[22:23], v4, v20
	v_addc_co_u32_e64 v21, s[22:23], v5, v21, s[22:23]
	flat_load_dwordx2 v[20:21], v[20:21] offset:1024
	v_cndmask_b32_e64 v35, v31, v32, s[20:21]
	v_cndmask_b32_e32 v36, v33, v28, vcc
	v_cndmask_b32_e64 v33, v39, v37, s[18:19]
	v_lshlrev_b16_e32 v28, 8, v35
	v_lshlrev_b16_e32 v31, 8, v34
	v_or_b32_sdwa v28, v33, v28 dst_sel:WORD_1 dst_unused:UNUSED_PAD src0_sel:BYTE_0 src1_sel:DWORD
	v_or_b32_sdwa v31, v36, v31 dst_sel:DWORD dst_unused:UNUSED_PAD src0_sel:BYTE_0 src1_sel:DWORD
	v_or_b32_sdwa v28, v31, v28 dst_sel:DWORD dst_unused:UNUSED_PAD src0_sel:WORD_0 src1_sel:DWORD
.LBB105_34:
	s_or_b64 exec, exec, s[26:27]
	v_lshlrev_b16_e32 v31, 8, v34
	v_lshlrev_b16_e32 v32, 8, v35
	v_or_b32_sdwa v31, v36, v31 dst_sel:DWORD dst_unused:UNUSED_PAD src0_sel:BYTE_0 src1_sel:DWORD
	v_or_b32_sdwa v32, v33, v32 dst_sel:WORD_1 dst_unused:UNUSED_PAD src0_sel:BYTE_0 src1_sel:DWORD
	v_or_b32_sdwa v31, v31, v32 dst_sel:DWORD dst_unused:UNUSED_PAD src0_sel:WORD_0 src1_sel:DWORD
	v_and_b32_e32 v37, 0x1f0, v1
	; wave barrier
	flat_store_dwordx4 v[26:27], v[14:17] offset:1024
	flat_store_dword v[12:13], v31
	s_waitcnt vmcnt(0) lgkmcnt(0)
	flat_store_dwordx4 v[24:25], v[18:21] offset:16
	v_or_b32_e32 v31, 8, v37
	v_min_u32_e32 v31, v30, v31
	v_add_u32_e32 v32, 8, v31
	v_min_u32_e32 v32, v30, v32
	v_and_b32_e32 v38, 12, v1
	v_min_u32_e32 v38, v30, v38
	v_sub_u32_e32 v48, v31, v37
	v_sub_u32_e32 v39, v32, v31
	v_sub_u32_e64 v39, v38, v39 clamp
	v_min_u32_e32 v48, v38, v48
	v_cmp_lt_u32_e32 vcc, v39, v48
	; wave barrier
	s_and_saveexec_b64 s[14:15], vcc
	s_cbranch_execz .LBB105_38
; %bb.35:
	v_add_co_u32_e32 v49, vcc, v10, v37
	v_addc_co_u32_e32 v50, vcc, 0, v11, vcc
	v_add_co_u32_e32 v51, vcc, v10, v31
	v_addc_co_u32_e32 v52, vcc, 0, v11, vcc
	s_mov_b64 s[18:19], 0
.LBB105_36:                             ; =>This Inner Loop Header: Depth=1
	v_add_u32_e32 v53, v48, v39
	v_lshrrev_b32_e32 v53, 1, v53
	v_add_co_u32_e32 v54, vcc, v49, v53
	v_xad_u32 v64, v53, -1, v38
	v_addc_co_u32_e32 v55, vcc, 0, v50, vcc
	v_add_co_u32_e32 v64, vcc, v51, v64
	v_addc_co_u32_e32 v65, vcc, 0, v52, vcc
	flat_load_ubyte v66, v[54:55]
	flat_load_ubyte v67, v[64:65]
	v_add_u32_e32 v54, 1, v53
	s_waitcnt vmcnt(0) lgkmcnt(0)
	v_and_b32_e32 v55, v66, v29
	v_and_b32_e32 v64, v67, v29
	v_cmp_gt_u16_sdwa vcc, v64, v55 src0_sel:BYTE_0 src1_sel:BYTE_0
	v_cndmask_b32_e32 v48, v48, v53, vcc
	v_cndmask_b32_e32 v39, v54, v39, vcc
	v_cmp_ge_u32_e32 vcc, v39, v48
	s_or_b64 s[18:19], vcc, s[18:19]
	s_andn2_b64 exec, exec, s[18:19]
	s_cbranch_execnz .LBB105_36
; %bb.37:
	s_or_b64 exec, exec, s[18:19]
.LBB105_38:
	s_or_b64 exec, exec, s[14:15]
	v_add_u32_e32 v38, v31, v38
	v_add_u32_e32 v37, v39, v37
	v_sub_u32_e32 v38, v38, v39
	v_cmp_le_u32_e32 vcc, v37, v31
	v_cmp_le_u32_e64 s[14:15], v38, v32
	s_or_b64 s[14:15], vcc, s[14:15]
	s_and_saveexec_b64 s[26:27], s[14:15]
	s_cbranch_execz .LBB105_44
; %bb.39:
	v_cmp_lt_u32_e32 vcc, v37, v31
                                        ; implicit-def: $vgpr28
	s_and_saveexec_b64 s[18:19], vcc
	s_cbranch_execz .LBB105_41
; %bb.40:
	v_add_co_u32_e64 v14, s[14:15], v10, v37
	v_addc_co_u32_e64 v15, s[14:15], 0, v11, s[14:15]
	flat_load_ubyte v28, v[14:15]
.LBB105_41:
	s_or_b64 exec, exec, s[18:19]
	v_cmp_ge_u32_e64 s[14:15], v38, v32
	v_cmp_lt_u32_e64 s[18:19], v38, v32
                                        ; implicit-def: $vgpr33
	s_and_saveexec_b64 s[20:21], s[18:19]
	s_cbranch_execz .LBB105_43
; %bb.42:
	v_add_co_u32_e64 v14, s[18:19], v10, v38
	v_addc_co_u32_e64 v15, s[18:19], 0, v11, s[18:19]
	flat_load_ubyte v33, v[14:15]
.LBB105_43:
	s_or_b64 exec, exec, s[20:21]
	s_waitcnt vmcnt(0) lgkmcnt(0)
	v_and_b32_e32 v14, v33, v29
	v_and_b32_e32 v15, v28, v29
	v_cmp_le_u16_sdwa s[18:19], v14, v15 src0_sel:BYTE_0 src1_sel:BYTE_0
	s_and_b64 s[18:19], vcc, s[18:19]
	s_or_b64 vcc, s[14:15], s[18:19]
	v_cndmask_b32_e32 v20, v38, v37, vcc
	v_cndmask_b32_e32 v14, v32, v31, vcc
	v_add_u32_e32 v16, 1, v20
	v_add_u32_e32 v14, -1, v14
	v_min_u32_e32 v14, v16, v14
	v_add_co_u32_e64 v14, s[14:15], v10, v14
	v_addc_co_u32_e64 v15, s[14:15], 0, v11, s[14:15]
	flat_load_ubyte v17, v[14:15]
	v_cndmask_b32_e32 v18, v16, v38, vcc
	v_cndmask_b32_e32 v19, v37, v16, vcc
	v_cmp_lt_u32_e64 s[18:19], v19, v31
	v_cmp_ge_u32_e64 s[14:15], v18, v32
	v_mov_b32_e32 v21, 0
	v_lshlrev_b64 v[14:15], 3, v[20:21]
	s_waitcnt vmcnt(0) lgkmcnt(0)
	v_cndmask_b32_e32 v34, v17, v33, vcc
	v_cndmask_b32_e32 v35, v28, v17, vcc
	v_and_b32_e32 v16, v34, v29
	v_and_b32_e32 v17, v35, v29
	v_cmp_le_u16_sdwa s[20:21], v16, v17 src0_sel:BYTE_0 src1_sel:BYTE_0
	s_and_b64 s[18:19], s[18:19], s[20:21]
	s_or_b64 s[14:15], s[14:15], s[18:19]
	v_cndmask_b32_e64 v20, v18, v19, s[14:15]
	v_cndmask_b32_e64 v16, v32, v31, s[14:15]
	v_add_u32_e32 v36, 1, v20
	v_add_u32_e32 v16, -1, v16
	v_min_u32_e32 v16, v36, v16
	v_add_co_u32_e64 v16, s[18:19], v10, v16
	v_addc_co_u32_e64 v17, s[18:19], 0, v11, s[18:19]
	flat_load_ubyte v37, v[16:17]
	v_cndmask_b32_e64 v38, v36, v18, s[14:15]
	v_cndmask_b32_e64 v36, v19, v36, s[14:15]
	v_cmp_lt_u32_e64 s[20:21], v36, v31
	v_cmp_ge_u32_e64 s[18:19], v38, v32
	v_lshlrev_b64 v[16:17], 3, v[20:21]
	s_waitcnt vmcnt(0) lgkmcnt(0)
	v_cndmask_b32_e64 v39, v37, v34, s[14:15]
	v_cndmask_b32_e64 v37, v35, v37, s[14:15]
	v_and_b32_e32 v18, v39, v29
	v_and_b32_e32 v19, v37, v29
	v_cmp_le_u16_sdwa s[22:23], v18, v19 src0_sel:BYTE_0 src1_sel:BYTE_0
	s_and_b64 s[20:21], s[20:21], s[22:23]
	s_or_b64 s[18:19], s[18:19], s[20:21]
	v_cndmask_b32_e64 v20, v38, v36, s[18:19]
	v_cndmask_b32_e64 v18, v32, v31, s[18:19]
	v_add_u32_e32 v48, 1, v20
	v_add_u32_e32 v18, -1, v18
	v_min_u32_e32 v18, v48, v18
	v_add_co_u32_e64 v18, s[20:21], v10, v18
	v_addc_co_u32_e64 v19, s[20:21], 0, v11, s[20:21]
	flat_load_ubyte v49, v[18:19]
	v_add_co_u32_e64 v14, s[20:21], v4, v14
	v_addc_co_u32_e64 v15, s[20:21], v5, v15, s[20:21]
	v_add_co_u32_e64 v16, s[20:21], v4, v16
	v_addc_co_u32_e64 v17, s[20:21], v5, v17, s[20:21]
	flat_load_dwordx2 v[16:17], v[16:17] offset:1024
	v_lshlrev_b64 v[18:19], 3, v[20:21]
	flat_load_dwordx2 v[14:15], v[14:15] offset:1024
	v_add_co_u32_e64 v18, s[20:21], v4, v18
	v_addc_co_u32_e64 v19, s[20:21], v5, v19, s[20:21]
	v_cndmask_b32_e64 v20, v48, v38, s[18:19]
	v_cndmask_b32_e64 v36, v36, v48, s[18:19]
	v_cmp_ge_u32_e64 s[20:21], v20, v32
	v_cmp_lt_u32_e64 s[22:23], v36, v31
	flat_load_dwordx2 v[18:19], v[18:19] offset:1024
	v_cndmask_b32_e64 v34, v34, v35, s[14:15]
	s_waitcnt vmcnt(0) lgkmcnt(0)
	v_cndmask_b32_e64 v31, v49, v39, s[18:19]
	v_cndmask_b32_e64 v32, v37, v49, s[18:19]
	v_and_b32_e32 v38, v31, v29
	v_and_b32_e32 v48, v32, v29
	v_cmp_le_u16_sdwa s[28:29], v38, v48 src0_sel:BYTE_0 src1_sel:BYTE_0
	s_and_b64 s[22:23], s[22:23], s[28:29]
	s_or_b64 s[20:21], s[20:21], s[22:23]
	v_cndmask_b32_e64 v20, v20, v36, s[20:21]
	v_lshlrev_b64 v[20:21], 3, v[20:21]
	v_add_co_u32_e64 v20, s[22:23], v4, v20
	v_addc_co_u32_e64 v21, s[22:23], v5, v21, s[22:23]
	flat_load_dwordx2 v[20:21], v[20:21] offset:1024
	v_cndmask_b32_e64 v35, v31, v32, s[20:21]
	v_cndmask_b32_e32 v36, v33, v28, vcc
	v_cndmask_b32_e64 v33, v39, v37, s[18:19]
	v_lshlrev_b16_e32 v28, 8, v35
	v_lshlrev_b16_e32 v31, 8, v34
	v_or_b32_sdwa v28, v33, v28 dst_sel:WORD_1 dst_unused:UNUSED_PAD src0_sel:BYTE_0 src1_sel:DWORD
	v_or_b32_sdwa v31, v36, v31 dst_sel:DWORD dst_unused:UNUSED_PAD src0_sel:BYTE_0 src1_sel:DWORD
	v_or_b32_sdwa v28, v31, v28 dst_sel:DWORD dst_unused:UNUSED_PAD src0_sel:WORD_0 src1_sel:DWORD
.LBB105_44:
	s_or_b64 exec, exec, s[26:27]
	; wave barrier
	flat_store_dwordx4 v[26:27], v[14:17] offset:1024
	v_lshlrev_b16_e32 v26, 8, v34
	v_lshlrev_b16_e32 v27, 8, v35
	v_or_b32_sdwa v26, v36, v26 dst_sel:DWORD dst_unused:UNUSED_PAD src0_sel:BYTE_0 src1_sel:DWORD
	v_or_b32_sdwa v27, v33, v27 dst_sel:WORD_1 dst_unused:UNUSED_PAD src0_sel:BYTE_0 src1_sel:DWORD
	v_or_b32_sdwa v26, v26, v27 dst_sel:DWORD dst_unused:UNUSED_PAD src0_sel:WORD_0 src1_sel:DWORD
	flat_store_dword v[12:13], v26
	s_waitcnt vmcnt(0) lgkmcnt(0)
	flat_store_dwordx4 v[24:25], v[18:21] offset:16
	v_and_b32_e32 v13, 0x1e0, v1
	v_or_b32_e32 v1, 16, v13
	v_min_u32_e32 v1, v30, v1
	v_add_u32_e32 v12, 16, v1
	v_min_u32_e32 v12, v30, v12
	v_min_u32_e32 v24, v30, v0
	v_sub_u32_e32 v25, v1, v13
	v_sub_u32_e32 v26, v12, v1
	v_sub_u32_e64 v26, v24, v26 clamp
	v_min_u32_e32 v25, v24, v25
	v_cmp_lt_u32_e32 vcc, v26, v25
	; wave barrier
	s_and_saveexec_b64 s[14:15], vcc
	s_cbranch_execz .LBB105_48
; %bb.45:
	v_add_co_u32_e32 v27, vcc, v10, v13
	v_addc_co_u32_e32 v30, vcc, 0, v11, vcc
	v_add_co_u32_e32 v31, vcc, v10, v1
	v_addc_co_u32_e32 v32, vcc, 0, v11, vcc
	s_mov_b64 s[18:19], 0
.LBB105_46:                             ; =>This Inner Loop Header: Depth=1
	v_add_u32_e32 v33, v25, v26
	v_lshrrev_b32_e32 v33, 1, v33
	v_add_co_u32_e32 v34, vcc, v27, v33
	v_xad_u32 v36, v33, -1, v24
	v_addc_co_u32_e32 v35, vcc, 0, v30, vcc
	v_add_co_u32_e32 v36, vcc, v31, v36
	v_addc_co_u32_e32 v37, vcc, 0, v32, vcc
	flat_load_ubyte v38, v[34:35]
	flat_load_ubyte v39, v[36:37]
	v_add_u32_e32 v34, 1, v33
	s_waitcnt vmcnt(0) lgkmcnt(0)
	v_and_b32_e32 v35, v38, v29
	v_and_b32_e32 v36, v39, v29
	v_cmp_gt_u16_sdwa vcc, v36, v35 src0_sel:BYTE_0 src1_sel:BYTE_0
	v_cndmask_b32_e32 v25, v25, v33, vcc
	v_cndmask_b32_e32 v26, v34, v26, vcc
	v_cmp_ge_u32_e32 vcc, v26, v25
	s_or_b64 s[18:19], vcc, s[18:19]
	s_andn2_b64 exec, exec, s[18:19]
	s_cbranch_execnz .LBB105_46
; %bb.47:
	s_or_b64 exec, exec, s[18:19]
.LBB105_48:
	s_or_b64 exec, exec, s[14:15]
	v_add_u32_e32 v25, v26, v13
	v_add_u32_e32 v13, v1, v24
	v_sub_u32_e32 v26, v13, v26
	v_cmp_le_u32_e32 vcc, v25, v1
	v_cmp_le_u32_e64 s[14:15], v26, v12
	s_or_b64 s[14:15], vcc, s[14:15]
	s_and_saveexec_b64 s[26:27], s[14:15]
	s_cbranch_execz .LBB105_54
; %bb.49:
	v_cmp_lt_u32_e32 vcc, v25, v1
                                        ; implicit-def: $vgpr13
	s_and_saveexec_b64 s[18:19], vcc
	s_cbranch_execz .LBB105_51
; %bb.50:
	v_add_co_u32_e64 v14, s[14:15], v10, v25
	v_addc_co_u32_e64 v15, s[14:15], 0, v11, s[14:15]
	flat_load_ubyte v13, v[14:15]
.LBB105_51:
	s_or_b64 exec, exec, s[18:19]
	v_cmp_ge_u32_e64 s[14:15], v26, v12
	v_cmp_lt_u32_e64 s[18:19], v26, v12
                                        ; implicit-def: $vgpr24
	s_and_saveexec_b64 s[20:21], s[18:19]
	s_cbranch_execz .LBB105_53
; %bb.52:
	v_add_co_u32_e64 v14, s[18:19], v10, v26
	v_addc_co_u32_e64 v15, s[18:19], 0, v11, s[18:19]
	flat_load_ubyte v24, v[14:15]
.LBB105_53:
	s_or_b64 exec, exec, s[20:21]
	s_waitcnt vmcnt(0) lgkmcnt(0)
	v_and_b32_e32 v14, v24, v29
	v_and_b32_e32 v15, v13, v29
	v_cmp_le_u16_sdwa s[18:19], v14, v15 src0_sel:BYTE_0 src1_sel:BYTE_0
	s_and_b64 s[18:19], vcc, s[18:19]
	s_or_b64 vcc, s[14:15], s[18:19]
	v_cndmask_b32_e32 v20, v26, v25, vcc
	v_cndmask_b32_e32 v14, v12, v1, vcc
	v_add_u32_e32 v16, 1, v20
	v_add_u32_e32 v14, -1, v14
	v_min_u32_e32 v14, v16, v14
	v_add_co_u32_e64 v14, s[14:15], v10, v14
	v_addc_co_u32_e64 v15, s[14:15], 0, v11, s[14:15]
	flat_load_ubyte v17, v[14:15]
	v_cndmask_b32_e32 v18, v16, v26, vcc
	v_cndmask_b32_e32 v19, v25, v16, vcc
	v_cmp_lt_u32_e64 s[18:19], v19, v1
	v_cmp_ge_u32_e64 s[14:15], v18, v12
	v_mov_b32_e32 v21, 0
	v_lshlrev_b64 v[14:15], 3, v[20:21]
	s_waitcnt vmcnt(0) lgkmcnt(0)
	v_cndmask_b32_e32 v25, v17, v24, vcc
	v_cndmask_b32_e32 v26, v13, v17, vcc
	v_and_b32_e32 v16, v25, v29
	v_and_b32_e32 v17, v26, v29
	v_cmp_le_u16_sdwa s[20:21], v16, v17 src0_sel:BYTE_0 src1_sel:BYTE_0
	s_and_b64 s[18:19], s[18:19], s[20:21]
	s_or_b64 s[14:15], s[14:15], s[18:19]
	v_cndmask_b32_e64 v20, v18, v19, s[14:15]
	v_cndmask_b32_e64 v16, v12, v1, s[14:15]
	v_add_u32_e32 v27, 1, v20
	v_add_u32_e32 v16, -1, v16
	v_min_u32_e32 v16, v27, v16
	v_add_co_u32_e64 v16, s[18:19], v10, v16
	v_addc_co_u32_e64 v17, s[18:19], 0, v11, s[18:19]
	flat_load_ubyte v28, v[16:17]
	v_cndmask_b32_e64 v30, v27, v18, s[14:15]
	v_cndmask_b32_e64 v27, v19, v27, s[14:15]
	v_cmp_lt_u32_e64 s[20:21], v27, v1
	v_cmp_ge_u32_e64 s[18:19], v30, v12
	v_lshlrev_b64 v[16:17], 3, v[20:21]
	s_waitcnt vmcnt(0) lgkmcnt(0)
	v_cndmask_b32_e64 v31, v28, v25, s[14:15]
	v_cndmask_b32_e64 v28, v26, v28, s[14:15]
	v_and_b32_e32 v18, v31, v29
	v_and_b32_e32 v19, v28, v29
	v_cmp_le_u16_sdwa s[22:23], v18, v19 src0_sel:BYTE_0 src1_sel:BYTE_0
	s_and_b64 s[20:21], s[20:21], s[22:23]
	s_or_b64 s[18:19], s[18:19], s[20:21]
	v_cndmask_b32_e64 v20, v30, v27, s[18:19]
	v_cndmask_b32_e64 v18, v12, v1, s[18:19]
	v_add_u32_e32 v32, 1, v20
	v_add_u32_e32 v18, -1, v18
	v_min_u32_e32 v18, v32, v18
	v_add_co_u32_e64 v10, s[20:21], v10, v18
	v_addc_co_u32_e64 v11, s[20:21], 0, v11, s[20:21]
	flat_load_ubyte v33, v[10:11]
	v_add_co_u32_e64 v10, s[20:21], v4, v14
	v_addc_co_u32_e64 v11, s[20:21], v5, v15, s[20:21]
	flat_load_dwordx2 v[14:15], v[10:11] offset:1024
	v_add_co_u32_e64 v10, s[20:21], v4, v16
	v_addc_co_u32_e64 v11, s[20:21], v5, v17, s[20:21]
	flat_load_dwordx2 v[16:17], v[10:11] offset:1024
	v_lshlrev_b64 v[10:11], 3, v[20:21]
	v_add_co_u32_e64 v10, s[20:21], v4, v10
	v_addc_co_u32_e64 v11, s[20:21], v5, v11, s[20:21]
	flat_load_dwordx2 v[18:19], v[10:11] offset:1024
	v_cndmask_b32_e64 v10, v32, v30, s[18:19]
	v_cndmask_b32_e64 v11, v27, v32, s[18:19]
	v_cmp_ge_u32_e64 s[20:21], v10, v12
	v_cmp_lt_u32_e64 s[22:23], v11, v1
	s_waitcnt vmcnt(0) lgkmcnt(0)
	v_cndmask_b32_e64 v1, v33, v31, s[18:19]
	v_cndmask_b32_e64 v12, v28, v33, s[18:19]
	v_and_b32_e32 v20, v1, v29
	v_and_b32_e32 v27, v12, v29
	v_cmp_le_u16_sdwa s[28:29], v20, v27 src0_sel:BYTE_0 src1_sel:BYTE_0
	s_and_b64 s[22:23], s[22:23], s[28:29]
	s_or_b64 s[20:21], s[20:21], s[22:23]
	v_cndmask_b32_e64 v20, v10, v11, s[20:21]
	v_lshlrev_b64 v[10:11], 3, v[20:21]
	v_add_co_u32_e64 v4, s[22:23], v4, v10
	v_addc_co_u32_e64 v5, s[22:23], v5, v11, s[22:23]
	flat_load_dwordx2 v[20:21], v[4:5] offset:1024
	v_cndmask_b32_e64 v5, v25, v26, s[14:15]
	v_cndmask_b32_e64 v1, v1, v12, s[20:21]
	v_cndmask_b32_e32 v4, v24, v13, vcc
	v_cndmask_b32_e64 v10, v31, v28, s[18:19]
	v_lshlrev_b16_e32 v1, 8, v1
	v_lshlrev_b16_e32 v5, 8, v5
	v_or_b32_sdwa v1, v10, v1 dst_sel:WORD_1 dst_unused:UNUSED_PAD src0_sel:BYTE_0 src1_sel:DWORD
	v_or_b32_sdwa v4, v4, v5 dst_sel:DWORD dst_unused:UNUSED_PAD src0_sel:BYTE_0 src1_sel:DWORD
	v_or_b32_sdwa v28, v4, v1 dst_sel:DWORD dst_unused:UNUSED_PAD src0_sel:WORD_0 src1_sel:DWORD
.LBB105_54:
	s_or_b64 exec, exec, s[26:27]
	; wave barrier
	s_waitcnt lgkmcnt(0)
	s_barrier
                                        ; implicit-def: $vgpr1
                                        ; implicit-def: $vgpr12
                                        ; implicit-def: $vgpr13
                                        ; implicit-def: $vgpr31
                                        ; implicit-def: $vgpr4
                                        ; implicit-def: $vgpr5
.LBB105_55:
	s_andn2_saveexec_b64 s[20:21], s[24:25]
	s_cbranch_execz .LBB105_97
; %bb.56:
	s_load_dwordx2 s[14:15], s[8:9], 0x0
	v_mov_b32_e32 v10, 0
	s_waitcnt lgkmcnt(0)
	s_cmp_lt_u32 s12, s14
	s_cselect_b32 s14, 12, 18
	s_cmp_lt_u32 s13, s15
	s_cselect_b32 s12, 14, 20
	s_add_u32 s12, s8, s12
	s_addc_u32 s13, s9, 0
	s_add_u32 s8, s8, s14
	s_addc_u32 s9, s9, 0
	global_load_ushort v11, v10, s[12:13]
	global_load_ushort v24, v10, s[8:9]
	v_and_b32_e32 v10, 0x3ff, v31
	s_movk_i32 s8, 0x400
	s_waitcnt vmcnt(0)
	v_mad_u32_u24 v4, v5, v11, v4
	v_mul_lo_u32 v4, v4, v24
	v_add_lshl_u32 v26, v4, v10, 2
	v_cmp_gt_u32_e32 vcc, s8, v26
	s_and_saveexec_b64 s[12:13], vcc
	s_cbranch_execz .LBB105_66
; %bb.57:
	s_mov_b32 s8, 0x7060405
	v_lshrrev_b32_e32 v5, 8, v28
	v_perm_b32 v4, v28, v28, s8
	v_cmp_gt_u16_sdwa vcc, v5, v28 src0_sel:BYTE_0 src1_sel:BYTE_0
	v_cndmask_b32_e32 v24, v28, v4, vcc
	v_lshrrev_b32_e32 v25, 16, v24
	v_lshrrev_b32_e32 v10, 24, v24
	v_cmp_gt_u16_sdwa s[14:15], v10, v25 src0_sel:DWORD src1_sel:BYTE_0
	v_pk_mov_b32 v[4:5], v[18:19], v[18:19] op_sel:[0,1]
	s_and_saveexec_b64 s[8:9], s[14:15]
; %bb.58:
	s_mov_b32 s14, 0x6070504
	v_perm_b32 v24, v24, v24, s14
	v_pk_mov_b32 v[4:5], v[20:21], v[20:21] op_sel:[0,1]
	v_pk_mov_b32 v[20:21], v[18:19], v[18:19] op_sel:[0,1]
	v_mov_b32_e32 v25, v10
; %bb.59:
	s_or_b64 exec, exec, s[8:9]
	v_cndmask_b32_e32 v19, v17, v15, vcc
	v_cndmask_b32_e32 v18, v16, v14, vcc
	v_lshrrev_b32_e32 v27, 8, v24
	v_cmp_gt_u16_sdwa s[8:9], v25, v27 src0_sel:BYTE_0 src1_sel:BYTE_0
	v_pk_mov_b32 v[10:11], v[18:19], v[18:19] op_sel:[0,1]
	s_and_saveexec_b64 s[14:15], s[8:9]
	s_xor_b64 s[8:9], exec, s[14:15]
; %bb.60:
	s_mov_b32 s14, 0x7050004
	v_perm_b32 v24, v24, v25, s14
	v_pk_mov_b32 v[10:11], v[4:5], v[4:5] op_sel:[0,1]
	v_pk_mov_b32 v[4:5], v[18:19], v[18:19] op_sel:[0,1]
	v_mov_b32_e32 v27, v25
; %bb.61:
	s_or_b64 exec, exec, s[8:9]
	s_mov_b32 s8, 0x3020004
	v_perm_b32 v18, v27, v24, s8
	v_cmp_gt_u16_sdwa s[8:9], v27, v24 src0_sel:BYTE_0 src1_sel:BYTE_0
	v_cndmask_b32_e64 v28, v24, v18, s[8:9]
	v_lshrrev_b32_e32 v27, 16, v28
	v_lshrrev_b32_e32 v18, 24, v28
	v_cmp_gt_u16_sdwa s[18:19], v18, v27 src0_sel:DWORD src1_sel:BYTE_0
	v_pk_mov_b32 v[24:25], v[4:5], v[4:5] op_sel:[0,1]
	s_and_saveexec_b64 s[14:15], s[18:19]
; %bb.62:
	s_mov_b32 s18, 0x6070504
	v_perm_b32 v28, v28, v28, s18
	v_pk_mov_b32 v[24:25], v[20:21], v[20:21] op_sel:[0,1]
	v_pk_mov_b32 v[20:21], v[4:5], v[4:5] op_sel:[0,1]
	v_mov_b32_e32 v27, v18
; %bb.63:
	s_or_b64 exec, exec, s[14:15]
	v_cndmask_b32_e32 v4, v14, v16, vcc
	v_cndmask_b32_e32 v5, v15, v17, vcc
	v_cndmask_b32_e64 v14, v4, v10, s[8:9]
	v_cndmask_b32_e64 v16, v10, v4, s[8:9]
	v_lshrrev_b32_e32 v4, 8, v28
	v_cndmask_b32_e64 v15, v5, v11, s[8:9]
	v_cndmask_b32_e64 v17, v11, v5, s[8:9]
	v_cmp_gt_u16_sdwa s[14:15], v27, v4 src0_sel:BYTE_0 src1_sel:BYTE_0
	v_pk_mov_b32 v[18:19], v[24:25], v[24:25] op_sel:[0,1]
	s_and_saveexec_b64 s[8:9], s[14:15]
; %bb.64:
	s_mov_b32 s14, 0x7050004
	v_perm_b32 v28, v28, v27, s14
	v_pk_mov_b32 v[18:19], v[16:17], v[16:17] op_sel:[0,1]
	v_pk_mov_b32 v[16:17], v[24:25], v[24:25] op_sel:[0,1]
; %bb.65:
	s_or_b64 exec, exec, s[8:9]
.LBB105_66:
	s_or_b64 exec, exec, s[12:13]
	v_and_b32_e32 v4, 0xffffff00, v26
	v_add_co_u32_e32 v10, vcc, v12, v4
	s_movk_i32 s12, 0x400
	v_addc_co_u32_e32 v11, vcc, 0, v13, vcc
	v_sub_u32_e64 v29, s12, v4 clamp
	v_add_co_u32_e32 v12, vcc, v10, v1
	v_or_b32_e32 v30, 4, v1
	v_mad_u64_u32 v[4:5], s[8:9], v4, 7, v[10:11]
	v_addc_co_u32_e32 v13, vcc, 0, v11, vcc
	v_lshlrev_b32_e32 v24, 3, v1
	v_min_u32_e32 v30, v29, v30
	v_add_co_u32_e32 v26, vcc, v4, v24
	v_add_u32_e32 v31, 4, v30
	v_addc_co_u32_e32 v27, vcc, 0, v5, vcc
	v_and_b32_e32 v35, 0x1f8, v1
	v_min_u32_e32 v31, v29, v31
	v_and_b32_e32 v32, 4, v1
	v_add_co_u32_e32 v24, vcc, s12, v26
	v_min_u32_e32 v37, v29, v32
	v_sub_u32_e32 v32, v30, v35
	v_sub_u32_e32 v33, v31, v30
	v_addc_co_u32_e32 v25, vcc, 0, v27, vcc
	v_sub_u32_e64 v38, v37, v33 clamp
	v_min_u32_e32 v32, v37, v32
	v_cmp_lt_u32_e32 vcc, v38, v32
	flat_store_dwordx4 v[26:27], v[14:17] offset:1024
	flat_store_dword v[12:13], v28
	flat_store_dwordx4 v[26:27], v[18:21] offset:1040
	; wave barrier
	s_and_saveexec_b64 s[8:9], vcc
	s_cbranch_execz .LBB105_70
; %bb.67:
	v_add_co_u32_e32 v33, vcc, v10, v35
	v_addc_co_u32_e32 v34, vcc, 0, v11, vcc
	v_add_co_u32_e32 v36, vcc, v10, v30
	v_addc_co_u32_e32 v39, vcc, 0, v11, vcc
	s_mov_b64 s[12:13], 0
.LBB105_68:                             ; =>This Inner Loop Header: Depth=1
	v_add_u32_e32 v48, v32, v38
	v_lshrrev_b32_e32 v52, 1, v48
	v_add_co_u32_e32 v48, vcc, v33, v52
	v_xad_u32 v50, v52, -1, v37
	v_addc_co_u32_e32 v49, vcc, 0, v34, vcc
	v_add_co_u32_e32 v50, vcc, v36, v50
	v_addc_co_u32_e32 v51, vcc, 0, v39, vcc
	flat_load_ubyte v53, v[48:49]
	flat_load_ubyte v54, v[50:51]
	v_add_u32_e32 v48, 1, v52
	s_waitcnt vmcnt(0) lgkmcnt(0)
	v_cmp_gt_u16_e32 vcc, v54, v53
	v_cndmask_b32_e32 v32, v32, v52, vcc
	v_cndmask_b32_e32 v38, v48, v38, vcc
	v_cmp_ge_u32_e32 vcc, v38, v32
	s_or_b64 s[12:13], vcc, s[12:13]
	s_andn2_b64 exec, exec, s[12:13]
	s_cbranch_execnz .LBB105_68
; %bb.69:
	s_or_b64 exec, exec, s[12:13]
.LBB105_70:
	s_or_b64 exec, exec, s[8:9]
	v_add_u32_e32 v36, v38, v35
	v_add_u32_e32 v35, v30, v37
	v_sub_u32_e32 v37, v35, v38
	v_cmp_le_u32_e32 vcc, v36, v30
	v_cmp_le_u32_e64 s[8:9], v37, v31
	v_lshrrev_b32_e32 v32, 16, v28
	v_lshrrev_b32_e32 v33, 8, v28
	;; [unrolled: 1-line block ×3, first 2 shown]
	s_or_b64 s[8:9], vcc, s[8:9]
	v_mov_b32_e32 v35, v28
	s_and_saveexec_b64 s[22:23], s[8:9]
	s_cbranch_execz .LBB105_76
; %bb.71:
	v_cmp_lt_u32_e32 vcc, v36, v30
                                        ; implicit-def: $vgpr28
	s_and_saveexec_b64 s[12:13], vcc
	s_cbranch_execz .LBB105_73
; %bb.72:
	v_add_co_u32_e64 v14, s[8:9], v10, v36
	v_addc_co_u32_e64 v15, s[8:9], 0, v11, s[8:9]
	flat_load_ubyte v28, v[14:15]
.LBB105_73:
	s_or_b64 exec, exec, s[12:13]
	v_cmp_ge_u32_e64 s[8:9], v37, v31
	v_cmp_lt_u32_e64 s[12:13], v37, v31
                                        ; implicit-def: $vgpr32
	s_and_saveexec_b64 s[14:15], s[12:13]
	s_cbranch_execz .LBB105_75
; %bb.74:
	v_add_co_u32_e64 v14, s[12:13], v10, v37
	v_addc_co_u32_e64 v15, s[12:13], 0, v11, s[12:13]
	flat_load_ubyte v32, v[14:15]
.LBB105_75:
	s_or_b64 exec, exec, s[14:15]
	s_waitcnt vmcnt(0) lgkmcnt(0)
	v_cmp_le_u16_sdwa s[12:13], v32, v28 src0_sel:BYTE_0 src1_sel:BYTE_0
	s_and_b64 s[12:13], vcc, s[12:13]
	s_or_b64 vcc, s[8:9], s[12:13]
	v_cndmask_b32_e32 v20, v37, v36, vcc
	v_cndmask_b32_e32 v14, v31, v30, vcc
	v_add_u32_e32 v16, 1, v20
	v_add_u32_e32 v14, -1, v14
	v_min_u32_e32 v14, v16, v14
	v_add_co_u32_e64 v14, s[8:9], v10, v14
	v_addc_co_u32_e64 v15, s[8:9], 0, v11, s[8:9]
	flat_load_ubyte v17, v[14:15]
	v_cndmask_b32_e32 v19, v36, v16, vcc
	v_cndmask_b32_e32 v18, v16, v37, vcc
	v_cmp_lt_u32_e64 s[12:13], v19, v30
	v_cmp_ge_u32_e64 s[8:9], v18, v31
	v_mov_b32_e32 v21, 0
	v_lshlrev_b64 v[14:15], 3, v[20:21]
	s_waitcnt vmcnt(0) lgkmcnt(0)
	v_cndmask_b32_e32 v33, v17, v32, vcc
	v_cndmask_b32_e32 v34, v28, v17, vcc
	v_cmp_le_u16_sdwa s[14:15], v33, v34 src0_sel:BYTE_0 src1_sel:BYTE_0
	s_and_b64 s[12:13], s[12:13], s[14:15]
	s_or_b64 s[8:9], s[8:9], s[12:13]
	v_cndmask_b32_e64 v20, v18, v19, s[8:9]
	v_cndmask_b32_e64 v16, v31, v30, s[8:9]
	v_add_u32_e32 v35, 1, v20
	v_add_u32_e32 v16, -1, v16
	v_min_u32_e32 v16, v35, v16
	v_add_co_u32_e64 v16, s[12:13], v10, v16
	v_addc_co_u32_e64 v17, s[12:13], 0, v11, s[12:13]
	flat_load_ubyte v36, v[16:17]
	v_cndmask_b32_e64 v37, v35, v18, s[8:9]
	v_cndmask_b32_e64 v35, v19, v35, s[8:9]
	v_cmp_lt_u32_e64 s[14:15], v35, v30
	v_cmp_ge_u32_e64 s[12:13], v37, v31
	v_lshlrev_b64 v[16:17], 3, v[20:21]
	s_waitcnt vmcnt(0) lgkmcnt(0)
	v_cndmask_b32_e64 v38, v36, v33, s[8:9]
	v_cndmask_b32_e64 v36, v34, v36, s[8:9]
	v_cmp_le_u16_sdwa s[18:19], v38, v36 src0_sel:BYTE_0 src1_sel:BYTE_0
	s_and_b64 s[14:15], s[14:15], s[18:19]
	s_or_b64 s[12:13], s[12:13], s[14:15]
	v_cndmask_b32_e64 v20, v37, v35, s[12:13]
	v_cndmask_b32_e64 v18, v31, v30, s[12:13]
	v_add_u32_e32 v39, 1, v20
	v_add_u32_e32 v18, -1, v18
	v_min_u32_e32 v18, v39, v18
	v_add_co_u32_e64 v18, s[14:15], v10, v18
	v_addc_co_u32_e64 v19, s[14:15], 0, v11, s[14:15]
	flat_load_ubyte v48, v[18:19]
	v_add_co_u32_e64 v14, s[14:15], v4, v14
	v_addc_co_u32_e64 v15, s[14:15], v5, v15, s[14:15]
	v_add_co_u32_e64 v16, s[14:15], v4, v16
	v_addc_co_u32_e64 v17, s[14:15], v5, v17, s[14:15]
	flat_load_dwordx2 v[16:17], v[16:17] offset:1024
	v_lshlrev_b64 v[18:19], 3, v[20:21]
	flat_load_dwordx2 v[14:15], v[14:15] offset:1024
	v_add_co_u32_e64 v18, s[14:15], v4, v18
	v_addc_co_u32_e64 v19, s[14:15], v5, v19, s[14:15]
	v_cndmask_b32_e64 v20, v39, v37, s[12:13]
	v_cndmask_b32_e64 v35, v35, v39, s[12:13]
	v_cmp_ge_u32_e64 s[14:15], v20, v31
	v_cmp_lt_u32_e64 s[18:19], v35, v30
	flat_load_dwordx2 v[18:19], v[18:19] offset:1024
	v_cndmask_b32_e64 v33, v33, v34, s[8:9]
	s_waitcnt vmcnt(0) lgkmcnt(0)
	v_cndmask_b32_e64 v30, v48, v38, s[12:13]
	v_cndmask_b32_e64 v31, v36, v48, s[12:13]
	v_cmp_le_u16_sdwa s[24:25], v30, v31 src0_sel:BYTE_0 src1_sel:BYTE_0
	s_and_b64 s[18:19], s[18:19], s[24:25]
	s_or_b64 s[14:15], s[14:15], s[18:19]
	v_cndmask_b32_e64 v20, v20, v35, s[14:15]
	v_lshlrev_b64 v[20:21], 3, v[20:21]
	v_add_co_u32_e64 v20, s[18:19], v4, v20
	v_addc_co_u32_e64 v21, s[18:19], v5, v21, s[18:19]
	flat_load_dwordx2 v[20:21], v[20:21] offset:1024
	v_cndmask_b32_e64 v34, v30, v31, s[14:15]
	v_cndmask_b32_e32 v35, v32, v28, vcc
	v_cndmask_b32_e64 v32, v38, v36, s[12:13]
	v_lshlrev_b16_e32 v28, 8, v34
	v_lshlrev_b16_e32 v30, 8, v33
	v_or_b32_sdwa v28, v32, v28 dst_sel:WORD_1 dst_unused:UNUSED_PAD src0_sel:BYTE_0 src1_sel:DWORD
	v_or_b32_sdwa v30, v35, v30 dst_sel:DWORD dst_unused:UNUSED_PAD src0_sel:BYTE_0 src1_sel:DWORD
	v_or_b32_sdwa v28, v30, v28 dst_sel:DWORD dst_unused:UNUSED_PAD src0_sel:WORD_0 src1_sel:DWORD
.LBB105_76:
	s_or_b64 exec, exec, s[22:23]
	v_lshlrev_b16_e32 v30, 8, v33
	v_lshlrev_b16_e32 v31, 8, v34
	v_or_b32_sdwa v30, v35, v30 dst_sel:DWORD dst_unused:UNUSED_PAD src0_sel:BYTE_0 src1_sel:DWORD
	v_or_b32_sdwa v31, v32, v31 dst_sel:WORD_1 dst_unused:UNUSED_PAD src0_sel:BYTE_0 src1_sel:DWORD
	v_or_b32_sdwa v30, v30, v31 dst_sel:DWORD dst_unused:UNUSED_PAD src0_sel:WORD_0 src1_sel:DWORD
	v_and_b32_e32 v36, 0x1f0, v1
	; wave barrier
	flat_store_dwordx4 v[26:27], v[14:17] offset:1024
	flat_store_dword v[12:13], v30
	s_waitcnt vmcnt(0) lgkmcnt(0)
	flat_store_dwordx4 v[24:25], v[18:21] offset:16
	v_or_b32_e32 v30, 8, v36
	v_min_u32_e32 v30, v29, v30
	v_add_u32_e32 v31, 8, v30
	v_min_u32_e32 v31, v29, v31
	v_and_b32_e32 v37, 12, v1
	v_min_u32_e32 v37, v29, v37
	v_sub_u32_e32 v39, v30, v36
	v_sub_u32_e32 v38, v31, v30
	v_sub_u32_e64 v38, v37, v38 clamp
	v_min_u32_e32 v39, v37, v39
	v_cmp_lt_u32_e32 vcc, v38, v39
	; wave barrier
	s_and_saveexec_b64 s[8:9], vcc
	s_cbranch_execz .LBB105_80
; %bb.77:
	v_add_co_u32_e32 v48, vcc, v10, v36
	v_addc_co_u32_e32 v49, vcc, 0, v11, vcc
	v_add_co_u32_e32 v50, vcc, v10, v30
	v_addc_co_u32_e32 v51, vcc, 0, v11, vcc
	s_mov_b64 s[12:13], 0
.LBB105_78:                             ; =>This Inner Loop Header: Depth=1
	v_add_u32_e32 v52, v39, v38
	v_lshrrev_b32_e32 v64, 1, v52
	v_add_co_u32_e32 v52, vcc, v48, v64
	v_xad_u32 v54, v64, -1, v37
	v_addc_co_u32_e32 v53, vcc, 0, v49, vcc
	v_add_co_u32_e32 v54, vcc, v50, v54
	v_addc_co_u32_e32 v55, vcc, 0, v51, vcc
	flat_load_ubyte v65, v[52:53]
	flat_load_ubyte v66, v[54:55]
	v_add_u32_e32 v52, 1, v64
	s_waitcnt vmcnt(0) lgkmcnt(0)
	v_cmp_gt_u16_e32 vcc, v66, v65
	v_cndmask_b32_e32 v39, v39, v64, vcc
	v_cndmask_b32_e32 v38, v52, v38, vcc
	v_cmp_ge_u32_e32 vcc, v38, v39
	s_or_b64 s[12:13], vcc, s[12:13]
	s_andn2_b64 exec, exec, s[12:13]
	s_cbranch_execnz .LBB105_78
; %bb.79:
	s_or_b64 exec, exec, s[12:13]
.LBB105_80:
	s_or_b64 exec, exec, s[8:9]
	v_add_u32_e32 v37, v30, v37
	v_add_u32_e32 v36, v38, v36
	v_sub_u32_e32 v37, v37, v38
	v_cmp_le_u32_e32 vcc, v36, v30
	v_cmp_le_u32_e64 s[8:9], v37, v31
	s_or_b64 s[8:9], vcc, s[8:9]
	s_and_saveexec_b64 s[22:23], s[8:9]
	s_cbranch_execz .LBB105_86
; %bb.81:
	v_cmp_lt_u32_e32 vcc, v36, v30
                                        ; implicit-def: $vgpr28
	s_and_saveexec_b64 s[12:13], vcc
	s_cbranch_execz .LBB105_83
; %bb.82:
	v_add_co_u32_e64 v14, s[8:9], v10, v36
	v_addc_co_u32_e64 v15, s[8:9], 0, v11, s[8:9]
	flat_load_ubyte v28, v[14:15]
.LBB105_83:
	s_or_b64 exec, exec, s[12:13]
	v_cmp_ge_u32_e64 s[8:9], v37, v31
	v_cmp_lt_u32_e64 s[12:13], v37, v31
                                        ; implicit-def: $vgpr32
	s_and_saveexec_b64 s[14:15], s[12:13]
	s_cbranch_execz .LBB105_85
; %bb.84:
	v_add_co_u32_e64 v14, s[12:13], v10, v37
	v_addc_co_u32_e64 v15, s[12:13], 0, v11, s[12:13]
	flat_load_ubyte v32, v[14:15]
.LBB105_85:
	s_or_b64 exec, exec, s[14:15]
	s_waitcnt vmcnt(0) lgkmcnt(0)
	v_cmp_le_u16_sdwa s[12:13], v32, v28 src0_sel:BYTE_0 src1_sel:BYTE_0
	s_and_b64 s[12:13], vcc, s[12:13]
	s_or_b64 vcc, s[8:9], s[12:13]
	v_cndmask_b32_e32 v20, v37, v36, vcc
	v_cndmask_b32_e32 v14, v31, v30, vcc
	v_add_u32_e32 v16, 1, v20
	v_add_u32_e32 v14, -1, v14
	v_min_u32_e32 v14, v16, v14
	v_add_co_u32_e64 v14, s[8:9], v10, v14
	v_addc_co_u32_e64 v15, s[8:9], 0, v11, s[8:9]
	flat_load_ubyte v17, v[14:15]
	v_cndmask_b32_e32 v19, v36, v16, vcc
	v_cndmask_b32_e32 v18, v16, v37, vcc
	v_cmp_lt_u32_e64 s[12:13], v19, v30
	v_cmp_ge_u32_e64 s[8:9], v18, v31
	v_mov_b32_e32 v21, 0
	v_lshlrev_b64 v[14:15], 3, v[20:21]
	s_waitcnt vmcnt(0) lgkmcnt(0)
	v_cndmask_b32_e32 v33, v17, v32, vcc
	v_cndmask_b32_e32 v34, v28, v17, vcc
	v_cmp_le_u16_sdwa s[14:15], v33, v34 src0_sel:BYTE_0 src1_sel:BYTE_0
	s_and_b64 s[12:13], s[12:13], s[14:15]
	s_or_b64 s[8:9], s[8:9], s[12:13]
	v_cndmask_b32_e64 v20, v18, v19, s[8:9]
	v_cndmask_b32_e64 v16, v31, v30, s[8:9]
	v_add_u32_e32 v35, 1, v20
	v_add_u32_e32 v16, -1, v16
	v_min_u32_e32 v16, v35, v16
	v_add_co_u32_e64 v16, s[12:13], v10, v16
	v_addc_co_u32_e64 v17, s[12:13], 0, v11, s[12:13]
	flat_load_ubyte v36, v[16:17]
	v_cndmask_b32_e64 v37, v35, v18, s[8:9]
	v_cndmask_b32_e64 v35, v19, v35, s[8:9]
	v_cmp_lt_u32_e64 s[14:15], v35, v30
	v_cmp_ge_u32_e64 s[12:13], v37, v31
	v_lshlrev_b64 v[16:17], 3, v[20:21]
	s_waitcnt vmcnt(0) lgkmcnt(0)
	v_cndmask_b32_e64 v38, v36, v33, s[8:9]
	v_cndmask_b32_e64 v36, v34, v36, s[8:9]
	v_cmp_le_u16_sdwa s[18:19], v38, v36 src0_sel:BYTE_0 src1_sel:BYTE_0
	s_and_b64 s[14:15], s[14:15], s[18:19]
	s_or_b64 s[12:13], s[12:13], s[14:15]
	v_cndmask_b32_e64 v20, v37, v35, s[12:13]
	v_cndmask_b32_e64 v18, v31, v30, s[12:13]
	v_add_u32_e32 v39, 1, v20
	v_add_u32_e32 v18, -1, v18
	v_min_u32_e32 v18, v39, v18
	v_add_co_u32_e64 v18, s[14:15], v10, v18
	v_addc_co_u32_e64 v19, s[14:15], 0, v11, s[14:15]
	flat_load_ubyte v48, v[18:19]
	v_add_co_u32_e64 v14, s[14:15], v4, v14
	v_addc_co_u32_e64 v15, s[14:15], v5, v15, s[14:15]
	v_add_co_u32_e64 v16, s[14:15], v4, v16
	v_addc_co_u32_e64 v17, s[14:15], v5, v17, s[14:15]
	flat_load_dwordx2 v[16:17], v[16:17] offset:1024
	v_lshlrev_b64 v[18:19], 3, v[20:21]
	flat_load_dwordx2 v[14:15], v[14:15] offset:1024
	v_add_co_u32_e64 v18, s[14:15], v4, v18
	v_addc_co_u32_e64 v19, s[14:15], v5, v19, s[14:15]
	v_cndmask_b32_e64 v20, v39, v37, s[12:13]
	v_cndmask_b32_e64 v35, v35, v39, s[12:13]
	v_cmp_ge_u32_e64 s[14:15], v20, v31
	v_cmp_lt_u32_e64 s[18:19], v35, v30
	flat_load_dwordx2 v[18:19], v[18:19] offset:1024
	v_cndmask_b32_e64 v33, v33, v34, s[8:9]
	s_waitcnt vmcnt(0) lgkmcnt(0)
	v_cndmask_b32_e64 v30, v48, v38, s[12:13]
	v_cndmask_b32_e64 v31, v36, v48, s[12:13]
	v_cmp_le_u16_sdwa s[24:25], v30, v31 src0_sel:BYTE_0 src1_sel:BYTE_0
	s_and_b64 s[18:19], s[18:19], s[24:25]
	s_or_b64 s[14:15], s[14:15], s[18:19]
	v_cndmask_b32_e64 v20, v20, v35, s[14:15]
	v_lshlrev_b64 v[20:21], 3, v[20:21]
	v_add_co_u32_e64 v20, s[18:19], v4, v20
	v_addc_co_u32_e64 v21, s[18:19], v5, v21, s[18:19]
	flat_load_dwordx2 v[20:21], v[20:21] offset:1024
	v_cndmask_b32_e64 v34, v30, v31, s[14:15]
	v_cndmask_b32_e32 v35, v32, v28, vcc
	v_cndmask_b32_e64 v32, v38, v36, s[12:13]
	v_lshlrev_b16_e32 v28, 8, v34
	v_lshlrev_b16_e32 v30, 8, v33
	v_or_b32_sdwa v28, v32, v28 dst_sel:WORD_1 dst_unused:UNUSED_PAD src0_sel:BYTE_0 src1_sel:DWORD
	v_or_b32_sdwa v30, v35, v30 dst_sel:DWORD dst_unused:UNUSED_PAD src0_sel:BYTE_0 src1_sel:DWORD
	v_or_b32_sdwa v28, v30, v28 dst_sel:DWORD dst_unused:UNUSED_PAD src0_sel:WORD_0 src1_sel:DWORD
.LBB105_86:
	s_or_b64 exec, exec, s[22:23]
	; wave barrier
	flat_store_dwordx4 v[26:27], v[14:17] offset:1024
	v_lshlrev_b16_e32 v26, 8, v33
	v_lshlrev_b16_e32 v27, 8, v34
	v_or_b32_sdwa v26, v35, v26 dst_sel:DWORD dst_unused:UNUSED_PAD src0_sel:BYTE_0 src1_sel:DWORD
	v_or_b32_sdwa v27, v32, v27 dst_sel:WORD_1 dst_unused:UNUSED_PAD src0_sel:BYTE_0 src1_sel:DWORD
	v_or_b32_sdwa v26, v26, v27 dst_sel:DWORD dst_unused:UNUSED_PAD src0_sel:WORD_0 src1_sel:DWORD
	flat_store_dword v[12:13], v26
	s_waitcnt vmcnt(0) lgkmcnt(0)
	flat_store_dwordx4 v[24:25], v[18:21] offset:16
	v_and_b32_e32 v13, 0x1e0, v1
	v_or_b32_e32 v1, 16, v13
	v_min_u32_e32 v1, v29, v1
	v_add_u32_e32 v12, 16, v1
	v_min_u32_e32 v12, v29, v12
	v_min_u32_e32 v24, v29, v0
	v_sub_u32_e32 v25, v1, v13
	v_sub_u32_e32 v26, v12, v1
	v_sub_u32_e64 v26, v24, v26 clamp
	v_min_u32_e32 v25, v24, v25
	v_cmp_lt_u32_e32 vcc, v26, v25
	; wave barrier
	s_and_saveexec_b64 s[8:9], vcc
	s_cbranch_execz .LBB105_90
; %bb.87:
	v_add_co_u32_e32 v27, vcc, v10, v13
	v_addc_co_u32_e32 v29, vcc, 0, v11, vcc
	v_add_co_u32_e32 v30, vcc, v10, v1
	v_addc_co_u32_e32 v31, vcc, 0, v11, vcc
	s_mov_b64 s[12:13], 0
.LBB105_88:                             ; =>This Inner Loop Header: Depth=1
	v_add_u32_e32 v32, v25, v26
	v_lshrrev_b32_e32 v36, 1, v32
	v_add_co_u32_e32 v32, vcc, v27, v36
	v_xad_u32 v34, v36, -1, v24
	v_addc_co_u32_e32 v33, vcc, 0, v29, vcc
	v_add_co_u32_e32 v34, vcc, v30, v34
	v_addc_co_u32_e32 v35, vcc, 0, v31, vcc
	flat_load_ubyte v37, v[32:33]
	flat_load_ubyte v38, v[34:35]
	v_add_u32_e32 v32, 1, v36
	s_waitcnt vmcnt(0) lgkmcnt(0)
	v_cmp_gt_u16_e32 vcc, v38, v37
	v_cndmask_b32_e32 v25, v25, v36, vcc
	v_cndmask_b32_e32 v26, v32, v26, vcc
	v_cmp_ge_u32_e32 vcc, v26, v25
	s_or_b64 s[12:13], vcc, s[12:13]
	s_andn2_b64 exec, exec, s[12:13]
	s_cbranch_execnz .LBB105_88
; %bb.89:
	s_or_b64 exec, exec, s[12:13]
.LBB105_90:
	s_or_b64 exec, exec, s[8:9]
	v_add_u32_e32 v25, v26, v13
	v_add_u32_e32 v13, v1, v24
	v_sub_u32_e32 v26, v13, v26
	v_cmp_le_u32_e32 vcc, v25, v1
	v_cmp_le_u32_e64 s[8:9], v26, v12
	s_or_b64 s[8:9], vcc, s[8:9]
	s_and_saveexec_b64 s[22:23], s[8:9]
	s_cbranch_execz .LBB105_96
; %bb.91:
	v_cmp_lt_u32_e32 vcc, v25, v1
                                        ; implicit-def: $vgpr13
	s_and_saveexec_b64 s[12:13], vcc
	s_cbranch_execz .LBB105_93
; %bb.92:
	v_add_co_u32_e64 v14, s[8:9], v10, v25
	v_addc_co_u32_e64 v15, s[8:9], 0, v11, s[8:9]
	flat_load_ubyte v13, v[14:15]
.LBB105_93:
	s_or_b64 exec, exec, s[12:13]
	v_cmp_ge_u32_e64 s[8:9], v26, v12
	v_cmp_lt_u32_e64 s[12:13], v26, v12
                                        ; implicit-def: $vgpr24
	s_and_saveexec_b64 s[14:15], s[12:13]
	s_cbranch_execz .LBB105_95
; %bb.94:
	v_add_co_u32_e64 v14, s[12:13], v10, v26
	v_addc_co_u32_e64 v15, s[12:13], 0, v11, s[12:13]
	flat_load_ubyte v24, v[14:15]
.LBB105_95:
	s_or_b64 exec, exec, s[14:15]
	s_waitcnt vmcnt(0) lgkmcnt(0)
	v_cmp_le_u16_sdwa s[12:13], v24, v13 src0_sel:BYTE_0 src1_sel:BYTE_0
	s_and_b64 s[12:13], vcc, s[12:13]
	s_or_b64 vcc, s[8:9], s[12:13]
	v_cndmask_b32_e32 v20, v26, v25, vcc
	v_cndmask_b32_e32 v14, v12, v1, vcc
	v_add_u32_e32 v16, 1, v20
	v_add_u32_e32 v14, -1, v14
	v_min_u32_e32 v14, v16, v14
	v_add_co_u32_e64 v14, s[8:9], v10, v14
	v_addc_co_u32_e64 v15, s[8:9], 0, v11, s[8:9]
	flat_load_ubyte v17, v[14:15]
	v_cndmask_b32_e32 v18, v16, v26, vcc
	v_cndmask_b32_e32 v19, v25, v16, vcc
	v_cmp_lt_u32_e64 s[12:13], v19, v1
	v_cmp_ge_u32_e64 s[8:9], v18, v12
	v_mov_b32_e32 v21, 0
	v_lshlrev_b64 v[14:15], 3, v[20:21]
	s_waitcnt vmcnt(0) lgkmcnt(0)
	v_cndmask_b32_e32 v25, v17, v24, vcc
	v_cndmask_b32_e32 v26, v13, v17, vcc
	v_cmp_le_u16_sdwa s[14:15], v25, v26 src0_sel:BYTE_0 src1_sel:BYTE_0
	s_and_b64 s[12:13], s[12:13], s[14:15]
	s_or_b64 s[8:9], s[8:9], s[12:13]
	v_cndmask_b32_e64 v20, v18, v19, s[8:9]
	v_cndmask_b32_e64 v16, v12, v1, s[8:9]
	v_add_u32_e32 v27, 1, v20
	v_add_u32_e32 v16, -1, v16
	v_min_u32_e32 v16, v27, v16
	v_add_co_u32_e64 v16, s[12:13], v10, v16
	v_addc_co_u32_e64 v17, s[12:13], 0, v11, s[12:13]
	flat_load_ubyte v28, v[16:17]
	v_cndmask_b32_e64 v29, v27, v18, s[8:9]
	v_cndmask_b32_e64 v27, v19, v27, s[8:9]
	v_cmp_lt_u32_e64 s[14:15], v27, v1
	v_cmp_ge_u32_e64 s[12:13], v29, v12
	v_lshlrev_b64 v[16:17], 3, v[20:21]
	s_waitcnt vmcnt(0) lgkmcnt(0)
	v_cndmask_b32_e64 v30, v28, v25, s[8:9]
	v_cndmask_b32_e64 v28, v26, v28, s[8:9]
	v_cmp_le_u16_sdwa s[18:19], v30, v28 src0_sel:BYTE_0 src1_sel:BYTE_0
	s_and_b64 s[14:15], s[14:15], s[18:19]
	s_or_b64 s[12:13], s[12:13], s[14:15]
	v_cndmask_b32_e64 v20, v29, v27, s[12:13]
	v_cndmask_b32_e64 v18, v12, v1, s[12:13]
	v_add_u32_e32 v31, 1, v20
	v_add_u32_e32 v18, -1, v18
	v_min_u32_e32 v18, v31, v18
	v_add_co_u32_e64 v10, s[14:15], v10, v18
	v_addc_co_u32_e64 v11, s[14:15], 0, v11, s[14:15]
	flat_load_ubyte v32, v[10:11]
	v_add_co_u32_e64 v10, s[14:15], v4, v14
	v_addc_co_u32_e64 v11, s[14:15], v5, v15, s[14:15]
	flat_load_dwordx2 v[14:15], v[10:11] offset:1024
	v_add_co_u32_e64 v10, s[14:15], v4, v16
	v_addc_co_u32_e64 v11, s[14:15], v5, v17, s[14:15]
	flat_load_dwordx2 v[16:17], v[10:11] offset:1024
	v_lshlrev_b64 v[10:11], 3, v[20:21]
	v_add_co_u32_e64 v10, s[14:15], v4, v10
	v_addc_co_u32_e64 v11, s[14:15], v5, v11, s[14:15]
	flat_load_dwordx2 v[18:19], v[10:11] offset:1024
	v_cndmask_b32_e64 v10, v31, v29, s[12:13]
	v_cndmask_b32_e64 v11, v27, v31, s[12:13]
	v_cmp_ge_u32_e64 s[14:15], v10, v12
	v_cmp_lt_u32_e64 s[18:19], v11, v1
	s_waitcnt vmcnt(0) lgkmcnt(0)
	v_cndmask_b32_e64 v1, v32, v30, s[12:13]
	v_cndmask_b32_e64 v12, v28, v32, s[12:13]
	v_cmp_le_u16_sdwa s[24:25], v1, v12 src0_sel:BYTE_0 src1_sel:BYTE_0
	s_and_b64 s[18:19], s[18:19], s[24:25]
	s_or_b64 s[14:15], s[14:15], s[18:19]
	v_cndmask_b32_e64 v20, v10, v11, s[14:15]
	v_lshlrev_b64 v[10:11], 3, v[20:21]
	v_add_co_u32_e64 v4, s[18:19], v4, v10
	v_addc_co_u32_e64 v5, s[18:19], v5, v11, s[18:19]
	flat_load_dwordx2 v[20:21], v[4:5] offset:1024
	v_cndmask_b32_e64 v5, v25, v26, s[8:9]
	v_cndmask_b32_e64 v1, v1, v12, s[14:15]
	v_cndmask_b32_e32 v4, v24, v13, vcc
	v_cndmask_b32_e64 v10, v30, v28, s[12:13]
	v_lshlrev_b16_e32 v1, 8, v1
	v_lshlrev_b16_e32 v5, 8, v5
	v_or_b32_sdwa v1, v10, v1 dst_sel:WORD_1 dst_unused:UNUSED_PAD src0_sel:BYTE_0 src1_sel:DWORD
	v_or_b32_sdwa v4, v4, v5 dst_sel:DWORD dst_unused:UNUSED_PAD src0_sel:BYTE_0 src1_sel:DWORD
	v_or_b32_sdwa v28, v4, v1 dst_sel:DWORD dst_unused:UNUSED_PAD src0_sel:WORD_0 src1_sel:DWORD
.LBB105_96:
	s_or_b64 exec, exec, s[22:23]
	; wave barrier
	s_waitcnt lgkmcnt(0)
	s_barrier
.LBB105_97:
	s_or_b64 exec, exec, s[20:21]
	v_add_co_u32_e32 v1, vcc, v2, v8
	v_addc_co_u32_e32 v2, vcc, 0, v3, vcc
	v_add_co_u32_e32 v0, vcc, v1, v0
	v_addc_co_u32_e32 v1, vcc, 0, v2, vcc
	s_waitcnt lgkmcnt(0)
	; wave barrier
	s_and_saveexec_b64 s[8:9], s[4:5]
	s_cbranch_execnz .LBB105_110
; %bb.98:
	s_or_b64 exec, exec, s[8:9]
	s_and_saveexec_b64 s[8:9], s[6:7]
	s_cbranch_execnz .LBB105_111
.LBB105_99:
	s_or_b64 exec, exec, s[8:9]
	s_and_saveexec_b64 s[8:9], s[16:17]
	s_cbranch_execnz .LBB105_112
.LBB105_100:
	s_or_b64 exec, exec, s[8:9]
	s_and_saveexec_b64 s[8:9], s[10:11]
	s_cbranch_execz .LBB105_102
.LBB105_101:
	s_waitcnt vmcnt(0) lgkmcnt(0)
	v_lshrrev_b32_e32 v2, 24, v28
	flat_store_byte v[0:1], v2 offset:3
.LBB105_102:
	s_or_b64 exec, exec, s[8:9]
	v_add_co_u32_e32 v0, vcc, v6, v22
	v_addc_co_u32_e32 v1, vcc, v7, v23, vcc
	v_add_co_u32_e32 v0, vcc, v0, v9
	v_addc_co_u32_e32 v1, vcc, 0, v1, vcc
	; wave barrier
	s_and_saveexec_b64 s[8:9], s[4:5]
	s_cbranch_execnz .LBB105_113
; %bb.103:
	s_or_b64 exec, exec, s[8:9]
	s_and_saveexec_b64 s[4:5], s[6:7]
	s_cbranch_execnz .LBB105_114
.LBB105_104:
	s_or_b64 exec, exec, s[4:5]
	s_and_saveexec_b64 s[4:5], s[16:17]
	s_cbranch_execnz .LBB105_115
.LBB105_105:
	s_or_b64 exec, exec, s[4:5]
	s_and_saveexec_b64 s[4:5], s[10:11]
	s_cbranch_execnz .LBB105_116
.LBB105_106:
	s_or_b64 exec, exec, s[4:5]
	s_waitcnt vmcnt(0) lgkmcnt(0)
	s_setpc_b64 s[30:31]
.LBB105_107:
	flat_load_dwordx2 v[14:15], v[4:5]
	s_or_b64 exec, exec, s[14:15]
	s_and_saveexec_b64 s[14:15], s[6:7]
	s_cbranch_execz .LBB105_10
.LBB105_108:
	flat_load_dwordx2 v[16:17], v[4:5] offset:8
	s_or_b64 exec, exec, s[14:15]
                                        ; implicit-def: $vgpr18_vgpr19
	s_and_saveexec_b64 s[14:15], s[16:17]
	s_cbranch_execz .LBB105_11
.LBB105_109:
	flat_load_dwordx2 v[18:19], v[4:5] offset:16
	s_or_b64 exec, exec, s[14:15]
	s_and_saveexec_b64 s[14:15], s[10:11]
	s_cbranch_execnz .LBB105_12
	s_branch .LBB105_13
.LBB105_110:
	s_waitcnt vmcnt(0) lgkmcnt(0)
	flat_store_byte v[0:1], v28
	s_or_b64 exec, exec, s[8:9]
	s_and_saveexec_b64 s[8:9], s[6:7]
	s_cbranch_execz .LBB105_99
.LBB105_111:
	s_waitcnt vmcnt(0) lgkmcnt(0)
	v_lshrrev_b32_e32 v2, 8, v28
	flat_store_byte v[0:1], v2 offset:1
	s_or_b64 exec, exec, s[8:9]
	s_and_saveexec_b64 s[8:9], s[16:17]
	s_cbranch_execz .LBB105_100
.LBB105_112:
	s_waitcnt vmcnt(0) lgkmcnt(0)
	flat_store_byte_d16_hi v[0:1], v28 offset:2
	s_or_b64 exec, exec, s[8:9]
	s_and_saveexec_b64 s[8:9], s[10:11]
	s_cbranch_execnz .LBB105_101
	s_branch .LBB105_102
.LBB105_113:
	s_waitcnt vmcnt(0) lgkmcnt(0)
	flat_store_dwordx2 v[0:1], v[14:15]
	s_or_b64 exec, exec, s[8:9]
	s_and_saveexec_b64 s[4:5], s[6:7]
	s_cbranch_execz .LBB105_104
.LBB105_114:
	s_waitcnt vmcnt(0) lgkmcnt(0)
	flat_store_dwordx2 v[0:1], v[16:17] offset:8
	s_or_b64 exec, exec, s[4:5]
	s_and_saveexec_b64 s[4:5], s[16:17]
	s_cbranch_execz .LBB105_105
.LBB105_115:
	s_waitcnt vmcnt(0) lgkmcnt(0)
	flat_store_dwordx2 v[0:1], v[18:19] offset:16
	s_or_b64 exec, exec, s[4:5]
	s_and_saveexec_b64 s[4:5], s[10:11]
	s_cbranch_execz .LBB105_106
.LBB105_116:
	s_waitcnt vmcnt(0) lgkmcnt(0)
	flat_store_dwordx2 v[0:1], v[20:21] offset:24
	s_or_b64 exec, exec, s[4:5]
	s_waitcnt vmcnt(0) lgkmcnt(0)
	s_setpc_b64 s[30:31]
.Lfunc_end105:
	.size	_ZN7rocprim17ROCPRIM_400000_NS6detail26segmented_warp_sort_helperINS1_20WarpSortHelperConfigILj8ELj4ELj256EEEhlLi256ELb1EvE4sortIPKhPhPKlPlEEvT_T0_T1_T2_jjjjRNS5_12storage_typeE, .Lfunc_end105-_ZN7rocprim17ROCPRIM_400000_NS6detail26segmented_warp_sort_helperINS1_20WarpSortHelperConfigILj8ELj4ELj256EEEhlLi256ELb1EvE4sortIPKhPhPKlPlEEvT_T0_T1_T2_jjjjRNS5_12storage_typeE
                                        ; -- End function
	.section	.AMDGPU.csdata,"",@progbits
; Function info:
; codeLenInByte = 7612
; NumSgprs: 36
; NumVgprs: 68
; NumAgprs: 0
; TotalNumVgprs: 68
; ScratchSize: 0
; MemoryBound: 0
	.section	.text._ZN7rocprim17ROCPRIM_400000_NS6detail17trampoline_kernelINS0_14default_configENS1_36segmented_radix_sort_config_selectorIhlEEZNS1_25segmented_radix_sort_implIS3_Lb1EPKhPhPKlPlN2at6native12_GLOBAL__N_18offset_tEEE10hipError_tPvRmT1_PNSt15iterator_traitsISK_E10value_typeET2_T3_PNSL_ISQ_E10value_typeET4_jRbjT5_SW_jjP12ihipStream_tbEUlT_E1_NS1_11comp_targetILNS1_3genE4ELNS1_11target_archE910ELNS1_3gpuE8ELNS1_3repE0EEENS1_59segmented_radix_sort_warp_sort_small_config_static_selectorELNS0_4arch9wavefront6targetE1EEEvSK_,"axG",@progbits,_ZN7rocprim17ROCPRIM_400000_NS6detail17trampoline_kernelINS0_14default_configENS1_36segmented_radix_sort_config_selectorIhlEEZNS1_25segmented_radix_sort_implIS3_Lb1EPKhPhPKlPlN2at6native12_GLOBAL__N_18offset_tEEE10hipError_tPvRmT1_PNSt15iterator_traitsISK_E10value_typeET2_T3_PNSL_ISQ_E10value_typeET4_jRbjT5_SW_jjP12ihipStream_tbEUlT_E1_NS1_11comp_targetILNS1_3genE4ELNS1_11target_archE910ELNS1_3gpuE8ELNS1_3repE0EEENS1_59segmented_radix_sort_warp_sort_small_config_static_selectorELNS0_4arch9wavefront6targetE1EEEvSK_,comdat
	.globl	_ZN7rocprim17ROCPRIM_400000_NS6detail17trampoline_kernelINS0_14default_configENS1_36segmented_radix_sort_config_selectorIhlEEZNS1_25segmented_radix_sort_implIS3_Lb1EPKhPhPKlPlN2at6native12_GLOBAL__N_18offset_tEEE10hipError_tPvRmT1_PNSt15iterator_traitsISK_E10value_typeET2_T3_PNSL_ISQ_E10value_typeET4_jRbjT5_SW_jjP12ihipStream_tbEUlT_E1_NS1_11comp_targetILNS1_3genE4ELNS1_11target_archE910ELNS1_3gpuE8ELNS1_3repE0EEENS1_59segmented_radix_sort_warp_sort_small_config_static_selectorELNS0_4arch9wavefront6targetE1EEEvSK_ ; -- Begin function _ZN7rocprim17ROCPRIM_400000_NS6detail17trampoline_kernelINS0_14default_configENS1_36segmented_radix_sort_config_selectorIhlEEZNS1_25segmented_radix_sort_implIS3_Lb1EPKhPhPKlPlN2at6native12_GLOBAL__N_18offset_tEEE10hipError_tPvRmT1_PNSt15iterator_traitsISK_E10value_typeET2_T3_PNSL_ISQ_E10value_typeET4_jRbjT5_SW_jjP12ihipStream_tbEUlT_E1_NS1_11comp_targetILNS1_3genE4ELNS1_11target_archE910ELNS1_3gpuE8ELNS1_3repE0EEENS1_59segmented_radix_sort_warp_sort_small_config_static_selectorELNS0_4arch9wavefront6targetE1EEEvSK_
	.p2align	8
	.type	_ZN7rocprim17ROCPRIM_400000_NS6detail17trampoline_kernelINS0_14default_configENS1_36segmented_radix_sort_config_selectorIhlEEZNS1_25segmented_radix_sort_implIS3_Lb1EPKhPhPKlPlN2at6native12_GLOBAL__N_18offset_tEEE10hipError_tPvRmT1_PNSt15iterator_traitsISK_E10value_typeET2_T3_PNSL_ISQ_E10value_typeET4_jRbjT5_SW_jjP12ihipStream_tbEUlT_E1_NS1_11comp_targetILNS1_3genE4ELNS1_11target_archE910ELNS1_3gpuE8ELNS1_3repE0EEENS1_59segmented_radix_sort_warp_sort_small_config_static_selectorELNS0_4arch9wavefront6targetE1EEEvSK_,@function
_ZN7rocprim17ROCPRIM_400000_NS6detail17trampoline_kernelINS0_14default_configENS1_36segmented_radix_sort_config_selectorIhlEEZNS1_25segmented_radix_sort_implIS3_Lb1EPKhPhPKlPlN2at6native12_GLOBAL__N_18offset_tEEE10hipError_tPvRmT1_PNSt15iterator_traitsISK_E10value_typeET2_T3_PNSL_ISQ_E10value_typeET4_jRbjT5_SW_jjP12ihipStream_tbEUlT_E1_NS1_11comp_targetILNS1_3genE4ELNS1_11target_archE910ELNS1_3gpuE8ELNS1_3repE0EEENS1_59segmented_radix_sort_warp_sort_small_config_static_selectorELNS0_4arch9wavefront6targetE1EEEvSK_: ; @_ZN7rocprim17ROCPRIM_400000_NS6detail17trampoline_kernelINS0_14default_configENS1_36segmented_radix_sort_config_selectorIhlEEZNS1_25segmented_radix_sort_implIS3_Lb1EPKhPhPKlPlN2at6native12_GLOBAL__N_18offset_tEEE10hipError_tPvRmT1_PNSt15iterator_traitsISK_E10value_typeET2_T3_PNSL_ISQ_E10value_typeET4_jRbjT5_SW_jjP12ihipStream_tbEUlT_E1_NS1_11comp_targetILNS1_3genE4ELNS1_11target_archE910ELNS1_3gpuE8ELNS1_3repE0EEENS1_59segmented_radix_sort_warp_sort_small_config_static_selectorELNS0_4arch9wavefront6targetE1EEEvSK_
; %bb.0:
	s_add_u32 flat_scratch_lo, s6, s10
	s_addc_u32 flat_scratch_hi, s7, 0
	s_add_u32 s0, s0, s10
	s_load_dword s6, s[4:5], 0x64
	s_load_dword s10, s[4:5], 0x34
	s_addc_u32 s1, s1, 0
	v_bfe_u32 v1, v0, 10, 10
	v_bfe_u32 v2, v0, 20, 10
	s_waitcnt lgkmcnt(0)
	s_lshr_b32 s7, s6, 16
	s_and_b32 s6, s6, 0xffff
	v_mad_u32_u24 v1, v2, s7, v1
	v_and_b32_e32 v2, 0x3ff, v0
	v_mad_u64_u32 v[2:3], s[6:7], v1, s6, v[2:3]
	v_lshrrev_b32_e32 v1, 3, v2
	v_lshl_add_u32 v2, s8, 5, v1
	v_cmp_gt_u32_e32 vcc, s10, v2
	s_mov_b32 s32, 0
	s_and_saveexec_b64 s[6:7], vcc
	s_cbranch_execz .LBB106_6
; %bb.1:
	s_load_dwordx2 s[6:7], s[4:5], 0x38
	s_load_dwordx4 s[12:15], s[4:5], 0x40
	v_mov_b32_e32 v3, 0
	v_lshlrev_b64 v[2:3], 2, v[2:3]
	s_waitcnt lgkmcnt(0)
	v_mov_b32_e32 v1, s7
	v_sub_co_u32_e32 v2, vcc, s6, v2
	v_subb_co_u32_e32 v3, vcc, v1, v3, vcc
	global_load_dword v1, v[2:3], off offset:-4
	s_waitcnt vmcnt(0)
	v_add_u32_e32 v2, s13, v1
	v_add_u32_e32 v1, s15, v1
	v_mul_lo_u32 v8, v2, s12
	v_mul_lo_u32 v40, v1, s14
	v_cmp_gt_u32_e32 vcc, v40, v8
	s_and_b64 exec, exec, vcc
	s_cbranch_execz .LBB106_6
; %bb.2:
	s_load_dwordx4 s[44:47], s[4:5], 0x20
	s_load_dword s6, s[4:5], 0x30
	s_load_dwordx8 s[36:43], s[4:5], 0x0
	s_load_dwordx2 s[48:49], s[4:5], 0x50
	s_mov_b32 s34, s8
	s_mov_b32 s33, s9
	s_waitcnt lgkmcnt(0)
	s_bitcmp0_b32 s6, 0
	s_mov_b64 s[6:7], -1
	s_cbranch_scc0 .LBB106_4
; %bb.3:
	s_add_u32 s8, s4, 0x58
	s_mov_b64 s[6:7], src_shared_base
	s_addc_u32 s9, s5, 0
	s_mov_b32 s12, s34
	s_mov_b32 s13, s33
	v_mov_b32_e32 v31, v0
	v_mov_b32_e32 v41, v0
	;; [unrolled: 1-line block ×15, first 2 shown]
	s_getpc_b64 s[10:11]
	s_add_u32 s10, s10, _ZN7rocprim17ROCPRIM_400000_NS6detail26segmented_warp_sort_helperINS1_20WarpSortHelperConfigILj8ELj4ELj256EEEhlLi256ELb1EvE4sortIPKhPhPKlPlEEvT_T0_T1_T2_jjjjRNS5_12storage_typeE@rel32@lo+4
	s_addc_u32 s11, s11, _ZN7rocprim17ROCPRIM_400000_NS6detail26segmented_warp_sort_helperINS1_20WarpSortHelperConfigILj8ELj4ELj256EEEhlLi256ELb1EvE4sortIPKhPhPKlPlEEvT_T0_T1_T2_jjjjRNS5_12storage_typeE@rel32@hi+12
	s_mov_b64 s[38:39], s[4:5]
	s_swappc_b64 s[30:31], s[10:11]
	v_mov_b32_e32 v0, v41
	s_mov_b64 s[4:5], s[38:39]
	s_mov_b64 s[6:7], 0
.LBB106_4:
	s_andn2_b64 vcc, exec, s[6:7]
	s_cbranch_vccnz .LBB106_6
; %bb.5:
	s_add_u32 s8, s4, 0x58
	s_addc_u32 s9, s5, 0
	s_mov_b64 s[4:5], src_shared_base
	s_mov_b32 s12, s34
	s_mov_b32 s13, s33
	v_mov_b32_e32 v31, v0
	v_mov_b32_e32 v0, s36
	;; [unrolled: 1-line block ×14, first 2 shown]
	s_getpc_b64 s[6:7]
	s_add_u32 s6, s6, _ZN7rocprim17ROCPRIM_400000_NS6detail26segmented_warp_sort_helperINS1_20WarpSortHelperConfigILj8ELj4ELj256EEEhlLi256ELb1EvE4sortIPKhPhPKlPlEEvT_T0_T1_T2_jjjjRNS5_12storage_typeE@rel32@lo+4
	s_addc_u32 s7, s7, _ZN7rocprim17ROCPRIM_400000_NS6detail26segmented_warp_sort_helperINS1_20WarpSortHelperConfigILj8ELj4ELj256EEEhlLi256ELb1EvE4sortIPKhPhPKlPlEEvT_T0_T1_T2_jjjjRNS5_12storage_typeE@rel32@hi+12
	s_swappc_b64 s[30:31], s[6:7]
.LBB106_6:
	s_endpgm
	.section	.rodata,"a",@progbits
	.p2align	6, 0x0
	.amdhsa_kernel _ZN7rocprim17ROCPRIM_400000_NS6detail17trampoline_kernelINS0_14default_configENS1_36segmented_radix_sort_config_selectorIhlEEZNS1_25segmented_radix_sort_implIS3_Lb1EPKhPhPKlPlN2at6native12_GLOBAL__N_18offset_tEEE10hipError_tPvRmT1_PNSt15iterator_traitsISK_E10value_typeET2_T3_PNSL_ISQ_E10value_typeET4_jRbjT5_SW_jjP12ihipStream_tbEUlT_E1_NS1_11comp_targetILNS1_3genE4ELNS1_11target_archE910ELNS1_3gpuE8ELNS1_3repE0EEENS1_59segmented_radix_sort_warp_sort_small_config_static_selectorELNS0_4arch9wavefront6targetE1EEEvSK_
		.amdhsa_group_segment_fixed_size 9216
		.amdhsa_private_segment_fixed_size 0
		.amdhsa_kernarg_size 344
		.amdhsa_user_sgpr_count 8
		.amdhsa_user_sgpr_private_segment_buffer 1
		.amdhsa_user_sgpr_dispatch_ptr 0
		.amdhsa_user_sgpr_queue_ptr 0
		.amdhsa_user_sgpr_kernarg_segment_ptr 1
		.amdhsa_user_sgpr_dispatch_id 0
		.amdhsa_user_sgpr_flat_scratch_init 1
		.amdhsa_user_sgpr_kernarg_preload_length 0
		.amdhsa_user_sgpr_kernarg_preload_offset 0
		.amdhsa_user_sgpr_private_segment_size 0
		.amdhsa_uses_dynamic_stack 0
		.amdhsa_system_sgpr_private_segment_wavefront_offset 0
		.amdhsa_system_sgpr_workgroup_id_x 1
		.amdhsa_system_sgpr_workgroup_id_y 1
		.amdhsa_system_sgpr_workgroup_id_z 0
		.amdhsa_system_sgpr_workgroup_info 0
		.amdhsa_system_vgpr_workitem_id 2
		.amdhsa_next_free_vgpr 68
		.amdhsa_next_free_sgpr 50
		.amdhsa_accum_offset 68
		.amdhsa_reserve_vcc 1
		.amdhsa_reserve_flat_scratch 1
		.amdhsa_float_round_mode_32 0
		.amdhsa_float_round_mode_16_64 0
		.amdhsa_float_denorm_mode_32 3
		.amdhsa_float_denorm_mode_16_64 3
		.amdhsa_dx10_clamp 1
		.amdhsa_ieee_mode 1
		.amdhsa_fp16_overflow 0
		.amdhsa_tg_split 0
		.amdhsa_exception_fp_ieee_invalid_op 0
		.amdhsa_exception_fp_denorm_src 0
		.amdhsa_exception_fp_ieee_div_zero 0
		.amdhsa_exception_fp_ieee_overflow 0
		.amdhsa_exception_fp_ieee_underflow 0
		.amdhsa_exception_fp_ieee_inexact 0
		.amdhsa_exception_int_div_zero 0
	.end_amdhsa_kernel
	.section	.text._ZN7rocprim17ROCPRIM_400000_NS6detail17trampoline_kernelINS0_14default_configENS1_36segmented_radix_sort_config_selectorIhlEEZNS1_25segmented_radix_sort_implIS3_Lb1EPKhPhPKlPlN2at6native12_GLOBAL__N_18offset_tEEE10hipError_tPvRmT1_PNSt15iterator_traitsISK_E10value_typeET2_T3_PNSL_ISQ_E10value_typeET4_jRbjT5_SW_jjP12ihipStream_tbEUlT_E1_NS1_11comp_targetILNS1_3genE4ELNS1_11target_archE910ELNS1_3gpuE8ELNS1_3repE0EEENS1_59segmented_radix_sort_warp_sort_small_config_static_selectorELNS0_4arch9wavefront6targetE1EEEvSK_,"axG",@progbits,_ZN7rocprim17ROCPRIM_400000_NS6detail17trampoline_kernelINS0_14default_configENS1_36segmented_radix_sort_config_selectorIhlEEZNS1_25segmented_radix_sort_implIS3_Lb1EPKhPhPKlPlN2at6native12_GLOBAL__N_18offset_tEEE10hipError_tPvRmT1_PNSt15iterator_traitsISK_E10value_typeET2_T3_PNSL_ISQ_E10value_typeET4_jRbjT5_SW_jjP12ihipStream_tbEUlT_E1_NS1_11comp_targetILNS1_3genE4ELNS1_11target_archE910ELNS1_3gpuE8ELNS1_3repE0EEENS1_59segmented_radix_sort_warp_sort_small_config_static_selectorELNS0_4arch9wavefront6targetE1EEEvSK_,comdat
.Lfunc_end106:
	.size	_ZN7rocprim17ROCPRIM_400000_NS6detail17trampoline_kernelINS0_14default_configENS1_36segmented_radix_sort_config_selectorIhlEEZNS1_25segmented_radix_sort_implIS3_Lb1EPKhPhPKlPlN2at6native12_GLOBAL__N_18offset_tEEE10hipError_tPvRmT1_PNSt15iterator_traitsISK_E10value_typeET2_T3_PNSL_ISQ_E10value_typeET4_jRbjT5_SW_jjP12ihipStream_tbEUlT_E1_NS1_11comp_targetILNS1_3genE4ELNS1_11target_archE910ELNS1_3gpuE8ELNS1_3repE0EEENS1_59segmented_radix_sort_warp_sort_small_config_static_selectorELNS0_4arch9wavefront6targetE1EEEvSK_, .Lfunc_end106-_ZN7rocprim17ROCPRIM_400000_NS6detail17trampoline_kernelINS0_14default_configENS1_36segmented_radix_sort_config_selectorIhlEEZNS1_25segmented_radix_sort_implIS3_Lb1EPKhPhPKlPlN2at6native12_GLOBAL__N_18offset_tEEE10hipError_tPvRmT1_PNSt15iterator_traitsISK_E10value_typeET2_T3_PNSL_ISQ_E10value_typeET4_jRbjT5_SW_jjP12ihipStream_tbEUlT_E1_NS1_11comp_targetILNS1_3genE4ELNS1_11target_archE910ELNS1_3gpuE8ELNS1_3repE0EEENS1_59segmented_radix_sort_warp_sort_small_config_static_selectorELNS0_4arch9wavefront6targetE1EEEvSK_
                                        ; -- End function
	.section	.AMDGPU.csdata,"",@progbits
; Kernel info:
; codeLenInByte = 504
; NumSgprs: 56
; NumVgprs: 68
; NumAgprs: 0
; TotalNumVgprs: 68
; ScratchSize: 0
; MemoryBound: 0
; FloatMode: 240
; IeeeMode: 1
; LDSByteSize: 9216 bytes/workgroup (compile time only)
; SGPRBlocks: 6
; VGPRBlocks: 8
; NumSGPRsForWavesPerEU: 56
; NumVGPRsForWavesPerEU: 68
; AccumOffset: 68
; Occupancy: 7
; WaveLimiterHint : 0
; COMPUTE_PGM_RSRC2:SCRATCH_EN: 0
; COMPUTE_PGM_RSRC2:USER_SGPR: 8
; COMPUTE_PGM_RSRC2:TRAP_HANDLER: 0
; COMPUTE_PGM_RSRC2:TGID_X_EN: 1
; COMPUTE_PGM_RSRC2:TGID_Y_EN: 1
; COMPUTE_PGM_RSRC2:TGID_Z_EN: 0
; COMPUTE_PGM_RSRC2:TIDIG_COMP_CNT: 2
; COMPUTE_PGM_RSRC3_GFX90A:ACCUM_OFFSET: 16
; COMPUTE_PGM_RSRC3_GFX90A:TG_SPLIT: 0
	.section	.text._ZN7rocprim17ROCPRIM_400000_NS6detail17trampoline_kernelINS0_14default_configENS1_36segmented_radix_sort_config_selectorIhlEEZNS1_25segmented_radix_sort_implIS3_Lb1EPKhPhPKlPlN2at6native12_GLOBAL__N_18offset_tEEE10hipError_tPvRmT1_PNSt15iterator_traitsISK_E10value_typeET2_T3_PNSL_ISQ_E10value_typeET4_jRbjT5_SW_jjP12ihipStream_tbEUlT_E1_NS1_11comp_targetILNS1_3genE3ELNS1_11target_archE908ELNS1_3gpuE7ELNS1_3repE0EEENS1_59segmented_radix_sort_warp_sort_small_config_static_selectorELNS0_4arch9wavefront6targetE1EEEvSK_,"axG",@progbits,_ZN7rocprim17ROCPRIM_400000_NS6detail17trampoline_kernelINS0_14default_configENS1_36segmented_radix_sort_config_selectorIhlEEZNS1_25segmented_radix_sort_implIS3_Lb1EPKhPhPKlPlN2at6native12_GLOBAL__N_18offset_tEEE10hipError_tPvRmT1_PNSt15iterator_traitsISK_E10value_typeET2_T3_PNSL_ISQ_E10value_typeET4_jRbjT5_SW_jjP12ihipStream_tbEUlT_E1_NS1_11comp_targetILNS1_3genE3ELNS1_11target_archE908ELNS1_3gpuE7ELNS1_3repE0EEENS1_59segmented_radix_sort_warp_sort_small_config_static_selectorELNS0_4arch9wavefront6targetE1EEEvSK_,comdat
	.globl	_ZN7rocprim17ROCPRIM_400000_NS6detail17trampoline_kernelINS0_14default_configENS1_36segmented_radix_sort_config_selectorIhlEEZNS1_25segmented_radix_sort_implIS3_Lb1EPKhPhPKlPlN2at6native12_GLOBAL__N_18offset_tEEE10hipError_tPvRmT1_PNSt15iterator_traitsISK_E10value_typeET2_T3_PNSL_ISQ_E10value_typeET4_jRbjT5_SW_jjP12ihipStream_tbEUlT_E1_NS1_11comp_targetILNS1_3genE3ELNS1_11target_archE908ELNS1_3gpuE7ELNS1_3repE0EEENS1_59segmented_radix_sort_warp_sort_small_config_static_selectorELNS0_4arch9wavefront6targetE1EEEvSK_ ; -- Begin function _ZN7rocprim17ROCPRIM_400000_NS6detail17trampoline_kernelINS0_14default_configENS1_36segmented_radix_sort_config_selectorIhlEEZNS1_25segmented_radix_sort_implIS3_Lb1EPKhPhPKlPlN2at6native12_GLOBAL__N_18offset_tEEE10hipError_tPvRmT1_PNSt15iterator_traitsISK_E10value_typeET2_T3_PNSL_ISQ_E10value_typeET4_jRbjT5_SW_jjP12ihipStream_tbEUlT_E1_NS1_11comp_targetILNS1_3genE3ELNS1_11target_archE908ELNS1_3gpuE7ELNS1_3repE0EEENS1_59segmented_radix_sort_warp_sort_small_config_static_selectorELNS0_4arch9wavefront6targetE1EEEvSK_
	.p2align	8
	.type	_ZN7rocprim17ROCPRIM_400000_NS6detail17trampoline_kernelINS0_14default_configENS1_36segmented_radix_sort_config_selectorIhlEEZNS1_25segmented_radix_sort_implIS3_Lb1EPKhPhPKlPlN2at6native12_GLOBAL__N_18offset_tEEE10hipError_tPvRmT1_PNSt15iterator_traitsISK_E10value_typeET2_T3_PNSL_ISQ_E10value_typeET4_jRbjT5_SW_jjP12ihipStream_tbEUlT_E1_NS1_11comp_targetILNS1_3genE3ELNS1_11target_archE908ELNS1_3gpuE7ELNS1_3repE0EEENS1_59segmented_radix_sort_warp_sort_small_config_static_selectorELNS0_4arch9wavefront6targetE1EEEvSK_,@function
_ZN7rocprim17ROCPRIM_400000_NS6detail17trampoline_kernelINS0_14default_configENS1_36segmented_radix_sort_config_selectorIhlEEZNS1_25segmented_radix_sort_implIS3_Lb1EPKhPhPKlPlN2at6native12_GLOBAL__N_18offset_tEEE10hipError_tPvRmT1_PNSt15iterator_traitsISK_E10value_typeET2_T3_PNSL_ISQ_E10value_typeET4_jRbjT5_SW_jjP12ihipStream_tbEUlT_E1_NS1_11comp_targetILNS1_3genE3ELNS1_11target_archE908ELNS1_3gpuE7ELNS1_3repE0EEENS1_59segmented_radix_sort_warp_sort_small_config_static_selectorELNS0_4arch9wavefront6targetE1EEEvSK_: ; @_ZN7rocprim17ROCPRIM_400000_NS6detail17trampoline_kernelINS0_14default_configENS1_36segmented_radix_sort_config_selectorIhlEEZNS1_25segmented_radix_sort_implIS3_Lb1EPKhPhPKlPlN2at6native12_GLOBAL__N_18offset_tEEE10hipError_tPvRmT1_PNSt15iterator_traitsISK_E10value_typeET2_T3_PNSL_ISQ_E10value_typeET4_jRbjT5_SW_jjP12ihipStream_tbEUlT_E1_NS1_11comp_targetILNS1_3genE3ELNS1_11target_archE908ELNS1_3gpuE7ELNS1_3repE0EEENS1_59segmented_radix_sort_warp_sort_small_config_static_selectorELNS0_4arch9wavefront6targetE1EEEvSK_
; %bb.0:
	.section	.rodata,"a",@progbits
	.p2align	6, 0x0
	.amdhsa_kernel _ZN7rocprim17ROCPRIM_400000_NS6detail17trampoline_kernelINS0_14default_configENS1_36segmented_radix_sort_config_selectorIhlEEZNS1_25segmented_radix_sort_implIS3_Lb1EPKhPhPKlPlN2at6native12_GLOBAL__N_18offset_tEEE10hipError_tPvRmT1_PNSt15iterator_traitsISK_E10value_typeET2_T3_PNSL_ISQ_E10value_typeET4_jRbjT5_SW_jjP12ihipStream_tbEUlT_E1_NS1_11comp_targetILNS1_3genE3ELNS1_11target_archE908ELNS1_3gpuE7ELNS1_3repE0EEENS1_59segmented_radix_sort_warp_sort_small_config_static_selectorELNS0_4arch9wavefront6targetE1EEEvSK_
		.amdhsa_group_segment_fixed_size 0
		.amdhsa_private_segment_fixed_size 0
		.amdhsa_kernarg_size 88
		.amdhsa_user_sgpr_count 6
		.amdhsa_user_sgpr_private_segment_buffer 1
		.amdhsa_user_sgpr_dispatch_ptr 0
		.amdhsa_user_sgpr_queue_ptr 0
		.amdhsa_user_sgpr_kernarg_segment_ptr 1
		.amdhsa_user_sgpr_dispatch_id 0
		.amdhsa_user_sgpr_flat_scratch_init 0
		.amdhsa_user_sgpr_kernarg_preload_length 0
		.amdhsa_user_sgpr_kernarg_preload_offset 0
		.amdhsa_user_sgpr_private_segment_size 0
		.amdhsa_uses_dynamic_stack 0
		.amdhsa_system_sgpr_private_segment_wavefront_offset 0
		.amdhsa_system_sgpr_workgroup_id_x 1
		.amdhsa_system_sgpr_workgroup_id_y 0
		.amdhsa_system_sgpr_workgroup_id_z 0
		.amdhsa_system_sgpr_workgroup_info 0
		.amdhsa_system_vgpr_workitem_id 0
		.amdhsa_next_free_vgpr 1
		.amdhsa_next_free_sgpr 0
		.amdhsa_accum_offset 4
		.amdhsa_reserve_vcc 0
		.amdhsa_reserve_flat_scratch 0
		.amdhsa_float_round_mode_32 0
		.amdhsa_float_round_mode_16_64 0
		.amdhsa_float_denorm_mode_32 3
		.amdhsa_float_denorm_mode_16_64 3
		.amdhsa_dx10_clamp 1
		.amdhsa_ieee_mode 1
		.amdhsa_fp16_overflow 0
		.amdhsa_tg_split 0
		.amdhsa_exception_fp_ieee_invalid_op 0
		.amdhsa_exception_fp_denorm_src 0
		.amdhsa_exception_fp_ieee_div_zero 0
		.amdhsa_exception_fp_ieee_overflow 0
		.amdhsa_exception_fp_ieee_underflow 0
		.amdhsa_exception_fp_ieee_inexact 0
		.amdhsa_exception_int_div_zero 0
	.end_amdhsa_kernel
	.section	.text._ZN7rocprim17ROCPRIM_400000_NS6detail17trampoline_kernelINS0_14default_configENS1_36segmented_radix_sort_config_selectorIhlEEZNS1_25segmented_radix_sort_implIS3_Lb1EPKhPhPKlPlN2at6native12_GLOBAL__N_18offset_tEEE10hipError_tPvRmT1_PNSt15iterator_traitsISK_E10value_typeET2_T3_PNSL_ISQ_E10value_typeET4_jRbjT5_SW_jjP12ihipStream_tbEUlT_E1_NS1_11comp_targetILNS1_3genE3ELNS1_11target_archE908ELNS1_3gpuE7ELNS1_3repE0EEENS1_59segmented_radix_sort_warp_sort_small_config_static_selectorELNS0_4arch9wavefront6targetE1EEEvSK_,"axG",@progbits,_ZN7rocprim17ROCPRIM_400000_NS6detail17trampoline_kernelINS0_14default_configENS1_36segmented_radix_sort_config_selectorIhlEEZNS1_25segmented_radix_sort_implIS3_Lb1EPKhPhPKlPlN2at6native12_GLOBAL__N_18offset_tEEE10hipError_tPvRmT1_PNSt15iterator_traitsISK_E10value_typeET2_T3_PNSL_ISQ_E10value_typeET4_jRbjT5_SW_jjP12ihipStream_tbEUlT_E1_NS1_11comp_targetILNS1_3genE3ELNS1_11target_archE908ELNS1_3gpuE7ELNS1_3repE0EEENS1_59segmented_radix_sort_warp_sort_small_config_static_selectorELNS0_4arch9wavefront6targetE1EEEvSK_,comdat
.Lfunc_end107:
	.size	_ZN7rocprim17ROCPRIM_400000_NS6detail17trampoline_kernelINS0_14default_configENS1_36segmented_radix_sort_config_selectorIhlEEZNS1_25segmented_radix_sort_implIS3_Lb1EPKhPhPKlPlN2at6native12_GLOBAL__N_18offset_tEEE10hipError_tPvRmT1_PNSt15iterator_traitsISK_E10value_typeET2_T3_PNSL_ISQ_E10value_typeET4_jRbjT5_SW_jjP12ihipStream_tbEUlT_E1_NS1_11comp_targetILNS1_3genE3ELNS1_11target_archE908ELNS1_3gpuE7ELNS1_3repE0EEENS1_59segmented_radix_sort_warp_sort_small_config_static_selectorELNS0_4arch9wavefront6targetE1EEEvSK_, .Lfunc_end107-_ZN7rocprim17ROCPRIM_400000_NS6detail17trampoline_kernelINS0_14default_configENS1_36segmented_radix_sort_config_selectorIhlEEZNS1_25segmented_radix_sort_implIS3_Lb1EPKhPhPKlPlN2at6native12_GLOBAL__N_18offset_tEEE10hipError_tPvRmT1_PNSt15iterator_traitsISK_E10value_typeET2_T3_PNSL_ISQ_E10value_typeET4_jRbjT5_SW_jjP12ihipStream_tbEUlT_E1_NS1_11comp_targetILNS1_3genE3ELNS1_11target_archE908ELNS1_3gpuE7ELNS1_3repE0EEENS1_59segmented_radix_sort_warp_sort_small_config_static_selectorELNS0_4arch9wavefront6targetE1EEEvSK_
                                        ; -- End function
	.section	.AMDGPU.csdata,"",@progbits
; Kernel info:
; codeLenInByte = 0
; NumSgprs: 4
; NumVgprs: 0
; NumAgprs: 0
; TotalNumVgprs: 0
; ScratchSize: 0
; MemoryBound: 0
; FloatMode: 240
; IeeeMode: 1
; LDSByteSize: 0 bytes/workgroup (compile time only)
; SGPRBlocks: 0
; VGPRBlocks: 0
; NumSGPRsForWavesPerEU: 4
; NumVGPRsForWavesPerEU: 1
; AccumOffset: 4
; Occupancy: 8
; WaveLimiterHint : 0
; COMPUTE_PGM_RSRC2:SCRATCH_EN: 0
; COMPUTE_PGM_RSRC2:USER_SGPR: 6
; COMPUTE_PGM_RSRC2:TRAP_HANDLER: 0
; COMPUTE_PGM_RSRC2:TGID_X_EN: 1
; COMPUTE_PGM_RSRC2:TGID_Y_EN: 0
; COMPUTE_PGM_RSRC2:TGID_Z_EN: 0
; COMPUTE_PGM_RSRC2:TIDIG_COMP_CNT: 0
; COMPUTE_PGM_RSRC3_GFX90A:ACCUM_OFFSET: 0
; COMPUTE_PGM_RSRC3_GFX90A:TG_SPLIT: 0
	.section	.text._ZN7rocprim17ROCPRIM_400000_NS6detail17trampoline_kernelINS0_14default_configENS1_36segmented_radix_sort_config_selectorIhlEEZNS1_25segmented_radix_sort_implIS3_Lb1EPKhPhPKlPlN2at6native12_GLOBAL__N_18offset_tEEE10hipError_tPvRmT1_PNSt15iterator_traitsISK_E10value_typeET2_T3_PNSL_ISQ_E10value_typeET4_jRbjT5_SW_jjP12ihipStream_tbEUlT_E1_NS1_11comp_targetILNS1_3genE2ELNS1_11target_archE906ELNS1_3gpuE6ELNS1_3repE0EEENS1_59segmented_radix_sort_warp_sort_small_config_static_selectorELNS0_4arch9wavefront6targetE1EEEvSK_,"axG",@progbits,_ZN7rocprim17ROCPRIM_400000_NS6detail17trampoline_kernelINS0_14default_configENS1_36segmented_radix_sort_config_selectorIhlEEZNS1_25segmented_radix_sort_implIS3_Lb1EPKhPhPKlPlN2at6native12_GLOBAL__N_18offset_tEEE10hipError_tPvRmT1_PNSt15iterator_traitsISK_E10value_typeET2_T3_PNSL_ISQ_E10value_typeET4_jRbjT5_SW_jjP12ihipStream_tbEUlT_E1_NS1_11comp_targetILNS1_3genE2ELNS1_11target_archE906ELNS1_3gpuE6ELNS1_3repE0EEENS1_59segmented_radix_sort_warp_sort_small_config_static_selectorELNS0_4arch9wavefront6targetE1EEEvSK_,comdat
	.globl	_ZN7rocprim17ROCPRIM_400000_NS6detail17trampoline_kernelINS0_14default_configENS1_36segmented_radix_sort_config_selectorIhlEEZNS1_25segmented_radix_sort_implIS3_Lb1EPKhPhPKlPlN2at6native12_GLOBAL__N_18offset_tEEE10hipError_tPvRmT1_PNSt15iterator_traitsISK_E10value_typeET2_T3_PNSL_ISQ_E10value_typeET4_jRbjT5_SW_jjP12ihipStream_tbEUlT_E1_NS1_11comp_targetILNS1_3genE2ELNS1_11target_archE906ELNS1_3gpuE6ELNS1_3repE0EEENS1_59segmented_radix_sort_warp_sort_small_config_static_selectorELNS0_4arch9wavefront6targetE1EEEvSK_ ; -- Begin function _ZN7rocprim17ROCPRIM_400000_NS6detail17trampoline_kernelINS0_14default_configENS1_36segmented_radix_sort_config_selectorIhlEEZNS1_25segmented_radix_sort_implIS3_Lb1EPKhPhPKlPlN2at6native12_GLOBAL__N_18offset_tEEE10hipError_tPvRmT1_PNSt15iterator_traitsISK_E10value_typeET2_T3_PNSL_ISQ_E10value_typeET4_jRbjT5_SW_jjP12ihipStream_tbEUlT_E1_NS1_11comp_targetILNS1_3genE2ELNS1_11target_archE906ELNS1_3gpuE6ELNS1_3repE0EEENS1_59segmented_radix_sort_warp_sort_small_config_static_selectorELNS0_4arch9wavefront6targetE1EEEvSK_
	.p2align	8
	.type	_ZN7rocprim17ROCPRIM_400000_NS6detail17trampoline_kernelINS0_14default_configENS1_36segmented_radix_sort_config_selectorIhlEEZNS1_25segmented_radix_sort_implIS3_Lb1EPKhPhPKlPlN2at6native12_GLOBAL__N_18offset_tEEE10hipError_tPvRmT1_PNSt15iterator_traitsISK_E10value_typeET2_T3_PNSL_ISQ_E10value_typeET4_jRbjT5_SW_jjP12ihipStream_tbEUlT_E1_NS1_11comp_targetILNS1_3genE2ELNS1_11target_archE906ELNS1_3gpuE6ELNS1_3repE0EEENS1_59segmented_radix_sort_warp_sort_small_config_static_selectorELNS0_4arch9wavefront6targetE1EEEvSK_,@function
_ZN7rocprim17ROCPRIM_400000_NS6detail17trampoline_kernelINS0_14default_configENS1_36segmented_radix_sort_config_selectorIhlEEZNS1_25segmented_radix_sort_implIS3_Lb1EPKhPhPKlPlN2at6native12_GLOBAL__N_18offset_tEEE10hipError_tPvRmT1_PNSt15iterator_traitsISK_E10value_typeET2_T3_PNSL_ISQ_E10value_typeET4_jRbjT5_SW_jjP12ihipStream_tbEUlT_E1_NS1_11comp_targetILNS1_3genE2ELNS1_11target_archE906ELNS1_3gpuE6ELNS1_3repE0EEENS1_59segmented_radix_sort_warp_sort_small_config_static_selectorELNS0_4arch9wavefront6targetE1EEEvSK_: ; @_ZN7rocprim17ROCPRIM_400000_NS6detail17trampoline_kernelINS0_14default_configENS1_36segmented_radix_sort_config_selectorIhlEEZNS1_25segmented_radix_sort_implIS3_Lb1EPKhPhPKlPlN2at6native12_GLOBAL__N_18offset_tEEE10hipError_tPvRmT1_PNSt15iterator_traitsISK_E10value_typeET2_T3_PNSL_ISQ_E10value_typeET4_jRbjT5_SW_jjP12ihipStream_tbEUlT_E1_NS1_11comp_targetILNS1_3genE2ELNS1_11target_archE906ELNS1_3gpuE6ELNS1_3repE0EEENS1_59segmented_radix_sort_warp_sort_small_config_static_selectorELNS0_4arch9wavefront6targetE1EEEvSK_
; %bb.0:
	.section	.rodata,"a",@progbits
	.p2align	6, 0x0
	.amdhsa_kernel _ZN7rocprim17ROCPRIM_400000_NS6detail17trampoline_kernelINS0_14default_configENS1_36segmented_radix_sort_config_selectorIhlEEZNS1_25segmented_radix_sort_implIS3_Lb1EPKhPhPKlPlN2at6native12_GLOBAL__N_18offset_tEEE10hipError_tPvRmT1_PNSt15iterator_traitsISK_E10value_typeET2_T3_PNSL_ISQ_E10value_typeET4_jRbjT5_SW_jjP12ihipStream_tbEUlT_E1_NS1_11comp_targetILNS1_3genE2ELNS1_11target_archE906ELNS1_3gpuE6ELNS1_3repE0EEENS1_59segmented_radix_sort_warp_sort_small_config_static_selectorELNS0_4arch9wavefront6targetE1EEEvSK_
		.amdhsa_group_segment_fixed_size 0
		.amdhsa_private_segment_fixed_size 0
		.amdhsa_kernarg_size 88
		.amdhsa_user_sgpr_count 6
		.amdhsa_user_sgpr_private_segment_buffer 1
		.amdhsa_user_sgpr_dispatch_ptr 0
		.amdhsa_user_sgpr_queue_ptr 0
		.amdhsa_user_sgpr_kernarg_segment_ptr 1
		.amdhsa_user_sgpr_dispatch_id 0
		.amdhsa_user_sgpr_flat_scratch_init 0
		.amdhsa_user_sgpr_kernarg_preload_length 0
		.amdhsa_user_sgpr_kernarg_preload_offset 0
		.amdhsa_user_sgpr_private_segment_size 0
		.amdhsa_uses_dynamic_stack 0
		.amdhsa_system_sgpr_private_segment_wavefront_offset 0
		.amdhsa_system_sgpr_workgroup_id_x 1
		.amdhsa_system_sgpr_workgroup_id_y 0
		.amdhsa_system_sgpr_workgroup_id_z 0
		.amdhsa_system_sgpr_workgroup_info 0
		.amdhsa_system_vgpr_workitem_id 0
		.amdhsa_next_free_vgpr 1
		.amdhsa_next_free_sgpr 0
		.amdhsa_accum_offset 4
		.amdhsa_reserve_vcc 0
		.amdhsa_reserve_flat_scratch 0
		.amdhsa_float_round_mode_32 0
		.amdhsa_float_round_mode_16_64 0
		.amdhsa_float_denorm_mode_32 3
		.amdhsa_float_denorm_mode_16_64 3
		.amdhsa_dx10_clamp 1
		.amdhsa_ieee_mode 1
		.amdhsa_fp16_overflow 0
		.amdhsa_tg_split 0
		.amdhsa_exception_fp_ieee_invalid_op 0
		.amdhsa_exception_fp_denorm_src 0
		.amdhsa_exception_fp_ieee_div_zero 0
		.amdhsa_exception_fp_ieee_overflow 0
		.amdhsa_exception_fp_ieee_underflow 0
		.amdhsa_exception_fp_ieee_inexact 0
		.amdhsa_exception_int_div_zero 0
	.end_amdhsa_kernel
	.section	.text._ZN7rocprim17ROCPRIM_400000_NS6detail17trampoline_kernelINS0_14default_configENS1_36segmented_radix_sort_config_selectorIhlEEZNS1_25segmented_radix_sort_implIS3_Lb1EPKhPhPKlPlN2at6native12_GLOBAL__N_18offset_tEEE10hipError_tPvRmT1_PNSt15iterator_traitsISK_E10value_typeET2_T3_PNSL_ISQ_E10value_typeET4_jRbjT5_SW_jjP12ihipStream_tbEUlT_E1_NS1_11comp_targetILNS1_3genE2ELNS1_11target_archE906ELNS1_3gpuE6ELNS1_3repE0EEENS1_59segmented_radix_sort_warp_sort_small_config_static_selectorELNS0_4arch9wavefront6targetE1EEEvSK_,"axG",@progbits,_ZN7rocprim17ROCPRIM_400000_NS6detail17trampoline_kernelINS0_14default_configENS1_36segmented_radix_sort_config_selectorIhlEEZNS1_25segmented_radix_sort_implIS3_Lb1EPKhPhPKlPlN2at6native12_GLOBAL__N_18offset_tEEE10hipError_tPvRmT1_PNSt15iterator_traitsISK_E10value_typeET2_T3_PNSL_ISQ_E10value_typeET4_jRbjT5_SW_jjP12ihipStream_tbEUlT_E1_NS1_11comp_targetILNS1_3genE2ELNS1_11target_archE906ELNS1_3gpuE6ELNS1_3repE0EEENS1_59segmented_radix_sort_warp_sort_small_config_static_selectorELNS0_4arch9wavefront6targetE1EEEvSK_,comdat
.Lfunc_end108:
	.size	_ZN7rocprim17ROCPRIM_400000_NS6detail17trampoline_kernelINS0_14default_configENS1_36segmented_radix_sort_config_selectorIhlEEZNS1_25segmented_radix_sort_implIS3_Lb1EPKhPhPKlPlN2at6native12_GLOBAL__N_18offset_tEEE10hipError_tPvRmT1_PNSt15iterator_traitsISK_E10value_typeET2_T3_PNSL_ISQ_E10value_typeET4_jRbjT5_SW_jjP12ihipStream_tbEUlT_E1_NS1_11comp_targetILNS1_3genE2ELNS1_11target_archE906ELNS1_3gpuE6ELNS1_3repE0EEENS1_59segmented_radix_sort_warp_sort_small_config_static_selectorELNS0_4arch9wavefront6targetE1EEEvSK_, .Lfunc_end108-_ZN7rocprim17ROCPRIM_400000_NS6detail17trampoline_kernelINS0_14default_configENS1_36segmented_radix_sort_config_selectorIhlEEZNS1_25segmented_radix_sort_implIS3_Lb1EPKhPhPKlPlN2at6native12_GLOBAL__N_18offset_tEEE10hipError_tPvRmT1_PNSt15iterator_traitsISK_E10value_typeET2_T3_PNSL_ISQ_E10value_typeET4_jRbjT5_SW_jjP12ihipStream_tbEUlT_E1_NS1_11comp_targetILNS1_3genE2ELNS1_11target_archE906ELNS1_3gpuE6ELNS1_3repE0EEENS1_59segmented_radix_sort_warp_sort_small_config_static_selectorELNS0_4arch9wavefront6targetE1EEEvSK_
                                        ; -- End function
	.section	.AMDGPU.csdata,"",@progbits
; Kernel info:
; codeLenInByte = 0
; NumSgprs: 4
; NumVgprs: 0
; NumAgprs: 0
; TotalNumVgprs: 0
; ScratchSize: 0
; MemoryBound: 0
; FloatMode: 240
; IeeeMode: 1
; LDSByteSize: 0 bytes/workgroup (compile time only)
; SGPRBlocks: 0
; VGPRBlocks: 0
; NumSGPRsForWavesPerEU: 4
; NumVGPRsForWavesPerEU: 1
; AccumOffset: 4
; Occupancy: 8
; WaveLimiterHint : 0
; COMPUTE_PGM_RSRC2:SCRATCH_EN: 0
; COMPUTE_PGM_RSRC2:USER_SGPR: 6
; COMPUTE_PGM_RSRC2:TRAP_HANDLER: 0
; COMPUTE_PGM_RSRC2:TGID_X_EN: 1
; COMPUTE_PGM_RSRC2:TGID_Y_EN: 0
; COMPUTE_PGM_RSRC2:TGID_Z_EN: 0
; COMPUTE_PGM_RSRC2:TIDIG_COMP_CNT: 0
; COMPUTE_PGM_RSRC3_GFX90A:ACCUM_OFFSET: 0
; COMPUTE_PGM_RSRC3_GFX90A:TG_SPLIT: 0
	.section	.text._ZN7rocprim17ROCPRIM_400000_NS6detail17trampoline_kernelINS0_14default_configENS1_36segmented_radix_sort_config_selectorIhlEEZNS1_25segmented_radix_sort_implIS3_Lb1EPKhPhPKlPlN2at6native12_GLOBAL__N_18offset_tEEE10hipError_tPvRmT1_PNSt15iterator_traitsISK_E10value_typeET2_T3_PNSL_ISQ_E10value_typeET4_jRbjT5_SW_jjP12ihipStream_tbEUlT_E1_NS1_11comp_targetILNS1_3genE10ELNS1_11target_archE1201ELNS1_3gpuE5ELNS1_3repE0EEENS1_59segmented_radix_sort_warp_sort_small_config_static_selectorELNS0_4arch9wavefront6targetE1EEEvSK_,"axG",@progbits,_ZN7rocprim17ROCPRIM_400000_NS6detail17trampoline_kernelINS0_14default_configENS1_36segmented_radix_sort_config_selectorIhlEEZNS1_25segmented_radix_sort_implIS3_Lb1EPKhPhPKlPlN2at6native12_GLOBAL__N_18offset_tEEE10hipError_tPvRmT1_PNSt15iterator_traitsISK_E10value_typeET2_T3_PNSL_ISQ_E10value_typeET4_jRbjT5_SW_jjP12ihipStream_tbEUlT_E1_NS1_11comp_targetILNS1_3genE10ELNS1_11target_archE1201ELNS1_3gpuE5ELNS1_3repE0EEENS1_59segmented_radix_sort_warp_sort_small_config_static_selectorELNS0_4arch9wavefront6targetE1EEEvSK_,comdat
	.globl	_ZN7rocprim17ROCPRIM_400000_NS6detail17trampoline_kernelINS0_14default_configENS1_36segmented_radix_sort_config_selectorIhlEEZNS1_25segmented_radix_sort_implIS3_Lb1EPKhPhPKlPlN2at6native12_GLOBAL__N_18offset_tEEE10hipError_tPvRmT1_PNSt15iterator_traitsISK_E10value_typeET2_T3_PNSL_ISQ_E10value_typeET4_jRbjT5_SW_jjP12ihipStream_tbEUlT_E1_NS1_11comp_targetILNS1_3genE10ELNS1_11target_archE1201ELNS1_3gpuE5ELNS1_3repE0EEENS1_59segmented_radix_sort_warp_sort_small_config_static_selectorELNS0_4arch9wavefront6targetE1EEEvSK_ ; -- Begin function _ZN7rocprim17ROCPRIM_400000_NS6detail17trampoline_kernelINS0_14default_configENS1_36segmented_radix_sort_config_selectorIhlEEZNS1_25segmented_radix_sort_implIS3_Lb1EPKhPhPKlPlN2at6native12_GLOBAL__N_18offset_tEEE10hipError_tPvRmT1_PNSt15iterator_traitsISK_E10value_typeET2_T3_PNSL_ISQ_E10value_typeET4_jRbjT5_SW_jjP12ihipStream_tbEUlT_E1_NS1_11comp_targetILNS1_3genE10ELNS1_11target_archE1201ELNS1_3gpuE5ELNS1_3repE0EEENS1_59segmented_radix_sort_warp_sort_small_config_static_selectorELNS0_4arch9wavefront6targetE1EEEvSK_
	.p2align	8
	.type	_ZN7rocprim17ROCPRIM_400000_NS6detail17trampoline_kernelINS0_14default_configENS1_36segmented_radix_sort_config_selectorIhlEEZNS1_25segmented_radix_sort_implIS3_Lb1EPKhPhPKlPlN2at6native12_GLOBAL__N_18offset_tEEE10hipError_tPvRmT1_PNSt15iterator_traitsISK_E10value_typeET2_T3_PNSL_ISQ_E10value_typeET4_jRbjT5_SW_jjP12ihipStream_tbEUlT_E1_NS1_11comp_targetILNS1_3genE10ELNS1_11target_archE1201ELNS1_3gpuE5ELNS1_3repE0EEENS1_59segmented_radix_sort_warp_sort_small_config_static_selectorELNS0_4arch9wavefront6targetE1EEEvSK_,@function
_ZN7rocprim17ROCPRIM_400000_NS6detail17trampoline_kernelINS0_14default_configENS1_36segmented_radix_sort_config_selectorIhlEEZNS1_25segmented_radix_sort_implIS3_Lb1EPKhPhPKlPlN2at6native12_GLOBAL__N_18offset_tEEE10hipError_tPvRmT1_PNSt15iterator_traitsISK_E10value_typeET2_T3_PNSL_ISQ_E10value_typeET4_jRbjT5_SW_jjP12ihipStream_tbEUlT_E1_NS1_11comp_targetILNS1_3genE10ELNS1_11target_archE1201ELNS1_3gpuE5ELNS1_3repE0EEENS1_59segmented_radix_sort_warp_sort_small_config_static_selectorELNS0_4arch9wavefront6targetE1EEEvSK_: ; @_ZN7rocprim17ROCPRIM_400000_NS6detail17trampoline_kernelINS0_14default_configENS1_36segmented_radix_sort_config_selectorIhlEEZNS1_25segmented_radix_sort_implIS3_Lb1EPKhPhPKlPlN2at6native12_GLOBAL__N_18offset_tEEE10hipError_tPvRmT1_PNSt15iterator_traitsISK_E10value_typeET2_T3_PNSL_ISQ_E10value_typeET4_jRbjT5_SW_jjP12ihipStream_tbEUlT_E1_NS1_11comp_targetILNS1_3genE10ELNS1_11target_archE1201ELNS1_3gpuE5ELNS1_3repE0EEENS1_59segmented_radix_sort_warp_sort_small_config_static_selectorELNS0_4arch9wavefront6targetE1EEEvSK_
; %bb.0:
	.section	.rodata,"a",@progbits
	.p2align	6, 0x0
	.amdhsa_kernel _ZN7rocprim17ROCPRIM_400000_NS6detail17trampoline_kernelINS0_14default_configENS1_36segmented_radix_sort_config_selectorIhlEEZNS1_25segmented_radix_sort_implIS3_Lb1EPKhPhPKlPlN2at6native12_GLOBAL__N_18offset_tEEE10hipError_tPvRmT1_PNSt15iterator_traitsISK_E10value_typeET2_T3_PNSL_ISQ_E10value_typeET4_jRbjT5_SW_jjP12ihipStream_tbEUlT_E1_NS1_11comp_targetILNS1_3genE10ELNS1_11target_archE1201ELNS1_3gpuE5ELNS1_3repE0EEENS1_59segmented_radix_sort_warp_sort_small_config_static_selectorELNS0_4arch9wavefront6targetE1EEEvSK_
		.amdhsa_group_segment_fixed_size 0
		.amdhsa_private_segment_fixed_size 0
		.amdhsa_kernarg_size 88
		.amdhsa_user_sgpr_count 6
		.amdhsa_user_sgpr_private_segment_buffer 1
		.amdhsa_user_sgpr_dispatch_ptr 0
		.amdhsa_user_sgpr_queue_ptr 0
		.amdhsa_user_sgpr_kernarg_segment_ptr 1
		.amdhsa_user_sgpr_dispatch_id 0
		.amdhsa_user_sgpr_flat_scratch_init 0
		.amdhsa_user_sgpr_kernarg_preload_length 0
		.amdhsa_user_sgpr_kernarg_preload_offset 0
		.amdhsa_user_sgpr_private_segment_size 0
		.amdhsa_uses_dynamic_stack 0
		.amdhsa_system_sgpr_private_segment_wavefront_offset 0
		.amdhsa_system_sgpr_workgroup_id_x 1
		.amdhsa_system_sgpr_workgroup_id_y 0
		.amdhsa_system_sgpr_workgroup_id_z 0
		.amdhsa_system_sgpr_workgroup_info 0
		.amdhsa_system_vgpr_workitem_id 0
		.amdhsa_next_free_vgpr 1
		.amdhsa_next_free_sgpr 0
		.amdhsa_accum_offset 4
		.amdhsa_reserve_vcc 0
		.amdhsa_reserve_flat_scratch 0
		.amdhsa_float_round_mode_32 0
		.amdhsa_float_round_mode_16_64 0
		.amdhsa_float_denorm_mode_32 3
		.amdhsa_float_denorm_mode_16_64 3
		.amdhsa_dx10_clamp 1
		.amdhsa_ieee_mode 1
		.amdhsa_fp16_overflow 0
		.amdhsa_tg_split 0
		.amdhsa_exception_fp_ieee_invalid_op 0
		.amdhsa_exception_fp_denorm_src 0
		.amdhsa_exception_fp_ieee_div_zero 0
		.amdhsa_exception_fp_ieee_overflow 0
		.amdhsa_exception_fp_ieee_underflow 0
		.amdhsa_exception_fp_ieee_inexact 0
		.amdhsa_exception_int_div_zero 0
	.end_amdhsa_kernel
	.section	.text._ZN7rocprim17ROCPRIM_400000_NS6detail17trampoline_kernelINS0_14default_configENS1_36segmented_radix_sort_config_selectorIhlEEZNS1_25segmented_radix_sort_implIS3_Lb1EPKhPhPKlPlN2at6native12_GLOBAL__N_18offset_tEEE10hipError_tPvRmT1_PNSt15iterator_traitsISK_E10value_typeET2_T3_PNSL_ISQ_E10value_typeET4_jRbjT5_SW_jjP12ihipStream_tbEUlT_E1_NS1_11comp_targetILNS1_3genE10ELNS1_11target_archE1201ELNS1_3gpuE5ELNS1_3repE0EEENS1_59segmented_radix_sort_warp_sort_small_config_static_selectorELNS0_4arch9wavefront6targetE1EEEvSK_,"axG",@progbits,_ZN7rocprim17ROCPRIM_400000_NS6detail17trampoline_kernelINS0_14default_configENS1_36segmented_radix_sort_config_selectorIhlEEZNS1_25segmented_radix_sort_implIS3_Lb1EPKhPhPKlPlN2at6native12_GLOBAL__N_18offset_tEEE10hipError_tPvRmT1_PNSt15iterator_traitsISK_E10value_typeET2_T3_PNSL_ISQ_E10value_typeET4_jRbjT5_SW_jjP12ihipStream_tbEUlT_E1_NS1_11comp_targetILNS1_3genE10ELNS1_11target_archE1201ELNS1_3gpuE5ELNS1_3repE0EEENS1_59segmented_radix_sort_warp_sort_small_config_static_selectorELNS0_4arch9wavefront6targetE1EEEvSK_,comdat
.Lfunc_end109:
	.size	_ZN7rocprim17ROCPRIM_400000_NS6detail17trampoline_kernelINS0_14default_configENS1_36segmented_radix_sort_config_selectorIhlEEZNS1_25segmented_radix_sort_implIS3_Lb1EPKhPhPKlPlN2at6native12_GLOBAL__N_18offset_tEEE10hipError_tPvRmT1_PNSt15iterator_traitsISK_E10value_typeET2_T3_PNSL_ISQ_E10value_typeET4_jRbjT5_SW_jjP12ihipStream_tbEUlT_E1_NS1_11comp_targetILNS1_3genE10ELNS1_11target_archE1201ELNS1_3gpuE5ELNS1_3repE0EEENS1_59segmented_radix_sort_warp_sort_small_config_static_selectorELNS0_4arch9wavefront6targetE1EEEvSK_, .Lfunc_end109-_ZN7rocprim17ROCPRIM_400000_NS6detail17trampoline_kernelINS0_14default_configENS1_36segmented_radix_sort_config_selectorIhlEEZNS1_25segmented_radix_sort_implIS3_Lb1EPKhPhPKlPlN2at6native12_GLOBAL__N_18offset_tEEE10hipError_tPvRmT1_PNSt15iterator_traitsISK_E10value_typeET2_T3_PNSL_ISQ_E10value_typeET4_jRbjT5_SW_jjP12ihipStream_tbEUlT_E1_NS1_11comp_targetILNS1_3genE10ELNS1_11target_archE1201ELNS1_3gpuE5ELNS1_3repE0EEENS1_59segmented_radix_sort_warp_sort_small_config_static_selectorELNS0_4arch9wavefront6targetE1EEEvSK_
                                        ; -- End function
	.section	.AMDGPU.csdata,"",@progbits
; Kernel info:
; codeLenInByte = 0
; NumSgprs: 4
; NumVgprs: 0
; NumAgprs: 0
; TotalNumVgprs: 0
; ScratchSize: 0
; MemoryBound: 0
; FloatMode: 240
; IeeeMode: 1
; LDSByteSize: 0 bytes/workgroup (compile time only)
; SGPRBlocks: 0
; VGPRBlocks: 0
; NumSGPRsForWavesPerEU: 4
; NumVGPRsForWavesPerEU: 1
; AccumOffset: 4
; Occupancy: 8
; WaveLimiterHint : 0
; COMPUTE_PGM_RSRC2:SCRATCH_EN: 0
; COMPUTE_PGM_RSRC2:USER_SGPR: 6
; COMPUTE_PGM_RSRC2:TRAP_HANDLER: 0
; COMPUTE_PGM_RSRC2:TGID_X_EN: 1
; COMPUTE_PGM_RSRC2:TGID_Y_EN: 0
; COMPUTE_PGM_RSRC2:TGID_Z_EN: 0
; COMPUTE_PGM_RSRC2:TIDIG_COMP_CNT: 0
; COMPUTE_PGM_RSRC3_GFX90A:ACCUM_OFFSET: 0
; COMPUTE_PGM_RSRC3_GFX90A:TG_SPLIT: 0
	.section	.text._ZN7rocprim17ROCPRIM_400000_NS6detail17trampoline_kernelINS0_14default_configENS1_36segmented_radix_sort_config_selectorIhlEEZNS1_25segmented_radix_sort_implIS3_Lb1EPKhPhPKlPlN2at6native12_GLOBAL__N_18offset_tEEE10hipError_tPvRmT1_PNSt15iterator_traitsISK_E10value_typeET2_T3_PNSL_ISQ_E10value_typeET4_jRbjT5_SW_jjP12ihipStream_tbEUlT_E1_NS1_11comp_targetILNS1_3genE10ELNS1_11target_archE1200ELNS1_3gpuE4ELNS1_3repE0EEENS1_59segmented_radix_sort_warp_sort_small_config_static_selectorELNS0_4arch9wavefront6targetE1EEEvSK_,"axG",@progbits,_ZN7rocprim17ROCPRIM_400000_NS6detail17trampoline_kernelINS0_14default_configENS1_36segmented_radix_sort_config_selectorIhlEEZNS1_25segmented_radix_sort_implIS3_Lb1EPKhPhPKlPlN2at6native12_GLOBAL__N_18offset_tEEE10hipError_tPvRmT1_PNSt15iterator_traitsISK_E10value_typeET2_T3_PNSL_ISQ_E10value_typeET4_jRbjT5_SW_jjP12ihipStream_tbEUlT_E1_NS1_11comp_targetILNS1_3genE10ELNS1_11target_archE1200ELNS1_3gpuE4ELNS1_3repE0EEENS1_59segmented_radix_sort_warp_sort_small_config_static_selectorELNS0_4arch9wavefront6targetE1EEEvSK_,comdat
	.globl	_ZN7rocprim17ROCPRIM_400000_NS6detail17trampoline_kernelINS0_14default_configENS1_36segmented_radix_sort_config_selectorIhlEEZNS1_25segmented_radix_sort_implIS3_Lb1EPKhPhPKlPlN2at6native12_GLOBAL__N_18offset_tEEE10hipError_tPvRmT1_PNSt15iterator_traitsISK_E10value_typeET2_T3_PNSL_ISQ_E10value_typeET4_jRbjT5_SW_jjP12ihipStream_tbEUlT_E1_NS1_11comp_targetILNS1_3genE10ELNS1_11target_archE1200ELNS1_3gpuE4ELNS1_3repE0EEENS1_59segmented_radix_sort_warp_sort_small_config_static_selectorELNS0_4arch9wavefront6targetE1EEEvSK_ ; -- Begin function _ZN7rocprim17ROCPRIM_400000_NS6detail17trampoline_kernelINS0_14default_configENS1_36segmented_radix_sort_config_selectorIhlEEZNS1_25segmented_radix_sort_implIS3_Lb1EPKhPhPKlPlN2at6native12_GLOBAL__N_18offset_tEEE10hipError_tPvRmT1_PNSt15iterator_traitsISK_E10value_typeET2_T3_PNSL_ISQ_E10value_typeET4_jRbjT5_SW_jjP12ihipStream_tbEUlT_E1_NS1_11comp_targetILNS1_3genE10ELNS1_11target_archE1200ELNS1_3gpuE4ELNS1_3repE0EEENS1_59segmented_radix_sort_warp_sort_small_config_static_selectorELNS0_4arch9wavefront6targetE1EEEvSK_
	.p2align	8
	.type	_ZN7rocprim17ROCPRIM_400000_NS6detail17trampoline_kernelINS0_14default_configENS1_36segmented_radix_sort_config_selectorIhlEEZNS1_25segmented_radix_sort_implIS3_Lb1EPKhPhPKlPlN2at6native12_GLOBAL__N_18offset_tEEE10hipError_tPvRmT1_PNSt15iterator_traitsISK_E10value_typeET2_T3_PNSL_ISQ_E10value_typeET4_jRbjT5_SW_jjP12ihipStream_tbEUlT_E1_NS1_11comp_targetILNS1_3genE10ELNS1_11target_archE1200ELNS1_3gpuE4ELNS1_3repE0EEENS1_59segmented_radix_sort_warp_sort_small_config_static_selectorELNS0_4arch9wavefront6targetE1EEEvSK_,@function
_ZN7rocprim17ROCPRIM_400000_NS6detail17trampoline_kernelINS0_14default_configENS1_36segmented_radix_sort_config_selectorIhlEEZNS1_25segmented_radix_sort_implIS3_Lb1EPKhPhPKlPlN2at6native12_GLOBAL__N_18offset_tEEE10hipError_tPvRmT1_PNSt15iterator_traitsISK_E10value_typeET2_T3_PNSL_ISQ_E10value_typeET4_jRbjT5_SW_jjP12ihipStream_tbEUlT_E1_NS1_11comp_targetILNS1_3genE10ELNS1_11target_archE1200ELNS1_3gpuE4ELNS1_3repE0EEENS1_59segmented_radix_sort_warp_sort_small_config_static_selectorELNS0_4arch9wavefront6targetE1EEEvSK_: ; @_ZN7rocprim17ROCPRIM_400000_NS6detail17trampoline_kernelINS0_14default_configENS1_36segmented_radix_sort_config_selectorIhlEEZNS1_25segmented_radix_sort_implIS3_Lb1EPKhPhPKlPlN2at6native12_GLOBAL__N_18offset_tEEE10hipError_tPvRmT1_PNSt15iterator_traitsISK_E10value_typeET2_T3_PNSL_ISQ_E10value_typeET4_jRbjT5_SW_jjP12ihipStream_tbEUlT_E1_NS1_11comp_targetILNS1_3genE10ELNS1_11target_archE1200ELNS1_3gpuE4ELNS1_3repE0EEENS1_59segmented_radix_sort_warp_sort_small_config_static_selectorELNS0_4arch9wavefront6targetE1EEEvSK_
; %bb.0:
	.section	.rodata,"a",@progbits
	.p2align	6, 0x0
	.amdhsa_kernel _ZN7rocprim17ROCPRIM_400000_NS6detail17trampoline_kernelINS0_14default_configENS1_36segmented_radix_sort_config_selectorIhlEEZNS1_25segmented_radix_sort_implIS3_Lb1EPKhPhPKlPlN2at6native12_GLOBAL__N_18offset_tEEE10hipError_tPvRmT1_PNSt15iterator_traitsISK_E10value_typeET2_T3_PNSL_ISQ_E10value_typeET4_jRbjT5_SW_jjP12ihipStream_tbEUlT_E1_NS1_11comp_targetILNS1_3genE10ELNS1_11target_archE1200ELNS1_3gpuE4ELNS1_3repE0EEENS1_59segmented_radix_sort_warp_sort_small_config_static_selectorELNS0_4arch9wavefront6targetE1EEEvSK_
		.amdhsa_group_segment_fixed_size 0
		.amdhsa_private_segment_fixed_size 0
		.amdhsa_kernarg_size 88
		.amdhsa_user_sgpr_count 6
		.amdhsa_user_sgpr_private_segment_buffer 1
		.amdhsa_user_sgpr_dispatch_ptr 0
		.amdhsa_user_sgpr_queue_ptr 0
		.amdhsa_user_sgpr_kernarg_segment_ptr 1
		.amdhsa_user_sgpr_dispatch_id 0
		.amdhsa_user_sgpr_flat_scratch_init 0
		.amdhsa_user_sgpr_kernarg_preload_length 0
		.amdhsa_user_sgpr_kernarg_preload_offset 0
		.amdhsa_user_sgpr_private_segment_size 0
		.amdhsa_uses_dynamic_stack 0
		.amdhsa_system_sgpr_private_segment_wavefront_offset 0
		.amdhsa_system_sgpr_workgroup_id_x 1
		.amdhsa_system_sgpr_workgroup_id_y 0
		.amdhsa_system_sgpr_workgroup_id_z 0
		.amdhsa_system_sgpr_workgroup_info 0
		.amdhsa_system_vgpr_workitem_id 0
		.amdhsa_next_free_vgpr 1
		.amdhsa_next_free_sgpr 0
		.amdhsa_accum_offset 4
		.amdhsa_reserve_vcc 0
		.amdhsa_reserve_flat_scratch 0
		.amdhsa_float_round_mode_32 0
		.amdhsa_float_round_mode_16_64 0
		.amdhsa_float_denorm_mode_32 3
		.amdhsa_float_denorm_mode_16_64 3
		.amdhsa_dx10_clamp 1
		.amdhsa_ieee_mode 1
		.amdhsa_fp16_overflow 0
		.amdhsa_tg_split 0
		.amdhsa_exception_fp_ieee_invalid_op 0
		.amdhsa_exception_fp_denorm_src 0
		.amdhsa_exception_fp_ieee_div_zero 0
		.amdhsa_exception_fp_ieee_overflow 0
		.amdhsa_exception_fp_ieee_underflow 0
		.amdhsa_exception_fp_ieee_inexact 0
		.amdhsa_exception_int_div_zero 0
	.end_amdhsa_kernel
	.section	.text._ZN7rocprim17ROCPRIM_400000_NS6detail17trampoline_kernelINS0_14default_configENS1_36segmented_radix_sort_config_selectorIhlEEZNS1_25segmented_radix_sort_implIS3_Lb1EPKhPhPKlPlN2at6native12_GLOBAL__N_18offset_tEEE10hipError_tPvRmT1_PNSt15iterator_traitsISK_E10value_typeET2_T3_PNSL_ISQ_E10value_typeET4_jRbjT5_SW_jjP12ihipStream_tbEUlT_E1_NS1_11comp_targetILNS1_3genE10ELNS1_11target_archE1200ELNS1_3gpuE4ELNS1_3repE0EEENS1_59segmented_radix_sort_warp_sort_small_config_static_selectorELNS0_4arch9wavefront6targetE1EEEvSK_,"axG",@progbits,_ZN7rocprim17ROCPRIM_400000_NS6detail17trampoline_kernelINS0_14default_configENS1_36segmented_radix_sort_config_selectorIhlEEZNS1_25segmented_radix_sort_implIS3_Lb1EPKhPhPKlPlN2at6native12_GLOBAL__N_18offset_tEEE10hipError_tPvRmT1_PNSt15iterator_traitsISK_E10value_typeET2_T3_PNSL_ISQ_E10value_typeET4_jRbjT5_SW_jjP12ihipStream_tbEUlT_E1_NS1_11comp_targetILNS1_3genE10ELNS1_11target_archE1200ELNS1_3gpuE4ELNS1_3repE0EEENS1_59segmented_radix_sort_warp_sort_small_config_static_selectorELNS0_4arch9wavefront6targetE1EEEvSK_,comdat
.Lfunc_end110:
	.size	_ZN7rocprim17ROCPRIM_400000_NS6detail17trampoline_kernelINS0_14default_configENS1_36segmented_radix_sort_config_selectorIhlEEZNS1_25segmented_radix_sort_implIS3_Lb1EPKhPhPKlPlN2at6native12_GLOBAL__N_18offset_tEEE10hipError_tPvRmT1_PNSt15iterator_traitsISK_E10value_typeET2_T3_PNSL_ISQ_E10value_typeET4_jRbjT5_SW_jjP12ihipStream_tbEUlT_E1_NS1_11comp_targetILNS1_3genE10ELNS1_11target_archE1200ELNS1_3gpuE4ELNS1_3repE0EEENS1_59segmented_radix_sort_warp_sort_small_config_static_selectorELNS0_4arch9wavefront6targetE1EEEvSK_, .Lfunc_end110-_ZN7rocprim17ROCPRIM_400000_NS6detail17trampoline_kernelINS0_14default_configENS1_36segmented_radix_sort_config_selectorIhlEEZNS1_25segmented_radix_sort_implIS3_Lb1EPKhPhPKlPlN2at6native12_GLOBAL__N_18offset_tEEE10hipError_tPvRmT1_PNSt15iterator_traitsISK_E10value_typeET2_T3_PNSL_ISQ_E10value_typeET4_jRbjT5_SW_jjP12ihipStream_tbEUlT_E1_NS1_11comp_targetILNS1_3genE10ELNS1_11target_archE1200ELNS1_3gpuE4ELNS1_3repE0EEENS1_59segmented_radix_sort_warp_sort_small_config_static_selectorELNS0_4arch9wavefront6targetE1EEEvSK_
                                        ; -- End function
	.section	.AMDGPU.csdata,"",@progbits
; Kernel info:
; codeLenInByte = 0
; NumSgprs: 4
; NumVgprs: 0
; NumAgprs: 0
; TotalNumVgprs: 0
; ScratchSize: 0
; MemoryBound: 0
; FloatMode: 240
; IeeeMode: 1
; LDSByteSize: 0 bytes/workgroup (compile time only)
; SGPRBlocks: 0
; VGPRBlocks: 0
; NumSGPRsForWavesPerEU: 4
; NumVGPRsForWavesPerEU: 1
; AccumOffset: 4
; Occupancy: 8
; WaveLimiterHint : 0
; COMPUTE_PGM_RSRC2:SCRATCH_EN: 0
; COMPUTE_PGM_RSRC2:USER_SGPR: 6
; COMPUTE_PGM_RSRC2:TRAP_HANDLER: 0
; COMPUTE_PGM_RSRC2:TGID_X_EN: 1
; COMPUTE_PGM_RSRC2:TGID_Y_EN: 0
; COMPUTE_PGM_RSRC2:TGID_Z_EN: 0
; COMPUTE_PGM_RSRC2:TIDIG_COMP_CNT: 0
; COMPUTE_PGM_RSRC3_GFX90A:ACCUM_OFFSET: 0
; COMPUTE_PGM_RSRC3_GFX90A:TG_SPLIT: 0
	.section	.text._ZN7rocprim17ROCPRIM_400000_NS6detail17trampoline_kernelINS0_14default_configENS1_36segmented_radix_sort_config_selectorIhlEEZNS1_25segmented_radix_sort_implIS3_Lb1EPKhPhPKlPlN2at6native12_GLOBAL__N_18offset_tEEE10hipError_tPvRmT1_PNSt15iterator_traitsISK_E10value_typeET2_T3_PNSL_ISQ_E10value_typeET4_jRbjT5_SW_jjP12ihipStream_tbEUlT_E1_NS1_11comp_targetILNS1_3genE9ELNS1_11target_archE1100ELNS1_3gpuE3ELNS1_3repE0EEENS1_59segmented_radix_sort_warp_sort_small_config_static_selectorELNS0_4arch9wavefront6targetE1EEEvSK_,"axG",@progbits,_ZN7rocprim17ROCPRIM_400000_NS6detail17trampoline_kernelINS0_14default_configENS1_36segmented_radix_sort_config_selectorIhlEEZNS1_25segmented_radix_sort_implIS3_Lb1EPKhPhPKlPlN2at6native12_GLOBAL__N_18offset_tEEE10hipError_tPvRmT1_PNSt15iterator_traitsISK_E10value_typeET2_T3_PNSL_ISQ_E10value_typeET4_jRbjT5_SW_jjP12ihipStream_tbEUlT_E1_NS1_11comp_targetILNS1_3genE9ELNS1_11target_archE1100ELNS1_3gpuE3ELNS1_3repE0EEENS1_59segmented_radix_sort_warp_sort_small_config_static_selectorELNS0_4arch9wavefront6targetE1EEEvSK_,comdat
	.globl	_ZN7rocprim17ROCPRIM_400000_NS6detail17trampoline_kernelINS0_14default_configENS1_36segmented_radix_sort_config_selectorIhlEEZNS1_25segmented_radix_sort_implIS3_Lb1EPKhPhPKlPlN2at6native12_GLOBAL__N_18offset_tEEE10hipError_tPvRmT1_PNSt15iterator_traitsISK_E10value_typeET2_T3_PNSL_ISQ_E10value_typeET4_jRbjT5_SW_jjP12ihipStream_tbEUlT_E1_NS1_11comp_targetILNS1_3genE9ELNS1_11target_archE1100ELNS1_3gpuE3ELNS1_3repE0EEENS1_59segmented_radix_sort_warp_sort_small_config_static_selectorELNS0_4arch9wavefront6targetE1EEEvSK_ ; -- Begin function _ZN7rocprim17ROCPRIM_400000_NS6detail17trampoline_kernelINS0_14default_configENS1_36segmented_radix_sort_config_selectorIhlEEZNS1_25segmented_radix_sort_implIS3_Lb1EPKhPhPKlPlN2at6native12_GLOBAL__N_18offset_tEEE10hipError_tPvRmT1_PNSt15iterator_traitsISK_E10value_typeET2_T3_PNSL_ISQ_E10value_typeET4_jRbjT5_SW_jjP12ihipStream_tbEUlT_E1_NS1_11comp_targetILNS1_3genE9ELNS1_11target_archE1100ELNS1_3gpuE3ELNS1_3repE0EEENS1_59segmented_radix_sort_warp_sort_small_config_static_selectorELNS0_4arch9wavefront6targetE1EEEvSK_
	.p2align	8
	.type	_ZN7rocprim17ROCPRIM_400000_NS6detail17trampoline_kernelINS0_14default_configENS1_36segmented_radix_sort_config_selectorIhlEEZNS1_25segmented_radix_sort_implIS3_Lb1EPKhPhPKlPlN2at6native12_GLOBAL__N_18offset_tEEE10hipError_tPvRmT1_PNSt15iterator_traitsISK_E10value_typeET2_T3_PNSL_ISQ_E10value_typeET4_jRbjT5_SW_jjP12ihipStream_tbEUlT_E1_NS1_11comp_targetILNS1_3genE9ELNS1_11target_archE1100ELNS1_3gpuE3ELNS1_3repE0EEENS1_59segmented_radix_sort_warp_sort_small_config_static_selectorELNS0_4arch9wavefront6targetE1EEEvSK_,@function
_ZN7rocprim17ROCPRIM_400000_NS6detail17trampoline_kernelINS0_14default_configENS1_36segmented_radix_sort_config_selectorIhlEEZNS1_25segmented_radix_sort_implIS3_Lb1EPKhPhPKlPlN2at6native12_GLOBAL__N_18offset_tEEE10hipError_tPvRmT1_PNSt15iterator_traitsISK_E10value_typeET2_T3_PNSL_ISQ_E10value_typeET4_jRbjT5_SW_jjP12ihipStream_tbEUlT_E1_NS1_11comp_targetILNS1_3genE9ELNS1_11target_archE1100ELNS1_3gpuE3ELNS1_3repE0EEENS1_59segmented_radix_sort_warp_sort_small_config_static_selectorELNS0_4arch9wavefront6targetE1EEEvSK_: ; @_ZN7rocprim17ROCPRIM_400000_NS6detail17trampoline_kernelINS0_14default_configENS1_36segmented_radix_sort_config_selectorIhlEEZNS1_25segmented_radix_sort_implIS3_Lb1EPKhPhPKlPlN2at6native12_GLOBAL__N_18offset_tEEE10hipError_tPvRmT1_PNSt15iterator_traitsISK_E10value_typeET2_T3_PNSL_ISQ_E10value_typeET4_jRbjT5_SW_jjP12ihipStream_tbEUlT_E1_NS1_11comp_targetILNS1_3genE9ELNS1_11target_archE1100ELNS1_3gpuE3ELNS1_3repE0EEENS1_59segmented_radix_sort_warp_sort_small_config_static_selectorELNS0_4arch9wavefront6targetE1EEEvSK_
; %bb.0:
	.section	.rodata,"a",@progbits
	.p2align	6, 0x0
	.amdhsa_kernel _ZN7rocprim17ROCPRIM_400000_NS6detail17trampoline_kernelINS0_14default_configENS1_36segmented_radix_sort_config_selectorIhlEEZNS1_25segmented_radix_sort_implIS3_Lb1EPKhPhPKlPlN2at6native12_GLOBAL__N_18offset_tEEE10hipError_tPvRmT1_PNSt15iterator_traitsISK_E10value_typeET2_T3_PNSL_ISQ_E10value_typeET4_jRbjT5_SW_jjP12ihipStream_tbEUlT_E1_NS1_11comp_targetILNS1_3genE9ELNS1_11target_archE1100ELNS1_3gpuE3ELNS1_3repE0EEENS1_59segmented_radix_sort_warp_sort_small_config_static_selectorELNS0_4arch9wavefront6targetE1EEEvSK_
		.amdhsa_group_segment_fixed_size 0
		.amdhsa_private_segment_fixed_size 0
		.amdhsa_kernarg_size 88
		.amdhsa_user_sgpr_count 6
		.amdhsa_user_sgpr_private_segment_buffer 1
		.amdhsa_user_sgpr_dispatch_ptr 0
		.amdhsa_user_sgpr_queue_ptr 0
		.amdhsa_user_sgpr_kernarg_segment_ptr 1
		.amdhsa_user_sgpr_dispatch_id 0
		.amdhsa_user_sgpr_flat_scratch_init 0
		.amdhsa_user_sgpr_kernarg_preload_length 0
		.amdhsa_user_sgpr_kernarg_preload_offset 0
		.amdhsa_user_sgpr_private_segment_size 0
		.amdhsa_uses_dynamic_stack 0
		.amdhsa_system_sgpr_private_segment_wavefront_offset 0
		.amdhsa_system_sgpr_workgroup_id_x 1
		.amdhsa_system_sgpr_workgroup_id_y 0
		.amdhsa_system_sgpr_workgroup_id_z 0
		.amdhsa_system_sgpr_workgroup_info 0
		.amdhsa_system_vgpr_workitem_id 0
		.amdhsa_next_free_vgpr 1
		.amdhsa_next_free_sgpr 0
		.amdhsa_accum_offset 4
		.amdhsa_reserve_vcc 0
		.amdhsa_reserve_flat_scratch 0
		.amdhsa_float_round_mode_32 0
		.amdhsa_float_round_mode_16_64 0
		.amdhsa_float_denorm_mode_32 3
		.amdhsa_float_denorm_mode_16_64 3
		.amdhsa_dx10_clamp 1
		.amdhsa_ieee_mode 1
		.amdhsa_fp16_overflow 0
		.amdhsa_tg_split 0
		.amdhsa_exception_fp_ieee_invalid_op 0
		.amdhsa_exception_fp_denorm_src 0
		.amdhsa_exception_fp_ieee_div_zero 0
		.amdhsa_exception_fp_ieee_overflow 0
		.amdhsa_exception_fp_ieee_underflow 0
		.amdhsa_exception_fp_ieee_inexact 0
		.amdhsa_exception_int_div_zero 0
	.end_amdhsa_kernel
	.section	.text._ZN7rocprim17ROCPRIM_400000_NS6detail17trampoline_kernelINS0_14default_configENS1_36segmented_radix_sort_config_selectorIhlEEZNS1_25segmented_radix_sort_implIS3_Lb1EPKhPhPKlPlN2at6native12_GLOBAL__N_18offset_tEEE10hipError_tPvRmT1_PNSt15iterator_traitsISK_E10value_typeET2_T3_PNSL_ISQ_E10value_typeET4_jRbjT5_SW_jjP12ihipStream_tbEUlT_E1_NS1_11comp_targetILNS1_3genE9ELNS1_11target_archE1100ELNS1_3gpuE3ELNS1_3repE0EEENS1_59segmented_radix_sort_warp_sort_small_config_static_selectorELNS0_4arch9wavefront6targetE1EEEvSK_,"axG",@progbits,_ZN7rocprim17ROCPRIM_400000_NS6detail17trampoline_kernelINS0_14default_configENS1_36segmented_radix_sort_config_selectorIhlEEZNS1_25segmented_radix_sort_implIS3_Lb1EPKhPhPKlPlN2at6native12_GLOBAL__N_18offset_tEEE10hipError_tPvRmT1_PNSt15iterator_traitsISK_E10value_typeET2_T3_PNSL_ISQ_E10value_typeET4_jRbjT5_SW_jjP12ihipStream_tbEUlT_E1_NS1_11comp_targetILNS1_3genE9ELNS1_11target_archE1100ELNS1_3gpuE3ELNS1_3repE0EEENS1_59segmented_radix_sort_warp_sort_small_config_static_selectorELNS0_4arch9wavefront6targetE1EEEvSK_,comdat
.Lfunc_end111:
	.size	_ZN7rocprim17ROCPRIM_400000_NS6detail17trampoline_kernelINS0_14default_configENS1_36segmented_radix_sort_config_selectorIhlEEZNS1_25segmented_radix_sort_implIS3_Lb1EPKhPhPKlPlN2at6native12_GLOBAL__N_18offset_tEEE10hipError_tPvRmT1_PNSt15iterator_traitsISK_E10value_typeET2_T3_PNSL_ISQ_E10value_typeET4_jRbjT5_SW_jjP12ihipStream_tbEUlT_E1_NS1_11comp_targetILNS1_3genE9ELNS1_11target_archE1100ELNS1_3gpuE3ELNS1_3repE0EEENS1_59segmented_radix_sort_warp_sort_small_config_static_selectorELNS0_4arch9wavefront6targetE1EEEvSK_, .Lfunc_end111-_ZN7rocprim17ROCPRIM_400000_NS6detail17trampoline_kernelINS0_14default_configENS1_36segmented_radix_sort_config_selectorIhlEEZNS1_25segmented_radix_sort_implIS3_Lb1EPKhPhPKlPlN2at6native12_GLOBAL__N_18offset_tEEE10hipError_tPvRmT1_PNSt15iterator_traitsISK_E10value_typeET2_T3_PNSL_ISQ_E10value_typeET4_jRbjT5_SW_jjP12ihipStream_tbEUlT_E1_NS1_11comp_targetILNS1_3genE9ELNS1_11target_archE1100ELNS1_3gpuE3ELNS1_3repE0EEENS1_59segmented_radix_sort_warp_sort_small_config_static_selectorELNS0_4arch9wavefront6targetE1EEEvSK_
                                        ; -- End function
	.section	.AMDGPU.csdata,"",@progbits
; Kernel info:
; codeLenInByte = 0
; NumSgprs: 4
; NumVgprs: 0
; NumAgprs: 0
; TotalNumVgprs: 0
; ScratchSize: 0
; MemoryBound: 0
; FloatMode: 240
; IeeeMode: 1
; LDSByteSize: 0 bytes/workgroup (compile time only)
; SGPRBlocks: 0
; VGPRBlocks: 0
; NumSGPRsForWavesPerEU: 4
; NumVGPRsForWavesPerEU: 1
; AccumOffset: 4
; Occupancy: 8
; WaveLimiterHint : 0
; COMPUTE_PGM_RSRC2:SCRATCH_EN: 0
; COMPUTE_PGM_RSRC2:USER_SGPR: 6
; COMPUTE_PGM_RSRC2:TRAP_HANDLER: 0
; COMPUTE_PGM_RSRC2:TGID_X_EN: 1
; COMPUTE_PGM_RSRC2:TGID_Y_EN: 0
; COMPUTE_PGM_RSRC2:TGID_Z_EN: 0
; COMPUTE_PGM_RSRC2:TIDIG_COMP_CNT: 0
; COMPUTE_PGM_RSRC3_GFX90A:ACCUM_OFFSET: 0
; COMPUTE_PGM_RSRC3_GFX90A:TG_SPLIT: 0
	.section	.text._ZN7rocprim17ROCPRIM_400000_NS6detail17trampoline_kernelINS0_14default_configENS1_36segmented_radix_sort_config_selectorIhlEEZNS1_25segmented_radix_sort_implIS3_Lb1EPKhPhPKlPlN2at6native12_GLOBAL__N_18offset_tEEE10hipError_tPvRmT1_PNSt15iterator_traitsISK_E10value_typeET2_T3_PNSL_ISQ_E10value_typeET4_jRbjT5_SW_jjP12ihipStream_tbEUlT_E1_NS1_11comp_targetILNS1_3genE8ELNS1_11target_archE1030ELNS1_3gpuE2ELNS1_3repE0EEENS1_59segmented_radix_sort_warp_sort_small_config_static_selectorELNS0_4arch9wavefront6targetE1EEEvSK_,"axG",@progbits,_ZN7rocprim17ROCPRIM_400000_NS6detail17trampoline_kernelINS0_14default_configENS1_36segmented_radix_sort_config_selectorIhlEEZNS1_25segmented_radix_sort_implIS3_Lb1EPKhPhPKlPlN2at6native12_GLOBAL__N_18offset_tEEE10hipError_tPvRmT1_PNSt15iterator_traitsISK_E10value_typeET2_T3_PNSL_ISQ_E10value_typeET4_jRbjT5_SW_jjP12ihipStream_tbEUlT_E1_NS1_11comp_targetILNS1_3genE8ELNS1_11target_archE1030ELNS1_3gpuE2ELNS1_3repE0EEENS1_59segmented_radix_sort_warp_sort_small_config_static_selectorELNS0_4arch9wavefront6targetE1EEEvSK_,comdat
	.globl	_ZN7rocprim17ROCPRIM_400000_NS6detail17trampoline_kernelINS0_14default_configENS1_36segmented_radix_sort_config_selectorIhlEEZNS1_25segmented_radix_sort_implIS3_Lb1EPKhPhPKlPlN2at6native12_GLOBAL__N_18offset_tEEE10hipError_tPvRmT1_PNSt15iterator_traitsISK_E10value_typeET2_T3_PNSL_ISQ_E10value_typeET4_jRbjT5_SW_jjP12ihipStream_tbEUlT_E1_NS1_11comp_targetILNS1_3genE8ELNS1_11target_archE1030ELNS1_3gpuE2ELNS1_3repE0EEENS1_59segmented_radix_sort_warp_sort_small_config_static_selectorELNS0_4arch9wavefront6targetE1EEEvSK_ ; -- Begin function _ZN7rocprim17ROCPRIM_400000_NS6detail17trampoline_kernelINS0_14default_configENS1_36segmented_radix_sort_config_selectorIhlEEZNS1_25segmented_radix_sort_implIS3_Lb1EPKhPhPKlPlN2at6native12_GLOBAL__N_18offset_tEEE10hipError_tPvRmT1_PNSt15iterator_traitsISK_E10value_typeET2_T3_PNSL_ISQ_E10value_typeET4_jRbjT5_SW_jjP12ihipStream_tbEUlT_E1_NS1_11comp_targetILNS1_3genE8ELNS1_11target_archE1030ELNS1_3gpuE2ELNS1_3repE0EEENS1_59segmented_radix_sort_warp_sort_small_config_static_selectorELNS0_4arch9wavefront6targetE1EEEvSK_
	.p2align	8
	.type	_ZN7rocprim17ROCPRIM_400000_NS6detail17trampoline_kernelINS0_14default_configENS1_36segmented_radix_sort_config_selectorIhlEEZNS1_25segmented_radix_sort_implIS3_Lb1EPKhPhPKlPlN2at6native12_GLOBAL__N_18offset_tEEE10hipError_tPvRmT1_PNSt15iterator_traitsISK_E10value_typeET2_T3_PNSL_ISQ_E10value_typeET4_jRbjT5_SW_jjP12ihipStream_tbEUlT_E1_NS1_11comp_targetILNS1_3genE8ELNS1_11target_archE1030ELNS1_3gpuE2ELNS1_3repE0EEENS1_59segmented_radix_sort_warp_sort_small_config_static_selectorELNS0_4arch9wavefront6targetE1EEEvSK_,@function
_ZN7rocprim17ROCPRIM_400000_NS6detail17trampoline_kernelINS0_14default_configENS1_36segmented_radix_sort_config_selectorIhlEEZNS1_25segmented_radix_sort_implIS3_Lb1EPKhPhPKlPlN2at6native12_GLOBAL__N_18offset_tEEE10hipError_tPvRmT1_PNSt15iterator_traitsISK_E10value_typeET2_T3_PNSL_ISQ_E10value_typeET4_jRbjT5_SW_jjP12ihipStream_tbEUlT_E1_NS1_11comp_targetILNS1_3genE8ELNS1_11target_archE1030ELNS1_3gpuE2ELNS1_3repE0EEENS1_59segmented_radix_sort_warp_sort_small_config_static_selectorELNS0_4arch9wavefront6targetE1EEEvSK_: ; @_ZN7rocprim17ROCPRIM_400000_NS6detail17trampoline_kernelINS0_14default_configENS1_36segmented_radix_sort_config_selectorIhlEEZNS1_25segmented_radix_sort_implIS3_Lb1EPKhPhPKlPlN2at6native12_GLOBAL__N_18offset_tEEE10hipError_tPvRmT1_PNSt15iterator_traitsISK_E10value_typeET2_T3_PNSL_ISQ_E10value_typeET4_jRbjT5_SW_jjP12ihipStream_tbEUlT_E1_NS1_11comp_targetILNS1_3genE8ELNS1_11target_archE1030ELNS1_3gpuE2ELNS1_3repE0EEENS1_59segmented_radix_sort_warp_sort_small_config_static_selectorELNS0_4arch9wavefront6targetE1EEEvSK_
; %bb.0:
	.section	.rodata,"a",@progbits
	.p2align	6, 0x0
	.amdhsa_kernel _ZN7rocprim17ROCPRIM_400000_NS6detail17trampoline_kernelINS0_14default_configENS1_36segmented_radix_sort_config_selectorIhlEEZNS1_25segmented_radix_sort_implIS3_Lb1EPKhPhPKlPlN2at6native12_GLOBAL__N_18offset_tEEE10hipError_tPvRmT1_PNSt15iterator_traitsISK_E10value_typeET2_T3_PNSL_ISQ_E10value_typeET4_jRbjT5_SW_jjP12ihipStream_tbEUlT_E1_NS1_11comp_targetILNS1_3genE8ELNS1_11target_archE1030ELNS1_3gpuE2ELNS1_3repE0EEENS1_59segmented_radix_sort_warp_sort_small_config_static_selectorELNS0_4arch9wavefront6targetE1EEEvSK_
		.amdhsa_group_segment_fixed_size 0
		.amdhsa_private_segment_fixed_size 0
		.amdhsa_kernarg_size 88
		.amdhsa_user_sgpr_count 6
		.amdhsa_user_sgpr_private_segment_buffer 1
		.amdhsa_user_sgpr_dispatch_ptr 0
		.amdhsa_user_sgpr_queue_ptr 0
		.amdhsa_user_sgpr_kernarg_segment_ptr 1
		.amdhsa_user_sgpr_dispatch_id 0
		.amdhsa_user_sgpr_flat_scratch_init 0
		.amdhsa_user_sgpr_kernarg_preload_length 0
		.amdhsa_user_sgpr_kernarg_preload_offset 0
		.amdhsa_user_sgpr_private_segment_size 0
		.amdhsa_uses_dynamic_stack 0
		.amdhsa_system_sgpr_private_segment_wavefront_offset 0
		.amdhsa_system_sgpr_workgroup_id_x 1
		.amdhsa_system_sgpr_workgroup_id_y 0
		.amdhsa_system_sgpr_workgroup_id_z 0
		.amdhsa_system_sgpr_workgroup_info 0
		.amdhsa_system_vgpr_workitem_id 0
		.amdhsa_next_free_vgpr 1
		.amdhsa_next_free_sgpr 0
		.amdhsa_accum_offset 4
		.amdhsa_reserve_vcc 0
		.amdhsa_reserve_flat_scratch 0
		.amdhsa_float_round_mode_32 0
		.amdhsa_float_round_mode_16_64 0
		.amdhsa_float_denorm_mode_32 3
		.amdhsa_float_denorm_mode_16_64 3
		.amdhsa_dx10_clamp 1
		.amdhsa_ieee_mode 1
		.amdhsa_fp16_overflow 0
		.amdhsa_tg_split 0
		.amdhsa_exception_fp_ieee_invalid_op 0
		.amdhsa_exception_fp_denorm_src 0
		.amdhsa_exception_fp_ieee_div_zero 0
		.amdhsa_exception_fp_ieee_overflow 0
		.amdhsa_exception_fp_ieee_underflow 0
		.amdhsa_exception_fp_ieee_inexact 0
		.amdhsa_exception_int_div_zero 0
	.end_amdhsa_kernel
	.section	.text._ZN7rocprim17ROCPRIM_400000_NS6detail17trampoline_kernelINS0_14default_configENS1_36segmented_radix_sort_config_selectorIhlEEZNS1_25segmented_radix_sort_implIS3_Lb1EPKhPhPKlPlN2at6native12_GLOBAL__N_18offset_tEEE10hipError_tPvRmT1_PNSt15iterator_traitsISK_E10value_typeET2_T3_PNSL_ISQ_E10value_typeET4_jRbjT5_SW_jjP12ihipStream_tbEUlT_E1_NS1_11comp_targetILNS1_3genE8ELNS1_11target_archE1030ELNS1_3gpuE2ELNS1_3repE0EEENS1_59segmented_radix_sort_warp_sort_small_config_static_selectorELNS0_4arch9wavefront6targetE1EEEvSK_,"axG",@progbits,_ZN7rocprim17ROCPRIM_400000_NS6detail17trampoline_kernelINS0_14default_configENS1_36segmented_radix_sort_config_selectorIhlEEZNS1_25segmented_radix_sort_implIS3_Lb1EPKhPhPKlPlN2at6native12_GLOBAL__N_18offset_tEEE10hipError_tPvRmT1_PNSt15iterator_traitsISK_E10value_typeET2_T3_PNSL_ISQ_E10value_typeET4_jRbjT5_SW_jjP12ihipStream_tbEUlT_E1_NS1_11comp_targetILNS1_3genE8ELNS1_11target_archE1030ELNS1_3gpuE2ELNS1_3repE0EEENS1_59segmented_radix_sort_warp_sort_small_config_static_selectorELNS0_4arch9wavefront6targetE1EEEvSK_,comdat
.Lfunc_end112:
	.size	_ZN7rocprim17ROCPRIM_400000_NS6detail17trampoline_kernelINS0_14default_configENS1_36segmented_radix_sort_config_selectorIhlEEZNS1_25segmented_radix_sort_implIS3_Lb1EPKhPhPKlPlN2at6native12_GLOBAL__N_18offset_tEEE10hipError_tPvRmT1_PNSt15iterator_traitsISK_E10value_typeET2_T3_PNSL_ISQ_E10value_typeET4_jRbjT5_SW_jjP12ihipStream_tbEUlT_E1_NS1_11comp_targetILNS1_3genE8ELNS1_11target_archE1030ELNS1_3gpuE2ELNS1_3repE0EEENS1_59segmented_radix_sort_warp_sort_small_config_static_selectorELNS0_4arch9wavefront6targetE1EEEvSK_, .Lfunc_end112-_ZN7rocprim17ROCPRIM_400000_NS6detail17trampoline_kernelINS0_14default_configENS1_36segmented_radix_sort_config_selectorIhlEEZNS1_25segmented_radix_sort_implIS3_Lb1EPKhPhPKlPlN2at6native12_GLOBAL__N_18offset_tEEE10hipError_tPvRmT1_PNSt15iterator_traitsISK_E10value_typeET2_T3_PNSL_ISQ_E10value_typeET4_jRbjT5_SW_jjP12ihipStream_tbEUlT_E1_NS1_11comp_targetILNS1_3genE8ELNS1_11target_archE1030ELNS1_3gpuE2ELNS1_3repE0EEENS1_59segmented_radix_sort_warp_sort_small_config_static_selectorELNS0_4arch9wavefront6targetE1EEEvSK_
                                        ; -- End function
	.section	.AMDGPU.csdata,"",@progbits
; Kernel info:
; codeLenInByte = 0
; NumSgprs: 4
; NumVgprs: 0
; NumAgprs: 0
; TotalNumVgprs: 0
; ScratchSize: 0
; MemoryBound: 0
; FloatMode: 240
; IeeeMode: 1
; LDSByteSize: 0 bytes/workgroup (compile time only)
; SGPRBlocks: 0
; VGPRBlocks: 0
; NumSGPRsForWavesPerEU: 4
; NumVGPRsForWavesPerEU: 1
; AccumOffset: 4
; Occupancy: 8
; WaveLimiterHint : 0
; COMPUTE_PGM_RSRC2:SCRATCH_EN: 0
; COMPUTE_PGM_RSRC2:USER_SGPR: 6
; COMPUTE_PGM_RSRC2:TRAP_HANDLER: 0
; COMPUTE_PGM_RSRC2:TGID_X_EN: 1
; COMPUTE_PGM_RSRC2:TGID_Y_EN: 0
; COMPUTE_PGM_RSRC2:TGID_Z_EN: 0
; COMPUTE_PGM_RSRC2:TIDIG_COMP_CNT: 0
; COMPUTE_PGM_RSRC3_GFX90A:ACCUM_OFFSET: 0
; COMPUTE_PGM_RSRC3_GFX90A:TG_SPLIT: 0
	.section	.text._ZN7rocprim17ROCPRIM_400000_NS6detail17trampoline_kernelINS0_14default_configENS1_36segmented_radix_sort_config_selectorIhlEEZNS1_25segmented_radix_sort_implIS3_Lb1EPKhPhPKlPlN2at6native12_GLOBAL__N_18offset_tEEE10hipError_tPvRmT1_PNSt15iterator_traitsISK_E10value_typeET2_T3_PNSL_ISQ_E10value_typeET4_jRbjT5_SW_jjP12ihipStream_tbEUlT_E2_NS1_11comp_targetILNS1_3genE0ELNS1_11target_archE4294967295ELNS1_3gpuE0ELNS1_3repE0EEENS1_30default_config_static_selectorELNS0_4arch9wavefront6targetE1EEEvSK_,"axG",@progbits,_ZN7rocprim17ROCPRIM_400000_NS6detail17trampoline_kernelINS0_14default_configENS1_36segmented_radix_sort_config_selectorIhlEEZNS1_25segmented_radix_sort_implIS3_Lb1EPKhPhPKlPlN2at6native12_GLOBAL__N_18offset_tEEE10hipError_tPvRmT1_PNSt15iterator_traitsISK_E10value_typeET2_T3_PNSL_ISQ_E10value_typeET4_jRbjT5_SW_jjP12ihipStream_tbEUlT_E2_NS1_11comp_targetILNS1_3genE0ELNS1_11target_archE4294967295ELNS1_3gpuE0ELNS1_3repE0EEENS1_30default_config_static_selectorELNS0_4arch9wavefront6targetE1EEEvSK_,comdat
	.globl	_ZN7rocprim17ROCPRIM_400000_NS6detail17trampoline_kernelINS0_14default_configENS1_36segmented_radix_sort_config_selectorIhlEEZNS1_25segmented_radix_sort_implIS3_Lb1EPKhPhPKlPlN2at6native12_GLOBAL__N_18offset_tEEE10hipError_tPvRmT1_PNSt15iterator_traitsISK_E10value_typeET2_T3_PNSL_ISQ_E10value_typeET4_jRbjT5_SW_jjP12ihipStream_tbEUlT_E2_NS1_11comp_targetILNS1_3genE0ELNS1_11target_archE4294967295ELNS1_3gpuE0ELNS1_3repE0EEENS1_30default_config_static_selectorELNS0_4arch9wavefront6targetE1EEEvSK_ ; -- Begin function _ZN7rocprim17ROCPRIM_400000_NS6detail17trampoline_kernelINS0_14default_configENS1_36segmented_radix_sort_config_selectorIhlEEZNS1_25segmented_radix_sort_implIS3_Lb1EPKhPhPKlPlN2at6native12_GLOBAL__N_18offset_tEEE10hipError_tPvRmT1_PNSt15iterator_traitsISK_E10value_typeET2_T3_PNSL_ISQ_E10value_typeET4_jRbjT5_SW_jjP12ihipStream_tbEUlT_E2_NS1_11comp_targetILNS1_3genE0ELNS1_11target_archE4294967295ELNS1_3gpuE0ELNS1_3repE0EEENS1_30default_config_static_selectorELNS0_4arch9wavefront6targetE1EEEvSK_
	.p2align	8
	.type	_ZN7rocprim17ROCPRIM_400000_NS6detail17trampoline_kernelINS0_14default_configENS1_36segmented_radix_sort_config_selectorIhlEEZNS1_25segmented_radix_sort_implIS3_Lb1EPKhPhPKlPlN2at6native12_GLOBAL__N_18offset_tEEE10hipError_tPvRmT1_PNSt15iterator_traitsISK_E10value_typeET2_T3_PNSL_ISQ_E10value_typeET4_jRbjT5_SW_jjP12ihipStream_tbEUlT_E2_NS1_11comp_targetILNS1_3genE0ELNS1_11target_archE4294967295ELNS1_3gpuE0ELNS1_3repE0EEENS1_30default_config_static_selectorELNS0_4arch9wavefront6targetE1EEEvSK_,@function
_ZN7rocprim17ROCPRIM_400000_NS6detail17trampoline_kernelINS0_14default_configENS1_36segmented_radix_sort_config_selectorIhlEEZNS1_25segmented_radix_sort_implIS3_Lb1EPKhPhPKlPlN2at6native12_GLOBAL__N_18offset_tEEE10hipError_tPvRmT1_PNSt15iterator_traitsISK_E10value_typeET2_T3_PNSL_ISQ_E10value_typeET4_jRbjT5_SW_jjP12ihipStream_tbEUlT_E2_NS1_11comp_targetILNS1_3genE0ELNS1_11target_archE4294967295ELNS1_3gpuE0ELNS1_3repE0EEENS1_30default_config_static_selectorELNS0_4arch9wavefront6targetE1EEEvSK_: ; @_ZN7rocprim17ROCPRIM_400000_NS6detail17trampoline_kernelINS0_14default_configENS1_36segmented_radix_sort_config_selectorIhlEEZNS1_25segmented_radix_sort_implIS3_Lb1EPKhPhPKlPlN2at6native12_GLOBAL__N_18offset_tEEE10hipError_tPvRmT1_PNSt15iterator_traitsISK_E10value_typeET2_T3_PNSL_ISQ_E10value_typeET4_jRbjT5_SW_jjP12ihipStream_tbEUlT_E2_NS1_11comp_targetILNS1_3genE0ELNS1_11target_archE4294967295ELNS1_3gpuE0ELNS1_3repE0EEENS1_30default_config_static_selectorELNS0_4arch9wavefront6targetE1EEEvSK_
; %bb.0:
	.section	.rodata,"a",@progbits
	.p2align	6, 0x0
	.amdhsa_kernel _ZN7rocprim17ROCPRIM_400000_NS6detail17trampoline_kernelINS0_14default_configENS1_36segmented_radix_sort_config_selectorIhlEEZNS1_25segmented_radix_sort_implIS3_Lb1EPKhPhPKlPlN2at6native12_GLOBAL__N_18offset_tEEE10hipError_tPvRmT1_PNSt15iterator_traitsISK_E10value_typeET2_T3_PNSL_ISQ_E10value_typeET4_jRbjT5_SW_jjP12ihipStream_tbEUlT_E2_NS1_11comp_targetILNS1_3genE0ELNS1_11target_archE4294967295ELNS1_3gpuE0ELNS1_3repE0EEENS1_30default_config_static_selectorELNS0_4arch9wavefront6targetE1EEEvSK_
		.amdhsa_group_segment_fixed_size 0
		.amdhsa_private_segment_fixed_size 0
		.amdhsa_kernarg_size 80
		.amdhsa_user_sgpr_count 6
		.amdhsa_user_sgpr_private_segment_buffer 1
		.amdhsa_user_sgpr_dispatch_ptr 0
		.amdhsa_user_sgpr_queue_ptr 0
		.amdhsa_user_sgpr_kernarg_segment_ptr 1
		.amdhsa_user_sgpr_dispatch_id 0
		.amdhsa_user_sgpr_flat_scratch_init 0
		.amdhsa_user_sgpr_kernarg_preload_length 0
		.amdhsa_user_sgpr_kernarg_preload_offset 0
		.amdhsa_user_sgpr_private_segment_size 0
		.amdhsa_uses_dynamic_stack 0
		.amdhsa_system_sgpr_private_segment_wavefront_offset 0
		.amdhsa_system_sgpr_workgroup_id_x 1
		.amdhsa_system_sgpr_workgroup_id_y 0
		.amdhsa_system_sgpr_workgroup_id_z 0
		.amdhsa_system_sgpr_workgroup_info 0
		.amdhsa_system_vgpr_workitem_id 0
		.amdhsa_next_free_vgpr 1
		.amdhsa_next_free_sgpr 0
		.amdhsa_accum_offset 4
		.amdhsa_reserve_vcc 0
		.amdhsa_reserve_flat_scratch 0
		.amdhsa_float_round_mode_32 0
		.amdhsa_float_round_mode_16_64 0
		.amdhsa_float_denorm_mode_32 3
		.amdhsa_float_denorm_mode_16_64 3
		.amdhsa_dx10_clamp 1
		.amdhsa_ieee_mode 1
		.amdhsa_fp16_overflow 0
		.amdhsa_tg_split 0
		.amdhsa_exception_fp_ieee_invalid_op 0
		.amdhsa_exception_fp_denorm_src 0
		.amdhsa_exception_fp_ieee_div_zero 0
		.amdhsa_exception_fp_ieee_overflow 0
		.amdhsa_exception_fp_ieee_underflow 0
		.amdhsa_exception_fp_ieee_inexact 0
		.amdhsa_exception_int_div_zero 0
	.end_amdhsa_kernel
	.section	.text._ZN7rocprim17ROCPRIM_400000_NS6detail17trampoline_kernelINS0_14default_configENS1_36segmented_radix_sort_config_selectorIhlEEZNS1_25segmented_radix_sort_implIS3_Lb1EPKhPhPKlPlN2at6native12_GLOBAL__N_18offset_tEEE10hipError_tPvRmT1_PNSt15iterator_traitsISK_E10value_typeET2_T3_PNSL_ISQ_E10value_typeET4_jRbjT5_SW_jjP12ihipStream_tbEUlT_E2_NS1_11comp_targetILNS1_3genE0ELNS1_11target_archE4294967295ELNS1_3gpuE0ELNS1_3repE0EEENS1_30default_config_static_selectorELNS0_4arch9wavefront6targetE1EEEvSK_,"axG",@progbits,_ZN7rocprim17ROCPRIM_400000_NS6detail17trampoline_kernelINS0_14default_configENS1_36segmented_radix_sort_config_selectorIhlEEZNS1_25segmented_radix_sort_implIS3_Lb1EPKhPhPKlPlN2at6native12_GLOBAL__N_18offset_tEEE10hipError_tPvRmT1_PNSt15iterator_traitsISK_E10value_typeET2_T3_PNSL_ISQ_E10value_typeET4_jRbjT5_SW_jjP12ihipStream_tbEUlT_E2_NS1_11comp_targetILNS1_3genE0ELNS1_11target_archE4294967295ELNS1_3gpuE0ELNS1_3repE0EEENS1_30default_config_static_selectorELNS0_4arch9wavefront6targetE1EEEvSK_,comdat
.Lfunc_end113:
	.size	_ZN7rocprim17ROCPRIM_400000_NS6detail17trampoline_kernelINS0_14default_configENS1_36segmented_radix_sort_config_selectorIhlEEZNS1_25segmented_radix_sort_implIS3_Lb1EPKhPhPKlPlN2at6native12_GLOBAL__N_18offset_tEEE10hipError_tPvRmT1_PNSt15iterator_traitsISK_E10value_typeET2_T3_PNSL_ISQ_E10value_typeET4_jRbjT5_SW_jjP12ihipStream_tbEUlT_E2_NS1_11comp_targetILNS1_3genE0ELNS1_11target_archE4294967295ELNS1_3gpuE0ELNS1_3repE0EEENS1_30default_config_static_selectorELNS0_4arch9wavefront6targetE1EEEvSK_, .Lfunc_end113-_ZN7rocprim17ROCPRIM_400000_NS6detail17trampoline_kernelINS0_14default_configENS1_36segmented_radix_sort_config_selectorIhlEEZNS1_25segmented_radix_sort_implIS3_Lb1EPKhPhPKlPlN2at6native12_GLOBAL__N_18offset_tEEE10hipError_tPvRmT1_PNSt15iterator_traitsISK_E10value_typeET2_T3_PNSL_ISQ_E10value_typeET4_jRbjT5_SW_jjP12ihipStream_tbEUlT_E2_NS1_11comp_targetILNS1_3genE0ELNS1_11target_archE4294967295ELNS1_3gpuE0ELNS1_3repE0EEENS1_30default_config_static_selectorELNS0_4arch9wavefront6targetE1EEEvSK_
                                        ; -- End function
	.section	.AMDGPU.csdata,"",@progbits
; Kernel info:
; codeLenInByte = 0
; NumSgprs: 4
; NumVgprs: 0
; NumAgprs: 0
; TotalNumVgprs: 0
; ScratchSize: 0
; MemoryBound: 0
; FloatMode: 240
; IeeeMode: 1
; LDSByteSize: 0 bytes/workgroup (compile time only)
; SGPRBlocks: 0
; VGPRBlocks: 0
; NumSGPRsForWavesPerEU: 4
; NumVGPRsForWavesPerEU: 1
; AccumOffset: 4
; Occupancy: 8
; WaveLimiterHint : 0
; COMPUTE_PGM_RSRC2:SCRATCH_EN: 0
; COMPUTE_PGM_RSRC2:USER_SGPR: 6
; COMPUTE_PGM_RSRC2:TRAP_HANDLER: 0
; COMPUTE_PGM_RSRC2:TGID_X_EN: 1
; COMPUTE_PGM_RSRC2:TGID_Y_EN: 0
; COMPUTE_PGM_RSRC2:TGID_Z_EN: 0
; COMPUTE_PGM_RSRC2:TIDIG_COMP_CNT: 0
; COMPUTE_PGM_RSRC3_GFX90A:ACCUM_OFFSET: 0
; COMPUTE_PGM_RSRC3_GFX90A:TG_SPLIT: 0
	.section	.text._ZN7rocprim17ROCPRIM_400000_NS6detail17trampoline_kernelINS0_14default_configENS1_36segmented_radix_sort_config_selectorIhlEEZNS1_25segmented_radix_sort_implIS3_Lb1EPKhPhPKlPlN2at6native12_GLOBAL__N_18offset_tEEE10hipError_tPvRmT1_PNSt15iterator_traitsISK_E10value_typeET2_T3_PNSL_ISQ_E10value_typeET4_jRbjT5_SW_jjP12ihipStream_tbEUlT_E2_NS1_11comp_targetILNS1_3genE5ELNS1_11target_archE942ELNS1_3gpuE9ELNS1_3repE0EEENS1_30default_config_static_selectorELNS0_4arch9wavefront6targetE1EEEvSK_,"axG",@progbits,_ZN7rocprim17ROCPRIM_400000_NS6detail17trampoline_kernelINS0_14default_configENS1_36segmented_radix_sort_config_selectorIhlEEZNS1_25segmented_radix_sort_implIS3_Lb1EPKhPhPKlPlN2at6native12_GLOBAL__N_18offset_tEEE10hipError_tPvRmT1_PNSt15iterator_traitsISK_E10value_typeET2_T3_PNSL_ISQ_E10value_typeET4_jRbjT5_SW_jjP12ihipStream_tbEUlT_E2_NS1_11comp_targetILNS1_3genE5ELNS1_11target_archE942ELNS1_3gpuE9ELNS1_3repE0EEENS1_30default_config_static_selectorELNS0_4arch9wavefront6targetE1EEEvSK_,comdat
	.globl	_ZN7rocprim17ROCPRIM_400000_NS6detail17trampoline_kernelINS0_14default_configENS1_36segmented_radix_sort_config_selectorIhlEEZNS1_25segmented_radix_sort_implIS3_Lb1EPKhPhPKlPlN2at6native12_GLOBAL__N_18offset_tEEE10hipError_tPvRmT1_PNSt15iterator_traitsISK_E10value_typeET2_T3_PNSL_ISQ_E10value_typeET4_jRbjT5_SW_jjP12ihipStream_tbEUlT_E2_NS1_11comp_targetILNS1_3genE5ELNS1_11target_archE942ELNS1_3gpuE9ELNS1_3repE0EEENS1_30default_config_static_selectorELNS0_4arch9wavefront6targetE1EEEvSK_ ; -- Begin function _ZN7rocprim17ROCPRIM_400000_NS6detail17trampoline_kernelINS0_14default_configENS1_36segmented_radix_sort_config_selectorIhlEEZNS1_25segmented_radix_sort_implIS3_Lb1EPKhPhPKlPlN2at6native12_GLOBAL__N_18offset_tEEE10hipError_tPvRmT1_PNSt15iterator_traitsISK_E10value_typeET2_T3_PNSL_ISQ_E10value_typeET4_jRbjT5_SW_jjP12ihipStream_tbEUlT_E2_NS1_11comp_targetILNS1_3genE5ELNS1_11target_archE942ELNS1_3gpuE9ELNS1_3repE0EEENS1_30default_config_static_selectorELNS0_4arch9wavefront6targetE1EEEvSK_
	.p2align	8
	.type	_ZN7rocprim17ROCPRIM_400000_NS6detail17trampoline_kernelINS0_14default_configENS1_36segmented_radix_sort_config_selectorIhlEEZNS1_25segmented_radix_sort_implIS3_Lb1EPKhPhPKlPlN2at6native12_GLOBAL__N_18offset_tEEE10hipError_tPvRmT1_PNSt15iterator_traitsISK_E10value_typeET2_T3_PNSL_ISQ_E10value_typeET4_jRbjT5_SW_jjP12ihipStream_tbEUlT_E2_NS1_11comp_targetILNS1_3genE5ELNS1_11target_archE942ELNS1_3gpuE9ELNS1_3repE0EEENS1_30default_config_static_selectorELNS0_4arch9wavefront6targetE1EEEvSK_,@function
_ZN7rocprim17ROCPRIM_400000_NS6detail17trampoline_kernelINS0_14default_configENS1_36segmented_radix_sort_config_selectorIhlEEZNS1_25segmented_radix_sort_implIS3_Lb1EPKhPhPKlPlN2at6native12_GLOBAL__N_18offset_tEEE10hipError_tPvRmT1_PNSt15iterator_traitsISK_E10value_typeET2_T3_PNSL_ISQ_E10value_typeET4_jRbjT5_SW_jjP12ihipStream_tbEUlT_E2_NS1_11comp_targetILNS1_3genE5ELNS1_11target_archE942ELNS1_3gpuE9ELNS1_3repE0EEENS1_30default_config_static_selectorELNS0_4arch9wavefront6targetE1EEEvSK_: ; @_ZN7rocprim17ROCPRIM_400000_NS6detail17trampoline_kernelINS0_14default_configENS1_36segmented_radix_sort_config_selectorIhlEEZNS1_25segmented_radix_sort_implIS3_Lb1EPKhPhPKlPlN2at6native12_GLOBAL__N_18offset_tEEE10hipError_tPvRmT1_PNSt15iterator_traitsISK_E10value_typeET2_T3_PNSL_ISQ_E10value_typeET4_jRbjT5_SW_jjP12ihipStream_tbEUlT_E2_NS1_11comp_targetILNS1_3genE5ELNS1_11target_archE942ELNS1_3gpuE9ELNS1_3repE0EEENS1_30default_config_static_selectorELNS0_4arch9wavefront6targetE1EEEvSK_
; %bb.0:
	.section	.rodata,"a",@progbits
	.p2align	6, 0x0
	.amdhsa_kernel _ZN7rocprim17ROCPRIM_400000_NS6detail17trampoline_kernelINS0_14default_configENS1_36segmented_radix_sort_config_selectorIhlEEZNS1_25segmented_radix_sort_implIS3_Lb1EPKhPhPKlPlN2at6native12_GLOBAL__N_18offset_tEEE10hipError_tPvRmT1_PNSt15iterator_traitsISK_E10value_typeET2_T3_PNSL_ISQ_E10value_typeET4_jRbjT5_SW_jjP12ihipStream_tbEUlT_E2_NS1_11comp_targetILNS1_3genE5ELNS1_11target_archE942ELNS1_3gpuE9ELNS1_3repE0EEENS1_30default_config_static_selectorELNS0_4arch9wavefront6targetE1EEEvSK_
		.amdhsa_group_segment_fixed_size 0
		.amdhsa_private_segment_fixed_size 0
		.amdhsa_kernarg_size 80
		.amdhsa_user_sgpr_count 6
		.amdhsa_user_sgpr_private_segment_buffer 1
		.amdhsa_user_sgpr_dispatch_ptr 0
		.amdhsa_user_sgpr_queue_ptr 0
		.amdhsa_user_sgpr_kernarg_segment_ptr 1
		.amdhsa_user_sgpr_dispatch_id 0
		.amdhsa_user_sgpr_flat_scratch_init 0
		.amdhsa_user_sgpr_kernarg_preload_length 0
		.amdhsa_user_sgpr_kernarg_preload_offset 0
		.amdhsa_user_sgpr_private_segment_size 0
		.amdhsa_uses_dynamic_stack 0
		.amdhsa_system_sgpr_private_segment_wavefront_offset 0
		.amdhsa_system_sgpr_workgroup_id_x 1
		.amdhsa_system_sgpr_workgroup_id_y 0
		.amdhsa_system_sgpr_workgroup_id_z 0
		.amdhsa_system_sgpr_workgroup_info 0
		.amdhsa_system_vgpr_workitem_id 0
		.amdhsa_next_free_vgpr 1
		.amdhsa_next_free_sgpr 0
		.amdhsa_accum_offset 4
		.amdhsa_reserve_vcc 0
		.amdhsa_reserve_flat_scratch 0
		.amdhsa_float_round_mode_32 0
		.amdhsa_float_round_mode_16_64 0
		.amdhsa_float_denorm_mode_32 3
		.amdhsa_float_denorm_mode_16_64 3
		.amdhsa_dx10_clamp 1
		.amdhsa_ieee_mode 1
		.amdhsa_fp16_overflow 0
		.amdhsa_tg_split 0
		.amdhsa_exception_fp_ieee_invalid_op 0
		.amdhsa_exception_fp_denorm_src 0
		.amdhsa_exception_fp_ieee_div_zero 0
		.amdhsa_exception_fp_ieee_overflow 0
		.amdhsa_exception_fp_ieee_underflow 0
		.amdhsa_exception_fp_ieee_inexact 0
		.amdhsa_exception_int_div_zero 0
	.end_amdhsa_kernel
	.section	.text._ZN7rocprim17ROCPRIM_400000_NS6detail17trampoline_kernelINS0_14default_configENS1_36segmented_radix_sort_config_selectorIhlEEZNS1_25segmented_radix_sort_implIS3_Lb1EPKhPhPKlPlN2at6native12_GLOBAL__N_18offset_tEEE10hipError_tPvRmT1_PNSt15iterator_traitsISK_E10value_typeET2_T3_PNSL_ISQ_E10value_typeET4_jRbjT5_SW_jjP12ihipStream_tbEUlT_E2_NS1_11comp_targetILNS1_3genE5ELNS1_11target_archE942ELNS1_3gpuE9ELNS1_3repE0EEENS1_30default_config_static_selectorELNS0_4arch9wavefront6targetE1EEEvSK_,"axG",@progbits,_ZN7rocprim17ROCPRIM_400000_NS6detail17trampoline_kernelINS0_14default_configENS1_36segmented_radix_sort_config_selectorIhlEEZNS1_25segmented_radix_sort_implIS3_Lb1EPKhPhPKlPlN2at6native12_GLOBAL__N_18offset_tEEE10hipError_tPvRmT1_PNSt15iterator_traitsISK_E10value_typeET2_T3_PNSL_ISQ_E10value_typeET4_jRbjT5_SW_jjP12ihipStream_tbEUlT_E2_NS1_11comp_targetILNS1_3genE5ELNS1_11target_archE942ELNS1_3gpuE9ELNS1_3repE0EEENS1_30default_config_static_selectorELNS0_4arch9wavefront6targetE1EEEvSK_,comdat
.Lfunc_end114:
	.size	_ZN7rocprim17ROCPRIM_400000_NS6detail17trampoline_kernelINS0_14default_configENS1_36segmented_radix_sort_config_selectorIhlEEZNS1_25segmented_radix_sort_implIS3_Lb1EPKhPhPKlPlN2at6native12_GLOBAL__N_18offset_tEEE10hipError_tPvRmT1_PNSt15iterator_traitsISK_E10value_typeET2_T3_PNSL_ISQ_E10value_typeET4_jRbjT5_SW_jjP12ihipStream_tbEUlT_E2_NS1_11comp_targetILNS1_3genE5ELNS1_11target_archE942ELNS1_3gpuE9ELNS1_3repE0EEENS1_30default_config_static_selectorELNS0_4arch9wavefront6targetE1EEEvSK_, .Lfunc_end114-_ZN7rocprim17ROCPRIM_400000_NS6detail17trampoline_kernelINS0_14default_configENS1_36segmented_radix_sort_config_selectorIhlEEZNS1_25segmented_radix_sort_implIS3_Lb1EPKhPhPKlPlN2at6native12_GLOBAL__N_18offset_tEEE10hipError_tPvRmT1_PNSt15iterator_traitsISK_E10value_typeET2_T3_PNSL_ISQ_E10value_typeET4_jRbjT5_SW_jjP12ihipStream_tbEUlT_E2_NS1_11comp_targetILNS1_3genE5ELNS1_11target_archE942ELNS1_3gpuE9ELNS1_3repE0EEENS1_30default_config_static_selectorELNS0_4arch9wavefront6targetE1EEEvSK_
                                        ; -- End function
	.section	.AMDGPU.csdata,"",@progbits
; Kernel info:
; codeLenInByte = 0
; NumSgprs: 4
; NumVgprs: 0
; NumAgprs: 0
; TotalNumVgprs: 0
; ScratchSize: 0
; MemoryBound: 0
; FloatMode: 240
; IeeeMode: 1
; LDSByteSize: 0 bytes/workgroup (compile time only)
; SGPRBlocks: 0
; VGPRBlocks: 0
; NumSGPRsForWavesPerEU: 4
; NumVGPRsForWavesPerEU: 1
; AccumOffset: 4
; Occupancy: 8
; WaveLimiterHint : 0
; COMPUTE_PGM_RSRC2:SCRATCH_EN: 0
; COMPUTE_PGM_RSRC2:USER_SGPR: 6
; COMPUTE_PGM_RSRC2:TRAP_HANDLER: 0
; COMPUTE_PGM_RSRC2:TGID_X_EN: 1
; COMPUTE_PGM_RSRC2:TGID_Y_EN: 0
; COMPUTE_PGM_RSRC2:TGID_Z_EN: 0
; COMPUTE_PGM_RSRC2:TIDIG_COMP_CNT: 0
; COMPUTE_PGM_RSRC3_GFX90A:ACCUM_OFFSET: 0
; COMPUTE_PGM_RSRC3_GFX90A:TG_SPLIT: 0
	.section	.text._ZN7rocprim17ROCPRIM_400000_NS6detail17trampoline_kernelINS0_14default_configENS1_36segmented_radix_sort_config_selectorIhlEEZNS1_25segmented_radix_sort_implIS3_Lb1EPKhPhPKlPlN2at6native12_GLOBAL__N_18offset_tEEE10hipError_tPvRmT1_PNSt15iterator_traitsISK_E10value_typeET2_T3_PNSL_ISQ_E10value_typeET4_jRbjT5_SW_jjP12ihipStream_tbEUlT_E2_NS1_11comp_targetILNS1_3genE4ELNS1_11target_archE910ELNS1_3gpuE8ELNS1_3repE0EEENS1_30default_config_static_selectorELNS0_4arch9wavefront6targetE1EEEvSK_,"axG",@progbits,_ZN7rocprim17ROCPRIM_400000_NS6detail17trampoline_kernelINS0_14default_configENS1_36segmented_radix_sort_config_selectorIhlEEZNS1_25segmented_radix_sort_implIS3_Lb1EPKhPhPKlPlN2at6native12_GLOBAL__N_18offset_tEEE10hipError_tPvRmT1_PNSt15iterator_traitsISK_E10value_typeET2_T3_PNSL_ISQ_E10value_typeET4_jRbjT5_SW_jjP12ihipStream_tbEUlT_E2_NS1_11comp_targetILNS1_3genE4ELNS1_11target_archE910ELNS1_3gpuE8ELNS1_3repE0EEENS1_30default_config_static_selectorELNS0_4arch9wavefront6targetE1EEEvSK_,comdat
	.globl	_ZN7rocprim17ROCPRIM_400000_NS6detail17trampoline_kernelINS0_14default_configENS1_36segmented_radix_sort_config_selectorIhlEEZNS1_25segmented_radix_sort_implIS3_Lb1EPKhPhPKlPlN2at6native12_GLOBAL__N_18offset_tEEE10hipError_tPvRmT1_PNSt15iterator_traitsISK_E10value_typeET2_T3_PNSL_ISQ_E10value_typeET4_jRbjT5_SW_jjP12ihipStream_tbEUlT_E2_NS1_11comp_targetILNS1_3genE4ELNS1_11target_archE910ELNS1_3gpuE8ELNS1_3repE0EEENS1_30default_config_static_selectorELNS0_4arch9wavefront6targetE1EEEvSK_ ; -- Begin function _ZN7rocprim17ROCPRIM_400000_NS6detail17trampoline_kernelINS0_14default_configENS1_36segmented_radix_sort_config_selectorIhlEEZNS1_25segmented_radix_sort_implIS3_Lb1EPKhPhPKlPlN2at6native12_GLOBAL__N_18offset_tEEE10hipError_tPvRmT1_PNSt15iterator_traitsISK_E10value_typeET2_T3_PNSL_ISQ_E10value_typeET4_jRbjT5_SW_jjP12ihipStream_tbEUlT_E2_NS1_11comp_targetILNS1_3genE4ELNS1_11target_archE910ELNS1_3gpuE8ELNS1_3repE0EEENS1_30default_config_static_selectorELNS0_4arch9wavefront6targetE1EEEvSK_
	.p2align	8
	.type	_ZN7rocprim17ROCPRIM_400000_NS6detail17trampoline_kernelINS0_14default_configENS1_36segmented_radix_sort_config_selectorIhlEEZNS1_25segmented_radix_sort_implIS3_Lb1EPKhPhPKlPlN2at6native12_GLOBAL__N_18offset_tEEE10hipError_tPvRmT1_PNSt15iterator_traitsISK_E10value_typeET2_T3_PNSL_ISQ_E10value_typeET4_jRbjT5_SW_jjP12ihipStream_tbEUlT_E2_NS1_11comp_targetILNS1_3genE4ELNS1_11target_archE910ELNS1_3gpuE8ELNS1_3repE0EEENS1_30default_config_static_selectorELNS0_4arch9wavefront6targetE1EEEvSK_,@function
_ZN7rocprim17ROCPRIM_400000_NS6detail17trampoline_kernelINS0_14default_configENS1_36segmented_radix_sort_config_selectorIhlEEZNS1_25segmented_radix_sort_implIS3_Lb1EPKhPhPKlPlN2at6native12_GLOBAL__N_18offset_tEEE10hipError_tPvRmT1_PNSt15iterator_traitsISK_E10value_typeET2_T3_PNSL_ISQ_E10value_typeET4_jRbjT5_SW_jjP12ihipStream_tbEUlT_E2_NS1_11comp_targetILNS1_3genE4ELNS1_11target_archE910ELNS1_3gpuE8ELNS1_3repE0EEENS1_30default_config_static_selectorELNS0_4arch9wavefront6targetE1EEEvSK_: ; @_ZN7rocprim17ROCPRIM_400000_NS6detail17trampoline_kernelINS0_14default_configENS1_36segmented_radix_sort_config_selectorIhlEEZNS1_25segmented_radix_sort_implIS3_Lb1EPKhPhPKlPlN2at6native12_GLOBAL__N_18offset_tEEE10hipError_tPvRmT1_PNSt15iterator_traitsISK_E10value_typeET2_T3_PNSL_ISQ_E10value_typeET4_jRbjT5_SW_jjP12ihipStream_tbEUlT_E2_NS1_11comp_targetILNS1_3genE4ELNS1_11target_archE910ELNS1_3gpuE8ELNS1_3repE0EEENS1_30default_config_static_selectorELNS0_4arch9wavefront6targetE1EEEvSK_
; %bb.0:
	s_add_u32 flat_scratch_lo, s6, s10
	s_addc_u32 flat_scratch_hi, s7, 0
	s_add_u32 s0, s0, s10
	s_mov_b32 s33, s9
	s_mov_b32 s50, s8
	s_load_dwordx4 s[8:11], s[4:5], 0x34
	s_addc_u32 s1, s1, 0
	s_mov_b32 s32, 0
	s_waitcnt lgkmcnt(0)
	s_add_i32 s51, s9, s50
	s_add_i32 s76, s11, s50
	s_mul_i32 s51, s51, s8
	s_mul_i32 s76, s76, s10
	s_cmp_le_u32 s76, s51
	s_cbranch_scc1 .LBB115_686
; %bb.1:
	s_load_dword s6, s[4:5], 0x30
	s_load_dwordx4 s[64:67], s[4:5], 0x20
	s_load_dwordx4 s[68:71], s[4:5], 0x44
	s_load_dwordx8 s[56:63], s[4:5], 0x0
	s_waitcnt lgkmcnt(0)
	s_bitcmp1_b32 s6, 0
	s_cselect_b64 s[54:55], -1, 0
	s_sub_i32 s71, s76, s51
	s_cmpk_lt_u32 s71, 0x801
	s_mov_b64 s[6:7], -1
	s_cbranch_scc0 .LBB115_15
; %bb.2:
	s_cmp_lt_u32 s71, 33
	s_cbranch_scc0 .LBB115_9
; %bb.3:
	s_load_dword s6, s[4:5], 0x5c
	v_bfe_u32 v1, v0, 10, 10
	v_bfe_u32 v3, v0, 20, 10
	v_and_b32_e32 v2, 0x3ff, v0
	s_waitcnt lgkmcnt(0)
	s_lshr_b32 s7, s6, 16
	s_and_b32 s6, s6, 0xffff
	v_mad_u32_u24 v1, v3, s7, v1
	v_mad_u64_u32 v[2:3], s[6:7], v1, s6, v[2:3]
	v_cmp_gt_u32_e32 vcc, 8, v2
	s_and_saveexec_b64 s[34:35], vcc
	s_cbranch_execz .LBB115_8
; %bb.4:
	s_and_b32 s6, s68, 1
	v_cndmask_b32_e64 v1, 0, 1, s[54:55]
	v_cmp_ne_u32_e32 vcc, s6, v1
	s_mov_b64 s[6:7], -1
	s_cbranch_vccnz .LBB115_6
; %bb.5:
	s_add_u32 s8, s4, 0x50
	s_mov_b64 s[6:7], src_shared_base
	s_addc_u32 s9, s5, 0
	s_mov_b32 s12, s50
	s_mov_b32 s13, s33
	v_mov_b32_e32 v31, v0
	v_mov_b32_e32 v40, v0
	;; [unrolled: 1-line block ×16, first 2 shown]
	s_getpc_b64 s[10:11]
	s_add_u32 s10, s10, _ZN7rocprim17ROCPRIM_400000_NS6detail26segmented_warp_sort_helperINS1_20WarpSortHelperConfigILj8ELj4ELj256EEEhlLi256ELb1EvE4sortIPKhPhPKlPlEEvT_T0_T1_T2_jjjjRNS5_12storage_typeE@rel32@lo+4
	s_addc_u32 s11, s11, _ZN7rocprim17ROCPRIM_400000_NS6detail26segmented_warp_sort_helperINS1_20WarpSortHelperConfigILj8ELj4ELj256EEEhlLi256ELb1EvE4sortIPKhPhPKlPlEEvT_T0_T1_T2_jjjjRNS5_12storage_typeE@rel32@hi+12
	s_mov_b64 s[36:37], s[4:5]
	s_swappc_b64 s[30:31], s[10:11]
	v_mov_b32_e32 v0, v40
	s_mov_b64 s[4:5], s[36:37]
	s_mov_b64 s[6:7], 0
.LBB115_6:
	s_andn2_b64 vcc, exec, s[6:7]
	s_cbranch_vccnz .LBB115_8
; %bb.7:
	s_add_u32 s8, s4, 0x50
	s_mov_b64 s[6:7], src_shared_base
	s_addc_u32 s9, s5, 0
	s_mov_b32 s12, s50
	s_mov_b32 s13, s33
	v_mov_b32_e32 v31, v0
	v_mov_b32_e32 v40, v0
	;; [unrolled: 1-line block ×16, first 2 shown]
	s_getpc_b64 s[10:11]
	s_add_u32 s10, s10, _ZN7rocprim17ROCPRIM_400000_NS6detail26segmented_warp_sort_helperINS1_20WarpSortHelperConfigILj8ELj4ELj256EEEhlLi256ELb1EvE4sortIPKhPhPKlPlEEvT_T0_T1_T2_jjjjRNS5_12storage_typeE@rel32@lo+4
	s_addc_u32 s11, s11, _ZN7rocprim17ROCPRIM_400000_NS6detail26segmented_warp_sort_helperINS1_20WarpSortHelperConfigILj8ELj4ELj256EEEhlLi256ELb1EvE4sortIPKhPhPKlPlEEvT_T0_T1_T2_jjjjRNS5_12storage_typeE@rel32@hi+12
	s_mov_b64 s[36:37], s[4:5]
	s_swappc_b64 s[30:31], s[10:11]
	v_mov_b32_e32 v0, v40
	s_mov_b64 s[4:5], s[36:37]
.LBB115_8:
	s_or_b64 exec, exec, s[34:35]
	s_mov_b64 s[6:7], 0
.LBB115_9:
	s_andn2_b64 vcc, exec, s[6:7]
	s_cbranch_vccnz .LBB115_14
; %bb.10:
	s_and_b32 s6, s68, 1
	v_cndmask_b32_e64 v1, 0, 1, s[54:55]
	v_cmp_ne_u32_e32 vcc, s6, v1
	s_mov_b64 s[6:7], -1
	s_cbranch_vccnz .LBB115_12
; %bb.11:
	s_add_u32 s8, s4, 0x50
	s_mov_b64 s[6:7], src_shared_base
	s_addc_u32 s9, s5, 0
	s_mov_b32 s12, s50
	s_mov_b32 s13, s33
	v_mov_b32_e32 v31, v0
	v_mov_b32_e32 v41, v0
	;; [unrolled: 1-line block ×16, first 2 shown]
	s_getpc_b64 s[10:11]
	s_add_u32 s10, s10, _ZN7rocprim17ROCPRIM_400000_NS6detail40segmented_radix_sort_single_block_helperIhlLj256ELj8ELb1EE4sortIPKhPhPKlPlEEbT_T0_T1_T2_jjjjRNS3_12storage_typeE@rel32@lo+4
	s_addc_u32 s11, s11, _ZN7rocprim17ROCPRIM_400000_NS6detail40segmented_radix_sort_single_block_helperIhlLj256ELj8ELb1EE4sortIPKhPhPKlPlEEbT_T0_T1_T2_jjjjRNS3_12storage_typeE@rel32@hi+12
	s_mov_b64 s[48:49], s[4:5]
	s_swappc_b64 s[30:31], s[10:11]
	v_mov_b32_e32 v0, v41
	s_mov_b64 s[4:5], s[48:49]
	s_mov_b64 s[6:7], 0
.LBB115_12:
	s_andn2_b64 vcc, exec, s[6:7]
	s_cbranch_vccnz .LBB115_14
; %bb.13:
	s_add_u32 s8, s4, 0x50
	s_mov_b64 s[6:7], src_shared_base
	s_addc_u32 s9, s5, 0
	s_mov_b32 s12, s50
	s_mov_b32 s13, s33
	v_mov_b32_e32 v31, v0
	v_mov_b32_e32 v41, v0
	;; [unrolled: 1-line block ×16, first 2 shown]
	s_getpc_b64 s[10:11]
	s_add_u32 s10, s10, _ZN7rocprim17ROCPRIM_400000_NS6detail40segmented_radix_sort_single_block_helperIhlLj256ELj8ELb1EE4sortIPKhPhPKlPlEEbT_T0_T1_T2_jjjjRNS3_12storage_typeE@rel32@lo+4
	s_addc_u32 s11, s11, _ZN7rocprim17ROCPRIM_400000_NS6detail40segmented_radix_sort_single_block_helperIhlLj256ELj8ELb1EE4sortIPKhPhPKlPlEEbT_T0_T1_T2_jjjjRNS3_12storage_typeE@rel32@hi+12
	s_mov_b64 s[48:49], s[4:5]
	s_swappc_b64 s[30:31], s[10:11]
	v_mov_b32_e32 v0, v41
	s_mov_b64 s[4:5], s[48:49]
.LBB115_14:
	s_mov_b64 s[6:7], 0
.LBB115_15:
	s_andn2_b64 vcc, exec, s[6:7]
	s_cbranch_vccnz .LBB115_686
; %bb.16:
	s_cmp_ge_u32 s69, s70
	s_cbranch_scc1 .LBB115_686
; %bb.17:
	v_and_b32_e32 v2, 0x3ff, v0
	v_mov_b32_e32 v1, s61
	v_add_co_u32_e32 v28, vcc, s60, v2
	s_movk_i32 s6, 0x100
	v_addc_co_u32_e32 v29, vcc, 0, v1, vcc
	v_or_b32_e32 v1, 63, v2
	s_mov_b64 s[12:13], s[4:5]
	v_cmp_gt_u32_e64 s[4:5], s6, v2
	v_cmp_eq_u32_e64 s[6:7], v1, v2
	v_lshrrev_b32_e32 v1, 4, v2
	v_and_b32_e32 v35, 12, v1
	v_lshlrev_b32_e32 v1, 3, v2
	v_bfe_u32 v40, v0, 20, 10
	v_bfe_u32 v41, v0, 10, 10
	v_mul_u32_u24_e32 v0, 5, v2
	v_mov_b32_e32 v43, 0x410
	v_and_b32_e32 v39, 0x600, v1
	v_lshl_add_u32 v44, v0, 2, v43
	v_lshlrev_b32_e32 v0, 4, v2
	v_sub_u32_e32 v45, 0, v0
	v_lshlrev_b32_e32 v0, 3, v39
	v_mov_b32_e32 v1, s67
	v_add_co_u32_e32 v46, vcc, s66, v0
	v_addc_co_u32_e32 v47, vcc, 0, v1, vcc
	v_mov_b32_e32 v1, s61
	v_add_co_u32_e32 v48, vcc, s60, v39
	v_addc_co_u32_e32 v49, vcc, 0, v1, vcc
	;; [unrolled: 3-line block ×7, first 2 shown]
	v_lshlrev_b32_e32 v3, 2, v2
	v_mov_b32_e32 v0, s57
	v_add_co_u32_e32 v61, vcc, s56, v39
	v_mad_u32_u24 v34, v2, 12, v3
	s_add_u32 s74, s12, 0x50
	s_movk_i32 s68, 0xff
	v_addc_co_u32_e32 v62, vcc, 0, v0, vcc
	v_mbcnt_lo_u32_b32 v0, -1, 0
	s_mov_b32 s73, 0
	v_mov_b32_e32 v4, 0
	v_or_b32_e32 v24, 0x100, v2
	v_or_b32_e32 v25, 0x200, v2
	v_or_b32_e32 v26, 0x300, v2
	v_and_b32_e32 v27, 3, v2
	v_or_b32_e32 v30, 0x400, v2
	v_or_b32_e32 v31, 0x500, v2
	v_or_b32_e32 v32, 0x600, v2
	v_or_b32_e32 v33, 0x700, v2
	v_or_b32_e32 v36, 0x4400, v35
	v_cmp_gt_u32_e64 s[8:9], 4, v2
	v_add_u32_e32 v37, 0x4400, v3
	v_cmp_lt_u32_e64 s[10:11], 63, v2
	v_add_u32_e32 v38, 0x43fc, v35
	s_addc_u32 s75, s13, 0
	v_add_u32_e32 v42, v34, v3
	v_cmp_eq_u32_e64 s[12:13], 0, v2
	v_cmp_ne_u32_e64 s[14:15], s68, v2
	v_mul_u32_u24_e32 v50, 7, v2
	v_mov_b32_e32 v63, 1
	s_mov_b32 s77, 0xffff
	s_mov_b32 s78, 0x7060004
	s_movk_i32 s79, 0xff00
	s_mov_b32 s80, 0x3020104
	s_mov_b32 s81, 0x7000504
	;; [unrolled: 1-line block ×3, first 2 shown]
	v_mbcnt_hi_u32_b32 v64, -1, v0
	v_mov_b32_e32 v65, -1
	s_mov_b32 s83, s69
	s_branch .LBB115_20
.LBB115_18:                             ;   in Loop: Header=BB115_20 Depth=1
	s_waitcnt lgkmcnt(0)
	s_barrier
.LBB115_19:                             ;   in Loop: Header=BB115_20 Depth=1
	s_add_i32 s83, s83, 8
	s_cmp_ge_u32 s83, s70
	s_cbranch_scc1 .LBB115_686
.LBB115_20:                             ; =>This Loop Header: Depth=1
                                        ;     Child Loop BB115_24 Depth 2
                                        ;     Child Loop BB115_74 Depth 2
                                        ;     Child Loop BB115_190 Depth 2
                                        ;     Child Loop BB115_240 Depth 2
                                        ;     Child Loop BB115_358 Depth 2
                                        ;     Child Loop BB115_408 Depth 2
                                        ;     Child Loop BB115_524 Depth 2
                                        ;     Child Loop BB115_574 Depth 2
	s_sub_i32 s16, s70, s83
	s_min_u32 s16, s16, 8
	s_lshl_b32 s16, -1, s16
	s_xor_b64 s[54:55], s[54:55], -1
	s_not_b32 s84, s16
	s_cmp_lg_u32 s83, s69
	s_mov_b64 s[16:17], -1
	ds_write2st64_b32 v3, v4, v4 offset1:4
	ds_write2st64_b32 v3, v4, v4 offset0:8 offset1:12
	s_waitcnt lgkmcnt(0)
	s_cbranch_scc0 .LBB115_354
; %bb.21:                               ;   in Loop: Header=BB115_20 Depth=1
	s_and_b64 vcc, exec, s[54:55]
	s_cbranch_vccz .LBB115_187
; %bb.22:                               ;   in Loop: Header=BB115_20 Depth=1
	s_mov_b32 s20, s71
	s_mov_b32 s22, s51
	s_barrier
	s_waitcnt lgkmcnt(0)
                                        ; implicit-def: $vgpr5
                                        ; implicit-def: $vgpr6
                                        ; implicit-def: $vgpr7
                                        ; implicit-def: $vgpr8
                                        ; implicit-def: $vgpr9
                                        ; implicit-def: $vgpr10
                                        ; implicit-def: $vgpr11
                                        ; implicit-def: $vgpr12
	s_branch .LBB115_24
.LBB115_23:                             ;   in Loop: Header=BB115_24 Depth=2
	s_or_b64 exec, exec, s[16:17]
	s_addk_i32 s20, 0xf800
	s_cmp_ge_u32 s21, s76
	s_mov_b32 s22, s21
	s_cbranch_scc1 .LBB115_62
.LBB115_24:                             ;   Parent Loop BB115_20 Depth=1
                                        ; =>  This Inner Loop Header: Depth=2
	s_add_i32 s21, s22, 0x800
	s_cmp_gt_u32 s21, s76
	s_cbranch_scc1 .LBB115_27
; %bb.25:                               ;   in Loop: Header=BB115_24 Depth=2
	v_add_co_u32_e32 v0, vcc, s22, v28
	v_addc_co_u32_e32 v1, vcc, 0, v29, vcc
	global_load_ubyte v20, v[0:1], off offset:1536
	global_load_ubyte v19, v[0:1], off offset:1280
	;; [unrolled: 1-line block ×6, first 2 shown]
	global_load_ubyte v14, v[0:1], off
	v_add_co_u32_e32 v0, vcc, 0x700, v0
	v_addc_co_u32_e32 v1, vcc, 0, v1, vcc
	s_mov_b64 s[16:17], -1
	s_movk_i32 s25, 0x800
	s_cbranch_execz .LBB115_28
; %bb.26:                               ;   in Loop: Header=BB115_24 Depth=2
                                        ; implicit-def: $vgpr5
                                        ; implicit-def: $vgpr6
                                        ; implicit-def: $vgpr7
                                        ; implicit-def: $vgpr8
                                        ; implicit-def: $vgpr9
                                        ; implicit-def: $vgpr10
                                        ; implicit-def: $vgpr11
                                        ; implicit-def: $vgpr12
	v_mov_b32_e32 v13, s20
	s_and_saveexec_b64 s[18:19], s[16:17]
	s_cbranch_execnz .LBB115_39
	s_branch .LBB115_40
.LBB115_27:                             ;   in Loop: Header=BB115_24 Depth=2
	s_mov_b64 s[16:17], 0
                                        ; implicit-def: $sgpr25
                                        ; implicit-def: $vgpr14
                                        ; implicit-def: $vgpr15
                                        ; implicit-def: $vgpr16
                                        ; implicit-def: $vgpr17
                                        ; implicit-def: $vgpr18
                                        ; implicit-def: $vgpr19
                                        ; implicit-def: $vgpr20
                                        ; implicit-def: $vgpr0_vgpr1
.LBB115_28:                             ;   in Loop: Header=BB115_24 Depth=2
	s_add_u32 s23, s60, s22
	s_addc_u32 s24, s61, 0
	v_cmp_gt_u32_e32 vcc, s20, v2
	s_and_saveexec_b64 s[18:19], vcc
	s_cbranch_execz .LBB115_56
; %bb.29:                               ;   in Loop: Header=BB115_24 Depth=2
	v_mov_b32_e32 v1, s24
	v_add_co_u32_e32 v0, vcc, s23, v2
	v_addc_co_u32_e32 v1, vcc, 0, v1, vcc
	global_load_ubyte v5, v[0:1], off
	s_or_b64 exec, exec, s[18:19]
	v_cmp_gt_u32_e32 vcc, s20, v24
	s_and_saveexec_b64 s[18:19], vcc
	s_cbranch_execnz .LBB115_57
.LBB115_30:                             ;   in Loop: Header=BB115_24 Depth=2
	s_or_b64 exec, exec, s[18:19]
	v_cmp_gt_u32_e32 vcc, s20, v25
	s_and_saveexec_b64 s[18:19], vcc
	s_cbranch_execz .LBB115_58
.LBB115_31:                             ;   in Loop: Header=BB115_24 Depth=2
	v_mov_b32_e32 v1, s24
	v_add_co_u32_e32 v0, vcc, s23, v2
	v_addc_co_u32_e32 v1, vcc, 0, v1, vcc
	global_load_ubyte v7, v[0:1], off offset:512
	s_or_b64 exec, exec, s[18:19]
	v_cmp_gt_u32_e32 vcc, s20, v26
	s_and_saveexec_b64 s[18:19], vcc
	s_cbranch_execnz .LBB115_59
.LBB115_32:                             ;   in Loop: Header=BB115_24 Depth=2
	s_or_b64 exec, exec, s[18:19]
	v_cmp_gt_u32_e32 vcc, s20, v30
	s_and_saveexec_b64 s[18:19], vcc
	s_cbranch_execz .LBB115_60
.LBB115_33:                             ;   in Loop: Header=BB115_24 Depth=2
	v_mov_b32_e32 v1, s24
	v_add_co_u32_e32 v0, vcc, s23, v2
	v_addc_co_u32_e32 v1, vcc, 0, v1, vcc
	global_load_ubyte v9, v[0:1], off offset:1024
	s_or_b64 exec, exec, s[18:19]
	v_cmp_gt_u32_e32 vcc, s20, v31
	s_and_saveexec_b64 s[18:19], vcc
	s_cbranch_execnz .LBB115_61
.LBB115_34:                             ;   in Loop: Header=BB115_24 Depth=2
	s_or_b64 exec, exec, s[18:19]
	v_cmp_gt_u32_e32 vcc, s20, v32
	s_and_saveexec_b64 s[18:19], vcc
	s_cbranch_execz .LBB115_36
.LBB115_35:                             ;   in Loop: Header=BB115_24 Depth=2
	v_mov_b32_e32 v1, s24
	v_add_co_u32_e32 v0, vcc, s23, v2
	v_addc_co_u32_e32 v1, vcc, 0, v1, vcc
	global_load_ubyte v11, v[0:1], off offset:1536
.LBB115_36:                             ;   in Loop: Header=BB115_24 Depth=2
	s_or_b64 exec, exec, s[18:19]
	v_cmp_gt_u32_e32 vcc, s20, v33
                                        ; implicit-def: $sgpr25
                                        ; implicit-def: $vgpr0_vgpr1
	s_and_saveexec_b64 s[18:19], vcc
	s_cbranch_execz .LBB115_38
; %bb.37:                               ;   in Loop: Header=BB115_24 Depth=2
	v_mov_b32_e32 v0, s24
	v_add_co_u32_e32 v1, vcc, s23, v2
	s_waitcnt vmcnt(0)
	v_addc_co_u32_e32 v12, vcc, 0, v0, vcc
	v_add_co_u32_e32 v0, vcc, 0x700, v1
	s_sub_i32 s25, s76, s22
	v_addc_co_u32_e32 v1, vcc, 0, v12, vcc
	s_or_b64 s[16:17], s[16:17], exec
                                        ; implicit-def: $vgpr12
.LBB115_38:                             ;   in Loop: Header=BB115_24 Depth=2
	s_or_b64 exec, exec, s[18:19]
	s_waitcnt vmcnt(0)
	v_mov_b32_e32 v14, v5
	v_mov_b32_e32 v15, v6
	;; [unrolled: 1-line block ×8, first 2 shown]
	s_and_saveexec_b64 s[18:19], s[16:17]
	s_cbranch_execz .LBB115_40
.LBB115_39:                             ;   in Loop: Header=BB115_24 Depth=2
	global_load_ubyte v12, v[0:1], off
	v_mov_b32_e32 v13, s25
	s_waitcnt vmcnt(1)
	v_mov_b32_e32 v5, v14
	v_mov_b32_e32 v6, v15
	;; [unrolled: 1-line block ×7, first 2 shown]
.LBB115_40:                             ;   in Loop: Header=BB115_24 Depth=2
	s_or_b64 exec, exec, s[18:19]
	v_cmp_lt_u32_e32 vcc, v2, v13
	s_and_saveexec_b64 s[16:17], vcc
	s_cbranch_execz .LBB115_48
; %bb.41:                               ;   in Loop: Header=BB115_24 Depth=2
	v_xor_b32_e32 v0, -1, v5
	v_lshrrev_b32_sdwa v0, s83, v0 dst_sel:DWORD dst_unused:UNUSED_PAD src0_sel:DWORD src1_sel:BYTE_0
	v_and_b32_e32 v0, s84, v0
	v_lshlrev_b32_e32 v1, 2, v27
	v_lshl_or_b32 v0, v0, 4, v1
	ds_add_u32 v0, v63
	s_or_b64 exec, exec, s[16:17]
	v_cmp_lt_u32_e32 vcc, v24, v13
	s_and_saveexec_b64 s[16:17], vcc
	s_cbranch_execnz .LBB115_49
.LBB115_42:                             ;   in Loop: Header=BB115_24 Depth=2
	s_or_b64 exec, exec, s[16:17]
	v_cmp_lt_u32_e32 vcc, v25, v13
	s_and_saveexec_b64 s[16:17], vcc
	s_cbranch_execz .LBB115_50
.LBB115_43:                             ;   in Loop: Header=BB115_24 Depth=2
	v_xor_b32_e32 v0, -1, v7
	v_lshrrev_b32_sdwa v0, s83, v0 dst_sel:DWORD dst_unused:UNUSED_PAD src0_sel:DWORD src1_sel:BYTE_0
	v_and_b32_e32 v0, s84, v0
	v_lshlrev_b32_e32 v1, 2, v27
	v_lshl_or_b32 v0, v0, 4, v1
	ds_add_u32 v0, v63
	s_or_b64 exec, exec, s[16:17]
	v_cmp_lt_u32_e32 vcc, v26, v13
	s_and_saveexec_b64 s[16:17], vcc
	s_cbranch_execnz .LBB115_51
.LBB115_44:                             ;   in Loop: Header=BB115_24 Depth=2
	s_or_b64 exec, exec, s[16:17]
	v_cmp_lt_u32_e32 vcc, v30, v13
	s_and_saveexec_b64 s[16:17], vcc
	s_cbranch_execz .LBB115_52
.LBB115_45:                             ;   in Loop: Header=BB115_24 Depth=2
	v_xor_b32_e32 v0, -1, v9
	v_lshrrev_b32_sdwa v0, s83, v0 dst_sel:DWORD dst_unused:UNUSED_PAD src0_sel:DWORD src1_sel:BYTE_0
	v_and_b32_e32 v0, s84, v0
	v_lshlrev_b32_e32 v1, 2, v27
	v_lshl_or_b32 v0, v0, 4, v1
	ds_add_u32 v0, v63
	s_or_b64 exec, exec, s[16:17]
	v_cmp_lt_u32_e32 vcc, v31, v13
	s_and_saveexec_b64 s[16:17], vcc
	s_cbranch_execnz .LBB115_53
.LBB115_46:                             ;   in Loop: Header=BB115_24 Depth=2
	s_or_b64 exec, exec, s[16:17]
	v_cmp_lt_u32_e32 vcc, v32, v13
	s_and_saveexec_b64 s[16:17], vcc
	s_cbranch_execz .LBB115_54
.LBB115_47:                             ;   in Loop: Header=BB115_24 Depth=2
	v_xor_b32_e32 v0, -1, v11
	v_lshrrev_b32_sdwa v0, s83, v0 dst_sel:DWORD dst_unused:UNUSED_PAD src0_sel:DWORD src1_sel:BYTE_0
	v_and_b32_e32 v0, s84, v0
	v_lshlrev_b32_e32 v1, 2, v27
	v_lshl_or_b32 v0, v0, 4, v1
	ds_add_u32 v0, v63
	s_or_b64 exec, exec, s[16:17]
	v_cmp_lt_u32_e32 vcc, v33, v13
	s_and_saveexec_b64 s[16:17], vcc
	s_cbranch_execz .LBB115_23
	s_branch .LBB115_55
.LBB115_48:                             ;   in Loop: Header=BB115_24 Depth=2
	s_or_b64 exec, exec, s[16:17]
	v_cmp_lt_u32_e32 vcc, v24, v13
	s_and_saveexec_b64 s[16:17], vcc
	s_cbranch_execz .LBB115_42
.LBB115_49:                             ;   in Loop: Header=BB115_24 Depth=2
	v_xor_b32_e32 v0, -1, v6
	v_lshrrev_b32_sdwa v0, s83, v0 dst_sel:DWORD dst_unused:UNUSED_PAD src0_sel:DWORD src1_sel:BYTE_0
	v_and_b32_e32 v0, s84, v0
	v_lshlrev_b32_e32 v1, 2, v27
	v_lshl_or_b32 v0, v0, 4, v1
	ds_add_u32 v0, v63
	s_or_b64 exec, exec, s[16:17]
	v_cmp_lt_u32_e32 vcc, v25, v13
	s_and_saveexec_b64 s[16:17], vcc
	s_cbranch_execnz .LBB115_43
.LBB115_50:                             ;   in Loop: Header=BB115_24 Depth=2
	s_or_b64 exec, exec, s[16:17]
	v_cmp_lt_u32_e32 vcc, v26, v13
	s_and_saveexec_b64 s[16:17], vcc
	s_cbranch_execz .LBB115_44
.LBB115_51:                             ;   in Loop: Header=BB115_24 Depth=2
	v_xor_b32_e32 v0, -1, v8
	v_lshrrev_b32_sdwa v0, s83, v0 dst_sel:DWORD dst_unused:UNUSED_PAD src0_sel:DWORD src1_sel:BYTE_0
	v_and_b32_e32 v0, s84, v0
	v_lshlrev_b32_e32 v1, 2, v27
	v_lshl_or_b32 v0, v0, 4, v1
	ds_add_u32 v0, v63
	s_or_b64 exec, exec, s[16:17]
	v_cmp_lt_u32_e32 vcc, v30, v13
	s_and_saveexec_b64 s[16:17], vcc
	s_cbranch_execnz .LBB115_45
.LBB115_52:                             ;   in Loop: Header=BB115_24 Depth=2
	s_or_b64 exec, exec, s[16:17]
	v_cmp_lt_u32_e32 vcc, v31, v13
	s_and_saveexec_b64 s[16:17], vcc
	s_cbranch_execz .LBB115_46
.LBB115_53:                             ;   in Loop: Header=BB115_24 Depth=2
	v_xor_b32_e32 v0, -1, v10
	v_lshrrev_b32_sdwa v0, s83, v0 dst_sel:DWORD dst_unused:UNUSED_PAD src0_sel:DWORD src1_sel:BYTE_0
	v_and_b32_e32 v0, s84, v0
	v_lshlrev_b32_e32 v1, 2, v27
	v_lshl_or_b32 v0, v0, 4, v1
	ds_add_u32 v0, v63
	s_or_b64 exec, exec, s[16:17]
	v_cmp_lt_u32_e32 vcc, v32, v13
	s_and_saveexec_b64 s[16:17], vcc
	s_cbranch_execnz .LBB115_47
.LBB115_54:                             ;   in Loop: Header=BB115_24 Depth=2
	s_or_b64 exec, exec, s[16:17]
	v_cmp_lt_u32_e32 vcc, v33, v13
	s_and_saveexec_b64 s[16:17], vcc
	s_cbranch_execz .LBB115_23
.LBB115_55:                             ;   in Loop: Header=BB115_24 Depth=2
	s_waitcnt vmcnt(0)
	v_xor_b32_e32 v0, -1, v12
	v_lshrrev_b32_sdwa v0, s83, v0 dst_sel:DWORD dst_unused:UNUSED_PAD src0_sel:DWORD src1_sel:BYTE_0
	v_and_b32_e32 v0, s84, v0
	v_lshlrev_b32_e32 v1, 2, v27
	v_lshl_or_b32 v0, v0, 4, v1
	ds_add_u32 v0, v63
	s_branch .LBB115_23
.LBB115_56:                             ;   in Loop: Header=BB115_24 Depth=2
	s_or_b64 exec, exec, s[18:19]
	v_cmp_gt_u32_e32 vcc, s20, v24
	s_and_saveexec_b64 s[18:19], vcc
	s_cbranch_execz .LBB115_30
.LBB115_57:                             ;   in Loop: Header=BB115_24 Depth=2
	v_mov_b32_e32 v1, s24
	v_add_co_u32_e32 v0, vcc, s23, v2
	v_addc_co_u32_e32 v1, vcc, 0, v1, vcc
	global_load_ubyte v6, v[0:1], off offset:256
	s_or_b64 exec, exec, s[18:19]
	v_cmp_gt_u32_e32 vcc, s20, v25
	s_and_saveexec_b64 s[18:19], vcc
	s_cbranch_execnz .LBB115_31
.LBB115_58:                             ;   in Loop: Header=BB115_24 Depth=2
	s_or_b64 exec, exec, s[18:19]
	v_cmp_gt_u32_e32 vcc, s20, v26
	s_and_saveexec_b64 s[18:19], vcc
	s_cbranch_execz .LBB115_32
.LBB115_59:                             ;   in Loop: Header=BB115_24 Depth=2
	v_mov_b32_e32 v1, s24
	v_add_co_u32_e32 v0, vcc, s23, v2
	v_addc_co_u32_e32 v1, vcc, 0, v1, vcc
	global_load_ubyte v8, v[0:1], off offset:768
	s_or_b64 exec, exec, s[18:19]
	v_cmp_gt_u32_e32 vcc, s20, v30
	s_and_saveexec_b64 s[18:19], vcc
	s_cbranch_execnz .LBB115_33
.LBB115_60:                             ;   in Loop: Header=BB115_24 Depth=2
	s_or_b64 exec, exec, s[18:19]
	v_cmp_gt_u32_e32 vcc, s20, v31
	s_and_saveexec_b64 s[18:19], vcc
	s_cbranch_execz .LBB115_34
.LBB115_61:                             ;   in Loop: Header=BB115_24 Depth=2
	v_mov_b32_e32 v1, s24
	v_add_co_u32_e32 v0, vcc, s23, v2
	v_addc_co_u32_e32 v1, vcc, 0, v1, vcc
	global_load_ubyte v10, v[0:1], off offset:1280
	s_or_b64 exec, exec, s[18:19]
	v_cmp_gt_u32_e32 vcc, s20, v32
	s_and_saveexec_b64 s[18:19], vcc
	s_cbranch_execz .LBB115_36
	s_branch .LBB115_35
.LBB115_62:                             ;   in Loop: Header=BB115_20 Depth=1
	v_mov_b32_e32 v0, 0
	s_waitcnt lgkmcnt(0)
	s_barrier
	s_and_saveexec_b64 s[16:17], s[4:5]
	s_cbranch_execz .LBB115_64
; %bb.63:                               ;   in Loop: Header=BB115_20 Depth=1
	ds_read2_b64 v[6:9], v34 offset1:1
	s_waitcnt lgkmcnt(0)
	v_add_u32_e32 v0, v7, v6
	v_add3_u32 v0, v0, v8, v9
.LBB115_64:                             ;   in Loop: Header=BB115_20 Depth=1
	s_or_b64 exec, exec, s[16:17]
	v_and_b32_e32 v1, 15, v64
	v_mov_b32_dpp v5, v0 row_shr:1 row_mask:0xf bank_mask:0xf
	v_cmp_eq_u32_e64 s[16:17], 0, v1
	v_cndmask_b32_e64 v5, v5, 0, s[16:17]
	v_add_u32_e32 v0, v5, v0
	v_cmp_lt_u32_e64 s[18:19], 1, v1
	v_cmp_lt_u32_e64 s[20:21], 3, v1
	v_mov_b32_dpp v5, v0 row_shr:2 row_mask:0xf bank_mask:0xf
	v_cndmask_b32_e64 v5, 0, v5, s[18:19]
	v_add_u32_e32 v0, v0, v5
	v_cmp_lt_u32_e64 s[22:23], 7, v1
	v_cmp_lt_u32_e64 s[26:27], 31, v64
	v_mov_b32_dpp v5, v0 row_shr:4 row_mask:0xf bank_mask:0xf
	v_cndmask_b32_e64 v5, 0, v5, s[20:21]
	v_add_u32_e32 v0, v0, v5
	v_and_b32_e32 v6, 16, v64
	v_cmp_eq_u32_e64 s[24:25], 0, v6
	v_mov_b32_dpp v5, v0 row_shr:8 row_mask:0xf bank_mask:0xf
	v_cndmask_b32_e64 v1, 0, v5, s[22:23]
	v_add_u32_e32 v0, v0, v1
	v_bfe_i32 v5, v64, 4, 1
	s_nop 0
	v_mov_b32_dpp v1, v0 row_bcast:15 row_mask:0xf bank_mask:0xf
	v_and_b32_e32 v1, v5, v1
	v_add_u32_e32 v0, v0, v1
	s_nop 1
	v_mov_b32_dpp v1, v0 row_bcast:31 row_mask:0xf bank_mask:0xf
	v_cndmask_b32_e64 v1, 0, v1, s[26:27]
	v_add_u32_e32 v1, v0, v1
	s_and_saveexec_b64 s[28:29], s[6:7]
	s_cbranch_execz .LBB115_66
; %bb.65:                               ;   in Loop: Header=BB115_20 Depth=1
	ds_write_b32 v36, v1
.LBB115_66:                             ;   in Loop: Header=BB115_20 Depth=1
	s_or_b64 exec, exec, s[28:29]
	v_and_b32_e32 v0, 3, v64
	s_waitcnt lgkmcnt(0)
	s_barrier
	s_and_saveexec_b64 s[28:29], s[8:9]
	s_cbranch_execz .LBB115_68
; %bb.67:                               ;   in Loop: Header=BB115_20 Depth=1
	ds_read_b32 v5, v37
	v_cmp_ne_u32_e32 vcc, 0, v0
	s_waitcnt lgkmcnt(0)
	v_mov_b32_dpp v6, v5 row_shr:1 row_mask:0xf bank_mask:0xf
	v_cndmask_b32_e32 v6, 0, v6, vcc
	v_add_u32_e32 v5, v6, v5
	v_cmp_lt_u32_e32 vcc, 1, v0
	s_nop 0
	v_mov_b32_dpp v6, v5 row_shr:2 row_mask:0xf bank_mask:0xf
	v_cndmask_b32_e32 v6, 0, v6, vcc
	v_add_u32_e32 v5, v5, v6
	ds_write_b32 v37, v5
.LBB115_68:                             ;   in Loop: Header=BB115_20 Depth=1
	s_or_b64 exec, exec, s[28:29]
	v_mov_b32_e32 v5, 0
	s_waitcnt lgkmcnt(0)
	s_barrier
	s_and_saveexec_b64 s[28:29], s[10:11]
	s_cbranch_execz .LBB115_70
; %bb.69:                               ;   in Loop: Header=BB115_20 Depth=1
	ds_read_b32 v5, v38
.LBB115_70:                             ;   in Loop: Header=BB115_20 Depth=1
	s_or_b64 exec, exec, s[28:29]
	v_add_u32_e32 v6, -1, v64
	v_and_b32_e32 v7, 64, v64
	v_cmp_lt_i32_e32 vcc, v6, v7
	v_cndmask_b32_e32 v6, v6, v64, vcc
	s_waitcnt lgkmcnt(0)
	v_add_u32_e32 v1, v5, v1
	v_lshlrev_b32_e32 v66, 2, v6
	ds_bpermute_b32 v1, v66, v1
	v_cmp_eq_u32_e64 s[28:29], 0, v64
	s_waitcnt lgkmcnt(0)
	s_barrier
	s_and_saveexec_b64 s[30:31], s[4:5]
	s_cbranch_execz .LBB115_72
; %bb.71:                               ;   in Loop: Header=BB115_20 Depth=1
	v_cndmask_b32_e64 v1, v1, v5, s[28:29]
	v_add_u32_e32 v1, s51, v1
	ds_write_b32 v3, v1
.LBB115_72:                             ;   in Loop: Header=BB115_20 Depth=1
	s_or_b64 exec, exec, s[30:31]
	s_load_dword s30, s[74:75], 0x4
	s_load_dword s36, s[74:75], 0xc
	s_waitcnt vmcnt(6)
	v_and_b32_e32 v20, 63, v64
	v_add_co_u32_e32 v75, vcc, v48, v20
	s_waitcnt lgkmcnt(0)
	s_cmp_lt_u32 s33, s30
	s_cselect_b32 s30, 14, 20
	s_add_u32 s30, s74, s30
	s_addc_u32 s31, s75, 0
	global_load_ushort v5, v4, s[30:31]
	v_lshlrev_b32_e32 v21, 3, v20
	v_addc_co_u32_e32 v77, vcc, 0, v49, vcc
	v_add_co_u32_e32 v78, vcc, v46, v21
	v_addc_co_u32_e32 v79, vcc, 0, v47, vcc
	s_and_b32 s36, s36, 0xffff
	v_or_b32_e32 v73, v20, v39
	v_add_co_u32_e32 v87, vcc, 0x1c0, v75
	v_cmp_eq_u32_e64 s[30:31], 0, v0
	v_cmp_lt_u32_e64 s[34:35], 1, v0
	s_mov_b32 s85, s71
	v_or_b32_e32 v80, 64, v73
	v_or_b32_e32 v81, 0x80, v73
	;; [unrolled: 1-line block ×7, first 2 shown]
	v_addc_co_u32_e32 v88, vcc, 0, v77, vcc
	s_mov_b32 s72, s51
                                        ; implicit-def: $vgpr0_vgpr1
                                        ; implicit-def: $vgpr6_vgpr7
                                        ; implicit-def: $vgpr8_vgpr9
                                        ; implicit-def: $vgpr10_vgpr11
                                        ; implicit-def: $vgpr12_vgpr13
                                        ; implicit-def: $vgpr14_vgpr15
                                        ; implicit-def: $vgpr16_vgpr17
                                        ; implicit-def: $vgpr18_vgpr19
                                        ; implicit-def: $vgpr67
                                        ; implicit-def: $vgpr68
                                        ; implicit-def: $vgpr69
                                        ; implicit-def: $vgpr70
                                        ; implicit-def: $vgpr71
                                        ; implicit-def: $vgpr72
                                        ; implicit-def: $vgpr74
                                        ; implicit-def: $vgpr76
	s_waitcnt vmcnt(0)
	v_mad_u32_u24 v5, v40, v5, v41
	v_mad_u64_u32 v[20:21], s[36:37], v5, s36, v[2:3]
	v_lshrrev_b32_e32 v89, 6, v20
	s_branch .LBB115_74
.LBB115_73:                             ;   in Loop: Header=BB115_74 Depth=2
	s_or_b64 exec, exec, s[36:37]
	s_addk_i32 s85, 0xf800
	s_cmp_lt_u32 s86, s76
	s_mov_b32 s72, s86
	s_cbranch_scc0 .LBB115_186
.LBB115_74:                             ;   Parent Loop BB115_20 Depth=1
                                        ; =>  This Inner Loop Header: Depth=2
	s_add_i32 s86, s72, 0x800
	s_cmp_gt_u32 s86, s76
	s_cbranch_scc1 .LBB115_76
; %bb.75:                               ;   in Loop: Header=BB115_74 Depth=2
	v_add_co_u32_e32 v20, vcc, s72, v75
	v_addc_co_u32_e32 v21, vcc, 0, v77, vcc
	global_load_ubyte v5, v[20:21], off offset:64
	global_load_ubyte v22, v[20:21], off offset:192
	;; [unrolled: 1-line block ×3, first 2 shown]
	global_load_ubyte v90, v[20:21], off
	global_load_ubyte v91, v[20:21], off offset:128
	global_load_ubyte v92, v[20:21], off offset:256
	s_nop 0
	global_load_ubyte v21, v[20:21], off offset:384
	s_mov_b64 s[36:37], -1
	s_movk_i32 s40, 0x800
	s_waitcnt vmcnt(6)
	v_lshlrev_b16_e32 v5, 8, v5
	s_waitcnt vmcnt(5)
	v_lshlrev_b16_e32 v20, 8, v22
	;; [unrolled: 2-line block ×3, first 2 shown]
	s_waitcnt vmcnt(3)
	v_or_b32_e32 v5, v90, v5
	s_waitcnt vmcnt(2)
	v_or_b32_sdwa v20, v91, v20 dst_sel:WORD_1 dst_unused:UNUSED_PAD src0_sel:DWORD src1_sel:DWORD
	s_waitcnt vmcnt(1)
	v_or_b32_e32 v22, v92, v22
	v_or_b32_sdwa v20, v5, v20 dst_sel:DWORD dst_unused:UNUSED_PAD src0_sel:WORD_0 src1_sel:DWORD
	v_and_b32_e32 v5, 0xffff, v22
	s_waitcnt vmcnt(0)
	v_lshl_or_b32 v21, v21, 16, v5
	s_cbranch_execz .LBB115_77
	s_branch .LBB115_86
.LBB115_76:                             ;   in Loop: Header=BB115_74 Depth=2
	s_mov_b64 s[36:37], 0
                                        ; implicit-def: $sgpr40
                                        ; implicit-def: $vgpr20_vgpr21
.LBB115_77:                             ;   in Loop: Header=BB115_74 Depth=2
	v_add_co_u32_e32 v22, vcc, s72, v75
	v_addc_co_u32_e32 v23, vcc, 0, v77, vcc
	s_mov_b32 s36, s73
	s_mov_b32 s37, s73
	v_cmp_gt_u32_e32 vcc, s85, v73
	v_pk_mov_b32 v[20:21], s[36:37], s[36:37] op_sel:[0,1]
	s_and_saveexec_b64 s[36:37], vcc
	s_cbranch_execz .LBB115_180
; %bb.78:                               ;   in Loop: Header=BB115_74 Depth=2
	global_load_ubyte v5, v[22:23], off
	v_mov_b32_e32 v21, s73
	s_waitcnt vmcnt(0)
	v_and_b32_e32 v20, 0xffff, v5
	s_or_b64 exec, exec, s[36:37]
	v_cmp_gt_u32_e32 vcc, s85, v80
	s_and_saveexec_b64 s[36:37], vcc
	s_cbranch_execnz .LBB115_181
.LBB115_79:                             ;   in Loop: Header=BB115_74 Depth=2
	s_or_b64 exec, exec, s[36:37]
	v_cmp_gt_u32_e32 vcc, s85, v81
	s_and_saveexec_b64 s[36:37], vcc
	s_cbranch_execz .LBB115_182
.LBB115_80:                             ;   in Loop: Header=BB115_74 Depth=2
	global_load_ubyte v5, v[22:23], off offset:128
	v_and_b32_sdwa v90, v20, s79 dst_sel:DWORD dst_unused:UNUSED_PAD src0_sel:WORD_1 src1_sel:DWORD
	s_waitcnt vmcnt(0)
	v_or_b32_sdwa v5, v5, v90 dst_sel:WORD_1 dst_unused:UNUSED_PAD src0_sel:DWORD src1_sel:DWORD
	v_and_or_b32 v20, v20, s77, v5
	s_or_b64 exec, exec, s[36:37]
	v_cmp_gt_u32_e32 vcc, s85, v82
	s_and_saveexec_b64 s[36:37], vcc
	s_cbranch_execnz .LBB115_183
.LBB115_81:                             ;   in Loop: Header=BB115_74 Depth=2
	s_or_b64 exec, exec, s[36:37]
	v_cmp_gt_u32_e32 vcc, s85, v83
	s_and_saveexec_b64 s[36:37], vcc
	s_cbranch_execz .LBB115_184
.LBB115_82:                             ;   in Loop: Header=BB115_74 Depth=2
	global_load_ubyte v5, v[22:23], off offset:256
	s_waitcnt vmcnt(0)
	v_perm_b32 v21, v5, v21, s80
	s_or_b64 exec, exec, s[36:37]
	v_cmp_gt_u32_e32 vcc, s85, v84
	s_and_saveexec_b64 s[36:37], vcc
	s_cbranch_execnz .LBB115_185
.LBB115_83:                             ;   in Loop: Header=BB115_74 Depth=2
	s_or_b64 exec, exec, s[36:37]
	v_cmp_gt_u32_e32 vcc, s85, v85
	s_and_saveexec_b64 s[36:37], vcc
	s_cbranch_execz .LBB115_85
.LBB115_84:                             ;   in Loop: Header=BB115_74 Depth=2
	global_load_ubyte v5, v[22:23], off offset:384
	s_waitcnt vmcnt(0)
	v_perm_b32 v21, v21, v5, s81
.LBB115_85:                             ;   in Loop: Header=BB115_74 Depth=2
	s_or_b64 exec, exec, s[36:37]
	s_sub_i32 s40, s76, s72
	v_cmp_gt_u32_e64 s[36:37], s85, v86
.LBB115_86:                             ;   in Loop: Header=BB115_74 Depth=2
	v_mov_b32_e32 v90, s85
	s_and_saveexec_b64 s[38:39], s[36:37]
	s_cbranch_execz .LBB115_88
; %bb.87:                               ;   in Loop: Header=BB115_74 Depth=2
	v_mov_b32_e32 v5, s73
	v_add_co_u32_e32 v22, vcc, s72, v87
	v_addc_co_u32_e32 v23, vcc, v88, v5, vcc
	global_load_ubyte v5, v[22:23], off
	v_mov_b32_e32 v90, s40
	s_waitcnt vmcnt(0)
	v_perm_b32 v21, v21, v5, s82
.LBB115_88:                             ;   in Loop: Header=BB115_74 Depth=2
	s_or_b64 exec, exec, s[38:39]
	v_xor_b32_e32 v91, -1, v20
	v_add_u32_e32 v5, 0x410, v42
	ds_write2_b32 v5, v4, v4 offset1:1
	ds_write2_b32 v44, v4, v4 offset0:2 offset1:3
	ds_write_b32 v44, v4 offset:16
	v_lshrrev_b32_sdwa v5, s83, v91 dst_sel:DWORD dst_unused:UNUSED_PAD src0_sel:DWORD src1_sel:BYTE_0
	v_and_b32_e32 v22, s84, v5
	v_mad_u32_u24 v5, v22, 5, v89
	v_lshl_add_u32 v92, v5, 2, v43
	v_and_b32_e32 v5, 1, v22
	v_add_co_u32_e32 v23, vcc, -1, v5
	v_addc_co_u32_e64 v93, s[36:37], 0, -1, vcc
	v_cmp_ne_u32_e32 vcc, 0, v5
	v_xor_b32_e32 v5, vcc_hi, v93
	v_and_b32_e32 v93, exec_hi, v5
	v_lshlrev_b32_e32 v5, 30, v22
	v_xor_b32_e32 v23, vcc_lo, v23
	v_cmp_gt_i64_e32 vcc, 0, v[4:5]
	v_not_b32_e32 v5, v5
	v_ashrrev_i32_e32 v5, 31, v5
	v_and_b32_e32 v23, exec_lo, v23
	v_xor_b32_e32 v94, vcc_hi, v5
	v_xor_b32_e32 v5, vcc_lo, v5
	v_and_b32_e32 v23, v23, v5
	v_lshlrev_b32_e32 v5, 29, v22
	v_cmp_gt_i64_e32 vcc, 0, v[4:5]
	v_not_b32_e32 v5, v5
	v_ashrrev_i32_e32 v5, 31, v5
	v_and_b32_e32 v93, v93, v94
	v_xor_b32_e32 v94, vcc_hi, v5
	v_xor_b32_e32 v5, vcc_lo, v5
	v_and_b32_e32 v23, v23, v5
	v_lshlrev_b32_e32 v5, 28, v22
	v_cmp_gt_i64_e32 vcc, 0, v[4:5]
	v_not_b32_e32 v5, v5
	v_ashrrev_i32_e32 v5, 31, v5
	v_and_b32_e32 v93, v93, v94
	;; [unrolled: 8-line block ×5, first 2 shown]
	v_xor_b32_e32 v94, vcc_hi, v5
	v_xor_b32_e32 v5, vcc_lo, v5
	v_and_b32_e32 v93, v93, v94
	v_and_b32_e32 v94, v23, v5
	v_lshlrev_b32_e32 v5, 24, v22
	v_cmp_gt_i64_e32 vcc, 0, v[4:5]
	v_not_b32_e32 v5, v5
	v_ashrrev_i32_e32 v5, 31, v5
	v_xor_b32_e32 v22, vcc_hi, v5
	v_xor_b32_e32 v5, vcc_lo, v5
	v_and_b32_e32 v23, v93, v22
	v_and_b32_e32 v22, v94, v5
	v_mbcnt_lo_u32_b32 v5, v22, 0
	v_mbcnt_hi_u32_b32 v93, v23, v5
	v_cmp_eq_u32_e32 vcc, 0, v93
	v_cmp_ne_u64_e64 s[36:37], 0, v[22:23]
	s_and_b64 s[38:39], s[36:37], vcc
	s_waitcnt lgkmcnt(0)
	s_barrier
	s_waitcnt lgkmcnt(0)
	; wave barrier
	s_and_saveexec_b64 s[36:37], s[38:39]
	s_cbranch_execz .LBB115_90
; %bb.89:                               ;   in Loop: Header=BB115_74 Depth=2
	v_bcnt_u32_b32 v5, v22, 0
	v_bcnt_u32_b32 v5, v23, v5
	ds_write_b32 v92, v5
.LBB115_90:                             ;   in Loop: Header=BB115_74 Depth=2
	s_or_b64 exec, exec, s[36:37]
	v_lshrrev_b32_e32 v5, 8, v20
	v_xor_b32_e32 v94, -1, v5
	v_lshrrev_b32_sdwa v5, s83, v94 dst_sel:DWORD dst_unused:UNUSED_PAD src0_sel:DWORD src1_sel:BYTE_0
	v_and_b32_e32 v22, s84, v5
	v_mul_u32_u24_e32 v5, 5, v22
	v_add_lshl_u32 v5, v5, v89, 2
	; wave barrier
	v_add_u32_e32 v96, 0x410, v5
	ds_read_b32 v95, v5 offset:1040
	v_and_b32_e32 v5, 1, v22
	v_add_co_u32_e32 v23, vcc, -1, v5
	v_addc_co_u32_e64 v97, s[36:37], 0, -1, vcc
	v_cmp_ne_u32_e32 vcc, 0, v5
	v_xor_b32_e32 v5, vcc_hi, v97
	v_and_b32_e32 v97, exec_hi, v5
	v_lshlrev_b32_e32 v5, 30, v22
	v_xor_b32_e32 v23, vcc_lo, v23
	v_cmp_gt_i64_e32 vcc, 0, v[4:5]
	v_not_b32_e32 v5, v5
	v_ashrrev_i32_e32 v5, 31, v5
	v_and_b32_e32 v23, exec_lo, v23
	v_xor_b32_e32 v98, vcc_hi, v5
	v_xor_b32_e32 v5, vcc_lo, v5
	v_and_b32_e32 v23, v23, v5
	v_lshlrev_b32_e32 v5, 29, v22
	v_cmp_gt_i64_e32 vcc, 0, v[4:5]
	v_not_b32_e32 v5, v5
	v_ashrrev_i32_e32 v5, 31, v5
	v_and_b32_e32 v97, v97, v98
	v_xor_b32_e32 v98, vcc_hi, v5
	v_xor_b32_e32 v5, vcc_lo, v5
	v_and_b32_e32 v23, v23, v5
	v_lshlrev_b32_e32 v5, 28, v22
	v_cmp_gt_i64_e32 vcc, 0, v[4:5]
	v_not_b32_e32 v5, v5
	v_ashrrev_i32_e32 v5, 31, v5
	v_and_b32_e32 v97, v97, v98
	;; [unrolled: 8-line block ×5, first 2 shown]
	v_xor_b32_e32 v98, vcc_hi, v5
	v_xor_b32_e32 v5, vcc_lo, v5
	v_and_b32_e32 v97, v97, v98
	v_and_b32_e32 v98, v23, v5
	v_lshlrev_b32_e32 v5, 24, v22
	v_cmp_gt_i64_e32 vcc, 0, v[4:5]
	v_not_b32_e32 v5, v5
	v_ashrrev_i32_e32 v5, 31, v5
	v_xor_b32_e32 v22, vcc_hi, v5
	v_xor_b32_e32 v5, vcc_lo, v5
	v_and_b32_e32 v23, v97, v22
	v_and_b32_e32 v22, v98, v5
	v_mbcnt_lo_u32_b32 v5, v22, 0
	v_mbcnt_hi_u32_b32 v97, v23, v5
	v_cmp_eq_u32_e32 vcc, 0, v97
	v_cmp_ne_u64_e64 s[36:37], 0, v[22:23]
	s_and_b64 s[38:39], s[36:37], vcc
	; wave barrier
	s_and_saveexec_b64 s[36:37], s[38:39]
	s_cbranch_execz .LBB115_92
; %bb.91:                               ;   in Loop: Header=BB115_74 Depth=2
	v_bcnt_u32_b32 v5, v22, 0
	v_bcnt_u32_b32 v5, v23, v5
	s_waitcnt lgkmcnt(0)
	v_add_u32_e32 v5, v95, v5
	ds_write_b32 v96, v5
.LBB115_92:                             ;   in Loop: Header=BB115_74 Depth=2
	s_or_b64 exec, exec, s[36:37]
	v_xor_b32_sdwa v98, v20, v65 dst_sel:DWORD dst_unused:UNUSED_PAD src0_sel:WORD_1 src1_sel:DWORD
	v_lshrrev_b32_sdwa v5, s83, v98 dst_sel:DWORD dst_unused:UNUSED_PAD src0_sel:DWORD src1_sel:BYTE_0
	v_and_b32_e32 v22, s84, v5
	v_mul_u32_u24_e32 v5, 5, v22
	v_add_lshl_u32 v5, v5, v89, 2
	; wave barrier
	v_add_u32_e32 v100, 0x410, v5
	ds_read_b32 v99, v5 offset:1040
	v_and_b32_e32 v5, 1, v22
	v_add_co_u32_e32 v23, vcc, -1, v5
	v_addc_co_u32_e64 v101, s[36:37], 0, -1, vcc
	v_cmp_ne_u32_e32 vcc, 0, v5
	v_xor_b32_e32 v5, vcc_hi, v101
	v_and_b32_e32 v101, exec_hi, v5
	v_lshlrev_b32_e32 v5, 30, v22
	v_xor_b32_e32 v23, vcc_lo, v23
	v_cmp_gt_i64_e32 vcc, 0, v[4:5]
	v_not_b32_e32 v5, v5
	v_ashrrev_i32_e32 v5, 31, v5
	v_and_b32_e32 v23, exec_lo, v23
	v_xor_b32_e32 v102, vcc_hi, v5
	v_xor_b32_e32 v5, vcc_lo, v5
	v_and_b32_e32 v23, v23, v5
	v_lshlrev_b32_e32 v5, 29, v22
	v_cmp_gt_i64_e32 vcc, 0, v[4:5]
	v_not_b32_e32 v5, v5
	v_ashrrev_i32_e32 v5, 31, v5
	v_and_b32_e32 v101, v101, v102
	v_xor_b32_e32 v102, vcc_hi, v5
	v_xor_b32_e32 v5, vcc_lo, v5
	v_and_b32_e32 v23, v23, v5
	v_lshlrev_b32_e32 v5, 28, v22
	v_cmp_gt_i64_e32 vcc, 0, v[4:5]
	v_not_b32_e32 v5, v5
	v_ashrrev_i32_e32 v5, 31, v5
	v_and_b32_e32 v101, v101, v102
	v_xor_b32_e32 v102, vcc_hi, v5
	v_xor_b32_e32 v5, vcc_lo, v5
	v_and_b32_e32 v23, v23, v5
	v_lshlrev_b32_e32 v5, 27, v22
	v_cmp_gt_i64_e32 vcc, 0, v[4:5]
	v_not_b32_e32 v5, v5
	v_ashrrev_i32_e32 v5, 31, v5
	v_and_b32_e32 v101, v101, v102
	v_xor_b32_e32 v102, vcc_hi, v5
	v_xor_b32_e32 v5, vcc_lo, v5
	v_and_b32_e32 v23, v23, v5
	v_lshlrev_b32_e32 v5, 26, v22
	v_cmp_gt_i64_e32 vcc, 0, v[4:5]
	v_not_b32_e32 v5, v5
	v_ashrrev_i32_e32 v5, 31, v5
	v_and_b32_e32 v101, v101, v102
	v_xor_b32_e32 v102, vcc_hi, v5
	v_xor_b32_e32 v5, vcc_lo, v5
	v_and_b32_e32 v23, v23, v5
	v_lshlrev_b32_e32 v5, 25, v22
	v_cmp_gt_i64_e32 vcc, 0, v[4:5]
	v_not_b32_e32 v5, v5
	v_ashrrev_i32_e32 v5, 31, v5
	v_and_b32_e32 v101, v101, v102
	v_xor_b32_e32 v102, vcc_hi, v5
	v_xor_b32_e32 v5, vcc_lo, v5
	v_and_b32_e32 v101, v101, v102
	v_and_b32_e32 v102, v23, v5
	v_lshlrev_b32_e32 v5, 24, v22
	v_cmp_gt_i64_e32 vcc, 0, v[4:5]
	v_not_b32_e32 v5, v5
	v_ashrrev_i32_e32 v5, 31, v5
	v_xor_b32_e32 v22, vcc_hi, v5
	v_xor_b32_e32 v5, vcc_lo, v5
	v_and_b32_e32 v23, v101, v22
	v_and_b32_e32 v22, v102, v5
	v_mbcnt_lo_u32_b32 v5, v22, 0
	v_mbcnt_hi_u32_b32 v101, v23, v5
	v_cmp_eq_u32_e32 vcc, 0, v101
	v_cmp_ne_u64_e64 s[36:37], 0, v[22:23]
	s_and_b64 s[38:39], s[36:37], vcc
	; wave barrier
	s_and_saveexec_b64 s[36:37], s[38:39]
	s_cbranch_execz .LBB115_94
; %bb.93:                               ;   in Loop: Header=BB115_74 Depth=2
	v_bcnt_u32_b32 v5, v22, 0
	v_bcnt_u32_b32 v5, v23, v5
	s_waitcnt lgkmcnt(0)
	v_add_u32_e32 v5, v99, v5
	ds_write_b32 v100, v5
.LBB115_94:                             ;   in Loop: Header=BB115_74 Depth=2
	s_or_b64 exec, exec, s[36:37]
	v_lshrrev_b64 v[22:23], 24, v[20:21]
	v_xor_b32_e32 v102, -1, v22
	v_lshrrev_b32_sdwa v5, s83, v102 dst_sel:DWORD dst_unused:UNUSED_PAD src0_sel:DWORD src1_sel:BYTE_0
	v_and_b32_e32 v20, s84, v5
	v_mul_u32_u24_e32 v5, 5, v20
	v_add_lshl_u32 v5, v5, v89, 2
	; wave barrier
	v_add_u32_e32 v104, 0x410, v5
	ds_read_b32 v103, v5 offset:1040
	v_and_b32_e32 v5, 1, v20
	v_add_co_u32_e32 v22, vcc, -1, v5
	v_addc_co_u32_e64 v23, s[36:37], 0, -1, vcc
	v_cmp_ne_u32_e32 vcc, 0, v5
	v_xor_b32_e32 v5, vcc_hi, v23
	v_and_b32_e32 v23, exec_hi, v5
	v_lshlrev_b32_e32 v5, 30, v20
	v_xor_b32_e32 v22, vcc_lo, v22
	v_cmp_gt_i64_e32 vcc, 0, v[4:5]
	v_not_b32_e32 v5, v5
	v_ashrrev_i32_e32 v5, 31, v5
	v_and_b32_e32 v22, exec_lo, v22
	v_xor_b32_e32 v105, vcc_hi, v5
	v_xor_b32_e32 v5, vcc_lo, v5
	v_and_b32_e32 v22, v22, v5
	v_lshlrev_b32_e32 v5, 29, v20
	v_cmp_gt_i64_e32 vcc, 0, v[4:5]
	v_not_b32_e32 v5, v5
	v_ashrrev_i32_e32 v5, 31, v5
	v_and_b32_e32 v23, v23, v105
	v_xor_b32_e32 v105, vcc_hi, v5
	v_xor_b32_e32 v5, vcc_lo, v5
	v_and_b32_e32 v22, v22, v5
	v_lshlrev_b32_e32 v5, 28, v20
	v_cmp_gt_i64_e32 vcc, 0, v[4:5]
	v_not_b32_e32 v5, v5
	v_ashrrev_i32_e32 v5, 31, v5
	v_and_b32_e32 v23, v23, v105
	;; [unrolled: 8-line block ×5, first 2 shown]
	v_xor_b32_e32 v105, vcc_hi, v5
	v_xor_b32_e32 v5, vcc_lo, v5
	v_and_b32_e32 v22, v22, v5
	v_lshlrev_b32_e32 v5, 24, v20
	v_cmp_gt_i64_e32 vcc, 0, v[4:5]
	v_not_b32_e32 v5, v5
	v_ashrrev_i32_e32 v5, 31, v5
	v_xor_b32_e32 v20, vcc_hi, v5
	v_xor_b32_e32 v5, vcc_lo, v5
	v_and_b32_e32 v23, v23, v105
	v_and_b32_e32 v22, v22, v5
	;; [unrolled: 1-line block ×3, first 2 shown]
	v_mbcnt_lo_u32_b32 v5, v22, 0
	v_mbcnt_hi_u32_b32 v105, v23, v5
	v_cmp_eq_u32_e32 vcc, 0, v105
	v_cmp_ne_u64_e64 s[36:37], 0, v[22:23]
	s_and_b64 s[38:39], s[36:37], vcc
	; wave barrier
	s_and_saveexec_b64 s[36:37], s[38:39]
	s_cbranch_execz .LBB115_96
; %bb.95:                               ;   in Loop: Header=BB115_74 Depth=2
	v_bcnt_u32_b32 v5, v22, 0
	v_bcnt_u32_b32 v5, v23, v5
	s_waitcnt lgkmcnt(0)
	v_add_u32_e32 v5, v103, v5
	ds_write_b32 v104, v5
.LBB115_96:                             ;   in Loop: Header=BB115_74 Depth=2
	s_or_b64 exec, exec, s[36:37]
	v_xor_b32_e32 v106, -1, v21
	v_lshrrev_b32_sdwa v5, s83, v106 dst_sel:DWORD dst_unused:UNUSED_PAD src0_sel:DWORD src1_sel:BYTE_0
	v_and_b32_e32 v20, s84, v5
	v_mul_u32_u24_e32 v5, 5, v20
	v_add_lshl_u32 v5, v5, v89, 2
	; wave barrier
	v_add_u32_e32 v108, 0x410, v5
	ds_read_b32 v107, v5 offset:1040
	v_and_b32_e32 v5, 1, v20
	v_add_co_u32_e32 v22, vcc, -1, v5
	v_addc_co_u32_e64 v23, s[36:37], 0, -1, vcc
	v_cmp_ne_u32_e32 vcc, 0, v5
	v_xor_b32_e32 v5, vcc_hi, v23
	v_and_b32_e32 v23, exec_hi, v5
	v_lshlrev_b32_e32 v5, 30, v20
	v_xor_b32_e32 v22, vcc_lo, v22
	v_cmp_gt_i64_e32 vcc, 0, v[4:5]
	v_not_b32_e32 v5, v5
	v_ashrrev_i32_e32 v5, 31, v5
	v_and_b32_e32 v22, exec_lo, v22
	v_xor_b32_e32 v109, vcc_hi, v5
	v_xor_b32_e32 v5, vcc_lo, v5
	v_and_b32_e32 v22, v22, v5
	v_lshlrev_b32_e32 v5, 29, v20
	v_cmp_gt_i64_e32 vcc, 0, v[4:5]
	v_not_b32_e32 v5, v5
	v_ashrrev_i32_e32 v5, 31, v5
	v_and_b32_e32 v23, v23, v109
	v_xor_b32_e32 v109, vcc_hi, v5
	v_xor_b32_e32 v5, vcc_lo, v5
	v_and_b32_e32 v22, v22, v5
	v_lshlrev_b32_e32 v5, 28, v20
	v_cmp_gt_i64_e32 vcc, 0, v[4:5]
	v_not_b32_e32 v5, v5
	v_ashrrev_i32_e32 v5, 31, v5
	v_and_b32_e32 v23, v23, v109
	;; [unrolled: 8-line block ×5, first 2 shown]
	v_xor_b32_e32 v109, vcc_hi, v5
	v_xor_b32_e32 v5, vcc_lo, v5
	v_and_b32_e32 v22, v22, v5
	v_lshlrev_b32_e32 v5, 24, v20
	v_cmp_gt_i64_e32 vcc, 0, v[4:5]
	v_not_b32_e32 v5, v5
	v_ashrrev_i32_e32 v5, 31, v5
	v_xor_b32_e32 v20, vcc_hi, v5
	v_xor_b32_e32 v5, vcc_lo, v5
	v_and_b32_e32 v23, v23, v109
	v_and_b32_e32 v22, v22, v5
	;; [unrolled: 1-line block ×3, first 2 shown]
	v_mbcnt_lo_u32_b32 v5, v22, 0
	v_mbcnt_hi_u32_b32 v109, v23, v5
	v_cmp_eq_u32_e32 vcc, 0, v109
	v_cmp_ne_u64_e64 s[36:37], 0, v[22:23]
	s_and_b64 s[38:39], s[36:37], vcc
	; wave barrier
	s_and_saveexec_b64 s[36:37], s[38:39]
	s_cbranch_execz .LBB115_98
; %bb.97:                               ;   in Loop: Header=BB115_74 Depth=2
	v_bcnt_u32_b32 v5, v22, 0
	v_bcnt_u32_b32 v5, v23, v5
	s_waitcnt lgkmcnt(0)
	v_add_u32_e32 v5, v107, v5
	ds_write_b32 v108, v5
.LBB115_98:                             ;   in Loop: Header=BB115_74 Depth=2
	s_or_b64 exec, exec, s[36:37]
	v_lshrrev_b32_e32 v5, 8, v21
	v_xor_b32_e32 v110, -1, v5
	v_lshrrev_b32_sdwa v5, s83, v110 dst_sel:DWORD dst_unused:UNUSED_PAD src0_sel:DWORD src1_sel:BYTE_0
	v_and_b32_e32 v20, s84, v5
	v_mul_u32_u24_e32 v5, 5, v20
	v_add_lshl_u32 v5, v5, v89, 2
	; wave barrier
	v_add_u32_e32 v112, 0x410, v5
	ds_read_b32 v111, v5 offset:1040
	v_and_b32_e32 v5, 1, v20
	v_add_co_u32_e32 v22, vcc, -1, v5
	v_addc_co_u32_e64 v23, s[36:37], 0, -1, vcc
	v_cmp_ne_u32_e32 vcc, 0, v5
	v_xor_b32_e32 v5, vcc_hi, v23
	v_and_b32_e32 v23, exec_hi, v5
	v_lshlrev_b32_e32 v5, 30, v20
	v_xor_b32_e32 v22, vcc_lo, v22
	v_cmp_gt_i64_e32 vcc, 0, v[4:5]
	v_not_b32_e32 v5, v5
	v_ashrrev_i32_e32 v5, 31, v5
	v_and_b32_e32 v22, exec_lo, v22
	v_xor_b32_e32 v113, vcc_hi, v5
	v_xor_b32_e32 v5, vcc_lo, v5
	v_and_b32_e32 v22, v22, v5
	v_lshlrev_b32_e32 v5, 29, v20
	v_cmp_gt_i64_e32 vcc, 0, v[4:5]
	v_not_b32_e32 v5, v5
	v_ashrrev_i32_e32 v5, 31, v5
	v_and_b32_e32 v23, v23, v113
	v_xor_b32_e32 v113, vcc_hi, v5
	v_xor_b32_e32 v5, vcc_lo, v5
	v_and_b32_e32 v22, v22, v5
	v_lshlrev_b32_e32 v5, 28, v20
	v_cmp_gt_i64_e32 vcc, 0, v[4:5]
	v_not_b32_e32 v5, v5
	v_ashrrev_i32_e32 v5, 31, v5
	v_and_b32_e32 v23, v23, v113
	;; [unrolled: 8-line block ×5, first 2 shown]
	v_xor_b32_e32 v113, vcc_hi, v5
	v_xor_b32_e32 v5, vcc_lo, v5
	v_and_b32_e32 v22, v22, v5
	v_lshlrev_b32_e32 v5, 24, v20
	v_cmp_gt_i64_e32 vcc, 0, v[4:5]
	v_not_b32_e32 v5, v5
	v_ashrrev_i32_e32 v5, 31, v5
	v_xor_b32_e32 v20, vcc_hi, v5
	v_xor_b32_e32 v5, vcc_lo, v5
	v_and_b32_e32 v23, v23, v113
	v_and_b32_e32 v22, v22, v5
	v_and_b32_e32 v23, v23, v20
	v_mbcnt_lo_u32_b32 v5, v22, 0
	v_mbcnt_hi_u32_b32 v113, v23, v5
	v_cmp_eq_u32_e32 vcc, 0, v113
	v_cmp_ne_u64_e64 s[36:37], 0, v[22:23]
	s_and_b64 s[38:39], s[36:37], vcc
	; wave barrier
	s_and_saveexec_b64 s[36:37], s[38:39]
	s_cbranch_execz .LBB115_100
; %bb.99:                               ;   in Loop: Header=BB115_74 Depth=2
	v_bcnt_u32_b32 v5, v22, 0
	v_bcnt_u32_b32 v5, v23, v5
	s_waitcnt lgkmcnt(0)
	v_add_u32_e32 v5, v111, v5
	ds_write_b32 v112, v5
.LBB115_100:                            ;   in Loop: Header=BB115_74 Depth=2
	s_or_b64 exec, exec, s[36:37]
	v_xor_b32_sdwa v114, v21, v65 dst_sel:DWORD dst_unused:UNUSED_PAD src0_sel:WORD_1 src1_sel:DWORD
	v_lshrrev_b32_sdwa v5, s83, v114 dst_sel:DWORD dst_unused:UNUSED_PAD src0_sel:DWORD src1_sel:BYTE_0
	v_and_b32_e32 v20, s84, v5
	v_mul_u32_u24_e32 v5, 5, v20
	v_add_lshl_u32 v5, v5, v89, 2
	; wave barrier
	v_add_u32_e32 v116, 0x410, v5
	ds_read_b32 v115, v5 offset:1040
	v_and_b32_e32 v5, 1, v20
	v_add_co_u32_e32 v22, vcc, -1, v5
	v_addc_co_u32_e64 v23, s[36:37], 0, -1, vcc
	v_cmp_ne_u32_e32 vcc, 0, v5
	v_xor_b32_e32 v5, vcc_hi, v23
	v_and_b32_e32 v23, exec_hi, v5
	v_lshlrev_b32_e32 v5, 30, v20
	v_xor_b32_e32 v22, vcc_lo, v22
	v_cmp_gt_i64_e32 vcc, 0, v[4:5]
	v_not_b32_e32 v5, v5
	v_ashrrev_i32_e32 v5, 31, v5
	v_and_b32_e32 v22, exec_lo, v22
	v_xor_b32_e32 v117, vcc_hi, v5
	v_xor_b32_e32 v5, vcc_lo, v5
	v_and_b32_e32 v22, v22, v5
	v_lshlrev_b32_e32 v5, 29, v20
	v_cmp_gt_i64_e32 vcc, 0, v[4:5]
	v_not_b32_e32 v5, v5
	v_ashrrev_i32_e32 v5, 31, v5
	v_and_b32_e32 v23, v23, v117
	v_xor_b32_e32 v117, vcc_hi, v5
	v_xor_b32_e32 v5, vcc_lo, v5
	v_and_b32_e32 v22, v22, v5
	v_lshlrev_b32_e32 v5, 28, v20
	v_cmp_gt_i64_e32 vcc, 0, v[4:5]
	v_not_b32_e32 v5, v5
	v_ashrrev_i32_e32 v5, 31, v5
	v_and_b32_e32 v23, v23, v117
	;; [unrolled: 8-line block ×5, first 2 shown]
	v_xor_b32_e32 v117, vcc_hi, v5
	v_xor_b32_e32 v5, vcc_lo, v5
	v_and_b32_e32 v22, v22, v5
	v_lshlrev_b32_e32 v5, 24, v20
	v_cmp_gt_i64_e32 vcc, 0, v[4:5]
	v_not_b32_e32 v5, v5
	v_ashrrev_i32_e32 v5, 31, v5
	v_xor_b32_e32 v20, vcc_hi, v5
	v_xor_b32_e32 v5, vcc_lo, v5
	v_and_b32_e32 v23, v23, v117
	v_and_b32_e32 v22, v22, v5
	;; [unrolled: 1-line block ×3, first 2 shown]
	v_mbcnt_lo_u32_b32 v5, v22, 0
	v_mbcnt_hi_u32_b32 v117, v23, v5
	v_cmp_eq_u32_e32 vcc, 0, v117
	v_cmp_ne_u64_e64 s[36:37], 0, v[22:23]
	s_and_b64 s[38:39], s[36:37], vcc
	; wave barrier
	s_and_saveexec_b64 s[36:37], s[38:39]
	s_cbranch_execz .LBB115_102
; %bb.101:                              ;   in Loop: Header=BB115_74 Depth=2
	v_bcnt_u32_b32 v5, v22, 0
	v_bcnt_u32_b32 v5, v23, v5
	s_waitcnt lgkmcnt(0)
	v_add_u32_e32 v5, v115, v5
	ds_write_b32 v116, v5
.LBB115_102:                            ;   in Loop: Header=BB115_74 Depth=2
	s_or_b64 exec, exec, s[36:37]
	v_xor_b32_sdwa v118, v21, v65 dst_sel:DWORD dst_unused:UNUSED_PAD src0_sel:BYTE_3 src1_sel:DWORD
	v_lshrrev_b32_sdwa v5, s83, v118 dst_sel:DWORD dst_unused:UNUSED_PAD src0_sel:DWORD src1_sel:BYTE_0
	v_and_b32_e32 v20, s84, v5
	v_mul_u32_u24_e32 v5, 5, v20
	v_add_lshl_u32 v5, v5, v89, 2
	; wave barrier
	v_add_u32_e32 v120, 0x410, v5
	ds_read_b32 v119, v5 offset:1040
	v_and_b32_e32 v5, 1, v20
	v_add_co_u32_e32 v21, vcc, -1, v5
	v_addc_co_u32_e64 v22, s[36:37], 0, -1, vcc
	v_cmp_ne_u32_e32 vcc, 0, v5
	v_xor_b32_e32 v5, vcc_hi, v22
	v_and_b32_e32 v22, exec_hi, v5
	v_lshlrev_b32_e32 v5, 30, v20
	v_xor_b32_e32 v21, vcc_lo, v21
	v_cmp_gt_i64_e32 vcc, 0, v[4:5]
	v_not_b32_e32 v5, v5
	v_ashrrev_i32_e32 v5, 31, v5
	v_and_b32_e32 v21, exec_lo, v21
	v_xor_b32_e32 v23, vcc_hi, v5
	v_xor_b32_e32 v5, vcc_lo, v5
	v_and_b32_e32 v21, v21, v5
	v_lshlrev_b32_e32 v5, 29, v20
	v_cmp_gt_i64_e32 vcc, 0, v[4:5]
	v_not_b32_e32 v5, v5
	v_ashrrev_i32_e32 v5, 31, v5
	v_and_b32_e32 v22, v22, v23
	v_xor_b32_e32 v23, vcc_hi, v5
	v_xor_b32_e32 v5, vcc_lo, v5
	v_and_b32_e32 v21, v21, v5
	v_lshlrev_b32_e32 v5, 28, v20
	v_cmp_gt_i64_e32 vcc, 0, v[4:5]
	v_not_b32_e32 v5, v5
	v_ashrrev_i32_e32 v5, 31, v5
	v_and_b32_e32 v22, v22, v23
	;; [unrolled: 8-line block ×5, first 2 shown]
	v_xor_b32_e32 v23, vcc_hi, v5
	v_xor_b32_e32 v5, vcc_lo, v5
	v_and_b32_e32 v22, v22, v23
	v_and_b32_e32 v23, v21, v5
	v_lshlrev_b32_e32 v5, 24, v20
	v_cmp_gt_i64_e32 vcc, 0, v[4:5]
	v_not_b32_e32 v5, v5
	v_ashrrev_i32_e32 v5, 31, v5
	v_xor_b32_e32 v20, vcc_hi, v5
	v_xor_b32_e32 v5, vcc_lo, v5
	v_and_b32_e32 v21, v22, v20
	v_and_b32_e32 v20, v23, v5
	v_mbcnt_lo_u32_b32 v5, v20, 0
	v_mbcnt_hi_u32_b32 v121, v21, v5
	v_cmp_eq_u32_e32 vcc, 0, v121
	v_cmp_ne_u64_e64 s[36:37], 0, v[20:21]
	s_and_b64 s[38:39], s[36:37], vcc
	; wave barrier
	s_and_saveexec_b64 s[36:37], s[38:39]
	s_cbranch_execz .LBB115_104
; %bb.103:                              ;   in Loop: Header=BB115_74 Depth=2
	v_bcnt_u32_b32 v5, v20, 0
	v_bcnt_u32_b32 v5, v21, v5
	s_waitcnt lgkmcnt(0)
	v_add_u32_e32 v5, v119, v5
	ds_write_b32 v120, v5
.LBB115_104:                            ;   in Loop: Header=BB115_74 Depth=2
	s_or_b64 exec, exec, s[36:37]
	; wave barrier
	s_waitcnt lgkmcnt(0)
	s_barrier
	ds_read_b32 v5, v42 offset:1040
	ds_read2_b32 v[22:23], v44 offset0:1 offset1:2
	ds_read2_b32 v[20:21], v44 offset0:3 offset1:4
	s_waitcnt lgkmcnt(1)
	v_add3_u32 v122, v22, v5, v23
	s_waitcnt lgkmcnt(0)
	v_add3_u32 v21, v122, v20, v21
	s_nop 1
	v_mov_b32_dpp v122, v21 row_shr:1 row_mask:0xf bank_mask:0xf
	v_cndmask_b32_e64 v122, v122, 0, s[16:17]
	v_add_u32_e32 v21, v122, v21
	s_nop 1
	v_mov_b32_dpp v122, v21 row_shr:2 row_mask:0xf bank_mask:0xf
	v_cndmask_b32_e64 v122, 0, v122, s[18:19]
	v_add_u32_e32 v21, v21, v122
	;; [unrolled: 4-line block ×4, first 2 shown]
	s_nop 1
	v_mov_b32_dpp v122, v21 row_bcast:15 row_mask:0xf bank_mask:0xf
	v_cndmask_b32_e64 v122, v122, 0, s[24:25]
	v_add_u32_e32 v21, v21, v122
	s_nop 1
	v_mov_b32_dpp v122, v21 row_bcast:31 row_mask:0xf bank_mask:0xf
	v_cndmask_b32_e64 v122, 0, v122, s[26:27]
	v_add_u32_e32 v21, v21, v122
	s_and_saveexec_b64 s[36:37], s[6:7]
	s_cbranch_execz .LBB115_106
; %bb.105:                              ;   in Loop: Header=BB115_74 Depth=2
	ds_write_b32 v35, v21 offset:1024
.LBB115_106:                            ;   in Loop: Header=BB115_74 Depth=2
	s_or_b64 exec, exec, s[36:37]
	s_waitcnt lgkmcnt(0)
	s_barrier
	s_and_saveexec_b64 s[36:37], s[8:9]
	s_cbranch_execz .LBB115_108
; %bb.107:                              ;   in Loop: Header=BB115_74 Depth=2
	v_add_u32_e32 v122, v42, v45
	ds_read_b32 v123, v122 offset:1024
	s_waitcnt lgkmcnt(0)
	s_nop 0
	v_mov_b32_dpp v124, v123 row_shr:1 row_mask:0xf bank_mask:0xf
	v_cndmask_b32_e64 v124, v124, 0, s[30:31]
	v_add_u32_e32 v123, v124, v123
	s_nop 1
	v_mov_b32_dpp v124, v123 row_shr:2 row_mask:0xf bank_mask:0xf
	v_cndmask_b32_e64 v124, 0, v124, s[34:35]
	v_add_u32_e32 v123, v123, v124
	ds_write_b32 v122, v123 offset:1024
.LBB115_108:                            ;   in Loop: Header=BB115_74 Depth=2
	s_or_b64 exec, exec, s[36:37]
	v_mov_b32_e32 v122, 0
	s_waitcnt lgkmcnt(0)
	s_barrier
	s_and_saveexec_b64 s[36:37], s[10:11]
	s_cbranch_execz .LBB115_110
; %bb.109:                              ;   in Loop: Header=BB115_74 Depth=2
	ds_read_b32 v122, v35 offset:1020
.LBB115_110:                            ;   in Loop: Header=BB115_74 Depth=2
	s_or_b64 exec, exec, s[36:37]
	s_waitcnt lgkmcnt(0)
	v_add_u32_e32 v21, v122, v21
	ds_bpermute_b32 v21, v66, v21
	s_waitcnt lgkmcnt(0)
	v_cndmask_b32_e64 v21, v21, v122, s[28:29]
	v_cndmask_b32_e64 v21, v21, 0, s[12:13]
	v_add_u32_e32 v5, v21, v5
	ds_write_b32 v42, v21 offset:1040
	v_add_u32_e32 v21, v5, v22
	v_add_u32_e32 v22, v21, v23
	ds_write2_b32 v44, v5, v21 offset0:1 offset1:2
	v_add_u32_e32 v5, v22, v20
	ds_write2_b32 v44, v22, v5 offset0:3 offset1:4
	s_waitcnt lgkmcnt(0)
	s_barrier
	ds_read_b32 v20, v96
	ds_read_b32 v21, v100
	;; [unrolled: 1-line block ×8, first 2 shown]
	ds_read_b32 v96, v42 offset:1040
	v_mov_b32_e32 v5, 0x800
	s_and_saveexec_b64 s[36:37], s[14:15]
	s_cbranch_execz .LBB115_112
; %bb.111:                              ;   in Loop: Header=BB115_74 Depth=2
	ds_read_b32 v5, v42 offset:1060
.LBB115_112:                            ;   in Loop: Header=BB115_74 Depth=2
	s_or_b64 exec, exec, s[36:37]
	s_waitcnt lgkmcnt(0)
	s_barrier
	s_and_saveexec_b64 s[36:37], s[4:5]
	s_cbranch_execz .LBB115_114
; %bb.113:                              ;   in Loop: Header=BB115_74 Depth=2
	ds_read_b32 v100, v3
	s_waitcnt lgkmcnt(0)
	v_sub_u32_e32 v96, v100, v96
	ds_write_b32 v3, v96
.LBB115_114:                            ;   in Loop: Header=BB115_74 Depth=2
	s_or_b64 exec, exec, s[36:37]
	v_add_u32_e32 v100, v92, v93
	v_add3_u32 v97, v97, v95, v20
	v_add3_u32 v96, v101, v99, v21
	;; [unrolled: 1-line block ×7, first 2 shown]
	v_cmp_lt_u32_e64 s[48:49], v2, v90
	ds_write_b8 v100, v91 offset:1024
	ds_write_b8 v97, v94 offset:1024
	;; [unrolled: 1-line block ×8, first 2 shown]
	s_waitcnt lgkmcnt(0)
	s_barrier
	s_and_saveexec_b64 s[36:37], s[48:49]
	s_cbranch_execz .LBB115_122
; %bb.115:                              ;   in Loop: Header=BB115_74 Depth=2
	ds_read_u8 v20, v2 offset:1024
	s_waitcnt lgkmcnt(0)
	v_lshrrev_b32_sdwa v21, s83, v20 dst_sel:DWORD dst_unused:UNUSED_PAD src0_sel:DWORD src1_sel:BYTE_0
	v_and_b32_e32 v21, s84, v21
	v_lshlrev_b32_e32 v21, 2, v21
	ds_read_b32 v21, v21
	v_xor_b32_e32 v20, -1, v20
	s_waitcnt lgkmcnt(0)
	v_add_u32_e32 v21, v21, v2
	global_store_byte v21, v20, s[58:59]
	s_or_b64 exec, exec, s[36:37]
	v_cmp_lt_u32_e64 s[46:47], v24, v90
	s_and_saveexec_b64 s[36:37], s[46:47]
	s_cbranch_execnz .LBB115_123
.LBB115_116:                            ;   in Loop: Header=BB115_74 Depth=2
	s_or_b64 exec, exec, s[36:37]
	v_cmp_lt_u32_e64 s[44:45], v25, v90
	s_and_saveexec_b64 s[36:37], s[44:45]
	s_cbranch_execz .LBB115_124
.LBB115_117:                            ;   in Loop: Header=BB115_74 Depth=2
	ds_read_u8 v20, v30 offset:512
	s_waitcnt lgkmcnt(0)
	v_lshrrev_b32_sdwa v21, s83, v20 dst_sel:DWORD dst_unused:UNUSED_PAD src0_sel:DWORD src1_sel:BYTE_0
	v_and_b32_e32 v21, s84, v21
	v_lshlrev_b32_e32 v21, 2, v21
	ds_read_b32 v21, v21
	v_xor_b32_e32 v20, -1, v20
	s_waitcnt lgkmcnt(0)
	v_add_u32_e32 v21, v21, v25
	global_store_byte v21, v20, s[58:59]
	s_or_b64 exec, exec, s[36:37]
	v_cmp_lt_u32_e64 s[42:43], v26, v90
	s_and_saveexec_b64 s[36:37], s[42:43]
	s_cbranch_execnz .LBB115_125
.LBB115_118:                            ;   in Loop: Header=BB115_74 Depth=2
	s_or_b64 exec, exec, s[36:37]
	v_cmp_lt_u32_e64 s[40:41], v30, v90
	s_and_saveexec_b64 s[36:37], s[40:41]
	s_cbranch_execz .LBB115_126
.LBB115_119:                            ;   in Loop: Header=BB115_74 Depth=2
	ds_read_u8 v20, v30 offset:1024
	s_waitcnt lgkmcnt(0)
	v_lshrrev_b32_sdwa v21, s83, v20 dst_sel:DWORD dst_unused:UNUSED_PAD src0_sel:DWORD src1_sel:BYTE_0
	v_and_b32_e32 v21, s84, v21
	v_lshlrev_b32_e32 v21, 2, v21
	ds_read_b32 v21, v21
	v_xor_b32_e32 v20, -1, v20
	s_waitcnt lgkmcnt(0)
	v_add_u32_e32 v21, v21, v30
	global_store_byte v21, v20, s[58:59]
	s_or_b64 exec, exec, s[36:37]
	v_cmp_lt_u32_e64 s[38:39], v31, v90
	s_and_saveexec_b64 s[36:37], s[38:39]
	s_cbranch_execnz .LBB115_127
.LBB115_120:                            ;   in Loop: Header=BB115_74 Depth=2
	s_or_b64 exec, exec, s[36:37]
	v_cmp_lt_u32_e64 s[36:37], v32, v90
	s_and_saveexec_b64 s[52:53], s[36:37]
	s_cbranch_execz .LBB115_128
.LBB115_121:                            ;   in Loop: Header=BB115_74 Depth=2
	ds_read_u8 v20, v30 offset:1536
	s_waitcnt lgkmcnt(0)
	v_lshrrev_b32_sdwa v21, s83, v20 dst_sel:DWORD dst_unused:UNUSED_PAD src0_sel:DWORD src1_sel:BYTE_0
	v_and_b32_e32 v21, s84, v21
	v_lshlrev_b32_e32 v21, 2, v21
	ds_read_b32 v21, v21
	v_xor_b32_e32 v20, -1, v20
	s_waitcnt lgkmcnt(0)
	v_add_u32_e32 v21, v21, v32
	global_store_byte v21, v20, s[58:59]
	s_or_b64 exec, exec, s[52:53]
	v_cmp_lt_u32_e32 vcc, v33, v90
	s_and_saveexec_b64 s[52:53], vcc
	s_cbranch_execnz .LBB115_129
	s_branch .LBB115_130
.LBB115_122:                            ;   in Loop: Header=BB115_74 Depth=2
	s_or_b64 exec, exec, s[36:37]
	v_cmp_lt_u32_e64 s[46:47], v24, v90
	s_and_saveexec_b64 s[36:37], s[46:47]
	s_cbranch_execz .LBB115_116
.LBB115_123:                            ;   in Loop: Header=BB115_74 Depth=2
	ds_read_u8 v20, v30 offset:256
	s_waitcnt lgkmcnt(0)
	v_lshrrev_b32_sdwa v21, s83, v20 dst_sel:DWORD dst_unused:UNUSED_PAD src0_sel:DWORD src1_sel:BYTE_0
	v_and_b32_e32 v21, s84, v21
	v_lshlrev_b32_e32 v21, 2, v21
	ds_read_b32 v21, v21
	v_xor_b32_e32 v20, -1, v20
	s_waitcnt lgkmcnt(0)
	v_add_u32_e32 v21, v21, v24
	global_store_byte v21, v20, s[58:59]
	s_or_b64 exec, exec, s[36:37]
	v_cmp_lt_u32_e64 s[44:45], v25, v90
	s_and_saveexec_b64 s[36:37], s[44:45]
	s_cbranch_execnz .LBB115_117
.LBB115_124:                            ;   in Loop: Header=BB115_74 Depth=2
	s_or_b64 exec, exec, s[36:37]
	v_cmp_lt_u32_e64 s[42:43], v26, v90
	s_and_saveexec_b64 s[36:37], s[42:43]
	s_cbranch_execz .LBB115_118
.LBB115_125:                            ;   in Loop: Header=BB115_74 Depth=2
	ds_read_u8 v20, v30 offset:768
	s_waitcnt lgkmcnt(0)
	v_lshrrev_b32_sdwa v21, s83, v20 dst_sel:DWORD dst_unused:UNUSED_PAD src0_sel:DWORD src1_sel:BYTE_0
	v_and_b32_e32 v21, s84, v21
	v_lshlrev_b32_e32 v21, 2, v21
	ds_read_b32 v21, v21
	v_xor_b32_e32 v20, -1, v20
	s_waitcnt lgkmcnt(0)
	v_add_u32_e32 v21, v21, v26
	global_store_byte v21, v20, s[58:59]
	s_or_b64 exec, exec, s[36:37]
	v_cmp_lt_u32_e64 s[40:41], v30, v90
	s_and_saveexec_b64 s[36:37], s[40:41]
	s_cbranch_execnz .LBB115_119
.LBB115_126:                            ;   in Loop: Header=BB115_74 Depth=2
	s_or_b64 exec, exec, s[36:37]
	v_cmp_lt_u32_e64 s[38:39], v31, v90
	s_and_saveexec_b64 s[36:37], s[38:39]
	s_cbranch_execz .LBB115_120
.LBB115_127:                            ;   in Loop: Header=BB115_74 Depth=2
	ds_read_u8 v20, v30 offset:1280
	s_waitcnt lgkmcnt(0)
	v_lshrrev_b32_sdwa v21, s83, v20 dst_sel:DWORD dst_unused:UNUSED_PAD src0_sel:DWORD src1_sel:BYTE_0
	v_and_b32_e32 v21, s84, v21
	v_lshlrev_b32_e32 v21, 2, v21
	ds_read_b32 v21, v21
	v_xor_b32_e32 v20, -1, v20
	s_waitcnt lgkmcnt(0)
	v_add_u32_e32 v21, v21, v31
	global_store_byte v21, v20, s[58:59]
	s_or_b64 exec, exec, s[36:37]
	v_cmp_lt_u32_e64 s[36:37], v32, v90
	s_and_saveexec_b64 s[52:53], s[36:37]
	s_cbranch_execnz .LBB115_121
.LBB115_128:                            ;   in Loop: Header=BB115_74 Depth=2
	s_or_b64 exec, exec, s[52:53]
	v_cmp_lt_u32_e32 vcc, v33, v90
	s_and_saveexec_b64 s[52:53], vcc
	s_cbranch_execz .LBB115_130
.LBB115_129:                            ;   in Loop: Header=BB115_74 Depth=2
	ds_read_u8 v20, v30 offset:1792
	s_waitcnt lgkmcnt(0)
	v_lshrrev_b32_sdwa v21, s83, v20 dst_sel:DWORD dst_unused:UNUSED_PAD src0_sel:DWORD src1_sel:BYTE_0
	v_and_b32_e32 v21, s84, v21
	v_lshlrev_b32_e32 v21, 2, v21
	ds_read_b32 v21, v21
	v_xor_b32_e32 v20, -1, v20
	s_waitcnt lgkmcnt(0)
	v_add_u32_e32 v21, v21, v33
	global_store_byte v21, v20, s[58:59]
.LBB115_130:                            ;   in Loop: Header=BB115_74 Depth=2
	s_or_b64 exec, exec, s[52:53]
	s_lshl_b64 s[52:53], s[72:73], 3
	v_mov_b32_e32 v21, s53
	v_add_co_u32_e64 v20, s[52:53], s52, v78
	v_addc_co_u32_e64 v21, s[52:53], v79, v21, s[52:53]
	v_cmp_lt_u32_e64 s[52:53], v73, v90
	s_and_saveexec_b64 s[62:63], s[52:53]
	s_xor_b64 s[52:53], exec, s[62:63]
	s_cbranch_execz .LBB115_146
; %bb.131:                              ;   in Loop: Header=BB115_74 Depth=2
	global_load_dwordx2 v[18:19], v[20:21], off
	s_or_b64 exec, exec, s[52:53]
	v_cmp_lt_u32_e64 s[52:53], v80, v90
	s_and_saveexec_b64 s[62:63], s[52:53]
	s_cbranch_execnz .LBB115_147
.LBB115_132:                            ;   in Loop: Header=BB115_74 Depth=2
	s_or_b64 exec, exec, s[62:63]
	v_cmp_lt_u32_e64 s[52:53], v81, v90
	s_and_saveexec_b64 s[62:63], s[52:53]
	s_cbranch_execz .LBB115_148
.LBB115_133:                            ;   in Loop: Header=BB115_74 Depth=2
	global_load_dwordx2 v[14:15], v[20:21], off offset:1024
	s_or_b64 exec, exec, s[62:63]
	v_cmp_lt_u32_e64 s[52:53], v82, v90
	s_and_saveexec_b64 s[62:63], s[52:53]
	s_cbranch_execnz .LBB115_149
.LBB115_134:                            ;   in Loop: Header=BB115_74 Depth=2
	s_or_b64 exec, exec, s[62:63]
	v_cmp_lt_u32_e64 s[52:53], v83, v90
	s_and_saveexec_b64 s[62:63], s[52:53]
	s_cbranch_execz .LBB115_150
.LBB115_135:                            ;   in Loop: Header=BB115_74 Depth=2
	global_load_dwordx2 v[10:11], v[20:21], off offset:2048
	s_or_b64 exec, exec, s[62:63]
	v_cmp_lt_u32_e64 s[52:53], v84, v90
	s_and_saveexec_b64 s[62:63], s[52:53]
	s_cbranch_execnz .LBB115_151
.LBB115_136:                            ;   in Loop: Header=BB115_74 Depth=2
	s_or_b64 exec, exec, s[62:63]
	v_cmp_lt_u32_e64 s[52:53], v85, v90
	s_and_saveexec_b64 s[62:63], s[52:53]
	s_cbranch_execz .LBB115_152
.LBB115_137:                            ;   in Loop: Header=BB115_74 Depth=2
	global_load_dwordx2 v[6:7], v[20:21], off offset:3072
	s_or_b64 exec, exec, s[62:63]
	v_cmp_lt_u32_e64 s[52:53], v86, v90
	s_and_saveexec_b64 s[62:63], s[52:53]
	s_cbranch_execnz .LBB115_153
.LBB115_138:                            ;   in Loop: Header=BB115_74 Depth=2
	s_or_b64 exec, exec, s[62:63]
	s_and_saveexec_b64 s[52:53], s[48:49]
	s_cbranch_execz .LBB115_154
.LBB115_139:                            ;   in Loop: Header=BB115_74 Depth=2
	ds_read_u8 v20, v2 offset:1024
	s_waitcnt lgkmcnt(0)
	v_lshrrev_b32_e32 v20, s83, v20
	v_and_b32_e32 v76, s84, v20
	s_or_b64 exec, exec, s[52:53]
	s_and_saveexec_b64 s[52:53], s[46:47]
	s_cbranch_execnz .LBB115_155
.LBB115_140:                            ;   in Loop: Header=BB115_74 Depth=2
	s_or_b64 exec, exec, s[52:53]
	s_and_saveexec_b64 s[52:53], s[44:45]
	s_cbranch_execz .LBB115_156
.LBB115_141:                            ;   in Loop: Header=BB115_74 Depth=2
	ds_read_u8 v20, v30 offset:512
	s_waitcnt lgkmcnt(0)
	v_lshrrev_b32_e32 v20, s83, v20
	v_and_b32_e32 v72, s84, v20
	s_or_b64 exec, exec, s[52:53]
	s_and_saveexec_b64 s[52:53], s[42:43]
	s_cbranch_execnz .LBB115_157
.LBB115_142:                            ;   in Loop: Header=BB115_74 Depth=2
	s_or_b64 exec, exec, s[52:53]
	s_and_saveexec_b64 s[52:53], s[40:41]
	s_cbranch_execz .LBB115_158
.LBB115_143:                            ;   in Loop: Header=BB115_74 Depth=2
	ds_read_u8 v20, v30 offset:1024
	s_waitcnt lgkmcnt(0)
	v_lshrrev_b32_e32 v20, s83, v20
	v_and_b32_e32 v70, s84, v20
	s_or_b64 exec, exec, s[52:53]
	s_and_saveexec_b64 s[52:53], s[38:39]
	s_cbranch_execnz .LBB115_159
.LBB115_144:                            ;   in Loop: Header=BB115_74 Depth=2
	s_or_b64 exec, exec, s[52:53]
	s_and_saveexec_b64 s[52:53], s[36:37]
	s_cbranch_execz .LBB115_160
.LBB115_145:                            ;   in Loop: Header=BB115_74 Depth=2
	ds_read_u8 v20, v30 offset:1536
	s_waitcnt lgkmcnt(0)
	v_lshrrev_b32_e32 v20, s83, v20
	v_and_b32_e32 v68, s84, v20
	s_or_b64 exec, exec, s[52:53]
	s_and_saveexec_b64 s[52:53], vcc
	s_cbranch_execnz .LBB115_161
	s_branch .LBB115_162
.LBB115_146:                            ;   in Loop: Header=BB115_74 Depth=2
	s_or_b64 exec, exec, s[52:53]
	v_cmp_lt_u32_e64 s[52:53], v80, v90
	s_and_saveexec_b64 s[62:63], s[52:53]
	s_cbranch_execz .LBB115_132
.LBB115_147:                            ;   in Loop: Header=BB115_74 Depth=2
	global_load_dwordx2 v[16:17], v[20:21], off offset:512
	s_or_b64 exec, exec, s[62:63]
	v_cmp_lt_u32_e64 s[52:53], v81, v90
	s_and_saveexec_b64 s[62:63], s[52:53]
	s_cbranch_execnz .LBB115_133
.LBB115_148:                            ;   in Loop: Header=BB115_74 Depth=2
	s_or_b64 exec, exec, s[62:63]
	v_cmp_lt_u32_e64 s[52:53], v82, v90
	s_and_saveexec_b64 s[62:63], s[52:53]
	s_cbranch_execz .LBB115_134
.LBB115_149:                            ;   in Loop: Header=BB115_74 Depth=2
	global_load_dwordx2 v[12:13], v[20:21], off offset:1536
	s_or_b64 exec, exec, s[62:63]
	v_cmp_lt_u32_e64 s[52:53], v83, v90
	s_and_saveexec_b64 s[62:63], s[52:53]
	s_cbranch_execnz .LBB115_135
.LBB115_150:                            ;   in Loop: Header=BB115_74 Depth=2
	s_or_b64 exec, exec, s[62:63]
	v_cmp_lt_u32_e64 s[52:53], v84, v90
	s_and_saveexec_b64 s[62:63], s[52:53]
	s_cbranch_execz .LBB115_136
.LBB115_151:                            ;   in Loop: Header=BB115_74 Depth=2
	global_load_dwordx2 v[8:9], v[20:21], off offset:2560
	s_or_b64 exec, exec, s[62:63]
	v_cmp_lt_u32_e64 s[52:53], v85, v90
	s_and_saveexec_b64 s[62:63], s[52:53]
	s_cbranch_execnz .LBB115_137
.LBB115_152:                            ;   in Loop: Header=BB115_74 Depth=2
	s_or_b64 exec, exec, s[62:63]
	v_cmp_lt_u32_e64 s[52:53], v86, v90
	s_and_saveexec_b64 s[62:63], s[52:53]
	s_cbranch_execz .LBB115_138
.LBB115_153:                            ;   in Loop: Header=BB115_74 Depth=2
	global_load_dwordx2 v[0:1], v[20:21], off offset:3584
	s_or_b64 exec, exec, s[62:63]
	s_and_saveexec_b64 s[52:53], s[48:49]
	s_cbranch_execnz .LBB115_139
.LBB115_154:                            ;   in Loop: Header=BB115_74 Depth=2
	s_or_b64 exec, exec, s[52:53]
	s_and_saveexec_b64 s[52:53], s[46:47]
	s_cbranch_execz .LBB115_140
.LBB115_155:                            ;   in Loop: Header=BB115_74 Depth=2
	ds_read_u8 v20, v30 offset:256
	s_waitcnt lgkmcnt(0)
	v_lshrrev_b32_e32 v20, s83, v20
	v_and_b32_e32 v74, s84, v20
	s_or_b64 exec, exec, s[52:53]
	s_and_saveexec_b64 s[52:53], s[44:45]
	s_cbranch_execnz .LBB115_141
.LBB115_156:                            ;   in Loop: Header=BB115_74 Depth=2
	s_or_b64 exec, exec, s[52:53]
	s_and_saveexec_b64 s[52:53], s[42:43]
	s_cbranch_execz .LBB115_142
.LBB115_157:                            ;   in Loop: Header=BB115_74 Depth=2
	ds_read_u8 v20, v30 offset:768
	s_waitcnt lgkmcnt(0)
	v_lshrrev_b32_e32 v20, s83, v20
	v_and_b32_e32 v71, s84, v20
	s_or_b64 exec, exec, s[52:53]
	s_and_saveexec_b64 s[52:53], s[40:41]
	s_cbranch_execnz .LBB115_143
.LBB115_158:                            ;   in Loop: Header=BB115_74 Depth=2
	s_or_b64 exec, exec, s[52:53]
	s_and_saveexec_b64 s[52:53], s[38:39]
	s_cbranch_execz .LBB115_144
.LBB115_159:                            ;   in Loop: Header=BB115_74 Depth=2
	ds_read_u8 v20, v30 offset:1280
	s_waitcnt lgkmcnt(0)
	v_lshrrev_b32_e32 v20, s83, v20
	v_and_b32_e32 v69, s84, v20
	s_or_b64 exec, exec, s[52:53]
	s_and_saveexec_b64 s[52:53], s[36:37]
	s_cbranch_execnz .LBB115_145
.LBB115_160:                            ;   in Loop: Header=BB115_74 Depth=2
	s_or_b64 exec, exec, s[52:53]
	s_and_saveexec_b64 s[52:53], vcc
	s_cbranch_execz .LBB115_162
.LBB115_161:                            ;   in Loop: Header=BB115_74 Depth=2
	ds_read_u8 v20, v30 offset:1792
	s_waitcnt lgkmcnt(0)
	v_lshrrev_b32_e32 v20, s83, v20
	v_and_b32_e32 v67, s84, v20
.LBB115_162:                            ;   in Loop: Header=BB115_74 Depth=2
	s_or_b64 exec, exec, s[52:53]
	v_lshlrev_b32_e32 v20, 3, v100
	s_barrier
	s_waitcnt vmcnt(0)
	ds_write_b64 v20, v[18:19] offset:1024
	v_lshlrev_b32_e32 v20, 3, v97
	ds_write_b64 v20, v[16:17] offset:1024
	v_lshlrev_b32_e32 v20, 3, v96
	;; [unrolled: 2-line block ×7, first 2 shown]
	ds_write_b64 v20, v[0:1] offset:1024
	s_waitcnt lgkmcnt(0)
	s_barrier
	s_and_saveexec_b64 s[52:53], s[48:49]
	s_cbranch_execz .LBB115_170
; %bb.163:                              ;   in Loop: Header=BB115_74 Depth=2
	v_lshlrev_b32_e32 v20, 2, v76
	ds_read_b32 v22, v20
	v_add_u32_e32 v20, v2, v50
	ds_read_b64 v[20:21], v20 offset:1024
	v_mov_b32_e32 v23, v4
	v_mov_b32_e32 v90, s65
	s_waitcnt lgkmcnt(1)
	v_add_u32_e32 v22, v22, v2
	v_lshlrev_b64 v[22:23], 3, v[22:23]
	v_add_co_u32_e64 v22, s[48:49], s64, v22
	v_addc_co_u32_e64 v23, s[48:49], v90, v23, s[48:49]
	s_waitcnt lgkmcnt(0)
	global_store_dwordx2 v[22:23], v[20:21], off
	s_or_b64 exec, exec, s[52:53]
	s_and_saveexec_b64 s[48:49], s[46:47]
	s_cbranch_execnz .LBB115_171
.LBB115_164:                            ;   in Loop: Header=BB115_74 Depth=2
	s_or_b64 exec, exec, s[48:49]
	s_and_saveexec_b64 s[46:47], s[44:45]
	s_cbranch_execz .LBB115_172
.LBB115_165:                            ;   in Loop: Header=BB115_74 Depth=2
	v_lshlrev_b32_e32 v20, 2, v72
	ds_read_b32 v22, v20
	v_add_u32_e32 v20, v30, v50
	ds_read_b64 v[20:21], v20 offset:4096
	v_mov_b32_e32 v23, v4
	v_mov_b32_e32 v90, s65
	s_waitcnt lgkmcnt(1)
	v_add_u32_e32 v22, v22, v25
	v_lshlrev_b64 v[22:23], 3, v[22:23]
	v_add_co_u32_e64 v22, s[44:45], s64, v22
	v_addc_co_u32_e64 v23, s[44:45], v90, v23, s[44:45]
	s_waitcnt lgkmcnt(0)
	global_store_dwordx2 v[22:23], v[20:21], off
	s_or_b64 exec, exec, s[46:47]
	s_and_saveexec_b64 s[44:45], s[42:43]
	s_cbranch_execnz .LBB115_173
.LBB115_166:                            ;   in Loop: Header=BB115_74 Depth=2
	s_or_b64 exec, exec, s[44:45]
	s_and_saveexec_b64 s[42:43], s[40:41]
	s_cbranch_execz .LBB115_174
.LBB115_167:                            ;   in Loop: Header=BB115_74 Depth=2
	v_lshlrev_b32_e32 v20, 2, v70
	ds_read_b32 v22, v20
	v_add_u32_e32 v20, v30, v50
	ds_read_b64 v[20:21], v20 offset:8192
	v_mov_b32_e32 v23, v4
	v_mov_b32_e32 v90, s65
	s_waitcnt lgkmcnt(1)
	v_add_u32_e32 v22, v22, v30
	v_lshlrev_b64 v[22:23], 3, v[22:23]
	v_add_co_u32_e64 v22, s[40:41], s64, v22
	v_addc_co_u32_e64 v23, s[40:41], v90, v23, s[40:41]
	s_waitcnt lgkmcnt(0)
	global_store_dwordx2 v[22:23], v[20:21], off
	s_or_b64 exec, exec, s[42:43]
	s_and_saveexec_b64 s[40:41], s[38:39]
	s_cbranch_execnz .LBB115_175
.LBB115_168:                            ;   in Loop: Header=BB115_74 Depth=2
	s_or_b64 exec, exec, s[40:41]
	s_and_saveexec_b64 s[38:39], s[36:37]
	s_cbranch_execz .LBB115_176
.LBB115_169:                            ;   in Loop: Header=BB115_74 Depth=2
	v_lshlrev_b32_e32 v20, 2, v68
	ds_read_b32 v22, v20
	v_add_u32_e32 v20, v30, v50
	ds_read_b64 v[20:21], v20 offset:12288
	v_mov_b32_e32 v23, v4
	v_mov_b32_e32 v90, s65
	s_waitcnt lgkmcnt(1)
	v_add_u32_e32 v22, v22, v32
	v_lshlrev_b64 v[22:23], 3, v[22:23]
	v_add_co_u32_e64 v22, s[36:37], s64, v22
	v_addc_co_u32_e64 v23, s[36:37], v90, v23, s[36:37]
	s_waitcnt lgkmcnt(0)
	global_store_dwordx2 v[22:23], v[20:21], off
	s_or_b64 exec, exec, s[38:39]
	s_and_saveexec_b64 s[36:37], vcc
	s_cbranch_execnz .LBB115_177
	s_branch .LBB115_178
.LBB115_170:                            ;   in Loop: Header=BB115_74 Depth=2
	s_or_b64 exec, exec, s[52:53]
	s_and_saveexec_b64 s[48:49], s[46:47]
	s_cbranch_execz .LBB115_164
.LBB115_171:                            ;   in Loop: Header=BB115_74 Depth=2
	v_lshlrev_b32_e32 v20, 2, v74
	ds_read_b32 v22, v20
	v_add_u32_e32 v20, v30, v50
	ds_read_b64 v[20:21], v20 offset:2048
	v_mov_b32_e32 v23, v4
	v_mov_b32_e32 v90, s65
	s_waitcnt lgkmcnt(1)
	v_add_u32_e32 v22, v22, v24
	v_lshlrev_b64 v[22:23], 3, v[22:23]
	v_add_co_u32_e64 v22, s[46:47], s64, v22
	v_addc_co_u32_e64 v23, s[46:47], v90, v23, s[46:47]
	s_waitcnt lgkmcnt(0)
	global_store_dwordx2 v[22:23], v[20:21], off
	s_or_b64 exec, exec, s[48:49]
	s_and_saveexec_b64 s[46:47], s[44:45]
	s_cbranch_execnz .LBB115_165
.LBB115_172:                            ;   in Loop: Header=BB115_74 Depth=2
	s_or_b64 exec, exec, s[46:47]
	s_and_saveexec_b64 s[44:45], s[42:43]
	s_cbranch_execz .LBB115_166
.LBB115_173:                            ;   in Loop: Header=BB115_74 Depth=2
	v_lshlrev_b32_e32 v20, 2, v71
	ds_read_b32 v22, v20
	v_add_u32_e32 v20, v30, v50
	ds_read_b64 v[20:21], v20 offset:6144
	v_mov_b32_e32 v23, v4
	v_mov_b32_e32 v90, s65
	s_waitcnt lgkmcnt(1)
	v_add_u32_e32 v22, v22, v26
	v_lshlrev_b64 v[22:23], 3, v[22:23]
	v_add_co_u32_e64 v22, s[42:43], s64, v22
	v_addc_co_u32_e64 v23, s[42:43], v90, v23, s[42:43]
	s_waitcnt lgkmcnt(0)
	global_store_dwordx2 v[22:23], v[20:21], off
	s_or_b64 exec, exec, s[44:45]
	s_and_saveexec_b64 s[42:43], s[40:41]
	s_cbranch_execnz .LBB115_167
.LBB115_174:                            ;   in Loop: Header=BB115_74 Depth=2
	s_or_b64 exec, exec, s[42:43]
	s_and_saveexec_b64 s[40:41], s[38:39]
	s_cbranch_execz .LBB115_168
.LBB115_175:                            ;   in Loop: Header=BB115_74 Depth=2
	v_lshlrev_b32_e32 v20, 2, v69
	ds_read_b32 v22, v20
	v_add_u32_e32 v20, v30, v50
	ds_read_b64 v[20:21], v20 offset:10240
	v_mov_b32_e32 v23, v4
	v_mov_b32_e32 v90, s65
	s_waitcnt lgkmcnt(1)
	v_add_u32_e32 v22, v22, v31
	v_lshlrev_b64 v[22:23], 3, v[22:23]
	v_add_co_u32_e64 v22, s[38:39], s64, v22
	v_addc_co_u32_e64 v23, s[38:39], v90, v23, s[38:39]
	s_waitcnt lgkmcnt(0)
	global_store_dwordx2 v[22:23], v[20:21], off
	s_or_b64 exec, exec, s[40:41]
	s_and_saveexec_b64 s[38:39], s[36:37]
	s_cbranch_execnz .LBB115_169
.LBB115_176:                            ;   in Loop: Header=BB115_74 Depth=2
	s_or_b64 exec, exec, s[38:39]
	s_and_saveexec_b64 s[36:37], vcc
	s_cbranch_execz .LBB115_178
.LBB115_177:                            ;   in Loop: Header=BB115_74 Depth=2
	v_lshlrev_b32_e32 v20, 2, v67
	ds_read_b32 v22, v20
	v_add_u32_e32 v20, v30, v50
	ds_read_b64 v[20:21], v20 offset:14336
	v_mov_b32_e32 v23, v4
	v_mov_b32_e32 v90, s65
	s_waitcnt lgkmcnt(1)
	v_add_u32_e32 v22, v22, v33
	v_lshlrev_b64 v[22:23], 3, v[22:23]
	v_add_co_u32_e32 v22, vcc, s64, v22
	v_addc_co_u32_e32 v23, vcc, v90, v23, vcc
	s_waitcnt lgkmcnt(0)
	global_store_dwordx2 v[22:23], v[20:21], off
.LBB115_178:                            ;   in Loop: Header=BB115_74 Depth=2
	s_or_b64 exec, exec, s[36:37]
	s_barrier
	s_and_saveexec_b64 s[36:37], s[4:5]
	s_cbranch_execz .LBB115_73
; %bb.179:                              ;   in Loop: Header=BB115_74 Depth=2
	ds_read_b32 v20, v3
	s_waitcnt lgkmcnt(0)
	v_add_u32_e32 v5, v20, v5
	ds_write_b32 v3, v5
	s_branch .LBB115_73
.LBB115_180:                            ;   in Loop: Header=BB115_74 Depth=2
	s_or_b64 exec, exec, s[36:37]
	v_cmp_gt_u32_e32 vcc, s85, v80
	s_and_saveexec_b64 s[36:37], vcc
	s_cbranch_execz .LBB115_79
.LBB115_181:                            ;   in Loop: Header=BB115_74 Depth=2
	global_load_ubyte v5, v[22:23], off offset:64
	s_waitcnt vmcnt(0)
	v_perm_b32 v20, v20, v5, s78
	s_or_b64 exec, exec, s[36:37]
	v_cmp_gt_u32_e32 vcc, s85, v81
	s_and_saveexec_b64 s[36:37], vcc
	s_cbranch_execnz .LBB115_80
.LBB115_182:                            ;   in Loop: Header=BB115_74 Depth=2
	s_or_b64 exec, exec, s[36:37]
	v_cmp_gt_u32_e32 vcc, s85, v82
	s_and_saveexec_b64 s[36:37], vcc
	s_cbranch_execz .LBB115_81
.LBB115_183:                            ;   in Loop: Header=BB115_74 Depth=2
	global_load_ubyte v5, v[22:23], off offset:192
	v_and_b32_sdwa v90, v20, s68 dst_sel:DWORD dst_unused:UNUSED_PAD src0_sel:WORD_1 src1_sel:DWORD
	s_waitcnt vmcnt(0)
	v_lshlrev_b16_e32 v5, 8, v5
	v_or_b32_sdwa v5, v90, v5 dst_sel:WORD_1 dst_unused:UNUSED_PAD src0_sel:DWORD src1_sel:DWORD
	v_and_or_b32 v20, v20, s77, v5
	s_or_b64 exec, exec, s[36:37]
	v_cmp_gt_u32_e32 vcc, s85, v83
	s_and_saveexec_b64 s[36:37], vcc
	s_cbranch_execnz .LBB115_82
.LBB115_184:                            ;   in Loop: Header=BB115_74 Depth=2
	s_or_b64 exec, exec, s[36:37]
	v_cmp_gt_u32_e32 vcc, s85, v84
	s_and_saveexec_b64 s[36:37], vcc
	s_cbranch_execz .LBB115_83
.LBB115_185:                            ;   in Loop: Header=BB115_74 Depth=2
	global_load_ubyte v5, v[22:23], off offset:320
	s_waitcnt vmcnt(0)
	v_perm_b32 v21, v21, v5, s78
	s_or_b64 exec, exec, s[36:37]
	v_cmp_gt_u32_e32 vcc, s85, v85
	s_and_saveexec_b64 s[36:37], vcc
	s_cbranch_execnz .LBB115_84
	s_branch .LBB115_85
.LBB115_186:                            ;   in Loop: Header=BB115_20 Depth=1
	s_waitcnt lgkmcnt(0)
	s_barrier
	s_mov_b64 s[16:17], 0
.LBB115_187:                            ;   in Loop: Header=BB115_20 Depth=1
	s_and_b64 vcc, exec, s[16:17]
	s_cbranch_vccz .LBB115_353
; %bb.188:                              ;   in Loop: Header=BB115_20 Depth=1
	s_mov_b32 s20, s71
	s_mov_b32 s22, s51
	s_barrier
	s_waitcnt lgkmcnt(0)
                                        ; implicit-def: $vgpr5
                                        ; implicit-def: $vgpr6
                                        ; implicit-def: $vgpr7
                                        ; implicit-def: $vgpr8
                                        ; implicit-def: $vgpr9
                                        ; implicit-def: $vgpr10
                                        ; implicit-def: $vgpr11
                                        ; implicit-def: $vgpr12
	s_branch .LBB115_190
.LBB115_189:                            ;   in Loop: Header=BB115_190 Depth=2
	s_or_b64 exec, exec, s[16:17]
	s_addk_i32 s20, 0xf800
	s_cmp_ge_u32 s21, s76
	s_mov_b32 s22, s21
	s_cbranch_scc1 .LBB115_228
.LBB115_190:                            ;   Parent Loop BB115_20 Depth=1
                                        ; =>  This Inner Loop Header: Depth=2
	s_add_i32 s21, s22, 0x800
	s_cmp_gt_u32 s21, s76
	s_cbranch_scc1 .LBB115_193
; %bb.191:                              ;   in Loop: Header=BB115_190 Depth=2
	v_add_co_u32_e32 v0, vcc, s22, v51
	v_addc_co_u32_e32 v1, vcc, 0, v52, vcc
	global_load_ubyte v20, v[0:1], off offset:1536
	global_load_ubyte v19, v[0:1], off offset:1280
	;; [unrolled: 1-line block ×6, first 2 shown]
	global_load_ubyte v14, v[0:1], off
	v_add_co_u32_e32 v0, vcc, 0x700, v0
	v_addc_co_u32_e32 v1, vcc, 0, v1, vcc
	s_mov_b64 s[16:17], -1
	s_movk_i32 s25, 0x800
	s_cbranch_execz .LBB115_194
; %bb.192:                              ;   in Loop: Header=BB115_190 Depth=2
                                        ; implicit-def: $vgpr5
                                        ; implicit-def: $vgpr6
                                        ; implicit-def: $vgpr7
                                        ; implicit-def: $vgpr8
                                        ; implicit-def: $vgpr9
                                        ; implicit-def: $vgpr10
                                        ; implicit-def: $vgpr11
                                        ; implicit-def: $vgpr12
	v_mov_b32_e32 v13, s20
	s_and_saveexec_b64 s[18:19], s[16:17]
	s_cbranch_execnz .LBB115_205
	s_branch .LBB115_206
.LBB115_193:                            ;   in Loop: Header=BB115_190 Depth=2
	s_mov_b64 s[16:17], 0
                                        ; implicit-def: $sgpr25
                                        ; implicit-def: $vgpr14
                                        ; implicit-def: $vgpr15
                                        ; implicit-def: $vgpr16
                                        ; implicit-def: $vgpr17
                                        ; implicit-def: $vgpr18
                                        ; implicit-def: $vgpr19
                                        ; implicit-def: $vgpr20
                                        ; implicit-def: $vgpr0_vgpr1
.LBB115_194:                            ;   in Loop: Header=BB115_190 Depth=2
	s_add_u32 s23, s58, s22
	s_addc_u32 s24, s59, 0
	v_cmp_gt_u32_e32 vcc, s20, v2
	s_and_saveexec_b64 s[18:19], vcc
	s_cbranch_execz .LBB115_222
; %bb.195:                              ;   in Loop: Header=BB115_190 Depth=2
	v_mov_b32_e32 v1, s24
	v_add_co_u32_e32 v0, vcc, s23, v2
	v_addc_co_u32_e32 v1, vcc, 0, v1, vcc
	global_load_ubyte v5, v[0:1], off
	s_or_b64 exec, exec, s[18:19]
	v_cmp_gt_u32_e32 vcc, s20, v24
	s_and_saveexec_b64 s[18:19], vcc
	s_cbranch_execnz .LBB115_223
.LBB115_196:                            ;   in Loop: Header=BB115_190 Depth=2
	s_or_b64 exec, exec, s[18:19]
	v_cmp_gt_u32_e32 vcc, s20, v25
	s_and_saveexec_b64 s[18:19], vcc
	s_cbranch_execz .LBB115_224
.LBB115_197:                            ;   in Loop: Header=BB115_190 Depth=2
	v_mov_b32_e32 v1, s24
	v_add_co_u32_e32 v0, vcc, s23, v2
	v_addc_co_u32_e32 v1, vcc, 0, v1, vcc
	global_load_ubyte v7, v[0:1], off offset:512
	s_or_b64 exec, exec, s[18:19]
	v_cmp_gt_u32_e32 vcc, s20, v26
	s_and_saveexec_b64 s[18:19], vcc
	s_cbranch_execnz .LBB115_225
.LBB115_198:                            ;   in Loop: Header=BB115_190 Depth=2
	s_or_b64 exec, exec, s[18:19]
	v_cmp_gt_u32_e32 vcc, s20, v30
	s_and_saveexec_b64 s[18:19], vcc
	s_cbranch_execz .LBB115_226
.LBB115_199:                            ;   in Loop: Header=BB115_190 Depth=2
	v_mov_b32_e32 v1, s24
	v_add_co_u32_e32 v0, vcc, s23, v2
	v_addc_co_u32_e32 v1, vcc, 0, v1, vcc
	global_load_ubyte v9, v[0:1], off offset:1024
	s_or_b64 exec, exec, s[18:19]
	v_cmp_gt_u32_e32 vcc, s20, v31
	s_and_saveexec_b64 s[18:19], vcc
	s_cbranch_execnz .LBB115_227
.LBB115_200:                            ;   in Loop: Header=BB115_190 Depth=2
	s_or_b64 exec, exec, s[18:19]
	v_cmp_gt_u32_e32 vcc, s20, v32
	s_and_saveexec_b64 s[18:19], vcc
	s_cbranch_execz .LBB115_202
.LBB115_201:                            ;   in Loop: Header=BB115_190 Depth=2
	v_mov_b32_e32 v1, s24
	v_add_co_u32_e32 v0, vcc, s23, v2
	v_addc_co_u32_e32 v1, vcc, 0, v1, vcc
	global_load_ubyte v11, v[0:1], off offset:1536
.LBB115_202:                            ;   in Loop: Header=BB115_190 Depth=2
	s_or_b64 exec, exec, s[18:19]
	v_cmp_gt_u32_e32 vcc, s20, v33
                                        ; implicit-def: $sgpr25
                                        ; implicit-def: $vgpr0_vgpr1
	s_and_saveexec_b64 s[18:19], vcc
	s_cbranch_execz .LBB115_204
; %bb.203:                              ;   in Loop: Header=BB115_190 Depth=2
	v_mov_b32_e32 v0, s24
	v_add_co_u32_e32 v1, vcc, s23, v2
	s_waitcnt vmcnt(0)
	v_addc_co_u32_e32 v12, vcc, 0, v0, vcc
	v_add_co_u32_e32 v0, vcc, 0x700, v1
	s_sub_i32 s25, s76, s22
	v_addc_co_u32_e32 v1, vcc, 0, v12, vcc
	s_or_b64 s[16:17], s[16:17], exec
                                        ; implicit-def: $vgpr12
.LBB115_204:                            ;   in Loop: Header=BB115_190 Depth=2
	s_or_b64 exec, exec, s[18:19]
	s_waitcnt vmcnt(0)
	v_mov_b32_e32 v14, v5
	v_mov_b32_e32 v15, v6
	;; [unrolled: 1-line block ×8, first 2 shown]
	s_and_saveexec_b64 s[18:19], s[16:17]
	s_cbranch_execz .LBB115_206
.LBB115_205:                            ;   in Loop: Header=BB115_190 Depth=2
	global_load_ubyte v12, v[0:1], off
	v_mov_b32_e32 v13, s25
	s_waitcnt vmcnt(1)
	v_mov_b32_e32 v5, v14
	v_mov_b32_e32 v6, v15
	;; [unrolled: 1-line block ×7, first 2 shown]
.LBB115_206:                            ;   in Loop: Header=BB115_190 Depth=2
	s_or_b64 exec, exec, s[18:19]
	v_cmp_lt_u32_e32 vcc, v2, v13
	s_and_saveexec_b64 s[16:17], vcc
	s_cbranch_execz .LBB115_214
; %bb.207:                              ;   in Loop: Header=BB115_190 Depth=2
	v_xor_b32_e32 v0, -1, v5
	v_lshrrev_b32_sdwa v0, s83, v0 dst_sel:DWORD dst_unused:UNUSED_PAD src0_sel:DWORD src1_sel:BYTE_0
	v_and_b32_e32 v0, s84, v0
	v_lshlrev_b32_e32 v1, 2, v27
	v_lshl_or_b32 v0, v0, 4, v1
	ds_add_u32 v0, v63
	s_or_b64 exec, exec, s[16:17]
	v_cmp_lt_u32_e32 vcc, v24, v13
	s_and_saveexec_b64 s[16:17], vcc
	s_cbranch_execnz .LBB115_215
.LBB115_208:                            ;   in Loop: Header=BB115_190 Depth=2
	s_or_b64 exec, exec, s[16:17]
	v_cmp_lt_u32_e32 vcc, v25, v13
	s_and_saveexec_b64 s[16:17], vcc
	s_cbranch_execz .LBB115_216
.LBB115_209:                            ;   in Loop: Header=BB115_190 Depth=2
	v_xor_b32_e32 v0, -1, v7
	v_lshrrev_b32_sdwa v0, s83, v0 dst_sel:DWORD dst_unused:UNUSED_PAD src0_sel:DWORD src1_sel:BYTE_0
	v_and_b32_e32 v0, s84, v0
	v_lshlrev_b32_e32 v1, 2, v27
	v_lshl_or_b32 v0, v0, 4, v1
	ds_add_u32 v0, v63
	s_or_b64 exec, exec, s[16:17]
	v_cmp_lt_u32_e32 vcc, v26, v13
	s_and_saveexec_b64 s[16:17], vcc
	s_cbranch_execnz .LBB115_217
.LBB115_210:                            ;   in Loop: Header=BB115_190 Depth=2
	s_or_b64 exec, exec, s[16:17]
	v_cmp_lt_u32_e32 vcc, v30, v13
	s_and_saveexec_b64 s[16:17], vcc
	s_cbranch_execz .LBB115_218
.LBB115_211:                            ;   in Loop: Header=BB115_190 Depth=2
	v_xor_b32_e32 v0, -1, v9
	v_lshrrev_b32_sdwa v0, s83, v0 dst_sel:DWORD dst_unused:UNUSED_PAD src0_sel:DWORD src1_sel:BYTE_0
	v_and_b32_e32 v0, s84, v0
	v_lshlrev_b32_e32 v1, 2, v27
	v_lshl_or_b32 v0, v0, 4, v1
	ds_add_u32 v0, v63
	s_or_b64 exec, exec, s[16:17]
	v_cmp_lt_u32_e32 vcc, v31, v13
	s_and_saveexec_b64 s[16:17], vcc
	s_cbranch_execnz .LBB115_219
.LBB115_212:                            ;   in Loop: Header=BB115_190 Depth=2
	s_or_b64 exec, exec, s[16:17]
	v_cmp_lt_u32_e32 vcc, v32, v13
	s_and_saveexec_b64 s[16:17], vcc
	s_cbranch_execz .LBB115_220
.LBB115_213:                            ;   in Loop: Header=BB115_190 Depth=2
	v_xor_b32_e32 v0, -1, v11
	v_lshrrev_b32_sdwa v0, s83, v0 dst_sel:DWORD dst_unused:UNUSED_PAD src0_sel:DWORD src1_sel:BYTE_0
	v_and_b32_e32 v0, s84, v0
	v_lshlrev_b32_e32 v1, 2, v27
	v_lshl_or_b32 v0, v0, 4, v1
	ds_add_u32 v0, v63
	s_or_b64 exec, exec, s[16:17]
	v_cmp_lt_u32_e32 vcc, v33, v13
	s_and_saveexec_b64 s[16:17], vcc
	s_cbranch_execz .LBB115_189
	s_branch .LBB115_221
.LBB115_214:                            ;   in Loop: Header=BB115_190 Depth=2
	s_or_b64 exec, exec, s[16:17]
	v_cmp_lt_u32_e32 vcc, v24, v13
	s_and_saveexec_b64 s[16:17], vcc
	s_cbranch_execz .LBB115_208
.LBB115_215:                            ;   in Loop: Header=BB115_190 Depth=2
	v_xor_b32_e32 v0, -1, v6
	v_lshrrev_b32_sdwa v0, s83, v0 dst_sel:DWORD dst_unused:UNUSED_PAD src0_sel:DWORD src1_sel:BYTE_0
	v_and_b32_e32 v0, s84, v0
	v_lshlrev_b32_e32 v1, 2, v27
	v_lshl_or_b32 v0, v0, 4, v1
	ds_add_u32 v0, v63
	s_or_b64 exec, exec, s[16:17]
	v_cmp_lt_u32_e32 vcc, v25, v13
	s_and_saveexec_b64 s[16:17], vcc
	s_cbranch_execnz .LBB115_209
.LBB115_216:                            ;   in Loop: Header=BB115_190 Depth=2
	s_or_b64 exec, exec, s[16:17]
	v_cmp_lt_u32_e32 vcc, v26, v13
	s_and_saveexec_b64 s[16:17], vcc
	s_cbranch_execz .LBB115_210
.LBB115_217:                            ;   in Loop: Header=BB115_190 Depth=2
	v_xor_b32_e32 v0, -1, v8
	v_lshrrev_b32_sdwa v0, s83, v0 dst_sel:DWORD dst_unused:UNUSED_PAD src0_sel:DWORD src1_sel:BYTE_0
	v_and_b32_e32 v0, s84, v0
	v_lshlrev_b32_e32 v1, 2, v27
	v_lshl_or_b32 v0, v0, 4, v1
	ds_add_u32 v0, v63
	s_or_b64 exec, exec, s[16:17]
	v_cmp_lt_u32_e32 vcc, v30, v13
	s_and_saveexec_b64 s[16:17], vcc
	s_cbranch_execnz .LBB115_211
.LBB115_218:                            ;   in Loop: Header=BB115_190 Depth=2
	s_or_b64 exec, exec, s[16:17]
	v_cmp_lt_u32_e32 vcc, v31, v13
	s_and_saveexec_b64 s[16:17], vcc
	s_cbranch_execz .LBB115_212
.LBB115_219:                            ;   in Loop: Header=BB115_190 Depth=2
	v_xor_b32_e32 v0, -1, v10
	v_lshrrev_b32_sdwa v0, s83, v0 dst_sel:DWORD dst_unused:UNUSED_PAD src0_sel:DWORD src1_sel:BYTE_0
	v_and_b32_e32 v0, s84, v0
	v_lshlrev_b32_e32 v1, 2, v27
	v_lshl_or_b32 v0, v0, 4, v1
	ds_add_u32 v0, v63
	s_or_b64 exec, exec, s[16:17]
	v_cmp_lt_u32_e32 vcc, v32, v13
	s_and_saveexec_b64 s[16:17], vcc
	s_cbranch_execnz .LBB115_213
.LBB115_220:                            ;   in Loop: Header=BB115_190 Depth=2
	s_or_b64 exec, exec, s[16:17]
	v_cmp_lt_u32_e32 vcc, v33, v13
	s_and_saveexec_b64 s[16:17], vcc
	s_cbranch_execz .LBB115_189
.LBB115_221:                            ;   in Loop: Header=BB115_190 Depth=2
	s_waitcnt vmcnt(0)
	v_xor_b32_e32 v0, -1, v12
	v_lshrrev_b32_sdwa v0, s83, v0 dst_sel:DWORD dst_unused:UNUSED_PAD src0_sel:DWORD src1_sel:BYTE_0
	v_and_b32_e32 v0, s84, v0
	v_lshlrev_b32_e32 v1, 2, v27
	v_lshl_or_b32 v0, v0, 4, v1
	ds_add_u32 v0, v63
	s_branch .LBB115_189
.LBB115_222:                            ;   in Loop: Header=BB115_190 Depth=2
	s_or_b64 exec, exec, s[18:19]
	v_cmp_gt_u32_e32 vcc, s20, v24
	s_and_saveexec_b64 s[18:19], vcc
	s_cbranch_execz .LBB115_196
.LBB115_223:                            ;   in Loop: Header=BB115_190 Depth=2
	v_mov_b32_e32 v1, s24
	v_add_co_u32_e32 v0, vcc, s23, v2
	v_addc_co_u32_e32 v1, vcc, 0, v1, vcc
	global_load_ubyte v6, v[0:1], off offset:256
	s_or_b64 exec, exec, s[18:19]
	v_cmp_gt_u32_e32 vcc, s20, v25
	s_and_saveexec_b64 s[18:19], vcc
	s_cbranch_execnz .LBB115_197
.LBB115_224:                            ;   in Loop: Header=BB115_190 Depth=2
	s_or_b64 exec, exec, s[18:19]
	v_cmp_gt_u32_e32 vcc, s20, v26
	s_and_saveexec_b64 s[18:19], vcc
	s_cbranch_execz .LBB115_198
.LBB115_225:                            ;   in Loop: Header=BB115_190 Depth=2
	v_mov_b32_e32 v1, s24
	v_add_co_u32_e32 v0, vcc, s23, v2
	v_addc_co_u32_e32 v1, vcc, 0, v1, vcc
	global_load_ubyte v8, v[0:1], off offset:768
	s_or_b64 exec, exec, s[18:19]
	v_cmp_gt_u32_e32 vcc, s20, v30
	s_and_saveexec_b64 s[18:19], vcc
	s_cbranch_execnz .LBB115_199
.LBB115_226:                            ;   in Loop: Header=BB115_190 Depth=2
	s_or_b64 exec, exec, s[18:19]
	v_cmp_gt_u32_e32 vcc, s20, v31
	s_and_saveexec_b64 s[18:19], vcc
	s_cbranch_execz .LBB115_200
.LBB115_227:                            ;   in Loop: Header=BB115_190 Depth=2
	v_mov_b32_e32 v1, s24
	v_add_co_u32_e32 v0, vcc, s23, v2
	v_addc_co_u32_e32 v1, vcc, 0, v1, vcc
	global_load_ubyte v10, v[0:1], off offset:1280
	s_or_b64 exec, exec, s[18:19]
	v_cmp_gt_u32_e32 vcc, s20, v32
	s_and_saveexec_b64 s[18:19], vcc
	s_cbranch_execz .LBB115_202
	s_branch .LBB115_201
.LBB115_228:                            ;   in Loop: Header=BB115_20 Depth=1
	v_mov_b32_e32 v0, 0
	s_waitcnt lgkmcnt(0)
	s_barrier
	s_and_saveexec_b64 s[16:17], s[4:5]
	s_cbranch_execz .LBB115_230
; %bb.229:                              ;   in Loop: Header=BB115_20 Depth=1
	ds_read2_b64 v[6:9], v34 offset1:1
	s_waitcnt lgkmcnt(0)
	v_add_u32_e32 v0, v7, v6
	v_add3_u32 v0, v0, v8, v9
.LBB115_230:                            ;   in Loop: Header=BB115_20 Depth=1
	s_or_b64 exec, exec, s[16:17]
	v_and_b32_e32 v1, 15, v64
	v_mov_b32_dpp v5, v0 row_shr:1 row_mask:0xf bank_mask:0xf
	v_cmp_eq_u32_e64 s[16:17], 0, v1
	v_cndmask_b32_e64 v5, v5, 0, s[16:17]
	v_add_u32_e32 v0, v5, v0
	v_cmp_lt_u32_e64 s[18:19], 1, v1
	v_cmp_lt_u32_e64 s[20:21], 3, v1
	v_mov_b32_dpp v5, v0 row_shr:2 row_mask:0xf bank_mask:0xf
	v_cndmask_b32_e64 v5, 0, v5, s[18:19]
	v_add_u32_e32 v0, v0, v5
	v_cmp_lt_u32_e64 s[22:23], 7, v1
	v_cmp_lt_u32_e64 s[26:27], 31, v64
	v_mov_b32_dpp v5, v0 row_shr:4 row_mask:0xf bank_mask:0xf
	v_cndmask_b32_e64 v5, 0, v5, s[20:21]
	v_add_u32_e32 v0, v0, v5
	v_and_b32_e32 v6, 16, v64
	v_cmp_eq_u32_e64 s[24:25], 0, v6
	v_mov_b32_dpp v5, v0 row_shr:8 row_mask:0xf bank_mask:0xf
	v_cndmask_b32_e64 v1, 0, v5, s[22:23]
	v_add_u32_e32 v0, v0, v1
	v_bfe_i32 v5, v64, 4, 1
	s_nop 0
	v_mov_b32_dpp v1, v0 row_bcast:15 row_mask:0xf bank_mask:0xf
	v_and_b32_e32 v1, v5, v1
	v_add_u32_e32 v0, v0, v1
	s_nop 1
	v_mov_b32_dpp v1, v0 row_bcast:31 row_mask:0xf bank_mask:0xf
	v_cndmask_b32_e64 v1, 0, v1, s[26:27]
	v_add_u32_e32 v1, v0, v1
	s_and_saveexec_b64 s[28:29], s[6:7]
	s_cbranch_execz .LBB115_232
; %bb.231:                              ;   in Loop: Header=BB115_20 Depth=1
	ds_write_b32 v36, v1
.LBB115_232:                            ;   in Loop: Header=BB115_20 Depth=1
	s_or_b64 exec, exec, s[28:29]
	v_and_b32_e32 v0, 3, v64
	s_waitcnt lgkmcnt(0)
	s_barrier
	s_and_saveexec_b64 s[28:29], s[8:9]
	s_cbranch_execz .LBB115_234
; %bb.233:                              ;   in Loop: Header=BB115_20 Depth=1
	ds_read_b32 v5, v37
	v_cmp_ne_u32_e32 vcc, 0, v0
	s_waitcnt lgkmcnt(0)
	v_mov_b32_dpp v6, v5 row_shr:1 row_mask:0xf bank_mask:0xf
	v_cndmask_b32_e32 v6, 0, v6, vcc
	v_add_u32_e32 v5, v6, v5
	v_cmp_lt_u32_e32 vcc, 1, v0
	s_nop 0
	v_mov_b32_dpp v6, v5 row_shr:2 row_mask:0xf bank_mask:0xf
	v_cndmask_b32_e32 v6, 0, v6, vcc
	v_add_u32_e32 v5, v5, v6
	ds_write_b32 v37, v5
.LBB115_234:                            ;   in Loop: Header=BB115_20 Depth=1
	s_or_b64 exec, exec, s[28:29]
	v_mov_b32_e32 v5, 0
	s_waitcnt lgkmcnt(0)
	s_barrier
	s_and_saveexec_b64 s[28:29], s[10:11]
	s_cbranch_execz .LBB115_236
; %bb.235:                              ;   in Loop: Header=BB115_20 Depth=1
	ds_read_b32 v5, v38
.LBB115_236:                            ;   in Loop: Header=BB115_20 Depth=1
	s_or_b64 exec, exec, s[28:29]
	v_add_u32_e32 v6, -1, v64
	v_and_b32_e32 v7, 64, v64
	v_cmp_lt_i32_e32 vcc, v6, v7
	v_cndmask_b32_e32 v6, v6, v64, vcc
	s_waitcnt lgkmcnt(0)
	v_add_u32_e32 v1, v5, v1
	v_lshlrev_b32_e32 v66, 2, v6
	ds_bpermute_b32 v1, v66, v1
	v_cmp_eq_u32_e64 s[28:29], 0, v64
	s_waitcnt lgkmcnt(0)
	s_barrier
	s_and_saveexec_b64 s[30:31], s[4:5]
	s_cbranch_execz .LBB115_238
; %bb.237:                              ;   in Loop: Header=BB115_20 Depth=1
	v_cndmask_b32_e64 v1, v1, v5, s[28:29]
	v_add_u32_e32 v1, s51, v1
	ds_write_b32 v3, v1
.LBB115_238:                            ;   in Loop: Header=BB115_20 Depth=1
	s_or_b64 exec, exec, s[30:31]
	s_load_dwordx2 s[30:31], s[74:75], 0x0
	v_and_b32_e32 v21, 63, v64
	v_add_co_u32_e32 v75, vcc, v55, v21
	v_lshlrev_b32_e32 v22, 3, v21
	s_waitcnt lgkmcnt(0)
	s_cmp_lt_u32 s50, s30
	s_cselect_b32 s34, 12, 18
	s_cmp_lt_u32 s33, s31
	s_cselect_b32 s30, 14, 20
	s_add_u32 s30, s74, s30
	s_addc_u32 s31, s75, 0
	s_add_u32 s34, s74, s34
	global_load_ushort v5, v4, s[30:31]
	s_addc_u32 s35, s75, 0
	global_load_ushort v20, v4, s[34:35]
	v_addc_co_u32_e32 v77, vcc, 0, v56, vcc
	v_add_co_u32_e32 v78, vcc, v53, v22
	v_addc_co_u32_e32 v79, vcc, 0, v54, vcc
	v_or_b32_e32 v73, v21, v39
	v_add_co_u32_e32 v87, vcc, 0x1c0, v75
	v_cmp_eq_u32_e64 s[30:31], 0, v0
	v_cmp_lt_u32_e64 s[34:35], 1, v0
	s_mov_b32 s85, s71
	v_or_b32_e32 v80, 64, v73
	v_or_b32_e32 v81, 0x80, v73
	;; [unrolled: 1-line block ×7, first 2 shown]
	v_addc_co_u32_e32 v88, vcc, 0, v77, vcc
	s_mov_b32 s72, s51
                                        ; implicit-def: $vgpr0_vgpr1
                                        ; implicit-def: $vgpr6_vgpr7
                                        ; implicit-def: $vgpr8_vgpr9
                                        ; implicit-def: $vgpr10_vgpr11
                                        ; implicit-def: $vgpr12_vgpr13
                                        ; implicit-def: $vgpr14_vgpr15
                                        ; implicit-def: $vgpr16_vgpr17
                                        ; implicit-def: $vgpr18_vgpr19
                                        ; implicit-def: $vgpr67
                                        ; implicit-def: $vgpr68
                                        ; implicit-def: $vgpr69
                                        ; implicit-def: $vgpr70
                                        ; implicit-def: $vgpr71
                                        ; implicit-def: $vgpr72
                                        ; implicit-def: $vgpr74
                                        ; implicit-def: $vgpr76
	s_waitcnt vmcnt(1)
	v_mad_u32_u24 v5, v40, v5, v41
	s_waitcnt vmcnt(0)
	v_mad_u64_u32 v[20:21], s[36:37], v5, v20, v[2:3]
	v_lshrrev_b32_e32 v89, 6, v20
	s_branch .LBB115_240
.LBB115_239:                            ;   in Loop: Header=BB115_240 Depth=2
	s_or_b64 exec, exec, s[36:37]
	s_addk_i32 s85, 0xf800
	s_cmp_lt_u32 s86, s76
	s_mov_b32 s72, s86
	s_cbranch_scc0 .LBB115_352
.LBB115_240:                            ;   Parent Loop BB115_20 Depth=1
                                        ; =>  This Inner Loop Header: Depth=2
	s_add_i32 s86, s72, 0x800
	s_cmp_gt_u32 s86, s76
	s_cbranch_scc1 .LBB115_242
; %bb.241:                              ;   in Loop: Header=BB115_240 Depth=2
	v_add_co_u32_e32 v20, vcc, s72, v75
	v_addc_co_u32_e32 v21, vcc, 0, v77, vcc
	global_load_ubyte v5, v[20:21], off offset:64
	global_load_ubyte v22, v[20:21], off offset:192
	;; [unrolled: 1-line block ×3, first 2 shown]
	global_load_ubyte v90, v[20:21], off
	global_load_ubyte v91, v[20:21], off offset:128
	global_load_ubyte v92, v[20:21], off offset:256
	s_nop 0
	global_load_ubyte v21, v[20:21], off offset:384
	s_mov_b64 s[36:37], -1
	s_movk_i32 s40, 0x800
	s_waitcnt vmcnt(6)
	v_lshlrev_b16_e32 v5, 8, v5
	s_waitcnt vmcnt(5)
	v_lshlrev_b16_e32 v20, 8, v22
	;; [unrolled: 2-line block ×3, first 2 shown]
	s_waitcnt vmcnt(3)
	v_or_b32_e32 v5, v90, v5
	s_waitcnt vmcnt(2)
	v_or_b32_sdwa v20, v91, v20 dst_sel:WORD_1 dst_unused:UNUSED_PAD src0_sel:DWORD src1_sel:DWORD
	s_waitcnt vmcnt(1)
	v_or_b32_e32 v22, v92, v22
	v_or_b32_sdwa v20, v5, v20 dst_sel:DWORD dst_unused:UNUSED_PAD src0_sel:WORD_0 src1_sel:DWORD
	v_and_b32_e32 v5, 0xffff, v22
	s_waitcnt vmcnt(0)
	v_lshl_or_b32 v21, v21, 16, v5
	s_cbranch_execz .LBB115_243
	s_branch .LBB115_252
.LBB115_242:                            ;   in Loop: Header=BB115_240 Depth=2
	s_mov_b64 s[36:37], 0
                                        ; implicit-def: $sgpr40
                                        ; implicit-def: $vgpr20_vgpr21
.LBB115_243:                            ;   in Loop: Header=BB115_240 Depth=2
	v_add_co_u32_e32 v22, vcc, s72, v75
	v_addc_co_u32_e32 v23, vcc, 0, v77, vcc
	s_mov_b32 s36, s73
	s_mov_b32 s37, s73
	v_cmp_gt_u32_e32 vcc, s85, v73
	v_pk_mov_b32 v[20:21], s[36:37], s[36:37] op_sel:[0,1]
	s_and_saveexec_b64 s[36:37], vcc
	s_cbranch_execz .LBB115_346
; %bb.244:                              ;   in Loop: Header=BB115_240 Depth=2
	global_load_ubyte v5, v[22:23], off
	v_mov_b32_e32 v21, s73
	s_waitcnt vmcnt(0)
	v_and_b32_e32 v20, 0xffff, v5
	s_or_b64 exec, exec, s[36:37]
	v_cmp_gt_u32_e32 vcc, s85, v80
	s_and_saveexec_b64 s[36:37], vcc
	s_cbranch_execnz .LBB115_347
.LBB115_245:                            ;   in Loop: Header=BB115_240 Depth=2
	s_or_b64 exec, exec, s[36:37]
	v_cmp_gt_u32_e32 vcc, s85, v81
	s_and_saveexec_b64 s[36:37], vcc
	s_cbranch_execz .LBB115_348
.LBB115_246:                            ;   in Loop: Header=BB115_240 Depth=2
	global_load_ubyte v5, v[22:23], off offset:128
	v_and_b32_sdwa v90, v20, s79 dst_sel:DWORD dst_unused:UNUSED_PAD src0_sel:WORD_1 src1_sel:DWORD
	s_waitcnt vmcnt(0)
	v_or_b32_sdwa v5, v5, v90 dst_sel:WORD_1 dst_unused:UNUSED_PAD src0_sel:DWORD src1_sel:DWORD
	v_and_or_b32 v20, v20, s77, v5
	s_or_b64 exec, exec, s[36:37]
	v_cmp_gt_u32_e32 vcc, s85, v82
	s_and_saveexec_b64 s[36:37], vcc
	s_cbranch_execnz .LBB115_349
.LBB115_247:                            ;   in Loop: Header=BB115_240 Depth=2
	s_or_b64 exec, exec, s[36:37]
	v_cmp_gt_u32_e32 vcc, s85, v83
	s_and_saveexec_b64 s[36:37], vcc
	s_cbranch_execz .LBB115_350
.LBB115_248:                            ;   in Loop: Header=BB115_240 Depth=2
	global_load_ubyte v5, v[22:23], off offset:256
	s_waitcnt vmcnt(0)
	v_perm_b32 v21, v5, v21, s80
	s_or_b64 exec, exec, s[36:37]
	v_cmp_gt_u32_e32 vcc, s85, v84
	s_and_saveexec_b64 s[36:37], vcc
	s_cbranch_execnz .LBB115_351
.LBB115_249:                            ;   in Loop: Header=BB115_240 Depth=2
	s_or_b64 exec, exec, s[36:37]
	v_cmp_gt_u32_e32 vcc, s85, v85
	s_and_saveexec_b64 s[36:37], vcc
	s_cbranch_execz .LBB115_251
.LBB115_250:                            ;   in Loop: Header=BB115_240 Depth=2
	global_load_ubyte v5, v[22:23], off offset:384
	s_waitcnt vmcnt(0)
	v_perm_b32 v21, v21, v5, s81
.LBB115_251:                            ;   in Loop: Header=BB115_240 Depth=2
	s_or_b64 exec, exec, s[36:37]
	s_sub_i32 s40, s76, s72
	v_cmp_gt_u32_e64 s[36:37], s85, v86
.LBB115_252:                            ;   in Loop: Header=BB115_240 Depth=2
	v_mov_b32_e32 v90, s85
	s_and_saveexec_b64 s[38:39], s[36:37]
	s_cbranch_execz .LBB115_254
; %bb.253:                              ;   in Loop: Header=BB115_240 Depth=2
	v_mov_b32_e32 v5, s73
	v_add_co_u32_e32 v22, vcc, s72, v87
	v_addc_co_u32_e32 v23, vcc, v88, v5, vcc
	global_load_ubyte v5, v[22:23], off
	v_mov_b32_e32 v90, s40
	s_waitcnt vmcnt(0)
	v_perm_b32 v21, v21, v5, s82
.LBB115_254:                            ;   in Loop: Header=BB115_240 Depth=2
	s_or_b64 exec, exec, s[38:39]
	v_xor_b32_e32 v91, -1, v20
	v_add_u32_e32 v5, 0x410, v42
	ds_write2_b32 v5, v4, v4 offset1:1
	ds_write2_b32 v44, v4, v4 offset0:2 offset1:3
	ds_write_b32 v44, v4 offset:16
	v_lshrrev_b32_sdwa v5, s83, v91 dst_sel:DWORD dst_unused:UNUSED_PAD src0_sel:DWORD src1_sel:BYTE_0
	v_and_b32_e32 v22, s84, v5
	v_mad_u32_u24 v5, v22, 5, v89
	v_lshl_add_u32 v92, v5, 2, v43
	v_and_b32_e32 v5, 1, v22
	v_add_co_u32_e32 v23, vcc, -1, v5
	v_addc_co_u32_e64 v93, s[36:37], 0, -1, vcc
	v_cmp_ne_u32_e32 vcc, 0, v5
	v_xor_b32_e32 v5, vcc_hi, v93
	v_and_b32_e32 v93, exec_hi, v5
	v_lshlrev_b32_e32 v5, 30, v22
	v_xor_b32_e32 v23, vcc_lo, v23
	v_cmp_gt_i64_e32 vcc, 0, v[4:5]
	v_not_b32_e32 v5, v5
	v_ashrrev_i32_e32 v5, 31, v5
	v_and_b32_e32 v23, exec_lo, v23
	v_xor_b32_e32 v94, vcc_hi, v5
	v_xor_b32_e32 v5, vcc_lo, v5
	v_and_b32_e32 v23, v23, v5
	v_lshlrev_b32_e32 v5, 29, v22
	v_cmp_gt_i64_e32 vcc, 0, v[4:5]
	v_not_b32_e32 v5, v5
	v_ashrrev_i32_e32 v5, 31, v5
	v_and_b32_e32 v93, v93, v94
	v_xor_b32_e32 v94, vcc_hi, v5
	v_xor_b32_e32 v5, vcc_lo, v5
	v_and_b32_e32 v23, v23, v5
	v_lshlrev_b32_e32 v5, 28, v22
	v_cmp_gt_i64_e32 vcc, 0, v[4:5]
	v_not_b32_e32 v5, v5
	v_ashrrev_i32_e32 v5, 31, v5
	v_and_b32_e32 v93, v93, v94
	;; [unrolled: 8-line block ×5, first 2 shown]
	v_xor_b32_e32 v94, vcc_hi, v5
	v_xor_b32_e32 v5, vcc_lo, v5
	v_and_b32_e32 v93, v93, v94
	v_and_b32_e32 v94, v23, v5
	v_lshlrev_b32_e32 v5, 24, v22
	v_cmp_gt_i64_e32 vcc, 0, v[4:5]
	v_not_b32_e32 v5, v5
	v_ashrrev_i32_e32 v5, 31, v5
	v_xor_b32_e32 v22, vcc_hi, v5
	v_xor_b32_e32 v5, vcc_lo, v5
	v_and_b32_e32 v23, v93, v22
	v_and_b32_e32 v22, v94, v5
	v_mbcnt_lo_u32_b32 v5, v22, 0
	v_mbcnt_hi_u32_b32 v93, v23, v5
	v_cmp_eq_u32_e32 vcc, 0, v93
	v_cmp_ne_u64_e64 s[36:37], 0, v[22:23]
	s_and_b64 s[38:39], s[36:37], vcc
	s_waitcnt lgkmcnt(0)
	s_barrier
	s_waitcnt lgkmcnt(0)
	; wave barrier
	s_and_saveexec_b64 s[36:37], s[38:39]
	s_cbranch_execz .LBB115_256
; %bb.255:                              ;   in Loop: Header=BB115_240 Depth=2
	v_bcnt_u32_b32 v5, v22, 0
	v_bcnt_u32_b32 v5, v23, v5
	ds_write_b32 v92, v5
.LBB115_256:                            ;   in Loop: Header=BB115_240 Depth=2
	s_or_b64 exec, exec, s[36:37]
	v_lshrrev_b32_e32 v5, 8, v20
	v_xor_b32_e32 v94, -1, v5
	v_lshrrev_b32_sdwa v5, s83, v94 dst_sel:DWORD dst_unused:UNUSED_PAD src0_sel:DWORD src1_sel:BYTE_0
	v_and_b32_e32 v22, s84, v5
	v_mul_u32_u24_e32 v5, 5, v22
	v_add_lshl_u32 v5, v5, v89, 2
	; wave barrier
	v_add_u32_e32 v96, 0x410, v5
	ds_read_b32 v95, v5 offset:1040
	v_and_b32_e32 v5, 1, v22
	v_add_co_u32_e32 v23, vcc, -1, v5
	v_addc_co_u32_e64 v97, s[36:37], 0, -1, vcc
	v_cmp_ne_u32_e32 vcc, 0, v5
	v_xor_b32_e32 v5, vcc_hi, v97
	v_and_b32_e32 v97, exec_hi, v5
	v_lshlrev_b32_e32 v5, 30, v22
	v_xor_b32_e32 v23, vcc_lo, v23
	v_cmp_gt_i64_e32 vcc, 0, v[4:5]
	v_not_b32_e32 v5, v5
	v_ashrrev_i32_e32 v5, 31, v5
	v_and_b32_e32 v23, exec_lo, v23
	v_xor_b32_e32 v98, vcc_hi, v5
	v_xor_b32_e32 v5, vcc_lo, v5
	v_and_b32_e32 v23, v23, v5
	v_lshlrev_b32_e32 v5, 29, v22
	v_cmp_gt_i64_e32 vcc, 0, v[4:5]
	v_not_b32_e32 v5, v5
	v_ashrrev_i32_e32 v5, 31, v5
	v_and_b32_e32 v97, v97, v98
	v_xor_b32_e32 v98, vcc_hi, v5
	v_xor_b32_e32 v5, vcc_lo, v5
	v_and_b32_e32 v23, v23, v5
	v_lshlrev_b32_e32 v5, 28, v22
	v_cmp_gt_i64_e32 vcc, 0, v[4:5]
	v_not_b32_e32 v5, v5
	v_ashrrev_i32_e32 v5, 31, v5
	v_and_b32_e32 v97, v97, v98
	;; [unrolled: 8-line block ×5, first 2 shown]
	v_xor_b32_e32 v98, vcc_hi, v5
	v_xor_b32_e32 v5, vcc_lo, v5
	v_and_b32_e32 v97, v97, v98
	v_and_b32_e32 v98, v23, v5
	v_lshlrev_b32_e32 v5, 24, v22
	v_cmp_gt_i64_e32 vcc, 0, v[4:5]
	v_not_b32_e32 v5, v5
	v_ashrrev_i32_e32 v5, 31, v5
	v_xor_b32_e32 v22, vcc_hi, v5
	v_xor_b32_e32 v5, vcc_lo, v5
	v_and_b32_e32 v23, v97, v22
	v_and_b32_e32 v22, v98, v5
	v_mbcnt_lo_u32_b32 v5, v22, 0
	v_mbcnt_hi_u32_b32 v97, v23, v5
	v_cmp_eq_u32_e32 vcc, 0, v97
	v_cmp_ne_u64_e64 s[36:37], 0, v[22:23]
	s_and_b64 s[38:39], s[36:37], vcc
	; wave barrier
	s_and_saveexec_b64 s[36:37], s[38:39]
	s_cbranch_execz .LBB115_258
; %bb.257:                              ;   in Loop: Header=BB115_240 Depth=2
	v_bcnt_u32_b32 v5, v22, 0
	v_bcnt_u32_b32 v5, v23, v5
	s_waitcnt lgkmcnt(0)
	v_add_u32_e32 v5, v95, v5
	ds_write_b32 v96, v5
.LBB115_258:                            ;   in Loop: Header=BB115_240 Depth=2
	s_or_b64 exec, exec, s[36:37]
	v_xor_b32_sdwa v98, v20, v65 dst_sel:DWORD dst_unused:UNUSED_PAD src0_sel:WORD_1 src1_sel:DWORD
	v_lshrrev_b32_sdwa v5, s83, v98 dst_sel:DWORD dst_unused:UNUSED_PAD src0_sel:DWORD src1_sel:BYTE_0
	v_and_b32_e32 v22, s84, v5
	v_mul_u32_u24_e32 v5, 5, v22
	v_add_lshl_u32 v5, v5, v89, 2
	; wave barrier
	v_add_u32_e32 v100, 0x410, v5
	ds_read_b32 v99, v5 offset:1040
	v_and_b32_e32 v5, 1, v22
	v_add_co_u32_e32 v23, vcc, -1, v5
	v_addc_co_u32_e64 v101, s[36:37], 0, -1, vcc
	v_cmp_ne_u32_e32 vcc, 0, v5
	v_xor_b32_e32 v5, vcc_hi, v101
	v_and_b32_e32 v101, exec_hi, v5
	v_lshlrev_b32_e32 v5, 30, v22
	v_xor_b32_e32 v23, vcc_lo, v23
	v_cmp_gt_i64_e32 vcc, 0, v[4:5]
	v_not_b32_e32 v5, v5
	v_ashrrev_i32_e32 v5, 31, v5
	v_and_b32_e32 v23, exec_lo, v23
	v_xor_b32_e32 v102, vcc_hi, v5
	v_xor_b32_e32 v5, vcc_lo, v5
	v_and_b32_e32 v23, v23, v5
	v_lshlrev_b32_e32 v5, 29, v22
	v_cmp_gt_i64_e32 vcc, 0, v[4:5]
	v_not_b32_e32 v5, v5
	v_ashrrev_i32_e32 v5, 31, v5
	v_and_b32_e32 v101, v101, v102
	v_xor_b32_e32 v102, vcc_hi, v5
	v_xor_b32_e32 v5, vcc_lo, v5
	v_and_b32_e32 v23, v23, v5
	v_lshlrev_b32_e32 v5, 28, v22
	v_cmp_gt_i64_e32 vcc, 0, v[4:5]
	v_not_b32_e32 v5, v5
	v_ashrrev_i32_e32 v5, 31, v5
	v_and_b32_e32 v101, v101, v102
	;; [unrolled: 8-line block ×5, first 2 shown]
	v_xor_b32_e32 v102, vcc_hi, v5
	v_xor_b32_e32 v5, vcc_lo, v5
	v_and_b32_e32 v101, v101, v102
	v_and_b32_e32 v102, v23, v5
	v_lshlrev_b32_e32 v5, 24, v22
	v_cmp_gt_i64_e32 vcc, 0, v[4:5]
	v_not_b32_e32 v5, v5
	v_ashrrev_i32_e32 v5, 31, v5
	v_xor_b32_e32 v22, vcc_hi, v5
	v_xor_b32_e32 v5, vcc_lo, v5
	v_and_b32_e32 v23, v101, v22
	v_and_b32_e32 v22, v102, v5
	v_mbcnt_lo_u32_b32 v5, v22, 0
	v_mbcnt_hi_u32_b32 v101, v23, v5
	v_cmp_eq_u32_e32 vcc, 0, v101
	v_cmp_ne_u64_e64 s[36:37], 0, v[22:23]
	s_and_b64 s[38:39], s[36:37], vcc
	; wave barrier
	s_and_saveexec_b64 s[36:37], s[38:39]
	s_cbranch_execz .LBB115_260
; %bb.259:                              ;   in Loop: Header=BB115_240 Depth=2
	v_bcnt_u32_b32 v5, v22, 0
	v_bcnt_u32_b32 v5, v23, v5
	s_waitcnt lgkmcnt(0)
	v_add_u32_e32 v5, v99, v5
	ds_write_b32 v100, v5
.LBB115_260:                            ;   in Loop: Header=BB115_240 Depth=2
	s_or_b64 exec, exec, s[36:37]
	v_lshrrev_b64 v[22:23], 24, v[20:21]
	v_xor_b32_e32 v102, -1, v22
	v_lshrrev_b32_sdwa v5, s83, v102 dst_sel:DWORD dst_unused:UNUSED_PAD src0_sel:DWORD src1_sel:BYTE_0
	v_and_b32_e32 v20, s84, v5
	v_mul_u32_u24_e32 v5, 5, v20
	v_add_lshl_u32 v5, v5, v89, 2
	; wave barrier
	v_add_u32_e32 v104, 0x410, v5
	ds_read_b32 v103, v5 offset:1040
	v_and_b32_e32 v5, 1, v20
	v_add_co_u32_e32 v22, vcc, -1, v5
	v_addc_co_u32_e64 v23, s[36:37], 0, -1, vcc
	v_cmp_ne_u32_e32 vcc, 0, v5
	v_xor_b32_e32 v5, vcc_hi, v23
	v_and_b32_e32 v23, exec_hi, v5
	v_lshlrev_b32_e32 v5, 30, v20
	v_xor_b32_e32 v22, vcc_lo, v22
	v_cmp_gt_i64_e32 vcc, 0, v[4:5]
	v_not_b32_e32 v5, v5
	v_ashrrev_i32_e32 v5, 31, v5
	v_and_b32_e32 v22, exec_lo, v22
	v_xor_b32_e32 v105, vcc_hi, v5
	v_xor_b32_e32 v5, vcc_lo, v5
	v_and_b32_e32 v22, v22, v5
	v_lshlrev_b32_e32 v5, 29, v20
	v_cmp_gt_i64_e32 vcc, 0, v[4:5]
	v_not_b32_e32 v5, v5
	v_ashrrev_i32_e32 v5, 31, v5
	v_and_b32_e32 v23, v23, v105
	v_xor_b32_e32 v105, vcc_hi, v5
	v_xor_b32_e32 v5, vcc_lo, v5
	v_and_b32_e32 v22, v22, v5
	v_lshlrev_b32_e32 v5, 28, v20
	v_cmp_gt_i64_e32 vcc, 0, v[4:5]
	v_not_b32_e32 v5, v5
	v_ashrrev_i32_e32 v5, 31, v5
	v_and_b32_e32 v23, v23, v105
	;; [unrolled: 8-line block ×5, first 2 shown]
	v_xor_b32_e32 v105, vcc_hi, v5
	v_xor_b32_e32 v5, vcc_lo, v5
	v_and_b32_e32 v22, v22, v5
	v_lshlrev_b32_e32 v5, 24, v20
	v_cmp_gt_i64_e32 vcc, 0, v[4:5]
	v_not_b32_e32 v5, v5
	v_ashrrev_i32_e32 v5, 31, v5
	v_xor_b32_e32 v20, vcc_hi, v5
	v_xor_b32_e32 v5, vcc_lo, v5
	v_and_b32_e32 v23, v23, v105
	v_and_b32_e32 v22, v22, v5
	;; [unrolled: 1-line block ×3, first 2 shown]
	v_mbcnt_lo_u32_b32 v5, v22, 0
	v_mbcnt_hi_u32_b32 v105, v23, v5
	v_cmp_eq_u32_e32 vcc, 0, v105
	v_cmp_ne_u64_e64 s[36:37], 0, v[22:23]
	s_and_b64 s[38:39], s[36:37], vcc
	; wave barrier
	s_and_saveexec_b64 s[36:37], s[38:39]
	s_cbranch_execz .LBB115_262
; %bb.261:                              ;   in Loop: Header=BB115_240 Depth=2
	v_bcnt_u32_b32 v5, v22, 0
	v_bcnt_u32_b32 v5, v23, v5
	s_waitcnt lgkmcnt(0)
	v_add_u32_e32 v5, v103, v5
	ds_write_b32 v104, v5
.LBB115_262:                            ;   in Loop: Header=BB115_240 Depth=2
	s_or_b64 exec, exec, s[36:37]
	v_xor_b32_e32 v106, -1, v21
	v_lshrrev_b32_sdwa v5, s83, v106 dst_sel:DWORD dst_unused:UNUSED_PAD src0_sel:DWORD src1_sel:BYTE_0
	v_and_b32_e32 v20, s84, v5
	v_mul_u32_u24_e32 v5, 5, v20
	v_add_lshl_u32 v5, v5, v89, 2
	; wave barrier
	v_add_u32_e32 v108, 0x410, v5
	ds_read_b32 v107, v5 offset:1040
	v_and_b32_e32 v5, 1, v20
	v_add_co_u32_e32 v22, vcc, -1, v5
	v_addc_co_u32_e64 v23, s[36:37], 0, -1, vcc
	v_cmp_ne_u32_e32 vcc, 0, v5
	v_xor_b32_e32 v5, vcc_hi, v23
	v_and_b32_e32 v23, exec_hi, v5
	v_lshlrev_b32_e32 v5, 30, v20
	v_xor_b32_e32 v22, vcc_lo, v22
	v_cmp_gt_i64_e32 vcc, 0, v[4:5]
	v_not_b32_e32 v5, v5
	v_ashrrev_i32_e32 v5, 31, v5
	v_and_b32_e32 v22, exec_lo, v22
	v_xor_b32_e32 v109, vcc_hi, v5
	v_xor_b32_e32 v5, vcc_lo, v5
	v_and_b32_e32 v22, v22, v5
	v_lshlrev_b32_e32 v5, 29, v20
	v_cmp_gt_i64_e32 vcc, 0, v[4:5]
	v_not_b32_e32 v5, v5
	v_ashrrev_i32_e32 v5, 31, v5
	v_and_b32_e32 v23, v23, v109
	v_xor_b32_e32 v109, vcc_hi, v5
	v_xor_b32_e32 v5, vcc_lo, v5
	v_and_b32_e32 v22, v22, v5
	v_lshlrev_b32_e32 v5, 28, v20
	v_cmp_gt_i64_e32 vcc, 0, v[4:5]
	v_not_b32_e32 v5, v5
	v_ashrrev_i32_e32 v5, 31, v5
	v_and_b32_e32 v23, v23, v109
	;; [unrolled: 8-line block ×5, first 2 shown]
	v_xor_b32_e32 v109, vcc_hi, v5
	v_xor_b32_e32 v5, vcc_lo, v5
	v_and_b32_e32 v22, v22, v5
	v_lshlrev_b32_e32 v5, 24, v20
	v_cmp_gt_i64_e32 vcc, 0, v[4:5]
	v_not_b32_e32 v5, v5
	v_ashrrev_i32_e32 v5, 31, v5
	v_xor_b32_e32 v20, vcc_hi, v5
	v_xor_b32_e32 v5, vcc_lo, v5
	v_and_b32_e32 v23, v23, v109
	v_and_b32_e32 v22, v22, v5
	;; [unrolled: 1-line block ×3, first 2 shown]
	v_mbcnt_lo_u32_b32 v5, v22, 0
	v_mbcnt_hi_u32_b32 v109, v23, v5
	v_cmp_eq_u32_e32 vcc, 0, v109
	v_cmp_ne_u64_e64 s[36:37], 0, v[22:23]
	s_and_b64 s[38:39], s[36:37], vcc
	; wave barrier
	s_and_saveexec_b64 s[36:37], s[38:39]
	s_cbranch_execz .LBB115_264
; %bb.263:                              ;   in Loop: Header=BB115_240 Depth=2
	v_bcnt_u32_b32 v5, v22, 0
	v_bcnt_u32_b32 v5, v23, v5
	s_waitcnt lgkmcnt(0)
	v_add_u32_e32 v5, v107, v5
	ds_write_b32 v108, v5
.LBB115_264:                            ;   in Loop: Header=BB115_240 Depth=2
	s_or_b64 exec, exec, s[36:37]
	v_lshrrev_b32_e32 v5, 8, v21
	v_xor_b32_e32 v110, -1, v5
	v_lshrrev_b32_sdwa v5, s83, v110 dst_sel:DWORD dst_unused:UNUSED_PAD src0_sel:DWORD src1_sel:BYTE_0
	v_and_b32_e32 v20, s84, v5
	v_mul_u32_u24_e32 v5, 5, v20
	v_add_lshl_u32 v5, v5, v89, 2
	; wave barrier
	v_add_u32_e32 v112, 0x410, v5
	ds_read_b32 v111, v5 offset:1040
	v_and_b32_e32 v5, 1, v20
	v_add_co_u32_e32 v22, vcc, -1, v5
	v_addc_co_u32_e64 v23, s[36:37], 0, -1, vcc
	v_cmp_ne_u32_e32 vcc, 0, v5
	v_xor_b32_e32 v5, vcc_hi, v23
	v_and_b32_e32 v23, exec_hi, v5
	v_lshlrev_b32_e32 v5, 30, v20
	v_xor_b32_e32 v22, vcc_lo, v22
	v_cmp_gt_i64_e32 vcc, 0, v[4:5]
	v_not_b32_e32 v5, v5
	v_ashrrev_i32_e32 v5, 31, v5
	v_and_b32_e32 v22, exec_lo, v22
	v_xor_b32_e32 v113, vcc_hi, v5
	v_xor_b32_e32 v5, vcc_lo, v5
	v_and_b32_e32 v22, v22, v5
	v_lshlrev_b32_e32 v5, 29, v20
	v_cmp_gt_i64_e32 vcc, 0, v[4:5]
	v_not_b32_e32 v5, v5
	v_ashrrev_i32_e32 v5, 31, v5
	v_and_b32_e32 v23, v23, v113
	v_xor_b32_e32 v113, vcc_hi, v5
	v_xor_b32_e32 v5, vcc_lo, v5
	v_and_b32_e32 v22, v22, v5
	v_lshlrev_b32_e32 v5, 28, v20
	v_cmp_gt_i64_e32 vcc, 0, v[4:5]
	v_not_b32_e32 v5, v5
	v_ashrrev_i32_e32 v5, 31, v5
	v_and_b32_e32 v23, v23, v113
	;; [unrolled: 8-line block ×5, first 2 shown]
	v_xor_b32_e32 v113, vcc_hi, v5
	v_xor_b32_e32 v5, vcc_lo, v5
	v_and_b32_e32 v22, v22, v5
	v_lshlrev_b32_e32 v5, 24, v20
	v_cmp_gt_i64_e32 vcc, 0, v[4:5]
	v_not_b32_e32 v5, v5
	v_ashrrev_i32_e32 v5, 31, v5
	v_xor_b32_e32 v20, vcc_hi, v5
	v_xor_b32_e32 v5, vcc_lo, v5
	v_and_b32_e32 v23, v23, v113
	v_and_b32_e32 v22, v22, v5
	;; [unrolled: 1-line block ×3, first 2 shown]
	v_mbcnt_lo_u32_b32 v5, v22, 0
	v_mbcnt_hi_u32_b32 v113, v23, v5
	v_cmp_eq_u32_e32 vcc, 0, v113
	v_cmp_ne_u64_e64 s[36:37], 0, v[22:23]
	s_and_b64 s[38:39], s[36:37], vcc
	; wave barrier
	s_and_saveexec_b64 s[36:37], s[38:39]
	s_cbranch_execz .LBB115_266
; %bb.265:                              ;   in Loop: Header=BB115_240 Depth=2
	v_bcnt_u32_b32 v5, v22, 0
	v_bcnt_u32_b32 v5, v23, v5
	s_waitcnt lgkmcnt(0)
	v_add_u32_e32 v5, v111, v5
	ds_write_b32 v112, v5
.LBB115_266:                            ;   in Loop: Header=BB115_240 Depth=2
	s_or_b64 exec, exec, s[36:37]
	v_xor_b32_sdwa v114, v21, v65 dst_sel:DWORD dst_unused:UNUSED_PAD src0_sel:WORD_1 src1_sel:DWORD
	v_lshrrev_b32_sdwa v5, s83, v114 dst_sel:DWORD dst_unused:UNUSED_PAD src0_sel:DWORD src1_sel:BYTE_0
	v_and_b32_e32 v20, s84, v5
	v_mul_u32_u24_e32 v5, 5, v20
	v_add_lshl_u32 v5, v5, v89, 2
	; wave barrier
	v_add_u32_e32 v116, 0x410, v5
	ds_read_b32 v115, v5 offset:1040
	v_and_b32_e32 v5, 1, v20
	v_add_co_u32_e32 v22, vcc, -1, v5
	v_addc_co_u32_e64 v23, s[36:37], 0, -1, vcc
	v_cmp_ne_u32_e32 vcc, 0, v5
	v_xor_b32_e32 v5, vcc_hi, v23
	v_and_b32_e32 v23, exec_hi, v5
	v_lshlrev_b32_e32 v5, 30, v20
	v_xor_b32_e32 v22, vcc_lo, v22
	v_cmp_gt_i64_e32 vcc, 0, v[4:5]
	v_not_b32_e32 v5, v5
	v_ashrrev_i32_e32 v5, 31, v5
	v_and_b32_e32 v22, exec_lo, v22
	v_xor_b32_e32 v117, vcc_hi, v5
	v_xor_b32_e32 v5, vcc_lo, v5
	v_and_b32_e32 v22, v22, v5
	v_lshlrev_b32_e32 v5, 29, v20
	v_cmp_gt_i64_e32 vcc, 0, v[4:5]
	v_not_b32_e32 v5, v5
	v_ashrrev_i32_e32 v5, 31, v5
	v_and_b32_e32 v23, v23, v117
	v_xor_b32_e32 v117, vcc_hi, v5
	v_xor_b32_e32 v5, vcc_lo, v5
	v_and_b32_e32 v22, v22, v5
	v_lshlrev_b32_e32 v5, 28, v20
	v_cmp_gt_i64_e32 vcc, 0, v[4:5]
	v_not_b32_e32 v5, v5
	v_ashrrev_i32_e32 v5, 31, v5
	v_and_b32_e32 v23, v23, v117
	;; [unrolled: 8-line block ×5, first 2 shown]
	v_xor_b32_e32 v117, vcc_hi, v5
	v_xor_b32_e32 v5, vcc_lo, v5
	v_and_b32_e32 v22, v22, v5
	v_lshlrev_b32_e32 v5, 24, v20
	v_cmp_gt_i64_e32 vcc, 0, v[4:5]
	v_not_b32_e32 v5, v5
	v_ashrrev_i32_e32 v5, 31, v5
	v_xor_b32_e32 v20, vcc_hi, v5
	v_xor_b32_e32 v5, vcc_lo, v5
	v_and_b32_e32 v23, v23, v117
	v_and_b32_e32 v22, v22, v5
	;; [unrolled: 1-line block ×3, first 2 shown]
	v_mbcnt_lo_u32_b32 v5, v22, 0
	v_mbcnt_hi_u32_b32 v117, v23, v5
	v_cmp_eq_u32_e32 vcc, 0, v117
	v_cmp_ne_u64_e64 s[36:37], 0, v[22:23]
	s_and_b64 s[38:39], s[36:37], vcc
	; wave barrier
	s_and_saveexec_b64 s[36:37], s[38:39]
	s_cbranch_execz .LBB115_268
; %bb.267:                              ;   in Loop: Header=BB115_240 Depth=2
	v_bcnt_u32_b32 v5, v22, 0
	v_bcnt_u32_b32 v5, v23, v5
	s_waitcnt lgkmcnt(0)
	v_add_u32_e32 v5, v115, v5
	ds_write_b32 v116, v5
.LBB115_268:                            ;   in Loop: Header=BB115_240 Depth=2
	s_or_b64 exec, exec, s[36:37]
	v_xor_b32_sdwa v118, v21, v65 dst_sel:DWORD dst_unused:UNUSED_PAD src0_sel:BYTE_3 src1_sel:DWORD
	v_lshrrev_b32_sdwa v5, s83, v118 dst_sel:DWORD dst_unused:UNUSED_PAD src0_sel:DWORD src1_sel:BYTE_0
	v_and_b32_e32 v20, s84, v5
	v_mul_u32_u24_e32 v5, 5, v20
	v_add_lshl_u32 v5, v5, v89, 2
	; wave barrier
	v_add_u32_e32 v120, 0x410, v5
	ds_read_b32 v119, v5 offset:1040
	v_and_b32_e32 v5, 1, v20
	v_add_co_u32_e32 v21, vcc, -1, v5
	v_addc_co_u32_e64 v22, s[36:37], 0, -1, vcc
	v_cmp_ne_u32_e32 vcc, 0, v5
	v_xor_b32_e32 v5, vcc_hi, v22
	v_and_b32_e32 v22, exec_hi, v5
	v_lshlrev_b32_e32 v5, 30, v20
	v_xor_b32_e32 v21, vcc_lo, v21
	v_cmp_gt_i64_e32 vcc, 0, v[4:5]
	v_not_b32_e32 v5, v5
	v_ashrrev_i32_e32 v5, 31, v5
	v_and_b32_e32 v21, exec_lo, v21
	v_xor_b32_e32 v23, vcc_hi, v5
	v_xor_b32_e32 v5, vcc_lo, v5
	v_and_b32_e32 v21, v21, v5
	v_lshlrev_b32_e32 v5, 29, v20
	v_cmp_gt_i64_e32 vcc, 0, v[4:5]
	v_not_b32_e32 v5, v5
	v_ashrrev_i32_e32 v5, 31, v5
	v_and_b32_e32 v22, v22, v23
	v_xor_b32_e32 v23, vcc_hi, v5
	v_xor_b32_e32 v5, vcc_lo, v5
	v_and_b32_e32 v21, v21, v5
	v_lshlrev_b32_e32 v5, 28, v20
	v_cmp_gt_i64_e32 vcc, 0, v[4:5]
	v_not_b32_e32 v5, v5
	v_ashrrev_i32_e32 v5, 31, v5
	v_and_b32_e32 v22, v22, v23
	;; [unrolled: 8-line block ×5, first 2 shown]
	v_xor_b32_e32 v23, vcc_hi, v5
	v_xor_b32_e32 v5, vcc_lo, v5
	v_and_b32_e32 v22, v22, v23
	v_and_b32_e32 v23, v21, v5
	v_lshlrev_b32_e32 v5, 24, v20
	v_cmp_gt_i64_e32 vcc, 0, v[4:5]
	v_not_b32_e32 v5, v5
	v_ashrrev_i32_e32 v5, 31, v5
	v_xor_b32_e32 v20, vcc_hi, v5
	v_xor_b32_e32 v5, vcc_lo, v5
	v_and_b32_e32 v21, v22, v20
	v_and_b32_e32 v20, v23, v5
	v_mbcnt_lo_u32_b32 v5, v20, 0
	v_mbcnt_hi_u32_b32 v121, v21, v5
	v_cmp_eq_u32_e32 vcc, 0, v121
	v_cmp_ne_u64_e64 s[36:37], 0, v[20:21]
	s_and_b64 s[38:39], s[36:37], vcc
	; wave barrier
	s_and_saveexec_b64 s[36:37], s[38:39]
	s_cbranch_execz .LBB115_270
; %bb.269:                              ;   in Loop: Header=BB115_240 Depth=2
	v_bcnt_u32_b32 v5, v20, 0
	v_bcnt_u32_b32 v5, v21, v5
	s_waitcnt lgkmcnt(0)
	v_add_u32_e32 v5, v119, v5
	ds_write_b32 v120, v5
.LBB115_270:                            ;   in Loop: Header=BB115_240 Depth=2
	s_or_b64 exec, exec, s[36:37]
	; wave barrier
	s_waitcnt lgkmcnt(0)
	s_barrier
	ds_read_b32 v5, v42 offset:1040
	ds_read2_b32 v[22:23], v44 offset0:1 offset1:2
	ds_read2_b32 v[20:21], v44 offset0:3 offset1:4
	s_waitcnt lgkmcnt(1)
	v_add3_u32 v122, v22, v5, v23
	s_waitcnt lgkmcnt(0)
	v_add3_u32 v21, v122, v20, v21
	s_nop 1
	v_mov_b32_dpp v122, v21 row_shr:1 row_mask:0xf bank_mask:0xf
	v_cndmask_b32_e64 v122, v122, 0, s[16:17]
	v_add_u32_e32 v21, v122, v21
	s_nop 1
	v_mov_b32_dpp v122, v21 row_shr:2 row_mask:0xf bank_mask:0xf
	v_cndmask_b32_e64 v122, 0, v122, s[18:19]
	v_add_u32_e32 v21, v21, v122
	;; [unrolled: 4-line block ×4, first 2 shown]
	s_nop 1
	v_mov_b32_dpp v122, v21 row_bcast:15 row_mask:0xf bank_mask:0xf
	v_cndmask_b32_e64 v122, v122, 0, s[24:25]
	v_add_u32_e32 v21, v21, v122
	s_nop 1
	v_mov_b32_dpp v122, v21 row_bcast:31 row_mask:0xf bank_mask:0xf
	v_cndmask_b32_e64 v122, 0, v122, s[26:27]
	v_add_u32_e32 v21, v21, v122
	s_and_saveexec_b64 s[36:37], s[6:7]
	s_cbranch_execz .LBB115_272
; %bb.271:                              ;   in Loop: Header=BB115_240 Depth=2
	ds_write_b32 v35, v21 offset:1024
.LBB115_272:                            ;   in Loop: Header=BB115_240 Depth=2
	s_or_b64 exec, exec, s[36:37]
	s_waitcnt lgkmcnt(0)
	s_barrier
	s_and_saveexec_b64 s[36:37], s[8:9]
	s_cbranch_execz .LBB115_274
; %bb.273:                              ;   in Loop: Header=BB115_240 Depth=2
	v_add_u32_e32 v122, v42, v45
	ds_read_b32 v123, v122 offset:1024
	s_waitcnt lgkmcnt(0)
	s_nop 0
	v_mov_b32_dpp v124, v123 row_shr:1 row_mask:0xf bank_mask:0xf
	v_cndmask_b32_e64 v124, v124, 0, s[30:31]
	v_add_u32_e32 v123, v124, v123
	s_nop 1
	v_mov_b32_dpp v124, v123 row_shr:2 row_mask:0xf bank_mask:0xf
	v_cndmask_b32_e64 v124, 0, v124, s[34:35]
	v_add_u32_e32 v123, v123, v124
	ds_write_b32 v122, v123 offset:1024
.LBB115_274:                            ;   in Loop: Header=BB115_240 Depth=2
	s_or_b64 exec, exec, s[36:37]
	v_mov_b32_e32 v122, 0
	s_waitcnt lgkmcnt(0)
	s_barrier
	s_and_saveexec_b64 s[36:37], s[10:11]
	s_cbranch_execz .LBB115_276
; %bb.275:                              ;   in Loop: Header=BB115_240 Depth=2
	ds_read_b32 v122, v35 offset:1020
.LBB115_276:                            ;   in Loop: Header=BB115_240 Depth=2
	s_or_b64 exec, exec, s[36:37]
	s_waitcnt lgkmcnt(0)
	v_add_u32_e32 v21, v122, v21
	ds_bpermute_b32 v21, v66, v21
	s_waitcnt lgkmcnt(0)
	v_cndmask_b32_e64 v21, v21, v122, s[28:29]
	v_cndmask_b32_e64 v21, v21, 0, s[12:13]
	v_add_u32_e32 v5, v21, v5
	ds_write_b32 v42, v21 offset:1040
	v_add_u32_e32 v21, v5, v22
	v_add_u32_e32 v22, v21, v23
	ds_write2_b32 v44, v5, v21 offset0:1 offset1:2
	v_add_u32_e32 v5, v22, v20
	ds_write2_b32 v44, v22, v5 offset0:3 offset1:4
	s_waitcnt lgkmcnt(0)
	s_barrier
	ds_read_b32 v20, v96
	ds_read_b32 v21, v100
	;; [unrolled: 1-line block ×8, first 2 shown]
	ds_read_b32 v96, v42 offset:1040
	v_mov_b32_e32 v5, 0x800
	s_and_saveexec_b64 s[36:37], s[14:15]
	s_cbranch_execz .LBB115_278
; %bb.277:                              ;   in Loop: Header=BB115_240 Depth=2
	ds_read_b32 v5, v42 offset:1060
.LBB115_278:                            ;   in Loop: Header=BB115_240 Depth=2
	s_or_b64 exec, exec, s[36:37]
	s_waitcnt lgkmcnt(0)
	s_barrier
	s_and_saveexec_b64 s[36:37], s[4:5]
	s_cbranch_execz .LBB115_280
; %bb.279:                              ;   in Loop: Header=BB115_240 Depth=2
	ds_read_b32 v100, v3
	s_waitcnt lgkmcnt(0)
	v_sub_u32_e32 v96, v100, v96
	ds_write_b32 v3, v96
.LBB115_280:                            ;   in Loop: Header=BB115_240 Depth=2
	s_or_b64 exec, exec, s[36:37]
	v_add_u32_e32 v100, v92, v93
	v_add3_u32 v97, v97, v95, v20
	v_add3_u32 v96, v101, v99, v21
	v_add3_u32 v95, v105, v103, v22
	v_add3_u32 v93, v109, v107, v23
	v_add3_u32 v92, v113, v111, v104
	v_add3_u32 v23, v117, v115, v108
	v_add3_u32 v22, v121, v119, v112
	v_cmp_lt_u32_e64 s[48:49], v2, v90
	ds_write_b8 v100, v91 offset:1024
	ds_write_b8 v97, v94 offset:1024
	;; [unrolled: 1-line block ×8, first 2 shown]
	s_waitcnt lgkmcnt(0)
	s_barrier
	s_and_saveexec_b64 s[36:37], s[48:49]
	s_cbranch_execz .LBB115_288
; %bb.281:                              ;   in Loop: Header=BB115_240 Depth=2
	ds_read_u8 v20, v2 offset:1024
	s_waitcnt lgkmcnt(0)
	v_lshrrev_b32_sdwa v21, s83, v20 dst_sel:DWORD dst_unused:UNUSED_PAD src0_sel:DWORD src1_sel:BYTE_0
	v_and_b32_e32 v21, s84, v21
	v_lshlrev_b32_e32 v21, 2, v21
	ds_read_b32 v21, v21
	v_xor_b32_e32 v20, -1, v20
	s_waitcnt lgkmcnt(0)
	v_add_u32_e32 v21, v21, v2
	global_store_byte v21, v20, s[60:61]
	s_or_b64 exec, exec, s[36:37]
	v_cmp_lt_u32_e64 s[46:47], v24, v90
	s_and_saveexec_b64 s[36:37], s[46:47]
	s_cbranch_execnz .LBB115_289
.LBB115_282:                            ;   in Loop: Header=BB115_240 Depth=2
	s_or_b64 exec, exec, s[36:37]
	v_cmp_lt_u32_e64 s[44:45], v25, v90
	s_and_saveexec_b64 s[36:37], s[44:45]
	s_cbranch_execz .LBB115_290
.LBB115_283:                            ;   in Loop: Header=BB115_240 Depth=2
	ds_read_u8 v20, v30 offset:512
	s_waitcnt lgkmcnt(0)
	v_lshrrev_b32_sdwa v21, s83, v20 dst_sel:DWORD dst_unused:UNUSED_PAD src0_sel:DWORD src1_sel:BYTE_0
	v_and_b32_e32 v21, s84, v21
	v_lshlrev_b32_e32 v21, 2, v21
	ds_read_b32 v21, v21
	v_xor_b32_e32 v20, -1, v20
	s_waitcnt lgkmcnt(0)
	v_add_u32_e32 v21, v21, v25
	global_store_byte v21, v20, s[60:61]
	s_or_b64 exec, exec, s[36:37]
	v_cmp_lt_u32_e64 s[42:43], v26, v90
	s_and_saveexec_b64 s[36:37], s[42:43]
	s_cbranch_execnz .LBB115_291
.LBB115_284:                            ;   in Loop: Header=BB115_240 Depth=2
	s_or_b64 exec, exec, s[36:37]
	v_cmp_lt_u32_e64 s[40:41], v30, v90
	s_and_saveexec_b64 s[36:37], s[40:41]
	s_cbranch_execz .LBB115_292
.LBB115_285:                            ;   in Loop: Header=BB115_240 Depth=2
	ds_read_u8 v20, v30 offset:1024
	s_waitcnt lgkmcnt(0)
	v_lshrrev_b32_sdwa v21, s83, v20 dst_sel:DWORD dst_unused:UNUSED_PAD src0_sel:DWORD src1_sel:BYTE_0
	v_and_b32_e32 v21, s84, v21
	v_lshlrev_b32_e32 v21, 2, v21
	ds_read_b32 v21, v21
	v_xor_b32_e32 v20, -1, v20
	s_waitcnt lgkmcnt(0)
	v_add_u32_e32 v21, v21, v30
	global_store_byte v21, v20, s[60:61]
	s_or_b64 exec, exec, s[36:37]
	v_cmp_lt_u32_e64 s[38:39], v31, v90
	s_and_saveexec_b64 s[36:37], s[38:39]
	s_cbranch_execnz .LBB115_293
.LBB115_286:                            ;   in Loop: Header=BB115_240 Depth=2
	s_or_b64 exec, exec, s[36:37]
	v_cmp_lt_u32_e64 s[36:37], v32, v90
	s_and_saveexec_b64 s[52:53], s[36:37]
	s_cbranch_execz .LBB115_294
.LBB115_287:                            ;   in Loop: Header=BB115_240 Depth=2
	ds_read_u8 v20, v30 offset:1536
	s_waitcnt lgkmcnt(0)
	v_lshrrev_b32_sdwa v21, s83, v20 dst_sel:DWORD dst_unused:UNUSED_PAD src0_sel:DWORD src1_sel:BYTE_0
	v_and_b32_e32 v21, s84, v21
	v_lshlrev_b32_e32 v21, 2, v21
	ds_read_b32 v21, v21
	v_xor_b32_e32 v20, -1, v20
	s_waitcnt lgkmcnt(0)
	v_add_u32_e32 v21, v21, v32
	global_store_byte v21, v20, s[60:61]
	s_or_b64 exec, exec, s[52:53]
	v_cmp_lt_u32_e32 vcc, v33, v90
	s_and_saveexec_b64 s[52:53], vcc
	s_cbranch_execnz .LBB115_295
	s_branch .LBB115_296
.LBB115_288:                            ;   in Loop: Header=BB115_240 Depth=2
	s_or_b64 exec, exec, s[36:37]
	v_cmp_lt_u32_e64 s[46:47], v24, v90
	s_and_saveexec_b64 s[36:37], s[46:47]
	s_cbranch_execz .LBB115_282
.LBB115_289:                            ;   in Loop: Header=BB115_240 Depth=2
	ds_read_u8 v20, v30 offset:256
	s_waitcnt lgkmcnt(0)
	v_lshrrev_b32_sdwa v21, s83, v20 dst_sel:DWORD dst_unused:UNUSED_PAD src0_sel:DWORD src1_sel:BYTE_0
	v_and_b32_e32 v21, s84, v21
	v_lshlrev_b32_e32 v21, 2, v21
	ds_read_b32 v21, v21
	v_xor_b32_e32 v20, -1, v20
	s_waitcnt lgkmcnt(0)
	v_add_u32_e32 v21, v21, v24
	global_store_byte v21, v20, s[60:61]
	s_or_b64 exec, exec, s[36:37]
	v_cmp_lt_u32_e64 s[44:45], v25, v90
	s_and_saveexec_b64 s[36:37], s[44:45]
	s_cbranch_execnz .LBB115_283
.LBB115_290:                            ;   in Loop: Header=BB115_240 Depth=2
	s_or_b64 exec, exec, s[36:37]
	v_cmp_lt_u32_e64 s[42:43], v26, v90
	s_and_saveexec_b64 s[36:37], s[42:43]
	s_cbranch_execz .LBB115_284
.LBB115_291:                            ;   in Loop: Header=BB115_240 Depth=2
	ds_read_u8 v20, v30 offset:768
	s_waitcnt lgkmcnt(0)
	v_lshrrev_b32_sdwa v21, s83, v20 dst_sel:DWORD dst_unused:UNUSED_PAD src0_sel:DWORD src1_sel:BYTE_0
	v_and_b32_e32 v21, s84, v21
	v_lshlrev_b32_e32 v21, 2, v21
	ds_read_b32 v21, v21
	v_xor_b32_e32 v20, -1, v20
	s_waitcnt lgkmcnt(0)
	v_add_u32_e32 v21, v21, v26
	global_store_byte v21, v20, s[60:61]
	s_or_b64 exec, exec, s[36:37]
	v_cmp_lt_u32_e64 s[40:41], v30, v90
	s_and_saveexec_b64 s[36:37], s[40:41]
	s_cbranch_execnz .LBB115_285
.LBB115_292:                            ;   in Loop: Header=BB115_240 Depth=2
	s_or_b64 exec, exec, s[36:37]
	v_cmp_lt_u32_e64 s[38:39], v31, v90
	s_and_saveexec_b64 s[36:37], s[38:39]
	s_cbranch_execz .LBB115_286
.LBB115_293:                            ;   in Loop: Header=BB115_240 Depth=2
	ds_read_u8 v20, v30 offset:1280
	s_waitcnt lgkmcnt(0)
	v_lshrrev_b32_sdwa v21, s83, v20 dst_sel:DWORD dst_unused:UNUSED_PAD src0_sel:DWORD src1_sel:BYTE_0
	v_and_b32_e32 v21, s84, v21
	v_lshlrev_b32_e32 v21, 2, v21
	ds_read_b32 v21, v21
	v_xor_b32_e32 v20, -1, v20
	s_waitcnt lgkmcnt(0)
	v_add_u32_e32 v21, v21, v31
	global_store_byte v21, v20, s[60:61]
	s_or_b64 exec, exec, s[36:37]
	v_cmp_lt_u32_e64 s[36:37], v32, v90
	s_and_saveexec_b64 s[52:53], s[36:37]
	s_cbranch_execnz .LBB115_287
.LBB115_294:                            ;   in Loop: Header=BB115_240 Depth=2
	s_or_b64 exec, exec, s[52:53]
	v_cmp_lt_u32_e32 vcc, v33, v90
	s_and_saveexec_b64 s[52:53], vcc
	s_cbranch_execz .LBB115_296
.LBB115_295:                            ;   in Loop: Header=BB115_240 Depth=2
	ds_read_u8 v20, v30 offset:1792
	s_waitcnt lgkmcnt(0)
	v_lshrrev_b32_sdwa v21, s83, v20 dst_sel:DWORD dst_unused:UNUSED_PAD src0_sel:DWORD src1_sel:BYTE_0
	v_and_b32_e32 v21, s84, v21
	v_lshlrev_b32_e32 v21, 2, v21
	ds_read_b32 v21, v21
	v_xor_b32_e32 v20, -1, v20
	s_waitcnt lgkmcnt(0)
	v_add_u32_e32 v21, v21, v33
	global_store_byte v21, v20, s[60:61]
.LBB115_296:                            ;   in Loop: Header=BB115_240 Depth=2
	s_or_b64 exec, exec, s[52:53]
	s_lshl_b64 s[52:53], s[72:73], 3
	v_mov_b32_e32 v21, s53
	v_add_co_u32_e64 v20, s[52:53], s52, v78
	v_addc_co_u32_e64 v21, s[52:53], v79, v21, s[52:53]
	v_cmp_lt_u32_e64 s[52:53], v73, v90
	s_and_saveexec_b64 s[62:63], s[52:53]
	s_xor_b64 s[52:53], exec, s[62:63]
	s_cbranch_execz .LBB115_312
; %bb.297:                              ;   in Loop: Header=BB115_240 Depth=2
	global_load_dwordx2 v[18:19], v[20:21], off
	s_or_b64 exec, exec, s[52:53]
	v_cmp_lt_u32_e64 s[52:53], v80, v90
	s_and_saveexec_b64 s[62:63], s[52:53]
	s_cbranch_execnz .LBB115_313
.LBB115_298:                            ;   in Loop: Header=BB115_240 Depth=2
	s_or_b64 exec, exec, s[62:63]
	v_cmp_lt_u32_e64 s[52:53], v81, v90
	s_and_saveexec_b64 s[62:63], s[52:53]
	s_cbranch_execz .LBB115_314
.LBB115_299:                            ;   in Loop: Header=BB115_240 Depth=2
	global_load_dwordx2 v[14:15], v[20:21], off offset:1024
	s_or_b64 exec, exec, s[62:63]
	v_cmp_lt_u32_e64 s[52:53], v82, v90
	s_and_saveexec_b64 s[62:63], s[52:53]
	s_cbranch_execnz .LBB115_315
.LBB115_300:                            ;   in Loop: Header=BB115_240 Depth=2
	s_or_b64 exec, exec, s[62:63]
	v_cmp_lt_u32_e64 s[52:53], v83, v90
	s_and_saveexec_b64 s[62:63], s[52:53]
	s_cbranch_execz .LBB115_316
.LBB115_301:                            ;   in Loop: Header=BB115_240 Depth=2
	global_load_dwordx2 v[10:11], v[20:21], off offset:2048
	s_or_b64 exec, exec, s[62:63]
	v_cmp_lt_u32_e64 s[52:53], v84, v90
	s_and_saveexec_b64 s[62:63], s[52:53]
	s_cbranch_execnz .LBB115_317
.LBB115_302:                            ;   in Loop: Header=BB115_240 Depth=2
	s_or_b64 exec, exec, s[62:63]
	v_cmp_lt_u32_e64 s[52:53], v85, v90
	s_and_saveexec_b64 s[62:63], s[52:53]
	s_cbranch_execz .LBB115_318
.LBB115_303:                            ;   in Loop: Header=BB115_240 Depth=2
	global_load_dwordx2 v[6:7], v[20:21], off offset:3072
	s_or_b64 exec, exec, s[62:63]
	v_cmp_lt_u32_e64 s[52:53], v86, v90
	s_and_saveexec_b64 s[62:63], s[52:53]
	s_cbranch_execnz .LBB115_319
.LBB115_304:                            ;   in Loop: Header=BB115_240 Depth=2
	s_or_b64 exec, exec, s[62:63]
	s_and_saveexec_b64 s[52:53], s[48:49]
	s_cbranch_execz .LBB115_320
.LBB115_305:                            ;   in Loop: Header=BB115_240 Depth=2
	ds_read_u8 v20, v2 offset:1024
	s_waitcnt lgkmcnt(0)
	v_lshrrev_b32_e32 v20, s83, v20
	v_and_b32_e32 v76, s84, v20
	s_or_b64 exec, exec, s[52:53]
	s_and_saveexec_b64 s[52:53], s[46:47]
	s_cbranch_execnz .LBB115_321
.LBB115_306:                            ;   in Loop: Header=BB115_240 Depth=2
	s_or_b64 exec, exec, s[52:53]
	s_and_saveexec_b64 s[52:53], s[44:45]
	s_cbranch_execz .LBB115_322
.LBB115_307:                            ;   in Loop: Header=BB115_240 Depth=2
	ds_read_u8 v20, v30 offset:512
	s_waitcnt lgkmcnt(0)
	v_lshrrev_b32_e32 v20, s83, v20
	v_and_b32_e32 v72, s84, v20
	s_or_b64 exec, exec, s[52:53]
	s_and_saveexec_b64 s[52:53], s[42:43]
	s_cbranch_execnz .LBB115_323
.LBB115_308:                            ;   in Loop: Header=BB115_240 Depth=2
	s_or_b64 exec, exec, s[52:53]
	s_and_saveexec_b64 s[52:53], s[40:41]
	s_cbranch_execz .LBB115_324
.LBB115_309:                            ;   in Loop: Header=BB115_240 Depth=2
	ds_read_u8 v20, v30 offset:1024
	s_waitcnt lgkmcnt(0)
	v_lshrrev_b32_e32 v20, s83, v20
	v_and_b32_e32 v70, s84, v20
	s_or_b64 exec, exec, s[52:53]
	s_and_saveexec_b64 s[52:53], s[38:39]
	s_cbranch_execnz .LBB115_325
.LBB115_310:                            ;   in Loop: Header=BB115_240 Depth=2
	s_or_b64 exec, exec, s[52:53]
	s_and_saveexec_b64 s[52:53], s[36:37]
	s_cbranch_execz .LBB115_326
.LBB115_311:                            ;   in Loop: Header=BB115_240 Depth=2
	ds_read_u8 v20, v30 offset:1536
	s_waitcnt lgkmcnt(0)
	v_lshrrev_b32_e32 v20, s83, v20
	v_and_b32_e32 v68, s84, v20
	s_or_b64 exec, exec, s[52:53]
	s_and_saveexec_b64 s[52:53], vcc
	s_cbranch_execnz .LBB115_327
	s_branch .LBB115_328
.LBB115_312:                            ;   in Loop: Header=BB115_240 Depth=2
	s_or_b64 exec, exec, s[52:53]
	v_cmp_lt_u32_e64 s[52:53], v80, v90
	s_and_saveexec_b64 s[62:63], s[52:53]
	s_cbranch_execz .LBB115_298
.LBB115_313:                            ;   in Loop: Header=BB115_240 Depth=2
	global_load_dwordx2 v[16:17], v[20:21], off offset:512
	s_or_b64 exec, exec, s[62:63]
	v_cmp_lt_u32_e64 s[52:53], v81, v90
	s_and_saveexec_b64 s[62:63], s[52:53]
	s_cbranch_execnz .LBB115_299
.LBB115_314:                            ;   in Loop: Header=BB115_240 Depth=2
	s_or_b64 exec, exec, s[62:63]
	v_cmp_lt_u32_e64 s[52:53], v82, v90
	s_and_saveexec_b64 s[62:63], s[52:53]
	s_cbranch_execz .LBB115_300
.LBB115_315:                            ;   in Loop: Header=BB115_240 Depth=2
	global_load_dwordx2 v[12:13], v[20:21], off offset:1536
	s_or_b64 exec, exec, s[62:63]
	v_cmp_lt_u32_e64 s[52:53], v83, v90
	s_and_saveexec_b64 s[62:63], s[52:53]
	s_cbranch_execnz .LBB115_301
.LBB115_316:                            ;   in Loop: Header=BB115_240 Depth=2
	s_or_b64 exec, exec, s[62:63]
	v_cmp_lt_u32_e64 s[52:53], v84, v90
	s_and_saveexec_b64 s[62:63], s[52:53]
	s_cbranch_execz .LBB115_302
.LBB115_317:                            ;   in Loop: Header=BB115_240 Depth=2
	global_load_dwordx2 v[8:9], v[20:21], off offset:2560
	s_or_b64 exec, exec, s[62:63]
	v_cmp_lt_u32_e64 s[52:53], v85, v90
	s_and_saveexec_b64 s[62:63], s[52:53]
	s_cbranch_execnz .LBB115_303
.LBB115_318:                            ;   in Loop: Header=BB115_240 Depth=2
	s_or_b64 exec, exec, s[62:63]
	v_cmp_lt_u32_e64 s[52:53], v86, v90
	s_and_saveexec_b64 s[62:63], s[52:53]
	s_cbranch_execz .LBB115_304
.LBB115_319:                            ;   in Loop: Header=BB115_240 Depth=2
	global_load_dwordx2 v[0:1], v[20:21], off offset:3584
	s_or_b64 exec, exec, s[62:63]
	s_and_saveexec_b64 s[52:53], s[48:49]
	s_cbranch_execnz .LBB115_305
.LBB115_320:                            ;   in Loop: Header=BB115_240 Depth=2
	s_or_b64 exec, exec, s[52:53]
	s_and_saveexec_b64 s[52:53], s[46:47]
	s_cbranch_execz .LBB115_306
.LBB115_321:                            ;   in Loop: Header=BB115_240 Depth=2
	ds_read_u8 v20, v30 offset:256
	s_waitcnt lgkmcnt(0)
	v_lshrrev_b32_e32 v20, s83, v20
	v_and_b32_e32 v74, s84, v20
	s_or_b64 exec, exec, s[52:53]
	s_and_saveexec_b64 s[52:53], s[44:45]
	s_cbranch_execnz .LBB115_307
.LBB115_322:                            ;   in Loop: Header=BB115_240 Depth=2
	s_or_b64 exec, exec, s[52:53]
	s_and_saveexec_b64 s[52:53], s[42:43]
	s_cbranch_execz .LBB115_308
.LBB115_323:                            ;   in Loop: Header=BB115_240 Depth=2
	ds_read_u8 v20, v30 offset:768
	s_waitcnt lgkmcnt(0)
	v_lshrrev_b32_e32 v20, s83, v20
	v_and_b32_e32 v71, s84, v20
	s_or_b64 exec, exec, s[52:53]
	s_and_saveexec_b64 s[52:53], s[40:41]
	s_cbranch_execnz .LBB115_309
.LBB115_324:                            ;   in Loop: Header=BB115_240 Depth=2
	s_or_b64 exec, exec, s[52:53]
	s_and_saveexec_b64 s[52:53], s[38:39]
	s_cbranch_execz .LBB115_310
.LBB115_325:                            ;   in Loop: Header=BB115_240 Depth=2
	ds_read_u8 v20, v30 offset:1280
	s_waitcnt lgkmcnt(0)
	v_lshrrev_b32_e32 v20, s83, v20
	v_and_b32_e32 v69, s84, v20
	s_or_b64 exec, exec, s[52:53]
	s_and_saveexec_b64 s[52:53], s[36:37]
	s_cbranch_execnz .LBB115_311
.LBB115_326:                            ;   in Loop: Header=BB115_240 Depth=2
	s_or_b64 exec, exec, s[52:53]
	s_and_saveexec_b64 s[52:53], vcc
	s_cbranch_execz .LBB115_328
.LBB115_327:                            ;   in Loop: Header=BB115_240 Depth=2
	ds_read_u8 v20, v30 offset:1792
	s_waitcnt lgkmcnt(0)
	v_lshrrev_b32_e32 v20, s83, v20
	v_and_b32_e32 v67, s84, v20
.LBB115_328:                            ;   in Loop: Header=BB115_240 Depth=2
	s_or_b64 exec, exec, s[52:53]
	v_lshlrev_b32_e32 v20, 3, v100
	s_barrier
	s_waitcnt vmcnt(0)
	ds_write_b64 v20, v[18:19] offset:1024
	v_lshlrev_b32_e32 v20, 3, v97
	ds_write_b64 v20, v[16:17] offset:1024
	v_lshlrev_b32_e32 v20, 3, v96
	;; [unrolled: 2-line block ×7, first 2 shown]
	ds_write_b64 v20, v[0:1] offset:1024
	s_waitcnt lgkmcnt(0)
	s_barrier
	s_and_saveexec_b64 s[52:53], s[48:49]
	s_cbranch_execz .LBB115_336
; %bb.329:                              ;   in Loop: Header=BB115_240 Depth=2
	v_lshlrev_b32_e32 v20, 2, v76
	ds_read_b32 v22, v20
	v_add_u32_e32 v20, v2, v50
	ds_read_b64 v[20:21], v20 offset:1024
	v_mov_b32_e32 v23, v4
	v_mov_b32_e32 v90, s67
	s_waitcnt lgkmcnt(1)
	v_add_u32_e32 v22, v22, v2
	v_lshlrev_b64 v[22:23], 3, v[22:23]
	v_add_co_u32_e64 v22, s[48:49], s66, v22
	v_addc_co_u32_e64 v23, s[48:49], v90, v23, s[48:49]
	s_waitcnt lgkmcnt(0)
	global_store_dwordx2 v[22:23], v[20:21], off
	s_or_b64 exec, exec, s[52:53]
	s_and_saveexec_b64 s[48:49], s[46:47]
	s_cbranch_execnz .LBB115_337
.LBB115_330:                            ;   in Loop: Header=BB115_240 Depth=2
	s_or_b64 exec, exec, s[48:49]
	s_and_saveexec_b64 s[46:47], s[44:45]
	s_cbranch_execz .LBB115_338
.LBB115_331:                            ;   in Loop: Header=BB115_240 Depth=2
	v_lshlrev_b32_e32 v20, 2, v72
	ds_read_b32 v22, v20
	v_add_u32_e32 v20, v30, v50
	ds_read_b64 v[20:21], v20 offset:4096
	v_mov_b32_e32 v23, v4
	v_mov_b32_e32 v90, s67
	s_waitcnt lgkmcnt(1)
	v_add_u32_e32 v22, v22, v25
	v_lshlrev_b64 v[22:23], 3, v[22:23]
	v_add_co_u32_e64 v22, s[44:45], s66, v22
	v_addc_co_u32_e64 v23, s[44:45], v90, v23, s[44:45]
	s_waitcnt lgkmcnt(0)
	global_store_dwordx2 v[22:23], v[20:21], off
	s_or_b64 exec, exec, s[46:47]
	s_and_saveexec_b64 s[44:45], s[42:43]
	s_cbranch_execnz .LBB115_339
.LBB115_332:                            ;   in Loop: Header=BB115_240 Depth=2
	s_or_b64 exec, exec, s[44:45]
	s_and_saveexec_b64 s[42:43], s[40:41]
	s_cbranch_execz .LBB115_340
.LBB115_333:                            ;   in Loop: Header=BB115_240 Depth=2
	v_lshlrev_b32_e32 v20, 2, v70
	ds_read_b32 v22, v20
	v_add_u32_e32 v20, v30, v50
	ds_read_b64 v[20:21], v20 offset:8192
	v_mov_b32_e32 v23, v4
	v_mov_b32_e32 v90, s67
	s_waitcnt lgkmcnt(1)
	v_add_u32_e32 v22, v22, v30
	v_lshlrev_b64 v[22:23], 3, v[22:23]
	v_add_co_u32_e64 v22, s[40:41], s66, v22
	v_addc_co_u32_e64 v23, s[40:41], v90, v23, s[40:41]
	s_waitcnt lgkmcnt(0)
	global_store_dwordx2 v[22:23], v[20:21], off
	s_or_b64 exec, exec, s[42:43]
	s_and_saveexec_b64 s[40:41], s[38:39]
	s_cbranch_execnz .LBB115_341
.LBB115_334:                            ;   in Loop: Header=BB115_240 Depth=2
	s_or_b64 exec, exec, s[40:41]
	s_and_saveexec_b64 s[38:39], s[36:37]
	s_cbranch_execz .LBB115_342
.LBB115_335:                            ;   in Loop: Header=BB115_240 Depth=2
	v_lshlrev_b32_e32 v20, 2, v68
	ds_read_b32 v22, v20
	v_add_u32_e32 v20, v30, v50
	ds_read_b64 v[20:21], v20 offset:12288
	v_mov_b32_e32 v23, v4
	v_mov_b32_e32 v90, s67
	s_waitcnt lgkmcnt(1)
	v_add_u32_e32 v22, v22, v32
	v_lshlrev_b64 v[22:23], 3, v[22:23]
	v_add_co_u32_e64 v22, s[36:37], s66, v22
	v_addc_co_u32_e64 v23, s[36:37], v90, v23, s[36:37]
	s_waitcnt lgkmcnt(0)
	global_store_dwordx2 v[22:23], v[20:21], off
	s_or_b64 exec, exec, s[38:39]
	s_and_saveexec_b64 s[36:37], vcc
	s_cbranch_execnz .LBB115_343
	s_branch .LBB115_344
.LBB115_336:                            ;   in Loop: Header=BB115_240 Depth=2
	s_or_b64 exec, exec, s[52:53]
	s_and_saveexec_b64 s[48:49], s[46:47]
	s_cbranch_execz .LBB115_330
.LBB115_337:                            ;   in Loop: Header=BB115_240 Depth=2
	v_lshlrev_b32_e32 v20, 2, v74
	ds_read_b32 v22, v20
	v_add_u32_e32 v20, v30, v50
	ds_read_b64 v[20:21], v20 offset:2048
	v_mov_b32_e32 v23, v4
	v_mov_b32_e32 v90, s67
	s_waitcnt lgkmcnt(1)
	v_add_u32_e32 v22, v22, v24
	v_lshlrev_b64 v[22:23], 3, v[22:23]
	v_add_co_u32_e64 v22, s[46:47], s66, v22
	v_addc_co_u32_e64 v23, s[46:47], v90, v23, s[46:47]
	s_waitcnt lgkmcnt(0)
	global_store_dwordx2 v[22:23], v[20:21], off
	s_or_b64 exec, exec, s[48:49]
	s_and_saveexec_b64 s[46:47], s[44:45]
	s_cbranch_execnz .LBB115_331
.LBB115_338:                            ;   in Loop: Header=BB115_240 Depth=2
	s_or_b64 exec, exec, s[46:47]
	s_and_saveexec_b64 s[44:45], s[42:43]
	s_cbranch_execz .LBB115_332
.LBB115_339:                            ;   in Loop: Header=BB115_240 Depth=2
	v_lshlrev_b32_e32 v20, 2, v71
	ds_read_b32 v22, v20
	v_add_u32_e32 v20, v30, v50
	ds_read_b64 v[20:21], v20 offset:6144
	v_mov_b32_e32 v23, v4
	v_mov_b32_e32 v90, s67
	s_waitcnt lgkmcnt(1)
	v_add_u32_e32 v22, v22, v26
	v_lshlrev_b64 v[22:23], 3, v[22:23]
	v_add_co_u32_e64 v22, s[42:43], s66, v22
	v_addc_co_u32_e64 v23, s[42:43], v90, v23, s[42:43]
	s_waitcnt lgkmcnt(0)
	global_store_dwordx2 v[22:23], v[20:21], off
	s_or_b64 exec, exec, s[44:45]
	s_and_saveexec_b64 s[42:43], s[40:41]
	s_cbranch_execnz .LBB115_333
.LBB115_340:                            ;   in Loop: Header=BB115_240 Depth=2
	s_or_b64 exec, exec, s[42:43]
	s_and_saveexec_b64 s[40:41], s[38:39]
	s_cbranch_execz .LBB115_334
.LBB115_341:                            ;   in Loop: Header=BB115_240 Depth=2
	v_lshlrev_b32_e32 v20, 2, v69
	ds_read_b32 v22, v20
	v_add_u32_e32 v20, v30, v50
	ds_read_b64 v[20:21], v20 offset:10240
	v_mov_b32_e32 v23, v4
	v_mov_b32_e32 v90, s67
	s_waitcnt lgkmcnt(1)
	v_add_u32_e32 v22, v22, v31
	v_lshlrev_b64 v[22:23], 3, v[22:23]
	v_add_co_u32_e64 v22, s[38:39], s66, v22
	v_addc_co_u32_e64 v23, s[38:39], v90, v23, s[38:39]
	s_waitcnt lgkmcnt(0)
	global_store_dwordx2 v[22:23], v[20:21], off
	s_or_b64 exec, exec, s[40:41]
	s_and_saveexec_b64 s[38:39], s[36:37]
	s_cbranch_execnz .LBB115_335
.LBB115_342:                            ;   in Loop: Header=BB115_240 Depth=2
	s_or_b64 exec, exec, s[38:39]
	s_and_saveexec_b64 s[36:37], vcc
	s_cbranch_execz .LBB115_344
.LBB115_343:                            ;   in Loop: Header=BB115_240 Depth=2
	v_lshlrev_b32_e32 v20, 2, v67
	ds_read_b32 v22, v20
	v_add_u32_e32 v20, v30, v50
	ds_read_b64 v[20:21], v20 offset:14336
	v_mov_b32_e32 v23, v4
	v_mov_b32_e32 v90, s67
	s_waitcnt lgkmcnt(1)
	v_add_u32_e32 v22, v22, v33
	v_lshlrev_b64 v[22:23], 3, v[22:23]
	v_add_co_u32_e32 v22, vcc, s66, v22
	v_addc_co_u32_e32 v23, vcc, v90, v23, vcc
	s_waitcnt lgkmcnt(0)
	global_store_dwordx2 v[22:23], v[20:21], off
.LBB115_344:                            ;   in Loop: Header=BB115_240 Depth=2
	s_or_b64 exec, exec, s[36:37]
	s_barrier
	s_and_saveexec_b64 s[36:37], s[4:5]
	s_cbranch_execz .LBB115_239
; %bb.345:                              ;   in Loop: Header=BB115_240 Depth=2
	ds_read_b32 v20, v3
	s_waitcnt lgkmcnt(0)
	v_add_u32_e32 v5, v20, v5
	ds_write_b32 v3, v5
	s_branch .LBB115_239
.LBB115_346:                            ;   in Loop: Header=BB115_240 Depth=2
	s_or_b64 exec, exec, s[36:37]
	v_cmp_gt_u32_e32 vcc, s85, v80
	s_and_saveexec_b64 s[36:37], vcc
	s_cbranch_execz .LBB115_245
.LBB115_347:                            ;   in Loop: Header=BB115_240 Depth=2
	global_load_ubyte v5, v[22:23], off offset:64
	s_waitcnt vmcnt(0)
	v_perm_b32 v20, v20, v5, s78
	s_or_b64 exec, exec, s[36:37]
	v_cmp_gt_u32_e32 vcc, s85, v81
	s_and_saveexec_b64 s[36:37], vcc
	s_cbranch_execnz .LBB115_246
.LBB115_348:                            ;   in Loop: Header=BB115_240 Depth=2
	s_or_b64 exec, exec, s[36:37]
	v_cmp_gt_u32_e32 vcc, s85, v82
	s_and_saveexec_b64 s[36:37], vcc
	s_cbranch_execz .LBB115_247
.LBB115_349:                            ;   in Loop: Header=BB115_240 Depth=2
	global_load_ubyte v5, v[22:23], off offset:192
	v_and_b32_sdwa v90, v20, s68 dst_sel:DWORD dst_unused:UNUSED_PAD src0_sel:WORD_1 src1_sel:DWORD
	s_waitcnt vmcnt(0)
	v_lshlrev_b16_e32 v5, 8, v5
	v_or_b32_sdwa v5, v90, v5 dst_sel:WORD_1 dst_unused:UNUSED_PAD src0_sel:DWORD src1_sel:DWORD
	v_and_or_b32 v20, v20, s77, v5
	s_or_b64 exec, exec, s[36:37]
	v_cmp_gt_u32_e32 vcc, s85, v83
	s_and_saveexec_b64 s[36:37], vcc
	s_cbranch_execnz .LBB115_248
.LBB115_350:                            ;   in Loop: Header=BB115_240 Depth=2
	s_or_b64 exec, exec, s[36:37]
	v_cmp_gt_u32_e32 vcc, s85, v84
	s_and_saveexec_b64 s[36:37], vcc
	s_cbranch_execz .LBB115_249
.LBB115_351:                            ;   in Loop: Header=BB115_240 Depth=2
	global_load_ubyte v5, v[22:23], off offset:320
	s_waitcnt vmcnt(0)
	v_perm_b32 v21, v21, v5, s78
	s_or_b64 exec, exec, s[36:37]
	v_cmp_gt_u32_e32 vcc, s85, v85
	s_and_saveexec_b64 s[36:37], vcc
	s_cbranch_execnz .LBB115_250
	s_branch .LBB115_251
.LBB115_352:                            ;   in Loop: Header=BB115_20 Depth=1
	s_waitcnt lgkmcnt(0)
	s_barrier
.LBB115_353:                            ;   in Loop: Header=BB115_20 Depth=1
	s_mov_b64 s[16:17], 0
.LBB115_354:                            ;   in Loop: Header=BB115_20 Depth=1
	s_andn2_b64 vcc, exec, s[16:17]
	s_cbranch_vccnz .LBB115_19
; %bb.355:                              ;   in Loop: Header=BB115_20 Depth=1
	s_mov_b64 s[16:17], -1
	s_and_b64 vcc, exec, s[54:55]
	s_cbranch_vccz .LBB115_521
; %bb.356:                              ;   in Loop: Header=BB115_20 Depth=1
	s_mov_b32 s20, s71
	s_mov_b32 s22, s51
	s_barrier
	s_waitcnt lgkmcnt(0)
                                        ; implicit-def: $vgpr5
                                        ; implicit-def: $vgpr6
                                        ; implicit-def: $vgpr7
                                        ; implicit-def: $vgpr8
                                        ; implicit-def: $vgpr9
                                        ; implicit-def: $vgpr10
                                        ; implicit-def: $vgpr11
                                        ; implicit-def: $vgpr12
	s_branch .LBB115_358
.LBB115_357:                            ;   in Loop: Header=BB115_358 Depth=2
	s_or_b64 exec, exec, s[16:17]
	s_addk_i32 s20, 0xf800
	s_cmp_ge_u32 s21, s76
	s_mov_b32 s22, s21
	s_cbranch_scc1 .LBB115_396
.LBB115_358:                            ;   Parent Loop BB115_20 Depth=1
                                        ; =>  This Inner Loop Header: Depth=2
	s_add_i32 s21, s22, 0x800
	s_cmp_gt_u32 s21, s76
	s_cbranch_scc1 .LBB115_361
; %bb.359:                              ;   in Loop: Header=BB115_358 Depth=2
	v_add_co_u32_e32 v0, vcc, s22, v57
	v_addc_co_u32_e32 v1, vcc, 0, v58, vcc
	global_load_ubyte v20, v[0:1], off offset:1536
	global_load_ubyte v19, v[0:1], off offset:1280
	;; [unrolled: 1-line block ×6, first 2 shown]
	global_load_ubyte v14, v[0:1], off
	v_add_co_u32_e32 v0, vcc, 0x700, v0
	v_addc_co_u32_e32 v1, vcc, 0, v1, vcc
	s_mov_b64 s[16:17], -1
	s_movk_i32 s25, 0x800
	s_cbranch_execz .LBB115_362
; %bb.360:                              ;   in Loop: Header=BB115_358 Depth=2
                                        ; implicit-def: $vgpr5
                                        ; implicit-def: $vgpr6
                                        ; implicit-def: $vgpr7
                                        ; implicit-def: $vgpr8
                                        ; implicit-def: $vgpr9
                                        ; implicit-def: $vgpr10
                                        ; implicit-def: $vgpr11
                                        ; implicit-def: $vgpr12
	v_mov_b32_e32 v13, s20
	s_and_saveexec_b64 s[18:19], s[16:17]
	s_cbranch_execnz .LBB115_373
	s_branch .LBB115_374
.LBB115_361:                            ;   in Loop: Header=BB115_358 Depth=2
	s_mov_b64 s[16:17], 0
                                        ; implicit-def: $sgpr25
                                        ; implicit-def: $vgpr14
                                        ; implicit-def: $vgpr15
                                        ; implicit-def: $vgpr16
                                        ; implicit-def: $vgpr17
                                        ; implicit-def: $vgpr18
                                        ; implicit-def: $vgpr19
                                        ; implicit-def: $vgpr20
                                        ; implicit-def: $vgpr0_vgpr1
.LBB115_362:                            ;   in Loop: Header=BB115_358 Depth=2
	s_add_u32 s23, s56, s22
	s_addc_u32 s24, s57, 0
	v_cmp_gt_u32_e32 vcc, s20, v2
	s_and_saveexec_b64 s[18:19], vcc
	s_cbranch_execz .LBB115_390
; %bb.363:                              ;   in Loop: Header=BB115_358 Depth=2
	v_mov_b32_e32 v1, s24
	v_add_co_u32_e32 v0, vcc, s23, v2
	v_addc_co_u32_e32 v1, vcc, 0, v1, vcc
	global_load_ubyte v5, v[0:1], off
	s_or_b64 exec, exec, s[18:19]
	v_cmp_gt_u32_e32 vcc, s20, v24
	s_and_saveexec_b64 s[18:19], vcc
	s_cbranch_execnz .LBB115_391
.LBB115_364:                            ;   in Loop: Header=BB115_358 Depth=2
	s_or_b64 exec, exec, s[18:19]
	v_cmp_gt_u32_e32 vcc, s20, v25
	s_and_saveexec_b64 s[18:19], vcc
	s_cbranch_execz .LBB115_392
.LBB115_365:                            ;   in Loop: Header=BB115_358 Depth=2
	v_mov_b32_e32 v1, s24
	v_add_co_u32_e32 v0, vcc, s23, v2
	v_addc_co_u32_e32 v1, vcc, 0, v1, vcc
	global_load_ubyte v7, v[0:1], off offset:512
	s_or_b64 exec, exec, s[18:19]
	v_cmp_gt_u32_e32 vcc, s20, v26
	s_and_saveexec_b64 s[18:19], vcc
	s_cbranch_execnz .LBB115_393
.LBB115_366:                            ;   in Loop: Header=BB115_358 Depth=2
	s_or_b64 exec, exec, s[18:19]
	v_cmp_gt_u32_e32 vcc, s20, v30
	s_and_saveexec_b64 s[18:19], vcc
	s_cbranch_execz .LBB115_394
.LBB115_367:                            ;   in Loop: Header=BB115_358 Depth=2
	v_mov_b32_e32 v1, s24
	v_add_co_u32_e32 v0, vcc, s23, v2
	v_addc_co_u32_e32 v1, vcc, 0, v1, vcc
	global_load_ubyte v9, v[0:1], off offset:1024
	s_or_b64 exec, exec, s[18:19]
	v_cmp_gt_u32_e32 vcc, s20, v31
	s_and_saveexec_b64 s[18:19], vcc
	s_cbranch_execnz .LBB115_395
.LBB115_368:                            ;   in Loop: Header=BB115_358 Depth=2
	s_or_b64 exec, exec, s[18:19]
	v_cmp_gt_u32_e32 vcc, s20, v32
	s_and_saveexec_b64 s[18:19], vcc
	s_cbranch_execz .LBB115_370
.LBB115_369:                            ;   in Loop: Header=BB115_358 Depth=2
	v_mov_b32_e32 v1, s24
	v_add_co_u32_e32 v0, vcc, s23, v2
	v_addc_co_u32_e32 v1, vcc, 0, v1, vcc
	global_load_ubyte v11, v[0:1], off offset:1536
.LBB115_370:                            ;   in Loop: Header=BB115_358 Depth=2
	s_or_b64 exec, exec, s[18:19]
	v_cmp_gt_u32_e32 vcc, s20, v33
                                        ; implicit-def: $sgpr25
                                        ; implicit-def: $vgpr0_vgpr1
	s_and_saveexec_b64 s[18:19], vcc
	s_cbranch_execz .LBB115_372
; %bb.371:                              ;   in Loop: Header=BB115_358 Depth=2
	v_mov_b32_e32 v0, s24
	v_add_co_u32_e32 v1, vcc, s23, v2
	s_waitcnt vmcnt(0)
	v_addc_co_u32_e32 v12, vcc, 0, v0, vcc
	v_add_co_u32_e32 v0, vcc, 0x700, v1
	s_sub_i32 s25, s76, s22
	v_addc_co_u32_e32 v1, vcc, 0, v12, vcc
	s_or_b64 s[16:17], s[16:17], exec
                                        ; implicit-def: $vgpr12
.LBB115_372:                            ;   in Loop: Header=BB115_358 Depth=2
	s_or_b64 exec, exec, s[18:19]
	s_waitcnt vmcnt(0)
	v_mov_b32_e32 v14, v5
	v_mov_b32_e32 v15, v6
	;; [unrolled: 1-line block ×8, first 2 shown]
	s_and_saveexec_b64 s[18:19], s[16:17]
	s_cbranch_execz .LBB115_374
.LBB115_373:                            ;   in Loop: Header=BB115_358 Depth=2
	global_load_ubyte v12, v[0:1], off
	v_mov_b32_e32 v13, s25
	s_waitcnt vmcnt(1)
	v_mov_b32_e32 v5, v14
	v_mov_b32_e32 v6, v15
	;; [unrolled: 1-line block ×7, first 2 shown]
.LBB115_374:                            ;   in Loop: Header=BB115_358 Depth=2
	s_or_b64 exec, exec, s[18:19]
	v_cmp_lt_u32_e32 vcc, v2, v13
	s_and_saveexec_b64 s[16:17], vcc
	s_cbranch_execz .LBB115_382
; %bb.375:                              ;   in Loop: Header=BB115_358 Depth=2
	v_xor_b32_e32 v0, -1, v5
	v_lshrrev_b32_sdwa v0, s69, v0 dst_sel:DWORD dst_unused:UNUSED_PAD src0_sel:DWORD src1_sel:BYTE_0
	v_and_b32_e32 v0, s84, v0
	v_lshlrev_b32_e32 v1, 2, v27
	v_lshl_or_b32 v0, v0, 4, v1
	ds_add_u32 v0, v63
	s_or_b64 exec, exec, s[16:17]
	v_cmp_lt_u32_e32 vcc, v24, v13
	s_and_saveexec_b64 s[16:17], vcc
	s_cbranch_execnz .LBB115_383
.LBB115_376:                            ;   in Loop: Header=BB115_358 Depth=2
	s_or_b64 exec, exec, s[16:17]
	v_cmp_lt_u32_e32 vcc, v25, v13
	s_and_saveexec_b64 s[16:17], vcc
	s_cbranch_execz .LBB115_384
.LBB115_377:                            ;   in Loop: Header=BB115_358 Depth=2
	v_xor_b32_e32 v0, -1, v7
	v_lshrrev_b32_sdwa v0, s69, v0 dst_sel:DWORD dst_unused:UNUSED_PAD src0_sel:DWORD src1_sel:BYTE_0
	v_and_b32_e32 v0, s84, v0
	v_lshlrev_b32_e32 v1, 2, v27
	v_lshl_or_b32 v0, v0, 4, v1
	ds_add_u32 v0, v63
	s_or_b64 exec, exec, s[16:17]
	v_cmp_lt_u32_e32 vcc, v26, v13
	s_and_saveexec_b64 s[16:17], vcc
	s_cbranch_execnz .LBB115_385
.LBB115_378:                            ;   in Loop: Header=BB115_358 Depth=2
	s_or_b64 exec, exec, s[16:17]
	v_cmp_lt_u32_e32 vcc, v30, v13
	s_and_saveexec_b64 s[16:17], vcc
	s_cbranch_execz .LBB115_386
.LBB115_379:                            ;   in Loop: Header=BB115_358 Depth=2
	v_xor_b32_e32 v0, -1, v9
	v_lshrrev_b32_sdwa v0, s69, v0 dst_sel:DWORD dst_unused:UNUSED_PAD src0_sel:DWORD src1_sel:BYTE_0
	v_and_b32_e32 v0, s84, v0
	v_lshlrev_b32_e32 v1, 2, v27
	v_lshl_or_b32 v0, v0, 4, v1
	ds_add_u32 v0, v63
	s_or_b64 exec, exec, s[16:17]
	v_cmp_lt_u32_e32 vcc, v31, v13
	s_and_saveexec_b64 s[16:17], vcc
	s_cbranch_execnz .LBB115_387
.LBB115_380:                            ;   in Loop: Header=BB115_358 Depth=2
	s_or_b64 exec, exec, s[16:17]
	v_cmp_lt_u32_e32 vcc, v32, v13
	s_and_saveexec_b64 s[16:17], vcc
	s_cbranch_execz .LBB115_388
.LBB115_381:                            ;   in Loop: Header=BB115_358 Depth=2
	v_xor_b32_e32 v0, -1, v11
	v_lshrrev_b32_sdwa v0, s69, v0 dst_sel:DWORD dst_unused:UNUSED_PAD src0_sel:DWORD src1_sel:BYTE_0
	v_and_b32_e32 v0, s84, v0
	v_lshlrev_b32_e32 v1, 2, v27
	v_lshl_or_b32 v0, v0, 4, v1
	ds_add_u32 v0, v63
	s_or_b64 exec, exec, s[16:17]
	v_cmp_lt_u32_e32 vcc, v33, v13
	s_and_saveexec_b64 s[16:17], vcc
	s_cbranch_execz .LBB115_357
	s_branch .LBB115_389
.LBB115_382:                            ;   in Loop: Header=BB115_358 Depth=2
	s_or_b64 exec, exec, s[16:17]
	v_cmp_lt_u32_e32 vcc, v24, v13
	s_and_saveexec_b64 s[16:17], vcc
	s_cbranch_execz .LBB115_376
.LBB115_383:                            ;   in Loop: Header=BB115_358 Depth=2
	v_xor_b32_e32 v0, -1, v6
	v_lshrrev_b32_sdwa v0, s69, v0 dst_sel:DWORD dst_unused:UNUSED_PAD src0_sel:DWORD src1_sel:BYTE_0
	v_and_b32_e32 v0, s84, v0
	v_lshlrev_b32_e32 v1, 2, v27
	v_lshl_or_b32 v0, v0, 4, v1
	ds_add_u32 v0, v63
	s_or_b64 exec, exec, s[16:17]
	v_cmp_lt_u32_e32 vcc, v25, v13
	s_and_saveexec_b64 s[16:17], vcc
	s_cbranch_execnz .LBB115_377
.LBB115_384:                            ;   in Loop: Header=BB115_358 Depth=2
	s_or_b64 exec, exec, s[16:17]
	v_cmp_lt_u32_e32 vcc, v26, v13
	s_and_saveexec_b64 s[16:17], vcc
	s_cbranch_execz .LBB115_378
.LBB115_385:                            ;   in Loop: Header=BB115_358 Depth=2
	v_xor_b32_e32 v0, -1, v8
	v_lshrrev_b32_sdwa v0, s69, v0 dst_sel:DWORD dst_unused:UNUSED_PAD src0_sel:DWORD src1_sel:BYTE_0
	v_and_b32_e32 v0, s84, v0
	v_lshlrev_b32_e32 v1, 2, v27
	v_lshl_or_b32 v0, v0, 4, v1
	ds_add_u32 v0, v63
	s_or_b64 exec, exec, s[16:17]
	v_cmp_lt_u32_e32 vcc, v30, v13
	s_and_saveexec_b64 s[16:17], vcc
	s_cbranch_execnz .LBB115_379
.LBB115_386:                            ;   in Loop: Header=BB115_358 Depth=2
	s_or_b64 exec, exec, s[16:17]
	v_cmp_lt_u32_e32 vcc, v31, v13
	s_and_saveexec_b64 s[16:17], vcc
	s_cbranch_execz .LBB115_380
.LBB115_387:                            ;   in Loop: Header=BB115_358 Depth=2
	v_xor_b32_e32 v0, -1, v10
	v_lshrrev_b32_sdwa v0, s69, v0 dst_sel:DWORD dst_unused:UNUSED_PAD src0_sel:DWORD src1_sel:BYTE_0
	v_and_b32_e32 v0, s84, v0
	v_lshlrev_b32_e32 v1, 2, v27
	v_lshl_or_b32 v0, v0, 4, v1
	ds_add_u32 v0, v63
	s_or_b64 exec, exec, s[16:17]
	v_cmp_lt_u32_e32 vcc, v32, v13
	s_and_saveexec_b64 s[16:17], vcc
	s_cbranch_execnz .LBB115_381
.LBB115_388:                            ;   in Loop: Header=BB115_358 Depth=2
	s_or_b64 exec, exec, s[16:17]
	v_cmp_lt_u32_e32 vcc, v33, v13
	s_and_saveexec_b64 s[16:17], vcc
	s_cbranch_execz .LBB115_357
.LBB115_389:                            ;   in Loop: Header=BB115_358 Depth=2
	s_waitcnt vmcnt(0)
	v_xor_b32_e32 v0, -1, v12
	v_lshrrev_b32_sdwa v0, s69, v0 dst_sel:DWORD dst_unused:UNUSED_PAD src0_sel:DWORD src1_sel:BYTE_0
	v_and_b32_e32 v0, s84, v0
	v_lshlrev_b32_e32 v1, 2, v27
	v_lshl_or_b32 v0, v0, 4, v1
	ds_add_u32 v0, v63
	s_branch .LBB115_357
.LBB115_390:                            ;   in Loop: Header=BB115_358 Depth=2
	s_or_b64 exec, exec, s[18:19]
	v_cmp_gt_u32_e32 vcc, s20, v24
	s_and_saveexec_b64 s[18:19], vcc
	s_cbranch_execz .LBB115_364
.LBB115_391:                            ;   in Loop: Header=BB115_358 Depth=2
	v_mov_b32_e32 v1, s24
	v_add_co_u32_e32 v0, vcc, s23, v2
	v_addc_co_u32_e32 v1, vcc, 0, v1, vcc
	global_load_ubyte v6, v[0:1], off offset:256
	s_or_b64 exec, exec, s[18:19]
	v_cmp_gt_u32_e32 vcc, s20, v25
	s_and_saveexec_b64 s[18:19], vcc
	s_cbranch_execnz .LBB115_365
.LBB115_392:                            ;   in Loop: Header=BB115_358 Depth=2
	s_or_b64 exec, exec, s[18:19]
	v_cmp_gt_u32_e32 vcc, s20, v26
	s_and_saveexec_b64 s[18:19], vcc
	s_cbranch_execz .LBB115_366
.LBB115_393:                            ;   in Loop: Header=BB115_358 Depth=2
	v_mov_b32_e32 v1, s24
	v_add_co_u32_e32 v0, vcc, s23, v2
	v_addc_co_u32_e32 v1, vcc, 0, v1, vcc
	global_load_ubyte v8, v[0:1], off offset:768
	s_or_b64 exec, exec, s[18:19]
	v_cmp_gt_u32_e32 vcc, s20, v30
	s_and_saveexec_b64 s[18:19], vcc
	s_cbranch_execnz .LBB115_367
.LBB115_394:                            ;   in Loop: Header=BB115_358 Depth=2
	s_or_b64 exec, exec, s[18:19]
	v_cmp_gt_u32_e32 vcc, s20, v31
	s_and_saveexec_b64 s[18:19], vcc
	s_cbranch_execz .LBB115_368
.LBB115_395:                            ;   in Loop: Header=BB115_358 Depth=2
	v_mov_b32_e32 v1, s24
	v_add_co_u32_e32 v0, vcc, s23, v2
	v_addc_co_u32_e32 v1, vcc, 0, v1, vcc
	global_load_ubyte v10, v[0:1], off offset:1280
	s_or_b64 exec, exec, s[18:19]
	v_cmp_gt_u32_e32 vcc, s20, v32
	s_and_saveexec_b64 s[18:19], vcc
	s_cbranch_execz .LBB115_370
	s_branch .LBB115_369
.LBB115_396:                            ;   in Loop: Header=BB115_20 Depth=1
	v_mov_b32_e32 v0, 0
	s_waitcnt lgkmcnt(0)
	s_barrier
	s_and_saveexec_b64 s[16:17], s[4:5]
	s_cbranch_execz .LBB115_398
; %bb.397:                              ;   in Loop: Header=BB115_20 Depth=1
	ds_read2_b64 v[6:9], v34 offset1:1
	s_waitcnt lgkmcnt(0)
	v_add_u32_e32 v0, v7, v6
	v_add3_u32 v0, v0, v8, v9
.LBB115_398:                            ;   in Loop: Header=BB115_20 Depth=1
	s_or_b64 exec, exec, s[16:17]
	v_and_b32_e32 v1, 15, v64
	v_mov_b32_dpp v5, v0 row_shr:1 row_mask:0xf bank_mask:0xf
	v_cmp_eq_u32_e64 s[16:17], 0, v1
	v_cndmask_b32_e64 v5, v5, 0, s[16:17]
	v_add_u32_e32 v0, v5, v0
	v_cmp_lt_u32_e64 s[18:19], 1, v1
	v_cmp_lt_u32_e64 s[20:21], 3, v1
	v_mov_b32_dpp v5, v0 row_shr:2 row_mask:0xf bank_mask:0xf
	v_cndmask_b32_e64 v5, 0, v5, s[18:19]
	v_add_u32_e32 v0, v0, v5
	v_cmp_lt_u32_e64 s[22:23], 7, v1
	v_cmp_lt_u32_e64 s[26:27], 31, v64
	v_mov_b32_dpp v5, v0 row_shr:4 row_mask:0xf bank_mask:0xf
	v_cndmask_b32_e64 v5, 0, v5, s[20:21]
	v_add_u32_e32 v0, v0, v5
	v_and_b32_e32 v6, 16, v64
	v_cmp_eq_u32_e64 s[24:25], 0, v6
	v_mov_b32_dpp v5, v0 row_shr:8 row_mask:0xf bank_mask:0xf
	v_cndmask_b32_e64 v1, 0, v5, s[22:23]
	v_add_u32_e32 v0, v0, v1
	v_bfe_i32 v5, v64, 4, 1
	s_nop 0
	v_mov_b32_dpp v1, v0 row_bcast:15 row_mask:0xf bank_mask:0xf
	v_and_b32_e32 v1, v5, v1
	v_add_u32_e32 v0, v0, v1
	s_nop 1
	v_mov_b32_dpp v1, v0 row_bcast:31 row_mask:0xf bank_mask:0xf
	v_cndmask_b32_e64 v1, 0, v1, s[26:27]
	v_add_u32_e32 v1, v0, v1
	s_and_saveexec_b64 s[28:29], s[6:7]
	s_cbranch_execz .LBB115_400
; %bb.399:                              ;   in Loop: Header=BB115_20 Depth=1
	ds_write_b32 v36, v1
.LBB115_400:                            ;   in Loop: Header=BB115_20 Depth=1
	s_or_b64 exec, exec, s[28:29]
	v_and_b32_e32 v0, 3, v64
	s_waitcnt lgkmcnt(0)
	s_barrier
	s_and_saveexec_b64 s[28:29], s[8:9]
	s_cbranch_execz .LBB115_402
; %bb.401:                              ;   in Loop: Header=BB115_20 Depth=1
	ds_read_b32 v5, v37
	v_cmp_ne_u32_e32 vcc, 0, v0
	s_waitcnt lgkmcnt(0)
	v_mov_b32_dpp v6, v5 row_shr:1 row_mask:0xf bank_mask:0xf
	v_cndmask_b32_e32 v6, 0, v6, vcc
	v_add_u32_e32 v5, v6, v5
	v_cmp_lt_u32_e32 vcc, 1, v0
	s_nop 0
	v_mov_b32_dpp v6, v5 row_shr:2 row_mask:0xf bank_mask:0xf
	v_cndmask_b32_e32 v6, 0, v6, vcc
	v_add_u32_e32 v5, v5, v6
	ds_write_b32 v37, v5
.LBB115_402:                            ;   in Loop: Header=BB115_20 Depth=1
	s_or_b64 exec, exec, s[28:29]
	v_mov_b32_e32 v5, 0
	s_waitcnt lgkmcnt(0)
	s_barrier
	s_and_saveexec_b64 s[28:29], s[10:11]
	s_cbranch_execz .LBB115_404
; %bb.403:                              ;   in Loop: Header=BB115_20 Depth=1
	ds_read_b32 v5, v38
.LBB115_404:                            ;   in Loop: Header=BB115_20 Depth=1
	s_or_b64 exec, exec, s[28:29]
	v_add_u32_e32 v6, -1, v64
	v_and_b32_e32 v7, 64, v64
	v_cmp_lt_i32_e32 vcc, v6, v7
	v_cndmask_b32_e32 v6, v6, v64, vcc
	s_waitcnt lgkmcnt(0)
	v_add_u32_e32 v1, v5, v1
	v_lshlrev_b32_e32 v66, 2, v6
	ds_bpermute_b32 v1, v66, v1
	v_cmp_eq_u32_e64 s[28:29], 0, v64
	s_waitcnt lgkmcnt(0)
	s_barrier
	s_and_saveexec_b64 s[30:31], s[4:5]
	s_cbranch_execz .LBB115_406
; %bb.405:                              ;   in Loop: Header=BB115_20 Depth=1
	v_cndmask_b32_e64 v1, v1, v5, s[28:29]
	v_add_u32_e32 v1, s51, v1
	ds_write_b32 v3, v1
.LBB115_406:                            ;   in Loop: Header=BB115_20 Depth=1
	s_or_b64 exec, exec, s[30:31]
	s_load_dwordx2 s[30:31], s[74:75], 0x0
	v_and_b32_e32 v21, 63, v64
	v_add_co_u32_e32 v75, vcc, v61, v21
	v_lshlrev_b32_e32 v22, 3, v21
	s_waitcnt lgkmcnt(0)
	s_cmp_lt_u32 s50, s30
	s_cselect_b32 s34, 12, 18
	s_cmp_lt_u32 s33, s31
	s_cselect_b32 s30, 14, 20
	s_add_u32 s30, s74, s30
	s_addc_u32 s31, s75, 0
	s_add_u32 s34, s74, s34
	global_load_ushort v5, v4, s[30:31]
	s_addc_u32 s35, s75, 0
	global_load_ushort v20, v4, s[34:35]
	v_addc_co_u32_e32 v77, vcc, 0, v62, vcc
	v_add_co_u32_e32 v78, vcc, v59, v22
	v_addc_co_u32_e32 v79, vcc, 0, v60, vcc
	v_or_b32_e32 v73, v21, v39
	v_add_co_u32_e32 v87, vcc, 0x1c0, v75
	v_cmp_eq_u32_e64 s[30:31], 0, v0
	v_cmp_lt_u32_e64 s[34:35], 1, v0
	s_mov_b32 s85, s71
	v_or_b32_e32 v80, 64, v73
	v_or_b32_e32 v81, 0x80, v73
	;; [unrolled: 1-line block ×7, first 2 shown]
	v_addc_co_u32_e32 v88, vcc, 0, v77, vcc
	s_mov_b32 s72, s51
                                        ; implicit-def: $vgpr0_vgpr1
                                        ; implicit-def: $vgpr6_vgpr7
                                        ; implicit-def: $vgpr8_vgpr9
                                        ; implicit-def: $vgpr10_vgpr11
                                        ; implicit-def: $vgpr12_vgpr13
                                        ; implicit-def: $vgpr14_vgpr15
                                        ; implicit-def: $vgpr16_vgpr17
                                        ; implicit-def: $vgpr18_vgpr19
                                        ; implicit-def: $vgpr67
                                        ; implicit-def: $vgpr68
                                        ; implicit-def: $vgpr69
                                        ; implicit-def: $vgpr70
                                        ; implicit-def: $vgpr71
                                        ; implicit-def: $vgpr72
                                        ; implicit-def: $vgpr74
                                        ; implicit-def: $vgpr76
	s_waitcnt vmcnt(1)
	v_mad_u32_u24 v5, v40, v5, v41
	s_waitcnt vmcnt(0)
	v_mad_u64_u32 v[20:21], s[36:37], v5, v20, v[2:3]
	v_lshrrev_b32_e32 v89, 6, v20
	s_branch .LBB115_408
.LBB115_407:                            ;   in Loop: Header=BB115_408 Depth=2
	s_or_b64 exec, exec, s[36:37]
	s_addk_i32 s85, 0xf800
	s_cmp_lt_u32 s86, s76
	s_mov_b32 s72, s86
	s_cbranch_scc0 .LBB115_520
.LBB115_408:                            ;   Parent Loop BB115_20 Depth=1
                                        ; =>  This Inner Loop Header: Depth=2
	s_add_i32 s86, s72, 0x800
	s_cmp_gt_u32 s86, s76
	s_cbranch_scc1 .LBB115_410
; %bb.409:                              ;   in Loop: Header=BB115_408 Depth=2
	v_add_co_u32_e32 v20, vcc, s72, v75
	v_addc_co_u32_e32 v21, vcc, 0, v77, vcc
	global_load_ubyte v5, v[20:21], off offset:64
	global_load_ubyte v22, v[20:21], off offset:192
	;; [unrolled: 1-line block ×3, first 2 shown]
	global_load_ubyte v90, v[20:21], off
	global_load_ubyte v91, v[20:21], off offset:128
	global_load_ubyte v92, v[20:21], off offset:256
	s_nop 0
	global_load_ubyte v21, v[20:21], off offset:384
	s_mov_b64 s[36:37], -1
	s_movk_i32 s40, 0x800
	s_waitcnt vmcnt(6)
	v_lshlrev_b16_e32 v5, 8, v5
	s_waitcnt vmcnt(5)
	v_lshlrev_b16_e32 v20, 8, v22
	s_waitcnt vmcnt(4)
	v_lshlrev_b16_e32 v22, 8, v23
	s_waitcnt vmcnt(3)
	v_or_b32_e32 v5, v90, v5
	s_waitcnt vmcnt(2)
	v_or_b32_sdwa v20, v91, v20 dst_sel:WORD_1 dst_unused:UNUSED_PAD src0_sel:DWORD src1_sel:DWORD
	s_waitcnt vmcnt(1)
	v_or_b32_e32 v22, v92, v22
	v_or_b32_sdwa v20, v5, v20 dst_sel:DWORD dst_unused:UNUSED_PAD src0_sel:WORD_0 src1_sel:DWORD
	v_and_b32_e32 v5, 0xffff, v22
	s_waitcnt vmcnt(0)
	v_lshl_or_b32 v21, v21, 16, v5
	s_cbranch_execz .LBB115_411
	s_branch .LBB115_420
.LBB115_410:                            ;   in Loop: Header=BB115_408 Depth=2
	s_mov_b64 s[36:37], 0
                                        ; implicit-def: $sgpr40
                                        ; implicit-def: $vgpr20_vgpr21
.LBB115_411:                            ;   in Loop: Header=BB115_408 Depth=2
	v_add_co_u32_e32 v22, vcc, s72, v75
	v_addc_co_u32_e32 v23, vcc, 0, v77, vcc
	s_mov_b32 s36, s73
	s_mov_b32 s37, s73
	v_cmp_gt_u32_e32 vcc, s85, v73
	v_pk_mov_b32 v[20:21], s[36:37], s[36:37] op_sel:[0,1]
	s_and_saveexec_b64 s[36:37], vcc
	s_cbranch_execz .LBB115_514
; %bb.412:                              ;   in Loop: Header=BB115_408 Depth=2
	global_load_ubyte v5, v[22:23], off
	v_mov_b32_e32 v21, s73
	s_waitcnt vmcnt(0)
	v_and_b32_e32 v20, 0xffff, v5
	s_or_b64 exec, exec, s[36:37]
	v_cmp_gt_u32_e32 vcc, s85, v80
	s_and_saveexec_b64 s[36:37], vcc
	s_cbranch_execnz .LBB115_515
.LBB115_413:                            ;   in Loop: Header=BB115_408 Depth=2
	s_or_b64 exec, exec, s[36:37]
	v_cmp_gt_u32_e32 vcc, s85, v81
	s_and_saveexec_b64 s[36:37], vcc
	s_cbranch_execz .LBB115_516
.LBB115_414:                            ;   in Loop: Header=BB115_408 Depth=2
	global_load_ubyte v5, v[22:23], off offset:128
	v_and_b32_sdwa v90, v20, s79 dst_sel:DWORD dst_unused:UNUSED_PAD src0_sel:WORD_1 src1_sel:DWORD
	s_waitcnt vmcnt(0)
	v_or_b32_sdwa v5, v5, v90 dst_sel:WORD_1 dst_unused:UNUSED_PAD src0_sel:DWORD src1_sel:DWORD
	v_and_or_b32 v20, v20, s77, v5
	s_or_b64 exec, exec, s[36:37]
	v_cmp_gt_u32_e32 vcc, s85, v82
	s_and_saveexec_b64 s[36:37], vcc
	s_cbranch_execnz .LBB115_517
.LBB115_415:                            ;   in Loop: Header=BB115_408 Depth=2
	s_or_b64 exec, exec, s[36:37]
	v_cmp_gt_u32_e32 vcc, s85, v83
	s_and_saveexec_b64 s[36:37], vcc
	s_cbranch_execz .LBB115_518
.LBB115_416:                            ;   in Loop: Header=BB115_408 Depth=2
	global_load_ubyte v5, v[22:23], off offset:256
	s_waitcnt vmcnt(0)
	v_perm_b32 v21, v5, v21, s80
	s_or_b64 exec, exec, s[36:37]
	v_cmp_gt_u32_e32 vcc, s85, v84
	s_and_saveexec_b64 s[36:37], vcc
	s_cbranch_execnz .LBB115_519
.LBB115_417:                            ;   in Loop: Header=BB115_408 Depth=2
	s_or_b64 exec, exec, s[36:37]
	v_cmp_gt_u32_e32 vcc, s85, v85
	s_and_saveexec_b64 s[36:37], vcc
	s_cbranch_execz .LBB115_419
.LBB115_418:                            ;   in Loop: Header=BB115_408 Depth=2
	global_load_ubyte v5, v[22:23], off offset:384
	s_waitcnt vmcnt(0)
	v_perm_b32 v21, v21, v5, s81
.LBB115_419:                            ;   in Loop: Header=BB115_408 Depth=2
	s_or_b64 exec, exec, s[36:37]
	s_sub_i32 s40, s76, s72
	v_cmp_gt_u32_e64 s[36:37], s85, v86
.LBB115_420:                            ;   in Loop: Header=BB115_408 Depth=2
	v_mov_b32_e32 v90, s85
	s_and_saveexec_b64 s[38:39], s[36:37]
	s_cbranch_execz .LBB115_422
; %bb.421:                              ;   in Loop: Header=BB115_408 Depth=2
	v_mov_b32_e32 v5, s73
	v_add_co_u32_e32 v22, vcc, s72, v87
	v_addc_co_u32_e32 v23, vcc, v88, v5, vcc
	global_load_ubyte v5, v[22:23], off
	v_mov_b32_e32 v90, s40
	s_waitcnt vmcnt(0)
	v_perm_b32 v21, v21, v5, s82
.LBB115_422:                            ;   in Loop: Header=BB115_408 Depth=2
	s_or_b64 exec, exec, s[38:39]
	v_xor_b32_e32 v91, -1, v20
	v_add_u32_e32 v5, 0x410, v42
	ds_write2_b32 v5, v4, v4 offset1:1
	ds_write2_b32 v44, v4, v4 offset0:2 offset1:3
	ds_write_b32 v44, v4 offset:16
	v_lshrrev_b32_sdwa v5, s69, v91 dst_sel:DWORD dst_unused:UNUSED_PAD src0_sel:DWORD src1_sel:BYTE_0
	v_and_b32_e32 v22, s84, v5
	v_mad_u32_u24 v5, v22, 5, v89
	v_lshl_add_u32 v92, v5, 2, v43
	v_and_b32_e32 v5, 1, v22
	v_add_co_u32_e32 v23, vcc, -1, v5
	v_addc_co_u32_e64 v93, s[36:37], 0, -1, vcc
	v_cmp_ne_u32_e32 vcc, 0, v5
	v_xor_b32_e32 v5, vcc_hi, v93
	v_and_b32_e32 v93, exec_hi, v5
	v_lshlrev_b32_e32 v5, 30, v22
	v_xor_b32_e32 v23, vcc_lo, v23
	v_cmp_gt_i64_e32 vcc, 0, v[4:5]
	v_not_b32_e32 v5, v5
	v_ashrrev_i32_e32 v5, 31, v5
	v_and_b32_e32 v23, exec_lo, v23
	v_xor_b32_e32 v94, vcc_hi, v5
	v_xor_b32_e32 v5, vcc_lo, v5
	v_and_b32_e32 v23, v23, v5
	v_lshlrev_b32_e32 v5, 29, v22
	v_cmp_gt_i64_e32 vcc, 0, v[4:5]
	v_not_b32_e32 v5, v5
	v_ashrrev_i32_e32 v5, 31, v5
	v_and_b32_e32 v93, v93, v94
	v_xor_b32_e32 v94, vcc_hi, v5
	v_xor_b32_e32 v5, vcc_lo, v5
	v_and_b32_e32 v23, v23, v5
	v_lshlrev_b32_e32 v5, 28, v22
	v_cmp_gt_i64_e32 vcc, 0, v[4:5]
	v_not_b32_e32 v5, v5
	v_ashrrev_i32_e32 v5, 31, v5
	v_and_b32_e32 v93, v93, v94
	;; [unrolled: 8-line block ×5, first 2 shown]
	v_xor_b32_e32 v94, vcc_hi, v5
	v_xor_b32_e32 v5, vcc_lo, v5
	v_and_b32_e32 v93, v93, v94
	v_and_b32_e32 v94, v23, v5
	v_lshlrev_b32_e32 v5, 24, v22
	v_cmp_gt_i64_e32 vcc, 0, v[4:5]
	v_not_b32_e32 v5, v5
	v_ashrrev_i32_e32 v5, 31, v5
	v_xor_b32_e32 v22, vcc_hi, v5
	v_xor_b32_e32 v5, vcc_lo, v5
	v_and_b32_e32 v23, v93, v22
	v_and_b32_e32 v22, v94, v5
	v_mbcnt_lo_u32_b32 v5, v22, 0
	v_mbcnt_hi_u32_b32 v93, v23, v5
	v_cmp_eq_u32_e32 vcc, 0, v93
	v_cmp_ne_u64_e64 s[36:37], 0, v[22:23]
	s_and_b64 s[38:39], s[36:37], vcc
	s_waitcnt lgkmcnt(0)
	s_barrier
	s_waitcnt lgkmcnt(0)
	; wave barrier
	s_and_saveexec_b64 s[36:37], s[38:39]
	s_cbranch_execz .LBB115_424
; %bb.423:                              ;   in Loop: Header=BB115_408 Depth=2
	v_bcnt_u32_b32 v5, v22, 0
	v_bcnt_u32_b32 v5, v23, v5
	ds_write_b32 v92, v5
.LBB115_424:                            ;   in Loop: Header=BB115_408 Depth=2
	s_or_b64 exec, exec, s[36:37]
	v_lshrrev_b32_e32 v5, 8, v20
	v_xor_b32_e32 v94, -1, v5
	v_lshrrev_b32_sdwa v5, s69, v94 dst_sel:DWORD dst_unused:UNUSED_PAD src0_sel:DWORD src1_sel:BYTE_0
	v_and_b32_e32 v22, s84, v5
	v_mul_u32_u24_e32 v5, 5, v22
	v_add_lshl_u32 v5, v5, v89, 2
	; wave barrier
	v_add_u32_e32 v96, 0x410, v5
	ds_read_b32 v95, v5 offset:1040
	v_and_b32_e32 v5, 1, v22
	v_add_co_u32_e32 v23, vcc, -1, v5
	v_addc_co_u32_e64 v97, s[36:37], 0, -1, vcc
	v_cmp_ne_u32_e32 vcc, 0, v5
	v_xor_b32_e32 v5, vcc_hi, v97
	v_and_b32_e32 v97, exec_hi, v5
	v_lshlrev_b32_e32 v5, 30, v22
	v_xor_b32_e32 v23, vcc_lo, v23
	v_cmp_gt_i64_e32 vcc, 0, v[4:5]
	v_not_b32_e32 v5, v5
	v_ashrrev_i32_e32 v5, 31, v5
	v_and_b32_e32 v23, exec_lo, v23
	v_xor_b32_e32 v98, vcc_hi, v5
	v_xor_b32_e32 v5, vcc_lo, v5
	v_and_b32_e32 v23, v23, v5
	v_lshlrev_b32_e32 v5, 29, v22
	v_cmp_gt_i64_e32 vcc, 0, v[4:5]
	v_not_b32_e32 v5, v5
	v_ashrrev_i32_e32 v5, 31, v5
	v_and_b32_e32 v97, v97, v98
	v_xor_b32_e32 v98, vcc_hi, v5
	v_xor_b32_e32 v5, vcc_lo, v5
	v_and_b32_e32 v23, v23, v5
	v_lshlrev_b32_e32 v5, 28, v22
	v_cmp_gt_i64_e32 vcc, 0, v[4:5]
	v_not_b32_e32 v5, v5
	v_ashrrev_i32_e32 v5, 31, v5
	v_and_b32_e32 v97, v97, v98
	;; [unrolled: 8-line block ×5, first 2 shown]
	v_xor_b32_e32 v98, vcc_hi, v5
	v_xor_b32_e32 v5, vcc_lo, v5
	v_and_b32_e32 v97, v97, v98
	v_and_b32_e32 v98, v23, v5
	v_lshlrev_b32_e32 v5, 24, v22
	v_cmp_gt_i64_e32 vcc, 0, v[4:5]
	v_not_b32_e32 v5, v5
	v_ashrrev_i32_e32 v5, 31, v5
	v_xor_b32_e32 v22, vcc_hi, v5
	v_xor_b32_e32 v5, vcc_lo, v5
	v_and_b32_e32 v23, v97, v22
	v_and_b32_e32 v22, v98, v5
	v_mbcnt_lo_u32_b32 v5, v22, 0
	v_mbcnt_hi_u32_b32 v97, v23, v5
	v_cmp_eq_u32_e32 vcc, 0, v97
	v_cmp_ne_u64_e64 s[36:37], 0, v[22:23]
	s_and_b64 s[38:39], s[36:37], vcc
	; wave barrier
	s_and_saveexec_b64 s[36:37], s[38:39]
	s_cbranch_execz .LBB115_426
; %bb.425:                              ;   in Loop: Header=BB115_408 Depth=2
	v_bcnt_u32_b32 v5, v22, 0
	v_bcnt_u32_b32 v5, v23, v5
	s_waitcnt lgkmcnt(0)
	v_add_u32_e32 v5, v95, v5
	ds_write_b32 v96, v5
.LBB115_426:                            ;   in Loop: Header=BB115_408 Depth=2
	s_or_b64 exec, exec, s[36:37]
	v_xor_b32_sdwa v98, v20, v65 dst_sel:DWORD dst_unused:UNUSED_PAD src0_sel:WORD_1 src1_sel:DWORD
	v_lshrrev_b32_sdwa v5, s69, v98 dst_sel:DWORD dst_unused:UNUSED_PAD src0_sel:DWORD src1_sel:BYTE_0
	v_and_b32_e32 v22, s84, v5
	v_mul_u32_u24_e32 v5, 5, v22
	v_add_lshl_u32 v5, v5, v89, 2
	; wave barrier
	v_add_u32_e32 v100, 0x410, v5
	ds_read_b32 v99, v5 offset:1040
	v_and_b32_e32 v5, 1, v22
	v_add_co_u32_e32 v23, vcc, -1, v5
	v_addc_co_u32_e64 v101, s[36:37], 0, -1, vcc
	v_cmp_ne_u32_e32 vcc, 0, v5
	v_xor_b32_e32 v5, vcc_hi, v101
	v_and_b32_e32 v101, exec_hi, v5
	v_lshlrev_b32_e32 v5, 30, v22
	v_xor_b32_e32 v23, vcc_lo, v23
	v_cmp_gt_i64_e32 vcc, 0, v[4:5]
	v_not_b32_e32 v5, v5
	v_ashrrev_i32_e32 v5, 31, v5
	v_and_b32_e32 v23, exec_lo, v23
	v_xor_b32_e32 v102, vcc_hi, v5
	v_xor_b32_e32 v5, vcc_lo, v5
	v_and_b32_e32 v23, v23, v5
	v_lshlrev_b32_e32 v5, 29, v22
	v_cmp_gt_i64_e32 vcc, 0, v[4:5]
	v_not_b32_e32 v5, v5
	v_ashrrev_i32_e32 v5, 31, v5
	v_and_b32_e32 v101, v101, v102
	v_xor_b32_e32 v102, vcc_hi, v5
	v_xor_b32_e32 v5, vcc_lo, v5
	v_and_b32_e32 v23, v23, v5
	v_lshlrev_b32_e32 v5, 28, v22
	v_cmp_gt_i64_e32 vcc, 0, v[4:5]
	v_not_b32_e32 v5, v5
	v_ashrrev_i32_e32 v5, 31, v5
	v_and_b32_e32 v101, v101, v102
	;; [unrolled: 8-line block ×5, first 2 shown]
	v_xor_b32_e32 v102, vcc_hi, v5
	v_xor_b32_e32 v5, vcc_lo, v5
	v_and_b32_e32 v101, v101, v102
	v_and_b32_e32 v102, v23, v5
	v_lshlrev_b32_e32 v5, 24, v22
	v_cmp_gt_i64_e32 vcc, 0, v[4:5]
	v_not_b32_e32 v5, v5
	v_ashrrev_i32_e32 v5, 31, v5
	v_xor_b32_e32 v22, vcc_hi, v5
	v_xor_b32_e32 v5, vcc_lo, v5
	v_and_b32_e32 v23, v101, v22
	v_and_b32_e32 v22, v102, v5
	v_mbcnt_lo_u32_b32 v5, v22, 0
	v_mbcnt_hi_u32_b32 v101, v23, v5
	v_cmp_eq_u32_e32 vcc, 0, v101
	v_cmp_ne_u64_e64 s[36:37], 0, v[22:23]
	s_and_b64 s[38:39], s[36:37], vcc
	; wave barrier
	s_and_saveexec_b64 s[36:37], s[38:39]
	s_cbranch_execz .LBB115_428
; %bb.427:                              ;   in Loop: Header=BB115_408 Depth=2
	v_bcnt_u32_b32 v5, v22, 0
	v_bcnt_u32_b32 v5, v23, v5
	s_waitcnt lgkmcnt(0)
	v_add_u32_e32 v5, v99, v5
	ds_write_b32 v100, v5
.LBB115_428:                            ;   in Loop: Header=BB115_408 Depth=2
	s_or_b64 exec, exec, s[36:37]
	v_lshrrev_b64 v[22:23], 24, v[20:21]
	v_xor_b32_e32 v102, -1, v22
	v_lshrrev_b32_sdwa v5, s69, v102 dst_sel:DWORD dst_unused:UNUSED_PAD src0_sel:DWORD src1_sel:BYTE_0
	v_and_b32_e32 v20, s84, v5
	v_mul_u32_u24_e32 v5, 5, v20
	v_add_lshl_u32 v5, v5, v89, 2
	; wave barrier
	v_add_u32_e32 v104, 0x410, v5
	ds_read_b32 v103, v5 offset:1040
	v_and_b32_e32 v5, 1, v20
	v_add_co_u32_e32 v22, vcc, -1, v5
	v_addc_co_u32_e64 v23, s[36:37], 0, -1, vcc
	v_cmp_ne_u32_e32 vcc, 0, v5
	v_xor_b32_e32 v5, vcc_hi, v23
	v_and_b32_e32 v23, exec_hi, v5
	v_lshlrev_b32_e32 v5, 30, v20
	v_xor_b32_e32 v22, vcc_lo, v22
	v_cmp_gt_i64_e32 vcc, 0, v[4:5]
	v_not_b32_e32 v5, v5
	v_ashrrev_i32_e32 v5, 31, v5
	v_and_b32_e32 v22, exec_lo, v22
	v_xor_b32_e32 v105, vcc_hi, v5
	v_xor_b32_e32 v5, vcc_lo, v5
	v_and_b32_e32 v22, v22, v5
	v_lshlrev_b32_e32 v5, 29, v20
	v_cmp_gt_i64_e32 vcc, 0, v[4:5]
	v_not_b32_e32 v5, v5
	v_ashrrev_i32_e32 v5, 31, v5
	v_and_b32_e32 v23, v23, v105
	v_xor_b32_e32 v105, vcc_hi, v5
	v_xor_b32_e32 v5, vcc_lo, v5
	v_and_b32_e32 v22, v22, v5
	v_lshlrev_b32_e32 v5, 28, v20
	v_cmp_gt_i64_e32 vcc, 0, v[4:5]
	v_not_b32_e32 v5, v5
	v_ashrrev_i32_e32 v5, 31, v5
	v_and_b32_e32 v23, v23, v105
	;; [unrolled: 8-line block ×5, first 2 shown]
	v_xor_b32_e32 v105, vcc_hi, v5
	v_xor_b32_e32 v5, vcc_lo, v5
	v_and_b32_e32 v22, v22, v5
	v_lshlrev_b32_e32 v5, 24, v20
	v_cmp_gt_i64_e32 vcc, 0, v[4:5]
	v_not_b32_e32 v5, v5
	v_ashrrev_i32_e32 v5, 31, v5
	v_xor_b32_e32 v20, vcc_hi, v5
	v_xor_b32_e32 v5, vcc_lo, v5
	v_and_b32_e32 v23, v23, v105
	v_and_b32_e32 v22, v22, v5
	;; [unrolled: 1-line block ×3, first 2 shown]
	v_mbcnt_lo_u32_b32 v5, v22, 0
	v_mbcnt_hi_u32_b32 v105, v23, v5
	v_cmp_eq_u32_e32 vcc, 0, v105
	v_cmp_ne_u64_e64 s[36:37], 0, v[22:23]
	s_and_b64 s[38:39], s[36:37], vcc
	; wave barrier
	s_and_saveexec_b64 s[36:37], s[38:39]
	s_cbranch_execz .LBB115_430
; %bb.429:                              ;   in Loop: Header=BB115_408 Depth=2
	v_bcnt_u32_b32 v5, v22, 0
	v_bcnt_u32_b32 v5, v23, v5
	s_waitcnt lgkmcnt(0)
	v_add_u32_e32 v5, v103, v5
	ds_write_b32 v104, v5
.LBB115_430:                            ;   in Loop: Header=BB115_408 Depth=2
	s_or_b64 exec, exec, s[36:37]
	v_xor_b32_e32 v106, -1, v21
	v_lshrrev_b32_sdwa v5, s69, v106 dst_sel:DWORD dst_unused:UNUSED_PAD src0_sel:DWORD src1_sel:BYTE_0
	v_and_b32_e32 v20, s84, v5
	v_mul_u32_u24_e32 v5, 5, v20
	v_add_lshl_u32 v5, v5, v89, 2
	; wave barrier
	v_add_u32_e32 v108, 0x410, v5
	ds_read_b32 v107, v5 offset:1040
	v_and_b32_e32 v5, 1, v20
	v_add_co_u32_e32 v22, vcc, -1, v5
	v_addc_co_u32_e64 v23, s[36:37], 0, -1, vcc
	v_cmp_ne_u32_e32 vcc, 0, v5
	v_xor_b32_e32 v5, vcc_hi, v23
	v_and_b32_e32 v23, exec_hi, v5
	v_lshlrev_b32_e32 v5, 30, v20
	v_xor_b32_e32 v22, vcc_lo, v22
	v_cmp_gt_i64_e32 vcc, 0, v[4:5]
	v_not_b32_e32 v5, v5
	v_ashrrev_i32_e32 v5, 31, v5
	v_and_b32_e32 v22, exec_lo, v22
	v_xor_b32_e32 v109, vcc_hi, v5
	v_xor_b32_e32 v5, vcc_lo, v5
	v_and_b32_e32 v22, v22, v5
	v_lshlrev_b32_e32 v5, 29, v20
	v_cmp_gt_i64_e32 vcc, 0, v[4:5]
	v_not_b32_e32 v5, v5
	v_ashrrev_i32_e32 v5, 31, v5
	v_and_b32_e32 v23, v23, v109
	v_xor_b32_e32 v109, vcc_hi, v5
	v_xor_b32_e32 v5, vcc_lo, v5
	v_and_b32_e32 v22, v22, v5
	v_lshlrev_b32_e32 v5, 28, v20
	v_cmp_gt_i64_e32 vcc, 0, v[4:5]
	v_not_b32_e32 v5, v5
	v_ashrrev_i32_e32 v5, 31, v5
	v_and_b32_e32 v23, v23, v109
	;; [unrolled: 8-line block ×5, first 2 shown]
	v_xor_b32_e32 v109, vcc_hi, v5
	v_xor_b32_e32 v5, vcc_lo, v5
	v_and_b32_e32 v22, v22, v5
	v_lshlrev_b32_e32 v5, 24, v20
	v_cmp_gt_i64_e32 vcc, 0, v[4:5]
	v_not_b32_e32 v5, v5
	v_ashrrev_i32_e32 v5, 31, v5
	v_xor_b32_e32 v20, vcc_hi, v5
	v_xor_b32_e32 v5, vcc_lo, v5
	v_and_b32_e32 v23, v23, v109
	v_and_b32_e32 v22, v22, v5
	;; [unrolled: 1-line block ×3, first 2 shown]
	v_mbcnt_lo_u32_b32 v5, v22, 0
	v_mbcnt_hi_u32_b32 v109, v23, v5
	v_cmp_eq_u32_e32 vcc, 0, v109
	v_cmp_ne_u64_e64 s[36:37], 0, v[22:23]
	s_and_b64 s[38:39], s[36:37], vcc
	; wave barrier
	s_and_saveexec_b64 s[36:37], s[38:39]
	s_cbranch_execz .LBB115_432
; %bb.431:                              ;   in Loop: Header=BB115_408 Depth=2
	v_bcnt_u32_b32 v5, v22, 0
	v_bcnt_u32_b32 v5, v23, v5
	s_waitcnt lgkmcnt(0)
	v_add_u32_e32 v5, v107, v5
	ds_write_b32 v108, v5
.LBB115_432:                            ;   in Loop: Header=BB115_408 Depth=2
	s_or_b64 exec, exec, s[36:37]
	v_lshrrev_b32_e32 v5, 8, v21
	v_xor_b32_e32 v110, -1, v5
	v_lshrrev_b32_sdwa v5, s69, v110 dst_sel:DWORD dst_unused:UNUSED_PAD src0_sel:DWORD src1_sel:BYTE_0
	v_and_b32_e32 v20, s84, v5
	v_mul_u32_u24_e32 v5, 5, v20
	v_add_lshl_u32 v5, v5, v89, 2
	; wave barrier
	v_add_u32_e32 v112, 0x410, v5
	ds_read_b32 v111, v5 offset:1040
	v_and_b32_e32 v5, 1, v20
	v_add_co_u32_e32 v22, vcc, -1, v5
	v_addc_co_u32_e64 v23, s[36:37], 0, -1, vcc
	v_cmp_ne_u32_e32 vcc, 0, v5
	v_xor_b32_e32 v5, vcc_hi, v23
	v_and_b32_e32 v23, exec_hi, v5
	v_lshlrev_b32_e32 v5, 30, v20
	v_xor_b32_e32 v22, vcc_lo, v22
	v_cmp_gt_i64_e32 vcc, 0, v[4:5]
	v_not_b32_e32 v5, v5
	v_ashrrev_i32_e32 v5, 31, v5
	v_and_b32_e32 v22, exec_lo, v22
	v_xor_b32_e32 v113, vcc_hi, v5
	v_xor_b32_e32 v5, vcc_lo, v5
	v_and_b32_e32 v22, v22, v5
	v_lshlrev_b32_e32 v5, 29, v20
	v_cmp_gt_i64_e32 vcc, 0, v[4:5]
	v_not_b32_e32 v5, v5
	v_ashrrev_i32_e32 v5, 31, v5
	v_and_b32_e32 v23, v23, v113
	v_xor_b32_e32 v113, vcc_hi, v5
	v_xor_b32_e32 v5, vcc_lo, v5
	v_and_b32_e32 v22, v22, v5
	v_lshlrev_b32_e32 v5, 28, v20
	v_cmp_gt_i64_e32 vcc, 0, v[4:5]
	v_not_b32_e32 v5, v5
	v_ashrrev_i32_e32 v5, 31, v5
	v_and_b32_e32 v23, v23, v113
	v_xor_b32_e32 v113, vcc_hi, v5
	v_xor_b32_e32 v5, vcc_lo, v5
	v_and_b32_e32 v22, v22, v5
	v_lshlrev_b32_e32 v5, 27, v20
	v_cmp_gt_i64_e32 vcc, 0, v[4:5]
	v_not_b32_e32 v5, v5
	v_ashrrev_i32_e32 v5, 31, v5
	v_and_b32_e32 v23, v23, v113
	v_xor_b32_e32 v113, vcc_hi, v5
	v_xor_b32_e32 v5, vcc_lo, v5
	v_and_b32_e32 v22, v22, v5
	v_lshlrev_b32_e32 v5, 26, v20
	v_cmp_gt_i64_e32 vcc, 0, v[4:5]
	v_not_b32_e32 v5, v5
	v_ashrrev_i32_e32 v5, 31, v5
	v_and_b32_e32 v23, v23, v113
	v_xor_b32_e32 v113, vcc_hi, v5
	v_xor_b32_e32 v5, vcc_lo, v5
	v_and_b32_e32 v22, v22, v5
	v_lshlrev_b32_e32 v5, 25, v20
	v_cmp_gt_i64_e32 vcc, 0, v[4:5]
	v_not_b32_e32 v5, v5
	v_ashrrev_i32_e32 v5, 31, v5
	v_and_b32_e32 v23, v23, v113
	v_xor_b32_e32 v113, vcc_hi, v5
	v_xor_b32_e32 v5, vcc_lo, v5
	v_and_b32_e32 v22, v22, v5
	v_lshlrev_b32_e32 v5, 24, v20
	v_cmp_gt_i64_e32 vcc, 0, v[4:5]
	v_not_b32_e32 v5, v5
	v_ashrrev_i32_e32 v5, 31, v5
	v_xor_b32_e32 v20, vcc_hi, v5
	v_xor_b32_e32 v5, vcc_lo, v5
	v_and_b32_e32 v23, v23, v113
	v_and_b32_e32 v22, v22, v5
	;; [unrolled: 1-line block ×3, first 2 shown]
	v_mbcnt_lo_u32_b32 v5, v22, 0
	v_mbcnt_hi_u32_b32 v113, v23, v5
	v_cmp_eq_u32_e32 vcc, 0, v113
	v_cmp_ne_u64_e64 s[36:37], 0, v[22:23]
	s_and_b64 s[38:39], s[36:37], vcc
	; wave barrier
	s_and_saveexec_b64 s[36:37], s[38:39]
	s_cbranch_execz .LBB115_434
; %bb.433:                              ;   in Loop: Header=BB115_408 Depth=2
	v_bcnt_u32_b32 v5, v22, 0
	v_bcnt_u32_b32 v5, v23, v5
	s_waitcnt lgkmcnt(0)
	v_add_u32_e32 v5, v111, v5
	ds_write_b32 v112, v5
.LBB115_434:                            ;   in Loop: Header=BB115_408 Depth=2
	s_or_b64 exec, exec, s[36:37]
	v_xor_b32_sdwa v114, v21, v65 dst_sel:DWORD dst_unused:UNUSED_PAD src0_sel:WORD_1 src1_sel:DWORD
	v_lshrrev_b32_sdwa v5, s69, v114 dst_sel:DWORD dst_unused:UNUSED_PAD src0_sel:DWORD src1_sel:BYTE_0
	v_and_b32_e32 v20, s84, v5
	v_mul_u32_u24_e32 v5, 5, v20
	v_add_lshl_u32 v5, v5, v89, 2
	; wave barrier
	v_add_u32_e32 v116, 0x410, v5
	ds_read_b32 v115, v5 offset:1040
	v_and_b32_e32 v5, 1, v20
	v_add_co_u32_e32 v22, vcc, -1, v5
	v_addc_co_u32_e64 v23, s[36:37], 0, -1, vcc
	v_cmp_ne_u32_e32 vcc, 0, v5
	v_xor_b32_e32 v5, vcc_hi, v23
	v_and_b32_e32 v23, exec_hi, v5
	v_lshlrev_b32_e32 v5, 30, v20
	v_xor_b32_e32 v22, vcc_lo, v22
	v_cmp_gt_i64_e32 vcc, 0, v[4:5]
	v_not_b32_e32 v5, v5
	v_ashrrev_i32_e32 v5, 31, v5
	v_and_b32_e32 v22, exec_lo, v22
	v_xor_b32_e32 v117, vcc_hi, v5
	v_xor_b32_e32 v5, vcc_lo, v5
	v_and_b32_e32 v22, v22, v5
	v_lshlrev_b32_e32 v5, 29, v20
	v_cmp_gt_i64_e32 vcc, 0, v[4:5]
	v_not_b32_e32 v5, v5
	v_ashrrev_i32_e32 v5, 31, v5
	v_and_b32_e32 v23, v23, v117
	v_xor_b32_e32 v117, vcc_hi, v5
	v_xor_b32_e32 v5, vcc_lo, v5
	v_and_b32_e32 v22, v22, v5
	v_lshlrev_b32_e32 v5, 28, v20
	v_cmp_gt_i64_e32 vcc, 0, v[4:5]
	v_not_b32_e32 v5, v5
	v_ashrrev_i32_e32 v5, 31, v5
	v_and_b32_e32 v23, v23, v117
	;; [unrolled: 8-line block ×5, first 2 shown]
	v_xor_b32_e32 v117, vcc_hi, v5
	v_xor_b32_e32 v5, vcc_lo, v5
	v_and_b32_e32 v22, v22, v5
	v_lshlrev_b32_e32 v5, 24, v20
	v_cmp_gt_i64_e32 vcc, 0, v[4:5]
	v_not_b32_e32 v5, v5
	v_ashrrev_i32_e32 v5, 31, v5
	v_xor_b32_e32 v20, vcc_hi, v5
	v_xor_b32_e32 v5, vcc_lo, v5
	v_and_b32_e32 v23, v23, v117
	v_and_b32_e32 v22, v22, v5
	;; [unrolled: 1-line block ×3, first 2 shown]
	v_mbcnt_lo_u32_b32 v5, v22, 0
	v_mbcnt_hi_u32_b32 v117, v23, v5
	v_cmp_eq_u32_e32 vcc, 0, v117
	v_cmp_ne_u64_e64 s[36:37], 0, v[22:23]
	s_and_b64 s[38:39], s[36:37], vcc
	; wave barrier
	s_and_saveexec_b64 s[36:37], s[38:39]
	s_cbranch_execz .LBB115_436
; %bb.435:                              ;   in Loop: Header=BB115_408 Depth=2
	v_bcnt_u32_b32 v5, v22, 0
	v_bcnt_u32_b32 v5, v23, v5
	s_waitcnt lgkmcnt(0)
	v_add_u32_e32 v5, v115, v5
	ds_write_b32 v116, v5
.LBB115_436:                            ;   in Loop: Header=BB115_408 Depth=2
	s_or_b64 exec, exec, s[36:37]
	v_xor_b32_sdwa v118, v21, v65 dst_sel:DWORD dst_unused:UNUSED_PAD src0_sel:BYTE_3 src1_sel:DWORD
	v_lshrrev_b32_sdwa v5, s69, v118 dst_sel:DWORD dst_unused:UNUSED_PAD src0_sel:DWORD src1_sel:BYTE_0
	v_and_b32_e32 v20, s84, v5
	v_mul_u32_u24_e32 v5, 5, v20
	v_add_lshl_u32 v5, v5, v89, 2
	; wave barrier
	v_add_u32_e32 v120, 0x410, v5
	ds_read_b32 v119, v5 offset:1040
	v_and_b32_e32 v5, 1, v20
	v_add_co_u32_e32 v21, vcc, -1, v5
	v_addc_co_u32_e64 v22, s[36:37], 0, -1, vcc
	v_cmp_ne_u32_e32 vcc, 0, v5
	v_xor_b32_e32 v5, vcc_hi, v22
	v_and_b32_e32 v22, exec_hi, v5
	v_lshlrev_b32_e32 v5, 30, v20
	v_xor_b32_e32 v21, vcc_lo, v21
	v_cmp_gt_i64_e32 vcc, 0, v[4:5]
	v_not_b32_e32 v5, v5
	v_ashrrev_i32_e32 v5, 31, v5
	v_and_b32_e32 v21, exec_lo, v21
	v_xor_b32_e32 v23, vcc_hi, v5
	v_xor_b32_e32 v5, vcc_lo, v5
	v_and_b32_e32 v21, v21, v5
	v_lshlrev_b32_e32 v5, 29, v20
	v_cmp_gt_i64_e32 vcc, 0, v[4:5]
	v_not_b32_e32 v5, v5
	v_ashrrev_i32_e32 v5, 31, v5
	v_and_b32_e32 v22, v22, v23
	v_xor_b32_e32 v23, vcc_hi, v5
	v_xor_b32_e32 v5, vcc_lo, v5
	v_and_b32_e32 v21, v21, v5
	v_lshlrev_b32_e32 v5, 28, v20
	v_cmp_gt_i64_e32 vcc, 0, v[4:5]
	v_not_b32_e32 v5, v5
	v_ashrrev_i32_e32 v5, 31, v5
	v_and_b32_e32 v22, v22, v23
	;; [unrolled: 8-line block ×5, first 2 shown]
	v_xor_b32_e32 v23, vcc_hi, v5
	v_xor_b32_e32 v5, vcc_lo, v5
	v_and_b32_e32 v22, v22, v23
	v_and_b32_e32 v23, v21, v5
	v_lshlrev_b32_e32 v5, 24, v20
	v_cmp_gt_i64_e32 vcc, 0, v[4:5]
	v_not_b32_e32 v5, v5
	v_ashrrev_i32_e32 v5, 31, v5
	v_xor_b32_e32 v20, vcc_hi, v5
	v_xor_b32_e32 v5, vcc_lo, v5
	v_and_b32_e32 v21, v22, v20
	v_and_b32_e32 v20, v23, v5
	v_mbcnt_lo_u32_b32 v5, v20, 0
	v_mbcnt_hi_u32_b32 v121, v21, v5
	v_cmp_eq_u32_e32 vcc, 0, v121
	v_cmp_ne_u64_e64 s[36:37], 0, v[20:21]
	s_and_b64 s[38:39], s[36:37], vcc
	; wave barrier
	s_and_saveexec_b64 s[36:37], s[38:39]
	s_cbranch_execz .LBB115_438
; %bb.437:                              ;   in Loop: Header=BB115_408 Depth=2
	v_bcnt_u32_b32 v5, v20, 0
	v_bcnt_u32_b32 v5, v21, v5
	s_waitcnt lgkmcnt(0)
	v_add_u32_e32 v5, v119, v5
	ds_write_b32 v120, v5
.LBB115_438:                            ;   in Loop: Header=BB115_408 Depth=2
	s_or_b64 exec, exec, s[36:37]
	; wave barrier
	s_waitcnt lgkmcnt(0)
	s_barrier
	ds_read_b32 v5, v42 offset:1040
	ds_read2_b32 v[22:23], v44 offset0:1 offset1:2
	ds_read2_b32 v[20:21], v44 offset0:3 offset1:4
	s_waitcnt lgkmcnt(1)
	v_add3_u32 v122, v22, v5, v23
	s_waitcnt lgkmcnt(0)
	v_add3_u32 v21, v122, v20, v21
	s_nop 1
	v_mov_b32_dpp v122, v21 row_shr:1 row_mask:0xf bank_mask:0xf
	v_cndmask_b32_e64 v122, v122, 0, s[16:17]
	v_add_u32_e32 v21, v122, v21
	s_nop 1
	v_mov_b32_dpp v122, v21 row_shr:2 row_mask:0xf bank_mask:0xf
	v_cndmask_b32_e64 v122, 0, v122, s[18:19]
	v_add_u32_e32 v21, v21, v122
	;; [unrolled: 4-line block ×4, first 2 shown]
	s_nop 1
	v_mov_b32_dpp v122, v21 row_bcast:15 row_mask:0xf bank_mask:0xf
	v_cndmask_b32_e64 v122, v122, 0, s[24:25]
	v_add_u32_e32 v21, v21, v122
	s_nop 1
	v_mov_b32_dpp v122, v21 row_bcast:31 row_mask:0xf bank_mask:0xf
	v_cndmask_b32_e64 v122, 0, v122, s[26:27]
	v_add_u32_e32 v21, v21, v122
	s_and_saveexec_b64 s[36:37], s[6:7]
	s_cbranch_execz .LBB115_440
; %bb.439:                              ;   in Loop: Header=BB115_408 Depth=2
	ds_write_b32 v35, v21 offset:1024
.LBB115_440:                            ;   in Loop: Header=BB115_408 Depth=2
	s_or_b64 exec, exec, s[36:37]
	s_waitcnt lgkmcnt(0)
	s_barrier
	s_and_saveexec_b64 s[36:37], s[8:9]
	s_cbranch_execz .LBB115_442
; %bb.441:                              ;   in Loop: Header=BB115_408 Depth=2
	v_add_u32_e32 v122, v42, v45
	ds_read_b32 v123, v122 offset:1024
	s_waitcnt lgkmcnt(0)
	s_nop 0
	v_mov_b32_dpp v124, v123 row_shr:1 row_mask:0xf bank_mask:0xf
	v_cndmask_b32_e64 v124, v124, 0, s[30:31]
	v_add_u32_e32 v123, v124, v123
	s_nop 1
	v_mov_b32_dpp v124, v123 row_shr:2 row_mask:0xf bank_mask:0xf
	v_cndmask_b32_e64 v124, 0, v124, s[34:35]
	v_add_u32_e32 v123, v123, v124
	ds_write_b32 v122, v123 offset:1024
.LBB115_442:                            ;   in Loop: Header=BB115_408 Depth=2
	s_or_b64 exec, exec, s[36:37]
	v_mov_b32_e32 v122, 0
	s_waitcnt lgkmcnt(0)
	s_barrier
	s_and_saveexec_b64 s[36:37], s[10:11]
	s_cbranch_execz .LBB115_444
; %bb.443:                              ;   in Loop: Header=BB115_408 Depth=2
	ds_read_b32 v122, v35 offset:1020
.LBB115_444:                            ;   in Loop: Header=BB115_408 Depth=2
	s_or_b64 exec, exec, s[36:37]
	s_waitcnt lgkmcnt(0)
	v_add_u32_e32 v21, v122, v21
	ds_bpermute_b32 v21, v66, v21
	s_waitcnt lgkmcnt(0)
	v_cndmask_b32_e64 v21, v21, v122, s[28:29]
	v_cndmask_b32_e64 v21, v21, 0, s[12:13]
	v_add_u32_e32 v5, v21, v5
	ds_write_b32 v42, v21 offset:1040
	v_add_u32_e32 v21, v5, v22
	v_add_u32_e32 v22, v21, v23
	ds_write2_b32 v44, v5, v21 offset0:1 offset1:2
	v_add_u32_e32 v5, v22, v20
	ds_write2_b32 v44, v22, v5 offset0:3 offset1:4
	s_waitcnt lgkmcnt(0)
	s_barrier
	ds_read_b32 v20, v96
	ds_read_b32 v21, v100
	;; [unrolled: 1-line block ×8, first 2 shown]
	ds_read_b32 v96, v42 offset:1040
	v_mov_b32_e32 v5, 0x800
	s_and_saveexec_b64 s[36:37], s[14:15]
	s_cbranch_execz .LBB115_446
; %bb.445:                              ;   in Loop: Header=BB115_408 Depth=2
	ds_read_b32 v5, v42 offset:1060
.LBB115_446:                            ;   in Loop: Header=BB115_408 Depth=2
	s_or_b64 exec, exec, s[36:37]
	s_waitcnt lgkmcnt(0)
	s_barrier
	s_and_saveexec_b64 s[36:37], s[4:5]
	s_cbranch_execz .LBB115_448
; %bb.447:                              ;   in Loop: Header=BB115_408 Depth=2
	ds_read_b32 v100, v3
	s_waitcnt lgkmcnt(0)
	v_sub_u32_e32 v96, v100, v96
	ds_write_b32 v3, v96
.LBB115_448:                            ;   in Loop: Header=BB115_408 Depth=2
	s_or_b64 exec, exec, s[36:37]
	v_add_u32_e32 v100, v92, v93
	v_add3_u32 v97, v97, v95, v20
	v_add3_u32 v96, v101, v99, v21
	;; [unrolled: 1-line block ×7, first 2 shown]
	v_cmp_lt_u32_e64 s[48:49], v2, v90
	ds_write_b8 v100, v91 offset:1024
	ds_write_b8 v97, v94 offset:1024
	;; [unrolled: 1-line block ×8, first 2 shown]
	s_waitcnt lgkmcnt(0)
	s_barrier
	s_and_saveexec_b64 s[36:37], s[48:49]
	s_cbranch_execz .LBB115_456
; %bb.449:                              ;   in Loop: Header=BB115_408 Depth=2
	ds_read_u8 v20, v2 offset:1024
	s_waitcnt lgkmcnt(0)
	v_lshrrev_b32_sdwa v21, s69, v20 dst_sel:DWORD dst_unused:UNUSED_PAD src0_sel:DWORD src1_sel:BYTE_0
	v_and_b32_e32 v21, s84, v21
	v_lshlrev_b32_e32 v21, 2, v21
	ds_read_b32 v21, v21
	v_xor_b32_e32 v20, -1, v20
	s_waitcnt lgkmcnt(0)
	v_add_u32_e32 v21, v21, v2
	global_store_byte v21, v20, s[58:59]
	s_or_b64 exec, exec, s[36:37]
	v_cmp_lt_u32_e64 s[46:47], v24, v90
	s_and_saveexec_b64 s[36:37], s[46:47]
	s_cbranch_execnz .LBB115_457
.LBB115_450:                            ;   in Loop: Header=BB115_408 Depth=2
	s_or_b64 exec, exec, s[36:37]
	v_cmp_lt_u32_e64 s[44:45], v25, v90
	s_and_saveexec_b64 s[36:37], s[44:45]
	s_cbranch_execz .LBB115_458
.LBB115_451:                            ;   in Loop: Header=BB115_408 Depth=2
	ds_read_u8 v20, v30 offset:512
	s_waitcnt lgkmcnt(0)
	v_lshrrev_b32_sdwa v21, s69, v20 dst_sel:DWORD dst_unused:UNUSED_PAD src0_sel:DWORD src1_sel:BYTE_0
	v_and_b32_e32 v21, s84, v21
	v_lshlrev_b32_e32 v21, 2, v21
	ds_read_b32 v21, v21
	v_xor_b32_e32 v20, -1, v20
	s_waitcnt lgkmcnt(0)
	v_add_u32_e32 v21, v21, v25
	global_store_byte v21, v20, s[58:59]
	s_or_b64 exec, exec, s[36:37]
	v_cmp_lt_u32_e64 s[42:43], v26, v90
	s_and_saveexec_b64 s[36:37], s[42:43]
	s_cbranch_execnz .LBB115_459
.LBB115_452:                            ;   in Loop: Header=BB115_408 Depth=2
	s_or_b64 exec, exec, s[36:37]
	v_cmp_lt_u32_e64 s[40:41], v30, v90
	s_and_saveexec_b64 s[36:37], s[40:41]
	s_cbranch_execz .LBB115_460
.LBB115_453:                            ;   in Loop: Header=BB115_408 Depth=2
	ds_read_u8 v20, v30 offset:1024
	s_waitcnt lgkmcnt(0)
	v_lshrrev_b32_sdwa v21, s69, v20 dst_sel:DWORD dst_unused:UNUSED_PAD src0_sel:DWORD src1_sel:BYTE_0
	v_and_b32_e32 v21, s84, v21
	v_lshlrev_b32_e32 v21, 2, v21
	ds_read_b32 v21, v21
	v_xor_b32_e32 v20, -1, v20
	s_waitcnt lgkmcnt(0)
	v_add_u32_e32 v21, v21, v30
	global_store_byte v21, v20, s[58:59]
	s_or_b64 exec, exec, s[36:37]
	v_cmp_lt_u32_e64 s[38:39], v31, v90
	s_and_saveexec_b64 s[36:37], s[38:39]
	s_cbranch_execnz .LBB115_461
.LBB115_454:                            ;   in Loop: Header=BB115_408 Depth=2
	s_or_b64 exec, exec, s[36:37]
	v_cmp_lt_u32_e64 s[36:37], v32, v90
	s_and_saveexec_b64 s[52:53], s[36:37]
	s_cbranch_execz .LBB115_462
.LBB115_455:                            ;   in Loop: Header=BB115_408 Depth=2
	ds_read_u8 v20, v30 offset:1536
	s_waitcnt lgkmcnt(0)
	v_lshrrev_b32_sdwa v21, s69, v20 dst_sel:DWORD dst_unused:UNUSED_PAD src0_sel:DWORD src1_sel:BYTE_0
	v_and_b32_e32 v21, s84, v21
	v_lshlrev_b32_e32 v21, 2, v21
	ds_read_b32 v21, v21
	v_xor_b32_e32 v20, -1, v20
	s_waitcnt lgkmcnt(0)
	v_add_u32_e32 v21, v21, v32
	global_store_byte v21, v20, s[58:59]
	s_or_b64 exec, exec, s[52:53]
	v_cmp_lt_u32_e32 vcc, v33, v90
	s_and_saveexec_b64 s[52:53], vcc
	s_cbranch_execnz .LBB115_463
	s_branch .LBB115_464
.LBB115_456:                            ;   in Loop: Header=BB115_408 Depth=2
	s_or_b64 exec, exec, s[36:37]
	v_cmp_lt_u32_e64 s[46:47], v24, v90
	s_and_saveexec_b64 s[36:37], s[46:47]
	s_cbranch_execz .LBB115_450
.LBB115_457:                            ;   in Loop: Header=BB115_408 Depth=2
	ds_read_u8 v20, v30 offset:256
	s_waitcnt lgkmcnt(0)
	v_lshrrev_b32_sdwa v21, s69, v20 dst_sel:DWORD dst_unused:UNUSED_PAD src0_sel:DWORD src1_sel:BYTE_0
	v_and_b32_e32 v21, s84, v21
	v_lshlrev_b32_e32 v21, 2, v21
	ds_read_b32 v21, v21
	v_xor_b32_e32 v20, -1, v20
	s_waitcnt lgkmcnt(0)
	v_add_u32_e32 v21, v21, v24
	global_store_byte v21, v20, s[58:59]
	s_or_b64 exec, exec, s[36:37]
	v_cmp_lt_u32_e64 s[44:45], v25, v90
	s_and_saveexec_b64 s[36:37], s[44:45]
	s_cbranch_execnz .LBB115_451
.LBB115_458:                            ;   in Loop: Header=BB115_408 Depth=2
	s_or_b64 exec, exec, s[36:37]
	v_cmp_lt_u32_e64 s[42:43], v26, v90
	s_and_saveexec_b64 s[36:37], s[42:43]
	s_cbranch_execz .LBB115_452
.LBB115_459:                            ;   in Loop: Header=BB115_408 Depth=2
	ds_read_u8 v20, v30 offset:768
	s_waitcnt lgkmcnt(0)
	v_lshrrev_b32_sdwa v21, s69, v20 dst_sel:DWORD dst_unused:UNUSED_PAD src0_sel:DWORD src1_sel:BYTE_0
	v_and_b32_e32 v21, s84, v21
	v_lshlrev_b32_e32 v21, 2, v21
	ds_read_b32 v21, v21
	v_xor_b32_e32 v20, -1, v20
	s_waitcnt lgkmcnt(0)
	v_add_u32_e32 v21, v21, v26
	global_store_byte v21, v20, s[58:59]
	s_or_b64 exec, exec, s[36:37]
	v_cmp_lt_u32_e64 s[40:41], v30, v90
	s_and_saveexec_b64 s[36:37], s[40:41]
	s_cbranch_execnz .LBB115_453
.LBB115_460:                            ;   in Loop: Header=BB115_408 Depth=2
	s_or_b64 exec, exec, s[36:37]
	v_cmp_lt_u32_e64 s[38:39], v31, v90
	s_and_saveexec_b64 s[36:37], s[38:39]
	s_cbranch_execz .LBB115_454
.LBB115_461:                            ;   in Loop: Header=BB115_408 Depth=2
	ds_read_u8 v20, v30 offset:1280
	s_waitcnt lgkmcnt(0)
	v_lshrrev_b32_sdwa v21, s69, v20 dst_sel:DWORD dst_unused:UNUSED_PAD src0_sel:DWORD src1_sel:BYTE_0
	v_and_b32_e32 v21, s84, v21
	v_lshlrev_b32_e32 v21, 2, v21
	ds_read_b32 v21, v21
	v_xor_b32_e32 v20, -1, v20
	s_waitcnt lgkmcnt(0)
	v_add_u32_e32 v21, v21, v31
	global_store_byte v21, v20, s[58:59]
	s_or_b64 exec, exec, s[36:37]
	v_cmp_lt_u32_e64 s[36:37], v32, v90
	s_and_saveexec_b64 s[52:53], s[36:37]
	s_cbranch_execnz .LBB115_455
.LBB115_462:                            ;   in Loop: Header=BB115_408 Depth=2
	s_or_b64 exec, exec, s[52:53]
	v_cmp_lt_u32_e32 vcc, v33, v90
	s_and_saveexec_b64 s[52:53], vcc
	s_cbranch_execz .LBB115_464
.LBB115_463:                            ;   in Loop: Header=BB115_408 Depth=2
	ds_read_u8 v20, v30 offset:1792
	s_waitcnt lgkmcnt(0)
	v_lshrrev_b32_sdwa v21, s69, v20 dst_sel:DWORD dst_unused:UNUSED_PAD src0_sel:DWORD src1_sel:BYTE_0
	v_and_b32_e32 v21, s84, v21
	v_lshlrev_b32_e32 v21, 2, v21
	ds_read_b32 v21, v21
	v_xor_b32_e32 v20, -1, v20
	s_waitcnt lgkmcnt(0)
	v_add_u32_e32 v21, v21, v33
	global_store_byte v21, v20, s[58:59]
.LBB115_464:                            ;   in Loop: Header=BB115_408 Depth=2
	s_or_b64 exec, exec, s[52:53]
	s_lshl_b64 s[52:53], s[72:73], 3
	v_mov_b32_e32 v21, s53
	v_add_co_u32_e64 v20, s[52:53], s52, v78
	v_addc_co_u32_e64 v21, s[52:53], v79, v21, s[52:53]
	v_cmp_lt_u32_e64 s[52:53], v73, v90
	s_and_saveexec_b64 s[62:63], s[52:53]
	s_xor_b64 s[52:53], exec, s[62:63]
	s_cbranch_execz .LBB115_480
; %bb.465:                              ;   in Loop: Header=BB115_408 Depth=2
	global_load_dwordx2 v[18:19], v[20:21], off
	s_or_b64 exec, exec, s[52:53]
	v_cmp_lt_u32_e64 s[52:53], v80, v90
	s_and_saveexec_b64 s[62:63], s[52:53]
	s_cbranch_execnz .LBB115_481
.LBB115_466:                            ;   in Loop: Header=BB115_408 Depth=2
	s_or_b64 exec, exec, s[62:63]
	v_cmp_lt_u32_e64 s[52:53], v81, v90
	s_and_saveexec_b64 s[62:63], s[52:53]
	s_cbranch_execz .LBB115_482
.LBB115_467:                            ;   in Loop: Header=BB115_408 Depth=2
	global_load_dwordx2 v[14:15], v[20:21], off offset:1024
	s_or_b64 exec, exec, s[62:63]
	v_cmp_lt_u32_e64 s[52:53], v82, v90
	s_and_saveexec_b64 s[62:63], s[52:53]
	s_cbranch_execnz .LBB115_483
.LBB115_468:                            ;   in Loop: Header=BB115_408 Depth=2
	s_or_b64 exec, exec, s[62:63]
	v_cmp_lt_u32_e64 s[52:53], v83, v90
	s_and_saveexec_b64 s[62:63], s[52:53]
	s_cbranch_execz .LBB115_484
.LBB115_469:                            ;   in Loop: Header=BB115_408 Depth=2
	global_load_dwordx2 v[10:11], v[20:21], off offset:2048
	s_or_b64 exec, exec, s[62:63]
	v_cmp_lt_u32_e64 s[52:53], v84, v90
	s_and_saveexec_b64 s[62:63], s[52:53]
	s_cbranch_execnz .LBB115_485
.LBB115_470:                            ;   in Loop: Header=BB115_408 Depth=2
	s_or_b64 exec, exec, s[62:63]
	v_cmp_lt_u32_e64 s[52:53], v85, v90
	s_and_saveexec_b64 s[62:63], s[52:53]
	s_cbranch_execz .LBB115_486
.LBB115_471:                            ;   in Loop: Header=BB115_408 Depth=2
	global_load_dwordx2 v[6:7], v[20:21], off offset:3072
	s_or_b64 exec, exec, s[62:63]
	v_cmp_lt_u32_e64 s[52:53], v86, v90
	s_and_saveexec_b64 s[62:63], s[52:53]
	s_cbranch_execnz .LBB115_487
.LBB115_472:                            ;   in Loop: Header=BB115_408 Depth=2
	s_or_b64 exec, exec, s[62:63]
	s_and_saveexec_b64 s[52:53], s[48:49]
	s_cbranch_execz .LBB115_488
.LBB115_473:                            ;   in Loop: Header=BB115_408 Depth=2
	ds_read_u8 v20, v2 offset:1024
	s_waitcnt lgkmcnt(0)
	v_lshrrev_b32_e32 v20, s69, v20
	v_and_b32_e32 v76, s84, v20
	s_or_b64 exec, exec, s[52:53]
	s_and_saveexec_b64 s[52:53], s[46:47]
	s_cbranch_execnz .LBB115_489
.LBB115_474:                            ;   in Loop: Header=BB115_408 Depth=2
	s_or_b64 exec, exec, s[52:53]
	s_and_saveexec_b64 s[52:53], s[44:45]
	s_cbranch_execz .LBB115_490
.LBB115_475:                            ;   in Loop: Header=BB115_408 Depth=2
	ds_read_u8 v20, v30 offset:512
	s_waitcnt lgkmcnt(0)
	v_lshrrev_b32_e32 v20, s69, v20
	v_and_b32_e32 v72, s84, v20
	s_or_b64 exec, exec, s[52:53]
	s_and_saveexec_b64 s[52:53], s[42:43]
	s_cbranch_execnz .LBB115_491
.LBB115_476:                            ;   in Loop: Header=BB115_408 Depth=2
	s_or_b64 exec, exec, s[52:53]
	s_and_saveexec_b64 s[52:53], s[40:41]
	s_cbranch_execz .LBB115_492
.LBB115_477:                            ;   in Loop: Header=BB115_408 Depth=2
	ds_read_u8 v20, v30 offset:1024
	s_waitcnt lgkmcnt(0)
	v_lshrrev_b32_e32 v20, s69, v20
	v_and_b32_e32 v70, s84, v20
	s_or_b64 exec, exec, s[52:53]
	s_and_saveexec_b64 s[52:53], s[38:39]
	s_cbranch_execnz .LBB115_493
.LBB115_478:                            ;   in Loop: Header=BB115_408 Depth=2
	s_or_b64 exec, exec, s[52:53]
	s_and_saveexec_b64 s[52:53], s[36:37]
	s_cbranch_execz .LBB115_494
.LBB115_479:                            ;   in Loop: Header=BB115_408 Depth=2
	ds_read_u8 v20, v30 offset:1536
	s_waitcnt lgkmcnt(0)
	v_lshrrev_b32_e32 v20, s69, v20
	v_and_b32_e32 v68, s84, v20
	s_or_b64 exec, exec, s[52:53]
	s_and_saveexec_b64 s[52:53], vcc
	s_cbranch_execnz .LBB115_495
	s_branch .LBB115_496
.LBB115_480:                            ;   in Loop: Header=BB115_408 Depth=2
	s_or_b64 exec, exec, s[52:53]
	v_cmp_lt_u32_e64 s[52:53], v80, v90
	s_and_saveexec_b64 s[62:63], s[52:53]
	s_cbranch_execz .LBB115_466
.LBB115_481:                            ;   in Loop: Header=BB115_408 Depth=2
	global_load_dwordx2 v[16:17], v[20:21], off offset:512
	s_or_b64 exec, exec, s[62:63]
	v_cmp_lt_u32_e64 s[52:53], v81, v90
	s_and_saveexec_b64 s[62:63], s[52:53]
	s_cbranch_execnz .LBB115_467
.LBB115_482:                            ;   in Loop: Header=BB115_408 Depth=2
	s_or_b64 exec, exec, s[62:63]
	v_cmp_lt_u32_e64 s[52:53], v82, v90
	s_and_saveexec_b64 s[62:63], s[52:53]
	s_cbranch_execz .LBB115_468
.LBB115_483:                            ;   in Loop: Header=BB115_408 Depth=2
	global_load_dwordx2 v[12:13], v[20:21], off offset:1536
	s_or_b64 exec, exec, s[62:63]
	v_cmp_lt_u32_e64 s[52:53], v83, v90
	s_and_saveexec_b64 s[62:63], s[52:53]
	s_cbranch_execnz .LBB115_469
.LBB115_484:                            ;   in Loop: Header=BB115_408 Depth=2
	s_or_b64 exec, exec, s[62:63]
	v_cmp_lt_u32_e64 s[52:53], v84, v90
	s_and_saveexec_b64 s[62:63], s[52:53]
	s_cbranch_execz .LBB115_470
.LBB115_485:                            ;   in Loop: Header=BB115_408 Depth=2
	global_load_dwordx2 v[8:9], v[20:21], off offset:2560
	s_or_b64 exec, exec, s[62:63]
	v_cmp_lt_u32_e64 s[52:53], v85, v90
	s_and_saveexec_b64 s[62:63], s[52:53]
	s_cbranch_execnz .LBB115_471
.LBB115_486:                            ;   in Loop: Header=BB115_408 Depth=2
	s_or_b64 exec, exec, s[62:63]
	v_cmp_lt_u32_e64 s[52:53], v86, v90
	s_and_saveexec_b64 s[62:63], s[52:53]
	s_cbranch_execz .LBB115_472
.LBB115_487:                            ;   in Loop: Header=BB115_408 Depth=2
	global_load_dwordx2 v[0:1], v[20:21], off offset:3584
	s_or_b64 exec, exec, s[62:63]
	s_and_saveexec_b64 s[52:53], s[48:49]
	s_cbranch_execnz .LBB115_473
.LBB115_488:                            ;   in Loop: Header=BB115_408 Depth=2
	s_or_b64 exec, exec, s[52:53]
	s_and_saveexec_b64 s[52:53], s[46:47]
	s_cbranch_execz .LBB115_474
.LBB115_489:                            ;   in Loop: Header=BB115_408 Depth=2
	ds_read_u8 v20, v30 offset:256
	s_waitcnt lgkmcnt(0)
	v_lshrrev_b32_e32 v20, s69, v20
	v_and_b32_e32 v74, s84, v20
	s_or_b64 exec, exec, s[52:53]
	s_and_saveexec_b64 s[52:53], s[44:45]
	s_cbranch_execnz .LBB115_475
.LBB115_490:                            ;   in Loop: Header=BB115_408 Depth=2
	s_or_b64 exec, exec, s[52:53]
	s_and_saveexec_b64 s[52:53], s[42:43]
	s_cbranch_execz .LBB115_476
.LBB115_491:                            ;   in Loop: Header=BB115_408 Depth=2
	ds_read_u8 v20, v30 offset:768
	s_waitcnt lgkmcnt(0)
	v_lshrrev_b32_e32 v20, s69, v20
	v_and_b32_e32 v71, s84, v20
	s_or_b64 exec, exec, s[52:53]
	s_and_saveexec_b64 s[52:53], s[40:41]
	s_cbranch_execnz .LBB115_477
.LBB115_492:                            ;   in Loop: Header=BB115_408 Depth=2
	s_or_b64 exec, exec, s[52:53]
	s_and_saveexec_b64 s[52:53], s[38:39]
	s_cbranch_execz .LBB115_478
.LBB115_493:                            ;   in Loop: Header=BB115_408 Depth=2
	ds_read_u8 v20, v30 offset:1280
	s_waitcnt lgkmcnt(0)
	v_lshrrev_b32_e32 v20, s69, v20
	v_and_b32_e32 v69, s84, v20
	s_or_b64 exec, exec, s[52:53]
	s_and_saveexec_b64 s[52:53], s[36:37]
	s_cbranch_execnz .LBB115_479
.LBB115_494:                            ;   in Loop: Header=BB115_408 Depth=2
	s_or_b64 exec, exec, s[52:53]
	s_and_saveexec_b64 s[52:53], vcc
	s_cbranch_execz .LBB115_496
.LBB115_495:                            ;   in Loop: Header=BB115_408 Depth=2
	ds_read_u8 v20, v30 offset:1792
	s_waitcnt lgkmcnt(0)
	v_lshrrev_b32_e32 v20, s69, v20
	v_and_b32_e32 v67, s84, v20
.LBB115_496:                            ;   in Loop: Header=BB115_408 Depth=2
	s_or_b64 exec, exec, s[52:53]
	v_lshlrev_b32_e32 v20, 3, v100
	s_barrier
	s_waitcnt vmcnt(0)
	ds_write_b64 v20, v[18:19] offset:1024
	v_lshlrev_b32_e32 v20, 3, v97
	ds_write_b64 v20, v[16:17] offset:1024
	v_lshlrev_b32_e32 v20, 3, v96
	;; [unrolled: 2-line block ×7, first 2 shown]
	ds_write_b64 v20, v[0:1] offset:1024
	s_waitcnt lgkmcnt(0)
	s_barrier
	s_and_saveexec_b64 s[52:53], s[48:49]
	s_cbranch_execz .LBB115_504
; %bb.497:                              ;   in Loop: Header=BB115_408 Depth=2
	v_lshlrev_b32_e32 v20, 2, v76
	ds_read_b32 v22, v20
	v_add_u32_e32 v20, v2, v50
	ds_read_b64 v[20:21], v20 offset:1024
	v_mov_b32_e32 v23, v4
	v_mov_b32_e32 v90, s65
	s_waitcnt lgkmcnt(1)
	v_add_u32_e32 v22, v22, v2
	v_lshlrev_b64 v[22:23], 3, v[22:23]
	v_add_co_u32_e64 v22, s[48:49], s64, v22
	v_addc_co_u32_e64 v23, s[48:49], v90, v23, s[48:49]
	s_waitcnt lgkmcnt(0)
	global_store_dwordx2 v[22:23], v[20:21], off
	s_or_b64 exec, exec, s[52:53]
	s_and_saveexec_b64 s[48:49], s[46:47]
	s_cbranch_execnz .LBB115_505
.LBB115_498:                            ;   in Loop: Header=BB115_408 Depth=2
	s_or_b64 exec, exec, s[48:49]
	s_and_saveexec_b64 s[46:47], s[44:45]
	s_cbranch_execz .LBB115_506
.LBB115_499:                            ;   in Loop: Header=BB115_408 Depth=2
	v_lshlrev_b32_e32 v20, 2, v72
	ds_read_b32 v22, v20
	v_add_u32_e32 v20, v30, v50
	ds_read_b64 v[20:21], v20 offset:4096
	v_mov_b32_e32 v23, v4
	v_mov_b32_e32 v90, s65
	s_waitcnt lgkmcnt(1)
	v_add_u32_e32 v22, v22, v25
	v_lshlrev_b64 v[22:23], 3, v[22:23]
	v_add_co_u32_e64 v22, s[44:45], s64, v22
	v_addc_co_u32_e64 v23, s[44:45], v90, v23, s[44:45]
	s_waitcnt lgkmcnt(0)
	global_store_dwordx2 v[22:23], v[20:21], off
	s_or_b64 exec, exec, s[46:47]
	s_and_saveexec_b64 s[44:45], s[42:43]
	s_cbranch_execnz .LBB115_507
.LBB115_500:                            ;   in Loop: Header=BB115_408 Depth=2
	s_or_b64 exec, exec, s[44:45]
	s_and_saveexec_b64 s[42:43], s[40:41]
	s_cbranch_execz .LBB115_508
.LBB115_501:                            ;   in Loop: Header=BB115_408 Depth=2
	v_lshlrev_b32_e32 v20, 2, v70
	ds_read_b32 v22, v20
	v_add_u32_e32 v20, v30, v50
	ds_read_b64 v[20:21], v20 offset:8192
	v_mov_b32_e32 v23, v4
	v_mov_b32_e32 v90, s65
	s_waitcnt lgkmcnt(1)
	v_add_u32_e32 v22, v22, v30
	v_lshlrev_b64 v[22:23], 3, v[22:23]
	v_add_co_u32_e64 v22, s[40:41], s64, v22
	v_addc_co_u32_e64 v23, s[40:41], v90, v23, s[40:41]
	s_waitcnt lgkmcnt(0)
	global_store_dwordx2 v[22:23], v[20:21], off
	s_or_b64 exec, exec, s[42:43]
	s_and_saveexec_b64 s[40:41], s[38:39]
	s_cbranch_execnz .LBB115_509
.LBB115_502:                            ;   in Loop: Header=BB115_408 Depth=2
	s_or_b64 exec, exec, s[40:41]
	s_and_saveexec_b64 s[38:39], s[36:37]
	s_cbranch_execz .LBB115_510
.LBB115_503:                            ;   in Loop: Header=BB115_408 Depth=2
	v_lshlrev_b32_e32 v20, 2, v68
	ds_read_b32 v22, v20
	v_add_u32_e32 v20, v30, v50
	ds_read_b64 v[20:21], v20 offset:12288
	v_mov_b32_e32 v23, v4
	v_mov_b32_e32 v90, s65
	s_waitcnt lgkmcnt(1)
	v_add_u32_e32 v22, v22, v32
	v_lshlrev_b64 v[22:23], 3, v[22:23]
	v_add_co_u32_e64 v22, s[36:37], s64, v22
	v_addc_co_u32_e64 v23, s[36:37], v90, v23, s[36:37]
	s_waitcnt lgkmcnt(0)
	global_store_dwordx2 v[22:23], v[20:21], off
	s_or_b64 exec, exec, s[38:39]
	s_and_saveexec_b64 s[36:37], vcc
	s_cbranch_execnz .LBB115_511
	s_branch .LBB115_512
.LBB115_504:                            ;   in Loop: Header=BB115_408 Depth=2
	s_or_b64 exec, exec, s[52:53]
	s_and_saveexec_b64 s[48:49], s[46:47]
	s_cbranch_execz .LBB115_498
.LBB115_505:                            ;   in Loop: Header=BB115_408 Depth=2
	v_lshlrev_b32_e32 v20, 2, v74
	ds_read_b32 v22, v20
	v_add_u32_e32 v20, v30, v50
	ds_read_b64 v[20:21], v20 offset:2048
	v_mov_b32_e32 v23, v4
	v_mov_b32_e32 v90, s65
	s_waitcnt lgkmcnt(1)
	v_add_u32_e32 v22, v22, v24
	v_lshlrev_b64 v[22:23], 3, v[22:23]
	v_add_co_u32_e64 v22, s[46:47], s64, v22
	v_addc_co_u32_e64 v23, s[46:47], v90, v23, s[46:47]
	s_waitcnt lgkmcnt(0)
	global_store_dwordx2 v[22:23], v[20:21], off
	s_or_b64 exec, exec, s[48:49]
	s_and_saveexec_b64 s[46:47], s[44:45]
	s_cbranch_execnz .LBB115_499
.LBB115_506:                            ;   in Loop: Header=BB115_408 Depth=2
	s_or_b64 exec, exec, s[46:47]
	s_and_saveexec_b64 s[44:45], s[42:43]
	s_cbranch_execz .LBB115_500
.LBB115_507:                            ;   in Loop: Header=BB115_408 Depth=2
	v_lshlrev_b32_e32 v20, 2, v71
	ds_read_b32 v22, v20
	v_add_u32_e32 v20, v30, v50
	ds_read_b64 v[20:21], v20 offset:6144
	v_mov_b32_e32 v23, v4
	v_mov_b32_e32 v90, s65
	s_waitcnt lgkmcnt(1)
	v_add_u32_e32 v22, v22, v26
	v_lshlrev_b64 v[22:23], 3, v[22:23]
	v_add_co_u32_e64 v22, s[42:43], s64, v22
	v_addc_co_u32_e64 v23, s[42:43], v90, v23, s[42:43]
	s_waitcnt lgkmcnt(0)
	global_store_dwordx2 v[22:23], v[20:21], off
	s_or_b64 exec, exec, s[44:45]
	s_and_saveexec_b64 s[42:43], s[40:41]
	s_cbranch_execnz .LBB115_501
.LBB115_508:                            ;   in Loop: Header=BB115_408 Depth=2
	s_or_b64 exec, exec, s[42:43]
	s_and_saveexec_b64 s[40:41], s[38:39]
	s_cbranch_execz .LBB115_502
.LBB115_509:                            ;   in Loop: Header=BB115_408 Depth=2
	v_lshlrev_b32_e32 v20, 2, v69
	ds_read_b32 v22, v20
	v_add_u32_e32 v20, v30, v50
	ds_read_b64 v[20:21], v20 offset:10240
	v_mov_b32_e32 v23, v4
	v_mov_b32_e32 v90, s65
	s_waitcnt lgkmcnt(1)
	v_add_u32_e32 v22, v22, v31
	v_lshlrev_b64 v[22:23], 3, v[22:23]
	v_add_co_u32_e64 v22, s[38:39], s64, v22
	v_addc_co_u32_e64 v23, s[38:39], v90, v23, s[38:39]
	s_waitcnt lgkmcnt(0)
	global_store_dwordx2 v[22:23], v[20:21], off
	s_or_b64 exec, exec, s[40:41]
	s_and_saveexec_b64 s[38:39], s[36:37]
	s_cbranch_execnz .LBB115_503
.LBB115_510:                            ;   in Loop: Header=BB115_408 Depth=2
	s_or_b64 exec, exec, s[38:39]
	s_and_saveexec_b64 s[36:37], vcc
	s_cbranch_execz .LBB115_512
.LBB115_511:                            ;   in Loop: Header=BB115_408 Depth=2
	v_lshlrev_b32_e32 v20, 2, v67
	ds_read_b32 v22, v20
	v_add_u32_e32 v20, v30, v50
	ds_read_b64 v[20:21], v20 offset:14336
	v_mov_b32_e32 v23, v4
	v_mov_b32_e32 v90, s65
	s_waitcnt lgkmcnt(1)
	v_add_u32_e32 v22, v22, v33
	v_lshlrev_b64 v[22:23], 3, v[22:23]
	v_add_co_u32_e32 v22, vcc, s64, v22
	v_addc_co_u32_e32 v23, vcc, v90, v23, vcc
	s_waitcnt lgkmcnt(0)
	global_store_dwordx2 v[22:23], v[20:21], off
.LBB115_512:                            ;   in Loop: Header=BB115_408 Depth=2
	s_or_b64 exec, exec, s[36:37]
	s_barrier
	s_and_saveexec_b64 s[36:37], s[4:5]
	s_cbranch_execz .LBB115_407
; %bb.513:                              ;   in Loop: Header=BB115_408 Depth=2
	ds_read_b32 v20, v3
	s_waitcnt lgkmcnt(0)
	v_add_u32_e32 v5, v20, v5
	ds_write_b32 v3, v5
	s_branch .LBB115_407
.LBB115_514:                            ;   in Loop: Header=BB115_408 Depth=2
	s_or_b64 exec, exec, s[36:37]
	v_cmp_gt_u32_e32 vcc, s85, v80
	s_and_saveexec_b64 s[36:37], vcc
	s_cbranch_execz .LBB115_413
.LBB115_515:                            ;   in Loop: Header=BB115_408 Depth=2
	global_load_ubyte v5, v[22:23], off offset:64
	s_waitcnt vmcnt(0)
	v_perm_b32 v20, v20, v5, s78
	s_or_b64 exec, exec, s[36:37]
	v_cmp_gt_u32_e32 vcc, s85, v81
	s_and_saveexec_b64 s[36:37], vcc
	s_cbranch_execnz .LBB115_414
.LBB115_516:                            ;   in Loop: Header=BB115_408 Depth=2
	s_or_b64 exec, exec, s[36:37]
	v_cmp_gt_u32_e32 vcc, s85, v82
	s_and_saveexec_b64 s[36:37], vcc
	s_cbranch_execz .LBB115_415
.LBB115_517:                            ;   in Loop: Header=BB115_408 Depth=2
	global_load_ubyte v5, v[22:23], off offset:192
	v_and_b32_sdwa v90, v20, s68 dst_sel:DWORD dst_unused:UNUSED_PAD src0_sel:WORD_1 src1_sel:DWORD
	s_waitcnt vmcnt(0)
	v_lshlrev_b16_e32 v5, 8, v5
	v_or_b32_sdwa v5, v90, v5 dst_sel:WORD_1 dst_unused:UNUSED_PAD src0_sel:DWORD src1_sel:DWORD
	v_and_or_b32 v20, v20, s77, v5
	s_or_b64 exec, exec, s[36:37]
	v_cmp_gt_u32_e32 vcc, s85, v83
	s_and_saveexec_b64 s[36:37], vcc
	s_cbranch_execnz .LBB115_416
.LBB115_518:                            ;   in Loop: Header=BB115_408 Depth=2
	s_or_b64 exec, exec, s[36:37]
	v_cmp_gt_u32_e32 vcc, s85, v84
	s_and_saveexec_b64 s[36:37], vcc
	s_cbranch_execz .LBB115_417
.LBB115_519:                            ;   in Loop: Header=BB115_408 Depth=2
	global_load_ubyte v5, v[22:23], off offset:320
	s_waitcnt vmcnt(0)
	v_perm_b32 v21, v21, v5, s78
	s_or_b64 exec, exec, s[36:37]
	v_cmp_gt_u32_e32 vcc, s85, v85
	s_and_saveexec_b64 s[36:37], vcc
	s_cbranch_execnz .LBB115_418
	s_branch .LBB115_419
.LBB115_520:                            ;   in Loop: Header=BB115_20 Depth=1
	s_waitcnt lgkmcnt(0)
	s_barrier
	s_mov_b64 s[16:17], 0
.LBB115_521:                            ;   in Loop: Header=BB115_20 Depth=1
	s_and_b64 vcc, exec, s[16:17]
	s_cbranch_vccz .LBB115_19
; %bb.522:                              ;   in Loop: Header=BB115_20 Depth=1
	s_mov_b32 s20, s71
	s_mov_b32 s22, s51
	s_barrier
	s_waitcnt lgkmcnt(0)
                                        ; implicit-def: $vgpr5
                                        ; implicit-def: $vgpr6
                                        ; implicit-def: $vgpr7
                                        ; implicit-def: $vgpr8
                                        ; implicit-def: $vgpr9
                                        ; implicit-def: $vgpr10
                                        ; implicit-def: $vgpr11
                                        ; implicit-def: $vgpr12
	s_branch .LBB115_524
.LBB115_523:                            ;   in Loop: Header=BB115_524 Depth=2
	s_or_b64 exec, exec, s[16:17]
	s_addk_i32 s20, 0xf800
	s_cmp_ge_u32 s21, s76
	s_mov_b32 s22, s21
	s_cbranch_scc1 .LBB115_562
.LBB115_524:                            ;   Parent Loop BB115_20 Depth=1
                                        ; =>  This Inner Loop Header: Depth=2
	s_add_i32 s21, s22, 0x800
	s_cmp_gt_u32 s21, s76
	s_cbranch_scc1 .LBB115_527
; %bb.525:                              ;   in Loop: Header=BB115_524 Depth=2
	v_add_co_u32_e32 v0, vcc, s22, v57
	v_addc_co_u32_e32 v1, vcc, 0, v58, vcc
	global_load_ubyte v20, v[0:1], off offset:1536
	global_load_ubyte v19, v[0:1], off offset:1280
	;; [unrolled: 1-line block ×6, first 2 shown]
	global_load_ubyte v14, v[0:1], off
	v_add_co_u32_e32 v0, vcc, 0x700, v0
	v_addc_co_u32_e32 v1, vcc, 0, v1, vcc
	s_mov_b64 s[16:17], -1
	s_movk_i32 s25, 0x800
	s_cbranch_execz .LBB115_528
; %bb.526:                              ;   in Loop: Header=BB115_524 Depth=2
                                        ; implicit-def: $vgpr5
                                        ; implicit-def: $vgpr6
                                        ; implicit-def: $vgpr7
                                        ; implicit-def: $vgpr8
                                        ; implicit-def: $vgpr9
                                        ; implicit-def: $vgpr10
                                        ; implicit-def: $vgpr11
                                        ; implicit-def: $vgpr12
	v_mov_b32_e32 v13, s20
	s_and_saveexec_b64 s[18:19], s[16:17]
	s_cbranch_execnz .LBB115_539
	s_branch .LBB115_540
.LBB115_527:                            ;   in Loop: Header=BB115_524 Depth=2
	s_mov_b64 s[16:17], 0
                                        ; implicit-def: $sgpr25
                                        ; implicit-def: $vgpr14
                                        ; implicit-def: $vgpr15
                                        ; implicit-def: $vgpr16
                                        ; implicit-def: $vgpr17
                                        ; implicit-def: $vgpr18
                                        ; implicit-def: $vgpr19
                                        ; implicit-def: $vgpr20
                                        ; implicit-def: $vgpr0_vgpr1
.LBB115_528:                            ;   in Loop: Header=BB115_524 Depth=2
	s_add_u32 s23, s56, s22
	s_addc_u32 s24, s57, 0
	v_cmp_gt_u32_e32 vcc, s20, v2
	s_and_saveexec_b64 s[18:19], vcc
	s_cbranch_execz .LBB115_556
; %bb.529:                              ;   in Loop: Header=BB115_524 Depth=2
	v_mov_b32_e32 v1, s24
	v_add_co_u32_e32 v0, vcc, s23, v2
	v_addc_co_u32_e32 v1, vcc, 0, v1, vcc
	global_load_ubyte v5, v[0:1], off
	s_or_b64 exec, exec, s[18:19]
	v_cmp_gt_u32_e32 vcc, s20, v24
	s_and_saveexec_b64 s[18:19], vcc
	s_cbranch_execnz .LBB115_557
.LBB115_530:                            ;   in Loop: Header=BB115_524 Depth=2
	s_or_b64 exec, exec, s[18:19]
	v_cmp_gt_u32_e32 vcc, s20, v25
	s_and_saveexec_b64 s[18:19], vcc
	s_cbranch_execz .LBB115_558
.LBB115_531:                            ;   in Loop: Header=BB115_524 Depth=2
	v_mov_b32_e32 v1, s24
	v_add_co_u32_e32 v0, vcc, s23, v2
	v_addc_co_u32_e32 v1, vcc, 0, v1, vcc
	global_load_ubyte v7, v[0:1], off offset:512
	s_or_b64 exec, exec, s[18:19]
	v_cmp_gt_u32_e32 vcc, s20, v26
	s_and_saveexec_b64 s[18:19], vcc
	s_cbranch_execnz .LBB115_559
.LBB115_532:                            ;   in Loop: Header=BB115_524 Depth=2
	s_or_b64 exec, exec, s[18:19]
	v_cmp_gt_u32_e32 vcc, s20, v30
	s_and_saveexec_b64 s[18:19], vcc
	s_cbranch_execz .LBB115_560
.LBB115_533:                            ;   in Loop: Header=BB115_524 Depth=2
	v_mov_b32_e32 v1, s24
	v_add_co_u32_e32 v0, vcc, s23, v2
	v_addc_co_u32_e32 v1, vcc, 0, v1, vcc
	global_load_ubyte v9, v[0:1], off offset:1024
	s_or_b64 exec, exec, s[18:19]
	v_cmp_gt_u32_e32 vcc, s20, v31
	s_and_saveexec_b64 s[18:19], vcc
	s_cbranch_execnz .LBB115_561
.LBB115_534:                            ;   in Loop: Header=BB115_524 Depth=2
	s_or_b64 exec, exec, s[18:19]
	v_cmp_gt_u32_e32 vcc, s20, v32
	s_and_saveexec_b64 s[18:19], vcc
	s_cbranch_execz .LBB115_536
.LBB115_535:                            ;   in Loop: Header=BB115_524 Depth=2
	v_mov_b32_e32 v1, s24
	v_add_co_u32_e32 v0, vcc, s23, v2
	v_addc_co_u32_e32 v1, vcc, 0, v1, vcc
	global_load_ubyte v11, v[0:1], off offset:1536
.LBB115_536:                            ;   in Loop: Header=BB115_524 Depth=2
	s_or_b64 exec, exec, s[18:19]
	v_cmp_gt_u32_e32 vcc, s20, v33
                                        ; implicit-def: $sgpr25
                                        ; implicit-def: $vgpr0_vgpr1
	s_and_saveexec_b64 s[18:19], vcc
	s_cbranch_execz .LBB115_538
; %bb.537:                              ;   in Loop: Header=BB115_524 Depth=2
	v_mov_b32_e32 v0, s24
	v_add_co_u32_e32 v1, vcc, s23, v2
	s_waitcnt vmcnt(0)
	v_addc_co_u32_e32 v12, vcc, 0, v0, vcc
	v_add_co_u32_e32 v0, vcc, 0x700, v1
	s_sub_i32 s25, s76, s22
	v_addc_co_u32_e32 v1, vcc, 0, v12, vcc
	s_or_b64 s[16:17], s[16:17], exec
                                        ; implicit-def: $vgpr12
.LBB115_538:                            ;   in Loop: Header=BB115_524 Depth=2
	s_or_b64 exec, exec, s[18:19]
	s_waitcnt vmcnt(0)
	v_mov_b32_e32 v14, v5
	v_mov_b32_e32 v15, v6
	;; [unrolled: 1-line block ×8, first 2 shown]
	s_and_saveexec_b64 s[18:19], s[16:17]
	s_cbranch_execz .LBB115_540
.LBB115_539:                            ;   in Loop: Header=BB115_524 Depth=2
	global_load_ubyte v12, v[0:1], off
	v_mov_b32_e32 v13, s25
	s_waitcnt vmcnt(1)
	v_mov_b32_e32 v5, v14
	v_mov_b32_e32 v6, v15
	;; [unrolled: 1-line block ×7, first 2 shown]
.LBB115_540:                            ;   in Loop: Header=BB115_524 Depth=2
	s_or_b64 exec, exec, s[18:19]
	v_cmp_lt_u32_e32 vcc, v2, v13
	v_lshlrev_b32_e32 v0, 2, v27
	s_and_saveexec_b64 s[16:17], vcc
	s_cbranch_execz .LBB115_548
; %bb.541:                              ;   in Loop: Header=BB115_524 Depth=2
	v_xor_b32_e32 v1, -1, v5
	v_lshrrev_b32_sdwa v1, s69, v1 dst_sel:DWORD dst_unused:UNUSED_PAD src0_sel:DWORD src1_sel:BYTE_0
	v_and_b32_e32 v1, s84, v1
	v_lshl_or_b32 v1, v1, 4, v0
	ds_add_u32 v1, v63
	s_or_b64 exec, exec, s[16:17]
	v_cmp_lt_u32_e32 vcc, v24, v13
	s_and_saveexec_b64 s[16:17], vcc
	s_cbranch_execnz .LBB115_549
.LBB115_542:                            ;   in Loop: Header=BB115_524 Depth=2
	s_or_b64 exec, exec, s[16:17]
	v_cmp_lt_u32_e32 vcc, v25, v13
	s_and_saveexec_b64 s[16:17], vcc
	s_cbranch_execz .LBB115_550
.LBB115_543:                            ;   in Loop: Header=BB115_524 Depth=2
	v_xor_b32_e32 v1, -1, v7
	v_lshrrev_b32_sdwa v1, s69, v1 dst_sel:DWORD dst_unused:UNUSED_PAD src0_sel:DWORD src1_sel:BYTE_0
	v_and_b32_e32 v1, s84, v1
	v_lshl_or_b32 v1, v1, 4, v0
	ds_add_u32 v1, v63
	s_or_b64 exec, exec, s[16:17]
	v_cmp_lt_u32_e32 vcc, v26, v13
	s_and_saveexec_b64 s[16:17], vcc
	s_cbranch_execnz .LBB115_551
.LBB115_544:                            ;   in Loop: Header=BB115_524 Depth=2
	s_or_b64 exec, exec, s[16:17]
	v_cmp_lt_u32_e32 vcc, v30, v13
	s_and_saveexec_b64 s[16:17], vcc
	s_cbranch_execz .LBB115_552
.LBB115_545:                            ;   in Loop: Header=BB115_524 Depth=2
	v_xor_b32_e32 v1, -1, v9
	v_lshrrev_b32_sdwa v1, s69, v1 dst_sel:DWORD dst_unused:UNUSED_PAD src0_sel:DWORD src1_sel:BYTE_0
	v_and_b32_e32 v1, s84, v1
	v_lshl_or_b32 v1, v1, 4, v0
	ds_add_u32 v1, v63
	s_or_b64 exec, exec, s[16:17]
	v_cmp_lt_u32_e32 vcc, v31, v13
	s_and_saveexec_b64 s[16:17], vcc
	s_cbranch_execnz .LBB115_553
.LBB115_546:                            ;   in Loop: Header=BB115_524 Depth=2
	s_or_b64 exec, exec, s[16:17]
	v_cmp_lt_u32_e32 vcc, v32, v13
	s_and_saveexec_b64 s[16:17], vcc
	s_cbranch_execz .LBB115_554
.LBB115_547:                            ;   in Loop: Header=BB115_524 Depth=2
	v_xor_b32_e32 v1, -1, v11
	v_lshrrev_b32_sdwa v1, s69, v1 dst_sel:DWORD dst_unused:UNUSED_PAD src0_sel:DWORD src1_sel:BYTE_0
	v_and_b32_e32 v1, s84, v1
	v_lshl_or_b32 v1, v1, 4, v0
	ds_add_u32 v1, v63
	s_or_b64 exec, exec, s[16:17]
	v_cmp_lt_u32_e32 vcc, v33, v13
	s_and_saveexec_b64 s[16:17], vcc
	s_cbranch_execz .LBB115_523
	s_branch .LBB115_555
.LBB115_548:                            ;   in Loop: Header=BB115_524 Depth=2
	s_or_b64 exec, exec, s[16:17]
	v_cmp_lt_u32_e32 vcc, v24, v13
	s_and_saveexec_b64 s[16:17], vcc
	s_cbranch_execz .LBB115_542
.LBB115_549:                            ;   in Loop: Header=BB115_524 Depth=2
	v_xor_b32_e32 v1, -1, v6
	v_lshrrev_b32_sdwa v1, s69, v1 dst_sel:DWORD dst_unused:UNUSED_PAD src0_sel:DWORD src1_sel:BYTE_0
	v_and_b32_e32 v1, s84, v1
	v_lshl_or_b32 v1, v1, 4, v0
	ds_add_u32 v1, v63
	s_or_b64 exec, exec, s[16:17]
	v_cmp_lt_u32_e32 vcc, v25, v13
	s_and_saveexec_b64 s[16:17], vcc
	s_cbranch_execnz .LBB115_543
.LBB115_550:                            ;   in Loop: Header=BB115_524 Depth=2
	s_or_b64 exec, exec, s[16:17]
	v_cmp_lt_u32_e32 vcc, v26, v13
	s_and_saveexec_b64 s[16:17], vcc
	s_cbranch_execz .LBB115_544
.LBB115_551:                            ;   in Loop: Header=BB115_524 Depth=2
	v_xor_b32_e32 v1, -1, v8
	v_lshrrev_b32_sdwa v1, s69, v1 dst_sel:DWORD dst_unused:UNUSED_PAD src0_sel:DWORD src1_sel:BYTE_0
	v_and_b32_e32 v1, s84, v1
	v_lshl_or_b32 v1, v1, 4, v0
	ds_add_u32 v1, v63
	s_or_b64 exec, exec, s[16:17]
	v_cmp_lt_u32_e32 vcc, v30, v13
	s_and_saveexec_b64 s[16:17], vcc
	s_cbranch_execnz .LBB115_545
.LBB115_552:                            ;   in Loop: Header=BB115_524 Depth=2
	s_or_b64 exec, exec, s[16:17]
	v_cmp_lt_u32_e32 vcc, v31, v13
	s_and_saveexec_b64 s[16:17], vcc
	s_cbranch_execz .LBB115_546
.LBB115_553:                            ;   in Loop: Header=BB115_524 Depth=2
	v_xor_b32_e32 v1, -1, v10
	v_lshrrev_b32_sdwa v1, s69, v1 dst_sel:DWORD dst_unused:UNUSED_PAD src0_sel:DWORD src1_sel:BYTE_0
	v_and_b32_e32 v1, s84, v1
	v_lshl_or_b32 v1, v1, 4, v0
	ds_add_u32 v1, v63
	s_or_b64 exec, exec, s[16:17]
	v_cmp_lt_u32_e32 vcc, v32, v13
	s_and_saveexec_b64 s[16:17], vcc
	s_cbranch_execnz .LBB115_547
.LBB115_554:                            ;   in Loop: Header=BB115_524 Depth=2
	s_or_b64 exec, exec, s[16:17]
	v_cmp_lt_u32_e32 vcc, v33, v13
	s_and_saveexec_b64 s[16:17], vcc
	s_cbranch_execz .LBB115_523
.LBB115_555:                            ;   in Loop: Header=BB115_524 Depth=2
	s_waitcnt vmcnt(0)
	v_xor_b32_e32 v1, -1, v12
	v_lshrrev_b32_sdwa v1, s69, v1 dst_sel:DWORD dst_unused:UNUSED_PAD src0_sel:DWORD src1_sel:BYTE_0
	v_and_b32_e32 v1, s84, v1
	v_lshl_or_b32 v0, v1, 4, v0
	ds_add_u32 v0, v63
	s_branch .LBB115_523
.LBB115_556:                            ;   in Loop: Header=BB115_524 Depth=2
	s_or_b64 exec, exec, s[18:19]
	v_cmp_gt_u32_e32 vcc, s20, v24
	s_and_saveexec_b64 s[18:19], vcc
	s_cbranch_execz .LBB115_530
.LBB115_557:                            ;   in Loop: Header=BB115_524 Depth=2
	v_mov_b32_e32 v1, s24
	v_add_co_u32_e32 v0, vcc, s23, v2
	v_addc_co_u32_e32 v1, vcc, 0, v1, vcc
	global_load_ubyte v6, v[0:1], off offset:256
	s_or_b64 exec, exec, s[18:19]
	v_cmp_gt_u32_e32 vcc, s20, v25
	s_and_saveexec_b64 s[18:19], vcc
	s_cbranch_execnz .LBB115_531
.LBB115_558:                            ;   in Loop: Header=BB115_524 Depth=2
	s_or_b64 exec, exec, s[18:19]
	v_cmp_gt_u32_e32 vcc, s20, v26
	s_and_saveexec_b64 s[18:19], vcc
	s_cbranch_execz .LBB115_532
.LBB115_559:                            ;   in Loop: Header=BB115_524 Depth=2
	v_mov_b32_e32 v1, s24
	v_add_co_u32_e32 v0, vcc, s23, v2
	v_addc_co_u32_e32 v1, vcc, 0, v1, vcc
	global_load_ubyte v8, v[0:1], off offset:768
	s_or_b64 exec, exec, s[18:19]
	v_cmp_gt_u32_e32 vcc, s20, v30
	s_and_saveexec_b64 s[18:19], vcc
	s_cbranch_execnz .LBB115_533
.LBB115_560:                            ;   in Loop: Header=BB115_524 Depth=2
	s_or_b64 exec, exec, s[18:19]
	v_cmp_gt_u32_e32 vcc, s20, v31
	s_and_saveexec_b64 s[18:19], vcc
	s_cbranch_execz .LBB115_534
.LBB115_561:                            ;   in Loop: Header=BB115_524 Depth=2
	v_mov_b32_e32 v1, s24
	v_add_co_u32_e32 v0, vcc, s23, v2
	v_addc_co_u32_e32 v1, vcc, 0, v1, vcc
	global_load_ubyte v10, v[0:1], off offset:1280
	s_or_b64 exec, exec, s[18:19]
	v_cmp_gt_u32_e32 vcc, s20, v32
	s_and_saveexec_b64 s[18:19], vcc
	s_cbranch_execz .LBB115_536
	s_branch .LBB115_535
.LBB115_562:                            ;   in Loop: Header=BB115_20 Depth=1
	v_mov_b32_e32 v0, 0
	s_waitcnt lgkmcnt(0)
	s_barrier
	s_and_saveexec_b64 s[16:17], s[4:5]
	s_cbranch_execz .LBB115_564
; %bb.563:                              ;   in Loop: Header=BB115_20 Depth=1
	ds_read2_b64 v[6:9], v34 offset1:1
	s_waitcnt lgkmcnt(0)
	v_add_u32_e32 v0, v7, v6
	v_add3_u32 v0, v0, v8, v9
.LBB115_564:                            ;   in Loop: Header=BB115_20 Depth=1
	s_or_b64 exec, exec, s[16:17]
	v_and_b32_e32 v1, 15, v64
	v_mov_b32_dpp v5, v0 row_shr:1 row_mask:0xf bank_mask:0xf
	v_cmp_eq_u32_e64 s[16:17], 0, v1
	v_cndmask_b32_e64 v5, v5, 0, s[16:17]
	v_add_u32_e32 v0, v5, v0
	v_cmp_lt_u32_e64 s[18:19], 1, v1
	v_cmp_lt_u32_e64 s[20:21], 3, v1
	v_mov_b32_dpp v5, v0 row_shr:2 row_mask:0xf bank_mask:0xf
	v_cndmask_b32_e64 v5, 0, v5, s[18:19]
	v_add_u32_e32 v0, v0, v5
	v_cmp_lt_u32_e64 s[22:23], 7, v1
	v_cmp_lt_u32_e64 s[26:27], 31, v64
	v_mov_b32_dpp v5, v0 row_shr:4 row_mask:0xf bank_mask:0xf
	v_cndmask_b32_e64 v5, 0, v5, s[20:21]
	v_add_u32_e32 v0, v0, v5
	v_and_b32_e32 v6, 16, v64
	v_cmp_eq_u32_e64 s[24:25], 0, v6
	v_mov_b32_dpp v5, v0 row_shr:8 row_mask:0xf bank_mask:0xf
	v_cndmask_b32_e64 v1, 0, v5, s[22:23]
	v_add_u32_e32 v0, v0, v1
	v_bfe_i32 v5, v64, 4, 1
	s_nop 0
	v_mov_b32_dpp v1, v0 row_bcast:15 row_mask:0xf bank_mask:0xf
	v_and_b32_e32 v1, v5, v1
	v_add_u32_e32 v0, v0, v1
	s_nop 1
	v_mov_b32_dpp v1, v0 row_bcast:31 row_mask:0xf bank_mask:0xf
	v_cndmask_b32_e64 v1, 0, v1, s[26:27]
	v_add_u32_e32 v1, v0, v1
	s_and_saveexec_b64 s[28:29], s[6:7]
	s_cbranch_execz .LBB115_566
; %bb.565:                              ;   in Loop: Header=BB115_20 Depth=1
	ds_write_b32 v36, v1
.LBB115_566:                            ;   in Loop: Header=BB115_20 Depth=1
	s_or_b64 exec, exec, s[28:29]
	v_and_b32_e32 v0, 3, v64
	s_waitcnt lgkmcnt(0)
	s_barrier
	s_and_saveexec_b64 s[28:29], s[8:9]
	s_cbranch_execz .LBB115_568
; %bb.567:                              ;   in Loop: Header=BB115_20 Depth=1
	ds_read_b32 v5, v37
	v_cmp_ne_u32_e32 vcc, 0, v0
	s_waitcnt lgkmcnt(0)
	v_mov_b32_dpp v6, v5 row_shr:1 row_mask:0xf bank_mask:0xf
	v_cndmask_b32_e32 v6, 0, v6, vcc
	v_add_u32_e32 v5, v6, v5
	v_cmp_lt_u32_e32 vcc, 1, v0
	s_nop 0
	v_mov_b32_dpp v6, v5 row_shr:2 row_mask:0xf bank_mask:0xf
	v_cndmask_b32_e32 v6, 0, v6, vcc
	v_add_u32_e32 v5, v5, v6
	ds_write_b32 v37, v5
.LBB115_568:                            ;   in Loop: Header=BB115_20 Depth=1
	s_or_b64 exec, exec, s[28:29]
	v_mov_b32_e32 v5, 0
	s_waitcnt lgkmcnt(0)
	s_barrier
	s_and_saveexec_b64 s[28:29], s[10:11]
	s_cbranch_execz .LBB115_570
; %bb.569:                              ;   in Loop: Header=BB115_20 Depth=1
	ds_read_b32 v5, v38
.LBB115_570:                            ;   in Loop: Header=BB115_20 Depth=1
	s_or_b64 exec, exec, s[28:29]
	v_add_u32_e32 v6, -1, v64
	v_and_b32_e32 v7, 64, v64
	v_cmp_lt_i32_e32 vcc, v6, v7
	v_cndmask_b32_e32 v6, v6, v64, vcc
	s_waitcnt lgkmcnt(0)
	v_add_u32_e32 v1, v5, v1
	v_lshlrev_b32_e32 v66, 2, v6
	ds_bpermute_b32 v1, v66, v1
	v_cmp_eq_u32_e64 s[28:29], 0, v64
	s_waitcnt lgkmcnt(0)
	s_barrier
	s_and_saveexec_b64 s[30:31], s[4:5]
	s_cbranch_execz .LBB115_572
; %bb.571:                              ;   in Loop: Header=BB115_20 Depth=1
	v_cndmask_b32_e64 v1, v1, v5, s[28:29]
	v_add_u32_e32 v1, s51, v1
	ds_write_b32 v3, v1
.LBB115_572:                            ;   in Loop: Header=BB115_20 Depth=1
	s_or_b64 exec, exec, s[30:31]
	s_load_dwordx2 s[30:31], s[74:75], 0x0
	v_and_b32_e32 v21, 63, v64
	v_add_co_u32_e32 v75, vcc, v61, v21
	v_lshlrev_b32_e32 v22, 3, v21
	s_waitcnt lgkmcnt(0)
	s_cmp_lt_u32 s50, s30
	s_cselect_b32 s34, 12, 18
	s_cmp_lt_u32 s33, s31
	s_cselect_b32 s30, 14, 20
	s_add_u32 s30, s74, s30
	s_addc_u32 s31, s75, 0
	s_add_u32 s34, s74, s34
	global_load_ushort v5, v4, s[30:31]
	s_addc_u32 s35, s75, 0
	global_load_ushort v20, v4, s[34:35]
	v_addc_co_u32_e32 v77, vcc, 0, v62, vcc
	v_add_co_u32_e32 v78, vcc, v59, v22
	v_addc_co_u32_e32 v79, vcc, 0, v60, vcc
	v_or_b32_e32 v73, v21, v39
	v_add_co_u32_e32 v87, vcc, 0x1c0, v75
	v_cmp_eq_u32_e64 s[30:31], 0, v0
	v_cmp_lt_u32_e64 s[34:35], 1, v0
	s_mov_b32 s85, s71
	v_or_b32_e32 v80, 64, v73
	v_or_b32_e32 v81, 0x80, v73
	;; [unrolled: 1-line block ×7, first 2 shown]
	v_addc_co_u32_e32 v88, vcc, 0, v77, vcc
	s_mov_b32 s72, s51
                                        ; implicit-def: $vgpr0_vgpr1
                                        ; implicit-def: $vgpr6_vgpr7
                                        ; implicit-def: $vgpr8_vgpr9
                                        ; implicit-def: $vgpr10_vgpr11
                                        ; implicit-def: $vgpr12_vgpr13
                                        ; implicit-def: $vgpr14_vgpr15
                                        ; implicit-def: $vgpr16_vgpr17
                                        ; implicit-def: $vgpr18_vgpr19
                                        ; implicit-def: $vgpr67
                                        ; implicit-def: $vgpr68
                                        ; implicit-def: $vgpr69
                                        ; implicit-def: $vgpr70
                                        ; implicit-def: $vgpr71
                                        ; implicit-def: $vgpr72
                                        ; implicit-def: $vgpr74
                                        ; implicit-def: $vgpr76
	s_waitcnt vmcnt(1)
	v_mad_u32_u24 v5, v40, v5, v41
	s_waitcnt vmcnt(0)
	v_mad_u64_u32 v[20:21], s[36:37], v5, v20, v[2:3]
	v_lshrrev_b32_e32 v89, 6, v20
	s_branch .LBB115_574
.LBB115_573:                            ;   in Loop: Header=BB115_574 Depth=2
	s_or_b64 exec, exec, s[36:37]
	s_addk_i32 s85, 0xf800
	s_cmp_lt_u32 s86, s76
	s_mov_b32 s72, s86
	s_cbranch_scc0 .LBB115_18
.LBB115_574:                            ;   Parent Loop BB115_20 Depth=1
                                        ; =>  This Inner Loop Header: Depth=2
	s_add_i32 s86, s72, 0x800
	s_cmp_gt_u32 s86, s76
	s_cbranch_scc1 .LBB115_576
; %bb.575:                              ;   in Loop: Header=BB115_574 Depth=2
	v_add_co_u32_e32 v20, vcc, s72, v75
	v_addc_co_u32_e32 v21, vcc, 0, v77, vcc
	global_load_ubyte v5, v[20:21], off offset:64
	global_load_ubyte v22, v[20:21], off offset:192
	;; [unrolled: 1-line block ×3, first 2 shown]
	global_load_ubyte v90, v[20:21], off
	global_load_ubyte v91, v[20:21], off offset:128
	global_load_ubyte v92, v[20:21], off offset:256
	s_nop 0
	global_load_ubyte v21, v[20:21], off offset:384
	s_mov_b64 s[36:37], -1
	s_movk_i32 s40, 0x800
	s_waitcnt vmcnt(6)
	v_lshlrev_b16_e32 v5, 8, v5
	s_waitcnt vmcnt(5)
	v_lshlrev_b16_e32 v20, 8, v22
	s_waitcnt vmcnt(4)
	v_lshlrev_b16_e32 v22, 8, v23
	s_waitcnt vmcnt(3)
	v_or_b32_e32 v5, v90, v5
	s_waitcnt vmcnt(2)
	v_or_b32_sdwa v20, v91, v20 dst_sel:WORD_1 dst_unused:UNUSED_PAD src0_sel:DWORD src1_sel:DWORD
	s_waitcnt vmcnt(1)
	v_or_b32_e32 v22, v92, v22
	v_or_b32_sdwa v20, v5, v20 dst_sel:DWORD dst_unused:UNUSED_PAD src0_sel:WORD_0 src1_sel:DWORD
	v_and_b32_e32 v5, 0xffff, v22
	s_waitcnt vmcnt(0)
	v_lshl_or_b32 v21, v21, 16, v5
	s_cbranch_execz .LBB115_577
	s_branch .LBB115_586
.LBB115_576:                            ;   in Loop: Header=BB115_574 Depth=2
	s_mov_b64 s[36:37], 0
                                        ; implicit-def: $sgpr40
                                        ; implicit-def: $vgpr20_vgpr21
.LBB115_577:                            ;   in Loop: Header=BB115_574 Depth=2
	v_add_co_u32_e32 v22, vcc, s72, v75
	v_addc_co_u32_e32 v23, vcc, 0, v77, vcc
	s_mov_b32 s36, s73
	s_mov_b32 s37, s73
	v_cmp_gt_u32_e32 vcc, s85, v73
	v_pk_mov_b32 v[20:21], s[36:37], s[36:37] op_sel:[0,1]
	s_and_saveexec_b64 s[36:37], vcc
	s_cbranch_execz .LBB115_680
; %bb.578:                              ;   in Loop: Header=BB115_574 Depth=2
	global_load_ubyte v5, v[22:23], off
	v_mov_b32_e32 v21, s73
	s_waitcnt vmcnt(0)
	v_and_b32_e32 v20, 0xffff, v5
	s_or_b64 exec, exec, s[36:37]
	v_cmp_gt_u32_e32 vcc, s85, v80
	s_and_saveexec_b64 s[36:37], vcc
	s_cbranch_execnz .LBB115_681
.LBB115_579:                            ;   in Loop: Header=BB115_574 Depth=2
	s_or_b64 exec, exec, s[36:37]
	v_cmp_gt_u32_e32 vcc, s85, v81
	s_and_saveexec_b64 s[36:37], vcc
	s_cbranch_execz .LBB115_682
.LBB115_580:                            ;   in Loop: Header=BB115_574 Depth=2
	global_load_ubyte v5, v[22:23], off offset:128
	v_and_b32_sdwa v90, v20, s79 dst_sel:DWORD dst_unused:UNUSED_PAD src0_sel:WORD_1 src1_sel:DWORD
	s_waitcnt vmcnt(0)
	v_or_b32_sdwa v5, v5, v90 dst_sel:WORD_1 dst_unused:UNUSED_PAD src0_sel:DWORD src1_sel:DWORD
	v_and_or_b32 v20, v20, s77, v5
	s_or_b64 exec, exec, s[36:37]
	v_cmp_gt_u32_e32 vcc, s85, v82
	s_and_saveexec_b64 s[36:37], vcc
	s_cbranch_execnz .LBB115_683
.LBB115_581:                            ;   in Loop: Header=BB115_574 Depth=2
	s_or_b64 exec, exec, s[36:37]
	v_cmp_gt_u32_e32 vcc, s85, v83
	s_and_saveexec_b64 s[36:37], vcc
	s_cbranch_execz .LBB115_684
.LBB115_582:                            ;   in Loop: Header=BB115_574 Depth=2
	global_load_ubyte v5, v[22:23], off offset:256
	s_waitcnt vmcnt(0)
	v_perm_b32 v21, v5, v21, s80
	s_or_b64 exec, exec, s[36:37]
	v_cmp_gt_u32_e32 vcc, s85, v84
	s_and_saveexec_b64 s[36:37], vcc
	s_cbranch_execnz .LBB115_685
.LBB115_583:                            ;   in Loop: Header=BB115_574 Depth=2
	s_or_b64 exec, exec, s[36:37]
	v_cmp_gt_u32_e32 vcc, s85, v85
	s_and_saveexec_b64 s[36:37], vcc
	s_cbranch_execz .LBB115_585
.LBB115_584:                            ;   in Loop: Header=BB115_574 Depth=2
	global_load_ubyte v5, v[22:23], off offset:384
	s_waitcnt vmcnt(0)
	v_perm_b32 v21, v21, v5, s81
.LBB115_585:                            ;   in Loop: Header=BB115_574 Depth=2
	s_or_b64 exec, exec, s[36:37]
	s_sub_i32 s40, s76, s72
	v_cmp_gt_u32_e64 s[36:37], s85, v86
.LBB115_586:                            ;   in Loop: Header=BB115_574 Depth=2
	v_mov_b32_e32 v90, s85
	s_and_saveexec_b64 s[38:39], s[36:37]
	s_cbranch_execz .LBB115_588
; %bb.587:                              ;   in Loop: Header=BB115_574 Depth=2
	v_mov_b32_e32 v5, s73
	v_add_co_u32_e32 v22, vcc, s72, v87
	v_addc_co_u32_e32 v23, vcc, v88, v5, vcc
	global_load_ubyte v5, v[22:23], off
	v_mov_b32_e32 v90, s40
	s_waitcnt vmcnt(0)
	v_perm_b32 v21, v21, v5, s82
.LBB115_588:                            ;   in Loop: Header=BB115_574 Depth=2
	s_or_b64 exec, exec, s[38:39]
	v_xor_b32_e32 v91, -1, v20
	v_add_u32_e32 v5, 0x410, v42
	ds_write2_b32 v5, v4, v4 offset1:1
	ds_write2_b32 v44, v4, v4 offset0:2 offset1:3
	ds_write_b32 v44, v4 offset:16
	v_lshrrev_b32_sdwa v5, s69, v91 dst_sel:DWORD dst_unused:UNUSED_PAD src0_sel:DWORD src1_sel:BYTE_0
	v_and_b32_e32 v22, s84, v5
	v_mad_u32_u24 v5, v22, 5, v89
	v_lshl_add_u32 v92, v5, 2, v43
	v_and_b32_e32 v5, 1, v22
	v_add_co_u32_e32 v23, vcc, -1, v5
	v_addc_co_u32_e64 v93, s[36:37], 0, -1, vcc
	v_cmp_ne_u32_e32 vcc, 0, v5
	v_xor_b32_e32 v5, vcc_hi, v93
	v_and_b32_e32 v93, exec_hi, v5
	v_lshlrev_b32_e32 v5, 30, v22
	v_xor_b32_e32 v23, vcc_lo, v23
	v_cmp_gt_i64_e32 vcc, 0, v[4:5]
	v_not_b32_e32 v5, v5
	v_ashrrev_i32_e32 v5, 31, v5
	v_and_b32_e32 v23, exec_lo, v23
	v_xor_b32_e32 v94, vcc_hi, v5
	v_xor_b32_e32 v5, vcc_lo, v5
	v_and_b32_e32 v23, v23, v5
	v_lshlrev_b32_e32 v5, 29, v22
	v_cmp_gt_i64_e32 vcc, 0, v[4:5]
	v_not_b32_e32 v5, v5
	v_ashrrev_i32_e32 v5, 31, v5
	v_and_b32_e32 v93, v93, v94
	v_xor_b32_e32 v94, vcc_hi, v5
	v_xor_b32_e32 v5, vcc_lo, v5
	v_and_b32_e32 v23, v23, v5
	v_lshlrev_b32_e32 v5, 28, v22
	v_cmp_gt_i64_e32 vcc, 0, v[4:5]
	v_not_b32_e32 v5, v5
	v_ashrrev_i32_e32 v5, 31, v5
	v_and_b32_e32 v93, v93, v94
	v_xor_b32_e32 v94, vcc_hi, v5
	v_xor_b32_e32 v5, vcc_lo, v5
	v_and_b32_e32 v23, v23, v5
	v_lshlrev_b32_e32 v5, 27, v22
	v_cmp_gt_i64_e32 vcc, 0, v[4:5]
	v_not_b32_e32 v5, v5
	v_ashrrev_i32_e32 v5, 31, v5
	v_and_b32_e32 v93, v93, v94
	v_xor_b32_e32 v94, vcc_hi, v5
	v_xor_b32_e32 v5, vcc_lo, v5
	v_and_b32_e32 v23, v23, v5
	v_lshlrev_b32_e32 v5, 26, v22
	v_cmp_gt_i64_e32 vcc, 0, v[4:5]
	v_not_b32_e32 v5, v5
	v_ashrrev_i32_e32 v5, 31, v5
	v_and_b32_e32 v93, v93, v94
	v_xor_b32_e32 v94, vcc_hi, v5
	v_xor_b32_e32 v5, vcc_lo, v5
	v_and_b32_e32 v23, v23, v5
	v_lshlrev_b32_e32 v5, 25, v22
	v_cmp_gt_i64_e32 vcc, 0, v[4:5]
	v_not_b32_e32 v5, v5
	v_ashrrev_i32_e32 v5, 31, v5
	v_and_b32_e32 v93, v93, v94
	v_xor_b32_e32 v94, vcc_hi, v5
	v_xor_b32_e32 v5, vcc_lo, v5
	v_and_b32_e32 v93, v93, v94
	v_and_b32_e32 v94, v23, v5
	v_lshlrev_b32_e32 v5, 24, v22
	v_cmp_gt_i64_e32 vcc, 0, v[4:5]
	v_not_b32_e32 v5, v5
	v_ashrrev_i32_e32 v5, 31, v5
	v_xor_b32_e32 v22, vcc_hi, v5
	v_xor_b32_e32 v5, vcc_lo, v5
	v_and_b32_e32 v23, v93, v22
	v_and_b32_e32 v22, v94, v5
	v_mbcnt_lo_u32_b32 v5, v22, 0
	v_mbcnt_hi_u32_b32 v93, v23, v5
	v_cmp_eq_u32_e32 vcc, 0, v93
	v_cmp_ne_u64_e64 s[36:37], 0, v[22:23]
	s_and_b64 s[38:39], s[36:37], vcc
	s_waitcnt lgkmcnt(0)
	s_barrier
	s_waitcnt lgkmcnt(0)
	; wave barrier
	s_and_saveexec_b64 s[36:37], s[38:39]
	s_cbranch_execz .LBB115_590
; %bb.589:                              ;   in Loop: Header=BB115_574 Depth=2
	v_bcnt_u32_b32 v5, v22, 0
	v_bcnt_u32_b32 v5, v23, v5
	ds_write_b32 v92, v5
.LBB115_590:                            ;   in Loop: Header=BB115_574 Depth=2
	s_or_b64 exec, exec, s[36:37]
	v_lshrrev_b32_e32 v5, 8, v20
	v_xor_b32_e32 v94, -1, v5
	v_lshrrev_b32_sdwa v5, s69, v94 dst_sel:DWORD dst_unused:UNUSED_PAD src0_sel:DWORD src1_sel:BYTE_0
	v_and_b32_e32 v22, s84, v5
	v_mul_u32_u24_e32 v5, 5, v22
	v_add_lshl_u32 v5, v5, v89, 2
	; wave barrier
	v_add_u32_e32 v96, 0x410, v5
	ds_read_b32 v95, v5 offset:1040
	v_and_b32_e32 v5, 1, v22
	v_add_co_u32_e32 v23, vcc, -1, v5
	v_addc_co_u32_e64 v97, s[36:37], 0, -1, vcc
	v_cmp_ne_u32_e32 vcc, 0, v5
	v_xor_b32_e32 v5, vcc_hi, v97
	v_and_b32_e32 v97, exec_hi, v5
	v_lshlrev_b32_e32 v5, 30, v22
	v_xor_b32_e32 v23, vcc_lo, v23
	v_cmp_gt_i64_e32 vcc, 0, v[4:5]
	v_not_b32_e32 v5, v5
	v_ashrrev_i32_e32 v5, 31, v5
	v_and_b32_e32 v23, exec_lo, v23
	v_xor_b32_e32 v98, vcc_hi, v5
	v_xor_b32_e32 v5, vcc_lo, v5
	v_and_b32_e32 v23, v23, v5
	v_lshlrev_b32_e32 v5, 29, v22
	v_cmp_gt_i64_e32 vcc, 0, v[4:5]
	v_not_b32_e32 v5, v5
	v_ashrrev_i32_e32 v5, 31, v5
	v_and_b32_e32 v97, v97, v98
	v_xor_b32_e32 v98, vcc_hi, v5
	v_xor_b32_e32 v5, vcc_lo, v5
	v_and_b32_e32 v23, v23, v5
	v_lshlrev_b32_e32 v5, 28, v22
	v_cmp_gt_i64_e32 vcc, 0, v[4:5]
	v_not_b32_e32 v5, v5
	v_ashrrev_i32_e32 v5, 31, v5
	v_and_b32_e32 v97, v97, v98
	;; [unrolled: 8-line block ×5, first 2 shown]
	v_xor_b32_e32 v98, vcc_hi, v5
	v_xor_b32_e32 v5, vcc_lo, v5
	v_and_b32_e32 v97, v97, v98
	v_and_b32_e32 v98, v23, v5
	v_lshlrev_b32_e32 v5, 24, v22
	v_cmp_gt_i64_e32 vcc, 0, v[4:5]
	v_not_b32_e32 v5, v5
	v_ashrrev_i32_e32 v5, 31, v5
	v_xor_b32_e32 v22, vcc_hi, v5
	v_xor_b32_e32 v5, vcc_lo, v5
	v_and_b32_e32 v23, v97, v22
	v_and_b32_e32 v22, v98, v5
	v_mbcnt_lo_u32_b32 v5, v22, 0
	v_mbcnt_hi_u32_b32 v97, v23, v5
	v_cmp_eq_u32_e32 vcc, 0, v97
	v_cmp_ne_u64_e64 s[36:37], 0, v[22:23]
	s_and_b64 s[38:39], s[36:37], vcc
	; wave barrier
	s_and_saveexec_b64 s[36:37], s[38:39]
	s_cbranch_execz .LBB115_592
; %bb.591:                              ;   in Loop: Header=BB115_574 Depth=2
	v_bcnt_u32_b32 v5, v22, 0
	v_bcnt_u32_b32 v5, v23, v5
	s_waitcnt lgkmcnt(0)
	v_add_u32_e32 v5, v95, v5
	ds_write_b32 v96, v5
.LBB115_592:                            ;   in Loop: Header=BB115_574 Depth=2
	s_or_b64 exec, exec, s[36:37]
	v_xor_b32_sdwa v98, v20, v65 dst_sel:DWORD dst_unused:UNUSED_PAD src0_sel:WORD_1 src1_sel:DWORD
	v_lshrrev_b32_sdwa v5, s69, v98 dst_sel:DWORD dst_unused:UNUSED_PAD src0_sel:DWORD src1_sel:BYTE_0
	v_and_b32_e32 v22, s84, v5
	v_mul_u32_u24_e32 v5, 5, v22
	v_add_lshl_u32 v5, v5, v89, 2
	; wave barrier
	v_add_u32_e32 v100, 0x410, v5
	ds_read_b32 v99, v5 offset:1040
	v_and_b32_e32 v5, 1, v22
	v_add_co_u32_e32 v23, vcc, -1, v5
	v_addc_co_u32_e64 v101, s[36:37], 0, -1, vcc
	v_cmp_ne_u32_e32 vcc, 0, v5
	v_xor_b32_e32 v5, vcc_hi, v101
	v_and_b32_e32 v101, exec_hi, v5
	v_lshlrev_b32_e32 v5, 30, v22
	v_xor_b32_e32 v23, vcc_lo, v23
	v_cmp_gt_i64_e32 vcc, 0, v[4:5]
	v_not_b32_e32 v5, v5
	v_ashrrev_i32_e32 v5, 31, v5
	v_and_b32_e32 v23, exec_lo, v23
	v_xor_b32_e32 v102, vcc_hi, v5
	v_xor_b32_e32 v5, vcc_lo, v5
	v_and_b32_e32 v23, v23, v5
	v_lshlrev_b32_e32 v5, 29, v22
	v_cmp_gt_i64_e32 vcc, 0, v[4:5]
	v_not_b32_e32 v5, v5
	v_ashrrev_i32_e32 v5, 31, v5
	v_and_b32_e32 v101, v101, v102
	v_xor_b32_e32 v102, vcc_hi, v5
	v_xor_b32_e32 v5, vcc_lo, v5
	v_and_b32_e32 v23, v23, v5
	v_lshlrev_b32_e32 v5, 28, v22
	v_cmp_gt_i64_e32 vcc, 0, v[4:5]
	v_not_b32_e32 v5, v5
	v_ashrrev_i32_e32 v5, 31, v5
	v_and_b32_e32 v101, v101, v102
	;; [unrolled: 8-line block ×5, first 2 shown]
	v_xor_b32_e32 v102, vcc_hi, v5
	v_xor_b32_e32 v5, vcc_lo, v5
	v_and_b32_e32 v101, v101, v102
	v_and_b32_e32 v102, v23, v5
	v_lshlrev_b32_e32 v5, 24, v22
	v_cmp_gt_i64_e32 vcc, 0, v[4:5]
	v_not_b32_e32 v5, v5
	v_ashrrev_i32_e32 v5, 31, v5
	v_xor_b32_e32 v22, vcc_hi, v5
	v_xor_b32_e32 v5, vcc_lo, v5
	v_and_b32_e32 v23, v101, v22
	v_and_b32_e32 v22, v102, v5
	v_mbcnt_lo_u32_b32 v5, v22, 0
	v_mbcnt_hi_u32_b32 v101, v23, v5
	v_cmp_eq_u32_e32 vcc, 0, v101
	v_cmp_ne_u64_e64 s[36:37], 0, v[22:23]
	s_and_b64 s[38:39], s[36:37], vcc
	; wave barrier
	s_and_saveexec_b64 s[36:37], s[38:39]
	s_cbranch_execz .LBB115_594
; %bb.593:                              ;   in Loop: Header=BB115_574 Depth=2
	v_bcnt_u32_b32 v5, v22, 0
	v_bcnt_u32_b32 v5, v23, v5
	s_waitcnt lgkmcnt(0)
	v_add_u32_e32 v5, v99, v5
	ds_write_b32 v100, v5
.LBB115_594:                            ;   in Loop: Header=BB115_574 Depth=2
	s_or_b64 exec, exec, s[36:37]
	v_lshrrev_b64 v[22:23], 24, v[20:21]
	v_xor_b32_e32 v102, -1, v22
	v_lshrrev_b32_sdwa v5, s69, v102 dst_sel:DWORD dst_unused:UNUSED_PAD src0_sel:DWORD src1_sel:BYTE_0
	v_and_b32_e32 v20, s84, v5
	v_mul_u32_u24_e32 v5, 5, v20
	v_add_lshl_u32 v5, v5, v89, 2
	; wave barrier
	v_add_u32_e32 v104, 0x410, v5
	ds_read_b32 v103, v5 offset:1040
	v_and_b32_e32 v5, 1, v20
	v_add_co_u32_e32 v22, vcc, -1, v5
	v_addc_co_u32_e64 v23, s[36:37], 0, -1, vcc
	v_cmp_ne_u32_e32 vcc, 0, v5
	v_xor_b32_e32 v5, vcc_hi, v23
	v_and_b32_e32 v23, exec_hi, v5
	v_lshlrev_b32_e32 v5, 30, v20
	v_xor_b32_e32 v22, vcc_lo, v22
	v_cmp_gt_i64_e32 vcc, 0, v[4:5]
	v_not_b32_e32 v5, v5
	v_ashrrev_i32_e32 v5, 31, v5
	v_and_b32_e32 v22, exec_lo, v22
	v_xor_b32_e32 v105, vcc_hi, v5
	v_xor_b32_e32 v5, vcc_lo, v5
	v_and_b32_e32 v22, v22, v5
	v_lshlrev_b32_e32 v5, 29, v20
	v_cmp_gt_i64_e32 vcc, 0, v[4:5]
	v_not_b32_e32 v5, v5
	v_ashrrev_i32_e32 v5, 31, v5
	v_and_b32_e32 v23, v23, v105
	v_xor_b32_e32 v105, vcc_hi, v5
	v_xor_b32_e32 v5, vcc_lo, v5
	v_and_b32_e32 v22, v22, v5
	v_lshlrev_b32_e32 v5, 28, v20
	v_cmp_gt_i64_e32 vcc, 0, v[4:5]
	v_not_b32_e32 v5, v5
	v_ashrrev_i32_e32 v5, 31, v5
	v_and_b32_e32 v23, v23, v105
	;; [unrolled: 8-line block ×5, first 2 shown]
	v_xor_b32_e32 v105, vcc_hi, v5
	v_xor_b32_e32 v5, vcc_lo, v5
	v_and_b32_e32 v22, v22, v5
	v_lshlrev_b32_e32 v5, 24, v20
	v_cmp_gt_i64_e32 vcc, 0, v[4:5]
	v_not_b32_e32 v5, v5
	v_ashrrev_i32_e32 v5, 31, v5
	v_xor_b32_e32 v20, vcc_hi, v5
	v_xor_b32_e32 v5, vcc_lo, v5
	v_and_b32_e32 v23, v23, v105
	v_and_b32_e32 v22, v22, v5
	;; [unrolled: 1-line block ×3, first 2 shown]
	v_mbcnt_lo_u32_b32 v5, v22, 0
	v_mbcnt_hi_u32_b32 v105, v23, v5
	v_cmp_eq_u32_e32 vcc, 0, v105
	v_cmp_ne_u64_e64 s[36:37], 0, v[22:23]
	s_and_b64 s[38:39], s[36:37], vcc
	; wave barrier
	s_and_saveexec_b64 s[36:37], s[38:39]
	s_cbranch_execz .LBB115_596
; %bb.595:                              ;   in Loop: Header=BB115_574 Depth=2
	v_bcnt_u32_b32 v5, v22, 0
	v_bcnt_u32_b32 v5, v23, v5
	s_waitcnt lgkmcnt(0)
	v_add_u32_e32 v5, v103, v5
	ds_write_b32 v104, v5
.LBB115_596:                            ;   in Loop: Header=BB115_574 Depth=2
	s_or_b64 exec, exec, s[36:37]
	v_xor_b32_e32 v106, -1, v21
	v_lshrrev_b32_sdwa v5, s69, v106 dst_sel:DWORD dst_unused:UNUSED_PAD src0_sel:DWORD src1_sel:BYTE_0
	v_and_b32_e32 v20, s84, v5
	v_mul_u32_u24_e32 v5, 5, v20
	v_add_lshl_u32 v5, v5, v89, 2
	; wave barrier
	v_add_u32_e32 v108, 0x410, v5
	ds_read_b32 v107, v5 offset:1040
	v_and_b32_e32 v5, 1, v20
	v_add_co_u32_e32 v22, vcc, -1, v5
	v_addc_co_u32_e64 v23, s[36:37], 0, -1, vcc
	v_cmp_ne_u32_e32 vcc, 0, v5
	v_xor_b32_e32 v5, vcc_hi, v23
	v_and_b32_e32 v23, exec_hi, v5
	v_lshlrev_b32_e32 v5, 30, v20
	v_xor_b32_e32 v22, vcc_lo, v22
	v_cmp_gt_i64_e32 vcc, 0, v[4:5]
	v_not_b32_e32 v5, v5
	v_ashrrev_i32_e32 v5, 31, v5
	v_and_b32_e32 v22, exec_lo, v22
	v_xor_b32_e32 v109, vcc_hi, v5
	v_xor_b32_e32 v5, vcc_lo, v5
	v_and_b32_e32 v22, v22, v5
	v_lshlrev_b32_e32 v5, 29, v20
	v_cmp_gt_i64_e32 vcc, 0, v[4:5]
	v_not_b32_e32 v5, v5
	v_ashrrev_i32_e32 v5, 31, v5
	v_and_b32_e32 v23, v23, v109
	v_xor_b32_e32 v109, vcc_hi, v5
	v_xor_b32_e32 v5, vcc_lo, v5
	v_and_b32_e32 v22, v22, v5
	v_lshlrev_b32_e32 v5, 28, v20
	v_cmp_gt_i64_e32 vcc, 0, v[4:5]
	v_not_b32_e32 v5, v5
	v_ashrrev_i32_e32 v5, 31, v5
	v_and_b32_e32 v23, v23, v109
	;; [unrolled: 8-line block ×5, first 2 shown]
	v_xor_b32_e32 v109, vcc_hi, v5
	v_xor_b32_e32 v5, vcc_lo, v5
	v_and_b32_e32 v22, v22, v5
	v_lshlrev_b32_e32 v5, 24, v20
	v_cmp_gt_i64_e32 vcc, 0, v[4:5]
	v_not_b32_e32 v5, v5
	v_ashrrev_i32_e32 v5, 31, v5
	v_xor_b32_e32 v20, vcc_hi, v5
	v_xor_b32_e32 v5, vcc_lo, v5
	v_and_b32_e32 v23, v23, v109
	v_and_b32_e32 v22, v22, v5
	v_and_b32_e32 v23, v23, v20
	v_mbcnt_lo_u32_b32 v5, v22, 0
	v_mbcnt_hi_u32_b32 v109, v23, v5
	v_cmp_eq_u32_e32 vcc, 0, v109
	v_cmp_ne_u64_e64 s[36:37], 0, v[22:23]
	s_and_b64 s[38:39], s[36:37], vcc
	; wave barrier
	s_and_saveexec_b64 s[36:37], s[38:39]
	s_cbranch_execz .LBB115_598
; %bb.597:                              ;   in Loop: Header=BB115_574 Depth=2
	v_bcnt_u32_b32 v5, v22, 0
	v_bcnt_u32_b32 v5, v23, v5
	s_waitcnt lgkmcnt(0)
	v_add_u32_e32 v5, v107, v5
	ds_write_b32 v108, v5
.LBB115_598:                            ;   in Loop: Header=BB115_574 Depth=2
	s_or_b64 exec, exec, s[36:37]
	v_lshrrev_b32_e32 v5, 8, v21
	v_xor_b32_e32 v110, -1, v5
	v_lshrrev_b32_sdwa v5, s69, v110 dst_sel:DWORD dst_unused:UNUSED_PAD src0_sel:DWORD src1_sel:BYTE_0
	v_and_b32_e32 v20, s84, v5
	v_mul_u32_u24_e32 v5, 5, v20
	v_add_lshl_u32 v5, v5, v89, 2
	; wave barrier
	v_add_u32_e32 v112, 0x410, v5
	ds_read_b32 v111, v5 offset:1040
	v_and_b32_e32 v5, 1, v20
	v_add_co_u32_e32 v22, vcc, -1, v5
	v_addc_co_u32_e64 v23, s[36:37], 0, -1, vcc
	v_cmp_ne_u32_e32 vcc, 0, v5
	v_xor_b32_e32 v5, vcc_hi, v23
	v_and_b32_e32 v23, exec_hi, v5
	v_lshlrev_b32_e32 v5, 30, v20
	v_xor_b32_e32 v22, vcc_lo, v22
	v_cmp_gt_i64_e32 vcc, 0, v[4:5]
	v_not_b32_e32 v5, v5
	v_ashrrev_i32_e32 v5, 31, v5
	v_and_b32_e32 v22, exec_lo, v22
	v_xor_b32_e32 v113, vcc_hi, v5
	v_xor_b32_e32 v5, vcc_lo, v5
	v_and_b32_e32 v22, v22, v5
	v_lshlrev_b32_e32 v5, 29, v20
	v_cmp_gt_i64_e32 vcc, 0, v[4:5]
	v_not_b32_e32 v5, v5
	v_ashrrev_i32_e32 v5, 31, v5
	v_and_b32_e32 v23, v23, v113
	v_xor_b32_e32 v113, vcc_hi, v5
	v_xor_b32_e32 v5, vcc_lo, v5
	v_and_b32_e32 v22, v22, v5
	v_lshlrev_b32_e32 v5, 28, v20
	v_cmp_gt_i64_e32 vcc, 0, v[4:5]
	v_not_b32_e32 v5, v5
	v_ashrrev_i32_e32 v5, 31, v5
	v_and_b32_e32 v23, v23, v113
	;; [unrolled: 8-line block ×5, first 2 shown]
	v_xor_b32_e32 v113, vcc_hi, v5
	v_xor_b32_e32 v5, vcc_lo, v5
	v_and_b32_e32 v22, v22, v5
	v_lshlrev_b32_e32 v5, 24, v20
	v_cmp_gt_i64_e32 vcc, 0, v[4:5]
	v_not_b32_e32 v5, v5
	v_ashrrev_i32_e32 v5, 31, v5
	v_xor_b32_e32 v20, vcc_hi, v5
	v_xor_b32_e32 v5, vcc_lo, v5
	v_and_b32_e32 v23, v23, v113
	v_and_b32_e32 v22, v22, v5
	;; [unrolled: 1-line block ×3, first 2 shown]
	v_mbcnt_lo_u32_b32 v5, v22, 0
	v_mbcnt_hi_u32_b32 v113, v23, v5
	v_cmp_eq_u32_e32 vcc, 0, v113
	v_cmp_ne_u64_e64 s[36:37], 0, v[22:23]
	s_and_b64 s[38:39], s[36:37], vcc
	; wave barrier
	s_and_saveexec_b64 s[36:37], s[38:39]
	s_cbranch_execz .LBB115_600
; %bb.599:                              ;   in Loop: Header=BB115_574 Depth=2
	v_bcnt_u32_b32 v5, v22, 0
	v_bcnt_u32_b32 v5, v23, v5
	s_waitcnt lgkmcnt(0)
	v_add_u32_e32 v5, v111, v5
	ds_write_b32 v112, v5
.LBB115_600:                            ;   in Loop: Header=BB115_574 Depth=2
	s_or_b64 exec, exec, s[36:37]
	v_xor_b32_sdwa v114, v21, v65 dst_sel:DWORD dst_unused:UNUSED_PAD src0_sel:WORD_1 src1_sel:DWORD
	v_lshrrev_b32_sdwa v5, s69, v114 dst_sel:DWORD dst_unused:UNUSED_PAD src0_sel:DWORD src1_sel:BYTE_0
	v_and_b32_e32 v20, s84, v5
	v_mul_u32_u24_e32 v5, 5, v20
	v_add_lshl_u32 v5, v5, v89, 2
	; wave barrier
	v_add_u32_e32 v116, 0x410, v5
	ds_read_b32 v115, v5 offset:1040
	v_and_b32_e32 v5, 1, v20
	v_add_co_u32_e32 v22, vcc, -1, v5
	v_addc_co_u32_e64 v23, s[36:37], 0, -1, vcc
	v_cmp_ne_u32_e32 vcc, 0, v5
	v_xor_b32_e32 v5, vcc_hi, v23
	v_and_b32_e32 v23, exec_hi, v5
	v_lshlrev_b32_e32 v5, 30, v20
	v_xor_b32_e32 v22, vcc_lo, v22
	v_cmp_gt_i64_e32 vcc, 0, v[4:5]
	v_not_b32_e32 v5, v5
	v_ashrrev_i32_e32 v5, 31, v5
	v_and_b32_e32 v22, exec_lo, v22
	v_xor_b32_e32 v117, vcc_hi, v5
	v_xor_b32_e32 v5, vcc_lo, v5
	v_and_b32_e32 v22, v22, v5
	v_lshlrev_b32_e32 v5, 29, v20
	v_cmp_gt_i64_e32 vcc, 0, v[4:5]
	v_not_b32_e32 v5, v5
	v_ashrrev_i32_e32 v5, 31, v5
	v_and_b32_e32 v23, v23, v117
	v_xor_b32_e32 v117, vcc_hi, v5
	v_xor_b32_e32 v5, vcc_lo, v5
	v_and_b32_e32 v22, v22, v5
	v_lshlrev_b32_e32 v5, 28, v20
	v_cmp_gt_i64_e32 vcc, 0, v[4:5]
	v_not_b32_e32 v5, v5
	v_ashrrev_i32_e32 v5, 31, v5
	v_and_b32_e32 v23, v23, v117
	;; [unrolled: 8-line block ×5, first 2 shown]
	v_xor_b32_e32 v117, vcc_hi, v5
	v_xor_b32_e32 v5, vcc_lo, v5
	v_and_b32_e32 v22, v22, v5
	v_lshlrev_b32_e32 v5, 24, v20
	v_cmp_gt_i64_e32 vcc, 0, v[4:5]
	v_not_b32_e32 v5, v5
	v_ashrrev_i32_e32 v5, 31, v5
	v_xor_b32_e32 v20, vcc_hi, v5
	v_xor_b32_e32 v5, vcc_lo, v5
	v_and_b32_e32 v23, v23, v117
	v_and_b32_e32 v22, v22, v5
	;; [unrolled: 1-line block ×3, first 2 shown]
	v_mbcnt_lo_u32_b32 v5, v22, 0
	v_mbcnt_hi_u32_b32 v117, v23, v5
	v_cmp_eq_u32_e32 vcc, 0, v117
	v_cmp_ne_u64_e64 s[36:37], 0, v[22:23]
	s_and_b64 s[38:39], s[36:37], vcc
	; wave barrier
	s_and_saveexec_b64 s[36:37], s[38:39]
	s_cbranch_execz .LBB115_602
; %bb.601:                              ;   in Loop: Header=BB115_574 Depth=2
	v_bcnt_u32_b32 v5, v22, 0
	v_bcnt_u32_b32 v5, v23, v5
	s_waitcnt lgkmcnt(0)
	v_add_u32_e32 v5, v115, v5
	ds_write_b32 v116, v5
.LBB115_602:                            ;   in Loop: Header=BB115_574 Depth=2
	s_or_b64 exec, exec, s[36:37]
	v_xor_b32_sdwa v118, v21, v65 dst_sel:DWORD dst_unused:UNUSED_PAD src0_sel:BYTE_3 src1_sel:DWORD
	v_lshrrev_b32_sdwa v5, s69, v118 dst_sel:DWORD dst_unused:UNUSED_PAD src0_sel:DWORD src1_sel:BYTE_0
	v_and_b32_e32 v20, s84, v5
	v_mul_u32_u24_e32 v5, 5, v20
	v_add_lshl_u32 v5, v5, v89, 2
	; wave barrier
	v_add_u32_e32 v120, 0x410, v5
	ds_read_b32 v119, v5 offset:1040
	v_and_b32_e32 v5, 1, v20
	v_add_co_u32_e32 v21, vcc, -1, v5
	v_addc_co_u32_e64 v22, s[36:37], 0, -1, vcc
	v_cmp_ne_u32_e32 vcc, 0, v5
	v_xor_b32_e32 v5, vcc_hi, v22
	v_and_b32_e32 v22, exec_hi, v5
	v_lshlrev_b32_e32 v5, 30, v20
	v_xor_b32_e32 v21, vcc_lo, v21
	v_cmp_gt_i64_e32 vcc, 0, v[4:5]
	v_not_b32_e32 v5, v5
	v_ashrrev_i32_e32 v5, 31, v5
	v_and_b32_e32 v21, exec_lo, v21
	v_xor_b32_e32 v23, vcc_hi, v5
	v_xor_b32_e32 v5, vcc_lo, v5
	v_and_b32_e32 v21, v21, v5
	v_lshlrev_b32_e32 v5, 29, v20
	v_cmp_gt_i64_e32 vcc, 0, v[4:5]
	v_not_b32_e32 v5, v5
	v_ashrrev_i32_e32 v5, 31, v5
	v_and_b32_e32 v22, v22, v23
	v_xor_b32_e32 v23, vcc_hi, v5
	v_xor_b32_e32 v5, vcc_lo, v5
	v_and_b32_e32 v21, v21, v5
	v_lshlrev_b32_e32 v5, 28, v20
	v_cmp_gt_i64_e32 vcc, 0, v[4:5]
	v_not_b32_e32 v5, v5
	v_ashrrev_i32_e32 v5, 31, v5
	v_and_b32_e32 v22, v22, v23
	;; [unrolled: 8-line block ×5, first 2 shown]
	v_xor_b32_e32 v23, vcc_hi, v5
	v_xor_b32_e32 v5, vcc_lo, v5
	v_and_b32_e32 v22, v22, v23
	v_and_b32_e32 v23, v21, v5
	v_lshlrev_b32_e32 v5, 24, v20
	v_cmp_gt_i64_e32 vcc, 0, v[4:5]
	v_not_b32_e32 v5, v5
	v_ashrrev_i32_e32 v5, 31, v5
	v_xor_b32_e32 v20, vcc_hi, v5
	v_xor_b32_e32 v5, vcc_lo, v5
	v_and_b32_e32 v21, v22, v20
	v_and_b32_e32 v20, v23, v5
	v_mbcnt_lo_u32_b32 v5, v20, 0
	v_mbcnt_hi_u32_b32 v121, v21, v5
	v_cmp_eq_u32_e32 vcc, 0, v121
	v_cmp_ne_u64_e64 s[36:37], 0, v[20:21]
	s_and_b64 s[38:39], s[36:37], vcc
	; wave barrier
	s_and_saveexec_b64 s[36:37], s[38:39]
	s_cbranch_execz .LBB115_604
; %bb.603:                              ;   in Loop: Header=BB115_574 Depth=2
	v_bcnt_u32_b32 v5, v20, 0
	v_bcnt_u32_b32 v5, v21, v5
	s_waitcnt lgkmcnt(0)
	v_add_u32_e32 v5, v119, v5
	ds_write_b32 v120, v5
.LBB115_604:                            ;   in Loop: Header=BB115_574 Depth=2
	s_or_b64 exec, exec, s[36:37]
	; wave barrier
	s_waitcnt lgkmcnt(0)
	s_barrier
	ds_read_b32 v5, v42 offset:1040
	ds_read2_b32 v[22:23], v44 offset0:1 offset1:2
	ds_read2_b32 v[20:21], v44 offset0:3 offset1:4
	s_waitcnt lgkmcnt(1)
	v_add3_u32 v122, v22, v5, v23
	s_waitcnt lgkmcnt(0)
	v_add3_u32 v21, v122, v20, v21
	s_nop 1
	v_mov_b32_dpp v122, v21 row_shr:1 row_mask:0xf bank_mask:0xf
	v_cndmask_b32_e64 v122, v122, 0, s[16:17]
	v_add_u32_e32 v21, v122, v21
	s_nop 1
	v_mov_b32_dpp v122, v21 row_shr:2 row_mask:0xf bank_mask:0xf
	v_cndmask_b32_e64 v122, 0, v122, s[18:19]
	v_add_u32_e32 v21, v21, v122
	s_nop 1
	v_mov_b32_dpp v122, v21 row_shr:4 row_mask:0xf bank_mask:0xf
	v_cndmask_b32_e64 v122, 0, v122, s[20:21]
	v_add_u32_e32 v21, v21, v122
	s_nop 1
	v_mov_b32_dpp v122, v21 row_shr:8 row_mask:0xf bank_mask:0xf
	v_cndmask_b32_e64 v122, 0, v122, s[22:23]
	v_add_u32_e32 v21, v21, v122
	s_nop 1
	v_mov_b32_dpp v122, v21 row_bcast:15 row_mask:0xf bank_mask:0xf
	v_cndmask_b32_e64 v122, v122, 0, s[24:25]
	v_add_u32_e32 v21, v21, v122
	s_nop 1
	v_mov_b32_dpp v122, v21 row_bcast:31 row_mask:0xf bank_mask:0xf
	v_cndmask_b32_e64 v122, 0, v122, s[26:27]
	v_add_u32_e32 v21, v21, v122
	s_and_saveexec_b64 s[36:37], s[6:7]
	s_cbranch_execz .LBB115_606
; %bb.605:                              ;   in Loop: Header=BB115_574 Depth=2
	ds_write_b32 v35, v21 offset:1024
.LBB115_606:                            ;   in Loop: Header=BB115_574 Depth=2
	s_or_b64 exec, exec, s[36:37]
	s_waitcnt lgkmcnt(0)
	s_barrier
	s_and_saveexec_b64 s[36:37], s[8:9]
	s_cbranch_execz .LBB115_608
; %bb.607:                              ;   in Loop: Header=BB115_574 Depth=2
	v_add_u32_e32 v122, v42, v45
	ds_read_b32 v123, v122 offset:1024
	s_waitcnt lgkmcnt(0)
	s_nop 0
	v_mov_b32_dpp v124, v123 row_shr:1 row_mask:0xf bank_mask:0xf
	v_cndmask_b32_e64 v124, v124, 0, s[30:31]
	v_add_u32_e32 v123, v124, v123
	s_nop 1
	v_mov_b32_dpp v124, v123 row_shr:2 row_mask:0xf bank_mask:0xf
	v_cndmask_b32_e64 v124, 0, v124, s[34:35]
	v_add_u32_e32 v123, v123, v124
	ds_write_b32 v122, v123 offset:1024
.LBB115_608:                            ;   in Loop: Header=BB115_574 Depth=2
	s_or_b64 exec, exec, s[36:37]
	v_mov_b32_e32 v122, 0
	s_waitcnt lgkmcnt(0)
	s_barrier
	s_and_saveexec_b64 s[36:37], s[10:11]
	s_cbranch_execz .LBB115_610
; %bb.609:                              ;   in Loop: Header=BB115_574 Depth=2
	ds_read_b32 v122, v35 offset:1020
.LBB115_610:                            ;   in Loop: Header=BB115_574 Depth=2
	s_or_b64 exec, exec, s[36:37]
	s_waitcnt lgkmcnt(0)
	v_add_u32_e32 v21, v122, v21
	ds_bpermute_b32 v21, v66, v21
	s_waitcnt lgkmcnt(0)
	v_cndmask_b32_e64 v21, v21, v122, s[28:29]
	v_cndmask_b32_e64 v21, v21, 0, s[12:13]
	v_add_u32_e32 v5, v21, v5
	ds_write_b32 v42, v21 offset:1040
	v_add_u32_e32 v21, v5, v22
	v_add_u32_e32 v22, v21, v23
	ds_write2_b32 v44, v5, v21 offset0:1 offset1:2
	v_add_u32_e32 v5, v22, v20
	ds_write2_b32 v44, v22, v5 offset0:3 offset1:4
	s_waitcnt lgkmcnt(0)
	s_barrier
	ds_read_b32 v20, v96
	ds_read_b32 v21, v100
	;; [unrolled: 1-line block ×8, first 2 shown]
	ds_read_b32 v96, v42 offset:1040
	v_mov_b32_e32 v5, 0x800
	s_and_saveexec_b64 s[36:37], s[14:15]
	s_cbranch_execz .LBB115_612
; %bb.611:                              ;   in Loop: Header=BB115_574 Depth=2
	ds_read_b32 v5, v42 offset:1060
.LBB115_612:                            ;   in Loop: Header=BB115_574 Depth=2
	s_or_b64 exec, exec, s[36:37]
	s_waitcnt lgkmcnt(0)
	s_barrier
	s_and_saveexec_b64 s[36:37], s[4:5]
	s_cbranch_execz .LBB115_614
; %bb.613:                              ;   in Loop: Header=BB115_574 Depth=2
	ds_read_b32 v100, v3
	s_waitcnt lgkmcnt(0)
	v_sub_u32_e32 v96, v100, v96
	ds_write_b32 v3, v96
.LBB115_614:                            ;   in Loop: Header=BB115_574 Depth=2
	s_or_b64 exec, exec, s[36:37]
	v_add_u32_e32 v100, v92, v93
	v_add3_u32 v97, v97, v95, v20
	v_add3_u32 v96, v101, v99, v21
	;; [unrolled: 1-line block ×7, first 2 shown]
	v_cmp_lt_u32_e64 s[48:49], v2, v90
	ds_write_b8 v100, v91 offset:1024
	ds_write_b8 v97, v94 offset:1024
	;; [unrolled: 1-line block ×8, first 2 shown]
	s_waitcnt lgkmcnt(0)
	s_barrier
	s_and_saveexec_b64 s[36:37], s[48:49]
	s_cbranch_execz .LBB115_622
; %bb.615:                              ;   in Loop: Header=BB115_574 Depth=2
	ds_read_u8 v20, v2 offset:1024
	s_waitcnt lgkmcnt(0)
	v_lshrrev_b32_sdwa v21, s69, v20 dst_sel:DWORD dst_unused:UNUSED_PAD src0_sel:DWORD src1_sel:BYTE_0
	v_and_b32_e32 v21, s84, v21
	v_lshlrev_b32_e32 v21, 2, v21
	ds_read_b32 v21, v21
	v_xor_b32_e32 v20, -1, v20
	s_waitcnt lgkmcnt(0)
	v_add_u32_e32 v21, v21, v2
	global_store_byte v21, v20, s[60:61]
	s_or_b64 exec, exec, s[36:37]
	v_cmp_lt_u32_e64 s[46:47], v24, v90
	s_and_saveexec_b64 s[36:37], s[46:47]
	s_cbranch_execnz .LBB115_623
.LBB115_616:                            ;   in Loop: Header=BB115_574 Depth=2
	s_or_b64 exec, exec, s[36:37]
	v_cmp_lt_u32_e64 s[44:45], v25, v90
	s_and_saveexec_b64 s[36:37], s[44:45]
	s_cbranch_execz .LBB115_624
.LBB115_617:                            ;   in Loop: Header=BB115_574 Depth=2
	ds_read_u8 v20, v30 offset:512
	s_waitcnt lgkmcnt(0)
	v_lshrrev_b32_sdwa v21, s69, v20 dst_sel:DWORD dst_unused:UNUSED_PAD src0_sel:DWORD src1_sel:BYTE_0
	v_and_b32_e32 v21, s84, v21
	v_lshlrev_b32_e32 v21, 2, v21
	ds_read_b32 v21, v21
	v_xor_b32_e32 v20, -1, v20
	s_waitcnt lgkmcnt(0)
	v_add_u32_e32 v21, v21, v25
	global_store_byte v21, v20, s[60:61]
	s_or_b64 exec, exec, s[36:37]
	v_cmp_lt_u32_e64 s[42:43], v26, v90
	s_and_saveexec_b64 s[36:37], s[42:43]
	s_cbranch_execnz .LBB115_625
.LBB115_618:                            ;   in Loop: Header=BB115_574 Depth=2
	s_or_b64 exec, exec, s[36:37]
	v_cmp_lt_u32_e64 s[40:41], v30, v90
	s_and_saveexec_b64 s[36:37], s[40:41]
	s_cbranch_execz .LBB115_626
.LBB115_619:                            ;   in Loop: Header=BB115_574 Depth=2
	ds_read_u8 v20, v30 offset:1024
	s_waitcnt lgkmcnt(0)
	v_lshrrev_b32_sdwa v21, s69, v20 dst_sel:DWORD dst_unused:UNUSED_PAD src0_sel:DWORD src1_sel:BYTE_0
	v_and_b32_e32 v21, s84, v21
	v_lshlrev_b32_e32 v21, 2, v21
	ds_read_b32 v21, v21
	v_xor_b32_e32 v20, -1, v20
	s_waitcnt lgkmcnt(0)
	v_add_u32_e32 v21, v21, v30
	global_store_byte v21, v20, s[60:61]
	s_or_b64 exec, exec, s[36:37]
	v_cmp_lt_u32_e64 s[38:39], v31, v90
	s_and_saveexec_b64 s[36:37], s[38:39]
	s_cbranch_execnz .LBB115_627
.LBB115_620:                            ;   in Loop: Header=BB115_574 Depth=2
	s_or_b64 exec, exec, s[36:37]
	v_cmp_lt_u32_e64 s[36:37], v32, v90
	s_and_saveexec_b64 s[52:53], s[36:37]
	s_cbranch_execz .LBB115_628
.LBB115_621:                            ;   in Loop: Header=BB115_574 Depth=2
	ds_read_u8 v20, v30 offset:1536
	s_waitcnt lgkmcnt(0)
	v_lshrrev_b32_sdwa v21, s69, v20 dst_sel:DWORD dst_unused:UNUSED_PAD src0_sel:DWORD src1_sel:BYTE_0
	v_and_b32_e32 v21, s84, v21
	v_lshlrev_b32_e32 v21, 2, v21
	ds_read_b32 v21, v21
	v_xor_b32_e32 v20, -1, v20
	s_waitcnt lgkmcnt(0)
	v_add_u32_e32 v21, v21, v32
	global_store_byte v21, v20, s[60:61]
	s_or_b64 exec, exec, s[52:53]
	v_cmp_lt_u32_e32 vcc, v33, v90
	s_and_saveexec_b64 s[52:53], vcc
	s_cbranch_execnz .LBB115_629
	s_branch .LBB115_630
.LBB115_622:                            ;   in Loop: Header=BB115_574 Depth=2
	s_or_b64 exec, exec, s[36:37]
	v_cmp_lt_u32_e64 s[46:47], v24, v90
	s_and_saveexec_b64 s[36:37], s[46:47]
	s_cbranch_execz .LBB115_616
.LBB115_623:                            ;   in Loop: Header=BB115_574 Depth=2
	ds_read_u8 v20, v30 offset:256
	s_waitcnt lgkmcnt(0)
	v_lshrrev_b32_sdwa v21, s69, v20 dst_sel:DWORD dst_unused:UNUSED_PAD src0_sel:DWORD src1_sel:BYTE_0
	v_and_b32_e32 v21, s84, v21
	v_lshlrev_b32_e32 v21, 2, v21
	ds_read_b32 v21, v21
	v_xor_b32_e32 v20, -1, v20
	s_waitcnt lgkmcnt(0)
	v_add_u32_e32 v21, v21, v24
	global_store_byte v21, v20, s[60:61]
	s_or_b64 exec, exec, s[36:37]
	v_cmp_lt_u32_e64 s[44:45], v25, v90
	s_and_saveexec_b64 s[36:37], s[44:45]
	s_cbranch_execnz .LBB115_617
.LBB115_624:                            ;   in Loop: Header=BB115_574 Depth=2
	s_or_b64 exec, exec, s[36:37]
	v_cmp_lt_u32_e64 s[42:43], v26, v90
	s_and_saveexec_b64 s[36:37], s[42:43]
	s_cbranch_execz .LBB115_618
.LBB115_625:                            ;   in Loop: Header=BB115_574 Depth=2
	ds_read_u8 v20, v30 offset:768
	s_waitcnt lgkmcnt(0)
	v_lshrrev_b32_sdwa v21, s69, v20 dst_sel:DWORD dst_unused:UNUSED_PAD src0_sel:DWORD src1_sel:BYTE_0
	v_and_b32_e32 v21, s84, v21
	v_lshlrev_b32_e32 v21, 2, v21
	ds_read_b32 v21, v21
	v_xor_b32_e32 v20, -1, v20
	s_waitcnt lgkmcnt(0)
	v_add_u32_e32 v21, v21, v26
	global_store_byte v21, v20, s[60:61]
	s_or_b64 exec, exec, s[36:37]
	v_cmp_lt_u32_e64 s[40:41], v30, v90
	s_and_saveexec_b64 s[36:37], s[40:41]
	s_cbranch_execnz .LBB115_619
.LBB115_626:                            ;   in Loop: Header=BB115_574 Depth=2
	s_or_b64 exec, exec, s[36:37]
	v_cmp_lt_u32_e64 s[38:39], v31, v90
	s_and_saveexec_b64 s[36:37], s[38:39]
	s_cbranch_execz .LBB115_620
.LBB115_627:                            ;   in Loop: Header=BB115_574 Depth=2
	ds_read_u8 v20, v30 offset:1280
	s_waitcnt lgkmcnt(0)
	v_lshrrev_b32_sdwa v21, s69, v20 dst_sel:DWORD dst_unused:UNUSED_PAD src0_sel:DWORD src1_sel:BYTE_0
	v_and_b32_e32 v21, s84, v21
	v_lshlrev_b32_e32 v21, 2, v21
	ds_read_b32 v21, v21
	v_xor_b32_e32 v20, -1, v20
	s_waitcnt lgkmcnt(0)
	v_add_u32_e32 v21, v21, v31
	global_store_byte v21, v20, s[60:61]
	s_or_b64 exec, exec, s[36:37]
	v_cmp_lt_u32_e64 s[36:37], v32, v90
	s_and_saveexec_b64 s[52:53], s[36:37]
	s_cbranch_execnz .LBB115_621
.LBB115_628:                            ;   in Loop: Header=BB115_574 Depth=2
	s_or_b64 exec, exec, s[52:53]
	v_cmp_lt_u32_e32 vcc, v33, v90
	s_and_saveexec_b64 s[52:53], vcc
	s_cbranch_execz .LBB115_630
.LBB115_629:                            ;   in Loop: Header=BB115_574 Depth=2
	ds_read_u8 v20, v30 offset:1792
	s_waitcnt lgkmcnt(0)
	v_lshrrev_b32_sdwa v21, s69, v20 dst_sel:DWORD dst_unused:UNUSED_PAD src0_sel:DWORD src1_sel:BYTE_0
	v_and_b32_e32 v21, s84, v21
	v_lshlrev_b32_e32 v21, 2, v21
	ds_read_b32 v21, v21
	v_xor_b32_e32 v20, -1, v20
	s_waitcnt lgkmcnt(0)
	v_add_u32_e32 v21, v21, v33
	global_store_byte v21, v20, s[60:61]
.LBB115_630:                            ;   in Loop: Header=BB115_574 Depth=2
	s_or_b64 exec, exec, s[52:53]
	s_lshl_b64 s[52:53], s[72:73], 3
	v_mov_b32_e32 v21, s53
	v_add_co_u32_e64 v20, s[52:53], s52, v78
	v_addc_co_u32_e64 v21, s[52:53], v79, v21, s[52:53]
	v_cmp_lt_u32_e64 s[52:53], v73, v90
	s_and_saveexec_b64 s[62:63], s[52:53]
	s_xor_b64 s[52:53], exec, s[62:63]
	s_cbranch_execz .LBB115_646
; %bb.631:                              ;   in Loop: Header=BB115_574 Depth=2
	global_load_dwordx2 v[18:19], v[20:21], off
	s_or_b64 exec, exec, s[52:53]
	v_cmp_lt_u32_e64 s[52:53], v80, v90
	s_and_saveexec_b64 s[62:63], s[52:53]
	s_cbranch_execnz .LBB115_647
.LBB115_632:                            ;   in Loop: Header=BB115_574 Depth=2
	s_or_b64 exec, exec, s[62:63]
	v_cmp_lt_u32_e64 s[52:53], v81, v90
	s_and_saveexec_b64 s[62:63], s[52:53]
	s_cbranch_execz .LBB115_648
.LBB115_633:                            ;   in Loop: Header=BB115_574 Depth=2
	global_load_dwordx2 v[14:15], v[20:21], off offset:1024
	s_or_b64 exec, exec, s[62:63]
	v_cmp_lt_u32_e64 s[52:53], v82, v90
	s_and_saveexec_b64 s[62:63], s[52:53]
	s_cbranch_execnz .LBB115_649
.LBB115_634:                            ;   in Loop: Header=BB115_574 Depth=2
	s_or_b64 exec, exec, s[62:63]
	v_cmp_lt_u32_e64 s[52:53], v83, v90
	s_and_saveexec_b64 s[62:63], s[52:53]
	s_cbranch_execz .LBB115_650
.LBB115_635:                            ;   in Loop: Header=BB115_574 Depth=2
	global_load_dwordx2 v[10:11], v[20:21], off offset:2048
	s_or_b64 exec, exec, s[62:63]
	v_cmp_lt_u32_e64 s[52:53], v84, v90
	s_and_saveexec_b64 s[62:63], s[52:53]
	s_cbranch_execnz .LBB115_651
.LBB115_636:                            ;   in Loop: Header=BB115_574 Depth=2
	s_or_b64 exec, exec, s[62:63]
	v_cmp_lt_u32_e64 s[52:53], v85, v90
	s_and_saveexec_b64 s[62:63], s[52:53]
	s_cbranch_execz .LBB115_652
.LBB115_637:                            ;   in Loop: Header=BB115_574 Depth=2
	global_load_dwordx2 v[6:7], v[20:21], off offset:3072
	s_or_b64 exec, exec, s[62:63]
	v_cmp_lt_u32_e64 s[52:53], v86, v90
	s_and_saveexec_b64 s[62:63], s[52:53]
	s_cbranch_execnz .LBB115_653
.LBB115_638:                            ;   in Loop: Header=BB115_574 Depth=2
	s_or_b64 exec, exec, s[62:63]
	s_and_saveexec_b64 s[52:53], s[48:49]
	s_cbranch_execz .LBB115_654
.LBB115_639:                            ;   in Loop: Header=BB115_574 Depth=2
	ds_read_u8 v20, v2 offset:1024
	s_waitcnt lgkmcnt(0)
	v_lshrrev_b32_e32 v20, s69, v20
	v_and_b32_e32 v76, s84, v20
	s_or_b64 exec, exec, s[52:53]
	s_and_saveexec_b64 s[52:53], s[46:47]
	s_cbranch_execnz .LBB115_655
.LBB115_640:                            ;   in Loop: Header=BB115_574 Depth=2
	s_or_b64 exec, exec, s[52:53]
	s_and_saveexec_b64 s[52:53], s[44:45]
	s_cbranch_execz .LBB115_656
.LBB115_641:                            ;   in Loop: Header=BB115_574 Depth=2
	ds_read_u8 v20, v30 offset:512
	s_waitcnt lgkmcnt(0)
	v_lshrrev_b32_e32 v20, s69, v20
	v_and_b32_e32 v72, s84, v20
	s_or_b64 exec, exec, s[52:53]
	s_and_saveexec_b64 s[52:53], s[42:43]
	s_cbranch_execnz .LBB115_657
.LBB115_642:                            ;   in Loop: Header=BB115_574 Depth=2
	s_or_b64 exec, exec, s[52:53]
	s_and_saveexec_b64 s[52:53], s[40:41]
	s_cbranch_execz .LBB115_658
.LBB115_643:                            ;   in Loop: Header=BB115_574 Depth=2
	ds_read_u8 v20, v30 offset:1024
	s_waitcnt lgkmcnt(0)
	v_lshrrev_b32_e32 v20, s69, v20
	v_and_b32_e32 v70, s84, v20
	s_or_b64 exec, exec, s[52:53]
	s_and_saveexec_b64 s[52:53], s[38:39]
	s_cbranch_execnz .LBB115_659
.LBB115_644:                            ;   in Loop: Header=BB115_574 Depth=2
	s_or_b64 exec, exec, s[52:53]
	s_and_saveexec_b64 s[52:53], s[36:37]
	s_cbranch_execz .LBB115_660
.LBB115_645:                            ;   in Loop: Header=BB115_574 Depth=2
	ds_read_u8 v20, v30 offset:1536
	s_waitcnt lgkmcnt(0)
	v_lshrrev_b32_e32 v20, s69, v20
	v_and_b32_e32 v68, s84, v20
	s_or_b64 exec, exec, s[52:53]
	s_and_saveexec_b64 s[52:53], vcc
	s_cbranch_execnz .LBB115_661
	s_branch .LBB115_662
.LBB115_646:                            ;   in Loop: Header=BB115_574 Depth=2
	s_or_b64 exec, exec, s[52:53]
	v_cmp_lt_u32_e64 s[52:53], v80, v90
	s_and_saveexec_b64 s[62:63], s[52:53]
	s_cbranch_execz .LBB115_632
.LBB115_647:                            ;   in Loop: Header=BB115_574 Depth=2
	global_load_dwordx2 v[16:17], v[20:21], off offset:512
	s_or_b64 exec, exec, s[62:63]
	v_cmp_lt_u32_e64 s[52:53], v81, v90
	s_and_saveexec_b64 s[62:63], s[52:53]
	s_cbranch_execnz .LBB115_633
.LBB115_648:                            ;   in Loop: Header=BB115_574 Depth=2
	s_or_b64 exec, exec, s[62:63]
	v_cmp_lt_u32_e64 s[52:53], v82, v90
	s_and_saveexec_b64 s[62:63], s[52:53]
	s_cbranch_execz .LBB115_634
.LBB115_649:                            ;   in Loop: Header=BB115_574 Depth=2
	global_load_dwordx2 v[12:13], v[20:21], off offset:1536
	s_or_b64 exec, exec, s[62:63]
	v_cmp_lt_u32_e64 s[52:53], v83, v90
	s_and_saveexec_b64 s[62:63], s[52:53]
	s_cbranch_execnz .LBB115_635
.LBB115_650:                            ;   in Loop: Header=BB115_574 Depth=2
	s_or_b64 exec, exec, s[62:63]
	v_cmp_lt_u32_e64 s[52:53], v84, v90
	s_and_saveexec_b64 s[62:63], s[52:53]
	s_cbranch_execz .LBB115_636
.LBB115_651:                            ;   in Loop: Header=BB115_574 Depth=2
	global_load_dwordx2 v[8:9], v[20:21], off offset:2560
	s_or_b64 exec, exec, s[62:63]
	v_cmp_lt_u32_e64 s[52:53], v85, v90
	s_and_saveexec_b64 s[62:63], s[52:53]
	s_cbranch_execnz .LBB115_637
.LBB115_652:                            ;   in Loop: Header=BB115_574 Depth=2
	s_or_b64 exec, exec, s[62:63]
	v_cmp_lt_u32_e64 s[52:53], v86, v90
	s_and_saveexec_b64 s[62:63], s[52:53]
	s_cbranch_execz .LBB115_638
.LBB115_653:                            ;   in Loop: Header=BB115_574 Depth=2
	global_load_dwordx2 v[0:1], v[20:21], off offset:3584
	s_or_b64 exec, exec, s[62:63]
	s_and_saveexec_b64 s[52:53], s[48:49]
	s_cbranch_execnz .LBB115_639
.LBB115_654:                            ;   in Loop: Header=BB115_574 Depth=2
	s_or_b64 exec, exec, s[52:53]
	s_and_saveexec_b64 s[52:53], s[46:47]
	s_cbranch_execz .LBB115_640
.LBB115_655:                            ;   in Loop: Header=BB115_574 Depth=2
	ds_read_u8 v20, v30 offset:256
	s_waitcnt lgkmcnt(0)
	v_lshrrev_b32_e32 v20, s69, v20
	v_and_b32_e32 v74, s84, v20
	s_or_b64 exec, exec, s[52:53]
	s_and_saveexec_b64 s[52:53], s[44:45]
	s_cbranch_execnz .LBB115_641
.LBB115_656:                            ;   in Loop: Header=BB115_574 Depth=2
	s_or_b64 exec, exec, s[52:53]
	s_and_saveexec_b64 s[52:53], s[42:43]
	s_cbranch_execz .LBB115_642
.LBB115_657:                            ;   in Loop: Header=BB115_574 Depth=2
	ds_read_u8 v20, v30 offset:768
	s_waitcnt lgkmcnt(0)
	v_lshrrev_b32_e32 v20, s69, v20
	v_and_b32_e32 v71, s84, v20
	s_or_b64 exec, exec, s[52:53]
	s_and_saveexec_b64 s[52:53], s[40:41]
	s_cbranch_execnz .LBB115_643
.LBB115_658:                            ;   in Loop: Header=BB115_574 Depth=2
	s_or_b64 exec, exec, s[52:53]
	s_and_saveexec_b64 s[52:53], s[38:39]
	s_cbranch_execz .LBB115_644
.LBB115_659:                            ;   in Loop: Header=BB115_574 Depth=2
	ds_read_u8 v20, v30 offset:1280
	s_waitcnt lgkmcnt(0)
	v_lshrrev_b32_e32 v20, s69, v20
	v_and_b32_e32 v69, s84, v20
	s_or_b64 exec, exec, s[52:53]
	s_and_saveexec_b64 s[52:53], s[36:37]
	s_cbranch_execnz .LBB115_645
.LBB115_660:                            ;   in Loop: Header=BB115_574 Depth=2
	s_or_b64 exec, exec, s[52:53]
	s_and_saveexec_b64 s[52:53], vcc
	s_cbranch_execz .LBB115_662
.LBB115_661:                            ;   in Loop: Header=BB115_574 Depth=2
	ds_read_u8 v20, v30 offset:1792
	s_waitcnt lgkmcnt(0)
	v_lshrrev_b32_e32 v20, s69, v20
	v_and_b32_e32 v67, s84, v20
.LBB115_662:                            ;   in Loop: Header=BB115_574 Depth=2
	s_or_b64 exec, exec, s[52:53]
	v_lshlrev_b32_e32 v20, 3, v100
	s_barrier
	s_waitcnt vmcnt(0)
	ds_write_b64 v20, v[18:19] offset:1024
	v_lshlrev_b32_e32 v20, 3, v97
	ds_write_b64 v20, v[16:17] offset:1024
	v_lshlrev_b32_e32 v20, 3, v96
	;; [unrolled: 2-line block ×7, first 2 shown]
	ds_write_b64 v20, v[0:1] offset:1024
	s_waitcnt lgkmcnt(0)
	s_barrier
	s_and_saveexec_b64 s[52:53], s[48:49]
	s_cbranch_execz .LBB115_670
; %bb.663:                              ;   in Loop: Header=BB115_574 Depth=2
	v_lshlrev_b32_e32 v20, 2, v76
	ds_read_b32 v22, v20
	v_add_u32_e32 v20, v2, v50
	ds_read_b64 v[20:21], v20 offset:1024
	v_mov_b32_e32 v23, v4
	v_mov_b32_e32 v90, s67
	s_waitcnt lgkmcnt(1)
	v_add_u32_e32 v22, v22, v2
	v_lshlrev_b64 v[22:23], 3, v[22:23]
	v_add_co_u32_e64 v22, s[48:49], s66, v22
	v_addc_co_u32_e64 v23, s[48:49], v90, v23, s[48:49]
	s_waitcnt lgkmcnt(0)
	global_store_dwordx2 v[22:23], v[20:21], off
	s_or_b64 exec, exec, s[52:53]
	v_add_u32_e32 v20, v30, v50
	s_and_saveexec_b64 s[48:49], s[46:47]
	s_cbranch_execnz .LBB115_671
.LBB115_664:                            ;   in Loop: Header=BB115_574 Depth=2
	s_or_b64 exec, exec, s[48:49]
	s_and_saveexec_b64 s[46:47], s[44:45]
	s_cbranch_execz .LBB115_672
.LBB115_665:                            ;   in Loop: Header=BB115_574 Depth=2
	v_lshlrev_b32_e32 v21, 2, v72
	ds_read_b32 v21, v21
	ds_read_b64 v[22:23], v20 offset:4096
	v_mov_b32_e32 v91, v4
	v_mov_b32_e32 v92, s67
	s_waitcnt lgkmcnt(1)
	v_add_u32_e32 v90, v21, v25
	v_lshlrev_b64 v[90:91], 3, v[90:91]
	v_add_co_u32_e64 v90, s[44:45], s66, v90
	v_addc_co_u32_e64 v91, s[44:45], v92, v91, s[44:45]
	s_waitcnt lgkmcnt(0)
	global_store_dwordx2 v[90:91], v[22:23], off
	s_or_b64 exec, exec, s[46:47]
	s_and_saveexec_b64 s[44:45], s[42:43]
	s_cbranch_execnz .LBB115_673
.LBB115_666:                            ;   in Loop: Header=BB115_574 Depth=2
	s_or_b64 exec, exec, s[44:45]
	s_and_saveexec_b64 s[42:43], s[40:41]
	s_cbranch_execz .LBB115_674
.LBB115_667:                            ;   in Loop: Header=BB115_574 Depth=2
	v_lshlrev_b32_e32 v21, 2, v70
	ds_read_b32 v21, v21
	ds_read_b64 v[22:23], v20 offset:8192
	v_mov_b32_e32 v91, v4
	v_mov_b32_e32 v92, s67
	s_waitcnt lgkmcnt(1)
	v_add_u32_e32 v90, v21, v30
	v_lshlrev_b64 v[90:91], 3, v[90:91]
	v_add_co_u32_e64 v90, s[40:41], s66, v90
	v_addc_co_u32_e64 v91, s[40:41], v92, v91, s[40:41]
	s_waitcnt lgkmcnt(0)
	global_store_dwordx2 v[90:91], v[22:23], off
	s_or_b64 exec, exec, s[42:43]
	s_and_saveexec_b64 s[40:41], s[38:39]
	s_cbranch_execnz .LBB115_675
.LBB115_668:                            ;   in Loop: Header=BB115_574 Depth=2
	s_or_b64 exec, exec, s[40:41]
	s_and_saveexec_b64 s[38:39], s[36:37]
	s_cbranch_execz .LBB115_676
.LBB115_669:                            ;   in Loop: Header=BB115_574 Depth=2
	v_lshlrev_b32_e32 v21, 2, v68
	ds_read_b32 v21, v21
	ds_read_b64 v[22:23], v20 offset:12288
	v_mov_b32_e32 v91, v4
	v_mov_b32_e32 v92, s67
	s_waitcnt lgkmcnt(1)
	v_add_u32_e32 v90, v21, v32
	v_lshlrev_b64 v[90:91], 3, v[90:91]
	v_add_co_u32_e64 v90, s[36:37], s66, v90
	v_addc_co_u32_e64 v91, s[36:37], v92, v91, s[36:37]
	s_waitcnt lgkmcnt(0)
	global_store_dwordx2 v[90:91], v[22:23], off
	s_or_b64 exec, exec, s[38:39]
	s_and_saveexec_b64 s[36:37], vcc
	s_cbranch_execnz .LBB115_677
	s_branch .LBB115_678
.LBB115_670:                            ;   in Loop: Header=BB115_574 Depth=2
	s_or_b64 exec, exec, s[52:53]
	v_add_u32_e32 v20, v30, v50
	s_and_saveexec_b64 s[48:49], s[46:47]
	s_cbranch_execz .LBB115_664
.LBB115_671:                            ;   in Loop: Header=BB115_574 Depth=2
	v_lshlrev_b32_e32 v21, 2, v74
	ds_read_b32 v21, v21
	ds_read_b64 v[22:23], v20 offset:2048
	v_mov_b32_e32 v91, v4
	v_mov_b32_e32 v92, s67
	s_waitcnt lgkmcnt(1)
	v_add_u32_e32 v90, v21, v24
	v_lshlrev_b64 v[90:91], 3, v[90:91]
	v_add_co_u32_e64 v90, s[46:47], s66, v90
	v_addc_co_u32_e64 v91, s[46:47], v92, v91, s[46:47]
	s_waitcnt lgkmcnt(0)
	global_store_dwordx2 v[90:91], v[22:23], off
	s_or_b64 exec, exec, s[48:49]
	s_and_saveexec_b64 s[46:47], s[44:45]
	s_cbranch_execnz .LBB115_665
.LBB115_672:                            ;   in Loop: Header=BB115_574 Depth=2
	s_or_b64 exec, exec, s[46:47]
	s_and_saveexec_b64 s[44:45], s[42:43]
	s_cbranch_execz .LBB115_666
.LBB115_673:                            ;   in Loop: Header=BB115_574 Depth=2
	v_lshlrev_b32_e32 v21, 2, v71
	ds_read_b32 v21, v21
	ds_read_b64 v[22:23], v20 offset:6144
	v_mov_b32_e32 v91, v4
	v_mov_b32_e32 v92, s67
	s_waitcnt lgkmcnt(1)
	v_add_u32_e32 v90, v21, v26
	v_lshlrev_b64 v[90:91], 3, v[90:91]
	v_add_co_u32_e64 v90, s[42:43], s66, v90
	v_addc_co_u32_e64 v91, s[42:43], v92, v91, s[42:43]
	s_waitcnt lgkmcnt(0)
	global_store_dwordx2 v[90:91], v[22:23], off
	s_or_b64 exec, exec, s[44:45]
	s_and_saveexec_b64 s[42:43], s[40:41]
	s_cbranch_execnz .LBB115_667
.LBB115_674:                            ;   in Loop: Header=BB115_574 Depth=2
	s_or_b64 exec, exec, s[42:43]
	s_and_saveexec_b64 s[40:41], s[38:39]
	s_cbranch_execz .LBB115_668
.LBB115_675:                            ;   in Loop: Header=BB115_574 Depth=2
	v_lshlrev_b32_e32 v21, 2, v69
	ds_read_b32 v21, v21
	ds_read_b64 v[22:23], v20 offset:10240
	v_mov_b32_e32 v91, v4
	v_mov_b32_e32 v92, s67
	s_waitcnt lgkmcnt(1)
	v_add_u32_e32 v90, v21, v31
	v_lshlrev_b64 v[90:91], 3, v[90:91]
	v_add_co_u32_e64 v90, s[38:39], s66, v90
	v_addc_co_u32_e64 v91, s[38:39], v92, v91, s[38:39]
	s_waitcnt lgkmcnt(0)
	global_store_dwordx2 v[90:91], v[22:23], off
	s_or_b64 exec, exec, s[40:41]
	s_and_saveexec_b64 s[38:39], s[36:37]
	s_cbranch_execnz .LBB115_669
.LBB115_676:                            ;   in Loop: Header=BB115_574 Depth=2
	s_or_b64 exec, exec, s[38:39]
	s_and_saveexec_b64 s[36:37], vcc
	s_cbranch_execz .LBB115_678
.LBB115_677:                            ;   in Loop: Header=BB115_574 Depth=2
	v_lshlrev_b32_e32 v21, 2, v67
	ds_read_b32 v22, v21
	ds_read_b64 v[20:21], v20 offset:14336
	v_mov_b32_e32 v23, v4
	v_mov_b32_e32 v90, s67
	s_waitcnt lgkmcnt(1)
	v_add_u32_e32 v22, v22, v33
	v_lshlrev_b64 v[22:23], 3, v[22:23]
	v_add_co_u32_e32 v22, vcc, s66, v22
	v_addc_co_u32_e32 v23, vcc, v90, v23, vcc
	s_waitcnt lgkmcnt(0)
	global_store_dwordx2 v[22:23], v[20:21], off
.LBB115_678:                            ;   in Loop: Header=BB115_574 Depth=2
	s_or_b64 exec, exec, s[36:37]
	s_barrier
	s_and_saveexec_b64 s[36:37], s[4:5]
	s_cbranch_execz .LBB115_573
; %bb.679:                              ;   in Loop: Header=BB115_574 Depth=2
	ds_read_b32 v20, v3
	s_waitcnt lgkmcnt(0)
	v_add_u32_e32 v5, v20, v5
	ds_write_b32 v3, v5
	s_branch .LBB115_573
.LBB115_680:                            ;   in Loop: Header=BB115_574 Depth=2
	s_or_b64 exec, exec, s[36:37]
	v_cmp_gt_u32_e32 vcc, s85, v80
	s_and_saveexec_b64 s[36:37], vcc
	s_cbranch_execz .LBB115_579
.LBB115_681:                            ;   in Loop: Header=BB115_574 Depth=2
	global_load_ubyte v5, v[22:23], off offset:64
	s_waitcnt vmcnt(0)
	v_perm_b32 v20, v20, v5, s78
	s_or_b64 exec, exec, s[36:37]
	v_cmp_gt_u32_e32 vcc, s85, v81
	s_and_saveexec_b64 s[36:37], vcc
	s_cbranch_execnz .LBB115_580
.LBB115_682:                            ;   in Loop: Header=BB115_574 Depth=2
	s_or_b64 exec, exec, s[36:37]
	v_cmp_gt_u32_e32 vcc, s85, v82
	s_and_saveexec_b64 s[36:37], vcc
	s_cbranch_execz .LBB115_581
.LBB115_683:                            ;   in Loop: Header=BB115_574 Depth=2
	global_load_ubyte v5, v[22:23], off offset:192
	v_and_b32_sdwa v90, v20, s68 dst_sel:DWORD dst_unused:UNUSED_PAD src0_sel:WORD_1 src1_sel:DWORD
	s_waitcnt vmcnt(0)
	v_lshlrev_b16_e32 v5, 8, v5
	v_or_b32_sdwa v5, v90, v5 dst_sel:WORD_1 dst_unused:UNUSED_PAD src0_sel:DWORD src1_sel:DWORD
	v_and_or_b32 v20, v20, s77, v5
	s_or_b64 exec, exec, s[36:37]
	v_cmp_gt_u32_e32 vcc, s85, v83
	s_and_saveexec_b64 s[36:37], vcc
	s_cbranch_execnz .LBB115_582
.LBB115_684:                            ;   in Loop: Header=BB115_574 Depth=2
	s_or_b64 exec, exec, s[36:37]
	v_cmp_gt_u32_e32 vcc, s85, v84
	s_and_saveexec_b64 s[36:37], vcc
	s_cbranch_execz .LBB115_583
.LBB115_685:                            ;   in Loop: Header=BB115_574 Depth=2
	global_load_ubyte v5, v[22:23], off offset:320
	s_waitcnt vmcnt(0)
	v_perm_b32 v21, v21, v5, s78
	s_or_b64 exec, exec, s[36:37]
	v_cmp_gt_u32_e32 vcc, s85, v85
	s_and_saveexec_b64 s[36:37], vcc
	s_cbranch_execnz .LBB115_584
	s_branch .LBB115_585
.LBB115_686:
	s_endpgm
	.section	.rodata,"a",@progbits
	.p2align	6, 0x0
	.amdhsa_kernel _ZN7rocprim17ROCPRIM_400000_NS6detail17trampoline_kernelINS0_14default_configENS1_36segmented_radix_sort_config_selectorIhlEEZNS1_25segmented_radix_sort_implIS3_Lb1EPKhPhPKlPlN2at6native12_GLOBAL__N_18offset_tEEE10hipError_tPvRmT1_PNSt15iterator_traitsISK_E10value_typeET2_T3_PNSL_ISQ_E10value_typeET4_jRbjT5_SW_jjP12ihipStream_tbEUlT_E2_NS1_11comp_targetILNS1_3genE4ELNS1_11target_archE910ELNS1_3gpuE8ELNS1_3repE0EEENS1_30default_config_static_selectorELNS0_4arch9wavefront6targetE1EEEvSK_
		.amdhsa_group_segment_fixed_size 17424
		.amdhsa_private_segment_fixed_size 8
		.amdhsa_kernarg_size 336
		.amdhsa_user_sgpr_count 8
		.amdhsa_user_sgpr_private_segment_buffer 1
		.amdhsa_user_sgpr_dispatch_ptr 0
		.amdhsa_user_sgpr_queue_ptr 0
		.amdhsa_user_sgpr_kernarg_segment_ptr 1
		.amdhsa_user_sgpr_dispatch_id 0
		.amdhsa_user_sgpr_flat_scratch_init 1
		.amdhsa_user_sgpr_kernarg_preload_length 0
		.amdhsa_user_sgpr_kernarg_preload_offset 0
		.amdhsa_user_sgpr_private_segment_size 0
		.amdhsa_uses_dynamic_stack 0
		.amdhsa_system_sgpr_private_segment_wavefront_offset 1
		.amdhsa_system_sgpr_workgroup_id_x 1
		.amdhsa_system_sgpr_workgroup_id_y 1
		.amdhsa_system_sgpr_workgroup_id_z 0
		.amdhsa_system_sgpr_workgroup_info 0
		.amdhsa_system_vgpr_workitem_id 2
		.amdhsa_next_free_vgpr 168
		.amdhsa_next_free_sgpr 87
		.amdhsa_accum_offset 168
		.amdhsa_reserve_vcc 1
		.amdhsa_reserve_flat_scratch 1
		.amdhsa_float_round_mode_32 0
		.amdhsa_float_round_mode_16_64 0
		.amdhsa_float_denorm_mode_32 3
		.amdhsa_float_denorm_mode_16_64 3
		.amdhsa_dx10_clamp 1
		.amdhsa_ieee_mode 1
		.amdhsa_fp16_overflow 0
		.amdhsa_tg_split 0
		.amdhsa_exception_fp_ieee_invalid_op 0
		.amdhsa_exception_fp_denorm_src 0
		.amdhsa_exception_fp_ieee_div_zero 0
		.amdhsa_exception_fp_ieee_overflow 0
		.amdhsa_exception_fp_ieee_underflow 0
		.amdhsa_exception_fp_ieee_inexact 0
		.amdhsa_exception_int_div_zero 0
	.end_amdhsa_kernel
	.section	.text._ZN7rocprim17ROCPRIM_400000_NS6detail17trampoline_kernelINS0_14default_configENS1_36segmented_radix_sort_config_selectorIhlEEZNS1_25segmented_radix_sort_implIS3_Lb1EPKhPhPKlPlN2at6native12_GLOBAL__N_18offset_tEEE10hipError_tPvRmT1_PNSt15iterator_traitsISK_E10value_typeET2_T3_PNSL_ISQ_E10value_typeET4_jRbjT5_SW_jjP12ihipStream_tbEUlT_E2_NS1_11comp_targetILNS1_3genE4ELNS1_11target_archE910ELNS1_3gpuE8ELNS1_3repE0EEENS1_30default_config_static_selectorELNS0_4arch9wavefront6targetE1EEEvSK_,"axG",@progbits,_ZN7rocprim17ROCPRIM_400000_NS6detail17trampoline_kernelINS0_14default_configENS1_36segmented_radix_sort_config_selectorIhlEEZNS1_25segmented_radix_sort_implIS3_Lb1EPKhPhPKlPlN2at6native12_GLOBAL__N_18offset_tEEE10hipError_tPvRmT1_PNSt15iterator_traitsISK_E10value_typeET2_T3_PNSL_ISQ_E10value_typeET4_jRbjT5_SW_jjP12ihipStream_tbEUlT_E2_NS1_11comp_targetILNS1_3genE4ELNS1_11target_archE910ELNS1_3gpuE8ELNS1_3repE0EEENS1_30default_config_static_selectorELNS0_4arch9wavefront6targetE1EEEvSK_,comdat
.Lfunc_end115:
	.size	_ZN7rocprim17ROCPRIM_400000_NS6detail17trampoline_kernelINS0_14default_configENS1_36segmented_radix_sort_config_selectorIhlEEZNS1_25segmented_radix_sort_implIS3_Lb1EPKhPhPKlPlN2at6native12_GLOBAL__N_18offset_tEEE10hipError_tPvRmT1_PNSt15iterator_traitsISK_E10value_typeET2_T3_PNSL_ISQ_E10value_typeET4_jRbjT5_SW_jjP12ihipStream_tbEUlT_E2_NS1_11comp_targetILNS1_3genE4ELNS1_11target_archE910ELNS1_3gpuE8ELNS1_3repE0EEENS1_30default_config_static_selectorELNS0_4arch9wavefront6targetE1EEEvSK_, .Lfunc_end115-_ZN7rocprim17ROCPRIM_400000_NS6detail17trampoline_kernelINS0_14default_configENS1_36segmented_radix_sort_config_selectorIhlEEZNS1_25segmented_radix_sort_implIS3_Lb1EPKhPhPKlPlN2at6native12_GLOBAL__N_18offset_tEEE10hipError_tPvRmT1_PNSt15iterator_traitsISK_E10value_typeET2_T3_PNSL_ISQ_E10value_typeET4_jRbjT5_SW_jjP12ihipStream_tbEUlT_E2_NS1_11comp_targetILNS1_3genE4ELNS1_11target_archE910ELNS1_3gpuE8ELNS1_3repE0EEENS1_30default_config_static_selectorELNS0_4arch9wavefront6targetE1EEEvSK_
                                        ; -- End function
	.section	.AMDGPU.csdata,"",@progbits
; Kernel info:
; codeLenInByte = 36480
; NumSgprs: 93
; NumVgprs: 168
; NumAgprs: 0
; TotalNumVgprs: 168
; ScratchSize: 8
; MemoryBound: 0
; FloatMode: 240
; IeeeMode: 1
; LDSByteSize: 17424 bytes/workgroup (compile time only)
; SGPRBlocks: 11
; VGPRBlocks: 20
; NumSGPRsForWavesPerEU: 93
; NumVGPRsForWavesPerEU: 168
; AccumOffset: 168
; Occupancy: 3
; WaveLimiterHint : 1
; COMPUTE_PGM_RSRC2:SCRATCH_EN: 1
; COMPUTE_PGM_RSRC2:USER_SGPR: 8
; COMPUTE_PGM_RSRC2:TRAP_HANDLER: 0
; COMPUTE_PGM_RSRC2:TGID_X_EN: 1
; COMPUTE_PGM_RSRC2:TGID_Y_EN: 1
; COMPUTE_PGM_RSRC2:TGID_Z_EN: 0
; COMPUTE_PGM_RSRC2:TIDIG_COMP_CNT: 2
; COMPUTE_PGM_RSRC3_GFX90A:ACCUM_OFFSET: 41
; COMPUTE_PGM_RSRC3_GFX90A:TG_SPLIT: 0
	.section	.text._ZN7rocprim17ROCPRIM_400000_NS6detail17trampoline_kernelINS0_14default_configENS1_36segmented_radix_sort_config_selectorIhlEEZNS1_25segmented_radix_sort_implIS3_Lb1EPKhPhPKlPlN2at6native12_GLOBAL__N_18offset_tEEE10hipError_tPvRmT1_PNSt15iterator_traitsISK_E10value_typeET2_T3_PNSL_ISQ_E10value_typeET4_jRbjT5_SW_jjP12ihipStream_tbEUlT_E2_NS1_11comp_targetILNS1_3genE3ELNS1_11target_archE908ELNS1_3gpuE7ELNS1_3repE0EEENS1_30default_config_static_selectorELNS0_4arch9wavefront6targetE1EEEvSK_,"axG",@progbits,_ZN7rocprim17ROCPRIM_400000_NS6detail17trampoline_kernelINS0_14default_configENS1_36segmented_radix_sort_config_selectorIhlEEZNS1_25segmented_radix_sort_implIS3_Lb1EPKhPhPKlPlN2at6native12_GLOBAL__N_18offset_tEEE10hipError_tPvRmT1_PNSt15iterator_traitsISK_E10value_typeET2_T3_PNSL_ISQ_E10value_typeET4_jRbjT5_SW_jjP12ihipStream_tbEUlT_E2_NS1_11comp_targetILNS1_3genE3ELNS1_11target_archE908ELNS1_3gpuE7ELNS1_3repE0EEENS1_30default_config_static_selectorELNS0_4arch9wavefront6targetE1EEEvSK_,comdat
	.globl	_ZN7rocprim17ROCPRIM_400000_NS6detail17trampoline_kernelINS0_14default_configENS1_36segmented_radix_sort_config_selectorIhlEEZNS1_25segmented_radix_sort_implIS3_Lb1EPKhPhPKlPlN2at6native12_GLOBAL__N_18offset_tEEE10hipError_tPvRmT1_PNSt15iterator_traitsISK_E10value_typeET2_T3_PNSL_ISQ_E10value_typeET4_jRbjT5_SW_jjP12ihipStream_tbEUlT_E2_NS1_11comp_targetILNS1_3genE3ELNS1_11target_archE908ELNS1_3gpuE7ELNS1_3repE0EEENS1_30default_config_static_selectorELNS0_4arch9wavefront6targetE1EEEvSK_ ; -- Begin function _ZN7rocprim17ROCPRIM_400000_NS6detail17trampoline_kernelINS0_14default_configENS1_36segmented_radix_sort_config_selectorIhlEEZNS1_25segmented_radix_sort_implIS3_Lb1EPKhPhPKlPlN2at6native12_GLOBAL__N_18offset_tEEE10hipError_tPvRmT1_PNSt15iterator_traitsISK_E10value_typeET2_T3_PNSL_ISQ_E10value_typeET4_jRbjT5_SW_jjP12ihipStream_tbEUlT_E2_NS1_11comp_targetILNS1_3genE3ELNS1_11target_archE908ELNS1_3gpuE7ELNS1_3repE0EEENS1_30default_config_static_selectorELNS0_4arch9wavefront6targetE1EEEvSK_
	.p2align	8
	.type	_ZN7rocprim17ROCPRIM_400000_NS6detail17trampoline_kernelINS0_14default_configENS1_36segmented_radix_sort_config_selectorIhlEEZNS1_25segmented_radix_sort_implIS3_Lb1EPKhPhPKlPlN2at6native12_GLOBAL__N_18offset_tEEE10hipError_tPvRmT1_PNSt15iterator_traitsISK_E10value_typeET2_T3_PNSL_ISQ_E10value_typeET4_jRbjT5_SW_jjP12ihipStream_tbEUlT_E2_NS1_11comp_targetILNS1_3genE3ELNS1_11target_archE908ELNS1_3gpuE7ELNS1_3repE0EEENS1_30default_config_static_selectorELNS0_4arch9wavefront6targetE1EEEvSK_,@function
_ZN7rocprim17ROCPRIM_400000_NS6detail17trampoline_kernelINS0_14default_configENS1_36segmented_radix_sort_config_selectorIhlEEZNS1_25segmented_radix_sort_implIS3_Lb1EPKhPhPKlPlN2at6native12_GLOBAL__N_18offset_tEEE10hipError_tPvRmT1_PNSt15iterator_traitsISK_E10value_typeET2_T3_PNSL_ISQ_E10value_typeET4_jRbjT5_SW_jjP12ihipStream_tbEUlT_E2_NS1_11comp_targetILNS1_3genE3ELNS1_11target_archE908ELNS1_3gpuE7ELNS1_3repE0EEENS1_30default_config_static_selectorELNS0_4arch9wavefront6targetE1EEEvSK_: ; @_ZN7rocprim17ROCPRIM_400000_NS6detail17trampoline_kernelINS0_14default_configENS1_36segmented_radix_sort_config_selectorIhlEEZNS1_25segmented_radix_sort_implIS3_Lb1EPKhPhPKlPlN2at6native12_GLOBAL__N_18offset_tEEE10hipError_tPvRmT1_PNSt15iterator_traitsISK_E10value_typeET2_T3_PNSL_ISQ_E10value_typeET4_jRbjT5_SW_jjP12ihipStream_tbEUlT_E2_NS1_11comp_targetILNS1_3genE3ELNS1_11target_archE908ELNS1_3gpuE7ELNS1_3repE0EEENS1_30default_config_static_selectorELNS0_4arch9wavefront6targetE1EEEvSK_
; %bb.0:
	.section	.rodata,"a",@progbits
	.p2align	6, 0x0
	.amdhsa_kernel _ZN7rocprim17ROCPRIM_400000_NS6detail17trampoline_kernelINS0_14default_configENS1_36segmented_radix_sort_config_selectorIhlEEZNS1_25segmented_radix_sort_implIS3_Lb1EPKhPhPKlPlN2at6native12_GLOBAL__N_18offset_tEEE10hipError_tPvRmT1_PNSt15iterator_traitsISK_E10value_typeET2_T3_PNSL_ISQ_E10value_typeET4_jRbjT5_SW_jjP12ihipStream_tbEUlT_E2_NS1_11comp_targetILNS1_3genE3ELNS1_11target_archE908ELNS1_3gpuE7ELNS1_3repE0EEENS1_30default_config_static_selectorELNS0_4arch9wavefront6targetE1EEEvSK_
		.amdhsa_group_segment_fixed_size 0
		.amdhsa_private_segment_fixed_size 0
		.amdhsa_kernarg_size 80
		.amdhsa_user_sgpr_count 6
		.amdhsa_user_sgpr_private_segment_buffer 1
		.amdhsa_user_sgpr_dispatch_ptr 0
		.amdhsa_user_sgpr_queue_ptr 0
		.amdhsa_user_sgpr_kernarg_segment_ptr 1
		.amdhsa_user_sgpr_dispatch_id 0
		.amdhsa_user_sgpr_flat_scratch_init 0
		.amdhsa_user_sgpr_kernarg_preload_length 0
		.amdhsa_user_sgpr_kernarg_preload_offset 0
		.amdhsa_user_sgpr_private_segment_size 0
		.amdhsa_uses_dynamic_stack 0
		.amdhsa_system_sgpr_private_segment_wavefront_offset 0
		.amdhsa_system_sgpr_workgroup_id_x 1
		.amdhsa_system_sgpr_workgroup_id_y 0
		.amdhsa_system_sgpr_workgroup_id_z 0
		.amdhsa_system_sgpr_workgroup_info 0
		.amdhsa_system_vgpr_workitem_id 0
		.amdhsa_next_free_vgpr 1
		.amdhsa_next_free_sgpr 0
		.amdhsa_accum_offset 4
		.amdhsa_reserve_vcc 0
		.amdhsa_reserve_flat_scratch 0
		.amdhsa_float_round_mode_32 0
		.amdhsa_float_round_mode_16_64 0
		.amdhsa_float_denorm_mode_32 3
		.amdhsa_float_denorm_mode_16_64 3
		.amdhsa_dx10_clamp 1
		.amdhsa_ieee_mode 1
		.amdhsa_fp16_overflow 0
		.amdhsa_tg_split 0
		.amdhsa_exception_fp_ieee_invalid_op 0
		.amdhsa_exception_fp_denorm_src 0
		.amdhsa_exception_fp_ieee_div_zero 0
		.amdhsa_exception_fp_ieee_overflow 0
		.amdhsa_exception_fp_ieee_underflow 0
		.amdhsa_exception_fp_ieee_inexact 0
		.amdhsa_exception_int_div_zero 0
	.end_amdhsa_kernel
	.section	.text._ZN7rocprim17ROCPRIM_400000_NS6detail17trampoline_kernelINS0_14default_configENS1_36segmented_radix_sort_config_selectorIhlEEZNS1_25segmented_radix_sort_implIS3_Lb1EPKhPhPKlPlN2at6native12_GLOBAL__N_18offset_tEEE10hipError_tPvRmT1_PNSt15iterator_traitsISK_E10value_typeET2_T3_PNSL_ISQ_E10value_typeET4_jRbjT5_SW_jjP12ihipStream_tbEUlT_E2_NS1_11comp_targetILNS1_3genE3ELNS1_11target_archE908ELNS1_3gpuE7ELNS1_3repE0EEENS1_30default_config_static_selectorELNS0_4arch9wavefront6targetE1EEEvSK_,"axG",@progbits,_ZN7rocprim17ROCPRIM_400000_NS6detail17trampoline_kernelINS0_14default_configENS1_36segmented_radix_sort_config_selectorIhlEEZNS1_25segmented_radix_sort_implIS3_Lb1EPKhPhPKlPlN2at6native12_GLOBAL__N_18offset_tEEE10hipError_tPvRmT1_PNSt15iterator_traitsISK_E10value_typeET2_T3_PNSL_ISQ_E10value_typeET4_jRbjT5_SW_jjP12ihipStream_tbEUlT_E2_NS1_11comp_targetILNS1_3genE3ELNS1_11target_archE908ELNS1_3gpuE7ELNS1_3repE0EEENS1_30default_config_static_selectorELNS0_4arch9wavefront6targetE1EEEvSK_,comdat
.Lfunc_end116:
	.size	_ZN7rocprim17ROCPRIM_400000_NS6detail17trampoline_kernelINS0_14default_configENS1_36segmented_radix_sort_config_selectorIhlEEZNS1_25segmented_radix_sort_implIS3_Lb1EPKhPhPKlPlN2at6native12_GLOBAL__N_18offset_tEEE10hipError_tPvRmT1_PNSt15iterator_traitsISK_E10value_typeET2_T3_PNSL_ISQ_E10value_typeET4_jRbjT5_SW_jjP12ihipStream_tbEUlT_E2_NS1_11comp_targetILNS1_3genE3ELNS1_11target_archE908ELNS1_3gpuE7ELNS1_3repE0EEENS1_30default_config_static_selectorELNS0_4arch9wavefront6targetE1EEEvSK_, .Lfunc_end116-_ZN7rocprim17ROCPRIM_400000_NS6detail17trampoline_kernelINS0_14default_configENS1_36segmented_radix_sort_config_selectorIhlEEZNS1_25segmented_radix_sort_implIS3_Lb1EPKhPhPKlPlN2at6native12_GLOBAL__N_18offset_tEEE10hipError_tPvRmT1_PNSt15iterator_traitsISK_E10value_typeET2_T3_PNSL_ISQ_E10value_typeET4_jRbjT5_SW_jjP12ihipStream_tbEUlT_E2_NS1_11comp_targetILNS1_3genE3ELNS1_11target_archE908ELNS1_3gpuE7ELNS1_3repE0EEENS1_30default_config_static_selectorELNS0_4arch9wavefront6targetE1EEEvSK_
                                        ; -- End function
	.section	.AMDGPU.csdata,"",@progbits
; Kernel info:
; codeLenInByte = 0
; NumSgprs: 4
; NumVgprs: 0
; NumAgprs: 0
; TotalNumVgprs: 0
; ScratchSize: 0
; MemoryBound: 0
; FloatMode: 240
; IeeeMode: 1
; LDSByteSize: 0 bytes/workgroup (compile time only)
; SGPRBlocks: 0
; VGPRBlocks: 0
; NumSGPRsForWavesPerEU: 4
; NumVGPRsForWavesPerEU: 1
; AccumOffset: 4
; Occupancy: 8
; WaveLimiterHint : 0
; COMPUTE_PGM_RSRC2:SCRATCH_EN: 0
; COMPUTE_PGM_RSRC2:USER_SGPR: 6
; COMPUTE_PGM_RSRC2:TRAP_HANDLER: 0
; COMPUTE_PGM_RSRC2:TGID_X_EN: 1
; COMPUTE_PGM_RSRC2:TGID_Y_EN: 0
; COMPUTE_PGM_RSRC2:TGID_Z_EN: 0
; COMPUTE_PGM_RSRC2:TIDIG_COMP_CNT: 0
; COMPUTE_PGM_RSRC3_GFX90A:ACCUM_OFFSET: 0
; COMPUTE_PGM_RSRC3_GFX90A:TG_SPLIT: 0
	.section	.text._ZN7rocprim17ROCPRIM_400000_NS6detail17trampoline_kernelINS0_14default_configENS1_36segmented_radix_sort_config_selectorIhlEEZNS1_25segmented_radix_sort_implIS3_Lb1EPKhPhPKlPlN2at6native12_GLOBAL__N_18offset_tEEE10hipError_tPvRmT1_PNSt15iterator_traitsISK_E10value_typeET2_T3_PNSL_ISQ_E10value_typeET4_jRbjT5_SW_jjP12ihipStream_tbEUlT_E2_NS1_11comp_targetILNS1_3genE2ELNS1_11target_archE906ELNS1_3gpuE6ELNS1_3repE0EEENS1_30default_config_static_selectorELNS0_4arch9wavefront6targetE1EEEvSK_,"axG",@progbits,_ZN7rocprim17ROCPRIM_400000_NS6detail17trampoline_kernelINS0_14default_configENS1_36segmented_radix_sort_config_selectorIhlEEZNS1_25segmented_radix_sort_implIS3_Lb1EPKhPhPKlPlN2at6native12_GLOBAL__N_18offset_tEEE10hipError_tPvRmT1_PNSt15iterator_traitsISK_E10value_typeET2_T3_PNSL_ISQ_E10value_typeET4_jRbjT5_SW_jjP12ihipStream_tbEUlT_E2_NS1_11comp_targetILNS1_3genE2ELNS1_11target_archE906ELNS1_3gpuE6ELNS1_3repE0EEENS1_30default_config_static_selectorELNS0_4arch9wavefront6targetE1EEEvSK_,comdat
	.globl	_ZN7rocprim17ROCPRIM_400000_NS6detail17trampoline_kernelINS0_14default_configENS1_36segmented_radix_sort_config_selectorIhlEEZNS1_25segmented_radix_sort_implIS3_Lb1EPKhPhPKlPlN2at6native12_GLOBAL__N_18offset_tEEE10hipError_tPvRmT1_PNSt15iterator_traitsISK_E10value_typeET2_T3_PNSL_ISQ_E10value_typeET4_jRbjT5_SW_jjP12ihipStream_tbEUlT_E2_NS1_11comp_targetILNS1_3genE2ELNS1_11target_archE906ELNS1_3gpuE6ELNS1_3repE0EEENS1_30default_config_static_selectorELNS0_4arch9wavefront6targetE1EEEvSK_ ; -- Begin function _ZN7rocprim17ROCPRIM_400000_NS6detail17trampoline_kernelINS0_14default_configENS1_36segmented_radix_sort_config_selectorIhlEEZNS1_25segmented_radix_sort_implIS3_Lb1EPKhPhPKlPlN2at6native12_GLOBAL__N_18offset_tEEE10hipError_tPvRmT1_PNSt15iterator_traitsISK_E10value_typeET2_T3_PNSL_ISQ_E10value_typeET4_jRbjT5_SW_jjP12ihipStream_tbEUlT_E2_NS1_11comp_targetILNS1_3genE2ELNS1_11target_archE906ELNS1_3gpuE6ELNS1_3repE0EEENS1_30default_config_static_selectorELNS0_4arch9wavefront6targetE1EEEvSK_
	.p2align	8
	.type	_ZN7rocprim17ROCPRIM_400000_NS6detail17trampoline_kernelINS0_14default_configENS1_36segmented_radix_sort_config_selectorIhlEEZNS1_25segmented_radix_sort_implIS3_Lb1EPKhPhPKlPlN2at6native12_GLOBAL__N_18offset_tEEE10hipError_tPvRmT1_PNSt15iterator_traitsISK_E10value_typeET2_T3_PNSL_ISQ_E10value_typeET4_jRbjT5_SW_jjP12ihipStream_tbEUlT_E2_NS1_11comp_targetILNS1_3genE2ELNS1_11target_archE906ELNS1_3gpuE6ELNS1_3repE0EEENS1_30default_config_static_selectorELNS0_4arch9wavefront6targetE1EEEvSK_,@function
_ZN7rocprim17ROCPRIM_400000_NS6detail17trampoline_kernelINS0_14default_configENS1_36segmented_radix_sort_config_selectorIhlEEZNS1_25segmented_radix_sort_implIS3_Lb1EPKhPhPKlPlN2at6native12_GLOBAL__N_18offset_tEEE10hipError_tPvRmT1_PNSt15iterator_traitsISK_E10value_typeET2_T3_PNSL_ISQ_E10value_typeET4_jRbjT5_SW_jjP12ihipStream_tbEUlT_E2_NS1_11comp_targetILNS1_3genE2ELNS1_11target_archE906ELNS1_3gpuE6ELNS1_3repE0EEENS1_30default_config_static_selectorELNS0_4arch9wavefront6targetE1EEEvSK_: ; @_ZN7rocprim17ROCPRIM_400000_NS6detail17trampoline_kernelINS0_14default_configENS1_36segmented_radix_sort_config_selectorIhlEEZNS1_25segmented_radix_sort_implIS3_Lb1EPKhPhPKlPlN2at6native12_GLOBAL__N_18offset_tEEE10hipError_tPvRmT1_PNSt15iterator_traitsISK_E10value_typeET2_T3_PNSL_ISQ_E10value_typeET4_jRbjT5_SW_jjP12ihipStream_tbEUlT_E2_NS1_11comp_targetILNS1_3genE2ELNS1_11target_archE906ELNS1_3gpuE6ELNS1_3repE0EEENS1_30default_config_static_selectorELNS0_4arch9wavefront6targetE1EEEvSK_
; %bb.0:
	.section	.rodata,"a",@progbits
	.p2align	6, 0x0
	.amdhsa_kernel _ZN7rocprim17ROCPRIM_400000_NS6detail17trampoline_kernelINS0_14default_configENS1_36segmented_radix_sort_config_selectorIhlEEZNS1_25segmented_radix_sort_implIS3_Lb1EPKhPhPKlPlN2at6native12_GLOBAL__N_18offset_tEEE10hipError_tPvRmT1_PNSt15iterator_traitsISK_E10value_typeET2_T3_PNSL_ISQ_E10value_typeET4_jRbjT5_SW_jjP12ihipStream_tbEUlT_E2_NS1_11comp_targetILNS1_3genE2ELNS1_11target_archE906ELNS1_3gpuE6ELNS1_3repE0EEENS1_30default_config_static_selectorELNS0_4arch9wavefront6targetE1EEEvSK_
		.amdhsa_group_segment_fixed_size 0
		.amdhsa_private_segment_fixed_size 0
		.amdhsa_kernarg_size 80
		.amdhsa_user_sgpr_count 6
		.amdhsa_user_sgpr_private_segment_buffer 1
		.amdhsa_user_sgpr_dispatch_ptr 0
		.amdhsa_user_sgpr_queue_ptr 0
		.amdhsa_user_sgpr_kernarg_segment_ptr 1
		.amdhsa_user_sgpr_dispatch_id 0
		.amdhsa_user_sgpr_flat_scratch_init 0
		.amdhsa_user_sgpr_kernarg_preload_length 0
		.amdhsa_user_sgpr_kernarg_preload_offset 0
		.amdhsa_user_sgpr_private_segment_size 0
		.amdhsa_uses_dynamic_stack 0
		.amdhsa_system_sgpr_private_segment_wavefront_offset 0
		.amdhsa_system_sgpr_workgroup_id_x 1
		.amdhsa_system_sgpr_workgroup_id_y 0
		.amdhsa_system_sgpr_workgroup_id_z 0
		.amdhsa_system_sgpr_workgroup_info 0
		.amdhsa_system_vgpr_workitem_id 0
		.amdhsa_next_free_vgpr 1
		.amdhsa_next_free_sgpr 0
		.amdhsa_accum_offset 4
		.amdhsa_reserve_vcc 0
		.amdhsa_reserve_flat_scratch 0
		.amdhsa_float_round_mode_32 0
		.amdhsa_float_round_mode_16_64 0
		.amdhsa_float_denorm_mode_32 3
		.amdhsa_float_denorm_mode_16_64 3
		.amdhsa_dx10_clamp 1
		.amdhsa_ieee_mode 1
		.amdhsa_fp16_overflow 0
		.amdhsa_tg_split 0
		.amdhsa_exception_fp_ieee_invalid_op 0
		.amdhsa_exception_fp_denorm_src 0
		.amdhsa_exception_fp_ieee_div_zero 0
		.amdhsa_exception_fp_ieee_overflow 0
		.amdhsa_exception_fp_ieee_underflow 0
		.amdhsa_exception_fp_ieee_inexact 0
		.amdhsa_exception_int_div_zero 0
	.end_amdhsa_kernel
	.section	.text._ZN7rocprim17ROCPRIM_400000_NS6detail17trampoline_kernelINS0_14default_configENS1_36segmented_radix_sort_config_selectorIhlEEZNS1_25segmented_radix_sort_implIS3_Lb1EPKhPhPKlPlN2at6native12_GLOBAL__N_18offset_tEEE10hipError_tPvRmT1_PNSt15iterator_traitsISK_E10value_typeET2_T3_PNSL_ISQ_E10value_typeET4_jRbjT5_SW_jjP12ihipStream_tbEUlT_E2_NS1_11comp_targetILNS1_3genE2ELNS1_11target_archE906ELNS1_3gpuE6ELNS1_3repE0EEENS1_30default_config_static_selectorELNS0_4arch9wavefront6targetE1EEEvSK_,"axG",@progbits,_ZN7rocprim17ROCPRIM_400000_NS6detail17trampoline_kernelINS0_14default_configENS1_36segmented_radix_sort_config_selectorIhlEEZNS1_25segmented_radix_sort_implIS3_Lb1EPKhPhPKlPlN2at6native12_GLOBAL__N_18offset_tEEE10hipError_tPvRmT1_PNSt15iterator_traitsISK_E10value_typeET2_T3_PNSL_ISQ_E10value_typeET4_jRbjT5_SW_jjP12ihipStream_tbEUlT_E2_NS1_11comp_targetILNS1_3genE2ELNS1_11target_archE906ELNS1_3gpuE6ELNS1_3repE0EEENS1_30default_config_static_selectorELNS0_4arch9wavefront6targetE1EEEvSK_,comdat
.Lfunc_end117:
	.size	_ZN7rocprim17ROCPRIM_400000_NS6detail17trampoline_kernelINS0_14default_configENS1_36segmented_radix_sort_config_selectorIhlEEZNS1_25segmented_radix_sort_implIS3_Lb1EPKhPhPKlPlN2at6native12_GLOBAL__N_18offset_tEEE10hipError_tPvRmT1_PNSt15iterator_traitsISK_E10value_typeET2_T3_PNSL_ISQ_E10value_typeET4_jRbjT5_SW_jjP12ihipStream_tbEUlT_E2_NS1_11comp_targetILNS1_3genE2ELNS1_11target_archE906ELNS1_3gpuE6ELNS1_3repE0EEENS1_30default_config_static_selectorELNS0_4arch9wavefront6targetE1EEEvSK_, .Lfunc_end117-_ZN7rocprim17ROCPRIM_400000_NS6detail17trampoline_kernelINS0_14default_configENS1_36segmented_radix_sort_config_selectorIhlEEZNS1_25segmented_radix_sort_implIS3_Lb1EPKhPhPKlPlN2at6native12_GLOBAL__N_18offset_tEEE10hipError_tPvRmT1_PNSt15iterator_traitsISK_E10value_typeET2_T3_PNSL_ISQ_E10value_typeET4_jRbjT5_SW_jjP12ihipStream_tbEUlT_E2_NS1_11comp_targetILNS1_3genE2ELNS1_11target_archE906ELNS1_3gpuE6ELNS1_3repE0EEENS1_30default_config_static_selectorELNS0_4arch9wavefront6targetE1EEEvSK_
                                        ; -- End function
	.section	.AMDGPU.csdata,"",@progbits
; Kernel info:
; codeLenInByte = 0
; NumSgprs: 4
; NumVgprs: 0
; NumAgprs: 0
; TotalNumVgprs: 0
; ScratchSize: 0
; MemoryBound: 0
; FloatMode: 240
; IeeeMode: 1
; LDSByteSize: 0 bytes/workgroup (compile time only)
; SGPRBlocks: 0
; VGPRBlocks: 0
; NumSGPRsForWavesPerEU: 4
; NumVGPRsForWavesPerEU: 1
; AccumOffset: 4
; Occupancy: 8
; WaveLimiterHint : 0
; COMPUTE_PGM_RSRC2:SCRATCH_EN: 0
; COMPUTE_PGM_RSRC2:USER_SGPR: 6
; COMPUTE_PGM_RSRC2:TRAP_HANDLER: 0
; COMPUTE_PGM_RSRC2:TGID_X_EN: 1
; COMPUTE_PGM_RSRC2:TGID_Y_EN: 0
; COMPUTE_PGM_RSRC2:TGID_Z_EN: 0
; COMPUTE_PGM_RSRC2:TIDIG_COMP_CNT: 0
; COMPUTE_PGM_RSRC3_GFX90A:ACCUM_OFFSET: 0
; COMPUTE_PGM_RSRC3_GFX90A:TG_SPLIT: 0
	.section	.text._ZN7rocprim17ROCPRIM_400000_NS6detail17trampoline_kernelINS0_14default_configENS1_36segmented_radix_sort_config_selectorIhlEEZNS1_25segmented_radix_sort_implIS3_Lb1EPKhPhPKlPlN2at6native12_GLOBAL__N_18offset_tEEE10hipError_tPvRmT1_PNSt15iterator_traitsISK_E10value_typeET2_T3_PNSL_ISQ_E10value_typeET4_jRbjT5_SW_jjP12ihipStream_tbEUlT_E2_NS1_11comp_targetILNS1_3genE10ELNS1_11target_archE1201ELNS1_3gpuE5ELNS1_3repE0EEENS1_30default_config_static_selectorELNS0_4arch9wavefront6targetE1EEEvSK_,"axG",@progbits,_ZN7rocprim17ROCPRIM_400000_NS6detail17trampoline_kernelINS0_14default_configENS1_36segmented_radix_sort_config_selectorIhlEEZNS1_25segmented_radix_sort_implIS3_Lb1EPKhPhPKlPlN2at6native12_GLOBAL__N_18offset_tEEE10hipError_tPvRmT1_PNSt15iterator_traitsISK_E10value_typeET2_T3_PNSL_ISQ_E10value_typeET4_jRbjT5_SW_jjP12ihipStream_tbEUlT_E2_NS1_11comp_targetILNS1_3genE10ELNS1_11target_archE1201ELNS1_3gpuE5ELNS1_3repE0EEENS1_30default_config_static_selectorELNS0_4arch9wavefront6targetE1EEEvSK_,comdat
	.globl	_ZN7rocprim17ROCPRIM_400000_NS6detail17trampoline_kernelINS0_14default_configENS1_36segmented_radix_sort_config_selectorIhlEEZNS1_25segmented_radix_sort_implIS3_Lb1EPKhPhPKlPlN2at6native12_GLOBAL__N_18offset_tEEE10hipError_tPvRmT1_PNSt15iterator_traitsISK_E10value_typeET2_T3_PNSL_ISQ_E10value_typeET4_jRbjT5_SW_jjP12ihipStream_tbEUlT_E2_NS1_11comp_targetILNS1_3genE10ELNS1_11target_archE1201ELNS1_3gpuE5ELNS1_3repE0EEENS1_30default_config_static_selectorELNS0_4arch9wavefront6targetE1EEEvSK_ ; -- Begin function _ZN7rocprim17ROCPRIM_400000_NS6detail17trampoline_kernelINS0_14default_configENS1_36segmented_radix_sort_config_selectorIhlEEZNS1_25segmented_radix_sort_implIS3_Lb1EPKhPhPKlPlN2at6native12_GLOBAL__N_18offset_tEEE10hipError_tPvRmT1_PNSt15iterator_traitsISK_E10value_typeET2_T3_PNSL_ISQ_E10value_typeET4_jRbjT5_SW_jjP12ihipStream_tbEUlT_E2_NS1_11comp_targetILNS1_3genE10ELNS1_11target_archE1201ELNS1_3gpuE5ELNS1_3repE0EEENS1_30default_config_static_selectorELNS0_4arch9wavefront6targetE1EEEvSK_
	.p2align	8
	.type	_ZN7rocprim17ROCPRIM_400000_NS6detail17trampoline_kernelINS0_14default_configENS1_36segmented_radix_sort_config_selectorIhlEEZNS1_25segmented_radix_sort_implIS3_Lb1EPKhPhPKlPlN2at6native12_GLOBAL__N_18offset_tEEE10hipError_tPvRmT1_PNSt15iterator_traitsISK_E10value_typeET2_T3_PNSL_ISQ_E10value_typeET4_jRbjT5_SW_jjP12ihipStream_tbEUlT_E2_NS1_11comp_targetILNS1_3genE10ELNS1_11target_archE1201ELNS1_3gpuE5ELNS1_3repE0EEENS1_30default_config_static_selectorELNS0_4arch9wavefront6targetE1EEEvSK_,@function
_ZN7rocprim17ROCPRIM_400000_NS6detail17trampoline_kernelINS0_14default_configENS1_36segmented_radix_sort_config_selectorIhlEEZNS1_25segmented_radix_sort_implIS3_Lb1EPKhPhPKlPlN2at6native12_GLOBAL__N_18offset_tEEE10hipError_tPvRmT1_PNSt15iterator_traitsISK_E10value_typeET2_T3_PNSL_ISQ_E10value_typeET4_jRbjT5_SW_jjP12ihipStream_tbEUlT_E2_NS1_11comp_targetILNS1_3genE10ELNS1_11target_archE1201ELNS1_3gpuE5ELNS1_3repE0EEENS1_30default_config_static_selectorELNS0_4arch9wavefront6targetE1EEEvSK_: ; @_ZN7rocprim17ROCPRIM_400000_NS6detail17trampoline_kernelINS0_14default_configENS1_36segmented_radix_sort_config_selectorIhlEEZNS1_25segmented_radix_sort_implIS3_Lb1EPKhPhPKlPlN2at6native12_GLOBAL__N_18offset_tEEE10hipError_tPvRmT1_PNSt15iterator_traitsISK_E10value_typeET2_T3_PNSL_ISQ_E10value_typeET4_jRbjT5_SW_jjP12ihipStream_tbEUlT_E2_NS1_11comp_targetILNS1_3genE10ELNS1_11target_archE1201ELNS1_3gpuE5ELNS1_3repE0EEENS1_30default_config_static_selectorELNS0_4arch9wavefront6targetE1EEEvSK_
; %bb.0:
	.section	.rodata,"a",@progbits
	.p2align	6, 0x0
	.amdhsa_kernel _ZN7rocprim17ROCPRIM_400000_NS6detail17trampoline_kernelINS0_14default_configENS1_36segmented_radix_sort_config_selectorIhlEEZNS1_25segmented_radix_sort_implIS3_Lb1EPKhPhPKlPlN2at6native12_GLOBAL__N_18offset_tEEE10hipError_tPvRmT1_PNSt15iterator_traitsISK_E10value_typeET2_T3_PNSL_ISQ_E10value_typeET4_jRbjT5_SW_jjP12ihipStream_tbEUlT_E2_NS1_11comp_targetILNS1_3genE10ELNS1_11target_archE1201ELNS1_3gpuE5ELNS1_3repE0EEENS1_30default_config_static_selectorELNS0_4arch9wavefront6targetE1EEEvSK_
		.amdhsa_group_segment_fixed_size 0
		.amdhsa_private_segment_fixed_size 0
		.amdhsa_kernarg_size 80
		.amdhsa_user_sgpr_count 6
		.amdhsa_user_sgpr_private_segment_buffer 1
		.amdhsa_user_sgpr_dispatch_ptr 0
		.amdhsa_user_sgpr_queue_ptr 0
		.amdhsa_user_sgpr_kernarg_segment_ptr 1
		.amdhsa_user_sgpr_dispatch_id 0
		.amdhsa_user_sgpr_flat_scratch_init 0
		.amdhsa_user_sgpr_kernarg_preload_length 0
		.amdhsa_user_sgpr_kernarg_preload_offset 0
		.amdhsa_user_sgpr_private_segment_size 0
		.amdhsa_uses_dynamic_stack 0
		.amdhsa_system_sgpr_private_segment_wavefront_offset 0
		.amdhsa_system_sgpr_workgroup_id_x 1
		.amdhsa_system_sgpr_workgroup_id_y 0
		.amdhsa_system_sgpr_workgroup_id_z 0
		.amdhsa_system_sgpr_workgroup_info 0
		.amdhsa_system_vgpr_workitem_id 0
		.amdhsa_next_free_vgpr 1
		.amdhsa_next_free_sgpr 0
		.amdhsa_accum_offset 4
		.amdhsa_reserve_vcc 0
		.amdhsa_reserve_flat_scratch 0
		.amdhsa_float_round_mode_32 0
		.amdhsa_float_round_mode_16_64 0
		.amdhsa_float_denorm_mode_32 3
		.amdhsa_float_denorm_mode_16_64 3
		.amdhsa_dx10_clamp 1
		.amdhsa_ieee_mode 1
		.amdhsa_fp16_overflow 0
		.amdhsa_tg_split 0
		.amdhsa_exception_fp_ieee_invalid_op 0
		.amdhsa_exception_fp_denorm_src 0
		.amdhsa_exception_fp_ieee_div_zero 0
		.amdhsa_exception_fp_ieee_overflow 0
		.amdhsa_exception_fp_ieee_underflow 0
		.amdhsa_exception_fp_ieee_inexact 0
		.amdhsa_exception_int_div_zero 0
	.end_amdhsa_kernel
	.section	.text._ZN7rocprim17ROCPRIM_400000_NS6detail17trampoline_kernelINS0_14default_configENS1_36segmented_radix_sort_config_selectorIhlEEZNS1_25segmented_radix_sort_implIS3_Lb1EPKhPhPKlPlN2at6native12_GLOBAL__N_18offset_tEEE10hipError_tPvRmT1_PNSt15iterator_traitsISK_E10value_typeET2_T3_PNSL_ISQ_E10value_typeET4_jRbjT5_SW_jjP12ihipStream_tbEUlT_E2_NS1_11comp_targetILNS1_3genE10ELNS1_11target_archE1201ELNS1_3gpuE5ELNS1_3repE0EEENS1_30default_config_static_selectorELNS0_4arch9wavefront6targetE1EEEvSK_,"axG",@progbits,_ZN7rocprim17ROCPRIM_400000_NS6detail17trampoline_kernelINS0_14default_configENS1_36segmented_radix_sort_config_selectorIhlEEZNS1_25segmented_radix_sort_implIS3_Lb1EPKhPhPKlPlN2at6native12_GLOBAL__N_18offset_tEEE10hipError_tPvRmT1_PNSt15iterator_traitsISK_E10value_typeET2_T3_PNSL_ISQ_E10value_typeET4_jRbjT5_SW_jjP12ihipStream_tbEUlT_E2_NS1_11comp_targetILNS1_3genE10ELNS1_11target_archE1201ELNS1_3gpuE5ELNS1_3repE0EEENS1_30default_config_static_selectorELNS0_4arch9wavefront6targetE1EEEvSK_,comdat
.Lfunc_end118:
	.size	_ZN7rocprim17ROCPRIM_400000_NS6detail17trampoline_kernelINS0_14default_configENS1_36segmented_radix_sort_config_selectorIhlEEZNS1_25segmented_radix_sort_implIS3_Lb1EPKhPhPKlPlN2at6native12_GLOBAL__N_18offset_tEEE10hipError_tPvRmT1_PNSt15iterator_traitsISK_E10value_typeET2_T3_PNSL_ISQ_E10value_typeET4_jRbjT5_SW_jjP12ihipStream_tbEUlT_E2_NS1_11comp_targetILNS1_3genE10ELNS1_11target_archE1201ELNS1_3gpuE5ELNS1_3repE0EEENS1_30default_config_static_selectorELNS0_4arch9wavefront6targetE1EEEvSK_, .Lfunc_end118-_ZN7rocprim17ROCPRIM_400000_NS6detail17trampoline_kernelINS0_14default_configENS1_36segmented_radix_sort_config_selectorIhlEEZNS1_25segmented_radix_sort_implIS3_Lb1EPKhPhPKlPlN2at6native12_GLOBAL__N_18offset_tEEE10hipError_tPvRmT1_PNSt15iterator_traitsISK_E10value_typeET2_T3_PNSL_ISQ_E10value_typeET4_jRbjT5_SW_jjP12ihipStream_tbEUlT_E2_NS1_11comp_targetILNS1_3genE10ELNS1_11target_archE1201ELNS1_3gpuE5ELNS1_3repE0EEENS1_30default_config_static_selectorELNS0_4arch9wavefront6targetE1EEEvSK_
                                        ; -- End function
	.section	.AMDGPU.csdata,"",@progbits
; Kernel info:
; codeLenInByte = 0
; NumSgprs: 4
; NumVgprs: 0
; NumAgprs: 0
; TotalNumVgprs: 0
; ScratchSize: 0
; MemoryBound: 0
; FloatMode: 240
; IeeeMode: 1
; LDSByteSize: 0 bytes/workgroup (compile time only)
; SGPRBlocks: 0
; VGPRBlocks: 0
; NumSGPRsForWavesPerEU: 4
; NumVGPRsForWavesPerEU: 1
; AccumOffset: 4
; Occupancy: 8
; WaveLimiterHint : 0
; COMPUTE_PGM_RSRC2:SCRATCH_EN: 0
; COMPUTE_PGM_RSRC2:USER_SGPR: 6
; COMPUTE_PGM_RSRC2:TRAP_HANDLER: 0
; COMPUTE_PGM_RSRC2:TGID_X_EN: 1
; COMPUTE_PGM_RSRC2:TGID_Y_EN: 0
; COMPUTE_PGM_RSRC2:TGID_Z_EN: 0
; COMPUTE_PGM_RSRC2:TIDIG_COMP_CNT: 0
; COMPUTE_PGM_RSRC3_GFX90A:ACCUM_OFFSET: 0
; COMPUTE_PGM_RSRC3_GFX90A:TG_SPLIT: 0
	.section	.text._ZN7rocprim17ROCPRIM_400000_NS6detail17trampoline_kernelINS0_14default_configENS1_36segmented_radix_sort_config_selectorIhlEEZNS1_25segmented_radix_sort_implIS3_Lb1EPKhPhPKlPlN2at6native12_GLOBAL__N_18offset_tEEE10hipError_tPvRmT1_PNSt15iterator_traitsISK_E10value_typeET2_T3_PNSL_ISQ_E10value_typeET4_jRbjT5_SW_jjP12ihipStream_tbEUlT_E2_NS1_11comp_targetILNS1_3genE10ELNS1_11target_archE1200ELNS1_3gpuE4ELNS1_3repE0EEENS1_30default_config_static_selectorELNS0_4arch9wavefront6targetE1EEEvSK_,"axG",@progbits,_ZN7rocprim17ROCPRIM_400000_NS6detail17trampoline_kernelINS0_14default_configENS1_36segmented_radix_sort_config_selectorIhlEEZNS1_25segmented_radix_sort_implIS3_Lb1EPKhPhPKlPlN2at6native12_GLOBAL__N_18offset_tEEE10hipError_tPvRmT1_PNSt15iterator_traitsISK_E10value_typeET2_T3_PNSL_ISQ_E10value_typeET4_jRbjT5_SW_jjP12ihipStream_tbEUlT_E2_NS1_11comp_targetILNS1_3genE10ELNS1_11target_archE1200ELNS1_3gpuE4ELNS1_3repE0EEENS1_30default_config_static_selectorELNS0_4arch9wavefront6targetE1EEEvSK_,comdat
	.globl	_ZN7rocprim17ROCPRIM_400000_NS6detail17trampoline_kernelINS0_14default_configENS1_36segmented_radix_sort_config_selectorIhlEEZNS1_25segmented_radix_sort_implIS3_Lb1EPKhPhPKlPlN2at6native12_GLOBAL__N_18offset_tEEE10hipError_tPvRmT1_PNSt15iterator_traitsISK_E10value_typeET2_T3_PNSL_ISQ_E10value_typeET4_jRbjT5_SW_jjP12ihipStream_tbEUlT_E2_NS1_11comp_targetILNS1_3genE10ELNS1_11target_archE1200ELNS1_3gpuE4ELNS1_3repE0EEENS1_30default_config_static_selectorELNS0_4arch9wavefront6targetE1EEEvSK_ ; -- Begin function _ZN7rocprim17ROCPRIM_400000_NS6detail17trampoline_kernelINS0_14default_configENS1_36segmented_radix_sort_config_selectorIhlEEZNS1_25segmented_radix_sort_implIS3_Lb1EPKhPhPKlPlN2at6native12_GLOBAL__N_18offset_tEEE10hipError_tPvRmT1_PNSt15iterator_traitsISK_E10value_typeET2_T3_PNSL_ISQ_E10value_typeET4_jRbjT5_SW_jjP12ihipStream_tbEUlT_E2_NS1_11comp_targetILNS1_3genE10ELNS1_11target_archE1200ELNS1_3gpuE4ELNS1_3repE0EEENS1_30default_config_static_selectorELNS0_4arch9wavefront6targetE1EEEvSK_
	.p2align	8
	.type	_ZN7rocprim17ROCPRIM_400000_NS6detail17trampoline_kernelINS0_14default_configENS1_36segmented_radix_sort_config_selectorIhlEEZNS1_25segmented_radix_sort_implIS3_Lb1EPKhPhPKlPlN2at6native12_GLOBAL__N_18offset_tEEE10hipError_tPvRmT1_PNSt15iterator_traitsISK_E10value_typeET2_T3_PNSL_ISQ_E10value_typeET4_jRbjT5_SW_jjP12ihipStream_tbEUlT_E2_NS1_11comp_targetILNS1_3genE10ELNS1_11target_archE1200ELNS1_3gpuE4ELNS1_3repE0EEENS1_30default_config_static_selectorELNS0_4arch9wavefront6targetE1EEEvSK_,@function
_ZN7rocprim17ROCPRIM_400000_NS6detail17trampoline_kernelINS0_14default_configENS1_36segmented_radix_sort_config_selectorIhlEEZNS1_25segmented_radix_sort_implIS3_Lb1EPKhPhPKlPlN2at6native12_GLOBAL__N_18offset_tEEE10hipError_tPvRmT1_PNSt15iterator_traitsISK_E10value_typeET2_T3_PNSL_ISQ_E10value_typeET4_jRbjT5_SW_jjP12ihipStream_tbEUlT_E2_NS1_11comp_targetILNS1_3genE10ELNS1_11target_archE1200ELNS1_3gpuE4ELNS1_3repE0EEENS1_30default_config_static_selectorELNS0_4arch9wavefront6targetE1EEEvSK_: ; @_ZN7rocprim17ROCPRIM_400000_NS6detail17trampoline_kernelINS0_14default_configENS1_36segmented_radix_sort_config_selectorIhlEEZNS1_25segmented_radix_sort_implIS3_Lb1EPKhPhPKlPlN2at6native12_GLOBAL__N_18offset_tEEE10hipError_tPvRmT1_PNSt15iterator_traitsISK_E10value_typeET2_T3_PNSL_ISQ_E10value_typeET4_jRbjT5_SW_jjP12ihipStream_tbEUlT_E2_NS1_11comp_targetILNS1_3genE10ELNS1_11target_archE1200ELNS1_3gpuE4ELNS1_3repE0EEENS1_30default_config_static_selectorELNS0_4arch9wavefront6targetE1EEEvSK_
; %bb.0:
	.section	.rodata,"a",@progbits
	.p2align	6, 0x0
	.amdhsa_kernel _ZN7rocprim17ROCPRIM_400000_NS6detail17trampoline_kernelINS0_14default_configENS1_36segmented_radix_sort_config_selectorIhlEEZNS1_25segmented_radix_sort_implIS3_Lb1EPKhPhPKlPlN2at6native12_GLOBAL__N_18offset_tEEE10hipError_tPvRmT1_PNSt15iterator_traitsISK_E10value_typeET2_T3_PNSL_ISQ_E10value_typeET4_jRbjT5_SW_jjP12ihipStream_tbEUlT_E2_NS1_11comp_targetILNS1_3genE10ELNS1_11target_archE1200ELNS1_3gpuE4ELNS1_3repE0EEENS1_30default_config_static_selectorELNS0_4arch9wavefront6targetE1EEEvSK_
		.amdhsa_group_segment_fixed_size 0
		.amdhsa_private_segment_fixed_size 0
		.amdhsa_kernarg_size 80
		.amdhsa_user_sgpr_count 6
		.amdhsa_user_sgpr_private_segment_buffer 1
		.amdhsa_user_sgpr_dispatch_ptr 0
		.amdhsa_user_sgpr_queue_ptr 0
		.amdhsa_user_sgpr_kernarg_segment_ptr 1
		.amdhsa_user_sgpr_dispatch_id 0
		.amdhsa_user_sgpr_flat_scratch_init 0
		.amdhsa_user_sgpr_kernarg_preload_length 0
		.amdhsa_user_sgpr_kernarg_preload_offset 0
		.amdhsa_user_sgpr_private_segment_size 0
		.amdhsa_uses_dynamic_stack 0
		.amdhsa_system_sgpr_private_segment_wavefront_offset 0
		.amdhsa_system_sgpr_workgroup_id_x 1
		.amdhsa_system_sgpr_workgroup_id_y 0
		.amdhsa_system_sgpr_workgroup_id_z 0
		.amdhsa_system_sgpr_workgroup_info 0
		.amdhsa_system_vgpr_workitem_id 0
		.amdhsa_next_free_vgpr 1
		.amdhsa_next_free_sgpr 0
		.amdhsa_accum_offset 4
		.amdhsa_reserve_vcc 0
		.amdhsa_reserve_flat_scratch 0
		.amdhsa_float_round_mode_32 0
		.amdhsa_float_round_mode_16_64 0
		.amdhsa_float_denorm_mode_32 3
		.amdhsa_float_denorm_mode_16_64 3
		.amdhsa_dx10_clamp 1
		.amdhsa_ieee_mode 1
		.amdhsa_fp16_overflow 0
		.amdhsa_tg_split 0
		.amdhsa_exception_fp_ieee_invalid_op 0
		.amdhsa_exception_fp_denorm_src 0
		.amdhsa_exception_fp_ieee_div_zero 0
		.amdhsa_exception_fp_ieee_overflow 0
		.amdhsa_exception_fp_ieee_underflow 0
		.amdhsa_exception_fp_ieee_inexact 0
		.amdhsa_exception_int_div_zero 0
	.end_amdhsa_kernel
	.section	.text._ZN7rocprim17ROCPRIM_400000_NS6detail17trampoline_kernelINS0_14default_configENS1_36segmented_radix_sort_config_selectorIhlEEZNS1_25segmented_radix_sort_implIS3_Lb1EPKhPhPKlPlN2at6native12_GLOBAL__N_18offset_tEEE10hipError_tPvRmT1_PNSt15iterator_traitsISK_E10value_typeET2_T3_PNSL_ISQ_E10value_typeET4_jRbjT5_SW_jjP12ihipStream_tbEUlT_E2_NS1_11comp_targetILNS1_3genE10ELNS1_11target_archE1200ELNS1_3gpuE4ELNS1_3repE0EEENS1_30default_config_static_selectorELNS0_4arch9wavefront6targetE1EEEvSK_,"axG",@progbits,_ZN7rocprim17ROCPRIM_400000_NS6detail17trampoline_kernelINS0_14default_configENS1_36segmented_radix_sort_config_selectorIhlEEZNS1_25segmented_radix_sort_implIS3_Lb1EPKhPhPKlPlN2at6native12_GLOBAL__N_18offset_tEEE10hipError_tPvRmT1_PNSt15iterator_traitsISK_E10value_typeET2_T3_PNSL_ISQ_E10value_typeET4_jRbjT5_SW_jjP12ihipStream_tbEUlT_E2_NS1_11comp_targetILNS1_3genE10ELNS1_11target_archE1200ELNS1_3gpuE4ELNS1_3repE0EEENS1_30default_config_static_selectorELNS0_4arch9wavefront6targetE1EEEvSK_,comdat
.Lfunc_end119:
	.size	_ZN7rocprim17ROCPRIM_400000_NS6detail17trampoline_kernelINS0_14default_configENS1_36segmented_radix_sort_config_selectorIhlEEZNS1_25segmented_radix_sort_implIS3_Lb1EPKhPhPKlPlN2at6native12_GLOBAL__N_18offset_tEEE10hipError_tPvRmT1_PNSt15iterator_traitsISK_E10value_typeET2_T3_PNSL_ISQ_E10value_typeET4_jRbjT5_SW_jjP12ihipStream_tbEUlT_E2_NS1_11comp_targetILNS1_3genE10ELNS1_11target_archE1200ELNS1_3gpuE4ELNS1_3repE0EEENS1_30default_config_static_selectorELNS0_4arch9wavefront6targetE1EEEvSK_, .Lfunc_end119-_ZN7rocprim17ROCPRIM_400000_NS6detail17trampoline_kernelINS0_14default_configENS1_36segmented_radix_sort_config_selectorIhlEEZNS1_25segmented_radix_sort_implIS3_Lb1EPKhPhPKlPlN2at6native12_GLOBAL__N_18offset_tEEE10hipError_tPvRmT1_PNSt15iterator_traitsISK_E10value_typeET2_T3_PNSL_ISQ_E10value_typeET4_jRbjT5_SW_jjP12ihipStream_tbEUlT_E2_NS1_11comp_targetILNS1_3genE10ELNS1_11target_archE1200ELNS1_3gpuE4ELNS1_3repE0EEENS1_30default_config_static_selectorELNS0_4arch9wavefront6targetE1EEEvSK_
                                        ; -- End function
	.section	.AMDGPU.csdata,"",@progbits
; Kernel info:
; codeLenInByte = 0
; NumSgprs: 4
; NumVgprs: 0
; NumAgprs: 0
; TotalNumVgprs: 0
; ScratchSize: 0
; MemoryBound: 0
; FloatMode: 240
; IeeeMode: 1
; LDSByteSize: 0 bytes/workgroup (compile time only)
; SGPRBlocks: 0
; VGPRBlocks: 0
; NumSGPRsForWavesPerEU: 4
; NumVGPRsForWavesPerEU: 1
; AccumOffset: 4
; Occupancy: 8
; WaveLimiterHint : 0
; COMPUTE_PGM_RSRC2:SCRATCH_EN: 0
; COMPUTE_PGM_RSRC2:USER_SGPR: 6
; COMPUTE_PGM_RSRC2:TRAP_HANDLER: 0
; COMPUTE_PGM_RSRC2:TGID_X_EN: 1
; COMPUTE_PGM_RSRC2:TGID_Y_EN: 0
; COMPUTE_PGM_RSRC2:TGID_Z_EN: 0
; COMPUTE_PGM_RSRC2:TIDIG_COMP_CNT: 0
; COMPUTE_PGM_RSRC3_GFX90A:ACCUM_OFFSET: 0
; COMPUTE_PGM_RSRC3_GFX90A:TG_SPLIT: 0
	.section	.text._ZN7rocprim17ROCPRIM_400000_NS6detail17trampoline_kernelINS0_14default_configENS1_36segmented_radix_sort_config_selectorIhlEEZNS1_25segmented_radix_sort_implIS3_Lb1EPKhPhPKlPlN2at6native12_GLOBAL__N_18offset_tEEE10hipError_tPvRmT1_PNSt15iterator_traitsISK_E10value_typeET2_T3_PNSL_ISQ_E10value_typeET4_jRbjT5_SW_jjP12ihipStream_tbEUlT_E2_NS1_11comp_targetILNS1_3genE9ELNS1_11target_archE1100ELNS1_3gpuE3ELNS1_3repE0EEENS1_30default_config_static_selectorELNS0_4arch9wavefront6targetE1EEEvSK_,"axG",@progbits,_ZN7rocprim17ROCPRIM_400000_NS6detail17trampoline_kernelINS0_14default_configENS1_36segmented_radix_sort_config_selectorIhlEEZNS1_25segmented_radix_sort_implIS3_Lb1EPKhPhPKlPlN2at6native12_GLOBAL__N_18offset_tEEE10hipError_tPvRmT1_PNSt15iterator_traitsISK_E10value_typeET2_T3_PNSL_ISQ_E10value_typeET4_jRbjT5_SW_jjP12ihipStream_tbEUlT_E2_NS1_11comp_targetILNS1_3genE9ELNS1_11target_archE1100ELNS1_3gpuE3ELNS1_3repE0EEENS1_30default_config_static_selectorELNS0_4arch9wavefront6targetE1EEEvSK_,comdat
	.globl	_ZN7rocprim17ROCPRIM_400000_NS6detail17trampoline_kernelINS0_14default_configENS1_36segmented_radix_sort_config_selectorIhlEEZNS1_25segmented_radix_sort_implIS3_Lb1EPKhPhPKlPlN2at6native12_GLOBAL__N_18offset_tEEE10hipError_tPvRmT1_PNSt15iterator_traitsISK_E10value_typeET2_T3_PNSL_ISQ_E10value_typeET4_jRbjT5_SW_jjP12ihipStream_tbEUlT_E2_NS1_11comp_targetILNS1_3genE9ELNS1_11target_archE1100ELNS1_3gpuE3ELNS1_3repE0EEENS1_30default_config_static_selectorELNS0_4arch9wavefront6targetE1EEEvSK_ ; -- Begin function _ZN7rocprim17ROCPRIM_400000_NS6detail17trampoline_kernelINS0_14default_configENS1_36segmented_radix_sort_config_selectorIhlEEZNS1_25segmented_radix_sort_implIS3_Lb1EPKhPhPKlPlN2at6native12_GLOBAL__N_18offset_tEEE10hipError_tPvRmT1_PNSt15iterator_traitsISK_E10value_typeET2_T3_PNSL_ISQ_E10value_typeET4_jRbjT5_SW_jjP12ihipStream_tbEUlT_E2_NS1_11comp_targetILNS1_3genE9ELNS1_11target_archE1100ELNS1_3gpuE3ELNS1_3repE0EEENS1_30default_config_static_selectorELNS0_4arch9wavefront6targetE1EEEvSK_
	.p2align	8
	.type	_ZN7rocprim17ROCPRIM_400000_NS6detail17trampoline_kernelINS0_14default_configENS1_36segmented_radix_sort_config_selectorIhlEEZNS1_25segmented_radix_sort_implIS3_Lb1EPKhPhPKlPlN2at6native12_GLOBAL__N_18offset_tEEE10hipError_tPvRmT1_PNSt15iterator_traitsISK_E10value_typeET2_T3_PNSL_ISQ_E10value_typeET4_jRbjT5_SW_jjP12ihipStream_tbEUlT_E2_NS1_11comp_targetILNS1_3genE9ELNS1_11target_archE1100ELNS1_3gpuE3ELNS1_3repE0EEENS1_30default_config_static_selectorELNS0_4arch9wavefront6targetE1EEEvSK_,@function
_ZN7rocprim17ROCPRIM_400000_NS6detail17trampoline_kernelINS0_14default_configENS1_36segmented_radix_sort_config_selectorIhlEEZNS1_25segmented_radix_sort_implIS3_Lb1EPKhPhPKlPlN2at6native12_GLOBAL__N_18offset_tEEE10hipError_tPvRmT1_PNSt15iterator_traitsISK_E10value_typeET2_T3_PNSL_ISQ_E10value_typeET4_jRbjT5_SW_jjP12ihipStream_tbEUlT_E2_NS1_11comp_targetILNS1_3genE9ELNS1_11target_archE1100ELNS1_3gpuE3ELNS1_3repE0EEENS1_30default_config_static_selectorELNS0_4arch9wavefront6targetE1EEEvSK_: ; @_ZN7rocprim17ROCPRIM_400000_NS6detail17trampoline_kernelINS0_14default_configENS1_36segmented_radix_sort_config_selectorIhlEEZNS1_25segmented_radix_sort_implIS3_Lb1EPKhPhPKlPlN2at6native12_GLOBAL__N_18offset_tEEE10hipError_tPvRmT1_PNSt15iterator_traitsISK_E10value_typeET2_T3_PNSL_ISQ_E10value_typeET4_jRbjT5_SW_jjP12ihipStream_tbEUlT_E2_NS1_11comp_targetILNS1_3genE9ELNS1_11target_archE1100ELNS1_3gpuE3ELNS1_3repE0EEENS1_30default_config_static_selectorELNS0_4arch9wavefront6targetE1EEEvSK_
; %bb.0:
	.section	.rodata,"a",@progbits
	.p2align	6, 0x0
	.amdhsa_kernel _ZN7rocprim17ROCPRIM_400000_NS6detail17trampoline_kernelINS0_14default_configENS1_36segmented_radix_sort_config_selectorIhlEEZNS1_25segmented_radix_sort_implIS3_Lb1EPKhPhPKlPlN2at6native12_GLOBAL__N_18offset_tEEE10hipError_tPvRmT1_PNSt15iterator_traitsISK_E10value_typeET2_T3_PNSL_ISQ_E10value_typeET4_jRbjT5_SW_jjP12ihipStream_tbEUlT_E2_NS1_11comp_targetILNS1_3genE9ELNS1_11target_archE1100ELNS1_3gpuE3ELNS1_3repE0EEENS1_30default_config_static_selectorELNS0_4arch9wavefront6targetE1EEEvSK_
		.amdhsa_group_segment_fixed_size 0
		.amdhsa_private_segment_fixed_size 0
		.amdhsa_kernarg_size 80
		.amdhsa_user_sgpr_count 6
		.amdhsa_user_sgpr_private_segment_buffer 1
		.amdhsa_user_sgpr_dispatch_ptr 0
		.amdhsa_user_sgpr_queue_ptr 0
		.amdhsa_user_sgpr_kernarg_segment_ptr 1
		.amdhsa_user_sgpr_dispatch_id 0
		.amdhsa_user_sgpr_flat_scratch_init 0
		.amdhsa_user_sgpr_kernarg_preload_length 0
		.amdhsa_user_sgpr_kernarg_preload_offset 0
		.amdhsa_user_sgpr_private_segment_size 0
		.amdhsa_uses_dynamic_stack 0
		.amdhsa_system_sgpr_private_segment_wavefront_offset 0
		.amdhsa_system_sgpr_workgroup_id_x 1
		.amdhsa_system_sgpr_workgroup_id_y 0
		.amdhsa_system_sgpr_workgroup_id_z 0
		.amdhsa_system_sgpr_workgroup_info 0
		.amdhsa_system_vgpr_workitem_id 0
		.amdhsa_next_free_vgpr 1
		.amdhsa_next_free_sgpr 0
		.amdhsa_accum_offset 4
		.amdhsa_reserve_vcc 0
		.amdhsa_reserve_flat_scratch 0
		.amdhsa_float_round_mode_32 0
		.amdhsa_float_round_mode_16_64 0
		.amdhsa_float_denorm_mode_32 3
		.amdhsa_float_denorm_mode_16_64 3
		.amdhsa_dx10_clamp 1
		.amdhsa_ieee_mode 1
		.amdhsa_fp16_overflow 0
		.amdhsa_tg_split 0
		.amdhsa_exception_fp_ieee_invalid_op 0
		.amdhsa_exception_fp_denorm_src 0
		.amdhsa_exception_fp_ieee_div_zero 0
		.amdhsa_exception_fp_ieee_overflow 0
		.amdhsa_exception_fp_ieee_underflow 0
		.amdhsa_exception_fp_ieee_inexact 0
		.amdhsa_exception_int_div_zero 0
	.end_amdhsa_kernel
	.section	.text._ZN7rocprim17ROCPRIM_400000_NS6detail17trampoline_kernelINS0_14default_configENS1_36segmented_radix_sort_config_selectorIhlEEZNS1_25segmented_radix_sort_implIS3_Lb1EPKhPhPKlPlN2at6native12_GLOBAL__N_18offset_tEEE10hipError_tPvRmT1_PNSt15iterator_traitsISK_E10value_typeET2_T3_PNSL_ISQ_E10value_typeET4_jRbjT5_SW_jjP12ihipStream_tbEUlT_E2_NS1_11comp_targetILNS1_3genE9ELNS1_11target_archE1100ELNS1_3gpuE3ELNS1_3repE0EEENS1_30default_config_static_selectorELNS0_4arch9wavefront6targetE1EEEvSK_,"axG",@progbits,_ZN7rocprim17ROCPRIM_400000_NS6detail17trampoline_kernelINS0_14default_configENS1_36segmented_radix_sort_config_selectorIhlEEZNS1_25segmented_radix_sort_implIS3_Lb1EPKhPhPKlPlN2at6native12_GLOBAL__N_18offset_tEEE10hipError_tPvRmT1_PNSt15iterator_traitsISK_E10value_typeET2_T3_PNSL_ISQ_E10value_typeET4_jRbjT5_SW_jjP12ihipStream_tbEUlT_E2_NS1_11comp_targetILNS1_3genE9ELNS1_11target_archE1100ELNS1_3gpuE3ELNS1_3repE0EEENS1_30default_config_static_selectorELNS0_4arch9wavefront6targetE1EEEvSK_,comdat
.Lfunc_end120:
	.size	_ZN7rocprim17ROCPRIM_400000_NS6detail17trampoline_kernelINS0_14default_configENS1_36segmented_radix_sort_config_selectorIhlEEZNS1_25segmented_radix_sort_implIS3_Lb1EPKhPhPKlPlN2at6native12_GLOBAL__N_18offset_tEEE10hipError_tPvRmT1_PNSt15iterator_traitsISK_E10value_typeET2_T3_PNSL_ISQ_E10value_typeET4_jRbjT5_SW_jjP12ihipStream_tbEUlT_E2_NS1_11comp_targetILNS1_3genE9ELNS1_11target_archE1100ELNS1_3gpuE3ELNS1_3repE0EEENS1_30default_config_static_selectorELNS0_4arch9wavefront6targetE1EEEvSK_, .Lfunc_end120-_ZN7rocprim17ROCPRIM_400000_NS6detail17trampoline_kernelINS0_14default_configENS1_36segmented_radix_sort_config_selectorIhlEEZNS1_25segmented_radix_sort_implIS3_Lb1EPKhPhPKlPlN2at6native12_GLOBAL__N_18offset_tEEE10hipError_tPvRmT1_PNSt15iterator_traitsISK_E10value_typeET2_T3_PNSL_ISQ_E10value_typeET4_jRbjT5_SW_jjP12ihipStream_tbEUlT_E2_NS1_11comp_targetILNS1_3genE9ELNS1_11target_archE1100ELNS1_3gpuE3ELNS1_3repE0EEENS1_30default_config_static_selectorELNS0_4arch9wavefront6targetE1EEEvSK_
                                        ; -- End function
	.section	.AMDGPU.csdata,"",@progbits
; Kernel info:
; codeLenInByte = 0
; NumSgprs: 4
; NumVgprs: 0
; NumAgprs: 0
; TotalNumVgprs: 0
; ScratchSize: 0
; MemoryBound: 0
; FloatMode: 240
; IeeeMode: 1
; LDSByteSize: 0 bytes/workgroup (compile time only)
; SGPRBlocks: 0
; VGPRBlocks: 0
; NumSGPRsForWavesPerEU: 4
; NumVGPRsForWavesPerEU: 1
; AccumOffset: 4
; Occupancy: 8
; WaveLimiterHint : 0
; COMPUTE_PGM_RSRC2:SCRATCH_EN: 0
; COMPUTE_PGM_RSRC2:USER_SGPR: 6
; COMPUTE_PGM_RSRC2:TRAP_HANDLER: 0
; COMPUTE_PGM_RSRC2:TGID_X_EN: 1
; COMPUTE_PGM_RSRC2:TGID_Y_EN: 0
; COMPUTE_PGM_RSRC2:TGID_Z_EN: 0
; COMPUTE_PGM_RSRC2:TIDIG_COMP_CNT: 0
; COMPUTE_PGM_RSRC3_GFX90A:ACCUM_OFFSET: 0
; COMPUTE_PGM_RSRC3_GFX90A:TG_SPLIT: 0
	.section	.text._ZN7rocprim17ROCPRIM_400000_NS6detail17trampoline_kernelINS0_14default_configENS1_36segmented_radix_sort_config_selectorIhlEEZNS1_25segmented_radix_sort_implIS3_Lb1EPKhPhPKlPlN2at6native12_GLOBAL__N_18offset_tEEE10hipError_tPvRmT1_PNSt15iterator_traitsISK_E10value_typeET2_T3_PNSL_ISQ_E10value_typeET4_jRbjT5_SW_jjP12ihipStream_tbEUlT_E2_NS1_11comp_targetILNS1_3genE8ELNS1_11target_archE1030ELNS1_3gpuE2ELNS1_3repE0EEENS1_30default_config_static_selectorELNS0_4arch9wavefront6targetE1EEEvSK_,"axG",@progbits,_ZN7rocprim17ROCPRIM_400000_NS6detail17trampoline_kernelINS0_14default_configENS1_36segmented_radix_sort_config_selectorIhlEEZNS1_25segmented_radix_sort_implIS3_Lb1EPKhPhPKlPlN2at6native12_GLOBAL__N_18offset_tEEE10hipError_tPvRmT1_PNSt15iterator_traitsISK_E10value_typeET2_T3_PNSL_ISQ_E10value_typeET4_jRbjT5_SW_jjP12ihipStream_tbEUlT_E2_NS1_11comp_targetILNS1_3genE8ELNS1_11target_archE1030ELNS1_3gpuE2ELNS1_3repE0EEENS1_30default_config_static_selectorELNS0_4arch9wavefront6targetE1EEEvSK_,comdat
	.globl	_ZN7rocprim17ROCPRIM_400000_NS6detail17trampoline_kernelINS0_14default_configENS1_36segmented_radix_sort_config_selectorIhlEEZNS1_25segmented_radix_sort_implIS3_Lb1EPKhPhPKlPlN2at6native12_GLOBAL__N_18offset_tEEE10hipError_tPvRmT1_PNSt15iterator_traitsISK_E10value_typeET2_T3_PNSL_ISQ_E10value_typeET4_jRbjT5_SW_jjP12ihipStream_tbEUlT_E2_NS1_11comp_targetILNS1_3genE8ELNS1_11target_archE1030ELNS1_3gpuE2ELNS1_3repE0EEENS1_30default_config_static_selectorELNS0_4arch9wavefront6targetE1EEEvSK_ ; -- Begin function _ZN7rocprim17ROCPRIM_400000_NS6detail17trampoline_kernelINS0_14default_configENS1_36segmented_radix_sort_config_selectorIhlEEZNS1_25segmented_radix_sort_implIS3_Lb1EPKhPhPKlPlN2at6native12_GLOBAL__N_18offset_tEEE10hipError_tPvRmT1_PNSt15iterator_traitsISK_E10value_typeET2_T3_PNSL_ISQ_E10value_typeET4_jRbjT5_SW_jjP12ihipStream_tbEUlT_E2_NS1_11comp_targetILNS1_3genE8ELNS1_11target_archE1030ELNS1_3gpuE2ELNS1_3repE0EEENS1_30default_config_static_selectorELNS0_4arch9wavefront6targetE1EEEvSK_
	.p2align	8
	.type	_ZN7rocprim17ROCPRIM_400000_NS6detail17trampoline_kernelINS0_14default_configENS1_36segmented_radix_sort_config_selectorIhlEEZNS1_25segmented_radix_sort_implIS3_Lb1EPKhPhPKlPlN2at6native12_GLOBAL__N_18offset_tEEE10hipError_tPvRmT1_PNSt15iterator_traitsISK_E10value_typeET2_T3_PNSL_ISQ_E10value_typeET4_jRbjT5_SW_jjP12ihipStream_tbEUlT_E2_NS1_11comp_targetILNS1_3genE8ELNS1_11target_archE1030ELNS1_3gpuE2ELNS1_3repE0EEENS1_30default_config_static_selectorELNS0_4arch9wavefront6targetE1EEEvSK_,@function
_ZN7rocprim17ROCPRIM_400000_NS6detail17trampoline_kernelINS0_14default_configENS1_36segmented_radix_sort_config_selectorIhlEEZNS1_25segmented_radix_sort_implIS3_Lb1EPKhPhPKlPlN2at6native12_GLOBAL__N_18offset_tEEE10hipError_tPvRmT1_PNSt15iterator_traitsISK_E10value_typeET2_T3_PNSL_ISQ_E10value_typeET4_jRbjT5_SW_jjP12ihipStream_tbEUlT_E2_NS1_11comp_targetILNS1_3genE8ELNS1_11target_archE1030ELNS1_3gpuE2ELNS1_3repE0EEENS1_30default_config_static_selectorELNS0_4arch9wavefront6targetE1EEEvSK_: ; @_ZN7rocprim17ROCPRIM_400000_NS6detail17trampoline_kernelINS0_14default_configENS1_36segmented_radix_sort_config_selectorIhlEEZNS1_25segmented_radix_sort_implIS3_Lb1EPKhPhPKlPlN2at6native12_GLOBAL__N_18offset_tEEE10hipError_tPvRmT1_PNSt15iterator_traitsISK_E10value_typeET2_T3_PNSL_ISQ_E10value_typeET4_jRbjT5_SW_jjP12ihipStream_tbEUlT_E2_NS1_11comp_targetILNS1_3genE8ELNS1_11target_archE1030ELNS1_3gpuE2ELNS1_3repE0EEENS1_30default_config_static_selectorELNS0_4arch9wavefront6targetE1EEEvSK_
; %bb.0:
	.section	.rodata,"a",@progbits
	.p2align	6, 0x0
	.amdhsa_kernel _ZN7rocprim17ROCPRIM_400000_NS6detail17trampoline_kernelINS0_14default_configENS1_36segmented_radix_sort_config_selectorIhlEEZNS1_25segmented_radix_sort_implIS3_Lb1EPKhPhPKlPlN2at6native12_GLOBAL__N_18offset_tEEE10hipError_tPvRmT1_PNSt15iterator_traitsISK_E10value_typeET2_T3_PNSL_ISQ_E10value_typeET4_jRbjT5_SW_jjP12ihipStream_tbEUlT_E2_NS1_11comp_targetILNS1_3genE8ELNS1_11target_archE1030ELNS1_3gpuE2ELNS1_3repE0EEENS1_30default_config_static_selectorELNS0_4arch9wavefront6targetE1EEEvSK_
		.amdhsa_group_segment_fixed_size 0
		.amdhsa_private_segment_fixed_size 0
		.amdhsa_kernarg_size 80
		.amdhsa_user_sgpr_count 6
		.amdhsa_user_sgpr_private_segment_buffer 1
		.amdhsa_user_sgpr_dispatch_ptr 0
		.amdhsa_user_sgpr_queue_ptr 0
		.amdhsa_user_sgpr_kernarg_segment_ptr 1
		.amdhsa_user_sgpr_dispatch_id 0
		.amdhsa_user_sgpr_flat_scratch_init 0
		.amdhsa_user_sgpr_kernarg_preload_length 0
		.amdhsa_user_sgpr_kernarg_preload_offset 0
		.amdhsa_user_sgpr_private_segment_size 0
		.amdhsa_uses_dynamic_stack 0
		.amdhsa_system_sgpr_private_segment_wavefront_offset 0
		.amdhsa_system_sgpr_workgroup_id_x 1
		.amdhsa_system_sgpr_workgroup_id_y 0
		.amdhsa_system_sgpr_workgroup_id_z 0
		.amdhsa_system_sgpr_workgroup_info 0
		.amdhsa_system_vgpr_workitem_id 0
		.amdhsa_next_free_vgpr 1
		.amdhsa_next_free_sgpr 0
		.amdhsa_accum_offset 4
		.amdhsa_reserve_vcc 0
		.amdhsa_reserve_flat_scratch 0
		.amdhsa_float_round_mode_32 0
		.amdhsa_float_round_mode_16_64 0
		.amdhsa_float_denorm_mode_32 3
		.amdhsa_float_denorm_mode_16_64 3
		.amdhsa_dx10_clamp 1
		.amdhsa_ieee_mode 1
		.amdhsa_fp16_overflow 0
		.amdhsa_tg_split 0
		.amdhsa_exception_fp_ieee_invalid_op 0
		.amdhsa_exception_fp_denorm_src 0
		.amdhsa_exception_fp_ieee_div_zero 0
		.amdhsa_exception_fp_ieee_overflow 0
		.amdhsa_exception_fp_ieee_underflow 0
		.amdhsa_exception_fp_ieee_inexact 0
		.amdhsa_exception_int_div_zero 0
	.end_amdhsa_kernel
	.section	.text._ZN7rocprim17ROCPRIM_400000_NS6detail17trampoline_kernelINS0_14default_configENS1_36segmented_radix_sort_config_selectorIhlEEZNS1_25segmented_radix_sort_implIS3_Lb1EPKhPhPKlPlN2at6native12_GLOBAL__N_18offset_tEEE10hipError_tPvRmT1_PNSt15iterator_traitsISK_E10value_typeET2_T3_PNSL_ISQ_E10value_typeET4_jRbjT5_SW_jjP12ihipStream_tbEUlT_E2_NS1_11comp_targetILNS1_3genE8ELNS1_11target_archE1030ELNS1_3gpuE2ELNS1_3repE0EEENS1_30default_config_static_selectorELNS0_4arch9wavefront6targetE1EEEvSK_,"axG",@progbits,_ZN7rocprim17ROCPRIM_400000_NS6detail17trampoline_kernelINS0_14default_configENS1_36segmented_radix_sort_config_selectorIhlEEZNS1_25segmented_radix_sort_implIS3_Lb1EPKhPhPKlPlN2at6native12_GLOBAL__N_18offset_tEEE10hipError_tPvRmT1_PNSt15iterator_traitsISK_E10value_typeET2_T3_PNSL_ISQ_E10value_typeET4_jRbjT5_SW_jjP12ihipStream_tbEUlT_E2_NS1_11comp_targetILNS1_3genE8ELNS1_11target_archE1030ELNS1_3gpuE2ELNS1_3repE0EEENS1_30default_config_static_selectorELNS0_4arch9wavefront6targetE1EEEvSK_,comdat
.Lfunc_end121:
	.size	_ZN7rocprim17ROCPRIM_400000_NS6detail17trampoline_kernelINS0_14default_configENS1_36segmented_radix_sort_config_selectorIhlEEZNS1_25segmented_radix_sort_implIS3_Lb1EPKhPhPKlPlN2at6native12_GLOBAL__N_18offset_tEEE10hipError_tPvRmT1_PNSt15iterator_traitsISK_E10value_typeET2_T3_PNSL_ISQ_E10value_typeET4_jRbjT5_SW_jjP12ihipStream_tbEUlT_E2_NS1_11comp_targetILNS1_3genE8ELNS1_11target_archE1030ELNS1_3gpuE2ELNS1_3repE0EEENS1_30default_config_static_selectorELNS0_4arch9wavefront6targetE1EEEvSK_, .Lfunc_end121-_ZN7rocprim17ROCPRIM_400000_NS6detail17trampoline_kernelINS0_14default_configENS1_36segmented_radix_sort_config_selectorIhlEEZNS1_25segmented_radix_sort_implIS3_Lb1EPKhPhPKlPlN2at6native12_GLOBAL__N_18offset_tEEE10hipError_tPvRmT1_PNSt15iterator_traitsISK_E10value_typeET2_T3_PNSL_ISQ_E10value_typeET4_jRbjT5_SW_jjP12ihipStream_tbEUlT_E2_NS1_11comp_targetILNS1_3genE8ELNS1_11target_archE1030ELNS1_3gpuE2ELNS1_3repE0EEENS1_30default_config_static_selectorELNS0_4arch9wavefront6targetE1EEEvSK_
                                        ; -- End function
	.section	.AMDGPU.csdata,"",@progbits
; Kernel info:
; codeLenInByte = 0
; NumSgprs: 4
; NumVgprs: 0
; NumAgprs: 0
; TotalNumVgprs: 0
; ScratchSize: 0
; MemoryBound: 0
; FloatMode: 240
; IeeeMode: 1
; LDSByteSize: 0 bytes/workgroup (compile time only)
; SGPRBlocks: 0
; VGPRBlocks: 0
; NumSGPRsForWavesPerEU: 4
; NumVGPRsForWavesPerEU: 1
; AccumOffset: 4
; Occupancy: 8
; WaveLimiterHint : 0
; COMPUTE_PGM_RSRC2:SCRATCH_EN: 0
; COMPUTE_PGM_RSRC2:USER_SGPR: 6
; COMPUTE_PGM_RSRC2:TRAP_HANDLER: 0
; COMPUTE_PGM_RSRC2:TGID_X_EN: 1
; COMPUTE_PGM_RSRC2:TGID_Y_EN: 0
; COMPUTE_PGM_RSRC2:TGID_Z_EN: 0
; COMPUTE_PGM_RSRC2:TIDIG_COMP_CNT: 0
; COMPUTE_PGM_RSRC3_GFX90A:ACCUM_OFFSET: 0
; COMPUTE_PGM_RSRC3_GFX90A:TG_SPLIT: 0
	.section	.text._ZN7rocprim17ROCPRIM_400000_NS6detail17trampoline_kernelINS0_13select_configILj256ELj13ELNS0_17block_load_methodE3ELS4_3ELS4_3ELNS0_20block_scan_algorithmE0ELj4294967295EEENS1_25partition_config_selectorILNS1_17partition_subalgoE4EjNS0_10empty_typeEbEEZZNS1_14partition_implILS8_4ELb0ES6_15HIP_vector_typeIjLj2EENS0_17counting_iteratorIjlEEPS9_SG_NS0_5tupleIJPjSI_NS0_16reverse_iteratorISI_EEEEENSH_IJSG_SG_SG_EEES9_SI_JZNS1_25segmented_radix_sort_implINS0_14default_configELb0EPKhPhPKlPlN2at6native12_GLOBAL__N_18offset_tEEE10hipError_tPvRmT1_PNSt15iterator_traitsIS12_E10value_typeET2_T3_PNS13_IS18_E10value_typeET4_jRbjT5_S1E_jjP12ihipStream_tbEUljE_ZNSN_ISO_Lb0ESQ_SR_ST_SU_SY_EESZ_S10_S11_S12_S16_S17_S18_S1B_S1C_jS1D_jS1E_S1E_jjS1G_bEUljE0_EEESZ_S10_S11_S18_S1C_S1E_T6_T7_T9_mT8_S1G_bDpT10_ENKUlT_T0_E_clISt17integral_constantIbLb0EES1U_EEDaS1P_S1Q_EUlS1P_E_NS1_11comp_targetILNS1_3genE0ELNS1_11target_archE4294967295ELNS1_3gpuE0ELNS1_3repE0EEENS1_30default_config_static_selectorELNS0_4arch9wavefront6targetE1EEEvS12_,"axG",@progbits,_ZN7rocprim17ROCPRIM_400000_NS6detail17trampoline_kernelINS0_13select_configILj256ELj13ELNS0_17block_load_methodE3ELS4_3ELS4_3ELNS0_20block_scan_algorithmE0ELj4294967295EEENS1_25partition_config_selectorILNS1_17partition_subalgoE4EjNS0_10empty_typeEbEEZZNS1_14partition_implILS8_4ELb0ES6_15HIP_vector_typeIjLj2EENS0_17counting_iteratorIjlEEPS9_SG_NS0_5tupleIJPjSI_NS0_16reverse_iteratorISI_EEEEENSH_IJSG_SG_SG_EEES9_SI_JZNS1_25segmented_radix_sort_implINS0_14default_configELb0EPKhPhPKlPlN2at6native12_GLOBAL__N_18offset_tEEE10hipError_tPvRmT1_PNSt15iterator_traitsIS12_E10value_typeET2_T3_PNS13_IS18_E10value_typeET4_jRbjT5_S1E_jjP12ihipStream_tbEUljE_ZNSN_ISO_Lb0ESQ_SR_ST_SU_SY_EESZ_S10_S11_S12_S16_S17_S18_S1B_S1C_jS1D_jS1E_S1E_jjS1G_bEUljE0_EEESZ_S10_S11_S18_S1C_S1E_T6_T7_T9_mT8_S1G_bDpT10_ENKUlT_T0_E_clISt17integral_constantIbLb0EES1U_EEDaS1P_S1Q_EUlS1P_E_NS1_11comp_targetILNS1_3genE0ELNS1_11target_archE4294967295ELNS1_3gpuE0ELNS1_3repE0EEENS1_30default_config_static_selectorELNS0_4arch9wavefront6targetE1EEEvS12_,comdat
	.globl	_ZN7rocprim17ROCPRIM_400000_NS6detail17trampoline_kernelINS0_13select_configILj256ELj13ELNS0_17block_load_methodE3ELS4_3ELS4_3ELNS0_20block_scan_algorithmE0ELj4294967295EEENS1_25partition_config_selectorILNS1_17partition_subalgoE4EjNS0_10empty_typeEbEEZZNS1_14partition_implILS8_4ELb0ES6_15HIP_vector_typeIjLj2EENS0_17counting_iteratorIjlEEPS9_SG_NS0_5tupleIJPjSI_NS0_16reverse_iteratorISI_EEEEENSH_IJSG_SG_SG_EEES9_SI_JZNS1_25segmented_radix_sort_implINS0_14default_configELb0EPKhPhPKlPlN2at6native12_GLOBAL__N_18offset_tEEE10hipError_tPvRmT1_PNSt15iterator_traitsIS12_E10value_typeET2_T3_PNS13_IS18_E10value_typeET4_jRbjT5_S1E_jjP12ihipStream_tbEUljE_ZNSN_ISO_Lb0ESQ_SR_ST_SU_SY_EESZ_S10_S11_S12_S16_S17_S18_S1B_S1C_jS1D_jS1E_S1E_jjS1G_bEUljE0_EEESZ_S10_S11_S18_S1C_S1E_T6_T7_T9_mT8_S1G_bDpT10_ENKUlT_T0_E_clISt17integral_constantIbLb0EES1U_EEDaS1P_S1Q_EUlS1P_E_NS1_11comp_targetILNS1_3genE0ELNS1_11target_archE4294967295ELNS1_3gpuE0ELNS1_3repE0EEENS1_30default_config_static_selectorELNS0_4arch9wavefront6targetE1EEEvS12_ ; -- Begin function _ZN7rocprim17ROCPRIM_400000_NS6detail17trampoline_kernelINS0_13select_configILj256ELj13ELNS0_17block_load_methodE3ELS4_3ELS4_3ELNS0_20block_scan_algorithmE0ELj4294967295EEENS1_25partition_config_selectorILNS1_17partition_subalgoE4EjNS0_10empty_typeEbEEZZNS1_14partition_implILS8_4ELb0ES6_15HIP_vector_typeIjLj2EENS0_17counting_iteratorIjlEEPS9_SG_NS0_5tupleIJPjSI_NS0_16reverse_iteratorISI_EEEEENSH_IJSG_SG_SG_EEES9_SI_JZNS1_25segmented_radix_sort_implINS0_14default_configELb0EPKhPhPKlPlN2at6native12_GLOBAL__N_18offset_tEEE10hipError_tPvRmT1_PNSt15iterator_traitsIS12_E10value_typeET2_T3_PNS13_IS18_E10value_typeET4_jRbjT5_S1E_jjP12ihipStream_tbEUljE_ZNSN_ISO_Lb0ESQ_SR_ST_SU_SY_EESZ_S10_S11_S12_S16_S17_S18_S1B_S1C_jS1D_jS1E_S1E_jjS1G_bEUljE0_EEESZ_S10_S11_S18_S1C_S1E_T6_T7_T9_mT8_S1G_bDpT10_ENKUlT_T0_E_clISt17integral_constantIbLb0EES1U_EEDaS1P_S1Q_EUlS1P_E_NS1_11comp_targetILNS1_3genE0ELNS1_11target_archE4294967295ELNS1_3gpuE0ELNS1_3repE0EEENS1_30default_config_static_selectorELNS0_4arch9wavefront6targetE1EEEvS12_
	.p2align	8
	.type	_ZN7rocprim17ROCPRIM_400000_NS6detail17trampoline_kernelINS0_13select_configILj256ELj13ELNS0_17block_load_methodE3ELS4_3ELS4_3ELNS0_20block_scan_algorithmE0ELj4294967295EEENS1_25partition_config_selectorILNS1_17partition_subalgoE4EjNS0_10empty_typeEbEEZZNS1_14partition_implILS8_4ELb0ES6_15HIP_vector_typeIjLj2EENS0_17counting_iteratorIjlEEPS9_SG_NS0_5tupleIJPjSI_NS0_16reverse_iteratorISI_EEEEENSH_IJSG_SG_SG_EEES9_SI_JZNS1_25segmented_radix_sort_implINS0_14default_configELb0EPKhPhPKlPlN2at6native12_GLOBAL__N_18offset_tEEE10hipError_tPvRmT1_PNSt15iterator_traitsIS12_E10value_typeET2_T3_PNS13_IS18_E10value_typeET4_jRbjT5_S1E_jjP12ihipStream_tbEUljE_ZNSN_ISO_Lb0ESQ_SR_ST_SU_SY_EESZ_S10_S11_S12_S16_S17_S18_S1B_S1C_jS1D_jS1E_S1E_jjS1G_bEUljE0_EEESZ_S10_S11_S18_S1C_S1E_T6_T7_T9_mT8_S1G_bDpT10_ENKUlT_T0_E_clISt17integral_constantIbLb0EES1U_EEDaS1P_S1Q_EUlS1P_E_NS1_11comp_targetILNS1_3genE0ELNS1_11target_archE4294967295ELNS1_3gpuE0ELNS1_3repE0EEENS1_30default_config_static_selectorELNS0_4arch9wavefront6targetE1EEEvS12_,@function
_ZN7rocprim17ROCPRIM_400000_NS6detail17trampoline_kernelINS0_13select_configILj256ELj13ELNS0_17block_load_methodE3ELS4_3ELS4_3ELNS0_20block_scan_algorithmE0ELj4294967295EEENS1_25partition_config_selectorILNS1_17partition_subalgoE4EjNS0_10empty_typeEbEEZZNS1_14partition_implILS8_4ELb0ES6_15HIP_vector_typeIjLj2EENS0_17counting_iteratorIjlEEPS9_SG_NS0_5tupleIJPjSI_NS0_16reverse_iteratorISI_EEEEENSH_IJSG_SG_SG_EEES9_SI_JZNS1_25segmented_radix_sort_implINS0_14default_configELb0EPKhPhPKlPlN2at6native12_GLOBAL__N_18offset_tEEE10hipError_tPvRmT1_PNSt15iterator_traitsIS12_E10value_typeET2_T3_PNS13_IS18_E10value_typeET4_jRbjT5_S1E_jjP12ihipStream_tbEUljE_ZNSN_ISO_Lb0ESQ_SR_ST_SU_SY_EESZ_S10_S11_S12_S16_S17_S18_S1B_S1C_jS1D_jS1E_S1E_jjS1G_bEUljE0_EEESZ_S10_S11_S18_S1C_S1E_T6_T7_T9_mT8_S1G_bDpT10_ENKUlT_T0_E_clISt17integral_constantIbLb0EES1U_EEDaS1P_S1Q_EUlS1P_E_NS1_11comp_targetILNS1_3genE0ELNS1_11target_archE4294967295ELNS1_3gpuE0ELNS1_3repE0EEENS1_30default_config_static_selectorELNS0_4arch9wavefront6targetE1EEEvS12_: ; @_ZN7rocprim17ROCPRIM_400000_NS6detail17trampoline_kernelINS0_13select_configILj256ELj13ELNS0_17block_load_methodE3ELS4_3ELS4_3ELNS0_20block_scan_algorithmE0ELj4294967295EEENS1_25partition_config_selectorILNS1_17partition_subalgoE4EjNS0_10empty_typeEbEEZZNS1_14partition_implILS8_4ELb0ES6_15HIP_vector_typeIjLj2EENS0_17counting_iteratorIjlEEPS9_SG_NS0_5tupleIJPjSI_NS0_16reverse_iteratorISI_EEEEENSH_IJSG_SG_SG_EEES9_SI_JZNS1_25segmented_radix_sort_implINS0_14default_configELb0EPKhPhPKlPlN2at6native12_GLOBAL__N_18offset_tEEE10hipError_tPvRmT1_PNSt15iterator_traitsIS12_E10value_typeET2_T3_PNS13_IS18_E10value_typeET4_jRbjT5_S1E_jjP12ihipStream_tbEUljE_ZNSN_ISO_Lb0ESQ_SR_ST_SU_SY_EESZ_S10_S11_S12_S16_S17_S18_S1B_S1C_jS1D_jS1E_S1E_jjS1G_bEUljE0_EEESZ_S10_S11_S18_S1C_S1E_T6_T7_T9_mT8_S1G_bDpT10_ENKUlT_T0_E_clISt17integral_constantIbLb0EES1U_EEDaS1P_S1Q_EUlS1P_E_NS1_11comp_targetILNS1_3genE0ELNS1_11target_archE4294967295ELNS1_3gpuE0ELNS1_3repE0EEENS1_30default_config_static_selectorELNS0_4arch9wavefront6targetE1EEEvS12_
; %bb.0:
	.section	.rodata,"a",@progbits
	.p2align	6, 0x0
	.amdhsa_kernel _ZN7rocprim17ROCPRIM_400000_NS6detail17trampoline_kernelINS0_13select_configILj256ELj13ELNS0_17block_load_methodE3ELS4_3ELS4_3ELNS0_20block_scan_algorithmE0ELj4294967295EEENS1_25partition_config_selectorILNS1_17partition_subalgoE4EjNS0_10empty_typeEbEEZZNS1_14partition_implILS8_4ELb0ES6_15HIP_vector_typeIjLj2EENS0_17counting_iteratorIjlEEPS9_SG_NS0_5tupleIJPjSI_NS0_16reverse_iteratorISI_EEEEENSH_IJSG_SG_SG_EEES9_SI_JZNS1_25segmented_radix_sort_implINS0_14default_configELb0EPKhPhPKlPlN2at6native12_GLOBAL__N_18offset_tEEE10hipError_tPvRmT1_PNSt15iterator_traitsIS12_E10value_typeET2_T3_PNS13_IS18_E10value_typeET4_jRbjT5_S1E_jjP12ihipStream_tbEUljE_ZNSN_ISO_Lb0ESQ_SR_ST_SU_SY_EESZ_S10_S11_S12_S16_S17_S18_S1B_S1C_jS1D_jS1E_S1E_jjS1G_bEUljE0_EEESZ_S10_S11_S18_S1C_S1E_T6_T7_T9_mT8_S1G_bDpT10_ENKUlT_T0_E_clISt17integral_constantIbLb0EES1U_EEDaS1P_S1Q_EUlS1P_E_NS1_11comp_targetILNS1_3genE0ELNS1_11target_archE4294967295ELNS1_3gpuE0ELNS1_3repE0EEENS1_30default_config_static_selectorELNS0_4arch9wavefront6targetE1EEEvS12_
		.amdhsa_group_segment_fixed_size 0
		.amdhsa_private_segment_fixed_size 0
		.amdhsa_kernarg_size 176
		.amdhsa_user_sgpr_count 6
		.amdhsa_user_sgpr_private_segment_buffer 1
		.amdhsa_user_sgpr_dispatch_ptr 0
		.amdhsa_user_sgpr_queue_ptr 0
		.amdhsa_user_sgpr_kernarg_segment_ptr 1
		.amdhsa_user_sgpr_dispatch_id 0
		.amdhsa_user_sgpr_flat_scratch_init 0
		.amdhsa_user_sgpr_kernarg_preload_length 0
		.amdhsa_user_sgpr_kernarg_preload_offset 0
		.amdhsa_user_sgpr_private_segment_size 0
		.amdhsa_uses_dynamic_stack 0
		.amdhsa_system_sgpr_private_segment_wavefront_offset 0
		.amdhsa_system_sgpr_workgroup_id_x 1
		.amdhsa_system_sgpr_workgroup_id_y 0
		.amdhsa_system_sgpr_workgroup_id_z 0
		.amdhsa_system_sgpr_workgroup_info 0
		.amdhsa_system_vgpr_workitem_id 0
		.amdhsa_next_free_vgpr 1
		.amdhsa_next_free_sgpr 0
		.amdhsa_accum_offset 4
		.amdhsa_reserve_vcc 0
		.amdhsa_reserve_flat_scratch 0
		.amdhsa_float_round_mode_32 0
		.amdhsa_float_round_mode_16_64 0
		.amdhsa_float_denorm_mode_32 3
		.amdhsa_float_denorm_mode_16_64 3
		.amdhsa_dx10_clamp 1
		.amdhsa_ieee_mode 1
		.amdhsa_fp16_overflow 0
		.amdhsa_tg_split 0
		.amdhsa_exception_fp_ieee_invalid_op 0
		.amdhsa_exception_fp_denorm_src 0
		.amdhsa_exception_fp_ieee_div_zero 0
		.amdhsa_exception_fp_ieee_overflow 0
		.amdhsa_exception_fp_ieee_underflow 0
		.amdhsa_exception_fp_ieee_inexact 0
		.amdhsa_exception_int_div_zero 0
	.end_amdhsa_kernel
	.section	.text._ZN7rocprim17ROCPRIM_400000_NS6detail17trampoline_kernelINS0_13select_configILj256ELj13ELNS0_17block_load_methodE3ELS4_3ELS4_3ELNS0_20block_scan_algorithmE0ELj4294967295EEENS1_25partition_config_selectorILNS1_17partition_subalgoE4EjNS0_10empty_typeEbEEZZNS1_14partition_implILS8_4ELb0ES6_15HIP_vector_typeIjLj2EENS0_17counting_iteratorIjlEEPS9_SG_NS0_5tupleIJPjSI_NS0_16reverse_iteratorISI_EEEEENSH_IJSG_SG_SG_EEES9_SI_JZNS1_25segmented_radix_sort_implINS0_14default_configELb0EPKhPhPKlPlN2at6native12_GLOBAL__N_18offset_tEEE10hipError_tPvRmT1_PNSt15iterator_traitsIS12_E10value_typeET2_T3_PNS13_IS18_E10value_typeET4_jRbjT5_S1E_jjP12ihipStream_tbEUljE_ZNSN_ISO_Lb0ESQ_SR_ST_SU_SY_EESZ_S10_S11_S12_S16_S17_S18_S1B_S1C_jS1D_jS1E_S1E_jjS1G_bEUljE0_EEESZ_S10_S11_S18_S1C_S1E_T6_T7_T9_mT8_S1G_bDpT10_ENKUlT_T0_E_clISt17integral_constantIbLb0EES1U_EEDaS1P_S1Q_EUlS1P_E_NS1_11comp_targetILNS1_3genE0ELNS1_11target_archE4294967295ELNS1_3gpuE0ELNS1_3repE0EEENS1_30default_config_static_selectorELNS0_4arch9wavefront6targetE1EEEvS12_,"axG",@progbits,_ZN7rocprim17ROCPRIM_400000_NS6detail17trampoline_kernelINS0_13select_configILj256ELj13ELNS0_17block_load_methodE3ELS4_3ELS4_3ELNS0_20block_scan_algorithmE0ELj4294967295EEENS1_25partition_config_selectorILNS1_17partition_subalgoE4EjNS0_10empty_typeEbEEZZNS1_14partition_implILS8_4ELb0ES6_15HIP_vector_typeIjLj2EENS0_17counting_iteratorIjlEEPS9_SG_NS0_5tupleIJPjSI_NS0_16reverse_iteratorISI_EEEEENSH_IJSG_SG_SG_EEES9_SI_JZNS1_25segmented_radix_sort_implINS0_14default_configELb0EPKhPhPKlPlN2at6native12_GLOBAL__N_18offset_tEEE10hipError_tPvRmT1_PNSt15iterator_traitsIS12_E10value_typeET2_T3_PNS13_IS18_E10value_typeET4_jRbjT5_S1E_jjP12ihipStream_tbEUljE_ZNSN_ISO_Lb0ESQ_SR_ST_SU_SY_EESZ_S10_S11_S12_S16_S17_S18_S1B_S1C_jS1D_jS1E_S1E_jjS1G_bEUljE0_EEESZ_S10_S11_S18_S1C_S1E_T6_T7_T9_mT8_S1G_bDpT10_ENKUlT_T0_E_clISt17integral_constantIbLb0EES1U_EEDaS1P_S1Q_EUlS1P_E_NS1_11comp_targetILNS1_3genE0ELNS1_11target_archE4294967295ELNS1_3gpuE0ELNS1_3repE0EEENS1_30default_config_static_selectorELNS0_4arch9wavefront6targetE1EEEvS12_,comdat
.Lfunc_end122:
	.size	_ZN7rocprim17ROCPRIM_400000_NS6detail17trampoline_kernelINS0_13select_configILj256ELj13ELNS0_17block_load_methodE3ELS4_3ELS4_3ELNS0_20block_scan_algorithmE0ELj4294967295EEENS1_25partition_config_selectorILNS1_17partition_subalgoE4EjNS0_10empty_typeEbEEZZNS1_14partition_implILS8_4ELb0ES6_15HIP_vector_typeIjLj2EENS0_17counting_iteratorIjlEEPS9_SG_NS0_5tupleIJPjSI_NS0_16reverse_iteratorISI_EEEEENSH_IJSG_SG_SG_EEES9_SI_JZNS1_25segmented_radix_sort_implINS0_14default_configELb0EPKhPhPKlPlN2at6native12_GLOBAL__N_18offset_tEEE10hipError_tPvRmT1_PNSt15iterator_traitsIS12_E10value_typeET2_T3_PNS13_IS18_E10value_typeET4_jRbjT5_S1E_jjP12ihipStream_tbEUljE_ZNSN_ISO_Lb0ESQ_SR_ST_SU_SY_EESZ_S10_S11_S12_S16_S17_S18_S1B_S1C_jS1D_jS1E_S1E_jjS1G_bEUljE0_EEESZ_S10_S11_S18_S1C_S1E_T6_T7_T9_mT8_S1G_bDpT10_ENKUlT_T0_E_clISt17integral_constantIbLb0EES1U_EEDaS1P_S1Q_EUlS1P_E_NS1_11comp_targetILNS1_3genE0ELNS1_11target_archE4294967295ELNS1_3gpuE0ELNS1_3repE0EEENS1_30default_config_static_selectorELNS0_4arch9wavefront6targetE1EEEvS12_, .Lfunc_end122-_ZN7rocprim17ROCPRIM_400000_NS6detail17trampoline_kernelINS0_13select_configILj256ELj13ELNS0_17block_load_methodE3ELS4_3ELS4_3ELNS0_20block_scan_algorithmE0ELj4294967295EEENS1_25partition_config_selectorILNS1_17partition_subalgoE4EjNS0_10empty_typeEbEEZZNS1_14partition_implILS8_4ELb0ES6_15HIP_vector_typeIjLj2EENS0_17counting_iteratorIjlEEPS9_SG_NS0_5tupleIJPjSI_NS0_16reverse_iteratorISI_EEEEENSH_IJSG_SG_SG_EEES9_SI_JZNS1_25segmented_radix_sort_implINS0_14default_configELb0EPKhPhPKlPlN2at6native12_GLOBAL__N_18offset_tEEE10hipError_tPvRmT1_PNSt15iterator_traitsIS12_E10value_typeET2_T3_PNS13_IS18_E10value_typeET4_jRbjT5_S1E_jjP12ihipStream_tbEUljE_ZNSN_ISO_Lb0ESQ_SR_ST_SU_SY_EESZ_S10_S11_S12_S16_S17_S18_S1B_S1C_jS1D_jS1E_S1E_jjS1G_bEUljE0_EEESZ_S10_S11_S18_S1C_S1E_T6_T7_T9_mT8_S1G_bDpT10_ENKUlT_T0_E_clISt17integral_constantIbLb0EES1U_EEDaS1P_S1Q_EUlS1P_E_NS1_11comp_targetILNS1_3genE0ELNS1_11target_archE4294967295ELNS1_3gpuE0ELNS1_3repE0EEENS1_30default_config_static_selectorELNS0_4arch9wavefront6targetE1EEEvS12_
                                        ; -- End function
	.section	.AMDGPU.csdata,"",@progbits
; Kernel info:
; codeLenInByte = 0
; NumSgprs: 4
; NumVgprs: 0
; NumAgprs: 0
; TotalNumVgprs: 0
; ScratchSize: 0
; MemoryBound: 0
; FloatMode: 240
; IeeeMode: 1
; LDSByteSize: 0 bytes/workgroup (compile time only)
; SGPRBlocks: 0
; VGPRBlocks: 0
; NumSGPRsForWavesPerEU: 4
; NumVGPRsForWavesPerEU: 1
; AccumOffset: 4
; Occupancy: 8
; WaveLimiterHint : 0
; COMPUTE_PGM_RSRC2:SCRATCH_EN: 0
; COMPUTE_PGM_RSRC2:USER_SGPR: 6
; COMPUTE_PGM_RSRC2:TRAP_HANDLER: 0
; COMPUTE_PGM_RSRC2:TGID_X_EN: 1
; COMPUTE_PGM_RSRC2:TGID_Y_EN: 0
; COMPUTE_PGM_RSRC2:TGID_Z_EN: 0
; COMPUTE_PGM_RSRC2:TIDIG_COMP_CNT: 0
; COMPUTE_PGM_RSRC3_GFX90A:ACCUM_OFFSET: 0
; COMPUTE_PGM_RSRC3_GFX90A:TG_SPLIT: 0
	.section	.text._ZN7rocprim17ROCPRIM_400000_NS6detail17trampoline_kernelINS0_13select_configILj256ELj13ELNS0_17block_load_methodE3ELS4_3ELS4_3ELNS0_20block_scan_algorithmE0ELj4294967295EEENS1_25partition_config_selectorILNS1_17partition_subalgoE4EjNS0_10empty_typeEbEEZZNS1_14partition_implILS8_4ELb0ES6_15HIP_vector_typeIjLj2EENS0_17counting_iteratorIjlEEPS9_SG_NS0_5tupleIJPjSI_NS0_16reverse_iteratorISI_EEEEENSH_IJSG_SG_SG_EEES9_SI_JZNS1_25segmented_radix_sort_implINS0_14default_configELb0EPKhPhPKlPlN2at6native12_GLOBAL__N_18offset_tEEE10hipError_tPvRmT1_PNSt15iterator_traitsIS12_E10value_typeET2_T3_PNS13_IS18_E10value_typeET4_jRbjT5_S1E_jjP12ihipStream_tbEUljE_ZNSN_ISO_Lb0ESQ_SR_ST_SU_SY_EESZ_S10_S11_S12_S16_S17_S18_S1B_S1C_jS1D_jS1E_S1E_jjS1G_bEUljE0_EEESZ_S10_S11_S18_S1C_S1E_T6_T7_T9_mT8_S1G_bDpT10_ENKUlT_T0_E_clISt17integral_constantIbLb0EES1U_EEDaS1P_S1Q_EUlS1P_E_NS1_11comp_targetILNS1_3genE5ELNS1_11target_archE942ELNS1_3gpuE9ELNS1_3repE0EEENS1_30default_config_static_selectorELNS0_4arch9wavefront6targetE1EEEvS12_,"axG",@progbits,_ZN7rocprim17ROCPRIM_400000_NS6detail17trampoline_kernelINS0_13select_configILj256ELj13ELNS0_17block_load_methodE3ELS4_3ELS4_3ELNS0_20block_scan_algorithmE0ELj4294967295EEENS1_25partition_config_selectorILNS1_17partition_subalgoE4EjNS0_10empty_typeEbEEZZNS1_14partition_implILS8_4ELb0ES6_15HIP_vector_typeIjLj2EENS0_17counting_iteratorIjlEEPS9_SG_NS0_5tupleIJPjSI_NS0_16reverse_iteratorISI_EEEEENSH_IJSG_SG_SG_EEES9_SI_JZNS1_25segmented_radix_sort_implINS0_14default_configELb0EPKhPhPKlPlN2at6native12_GLOBAL__N_18offset_tEEE10hipError_tPvRmT1_PNSt15iterator_traitsIS12_E10value_typeET2_T3_PNS13_IS18_E10value_typeET4_jRbjT5_S1E_jjP12ihipStream_tbEUljE_ZNSN_ISO_Lb0ESQ_SR_ST_SU_SY_EESZ_S10_S11_S12_S16_S17_S18_S1B_S1C_jS1D_jS1E_S1E_jjS1G_bEUljE0_EEESZ_S10_S11_S18_S1C_S1E_T6_T7_T9_mT8_S1G_bDpT10_ENKUlT_T0_E_clISt17integral_constantIbLb0EES1U_EEDaS1P_S1Q_EUlS1P_E_NS1_11comp_targetILNS1_3genE5ELNS1_11target_archE942ELNS1_3gpuE9ELNS1_3repE0EEENS1_30default_config_static_selectorELNS0_4arch9wavefront6targetE1EEEvS12_,comdat
	.globl	_ZN7rocprim17ROCPRIM_400000_NS6detail17trampoline_kernelINS0_13select_configILj256ELj13ELNS0_17block_load_methodE3ELS4_3ELS4_3ELNS0_20block_scan_algorithmE0ELj4294967295EEENS1_25partition_config_selectorILNS1_17partition_subalgoE4EjNS0_10empty_typeEbEEZZNS1_14partition_implILS8_4ELb0ES6_15HIP_vector_typeIjLj2EENS0_17counting_iteratorIjlEEPS9_SG_NS0_5tupleIJPjSI_NS0_16reverse_iteratorISI_EEEEENSH_IJSG_SG_SG_EEES9_SI_JZNS1_25segmented_radix_sort_implINS0_14default_configELb0EPKhPhPKlPlN2at6native12_GLOBAL__N_18offset_tEEE10hipError_tPvRmT1_PNSt15iterator_traitsIS12_E10value_typeET2_T3_PNS13_IS18_E10value_typeET4_jRbjT5_S1E_jjP12ihipStream_tbEUljE_ZNSN_ISO_Lb0ESQ_SR_ST_SU_SY_EESZ_S10_S11_S12_S16_S17_S18_S1B_S1C_jS1D_jS1E_S1E_jjS1G_bEUljE0_EEESZ_S10_S11_S18_S1C_S1E_T6_T7_T9_mT8_S1G_bDpT10_ENKUlT_T0_E_clISt17integral_constantIbLb0EES1U_EEDaS1P_S1Q_EUlS1P_E_NS1_11comp_targetILNS1_3genE5ELNS1_11target_archE942ELNS1_3gpuE9ELNS1_3repE0EEENS1_30default_config_static_selectorELNS0_4arch9wavefront6targetE1EEEvS12_ ; -- Begin function _ZN7rocprim17ROCPRIM_400000_NS6detail17trampoline_kernelINS0_13select_configILj256ELj13ELNS0_17block_load_methodE3ELS4_3ELS4_3ELNS0_20block_scan_algorithmE0ELj4294967295EEENS1_25partition_config_selectorILNS1_17partition_subalgoE4EjNS0_10empty_typeEbEEZZNS1_14partition_implILS8_4ELb0ES6_15HIP_vector_typeIjLj2EENS0_17counting_iteratorIjlEEPS9_SG_NS0_5tupleIJPjSI_NS0_16reverse_iteratorISI_EEEEENSH_IJSG_SG_SG_EEES9_SI_JZNS1_25segmented_radix_sort_implINS0_14default_configELb0EPKhPhPKlPlN2at6native12_GLOBAL__N_18offset_tEEE10hipError_tPvRmT1_PNSt15iterator_traitsIS12_E10value_typeET2_T3_PNS13_IS18_E10value_typeET4_jRbjT5_S1E_jjP12ihipStream_tbEUljE_ZNSN_ISO_Lb0ESQ_SR_ST_SU_SY_EESZ_S10_S11_S12_S16_S17_S18_S1B_S1C_jS1D_jS1E_S1E_jjS1G_bEUljE0_EEESZ_S10_S11_S18_S1C_S1E_T6_T7_T9_mT8_S1G_bDpT10_ENKUlT_T0_E_clISt17integral_constantIbLb0EES1U_EEDaS1P_S1Q_EUlS1P_E_NS1_11comp_targetILNS1_3genE5ELNS1_11target_archE942ELNS1_3gpuE9ELNS1_3repE0EEENS1_30default_config_static_selectorELNS0_4arch9wavefront6targetE1EEEvS12_
	.p2align	8
	.type	_ZN7rocprim17ROCPRIM_400000_NS6detail17trampoline_kernelINS0_13select_configILj256ELj13ELNS0_17block_load_methodE3ELS4_3ELS4_3ELNS0_20block_scan_algorithmE0ELj4294967295EEENS1_25partition_config_selectorILNS1_17partition_subalgoE4EjNS0_10empty_typeEbEEZZNS1_14partition_implILS8_4ELb0ES6_15HIP_vector_typeIjLj2EENS0_17counting_iteratorIjlEEPS9_SG_NS0_5tupleIJPjSI_NS0_16reverse_iteratorISI_EEEEENSH_IJSG_SG_SG_EEES9_SI_JZNS1_25segmented_radix_sort_implINS0_14default_configELb0EPKhPhPKlPlN2at6native12_GLOBAL__N_18offset_tEEE10hipError_tPvRmT1_PNSt15iterator_traitsIS12_E10value_typeET2_T3_PNS13_IS18_E10value_typeET4_jRbjT5_S1E_jjP12ihipStream_tbEUljE_ZNSN_ISO_Lb0ESQ_SR_ST_SU_SY_EESZ_S10_S11_S12_S16_S17_S18_S1B_S1C_jS1D_jS1E_S1E_jjS1G_bEUljE0_EEESZ_S10_S11_S18_S1C_S1E_T6_T7_T9_mT8_S1G_bDpT10_ENKUlT_T0_E_clISt17integral_constantIbLb0EES1U_EEDaS1P_S1Q_EUlS1P_E_NS1_11comp_targetILNS1_3genE5ELNS1_11target_archE942ELNS1_3gpuE9ELNS1_3repE0EEENS1_30default_config_static_selectorELNS0_4arch9wavefront6targetE1EEEvS12_,@function
_ZN7rocprim17ROCPRIM_400000_NS6detail17trampoline_kernelINS0_13select_configILj256ELj13ELNS0_17block_load_methodE3ELS4_3ELS4_3ELNS0_20block_scan_algorithmE0ELj4294967295EEENS1_25partition_config_selectorILNS1_17partition_subalgoE4EjNS0_10empty_typeEbEEZZNS1_14partition_implILS8_4ELb0ES6_15HIP_vector_typeIjLj2EENS0_17counting_iteratorIjlEEPS9_SG_NS0_5tupleIJPjSI_NS0_16reverse_iteratorISI_EEEEENSH_IJSG_SG_SG_EEES9_SI_JZNS1_25segmented_radix_sort_implINS0_14default_configELb0EPKhPhPKlPlN2at6native12_GLOBAL__N_18offset_tEEE10hipError_tPvRmT1_PNSt15iterator_traitsIS12_E10value_typeET2_T3_PNS13_IS18_E10value_typeET4_jRbjT5_S1E_jjP12ihipStream_tbEUljE_ZNSN_ISO_Lb0ESQ_SR_ST_SU_SY_EESZ_S10_S11_S12_S16_S17_S18_S1B_S1C_jS1D_jS1E_S1E_jjS1G_bEUljE0_EEESZ_S10_S11_S18_S1C_S1E_T6_T7_T9_mT8_S1G_bDpT10_ENKUlT_T0_E_clISt17integral_constantIbLb0EES1U_EEDaS1P_S1Q_EUlS1P_E_NS1_11comp_targetILNS1_3genE5ELNS1_11target_archE942ELNS1_3gpuE9ELNS1_3repE0EEENS1_30default_config_static_selectorELNS0_4arch9wavefront6targetE1EEEvS12_: ; @_ZN7rocprim17ROCPRIM_400000_NS6detail17trampoline_kernelINS0_13select_configILj256ELj13ELNS0_17block_load_methodE3ELS4_3ELS4_3ELNS0_20block_scan_algorithmE0ELj4294967295EEENS1_25partition_config_selectorILNS1_17partition_subalgoE4EjNS0_10empty_typeEbEEZZNS1_14partition_implILS8_4ELb0ES6_15HIP_vector_typeIjLj2EENS0_17counting_iteratorIjlEEPS9_SG_NS0_5tupleIJPjSI_NS0_16reverse_iteratorISI_EEEEENSH_IJSG_SG_SG_EEES9_SI_JZNS1_25segmented_radix_sort_implINS0_14default_configELb0EPKhPhPKlPlN2at6native12_GLOBAL__N_18offset_tEEE10hipError_tPvRmT1_PNSt15iterator_traitsIS12_E10value_typeET2_T3_PNS13_IS18_E10value_typeET4_jRbjT5_S1E_jjP12ihipStream_tbEUljE_ZNSN_ISO_Lb0ESQ_SR_ST_SU_SY_EESZ_S10_S11_S12_S16_S17_S18_S1B_S1C_jS1D_jS1E_S1E_jjS1G_bEUljE0_EEESZ_S10_S11_S18_S1C_S1E_T6_T7_T9_mT8_S1G_bDpT10_ENKUlT_T0_E_clISt17integral_constantIbLb0EES1U_EEDaS1P_S1Q_EUlS1P_E_NS1_11comp_targetILNS1_3genE5ELNS1_11target_archE942ELNS1_3gpuE9ELNS1_3repE0EEENS1_30default_config_static_selectorELNS0_4arch9wavefront6targetE1EEEvS12_
; %bb.0:
	.section	.rodata,"a",@progbits
	.p2align	6, 0x0
	.amdhsa_kernel _ZN7rocprim17ROCPRIM_400000_NS6detail17trampoline_kernelINS0_13select_configILj256ELj13ELNS0_17block_load_methodE3ELS4_3ELS4_3ELNS0_20block_scan_algorithmE0ELj4294967295EEENS1_25partition_config_selectorILNS1_17partition_subalgoE4EjNS0_10empty_typeEbEEZZNS1_14partition_implILS8_4ELb0ES6_15HIP_vector_typeIjLj2EENS0_17counting_iteratorIjlEEPS9_SG_NS0_5tupleIJPjSI_NS0_16reverse_iteratorISI_EEEEENSH_IJSG_SG_SG_EEES9_SI_JZNS1_25segmented_radix_sort_implINS0_14default_configELb0EPKhPhPKlPlN2at6native12_GLOBAL__N_18offset_tEEE10hipError_tPvRmT1_PNSt15iterator_traitsIS12_E10value_typeET2_T3_PNS13_IS18_E10value_typeET4_jRbjT5_S1E_jjP12ihipStream_tbEUljE_ZNSN_ISO_Lb0ESQ_SR_ST_SU_SY_EESZ_S10_S11_S12_S16_S17_S18_S1B_S1C_jS1D_jS1E_S1E_jjS1G_bEUljE0_EEESZ_S10_S11_S18_S1C_S1E_T6_T7_T9_mT8_S1G_bDpT10_ENKUlT_T0_E_clISt17integral_constantIbLb0EES1U_EEDaS1P_S1Q_EUlS1P_E_NS1_11comp_targetILNS1_3genE5ELNS1_11target_archE942ELNS1_3gpuE9ELNS1_3repE0EEENS1_30default_config_static_selectorELNS0_4arch9wavefront6targetE1EEEvS12_
		.amdhsa_group_segment_fixed_size 0
		.amdhsa_private_segment_fixed_size 0
		.amdhsa_kernarg_size 176
		.amdhsa_user_sgpr_count 6
		.amdhsa_user_sgpr_private_segment_buffer 1
		.amdhsa_user_sgpr_dispatch_ptr 0
		.amdhsa_user_sgpr_queue_ptr 0
		.amdhsa_user_sgpr_kernarg_segment_ptr 1
		.amdhsa_user_sgpr_dispatch_id 0
		.amdhsa_user_sgpr_flat_scratch_init 0
		.amdhsa_user_sgpr_kernarg_preload_length 0
		.amdhsa_user_sgpr_kernarg_preload_offset 0
		.amdhsa_user_sgpr_private_segment_size 0
		.amdhsa_uses_dynamic_stack 0
		.amdhsa_system_sgpr_private_segment_wavefront_offset 0
		.amdhsa_system_sgpr_workgroup_id_x 1
		.amdhsa_system_sgpr_workgroup_id_y 0
		.amdhsa_system_sgpr_workgroup_id_z 0
		.amdhsa_system_sgpr_workgroup_info 0
		.amdhsa_system_vgpr_workitem_id 0
		.amdhsa_next_free_vgpr 1
		.amdhsa_next_free_sgpr 0
		.amdhsa_accum_offset 4
		.amdhsa_reserve_vcc 0
		.amdhsa_reserve_flat_scratch 0
		.amdhsa_float_round_mode_32 0
		.amdhsa_float_round_mode_16_64 0
		.amdhsa_float_denorm_mode_32 3
		.amdhsa_float_denorm_mode_16_64 3
		.amdhsa_dx10_clamp 1
		.amdhsa_ieee_mode 1
		.amdhsa_fp16_overflow 0
		.amdhsa_tg_split 0
		.amdhsa_exception_fp_ieee_invalid_op 0
		.amdhsa_exception_fp_denorm_src 0
		.amdhsa_exception_fp_ieee_div_zero 0
		.amdhsa_exception_fp_ieee_overflow 0
		.amdhsa_exception_fp_ieee_underflow 0
		.amdhsa_exception_fp_ieee_inexact 0
		.amdhsa_exception_int_div_zero 0
	.end_amdhsa_kernel
	.section	.text._ZN7rocprim17ROCPRIM_400000_NS6detail17trampoline_kernelINS0_13select_configILj256ELj13ELNS0_17block_load_methodE3ELS4_3ELS4_3ELNS0_20block_scan_algorithmE0ELj4294967295EEENS1_25partition_config_selectorILNS1_17partition_subalgoE4EjNS0_10empty_typeEbEEZZNS1_14partition_implILS8_4ELb0ES6_15HIP_vector_typeIjLj2EENS0_17counting_iteratorIjlEEPS9_SG_NS0_5tupleIJPjSI_NS0_16reverse_iteratorISI_EEEEENSH_IJSG_SG_SG_EEES9_SI_JZNS1_25segmented_radix_sort_implINS0_14default_configELb0EPKhPhPKlPlN2at6native12_GLOBAL__N_18offset_tEEE10hipError_tPvRmT1_PNSt15iterator_traitsIS12_E10value_typeET2_T3_PNS13_IS18_E10value_typeET4_jRbjT5_S1E_jjP12ihipStream_tbEUljE_ZNSN_ISO_Lb0ESQ_SR_ST_SU_SY_EESZ_S10_S11_S12_S16_S17_S18_S1B_S1C_jS1D_jS1E_S1E_jjS1G_bEUljE0_EEESZ_S10_S11_S18_S1C_S1E_T6_T7_T9_mT8_S1G_bDpT10_ENKUlT_T0_E_clISt17integral_constantIbLb0EES1U_EEDaS1P_S1Q_EUlS1P_E_NS1_11comp_targetILNS1_3genE5ELNS1_11target_archE942ELNS1_3gpuE9ELNS1_3repE0EEENS1_30default_config_static_selectorELNS0_4arch9wavefront6targetE1EEEvS12_,"axG",@progbits,_ZN7rocprim17ROCPRIM_400000_NS6detail17trampoline_kernelINS0_13select_configILj256ELj13ELNS0_17block_load_methodE3ELS4_3ELS4_3ELNS0_20block_scan_algorithmE0ELj4294967295EEENS1_25partition_config_selectorILNS1_17partition_subalgoE4EjNS0_10empty_typeEbEEZZNS1_14partition_implILS8_4ELb0ES6_15HIP_vector_typeIjLj2EENS0_17counting_iteratorIjlEEPS9_SG_NS0_5tupleIJPjSI_NS0_16reverse_iteratorISI_EEEEENSH_IJSG_SG_SG_EEES9_SI_JZNS1_25segmented_radix_sort_implINS0_14default_configELb0EPKhPhPKlPlN2at6native12_GLOBAL__N_18offset_tEEE10hipError_tPvRmT1_PNSt15iterator_traitsIS12_E10value_typeET2_T3_PNS13_IS18_E10value_typeET4_jRbjT5_S1E_jjP12ihipStream_tbEUljE_ZNSN_ISO_Lb0ESQ_SR_ST_SU_SY_EESZ_S10_S11_S12_S16_S17_S18_S1B_S1C_jS1D_jS1E_S1E_jjS1G_bEUljE0_EEESZ_S10_S11_S18_S1C_S1E_T6_T7_T9_mT8_S1G_bDpT10_ENKUlT_T0_E_clISt17integral_constantIbLb0EES1U_EEDaS1P_S1Q_EUlS1P_E_NS1_11comp_targetILNS1_3genE5ELNS1_11target_archE942ELNS1_3gpuE9ELNS1_3repE0EEENS1_30default_config_static_selectorELNS0_4arch9wavefront6targetE1EEEvS12_,comdat
.Lfunc_end123:
	.size	_ZN7rocprim17ROCPRIM_400000_NS6detail17trampoline_kernelINS0_13select_configILj256ELj13ELNS0_17block_load_methodE3ELS4_3ELS4_3ELNS0_20block_scan_algorithmE0ELj4294967295EEENS1_25partition_config_selectorILNS1_17partition_subalgoE4EjNS0_10empty_typeEbEEZZNS1_14partition_implILS8_4ELb0ES6_15HIP_vector_typeIjLj2EENS0_17counting_iteratorIjlEEPS9_SG_NS0_5tupleIJPjSI_NS0_16reverse_iteratorISI_EEEEENSH_IJSG_SG_SG_EEES9_SI_JZNS1_25segmented_radix_sort_implINS0_14default_configELb0EPKhPhPKlPlN2at6native12_GLOBAL__N_18offset_tEEE10hipError_tPvRmT1_PNSt15iterator_traitsIS12_E10value_typeET2_T3_PNS13_IS18_E10value_typeET4_jRbjT5_S1E_jjP12ihipStream_tbEUljE_ZNSN_ISO_Lb0ESQ_SR_ST_SU_SY_EESZ_S10_S11_S12_S16_S17_S18_S1B_S1C_jS1D_jS1E_S1E_jjS1G_bEUljE0_EEESZ_S10_S11_S18_S1C_S1E_T6_T7_T9_mT8_S1G_bDpT10_ENKUlT_T0_E_clISt17integral_constantIbLb0EES1U_EEDaS1P_S1Q_EUlS1P_E_NS1_11comp_targetILNS1_3genE5ELNS1_11target_archE942ELNS1_3gpuE9ELNS1_3repE0EEENS1_30default_config_static_selectorELNS0_4arch9wavefront6targetE1EEEvS12_, .Lfunc_end123-_ZN7rocprim17ROCPRIM_400000_NS6detail17trampoline_kernelINS0_13select_configILj256ELj13ELNS0_17block_load_methodE3ELS4_3ELS4_3ELNS0_20block_scan_algorithmE0ELj4294967295EEENS1_25partition_config_selectorILNS1_17partition_subalgoE4EjNS0_10empty_typeEbEEZZNS1_14partition_implILS8_4ELb0ES6_15HIP_vector_typeIjLj2EENS0_17counting_iteratorIjlEEPS9_SG_NS0_5tupleIJPjSI_NS0_16reverse_iteratorISI_EEEEENSH_IJSG_SG_SG_EEES9_SI_JZNS1_25segmented_radix_sort_implINS0_14default_configELb0EPKhPhPKlPlN2at6native12_GLOBAL__N_18offset_tEEE10hipError_tPvRmT1_PNSt15iterator_traitsIS12_E10value_typeET2_T3_PNS13_IS18_E10value_typeET4_jRbjT5_S1E_jjP12ihipStream_tbEUljE_ZNSN_ISO_Lb0ESQ_SR_ST_SU_SY_EESZ_S10_S11_S12_S16_S17_S18_S1B_S1C_jS1D_jS1E_S1E_jjS1G_bEUljE0_EEESZ_S10_S11_S18_S1C_S1E_T6_T7_T9_mT8_S1G_bDpT10_ENKUlT_T0_E_clISt17integral_constantIbLb0EES1U_EEDaS1P_S1Q_EUlS1P_E_NS1_11comp_targetILNS1_3genE5ELNS1_11target_archE942ELNS1_3gpuE9ELNS1_3repE0EEENS1_30default_config_static_selectorELNS0_4arch9wavefront6targetE1EEEvS12_
                                        ; -- End function
	.section	.AMDGPU.csdata,"",@progbits
; Kernel info:
; codeLenInByte = 0
; NumSgprs: 4
; NumVgprs: 0
; NumAgprs: 0
; TotalNumVgprs: 0
; ScratchSize: 0
; MemoryBound: 0
; FloatMode: 240
; IeeeMode: 1
; LDSByteSize: 0 bytes/workgroup (compile time only)
; SGPRBlocks: 0
; VGPRBlocks: 0
; NumSGPRsForWavesPerEU: 4
; NumVGPRsForWavesPerEU: 1
; AccumOffset: 4
; Occupancy: 8
; WaveLimiterHint : 0
; COMPUTE_PGM_RSRC2:SCRATCH_EN: 0
; COMPUTE_PGM_RSRC2:USER_SGPR: 6
; COMPUTE_PGM_RSRC2:TRAP_HANDLER: 0
; COMPUTE_PGM_RSRC2:TGID_X_EN: 1
; COMPUTE_PGM_RSRC2:TGID_Y_EN: 0
; COMPUTE_PGM_RSRC2:TGID_Z_EN: 0
; COMPUTE_PGM_RSRC2:TIDIG_COMP_CNT: 0
; COMPUTE_PGM_RSRC3_GFX90A:ACCUM_OFFSET: 0
; COMPUTE_PGM_RSRC3_GFX90A:TG_SPLIT: 0
	.section	.text._ZN7rocprim17ROCPRIM_400000_NS6detail17trampoline_kernelINS0_13select_configILj256ELj13ELNS0_17block_load_methodE3ELS4_3ELS4_3ELNS0_20block_scan_algorithmE0ELj4294967295EEENS1_25partition_config_selectorILNS1_17partition_subalgoE4EjNS0_10empty_typeEbEEZZNS1_14partition_implILS8_4ELb0ES6_15HIP_vector_typeIjLj2EENS0_17counting_iteratorIjlEEPS9_SG_NS0_5tupleIJPjSI_NS0_16reverse_iteratorISI_EEEEENSH_IJSG_SG_SG_EEES9_SI_JZNS1_25segmented_radix_sort_implINS0_14default_configELb0EPKhPhPKlPlN2at6native12_GLOBAL__N_18offset_tEEE10hipError_tPvRmT1_PNSt15iterator_traitsIS12_E10value_typeET2_T3_PNS13_IS18_E10value_typeET4_jRbjT5_S1E_jjP12ihipStream_tbEUljE_ZNSN_ISO_Lb0ESQ_SR_ST_SU_SY_EESZ_S10_S11_S12_S16_S17_S18_S1B_S1C_jS1D_jS1E_S1E_jjS1G_bEUljE0_EEESZ_S10_S11_S18_S1C_S1E_T6_T7_T9_mT8_S1G_bDpT10_ENKUlT_T0_E_clISt17integral_constantIbLb0EES1U_EEDaS1P_S1Q_EUlS1P_E_NS1_11comp_targetILNS1_3genE4ELNS1_11target_archE910ELNS1_3gpuE8ELNS1_3repE0EEENS1_30default_config_static_selectorELNS0_4arch9wavefront6targetE1EEEvS12_,"axG",@progbits,_ZN7rocprim17ROCPRIM_400000_NS6detail17trampoline_kernelINS0_13select_configILj256ELj13ELNS0_17block_load_methodE3ELS4_3ELS4_3ELNS0_20block_scan_algorithmE0ELj4294967295EEENS1_25partition_config_selectorILNS1_17partition_subalgoE4EjNS0_10empty_typeEbEEZZNS1_14partition_implILS8_4ELb0ES6_15HIP_vector_typeIjLj2EENS0_17counting_iteratorIjlEEPS9_SG_NS0_5tupleIJPjSI_NS0_16reverse_iteratorISI_EEEEENSH_IJSG_SG_SG_EEES9_SI_JZNS1_25segmented_radix_sort_implINS0_14default_configELb0EPKhPhPKlPlN2at6native12_GLOBAL__N_18offset_tEEE10hipError_tPvRmT1_PNSt15iterator_traitsIS12_E10value_typeET2_T3_PNS13_IS18_E10value_typeET4_jRbjT5_S1E_jjP12ihipStream_tbEUljE_ZNSN_ISO_Lb0ESQ_SR_ST_SU_SY_EESZ_S10_S11_S12_S16_S17_S18_S1B_S1C_jS1D_jS1E_S1E_jjS1G_bEUljE0_EEESZ_S10_S11_S18_S1C_S1E_T6_T7_T9_mT8_S1G_bDpT10_ENKUlT_T0_E_clISt17integral_constantIbLb0EES1U_EEDaS1P_S1Q_EUlS1P_E_NS1_11comp_targetILNS1_3genE4ELNS1_11target_archE910ELNS1_3gpuE8ELNS1_3repE0EEENS1_30default_config_static_selectorELNS0_4arch9wavefront6targetE1EEEvS12_,comdat
	.globl	_ZN7rocprim17ROCPRIM_400000_NS6detail17trampoline_kernelINS0_13select_configILj256ELj13ELNS0_17block_load_methodE3ELS4_3ELS4_3ELNS0_20block_scan_algorithmE0ELj4294967295EEENS1_25partition_config_selectorILNS1_17partition_subalgoE4EjNS0_10empty_typeEbEEZZNS1_14partition_implILS8_4ELb0ES6_15HIP_vector_typeIjLj2EENS0_17counting_iteratorIjlEEPS9_SG_NS0_5tupleIJPjSI_NS0_16reverse_iteratorISI_EEEEENSH_IJSG_SG_SG_EEES9_SI_JZNS1_25segmented_radix_sort_implINS0_14default_configELb0EPKhPhPKlPlN2at6native12_GLOBAL__N_18offset_tEEE10hipError_tPvRmT1_PNSt15iterator_traitsIS12_E10value_typeET2_T3_PNS13_IS18_E10value_typeET4_jRbjT5_S1E_jjP12ihipStream_tbEUljE_ZNSN_ISO_Lb0ESQ_SR_ST_SU_SY_EESZ_S10_S11_S12_S16_S17_S18_S1B_S1C_jS1D_jS1E_S1E_jjS1G_bEUljE0_EEESZ_S10_S11_S18_S1C_S1E_T6_T7_T9_mT8_S1G_bDpT10_ENKUlT_T0_E_clISt17integral_constantIbLb0EES1U_EEDaS1P_S1Q_EUlS1P_E_NS1_11comp_targetILNS1_3genE4ELNS1_11target_archE910ELNS1_3gpuE8ELNS1_3repE0EEENS1_30default_config_static_selectorELNS0_4arch9wavefront6targetE1EEEvS12_ ; -- Begin function _ZN7rocprim17ROCPRIM_400000_NS6detail17trampoline_kernelINS0_13select_configILj256ELj13ELNS0_17block_load_methodE3ELS4_3ELS4_3ELNS0_20block_scan_algorithmE0ELj4294967295EEENS1_25partition_config_selectorILNS1_17partition_subalgoE4EjNS0_10empty_typeEbEEZZNS1_14partition_implILS8_4ELb0ES6_15HIP_vector_typeIjLj2EENS0_17counting_iteratorIjlEEPS9_SG_NS0_5tupleIJPjSI_NS0_16reverse_iteratorISI_EEEEENSH_IJSG_SG_SG_EEES9_SI_JZNS1_25segmented_radix_sort_implINS0_14default_configELb0EPKhPhPKlPlN2at6native12_GLOBAL__N_18offset_tEEE10hipError_tPvRmT1_PNSt15iterator_traitsIS12_E10value_typeET2_T3_PNS13_IS18_E10value_typeET4_jRbjT5_S1E_jjP12ihipStream_tbEUljE_ZNSN_ISO_Lb0ESQ_SR_ST_SU_SY_EESZ_S10_S11_S12_S16_S17_S18_S1B_S1C_jS1D_jS1E_S1E_jjS1G_bEUljE0_EEESZ_S10_S11_S18_S1C_S1E_T6_T7_T9_mT8_S1G_bDpT10_ENKUlT_T0_E_clISt17integral_constantIbLb0EES1U_EEDaS1P_S1Q_EUlS1P_E_NS1_11comp_targetILNS1_3genE4ELNS1_11target_archE910ELNS1_3gpuE8ELNS1_3repE0EEENS1_30default_config_static_selectorELNS0_4arch9wavefront6targetE1EEEvS12_
	.p2align	8
	.type	_ZN7rocprim17ROCPRIM_400000_NS6detail17trampoline_kernelINS0_13select_configILj256ELj13ELNS0_17block_load_methodE3ELS4_3ELS4_3ELNS0_20block_scan_algorithmE0ELj4294967295EEENS1_25partition_config_selectorILNS1_17partition_subalgoE4EjNS0_10empty_typeEbEEZZNS1_14partition_implILS8_4ELb0ES6_15HIP_vector_typeIjLj2EENS0_17counting_iteratorIjlEEPS9_SG_NS0_5tupleIJPjSI_NS0_16reverse_iteratorISI_EEEEENSH_IJSG_SG_SG_EEES9_SI_JZNS1_25segmented_radix_sort_implINS0_14default_configELb0EPKhPhPKlPlN2at6native12_GLOBAL__N_18offset_tEEE10hipError_tPvRmT1_PNSt15iterator_traitsIS12_E10value_typeET2_T3_PNS13_IS18_E10value_typeET4_jRbjT5_S1E_jjP12ihipStream_tbEUljE_ZNSN_ISO_Lb0ESQ_SR_ST_SU_SY_EESZ_S10_S11_S12_S16_S17_S18_S1B_S1C_jS1D_jS1E_S1E_jjS1G_bEUljE0_EEESZ_S10_S11_S18_S1C_S1E_T6_T7_T9_mT8_S1G_bDpT10_ENKUlT_T0_E_clISt17integral_constantIbLb0EES1U_EEDaS1P_S1Q_EUlS1P_E_NS1_11comp_targetILNS1_3genE4ELNS1_11target_archE910ELNS1_3gpuE8ELNS1_3repE0EEENS1_30default_config_static_selectorELNS0_4arch9wavefront6targetE1EEEvS12_,@function
_ZN7rocprim17ROCPRIM_400000_NS6detail17trampoline_kernelINS0_13select_configILj256ELj13ELNS0_17block_load_methodE3ELS4_3ELS4_3ELNS0_20block_scan_algorithmE0ELj4294967295EEENS1_25partition_config_selectorILNS1_17partition_subalgoE4EjNS0_10empty_typeEbEEZZNS1_14partition_implILS8_4ELb0ES6_15HIP_vector_typeIjLj2EENS0_17counting_iteratorIjlEEPS9_SG_NS0_5tupleIJPjSI_NS0_16reverse_iteratorISI_EEEEENSH_IJSG_SG_SG_EEES9_SI_JZNS1_25segmented_radix_sort_implINS0_14default_configELb0EPKhPhPKlPlN2at6native12_GLOBAL__N_18offset_tEEE10hipError_tPvRmT1_PNSt15iterator_traitsIS12_E10value_typeET2_T3_PNS13_IS18_E10value_typeET4_jRbjT5_S1E_jjP12ihipStream_tbEUljE_ZNSN_ISO_Lb0ESQ_SR_ST_SU_SY_EESZ_S10_S11_S12_S16_S17_S18_S1B_S1C_jS1D_jS1E_S1E_jjS1G_bEUljE0_EEESZ_S10_S11_S18_S1C_S1E_T6_T7_T9_mT8_S1G_bDpT10_ENKUlT_T0_E_clISt17integral_constantIbLb0EES1U_EEDaS1P_S1Q_EUlS1P_E_NS1_11comp_targetILNS1_3genE4ELNS1_11target_archE910ELNS1_3gpuE8ELNS1_3repE0EEENS1_30default_config_static_selectorELNS0_4arch9wavefront6targetE1EEEvS12_: ; @_ZN7rocprim17ROCPRIM_400000_NS6detail17trampoline_kernelINS0_13select_configILj256ELj13ELNS0_17block_load_methodE3ELS4_3ELS4_3ELNS0_20block_scan_algorithmE0ELj4294967295EEENS1_25partition_config_selectorILNS1_17partition_subalgoE4EjNS0_10empty_typeEbEEZZNS1_14partition_implILS8_4ELb0ES6_15HIP_vector_typeIjLj2EENS0_17counting_iteratorIjlEEPS9_SG_NS0_5tupleIJPjSI_NS0_16reverse_iteratorISI_EEEEENSH_IJSG_SG_SG_EEES9_SI_JZNS1_25segmented_radix_sort_implINS0_14default_configELb0EPKhPhPKlPlN2at6native12_GLOBAL__N_18offset_tEEE10hipError_tPvRmT1_PNSt15iterator_traitsIS12_E10value_typeET2_T3_PNS13_IS18_E10value_typeET4_jRbjT5_S1E_jjP12ihipStream_tbEUljE_ZNSN_ISO_Lb0ESQ_SR_ST_SU_SY_EESZ_S10_S11_S12_S16_S17_S18_S1B_S1C_jS1D_jS1E_S1E_jjS1G_bEUljE0_EEESZ_S10_S11_S18_S1C_S1E_T6_T7_T9_mT8_S1G_bDpT10_ENKUlT_T0_E_clISt17integral_constantIbLb0EES1U_EEDaS1P_S1Q_EUlS1P_E_NS1_11comp_targetILNS1_3genE4ELNS1_11target_archE910ELNS1_3gpuE8ELNS1_3repE0EEENS1_30default_config_static_selectorELNS0_4arch9wavefront6targetE1EEEvS12_
; %bb.0:
	s_load_dwordx2 s[0:1], s[4:5], 0x68
	s_load_dword s7, s[4:5], 0x8
	s_load_dwordx2 s[56:57], s[4:5], 0x10
	s_load_dwordx4 s[44:47], s[4:5], 0x58
	s_mul_i32 s33, s6, 0xd00
	s_waitcnt lgkmcnt(0)
	v_mov_b32_e32 v3, s1
	v_mov_b32_e32 v2, s0
	s_load_dword s1, s[4:5], 0x80
	s_load_dwordx2 s[60:61], s[4:5], 0xa8
	s_load_dwordx8 s[36:43], s[4:5], 0x88
	s_load_dwordx4 s[48:51], s[46:47], 0x0
	s_waitcnt lgkmcnt(0)
	s_add_i32 s8, s1, -1
	s_mulk_i32 s1, 0xd00
	s_add_u32 s2, s56, s1
	s_addc_u32 s3, s57, 0
	s_cmp_eq_u32 s6, s8
	s_cselect_b64 s[30:31], -1, 0
	s_cmp_lg_u32 s6, s8
	v_cmp_lt_u64_e32 vcc, s[2:3], v[2:3]
	s_cselect_b64 s[2:3], -1, 0
	s_add_i32 s7, s7, s33
	s_or_b64 s[2:3], s[2:3], vcc
	s_add_i32 s7, s7, s56
	v_add_u32_e32 v1, s7, v0
	s_mov_b64 s[8:9], -1
	s_and_b64 vcc, exec, s[2:3]
	s_cbranch_vccz .LBB124_2
; %bb.1:
	v_add_u32_e32 v2, 0x100, v1
	v_lshlrev_b32_e32 v14, 2, v0
	v_add_u32_e32 v3, 0x200, v1
	v_add_u32_e32 v4, 0x300, v1
	;; [unrolled: 1-line block ×11, first 2 shown]
	ds_write2st64_b32 v14, v1, v2 offset1:4
	ds_write2st64_b32 v14, v3, v4 offset0:8 offset1:12
	ds_write2st64_b32 v14, v5, v6 offset0:16 offset1:20
	;; [unrolled: 1-line block ×5, first 2 shown]
	ds_write_b32 v14, v13 offset:12288
	s_waitcnt lgkmcnt(0)
	s_barrier
	s_mov_b64 s[8:9], 0
.LBB124_2:
	s_andn2_b64 vcc, exec, s[8:9]
	s_add_i32 s1, s1, s56
	s_cbranch_vccnz .LBB124_4
; %bb.3:
	v_add_u32_e32 v2, 0x100, v1
	v_lshlrev_b32_e32 v14, 2, v0
	v_add_u32_e32 v3, 0x200, v1
	v_add_u32_e32 v4, 0x300, v1
	;; [unrolled: 1-line block ×11, first 2 shown]
	ds_write2st64_b32 v14, v1, v2 offset1:4
	ds_write2st64_b32 v14, v3, v4 offset0:8 offset1:12
	ds_write2st64_b32 v14, v5, v6 offset0:16 offset1:20
	;; [unrolled: 1-line block ×5, first 2 shown]
	ds_write_b32 v14, v13 offset:12288
	s_waitcnt lgkmcnt(0)
	s_barrier
.LBB124_4:
	v_mul_u32_u24_e32 v31, 13, v0
	v_lshlrev_b32_e32 v1, 2, v31
	s_load_dwordx4 s[52:55], s[4:5], 0x28
	s_load_dwordx2 s[34:35], s[4:5], 0x38
	s_waitcnt lgkmcnt(0)
	ds_read2_b32 v[18:19], v1 offset1:1
	ds_read2_b32 v[16:17], v1 offset0:2 offset1:3
	ds_read2_b32 v[14:15], v1 offset0:4 offset1:5
	;; [unrolled: 1-line block ×5, first 2 shown]
	ds_read_b32 v30, v1 offset:48
	v_cndmask_b32_e64 v1, 0, 1, s[2:3]
	s_sub_i32 s7, s0, s1
	v_cmp_ne_u32_e64 s[0:1], 1, v1
	s_andn2_b64 vcc, exec, s[2:3]
	s_waitcnt lgkmcnt(0)
	s_barrier
	s_cbranch_vccnz .LBB124_32
; %bb.5:
	v_add_u32_e32 v1, s37, v18
	v_add_u32_e32 v2, s39, v18
	v_mul_lo_u32 v1, v1, s36
	v_mul_lo_u32 v2, v2, s38
	v_sub_u32_e32 v1, v1, v2
	v_cmp_lt_u32_e32 vcc, s40, v1
	v_cmp_ge_u32_e64 s[2:3], s40, v1
	s_mov_b64 s[64:65], 0
	s_mov_b64 s[62:63], 0
	s_and_saveexec_b64 s[8:9], s[2:3]
; %bb.6:
	v_add_u32_e32 v1, s42, v18
	v_add_u32_e32 v2, s60, v18
	v_mul_lo_u32 v1, v1, s41
	v_mul_lo_u32 v2, v2, s43
	v_sub_u32_e32 v1, v1, v2
	v_cmp_lt_u32_e64 s[2:3], s61, v1
	s_and_b64 s[62:63], s[2:3], exec
; %bb.7:
	s_or_b64 exec, exec, s[8:9]
	v_add_u32_e32 v1, s37, v19
	v_add_u32_e32 v2, s39, v19
	v_mul_lo_u32 v1, v1, s36
	v_mul_lo_u32 v2, v2, s38
	v_sub_u32_e32 v1, v1, v2
	v_cmp_lt_u32_e64 s[2:3], s40, v1
	v_cmp_ge_u32_e64 s[8:9], s40, v1
	s_and_saveexec_b64 s[10:11], s[8:9]
; %bb.8:
	v_add_u32_e32 v1, s42, v19
	v_add_u32_e32 v2, s60, v19
	v_mul_lo_u32 v1, v1, s41
	v_mul_lo_u32 v2, v2, s43
	v_sub_u32_e32 v1, v1, v2
	v_cmp_lt_u32_e64 s[8:9], s61, v1
	s_and_b64 s[64:65], s[8:9], exec
; %bb.9:
	s_or_b64 exec, exec, s[10:11]
	v_add_u32_e32 v1, s37, v16
	v_add_u32_e32 v2, s39, v16
	v_mul_lo_u32 v1, v1, s36
	v_mul_lo_u32 v2, v2, s38
	v_sub_u32_e32 v1, v1, v2
	v_cmp_lt_u32_e64 s[26:27], s40, v1
	v_cmp_ge_u32_e64 s[8:9], s40, v1
	s_mov_b64 s[68:69], 0
	s_mov_b64 s[66:67], 0
	s_and_saveexec_b64 s[10:11], s[8:9]
; %bb.10:
	v_add_u32_e32 v1, s42, v16
	v_add_u32_e32 v2, s60, v16
	v_mul_lo_u32 v1, v1, s41
	v_mul_lo_u32 v2, v2, s43
	v_sub_u32_e32 v1, v1, v2
	v_cmp_lt_u32_e64 s[8:9], s61, v1
	s_and_b64 s[66:67], s[8:9], exec
; %bb.11:
	s_or_b64 exec, exec, s[10:11]
	v_add_u32_e32 v1, s37, v17
	v_add_u32_e32 v2, s39, v17
	v_mul_lo_u32 v1, v1, s36
	v_mul_lo_u32 v2, v2, s38
	v_sub_u32_e32 v1, v1, v2
	v_cmp_lt_u32_e64 s[8:9], s40, v1
	v_cmp_ge_u32_e64 s[10:11], s40, v1
	s_and_saveexec_b64 s[12:13], s[10:11]
; %bb.12:
	v_add_u32_e32 v1, s42, v17
	v_add_u32_e32 v2, s60, v17
	v_mul_lo_u32 v1, v1, s41
	v_mul_lo_u32 v2, v2, s43
	v_sub_u32_e32 v1, v1, v2
	v_cmp_lt_u32_e64 s[10:11], s61, v1
	s_and_b64 s[68:69], s[10:11], exec
; %bb.13:
	s_or_b64 exec, exec, s[12:13]
	v_add_u32_e32 v1, s37, v14
	v_add_u32_e32 v2, s39, v14
	v_mul_lo_u32 v1, v1, s36
	v_mul_lo_u32 v2, v2, s38
	v_sub_u32_e32 v1, v1, v2
	v_cmp_lt_u32_e64 s[10:11], s40, v1
	;; [unrolled: 38-line block ×5, first 2 shown]
	v_cmp_ge_u32_e64 s[24:25], s40, v1
	s_mov_b64 s[84:85], 0
	s_mov_b64 s[86:87], 0
	s_and_saveexec_b64 s[28:29], s[24:25]
; %bb.26:
	v_add_u32_e32 v1, s42, v8
	v_add_u32_e32 v2, s60, v8
	v_mul_lo_u32 v1, v1, s41
	v_mul_lo_u32 v2, v2, s43
	v_sub_u32_e32 v1, v1, v2
	v_cmp_lt_u32_e64 s[24:25], s61, v1
	s_and_b64 s[86:87], s[24:25], exec
; %bb.27:
	s_or_b64 exec, exec, s[28:29]
	v_add_u32_e32 v1, s37, v9
	v_add_u32_e32 v2, s39, v9
	v_mul_lo_u32 v1, v1, s36
	v_mul_lo_u32 v2, v2, s38
	v_sub_u32_e32 v1, v1, v2
	v_cmp_lt_u32_e64 s[24:25], s40, v1
	v_cmp_ge_u32_e64 s[28:29], s40, v1
	s_and_saveexec_b64 s[46:47], s[28:29]
; %bb.28:
	v_add_u32_e32 v1, s42, v9
	v_add_u32_e32 v2, s60, v9
	v_mul_lo_u32 v1, v1, s41
	v_mul_lo_u32 v2, v2, s43
	v_sub_u32_e32 v1, v1, v2
	v_cmp_lt_u32_e64 s[28:29], s61, v1
	s_and_b64 s[84:85], s[28:29], exec
; %bb.29:
	s_or_b64 exec, exec, s[46:47]
	v_add_u32_e32 v1, s37, v30
	v_add_u32_e32 v2, s39, v30
	v_mul_lo_u32 v1, v1, s36
	v_mul_lo_u32 v2, v2, s38
	v_sub_u32_e32 v1, v1, v2
	v_cmp_ge_u32_e64 s[28:29], s40, v1
	s_mov_b64 s[46:47], -1
	s_mov_b64 s[78:79], 0
	s_mov_b64 s[58:59], 0
	s_and_saveexec_b64 s[88:89], s[28:29]
; %bb.30:
	v_add_u32_e32 v1, s42, v30
	v_add_u32_e32 v2, s60, v30
	v_mul_lo_u32 v1, v1, s41
	v_mul_lo_u32 v2, v2, s43
	v_sub_u32_e32 v1, v1, v2
	v_cmp_lt_u32_e64 s[28:29], s61, v1
	s_and_b64 s[58:59], s[28:29], exec
	s_xor_b64 s[46:47], exec, -1
; %bb.31:
	s_or_b64 exec, exec, s[88:89]
	v_cndmask_b32_e64 v52, 0, 1, s[86:87]
	v_cndmask_b32_e64 v55, 0, 1, s[24:25]
	v_cndmask_b32_e64 v50, 0, 1, s[82:83]
	v_cndmask_b32_e64 v53, 0, 1, s[22:23]
	v_cndmask_b32_e64 v48, 0, 1, s[80:81]
	v_cndmask_b32_e64 v51, 0, 1, s[20:21]
	v_cndmask_b32_e64 v46, 0, 1, s[76:77]
	v_cndmask_b32_e64 v49, 0, 1, s[18:19]
	v_cndmask_b32_e64 v44, 0, 1, s[74:75]
	v_cndmask_b32_e64 v47, 0, 1, s[16:17]
	v_cndmask_b32_e64 v42, 0, 1, s[72:73]
	v_cndmask_b32_e64 v45, 0, 1, s[14:15]
	v_cndmask_b32_e64 v40, 0, 1, s[70:71]
	v_cndmask_b32_e64 v43, 0, 1, s[12:13]
	v_cndmask_b32_e64 v38, 0, 1, s[68:69]
	v_cndmask_b32_e64 v41, 0, 1, s[10:11]
	v_cndmask_b32_e64 v37, 0, 1, s[66:67]
	v_cndmask_b32_e64 v39, 0, 1, s[8:9]
	v_cndmask_b32_e64 v35, 0, 1, s[64:65]
	v_cndmask_b32_e64 v36, 0, 1, s[26:27]
	v_cndmask_b32_e64 v33, 0, 1, s[62:63]
	v_cndmask_b32_e64 v34, 0, 1, s[2:3]
	v_cndmask_b32_e64 v32, 0, 1, vcc
	v_cndmask_b32_e64 v54, 0, 1, s[84:85]
	s_load_dwordx2 s[12:13], s[4:5], 0x78
	s_add_i32 s18, s7, 0xd00
	s_and_b64 vcc, exec, s[78:79]
	s_cbranch_vccnz .LBB124_33
	s_branch .LBB124_86
.LBB124_32:
                                        ; implicit-def: $sgpr46_sgpr47
                                        ; implicit-def: $sgpr58_sgpr59
                                        ; implicit-def: $vgpr54
                                        ; implicit-def: $vgpr52
                                        ; implicit-def: $vgpr50
                                        ; implicit-def: $vgpr48
                                        ; implicit-def: $vgpr46
                                        ; implicit-def: $vgpr44
                                        ; implicit-def: $vgpr42
                                        ; implicit-def: $vgpr40
                                        ; implicit-def: $vgpr38
                                        ; implicit-def: $vgpr32
                                        ; implicit-def: $vgpr34
                                        ; implicit-def: $vgpr36
                                        ; implicit-def: $vgpr39
                                        ; implicit-def: $vgpr41
                                        ; implicit-def: $vgpr43
                                        ; implicit-def: $vgpr45
                                        ; implicit-def: $vgpr47
                                        ; implicit-def: $vgpr49
                                        ; implicit-def: $vgpr51
                                        ; implicit-def: $vgpr53
                                        ; implicit-def: $vgpr55
                                        ; implicit-def: $vgpr33
                                        ; implicit-def: $vgpr35
                                        ; implicit-def: $vgpr37
	s_load_dwordx2 s[12:13], s[4:5], 0x78
	s_add_i32 s18, s7, 0xd00
	s_cbranch_execz .LBB124_86
.LBB124_33:
	v_cmp_gt_u32_e32 vcc, s18, v31
	v_mov_b32_e32 v33, 0
	v_mov_b32_e32 v32, 0
	s_and_saveexec_b64 s[4:5], vcc
	s_cbranch_execz .LBB124_37
; %bb.34:
	v_add_u32_e32 v1, s37, v18
	v_add_u32_e32 v2, s39, v18
	v_mul_lo_u32 v1, v1, s36
	v_mul_lo_u32 v2, v2, s38
	v_sub_u32_e32 v1, v1, v2
	v_cmp_lt_u32_e32 vcc, s40, v1
	v_cmp_ge_u32_e64 s[2:3], s40, v1
	s_mov_b64 s[10:11], 0
	s_and_saveexec_b64 s[8:9], s[2:3]
; %bb.35:
	v_add_u32_e32 v1, s42, v18
	v_add_u32_e32 v2, s60, v18
	v_mul_lo_u32 v1, v1, s41
	v_mul_lo_u32 v2, v2, s43
	v_sub_u32_e32 v1, v1, v2
	v_cmp_lt_u32_e64 s[2:3], s61, v1
	s_and_b64 s[10:11], s[2:3], exec
; %bb.36:
	s_or_b64 exec, exec, s[8:9]
	v_cndmask_b32_e64 v32, 0, 1, vcc
	v_cndmask_b32_e64 v33, 0, 1, s[10:11]
.LBB124_37:
	s_or_b64 exec, exec, s[4:5]
	v_add_u32_e32 v1, 1, v31
	v_cmp_gt_u32_e32 vcc, s18, v1
	v_mov_b32_e32 v34, 0
	v_mov_b32_e32 v35, 0
	s_and_saveexec_b64 s[4:5], vcc
	s_cbranch_execz .LBB124_41
; %bb.38:
	v_add_u32_e32 v1, s37, v19
	v_add_u32_e32 v2, s39, v19
	v_mul_lo_u32 v1, v1, s36
	v_mul_lo_u32 v2, v2, s38
	v_sub_u32_e32 v1, v1, v2
	v_cmp_lt_u32_e32 vcc, s40, v1
	v_cmp_ge_u32_e64 s[2:3], s40, v1
	s_mov_b64 s[10:11], 0
	s_and_saveexec_b64 s[8:9], s[2:3]
; %bb.39:
	v_add_u32_e32 v1, s42, v19
	v_add_u32_e32 v2, s60, v19
	v_mul_lo_u32 v1, v1, s41
	v_mul_lo_u32 v2, v2, s43
	v_sub_u32_e32 v1, v1, v2
	v_cmp_lt_u32_e64 s[2:3], s61, v1
	s_and_b64 s[10:11], s[2:3], exec
; %bb.40:
	s_or_b64 exec, exec, s[8:9]
	v_cndmask_b32_e64 v34, 0, 1, vcc
	v_cndmask_b32_e64 v35, 0, 1, s[10:11]
.LBB124_41:
	s_or_b64 exec, exec, s[4:5]
	v_add_u32_e32 v1, 2, v31
	v_cmp_gt_u32_e32 vcc, s18, v1
	v_mov_b32_e32 v36, 0
	v_mov_b32_e32 v37, 0
	s_and_saveexec_b64 s[4:5], vcc
	s_cbranch_execz .LBB124_45
; %bb.42:
	v_add_u32_e32 v1, s37, v16
	v_add_u32_e32 v2, s39, v16
	v_mul_lo_u32 v1, v1, s36
	v_mul_lo_u32 v2, v2, s38
	v_sub_u32_e32 v1, v1, v2
	v_cmp_lt_u32_e32 vcc, s40, v1
	v_cmp_ge_u32_e64 s[2:3], s40, v1
	s_mov_b64 s[10:11], 0
	s_and_saveexec_b64 s[8:9], s[2:3]
; %bb.43:
	v_add_u32_e32 v1, s42, v16
	v_add_u32_e32 v2, s60, v16
	v_mul_lo_u32 v1, v1, s41
	v_mul_lo_u32 v2, v2, s43
	v_sub_u32_e32 v1, v1, v2
	v_cmp_lt_u32_e64 s[2:3], s61, v1
	s_and_b64 s[10:11], s[2:3], exec
; %bb.44:
	s_or_b64 exec, exec, s[8:9]
	v_cndmask_b32_e64 v36, 0, 1, vcc
	v_cndmask_b32_e64 v37, 0, 1, s[10:11]
.LBB124_45:
	s_or_b64 exec, exec, s[4:5]
	v_add_u32_e32 v1, 3, v31
	v_cmp_gt_u32_e32 vcc, s18, v1
	v_mov_b32_e32 v38, 0
	v_mov_b32_e32 v39, 0
	s_and_saveexec_b64 s[4:5], vcc
	s_cbranch_execz .LBB124_49
; %bb.46:
	v_add_u32_e32 v1, s37, v17
	v_add_u32_e32 v2, s39, v17
	v_mul_lo_u32 v1, v1, s36
	v_mul_lo_u32 v2, v2, s38
	v_sub_u32_e32 v1, v1, v2
	v_cmp_lt_u32_e32 vcc, s40, v1
	v_cmp_ge_u32_e64 s[2:3], s40, v1
	s_mov_b64 s[10:11], 0
	s_and_saveexec_b64 s[8:9], s[2:3]
; %bb.47:
	v_add_u32_e32 v1, s42, v17
	v_add_u32_e32 v2, s60, v17
	v_mul_lo_u32 v1, v1, s41
	v_mul_lo_u32 v2, v2, s43
	v_sub_u32_e32 v1, v1, v2
	v_cmp_lt_u32_e64 s[2:3], s61, v1
	s_and_b64 s[10:11], s[2:3], exec
; %bb.48:
	s_or_b64 exec, exec, s[8:9]
	v_cndmask_b32_e64 v39, 0, 1, vcc
	v_cndmask_b32_e64 v38, 0, 1, s[10:11]
.LBB124_49:
	s_or_b64 exec, exec, s[4:5]
	v_add_u32_e32 v1, 4, v31
	v_cmp_gt_u32_e32 vcc, s18, v1
	v_mov_b32_e32 v40, 0
	v_mov_b32_e32 v41, 0
	s_and_saveexec_b64 s[4:5], vcc
	s_cbranch_execz .LBB124_53
; %bb.50:
	v_add_u32_e32 v1, s37, v14
	v_add_u32_e32 v2, s39, v14
	v_mul_lo_u32 v1, v1, s36
	v_mul_lo_u32 v2, v2, s38
	v_sub_u32_e32 v1, v1, v2
	v_cmp_lt_u32_e32 vcc, s40, v1
	v_cmp_ge_u32_e64 s[2:3], s40, v1
	s_mov_b64 s[10:11], 0
	s_and_saveexec_b64 s[8:9], s[2:3]
; %bb.51:
	v_add_u32_e32 v1, s42, v14
	v_add_u32_e32 v2, s60, v14
	v_mul_lo_u32 v1, v1, s41
	v_mul_lo_u32 v2, v2, s43
	v_sub_u32_e32 v1, v1, v2
	v_cmp_lt_u32_e64 s[2:3], s61, v1
	s_and_b64 s[10:11], s[2:3], exec
; %bb.52:
	s_or_b64 exec, exec, s[8:9]
	v_cndmask_b32_e64 v41, 0, 1, vcc
	v_cndmask_b32_e64 v40, 0, 1, s[10:11]
.LBB124_53:
	s_or_b64 exec, exec, s[4:5]
	v_add_u32_e32 v1, 5, v31
	v_cmp_gt_u32_e32 vcc, s18, v1
	v_mov_b32_e32 v42, 0
	v_mov_b32_e32 v43, 0
	s_and_saveexec_b64 s[4:5], vcc
	s_cbranch_execz .LBB124_57
; %bb.54:
	v_add_u32_e32 v1, s37, v15
	v_add_u32_e32 v2, s39, v15
	v_mul_lo_u32 v1, v1, s36
	v_mul_lo_u32 v2, v2, s38
	v_sub_u32_e32 v1, v1, v2
	v_cmp_lt_u32_e32 vcc, s40, v1
	v_cmp_ge_u32_e64 s[2:3], s40, v1
	s_mov_b64 s[10:11], 0
	s_and_saveexec_b64 s[8:9], s[2:3]
; %bb.55:
	v_add_u32_e32 v1, s42, v15
	v_add_u32_e32 v2, s60, v15
	v_mul_lo_u32 v1, v1, s41
	v_mul_lo_u32 v2, v2, s43
	v_sub_u32_e32 v1, v1, v2
	v_cmp_lt_u32_e64 s[2:3], s61, v1
	s_and_b64 s[10:11], s[2:3], exec
; %bb.56:
	s_or_b64 exec, exec, s[8:9]
	v_cndmask_b32_e64 v43, 0, 1, vcc
	v_cndmask_b32_e64 v42, 0, 1, s[10:11]
.LBB124_57:
	s_or_b64 exec, exec, s[4:5]
	v_add_u32_e32 v1, 6, v31
	v_cmp_gt_u32_e32 vcc, s18, v1
	v_mov_b32_e32 v44, 0
	v_mov_b32_e32 v45, 0
	s_and_saveexec_b64 s[4:5], vcc
	s_cbranch_execz .LBB124_61
; %bb.58:
	v_add_u32_e32 v1, s37, v12
	v_add_u32_e32 v2, s39, v12
	v_mul_lo_u32 v1, v1, s36
	v_mul_lo_u32 v2, v2, s38
	v_sub_u32_e32 v1, v1, v2
	v_cmp_lt_u32_e32 vcc, s40, v1
	v_cmp_ge_u32_e64 s[2:3], s40, v1
	s_mov_b64 s[10:11], 0
	s_and_saveexec_b64 s[8:9], s[2:3]
; %bb.59:
	v_add_u32_e32 v1, s42, v12
	v_add_u32_e32 v2, s60, v12
	v_mul_lo_u32 v1, v1, s41
	v_mul_lo_u32 v2, v2, s43
	v_sub_u32_e32 v1, v1, v2
	v_cmp_lt_u32_e64 s[2:3], s61, v1
	s_and_b64 s[10:11], s[2:3], exec
; %bb.60:
	s_or_b64 exec, exec, s[8:9]
	v_cndmask_b32_e64 v45, 0, 1, vcc
	v_cndmask_b32_e64 v44, 0, 1, s[10:11]
.LBB124_61:
	s_or_b64 exec, exec, s[4:5]
	v_add_u32_e32 v1, 7, v31
	v_cmp_gt_u32_e32 vcc, s18, v1
	v_mov_b32_e32 v46, 0
	v_mov_b32_e32 v47, 0
	s_and_saveexec_b64 s[4:5], vcc
	s_cbranch_execz .LBB124_65
; %bb.62:
	v_add_u32_e32 v1, s37, v13
	v_add_u32_e32 v2, s39, v13
	v_mul_lo_u32 v1, v1, s36
	v_mul_lo_u32 v2, v2, s38
	v_sub_u32_e32 v1, v1, v2
	v_cmp_lt_u32_e32 vcc, s40, v1
	v_cmp_ge_u32_e64 s[2:3], s40, v1
	s_mov_b64 s[10:11], 0
	s_and_saveexec_b64 s[8:9], s[2:3]
; %bb.63:
	v_add_u32_e32 v1, s42, v13
	v_add_u32_e32 v2, s60, v13
	v_mul_lo_u32 v1, v1, s41
	v_mul_lo_u32 v2, v2, s43
	v_sub_u32_e32 v1, v1, v2
	v_cmp_lt_u32_e64 s[2:3], s61, v1
	s_and_b64 s[10:11], s[2:3], exec
; %bb.64:
	s_or_b64 exec, exec, s[8:9]
	v_cndmask_b32_e64 v47, 0, 1, vcc
	v_cndmask_b32_e64 v46, 0, 1, s[10:11]
.LBB124_65:
	s_or_b64 exec, exec, s[4:5]
	v_add_u32_e32 v1, 8, v31
	v_cmp_gt_u32_e32 vcc, s18, v1
	v_mov_b32_e32 v48, 0
	v_mov_b32_e32 v49, 0
	s_and_saveexec_b64 s[4:5], vcc
	s_cbranch_execz .LBB124_69
; %bb.66:
	v_add_u32_e32 v1, s37, v10
	v_add_u32_e32 v2, s39, v10
	v_mul_lo_u32 v1, v1, s36
	v_mul_lo_u32 v2, v2, s38
	v_sub_u32_e32 v1, v1, v2
	v_cmp_lt_u32_e32 vcc, s40, v1
	v_cmp_ge_u32_e64 s[2:3], s40, v1
	s_mov_b64 s[10:11], 0
	s_and_saveexec_b64 s[8:9], s[2:3]
; %bb.67:
	v_add_u32_e32 v1, s42, v10
	v_add_u32_e32 v2, s60, v10
	v_mul_lo_u32 v1, v1, s41
	v_mul_lo_u32 v2, v2, s43
	v_sub_u32_e32 v1, v1, v2
	v_cmp_lt_u32_e64 s[2:3], s61, v1
	s_and_b64 s[10:11], s[2:3], exec
; %bb.68:
	s_or_b64 exec, exec, s[8:9]
	v_cndmask_b32_e64 v49, 0, 1, vcc
	v_cndmask_b32_e64 v48, 0, 1, s[10:11]
.LBB124_69:
	s_or_b64 exec, exec, s[4:5]
	v_add_u32_e32 v1, 9, v31
	v_cmp_gt_u32_e32 vcc, s18, v1
	v_mov_b32_e32 v50, 0
	v_mov_b32_e32 v51, 0
	s_and_saveexec_b64 s[4:5], vcc
	s_cbranch_execz .LBB124_73
; %bb.70:
	v_add_u32_e32 v1, s37, v11
	v_add_u32_e32 v2, s39, v11
	v_mul_lo_u32 v1, v1, s36
	v_mul_lo_u32 v2, v2, s38
	v_sub_u32_e32 v1, v1, v2
	v_cmp_lt_u32_e32 vcc, s40, v1
	v_cmp_ge_u32_e64 s[2:3], s40, v1
	s_mov_b64 s[10:11], 0
	s_and_saveexec_b64 s[8:9], s[2:3]
; %bb.71:
	v_add_u32_e32 v1, s42, v11
	v_add_u32_e32 v2, s60, v11
	v_mul_lo_u32 v1, v1, s41
	v_mul_lo_u32 v2, v2, s43
	v_sub_u32_e32 v1, v1, v2
	v_cmp_lt_u32_e64 s[2:3], s61, v1
	s_and_b64 s[10:11], s[2:3], exec
; %bb.72:
	s_or_b64 exec, exec, s[8:9]
	v_cndmask_b32_e64 v51, 0, 1, vcc
	v_cndmask_b32_e64 v50, 0, 1, s[10:11]
.LBB124_73:
	s_or_b64 exec, exec, s[4:5]
	v_add_u32_e32 v1, 10, v31
	v_cmp_gt_u32_e32 vcc, s18, v1
	v_mov_b32_e32 v52, 0
	v_mov_b32_e32 v53, 0
	s_and_saveexec_b64 s[4:5], vcc
	s_cbranch_execz .LBB124_77
; %bb.74:
	v_add_u32_e32 v1, s37, v8
	v_add_u32_e32 v2, s39, v8
	v_mul_lo_u32 v1, v1, s36
	v_mul_lo_u32 v2, v2, s38
	v_sub_u32_e32 v1, v1, v2
	v_cmp_lt_u32_e32 vcc, s40, v1
	v_cmp_ge_u32_e64 s[2:3], s40, v1
	s_mov_b64 s[10:11], 0
	s_and_saveexec_b64 s[8:9], s[2:3]
; %bb.75:
	v_add_u32_e32 v1, s42, v8
	v_add_u32_e32 v2, s60, v8
	v_mul_lo_u32 v1, v1, s41
	v_mul_lo_u32 v2, v2, s43
	v_sub_u32_e32 v1, v1, v2
	v_cmp_lt_u32_e64 s[2:3], s61, v1
	s_and_b64 s[10:11], s[2:3], exec
; %bb.76:
	s_or_b64 exec, exec, s[8:9]
	v_cndmask_b32_e64 v53, 0, 1, vcc
	v_cndmask_b32_e64 v52, 0, 1, s[10:11]
.LBB124_77:
	s_or_b64 exec, exec, s[4:5]
	v_add_u32_e32 v1, 11, v31
	v_cmp_gt_u32_e32 vcc, s18, v1
	v_mov_b32_e32 v54, 0
	v_mov_b32_e32 v55, 0
	s_and_saveexec_b64 s[4:5], vcc
	s_cbranch_execz .LBB124_81
; %bb.78:
	v_add_u32_e32 v1, s37, v9
	v_add_u32_e32 v2, s39, v9
	v_mul_lo_u32 v1, v1, s36
	v_mul_lo_u32 v2, v2, s38
	v_sub_u32_e32 v1, v1, v2
	v_cmp_lt_u32_e32 vcc, s40, v1
	v_cmp_ge_u32_e64 s[2:3], s40, v1
	s_mov_b64 s[10:11], 0
	s_and_saveexec_b64 s[8:9], s[2:3]
; %bb.79:
	v_add_u32_e32 v1, s42, v9
	v_add_u32_e32 v2, s60, v9
	v_mul_lo_u32 v1, v1, s41
	v_mul_lo_u32 v2, v2, s43
	v_sub_u32_e32 v1, v1, v2
	v_cmp_lt_u32_e64 s[2:3], s61, v1
	s_and_b64 s[10:11], s[2:3], exec
; %bb.80:
	s_or_b64 exec, exec, s[8:9]
	v_cndmask_b32_e64 v55, 0, 1, vcc
	v_cndmask_b32_e64 v54, 0, 1, s[10:11]
.LBB124_81:
	s_or_b64 exec, exec, s[4:5]
	v_add_u32_e32 v1, 12, v31
	v_cmp_gt_u32_e32 vcc, s18, v1
	s_mov_b64 s[46:47], 0
	s_mov_b64 s[58:59], 0
	s_and_saveexec_b64 s[2:3], vcc
	s_cbranch_execz .LBB124_85
; %bb.82:
	v_add_u32_e32 v1, s37, v30
	v_add_u32_e32 v2, s39, v30
	v_mul_lo_u32 v1, v1, s36
	v_mul_lo_u32 v2, v2, s38
	v_sub_u32_e32 v1, v1, v2
	v_cmp_ge_u32_e32 vcc, s40, v1
	s_mov_b64 s[8:9], -1
	s_mov_b64 s[10:11], 0
	s_and_saveexec_b64 s[4:5], vcc
; %bb.83:
	v_add_u32_e32 v1, s42, v30
	v_add_u32_e32 v2, s60, v30
	v_mul_lo_u32 v1, v1, s41
	v_mul_lo_u32 v2, v2, s43
	v_sub_u32_e32 v1, v1, v2
	v_cmp_lt_u32_e32 vcc, s61, v1
	s_and_b64 s[10:11], vcc, exec
	s_xor_b64 s[8:9], exec, -1
; %bb.84:
	s_or_b64 exec, exec, s[4:5]
	s_and_b64 s[58:59], s[10:11], exec
	s_and_b64 s[46:47], s[8:9], exec
.LBB124_85:
	s_or_b64 exec, exec, s[2:3]
.LBB124_86:
	v_and_b32_e32 v63, 0xff, v33
	v_and_b32_e32 v74, 0xff, v35
	;; [unrolled: 1-line block ×5, first 2 shown]
	v_add3_u32 v2, v74, v65, v63
	v_and_b32_e32 v76, 0xff, v42
	v_and_b32_e32 v69, 0xff, v44
	v_add3_u32 v2, v2, v75, v67
	v_and_b32_e32 v62, 0xff, v32
	v_and_b32_e32 v56, 0xff, v34
	;; [unrolled: 1-line block ×5, first 2 shown]
	v_add3_u32 v2, v2, v76, v69
	v_and_b32_e32 v57, 0xff, v39
	v_and_b32_e32 v66, 0xff, v41
	;; [unrolled: 1-line block ×4, first 2 shown]
	v_add3_u32 v3, v56, v64, v62
	v_add3_u32 v2, v2, v77, v71
	v_and_b32_e32 v58, 0xff, v43
	v_and_b32_e32 v68, 0xff, v45
	;; [unrolled: 1-line block ×3, first 2 shown]
	v_cndmask_b32_e64 v1, 0, 1, s[58:59]
	v_add3_u32 v3, v3, v57, v66
	v_add3_u32 v2, v2, v78, v73
	v_and_b32_e32 v59, 0xff, v47
	v_and_b32_e32 v70, 0xff, v49
	v_add3_u32 v3, v3, v58, v68
	v_add3_u32 v86, v2, v79, v1
	v_mbcnt_lo_u32_b32 v1, -1, 0
	v_and_b32_e32 v60, 0xff, v51
	v_and_b32_e32 v72, 0xff, v53
	v_add3_u32 v3, v3, v59, v70
	v_mbcnt_hi_u32_b32 v80, -1, v1
	v_and_b32_e32 v61, 0xff, v55
	v_add3_u32 v3, v3, v60, v72
	v_cndmask_b32_e64 v4, 0, 1, s[46:47]
	v_and_b32_e32 v84, 15, v80
	s_cmp_lg_u32 s6, 0
	v_add3_u32 v85, v3, v61, v4
	v_cmp_eq_u32_e64 s[4:5], 0, v84
	v_cmp_lt_u32_e64 s[2:3], 1, v84
	v_cmp_lt_u32_e64 s[8:9], 3, v84
	;; [unrolled: 1-line block ×3, first 2 shown]
	v_and_b32_e32 v83, 16, v80
	v_cmp_lt_u32_e32 vcc, 31, v80
	v_lshrrev_b32_e32 v81, 6, v0
	v_or_b32_e32 v82, 63, v0
	s_cbranch_scc0 .LBB124_115
; %bb.87:
	v_mov_b32_dpp v1, v85 row_shr:1 row_mask:0xf bank_mask:0xf
	v_mov_b32_dpp v2, v86 row_shr:1 row_mask:0xf bank_mask:0xf
	v_add_u32_e32 v1, v1, v85
	v_add_u32_e32 v2, v2, v86
	v_cndmask_b32_e64 v2, v2, v86, s[4:5]
	v_cndmask_b32_e64 v1, v1, v85, s[4:5]
	s_nop 0
	v_mov_b32_dpp v4, v2 row_shr:2 row_mask:0xf bank_mask:0xf
	v_mov_b32_dpp v3, v1 row_shr:2 row_mask:0xf bank_mask:0xf
	v_add_u32_e32 v3, v1, v3
	v_add_u32_e32 v4, v2, v4
	v_cndmask_b32_e64 v2, v2, v4, s[2:3]
	v_cndmask_b32_e64 v1, v1, v3, s[2:3]
	s_nop 0
	v_mov_b32_dpp v4, v2 row_shr:4 row_mask:0xf bank_mask:0xf
	v_mov_b32_dpp v3, v1 row_shr:4 row_mask:0xf bank_mask:0xf
	v_add_u32_e32 v3, v1, v3
	v_add_u32_e32 v4, v2, v4
	v_cndmask_b32_e64 v2, v2, v4, s[8:9]
	v_cndmask_b32_e64 v1, v1, v3, s[8:9]
	v_cmp_eq_u32_e64 s[8:9], 0, v83
	v_mov_b32_dpp v4, v2 row_shr:8 row_mask:0xf bank_mask:0xf
	v_mov_b32_dpp v3, v1 row_shr:8 row_mask:0xf bank_mask:0xf
	v_add_u32_e32 v3, v1, v3
	v_add_u32_e32 v4, v2, v4
	v_cndmask_b32_e64 v2, v2, v4, s[10:11]
	v_cndmask_b32_e64 v1, v1, v3, s[10:11]
	s_nop 0
	v_mov_b32_dpp v4, v2 row_bcast:15 row_mask:0xf bank_mask:0xf
	v_mov_b32_dpp v3, v1 row_bcast:15 row_mask:0xf bank_mask:0xf
	v_add_u32_e32 v3, v1, v3
	v_add_u32_e32 v4, v2, v4
	v_cndmask_b32_e64 v2, v4, v2, s[8:9]
	v_cndmask_b32_e64 v1, v3, v1, s[8:9]
	s_nop 0
	v_mov_b32_dpp v4, v2 row_bcast:31 row_mask:0xf bank_mask:0xf
	v_mov_b32_dpp v3, v1 row_bcast:31 row_mask:0xf bank_mask:0xf
	v_add_u32_e32 v4, v2, v4
	v_add_u32_e32 v5, v1, v3
	v_cndmask_b32_e32 v3, v2, v4, vcc
	v_cndmask_b32_e32 v2, v1, v5, vcc
	v_cmp_eq_u32_e32 vcc, v82, v0
	s_and_saveexec_b64 s[8:9], vcc
	s_cbranch_execz .LBB124_89
; %bb.88:
	v_lshlrev_b32_e32 v1, 3, v81
	ds_write_b64 v1, v[2:3]
.LBB124_89:
	s_or_b64 exec, exec, s[8:9]
	v_cmp_gt_u32_e32 vcc, 4, v0
	s_waitcnt lgkmcnt(0)
	s_barrier
	s_and_saveexec_b64 s[8:9], vcc
	s_cbranch_execz .LBB124_91
; %bb.90:
	v_lshlrev_b32_e32 v1, 3, v0
	ds_read_b64 v[4:5], v1
	v_and_b32_e32 v6, 3, v80
	v_cmp_eq_u32_e32 vcc, 0, v6
	s_waitcnt lgkmcnt(0)
	v_mov_b32_dpp v7, v4 row_shr:1 row_mask:0xf bank_mask:0xf
	v_mov_b32_dpp v20, v5 row_shr:1 row_mask:0xf bank_mask:0xf
	v_add_u32_e32 v7, v7, v4
	v_add_u32_e32 v20, v20, v5
	v_cndmask_b32_e32 v5, v20, v5, vcc
	v_cndmask_b32_e32 v4, v7, v4, vcc
	v_cmp_lt_u32_e32 vcc, 1, v6
	v_mov_b32_dpp v20, v5 row_shr:2 row_mask:0xf bank_mask:0xf
	v_mov_b32_dpp v7, v4 row_shr:2 row_mask:0xf bank_mask:0xf
	v_cndmask_b32_e32 v6, 0, v7, vcc
	v_cndmask_b32_e32 v7, 0, v20, vcc
	v_add_u32_e32 v5, v7, v5
	v_add_u32_e32 v4, v6, v4
	ds_write_b64 v1, v[4:5]
.LBB124_91:
	s_or_b64 exec, exec, s[8:9]
	v_cmp_gt_u32_e32 vcc, 64, v0
	v_cmp_lt_u32_e64 s[8:9], 63, v0
	s_waitcnt lgkmcnt(0)
	s_barrier
	s_waitcnt lgkmcnt(0)
                                        ; implicit-def: $vgpr21
	s_and_saveexec_b64 s[10:11], s[8:9]
	s_xor_b64 s[8:9], exec, s[10:11]
	s_cbranch_execz .LBB124_93
; %bb.92:
	v_lshl_add_u32 v1, v81, 3, -8
	ds_read_b64 v[20:21], v1
	s_waitcnt lgkmcnt(0)
	v_add_u32_e32 v3, v21, v3
	v_add_u32_e32 v2, v20, v2
.LBB124_93:
	s_andn2_saveexec_b64 s[8:9], s[8:9]
; %bb.94:
                                        ; implicit-def: $vgpr20
; %bb.95:
	s_or_b64 exec, exec, s[8:9]
	v_add_u32_e32 v1, -1, v80
	v_and_b32_e32 v4, 64, v80
	v_cmp_lt_i32_e64 s[8:9], v1, v4
	v_cndmask_b32_e64 v1, v1, v80, s[8:9]
	v_lshlrev_b32_e32 v4, 2, v1
	ds_bpermute_b32 v1, v4, v2
	ds_bpermute_b32 v87, v4, v3
	v_cmp_eq_u32_e64 s[8:9], 0, v80
	s_and_saveexec_b64 s[10:11], vcc
	s_cbranch_execz .LBB124_114
; %bb.96:
	v_mov_b32_e32 v7, 0
	ds_read_b64 v[22:23], v7 offset:24
	s_and_saveexec_b64 s[14:15], s[8:9]
	s_cbranch_execz .LBB124_98
; %bb.97:
	s_add_i32 s16, s6, 64
	s_mov_b32 s17, 0
	s_lshl_b64 s[16:17], s[16:17], 4
	s_waitcnt lgkmcnt(0)
	v_and_b32_e32 v2, 0xff000000, v23
	v_and_b32_e32 v3, 0xff0000, v23
	s_add_u32 s16, s12, s16
	v_or_b32_e32 v2, v3, v2
	v_and_b32_e32 v3, 0xff00, v23
	s_addc_u32 s17, s13, s17
	v_or_b32_e32 v2, v2, v3
	v_or_b32_sdwa v5, v2, v23 dst_sel:DWORD dst_unused:UNUSED_PAD src0_sel:DWORD src1_sel:BYTE_0
	v_mov_b32_e32 v6, 1
	v_mov_b32_e32 v4, v22
	v_pk_mov_b32 v[2:3], s[16:17], s[16:17] op_sel:[0,1]
	;;#ASMSTART
	global_store_dwordx4 v[2:3], v[4:7] off	
s_waitcnt vmcnt(0)
	;;#ASMEND
.LBB124_98:
	s_or_b64 exec, exec, s[14:15]
	v_xad_u32 v24, v80, -1, s6
	v_add_u32_e32 v6, 64, v24
	v_lshlrev_b64 v[2:3], 4, v[6:7]
	v_mov_b32_e32 v4, s13
	v_add_co_u32_e32 v26, vcc, s12, v2
	v_addc_co_u32_e32 v27, vcc, v4, v3, vcc
	;;#ASMSTART
	global_load_dwordx4 v[2:5], v[26:27] off glc	
s_waitcnt vmcnt(0)
	;;#ASMEND
	v_and_b32_e32 v5, 0xff, v3
	v_and_b32_e32 v6, 0xff00, v3
	v_or3_b32 v5, 0, v5, v6
	v_or3_b32 v2, v2, 0, 0
	v_and_b32_e32 v6, 0xff000000, v3
	v_and_b32_e32 v3, 0xff0000, v3
	v_or3_b32 v3, v5, v3, v6
	v_or3_b32 v2, v2, 0, 0
	v_cmp_eq_u16_sdwa s[16:17], v4, v7 src0_sel:BYTE_0 src1_sel:DWORD
	s_and_saveexec_b64 s[14:15], s[16:17]
	s_cbranch_execz .LBB124_102
; %bb.99:
	s_mov_b64 s[16:17], 0
	v_mov_b32_e32 v6, 0
.LBB124_100:                            ; =>This Inner Loop Header: Depth=1
	;;#ASMSTART
	global_load_dwordx4 v[2:5], v[26:27] off glc	
s_waitcnt vmcnt(0)
	;;#ASMEND
	v_cmp_ne_u16_sdwa s[20:21], v4, v6 src0_sel:BYTE_0 src1_sel:DWORD
	s_or_b64 s[16:17], s[20:21], s[16:17]
	s_andn2_b64 exec, exec, s[16:17]
	s_cbranch_execnz .LBB124_100
; %bb.101:
	s_or_b64 exec, exec, s[16:17]
.LBB124_102:
	s_or_b64 exec, exec, s[14:15]
	v_and_b32_e32 v89, 63, v80
	v_cmp_ne_u32_e32 vcc, 63, v89
	v_mov_b32_e32 v88, 2
	v_addc_co_u32_e32 v26, vcc, 0, v80, vcc
	v_cmp_eq_u16_sdwa s[14:15], v4, v88 src0_sel:BYTE_0 src1_sel:DWORD
	v_lshlrev_b64 v[6:7], v80, -1
	v_lshlrev_b32_e32 v90, 2, v26
	v_and_b32_e32 v5, s15, v7
	ds_bpermute_b32 v26, v90, v2
	ds_bpermute_b32 v27, v90, v3
	v_or_b32_e32 v5, 0x80000000, v5
	v_and_b32_e32 v25, s14, v6
	v_ffbl_b32_e32 v5, v5
	v_add_u32_e32 v5, 32, v5
	v_ffbl_b32_e32 v25, v25
	v_min_u32_e32 v5, v25, v5
	s_waitcnt lgkmcnt(1)
	v_add_u32_e32 v25, v26, v2
	s_waitcnt lgkmcnt(0)
	v_add_u32_e32 v26, v27, v3
	v_cmp_lt_u32_e32 vcc, v89, v5
	v_cndmask_b32_e32 v3, v3, v26, vcc
	v_cndmask_b32_e32 v2, v2, v25, vcc
	v_cmp_gt_u32_e32 vcc, 62, v89
	v_cndmask_b32_e64 v25, 0, 1, vcc
	v_lshlrev_b32_e32 v25, 1, v25
	v_add_lshl_u32 v91, v25, v80, 2
	ds_bpermute_b32 v25, v91, v2
	ds_bpermute_b32 v26, v91, v3
	v_add_u32_e32 v92, 2, v89
	v_cmp_gt_u32_e32 vcc, v92, v5
	v_add_u32_e32 v94, 4, v89
	s_waitcnt lgkmcnt(1)
	v_add_u32_e32 v25, v2, v25
	s_waitcnt lgkmcnt(0)
	v_add_u32_e32 v26, v3, v26
	v_cndmask_b32_e32 v3, v26, v3, vcc
	v_cndmask_b32_e32 v2, v25, v2, vcc
	v_cmp_gt_u32_e32 vcc, 60, v89
	v_cndmask_b32_e64 v25, 0, 1, vcc
	v_lshlrev_b32_e32 v25, 2, v25
	v_add_lshl_u32 v93, v25, v80, 2
	ds_bpermute_b32 v25, v93, v2
	ds_bpermute_b32 v26, v93, v3
	v_cmp_gt_u32_e32 vcc, v94, v5
	v_add_u32_e32 v96, 8, v89
	v_add_u32_e32 v98, 16, v89
	s_waitcnt lgkmcnt(1)
	v_add_u32_e32 v25, v2, v25
	s_waitcnt lgkmcnt(0)
	v_add_u32_e32 v26, v3, v26
	v_cndmask_b32_e32 v3, v26, v3, vcc
	v_cndmask_b32_e32 v2, v25, v2, vcc
	v_cmp_gt_u32_e32 vcc, 56, v89
	v_cndmask_b32_e64 v25, 0, 1, vcc
	v_lshlrev_b32_e32 v25, 3, v25
	v_add_lshl_u32 v95, v25, v80, 2
	ds_bpermute_b32 v25, v95, v2
	ds_bpermute_b32 v26, v95, v3
	v_cmp_gt_u32_e32 vcc, v96, v5
	v_add_u32_e32 v100, 32, v89
	s_waitcnt lgkmcnt(1)
	v_add_u32_e32 v25, v2, v25
	s_waitcnt lgkmcnt(0)
	v_add_u32_e32 v26, v3, v26
	v_cndmask_b32_e32 v3, v26, v3, vcc
	v_cndmask_b32_e32 v2, v25, v2, vcc
	v_cmp_gt_u32_e32 vcc, 48, v89
	v_cndmask_b32_e64 v25, 0, 1, vcc
	v_lshlrev_b32_e32 v25, 4, v25
	v_add_lshl_u32 v97, v25, v80, 2
	ds_bpermute_b32 v25, v97, v2
	ds_bpermute_b32 v26, v97, v3
	v_cmp_gt_u32_e32 vcc, v98, v5
	s_waitcnt lgkmcnt(1)
	v_add_u32_e32 v25, v2, v25
	s_waitcnt lgkmcnt(0)
	v_add_u32_e32 v26, v3, v26
	v_cndmask_b32_e32 v3, v26, v3, vcc
	v_cndmask_b32_e32 v2, v25, v2, vcc
	v_cmp_gt_u32_e32 vcc, 32, v89
	v_cndmask_b32_e64 v25, 0, 1, vcc
	v_lshlrev_b32_e32 v25, 5, v25
	v_add_lshl_u32 v99, v25, v80, 2
	ds_bpermute_b32 v25, v99, v2
	ds_bpermute_b32 v26, v99, v3
	v_cmp_le_u32_e32 vcc, v100, v5
	s_waitcnt lgkmcnt(1)
	v_cndmask_b32_e32 v5, 0, v25, vcc
	s_waitcnt lgkmcnt(0)
	v_cndmask_b32_e32 v25, 0, v26, vcc
	v_add_u32_e32 v3, v3, v25
	v_add_u32_e32 v2, v2, v5
	v_mov_b32_e32 v25, 0
	s_branch .LBB124_104
.LBB124_103:                            ;   in Loop: Header=BB124_104 Depth=1
	s_or_b64 exec, exec, s[14:15]
	v_cmp_eq_u16_sdwa s[14:15], v4, v88 src0_sel:BYTE_0 src1_sel:DWORD
	v_and_b32_e32 v5, s15, v7
	ds_bpermute_b32 v29, v90, v2
	ds_bpermute_b32 v101, v90, v3
	v_or_b32_e32 v5, 0x80000000, v5
	v_and_b32_e32 v28, s14, v6
	v_ffbl_b32_e32 v5, v5
	v_add_u32_e32 v5, 32, v5
	v_ffbl_b32_e32 v28, v28
	v_min_u32_e32 v5, v28, v5
	s_waitcnt lgkmcnt(1)
	v_add_u32_e32 v28, v29, v2
	s_waitcnt lgkmcnt(0)
	v_add_u32_e32 v29, v101, v3
	v_cmp_lt_u32_e32 vcc, v89, v5
	v_cndmask_b32_e32 v3, v3, v29, vcc
	v_cndmask_b32_e32 v2, v2, v28, vcc
	ds_bpermute_b32 v28, v91, v2
	ds_bpermute_b32 v29, v91, v3
	v_cmp_gt_u32_e32 vcc, v92, v5
	v_subrev_u32_e32 v24, 64, v24
	s_waitcnt lgkmcnt(1)
	v_add_u32_e32 v28, v2, v28
	s_waitcnt lgkmcnt(0)
	v_add_u32_e32 v29, v3, v29
	v_cndmask_b32_e32 v3, v29, v3, vcc
	v_cndmask_b32_e32 v2, v28, v2, vcc
	ds_bpermute_b32 v28, v93, v2
	ds_bpermute_b32 v29, v93, v3
	v_cmp_gt_u32_e32 vcc, v94, v5
	s_waitcnt lgkmcnt(1)
	v_add_u32_e32 v28, v2, v28
	s_waitcnt lgkmcnt(0)
	v_add_u32_e32 v29, v3, v29
	v_cndmask_b32_e32 v3, v29, v3, vcc
	v_cndmask_b32_e32 v2, v28, v2, vcc
	ds_bpermute_b32 v28, v95, v2
	ds_bpermute_b32 v29, v95, v3
	v_cmp_gt_u32_e32 vcc, v96, v5
	;; [unrolled: 9-line block ×3, first 2 shown]
	s_waitcnt lgkmcnt(1)
	v_add_u32_e32 v28, v2, v28
	s_waitcnt lgkmcnt(0)
	v_add_u32_e32 v29, v3, v29
	v_cndmask_b32_e32 v3, v29, v3, vcc
	v_cndmask_b32_e32 v2, v28, v2, vcc
	ds_bpermute_b32 v28, v99, v2
	ds_bpermute_b32 v29, v99, v3
	v_cmp_le_u32_e32 vcc, v100, v5
	s_waitcnt lgkmcnt(1)
	v_cndmask_b32_e32 v5, 0, v28, vcc
	s_waitcnt lgkmcnt(0)
	v_cndmask_b32_e32 v28, 0, v29, vcc
	v_add3_u32 v3, v28, v27, v3
	v_add3_u32 v2, v5, v26, v2
.LBB124_104:                            ; =>This Loop Header: Depth=1
                                        ;     Child Loop BB124_107 Depth 2
	v_cmp_ne_u16_sdwa s[14:15], v4, v88 src0_sel:BYTE_0 src1_sel:DWORD
	v_cndmask_b32_e64 v4, 0, 1, s[14:15]
	;;#ASMSTART
	;;#ASMEND
	v_cmp_ne_u32_e32 vcc, 0, v4
	s_cmp_lg_u64 vcc, exec
	v_pk_mov_b32 v[26:27], v[2:3], v[2:3] op_sel:[0,1]
	s_cbranch_scc1 .LBB124_109
; %bb.105:                              ;   in Loop: Header=BB124_104 Depth=1
	v_lshlrev_b64 v[2:3], 4, v[24:25]
	v_mov_b32_e32 v4, s13
	v_add_co_u32_e32 v28, vcc, s12, v2
	v_addc_co_u32_e32 v29, vcc, v4, v3, vcc
	;;#ASMSTART
	global_load_dwordx4 v[2:5], v[28:29] off glc	
s_waitcnt vmcnt(0)
	;;#ASMEND
	v_and_b32_e32 v5, 0xff, v3
	v_and_b32_e32 v101, 0xff00, v3
	v_or3_b32 v5, 0, v5, v101
	v_or3_b32 v2, v2, 0, 0
	v_and_b32_e32 v101, 0xff000000, v3
	v_and_b32_e32 v3, 0xff0000, v3
	v_or3_b32 v3, v5, v3, v101
	v_or3_b32 v2, v2, 0, 0
	v_cmp_eq_u16_sdwa s[16:17], v4, v25 src0_sel:BYTE_0 src1_sel:DWORD
	s_and_saveexec_b64 s[14:15], s[16:17]
	s_cbranch_execz .LBB124_103
; %bb.106:                              ;   in Loop: Header=BB124_104 Depth=1
	s_mov_b64 s[16:17], 0
.LBB124_107:                            ;   Parent Loop BB124_104 Depth=1
                                        ; =>  This Inner Loop Header: Depth=2
	;;#ASMSTART
	global_load_dwordx4 v[2:5], v[28:29] off glc	
s_waitcnt vmcnt(0)
	;;#ASMEND
	v_cmp_ne_u16_sdwa s[20:21], v4, v25 src0_sel:BYTE_0 src1_sel:DWORD
	s_or_b64 s[16:17], s[20:21], s[16:17]
	s_andn2_b64 exec, exec, s[16:17]
	s_cbranch_execnz .LBB124_107
; %bb.108:                              ;   in Loop: Header=BB124_104 Depth=1
	s_or_b64 exec, exec, s[16:17]
	s_branch .LBB124_103
.LBB124_109:                            ;   in Loop: Header=BB124_104 Depth=1
                                        ; implicit-def: $vgpr4
                                        ; implicit-def: $vgpr2_vgpr3
	s_cbranch_execz .LBB124_104
; %bb.110:
	s_and_saveexec_b64 s[14:15], s[8:9]
	s_cbranch_execz .LBB124_112
; %bb.111:
	s_add_i32 s6, s6, 64
	s_mov_b32 s7, 0
	v_add_u32_e32 v3, v27, v23
	s_lshl_b64 s[6:7], s[6:7], 4
	s_add_u32 s6, s12, s6
	v_and_b32_e32 v4, 0xff000000, v3
	v_and_b32_e32 v6, 0xff0000, v3
	s_addc_u32 s7, s13, s7
	v_or_b32_e32 v4, v6, v4
	v_and_b32_e32 v6, 0xff00, v3
	v_and_b32_e32 v3, 0xff, v3
	v_add_u32_e32 v2, v26, v22
	v_mov_b32_e32 v5, 0
	v_or3_b32 v3, v4, v6, v3
	v_mov_b32_e32 v4, 2
	v_pk_mov_b32 v[6:7], s[6:7], s[6:7] op_sel:[0,1]
	;;#ASMSTART
	global_store_dwordx4 v[6:7], v[2:5] off	
s_waitcnt vmcnt(0)
	;;#ASMEND
	s_movk_i32 s6, 0x3400
	v_add_u32_e64 v2, s6, 0
	ds_write2_b32 v2, v22, v23 offset1:2
	ds_write2_b32 v2, v26, v27 offset0:4 offset1:6
.LBB124_112:
	s_or_b64 exec, exec, s[14:15]
	v_cmp_eq_u32_e32 vcc, 0, v0
	s_and_b64 exec, exec, vcc
	s_cbranch_execz .LBB124_114
; %bb.113:
	v_mov_b32_e32 v2, 0
	ds_write_b64 v2, v[26:27] offset:24
.LBB124_114:
	s_or_b64 exec, exec, s[10:11]
	v_mov_b32_e32 v2, 0
	s_waitcnt lgkmcnt(0)
	s_barrier
	ds_read_b64 v[6:7], v2 offset:24
	s_movk_i32 s6, 0x3400
	v_cndmask_b32_e64 v2, v87, v21, s[8:9]
	v_cndmask_b32_e64 v1, v1, v20, s[8:9]
	v_add_u32_e64 v4, s6, 0
	s_waitcnt lgkmcnt(0)
	v_add_u32_e32 v20, v6, v1
	v_add_u32_e32 v1, v7, v2
	s_barrier
	ds_read2_b32 v[2:3], v4 offset1:2
	ds_read2_b32 v[4:5], v4 offset0:4 offset1:6
	v_cmp_eq_u32_e32 vcc, 0, v0
	v_cndmask_b32_e32 v1, v1, v7, vcc
	v_cndmask_b32_e32 v20, v20, v6, vcc
	s_branch .LBB124_125
.LBB124_115:
                                        ; implicit-def: $vgpr1
                                        ; implicit-def: $vgpr4
                                        ; implicit-def: $vgpr2
                                        ; implicit-def: $vgpr20_vgpr21
	s_cbranch_execz .LBB124_125
; %bb.116:
	s_nop 0
	v_mov_b32_dpp v1, v85 row_shr:1 row_mask:0xf bank_mask:0xf
	s_waitcnt lgkmcnt(0)
	v_mov_b32_dpp v2, v86 row_shr:1 row_mask:0xf bank_mask:0xf
	v_add_u32_e32 v1, v1, v85
	v_add_u32_e32 v2, v2, v86
	v_cndmask_b32_e64 v2, v2, v86, s[4:5]
	v_cndmask_b32_e64 v1, v1, v85, s[4:5]
	v_cmp_lt_u32_e32 vcc, 3, v84
	v_mov_b32_dpp v4, v2 row_shr:2 row_mask:0xf bank_mask:0xf
	v_mov_b32_dpp v3, v1 row_shr:2 row_mask:0xf bank_mask:0xf
	v_add_u32_e32 v3, v1, v3
	v_add_u32_e32 v4, v2, v4
	v_cndmask_b32_e64 v2, v2, v4, s[2:3]
	v_cndmask_b32_e64 v1, v1, v3, s[2:3]
	s_nop 0
	v_mov_b32_dpp v4, v2 row_shr:4 row_mask:0xf bank_mask:0xf
	v_mov_b32_dpp v3, v1 row_shr:4 row_mask:0xf bank_mask:0xf
	v_add_u32_e32 v3, v1, v3
	v_add_u32_e32 v4, v2, v4
	v_cndmask_b32_e32 v2, v2, v4, vcc
	v_cndmask_b32_e32 v1, v1, v3, vcc
	v_cmp_lt_u32_e32 vcc, 7, v84
	v_mov_b32_dpp v4, v2 row_shr:8 row_mask:0xf bank_mask:0xf
	v_mov_b32_dpp v3, v1 row_shr:8 row_mask:0xf bank_mask:0xf
	v_add_u32_e32 v3, v1, v3
	v_add_u32_e32 v4, v2, v4
	v_cndmask_b32_e32 v2, v2, v4, vcc
	v_cndmask_b32_e32 v1, v1, v3, vcc
	v_cmp_eq_u32_e32 vcc, 0, v83
	v_mov_b32_dpp v4, v2 row_bcast:15 row_mask:0xf bank_mask:0xf
	v_mov_b32_dpp v3, v1 row_bcast:15 row_mask:0xf bank_mask:0xf
	v_add_u32_e32 v3, v1, v3
	v_add_u32_e32 v4, v2, v4
	v_cndmask_b32_e32 v2, v4, v2, vcc
	v_cndmask_b32_e32 v1, v3, v1, vcc
	v_cmp_lt_u32_e32 vcc, 31, v80
	v_mov_b32_dpp v4, v2 row_bcast:31 row_mask:0xf bank_mask:0xf
	v_mov_b32_dpp v3, v1 row_bcast:31 row_mask:0xf bank_mask:0xf
	v_add_u32_e32 v4, v2, v4
	v_add_u32_e32 v5, v1, v3
	v_cndmask_b32_e32 v3, v2, v4, vcc
	v_cndmask_b32_e32 v2, v1, v5, vcc
	v_cmp_eq_u32_e32 vcc, v82, v0
	s_and_saveexec_b64 s[2:3], vcc
	s_cbranch_execz .LBB124_118
; %bb.117:
	v_lshlrev_b32_e32 v1, 3, v81
	ds_write_b64 v1, v[2:3]
.LBB124_118:
	s_or_b64 exec, exec, s[2:3]
	v_cmp_gt_u32_e32 vcc, 4, v0
	s_waitcnt lgkmcnt(0)
	s_barrier
	s_and_saveexec_b64 s[2:3], vcc
	s_cbranch_execz .LBB124_120
; %bb.119:
	v_lshlrev_b32_e32 v1, 3, v0
	ds_read_b64 v[4:5], v1
	v_and_b32_e32 v6, 3, v80
	v_cmp_eq_u32_e32 vcc, 0, v6
	s_waitcnt lgkmcnt(0)
	v_mov_b32_dpp v7, v4 row_shr:1 row_mask:0xf bank_mask:0xf
	v_mov_b32_dpp v20, v5 row_shr:1 row_mask:0xf bank_mask:0xf
	v_add_u32_e32 v7, v7, v4
	v_add_u32_e32 v20, v20, v5
	v_cndmask_b32_e32 v5, v20, v5, vcc
	v_cndmask_b32_e32 v4, v7, v4, vcc
	v_cmp_lt_u32_e32 vcc, 1, v6
	v_mov_b32_dpp v20, v5 row_shr:2 row_mask:0xf bank_mask:0xf
	v_mov_b32_dpp v7, v4 row_shr:2 row_mask:0xf bank_mask:0xf
	v_cndmask_b32_e32 v6, 0, v7, vcc
	v_cndmask_b32_e32 v7, 0, v20, vcc
	v_add_u32_e32 v5, v7, v5
	v_add_u32_e32 v4, v6, v4
	ds_write_b64 v1, v[4:5]
.LBB124_120:
	s_or_b64 exec, exec, s[2:3]
	v_cmp_lt_u32_e32 vcc, 63, v0
	v_mov_b32_e32 v4, 0
	v_mov_b32_e32 v6, 0
	;; [unrolled: 1-line block ×3, first 2 shown]
	s_waitcnt lgkmcnt(0)
	s_barrier
	s_and_saveexec_b64 s[2:3], vcc
	s_cbranch_execz .LBB124_122
; %bb.121:
	v_lshl_add_u32 v1, v81, 3, -8
	ds_read_b64 v[6:7], v1
.LBB124_122:
	s_or_b64 exec, exec, s[2:3]
	s_waitcnt lgkmcnt(0)
	v_add_u32_e32 v5, v7, v3
	v_add_u32_e32 v1, v6, v2
	v_add_u32_e32 v2, -1, v80
	v_and_b32_e32 v3, 64, v80
	v_cmp_lt_i32_e32 vcc, v2, v3
	v_cndmask_b32_e32 v2, v2, v80, vcc
	v_lshlrev_b32_e32 v20, 2, v2
	ds_read_b64 v[2:3], v4 offset:24
	ds_bpermute_b32 v1, v20, v1
	ds_bpermute_b32 v20, v20, v5
	v_cmp_eq_u32_e32 vcc, 0, v0
	s_waitcnt lgkmcnt(2)
	v_readfirstlane_b32 s4, v3
	s_and_saveexec_b64 s[2:3], vcc
	s_cbranch_execz .LBB124_124
; %bb.123:
	s_add_u32 s6, s12, 0x400
	s_mov_b32 s8, 0
	s_addc_u32 s7, s13, 0
	s_and_b32 s9, s4, 0xff000000
	s_and_b32 s11, s4, 0xff0000
	s_mov_b32 s10, s8
	s_or_b64 s[10:11], s[10:11], s[8:9]
	s_and_b32 s9, s4, 0xff00
	s_or_b64 s[10:11], s[10:11], s[8:9]
	s_and_b32 s9, s4, 0xff
	s_or_b64 s[8:9], s[10:11], s[8:9]
	v_mov_b32_e32 v3, s9
	v_mov_b32_e32 v4, 2
	;; [unrolled: 1-line block ×3, first 2 shown]
	v_pk_mov_b32 v[22:23], s[6:7], s[6:7] op_sel:[0,1]
	;;#ASMSTART
	global_store_dwordx4 v[22:23], v[2:5] off	
s_waitcnt vmcnt(0)
	;;#ASMEND
.LBB124_124:
	s_or_b64 exec, exec, s[2:3]
	v_cmp_eq_u32_e64 s[2:3], 0, v80
	s_waitcnt lgkmcnt(1)
	v_cndmask_b32_e64 v3, v1, v6, s[2:3]
	s_waitcnt lgkmcnt(0)
	v_cndmask_b32_e64 v1, v20, v7, s[2:3]
	v_mov_b32_e32 v4, 0
	v_cndmask_b32_e64 v1, v1, 0, vcc
	v_cndmask_b32_e64 v20, v3, 0, vcc
	s_barrier
	v_mov_b32_e32 v3, s4
	v_mov_b32_e32 v5, 0
.LBB124_125:
	v_add_u32_e32 v24, v1, v63
	v_add_u32_e32 v25, v24, v74
	;; [unrolled: 1-line block ×14, first 2 shown]
	v_mov_b32_e32 v7, s49
	s_waitcnt lgkmcnt(0)
	v_add_co_u32_e32 v6, vcc, s48, v4
	v_add_u32_e32 v64, v58, v68
	v_add_u32_e32 v68, v66, v71
	v_addc_co_u32_e32 v7, vcc, 0, v7, vcc
	v_add_u32_e32 v69, v68, v78
	v_mov_b32_e32 v22, s51
	v_sub_co_u32_e32 v23, vcc, s50, v2
	v_add_u32_e32 v71, v69, v73
	v_subbrev_co_u32_e32 v73, vcc, 0, v22, vcc
	v_add_co_u32_e32 v22, vcc, v23, v5
	v_addc_co_u32_e32 v23, vcc, 0, v73, vcc
	v_lshlrev_b32_e32 v73, 1, v2
	v_sub_u32_e32 v1, v1, v5
	v_add_u32_e32 v74, v73, v3
	v_sub_u32_e32 v20, v20, v4
	v_add_u32_e32 v1, v1, v2
	v_add_u32_e32 v31, v74, v31
	v_and_b32_e32 v33, 1, v33
	v_add_u32_e32 v74, v20, v1
	v_and_b32_e32 v32, 1, v32
	v_sub_u32_e32 v74, v31, v74
	v_cmp_eq_u32_e32 vcc, 1, v33
	v_cndmask_b32_e32 v1, v74, v1, vcc
	v_cmp_eq_u32_e32 vcc, 1, v32
	v_cndmask_b32_e32 v1, v1, v20, vcc
	v_lshlrev_b32_e32 v1, 2, v1
	v_sub_u32_e32 v20, v24, v5
	ds_write_b32 v1, v18
	v_sub_u32_e32 v1, v21, v4
	v_add_u32_e32 v20, v20, v2
	v_add_u32_e32 v24, v20, v1
	v_and_b32_e32 v21, 1, v35
	v_sub_u32_e32 v24, v31, v24
	v_and_b32_e32 v18, 1, v34
	v_add_u32_e32 v24, 1, v24
	v_cmp_eq_u32_e32 vcc, 1, v21
	v_cndmask_b32_e32 v20, v24, v20, vcc
	v_cmp_eq_u32_e32 vcc, 1, v18
	v_cndmask_b32_e32 v1, v20, v1, vcc
	v_lshlrev_b32_e32 v1, 2, v1
	ds_write_b32 v1, v19
	v_sub_u32_e32 v19, v25, v5
	v_sub_u32_e32 v1, v26, v4
	v_add_u32_e32 v19, v19, v2
	v_add_u32_e32 v21, v19, v1
	v_and_b32_e32 v20, 1, v37
	v_sub_u32_e32 v21, v31, v21
	v_and_b32_e32 v18, 1, v36
	v_add_u32_e32 v21, 2, v21
	v_cmp_eq_u32_e32 vcc, 1, v20
	v_cndmask_b32_e32 v19, v21, v19, vcc
	v_cmp_eq_u32_e32 vcc, 1, v18
	v_cndmask_b32_e32 v1, v19, v1, vcc
	v_lshlrev_b32_e32 v1, 2, v1
	v_sub_u32_e32 v18, v28, v5
	ds_write_b32 v1, v16
	v_sub_u32_e32 v1, v27, v4
	v_add_u32_e32 v18, v18, v2
	v_add_u32_e32 v20, v1, v18
	v_and_b32_e32 v19, 1, v38
	v_sub_u32_e32 v20, v31, v20
	v_and_b32_e32 v16, 1, v39
	v_add_u32_e32 v20, 3, v20
	v_cmp_eq_u32_e32 vcc, 1, v19
	v_cndmask_b32_e32 v18, v20, v18, vcc
	v_cmp_eq_u32_e32 vcc, 1, v16
	v_cndmask_b32_e32 v1, v18, v1, vcc
	v_lshlrev_b32_e32 v1, 2, v1
	ds_write_b32 v1, v17
	v_sub_u32_e32 v17, v29, v5
	v_sub_u32_e32 v1, v56, v4
	v_add_u32_e32 v17, v17, v2
	v_add_u32_e32 v19, v1, v17
	v_and_b32_e32 v18, 1, v40
	v_sub_u32_e32 v19, v31, v19
	v_and_b32_e32 v16, 1, v41
	v_add_u32_e32 v19, 4, v19
	;; [unrolled: 28-line block ×3, first 2 shown]
	v_cmp_eq_u32_e32 vcc, 1, v16
	v_cndmask_b32_e32 v15, v17, v15, vcc
	v_cmp_eq_u32_e32 vcc, 1, v14
	v_cndmask_b32_e32 v1, v15, v1, vcc
	v_lshlrev_b32_e32 v1, 2, v1
	v_sub_u32_e32 v14, v65, v5
	ds_write_b32 v1, v12
	v_sub_u32_e32 v1, v64, v4
	v_add_u32_e32 v14, v14, v2
	v_add_u32_e32 v16, v1, v14
	v_and_b32_e32 v15, 1, v46
	v_sub_u32_e32 v16, v31, v16
	v_and_b32_e32 v12, 1, v47
	v_add_u32_e32 v16, 7, v16
	v_cmp_eq_u32_e32 vcc, 1, v15
	v_cndmask_b32_e32 v14, v16, v14, vcc
	v_cmp_eq_u32_e32 vcc, 1, v12
	v_cndmask_b32_e32 v1, v14, v1, vcc
	v_lshlrev_b32_e32 v1, 2, v1
	v_add_u32_e32 v59, v64, v59
	ds_write_b32 v1, v13
	v_sub_u32_e32 v13, v66, v5
	v_sub_u32_e32 v1, v59, v4
	v_add_u32_e32 v13, v13, v2
	v_add_u32_e32 v15, v1, v13
	v_and_b32_e32 v14, 1, v48
	v_sub_u32_e32 v15, v31, v15
	v_and_b32_e32 v12, 1, v49
	v_add_u32_e32 v15, 8, v15
	v_cmp_eq_u32_e32 vcc, 1, v14
	v_cndmask_b32_e32 v13, v15, v13, vcc
	v_cmp_eq_u32_e32 vcc, 1, v12
	v_cndmask_b32_e32 v1, v13, v1, vcc
	v_add_u32_e32 v67, v59, v70
	v_lshlrev_b32_e32 v1, 2, v1
	v_sub_u32_e32 v12, v68, v5
	ds_write_b32 v1, v10
	v_sub_u32_e32 v1, v67, v4
	v_add_u32_e32 v12, v12, v2
	v_add_u32_e32 v14, v1, v12
	v_and_b32_e32 v13, 1, v50
	v_sub_u32_e32 v14, v31, v14
	v_and_b32_e32 v10, 1, v51
	v_add_u32_e32 v14, 9, v14
	v_cmp_eq_u32_e32 vcc, 1, v13
	v_cndmask_b32_e32 v12, v14, v12, vcc
	v_cmp_eq_u32_e32 vcc, 1, v10
	v_cndmask_b32_e32 v1, v12, v1, vcc
	v_lshlrev_b32_e32 v1, 2, v1
	v_add_u32_e32 v60, v67, v60
	ds_write_b32 v1, v11
	v_sub_u32_e32 v11, v69, v5
	v_sub_u32_e32 v1, v60, v4
	v_add_u32_e32 v11, v11, v2
	v_add_u32_e32 v13, v1, v11
	v_and_b32_e32 v12, 1, v52
	v_sub_u32_e32 v13, v31, v13
	v_and_b32_e32 v10, 1, v53
	v_add_u32_e32 v13, 10, v13
	v_cmp_eq_u32_e32 vcc, 1, v12
	v_cndmask_b32_e32 v11, v13, v11, vcc
	v_cmp_eq_u32_e32 vcc, 1, v10
	v_cndmask_b32_e32 v1, v11, v1, vcc
	v_add_u32_e32 v70, v60, v72
	v_lshlrev_b32_e32 v1, 2, v1
	v_sub_u32_e32 v10, v71, v5
	ds_write_b32 v1, v8
	v_sub_u32_e32 v1, v70, v4
	v_add_u32_e32 v10, v10, v2
	v_add_u32_e32 v12, v1, v10
	v_and_b32_e32 v11, 1, v54
	v_sub_u32_e32 v12, v31, v12
	v_and_b32_e32 v8, 1, v55
	v_add_u32_e32 v12, 11, v12
	v_cmp_eq_u32_e32 vcc, 1, v11
	v_cndmask_b32_e32 v10, v12, v10, vcc
	v_cmp_eq_u32_e32 vcc, 1, v8
	v_cndmask_b32_e32 v1, v10, v1, vcc
	v_add_u32_e32 v72, v71, v79
	v_add_u32_e32 v61, v70, v61
	v_lshlrev_b32_e32 v1, 2, v1
	ds_write_b32 v1, v9
	v_sub_u32_e32 v1, v61, v4
	v_sub_u32_e32 v4, v72, v5
	v_add_u32_e32 v4, v4, v2
	v_add_u32_e32 v8, v1, v4
	v_sub_u32_e32 v8, v31, v8
	v_add_u32_e32 v8, 12, v8
	v_cndmask_b32_e64 v4, v8, v4, s[58:59]
	v_cndmask_b32_e64 v1, v4, v1, s[46:47]
	v_lshlrev_b32_e32 v1, 2, v1
	ds_write_b32 v1, v30
	v_add_co_u32_e32 v1, vcc, v3, v73
	v_addc_co_u32_e64 v4, s[2:3], 0, 0, vcc
	v_add_co_u32_e32 v1, vcc, v1, v22
	v_addc_co_u32_e32 v4, vcc, v4, v23, vcc
	s_add_u32 s4, s56, s33
	v_add_co_u32_e32 v1, vcc, v1, v6
	s_addc_u32 s5, s57, 0
	v_addc_co_u32_e32 v4, vcc, v4, v7, vcc
	v_mov_b32_e32 v8, s5
	v_sub_co_u32_e32 v1, vcc, s4, v1
	v_subb_co_u32_e32 v4, vcc, v8, v4, vcc
	v_lshlrev_b64 v[8:9], 2, v[22:23]
	v_mov_b32_e32 v10, s55
	v_add_co_u32_e32 v8, vcc, s54, v8
	v_addc_co_u32_e32 v9, vcc, v10, v9, vcc
	v_lshlrev_b64 v[10:11], 2, v[6:7]
	v_mov_b32_e32 v13, s53
	v_add_co_u32_e32 v10, vcc, s52, v10
	s_add_u32 s6, s34, -4
	v_addc_co_u32_e32 v11, vcc, v13, v11, vcc
	s_addc_u32 s7, s35, -1
	v_add_u32_e32 v12, v2, v3
	s_and_b64 vcc, exec, s[0:1]
	s_mov_b64 s[0:1], -1
	s_waitcnt lgkmcnt(0)
	s_barrier
	s_cbranch_vccz .LBB124_129
; %bb.126:
	s_and_b64 vcc, exec, s[0:1]
	s_cbranch_vccnz .LBB124_234
.LBB124_127:
	v_cmp_eq_u32_e32 vcc, 0, v0
	s_and_b64 s[0:1], vcc, s[30:31]
	s_and_saveexec_b64 s[2:3], s[0:1]
	s_cbranch_execnz .LBB124_352
.LBB124_128:
	s_endpgm
.LBB124_129:
	v_cmp_le_u32_e32 vcc, v2, v0
	s_and_saveexec_b64 s[0:1], vcc
	s_xor_b64 s[0:1], exec, s[0:1]
	s_cbranch_execz .LBB124_135
; %bb.130:
	v_cmp_le_u32_e32 vcc, v12, v0
	s_and_saveexec_b64 s[2:3], vcc
	s_xor_b64 s[2:3], exec, s[2:3]
	s_cbranch_execz .LBB124_132
; %bb.131:
	v_lshlrev_b32_e32 v13, 2, v0
	v_add_co_u32_e32 v14, vcc, v1, v0
	ds_read_b32 v13, v13
	v_addc_co_u32_e32 v15, vcc, 0, v4, vcc
	v_lshlrev_b64 v[14:15], 2, v[14:15]
	v_mov_b32_e32 v16, s35
	v_sub_co_u32_e32 v14, vcc, s34, v14
	v_subb_co_u32_e32 v15, vcc, v16, v15, vcc
	s_waitcnt lgkmcnt(0)
	global_store_dword v[14:15], v13, off offset:-4
.LBB124_132:
	s_andn2_saveexec_b64 s[2:3], s[2:3]
	s_cbranch_execz .LBB124_134
; %bb.133:
	v_lshlrev_b32_e32 v13, 2, v0
	ds_read_b32 v14, v13
	v_readfirstlane_b32 s4, v8
	v_readfirstlane_b32 s5, v9
	s_waitcnt lgkmcnt(0)
	s_nop 3
	global_store_dword v13, v14, s[4:5]
.LBB124_134:
	s_or_b64 exec, exec, s[2:3]
.LBB124_135:
	s_andn2_saveexec_b64 s[0:1], s[0:1]
	s_cbranch_execz .LBB124_137
; %bb.136:
	v_lshlrev_b32_e32 v13, 2, v0
	ds_read_b32 v14, v13
	v_readfirstlane_b32 s2, v10
	v_readfirstlane_b32 s3, v11
	s_waitcnt lgkmcnt(0)
	s_nop 3
	global_store_dword v13, v14, s[2:3]
.LBB124_137:
	s_or_b64 exec, exec, s[0:1]
	v_or_b32_e32 v13, 0x100, v0
	v_cmp_le_u32_e32 vcc, v2, v13
	s_and_saveexec_b64 s[0:1], vcc
	s_xor_b64 s[0:1], exec, s[0:1]
	s_cbranch_execz .LBB124_143
; %bb.138:
	v_cmp_le_u32_e32 vcc, v12, v13
	s_and_saveexec_b64 s[2:3], vcc
	s_xor_b64 s[2:3], exec, s[2:3]
	s_cbranch_execz .LBB124_140
; %bb.139:
	v_lshlrev_b32_e32 v13, 2, v0
	ds_read_b32 v13, v13 offset:1024
	v_add_co_u32_e32 v14, vcc, v1, v0
	v_addc_co_u32_e32 v15, vcc, 0, v4, vcc
	v_lshlrev_b64 v[14:15], 2, v[14:15]
	v_mov_b32_e32 v16, s7
	v_sub_co_u32_e32 v14, vcc, s6, v14
	v_subb_co_u32_e32 v15, vcc, v16, v15, vcc
	s_waitcnt lgkmcnt(0)
	global_store_dword v[14:15], v13, off offset:-1024
.LBB124_140:
	s_andn2_saveexec_b64 s[2:3], s[2:3]
	s_cbranch_execz .LBB124_142
; %bb.141:
	v_lshlrev_b32_e32 v13, 2, v0
	ds_read_b32 v14, v13 offset:1024
	v_readfirstlane_b32 s4, v8
	v_readfirstlane_b32 s5, v9
	s_waitcnt lgkmcnt(0)
	s_nop 3
	global_store_dword v13, v14, s[4:5] offset:1024
.LBB124_142:
	s_or_b64 exec, exec, s[2:3]
.LBB124_143:
	s_andn2_saveexec_b64 s[0:1], s[0:1]
	s_cbranch_execz .LBB124_145
; %bb.144:
	v_lshlrev_b32_e32 v13, 2, v0
	ds_read_b32 v14, v13 offset:1024
	v_readfirstlane_b32 s2, v10
	v_readfirstlane_b32 s3, v11
	s_waitcnt lgkmcnt(0)
	s_nop 3
	global_store_dword v13, v14, s[2:3] offset:1024
.LBB124_145:
	s_or_b64 exec, exec, s[0:1]
	v_or_b32_e32 v13, 0x200, v0
	v_cmp_le_u32_e32 vcc, v2, v13
	s_and_saveexec_b64 s[0:1], vcc
	s_xor_b64 s[0:1], exec, s[0:1]
	s_cbranch_execz .LBB124_151
; %bb.146:
	v_cmp_le_u32_e32 vcc, v12, v13
	s_and_saveexec_b64 s[2:3], vcc
	s_xor_b64 s[2:3], exec, s[2:3]
	s_cbranch_execz .LBB124_148
; %bb.147:
	v_lshlrev_b32_e32 v13, 2, v0
	ds_read_b32 v13, v13 offset:2048
	v_add_co_u32_e32 v14, vcc, v1, v0
	v_addc_co_u32_e32 v15, vcc, 0, v4, vcc
	v_lshlrev_b64 v[14:15], 2, v[14:15]
	v_mov_b32_e32 v16, s7
	v_sub_co_u32_e32 v14, vcc, s6, v14
	v_subb_co_u32_e32 v15, vcc, v16, v15, vcc
	s_waitcnt lgkmcnt(0)
	global_store_dword v[14:15], v13, off offset:-2048
.LBB124_148:
	s_andn2_saveexec_b64 s[2:3], s[2:3]
	s_cbranch_execz .LBB124_150
; %bb.149:
	v_lshlrev_b32_e32 v13, 2, v0
	ds_read_b32 v14, v13 offset:2048
	v_readfirstlane_b32 s4, v8
	v_readfirstlane_b32 s5, v9
	s_waitcnt lgkmcnt(0)
	s_nop 3
	global_store_dword v13, v14, s[4:5] offset:2048
.LBB124_150:
	s_or_b64 exec, exec, s[2:3]
.LBB124_151:
	s_andn2_saveexec_b64 s[0:1], s[0:1]
	s_cbranch_execz .LBB124_153
; %bb.152:
	v_lshlrev_b32_e32 v13, 2, v0
	ds_read_b32 v14, v13 offset:2048
	v_readfirstlane_b32 s2, v10
	v_readfirstlane_b32 s3, v11
	s_waitcnt lgkmcnt(0)
	s_nop 3
	global_store_dword v13, v14, s[2:3] offset:2048
.LBB124_153:
	;; [unrolled: 47-line block ×3, first 2 shown]
	s_or_b64 exec, exec, s[0:1]
	v_or_b32_e32 v13, 0x400, v0
	v_cmp_le_u32_e32 vcc, v2, v13
	s_and_saveexec_b64 s[0:1], vcc
	s_xor_b64 s[0:1], exec, s[0:1]
	s_cbranch_execz .LBB124_167
; %bb.162:
	v_cmp_le_u32_e32 vcc, v12, v13
	s_and_saveexec_b64 s[2:3], vcc
	s_xor_b64 s[2:3], exec, s[2:3]
	s_cbranch_execz .LBB124_164
; %bb.163:
	v_lshlrev_b32_e32 v13, 2, v0
	ds_read_b32 v13, v13 offset:4096
	v_add_co_u32_e32 v14, vcc, v1, v0
	v_addc_co_u32_e32 v15, vcc, 0, v4, vcc
	v_lshlrev_b64 v[14:15], 2, v[14:15]
	v_mov_b32_e32 v16, s7
	v_sub_co_u32_e32 v14, vcc, s6, v14
	v_subb_co_u32_e32 v15, vcc, v16, v15, vcc
	s_waitcnt lgkmcnt(0)
	global_store_dword v[14:15], v13, off offset:-4096
                                        ; implicit-def: $vgpr13
.LBB124_164:
	s_andn2_saveexec_b64 s[2:3], s[2:3]
	s_cbranch_execz .LBB124_166
; %bb.165:
	v_lshlrev_b32_e32 v14, 2, v0
	ds_read_b32 v14, v14 offset:4096
	v_lshlrev_b32_e32 v13, 2, v13
	v_readfirstlane_b32 s4, v8
	v_readfirstlane_b32 s5, v9
	s_waitcnt lgkmcnt(0)
	s_nop 3
	global_store_dword v13, v14, s[4:5]
.LBB124_166:
	s_or_b64 exec, exec, s[2:3]
                                        ; implicit-def: $vgpr13
.LBB124_167:
	s_andn2_saveexec_b64 s[0:1], s[0:1]
	s_cbranch_execz .LBB124_169
; %bb.168:
	v_lshlrev_b32_e32 v14, 2, v0
	ds_read_b32 v14, v14 offset:4096
	v_lshlrev_b32_e32 v13, 2, v13
	v_readfirstlane_b32 s2, v10
	v_readfirstlane_b32 s3, v11
	s_waitcnt lgkmcnt(0)
	s_nop 3
	global_store_dword v13, v14, s[2:3]
.LBB124_169:
	s_or_b64 exec, exec, s[0:1]
	v_or_b32_e32 v13, 0x500, v0
	v_cmp_le_u32_e32 vcc, v2, v13
	s_and_saveexec_b64 s[0:1], vcc
	s_xor_b64 s[0:1], exec, s[0:1]
	s_cbranch_execz .LBB124_175
; %bb.170:
	v_cmp_le_u32_e32 vcc, v12, v13
	s_and_saveexec_b64 s[2:3], vcc
	s_xor_b64 s[2:3], exec, s[2:3]
	s_cbranch_execz .LBB124_172
; %bb.171:
	v_add_co_u32_e32 v14, vcc, v1, v13
	v_lshlrev_b32_e32 v13, 2, v0
	ds_read_b32 v13, v13 offset:5120
	v_addc_co_u32_e32 v15, vcc, 0, v4, vcc
	v_lshlrev_b64 v[14:15], 2, v[14:15]
	v_mov_b32_e32 v16, s7
	v_sub_co_u32_e32 v14, vcc, s6, v14
	v_subb_co_u32_e32 v15, vcc, v16, v15, vcc
	s_waitcnt lgkmcnt(0)
	global_store_dword v[14:15], v13, off
                                        ; implicit-def: $vgpr13
.LBB124_172:
	s_andn2_saveexec_b64 s[2:3], s[2:3]
	s_cbranch_execz .LBB124_174
; %bb.173:
	v_lshlrev_b32_e32 v14, 2, v0
	ds_read_b32 v14, v14 offset:5120
	v_lshlrev_b32_e32 v13, 2, v13
	v_readfirstlane_b32 s4, v8
	v_readfirstlane_b32 s5, v9
	s_waitcnt lgkmcnt(0)
	s_nop 3
	global_store_dword v13, v14, s[4:5]
.LBB124_174:
	s_or_b64 exec, exec, s[2:3]
                                        ; implicit-def: $vgpr13
.LBB124_175:
	s_andn2_saveexec_b64 s[0:1], s[0:1]
	s_cbranch_execz .LBB124_177
; %bb.176:
	v_lshlrev_b32_e32 v14, 2, v0
	ds_read_b32 v14, v14 offset:5120
	v_lshlrev_b32_e32 v13, 2, v13
	v_readfirstlane_b32 s2, v10
	v_readfirstlane_b32 s3, v11
	s_waitcnt lgkmcnt(0)
	s_nop 3
	global_store_dword v13, v14, s[2:3]
.LBB124_177:
	s_or_b64 exec, exec, s[0:1]
	v_or_b32_e32 v13, 0x600, v0
	v_cmp_le_u32_e32 vcc, v2, v13
	s_and_saveexec_b64 s[0:1], vcc
	s_xor_b64 s[0:1], exec, s[0:1]
	s_cbranch_execz .LBB124_183
; %bb.178:
	v_cmp_le_u32_e32 vcc, v12, v13
	s_and_saveexec_b64 s[2:3], vcc
	s_xor_b64 s[2:3], exec, s[2:3]
	s_cbranch_execz .LBB124_180
; %bb.179:
	v_add_co_u32_e32 v14, vcc, v1, v13
	v_lshlrev_b32_e32 v13, 2, v0
	ds_read_b32 v13, v13 offset:6144
	v_addc_co_u32_e32 v15, vcc, 0, v4, vcc
	v_lshlrev_b64 v[14:15], 2, v[14:15]
	v_mov_b32_e32 v16, s7
	v_sub_co_u32_e32 v14, vcc, s6, v14
	v_subb_co_u32_e32 v15, vcc, v16, v15, vcc
	s_waitcnt lgkmcnt(0)
	global_store_dword v[14:15], v13, off
                                        ; implicit-def: $vgpr13
.LBB124_180:
	s_andn2_saveexec_b64 s[2:3], s[2:3]
	s_cbranch_execz .LBB124_182
; %bb.181:
	v_lshlrev_b32_e32 v14, 2, v0
	ds_read_b32 v14, v14 offset:6144
	v_lshlrev_b32_e32 v13, 2, v13
	v_readfirstlane_b32 s4, v8
	v_readfirstlane_b32 s5, v9
	s_waitcnt lgkmcnt(0)
	s_nop 3
	global_store_dword v13, v14, s[4:5]
.LBB124_182:
	s_or_b64 exec, exec, s[2:3]
                                        ; implicit-def: $vgpr13
.LBB124_183:
	;; [unrolled: 51-line block ×8, first 2 shown]
	s_andn2_saveexec_b64 s[0:1], s[0:1]
	s_cbranch_execz .LBB124_233
; %bb.232:
	v_lshlrev_b32_e32 v14, 2, v0
	ds_read_b32 v14, v14 offset:12288
	v_lshlrev_b32_e32 v13, 2, v13
	v_readfirstlane_b32 s2, v10
	v_readfirstlane_b32 s3, v11
	s_waitcnt lgkmcnt(0)
	s_nop 3
	global_store_dword v13, v14, s[2:3]
.LBB124_233:
	s_or_b64 exec, exec, s[0:1]
	s_branch .LBB124_127
.LBB124_234:
	v_cmp_gt_u32_e32 vcc, s18, v0
	s_and_saveexec_b64 s[0:1], vcc
	s_cbranch_execz .LBB124_243
; %bb.235:
	v_cmp_le_u32_e32 vcc, v2, v0
	s_and_saveexec_b64 s[2:3], vcc
	s_xor_b64 s[2:3], exec, s[2:3]
	s_cbranch_execz .LBB124_241
; %bb.236:
	v_cmp_le_u32_e32 vcc, v12, v0
	s_and_saveexec_b64 s[4:5], vcc
	s_xor_b64 s[4:5], exec, s[4:5]
	s_cbranch_execz .LBB124_238
; %bb.237:
	v_lshlrev_b32_e32 v13, 2, v0
	v_add_co_u32_e32 v14, vcc, v1, v0
	ds_read_b32 v13, v13
	v_addc_co_u32_e32 v15, vcc, 0, v4, vcc
	v_lshlrev_b64 v[14:15], 2, v[14:15]
	v_mov_b32_e32 v16, s35
	v_sub_co_u32_e32 v14, vcc, s34, v14
	v_subb_co_u32_e32 v15, vcc, v16, v15, vcc
	s_waitcnt lgkmcnt(0)
	global_store_dword v[14:15], v13, off offset:-4
.LBB124_238:
	s_andn2_saveexec_b64 s[4:5], s[4:5]
	s_cbranch_execz .LBB124_240
; %bb.239:
	v_lshlrev_b32_e32 v13, 2, v0
	ds_read_b32 v14, v13
	v_readfirstlane_b32 s8, v8
	v_readfirstlane_b32 s9, v9
	s_waitcnt lgkmcnt(0)
	s_nop 3
	global_store_dword v13, v14, s[8:9]
.LBB124_240:
	s_or_b64 exec, exec, s[4:5]
.LBB124_241:
	s_andn2_saveexec_b64 s[2:3], s[2:3]
	s_cbranch_execz .LBB124_243
; %bb.242:
	v_lshlrev_b32_e32 v13, 2, v0
	ds_read_b32 v14, v13
	v_readfirstlane_b32 s2, v10
	v_readfirstlane_b32 s3, v11
	s_waitcnt lgkmcnt(0)
	s_nop 3
	global_store_dword v13, v14, s[2:3]
.LBB124_243:
	s_or_b64 exec, exec, s[0:1]
	v_or_b32_e32 v13, 0x100, v0
	v_cmp_gt_u32_e32 vcc, s18, v13
	s_and_saveexec_b64 s[0:1], vcc
	s_cbranch_execz .LBB124_252
; %bb.244:
	v_cmp_le_u32_e32 vcc, v2, v13
	s_and_saveexec_b64 s[2:3], vcc
	s_xor_b64 s[2:3], exec, s[2:3]
	s_cbranch_execz .LBB124_250
; %bb.245:
	v_cmp_le_u32_e32 vcc, v12, v13
	s_and_saveexec_b64 s[4:5], vcc
	s_xor_b64 s[4:5], exec, s[4:5]
	s_cbranch_execz .LBB124_247
; %bb.246:
	v_lshlrev_b32_e32 v13, 2, v0
	ds_read_b32 v13, v13 offset:1024
	v_add_co_u32_e32 v14, vcc, v1, v0
	v_addc_co_u32_e32 v15, vcc, 0, v4, vcc
	v_lshlrev_b64 v[14:15], 2, v[14:15]
	v_mov_b32_e32 v16, s7
	v_sub_co_u32_e32 v14, vcc, s6, v14
	v_subb_co_u32_e32 v15, vcc, v16, v15, vcc
	s_waitcnt lgkmcnt(0)
	global_store_dword v[14:15], v13, off offset:-1024
.LBB124_247:
	s_andn2_saveexec_b64 s[4:5], s[4:5]
	s_cbranch_execz .LBB124_249
; %bb.248:
	v_lshlrev_b32_e32 v13, 2, v0
	ds_read_b32 v14, v13 offset:1024
	v_readfirstlane_b32 s8, v8
	v_readfirstlane_b32 s9, v9
	s_waitcnt lgkmcnt(0)
	s_nop 3
	global_store_dword v13, v14, s[8:9] offset:1024
.LBB124_249:
	s_or_b64 exec, exec, s[4:5]
.LBB124_250:
	s_andn2_saveexec_b64 s[2:3], s[2:3]
	s_cbranch_execz .LBB124_252
; %bb.251:
	v_lshlrev_b32_e32 v13, 2, v0
	ds_read_b32 v14, v13 offset:1024
	v_readfirstlane_b32 s2, v10
	v_readfirstlane_b32 s3, v11
	s_waitcnt lgkmcnt(0)
	s_nop 3
	global_store_dword v13, v14, s[2:3] offset:1024
.LBB124_252:
	s_or_b64 exec, exec, s[0:1]
	v_or_b32_e32 v13, 0x200, v0
	v_cmp_gt_u32_e32 vcc, s18, v13
	s_and_saveexec_b64 s[0:1], vcc
	s_cbranch_execz .LBB124_261
; %bb.253:
	v_cmp_le_u32_e32 vcc, v2, v13
	s_and_saveexec_b64 s[2:3], vcc
	s_xor_b64 s[2:3], exec, s[2:3]
	s_cbranch_execz .LBB124_259
; %bb.254:
	v_cmp_le_u32_e32 vcc, v12, v13
	s_and_saveexec_b64 s[4:5], vcc
	s_xor_b64 s[4:5], exec, s[4:5]
	s_cbranch_execz .LBB124_256
; %bb.255:
	v_lshlrev_b32_e32 v13, 2, v0
	ds_read_b32 v13, v13 offset:2048
	v_add_co_u32_e32 v14, vcc, v1, v0
	v_addc_co_u32_e32 v15, vcc, 0, v4, vcc
	v_lshlrev_b64 v[14:15], 2, v[14:15]
	v_mov_b32_e32 v16, s7
	v_sub_co_u32_e32 v14, vcc, s6, v14
	v_subb_co_u32_e32 v15, vcc, v16, v15, vcc
	s_waitcnt lgkmcnt(0)
	global_store_dword v[14:15], v13, off offset:-2048
.LBB124_256:
	s_andn2_saveexec_b64 s[4:5], s[4:5]
	s_cbranch_execz .LBB124_258
; %bb.257:
	v_lshlrev_b32_e32 v13, 2, v0
	ds_read_b32 v14, v13 offset:2048
	v_readfirstlane_b32 s8, v8
	v_readfirstlane_b32 s9, v9
	s_waitcnt lgkmcnt(0)
	s_nop 3
	global_store_dword v13, v14, s[8:9] offset:2048
.LBB124_258:
	s_or_b64 exec, exec, s[4:5]
.LBB124_259:
	s_andn2_saveexec_b64 s[2:3], s[2:3]
	s_cbranch_execz .LBB124_261
; %bb.260:
	v_lshlrev_b32_e32 v13, 2, v0
	ds_read_b32 v14, v13 offset:2048
	v_readfirstlane_b32 s2, v10
	v_readfirstlane_b32 s3, v11
	s_waitcnt lgkmcnt(0)
	s_nop 3
	global_store_dword v13, v14, s[2:3] offset:2048
.LBB124_261:
	;; [unrolled: 51-line block ×3, first 2 shown]
	s_or_b64 exec, exec, s[0:1]
	v_or_b32_e32 v13, 0x400, v0
	v_cmp_gt_u32_e32 vcc, s18, v13
	s_and_saveexec_b64 s[0:1], vcc
	s_cbranch_execz .LBB124_279
; %bb.271:
	v_cmp_le_u32_e32 vcc, v2, v13
	s_and_saveexec_b64 s[2:3], vcc
	s_xor_b64 s[2:3], exec, s[2:3]
	s_cbranch_execz .LBB124_277
; %bb.272:
	v_cmp_le_u32_e32 vcc, v12, v13
	s_and_saveexec_b64 s[4:5], vcc
	s_xor_b64 s[4:5], exec, s[4:5]
	s_cbranch_execz .LBB124_274
; %bb.273:
	v_lshlrev_b32_e32 v13, 2, v0
	ds_read_b32 v13, v13 offset:4096
	v_add_co_u32_e32 v14, vcc, v1, v0
	v_addc_co_u32_e32 v15, vcc, 0, v4, vcc
	v_lshlrev_b64 v[14:15], 2, v[14:15]
	v_mov_b32_e32 v16, s7
	v_sub_co_u32_e32 v14, vcc, s6, v14
	v_subb_co_u32_e32 v15, vcc, v16, v15, vcc
	s_waitcnt lgkmcnt(0)
	global_store_dword v[14:15], v13, off offset:-4096
                                        ; implicit-def: $vgpr13
.LBB124_274:
	s_andn2_saveexec_b64 s[4:5], s[4:5]
	s_cbranch_execz .LBB124_276
; %bb.275:
	v_lshlrev_b32_e32 v14, 2, v0
	ds_read_b32 v14, v14 offset:4096
	v_lshlrev_b32_e32 v13, 2, v13
	v_readfirstlane_b32 s8, v8
	v_readfirstlane_b32 s9, v9
	s_waitcnt lgkmcnt(0)
	s_nop 3
	global_store_dword v13, v14, s[8:9]
.LBB124_276:
	s_or_b64 exec, exec, s[4:5]
                                        ; implicit-def: $vgpr13
.LBB124_277:
	s_andn2_saveexec_b64 s[2:3], s[2:3]
	s_cbranch_execz .LBB124_279
; %bb.278:
	v_lshlrev_b32_e32 v14, 2, v0
	ds_read_b32 v14, v14 offset:4096
	v_lshlrev_b32_e32 v13, 2, v13
	v_readfirstlane_b32 s2, v10
	v_readfirstlane_b32 s3, v11
	s_waitcnt lgkmcnt(0)
	s_nop 3
	global_store_dword v13, v14, s[2:3]
.LBB124_279:
	s_or_b64 exec, exec, s[0:1]
	v_or_b32_e32 v13, 0x500, v0
	v_cmp_gt_u32_e32 vcc, s18, v13
	s_and_saveexec_b64 s[0:1], vcc
	s_cbranch_execz .LBB124_288
; %bb.280:
	v_cmp_le_u32_e32 vcc, v2, v13
	s_and_saveexec_b64 s[2:3], vcc
	s_xor_b64 s[2:3], exec, s[2:3]
	s_cbranch_execz .LBB124_286
; %bb.281:
	v_cmp_le_u32_e32 vcc, v12, v13
	s_and_saveexec_b64 s[4:5], vcc
	s_xor_b64 s[4:5], exec, s[4:5]
	s_cbranch_execz .LBB124_283
; %bb.282:
	v_add_co_u32_e32 v14, vcc, v1, v13
	v_lshlrev_b32_e32 v13, 2, v0
	ds_read_b32 v13, v13 offset:5120
	v_addc_co_u32_e32 v15, vcc, 0, v4, vcc
	v_lshlrev_b64 v[14:15], 2, v[14:15]
	v_mov_b32_e32 v16, s7
	v_sub_co_u32_e32 v14, vcc, s6, v14
	v_subb_co_u32_e32 v15, vcc, v16, v15, vcc
	s_waitcnt lgkmcnt(0)
	global_store_dword v[14:15], v13, off
                                        ; implicit-def: $vgpr13
.LBB124_283:
	s_andn2_saveexec_b64 s[4:5], s[4:5]
	s_cbranch_execz .LBB124_285
; %bb.284:
	v_lshlrev_b32_e32 v14, 2, v0
	ds_read_b32 v14, v14 offset:5120
	v_lshlrev_b32_e32 v13, 2, v13
	v_readfirstlane_b32 s8, v8
	v_readfirstlane_b32 s9, v9
	s_waitcnt lgkmcnt(0)
	s_nop 3
	global_store_dword v13, v14, s[8:9]
.LBB124_285:
	s_or_b64 exec, exec, s[4:5]
                                        ; implicit-def: $vgpr13
.LBB124_286:
	s_andn2_saveexec_b64 s[2:3], s[2:3]
	s_cbranch_execz .LBB124_288
; %bb.287:
	v_lshlrev_b32_e32 v14, 2, v0
	ds_read_b32 v14, v14 offset:5120
	v_lshlrev_b32_e32 v13, 2, v13
	v_readfirstlane_b32 s2, v10
	v_readfirstlane_b32 s3, v11
	s_waitcnt lgkmcnt(0)
	s_nop 3
	global_store_dword v13, v14, s[2:3]
.LBB124_288:
	s_or_b64 exec, exec, s[0:1]
	v_or_b32_e32 v13, 0x600, v0
	v_cmp_gt_u32_e32 vcc, s18, v13
	s_and_saveexec_b64 s[0:1], vcc
	s_cbranch_execz .LBB124_297
; %bb.289:
	v_cmp_le_u32_e32 vcc, v2, v13
	s_and_saveexec_b64 s[2:3], vcc
	s_xor_b64 s[2:3], exec, s[2:3]
	s_cbranch_execz .LBB124_295
; %bb.290:
	v_cmp_le_u32_e32 vcc, v12, v13
	s_and_saveexec_b64 s[4:5], vcc
	s_xor_b64 s[4:5], exec, s[4:5]
	s_cbranch_execz .LBB124_292
; %bb.291:
	v_add_co_u32_e32 v14, vcc, v1, v13
	v_lshlrev_b32_e32 v13, 2, v0
	ds_read_b32 v13, v13 offset:6144
	v_addc_co_u32_e32 v15, vcc, 0, v4, vcc
	v_lshlrev_b64 v[14:15], 2, v[14:15]
	v_mov_b32_e32 v16, s7
	v_sub_co_u32_e32 v14, vcc, s6, v14
	v_subb_co_u32_e32 v15, vcc, v16, v15, vcc
	s_waitcnt lgkmcnt(0)
	global_store_dword v[14:15], v13, off
                                        ; implicit-def: $vgpr13
.LBB124_292:
	s_andn2_saveexec_b64 s[4:5], s[4:5]
	s_cbranch_execz .LBB124_294
; %bb.293:
	v_lshlrev_b32_e32 v14, 2, v0
	ds_read_b32 v14, v14 offset:6144
	v_lshlrev_b32_e32 v13, 2, v13
	v_readfirstlane_b32 s8, v8
	v_readfirstlane_b32 s9, v9
	s_waitcnt lgkmcnt(0)
	s_nop 3
	global_store_dword v13, v14, s[8:9]
.LBB124_294:
	s_or_b64 exec, exec, s[4:5]
                                        ; implicit-def: $vgpr13
.LBB124_295:
	s_andn2_saveexec_b64 s[2:3], s[2:3]
	s_cbranch_execz .LBB124_297
; %bb.296:
	v_lshlrev_b32_e32 v14, 2, v0
	ds_read_b32 v14, v14 offset:6144
	v_lshlrev_b32_e32 v13, 2, v13
	v_readfirstlane_b32 s2, v10
	v_readfirstlane_b32 s3, v11
	s_waitcnt lgkmcnt(0)
	s_nop 3
	global_store_dword v13, v14, s[2:3]
.LBB124_297:
	;; [unrolled: 55-line block ×7, first 2 shown]
	s_or_b64 exec, exec, s[0:1]
	v_or_b32_e32 v13, 0xc00, v0
	v_cmp_gt_u32_e32 vcc, s18, v13
	s_and_saveexec_b64 s[0:1], vcc
	s_cbranch_execz .LBB124_351
; %bb.343:
	v_cmp_le_u32_e32 vcc, v2, v13
	s_and_saveexec_b64 s[2:3], vcc
	s_xor_b64 s[2:3], exec, s[2:3]
	s_cbranch_execz .LBB124_349
; %bb.344:
	v_cmp_le_u32_e32 vcc, v12, v13
	s_and_saveexec_b64 s[4:5], vcc
	s_xor_b64 s[4:5], exec, s[4:5]
	s_cbranch_execz .LBB124_346
; %bb.345:
	v_add_co_u32_e32 v8, vcc, v1, v13
	v_lshlrev_b32_e32 v1, 2, v0
	ds_read_b32 v1, v1 offset:12288
	v_addc_co_u32_e32 v9, vcc, 0, v4, vcc
	v_lshlrev_b64 v[8:9], 2, v[8:9]
	v_mov_b32_e32 v4, s7
	v_sub_co_u32_e32 v8, vcc, s6, v8
	v_subb_co_u32_e32 v9, vcc, v4, v9, vcc
	s_waitcnt lgkmcnt(0)
	global_store_dword v[8:9], v1, off
                                        ; implicit-def: $vgpr13
                                        ; implicit-def: $vgpr8_vgpr9
.LBB124_346:
	s_andn2_saveexec_b64 s[4:5], s[4:5]
	s_cbranch_execz .LBB124_348
; %bb.347:
	v_lshlrev_b32_e32 v1, 2, v0
	ds_read_b32 v1, v1 offset:12288
	v_lshlrev_b32_e32 v4, 2, v13
	v_readfirstlane_b32 s6, v8
	v_readfirstlane_b32 s7, v9
	s_waitcnt lgkmcnt(0)
	s_nop 3
	global_store_dword v4, v1, s[6:7]
.LBB124_348:
	s_or_b64 exec, exec, s[4:5]
                                        ; implicit-def: $vgpr13
                                        ; implicit-def: $vgpr10_vgpr11
.LBB124_349:
	s_andn2_saveexec_b64 s[2:3], s[2:3]
	s_cbranch_execz .LBB124_351
; %bb.350:
	v_lshlrev_b32_e32 v1, 2, v0
	ds_read_b32 v1, v1 offset:12288
	v_lshlrev_b32_e32 v4, 2, v13
	v_readfirstlane_b32 s2, v10
	v_readfirstlane_b32 s3, v11
	s_waitcnt lgkmcnt(0)
	s_nop 3
	global_store_dword v4, v1, s[2:3]
.LBB124_351:
	s_or_b64 exec, exec, s[0:1]
	v_cmp_eq_u32_e32 vcc, 0, v0
	s_and_b64 s[0:1], vcc, s[30:31]
	s_and_saveexec_b64 s[2:3], s[0:1]
	s_cbranch_execz .LBB124_128
.LBB124_352:
	v_add_co_u32_e32 v0, vcc, v6, v2
	v_addc_co_u32_e32 v1, vcc, 0, v7, vcc
	v_mov_b32_e32 v2, s51
	v_add_co_u32_e32 v3, vcc, s50, v3
	v_addc_co_u32_e32 v6, vcc, 0, v2, vcc
	v_add_co_u32_e32 v2, vcc, v3, v5
	v_mov_b32_e32 v4, 0
	v_addc_co_u32_e32 v3, vcc, 0, v6, vcc
	global_store_dwordx4 v4, v[0:3], s[44:45]
	s_endpgm
	.section	.rodata,"a",@progbits
	.p2align	6, 0x0
	.amdhsa_kernel _ZN7rocprim17ROCPRIM_400000_NS6detail17trampoline_kernelINS0_13select_configILj256ELj13ELNS0_17block_load_methodE3ELS4_3ELS4_3ELNS0_20block_scan_algorithmE0ELj4294967295EEENS1_25partition_config_selectorILNS1_17partition_subalgoE4EjNS0_10empty_typeEbEEZZNS1_14partition_implILS8_4ELb0ES6_15HIP_vector_typeIjLj2EENS0_17counting_iteratorIjlEEPS9_SG_NS0_5tupleIJPjSI_NS0_16reverse_iteratorISI_EEEEENSH_IJSG_SG_SG_EEES9_SI_JZNS1_25segmented_radix_sort_implINS0_14default_configELb0EPKhPhPKlPlN2at6native12_GLOBAL__N_18offset_tEEE10hipError_tPvRmT1_PNSt15iterator_traitsIS12_E10value_typeET2_T3_PNS13_IS18_E10value_typeET4_jRbjT5_S1E_jjP12ihipStream_tbEUljE_ZNSN_ISO_Lb0ESQ_SR_ST_SU_SY_EESZ_S10_S11_S12_S16_S17_S18_S1B_S1C_jS1D_jS1E_S1E_jjS1G_bEUljE0_EEESZ_S10_S11_S18_S1C_S1E_T6_T7_T9_mT8_S1G_bDpT10_ENKUlT_T0_E_clISt17integral_constantIbLb0EES1U_EEDaS1P_S1Q_EUlS1P_E_NS1_11comp_targetILNS1_3genE4ELNS1_11target_archE910ELNS1_3gpuE8ELNS1_3repE0EEENS1_30default_config_static_selectorELNS0_4arch9wavefront6targetE1EEEvS12_
		.amdhsa_group_segment_fixed_size 13340
		.amdhsa_private_segment_fixed_size 0
		.amdhsa_kernarg_size 176
		.amdhsa_user_sgpr_count 6
		.amdhsa_user_sgpr_private_segment_buffer 1
		.amdhsa_user_sgpr_dispatch_ptr 0
		.amdhsa_user_sgpr_queue_ptr 0
		.amdhsa_user_sgpr_kernarg_segment_ptr 1
		.amdhsa_user_sgpr_dispatch_id 0
		.amdhsa_user_sgpr_flat_scratch_init 0
		.amdhsa_user_sgpr_kernarg_preload_length 0
		.amdhsa_user_sgpr_kernarg_preload_offset 0
		.amdhsa_user_sgpr_private_segment_size 0
		.amdhsa_uses_dynamic_stack 0
		.amdhsa_system_sgpr_private_segment_wavefront_offset 0
		.amdhsa_system_sgpr_workgroup_id_x 1
		.amdhsa_system_sgpr_workgroup_id_y 0
		.amdhsa_system_sgpr_workgroup_id_z 0
		.amdhsa_system_sgpr_workgroup_info 0
		.amdhsa_system_vgpr_workitem_id 0
		.amdhsa_next_free_vgpr 102
		.amdhsa_next_free_sgpr 90
		.amdhsa_accum_offset 104
		.amdhsa_reserve_vcc 1
		.amdhsa_reserve_flat_scratch 0
		.amdhsa_float_round_mode_32 0
		.amdhsa_float_round_mode_16_64 0
		.amdhsa_float_denorm_mode_32 3
		.amdhsa_float_denorm_mode_16_64 3
		.amdhsa_dx10_clamp 1
		.amdhsa_ieee_mode 1
		.amdhsa_fp16_overflow 0
		.amdhsa_tg_split 0
		.amdhsa_exception_fp_ieee_invalid_op 0
		.amdhsa_exception_fp_denorm_src 0
		.amdhsa_exception_fp_ieee_div_zero 0
		.amdhsa_exception_fp_ieee_overflow 0
		.amdhsa_exception_fp_ieee_underflow 0
		.amdhsa_exception_fp_ieee_inexact 0
		.amdhsa_exception_int_div_zero 0
	.end_amdhsa_kernel
	.section	.text._ZN7rocprim17ROCPRIM_400000_NS6detail17trampoline_kernelINS0_13select_configILj256ELj13ELNS0_17block_load_methodE3ELS4_3ELS4_3ELNS0_20block_scan_algorithmE0ELj4294967295EEENS1_25partition_config_selectorILNS1_17partition_subalgoE4EjNS0_10empty_typeEbEEZZNS1_14partition_implILS8_4ELb0ES6_15HIP_vector_typeIjLj2EENS0_17counting_iteratorIjlEEPS9_SG_NS0_5tupleIJPjSI_NS0_16reverse_iteratorISI_EEEEENSH_IJSG_SG_SG_EEES9_SI_JZNS1_25segmented_radix_sort_implINS0_14default_configELb0EPKhPhPKlPlN2at6native12_GLOBAL__N_18offset_tEEE10hipError_tPvRmT1_PNSt15iterator_traitsIS12_E10value_typeET2_T3_PNS13_IS18_E10value_typeET4_jRbjT5_S1E_jjP12ihipStream_tbEUljE_ZNSN_ISO_Lb0ESQ_SR_ST_SU_SY_EESZ_S10_S11_S12_S16_S17_S18_S1B_S1C_jS1D_jS1E_S1E_jjS1G_bEUljE0_EEESZ_S10_S11_S18_S1C_S1E_T6_T7_T9_mT8_S1G_bDpT10_ENKUlT_T0_E_clISt17integral_constantIbLb0EES1U_EEDaS1P_S1Q_EUlS1P_E_NS1_11comp_targetILNS1_3genE4ELNS1_11target_archE910ELNS1_3gpuE8ELNS1_3repE0EEENS1_30default_config_static_selectorELNS0_4arch9wavefront6targetE1EEEvS12_,"axG",@progbits,_ZN7rocprim17ROCPRIM_400000_NS6detail17trampoline_kernelINS0_13select_configILj256ELj13ELNS0_17block_load_methodE3ELS4_3ELS4_3ELNS0_20block_scan_algorithmE0ELj4294967295EEENS1_25partition_config_selectorILNS1_17partition_subalgoE4EjNS0_10empty_typeEbEEZZNS1_14partition_implILS8_4ELb0ES6_15HIP_vector_typeIjLj2EENS0_17counting_iteratorIjlEEPS9_SG_NS0_5tupleIJPjSI_NS0_16reverse_iteratorISI_EEEEENSH_IJSG_SG_SG_EEES9_SI_JZNS1_25segmented_radix_sort_implINS0_14default_configELb0EPKhPhPKlPlN2at6native12_GLOBAL__N_18offset_tEEE10hipError_tPvRmT1_PNSt15iterator_traitsIS12_E10value_typeET2_T3_PNS13_IS18_E10value_typeET4_jRbjT5_S1E_jjP12ihipStream_tbEUljE_ZNSN_ISO_Lb0ESQ_SR_ST_SU_SY_EESZ_S10_S11_S12_S16_S17_S18_S1B_S1C_jS1D_jS1E_S1E_jjS1G_bEUljE0_EEESZ_S10_S11_S18_S1C_S1E_T6_T7_T9_mT8_S1G_bDpT10_ENKUlT_T0_E_clISt17integral_constantIbLb0EES1U_EEDaS1P_S1Q_EUlS1P_E_NS1_11comp_targetILNS1_3genE4ELNS1_11target_archE910ELNS1_3gpuE8ELNS1_3repE0EEENS1_30default_config_static_selectorELNS0_4arch9wavefront6targetE1EEEvS12_,comdat
.Lfunc_end124:
	.size	_ZN7rocprim17ROCPRIM_400000_NS6detail17trampoline_kernelINS0_13select_configILj256ELj13ELNS0_17block_load_methodE3ELS4_3ELS4_3ELNS0_20block_scan_algorithmE0ELj4294967295EEENS1_25partition_config_selectorILNS1_17partition_subalgoE4EjNS0_10empty_typeEbEEZZNS1_14partition_implILS8_4ELb0ES6_15HIP_vector_typeIjLj2EENS0_17counting_iteratorIjlEEPS9_SG_NS0_5tupleIJPjSI_NS0_16reverse_iteratorISI_EEEEENSH_IJSG_SG_SG_EEES9_SI_JZNS1_25segmented_radix_sort_implINS0_14default_configELb0EPKhPhPKlPlN2at6native12_GLOBAL__N_18offset_tEEE10hipError_tPvRmT1_PNSt15iterator_traitsIS12_E10value_typeET2_T3_PNS13_IS18_E10value_typeET4_jRbjT5_S1E_jjP12ihipStream_tbEUljE_ZNSN_ISO_Lb0ESQ_SR_ST_SU_SY_EESZ_S10_S11_S12_S16_S17_S18_S1B_S1C_jS1D_jS1E_S1E_jjS1G_bEUljE0_EEESZ_S10_S11_S18_S1C_S1E_T6_T7_T9_mT8_S1G_bDpT10_ENKUlT_T0_E_clISt17integral_constantIbLb0EES1U_EEDaS1P_S1Q_EUlS1P_E_NS1_11comp_targetILNS1_3genE4ELNS1_11target_archE910ELNS1_3gpuE8ELNS1_3repE0EEENS1_30default_config_static_selectorELNS0_4arch9wavefront6targetE1EEEvS12_, .Lfunc_end124-_ZN7rocprim17ROCPRIM_400000_NS6detail17trampoline_kernelINS0_13select_configILj256ELj13ELNS0_17block_load_methodE3ELS4_3ELS4_3ELNS0_20block_scan_algorithmE0ELj4294967295EEENS1_25partition_config_selectorILNS1_17partition_subalgoE4EjNS0_10empty_typeEbEEZZNS1_14partition_implILS8_4ELb0ES6_15HIP_vector_typeIjLj2EENS0_17counting_iteratorIjlEEPS9_SG_NS0_5tupleIJPjSI_NS0_16reverse_iteratorISI_EEEEENSH_IJSG_SG_SG_EEES9_SI_JZNS1_25segmented_radix_sort_implINS0_14default_configELb0EPKhPhPKlPlN2at6native12_GLOBAL__N_18offset_tEEE10hipError_tPvRmT1_PNSt15iterator_traitsIS12_E10value_typeET2_T3_PNS13_IS18_E10value_typeET4_jRbjT5_S1E_jjP12ihipStream_tbEUljE_ZNSN_ISO_Lb0ESQ_SR_ST_SU_SY_EESZ_S10_S11_S12_S16_S17_S18_S1B_S1C_jS1D_jS1E_S1E_jjS1G_bEUljE0_EEESZ_S10_S11_S18_S1C_S1E_T6_T7_T9_mT8_S1G_bDpT10_ENKUlT_T0_E_clISt17integral_constantIbLb0EES1U_EEDaS1P_S1Q_EUlS1P_E_NS1_11comp_targetILNS1_3genE4ELNS1_11target_archE910ELNS1_3gpuE8ELNS1_3repE0EEENS1_30default_config_static_selectorELNS0_4arch9wavefront6targetE1EEEvS12_
                                        ; -- End function
	.section	.AMDGPU.csdata,"",@progbits
; Kernel info:
; codeLenInByte = 13332
; NumSgprs: 94
; NumVgprs: 102
; NumAgprs: 0
; TotalNumVgprs: 102
; ScratchSize: 0
; MemoryBound: 0
; FloatMode: 240
; IeeeMode: 1
; LDSByteSize: 13340 bytes/workgroup (compile time only)
; SGPRBlocks: 11
; VGPRBlocks: 12
; NumSGPRsForWavesPerEU: 94
; NumVGPRsForWavesPerEU: 102
; AccumOffset: 104
; Occupancy: 4
; WaveLimiterHint : 1
; COMPUTE_PGM_RSRC2:SCRATCH_EN: 0
; COMPUTE_PGM_RSRC2:USER_SGPR: 6
; COMPUTE_PGM_RSRC2:TRAP_HANDLER: 0
; COMPUTE_PGM_RSRC2:TGID_X_EN: 1
; COMPUTE_PGM_RSRC2:TGID_Y_EN: 0
; COMPUTE_PGM_RSRC2:TGID_Z_EN: 0
; COMPUTE_PGM_RSRC2:TIDIG_COMP_CNT: 0
; COMPUTE_PGM_RSRC3_GFX90A:ACCUM_OFFSET: 25
; COMPUTE_PGM_RSRC3_GFX90A:TG_SPLIT: 0
	.section	.text._ZN7rocprim17ROCPRIM_400000_NS6detail17trampoline_kernelINS0_13select_configILj256ELj13ELNS0_17block_load_methodE3ELS4_3ELS4_3ELNS0_20block_scan_algorithmE0ELj4294967295EEENS1_25partition_config_selectorILNS1_17partition_subalgoE4EjNS0_10empty_typeEbEEZZNS1_14partition_implILS8_4ELb0ES6_15HIP_vector_typeIjLj2EENS0_17counting_iteratorIjlEEPS9_SG_NS0_5tupleIJPjSI_NS0_16reverse_iteratorISI_EEEEENSH_IJSG_SG_SG_EEES9_SI_JZNS1_25segmented_radix_sort_implINS0_14default_configELb0EPKhPhPKlPlN2at6native12_GLOBAL__N_18offset_tEEE10hipError_tPvRmT1_PNSt15iterator_traitsIS12_E10value_typeET2_T3_PNS13_IS18_E10value_typeET4_jRbjT5_S1E_jjP12ihipStream_tbEUljE_ZNSN_ISO_Lb0ESQ_SR_ST_SU_SY_EESZ_S10_S11_S12_S16_S17_S18_S1B_S1C_jS1D_jS1E_S1E_jjS1G_bEUljE0_EEESZ_S10_S11_S18_S1C_S1E_T6_T7_T9_mT8_S1G_bDpT10_ENKUlT_T0_E_clISt17integral_constantIbLb0EES1U_EEDaS1P_S1Q_EUlS1P_E_NS1_11comp_targetILNS1_3genE3ELNS1_11target_archE908ELNS1_3gpuE7ELNS1_3repE0EEENS1_30default_config_static_selectorELNS0_4arch9wavefront6targetE1EEEvS12_,"axG",@progbits,_ZN7rocprim17ROCPRIM_400000_NS6detail17trampoline_kernelINS0_13select_configILj256ELj13ELNS0_17block_load_methodE3ELS4_3ELS4_3ELNS0_20block_scan_algorithmE0ELj4294967295EEENS1_25partition_config_selectorILNS1_17partition_subalgoE4EjNS0_10empty_typeEbEEZZNS1_14partition_implILS8_4ELb0ES6_15HIP_vector_typeIjLj2EENS0_17counting_iteratorIjlEEPS9_SG_NS0_5tupleIJPjSI_NS0_16reverse_iteratorISI_EEEEENSH_IJSG_SG_SG_EEES9_SI_JZNS1_25segmented_radix_sort_implINS0_14default_configELb0EPKhPhPKlPlN2at6native12_GLOBAL__N_18offset_tEEE10hipError_tPvRmT1_PNSt15iterator_traitsIS12_E10value_typeET2_T3_PNS13_IS18_E10value_typeET4_jRbjT5_S1E_jjP12ihipStream_tbEUljE_ZNSN_ISO_Lb0ESQ_SR_ST_SU_SY_EESZ_S10_S11_S12_S16_S17_S18_S1B_S1C_jS1D_jS1E_S1E_jjS1G_bEUljE0_EEESZ_S10_S11_S18_S1C_S1E_T6_T7_T9_mT8_S1G_bDpT10_ENKUlT_T0_E_clISt17integral_constantIbLb0EES1U_EEDaS1P_S1Q_EUlS1P_E_NS1_11comp_targetILNS1_3genE3ELNS1_11target_archE908ELNS1_3gpuE7ELNS1_3repE0EEENS1_30default_config_static_selectorELNS0_4arch9wavefront6targetE1EEEvS12_,comdat
	.globl	_ZN7rocprim17ROCPRIM_400000_NS6detail17trampoline_kernelINS0_13select_configILj256ELj13ELNS0_17block_load_methodE3ELS4_3ELS4_3ELNS0_20block_scan_algorithmE0ELj4294967295EEENS1_25partition_config_selectorILNS1_17partition_subalgoE4EjNS0_10empty_typeEbEEZZNS1_14partition_implILS8_4ELb0ES6_15HIP_vector_typeIjLj2EENS0_17counting_iteratorIjlEEPS9_SG_NS0_5tupleIJPjSI_NS0_16reverse_iteratorISI_EEEEENSH_IJSG_SG_SG_EEES9_SI_JZNS1_25segmented_radix_sort_implINS0_14default_configELb0EPKhPhPKlPlN2at6native12_GLOBAL__N_18offset_tEEE10hipError_tPvRmT1_PNSt15iterator_traitsIS12_E10value_typeET2_T3_PNS13_IS18_E10value_typeET4_jRbjT5_S1E_jjP12ihipStream_tbEUljE_ZNSN_ISO_Lb0ESQ_SR_ST_SU_SY_EESZ_S10_S11_S12_S16_S17_S18_S1B_S1C_jS1D_jS1E_S1E_jjS1G_bEUljE0_EEESZ_S10_S11_S18_S1C_S1E_T6_T7_T9_mT8_S1G_bDpT10_ENKUlT_T0_E_clISt17integral_constantIbLb0EES1U_EEDaS1P_S1Q_EUlS1P_E_NS1_11comp_targetILNS1_3genE3ELNS1_11target_archE908ELNS1_3gpuE7ELNS1_3repE0EEENS1_30default_config_static_selectorELNS0_4arch9wavefront6targetE1EEEvS12_ ; -- Begin function _ZN7rocprim17ROCPRIM_400000_NS6detail17trampoline_kernelINS0_13select_configILj256ELj13ELNS0_17block_load_methodE3ELS4_3ELS4_3ELNS0_20block_scan_algorithmE0ELj4294967295EEENS1_25partition_config_selectorILNS1_17partition_subalgoE4EjNS0_10empty_typeEbEEZZNS1_14partition_implILS8_4ELb0ES6_15HIP_vector_typeIjLj2EENS0_17counting_iteratorIjlEEPS9_SG_NS0_5tupleIJPjSI_NS0_16reverse_iteratorISI_EEEEENSH_IJSG_SG_SG_EEES9_SI_JZNS1_25segmented_radix_sort_implINS0_14default_configELb0EPKhPhPKlPlN2at6native12_GLOBAL__N_18offset_tEEE10hipError_tPvRmT1_PNSt15iterator_traitsIS12_E10value_typeET2_T3_PNS13_IS18_E10value_typeET4_jRbjT5_S1E_jjP12ihipStream_tbEUljE_ZNSN_ISO_Lb0ESQ_SR_ST_SU_SY_EESZ_S10_S11_S12_S16_S17_S18_S1B_S1C_jS1D_jS1E_S1E_jjS1G_bEUljE0_EEESZ_S10_S11_S18_S1C_S1E_T6_T7_T9_mT8_S1G_bDpT10_ENKUlT_T0_E_clISt17integral_constantIbLb0EES1U_EEDaS1P_S1Q_EUlS1P_E_NS1_11comp_targetILNS1_3genE3ELNS1_11target_archE908ELNS1_3gpuE7ELNS1_3repE0EEENS1_30default_config_static_selectorELNS0_4arch9wavefront6targetE1EEEvS12_
	.p2align	8
	.type	_ZN7rocprim17ROCPRIM_400000_NS6detail17trampoline_kernelINS0_13select_configILj256ELj13ELNS0_17block_load_methodE3ELS4_3ELS4_3ELNS0_20block_scan_algorithmE0ELj4294967295EEENS1_25partition_config_selectorILNS1_17partition_subalgoE4EjNS0_10empty_typeEbEEZZNS1_14partition_implILS8_4ELb0ES6_15HIP_vector_typeIjLj2EENS0_17counting_iteratorIjlEEPS9_SG_NS0_5tupleIJPjSI_NS0_16reverse_iteratorISI_EEEEENSH_IJSG_SG_SG_EEES9_SI_JZNS1_25segmented_radix_sort_implINS0_14default_configELb0EPKhPhPKlPlN2at6native12_GLOBAL__N_18offset_tEEE10hipError_tPvRmT1_PNSt15iterator_traitsIS12_E10value_typeET2_T3_PNS13_IS18_E10value_typeET4_jRbjT5_S1E_jjP12ihipStream_tbEUljE_ZNSN_ISO_Lb0ESQ_SR_ST_SU_SY_EESZ_S10_S11_S12_S16_S17_S18_S1B_S1C_jS1D_jS1E_S1E_jjS1G_bEUljE0_EEESZ_S10_S11_S18_S1C_S1E_T6_T7_T9_mT8_S1G_bDpT10_ENKUlT_T0_E_clISt17integral_constantIbLb0EES1U_EEDaS1P_S1Q_EUlS1P_E_NS1_11comp_targetILNS1_3genE3ELNS1_11target_archE908ELNS1_3gpuE7ELNS1_3repE0EEENS1_30default_config_static_selectorELNS0_4arch9wavefront6targetE1EEEvS12_,@function
_ZN7rocprim17ROCPRIM_400000_NS6detail17trampoline_kernelINS0_13select_configILj256ELj13ELNS0_17block_load_methodE3ELS4_3ELS4_3ELNS0_20block_scan_algorithmE0ELj4294967295EEENS1_25partition_config_selectorILNS1_17partition_subalgoE4EjNS0_10empty_typeEbEEZZNS1_14partition_implILS8_4ELb0ES6_15HIP_vector_typeIjLj2EENS0_17counting_iteratorIjlEEPS9_SG_NS0_5tupleIJPjSI_NS0_16reverse_iteratorISI_EEEEENSH_IJSG_SG_SG_EEES9_SI_JZNS1_25segmented_radix_sort_implINS0_14default_configELb0EPKhPhPKlPlN2at6native12_GLOBAL__N_18offset_tEEE10hipError_tPvRmT1_PNSt15iterator_traitsIS12_E10value_typeET2_T3_PNS13_IS18_E10value_typeET4_jRbjT5_S1E_jjP12ihipStream_tbEUljE_ZNSN_ISO_Lb0ESQ_SR_ST_SU_SY_EESZ_S10_S11_S12_S16_S17_S18_S1B_S1C_jS1D_jS1E_S1E_jjS1G_bEUljE0_EEESZ_S10_S11_S18_S1C_S1E_T6_T7_T9_mT8_S1G_bDpT10_ENKUlT_T0_E_clISt17integral_constantIbLb0EES1U_EEDaS1P_S1Q_EUlS1P_E_NS1_11comp_targetILNS1_3genE3ELNS1_11target_archE908ELNS1_3gpuE7ELNS1_3repE0EEENS1_30default_config_static_selectorELNS0_4arch9wavefront6targetE1EEEvS12_: ; @_ZN7rocprim17ROCPRIM_400000_NS6detail17trampoline_kernelINS0_13select_configILj256ELj13ELNS0_17block_load_methodE3ELS4_3ELS4_3ELNS0_20block_scan_algorithmE0ELj4294967295EEENS1_25partition_config_selectorILNS1_17partition_subalgoE4EjNS0_10empty_typeEbEEZZNS1_14partition_implILS8_4ELb0ES6_15HIP_vector_typeIjLj2EENS0_17counting_iteratorIjlEEPS9_SG_NS0_5tupleIJPjSI_NS0_16reverse_iteratorISI_EEEEENSH_IJSG_SG_SG_EEES9_SI_JZNS1_25segmented_radix_sort_implINS0_14default_configELb0EPKhPhPKlPlN2at6native12_GLOBAL__N_18offset_tEEE10hipError_tPvRmT1_PNSt15iterator_traitsIS12_E10value_typeET2_T3_PNS13_IS18_E10value_typeET4_jRbjT5_S1E_jjP12ihipStream_tbEUljE_ZNSN_ISO_Lb0ESQ_SR_ST_SU_SY_EESZ_S10_S11_S12_S16_S17_S18_S1B_S1C_jS1D_jS1E_S1E_jjS1G_bEUljE0_EEESZ_S10_S11_S18_S1C_S1E_T6_T7_T9_mT8_S1G_bDpT10_ENKUlT_T0_E_clISt17integral_constantIbLb0EES1U_EEDaS1P_S1Q_EUlS1P_E_NS1_11comp_targetILNS1_3genE3ELNS1_11target_archE908ELNS1_3gpuE7ELNS1_3repE0EEENS1_30default_config_static_selectorELNS0_4arch9wavefront6targetE1EEEvS12_
; %bb.0:
	.section	.rodata,"a",@progbits
	.p2align	6, 0x0
	.amdhsa_kernel _ZN7rocprim17ROCPRIM_400000_NS6detail17trampoline_kernelINS0_13select_configILj256ELj13ELNS0_17block_load_methodE3ELS4_3ELS4_3ELNS0_20block_scan_algorithmE0ELj4294967295EEENS1_25partition_config_selectorILNS1_17partition_subalgoE4EjNS0_10empty_typeEbEEZZNS1_14partition_implILS8_4ELb0ES6_15HIP_vector_typeIjLj2EENS0_17counting_iteratorIjlEEPS9_SG_NS0_5tupleIJPjSI_NS0_16reverse_iteratorISI_EEEEENSH_IJSG_SG_SG_EEES9_SI_JZNS1_25segmented_radix_sort_implINS0_14default_configELb0EPKhPhPKlPlN2at6native12_GLOBAL__N_18offset_tEEE10hipError_tPvRmT1_PNSt15iterator_traitsIS12_E10value_typeET2_T3_PNS13_IS18_E10value_typeET4_jRbjT5_S1E_jjP12ihipStream_tbEUljE_ZNSN_ISO_Lb0ESQ_SR_ST_SU_SY_EESZ_S10_S11_S12_S16_S17_S18_S1B_S1C_jS1D_jS1E_S1E_jjS1G_bEUljE0_EEESZ_S10_S11_S18_S1C_S1E_T6_T7_T9_mT8_S1G_bDpT10_ENKUlT_T0_E_clISt17integral_constantIbLb0EES1U_EEDaS1P_S1Q_EUlS1P_E_NS1_11comp_targetILNS1_3genE3ELNS1_11target_archE908ELNS1_3gpuE7ELNS1_3repE0EEENS1_30default_config_static_selectorELNS0_4arch9wavefront6targetE1EEEvS12_
		.amdhsa_group_segment_fixed_size 0
		.amdhsa_private_segment_fixed_size 0
		.amdhsa_kernarg_size 176
		.amdhsa_user_sgpr_count 6
		.amdhsa_user_sgpr_private_segment_buffer 1
		.amdhsa_user_sgpr_dispatch_ptr 0
		.amdhsa_user_sgpr_queue_ptr 0
		.amdhsa_user_sgpr_kernarg_segment_ptr 1
		.amdhsa_user_sgpr_dispatch_id 0
		.amdhsa_user_sgpr_flat_scratch_init 0
		.amdhsa_user_sgpr_kernarg_preload_length 0
		.amdhsa_user_sgpr_kernarg_preload_offset 0
		.amdhsa_user_sgpr_private_segment_size 0
		.amdhsa_uses_dynamic_stack 0
		.amdhsa_system_sgpr_private_segment_wavefront_offset 0
		.amdhsa_system_sgpr_workgroup_id_x 1
		.amdhsa_system_sgpr_workgroup_id_y 0
		.amdhsa_system_sgpr_workgroup_id_z 0
		.amdhsa_system_sgpr_workgroup_info 0
		.amdhsa_system_vgpr_workitem_id 0
		.amdhsa_next_free_vgpr 1
		.amdhsa_next_free_sgpr 0
		.amdhsa_accum_offset 4
		.amdhsa_reserve_vcc 0
		.amdhsa_reserve_flat_scratch 0
		.amdhsa_float_round_mode_32 0
		.amdhsa_float_round_mode_16_64 0
		.amdhsa_float_denorm_mode_32 3
		.amdhsa_float_denorm_mode_16_64 3
		.amdhsa_dx10_clamp 1
		.amdhsa_ieee_mode 1
		.amdhsa_fp16_overflow 0
		.amdhsa_tg_split 0
		.amdhsa_exception_fp_ieee_invalid_op 0
		.amdhsa_exception_fp_denorm_src 0
		.amdhsa_exception_fp_ieee_div_zero 0
		.amdhsa_exception_fp_ieee_overflow 0
		.amdhsa_exception_fp_ieee_underflow 0
		.amdhsa_exception_fp_ieee_inexact 0
		.amdhsa_exception_int_div_zero 0
	.end_amdhsa_kernel
	.section	.text._ZN7rocprim17ROCPRIM_400000_NS6detail17trampoline_kernelINS0_13select_configILj256ELj13ELNS0_17block_load_methodE3ELS4_3ELS4_3ELNS0_20block_scan_algorithmE0ELj4294967295EEENS1_25partition_config_selectorILNS1_17partition_subalgoE4EjNS0_10empty_typeEbEEZZNS1_14partition_implILS8_4ELb0ES6_15HIP_vector_typeIjLj2EENS0_17counting_iteratorIjlEEPS9_SG_NS0_5tupleIJPjSI_NS0_16reverse_iteratorISI_EEEEENSH_IJSG_SG_SG_EEES9_SI_JZNS1_25segmented_radix_sort_implINS0_14default_configELb0EPKhPhPKlPlN2at6native12_GLOBAL__N_18offset_tEEE10hipError_tPvRmT1_PNSt15iterator_traitsIS12_E10value_typeET2_T3_PNS13_IS18_E10value_typeET4_jRbjT5_S1E_jjP12ihipStream_tbEUljE_ZNSN_ISO_Lb0ESQ_SR_ST_SU_SY_EESZ_S10_S11_S12_S16_S17_S18_S1B_S1C_jS1D_jS1E_S1E_jjS1G_bEUljE0_EEESZ_S10_S11_S18_S1C_S1E_T6_T7_T9_mT8_S1G_bDpT10_ENKUlT_T0_E_clISt17integral_constantIbLb0EES1U_EEDaS1P_S1Q_EUlS1P_E_NS1_11comp_targetILNS1_3genE3ELNS1_11target_archE908ELNS1_3gpuE7ELNS1_3repE0EEENS1_30default_config_static_selectorELNS0_4arch9wavefront6targetE1EEEvS12_,"axG",@progbits,_ZN7rocprim17ROCPRIM_400000_NS6detail17trampoline_kernelINS0_13select_configILj256ELj13ELNS0_17block_load_methodE3ELS4_3ELS4_3ELNS0_20block_scan_algorithmE0ELj4294967295EEENS1_25partition_config_selectorILNS1_17partition_subalgoE4EjNS0_10empty_typeEbEEZZNS1_14partition_implILS8_4ELb0ES6_15HIP_vector_typeIjLj2EENS0_17counting_iteratorIjlEEPS9_SG_NS0_5tupleIJPjSI_NS0_16reverse_iteratorISI_EEEEENSH_IJSG_SG_SG_EEES9_SI_JZNS1_25segmented_radix_sort_implINS0_14default_configELb0EPKhPhPKlPlN2at6native12_GLOBAL__N_18offset_tEEE10hipError_tPvRmT1_PNSt15iterator_traitsIS12_E10value_typeET2_T3_PNS13_IS18_E10value_typeET4_jRbjT5_S1E_jjP12ihipStream_tbEUljE_ZNSN_ISO_Lb0ESQ_SR_ST_SU_SY_EESZ_S10_S11_S12_S16_S17_S18_S1B_S1C_jS1D_jS1E_S1E_jjS1G_bEUljE0_EEESZ_S10_S11_S18_S1C_S1E_T6_T7_T9_mT8_S1G_bDpT10_ENKUlT_T0_E_clISt17integral_constantIbLb0EES1U_EEDaS1P_S1Q_EUlS1P_E_NS1_11comp_targetILNS1_3genE3ELNS1_11target_archE908ELNS1_3gpuE7ELNS1_3repE0EEENS1_30default_config_static_selectorELNS0_4arch9wavefront6targetE1EEEvS12_,comdat
.Lfunc_end125:
	.size	_ZN7rocprim17ROCPRIM_400000_NS6detail17trampoline_kernelINS0_13select_configILj256ELj13ELNS0_17block_load_methodE3ELS4_3ELS4_3ELNS0_20block_scan_algorithmE0ELj4294967295EEENS1_25partition_config_selectorILNS1_17partition_subalgoE4EjNS0_10empty_typeEbEEZZNS1_14partition_implILS8_4ELb0ES6_15HIP_vector_typeIjLj2EENS0_17counting_iteratorIjlEEPS9_SG_NS0_5tupleIJPjSI_NS0_16reverse_iteratorISI_EEEEENSH_IJSG_SG_SG_EEES9_SI_JZNS1_25segmented_radix_sort_implINS0_14default_configELb0EPKhPhPKlPlN2at6native12_GLOBAL__N_18offset_tEEE10hipError_tPvRmT1_PNSt15iterator_traitsIS12_E10value_typeET2_T3_PNS13_IS18_E10value_typeET4_jRbjT5_S1E_jjP12ihipStream_tbEUljE_ZNSN_ISO_Lb0ESQ_SR_ST_SU_SY_EESZ_S10_S11_S12_S16_S17_S18_S1B_S1C_jS1D_jS1E_S1E_jjS1G_bEUljE0_EEESZ_S10_S11_S18_S1C_S1E_T6_T7_T9_mT8_S1G_bDpT10_ENKUlT_T0_E_clISt17integral_constantIbLb0EES1U_EEDaS1P_S1Q_EUlS1P_E_NS1_11comp_targetILNS1_3genE3ELNS1_11target_archE908ELNS1_3gpuE7ELNS1_3repE0EEENS1_30default_config_static_selectorELNS0_4arch9wavefront6targetE1EEEvS12_, .Lfunc_end125-_ZN7rocprim17ROCPRIM_400000_NS6detail17trampoline_kernelINS0_13select_configILj256ELj13ELNS0_17block_load_methodE3ELS4_3ELS4_3ELNS0_20block_scan_algorithmE0ELj4294967295EEENS1_25partition_config_selectorILNS1_17partition_subalgoE4EjNS0_10empty_typeEbEEZZNS1_14partition_implILS8_4ELb0ES6_15HIP_vector_typeIjLj2EENS0_17counting_iteratorIjlEEPS9_SG_NS0_5tupleIJPjSI_NS0_16reverse_iteratorISI_EEEEENSH_IJSG_SG_SG_EEES9_SI_JZNS1_25segmented_radix_sort_implINS0_14default_configELb0EPKhPhPKlPlN2at6native12_GLOBAL__N_18offset_tEEE10hipError_tPvRmT1_PNSt15iterator_traitsIS12_E10value_typeET2_T3_PNS13_IS18_E10value_typeET4_jRbjT5_S1E_jjP12ihipStream_tbEUljE_ZNSN_ISO_Lb0ESQ_SR_ST_SU_SY_EESZ_S10_S11_S12_S16_S17_S18_S1B_S1C_jS1D_jS1E_S1E_jjS1G_bEUljE0_EEESZ_S10_S11_S18_S1C_S1E_T6_T7_T9_mT8_S1G_bDpT10_ENKUlT_T0_E_clISt17integral_constantIbLb0EES1U_EEDaS1P_S1Q_EUlS1P_E_NS1_11comp_targetILNS1_3genE3ELNS1_11target_archE908ELNS1_3gpuE7ELNS1_3repE0EEENS1_30default_config_static_selectorELNS0_4arch9wavefront6targetE1EEEvS12_
                                        ; -- End function
	.section	.AMDGPU.csdata,"",@progbits
; Kernel info:
; codeLenInByte = 0
; NumSgprs: 4
; NumVgprs: 0
; NumAgprs: 0
; TotalNumVgprs: 0
; ScratchSize: 0
; MemoryBound: 0
; FloatMode: 240
; IeeeMode: 1
; LDSByteSize: 0 bytes/workgroup (compile time only)
; SGPRBlocks: 0
; VGPRBlocks: 0
; NumSGPRsForWavesPerEU: 4
; NumVGPRsForWavesPerEU: 1
; AccumOffset: 4
; Occupancy: 8
; WaveLimiterHint : 0
; COMPUTE_PGM_RSRC2:SCRATCH_EN: 0
; COMPUTE_PGM_RSRC2:USER_SGPR: 6
; COMPUTE_PGM_RSRC2:TRAP_HANDLER: 0
; COMPUTE_PGM_RSRC2:TGID_X_EN: 1
; COMPUTE_PGM_RSRC2:TGID_Y_EN: 0
; COMPUTE_PGM_RSRC2:TGID_Z_EN: 0
; COMPUTE_PGM_RSRC2:TIDIG_COMP_CNT: 0
; COMPUTE_PGM_RSRC3_GFX90A:ACCUM_OFFSET: 0
; COMPUTE_PGM_RSRC3_GFX90A:TG_SPLIT: 0
	.section	.text._ZN7rocprim17ROCPRIM_400000_NS6detail17trampoline_kernelINS0_13select_configILj256ELj13ELNS0_17block_load_methodE3ELS4_3ELS4_3ELNS0_20block_scan_algorithmE0ELj4294967295EEENS1_25partition_config_selectorILNS1_17partition_subalgoE4EjNS0_10empty_typeEbEEZZNS1_14partition_implILS8_4ELb0ES6_15HIP_vector_typeIjLj2EENS0_17counting_iteratorIjlEEPS9_SG_NS0_5tupleIJPjSI_NS0_16reverse_iteratorISI_EEEEENSH_IJSG_SG_SG_EEES9_SI_JZNS1_25segmented_radix_sort_implINS0_14default_configELb0EPKhPhPKlPlN2at6native12_GLOBAL__N_18offset_tEEE10hipError_tPvRmT1_PNSt15iterator_traitsIS12_E10value_typeET2_T3_PNS13_IS18_E10value_typeET4_jRbjT5_S1E_jjP12ihipStream_tbEUljE_ZNSN_ISO_Lb0ESQ_SR_ST_SU_SY_EESZ_S10_S11_S12_S16_S17_S18_S1B_S1C_jS1D_jS1E_S1E_jjS1G_bEUljE0_EEESZ_S10_S11_S18_S1C_S1E_T6_T7_T9_mT8_S1G_bDpT10_ENKUlT_T0_E_clISt17integral_constantIbLb0EES1U_EEDaS1P_S1Q_EUlS1P_E_NS1_11comp_targetILNS1_3genE2ELNS1_11target_archE906ELNS1_3gpuE6ELNS1_3repE0EEENS1_30default_config_static_selectorELNS0_4arch9wavefront6targetE1EEEvS12_,"axG",@progbits,_ZN7rocprim17ROCPRIM_400000_NS6detail17trampoline_kernelINS0_13select_configILj256ELj13ELNS0_17block_load_methodE3ELS4_3ELS4_3ELNS0_20block_scan_algorithmE0ELj4294967295EEENS1_25partition_config_selectorILNS1_17partition_subalgoE4EjNS0_10empty_typeEbEEZZNS1_14partition_implILS8_4ELb0ES6_15HIP_vector_typeIjLj2EENS0_17counting_iteratorIjlEEPS9_SG_NS0_5tupleIJPjSI_NS0_16reverse_iteratorISI_EEEEENSH_IJSG_SG_SG_EEES9_SI_JZNS1_25segmented_radix_sort_implINS0_14default_configELb0EPKhPhPKlPlN2at6native12_GLOBAL__N_18offset_tEEE10hipError_tPvRmT1_PNSt15iterator_traitsIS12_E10value_typeET2_T3_PNS13_IS18_E10value_typeET4_jRbjT5_S1E_jjP12ihipStream_tbEUljE_ZNSN_ISO_Lb0ESQ_SR_ST_SU_SY_EESZ_S10_S11_S12_S16_S17_S18_S1B_S1C_jS1D_jS1E_S1E_jjS1G_bEUljE0_EEESZ_S10_S11_S18_S1C_S1E_T6_T7_T9_mT8_S1G_bDpT10_ENKUlT_T0_E_clISt17integral_constantIbLb0EES1U_EEDaS1P_S1Q_EUlS1P_E_NS1_11comp_targetILNS1_3genE2ELNS1_11target_archE906ELNS1_3gpuE6ELNS1_3repE0EEENS1_30default_config_static_selectorELNS0_4arch9wavefront6targetE1EEEvS12_,comdat
	.globl	_ZN7rocprim17ROCPRIM_400000_NS6detail17trampoline_kernelINS0_13select_configILj256ELj13ELNS0_17block_load_methodE3ELS4_3ELS4_3ELNS0_20block_scan_algorithmE0ELj4294967295EEENS1_25partition_config_selectorILNS1_17partition_subalgoE4EjNS0_10empty_typeEbEEZZNS1_14partition_implILS8_4ELb0ES6_15HIP_vector_typeIjLj2EENS0_17counting_iteratorIjlEEPS9_SG_NS0_5tupleIJPjSI_NS0_16reverse_iteratorISI_EEEEENSH_IJSG_SG_SG_EEES9_SI_JZNS1_25segmented_radix_sort_implINS0_14default_configELb0EPKhPhPKlPlN2at6native12_GLOBAL__N_18offset_tEEE10hipError_tPvRmT1_PNSt15iterator_traitsIS12_E10value_typeET2_T3_PNS13_IS18_E10value_typeET4_jRbjT5_S1E_jjP12ihipStream_tbEUljE_ZNSN_ISO_Lb0ESQ_SR_ST_SU_SY_EESZ_S10_S11_S12_S16_S17_S18_S1B_S1C_jS1D_jS1E_S1E_jjS1G_bEUljE0_EEESZ_S10_S11_S18_S1C_S1E_T6_T7_T9_mT8_S1G_bDpT10_ENKUlT_T0_E_clISt17integral_constantIbLb0EES1U_EEDaS1P_S1Q_EUlS1P_E_NS1_11comp_targetILNS1_3genE2ELNS1_11target_archE906ELNS1_3gpuE6ELNS1_3repE0EEENS1_30default_config_static_selectorELNS0_4arch9wavefront6targetE1EEEvS12_ ; -- Begin function _ZN7rocprim17ROCPRIM_400000_NS6detail17trampoline_kernelINS0_13select_configILj256ELj13ELNS0_17block_load_methodE3ELS4_3ELS4_3ELNS0_20block_scan_algorithmE0ELj4294967295EEENS1_25partition_config_selectorILNS1_17partition_subalgoE4EjNS0_10empty_typeEbEEZZNS1_14partition_implILS8_4ELb0ES6_15HIP_vector_typeIjLj2EENS0_17counting_iteratorIjlEEPS9_SG_NS0_5tupleIJPjSI_NS0_16reverse_iteratorISI_EEEEENSH_IJSG_SG_SG_EEES9_SI_JZNS1_25segmented_radix_sort_implINS0_14default_configELb0EPKhPhPKlPlN2at6native12_GLOBAL__N_18offset_tEEE10hipError_tPvRmT1_PNSt15iterator_traitsIS12_E10value_typeET2_T3_PNS13_IS18_E10value_typeET4_jRbjT5_S1E_jjP12ihipStream_tbEUljE_ZNSN_ISO_Lb0ESQ_SR_ST_SU_SY_EESZ_S10_S11_S12_S16_S17_S18_S1B_S1C_jS1D_jS1E_S1E_jjS1G_bEUljE0_EEESZ_S10_S11_S18_S1C_S1E_T6_T7_T9_mT8_S1G_bDpT10_ENKUlT_T0_E_clISt17integral_constantIbLb0EES1U_EEDaS1P_S1Q_EUlS1P_E_NS1_11comp_targetILNS1_3genE2ELNS1_11target_archE906ELNS1_3gpuE6ELNS1_3repE0EEENS1_30default_config_static_selectorELNS0_4arch9wavefront6targetE1EEEvS12_
	.p2align	8
	.type	_ZN7rocprim17ROCPRIM_400000_NS6detail17trampoline_kernelINS0_13select_configILj256ELj13ELNS0_17block_load_methodE3ELS4_3ELS4_3ELNS0_20block_scan_algorithmE0ELj4294967295EEENS1_25partition_config_selectorILNS1_17partition_subalgoE4EjNS0_10empty_typeEbEEZZNS1_14partition_implILS8_4ELb0ES6_15HIP_vector_typeIjLj2EENS0_17counting_iteratorIjlEEPS9_SG_NS0_5tupleIJPjSI_NS0_16reverse_iteratorISI_EEEEENSH_IJSG_SG_SG_EEES9_SI_JZNS1_25segmented_radix_sort_implINS0_14default_configELb0EPKhPhPKlPlN2at6native12_GLOBAL__N_18offset_tEEE10hipError_tPvRmT1_PNSt15iterator_traitsIS12_E10value_typeET2_T3_PNS13_IS18_E10value_typeET4_jRbjT5_S1E_jjP12ihipStream_tbEUljE_ZNSN_ISO_Lb0ESQ_SR_ST_SU_SY_EESZ_S10_S11_S12_S16_S17_S18_S1B_S1C_jS1D_jS1E_S1E_jjS1G_bEUljE0_EEESZ_S10_S11_S18_S1C_S1E_T6_T7_T9_mT8_S1G_bDpT10_ENKUlT_T0_E_clISt17integral_constantIbLb0EES1U_EEDaS1P_S1Q_EUlS1P_E_NS1_11comp_targetILNS1_3genE2ELNS1_11target_archE906ELNS1_3gpuE6ELNS1_3repE0EEENS1_30default_config_static_selectorELNS0_4arch9wavefront6targetE1EEEvS12_,@function
_ZN7rocprim17ROCPRIM_400000_NS6detail17trampoline_kernelINS0_13select_configILj256ELj13ELNS0_17block_load_methodE3ELS4_3ELS4_3ELNS0_20block_scan_algorithmE0ELj4294967295EEENS1_25partition_config_selectorILNS1_17partition_subalgoE4EjNS0_10empty_typeEbEEZZNS1_14partition_implILS8_4ELb0ES6_15HIP_vector_typeIjLj2EENS0_17counting_iteratorIjlEEPS9_SG_NS0_5tupleIJPjSI_NS0_16reverse_iteratorISI_EEEEENSH_IJSG_SG_SG_EEES9_SI_JZNS1_25segmented_radix_sort_implINS0_14default_configELb0EPKhPhPKlPlN2at6native12_GLOBAL__N_18offset_tEEE10hipError_tPvRmT1_PNSt15iterator_traitsIS12_E10value_typeET2_T3_PNS13_IS18_E10value_typeET4_jRbjT5_S1E_jjP12ihipStream_tbEUljE_ZNSN_ISO_Lb0ESQ_SR_ST_SU_SY_EESZ_S10_S11_S12_S16_S17_S18_S1B_S1C_jS1D_jS1E_S1E_jjS1G_bEUljE0_EEESZ_S10_S11_S18_S1C_S1E_T6_T7_T9_mT8_S1G_bDpT10_ENKUlT_T0_E_clISt17integral_constantIbLb0EES1U_EEDaS1P_S1Q_EUlS1P_E_NS1_11comp_targetILNS1_3genE2ELNS1_11target_archE906ELNS1_3gpuE6ELNS1_3repE0EEENS1_30default_config_static_selectorELNS0_4arch9wavefront6targetE1EEEvS12_: ; @_ZN7rocprim17ROCPRIM_400000_NS6detail17trampoline_kernelINS0_13select_configILj256ELj13ELNS0_17block_load_methodE3ELS4_3ELS4_3ELNS0_20block_scan_algorithmE0ELj4294967295EEENS1_25partition_config_selectorILNS1_17partition_subalgoE4EjNS0_10empty_typeEbEEZZNS1_14partition_implILS8_4ELb0ES6_15HIP_vector_typeIjLj2EENS0_17counting_iteratorIjlEEPS9_SG_NS0_5tupleIJPjSI_NS0_16reverse_iteratorISI_EEEEENSH_IJSG_SG_SG_EEES9_SI_JZNS1_25segmented_radix_sort_implINS0_14default_configELb0EPKhPhPKlPlN2at6native12_GLOBAL__N_18offset_tEEE10hipError_tPvRmT1_PNSt15iterator_traitsIS12_E10value_typeET2_T3_PNS13_IS18_E10value_typeET4_jRbjT5_S1E_jjP12ihipStream_tbEUljE_ZNSN_ISO_Lb0ESQ_SR_ST_SU_SY_EESZ_S10_S11_S12_S16_S17_S18_S1B_S1C_jS1D_jS1E_S1E_jjS1G_bEUljE0_EEESZ_S10_S11_S18_S1C_S1E_T6_T7_T9_mT8_S1G_bDpT10_ENKUlT_T0_E_clISt17integral_constantIbLb0EES1U_EEDaS1P_S1Q_EUlS1P_E_NS1_11comp_targetILNS1_3genE2ELNS1_11target_archE906ELNS1_3gpuE6ELNS1_3repE0EEENS1_30default_config_static_selectorELNS0_4arch9wavefront6targetE1EEEvS12_
; %bb.0:
	.section	.rodata,"a",@progbits
	.p2align	6, 0x0
	.amdhsa_kernel _ZN7rocprim17ROCPRIM_400000_NS6detail17trampoline_kernelINS0_13select_configILj256ELj13ELNS0_17block_load_methodE3ELS4_3ELS4_3ELNS0_20block_scan_algorithmE0ELj4294967295EEENS1_25partition_config_selectorILNS1_17partition_subalgoE4EjNS0_10empty_typeEbEEZZNS1_14partition_implILS8_4ELb0ES6_15HIP_vector_typeIjLj2EENS0_17counting_iteratorIjlEEPS9_SG_NS0_5tupleIJPjSI_NS0_16reverse_iteratorISI_EEEEENSH_IJSG_SG_SG_EEES9_SI_JZNS1_25segmented_radix_sort_implINS0_14default_configELb0EPKhPhPKlPlN2at6native12_GLOBAL__N_18offset_tEEE10hipError_tPvRmT1_PNSt15iterator_traitsIS12_E10value_typeET2_T3_PNS13_IS18_E10value_typeET4_jRbjT5_S1E_jjP12ihipStream_tbEUljE_ZNSN_ISO_Lb0ESQ_SR_ST_SU_SY_EESZ_S10_S11_S12_S16_S17_S18_S1B_S1C_jS1D_jS1E_S1E_jjS1G_bEUljE0_EEESZ_S10_S11_S18_S1C_S1E_T6_T7_T9_mT8_S1G_bDpT10_ENKUlT_T0_E_clISt17integral_constantIbLb0EES1U_EEDaS1P_S1Q_EUlS1P_E_NS1_11comp_targetILNS1_3genE2ELNS1_11target_archE906ELNS1_3gpuE6ELNS1_3repE0EEENS1_30default_config_static_selectorELNS0_4arch9wavefront6targetE1EEEvS12_
		.amdhsa_group_segment_fixed_size 0
		.amdhsa_private_segment_fixed_size 0
		.amdhsa_kernarg_size 176
		.amdhsa_user_sgpr_count 6
		.amdhsa_user_sgpr_private_segment_buffer 1
		.amdhsa_user_sgpr_dispatch_ptr 0
		.amdhsa_user_sgpr_queue_ptr 0
		.amdhsa_user_sgpr_kernarg_segment_ptr 1
		.amdhsa_user_sgpr_dispatch_id 0
		.amdhsa_user_sgpr_flat_scratch_init 0
		.amdhsa_user_sgpr_kernarg_preload_length 0
		.amdhsa_user_sgpr_kernarg_preload_offset 0
		.amdhsa_user_sgpr_private_segment_size 0
		.amdhsa_uses_dynamic_stack 0
		.amdhsa_system_sgpr_private_segment_wavefront_offset 0
		.amdhsa_system_sgpr_workgroup_id_x 1
		.amdhsa_system_sgpr_workgroup_id_y 0
		.amdhsa_system_sgpr_workgroup_id_z 0
		.amdhsa_system_sgpr_workgroup_info 0
		.amdhsa_system_vgpr_workitem_id 0
		.amdhsa_next_free_vgpr 1
		.amdhsa_next_free_sgpr 0
		.amdhsa_accum_offset 4
		.amdhsa_reserve_vcc 0
		.amdhsa_reserve_flat_scratch 0
		.amdhsa_float_round_mode_32 0
		.amdhsa_float_round_mode_16_64 0
		.amdhsa_float_denorm_mode_32 3
		.amdhsa_float_denorm_mode_16_64 3
		.amdhsa_dx10_clamp 1
		.amdhsa_ieee_mode 1
		.amdhsa_fp16_overflow 0
		.amdhsa_tg_split 0
		.amdhsa_exception_fp_ieee_invalid_op 0
		.amdhsa_exception_fp_denorm_src 0
		.amdhsa_exception_fp_ieee_div_zero 0
		.amdhsa_exception_fp_ieee_overflow 0
		.amdhsa_exception_fp_ieee_underflow 0
		.amdhsa_exception_fp_ieee_inexact 0
		.amdhsa_exception_int_div_zero 0
	.end_amdhsa_kernel
	.section	.text._ZN7rocprim17ROCPRIM_400000_NS6detail17trampoline_kernelINS0_13select_configILj256ELj13ELNS0_17block_load_methodE3ELS4_3ELS4_3ELNS0_20block_scan_algorithmE0ELj4294967295EEENS1_25partition_config_selectorILNS1_17partition_subalgoE4EjNS0_10empty_typeEbEEZZNS1_14partition_implILS8_4ELb0ES6_15HIP_vector_typeIjLj2EENS0_17counting_iteratorIjlEEPS9_SG_NS0_5tupleIJPjSI_NS0_16reverse_iteratorISI_EEEEENSH_IJSG_SG_SG_EEES9_SI_JZNS1_25segmented_radix_sort_implINS0_14default_configELb0EPKhPhPKlPlN2at6native12_GLOBAL__N_18offset_tEEE10hipError_tPvRmT1_PNSt15iterator_traitsIS12_E10value_typeET2_T3_PNS13_IS18_E10value_typeET4_jRbjT5_S1E_jjP12ihipStream_tbEUljE_ZNSN_ISO_Lb0ESQ_SR_ST_SU_SY_EESZ_S10_S11_S12_S16_S17_S18_S1B_S1C_jS1D_jS1E_S1E_jjS1G_bEUljE0_EEESZ_S10_S11_S18_S1C_S1E_T6_T7_T9_mT8_S1G_bDpT10_ENKUlT_T0_E_clISt17integral_constantIbLb0EES1U_EEDaS1P_S1Q_EUlS1P_E_NS1_11comp_targetILNS1_3genE2ELNS1_11target_archE906ELNS1_3gpuE6ELNS1_3repE0EEENS1_30default_config_static_selectorELNS0_4arch9wavefront6targetE1EEEvS12_,"axG",@progbits,_ZN7rocprim17ROCPRIM_400000_NS6detail17trampoline_kernelINS0_13select_configILj256ELj13ELNS0_17block_load_methodE3ELS4_3ELS4_3ELNS0_20block_scan_algorithmE0ELj4294967295EEENS1_25partition_config_selectorILNS1_17partition_subalgoE4EjNS0_10empty_typeEbEEZZNS1_14partition_implILS8_4ELb0ES6_15HIP_vector_typeIjLj2EENS0_17counting_iteratorIjlEEPS9_SG_NS0_5tupleIJPjSI_NS0_16reverse_iteratorISI_EEEEENSH_IJSG_SG_SG_EEES9_SI_JZNS1_25segmented_radix_sort_implINS0_14default_configELb0EPKhPhPKlPlN2at6native12_GLOBAL__N_18offset_tEEE10hipError_tPvRmT1_PNSt15iterator_traitsIS12_E10value_typeET2_T3_PNS13_IS18_E10value_typeET4_jRbjT5_S1E_jjP12ihipStream_tbEUljE_ZNSN_ISO_Lb0ESQ_SR_ST_SU_SY_EESZ_S10_S11_S12_S16_S17_S18_S1B_S1C_jS1D_jS1E_S1E_jjS1G_bEUljE0_EEESZ_S10_S11_S18_S1C_S1E_T6_T7_T9_mT8_S1G_bDpT10_ENKUlT_T0_E_clISt17integral_constantIbLb0EES1U_EEDaS1P_S1Q_EUlS1P_E_NS1_11comp_targetILNS1_3genE2ELNS1_11target_archE906ELNS1_3gpuE6ELNS1_3repE0EEENS1_30default_config_static_selectorELNS0_4arch9wavefront6targetE1EEEvS12_,comdat
.Lfunc_end126:
	.size	_ZN7rocprim17ROCPRIM_400000_NS6detail17trampoline_kernelINS0_13select_configILj256ELj13ELNS0_17block_load_methodE3ELS4_3ELS4_3ELNS0_20block_scan_algorithmE0ELj4294967295EEENS1_25partition_config_selectorILNS1_17partition_subalgoE4EjNS0_10empty_typeEbEEZZNS1_14partition_implILS8_4ELb0ES6_15HIP_vector_typeIjLj2EENS0_17counting_iteratorIjlEEPS9_SG_NS0_5tupleIJPjSI_NS0_16reverse_iteratorISI_EEEEENSH_IJSG_SG_SG_EEES9_SI_JZNS1_25segmented_radix_sort_implINS0_14default_configELb0EPKhPhPKlPlN2at6native12_GLOBAL__N_18offset_tEEE10hipError_tPvRmT1_PNSt15iterator_traitsIS12_E10value_typeET2_T3_PNS13_IS18_E10value_typeET4_jRbjT5_S1E_jjP12ihipStream_tbEUljE_ZNSN_ISO_Lb0ESQ_SR_ST_SU_SY_EESZ_S10_S11_S12_S16_S17_S18_S1B_S1C_jS1D_jS1E_S1E_jjS1G_bEUljE0_EEESZ_S10_S11_S18_S1C_S1E_T6_T7_T9_mT8_S1G_bDpT10_ENKUlT_T0_E_clISt17integral_constantIbLb0EES1U_EEDaS1P_S1Q_EUlS1P_E_NS1_11comp_targetILNS1_3genE2ELNS1_11target_archE906ELNS1_3gpuE6ELNS1_3repE0EEENS1_30default_config_static_selectorELNS0_4arch9wavefront6targetE1EEEvS12_, .Lfunc_end126-_ZN7rocprim17ROCPRIM_400000_NS6detail17trampoline_kernelINS0_13select_configILj256ELj13ELNS0_17block_load_methodE3ELS4_3ELS4_3ELNS0_20block_scan_algorithmE0ELj4294967295EEENS1_25partition_config_selectorILNS1_17partition_subalgoE4EjNS0_10empty_typeEbEEZZNS1_14partition_implILS8_4ELb0ES6_15HIP_vector_typeIjLj2EENS0_17counting_iteratorIjlEEPS9_SG_NS0_5tupleIJPjSI_NS0_16reverse_iteratorISI_EEEEENSH_IJSG_SG_SG_EEES9_SI_JZNS1_25segmented_radix_sort_implINS0_14default_configELb0EPKhPhPKlPlN2at6native12_GLOBAL__N_18offset_tEEE10hipError_tPvRmT1_PNSt15iterator_traitsIS12_E10value_typeET2_T3_PNS13_IS18_E10value_typeET4_jRbjT5_S1E_jjP12ihipStream_tbEUljE_ZNSN_ISO_Lb0ESQ_SR_ST_SU_SY_EESZ_S10_S11_S12_S16_S17_S18_S1B_S1C_jS1D_jS1E_S1E_jjS1G_bEUljE0_EEESZ_S10_S11_S18_S1C_S1E_T6_T7_T9_mT8_S1G_bDpT10_ENKUlT_T0_E_clISt17integral_constantIbLb0EES1U_EEDaS1P_S1Q_EUlS1P_E_NS1_11comp_targetILNS1_3genE2ELNS1_11target_archE906ELNS1_3gpuE6ELNS1_3repE0EEENS1_30default_config_static_selectorELNS0_4arch9wavefront6targetE1EEEvS12_
                                        ; -- End function
	.section	.AMDGPU.csdata,"",@progbits
; Kernel info:
; codeLenInByte = 0
; NumSgprs: 4
; NumVgprs: 0
; NumAgprs: 0
; TotalNumVgprs: 0
; ScratchSize: 0
; MemoryBound: 0
; FloatMode: 240
; IeeeMode: 1
; LDSByteSize: 0 bytes/workgroup (compile time only)
; SGPRBlocks: 0
; VGPRBlocks: 0
; NumSGPRsForWavesPerEU: 4
; NumVGPRsForWavesPerEU: 1
; AccumOffset: 4
; Occupancy: 8
; WaveLimiterHint : 0
; COMPUTE_PGM_RSRC2:SCRATCH_EN: 0
; COMPUTE_PGM_RSRC2:USER_SGPR: 6
; COMPUTE_PGM_RSRC2:TRAP_HANDLER: 0
; COMPUTE_PGM_RSRC2:TGID_X_EN: 1
; COMPUTE_PGM_RSRC2:TGID_Y_EN: 0
; COMPUTE_PGM_RSRC2:TGID_Z_EN: 0
; COMPUTE_PGM_RSRC2:TIDIG_COMP_CNT: 0
; COMPUTE_PGM_RSRC3_GFX90A:ACCUM_OFFSET: 0
; COMPUTE_PGM_RSRC3_GFX90A:TG_SPLIT: 0
	.section	.text._ZN7rocprim17ROCPRIM_400000_NS6detail17trampoline_kernelINS0_13select_configILj256ELj13ELNS0_17block_load_methodE3ELS4_3ELS4_3ELNS0_20block_scan_algorithmE0ELj4294967295EEENS1_25partition_config_selectorILNS1_17partition_subalgoE4EjNS0_10empty_typeEbEEZZNS1_14partition_implILS8_4ELb0ES6_15HIP_vector_typeIjLj2EENS0_17counting_iteratorIjlEEPS9_SG_NS0_5tupleIJPjSI_NS0_16reverse_iteratorISI_EEEEENSH_IJSG_SG_SG_EEES9_SI_JZNS1_25segmented_radix_sort_implINS0_14default_configELb0EPKhPhPKlPlN2at6native12_GLOBAL__N_18offset_tEEE10hipError_tPvRmT1_PNSt15iterator_traitsIS12_E10value_typeET2_T3_PNS13_IS18_E10value_typeET4_jRbjT5_S1E_jjP12ihipStream_tbEUljE_ZNSN_ISO_Lb0ESQ_SR_ST_SU_SY_EESZ_S10_S11_S12_S16_S17_S18_S1B_S1C_jS1D_jS1E_S1E_jjS1G_bEUljE0_EEESZ_S10_S11_S18_S1C_S1E_T6_T7_T9_mT8_S1G_bDpT10_ENKUlT_T0_E_clISt17integral_constantIbLb0EES1U_EEDaS1P_S1Q_EUlS1P_E_NS1_11comp_targetILNS1_3genE10ELNS1_11target_archE1200ELNS1_3gpuE4ELNS1_3repE0EEENS1_30default_config_static_selectorELNS0_4arch9wavefront6targetE1EEEvS12_,"axG",@progbits,_ZN7rocprim17ROCPRIM_400000_NS6detail17trampoline_kernelINS0_13select_configILj256ELj13ELNS0_17block_load_methodE3ELS4_3ELS4_3ELNS0_20block_scan_algorithmE0ELj4294967295EEENS1_25partition_config_selectorILNS1_17partition_subalgoE4EjNS0_10empty_typeEbEEZZNS1_14partition_implILS8_4ELb0ES6_15HIP_vector_typeIjLj2EENS0_17counting_iteratorIjlEEPS9_SG_NS0_5tupleIJPjSI_NS0_16reverse_iteratorISI_EEEEENSH_IJSG_SG_SG_EEES9_SI_JZNS1_25segmented_radix_sort_implINS0_14default_configELb0EPKhPhPKlPlN2at6native12_GLOBAL__N_18offset_tEEE10hipError_tPvRmT1_PNSt15iterator_traitsIS12_E10value_typeET2_T3_PNS13_IS18_E10value_typeET4_jRbjT5_S1E_jjP12ihipStream_tbEUljE_ZNSN_ISO_Lb0ESQ_SR_ST_SU_SY_EESZ_S10_S11_S12_S16_S17_S18_S1B_S1C_jS1D_jS1E_S1E_jjS1G_bEUljE0_EEESZ_S10_S11_S18_S1C_S1E_T6_T7_T9_mT8_S1G_bDpT10_ENKUlT_T0_E_clISt17integral_constantIbLb0EES1U_EEDaS1P_S1Q_EUlS1P_E_NS1_11comp_targetILNS1_3genE10ELNS1_11target_archE1200ELNS1_3gpuE4ELNS1_3repE0EEENS1_30default_config_static_selectorELNS0_4arch9wavefront6targetE1EEEvS12_,comdat
	.globl	_ZN7rocprim17ROCPRIM_400000_NS6detail17trampoline_kernelINS0_13select_configILj256ELj13ELNS0_17block_load_methodE3ELS4_3ELS4_3ELNS0_20block_scan_algorithmE0ELj4294967295EEENS1_25partition_config_selectorILNS1_17partition_subalgoE4EjNS0_10empty_typeEbEEZZNS1_14partition_implILS8_4ELb0ES6_15HIP_vector_typeIjLj2EENS0_17counting_iteratorIjlEEPS9_SG_NS0_5tupleIJPjSI_NS0_16reverse_iteratorISI_EEEEENSH_IJSG_SG_SG_EEES9_SI_JZNS1_25segmented_radix_sort_implINS0_14default_configELb0EPKhPhPKlPlN2at6native12_GLOBAL__N_18offset_tEEE10hipError_tPvRmT1_PNSt15iterator_traitsIS12_E10value_typeET2_T3_PNS13_IS18_E10value_typeET4_jRbjT5_S1E_jjP12ihipStream_tbEUljE_ZNSN_ISO_Lb0ESQ_SR_ST_SU_SY_EESZ_S10_S11_S12_S16_S17_S18_S1B_S1C_jS1D_jS1E_S1E_jjS1G_bEUljE0_EEESZ_S10_S11_S18_S1C_S1E_T6_T7_T9_mT8_S1G_bDpT10_ENKUlT_T0_E_clISt17integral_constantIbLb0EES1U_EEDaS1P_S1Q_EUlS1P_E_NS1_11comp_targetILNS1_3genE10ELNS1_11target_archE1200ELNS1_3gpuE4ELNS1_3repE0EEENS1_30default_config_static_selectorELNS0_4arch9wavefront6targetE1EEEvS12_ ; -- Begin function _ZN7rocprim17ROCPRIM_400000_NS6detail17trampoline_kernelINS0_13select_configILj256ELj13ELNS0_17block_load_methodE3ELS4_3ELS4_3ELNS0_20block_scan_algorithmE0ELj4294967295EEENS1_25partition_config_selectorILNS1_17partition_subalgoE4EjNS0_10empty_typeEbEEZZNS1_14partition_implILS8_4ELb0ES6_15HIP_vector_typeIjLj2EENS0_17counting_iteratorIjlEEPS9_SG_NS0_5tupleIJPjSI_NS0_16reverse_iteratorISI_EEEEENSH_IJSG_SG_SG_EEES9_SI_JZNS1_25segmented_radix_sort_implINS0_14default_configELb0EPKhPhPKlPlN2at6native12_GLOBAL__N_18offset_tEEE10hipError_tPvRmT1_PNSt15iterator_traitsIS12_E10value_typeET2_T3_PNS13_IS18_E10value_typeET4_jRbjT5_S1E_jjP12ihipStream_tbEUljE_ZNSN_ISO_Lb0ESQ_SR_ST_SU_SY_EESZ_S10_S11_S12_S16_S17_S18_S1B_S1C_jS1D_jS1E_S1E_jjS1G_bEUljE0_EEESZ_S10_S11_S18_S1C_S1E_T6_T7_T9_mT8_S1G_bDpT10_ENKUlT_T0_E_clISt17integral_constantIbLb0EES1U_EEDaS1P_S1Q_EUlS1P_E_NS1_11comp_targetILNS1_3genE10ELNS1_11target_archE1200ELNS1_3gpuE4ELNS1_3repE0EEENS1_30default_config_static_selectorELNS0_4arch9wavefront6targetE1EEEvS12_
	.p2align	8
	.type	_ZN7rocprim17ROCPRIM_400000_NS6detail17trampoline_kernelINS0_13select_configILj256ELj13ELNS0_17block_load_methodE3ELS4_3ELS4_3ELNS0_20block_scan_algorithmE0ELj4294967295EEENS1_25partition_config_selectorILNS1_17partition_subalgoE4EjNS0_10empty_typeEbEEZZNS1_14partition_implILS8_4ELb0ES6_15HIP_vector_typeIjLj2EENS0_17counting_iteratorIjlEEPS9_SG_NS0_5tupleIJPjSI_NS0_16reverse_iteratorISI_EEEEENSH_IJSG_SG_SG_EEES9_SI_JZNS1_25segmented_radix_sort_implINS0_14default_configELb0EPKhPhPKlPlN2at6native12_GLOBAL__N_18offset_tEEE10hipError_tPvRmT1_PNSt15iterator_traitsIS12_E10value_typeET2_T3_PNS13_IS18_E10value_typeET4_jRbjT5_S1E_jjP12ihipStream_tbEUljE_ZNSN_ISO_Lb0ESQ_SR_ST_SU_SY_EESZ_S10_S11_S12_S16_S17_S18_S1B_S1C_jS1D_jS1E_S1E_jjS1G_bEUljE0_EEESZ_S10_S11_S18_S1C_S1E_T6_T7_T9_mT8_S1G_bDpT10_ENKUlT_T0_E_clISt17integral_constantIbLb0EES1U_EEDaS1P_S1Q_EUlS1P_E_NS1_11comp_targetILNS1_3genE10ELNS1_11target_archE1200ELNS1_3gpuE4ELNS1_3repE0EEENS1_30default_config_static_selectorELNS0_4arch9wavefront6targetE1EEEvS12_,@function
_ZN7rocprim17ROCPRIM_400000_NS6detail17trampoline_kernelINS0_13select_configILj256ELj13ELNS0_17block_load_methodE3ELS4_3ELS4_3ELNS0_20block_scan_algorithmE0ELj4294967295EEENS1_25partition_config_selectorILNS1_17partition_subalgoE4EjNS0_10empty_typeEbEEZZNS1_14partition_implILS8_4ELb0ES6_15HIP_vector_typeIjLj2EENS0_17counting_iteratorIjlEEPS9_SG_NS0_5tupleIJPjSI_NS0_16reverse_iteratorISI_EEEEENSH_IJSG_SG_SG_EEES9_SI_JZNS1_25segmented_radix_sort_implINS0_14default_configELb0EPKhPhPKlPlN2at6native12_GLOBAL__N_18offset_tEEE10hipError_tPvRmT1_PNSt15iterator_traitsIS12_E10value_typeET2_T3_PNS13_IS18_E10value_typeET4_jRbjT5_S1E_jjP12ihipStream_tbEUljE_ZNSN_ISO_Lb0ESQ_SR_ST_SU_SY_EESZ_S10_S11_S12_S16_S17_S18_S1B_S1C_jS1D_jS1E_S1E_jjS1G_bEUljE0_EEESZ_S10_S11_S18_S1C_S1E_T6_T7_T9_mT8_S1G_bDpT10_ENKUlT_T0_E_clISt17integral_constantIbLb0EES1U_EEDaS1P_S1Q_EUlS1P_E_NS1_11comp_targetILNS1_3genE10ELNS1_11target_archE1200ELNS1_3gpuE4ELNS1_3repE0EEENS1_30default_config_static_selectorELNS0_4arch9wavefront6targetE1EEEvS12_: ; @_ZN7rocprim17ROCPRIM_400000_NS6detail17trampoline_kernelINS0_13select_configILj256ELj13ELNS0_17block_load_methodE3ELS4_3ELS4_3ELNS0_20block_scan_algorithmE0ELj4294967295EEENS1_25partition_config_selectorILNS1_17partition_subalgoE4EjNS0_10empty_typeEbEEZZNS1_14partition_implILS8_4ELb0ES6_15HIP_vector_typeIjLj2EENS0_17counting_iteratorIjlEEPS9_SG_NS0_5tupleIJPjSI_NS0_16reverse_iteratorISI_EEEEENSH_IJSG_SG_SG_EEES9_SI_JZNS1_25segmented_radix_sort_implINS0_14default_configELb0EPKhPhPKlPlN2at6native12_GLOBAL__N_18offset_tEEE10hipError_tPvRmT1_PNSt15iterator_traitsIS12_E10value_typeET2_T3_PNS13_IS18_E10value_typeET4_jRbjT5_S1E_jjP12ihipStream_tbEUljE_ZNSN_ISO_Lb0ESQ_SR_ST_SU_SY_EESZ_S10_S11_S12_S16_S17_S18_S1B_S1C_jS1D_jS1E_S1E_jjS1G_bEUljE0_EEESZ_S10_S11_S18_S1C_S1E_T6_T7_T9_mT8_S1G_bDpT10_ENKUlT_T0_E_clISt17integral_constantIbLb0EES1U_EEDaS1P_S1Q_EUlS1P_E_NS1_11comp_targetILNS1_3genE10ELNS1_11target_archE1200ELNS1_3gpuE4ELNS1_3repE0EEENS1_30default_config_static_selectorELNS0_4arch9wavefront6targetE1EEEvS12_
; %bb.0:
	.section	.rodata,"a",@progbits
	.p2align	6, 0x0
	.amdhsa_kernel _ZN7rocprim17ROCPRIM_400000_NS6detail17trampoline_kernelINS0_13select_configILj256ELj13ELNS0_17block_load_methodE3ELS4_3ELS4_3ELNS0_20block_scan_algorithmE0ELj4294967295EEENS1_25partition_config_selectorILNS1_17partition_subalgoE4EjNS0_10empty_typeEbEEZZNS1_14partition_implILS8_4ELb0ES6_15HIP_vector_typeIjLj2EENS0_17counting_iteratorIjlEEPS9_SG_NS0_5tupleIJPjSI_NS0_16reverse_iteratorISI_EEEEENSH_IJSG_SG_SG_EEES9_SI_JZNS1_25segmented_radix_sort_implINS0_14default_configELb0EPKhPhPKlPlN2at6native12_GLOBAL__N_18offset_tEEE10hipError_tPvRmT1_PNSt15iterator_traitsIS12_E10value_typeET2_T3_PNS13_IS18_E10value_typeET4_jRbjT5_S1E_jjP12ihipStream_tbEUljE_ZNSN_ISO_Lb0ESQ_SR_ST_SU_SY_EESZ_S10_S11_S12_S16_S17_S18_S1B_S1C_jS1D_jS1E_S1E_jjS1G_bEUljE0_EEESZ_S10_S11_S18_S1C_S1E_T6_T7_T9_mT8_S1G_bDpT10_ENKUlT_T0_E_clISt17integral_constantIbLb0EES1U_EEDaS1P_S1Q_EUlS1P_E_NS1_11comp_targetILNS1_3genE10ELNS1_11target_archE1200ELNS1_3gpuE4ELNS1_3repE0EEENS1_30default_config_static_selectorELNS0_4arch9wavefront6targetE1EEEvS12_
		.amdhsa_group_segment_fixed_size 0
		.amdhsa_private_segment_fixed_size 0
		.amdhsa_kernarg_size 176
		.amdhsa_user_sgpr_count 6
		.amdhsa_user_sgpr_private_segment_buffer 1
		.amdhsa_user_sgpr_dispatch_ptr 0
		.amdhsa_user_sgpr_queue_ptr 0
		.amdhsa_user_sgpr_kernarg_segment_ptr 1
		.amdhsa_user_sgpr_dispatch_id 0
		.amdhsa_user_sgpr_flat_scratch_init 0
		.amdhsa_user_sgpr_kernarg_preload_length 0
		.amdhsa_user_sgpr_kernarg_preload_offset 0
		.amdhsa_user_sgpr_private_segment_size 0
		.amdhsa_uses_dynamic_stack 0
		.amdhsa_system_sgpr_private_segment_wavefront_offset 0
		.amdhsa_system_sgpr_workgroup_id_x 1
		.amdhsa_system_sgpr_workgroup_id_y 0
		.amdhsa_system_sgpr_workgroup_id_z 0
		.amdhsa_system_sgpr_workgroup_info 0
		.amdhsa_system_vgpr_workitem_id 0
		.amdhsa_next_free_vgpr 1
		.amdhsa_next_free_sgpr 0
		.amdhsa_accum_offset 4
		.amdhsa_reserve_vcc 0
		.amdhsa_reserve_flat_scratch 0
		.amdhsa_float_round_mode_32 0
		.amdhsa_float_round_mode_16_64 0
		.amdhsa_float_denorm_mode_32 3
		.amdhsa_float_denorm_mode_16_64 3
		.amdhsa_dx10_clamp 1
		.amdhsa_ieee_mode 1
		.amdhsa_fp16_overflow 0
		.amdhsa_tg_split 0
		.amdhsa_exception_fp_ieee_invalid_op 0
		.amdhsa_exception_fp_denorm_src 0
		.amdhsa_exception_fp_ieee_div_zero 0
		.amdhsa_exception_fp_ieee_overflow 0
		.amdhsa_exception_fp_ieee_underflow 0
		.amdhsa_exception_fp_ieee_inexact 0
		.amdhsa_exception_int_div_zero 0
	.end_amdhsa_kernel
	.section	.text._ZN7rocprim17ROCPRIM_400000_NS6detail17trampoline_kernelINS0_13select_configILj256ELj13ELNS0_17block_load_methodE3ELS4_3ELS4_3ELNS0_20block_scan_algorithmE0ELj4294967295EEENS1_25partition_config_selectorILNS1_17partition_subalgoE4EjNS0_10empty_typeEbEEZZNS1_14partition_implILS8_4ELb0ES6_15HIP_vector_typeIjLj2EENS0_17counting_iteratorIjlEEPS9_SG_NS0_5tupleIJPjSI_NS0_16reverse_iteratorISI_EEEEENSH_IJSG_SG_SG_EEES9_SI_JZNS1_25segmented_radix_sort_implINS0_14default_configELb0EPKhPhPKlPlN2at6native12_GLOBAL__N_18offset_tEEE10hipError_tPvRmT1_PNSt15iterator_traitsIS12_E10value_typeET2_T3_PNS13_IS18_E10value_typeET4_jRbjT5_S1E_jjP12ihipStream_tbEUljE_ZNSN_ISO_Lb0ESQ_SR_ST_SU_SY_EESZ_S10_S11_S12_S16_S17_S18_S1B_S1C_jS1D_jS1E_S1E_jjS1G_bEUljE0_EEESZ_S10_S11_S18_S1C_S1E_T6_T7_T9_mT8_S1G_bDpT10_ENKUlT_T0_E_clISt17integral_constantIbLb0EES1U_EEDaS1P_S1Q_EUlS1P_E_NS1_11comp_targetILNS1_3genE10ELNS1_11target_archE1200ELNS1_3gpuE4ELNS1_3repE0EEENS1_30default_config_static_selectorELNS0_4arch9wavefront6targetE1EEEvS12_,"axG",@progbits,_ZN7rocprim17ROCPRIM_400000_NS6detail17trampoline_kernelINS0_13select_configILj256ELj13ELNS0_17block_load_methodE3ELS4_3ELS4_3ELNS0_20block_scan_algorithmE0ELj4294967295EEENS1_25partition_config_selectorILNS1_17partition_subalgoE4EjNS0_10empty_typeEbEEZZNS1_14partition_implILS8_4ELb0ES6_15HIP_vector_typeIjLj2EENS0_17counting_iteratorIjlEEPS9_SG_NS0_5tupleIJPjSI_NS0_16reverse_iteratorISI_EEEEENSH_IJSG_SG_SG_EEES9_SI_JZNS1_25segmented_radix_sort_implINS0_14default_configELb0EPKhPhPKlPlN2at6native12_GLOBAL__N_18offset_tEEE10hipError_tPvRmT1_PNSt15iterator_traitsIS12_E10value_typeET2_T3_PNS13_IS18_E10value_typeET4_jRbjT5_S1E_jjP12ihipStream_tbEUljE_ZNSN_ISO_Lb0ESQ_SR_ST_SU_SY_EESZ_S10_S11_S12_S16_S17_S18_S1B_S1C_jS1D_jS1E_S1E_jjS1G_bEUljE0_EEESZ_S10_S11_S18_S1C_S1E_T6_T7_T9_mT8_S1G_bDpT10_ENKUlT_T0_E_clISt17integral_constantIbLb0EES1U_EEDaS1P_S1Q_EUlS1P_E_NS1_11comp_targetILNS1_3genE10ELNS1_11target_archE1200ELNS1_3gpuE4ELNS1_3repE0EEENS1_30default_config_static_selectorELNS0_4arch9wavefront6targetE1EEEvS12_,comdat
.Lfunc_end127:
	.size	_ZN7rocprim17ROCPRIM_400000_NS6detail17trampoline_kernelINS0_13select_configILj256ELj13ELNS0_17block_load_methodE3ELS4_3ELS4_3ELNS0_20block_scan_algorithmE0ELj4294967295EEENS1_25partition_config_selectorILNS1_17partition_subalgoE4EjNS0_10empty_typeEbEEZZNS1_14partition_implILS8_4ELb0ES6_15HIP_vector_typeIjLj2EENS0_17counting_iteratorIjlEEPS9_SG_NS0_5tupleIJPjSI_NS0_16reverse_iteratorISI_EEEEENSH_IJSG_SG_SG_EEES9_SI_JZNS1_25segmented_radix_sort_implINS0_14default_configELb0EPKhPhPKlPlN2at6native12_GLOBAL__N_18offset_tEEE10hipError_tPvRmT1_PNSt15iterator_traitsIS12_E10value_typeET2_T3_PNS13_IS18_E10value_typeET4_jRbjT5_S1E_jjP12ihipStream_tbEUljE_ZNSN_ISO_Lb0ESQ_SR_ST_SU_SY_EESZ_S10_S11_S12_S16_S17_S18_S1B_S1C_jS1D_jS1E_S1E_jjS1G_bEUljE0_EEESZ_S10_S11_S18_S1C_S1E_T6_T7_T9_mT8_S1G_bDpT10_ENKUlT_T0_E_clISt17integral_constantIbLb0EES1U_EEDaS1P_S1Q_EUlS1P_E_NS1_11comp_targetILNS1_3genE10ELNS1_11target_archE1200ELNS1_3gpuE4ELNS1_3repE0EEENS1_30default_config_static_selectorELNS0_4arch9wavefront6targetE1EEEvS12_, .Lfunc_end127-_ZN7rocprim17ROCPRIM_400000_NS6detail17trampoline_kernelINS0_13select_configILj256ELj13ELNS0_17block_load_methodE3ELS4_3ELS4_3ELNS0_20block_scan_algorithmE0ELj4294967295EEENS1_25partition_config_selectorILNS1_17partition_subalgoE4EjNS0_10empty_typeEbEEZZNS1_14partition_implILS8_4ELb0ES6_15HIP_vector_typeIjLj2EENS0_17counting_iteratorIjlEEPS9_SG_NS0_5tupleIJPjSI_NS0_16reverse_iteratorISI_EEEEENSH_IJSG_SG_SG_EEES9_SI_JZNS1_25segmented_radix_sort_implINS0_14default_configELb0EPKhPhPKlPlN2at6native12_GLOBAL__N_18offset_tEEE10hipError_tPvRmT1_PNSt15iterator_traitsIS12_E10value_typeET2_T3_PNS13_IS18_E10value_typeET4_jRbjT5_S1E_jjP12ihipStream_tbEUljE_ZNSN_ISO_Lb0ESQ_SR_ST_SU_SY_EESZ_S10_S11_S12_S16_S17_S18_S1B_S1C_jS1D_jS1E_S1E_jjS1G_bEUljE0_EEESZ_S10_S11_S18_S1C_S1E_T6_T7_T9_mT8_S1G_bDpT10_ENKUlT_T0_E_clISt17integral_constantIbLb0EES1U_EEDaS1P_S1Q_EUlS1P_E_NS1_11comp_targetILNS1_3genE10ELNS1_11target_archE1200ELNS1_3gpuE4ELNS1_3repE0EEENS1_30default_config_static_selectorELNS0_4arch9wavefront6targetE1EEEvS12_
                                        ; -- End function
	.section	.AMDGPU.csdata,"",@progbits
; Kernel info:
; codeLenInByte = 0
; NumSgprs: 4
; NumVgprs: 0
; NumAgprs: 0
; TotalNumVgprs: 0
; ScratchSize: 0
; MemoryBound: 0
; FloatMode: 240
; IeeeMode: 1
; LDSByteSize: 0 bytes/workgroup (compile time only)
; SGPRBlocks: 0
; VGPRBlocks: 0
; NumSGPRsForWavesPerEU: 4
; NumVGPRsForWavesPerEU: 1
; AccumOffset: 4
; Occupancy: 8
; WaveLimiterHint : 0
; COMPUTE_PGM_RSRC2:SCRATCH_EN: 0
; COMPUTE_PGM_RSRC2:USER_SGPR: 6
; COMPUTE_PGM_RSRC2:TRAP_HANDLER: 0
; COMPUTE_PGM_RSRC2:TGID_X_EN: 1
; COMPUTE_PGM_RSRC2:TGID_Y_EN: 0
; COMPUTE_PGM_RSRC2:TGID_Z_EN: 0
; COMPUTE_PGM_RSRC2:TIDIG_COMP_CNT: 0
; COMPUTE_PGM_RSRC3_GFX90A:ACCUM_OFFSET: 0
; COMPUTE_PGM_RSRC3_GFX90A:TG_SPLIT: 0
	.section	.text._ZN7rocprim17ROCPRIM_400000_NS6detail17trampoline_kernelINS0_13select_configILj256ELj13ELNS0_17block_load_methodE3ELS4_3ELS4_3ELNS0_20block_scan_algorithmE0ELj4294967295EEENS1_25partition_config_selectorILNS1_17partition_subalgoE4EjNS0_10empty_typeEbEEZZNS1_14partition_implILS8_4ELb0ES6_15HIP_vector_typeIjLj2EENS0_17counting_iteratorIjlEEPS9_SG_NS0_5tupleIJPjSI_NS0_16reverse_iteratorISI_EEEEENSH_IJSG_SG_SG_EEES9_SI_JZNS1_25segmented_radix_sort_implINS0_14default_configELb0EPKhPhPKlPlN2at6native12_GLOBAL__N_18offset_tEEE10hipError_tPvRmT1_PNSt15iterator_traitsIS12_E10value_typeET2_T3_PNS13_IS18_E10value_typeET4_jRbjT5_S1E_jjP12ihipStream_tbEUljE_ZNSN_ISO_Lb0ESQ_SR_ST_SU_SY_EESZ_S10_S11_S12_S16_S17_S18_S1B_S1C_jS1D_jS1E_S1E_jjS1G_bEUljE0_EEESZ_S10_S11_S18_S1C_S1E_T6_T7_T9_mT8_S1G_bDpT10_ENKUlT_T0_E_clISt17integral_constantIbLb0EES1U_EEDaS1P_S1Q_EUlS1P_E_NS1_11comp_targetILNS1_3genE9ELNS1_11target_archE1100ELNS1_3gpuE3ELNS1_3repE0EEENS1_30default_config_static_selectorELNS0_4arch9wavefront6targetE1EEEvS12_,"axG",@progbits,_ZN7rocprim17ROCPRIM_400000_NS6detail17trampoline_kernelINS0_13select_configILj256ELj13ELNS0_17block_load_methodE3ELS4_3ELS4_3ELNS0_20block_scan_algorithmE0ELj4294967295EEENS1_25partition_config_selectorILNS1_17partition_subalgoE4EjNS0_10empty_typeEbEEZZNS1_14partition_implILS8_4ELb0ES6_15HIP_vector_typeIjLj2EENS0_17counting_iteratorIjlEEPS9_SG_NS0_5tupleIJPjSI_NS0_16reverse_iteratorISI_EEEEENSH_IJSG_SG_SG_EEES9_SI_JZNS1_25segmented_radix_sort_implINS0_14default_configELb0EPKhPhPKlPlN2at6native12_GLOBAL__N_18offset_tEEE10hipError_tPvRmT1_PNSt15iterator_traitsIS12_E10value_typeET2_T3_PNS13_IS18_E10value_typeET4_jRbjT5_S1E_jjP12ihipStream_tbEUljE_ZNSN_ISO_Lb0ESQ_SR_ST_SU_SY_EESZ_S10_S11_S12_S16_S17_S18_S1B_S1C_jS1D_jS1E_S1E_jjS1G_bEUljE0_EEESZ_S10_S11_S18_S1C_S1E_T6_T7_T9_mT8_S1G_bDpT10_ENKUlT_T0_E_clISt17integral_constantIbLb0EES1U_EEDaS1P_S1Q_EUlS1P_E_NS1_11comp_targetILNS1_3genE9ELNS1_11target_archE1100ELNS1_3gpuE3ELNS1_3repE0EEENS1_30default_config_static_selectorELNS0_4arch9wavefront6targetE1EEEvS12_,comdat
	.globl	_ZN7rocprim17ROCPRIM_400000_NS6detail17trampoline_kernelINS0_13select_configILj256ELj13ELNS0_17block_load_methodE3ELS4_3ELS4_3ELNS0_20block_scan_algorithmE0ELj4294967295EEENS1_25partition_config_selectorILNS1_17partition_subalgoE4EjNS0_10empty_typeEbEEZZNS1_14partition_implILS8_4ELb0ES6_15HIP_vector_typeIjLj2EENS0_17counting_iteratorIjlEEPS9_SG_NS0_5tupleIJPjSI_NS0_16reverse_iteratorISI_EEEEENSH_IJSG_SG_SG_EEES9_SI_JZNS1_25segmented_radix_sort_implINS0_14default_configELb0EPKhPhPKlPlN2at6native12_GLOBAL__N_18offset_tEEE10hipError_tPvRmT1_PNSt15iterator_traitsIS12_E10value_typeET2_T3_PNS13_IS18_E10value_typeET4_jRbjT5_S1E_jjP12ihipStream_tbEUljE_ZNSN_ISO_Lb0ESQ_SR_ST_SU_SY_EESZ_S10_S11_S12_S16_S17_S18_S1B_S1C_jS1D_jS1E_S1E_jjS1G_bEUljE0_EEESZ_S10_S11_S18_S1C_S1E_T6_T7_T9_mT8_S1G_bDpT10_ENKUlT_T0_E_clISt17integral_constantIbLb0EES1U_EEDaS1P_S1Q_EUlS1P_E_NS1_11comp_targetILNS1_3genE9ELNS1_11target_archE1100ELNS1_3gpuE3ELNS1_3repE0EEENS1_30default_config_static_selectorELNS0_4arch9wavefront6targetE1EEEvS12_ ; -- Begin function _ZN7rocprim17ROCPRIM_400000_NS6detail17trampoline_kernelINS0_13select_configILj256ELj13ELNS0_17block_load_methodE3ELS4_3ELS4_3ELNS0_20block_scan_algorithmE0ELj4294967295EEENS1_25partition_config_selectorILNS1_17partition_subalgoE4EjNS0_10empty_typeEbEEZZNS1_14partition_implILS8_4ELb0ES6_15HIP_vector_typeIjLj2EENS0_17counting_iteratorIjlEEPS9_SG_NS0_5tupleIJPjSI_NS0_16reverse_iteratorISI_EEEEENSH_IJSG_SG_SG_EEES9_SI_JZNS1_25segmented_radix_sort_implINS0_14default_configELb0EPKhPhPKlPlN2at6native12_GLOBAL__N_18offset_tEEE10hipError_tPvRmT1_PNSt15iterator_traitsIS12_E10value_typeET2_T3_PNS13_IS18_E10value_typeET4_jRbjT5_S1E_jjP12ihipStream_tbEUljE_ZNSN_ISO_Lb0ESQ_SR_ST_SU_SY_EESZ_S10_S11_S12_S16_S17_S18_S1B_S1C_jS1D_jS1E_S1E_jjS1G_bEUljE0_EEESZ_S10_S11_S18_S1C_S1E_T6_T7_T9_mT8_S1G_bDpT10_ENKUlT_T0_E_clISt17integral_constantIbLb0EES1U_EEDaS1P_S1Q_EUlS1P_E_NS1_11comp_targetILNS1_3genE9ELNS1_11target_archE1100ELNS1_3gpuE3ELNS1_3repE0EEENS1_30default_config_static_selectorELNS0_4arch9wavefront6targetE1EEEvS12_
	.p2align	8
	.type	_ZN7rocprim17ROCPRIM_400000_NS6detail17trampoline_kernelINS0_13select_configILj256ELj13ELNS0_17block_load_methodE3ELS4_3ELS4_3ELNS0_20block_scan_algorithmE0ELj4294967295EEENS1_25partition_config_selectorILNS1_17partition_subalgoE4EjNS0_10empty_typeEbEEZZNS1_14partition_implILS8_4ELb0ES6_15HIP_vector_typeIjLj2EENS0_17counting_iteratorIjlEEPS9_SG_NS0_5tupleIJPjSI_NS0_16reverse_iteratorISI_EEEEENSH_IJSG_SG_SG_EEES9_SI_JZNS1_25segmented_radix_sort_implINS0_14default_configELb0EPKhPhPKlPlN2at6native12_GLOBAL__N_18offset_tEEE10hipError_tPvRmT1_PNSt15iterator_traitsIS12_E10value_typeET2_T3_PNS13_IS18_E10value_typeET4_jRbjT5_S1E_jjP12ihipStream_tbEUljE_ZNSN_ISO_Lb0ESQ_SR_ST_SU_SY_EESZ_S10_S11_S12_S16_S17_S18_S1B_S1C_jS1D_jS1E_S1E_jjS1G_bEUljE0_EEESZ_S10_S11_S18_S1C_S1E_T6_T7_T9_mT8_S1G_bDpT10_ENKUlT_T0_E_clISt17integral_constantIbLb0EES1U_EEDaS1P_S1Q_EUlS1P_E_NS1_11comp_targetILNS1_3genE9ELNS1_11target_archE1100ELNS1_3gpuE3ELNS1_3repE0EEENS1_30default_config_static_selectorELNS0_4arch9wavefront6targetE1EEEvS12_,@function
_ZN7rocprim17ROCPRIM_400000_NS6detail17trampoline_kernelINS0_13select_configILj256ELj13ELNS0_17block_load_methodE3ELS4_3ELS4_3ELNS0_20block_scan_algorithmE0ELj4294967295EEENS1_25partition_config_selectorILNS1_17partition_subalgoE4EjNS0_10empty_typeEbEEZZNS1_14partition_implILS8_4ELb0ES6_15HIP_vector_typeIjLj2EENS0_17counting_iteratorIjlEEPS9_SG_NS0_5tupleIJPjSI_NS0_16reverse_iteratorISI_EEEEENSH_IJSG_SG_SG_EEES9_SI_JZNS1_25segmented_radix_sort_implINS0_14default_configELb0EPKhPhPKlPlN2at6native12_GLOBAL__N_18offset_tEEE10hipError_tPvRmT1_PNSt15iterator_traitsIS12_E10value_typeET2_T3_PNS13_IS18_E10value_typeET4_jRbjT5_S1E_jjP12ihipStream_tbEUljE_ZNSN_ISO_Lb0ESQ_SR_ST_SU_SY_EESZ_S10_S11_S12_S16_S17_S18_S1B_S1C_jS1D_jS1E_S1E_jjS1G_bEUljE0_EEESZ_S10_S11_S18_S1C_S1E_T6_T7_T9_mT8_S1G_bDpT10_ENKUlT_T0_E_clISt17integral_constantIbLb0EES1U_EEDaS1P_S1Q_EUlS1P_E_NS1_11comp_targetILNS1_3genE9ELNS1_11target_archE1100ELNS1_3gpuE3ELNS1_3repE0EEENS1_30default_config_static_selectorELNS0_4arch9wavefront6targetE1EEEvS12_: ; @_ZN7rocprim17ROCPRIM_400000_NS6detail17trampoline_kernelINS0_13select_configILj256ELj13ELNS0_17block_load_methodE3ELS4_3ELS4_3ELNS0_20block_scan_algorithmE0ELj4294967295EEENS1_25partition_config_selectorILNS1_17partition_subalgoE4EjNS0_10empty_typeEbEEZZNS1_14partition_implILS8_4ELb0ES6_15HIP_vector_typeIjLj2EENS0_17counting_iteratorIjlEEPS9_SG_NS0_5tupleIJPjSI_NS0_16reverse_iteratorISI_EEEEENSH_IJSG_SG_SG_EEES9_SI_JZNS1_25segmented_radix_sort_implINS0_14default_configELb0EPKhPhPKlPlN2at6native12_GLOBAL__N_18offset_tEEE10hipError_tPvRmT1_PNSt15iterator_traitsIS12_E10value_typeET2_T3_PNS13_IS18_E10value_typeET4_jRbjT5_S1E_jjP12ihipStream_tbEUljE_ZNSN_ISO_Lb0ESQ_SR_ST_SU_SY_EESZ_S10_S11_S12_S16_S17_S18_S1B_S1C_jS1D_jS1E_S1E_jjS1G_bEUljE0_EEESZ_S10_S11_S18_S1C_S1E_T6_T7_T9_mT8_S1G_bDpT10_ENKUlT_T0_E_clISt17integral_constantIbLb0EES1U_EEDaS1P_S1Q_EUlS1P_E_NS1_11comp_targetILNS1_3genE9ELNS1_11target_archE1100ELNS1_3gpuE3ELNS1_3repE0EEENS1_30default_config_static_selectorELNS0_4arch9wavefront6targetE1EEEvS12_
; %bb.0:
	.section	.rodata,"a",@progbits
	.p2align	6, 0x0
	.amdhsa_kernel _ZN7rocprim17ROCPRIM_400000_NS6detail17trampoline_kernelINS0_13select_configILj256ELj13ELNS0_17block_load_methodE3ELS4_3ELS4_3ELNS0_20block_scan_algorithmE0ELj4294967295EEENS1_25partition_config_selectorILNS1_17partition_subalgoE4EjNS0_10empty_typeEbEEZZNS1_14partition_implILS8_4ELb0ES6_15HIP_vector_typeIjLj2EENS0_17counting_iteratorIjlEEPS9_SG_NS0_5tupleIJPjSI_NS0_16reverse_iteratorISI_EEEEENSH_IJSG_SG_SG_EEES9_SI_JZNS1_25segmented_radix_sort_implINS0_14default_configELb0EPKhPhPKlPlN2at6native12_GLOBAL__N_18offset_tEEE10hipError_tPvRmT1_PNSt15iterator_traitsIS12_E10value_typeET2_T3_PNS13_IS18_E10value_typeET4_jRbjT5_S1E_jjP12ihipStream_tbEUljE_ZNSN_ISO_Lb0ESQ_SR_ST_SU_SY_EESZ_S10_S11_S12_S16_S17_S18_S1B_S1C_jS1D_jS1E_S1E_jjS1G_bEUljE0_EEESZ_S10_S11_S18_S1C_S1E_T6_T7_T9_mT8_S1G_bDpT10_ENKUlT_T0_E_clISt17integral_constantIbLb0EES1U_EEDaS1P_S1Q_EUlS1P_E_NS1_11comp_targetILNS1_3genE9ELNS1_11target_archE1100ELNS1_3gpuE3ELNS1_3repE0EEENS1_30default_config_static_selectorELNS0_4arch9wavefront6targetE1EEEvS12_
		.amdhsa_group_segment_fixed_size 0
		.amdhsa_private_segment_fixed_size 0
		.amdhsa_kernarg_size 176
		.amdhsa_user_sgpr_count 6
		.amdhsa_user_sgpr_private_segment_buffer 1
		.amdhsa_user_sgpr_dispatch_ptr 0
		.amdhsa_user_sgpr_queue_ptr 0
		.amdhsa_user_sgpr_kernarg_segment_ptr 1
		.amdhsa_user_sgpr_dispatch_id 0
		.amdhsa_user_sgpr_flat_scratch_init 0
		.amdhsa_user_sgpr_kernarg_preload_length 0
		.amdhsa_user_sgpr_kernarg_preload_offset 0
		.amdhsa_user_sgpr_private_segment_size 0
		.amdhsa_uses_dynamic_stack 0
		.amdhsa_system_sgpr_private_segment_wavefront_offset 0
		.amdhsa_system_sgpr_workgroup_id_x 1
		.amdhsa_system_sgpr_workgroup_id_y 0
		.amdhsa_system_sgpr_workgroup_id_z 0
		.amdhsa_system_sgpr_workgroup_info 0
		.amdhsa_system_vgpr_workitem_id 0
		.amdhsa_next_free_vgpr 1
		.amdhsa_next_free_sgpr 0
		.amdhsa_accum_offset 4
		.amdhsa_reserve_vcc 0
		.amdhsa_reserve_flat_scratch 0
		.amdhsa_float_round_mode_32 0
		.amdhsa_float_round_mode_16_64 0
		.amdhsa_float_denorm_mode_32 3
		.amdhsa_float_denorm_mode_16_64 3
		.amdhsa_dx10_clamp 1
		.amdhsa_ieee_mode 1
		.amdhsa_fp16_overflow 0
		.amdhsa_tg_split 0
		.amdhsa_exception_fp_ieee_invalid_op 0
		.amdhsa_exception_fp_denorm_src 0
		.amdhsa_exception_fp_ieee_div_zero 0
		.amdhsa_exception_fp_ieee_overflow 0
		.amdhsa_exception_fp_ieee_underflow 0
		.amdhsa_exception_fp_ieee_inexact 0
		.amdhsa_exception_int_div_zero 0
	.end_amdhsa_kernel
	.section	.text._ZN7rocprim17ROCPRIM_400000_NS6detail17trampoline_kernelINS0_13select_configILj256ELj13ELNS0_17block_load_methodE3ELS4_3ELS4_3ELNS0_20block_scan_algorithmE0ELj4294967295EEENS1_25partition_config_selectorILNS1_17partition_subalgoE4EjNS0_10empty_typeEbEEZZNS1_14partition_implILS8_4ELb0ES6_15HIP_vector_typeIjLj2EENS0_17counting_iteratorIjlEEPS9_SG_NS0_5tupleIJPjSI_NS0_16reverse_iteratorISI_EEEEENSH_IJSG_SG_SG_EEES9_SI_JZNS1_25segmented_radix_sort_implINS0_14default_configELb0EPKhPhPKlPlN2at6native12_GLOBAL__N_18offset_tEEE10hipError_tPvRmT1_PNSt15iterator_traitsIS12_E10value_typeET2_T3_PNS13_IS18_E10value_typeET4_jRbjT5_S1E_jjP12ihipStream_tbEUljE_ZNSN_ISO_Lb0ESQ_SR_ST_SU_SY_EESZ_S10_S11_S12_S16_S17_S18_S1B_S1C_jS1D_jS1E_S1E_jjS1G_bEUljE0_EEESZ_S10_S11_S18_S1C_S1E_T6_T7_T9_mT8_S1G_bDpT10_ENKUlT_T0_E_clISt17integral_constantIbLb0EES1U_EEDaS1P_S1Q_EUlS1P_E_NS1_11comp_targetILNS1_3genE9ELNS1_11target_archE1100ELNS1_3gpuE3ELNS1_3repE0EEENS1_30default_config_static_selectorELNS0_4arch9wavefront6targetE1EEEvS12_,"axG",@progbits,_ZN7rocprim17ROCPRIM_400000_NS6detail17trampoline_kernelINS0_13select_configILj256ELj13ELNS0_17block_load_methodE3ELS4_3ELS4_3ELNS0_20block_scan_algorithmE0ELj4294967295EEENS1_25partition_config_selectorILNS1_17partition_subalgoE4EjNS0_10empty_typeEbEEZZNS1_14partition_implILS8_4ELb0ES6_15HIP_vector_typeIjLj2EENS0_17counting_iteratorIjlEEPS9_SG_NS0_5tupleIJPjSI_NS0_16reverse_iteratorISI_EEEEENSH_IJSG_SG_SG_EEES9_SI_JZNS1_25segmented_radix_sort_implINS0_14default_configELb0EPKhPhPKlPlN2at6native12_GLOBAL__N_18offset_tEEE10hipError_tPvRmT1_PNSt15iterator_traitsIS12_E10value_typeET2_T3_PNS13_IS18_E10value_typeET4_jRbjT5_S1E_jjP12ihipStream_tbEUljE_ZNSN_ISO_Lb0ESQ_SR_ST_SU_SY_EESZ_S10_S11_S12_S16_S17_S18_S1B_S1C_jS1D_jS1E_S1E_jjS1G_bEUljE0_EEESZ_S10_S11_S18_S1C_S1E_T6_T7_T9_mT8_S1G_bDpT10_ENKUlT_T0_E_clISt17integral_constantIbLb0EES1U_EEDaS1P_S1Q_EUlS1P_E_NS1_11comp_targetILNS1_3genE9ELNS1_11target_archE1100ELNS1_3gpuE3ELNS1_3repE0EEENS1_30default_config_static_selectorELNS0_4arch9wavefront6targetE1EEEvS12_,comdat
.Lfunc_end128:
	.size	_ZN7rocprim17ROCPRIM_400000_NS6detail17trampoline_kernelINS0_13select_configILj256ELj13ELNS0_17block_load_methodE3ELS4_3ELS4_3ELNS0_20block_scan_algorithmE0ELj4294967295EEENS1_25partition_config_selectorILNS1_17partition_subalgoE4EjNS0_10empty_typeEbEEZZNS1_14partition_implILS8_4ELb0ES6_15HIP_vector_typeIjLj2EENS0_17counting_iteratorIjlEEPS9_SG_NS0_5tupleIJPjSI_NS0_16reverse_iteratorISI_EEEEENSH_IJSG_SG_SG_EEES9_SI_JZNS1_25segmented_radix_sort_implINS0_14default_configELb0EPKhPhPKlPlN2at6native12_GLOBAL__N_18offset_tEEE10hipError_tPvRmT1_PNSt15iterator_traitsIS12_E10value_typeET2_T3_PNS13_IS18_E10value_typeET4_jRbjT5_S1E_jjP12ihipStream_tbEUljE_ZNSN_ISO_Lb0ESQ_SR_ST_SU_SY_EESZ_S10_S11_S12_S16_S17_S18_S1B_S1C_jS1D_jS1E_S1E_jjS1G_bEUljE0_EEESZ_S10_S11_S18_S1C_S1E_T6_T7_T9_mT8_S1G_bDpT10_ENKUlT_T0_E_clISt17integral_constantIbLb0EES1U_EEDaS1P_S1Q_EUlS1P_E_NS1_11comp_targetILNS1_3genE9ELNS1_11target_archE1100ELNS1_3gpuE3ELNS1_3repE0EEENS1_30default_config_static_selectorELNS0_4arch9wavefront6targetE1EEEvS12_, .Lfunc_end128-_ZN7rocprim17ROCPRIM_400000_NS6detail17trampoline_kernelINS0_13select_configILj256ELj13ELNS0_17block_load_methodE3ELS4_3ELS4_3ELNS0_20block_scan_algorithmE0ELj4294967295EEENS1_25partition_config_selectorILNS1_17partition_subalgoE4EjNS0_10empty_typeEbEEZZNS1_14partition_implILS8_4ELb0ES6_15HIP_vector_typeIjLj2EENS0_17counting_iteratorIjlEEPS9_SG_NS0_5tupleIJPjSI_NS0_16reverse_iteratorISI_EEEEENSH_IJSG_SG_SG_EEES9_SI_JZNS1_25segmented_radix_sort_implINS0_14default_configELb0EPKhPhPKlPlN2at6native12_GLOBAL__N_18offset_tEEE10hipError_tPvRmT1_PNSt15iterator_traitsIS12_E10value_typeET2_T3_PNS13_IS18_E10value_typeET4_jRbjT5_S1E_jjP12ihipStream_tbEUljE_ZNSN_ISO_Lb0ESQ_SR_ST_SU_SY_EESZ_S10_S11_S12_S16_S17_S18_S1B_S1C_jS1D_jS1E_S1E_jjS1G_bEUljE0_EEESZ_S10_S11_S18_S1C_S1E_T6_T7_T9_mT8_S1G_bDpT10_ENKUlT_T0_E_clISt17integral_constantIbLb0EES1U_EEDaS1P_S1Q_EUlS1P_E_NS1_11comp_targetILNS1_3genE9ELNS1_11target_archE1100ELNS1_3gpuE3ELNS1_3repE0EEENS1_30default_config_static_selectorELNS0_4arch9wavefront6targetE1EEEvS12_
                                        ; -- End function
	.section	.AMDGPU.csdata,"",@progbits
; Kernel info:
; codeLenInByte = 0
; NumSgprs: 4
; NumVgprs: 0
; NumAgprs: 0
; TotalNumVgprs: 0
; ScratchSize: 0
; MemoryBound: 0
; FloatMode: 240
; IeeeMode: 1
; LDSByteSize: 0 bytes/workgroup (compile time only)
; SGPRBlocks: 0
; VGPRBlocks: 0
; NumSGPRsForWavesPerEU: 4
; NumVGPRsForWavesPerEU: 1
; AccumOffset: 4
; Occupancy: 8
; WaveLimiterHint : 0
; COMPUTE_PGM_RSRC2:SCRATCH_EN: 0
; COMPUTE_PGM_RSRC2:USER_SGPR: 6
; COMPUTE_PGM_RSRC2:TRAP_HANDLER: 0
; COMPUTE_PGM_RSRC2:TGID_X_EN: 1
; COMPUTE_PGM_RSRC2:TGID_Y_EN: 0
; COMPUTE_PGM_RSRC2:TGID_Z_EN: 0
; COMPUTE_PGM_RSRC2:TIDIG_COMP_CNT: 0
; COMPUTE_PGM_RSRC3_GFX90A:ACCUM_OFFSET: 0
; COMPUTE_PGM_RSRC3_GFX90A:TG_SPLIT: 0
	.section	.text._ZN7rocprim17ROCPRIM_400000_NS6detail17trampoline_kernelINS0_13select_configILj256ELj13ELNS0_17block_load_methodE3ELS4_3ELS4_3ELNS0_20block_scan_algorithmE0ELj4294967295EEENS1_25partition_config_selectorILNS1_17partition_subalgoE4EjNS0_10empty_typeEbEEZZNS1_14partition_implILS8_4ELb0ES6_15HIP_vector_typeIjLj2EENS0_17counting_iteratorIjlEEPS9_SG_NS0_5tupleIJPjSI_NS0_16reverse_iteratorISI_EEEEENSH_IJSG_SG_SG_EEES9_SI_JZNS1_25segmented_radix_sort_implINS0_14default_configELb0EPKhPhPKlPlN2at6native12_GLOBAL__N_18offset_tEEE10hipError_tPvRmT1_PNSt15iterator_traitsIS12_E10value_typeET2_T3_PNS13_IS18_E10value_typeET4_jRbjT5_S1E_jjP12ihipStream_tbEUljE_ZNSN_ISO_Lb0ESQ_SR_ST_SU_SY_EESZ_S10_S11_S12_S16_S17_S18_S1B_S1C_jS1D_jS1E_S1E_jjS1G_bEUljE0_EEESZ_S10_S11_S18_S1C_S1E_T6_T7_T9_mT8_S1G_bDpT10_ENKUlT_T0_E_clISt17integral_constantIbLb0EES1U_EEDaS1P_S1Q_EUlS1P_E_NS1_11comp_targetILNS1_3genE8ELNS1_11target_archE1030ELNS1_3gpuE2ELNS1_3repE0EEENS1_30default_config_static_selectorELNS0_4arch9wavefront6targetE1EEEvS12_,"axG",@progbits,_ZN7rocprim17ROCPRIM_400000_NS6detail17trampoline_kernelINS0_13select_configILj256ELj13ELNS0_17block_load_methodE3ELS4_3ELS4_3ELNS0_20block_scan_algorithmE0ELj4294967295EEENS1_25partition_config_selectorILNS1_17partition_subalgoE4EjNS0_10empty_typeEbEEZZNS1_14partition_implILS8_4ELb0ES6_15HIP_vector_typeIjLj2EENS0_17counting_iteratorIjlEEPS9_SG_NS0_5tupleIJPjSI_NS0_16reverse_iteratorISI_EEEEENSH_IJSG_SG_SG_EEES9_SI_JZNS1_25segmented_radix_sort_implINS0_14default_configELb0EPKhPhPKlPlN2at6native12_GLOBAL__N_18offset_tEEE10hipError_tPvRmT1_PNSt15iterator_traitsIS12_E10value_typeET2_T3_PNS13_IS18_E10value_typeET4_jRbjT5_S1E_jjP12ihipStream_tbEUljE_ZNSN_ISO_Lb0ESQ_SR_ST_SU_SY_EESZ_S10_S11_S12_S16_S17_S18_S1B_S1C_jS1D_jS1E_S1E_jjS1G_bEUljE0_EEESZ_S10_S11_S18_S1C_S1E_T6_T7_T9_mT8_S1G_bDpT10_ENKUlT_T0_E_clISt17integral_constantIbLb0EES1U_EEDaS1P_S1Q_EUlS1P_E_NS1_11comp_targetILNS1_3genE8ELNS1_11target_archE1030ELNS1_3gpuE2ELNS1_3repE0EEENS1_30default_config_static_selectorELNS0_4arch9wavefront6targetE1EEEvS12_,comdat
	.globl	_ZN7rocprim17ROCPRIM_400000_NS6detail17trampoline_kernelINS0_13select_configILj256ELj13ELNS0_17block_load_methodE3ELS4_3ELS4_3ELNS0_20block_scan_algorithmE0ELj4294967295EEENS1_25partition_config_selectorILNS1_17partition_subalgoE4EjNS0_10empty_typeEbEEZZNS1_14partition_implILS8_4ELb0ES6_15HIP_vector_typeIjLj2EENS0_17counting_iteratorIjlEEPS9_SG_NS0_5tupleIJPjSI_NS0_16reverse_iteratorISI_EEEEENSH_IJSG_SG_SG_EEES9_SI_JZNS1_25segmented_radix_sort_implINS0_14default_configELb0EPKhPhPKlPlN2at6native12_GLOBAL__N_18offset_tEEE10hipError_tPvRmT1_PNSt15iterator_traitsIS12_E10value_typeET2_T3_PNS13_IS18_E10value_typeET4_jRbjT5_S1E_jjP12ihipStream_tbEUljE_ZNSN_ISO_Lb0ESQ_SR_ST_SU_SY_EESZ_S10_S11_S12_S16_S17_S18_S1B_S1C_jS1D_jS1E_S1E_jjS1G_bEUljE0_EEESZ_S10_S11_S18_S1C_S1E_T6_T7_T9_mT8_S1G_bDpT10_ENKUlT_T0_E_clISt17integral_constantIbLb0EES1U_EEDaS1P_S1Q_EUlS1P_E_NS1_11comp_targetILNS1_3genE8ELNS1_11target_archE1030ELNS1_3gpuE2ELNS1_3repE0EEENS1_30default_config_static_selectorELNS0_4arch9wavefront6targetE1EEEvS12_ ; -- Begin function _ZN7rocprim17ROCPRIM_400000_NS6detail17trampoline_kernelINS0_13select_configILj256ELj13ELNS0_17block_load_methodE3ELS4_3ELS4_3ELNS0_20block_scan_algorithmE0ELj4294967295EEENS1_25partition_config_selectorILNS1_17partition_subalgoE4EjNS0_10empty_typeEbEEZZNS1_14partition_implILS8_4ELb0ES6_15HIP_vector_typeIjLj2EENS0_17counting_iteratorIjlEEPS9_SG_NS0_5tupleIJPjSI_NS0_16reverse_iteratorISI_EEEEENSH_IJSG_SG_SG_EEES9_SI_JZNS1_25segmented_radix_sort_implINS0_14default_configELb0EPKhPhPKlPlN2at6native12_GLOBAL__N_18offset_tEEE10hipError_tPvRmT1_PNSt15iterator_traitsIS12_E10value_typeET2_T3_PNS13_IS18_E10value_typeET4_jRbjT5_S1E_jjP12ihipStream_tbEUljE_ZNSN_ISO_Lb0ESQ_SR_ST_SU_SY_EESZ_S10_S11_S12_S16_S17_S18_S1B_S1C_jS1D_jS1E_S1E_jjS1G_bEUljE0_EEESZ_S10_S11_S18_S1C_S1E_T6_T7_T9_mT8_S1G_bDpT10_ENKUlT_T0_E_clISt17integral_constantIbLb0EES1U_EEDaS1P_S1Q_EUlS1P_E_NS1_11comp_targetILNS1_3genE8ELNS1_11target_archE1030ELNS1_3gpuE2ELNS1_3repE0EEENS1_30default_config_static_selectorELNS0_4arch9wavefront6targetE1EEEvS12_
	.p2align	8
	.type	_ZN7rocprim17ROCPRIM_400000_NS6detail17trampoline_kernelINS0_13select_configILj256ELj13ELNS0_17block_load_methodE3ELS4_3ELS4_3ELNS0_20block_scan_algorithmE0ELj4294967295EEENS1_25partition_config_selectorILNS1_17partition_subalgoE4EjNS0_10empty_typeEbEEZZNS1_14partition_implILS8_4ELb0ES6_15HIP_vector_typeIjLj2EENS0_17counting_iteratorIjlEEPS9_SG_NS0_5tupleIJPjSI_NS0_16reverse_iteratorISI_EEEEENSH_IJSG_SG_SG_EEES9_SI_JZNS1_25segmented_radix_sort_implINS0_14default_configELb0EPKhPhPKlPlN2at6native12_GLOBAL__N_18offset_tEEE10hipError_tPvRmT1_PNSt15iterator_traitsIS12_E10value_typeET2_T3_PNS13_IS18_E10value_typeET4_jRbjT5_S1E_jjP12ihipStream_tbEUljE_ZNSN_ISO_Lb0ESQ_SR_ST_SU_SY_EESZ_S10_S11_S12_S16_S17_S18_S1B_S1C_jS1D_jS1E_S1E_jjS1G_bEUljE0_EEESZ_S10_S11_S18_S1C_S1E_T6_T7_T9_mT8_S1G_bDpT10_ENKUlT_T0_E_clISt17integral_constantIbLb0EES1U_EEDaS1P_S1Q_EUlS1P_E_NS1_11comp_targetILNS1_3genE8ELNS1_11target_archE1030ELNS1_3gpuE2ELNS1_3repE0EEENS1_30default_config_static_selectorELNS0_4arch9wavefront6targetE1EEEvS12_,@function
_ZN7rocprim17ROCPRIM_400000_NS6detail17trampoline_kernelINS0_13select_configILj256ELj13ELNS0_17block_load_methodE3ELS4_3ELS4_3ELNS0_20block_scan_algorithmE0ELj4294967295EEENS1_25partition_config_selectorILNS1_17partition_subalgoE4EjNS0_10empty_typeEbEEZZNS1_14partition_implILS8_4ELb0ES6_15HIP_vector_typeIjLj2EENS0_17counting_iteratorIjlEEPS9_SG_NS0_5tupleIJPjSI_NS0_16reverse_iteratorISI_EEEEENSH_IJSG_SG_SG_EEES9_SI_JZNS1_25segmented_radix_sort_implINS0_14default_configELb0EPKhPhPKlPlN2at6native12_GLOBAL__N_18offset_tEEE10hipError_tPvRmT1_PNSt15iterator_traitsIS12_E10value_typeET2_T3_PNS13_IS18_E10value_typeET4_jRbjT5_S1E_jjP12ihipStream_tbEUljE_ZNSN_ISO_Lb0ESQ_SR_ST_SU_SY_EESZ_S10_S11_S12_S16_S17_S18_S1B_S1C_jS1D_jS1E_S1E_jjS1G_bEUljE0_EEESZ_S10_S11_S18_S1C_S1E_T6_T7_T9_mT8_S1G_bDpT10_ENKUlT_T0_E_clISt17integral_constantIbLb0EES1U_EEDaS1P_S1Q_EUlS1P_E_NS1_11comp_targetILNS1_3genE8ELNS1_11target_archE1030ELNS1_3gpuE2ELNS1_3repE0EEENS1_30default_config_static_selectorELNS0_4arch9wavefront6targetE1EEEvS12_: ; @_ZN7rocprim17ROCPRIM_400000_NS6detail17trampoline_kernelINS0_13select_configILj256ELj13ELNS0_17block_load_methodE3ELS4_3ELS4_3ELNS0_20block_scan_algorithmE0ELj4294967295EEENS1_25partition_config_selectorILNS1_17partition_subalgoE4EjNS0_10empty_typeEbEEZZNS1_14partition_implILS8_4ELb0ES6_15HIP_vector_typeIjLj2EENS0_17counting_iteratorIjlEEPS9_SG_NS0_5tupleIJPjSI_NS0_16reverse_iteratorISI_EEEEENSH_IJSG_SG_SG_EEES9_SI_JZNS1_25segmented_radix_sort_implINS0_14default_configELb0EPKhPhPKlPlN2at6native12_GLOBAL__N_18offset_tEEE10hipError_tPvRmT1_PNSt15iterator_traitsIS12_E10value_typeET2_T3_PNS13_IS18_E10value_typeET4_jRbjT5_S1E_jjP12ihipStream_tbEUljE_ZNSN_ISO_Lb0ESQ_SR_ST_SU_SY_EESZ_S10_S11_S12_S16_S17_S18_S1B_S1C_jS1D_jS1E_S1E_jjS1G_bEUljE0_EEESZ_S10_S11_S18_S1C_S1E_T6_T7_T9_mT8_S1G_bDpT10_ENKUlT_T0_E_clISt17integral_constantIbLb0EES1U_EEDaS1P_S1Q_EUlS1P_E_NS1_11comp_targetILNS1_3genE8ELNS1_11target_archE1030ELNS1_3gpuE2ELNS1_3repE0EEENS1_30default_config_static_selectorELNS0_4arch9wavefront6targetE1EEEvS12_
; %bb.0:
	.section	.rodata,"a",@progbits
	.p2align	6, 0x0
	.amdhsa_kernel _ZN7rocprim17ROCPRIM_400000_NS6detail17trampoline_kernelINS0_13select_configILj256ELj13ELNS0_17block_load_methodE3ELS4_3ELS4_3ELNS0_20block_scan_algorithmE0ELj4294967295EEENS1_25partition_config_selectorILNS1_17partition_subalgoE4EjNS0_10empty_typeEbEEZZNS1_14partition_implILS8_4ELb0ES6_15HIP_vector_typeIjLj2EENS0_17counting_iteratorIjlEEPS9_SG_NS0_5tupleIJPjSI_NS0_16reverse_iteratorISI_EEEEENSH_IJSG_SG_SG_EEES9_SI_JZNS1_25segmented_radix_sort_implINS0_14default_configELb0EPKhPhPKlPlN2at6native12_GLOBAL__N_18offset_tEEE10hipError_tPvRmT1_PNSt15iterator_traitsIS12_E10value_typeET2_T3_PNS13_IS18_E10value_typeET4_jRbjT5_S1E_jjP12ihipStream_tbEUljE_ZNSN_ISO_Lb0ESQ_SR_ST_SU_SY_EESZ_S10_S11_S12_S16_S17_S18_S1B_S1C_jS1D_jS1E_S1E_jjS1G_bEUljE0_EEESZ_S10_S11_S18_S1C_S1E_T6_T7_T9_mT8_S1G_bDpT10_ENKUlT_T0_E_clISt17integral_constantIbLb0EES1U_EEDaS1P_S1Q_EUlS1P_E_NS1_11comp_targetILNS1_3genE8ELNS1_11target_archE1030ELNS1_3gpuE2ELNS1_3repE0EEENS1_30default_config_static_selectorELNS0_4arch9wavefront6targetE1EEEvS12_
		.amdhsa_group_segment_fixed_size 0
		.amdhsa_private_segment_fixed_size 0
		.amdhsa_kernarg_size 176
		.amdhsa_user_sgpr_count 6
		.amdhsa_user_sgpr_private_segment_buffer 1
		.amdhsa_user_sgpr_dispatch_ptr 0
		.amdhsa_user_sgpr_queue_ptr 0
		.amdhsa_user_sgpr_kernarg_segment_ptr 1
		.amdhsa_user_sgpr_dispatch_id 0
		.amdhsa_user_sgpr_flat_scratch_init 0
		.amdhsa_user_sgpr_kernarg_preload_length 0
		.amdhsa_user_sgpr_kernarg_preload_offset 0
		.amdhsa_user_sgpr_private_segment_size 0
		.amdhsa_uses_dynamic_stack 0
		.amdhsa_system_sgpr_private_segment_wavefront_offset 0
		.amdhsa_system_sgpr_workgroup_id_x 1
		.amdhsa_system_sgpr_workgroup_id_y 0
		.amdhsa_system_sgpr_workgroup_id_z 0
		.amdhsa_system_sgpr_workgroup_info 0
		.amdhsa_system_vgpr_workitem_id 0
		.amdhsa_next_free_vgpr 1
		.amdhsa_next_free_sgpr 0
		.amdhsa_accum_offset 4
		.amdhsa_reserve_vcc 0
		.amdhsa_reserve_flat_scratch 0
		.amdhsa_float_round_mode_32 0
		.amdhsa_float_round_mode_16_64 0
		.amdhsa_float_denorm_mode_32 3
		.amdhsa_float_denorm_mode_16_64 3
		.amdhsa_dx10_clamp 1
		.amdhsa_ieee_mode 1
		.amdhsa_fp16_overflow 0
		.amdhsa_tg_split 0
		.amdhsa_exception_fp_ieee_invalid_op 0
		.amdhsa_exception_fp_denorm_src 0
		.amdhsa_exception_fp_ieee_div_zero 0
		.amdhsa_exception_fp_ieee_overflow 0
		.amdhsa_exception_fp_ieee_underflow 0
		.amdhsa_exception_fp_ieee_inexact 0
		.amdhsa_exception_int_div_zero 0
	.end_amdhsa_kernel
	.section	.text._ZN7rocprim17ROCPRIM_400000_NS6detail17trampoline_kernelINS0_13select_configILj256ELj13ELNS0_17block_load_methodE3ELS4_3ELS4_3ELNS0_20block_scan_algorithmE0ELj4294967295EEENS1_25partition_config_selectorILNS1_17partition_subalgoE4EjNS0_10empty_typeEbEEZZNS1_14partition_implILS8_4ELb0ES6_15HIP_vector_typeIjLj2EENS0_17counting_iteratorIjlEEPS9_SG_NS0_5tupleIJPjSI_NS0_16reverse_iteratorISI_EEEEENSH_IJSG_SG_SG_EEES9_SI_JZNS1_25segmented_radix_sort_implINS0_14default_configELb0EPKhPhPKlPlN2at6native12_GLOBAL__N_18offset_tEEE10hipError_tPvRmT1_PNSt15iterator_traitsIS12_E10value_typeET2_T3_PNS13_IS18_E10value_typeET4_jRbjT5_S1E_jjP12ihipStream_tbEUljE_ZNSN_ISO_Lb0ESQ_SR_ST_SU_SY_EESZ_S10_S11_S12_S16_S17_S18_S1B_S1C_jS1D_jS1E_S1E_jjS1G_bEUljE0_EEESZ_S10_S11_S18_S1C_S1E_T6_T7_T9_mT8_S1G_bDpT10_ENKUlT_T0_E_clISt17integral_constantIbLb0EES1U_EEDaS1P_S1Q_EUlS1P_E_NS1_11comp_targetILNS1_3genE8ELNS1_11target_archE1030ELNS1_3gpuE2ELNS1_3repE0EEENS1_30default_config_static_selectorELNS0_4arch9wavefront6targetE1EEEvS12_,"axG",@progbits,_ZN7rocprim17ROCPRIM_400000_NS6detail17trampoline_kernelINS0_13select_configILj256ELj13ELNS0_17block_load_methodE3ELS4_3ELS4_3ELNS0_20block_scan_algorithmE0ELj4294967295EEENS1_25partition_config_selectorILNS1_17partition_subalgoE4EjNS0_10empty_typeEbEEZZNS1_14partition_implILS8_4ELb0ES6_15HIP_vector_typeIjLj2EENS0_17counting_iteratorIjlEEPS9_SG_NS0_5tupleIJPjSI_NS0_16reverse_iteratorISI_EEEEENSH_IJSG_SG_SG_EEES9_SI_JZNS1_25segmented_radix_sort_implINS0_14default_configELb0EPKhPhPKlPlN2at6native12_GLOBAL__N_18offset_tEEE10hipError_tPvRmT1_PNSt15iterator_traitsIS12_E10value_typeET2_T3_PNS13_IS18_E10value_typeET4_jRbjT5_S1E_jjP12ihipStream_tbEUljE_ZNSN_ISO_Lb0ESQ_SR_ST_SU_SY_EESZ_S10_S11_S12_S16_S17_S18_S1B_S1C_jS1D_jS1E_S1E_jjS1G_bEUljE0_EEESZ_S10_S11_S18_S1C_S1E_T6_T7_T9_mT8_S1G_bDpT10_ENKUlT_T0_E_clISt17integral_constantIbLb0EES1U_EEDaS1P_S1Q_EUlS1P_E_NS1_11comp_targetILNS1_3genE8ELNS1_11target_archE1030ELNS1_3gpuE2ELNS1_3repE0EEENS1_30default_config_static_selectorELNS0_4arch9wavefront6targetE1EEEvS12_,comdat
.Lfunc_end129:
	.size	_ZN7rocprim17ROCPRIM_400000_NS6detail17trampoline_kernelINS0_13select_configILj256ELj13ELNS0_17block_load_methodE3ELS4_3ELS4_3ELNS0_20block_scan_algorithmE0ELj4294967295EEENS1_25partition_config_selectorILNS1_17partition_subalgoE4EjNS0_10empty_typeEbEEZZNS1_14partition_implILS8_4ELb0ES6_15HIP_vector_typeIjLj2EENS0_17counting_iteratorIjlEEPS9_SG_NS0_5tupleIJPjSI_NS0_16reverse_iteratorISI_EEEEENSH_IJSG_SG_SG_EEES9_SI_JZNS1_25segmented_radix_sort_implINS0_14default_configELb0EPKhPhPKlPlN2at6native12_GLOBAL__N_18offset_tEEE10hipError_tPvRmT1_PNSt15iterator_traitsIS12_E10value_typeET2_T3_PNS13_IS18_E10value_typeET4_jRbjT5_S1E_jjP12ihipStream_tbEUljE_ZNSN_ISO_Lb0ESQ_SR_ST_SU_SY_EESZ_S10_S11_S12_S16_S17_S18_S1B_S1C_jS1D_jS1E_S1E_jjS1G_bEUljE0_EEESZ_S10_S11_S18_S1C_S1E_T6_T7_T9_mT8_S1G_bDpT10_ENKUlT_T0_E_clISt17integral_constantIbLb0EES1U_EEDaS1P_S1Q_EUlS1P_E_NS1_11comp_targetILNS1_3genE8ELNS1_11target_archE1030ELNS1_3gpuE2ELNS1_3repE0EEENS1_30default_config_static_selectorELNS0_4arch9wavefront6targetE1EEEvS12_, .Lfunc_end129-_ZN7rocprim17ROCPRIM_400000_NS6detail17trampoline_kernelINS0_13select_configILj256ELj13ELNS0_17block_load_methodE3ELS4_3ELS4_3ELNS0_20block_scan_algorithmE0ELj4294967295EEENS1_25partition_config_selectorILNS1_17partition_subalgoE4EjNS0_10empty_typeEbEEZZNS1_14partition_implILS8_4ELb0ES6_15HIP_vector_typeIjLj2EENS0_17counting_iteratorIjlEEPS9_SG_NS0_5tupleIJPjSI_NS0_16reverse_iteratorISI_EEEEENSH_IJSG_SG_SG_EEES9_SI_JZNS1_25segmented_radix_sort_implINS0_14default_configELb0EPKhPhPKlPlN2at6native12_GLOBAL__N_18offset_tEEE10hipError_tPvRmT1_PNSt15iterator_traitsIS12_E10value_typeET2_T3_PNS13_IS18_E10value_typeET4_jRbjT5_S1E_jjP12ihipStream_tbEUljE_ZNSN_ISO_Lb0ESQ_SR_ST_SU_SY_EESZ_S10_S11_S12_S16_S17_S18_S1B_S1C_jS1D_jS1E_S1E_jjS1G_bEUljE0_EEESZ_S10_S11_S18_S1C_S1E_T6_T7_T9_mT8_S1G_bDpT10_ENKUlT_T0_E_clISt17integral_constantIbLb0EES1U_EEDaS1P_S1Q_EUlS1P_E_NS1_11comp_targetILNS1_3genE8ELNS1_11target_archE1030ELNS1_3gpuE2ELNS1_3repE0EEENS1_30default_config_static_selectorELNS0_4arch9wavefront6targetE1EEEvS12_
                                        ; -- End function
	.section	.AMDGPU.csdata,"",@progbits
; Kernel info:
; codeLenInByte = 0
; NumSgprs: 4
; NumVgprs: 0
; NumAgprs: 0
; TotalNumVgprs: 0
; ScratchSize: 0
; MemoryBound: 0
; FloatMode: 240
; IeeeMode: 1
; LDSByteSize: 0 bytes/workgroup (compile time only)
; SGPRBlocks: 0
; VGPRBlocks: 0
; NumSGPRsForWavesPerEU: 4
; NumVGPRsForWavesPerEU: 1
; AccumOffset: 4
; Occupancy: 8
; WaveLimiterHint : 0
; COMPUTE_PGM_RSRC2:SCRATCH_EN: 0
; COMPUTE_PGM_RSRC2:USER_SGPR: 6
; COMPUTE_PGM_RSRC2:TRAP_HANDLER: 0
; COMPUTE_PGM_RSRC2:TGID_X_EN: 1
; COMPUTE_PGM_RSRC2:TGID_Y_EN: 0
; COMPUTE_PGM_RSRC2:TGID_Z_EN: 0
; COMPUTE_PGM_RSRC2:TIDIG_COMP_CNT: 0
; COMPUTE_PGM_RSRC3_GFX90A:ACCUM_OFFSET: 0
; COMPUTE_PGM_RSRC3_GFX90A:TG_SPLIT: 0
	.section	.text._ZN7rocprim17ROCPRIM_400000_NS6detail17trampoline_kernelINS0_13select_configILj256ELj13ELNS0_17block_load_methodE3ELS4_3ELS4_3ELNS0_20block_scan_algorithmE0ELj4294967295EEENS1_25partition_config_selectorILNS1_17partition_subalgoE4EjNS0_10empty_typeEbEEZZNS1_14partition_implILS8_4ELb0ES6_15HIP_vector_typeIjLj2EENS0_17counting_iteratorIjlEEPS9_SG_NS0_5tupleIJPjSI_NS0_16reverse_iteratorISI_EEEEENSH_IJSG_SG_SG_EEES9_SI_JZNS1_25segmented_radix_sort_implINS0_14default_configELb0EPKhPhPKlPlN2at6native12_GLOBAL__N_18offset_tEEE10hipError_tPvRmT1_PNSt15iterator_traitsIS12_E10value_typeET2_T3_PNS13_IS18_E10value_typeET4_jRbjT5_S1E_jjP12ihipStream_tbEUljE_ZNSN_ISO_Lb0ESQ_SR_ST_SU_SY_EESZ_S10_S11_S12_S16_S17_S18_S1B_S1C_jS1D_jS1E_S1E_jjS1G_bEUljE0_EEESZ_S10_S11_S18_S1C_S1E_T6_T7_T9_mT8_S1G_bDpT10_ENKUlT_T0_E_clISt17integral_constantIbLb1EES1U_EEDaS1P_S1Q_EUlS1P_E_NS1_11comp_targetILNS1_3genE0ELNS1_11target_archE4294967295ELNS1_3gpuE0ELNS1_3repE0EEENS1_30default_config_static_selectorELNS0_4arch9wavefront6targetE1EEEvS12_,"axG",@progbits,_ZN7rocprim17ROCPRIM_400000_NS6detail17trampoline_kernelINS0_13select_configILj256ELj13ELNS0_17block_load_methodE3ELS4_3ELS4_3ELNS0_20block_scan_algorithmE0ELj4294967295EEENS1_25partition_config_selectorILNS1_17partition_subalgoE4EjNS0_10empty_typeEbEEZZNS1_14partition_implILS8_4ELb0ES6_15HIP_vector_typeIjLj2EENS0_17counting_iteratorIjlEEPS9_SG_NS0_5tupleIJPjSI_NS0_16reverse_iteratorISI_EEEEENSH_IJSG_SG_SG_EEES9_SI_JZNS1_25segmented_radix_sort_implINS0_14default_configELb0EPKhPhPKlPlN2at6native12_GLOBAL__N_18offset_tEEE10hipError_tPvRmT1_PNSt15iterator_traitsIS12_E10value_typeET2_T3_PNS13_IS18_E10value_typeET4_jRbjT5_S1E_jjP12ihipStream_tbEUljE_ZNSN_ISO_Lb0ESQ_SR_ST_SU_SY_EESZ_S10_S11_S12_S16_S17_S18_S1B_S1C_jS1D_jS1E_S1E_jjS1G_bEUljE0_EEESZ_S10_S11_S18_S1C_S1E_T6_T7_T9_mT8_S1G_bDpT10_ENKUlT_T0_E_clISt17integral_constantIbLb1EES1U_EEDaS1P_S1Q_EUlS1P_E_NS1_11comp_targetILNS1_3genE0ELNS1_11target_archE4294967295ELNS1_3gpuE0ELNS1_3repE0EEENS1_30default_config_static_selectorELNS0_4arch9wavefront6targetE1EEEvS12_,comdat
	.globl	_ZN7rocprim17ROCPRIM_400000_NS6detail17trampoline_kernelINS0_13select_configILj256ELj13ELNS0_17block_load_methodE3ELS4_3ELS4_3ELNS0_20block_scan_algorithmE0ELj4294967295EEENS1_25partition_config_selectorILNS1_17partition_subalgoE4EjNS0_10empty_typeEbEEZZNS1_14partition_implILS8_4ELb0ES6_15HIP_vector_typeIjLj2EENS0_17counting_iteratorIjlEEPS9_SG_NS0_5tupleIJPjSI_NS0_16reverse_iteratorISI_EEEEENSH_IJSG_SG_SG_EEES9_SI_JZNS1_25segmented_radix_sort_implINS0_14default_configELb0EPKhPhPKlPlN2at6native12_GLOBAL__N_18offset_tEEE10hipError_tPvRmT1_PNSt15iterator_traitsIS12_E10value_typeET2_T3_PNS13_IS18_E10value_typeET4_jRbjT5_S1E_jjP12ihipStream_tbEUljE_ZNSN_ISO_Lb0ESQ_SR_ST_SU_SY_EESZ_S10_S11_S12_S16_S17_S18_S1B_S1C_jS1D_jS1E_S1E_jjS1G_bEUljE0_EEESZ_S10_S11_S18_S1C_S1E_T6_T7_T9_mT8_S1G_bDpT10_ENKUlT_T0_E_clISt17integral_constantIbLb1EES1U_EEDaS1P_S1Q_EUlS1P_E_NS1_11comp_targetILNS1_3genE0ELNS1_11target_archE4294967295ELNS1_3gpuE0ELNS1_3repE0EEENS1_30default_config_static_selectorELNS0_4arch9wavefront6targetE1EEEvS12_ ; -- Begin function _ZN7rocprim17ROCPRIM_400000_NS6detail17trampoline_kernelINS0_13select_configILj256ELj13ELNS0_17block_load_methodE3ELS4_3ELS4_3ELNS0_20block_scan_algorithmE0ELj4294967295EEENS1_25partition_config_selectorILNS1_17partition_subalgoE4EjNS0_10empty_typeEbEEZZNS1_14partition_implILS8_4ELb0ES6_15HIP_vector_typeIjLj2EENS0_17counting_iteratorIjlEEPS9_SG_NS0_5tupleIJPjSI_NS0_16reverse_iteratorISI_EEEEENSH_IJSG_SG_SG_EEES9_SI_JZNS1_25segmented_radix_sort_implINS0_14default_configELb0EPKhPhPKlPlN2at6native12_GLOBAL__N_18offset_tEEE10hipError_tPvRmT1_PNSt15iterator_traitsIS12_E10value_typeET2_T3_PNS13_IS18_E10value_typeET4_jRbjT5_S1E_jjP12ihipStream_tbEUljE_ZNSN_ISO_Lb0ESQ_SR_ST_SU_SY_EESZ_S10_S11_S12_S16_S17_S18_S1B_S1C_jS1D_jS1E_S1E_jjS1G_bEUljE0_EEESZ_S10_S11_S18_S1C_S1E_T6_T7_T9_mT8_S1G_bDpT10_ENKUlT_T0_E_clISt17integral_constantIbLb1EES1U_EEDaS1P_S1Q_EUlS1P_E_NS1_11comp_targetILNS1_3genE0ELNS1_11target_archE4294967295ELNS1_3gpuE0ELNS1_3repE0EEENS1_30default_config_static_selectorELNS0_4arch9wavefront6targetE1EEEvS12_
	.p2align	8
	.type	_ZN7rocprim17ROCPRIM_400000_NS6detail17trampoline_kernelINS0_13select_configILj256ELj13ELNS0_17block_load_methodE3ELS4_3ELS4_3ELNS0_20block_scan_algorithmE0ELj4294967295EEENS1_25partition_config_selectorILNS1_17partition_subalgoE4EjNS0_10empty_typeEbEEZZNS1_14partition_implILS8_4ELb0ES6_15HIP_vector_typeIjLj2EENS0_17counting_iteratorIjlEEPS9_SG_NS0_5tupleIJPjSI_NS0_16reverse_iteratorISI_EEEEENSH_IJSG_SG_SG_EEES9_SI_JZNS1_25segmented_radix_sort_implINS0_14default_configELb0EPKhPhPKlPlN2at6native12_GLOBAL__N_18offset_tEEE10hipError_tPvRmT1_PNSt15iterator_traitsIS12_E10value_typeET2_T3_PNS13_IS18_E10value_typeET4_jRbjT5_S1E_jjP12ihipStream_tbEUljE_ZNSN_ISO_Lb0ESQ_SR_ST_SU_SY_EESZ_S10_S11_S12_S16_S17_S18_S1B_S1C_jS1D_jS1E_S1E_jjS1G_bEUljE0_EEESZ_S10_S11_S18_S1C_S1E_T6_T7_T9_mT8_S1G_bDpT10_ENKUlT_T0_E_clISt17integral_constantIbLb1EES1U_EEDaS1P_S1Q_EUlS1P_E_NS1_11comp_targetILNS1_3genE0ELNS1_11target_archE4294967295ELNS1_3gpuE0ELNS1_3repE0EEENS1_30default_config_static_selectorELNS0_4arch9wavefront6targetE1EEEvS12_,@function
_ZN7rocprim17ROCPRIM_400000_NS6detail17trampoline_kernelINS0_13select_configILj256ELj13ELNS0_17block_load_methodE3ELS4_3ELS4_3ELNS0_20block_scan_algorithmE0ELj4294967295EEENS1_25partition_config_selectorILNS1_17partition_subalgoE4EjNS0_10empty_typeEbEEZZNS1_14partition_implILS8_4ELb0ES6_15HIP_vector_typeIjLj2EENS0_17counting_iteratorIjlEEPS9_SG_NS0_5tupleIJPjSI_NS0_16reverse_iteratorISI_EEEEENSH_IJSG_SG_SG_EEES9_SI_JZNS1_25segmented_radix_sort_implINS0_14default_configELb0EPKhPhPKlPlN2at6native12_GLOBAL__N_18offset_tEEE10hipError_tPvRmT1_PNSt15iterator_traitsIS12_E10value_typeET2_T3_PNS13_IS18_E10value_typeET4_jRbjT5_S1E_jjP12ihipStream_tbEUljE_ZNSN_ISO_Lb0ESQ_SR_ST_SU_SY_EESZ_S10_S11_S12_S16_S17_S18_S1B_S1C_jS1D_jS1E_S1E_jjS1G_bEUljE0_EEESZ_S10_S11_S18_S1C_S1E_T6_T7_T9_mT8_S1G_bDpT10_ENKUlT_T0_E_clISt17integral_constantIbLb1EES1U_EEDaS1P_S1Q_EUlS1P_E_NS1_11comp_targetILNS1_3genE0ELNS1_11target_archE4294967295ELNS1_3gpuE0ELNS1_3repE0EEENS1_30default_config_static_selectorELNS0_4arch9wavefront6targetE1EEEvS12_: ; @_ZN7rocprim17ROCPRIM_400000_NS6detail17trampoline_kernelINS0_13select_configILj256ELj13ELNS0_17block_load_methodE3ELS4_3ELS4_3ELNS0_20block_scan_algorithmE0ELj4294967295EEENS1_25partition_config_selectorILNS1_17partition_subalgoE4EjNS0_10empty_typeEbEEZZNS1_14partition_implILS8_4ELb0ES6_15HIP_vector_typeIjLj2EENS0_17counting_iteratorIjlEEPS9_SG_NS0_5tupleIJPjSI_NS0_16reverse_iteratorISI_EEEEENSH_IJSG_SG_SG_EEES9_SI_JZNS1_25segmented_radix_sort_implINS0_14default_configELb0EPKhPhPKlPlN2at6native12_GLOBAL__N_18offset_tEEE10hipError_tPvRmT1_PNSt15iterator_traitsIS12_E10value_typeET2_T3_PNS13_IS18_E10value_typeET4_jRbjT5_S1E_jjP12ihipStream_tbEUljE_ZNSN_ISO_Lb0ESQ_SR_ST_SU_SY_EESZ_S10_S11_S12_S16_S17_S18_S1B_S1C_jS1D_jS1E_S1E_jjS1G_bEUljE0_EEESZ_S10_S11_S18_S1C_S1E_T6_T7_T9_mT8_S1G_bDpT10_ENKUlT_T0_E_clISt17integral_constantIbLb1EES1U_EEDaS1P_S1Q_EUlS1P_E_NS1_11comp_targetILNS1_3genE0ELNS1_11target_archE4294967295ELNS1_3gpuE0ELNS1_3repE0EEENS1_30default_config_static_selectorELNS0_4arch9wavefront6targetE1EEEvS12_
; %bb.0:
	.section	.rodata,"a",@progbits
	.p2align	6, 0x0
	.amdhsa_kernel _ZN7rocprim17ROCPRIM_400000_NS6detail17trampoline_kernelINS0_13select_configILj256ELj13ELNS0_17block_load_methodE3ELS4_3ELS4_3ELNS0_20block_scan_algorithmE0ELj4294967295EEENS1_25partition_config_selectorILNS1_17partition_subalgoE4EjNS0_10empty_typeEbEEZZNS1_14partition_implILS8_4ELb0ES6_15HIP_vector_typeIjLj2EENS0_17counting_iteratorIjlEEPS9_SG_NS0_5tupleIJPjSI_NS0_16reverse_iteratorISI_EEEEENSH_IJSG_SG_SG_EEES9_SI_JZNS1_25segmented_radix_sort_implINS0_14default_configELb0EPKhPhPKlPlN2at6native12_GLOBAL__N_18offset_tEEE10hipError_tPvRmT1_PNSt15iterator_traitsIS12_E10value_typeET2_T3_PNS13_IS18_E10value_typeET4_jRbjT5_S1E_jjP12ihipStream_tbEUljE_ZNSN_ISO_Lb0ESQ_SR_ST_SU_SY_EESZ_S10_S11_S12_S16_S17_S18_S1B_S1C_jS1D_jS1E_S1E_jjS1G_bEUljE0_EEESZ_S10_S11_S18_S1C_S1E_T6_T7_T9_mT8_S1G_bDpT10_ENKUlT_T0_E_clISt17integral_constantIbLb1EES1U_EEDaS1P_S1Q_EUlS1P_E_NS1_11comp_targetILNS1_3genE0ELNS1_11target_archE4294967295ELNS1_3gpuE0ELNS1_3repE0EEENS1_30default_config_static_selectorELNS0_4arch9wavefront6targetE1EEEvS12_
		.amdhsa_group_segment_fixed_size 0
		.amdhsa_private_segment_fixed_size 0
		.amdhsa_kernarg_size 184
		.amdhsa_user_sgpr_count 6
		.amdhsa_user_sgpr_private_segment_buffer 1
		.amdhsa_user_sgpr_dispatch_ptr 0
		.amdhsa_user_sgpr_queue_ptr 0
		.amdhsa_user_sgpr_kernarg_segment_ptr 1
		.amdhsa_user_sgpr_dispatch_id 0
		.amdhsa_user_sgpr_flat_scratch_init 0
		.amdhsa_user_sgpr_kernarg_preload_length 0
		.amdhsa_user_sgpr_kernarg_preload_offset 0
		.amdhsa_user_sgpr_private_segment_size 0
		.amdhsa_uses_dynamic_stack 0
		.amdhsa_system_sgpr_private_segment_wavefront_offset 0
		.amdhsa_system_sgpr_workgroup_id_x 1
		.amdhsa_system_sgpr_workgroup_id_y 0
		.amdhsa_system_sgpr_workgroup_id_z 0
		.amdhsa_system_sgpr_workgroup_info 0
		.amdhsa_system_vgpr_workitem_id 0
		.amdhsa_next_free_vgpr 1
		.amdhsa_next_free_sgpr 0
		.amdhsa_accum_offset 4
		.amdhsa_reserve_vcc 0
		.amdhsa_reserve_flat_scratch 0
		.amdhsa_float_round_mode_32 0
		.amdhsa_float_round_mode_16_64 0
		.amdhsa_float_denorm_mode_32 3
		.amdhsa_float_denorm_mode_16_64 3
		.amdhsa_dx10_clamp 1
		.amdhsa_ieee_mode 1
		.amdhsa_fp16_overflow 0
		.amdhsa_tg_split 0
		.amdhsa_exception_fp_ieee_invalid_op 0
		.amdhsa_exception_fp_denorm_src 0
		.amdhsa_exception_fp_ieee_div_zero 0
		.amdhsa_exception_fp_ieee_overflow 0
		.amdhsa_exception_fp_ieee_underflow 0
		.amdhsa_exception_fp_ieee_inexact 0
		.amdhsa_exception_int_div_zero 0
	.end_amdhsa_kernel
	.section	.text._ZN7rocprim17ROCPRIM_400000_NS6detail17trampoline_kernelINS0_13select_configILj256ELj13ELNS0_17block_load_methodE3ELS4_3ELS4_3ELNS0_20block_scan_algorithmE0ELj4294967295EEENS1_25partition_config_selectorILNS1_17partition_subalgoE4EjNS0_10empty_typeEbEEZZNS1_14partition_implILS8_4ELb0ES6_15HIP_vector_typeIjLj2EENS0_17counting_iteratorIjlEEPS9_SG_NS0_5tupleIJPjSI_NS0_16reverse_iteratorISI_EEEEENSH_IJSG_SG_SG_EEES9_SI_JZNS1_25segmented_radix_sort_implINS0_14default_configELb0EPKhPhPKlPlN2at6native12_GLOBAL__N_18offset_tEEE10hipError_tPvRmT1_PNSt15iterator_traitsIS12_E10value_typeET2_T3_PNS13_IS18_E10value_typeET4_jRbjT5_S1E_jjP12ihipStream_tbEUljE_ZNSN_ISO_Lb0ESQ_SR_ST_SU_SY_EESZ_S10_S11_S12_S16_S17_S18_S1B_S1C_jS1D_jS1E_S1E_jjS1G_bEUljE0_EEESZ_S10_S11_S18_S1C_S1E_T6_T7_T9_mT8_S1G_bDpT10_ENKUlT_T0_E_clISt17integral_constantIbLb1EES1U_EEDaS1P_S1Q_EUlS1P_E_NS1_11comp_targetILNS1_3genE0ELNS1_11target_archE4294967295ELNS1_3gpuE0ELNS1_3repE0EEENS1_30default_config_static_selectorELNS0_4arch9wavefront6targetE1EEEvS12_,"axG",@progbits,_ZN7rocprim17ROCPRIM_400000_NS6detail17trampoline_kernelINS0_13select_configILj256ELj13ELNS0_17block_load_methodE3ELS4_3ELS4_3ELNS0_20block_scan_algorithmE0ELj4294967295EEENS1_25partition_config_selectorILNS1_17partition_subalgoE4EjNS0_10empty_typeEbEEZZNS1_14partition_implILS8_4ELb0ES6_15HIP_vector_typeIjLj2EENS0_17counting_iteratorIjlEEPS9_SG_NS0_5tupleIJPjSI_NS0_16reverse_iteratorISI_EEEEENSH_IJSG_SG_SG_EEES9_SI_JZNS1_25segmented_radix_sort_implINS0_14default_configELb0EPKhPhPKlPlN2at6native12_GLOBAL__N_18offset_tEEE10hipError_tPvRmT1_PNSt15iterator_traitsIS12_E10value_typeET2_T3_PNS13_IS18_E10value_typeET4_jRbjT5_S1E_jjP12ihipStream_tbEUljE_ZNSN_ISO_Lb0ESQ_SR_ST_SU_SY_EESZ_S10_S11_S12_S16_S17_S18_S1B_S1C_jS1D_jS1E_S1E_jjS1G_bEUljE0_EEESZ_S10_S11_S18_S1C_S1E_T6_T7_T9_mT8_S1G_bDpT10_ENKUlT_T0_E_clISt17integral_constantIbLb1EES1U_EEDaS1P_S1Q_EUlS1P_E_NS1_11comp_targetILNS1_3genE0ELNS1_11target_archE4294967295ELNS1_3gpuE0ELNS1_3repE0EEENS1_30default_config_static_selectorELNS0_4arch9wavefront6targetE1EEEvS12_,comdat
.Lfunc_end130:
	.size	_ZN7rocprim17ROCPRIM_400000_NS6detail17trampoline_kernelINS0_13select_configILj256ELj13ELNS0_17block_load_methodE3ELS4_3ELS4_3ELNS0_20block_scan_algorithmE0ELj4294967295EEENS1_25partition_config_selectorILNS1_17partition_subalgoE4EjNS0_10empty_typeEbEEZZNS1_14partition_implILS8_4ELb0ES6_15HIP_vector_typeIjLj2EENS0_17counting_iteratorIjlEEPS9_SG_NS0_5tupleIJPjSI_NS0_16reverse_iteratorISI_EEEEENSH_IJSG_SG_SG_EEES9_SI_JZNS1_25segmented_radix_sort_implINS0_14default_configELb0EPKhPhPKlPlN2at6native12_GLOBAL__N_18offset_tEEE10hipError_tPvRmT1_PNSt15iterator_traitsIS12_E10value_typeET2_T3_PNS13_IS18_E10value_typeET4_jRbjT5_S1E_jjP12ihipStream_tbEUljE_ZNSN_ISO_Lb0ESQ_SR_ST_SU_SY_EESZ_S10_S11_S12_S16_S17_S18_S1B_S1C_jS1D_jS1E_S1E_jjS1G_bEUljE0_EEESZ_S10_S11_S18_S1C_S1E_T6_T7_T9_mT8_S1G_bDpT10_ENKUlT_T0_E_clISt17integral_constantIbLb1EES1U_EEDaS1P_S1Q_EUlS1P_E_NS1_11comp_targetILNS1_3genE0ELNS1_11target_archE4294967295ELNS1_3gpuE0ELNS1_3repE0EEENS1_30default_config_static_selectorELNS0_4arch9wavefront6targetE1EEEvS12_, .Lfunc_end130-_ZN7rocprim17ROCPRIM_400000_NS6detail17trampoline_kernelINS0_13select_configILj256ELj13ELNS0_17block_load_methodE3ELS4_3ELS4_3ELNS0_20block_scan_algorithmE0ELj4294967295EEENS1_25partition_config_selectorILNS1_17partition_subalgoE4EjNS0_10empty_typeEbEEZZNS1_14partition_implILS8_4ELb0ES6_15HIP_vector_typeIjLj2EENS0_17counting_iteratorIjlEEPS9_SG_NS0_5tupleIJPjSI_NS0_16reverse_iteratorISI_EEEEENSH_IJSG_SG_SG_EEES9_SI_JZNS1_25segmented_radix_sort_implINS0_14default_configELb0EPKhPhPKlPlN2at6native12_GLOBAL__N_18offset_tEEE10hipError_tPvRmT1_PNSt15iterator_traitsIS12_E10value_typeET2_T3_PNS13_IS18_E10value_typeET4_jRbjT5_S1E_jjP12ihipStream_tbEUljE_ZNSN_ISO_Lb0ESQ_SR_ST_SU_SY_EESZ_S10_S11_S12_S16_S17_S18_S1B_S1C_jS1D_jS1E_S1E_jjS1G_bEUljE0_EEESZ_S10_S11_S18_S1C_S1E_T6_T7_T9_mT8_S1G_bDpT10_ENKUlT_T0_E_clISt17integral_constantIbLb1EES1U_EEDaS1P_S1Q_EUlS1P_E_NS1_11comp_targetILNS1_3genE0ELNS1_11target_archE4294967295ELNS1_3gpuE0ELNS1_3repE0EEENS1_30default_config_static_selectorELNS0_4arch9wavefront6targetE1EEEvS12_
                                        ; -- End function
	.section	.AMDGPU.csdata,"",@progbits
; Kernel info:
; codeLenInByte = 0
; NumSgprs: 4
; NumVgprs: 0
; NumAgprs: 0
; TotalNumVgprs: 0
; ScratchSize: 0
; MemoryBound: 0
; FloatMode: 240
; IeeeMode: 1
; LDSByteSize: 0 bytes/workgroup (compile time only)
; SGPRBlocks: 0
; VGPRBlocks: 0
; NumSGPRsForWavesPerEU: 4
; NumVGPRsForWavesPerEU: 1
; AccumOffset: 4
; Occupancy: 8
; WaveLimiterHint : 0
; COMPUTE_PGM_RSRC2:SCRATCH_EN: 0
; COMPUTE_PGM_RSRC2:USER_SGPR: 6
; COMPUTE_PGM_RSRC2:TRAP_HANDLER: 0
; COMPUTE_PGM_RSRC2:TGID_X_EN: 1
; COMPUTE_PGM_RSRC2:TGID_Y_EN: 0
; COMPUTE_PGM_RSRC2:TGID_Z_EN: 0
; COMPUTE_PGM_RSRC2:TIDIG_COMP_CNT: 0
; COMPUTE_PGM_RSRC3_GFX90A:ACCUM_OFFSET: 0
; COMPUTE_PGM_RSRC3_GFX90A:TG_SPLIT: 0
	.section	.text._ZN7rocprim17ROCPRIM_400000_NS6detail17trampoline_kernelINS0_13select_configILj256ELj13ELNS0_17block_load_methodE3ELS4_3ELS4_3ELNS0_20block_scan_algorithmE0ELj4294967295EEENS1_25partition_config_selectorILNS1_17partition_subalgoE4EjNS0_10empty_typeEbEEZZNS1_14partition_implILS8_4ELb0ES6_15HIP_vector_typeIjLj2EENS0_17counting_iteratorIjlEEPS9_SG_NS0_5tupleIJPjSI_NS0_16reverse_iteratorISI_EEEEENSH_IJSG_SG_SG_EEES9_SI_JZNS1_25segmented_radix_sort_implINS0_14default_configELb0EPKhPhPKlPlN2at6native12_GLOBAL__N_18offset_tEEE10hipError_tPvRmT1_PNSt15iterator_traitsIS12_E10value_typeET2_T3_PNS13_IS18_E10value_typeET4_jRbjT5_S1E_jjP12ihipStream_tbEUljE_ZNSN_ISO_Lb0ESQ_SR_ST_SU_SY_EESZ_S10_S11_S12_S16_S17_S18_S1B_S1C_jS1D_jS1E_S1E_jjS1G_bEUljE0_EEESZ_S10_S11_S18_S1C_S1E_T6_T7_T9_mT8_S1G_bDpT10_ENKUlT_T0_E_clISt17integral_constantIbLb1EES1U_EEDaS1P_S1Q_EUlS1P_E_NS1_11comp_targetILNS1_3genE5ELNS1_11target_archE942ELNS1_3gpuE9ELNS1_3repE0EEENS1_30default_config_static_selectorELNS0_4arch9wavefront6targetE1EEEvS12_,"axG",@progbits,_ZN7rocprim17ROCPRIM_400000_NS6detail17trampoline_kernelINS0_13select_configILj256ELj13ELNS0_17block_load_methodE3ELS4_3ELS4_3ELNS0_20block_scan_algorithmE0ELj4294967295EEENS1_25partition_config_selectorILNS1_17partition_subalgoE4EjNS0_10empty_typeEbEEZZNS1_14partition_implILS8_4ELb0ES6_15HIP_vector_typeIjLj2EENS0_17counting_iteratorIjlEEPS9_SG_NS0_5tupleIJPjSI_NS0_16reverse_iteratorISI_EEEEENSH_IJSG_SG_SG_EEES9_SI_JZNS1_25segmented_radix_sort_implINS0_14default_configELb0EPKhPhPKlPlN2at6native12_GLOBAL__N_18offset_tEEE10hipError_tPvRmT1_PNSt15iterator_traitsIS12_E10value_typeET2_T3_PNS13_IS18_E10value_typeET4_jRbjT5_S1E_jjP12ihipStream_tbEUljE_ZNSN_ISO_Lb0ESQ_SR_ST_SU_SY_EESZ_S10_S11_S12_S16_S17_S18_S1B_S1C_jS1D_jS1E_S1E_jjS1G_bEUljE0_EEESZ_S10_S11_S18_S1C_S1E_T6_T7_T9_mT8_S1G_bDpT10_ENKUlT_T0_E_clISt17integral_constantIbLb1EES1U_EEDaS1P_S1Q_EUlS1P_E_NS1_11comp_targetILNS1_3genE5ELNS1_11target_archE942ELNS1_3gpuE9ELNS1_3repE0EEENS1_30default_config_static_selectorELNS0_4arch9wavefront6targetE1EEEvS12_,comdat
	.globl	_ZN7rocprim17ROCPRIM_400000_NS6detail17trampoline_kernelINS0_13select_configILj256ELj13ELNS0_17block_load_methodE3ELS4_3ELS4_3ELNS0_20block_scan_algorithmE0ELj4294967295EEENS1_25partition_config_selectorILNS1_17partition_subalgoE4EjNS0_10empty_typeEbEEZZNS1_14partition_implILS8_4ELb0ES6_15HIP_vector_typeIjLj2EENS0_17counting_iteratorIjlEEPS9_SG_NS0_5tupleIJPjSI_NS0_16reverse_iteratorISI_EEEEENSH_IJSG_SG_SG_EEES9_SI_JZNS1_25segmented_radix_sort_implINS0_14default_configELb0EPKhPhPKlPlN2at6native12_GLOBAL__N_18offset_tEEE10hipError_tPvRmT1_PNSt15iterator_traitsIS12_E10value_typeET2_T3_PNS13_IS18_E10value_typeET4_jRbjT5_S1E_jjP12ihipStream_tbEUljE_ZNSN_ISO_Lb0ESQ_SR_ST_SU_SY_EESZ_S10_S11_S12_S16_S17_S18_S1B_S1C_jS1D_jS1E_S1E_jjS1G_bEUljE0_EEESZ_S10_S11_S18_S1C_S1E_T6_T7_T9_mT8_S1G_bDpT10_ENKUlT_T0_E_clISt17integral_constantIbLb1EES1U_EEDaS1P_S1Q_EUlS1P_E_NS1_11comp_targetILNS1_3genE5ELNS1_11target_archE942ELNS1_3gpuE9ELNS1_3repE0EEENS1_30default_config_static_selectorELNS0_4arch9wavefront6targetE1EEEvS12_ ; -- Begin function _ZN7rocprim17ROCPRIM_400000_NS6detail17trampoline_kernelINS0_13select_configILj256ELj13ELNS0_17block_load_methodE3ELS4_3ELS4_3ELNS0_20block_scan_algorithmE0ELj4294967295EEENS1_25partition_config_selectorILNS1_17partition_subalgoE4EjNS0_10empty_typeEbEEZZNS1_14partition_implILS8_4ELb0ES6_15HIP_vector_typeIjLj2EENS0_17counting_iteratorIjlEEPS9_SG_NS0_5tupleIJPjSI_NS0_16reverse_iteratorISI_EEEEENSH_IJSG_SG_SG_EEES9_SI_JZNS1_25segmented_radix_sort_implINS0_14default_configELb0EPKhPhPKlPlN2at6native12_GLOBAL__N_18offset_tEEE10hipError_tPvRmT1_PNSt15iterator_traitsIS12_E10value_typeET2_T3_PNS13_IS18_E10value_typeET4_jRbjT5_S1E_jjP12ihipStream_tbEUljE_ZNSN_ISO_Lb0ESQ_SR_ST_SU_SY_EESZ_S10_S11_S12_S16_S17_S18_S1B_S1C_jS1D_jS1E_S1E_jjS1G_bEUljE0_EEESZ_S10_S11_S18_S1C_S1E_T6_T7_T9_mT8_S1G_bDpT10_ENKUlT_T0_E_clISt17integral_constantIbLb1EES1U_EEDaS1P_S1Q_EUlS1P_E_NS1_11comp_targetILNS1_3genE5ELNS1_11target_archE942ELNS1_3gpuE9ELNS1_3repE0EEENS1_30default_config_static_selectorELNS0_4arch9wavefront6targetE1EEEvS12_
	.p2align	8
	.type	_ZN7rocprim17ROCPRIM_400000_NS6detail17trampoline_kernelINS0_13select_configILj256ELj13ELNS0_17block_load_methodE3ELS4_3ELS4_3ELNS0_20block_scan_algorithmE0ELj4294967295EEENS1_25partition_config_selectorILNS1_17partition_subalgoE4EjNS0_10empty_typeEbEEZZNS1_14partition_implILS8_4ELb0ES6_15HIP_vector_typeIjLj2EENS0_17counting_iteratorIjlEEPS9_SG_NS0_5tupleIJPjSI_NS0_16reverse_iteratorISI_EEEEENSH_IJSG_SG_SG_EEES9_SI_JZNS1_25segmented_radix_sort_implINS0_14default_configELb0EPKhPhPKlPlN2at6native12_GLOBAL__N_18offset_tEEE10hipError_tPvRmT1_PNSt15iterator_traitsIS12_E10value_typeET2_T3_PNS13_IS18_E10value_typeET4_jRbjT5_S1E_jjP12ihipStream_tbEUljE_ZNSN_ISO_Lb0ESQ_SR_ST_SU_SY_EESZ_S10_S11_S12_S16_S17_S18_S1B_S1C_jS1D_jS1E_S1E_jjS1G_bEUljE0_EEESZ_S10_S11_S18_S1C_S1E_T6_T7_T9_mT8_S1G_bDpT10_ENKUlT_T0_E_clISt17integral_constantIbLb1EES1U_EEDaS1P_S1Q_EUlS1P_E_NS1_11comp_targetILNS1_3genE5ELNS1_11target_archE942ELNS1_3gpuE9ELNS1_3repE0EEENS1_30default_config_static_selectorELNS0_4arch9wavefront6targetE1EEEvS12_,@function
_ZN7rocprim17ROCPRIM_400000_NS6detail17trampoline_kernelINS0_13select_configILj256ELj13ELNS0_17block_load_methodE3ELS4_3ELS4_3ELNS0_20block_scan_algorithmE0ELj4294967295EEENS1_25partition_config_selectorILNS1_17partition_subalgoE4EjNS0_10empty_typeEbEEZZNS1_14partition_implILS8_4ELb0ES6_15HIP_vector_typeIjLj2EENS0_17counting_iteratorIjlEEPS9_SG_NS0_5tupleIJPjSI_NS0_16reverse_iteratorISI_EEEEENSH_IJSG_SG_SG_EEES9_SI_JZNS1_25segmented_radix_sort_implINS0_14default_configELb0EPKhPhPKlPlN2at6native12_GLOBAL__N_18offset_tEEE10hipError_tPvRmT1_PNSt15iterator_traitsIS12_E10value_typeET2_T3_PNS13_IS18_E10value_typeET4_jRbjT5_S1E_jjP12ihipStream_tbEUljE_ZNSN_ISO_Lb0ESQ_SR_ST_SU_SY_EESZ_S10_S11_S12_S16_S17_S18_S1B_S1C_jS1D_jS1E_S1E_jjS1G_bEUljE0_EEESZ_S10_S11_S18_S1C_S1E_T6_T7_T9_mT8_S1G_bDpT10_ENKUlT_T0_E_clISt17integral_constantIbLb1EES1U_EEDaS1P_S1Q_EUlS1P_E_NS1_11comp_targetILNS1_3genE5ELNS1_11target_archE942ELNS1_3gpuE9ELNS1_3repE0EEENS1_30default_config_static_selectorELNS0_4arch9wavefront6targetE1EEEvS12_: ; @_ZN7rocprim17ROCPRIM_400000_NS6detail17trampoline_kernelINS0_13select_configILj256ELj13ELNS0_17block_load_methodE3ELS4_3ELS4_3ELNS0_20block_scan_algorithmE0ELj4294967295EEENS1_25partition_config_selectorILNS1_17partition_subalgoE4EjNS0_10empty_typeEbEEZZNS1_14partition_implILS8_4ELb0ES6_15HIP_vector_typeIjLj2EENS0_17counting_iteratorIjlEEPS9_SG_NS0_5tupleIJPjSI_NS0_16reverse_iteratorISI_EEEEENSH_IJSG_SG_SG_EEES9_SI_JZNS1_25segmented_radix_sort_implINS0_14default_configELb0EPKhPhPKlPlN2at6native12_GLOBAL__N_18offset_tEEE10hipError_tPvRmT1_PNSt15iterator_traitsIS12_E10value_typeET2_T3_PNS13_IS18_E10value_typeET4_jRbjT5_S1E_jjP12ihipStream_tbEUljE_ZNSN_ISO_Lb0ESQ_SR_ST_SU_SY_EESZ_S10_S11_S12_S16_S17_S18_S1B_S1C_jS1D_jS1E_S1E_jjS1G_bEUljE0_EEESZ_S10_S11_S18_S1C_S1E_T6_T7_T9_mT8_S1G_bDpT10_ENKUlT_T0_E_clISt17integral_constantIbLb1EES1U_EEDaS1P_S1Q_EUlS1P_E_NS1_11comp_targetILNS1_3genE5ELNS1_11target_archE942ELNS1_3gpuE9ELNS1_3repE0EEENS1_30default_config_static_selectorELNS0_4arch9wavefront6targetE1EEEvS12_
; %bb.0:
	.section	.rodata,"a",@progbits
	.p2align	6, 0x0
	.amdhsa_kernel _ZN7rocprim17ROCPRIM_400000_NS6detail17trampoline_kernelINS0_13select_configILj256ELj13ELNS0_17block_load_methodE3ELS4_3ELS4_3ELNS0_20block_scan_algorithmE0ELj4294967295EEENS1_25partition_config_selectorILNS1_17partition_subalgoE4EjNS0_10empty_typeEbEEZZNS1_14partition_implILS8_4ELb0ES6_15HIP_vector_typeIjLj2EENS0_17counting_iteratorIjlEEPS9_SG_NS0_5tupleIJPjSI_NS0_16reverse_iteratorISI_EEEEENSH_IJSG_SG_SG_EEES9_SI_JZNS1_25segmented_radix_sort_implINS0_14default_configELb0EPKhPhPKlPlN2at6native12_GLOBAL__N_18offset_tEEE10hipError_tPvRmT1_PNSt15iterator_traitsIS12_E10value_typeET2_T3_PNS13_IS18_E10value_typeET4_jRbjT5_S1E_jjP12ihipStream_tbEUljE_ZNSN_ISO_Lb0ESQ_SR_ST_SU_SY_EESZ_S10_S11_S12_S16_S17_S18_S1B_S1C_jS1D_jS1E_S1E_jjS1G_bEUljE0_EEESZ_S10_S11_S18_S1C_S1E_T6_T7_T9_mT8_S1G_bDpT10_ENKUlT_T0_E_clISt17integral_constantIbLb1EES1U_EEDaS1P_S1Q_EUlS1P_E_NS1_11comp_targetILNS1_3genE5ELNS1_11target_archE942ELNS1_3gpuE9ELNS1_3repE0EEENS1_30default_config_static_selectorELNS0_4arch9wavefront6targetE1EEEvS12_
		.amdhsa_group_segment_fixed_size 0
		.amdhsa_private_segment_fixed_size 0
		.amdhsa_kernarg_size 184
		.amdhsa_user_sgpr_count 6
		.amdhsa_user_sgpr_private_segment_buffer 1
		.amdhsa_user_sgpr_dispatch_ptr 0
		.amdhsa_user_sgpr_queue_ptr 0
		.amdhsa_user_sgpr_kernarg_segment_ptr 1
		.amdhsa_user_sgpr_dispatch_id 0
		.amdhsa_user_sgpr_flat_scratch_init 0
		.amdhsa_user_sgpr_kernarg_preload_length 0
		.amdhsa_user_sgpr_kernarg_preload_offset 0
		.amdhsa_user_sgpr_private_segment_size 0
		.amdhsa_uses_dynamic_stack 0
		.amdhsa_system_sgpr_private_segment_wavefront_offset 0
		.amdhsa_system_sgpr_workgroup_id_x 1
		.amdhsa_system_sgpr_workgroup_id_y 0
		.amdhsa_system_sgpr_workgroup_id_z 0
		.amdhsa_system_sgpr_workgroup_info 0
		.amdhsa_system_vgpr_workitem_id 0
		.amdhsa_next_free_vgpr 1
		.amdhsa_next_free_sgpr 0
		.amdhsa_accum_offset 4
		.amdhsa_reserve_vcc 0
		.amdhsa_reserve_flat_scratch 0
		.amdhsa_float_round_mode_32 0
		.amdhsa_float_round_mode_16_64 0
		.amdhsa_float_denorm_mode_32 3
		.amdhsa_float_denorm_mode_16_64 3
		.amdhsa_dx10_clamp 1
		.amdhsa_ieee_mode 1
		.amdhsa_fp16_overflow 0
		.amdhsa_tg_split 0
		.amdhsa_exception_fp_ieee_invalid_op 0
		.amdhsa_exception_fp_denorm_src 0
		.amdhsa_exception_fp_ieee_div_zero 0
		.amdhsa_exception_fp_ieee_overflow 0
		.amdhsa_exception_fp_ieee_underflow 0
		.amdhsa_exception_fp_ieee_inexact 0
		.amdhsa_exception_int_div_zero 0
	.end_amdhsa_kernel
	.section	.text._ZN7rocprim17ROCPRIM_400000_NS6detail17trampoline_kernelINS0_13select_configILj256ELj13ELNS0_17block_load_methodE3ELS4_3ELS4_3ELNS0_20block_scan_algorithmE0ELj4294967295EEENS1_25partition_config_selectorILNS1_17partition_subalgoE4EjNS0_10empty_typeEbEEZZNS1_14partition_implILS8_4ELb0ES6_15HIP_vector_typeIjLj2EENS0_17counting_iteratorIjlEEPS9_SG_NS0_5tupleIJPjSI_NS0_16reverse_iteratorISI_EEEEENSH_IJSG_SG_SG_EEES9_SI_JZNS1_25segmented_radix_sort_implINS0_14default_configELb0EPKhPhPKlPlN2at6native12_GLOBAL__N_18offset_tEEE10hipError_tPvRmT1_PNSt15iterator_traitsIS12_E10value_typeET2_T3_PNS13_IS18_E10value_typeET4_jRbjT5_S1E_jjP12ihipStream_tbEUljE_ZNSN_ISO_Lb0ESQ_SR_ST_SU_SY_EESZ_S10_S11_S12_S16_S17_S18_S1B_S1C_jS1D_jS1E_S1E_jjS1G_bEUljE0_EEESZ_S10_S11_S18_S1C_S1E_T6_T7_T9_mT8_S1G_bDpT10_ENKUlT_T0_E_clISt17integral_constantIbLb1EES1U_EEDaS1P_S1Q_EUlS1P_E_NS1_11comp_targetILNS1_3genE5ELNS1_11target_archE942ELNS1_3gpuE9ELNS1_3repE0EEENS1_30default_config_static_selectorELNS0_4arch9wavefront6targetE1EEEvS12_,"axG",@progbits,_ZN7rocprim17ROCPRIM_400000_NS6detail17trampoline_kernelINS0_13select_configILj256ELj13ELNS0_17block_load_methodE3ELS4_3ELS4_3ELNS0_20block_scan_algorithmE0ELj4294967295EEENS1_25partition_config_selectorILNS1_17partition_subalgoE4EjNS0_10empty_typeEbEEZZNS1_14partition_implILS8_4ELb0ES6_15HIP_vector_typeIjLj2EENS0_17counting_iteratorIjlEEPS9_SG_NS0_5tupleIJPjSI_NS0_16reverse_iteratorISI_EEEEENSH_IJSG_SG_SG_EEES9_SI_JZNS1_25segmented_radix_sort_implINS0_14default_configELb0EPKhPhPKlPlN2at6native12_GLOBAL__N_18offset_tEEE10hipError_tPvRmT1_PNSt15iterator_traitsIS12_E10value_typeET2_T3_PNS13_IS18_E10value_typeET4_jRbjT5_S1E_jjP12ihipStream_tbEUljE_ZNSN_ISO_Lb0ESQ_SR_ST_SU_SY_EESZ_S10_S11_S12_S16_S17_S18_S1B_S1C_jS1D_jS1E_S1E_jjS1G_bEUljE0_EEESZ_S10_S11_S18_S1C_S1E_T6_T7_T9_mT8_S1G_bDpT10_ENKUlT_T0_E_clISt17integral_constantIbLb1EES1U_EEDaS1P_S1Q_EUlS1P_E_NS1_11comp_targetILNS1_3genE5ELNS1_11target_archE942ELNS1_3gpuE9ELNS1_3repE0EEENS1_30default_config_static_selectorELNS0_4arch9wavefront6targetE1EEEvS12_,comdat
.Lfunc_end131:
	.size	_ZN7rocprim17ROCPRIM_400000_NS6detail17trampoline_kernelINS0_13select_configILj256ELj13ELNS0_17block_load_methodE3ELS4_3ELS4_3ELNS0_20block_scan_algorithmE0ELj4294967295EEENS1_25partition_config_selectorILNS1_17partition_subalgoE4EjNS0_10empty_typeEbEEZZNS1_14partition_implILS8_4ELb0ES6_15HIP_vector_typeIjLj2EENS0_17counting_iteratorIjlEEPS9_SG_NS0_5tupleIJPjSI_NS0_16reverse_iteratorISI_EEEEENSH_IJSG_SG_SG_EEES9_SI_JZNS1_25segmented_radix_sort_implINS0_14default_configELb0EPKhPhPKlPlN2at6native12_GLOBAL__N_18offset_tEEE10hipError_tPvRmT1_PNSt15iterator_traitsIS12_E10value_typeET2_T3_PNS13_IS18_E10value_typeET4_jRbjT5_S1E_jjP12ihipStream_tbEUljE_ZNSN_ISO_Lb0ESQ_SR_ST_SU_SY_EESZ_S10_S11_S12_S16_S17_S18_S1B_S1C_jS1D_jS1E_S1E_jjS1G_bEUljE0_EEESZ_S10_S11_S18_S1C_S1E_T6_T7_T9_mT8_S1G_bDpT10_ENKUlT_T0_E_clISt17integral_constantIbLb1EES1U_EEDaS1P_S1Q_EUlS1P_E_NS1_11comp_targetILNS1_3genE5ELNS1_11target_archE942ELNS1_3gpuE9ELNS1_3repE0EEENS1_30default_config_static_selectorELNS0_4arch9wavefront6targetE1EEEvS12_, .Lfunc_end131-_ZN7rocprim17ROCPRIM_400000_NS6detail17trampoline_kernelINS0_13select_configILj256ELj13ELNS0_17block_load_methodE3ELS4_3ELS4_3ELNS0_20block_scan_algorithmE0ELj4294967295EEENS1_25partition_config_selectorILNS1_17partition_subalgoE4EjNS0_10empty_typeEbEEZZNS1_14partition_implILS8_4ELb0ES6_15HIP_vector_typeIjLj2EENS0_17counting_iteratorIjlEEPS9_SG_NS0_5tupleIJPjSI_NS0_16reverse_iteratorISI_EEEEENSH_IJSG_SG_SG_EEES9_SI_JZNS1_25segmented_radix_sort_implINS0_14default_configELb0EPKhPhPKlPlN2at6native12_GLOBAL__N_18offset_tEEE10hipError_tPvRmT1_PNSt15iterator_traitsIS12_E10value_typeET2_T3_PNS13_IS18_E10value_typeET4_jRbjT5_S1E_jjP12ihipStream_tbEUljE_ZNSN_ISO_Lb0ESQ_SR_ST_SU_SY_EESZ_S10_S11_S12_S16_S17_S18_S1B_S1C_jS1D_jS1E_S1E_jjS1G_bEUljE0_EEESZ_S10_S11_S18_S1C_S1E_T6_T7_T9_mT8_S1G_bDpT10_ENKUlT_T0_E_clISt17integral_constantIbLb1EES1U_EEDaS1P_S1Q_EUlS1P_E_NS1_11comp_targetILNS1_3genE5ELNS1_11target_archE942ELNS1_3gpuE9ELNS1_3repE0EEENS1_30default_config_static_selectorELNS0_4arch9wavefront6targetE1EEEvS12_
                                        ; -- End function
	.section	.AMDGPU.csdata,"",@progbits
; Kernel info:
; codeLenInByte = 0
; NumSgprs: 4
; NumVgprs: 0
; NumAgprs: 0
; TotalNumVgprs: 0
; ScratchSize: 0
; MemoryBound: 0
; FloatMode: 240
; IeeeMode: 1
; LDSByteSize: 0 bytes/workgroup (compile time only)
; SGPRBlocks: 0
; VGPRBlocks: 0
; NumSGPRsForWavesPerEU: 4
; NumVGPRsForWavesPerEU: 1
; AccumOffset: 4
; Occupancy: 8
; WaveLimiterHint : 0
; COMPUTE_PGM_RSRC2:SCRATCH_EN: 0
; COMPUTE_PGM_RSRC2:USER_SGPR: 6
; COMPUTE_PGM_RSRC2:TRAP_HANDLER: 0
; COMPUTE_PGM_RSRC2:TGID_X_EN: 1
; COMPUTE_PGM_RSRC2:TGID_Y_EN: 0
; COMPUTE_PGM_RSRC2:TGID_Z_EN: 0
; COMPUTE_PGM_RSRC2:TIDIG_COMP_CNT: 0
; COMPUTE_PGM_RSRC3_GFX90A:ACCUM_OFFSET: 0
; COMPUTE_PGM_RSRC3_GFX90A:TG_SPLIT: 0
	.section	.text._ZN7rocprim17ROCPRIM_400000_NS6detail17trampoline_kernelINS0_13select_configILj256ELj13ELNS0_17block_load_methodE3ELS4_3ELS4_3ELNS0_20block_scan_algorithmE0ELj4294967295EEENS1_25partition_config_selectorILNS1_17partition_subalgoE4EjNS0_10empty_typeEbEEZZNS1_14partition_implILS8_4ELb0ES6_15HIP_vector_typeIjLj2EENS0_17counting_iteratorIjlEEPS9_SG_NS0_5tupleIJPjSI_NS0_16reverse_iteratorISI_EEEEENSH_IJSG_SG_SG_EEES9_SI_JZNS1_25segmented_radix_sort_implINS0_14default_configELb0EPKhPhPKlPlN2at6native12_GLOBAL__N_18offset_tEEE10hipError_tPvRmT1_PNSt15iterator_traitsIS12_E10value_typeET2_T3_PNS13_IS18_E10value_typeET4_jRbjT5_S1E_jjP12ihipStream_tbEUljE_ZNSN_ISO_Lb0ESQ_SR_ST_SU_SY_EESZ_S10_S11_S12_S16_S17_S18_S1B_S1C_jS1D_jS1E_S1E_jjS1G_bEUljE0_EEESZ_S10_S11_S18_S1C_S1E_T6_T7_T9_mT8_S1G_bDpT10_ENKUlT_T0_E_clISt17integral_constantIbLb1EES1U_EEDaS1P_S1Q_EUlS1P_E_NS1_11comp_targetILNS1_3genE4ELNS1_11target_archE910ELNS1_3gpuE8ELNS1_3repE0EEENS1_30default_config_static_selectorELNS0_4arch9wavefront6targetE1EEEvS12_,"axG",@progbits,_ZN7rocprim17ROCPRIM_400000_NS6detail17trampoline_kernelINS0_13select_configILj256ELj13ELNS0_17block_load_methodE3ELS4_3ELS4_3ELNS0_20block_scan_algorithmE0ELj4294967295EEENS1_25partition_config_selectorILNS1_17partition_subalgoE4EjNS0_10empty_typeEbEEZZNS1_14partition_implILS8_4ELb0ES6_15HIP_vector_typeIjLj2EENS0_17counting_iteratorIjlEEPS9_SG_NS0_5tupleIJPjSI_NS0_16reverse_iteratorISI_EEEEENSH_IJSG_SG_SG_EEES9_SI_JZNS1_25segmented_radix_sort_implINS0_14default_configELb0EPKhPhPKlPlN2at6native12_GLOBAL__N_18offset_tEEE10hipError_tPvRmT1_PNSt15iterator_traitsIS12_E10value_typeET2_T3_PNS13_IS18_E10value_typeET4_jRbjT5_S1E_jjP12ihipStream_tbEUljE_ZNSN_ISO_Lb0ESQ_SR_ST_SU_SY_EESZ_S10_S11_S12_S16_S17_S18_S1B_S1C_jS1D_jS1E_S1E_jjS1G_bEUljE0_EEESZ_S10_S11_S18_S1C_S1E_T6_T7_T9_mT8_S1G_bDpT10_ENKUlT_T0_E_clISt17integral_constantIbLb1EES1U_EEDaS1P_S1Q_EUlS1P_E_NS1_11comp_targetILNS1_3genE4ELNS1_11target_archE910ELNS1_3gpuE8ELNS1_3repE0EEENS1_30default_config_static_selectorELNS0_4arch9wavefront6targetE1EEEvS12_,comdat
	.globl	_ZN7rocprim17ROCPRIM_400000_NS6detail17trampoline_kernelINS0_13select_configILj256ELj13ELNS0_17block_load_methodE3ELS4_3ELS4_3ELNS0_20block_scan_algorithmE0ELj4294967295EEENS1_25partition_config_selectorILNS1_17partition_subalgoE4EjNS0_10empty_typeEbEEZZNS1_14partition_implILS8_4ELb0ES6_15HIP_vector_typeIjLj2EENS0_17counting_iteratorIjlEEPS9_SG_NS0_5tupleIJPjSI_NS0_16reverse_iteratorISI_EEEEENSH_IJSG_SG_SG_EEES9_SI_JZNS1_25segmented_radix_sort_implINS0_14default_configELb0EPKhPhPKlPlN2at6native12_GLOBAL__N_18offset_tEEE10hipError_tPvRmT1_PNSt15iterator_traitsIS12_E10value_typeET2_T3_PNS13_IS18_E10value_typeET4_jRbjT5_S1E_jjP12ihipStream_tbEUljE_ZNSN_ISO_Lb0ESQ_SR_ST_SU_SY_EESZ_S10_S11_S12_S16_S17_S18_S1B_S1C_jS1D_jS1E_S1E_jjS1G_bEUljE0_EEESZ_S10_S11_S18_S1C_S1E_T6_T7_T9_mT8_S1G_bDpT10_ENKUlT_T0_E_clISt17integral_constantIbLb1EES1U_EEDaS1P_S1Q_EUlS1P_E_NS1_11comp_targetILNS1_3genE4ELNS1_11target_archE910ELNS1_3gpuE8ELNS1_3repE0EEENS1_30default_config_static_selectorELNS0_4arch9wavefront6targetE1EEEvS12_ ; -- Begin function _ZN7rocprim17ROCPRIM_400000_NS6detail17trampoline_kernelINS0_13select_configILj256ELj13ELNS0_17block_load_methodE3ELS4_3ELS4_3ELNS0_20block_scan_algorithmE0ELj4294967295EEENS1_25partition_config_selectorILNS1_17partition_subalgoE4EjNS0_10empty_typeEbEEZZNS1_14partition_implILS8_4ELb0ES6_15HIP_vector_typeIjLj2EENS0_17counting_iteratorIjlEEPS9_SG_NS0_5tupleIJPjSI_NS0_16reverse_iteratorISI_EEEEENSH_IJSG_SG_SG_EEES9_SI_JZNS1_25segmented_radix_sort_implINS0_14default_configELb0EPKhPhPKlPlN2at6native12_GLOBAL__N_18offset_tEEE10hipError_tPvRmT1_PNSt15iterator_traitsIS12_E10value_typeET2_T3_PNS13_IS18_E10value_typeET4_jRbjT5_S1E_jjP12ihipStream_tbEUljE_ZNSN_ISO_Lb0ESQ_SR_ST_SU_SY_EESZ_S10_S11_S12_S16_S17_S18_S1B_S1C_jS1D_jS1E_S1E_jjS1G_bEUljE0_EEESZ_S10_S11_S18_S1C_S1E_T6_T7_T9_mT8_S1G_bDpT10_ENKUlT_T0_E_clISt17integral_constantIbLb1EES1U_EEDaS1P_S1Q_EUlS1P_E_NS1_11comp_targetILNS1_3genE4ELNS1_11target_archE910ELNS1_3gpuE8ELNS1_3repE0EEENS1_30default_config_static_selectorELNS0_4arch9wavefront6targetE1EEEvS12_
	.p2align	8
	.type	_ZN7rocprim17ROCPRIM_400000_NS6detail17trampoline_kernelINS0_13select_configILj256ELj13ELNS0_17block_load_methodE3ELS4_3ELS4_3ELNS0_20block_scan_algorithmE0ELj4294967295EEENS1_25partition_config_selectorILNS1_17partition_subalgoE4EjNS0_10empty_typeEbEEZZNS1_14partition_implILS8_4ELb0ES6_15HIP_vector_typeIjLj2EENS0_17counting_iteratorIjlEEPS9_SG_NS0_5tupleIJPjSI_NS0_16reverse_iteratorISI_EEEEENSH_IJSG_SG_SG_EEES9_SI_JZNS1_25segmented_radix_sort_implINS0_14default_configELb0EPKhPhPKlPlN2at6native12_GLOBAL__N_18offset_tEEE10hipError_tPvRmT1_PNSt15iterator_traitsIS12_E10value_typeET2_T3_PNS13_IS18_E10value_typeET4_jRbjT5_S1E_jjP12ihipStream_tbEUljE_ZNSN_ISO_Lb0ESQ_SR_ST_SU_SY_EESZ_S10_S11_S12_S16_S17_S18_S1B_S1C_jS1D_jS1E_S1E_jjS1G_bEUljE0_EEESZ_S10_S11_S18_S1C_S1E_T6_T7_T9_mT8_S1G_bDpT10_ENKUlT_T0_E_clISt17integral_constantIbLb1EES1U_EEDaS1P_S1Q_EUlS1P_E_NS1_11comp_targetILNS1_3genE4ELNS1_11target_archE910ELNS1_3gpuE8ELNS1_3repE0EEENS1_30default_config_static_selectorELNS0_4arch9wavefront6targetE1EEEvS12_,@function
_ZN7rocprim17ROCPRIM_400000_NS6detail17trampoline_kernelINS0_13select_configILj256ELj13ELNS0_17block_load_methodE3ELS4_3ELS4_3ELNS0_20block_scan_algorithmE0ELj4294967295EEENS1_25partition_config_selectorILNS1_17partition_subalgoE4EjNS0_10empty_typeEbEEZZNS1_14partition_implILS8_4ELb0ES6_15HIP_vector_typeIjLj2EENS0_17counting_iteratorIjlEEPS9_SG_NS0_5tupleIJPjSI_NS0_16reverse_iteratorISI_EEEEENSH_IJSG_SG_SG_EEES9_SI_JZNS1_25segmented_radix_sort_implINS0_14default_configELb0EPKhPhPKlPlN2at6native12_GLOBAL__N_18offset_tEEE10hipError_tPvRmT1_PNSt15iterator_traitsIS12_E10value_typeET2_T3_PNS13_IS18_E10value_typeET4_jRbjT5_S1E_jjP12ihipStream_tbEUljE_ZNSN_ISO_Lb0ESQ_SR_ST_SU_SY_EESZ_S10_S11_S12_S16_S17_S18_S1B_S1C_jS1D_jS1E_S1E_jjS1G_bEUljE0_EEESZ_S10_S11_S18_S1C_S1E_T6_T7_T9_mT8_S1G_bDpT10_ENKUlT_T0_E_clISt17integral_constantIbLb1EES1U_EEDaS1P_S1Q_EUlS1P_E_NS1_11comp_targetILNS1_3genE4ELNS1_11target_archE910ELNS1_3gpuE8ELNS1_3repE0EEENS1_30default_config_static_selectorELNS0_4arch9wavefront6targetE1EEEvS12_: ; @_ZN7rocprim17ROCPRIM_400000_NS6detail17trampoline_kernelINS0_13select_configILj256ELj13ELNS0_17block_load_methodE3ELS4_3ELS4_3ELNS0_20block_scan_algorithmE0ELj4294967295EEENS1_25partition_config_selectorILNS1_17partition_subalgoE4EjNS0_10empty_typeEbEEZZNS1_14partition_implILS8_4ELb0ES6_15HIP_vector_typeIjLj2EENS0_17counting_iteratorIjlEEPS9_SG_NS0_5tupleIJPjSI_NS0_16reverse_iteratorISI_EEEEENSH_IJSG_SG_SG_EEES9_SI_JZNS1_25segmented_radix_sort_implINS0_14default_configELb0EPKhPhPKlPlN2at6native12_GLOBAL__N_18offset_tEEE10hipError_tPvRmT1_PNSt15iterator_traitsIS12_E10value_typeET2_T3_PNS13_IS18_E10value_typeET4_jRbjT5_S1E_jjP12ihipStream_tbEUljE_ZNSN_ISO_Lb0ESQ_SR_ST_SU_SY_EESZ_S10_S11_S12_S16_S17_S18_S1B_S1C_jS1D_jS1E_S1E_jjS1G_bEUljE0_EEESZ_S10_S11_S18_S1C_S1E_T6_T7_T9_mT8_S1G_bDpT10_ENKUlT_T0_E_clISt17integral_constantIbLb1EES1U_EEDaS1P_S1Q_EUlS1P_E_NS1_11comp_targetILNS1_3genE4ELNS1_11target_archE910ELNS1_3gpuE8ELNS1_3repE0EEENS1_30default_config_static_selectorELNS0_4arch9wavefront6targetE1EEEvS12_
; %bb.0:
	s_load_dwordx2 s[48:49], s[4:5], 0x10
	s_load_dwordx4 s[44:47], s[4:5], 0x28
	s_load_dwordx2 s[34:35], s[4:5], 0x38
	s_load_dwordx4 s[28:31], s[4:5], 0x58
	s_load_dwordx2 s[2:3], s[4:5], 0x68
	s_load_dwordx2 s[50:51], s[4:5], 0x78
	;; [unrolled: 1-line block ×3, first 2 shown]
	s_load_dwordx8 s[36:43], s[4:5], 0x90
	v_cmp_eq_u32_e64 s[0:1], 0, v0
	s_and_saveexec_b64 s[6:7], s[0:1]
	s_cbranch_execz .LBB132_4
; %bb.1:
	s_mov_b64 s[10:11], exec
	v_mbcnt_lo_u32_b32 v1, s10, 0
	v_mbcnt_hi_u32_b32 v1, s11, v1
	v_cmp_eq_u32_e32 vcc, 0, v1
                                        ; implicit-def: $vgpr2
	s_and_saveexec_b64 s[8:9], vcc
	s_cbranch_execz .LBB132_3
; %bb.2:
	s_load_dwordx2 s[12:13], s[4:5], 0x88
	s_bcnt1_i32_b64 s10, s[10:11]
	v_mov_b32_e32 v2, 0
	v_mov_b32_e32 v3, s10
	s_waitcnt lgkmcnt(0)
	global_atomic_add v2, v2, v3, s[12:13] glc
.LBB132_3:
	s_or_b64 exec, exec, s[8:9]
	s_waitcnt vmcnt(0)
	v_readfirstlane_b32 s8, v2
	v_add_u32_e32 v1, s8, v1
	v_mov_b32_e32 v2, 0
	ds_write_b32 v2, v1
.LBB132_4:
	s_or_b64 exec, exec, s[6:7]
	v_mov_b32_e32 v1, 0
	s_load_dword s7, s[4:5], 0x8
	s_load_dword s6, s[4:5], 0x80
	s_waitcnt lgkmcnt(0)
	s_barrier
	ds_read_b32 v8, v1
	s_waitcnt lgkmcnt(0)
	s_barrier
	global_load_dwordx4 v[2:5], v1, s[30:31]
	v_mov_b32_e32 v7, s3
	s_movk_i32 s3, 0xd00
	s_add_i32 s8, s7, s48
	v_mul_lo_u32 v34, v8, s3
	s_add_i32 s7, s6, -1
	s_mul_i32 s3, s6, 0xd00
	s_add_u32 s4, s48, s3
	v_readfirstlane_b32 s33, v8
	s_addc_u32 s5, s49, 0
	s_cmp_eq_u32 s33, s7
	v_mov_b32_e32 v6, s2
	s_cselect_b64 s[30:31], -1, 0
	s_cmp_lg_u32 s33, s7
	v_cmp_lt_u64_e32 vcc, s[4:5], v[6:7]
	s_cselect_b64 s[4:5], -1, 0
	s_or_b64 s[4:5], vcc, s[4:5]
	v_add_u32_e32 v1, s8, v34
	s_mov_b64 s[6:7], -1
	s_and_b64 vcc, exec, s[4:5]
	v_add_u32_e32 v1, v1, v0
	s_cbranch_vccz .LBB132_6
; %bb.5:
	v_add_u32_e32 v6, 0x100, v1
	v_lshlrev_b32_e32 v18, 2, v0
	v_add_u32_e32 v7, 0x200, v1
	v_add_u32_e32 v8, 0x300, v1
	;; [unrolled: 1-line block ×11, first 2 shown]
	ds_write2st64_b32 v18, v1, v6 offset1:4
	ds_write2st64_b32 v18, v7, v8 offset0:8 offset1:12
	ds_write2st64_b32 v18, v9, v10 offset0:16 offset1:20
	;; [unrolled: 1-line block ×5, first 2 shown]
	ds_write_b32 v18, v17 offset:12288
	s_waitcnt lgkmcnt(0)
	s_barrier
	s_mov_b64 s[6:7], 0
.LBB132_6:
	s_andn2_b64 vcc, exec, s[6:7]
	s_add_i32 s3, s3, s48
	s_cbranch_vccnz .LBB132_8
; %bb.7:
	v_add_u32_e32 v6, 0x100, v1
	v_lshlrev_b32_e32 v18, 2, v0
	v_add_u32_e32 v7, 0x200, v1
	v_add_u32_e32 v8, 0x300, v1
	;; [unrolled: 1-line block ×11, first 2 shown]
	ds_write2st64_b32 v18, v1, v6 offset1:4
	ds_write2st64_b32 v18, v7, v8 offset0:8 offset1:12
	ds_write2st64_b32 v18, v9, v10 offset0:16 offset1:20
	;; [unrolled: 1-line block ×5, first 2 shown]
	ds_write_b32 v18, v17 offset:12288
	s_waitcnt lgkmcnt(0)
	s_barrier
.LBB132_8:
	v_mul_u32_u24_e32 v36, 13, v0
	v_lshlrev_b32_e32 v1, 2, v36
	ds_read2_b32 v[22:23], v1 offset1:1
	ds_read2_b32 v[20:21], v1 offset0:2 offset1:3
	ds_read2_b32 v[18:19], v1 offset0:4 offset1:5
	;; [unrolled: 1-line block ×5, first 2 shown]
	ds_read_b32 v35, v1 offset:48
	v_cndmask_b32_e64 v1, 0, 1, s[4:5]
	s_sub_i32 s86, s2, s3
	v_cmp_ne_u32_e64 s[2:3], 1, v1
	s_andn2_b64 vcc, exec, s[4:5]
	s_waitcnt lgkmcnt(0)
	s_barrier
	s_cbranch_vccnz .LBB132_36
; %bb.9:
	v_add_u32_e32 v1, s37, v22
	v_add_u32_e32 v6, s39, v22
	v_mul_lo_u32 v1, v1, s36
	v_mul_lo_u32 v6, v6, s38
	v_sub_u32_e32 v1, v1, v6
	v_cmp_lt_u32_e32 vcc, s40, v1
	v_cmp_ge_u32_e64 s[4:5], s40, v1
	s_mov_b64 s[60:61], 0
	s_mov_b64 s[58:59], 0
	s_and_saveexec_b64 s[6:7], s[4:5]
; %bb.10:
	v_add_u32_e32 v1, s42, v22
	v_add_u32_e32 v6, s56, v22
	v_mul_lo_u32 v1, v1, s41
	v_mul_lo_u32 v6, v6, s43
	v_sub_u32_e32 v1, v1, v6
	v_cmp_lt_u32_e64 s[4:5], s57, v1
	s_and_b64 s[58:59], s[4:5], exec
; %bb.11:
	s_or_b64 exec, exec, s[6:7]
	v_add_u32_e32 v1, s37, v23
	v_add_u32_e32 v6, s39, v23
	v_mul_lo_u32 v1, v1, s36
	v_mul_lo_u32 v6, v6, s38
	v_sub_u32_e32 v1, v1, v6
	v_cmp_lt_u32_e64 s[4:5], s40, v1
	v_cmp_ge_u32_e64 s[6:7], s40, v1
	s_and_saveexec_b64 s[8:9], s[6:7]
; %bb.12:
	v_add_u32_e32 v1, s42, v23
	v_add_u32_e32 v6, s56, v23
	v_mul_lo_u32 v1, v1, s41
	v_mul_lo_u32 v6, v6, s43
	v_sub_u32_e32 v1, v1, v6
	v_cmp_lt_u32_e64 s[6:7], s57, v1
	s_and_b64 s[60:61], s[6:7], exec
; %bb.13:
	s_or_b64 exec, exec, s[8:9]
	v_add_u32_e32 v1, s37, v20
	v_add_u32_e32 v6, s39, v20
	v_mul_lo_u32 v1, v1, s36
	v_mul_lo_u32 v6, v6, s38
	v_sub_u32_e32 v1, v1, v6
	v_cmp_lt_u32_e64 s[6:7], s40, v1
	v_cmp_ge_u32_e64 s[8:9], s40, v1
	s_mov_b64 s[64:65], 0
	s_mov_b64 s[62:63], 0
	s_and_saveexec_b64 s[10:11], s[8:9]
; %bb.14:
	v_add_u32_e32 v1, s42, v20
	v_add_u32_e32 v6, s56, v20
	v_mul_lo_u32 v1, v1, s41
	v_mul_lo_u32 v6, v6, s43
	v_sub_u32_e32 v1, v1, v6
	v_cmp_lt_u32_e64 s[8:9], s57, v1
	s_and_b64 s[62:63], s[8:9], exec
; %bb.15:
	s_or_b64 exec, exec, s[10:11]
	v_add_u32_e32 v1, s37, v21
	v_add_u32_e32 v6, s39, v21
	v_mul_lo_u32 v1, v1, s36
	v_mul_lo_u32 v6, v6, s38
	v_sub_u32_e32 v1, v1, v6
	v_cmp_lt_u32_e64 s[8:9], s40, v1
	v_cmp_ge_u32_e64 s[10:11], s40, v1
	s_and_saveexec_b64 s[12:13], s[10:11]
; %bb.16:
	v_add_u32_e32 v1, s42, v21
	v_add_u32_e32 v6, s56, v21
	v_mul_lo_u32 v1, v1, s41
	v_mul_lo_u32 v6, v6, s43
	v_sub_u32_e32 v1, v1, v6
	v_cmp_lt_u32_e64 s[10:11], s57, v1
	s_and_b64 s[64:65], s[10:11], exec
; %bb.17:
	s_or_b64 exec, exec, s[12:13]
	v_add_u32_e32 v1, s37, v18
	v_add_u32_e32 v6, s39, v18
	v_mul_lo_u32 v1, v1, s36
	v_mul_lo_u32 v6, v6, s38
	v_sub_u32_e32 v1, v1, v6
	v_cmp_lt_u32_e64 s[10:11], s40, v1
	;; [unrolled: 38-line block ×5, first 2 shown]
	v_cmp_ge_u32_e64 s[24:25], s40, v1
	s_mov_b64 s[80:81], 0
	s_mov_b64 s[82:83], 0
	s_and_saveexec_b64 s[26:27], s[24:25]
; %bb.30:
	v_add_u32_e32 v1, s42, v12
	v_add_u32_e32 v6, s56, v12
	v_mul_lo_u32 v1, v1, s41
	v_mul_lo_u32 v6, v6, s43
	v_sub_u32_e32 v1, v1, v6
	v_cmp_lt_u32_e64 s[24:25], s57, v1
	s_and_b64 s[82:83], s[24:25], exec
; %bb.31:
	s_or_b64 exec, exec, s[26:27]
	v_add_u32_e32 v1, s37, v13
	v_add_u32_e32 v6, s39, v13
	v_mul_lo_u32 v1, v1, s36
	v_mul_lo_u32 v6, v6, s38
	v_sub_u32_e32 v1, v1, v6
	v_cmp_lt_u32_e64 s[24:25], s40, v1
	v_cmp_ge_u32_e64 s[26:27], s40, v1
	s_and_saveexec_b64 s[52:53], s[26:27]
; %bb.32:
	v_add_u32_e32 v1, s42, v13
	v_add_u32_e32 v6, s56, v13
	v_mul_lo_u32 v1, v1, s41
	v_mul_lo_u32 v6, v6, s43
	v_sub_u32_e32 v1, v1, v6
	v_cmp_lt_u32_e64 s[26:27], s57, v1
	s_and_b64 s[80:81], s[26:27], exec
; %bb.33:
	s_or_b64 exec, exec, s[52:53]
	v_add_u32_e32 v1, s37, v35
	v_add_u32_e32 v6, s39, v35
	v_mul_lo_u32 v1, v1, s36
	v_mul_lo_u32 v6, v6, s38
	v_sub_u32_e32 v1, v1, v6
	v_cmp_ge_u32_e64 s[26:27], s40, v1
	s_mov_b64 s[52:53], -1
	s_mov_b64 s[74:75], 0
	s_mov_b64 s[54:55], 0
	s_and_saveexec_b64 s[84:85], s[26:27]
; %bb.34:
	v_add_u32_e32 v1, s42, v35
	v_add_u32_e32 v6, s56, v35
	v_mul_lo_u32 v1, v1, s41
	v_mul_lo_u32 v6, v6, s43
	v_sub_u32_e32 v1, v1, v6
	v_cmp_lt_u32_e64 s[26:27], s57, v1
	s_and_b64 s[54:55], s[26:27], exec
	s_xor_b64 s[52:53], exec, -1
; %bb.35:
	s_or_b64 exec, exec, s[84:85]
	v_cndmask_b32_e64 v57, 0, 1, s[82:83]
	v_cndmask_b32_e64 v60, 0, 1, s[24:25]
	;; [unrolled: 1-line block ×22, first 2 shown]
	v_cndmask_b32_e64 v37, 0, 1, vcc
	v_cndmask_b32_e64 v59, 0, 1, s[80:81]
	s_add_i32 s16, s86, 0xd00
	s_and_b64 vcc, exec, s[74:75]
	s_cbranch_vccnz .LBB132_37
	s_branch .LBB132_90
.LBB132_36:
                                        ; implicit-def: $sgpr52_sgpr53
                                        ; implicit-def: $sgpr54_sgpr55
                                        ; implicit-def: $vgpr59
                                        ; implicit-def: $vgpr57
                                        ; implicit-def: $vgpr55
                                        ; implicit-def: $vgpr53
                                        ; implicit-def: $vgpr51
                                        ; implicit-def: $vgpr49
                                        ; implicit-def: $vgpr47
                                        ; implicit-def: $vgpr45
                                        ; implicit-def: $vgpr43
                                        ; implicit-def: $vgpr37
                                        ; implicit-def: $vgpr39
                                        ; implicit-def: $vgpr41
                                        ; implicit-def: $vgpr44
                                        ; implicit-def: $vgpr46
                                        ; implicit-def: $vgpr48
                                        ; implicit-def: $vgpr50
                                        ; implicit-def: $vgpr52
                                        ; implicit-def: $vgpr54
                                        ; implicit-def: $vgpr56
                                        ; implicit-def: $vgpr58
                                        ; implicit-def: $vgpr60
                                        ; implicit-def: $vgpr38
                                        ; implicit-def: $vgpr40
                                        ; implicit-def: $vgpr42
	s_add_i32 s16, s86, 0xd00
	s_cbranch_execz .LBB132_90
.LBB132_37:
	v_cmp_gt_u32_e32 vcc, s16, v36
	v_mov_b32_e32 v38, 0
	v_mov_b32_e32 v37, 0
	s_and_saveexec_b64 s[6:7], vcc
	s_cbranch_execz .LBB132_41
; %bb.38:
	v_add_u32_e32 v1, s37, v22
	v_add_u32_e32 v6, s39, v22
	v_mul_lo_u32 v1, v1, s36
	v_mul_lo_u32 v6, v6, s38
	v_sub_u32_e32 v1, v1, v6
	v_cmp_lt_u32_e32 vcc, s40, v1
	v_cmp_ge_u32_e64 s[4:5], s40, v1
	s_mov_b64 s[10:11], 0
	s_and_saveexec_b64 s[8:9], s[4:5]
; %bb.39:
	v_add_u32_e32 v1, s42, v22
	v_add_u32_e32 v6, s56, v22
	v_mul_lo_u32 v1, v1, s41
	v_mul_lo_u32 v6, v6, s43
	v_sub_u32_e32 v1, v1, v6
	v_cmp_lt_u32_e64 s[4:5], s57, v1
	s_and_b64 s[10:11], s[4:5], exec
; %bb.40:
	s_or_b64 exec, exec, s[8:9]
	v_cndmask_b32_e64 v37, 0, 1, vcc
	v_cndmask_b32_e64 v38, 0, 1, s[10:11]
.LBB132_41:
	s_or_b64 exec, exec, s[6:7]
	v_add_u32_e32 v1, 1, v36
	v_cmp_gt_u32_e32 vcc, s16, v1
	v_mov_b32_e32 v39, 0
	v_mov_b32_e32 v40, 0
	s_and_saveexec_b64 s[6:7], vcc
	s_cbranch_execz .LBB132_45
; %bb.42:
	v_add_u32_e32 v1, s37, v23
	v_add_u32_e32 v6, s39, v23
	v_mul_lo_u32 v1, v1, s36
	v_mul_lo_u32 v6, v6, s38
	v_sub_u32_e32 v1, v1, v6
	v_cmp_lt_u32_e32 vcc, s40, v1
	v_cmp_ge_u32_e64 s[4:5], s40, v1
	s_mov_b64 s[10:11], 0
	s_and_saveexec_b64 s[8:9], s[4:5]
; %bb.43:
	v_add_u32_e32 v1, s42, v23
	v_add_u32_e32 v6, s56, v23
	v_mul_lo_u32 v1, v1, s41
	v_mul_lo_u32 v6, v6, s43
	v_sub_u32_e32 v1, v1, v6
	v_cmp_lt_u32_e64 s[4:5], s57, v1
	s_and_b64 s[10:11], s[4:5], exec
; %bb.44:
	s_or_b64 exec, exec, s[8:9]
	v_cndmask_b32_e64 v39, 0, 1, vcc
	v_cndmask_b32_e64 v40, 0, 1, s[10:11]
.LBB132_45:
	s_or_b64 exec, exec, s[6:7]
	v_add_u32_e32 v1, 2, v36
	;; [unrolled: 30-line block ×12, first 2 shown]
	v_cmp_gt_u32_e32 vcc, s16, v1
	s_mov_b64 s[52:53], 0
	s_mov_b64 s[54:55], 0
	s_and_saveexec_b64 s[4:5], vcc
	s_cbranch_execz .LBB132_89
; %bb.86:
	v_add_u32_e32 v1, s37, v35
	v_add_u32_e32 v6, s39, v35
	v_mul_lo_u32 v1, v1, s36
	v_mul_lo_u32 v6, v6, s38
	v_sub_u32_e32 v1, v1, v6
	v_cmp_ge_u32_e32 vcc, s40, v1
	s_mov_b64 s[8:9], -1
	s_mov_b64 s[10:11], 0
	s_and_saveexec_b64 s[6:7], vcc
; %bb.87:
	v_add_u32_e32 v1, s42, v35
	v_add_u32_e32 v6, s56, v35
	v_mul_lo_u32 v1, v1, s41
	v_mul_lo_u32 v6, v6, s43
	v_sub_u32_e32 v1, v1, v6
	v_cmp_lt_u32_e32 vcc, s57, v1
	s_and_b64 s[10:11], vcc, exec
	s_xor_b64 s[8:9], exec, -1
; %bb.88:
	s_or_b64 exec, exec, s[6:7]
	s_and_b64 s[54:55], s[10:11], exec
	s_and_b64 s[52:53], s[8:9], exec
.LBB132_89:
	s_or_b64 exec, exec, s[4:5]
.LBB132_90:
	v_and_b32_e32 v68, 0xff, v38
	v_and_b32_e32 v79, 0xff, v40
	;; [unrolled: 1-line block ×5, first 2 shown]
	v_add3_u32 v6, v79, v70, v68
	v_and_b32_e32 v81, 0xff, v47
	v_and_b32_e32 v74, 0xff, v49
	v_add3_u32 v6, v6, v80, v72
	v_and_b32_e32 v67, 0xff, v37
	v_and_b32_e32 v61, 0xff, v39
	;; [unrolled: 1-line block ×5, first 2 shown]
	v_add3_u32 v6, v6, v81, v74
	v_and_b32_e32 v62, 0xff, v44
	v_and_b32_e32 v71, 0xff, v46
	;; [unrolled: 1-line block ×4, first 2 shown]
	v_add3_u32 v7, v61, v69, v67
	v_add3_u32 v6, v6, v82, v76
	v_and_b32_e32 v63, 0xff, v48
	v_and_b32_e32 v73, 0xff, v50
	;; [unrolled: 1-line block ×3, first 2 shown]
	v_cndmask_b32_e64 v1, 0, 1, s[54:55]
	v_add3_u32 v7, v7, v62, v71
	v_add3_u32 v6, v6, v83, v78
	v_and_b32_e32 v64, 0xff, v52
	v_and_b32_e32 v75, 0xff, v54
	v_add3_u32 v7, v7, v63, v73
	v_add3_u32 v91, v6, v84, v1
	v_mbcnt_lo_u32_b32 v1, -1, 0
	v_and_b32_e32 v65, 0xff, v56
	v_and_b32_e32 v77, 0xff, v58
	v_add3_u32 v7, v7, v64, v75
	v_mbcnt_hi_u32_b32 v85, -1, v1
	v_and_b32_e32 v66, 0xff, v60
	v_add3_u32 v7, v7, v65, v77
	v_cndmask_b32_e64 v8, 0, 1, s[52:53]
	v_and_b32_e32 v89, 15, v85
	s_cmp_lg_u32 s33, 0
	v_add3_u32 v90, v7, v66, v8
	v_cmp_eq_u32_e64 s[6:7], 0, v89
	v_cmp_lt_u32_e64 s[4:5], 1, v89
	v_cmp_lt_u32_e64 s[10:11], 3, v89
	;; [unrolled: 1-line block ×3, first 2 shown]
	v_and_b32_e32 v88, 16, v85
	v_cmp_lt_u32_e32 vcc, 31, v85
	v_lshrrev_b32_e32 v86, 6, v0
	v_or_b32_e32 v87, 63, v0
	s_cbranch_scc0 .LBB132_123
; %bb.91:
	v_mov_b32_dpp v1, v90 row_shr:1 row_mask:0xf bank_mask:0xf
	v_mov_b32_dpp v6, v91 row_shr:1 row_mask:0xf bank_mask:0xf
	v_add_u32_e32 v1, v1, v90
	v_add_u32_e32 v6, v6, v91
	v_cndmask_b32_e64 v6, v6, v91, s[6:7]
	v_cndmask_b32_e64 v1, v1, v90, s[6:7]
	s_nop 0
	v_mov_b32_dpp v8, v6 row_shr:2 row_mask:0xf bank_mask:0xf
	v_mov_b32_dpp v7, v1 row_shr:2 row_mask:0xf bank_mask:0xf
	v_add_u32_e32 v7, v1, v7
	v_add_u32_e32 v8, v6, v8
	v_cndmask_b32_e64 v6, v6, v8, s[4:5]
	v_cndmask_b32_e64 v1, v1, v7, s[4:5]
	s_nop 0
	;; [unrolled: 7-line block ×3, first 2 shown]
	v_mov_b32_dpp v8, v6 row_shr:8 row_mask:0xf bank_mask:0xf
	v_mov_b32_dpp v7, v1 row_shr:8 row_mask:0xf bank_mask:0xf
	v_add_u32_e32 v7, v1, v7
	v_add_u32_e32 v8, v6, v8
	v_cndmask_b32_e64 v6, v6, v8, s[8:9]
	v_cndmask_b32_e64 v1, v1, v7, s[8:9]
	v_cmp_eq_u32_e64 s[8:9], 0, v88
	v_mov_b32_dpp v8, v6 row_bcast:15 row_mask:0xf bank_mask:0xf
	v_mov_b32_dpp v7, v1 row_bcast:15 row_mask:0xf bank_mask:0xf
	v_add_u32_e32 v7, v1, v7
	v_add_u32_e32 v8, v6, v8
	v_cndmask_b32_e64 v6, v8, v6, s[8:9]
	v_cndmask_b32_e64 v1, v7, v1, s[8:9]
	s_nop 0
	v_mov_b32_dpp v8, v6 row_bcast:31 row_mask:0xf bank_mask:0xf
	v_mov_b32_dpp v7, v1 row_bcast:31 row_mask:0xf bank_mask:0xf
	v_add_u32_e32 v8, v6, v8
	v_add_u32_e32 v9, v1, v7
	v_cndmask_b32_e32 v7, v6, v8, vcc
	v_cndmask_b32_e32 v6, v1, v9, vcc
	v_cmp_eq_u32_e32 vcc, v87, v0
	s_and_saveexec_b64 s[8:9], vcc
	s_cbranch_execz .LBB132_93
; %bb.92:
	v_lshlrev_b32_e32 v1, 3, v86
	ds_write_b64 v1, v[6:7]
.LBB132_93:
	s_or_b64 exec, exec, s[8:9]
	v_cmp_gt_u32_e32 vcc, 4, v0
	s_waitcnt lgkmcnt(0)
	s_barrier
	s_and_saveexec_b64 s[8:9], vcc
	s_cbranch_execz .LBB132_95
; %bb.94:
	v_lshlrev_b32_e32 v1, 3, v0
	ds_read_b64 v[8:9], v1
	v_and_b32_e32 v10, 3, v85
	v_cmp_eq_u32_e32 vcc, 0, v10
	s_waitcnt lgkmcnt(0)
	v_mov_b32_dpp v11, v8 row_shr:1 row_mask:0xf bank_mask:0xf
	v_mov_b32_dpp v24, v9 row_shr:1 row_mask:0xf bank_mask:0xf
	v_add_u32_e32 v11, v11, v8
	v_add_u32_e32 v24, v24, v9
	v_cndmask_b32_e32 v9, v24, v9, vcc
	v_cndmask_b32_e32 v8, v11, v8, vcc
	v_cmp_lt_u32_e32 vcc, 1, v10
	v_mov_b32_dpp v24, v9 row_shr:2 row_mask:0xf bank_mask:0xf
	v_mov_b32_dpp v11, v8 row_shr:2 row_mask:0xf bank_mask:0xf
	v_cndmask_b32_e32 v10, 0, v11, vcc
	v_cndmask_b32_e32 v11, 0, v24, vcc
	v_add_u32_e32 v9, v11, v9
	v_add_u32_e32 v8, v10, v8
	ds_write_b64 v1, v[8:9]
.LBB132_95:
	s_or_b64 exec, exec, s[8:9]
	v_cmp_gt_u32_e32 vcc, 64, v0
	v_cmp_lt_u32_e64 s[8:9], 63, v0
	s_waitcnt lgkmcnt(0)
	s_barrier
	s_waitcnt lgkmcnt(0)
                                        ; implicit-def: $vgpr25
	s_and_saveexec_b64 s[10:11], s[8:9]
	s_xor_b64 s[8:9], exec, s[10:11]
	s_cbranch_execz .LBB132_97
; %bb.96:
	v_lshl_add_u32 v1, v86, 3, -8
	ds_read_b64 v[24:25], v1
	s_waitcnt lgkmcnt(0)
	v_add_u32_e32 v7, v25, v7
	v_add_u32_e32 v6, v24, v6
.LBB132_97:
	s_andn2_saveexec_b64 s[8:9], s[8:9]
; %bb.98:
                                        ; implicit-def: $vgpr24
; %bb.99:
	s_or_b64 exec, exec, s[8:9]
	v_add_u32_e32 v1, -1, v85
	v_and_b32_e32 v8, 64, v85
	v_cmp_lt_i32_e64 s[8:9], v1, v8
	v_cndmask_b32_e64 v1, v1, v85, s[8:9]
	v_lshlrev_b32_e32 v8, 2, v1
	ds_bpermute_b32 v1, v8, v6
	ds_bpermute_b32 v92, v8, v7
	v_cmp_eq_u32_e64 s[8:9], 0, v85
	s_and_saveexec_b64 s[10:11], vcc
	s_cbranch_execz .LBB132_122
; %bb.100:
	v_mov_b32_e32 v11, 0
	ds_read_b64 v[26:27], v11 offset:24
	s_and_saveexec_b64 s[12:13], s[8:9]
	s_cbranch_execz .LBB132_102
; %bb.101:
	s_add_i32 s14, s33, 64
	s_mov_b32 s15, 0
	s_lshl_b64 s[14:15], s[14:15], 4
	s_waitcnt lgkmcnt(0)
	v_and_b32_e32 v6, 0xff000000, v27
	v_and_b32_e32 v7, 0xff0000, v27
	s_add_u32 s14, s50, s14
	v_or_b32_e32 v6, v7, v6
	v_and_b32_e32 v7, 0xff00, v27
	s_addc_u32 s15, s51, s15
	v_or_b32_e32 v6, v6, v7
	v_or_b32_sdwa v9, v6, v27 dst_sel:DWORD dst_unused:UNUSED_PAD src0_sel:DWORD src1_sel:BYTE_0
	v_mov_b32_e32 v10, 1
	v_mov_b32_e32 v8, v26
	v_pk_mov_b32 v[6:7], s[14:15], s[14:15] op_sel:[0,1]
	;;#ASMSTART
	global_store_dwordx4 v[6:7], v[8:11] off	
s_waitcnt vmcnt(0)
	;;#ASMEND
.LBB132_102:
	s_or_b64 exec, exec, s[12:13]
	v_xad_u32 v28, v85, -1, s33
	v_add_u32_e32 v10, 64, v28
	v_lshlrev_b64 v[6:7], 4, v[10:11]
	v_mov_b32_e32 v8, s51
	v_add_co_u32_e32 v30, vcc, s50, v6
	v_addc_co_u32_e32 v31, vcc, v8, v7, vcc
	;;#ASMSTART
	global_load_dwordx4 v[6:9], v[30:31] off glc	
s_waitcnt vmcnt(0)
	;;#ASMEND
	v_and_b32_e32 v9, 0xff, v7
	v_and_b32_e32 v10, 0xff00, v7
	v_or3_b32 v9, 0, v9, v10
	v_or3_b32 v6, v6, 0, 0
	v_and_b32_e32 v10, 0xff000000, v7
	v_and_b32_e32 v7, 0xff0000, v7
	v_or3_b32 v7, v9, v7, v10
	v_or3_b32 v6, v6, 0, 0
	v_cmp_eq_u16_sdwa s[14:15], v8, v11 src0_sel:BYTE_0 src1_sel:DWORD
	s_and_saveexec_b64 s[12:13], s[14:15]
	s_cbranch_execz .LBB132_108
; %bb.103:
	s_mov_b32 s17, 1
	s_mov_b64 s[14:15], 0
	v_mov_b32_e32 v10, 0
.LBB132_104:                            ; =>This Loop Header: Depth=1
                                        ;     Child Loop BB132_105 Depth 2
	s_max_u32 s18, s17, 1
.LBB132_105:                            ;   Parent Loop BB132_104 Depth=1
                                        ; =>  This Inner Loop Header: Depth=2
	s_add_i32 s18, s18, -1
	s_cmp_eq_u32 s18, 0
	s_sleep 1
	s_cbranch_scc0 .LBB132_105
; %bb.106:                              ;   in Loop: Header=BB132_104 Depth=1
	s_cmp_lt_u32 s17, 32
	s_cselect_b64 s[18:19], -1, 0
	s_cmp_lg_u64 s[18:19], 0
	s_addc_u32 s17, s17, 0
	;;#ASMSTART
	global_load_dwordx4 v[6:9], v[30:31] off glc	
s_waitcnt vmcnt(0)
	;;#ASMEND
	v_cmp_ne_u16_sdwa s[18:19], v8, v10 src0_sel:BYTE_0 src1_sel:DWORD
	s_or_b64 s[14:15], s[18:19], s[14:15]
	s_andn2_b64 exec, exec, s[14:15]
	s_cbranch_execnz .LBB132_104
; %bb.107:
	s_or_b64 exec, exec, s[14:15]
.LBB132_108:
	s_or_b64 exec, exec, s[12:13]
	v_and_b32_e32 v94, 63, v85
	v_cmp_ne_u32_e32 vcc, 63, v94
	v_mov_b32_e32 v93, 2
	v_addc_co_u32_e32 v30, vcc, 0, v85, vcc
	v_cmp_eq_u16_sdwa s[12:13], v8, v93 src0_sel:BYTE_0 src1_sel:DWORD
	v_lshlrev_b64 v[10:11], v85, -1
	v_lshlrev_b32_e32 v95, 2, v30
	v_and_b32_e32 v9, s13, v11
	ds_bpermute_b32 v30, v95, v6
	ds_bpermute_b32 v31, v95, v7
	v_or_b32_e32 v9, 0x80000000, v9
	v_and_b32_e32 v29, s12, v10
	v_ffbl_b32_e32 v9, v9
	v_add_u32_e32 v9, 32, v9
	v_ffbl_b32_e32 v29, v29
	v_min_u32_e32 v9, v29, v9
	s_waitcnt lgkmcnt(1)
	v_add_u32_e32 v29, v30, v6
	s_waitcnt lgkmcnt(0)
	v_add_u32_e32 v30, v31, v7
	v_cmp_lt_u32_e32 vcc, v94, v9
	v_cndmask_b32_e32 v7, v7, v30, vcc
	v_cndmask_b32_e32 v6, v6, v29, vcc
	v_cmp_gt_u32_e32 vcc, 62, v94
	v_cndmask_b32_e64 v29, 0, 1, vcc
	v_lshlrev_b32_e32 v29, 1, v29
	v_add_lshl_u32 v96, v29, v85, 2
	ds_bpermute_b32 v29, v96, v6
	ds_bpermute_b32 v30, v96, v7
	v_add_u32_e32 v97, 2, v94
	v_cmp_gt_u32_e32 vcc, v97, v9
	v_add_u32_e32 v99, 4, v94
	s_waitcnt lgkmcnt(1)
	v_add_u32_e32 v29, v6, v29
	s_waitcnt lgkmcnt(0)
	v_add_u32_e32 v30, v7, v30
	v_cndmask_b32_e32 v7, v30, v7, vcc
	v_cndmask_b32_e32 v6, v29, v6, vcc
	v_cmp_gt_u32_e32 vcc, 60, v94
	v_cndmask_b32_e64 v29, 0, 1, vcc
	v_lshlrev_b32_e32 v29, 2, v29
	v_add_lshl_u32 v98, v29, v85, 2
	ds_bpermute_b32 v29, v98, v6
	ds_bpermute_b32 v30, v98, v7
	v_cmp_gt_u32_e32 vcc, v99, v9
	v_add_u32_e32 v101, 8, v94
	v_add_u32_e32 v103, 16, v94
	s_waitcnt lgkmcnt(1)
	v_add_u32_e32 v29, v6, v29
	s_waitcnt lgkmcnt(0)
	v_add_u32_e32 v30, v7, v30
	v_cndmask_b32_e32 v7, v30, v7, vcc
	v_cndmask_b32_e32 v6, v29, v6, vcc
	v_cmp_gt_u32_e32 vcc, 56, v94
	v_cndmask_b32_e64 v29, 0, 1, vcc
	v_lshlrev_b32_e32 v29, 3, v29
	v_add_lshl_u32 v100, v29, v85, 2
	ds_bpermute_b32 v29, v100, v6
	ds_bpermute_b32 v30, v100, v7
	v_cmp_gt_u32_e32 vcc, v101, v9
	v_add_u32_e32 v105, 32, v94
	s_waitcnt lgkmcnt(1)
	v_add_u32_e32 v29, v6, v29
	s_waitcnt lgkmcnt(0)
	v_add_u32_e32 v30, v7, v30
	v_cndmask_b32_e32 v7, v30, v7, vcc
	v_cndmask_b32_e32 v6, v29, v6, vcc
	v_cmp_gt_u32_e32 vcc, 48, v94
	v_cndmask_b32_e64 v29, 0, 1, vcc
	v_lshlrev_b32_e32 v29, 4, v29
	v_add_lshl_u32 v102, v29, v85, 2
	ds_bpermute_b32 v29, v102, v6
	ds_bpermute_b32 v30, v102, v7
	v_cmp_gt_u32_e32 vcc, v103, v9
	s_waitcnt lgkmcnt(1)
	v_add_u32_e32 v29, v6, v29
	s_waitcnt lgkmcnt(0)
	v_add_u32_e32 v30, v7, v30
	v_cndmask_b32_e32 v7, v30, v7, vcc
	v_cndmask_b32_e32 v6, v29, v6, vcc
	v_cmp_gt_u32_e32 vcc, 32, v94
	v_cndmask_b32_e64 v29, 0, 1, vcc
	v_lshlrev_b32_e32 v29, 5, v29
	v_add_lshl_u32 v104, v29, v85, 2
	ds_bpermute_b32 v29, v104, v6
	ds_bpermute_b32 v30, v104, v7
	v_cmp_le_u32_e32 vcc, v105, v9
	s_waitcnt lgkmcnt(1)
	v_cndmask_b32_e32 v9, 0, v29, vcc
	s_waitcnt lgkmcnt(0)
	v_cndmask_b32_e32 v29, 0, v30, vcc
	v_add_u32_e32 v7, v7, v29
	v_add_u32_e32 v6, v6, v9
	v_mov_b32_e32 v29, 0
	s_branch .LBB132_110
.LBB132_109:                            ;   in Loop: Header=BB132_110 Depth=1
	s_or_b64 exec, exec, s[12:13]
	v_cmp_eq_u16_sdwa s[12:13], v8, v93 src0_sel:BYTE_0 src1_sel:DWORD
	v_and_b32_e32 v9, s13, v11
	ds_bpermute_b32 v33, v95, v6
	ds_bpermute_b32 v106, v95, v7
	v_or_b32_e32 v9, 0x80000000, v9
	v_and_b32_e32 v32, s12, v10
	v_ffbl_b32_e32 v9, v9
	v_add_u32_e32 v9, 32, v9
	v_ffbl_b32_e32 v32, v32
	v_min_u32_e32 v9, v32, v9
	s_waitcnt lgkmcnt(1)
	v_add_u32_e32 v32, v33, v6
	s_waitcnt lgkmcnt(0)
	v_add_u32_e32 v33, v106, v7
	v_cmp_lt_u32_e32 vcc, v94, v9
	v_cndmask_b32_e32 v7, v7, v33, vcc
	v_cndmask_b32_e32 v6, v6, v32, vcc
	ds_bpermute_b32 v32, v96, v6
	ds_bpermute_b32 v33, v96, v7
	v_cmp_gt_u32_e32 vcc, v97, v9
	v_subrev_u32_e32 v28, 64, v28
	s_waitcnt lgkmcnt(1)
	v_add_u32_e32 v32, v6, v32
	s_waitcnt lgkmcnt(0)
	v_add_u32_e32 v33, v7, v33
	v_cndmask_b32_e32 v7, v33, v7, vcc
	v_cndmask_b32_e32 v6, v32, v6, vcc
	ds_bpermute_b32 v32, v98, v6
	ds_bpermute_b32 v33, v98, v7
	v_cmp_gt_u32_e32 vcc, v99, v9
	s_waitcnt lgkmcnt(1)
	v_add_u32_e32 v32, v6, v32
	s_waitcnt lgkmcnt(0)
	v_add_u32_e32 v33, v7, v33
	v_cndmask_b32_e32 v7, v33, v7, vcc
	v_cndmask_b32_e32 v6, v32, v6, vcc
	ds_bpermute_b32 v32, v100, v6
	ds_bpermute_b32 v33, v100, v7
	v_cmp_gt_u32_e32 vcc, v101, v9
	s_waitcnt lgkmcnt(1)
	v_add_u32_e32 v32, v6, v32
	s_waitcnt lgkmcnt(0)
	v_add_u32_e32 v33, v7, v33
	v_cndmask_b32_e32 v7, v33, v7, vcc
	v_cndmask_b32_e32 v6, v32, v6, vcc
	ds_bpermute_b32 v32, v102, v6
	ds_bpermute_b32 v33, v102, v7
	v_cmp_gt_u32_e32 vcc, v103, v9
	s_waitcnt lgkmcnt(1)
	v_add_u32_e32 v32, v6, v32
	s_waitcnt lgkmcnt(0)
	v_add_u32_e32 v33, v7, v33
	v_cndmask_b32_e32 v7, v33, v7, vcc
	v_cndmask_b32_e32 v6, v32, v6, vcc
	ds_bpermute_b32 v32, v104, v6
	ds_bpermute_b32 v33, v104, v7
	v_cmp_le_u32_e32 vcc, v105, v9
	s_waitcnt lgkmcnt(1)
	v_cndmask_b32_e32 v9, 0, v32, vcc
	s_waitcnt lgkmcnt(0)
	v_cndmask_b32_e32 v32, 0, v33, vcc
	v_add3_u32 v7, v32, v31, v7
	v_add3_u32 v6, v9, v30, v6
.LBB132_110:                            ; =>This Loop Header: Depth=1
                                        ;     Child Loop BB132_113 Depth 2
                                        ;       Child Loop BB132_114 Depth 3
	v_cmp_ne_u16_sdwa s[12:13], v8, v93 src0_sel:BYTE_0 src1_sel:DWORD
	v_cndmask_b32_e64 v8, 0, 1, s[12:13]
	;;#ASMSTART
	;;#ASMEND
	v_cmp_ne_u32_e32 vcc, 0, v8
	s_cmp_lg_u64 vcc, exec
	v_pk_mov_b32 v[30:31], v[6:7], v[6:7] op_sel:[0,1]
	s_cbranch_scc1 .LBB132_117
; %bb.111:                              ;   in Loop: Header=BB132_110 Depth=1
	v_lshlrev_b64 v[6:7], 4, v[28:29]
	v_mov_b32_e32 v8, s51
	v_add_co_u32_e32 v32, vcc, s50, v6
	v_addc_co_u32_e32 v33, vcc, v8, v7, vcc
	;;#ASMSTART
	global_load_dwordx4 v[6:9], v[32:33] off glc	
s_waitcnt vmcnt(0)
	;;#ASMEND
	v_and_b32_e32 v9, 0xff, v7
	v_and_b32_e32 v106, 0xff00, v7
	v_or3_b32 v9, 0, v9, v106
	v_or3_b32 v6, v6, 0, 0
	v_and_b32_e32 v106, 0xff000000, v7
	v_and_b32_e32 v7, 0xff0000, v7
	v_or3_b32 v7, v9, v7, v106
	v_or3_b32 v6, v6, 0, 0
	v_cmp_eq_u16_sdwa s[14:15], v8, v29 src0_sel:BYTE_0 src1_sel:DWORD
	s_and_saveexec_b64 s[12:13], s[14:15]
	s_cbranch_execz .LBB132_109
; %bb.112:                              ;   in Loop: Header=BB132_110 Depth=1
	s_mov_b32 s17, 1
	s_mov_b64 s[14:15], 0
.LBB132_113:                            ;   Parent Loop BB132_110 Depth=1
                                        ; =>  This Loop Header: Depth=2
                                        ;       Child Loop BB132_114 Depth 3
	s_max_u32 s18, s17, 1
.LBB132_114:                            ;   Parent Loop BB132_110 Depth=1
                                        ;     Parent Loop BB132_113 Depth=2
                                        ; =>    This Inner Loop Header: Depth=3
	s_add_i32 s18, s18, -1
	s_cmp_eq_u32 s18, 0
	s_sleep 1
	s_cbranch_scc0 .LBB132_114
; %bb.115:                              ;   in Loop: Header=BB132_113 Depth=2
	s_cmp_lt_u32 s17, 32
	s_cselect_b64 s[18:19], -1, 0
	s_cmp_lg_u64 s[18:19], 0
	s_addc_u32 s17, s17, 0
	;;#ASMSTART
	global_load_dwordx4 v[6:9], v[32:33] off glc	
s_waitcnt vmcnt(0)
	;;#ASMEND
	v_cmp_ne_u16_sdwa s[18:19], v8, v29 src0_sel:BYTE_0 src1_sel:DWORD
	s_or_b64 s[14:15], s[18:19], s[14:15]
	s_andn2_b64 exec, exec, s[14:15]
	s_cbranch_execnz .LBB132_113
; %bb.116:                              ;   in Loop: Header=BB132_110 Depth=1
	s_or_b64 exec, exec, s[14:15]
	s_branch .LBB132_109
.LBB132_117:                            ;   in Loop: Header=BB132_110 Depth=1
                                        ; implicit-def: $vgpr8
                                        ; implicit-def: $vgpr6_vgpr7
	s_cbranch_execz .LBB132_110
; %bb.118:
	s_and_saveexec_b64 s[12:13], s[8:9]
	s_cbranch_execz .LBB132_120
; %bb.119:
	s_add_i32 s14, s33, 64
	s_mov_b32 s15, 0
	v_add_u32_e32 v7, v31, v27
	s_lshl_b64 s[14:15], s[14:15], 4
	s_add_u32 s14, s50, s14
	v_and_b32_e32 v8, 0xff000000, v7
	v_and_b32_e32 v10, 0xff0000, v7
	s_addc_u32 s15, s51, s15
	v_or_b32_e32 v8, v10, v8
	v_and_b32_e32 v10, 0xff00, v7
	v_and_b32_e32 v7, 0xff, v7
	v_add_u32_e32 v6, v30, v26
	v_mov_b32_e32 v9, 0
	v_or3_b32 v7, v8, v10, v7
	v_mov_b32_e32 v8, 2
	v_pk_mov_b32 v[10:11], s[14:15], s[14:15] op_sel:[0,1]
	;;#ASMSTART
	global_store_dwordx4 v[10:11], v[6:9] off	
s_waitcnt vmcnt(0)
	;;#ASMEND
	s_movk_i32 s14, 0x3400
	v_add_u32_e64 v6, s14, 0
	ds_write2_b32 v6, v26, v27 offset1:2
	ds_write2_b32 v6, v30, v31 offset0:4 offset1:6
.LBB132_120:
	s_or_b64 exec, exec, s[12:13]
	s_and_b64 exec, exec, s[0:1]
	s_cbranch_execz .LBB132_122
; %bb.121:
	v_mov_b32_e32 v6, 0
	ds_write_b64 v6, v[30:31] offset:24
.LBB132_122:
	s_or_b64 exec, exec, s[10:11]
	v_mov_b32_e32 v6, 0
	s_waitcnt lgkmcnt(0)
	s_barrier
	ds_read_b64 v[10:11], v6 offset:24
	v_cndmask_b32_e64 v25, v92, v25, s[8:9]
	v_cndmask_b32_e64 v1, v1, v24, s[8:9]
	s_movk_i32 s8, 0x3400
	s_waitcnt lgkmcnt(0)
	v_add_u32_e32 v24, v10, v1
	v_add_u32_e64 v1, s8, 0
	s_barrier
	ds_read2_b32 v[6:7], v1 offset1:2
	ds_read2_b32 v[8:9], v1 offset0:4 offset1:6
	v_add_u32_e32 v1, v11, v25
	v_cndmask_b32_e64 v1, v1, v11, s[0:1]
	v_cndmask_b32_e64 v10, v24, v10, s[0:1]
	s_branch .LBB132_133
.LBB132_123:
                                        ; implicit-def: $vgpr1
                                        ; implicit-def: $vgpr8
                                        ; implicit-def: $vgpr6
                                        ; implicit-def: $vgpr10_vgpr11
	s_cbranch_execz .LBB132_133
; %bb.124:
	s_nop 0
	v_mov_b32_dpp v1, v90 row_shr:1 row_mask:0xf bank_mask:0xf
	s_waitcnt lgkmcnt(1)
	v_mov_b32_dpp v6, v91 row_shr:1 row_mask:0xf bank_mask:0xf
	v_add_u32_e32 v1, v1, v90
	v_add_u32_e32 v6, v6, v91
	v_cndmask_b32_e64 v6, v6, v91, s[6:7]
	v_cndmask_b32_e64 v1, v1, v90, s[6:7]
	v_cmp_lt_u32_e32 vcc, 3, v89
	s_waitcnt lgkmcnt(0)
	v_mov_b32_dpp v8, v6 row_shr:2 row_mask:0xf bank_mask:0xf
	v_mov_b32_dpp v7, v1 row_shr:2 row_mask:0xf bank_mask:0xf
	v_add_u32_e32 v7, v1, v7
	v_add_u32_e32 v8, v6, v8
	v_cndmask_b32_e64 v6, v6, v8, s[4:5]
	v_cndmask_b32_e64 v1, v1, v7, s[4:5]
	s_nop 0
	v_mov_b32_dpp v8, v6 row_shr:4 row_mask:0xf bank_mask:0xf
	v_mov_b32_dpp v7, v1 row_shr:4 row_mask:0xf bank_mask:0xf
	v_add_u32_e32 v7, v1, v7
	v_add_u32_e32 v8, v6, v8
	v_cndmask_b32_e32 v6, v6, v8, vcc
	v_cndmask_b32_e32 v1, v1, v7, vcc
	v_cmp_lt_u32_e32 vcc, 7, v89
	v_mov_b32_dpp v8, v6 row_shr:8 row_mask:0xf bank_mask:0xf
	v_mov_b32_dpp v7, v1 row_shr:8 row_mask:0xf bank_mask:0xf
	v_add_u32_e32 v7, v1, v7
	v_add_u32_e32 v8, v6, v8
	v_cndmask_b32_e32 v6, v6, v8, vcc
	v_cndmask_b32_e32 v1, v1, v7, vcc
	v_cmp_eq_u32_e32 vcc, 0, v88
	v_mov_b32_dpp v8, v6 row_bcast:15 row_mask:0xf bank_mask:0xf
	v_mov_b32_dpp v7, v1 row_bcast:15 row_mask:0xf bank_mask:0xf
	v_add_u32_e32 v7, v1, v7
	v_add_u32_e32 v8, v6, v8
	v_cndmask_b32_e32 v6, v8, v6, vcc
	v_cndmask_b32_e32 v1, v7, v1, vcc
	v_cmp_lt_u32_e32 vcc, 31, v85
	v_mov_b32_dpp v8, v6 row_bcast:31 row_mask:0xf bank_mask:0xf
	v_mov_b32_dpp v7, v1 row_bcast:31 row_mask:0xf bank_mask:0xf
	v_add_u32_e32 v8, v6, v8
	v_add_u32_e32 v9, v1, v7
	v_cndmask_b32_e32 v7, v6, v8, vcc
	v_cndmask_b32_e32 v6, v1, v9, vcc
	v_cmp_eq_u32_e32 vcc, v87, v0
	s_and_saveexec_b64 s[4:5], vcc
	s_cbranch_execz .LBB132_126
; %bb.125:
	v_lshlrev_b32_e32 v1, 3, v86
	ds_write_b64 v1, v[6:7]
.LBB132_126:
	s_or_b64 exec, exec, s[4:5]
	v_cmp_gt_u32_e32 vcc, 4, v0
	s_waitcnt lgkmcnt(0)
	s_barrier
	s_and_saveexec_b64 s[4:5], vcc
	s_cbranch_execz .LBB132_128
; %bb.127:
	v_lshlrev_b32_e32 v1, 3, v0
	ds_read_b64 v[8:9], v1
	v_and_b32_e32 v10, 3, v85
	v_cmp_eq_u32_e32 vcc, 0, v10
	s_waitcnt lgkmcnt(0)
	v_mov_b32_dpp v11, v8 row_shr:1 row_mask:0xf bank_mask:0xf
	v_mov_b32_dpp v24, v9 row_shr:1 row_mask:0xf bank_mask:0xf
	v_add_u32_e32 v11, v11, v8
	v_add_u32_e32 v24, v24, v9
	v_cndmask_b32_e32 v9, v24, v9, vcc
	v_cndmask_b32_e32 v8, v11, v8, vcc
	v_cmp_lt_u32_e32 vcc, 1, v10
	v_mov_b32_dpp v24, v9 row_shr:2 row_mask:0xf bank_mask:0xf
	v_mov_b32_dpp v11, v8 row_shr:2 row_mask:0xf bank_mask:0xf
	v_cndmask_b32_e32 v10, 0, v11, vcc
	v_cndmask_b32_e32 v11, 0, v24, vcc
	v_add_u32_e32 v9, v11, v9
	v_add_u32_e32 v8, v10, v8
	ds_write_b64 v1, v[8:9]
.LBB132_128:
	s_or_b64 exec, exec, s[4:5]
	v_cmp_lt_u32_e32 vcc, 63, v0
	v_mov_b32_e32 v8, 0
	v_mov_b32_e32 v10, 0
	;; [unrolled: 1-line block ×3, first 2 shown]
	s_waitcnt lgkmcnt(0)
	s_barrier
	s_and_saveexec_b64 s[4:5], vcc
	s_cbranch_execz .LBB132_130
; %bb.129:
	v_lshl_add_u32 v1, v86, 3, -8
	ds_read_b64 v[10:11], v1
.LBB132_130:
	s_or_b64 exec, exec, s[4:5]
	s_waitcnt lgkmcnt(0)
	v_add_u32_e32 v9, v11, v7
	v_add_u32_e32 v1, v10, v6
	v_add_u32_e32 v6, -1, v85
	v_and_b32_e32 v7, 64, v85
	v_cmp_lt_i32_e32 vcc, v6, v7
	v_cndmask_b32_e32 v6, v6, v85, vcc
	v_lshlrev_b32_e32 v24, 2, v6
	ds_read_b64 v[6:7], v8 offset:24
	ds_bpermute_b32 v1, v24, v1
	ds_bpermute_b32 v24, v24, v9
	s_waitcnt lgkmcnt(2)
	v_readfirstlane_b32 s6, v7
	s_and_saveexec_b64 s[4:5], s[0:1]
	s_cbranch_execz .LBB132_132
; %bb.131:
	s_add_u32 s8, s50, 0x400
	s_mov_b32 s10, 0
	s_addc_u32 s9, s51, 0
	s_and_b32 s11, s6, 0xff000000
	s_and_b32 s13, s6, 0xff0000
	s_mov_b32 s12, s10
	s_or_b64 s[12:13], s[12:13], s[10:11]
	s_and_b32 s11, s6, 0xff00
	s_or_b64 s[12:13], s[12:13], s[10:11]
	s_and_b32 s11, s6, 0xff
	s_or_b64 s[10:11], s[12:13], s[10:11]
	v_mov_b32_e32 v7, s11
	v_mov_b32_e32 v8, 2
	;; [unrolled: 1-line block ×3, first 2 shown]
	v_pk_mov_b32 v[26:27], s[8:9], s[8:9] op_sel:[0,1]
	;;#ASMSTART
	global_store_dwordx4 v[26:27], v[6:9] off	
s_waitcnt vmcnt(0)
	;;#ASMEND
.LBB132_132:
	s_or_b64 exec, exec, s[4:5]
	v_cmp_eq_u32_e32 vcc, 0, v85
	s_waitcnt lgkmcnt(1)
	v_cndmask_b32_e32 v7, v1, v10, vcc
	s_waitcnt lgkmcnt(0)
	v_cndmask_b32_e32 v1, v24, v11, vcc
	v_mov_b32_e32 v8, 0
	v_cndmask_b32_e64 v1, v1, 0, s[0:1]
	v_cndmask_b32_e64 v10, v7, 0, s[0:1]
	s_barrier
	v_mov_b32_e32 v7, s6
	v_mov_b32_e32 v9, 0
.LBB132_133:
	v_add_u32_e32 v11, v10, v67
	v_add_u32_e32 v26, v1, v68
	;; [unrolled: 1-line block ×13, first 2 shown]
	s_waitcnt vmcnt(0) lgkmcnt(0)
	v_add_co_u32_e32 v2, vcc, v2, v8
	v_add_u32_e32 v68, v62, v74
	v_add_u32_e32 v64, v67, v64
	v_addc_co_u32_e32 v3, vcc, 0, v3, vcc
	v_add_u32_e32 v69, v68, v82
	v_add_u32_e32 v70, v64, v75
	v_sub_co_u32_e32 v24, vcc, v4, v6
	v_add_u32_e32 v71, v69, v76
	v_add_u32_e32 v65, v70, v65
	v_subbrev_co_u32_e32 v25, vcc, 0, v5, vcc
	v_lshlrev_b32_e32 v76, 1, v6
	v_sub_u32_e32 v1, v1, v9
	v_add_u32_e32 v73, v65, v77
	v_add_co_u32_e32 v24, vcc, v24, v9
	v_add_u32_e32 v77, v76, v7
	v_sub_u32_e32 v10, v10, v8
	v_add_u32_e32 v1, v1, v6
	v_addc_co_u32_e32 v25, vcc, 0, v25, vcc
	v_add_u32_e32 v36, v77, v36
	v_and_b32_e32 v38, 1, v38
	v_add_u32_e32 v77, v10, v1
	v_and_b32_e32 v37, 1, v37
	v_sub_u32_e32 v77, v36, v77
	v_cmp_eq_u32_e32 vcc, 1, v38
	v_cndmask_b32_e32 v1, v77, v1, vcc
	v_cmp_eq_u32_e32 vcc, 1, v37
	v_cndmask_b32_e32 v1, v1, v10, vcc
	v_lshlrev_b32_e32 v1, 2, v1
	ds_write_b32 v1, v22
	v_sub_u32_e32 v1, v11, v8
	v_sub_u32_e32 v11, v26, v9
	v_add_u32_e32 v11, v11, v6
	v_add_u32_e32 v26, v11, v1
	v_and_b32_e32 v22, 1, v40
	v_sub_u32_e32 v26, v36, v26
	v_and_b32_e32 v10, 1, v39
	v_add_u32_e32 v26, 1, v26
	v_cmp_eq_u32_e32 vcc, 1, v22
	v_cndmask_b32_e32 v11, v26, v11, vcc
	v_cmp_eq_u32_e32 vcc, 1, v10
	v_cndmask_b32_e32 v1, v11, v1, vcc
	v_lshlrev_b32_e32 v1, 2, v1
	v_sub_u32_e32 v11, v27, v9
	ds_write_b32 v1, v23
	v_sub_u32_e32 v1, v28, v8
	v_add_u32_e32 v11, v11, v6
	v_add_u32_e32 v23, v11, v1
	v_and_b32_e32 v22, 1, v42
	v_sub_u32_e32 v23, v36, v23
	v_and_b32_e32 v10, 1, v41
	v_add_u32_e32 v23, 2, v23
	v_cmp_eq_u32_e32 vcc, 1, v22
	v_cndmask_b32_e32 v11, v23, v11, vcc
	v_cmp_eq_u32_e32 vcc, 1, v10
	v_cndmask_b32_e32 v1, v11, v1, vcc
	v_lshlrev_b32_e32 v1, 2, v1
	v_sub_u32_e32 v11, v30, v9
	ds_write_b32 v1, v20
	;; [unrolled: 14-line block ×8, first 2 shown]
	v_sub_u32_e32 v1, v70, v8
	v_add_u32_e32 v11, v11, v6
	v_add_u32_e32 v16, v1, v11
	v_and_b32_e32 v14, 1, v55
	v_sub_u32_e32 v16, v36, v16
	v_and_b32_e32 v10, 1, v56
	v_add_u32_e32 v16, 9, v16
	v_cmp_eq_u32_e32 vcc, 1, v14
	v_cndmask_b32_e32 v11, v16, v11, vcc
	v_cmp_eq_u32_e32 vcc, 1, v10
	v_add_u32_e32 v72, v71, v83
	v_cndmask_b32_e32 v1, v11, v1, vcc
	v_lshlrev_b32_e32 v1, 2, v1
	v_sub_u32_e32 v11, v72, v9
	ds_write_b32 v1, v15
	v_sub_u32_e32 v1, v65, v8
	v_add_u32_e32 v11, v11, v6
	v_add_u32_e32 v15, v1, v11
	v_and_b32_e32 v14, 1, v57
	v_sub_u32_e32 v15, v36, v15
	v_and_b32_e32 v10, 1, v58
	v_add_u32_e32 v15, 10, v15
	v_cmp_eq_u32_e32 vcc, 1, v14
	v_cndmask_b32_e32 v11, v15, v11, vcc
	v_cmp_eq_u32_e32 vcc, 1, v10
	v_add_u32_e32 v74, v72, v78
	v_cndmask_b32_e32 v1, v11, v1, vcc
	v_lshlrev_b32_e32 v1, 2, v1
	v_sub_u32_e32 v11, v74, v9
	ds_write_b32 v1, v12
	v_sub_u32_e32 v1, v73, v8
	v_add_u32_e32 v11, v11, v6
	v_add_u32_e32 v14, v1, v11
	v_and_b32_e32 v12, 1, v59
	v_sub_u32_e32 v14, v36, v14
	v_and_b32_e32 v10, 1, v60
	v_add_u32_e32 v14, 11, v14
	v_cmp_eq_u32_e32 vcc, 1, v12
	v_cndmask_b32_e32 v11, v14, v11, vcc
	v_cmp_eq_u32_e32 vcc, 1, v10
	v_cndmask_b32_e32 v1, v11, v1, vcc
	v_add_u32_e32 v75, v74, v84
	v_add_u32_e32 v66, v73, v66
	v_lshlrev_b32_e32 v1, 2, v1
	ds_write_b32 v1, v13
	v_sub_u32_e32 v1, v66, v8
	v_sub_u32_e32 v8, v75, v9
	v_add_u32_e32 v8, v8, v6
	v_add_u32_e32 v10, v1, v8
	v_sub_u32_e32 v10, v36, v10
	v_add_u32_e32 v10, 12, v10
	v_cndmask_b32_e64 v8, v10, v8, s[54:55]
	v_cndmask_b32_e64 v1, v8, v1, s[52:53]
	v_lshlrev_b32_e32 v1, 2, v1
	ds_write_b32 v1, v35
	v_mov_b32_e32 v1, s49
	v_add_co_u32_e32 v8, vcc, s48, v34
	v_addc_co_u32_e32 v10, vcc, 0, v1, vcc
	v_add_co_u32_e32 v1, vcc, v7, v76
	v_addc_co_u32_e64 v11, s[4:5], 0, 0, vcc
	v_add_co_u32_e32 v1, vcc, v1, v24
	v_addc_co_u32_e32 v11, vcc, v11, v25, vcc
	v_add_co_u32_e32 v1, vcc, v1, v2
	v_addc_co_u32_e32 v11, vcc, v11, v3, vcc
	v_sub_co_u32_e32 v1, vcc, v8, v1
	v_subb_co_u32_e32 v8, vcc, v10, v11, vcc
	v_lshlrev_b64 v[10:11], 2, v[24:25]
	v_mov_b32_e32 v12, s47
	v_add_co_u32_e32 v10, vcc, s46, v10
	v_addc_co_u32_e32 v11, vcc, v12, v11, vcc
	v_lshlrev_b64 v[12:13], 2, v[2:3]
	v_mov_b32_e32 v15, s45
	v_add_co_u32_e32 v12, vcc, s44, v12
	s_add_u32 s8, s34, -4
	v_addc_co_u32_e32 v13, vcc, v15, v13, vcc
	s_addc_u32 s9, s35, -1
	v_add_u32_e32 v14, v6, v7
	s_and_b64 vcc, exec, s[2:3]
	s_mov_b64 s[2:3], -1
	s_waitcnt lgkmcnt(0)
	s_barrier
	s_cbranch_vccz .LBB132_137
; %bb.134:
	s_and_b64 vcc, exec, s[2:3]
	s_cbranch_vccnz .LBB132_242
.LBB132_135:
	s_and_b64 s[0:1], s[0:1], s[30:31]
	s_and_saveexec_b64 s[2:3], s[0:1]
	s_cbranch_execnz .LBB132_360
.LBB132_136:
	s_endpgm
.LBB132_137:
	v_cmp_le_u32_e32 vcc, v6, v0
	s_and_saveexec_b64 s[2:3], vcc
	s_xor_b64 s[2:3], exec, s[2:3]
	s_cbranch_execz .LBB132_143
; %bb.138:
	v_cmp_le_u32_e32 vcc, v14, v0
	s_and_saveexec_b64 s[4:5], vcc
	s_xor_b64 s[4:5], exec, s[4:5]
	s_cbranch_execz .LBB132_140
; %bb.139:
	v_lshlrev_b32_e32 v15, 2, v0
	v_add_co_u32_e32 v16, vcc, v1, v0
	ds_read_b32 v15, v15
	v_addc_co_u32_e32 v17, vcc, 0, v8, vcc
	v_lshlrev_b64 v[16:17], 2, v[16:17]
	v_mov_b32_e32 v18, s35
	v_sub_co_u32_e32 v16, vcc, s34, v16
	v_subb_co_u32_e32 v17, vcc, v18, v17, vcc
	s_waitcnt lgkmcnt(0)
	global_store_dword v[16:17], v15, off offset:-4
.LBB132_140:
	s_andn2_saveexec_b64 s[4:5], s[4:5]
	s_cbranch_execz .LBB132_142
; %bb.141:
	v_lshlrev_b32_e32 v15, 2, v0
	ds_read_b32 v16, v15
	v_readfirstlane_b32 s6, v10
	v_readfirstlane_b32 s7, v11
	s_waitcnt lgkmcnt(0)
	s_nop 3
	global_store_dword v15, v16, s[6:7]
.LBB132_142:
	s_or_b64 exec, exec, s[4:5]
.LBB132_143:
	s_andn2_saveexec_b64 s[2:3], s[2:3]
	s_cbranch_execz .LBB132_145
; %bb.144:
	v_lshlrev_b32_e32 v15, 2, v0
	ds_read_b32 v16, v15
	v_readfirstlane_b32 s4, v12
	v_readfirstlane_b32 s5, v13
	s_waitcnt lgkmcnt(0)
	s_nop 3
	global_store_dword v15, v16, s[4:5]
.LBB132_145:
	s_or_b64 exec, exec, s[2:3]
	v_or_b32_e32 v15, 0x100, v0
	v_cmp_le_u32_e32 vcc, v6, v15
	s_and_saveexec_b64 s[2:3], vcc
	s_xor_b64 s[2:3], exec, s[2:3]
	s_cbranch_execz .LBB132_151
; %bb.146:
	v_cmp_le_u32_e32 vcc, v14, v15
	s_and_saveexec_b64 s[4:5], vcc
	s_xor_b64 s[4:5], exec, s[4:5]
	s_cbranch_execz .LBB132_148
; %bb.147:
	v_lshlrev_b32_e32 v15, 2, v0
	ds_read_b32 v15, v15 offset:1024
	v_add_co_u32_e32 v16, vcc, v1, v0
	v_addc_co_u32_e32 v17, vcc, 0, v8, vcc
	v_lshlrev_b64 v[16:17], 2, v[16:17]
	v_mov_b32_e32 v18, s9
	v_sub_co_u32_e32 v16, vcc, s8, v16
	v_subb_co_u32_e32 v17, vcc, v18, v17, vcc
	s_waitcnt lgkmcnt(0)
	global_store_dword v[16:17], v15, off offset:-1024
.LBB132_148:
	s_andn2_saveexec_b64 s[4:5], s[4:5]
	s_cbranch_execz .LBB132_150
; %bb.149:
	v_lshlrev_b32_e32 v15, 2, v0
	ds_read_b32 v16, v15 offset:1024
	v_readfirstlane_b32 s6, v10
	v_readfirstlane_b32 s7, v11
	s_waitcnt lgkmcnt(0)
	s_nop 3
	global_store_dword v15, v16, s[6:7] offset:1024
.LBB132_150:
	s_or_b64 exec, exec, s[4:5]
.LBB132_151:
	s_andn2_saveexec_b64 s[2:3], s[2:3]
	s_cbranch_execz .LBB132_153
; %bb.152:
	v_lshlrev_b32_e32 v15, 2, v0
	ds_read_b32 v16, v15 offset:1024
	v_readfirstlane_b32 s4, v12
	v_readfirstlane_b32 s5, v13
	s_waitcnt lgkmcnt(0)
	s_nop 3
	global_store_dword v15, v16, s[4:5] offset:1024
.LBB132_153:
	s_or_b64 exec, exec, s[2:3]
	v_or_b32_e32 v15, 0x200, v0
	v_cmp_le_u32_e32 vcc, v6, v15
	s_and_saveexec_b64 s[2:3], vcc
	s_xor_b64 s[2:3], exec, s[2:3]
	s_cbranch_execz .LBB132_159
; %bb.154:
	v_cmp_le_u32_e32 vcc, v14, v15
	s_and_saveexec_b64 s[4:5], vcc
	s_xor_b64 s[4:5], exec, s[4:5]
	s_cbranch_execz .LBB132_156
; %bb.155:
	v_lshlrev_b32_e32 v15, 2, v0
	ds_read_b32 v15, v15 offset:2048
	v_add_co_u32_e32 v16, vcc, v1, v0
	v_addc_co_u32_e32 v17, vcc, 0, v8, vcc
	v_lshlrev_b64 v[16:17], 2, v[16:17]
	v_mov_b32_e32 v18, s9
	v_sub_co_u32_e32 v16, vcc, s8, v16
	v_subb_co_u32_e32 v17, vcc, v18, v17, vcc
	s_waitcnt lgkmcnt(0)
	global_store_dword v[16:17], v15, off offset:-2048
.LBB132_156:
	s_andn2_saveexec_b64 s[4:5], s[4:5]
	s_cbranch_execz .LBB132_158
; %bb.157:
	v_lshlrev_b32_e32 v15, 2, v0
	ds_read_b32 v16, v15 offset:2048
	v_readfirstlane_b32 s6, v10
	v_readfirstlane_b32 s7, v11
	s_waitcnt lgkmcnt(0)
	s_nop 3
	global_store_dword v15, v16, s[6:7] offset:2048
.LBB132_158:
	s_or_b64 exec, exec, s[4:5]
.LBB132_159:
	s_andn2_saveexec_b64 s[2:3], s[2:3]
	s_cbranch_execz .LBB132_161
; %bb.160:
	v_lshlrev_b32_e32 v15, 2, v0
	ds_read_b32 v16, v15 offset:2048
	v_readfirstlane_b32 s4, v12
	v_readfirstlane_b32 s5, v13
	s_waitcnt lgkmcnt(0)
	s_nop 3
	global_store_dword v15, v16, s[4:5] offset:2048
.LBB132_161:
	;; [unrolled: 47-line block ×3, first 2 shown]
	s_or_b64 exec, exec, s[2:3]
	v_or_b32_e32 v15, 0x400, v0
	v_cmp_le_u32_e32 vcc, v6, v15
	s_and_saveexec_b64 s[2:3], vcc
	s_xor_b64 s[2:3], exec, s[2:3]
	s_cbranch_execz .LBB132_175
; %bb.170:
	v_cmp_le_u32_e32 vcc, v14, v15
	s_and_saveexec_b64 s[4:5], vcc
	s_xor_b64 s[4:5], exec, s[4:5]
	s_cbranch_execz .LBB132_172
; %bb.171:
	v_lshlrev_b32_e32 v15, 2, v0
	ds_read_b32 v15, v15 offset:4096
	v_add_co_u32_e32 v16, vcc, v1, v0
	v_addc_co_u32_e32 v17, vcc, 0, v8, vcc
	v_lshlrev_b64 v[16:17], 2, v[16:17]
	v_mov_b32_e32 v18, s9
	v_sub_co_u32_e32 v16, vcc, s8, v16
	v_subb_co_u32_e32 v17, vcc, v18, v17, vcc
	s_waitcnt lgkmcnt(0)
	global_store_dword v[16:17], v15, off offset:-4096
                                        ; implicit-def: $vgpr15
.LBB132_172:
	s_andn2_saveexec_b64 s[4:5], s[4:5]
	s_cbranch_execz .LBB132_174
; %bb.173:
	v_lshlrev_b32_e32 v16, 2, v0
	ds_read_b32 v16, v16 offset:4096
	v_lshlrev_b32_e32 v15, 2, v15
	v_readfirstlane_b32 s6, v10
	v_readfirstlane_b32 s7, v11
	s_waitcnt lgkmcnt(0)
	s_nop 3
	global_store_dword v15, v16, s[6:7]
.LBB132_174:
	s_or_b64 exec, exec, s[4:5]
                                        ; implicit-def: $vgpr15
.LBB132_175:
	s_andn2_saveexec_b64 s[2:3], s[2:3]
	s_cbranch_execz .LBB132_177
; %bb.176:
	v_lshlrev_b32_e32 v16, 2, v0
	ds_read_b32 v16, v16 offset:4096
	v_lshlrev_b32_e32 v15, 2, v15
	v_readfirstlane_b32 s4, v12
	v_readfirstlane_b32 s5, v13
	s_waitcnt lgkmcnt(0)
	s_nop 3
	global_store_dword v15, v16, s[4:5]
.LBB132_177:
	s_or_b64 exec, exec, s[2:3]
	v_or_b32_e32 v15, 0x500, v0
	v_cmp_le_u32_e32 vcc, v6, v15
	s_and_saveexec_b64 s[2:3], vcc
	s_xor_b64 s[2:3], exec, s[2:3]
	s_cbranch_execz .LBB132_183
; %bb.178:
	v_cmp_le_u32_e32 vcc, v14, v15
	s_and_saveexec_b64 s[4:5], vcc
	s_xor_b64 s[4:5], exec, s[4:5]
	s_cbranch_execz .LBB132_180
; %bb.179:
	v_add_co_u32_e32 v16, vcc, v1, v15
	v_lshlrev_b32_e32 v15, 2, v0
	ds_read_b32 v15, v15 offset:5120
	v_addc_co_u32_e32 v17, vcc, 0, v8, vcc
	v_lshlrev_b64 v[16:17], 2, v[16:17]
	v_mov_b32_e32 v18, s9
	v_sub_co_u32_e32 v16, vcc, s8, v16
	v_subb_co_u32_e32 v17, vcc, v18, v17, vcc
	s_waitcnt lgkmcnt(0)
	global_store_dword v[16:17], v15, off
                                        ; implicit-def: $vgpr15
.LBB132_180:
	s_andn2_saveexec_b64 s[4:5], s[4:5]
	s_cbranch_execz .LBB132_182
; %bb.181:
	v_lshlrev_b32_e32 v16, 2, v0
	ds_read_b32 v16, v16 offset:5120
	v_lshlrev_b32_e32 v15, 2, v15
	v_readfirstlane_b32 s6, v10
	v_readfirstlane_b32 s7, v11
	s_waitcnt lgkmcnt(0)
	s_nop 3
	global_store_dword v15, v16, s[6:7]
.LBB132_182:
	s_or_b64 exec, exec, s[4:5]
                                        ; implicit-def: $vgpr15
.LBB132_183:
	s_andn2_saveexec_b64 s[2:3], s[2:3]
	s_cbranch_execz .LBB132_185
; %bb.184:
	v_lshlrev_b32_e32 v16, 2, v0
	ds_read_b32 v16, v16 offset:5120
	v_lshlrev_b32_e32 v15, 2, v15
	v_readfirstlane_b32 s4, v12
	v_readfirstlane_b32 s5, v13
	s_waitcnt lgkmcnt(0)
	s_nop 3
	global_store_dword v15, v16, s[4:5]
.LBB132_185:
	s_or_b64 exec, exec, s[2:3]
	v_or_b32_e32 v15, 0x600, v0
	v_cmp_le_u32_e32 vcc, v6, v15
	s_and_saveexec_b64 s[2:3], vcc
	s_xor_b64 s[2:3], exec, s[2:3]
	s_cbranch_execz .LBB132_191
; %bb.186:
	v_cmp_le_u32_e32 vcc, v14, v15
	s_and_saveexec_b64 s[4:5], vcc
	s_xor_b64 s[4:5], exec, s[4:5]
	s_cbranch_execz .LBB132_188
; %bb.187:
	v_add_co_u32_e32 v16, vcc, v1, v15
	v_lshlrev_b32_e32 v15, 2, v0
	ds_read_b32 v15, v15 offset:6144
	v_addc_co_u32_e32 v17, vcc, 0, v8, vcc
	v_lshlrev_b64 v[16:17], 2, v[16:17]
	v_mov_b32_e32 v18, s9
	v_sub_co_u32_e32 v16, vcc, s8, v16
	v_subb_co_u32_e32 v17, vcc, v18, v17, vcc
	s_waitcnt lgkmcnt(0)
	global_store_dword v[16:17], v15, off
                                        ; implicit-def: $vgpr15
.LBB132_188:
	s_andn2_saveexec_b64 s[4:5], s[4:5]
	s_cbranch_execz .LBB132_190
; %bb.189:
	v_lshlrev_b32_e32 v16, 2, v0
	ds_read_b32 v16, v16 offset:6144
	v_lshlrev_b32_e32 v15, 2, v15
	v_readfirstlane_b32 s6, v10
	v_readfirstlane_b32 s7, v11
	s_waitcnt lgkmcnt(0)
	s_nop 3
	global_store_dword v15, v16, s[6:7]
.LBB132_190:
	s_or_b64 exec, exec, s[4:5]
                                        ; implicit-def: $vgpr15
.LBB132_191:
	;; [unrolled: 51-line block ×8, first 2 shown]
	s_andn2_saveexec_b64 s[2:3], s[2:3]
	s_cbranch_execz .LBB132_241
; %bb.240:
	v_lshlrev_b32_e32 v16, 2, v0
	ds_read_b32 v16, v16 offset:12288
	v_lshlrev_b32_e32 v15, 2, v15
	v_readfirstlane_b32 s4, v12
	v_readfirstlane_b32 s5, v13
	s_waitcnt lgkmcnt(0)
	s_nop 3
	global_store_dword v15, v16, s[4:5]
.LBB132_241:
	s_or_b64 exec, exec, s[2:3]
	s_branch .LBB132_135
.LBB132_242:
	v_cmp_gt_u32_e32 vcc, s16, v0
	s_and_saveexec_b64 s[2:3], vcc
	s_cbranch_execz .LBB132_251
; %bb.243:
	v_cmp_le_u32_e32 vcc, v6, v0
	s_and_saveexec_b64 s[4:5], vcc
	s_xor_b64 s[4:5], exec, s[4:5]
	s_cbranch_execz .LBB132_249
; %bb.244:
	v_cmp_le_u32_e32 vcc, v14, v0
	s_and_saveexec_b64 s[6:7], vcc
	s_xor_b64 s[6:7], exec, s[6:7]
	s_cbranch_execz .LBB132_246
; %bb.245:
	v_lshlrev_b32_e32 v15, 2, v0
	v_add_co_u32_e32 v16, vcc, v1, v0
	ds_read_b32 v15, v15
	v_addc_co_u32_e32 v17, vcc, 0, v8, vcc
	v_lshlrev_b64 v[16:17], 2, v[16:17]
	v_mov_b32_e32 v18, s35
	v_sub_co_u32_e32 v16, vcc, s34, v16
	v_subb_co_u32_e32 v17, vcc, v18, v17, vcc
	s_waitcnt lgkmcnt(0)
	global_store_dword v[16:17], v15, off offset:-4
.LBB132_246:
	s_andn2_saveexec_b64 s[6:7], s[6:7]
	s_cbranch_execz .LBB132_248
; %bb.247:
	v_lshlrev_b32_e32 v15, 2, v0
	ds_read_b32 v16, v15
	v_readfirstlane_b32 s10, v10
	v_readfirstlane_b32 s11, v11
	s_waitcnt lgkmcnt(0)
	s_nop 3
	global_store_dword v15, v16, s[10:11]
.LBB132_248:
	s_or_b64 exec, exec, s[6:7]
.LBB132_249:
	s_andn2_saveexec_b64 s[4:5], s[4:5]
	s_cbranch_execz .LBB132_251
; %bb.250:
	v_lshlrev_b32_e32 v15, 2, v0
	ds_read_b32 v16, v15
	v_readfirstlane_b32 s4, v12
	v_readfirstlane_b32 s5, v13
	s_waitcnt lgkmcnt(0)
	s_nop 3
	global_store_dword v15, v16, s[4:5]
.LBB132_251:
	s_or_b64 exec, exec, s[2:3]
	v_or_b32_e32 v15, 0x100, v0
	v_cmp_gt_u32_e32 vcc, s16, v15
	s_and_saveexec_b64 s[2:3], vcc
	s_cbranch_execz .LBB132_260
; %bb.252:
	v_cmp_le_u32_e32 vcc, v6, v15
	s_and_saveexec_b64 s[4:5], vcc
	s_xor_b64 s[4:5], exec, s[4:5]
	s_cbranch_execz .LBB132_258
; %bb.253:
	v_cmp_le_u32_e32 vcc, v14, v15
	s_and_saveexec_b64 s[6:7], vcc
	s_xor_b64 s[6:7], exec, s[6:7]
	s_cbranch_execz .LBB132_255
; %bb.254:
	v_lshlrev_b32_e32 v15, 2, v0
	ds_read_b32 v15, v15 offset:1024
	v_add_co_u32_e32 v16, vcc, v1, v0
	v_addc_co_u32_e32 v17, vcc, 0, v8, vcc
	v_lshlrev_b64 v[16:17], 2, v[16:17]
	v_mov_b32_e32 v18, s9
	v_sub_co_u32_e32 v16, vcc, s8, v16
	v_subb_co_u32_e32 v17, vcc, v18, v17, vcc
	s_waitcnt lgkmcnt(0)
	global_store_dword v[16:17], v15, off offset:-1024
.LBB132_255:
	s_andn2_saveexec_b64 s[6:7], s[6:7]
	s_cbranch_execz .LBB132_257
; %bb.256:
	v_lshlrev_b32_e32 v15, 2, v0
	ds_read_b32 v16, v15 offset:1024
	v_readfirstlane_b32 s10, v10
	v_readfirstlane_b32 s11, v11
	s_waitcnt lgkmcnt(0)
	s_nop 3
	global_store_dword v15, v16, s[10:11] offset:1024
.LBB132_257:
	s_or_b64 exec, exec, s[6:7]
.LBB132_258:
	s_andn2_saveexec_b64 s[4:5], s[4:5]
	s_cbranch_execz .LBB132_260
; %bb.259:
	v_lshlrev_b32_e32 v15, 2, v0
	ds_read_b32 v16, v15 offset:1024
	v_readfirstlane_b32 s4, v12
	v_readfirstlane_b32 s5, v13
	s_waitcnt lgkmcnt(0)
	s_nop 3
	global_store_dword v15, v16, s[4:5] offset:1024
.LBB132_260:
	s_or_b64 exec, exec, s[2:3]
	v_or_b32_e32 v15, 0x200, v0
	v_cmp_gt_u32_e32 vcc, s16, v15
	s_and_saveexec_b64 s[2:3], vcc
	s_cbranch_execz .LBB132_269
; %bb.261:
	v_cmp_le_u32_e32 vcc, v6, v15
	s_and_saveexec_b64 s[4:5], vcc
	s_xor_b64 s[4:5], exec, s[4:5]
	s_cbranch_execz .LBB132_267
; %bb.262:
	v_cmp_le_u32_e32 vcc, v14, v15
	s_and_saveexec_b64 s[6:7], vcc
	s_xor_b64 s[6:7], exec, s[6:7]
	s_cbranch_execz .LBB132_264
; %bb.263:
	v_lshlrev_b32_e32 v15, 2, v0
	ds_read_b32 v15, v15 offset:2048
	v_add_co_u32_e32 v16, vcc, v1, v0
	v_addc_co_u32_e32 v17, vcc, 0, v8, vcc
	v_lshlrev_b64 v[16:17], 2, v[16:17]
	v_mov_b32_e32 v18, s9
	v_sub_co_u32_e32 v16, vcc, s8, v16
	v_subb_co_u32_e32 v17, vcc, v18, v17, vcc
	s_waitcnt lgkmcnt(0)
	global_store_dword v[16:17], v15, off offset:-2048
.LBB132_264:
	s_andn2_saveexec_b64 s[6:7], s[6:7]
	s_cbranch_execz .LBB132_266
; %bb.265:
	v_lshlrev_b32_e32 v15, 2, v0
	ds_read_b32 v16, v15 offset:2048
	v_readfirstlane_b32 s10, v10
	v_readfirstlane_b32 s11, v11
	s_waitcnt lgkmcnt(0)
	s_nop 3
	global_store_dword v15, v16, s[10:11] offset:2048
.LBB132_266:
	s_or_b64 exec, exec, s[6:7]
.LBB132_267:
	s_andn2_saveexec_b64 s[4:5], s[4:5]
	s_cbranch_execz .LBB132_269
; %bb.268:
	v_lshlrev_b32_e32 v15, 2, v0
	ds_read_b32 v16, v15 offset:2048
	v_readfirstlane_b32 s4, v12
	v_readfirstlane_b32 s5, v13
	s_waitcnt lgkmcnt(0)
	s_nop 3
	global_store_dword v15, v16, s[4:5] offset:2048
.LBB132_269:
	;; [unrolled: 51-line block ×3, first 2 shown]
	s_or_b64 exec, exec, s[2:3]
	v_or_b32_e32 v15, 0x400, v0
	v_cmp_gt_u32_e32 vcc, s16, v15
	s_and_saveexec_b64 s[2:3], vcc
	s_cbranch_execz .LBB132_287
; %bb.279:
	v_cmp_le_u32_e32 vcc, v6, v15
	s_and_saveexec_b64 s[4:5], vcc
	s_xor_b64 s[4:5], exec, s[4:5]
	s_cbranch_execz .LBB132_285
; %bb.280:
	v_cmp_le_u32_e32 vcc, v14, v15
	s_and_saveexec_b64 s[6:7], vcc
	s_xor_b64 s[6:7], exec, s[6:7]
	s_cbranch_execz .LBB132_282
; %bb.281:
	v_lshlrev_b32_e32 v15, 2, v0
	ds_read_b32 v15, v15 offset:4096
	v_add_co_u32_e32 v16, vcc, v1, v0
	v_addc_co_u32_e32 v17, vcc, 0, v8, vcc
	v_lshlrev_b64 v[16:17], 2, v[16:17]
	v_mov_b32_e32 v18, s9
	v_sub_co_u32_e32 v16, vcc, s8, v16
	v_subb_co_u32_e32 v17, vcc, v18, v17, vcc
	s_waitcnt lgkmcnt(0)
	global_store_dword v[16:17], v15, off offset:-4096
                                        ; implicit-def: $vgpr15
.LBB132_282:
	s_andn2_saveexec_b64 s[6:7], s[6:7]
	s_cbranch_execz .LBB132_284
; %bb.283:
	v_lshlrev_b32_e32 v16, 2, v0
	ds_read_b32 v16, v16 offset:4096
	v_lshlrev_b32_e32 v15, 2, v15
	v_readfirstlane_b32 s10, v10
	v_readfirstlane_b32 s11, v11
	s_waitcnt lgkmcnt(0)
	s_nop 3
	global_store_dword v15, v16, s[10:11]
.LBB132_284:
	s_or_b64 exec, exec, s[6:7]
                                        ; implicit-def: $vgpr15
.LBB132_285:
	s_andn2_saveexec_b64 s[4:5], s[4:5]
	s_cbranch_execz .LBB132_287
; %bb.286:
	v_lshlrev_b32_e32 v16, 2, v0
	ds_read_b32 v16, v16 offset:4096
	v_lshlrev_b32_e32 v15, 2, v15
	v_readfirstlane_b32 s4, v12
	v_readfirstlane_b32 s5, v13
	s_waitcnt lgkmcnt(0)
	s_nop 3
	global_store_dword v15, v16, s[4:5]
.LBB132_287:
	s_or_b64 exec, exec, s[2:3]
	v_or_b32_e32 v15, 0x500, v0
	v_cmp_gt_u32_e32 vcc, s16, v15
	s_and_saveexec_b64 s[2:3], vcc
	s_cbranch_execz .LBB132_296
; %bb.288:
	v_cmp_le_u32_e32 vcc, v6, v15
	s_and_saveexec_b64 s[4:5], vcc
	s_xor_b64 s[4:5], exec, s[4:5]
	s_cbranch_execz .LBB132_294
; %bb.289:
	v_cmp_le_u32_e32 vcc, v14, v15
	s_and_saveexec_b64 s[6:7], vcc
	s_xor_b64 s[6:7], exec, s[6:7]
	s_cbranch_execz .LBB132_291
; %bb.290:
	v_add_co_u32_e32 v16, vcc, v1, v15
	v_lshlrev_b32_e32 v15, 2, v0
	ds_read_b32 v15, v15 offset:5120
	v_addc_co_u32_e32 v17, vcc, 0, v8, vcc
	v_lshlrev_b64 v[16:17], 2, v[16:17]
	v_mov_b32_e32 v18, s9
	v_sub_co_u32_e32 v16, vcc, s8, v16
	v_subb_co_u32_e32 v17, vcc, v18, v17, vcc
	s_waitcnt lgkmcnt(0)
	global_store_dword v[16:17], v15, off
                                        ; implicit-def: $vgpr15
.LBB132_291:
	s_andn2_saveexec_b64 s[6:7], s[6:7]
	s_cbranch_execz .LBB132_293
; %bb.292:
	v_lshlrev_b32_e32 v16, 2, v0
	ds_read_b32 v16, v16 offset:5120
	v_lshlrev_b32_e32 v15, 2, v15
	v_readfirstlane_b32 s10, v10
	v_readfirstlane_b32 s11, v11
	s_waitcnt lgkmcnt(0)
	s_nop 3
	global_store_dword v15, v16, s[10:11]
.LBB132_293:
	s_or_b64 exec, exec, s[6:7]
                                        ; implicit-def: $vgpr15
.LBB132_294:
	s_andn2_saveexec_b64 s[4:5], s[4:5]
	s_cbranch_execz .LBB132_296
; %bb.295:
	v_lshlrev_b32_e32 v16, 2, v0
	ds_read_b32 v16, v16 offset:5120
	v_lshlrev_b32_e32 v15, 2, v15
	v_readfirstlane_b32 s4, v12
	v_readfirstlane_b32 s5, v13
	s_waitcnt lgkmcnt(0)
	s_nop 3
	global_store_dword v15, v16, s[4:5]
.LBB132_296:
	s_or_b64 exec, exec, s[2:3]
	v_or_b32_e32 v15, 0x600, v0
	v_cmp_gt_u32_e32 vcc, s16, v15
	s_and_saveexec_b64 s[2:3], vcc
	s_cbranch_execz .LBB132_305
; %bb.297:
	v_cmp_le_u32_e32 vcc, v6, v15
	s_and_saveexec_b64 s[4:5], vcc
	s_xor_b64 s[4:5], exec, s[4:5]
	s_cbranch_execz .LBB132_303
; %bb.298:
	v_cmp_le_u32_e32 vcc, v14, v15
	s_and_saveexec_b64 s[6:7], vcc
	s_xor_b64 s[6:7], exec, s[6:7]
	s_cbranch_execz .LBB132_300
; %bb.299:
	v_add_co_u32_e32 v16, vcc, v1, v15
	v_lshlrev_b32_e32 v15, 2, v0
	ds_read_b32 v15, v15 offset:6144
	v_addc_co_u32_e32 v17, vcc, 0, v8, vcc
	v_lshlrev_b64 v[16:17], 2, v[16:17]
	v_mov_b32_e32 v18, s9
	v_sub_co_u32_e32 v16, vcc, s8, v16
	v_subb_co_u32_e32 v17, vcc, v18, v17, vcc
	s_waitcnt lgkmcnt(0)
	global_store_dword v[16:17], v15, off
                                        ; implicit-def: $vgpr15
.LBB132_300:
	s_andn2_saveexec_b64 s[6:7], s[6:7]
	s_cbranch_execz .LBB132_302
; %bb.301:
	v_lshlrev_b32_e32 v16, 2, v0
	ds_read_b32 v16, v16 offset:6144
	v_lshlrev_b32_e32 v15, 2, v15
	v_readfirstlane_b32 s10, v10
	v_readfirstlane_b32 s11, v11
	s_waitcnt lgkmcnt(0)
	s_nop 3
	global_store_dword v15, v16, s[10:11]
.LBB132_302:
	s_or_b64 exec, exec, s[6:7]
                                        ; implicit-def: $vgpr15
.LBB132_303:
	s_andn2_saveexec_b64 s[4:5], s[4:5]
	s_cbranch_execz .LBB132_305
; %bb.304:
	v_lshlrev_b32_e32 v16, 2, v0
	ds_read_b32 v16, v16 offset:6144
	v_lshlrev_b32_e32 v15, 2, v15
	v_readfirstlane_b32 s4, v12
	v_readfirstlane_b32 s5, v13
	s_waitcnt lgkmcnt(0)
	s_nop 3
	global_store_dword v15, v16, s[4:5]
.LBB132_305:
	;; [unrolled: 55-line block ×7, first 2 shown]
	s_or_b64 exec, exec, s[2:3]
	v_or_b32_e32 v15, 0xc00, v0
	v_cmp_gt_u32_e32 vcc, s16, v15
	s_and_saveexec_b64 s[2:3], vcc
	s_cbranch_execz .LBB132_359
; %bb.351:
	v_cmp_le_u32_e32 vcc, v6, v15
	s_and_saveexec_b64 s[4:5], vcc
	s_xor_b64 s[4:5], exec, s[4:5]
	s_cbranch_execz .LBB132_357
; %bb.352:
	v_cmp_le_u32_e32 vcc, v14, v15
	s_and_saveexec_b64 s[6:7], vcc
	s_xor_b64 s[6:7], exec, s[6:7]
	s_cbranch_execz .LBB132_354
; %bb.353:
	v_add_co_u32_e32 v10, vcc, v1, v15
	v_lshlrev_b32_e32 v0, 2, v0
	v_addc_co_u32_e32 v11, vcc, 0, v8, vcc
	ds_read_b32 v8, v0 offset:12288
	v_lshlrev_b64 v[0:1], 2, v[10:11]
	v_mov_b32_e32 v10, s9
	v_sub_co_u32_e32 v0, vcc, s8, v0
	v_subb_co_u32_e32 v1, vcc, v10, v1, vcc
	s_waitcnt lgkmcnt(0)
	global_store_dword v[0:1], v8, off
                                        ; implicit-def: $vgpr0
                                        ; implicit-def: $vgpr15
                                        ; implicit-def: $vgpr10_vgpr11
.LBB132_354:
	s_andn2_saveexec_b64 s[6:7], s[6:7]
	s_cbranch_execz .LBB132_356
; %bb.355:
	v_lshlrev_b32_e32 v0, 2, v0
	ds_read_b32 v0, v0 offset:12288
	v_lshlrev_b32_e32 v1, 2, v15
	v_readfirstlane_b32 s8, v10
	v_readfirstlane_b32 s9, v11
	s_waitcnt lgkmcnt(0)
	s_nop 3
	global_store_dword v1, v0, s[8:9]
.LBB132_356:
	s_or_b64 exec, exec, s[6:7]
                                        ; implicit-def: $vgpr0
                                        ; implicit-def: $vgpr15
                                        ; implicit-def: $vgpr12_vgpr13
.LBB132_357:
	s_andn2_saveexec_b64 s[4:5], s[4:5]
	s_cbranch_execz .LBB132_359
; %bb.358:
	v_lshlrev_b32_e32 v0, 2, v0
	ds_read_b32 v0, v0 offset:12288
	v_lshlrev_b32_e32 v1, 2, v15
	v_readfirstlane_b32 s4, v12
	v_readfirstlane_b32 s5, v13
	s_waitcnt lgkmcnt(0)
	s_nop 3
	global_store_dword v1, v0, s[4:5]
.LBB132_359:
	s_or_b64 exec, exec, s[2:3]
	s_and_b64 s[0:1], s[0:1], s[30:31]
	s_and_saveexec_b64 s[2:3], s[0:1]
	s_cbranch_execz .LBB132_136
.LBB132_360:
	v_add_co_u32_e32 v0, vcc, v2, v6
	v_addc_co_u32_e32 v1, vcc, 0, v3, vcc
	v_add_co_u32_e32 v2, vcc, v4, v7
	v_addc_co_u32_e32 v3, vcc, 0, v5, vcc
	v_add_co_u32_e32 v2, vcc, v2, v9
	v_mov_b32_e32 v8, 0
	v_addc_co_u32_e32 v3, vcc, 0, v3, vcc
	global_store_dwordx4 v8, v[0:3], s[28:29]
	s_endpgm
	.section	.rodata,"a",@progbits
	.p2align	6, 0x0
	.amdhsa_kernel _ZN7rocprim17ROCPRIM_400000_NS6detail17trampoline_kernelINS0_13select_configILj256ELj13ELNS0_17block_load_methodE3ELS4_3ELS4_3ELNS0_20block_scan_algorithmE0ELj4294967295EEENS1_25partition_config_selectorILNS1_17partition_subalgoE4EjNS0_10empty_typeEbEEZZNS1_14partition_implILS8_4ELb0ES6_15HIP_vector_typeIjLj2EENS0_17counting_iteratorIjlEEPS9_SG_NS0_5tupleIJPjSI_NS0_16reverse_iteratorISI_EEEEENSH_IJSG_SG_SG_EEES9_SI_JZNS1_25segmented_radix_sort_implINS0_14default_configELb0EPKhPhPKlPlN2at6native12_GLOBAL__N_18offset_tEEE10hipError_tPvRmT1_PNSt15iterator_traitsIS12_E10value_typeET2_T3_PNS13_IS18_E10value_typeET4_jRbjT5_S1E_jjP12ihipStream_tbEUljE_ZNSN_ISO_Lb0ESQ_SR_ST_SU_SY_EESZ_S10_S11_S12_S16_S17_S18_S1B_S1C_jS1D_jS1E_S1E_jjS1G_bEUljE0_EEESZ_S10_S11_S18_S1C_S1E_T6_T7_T9_mT8_S1G_bDpT10_ENKUlT_T0_E_clISt17integral_constantIbLb1EES1U_EEDaS1P_S1Q_EUlS1P_E_NS1_11comp_targetILNS1_3genE4ELNS1_11target_archE910ELNS1_3gpuE8ELNS1_3repE0EEENS1_30default_config_static_selectorELNS0_4arch9wavefront6targetE1EEEvS12_
		.amdhsa_group_segment_fixed_size 13340
		.amdhsa_private_segment_fixed_size 0
		.amdhsa_kernarg_size 184
		.amdhsa_user_sgpr_count 6
		.amdhsa_user_sgpr_private_segment_buffer 1
		.amdhsa_user_sgpr_dispatch_ptr 0
		.amdhsa_user_sgpr_queue_ptr 0
		.amdhsa_user_sgpr_kernarg_segment_ptr 1
		.amdhsa_user_sgpr_dispatch_id 0
		.amdhsa_user_sgpr_flat_scratch_init 0
		.amdhsa_user_sgpr_kernarg_preload_length 0
		.amdhsa_user_sgpr_kernarg_preload_offset 0
		.amdhsa_user_sgpr_private_segment_size 0
		.amdhsa_uses_dynamic_stack 0
		.amdhsa_system_sgpr_private_segment_wavefront_offset 0
		.amdhsa_system_sgpr_workgroup_id_x 1
		.amdhsa_system_sgpr_workgroup_id_y 0
		.amdhsa_system_sgpr_workgroup_id_z 0
		.amdhsa_system_sgpr_workgroup_info 0
		.amdhsa_system_vgpr_workitem_id 0
		.amdhsa_next_free_vgpr 107
		.amdhsa_next_free_sgpr 87
		.amdhsa_accum_offset 108
		.amdhsa_reserve_vcc 1
		.amdhsa_reserve_flat_scratch 0
		.amdhsa_float_round_mode_32 0
		.amdhsa_float_round_mode_16_64 0
		.amdhsa_float_denorm_mode_32 3
		.amdhsa_float_denorm_mode_16_64 3
		.amdhsa_dx10_clamp 1
		.amdhsa_ieee_mode 1
		.amdhsa_fp16_overflow 0
		.amdhsa_tg_split 0
		.amdhsa_exception_fp_ieee_invalid_op 0
		.amdhsa_exception_fp_denorm_src 0
		.amdhsa_exception_fp_ieee_div_zero 0
		.amdhsa_exception_fp_ieee_overflow 0
		.amdhsa_exception_fp_ieee_underflow 0
		.amdhsa_exception_fp_ieee_inexact 0
		.amdhsa_exception_int_div_zero 0
	.end_amdhsa_kernel
	.section	.text._ZN7rocprim17ROCPRIM_400000_NS6detail17trampoline_kernelINS0_13select_configILj256ELj13ELNS0_17block_load_methodE3ELS4_3ELS4_3ELNS0_20block_scan_algorithmE0ELj4294967295EEENS1_25partition_config_selectorILNS1_17partition_subalgoE4EjNS0_10empty_typeEbEEZZNS1_14partition_implILS8_4ELb0ES6_15HIP_vector_typeIjLj2EENS0_17counting_iteratorIjlEEPS9_SG_NS0_5tupleIJPjSI_NS0_16reverse_iteratorISI_EEEEENSH_IJSG_SG_SG_EEES9_SI_JZNS1_25segmented_radix_sort_implINS0_14default_configELb0EPKhPhPKlPlN2at6native12_GLOBAL__N_18offset_tEEE10hipError_tPvRmT1_PNSt15iterator_traitsIS12_E10value_typeET2_T3_PNS13_IS18_E10value_typeET4_jRbjT5_S1E_jjP12ihipStream_tbEUljE_ZNSN_ISO_Lb0ESQ_SR_ST_SU_SY_EESZ_S10_S11_S12_S16_S17_S18_S1B_S1C_jS1D_jS1E_S1E_jjS1G_bEUljE0_EEESZ_S10_S11_S18_S1C_S1E_T6_T7_T9_mT8_S1G_bDpT10_ENKUlT_T0_E_clISt17integral_constantIbLb1EES1U_EEDaS1P_S1Q_EUlS1P_E_NS1_11comp_targetILNS1_3genE4ELNS1_11target_archE910ELNS1_3gpuE8ELNS1_3repE0EEENS1_30default_config_static_selectorELNS0_4arch9wavefront6targetE1EEEvS12_,"axG",@progbits,_ZN7rocprim17ROCPRIM_400000_NS6detail17trampoline_kernelINS0_13select_configILj256ELj13ELNS0_17block_load_methodE3ELS4_3ELS4_3ELNS0_20block_scan_algorithmE0ELj4294967295EEENS1_25partition_config_selectorILNS1_17partition_subalgoE4EjNS0_10empty_typeEbEEZZNS1_14partition_implILS8_4ELb0ES6_15HIP_vector_typeIjLj2EENS0_17counting_iteratorIjlEEPS9_SG_NS0_5tupleIJPjSI_NS0_16reverse_iteratorISI_EEEEENSH_IJSG_SG_SG_EEES9_SI_JZNS1_25segmented_radix_sort_implINS0_14default_configELb0EPKhPhPKlPlN2at6native12_GLOBAL__N_18offset_tEEE10hipError_tPvRmT1_PNSt15iterator_traitsIS12_E10value_typeET2_T3_PNS13_IS18_E10value_typeET4_jRbjT5_S1E_jjP12ihipStream_tbEUljE_ZNSN_ISO_Lb0ESQ_SR_ST_SU_SY_EESZ_S10_S11_S12_S16_S17_S18_S1B_S1C_jS1D_jS1E_S1E_jjS1G_bEUljE0_EEESZ_S10_S11_S18_S1C_S1E_T6_T7_T9_mT8_S1G_bDpT10_ENKUlT_T0_E_clISt17integral_constantIbLb1EES1U_EEDaS1P_S1Q_EUlS1P_E_NS1_11comp_targetILNS1_3genE4ELNS1_11target_archE910ELNS1_3gpuE8ELNS1_3repE0EEENS1_30default_config_static_selectorELNS0_4arch9wavefront6targetE1EEEvS12_,comdat
.Lfunc_end132:
	.size	_ZN7rocprim17ROCPRIM_400000_NS6detail17trampoline_kernelINS0_13select_configILj256ELj13ELNS0_17block_load_methodE3ELS4_3ELS4_3ELNS0_20block_scan_algorithmE0ELj4294967295EEENS1_25partition_config_selectorILNS1_17partition_subalgoE4EjNS0_10empty_typeEbEEZZNS1_14partition_implILS8_4ELb0ES6_15HIP_vector_typeIjLj2EENS0_17counting_iteratorIjlEEPS9_SG_NS0_5tupleIJPjSI_NS0_16reverse_iteratorISI_EEEEENSH_IJSG_SG_SG_EEES9_SI_JZNS1_25segmented_radix_sort_implINS0_14default_configELb0EPKhPhPKlPlN2at6native12_GLOBAL__N_18offset_tEEE10hipError_tPvRmT1_PNSt15iterator_traitsIS12_E10value_typeET2_T3_PNS13_IS18_E10value_typeET4_jRbjT5_S1E_jjP12ihipStream_tbEUljE_ZNSN_ISO_Lb0ESQ_SR_ST_SU_SY_EESZ_S10_S11_S12_S16_S17_S18_S1B_S1C_jS1D_jS1E_S1E_jjS1G_bEUljE0_EEESZ_S10_S11_S18_S1C_S1E_T6_T7_T9_mT8_S1G_bDpT10_ENKUlT_T0_E_clISt17integral_constantIbLb1EES1U_EEDaS1P_S1Q_EUlS1P_E_NS1_11comp_targetILNS1_3genE4ELNS1_11target_archE910ELNS1_3gpuE8ELNS1_3repE0EEENS1_30default_config_static_selectorELNS0_4arch9wavefront6targetE1EEEvS12_, .Lfunc_end132-_ZN7rocprim17ROCPRIM_400000_NS6detail17trampoline_kernelINS0_13select_configILj256ELj13ELNS0_17block_load_methodE3ELS4_3ELS4_3ELNS0_20block_scan_algorithmE0ELj4294967295EEENS1_25partition_config_selectorILNS1_17partition_subalgoE4EjNS0_10empty_typeEbEEZZNS1_14partition_implILS8_4ELb0ES6_15HIP_vector_typeIjLj2EENS0_17counting_iteratorIjlEEPS9_SG_NS0_5tupleIJPjSI_NS0_16reverse_iteratorISI_EEEEENSH_IJSG_SG_SG_EEES9_SI_JZNS1_25segmented_radix_sort_implINS0_14default_configELb0EPKhPhPKlPlN2at6native12_GLOBAL__N_18offset_tEEE10hipError_tPvRmT1_PNSt15iterator_traitsIS12_E10value_typeET2_T3_PNS13_IS18_E10value_typeET4_jRbjT5_S1E_jjP12ihipStream_tbEUljE_ZNSN_ISO_Lb0ESQ_SR_ST_SU_SY_EESZ_S10_S11_S12_S16_S17_S18_S1B_S1C_jS1D_jS1E_S1E_jjS1G_bEUljE0_EEESZ_S10_S11_S18_S1C_S1E_T6_T7_T9_mT8_S1G_bDpT10_ENKUlT_T0_E_clISt17integral_constantIbLb1EES1U_EEDaS1P_S1Q_EUlS1P_E_NS1_11comp_targetILNS1_3genE4ELNS1_11target_archE910ELNS1_3gpuE8ELNS1_3repE0EEENS1_30default_config_static_selectorELNS0_4arch9wavefront6targetE1EEEvS12_
                                        ; -- End function
	.section	.AMDGPU.csdata,"",@progbits
; Kernel info:
; codeLenInByte = 13512
; NumSgprs: 91
; NumVgprs: 107
; NumAgprs: 0
; TotalNumVgprs: 107
; ScratchSize: 0
; MemoryBound: 0
; FloatMode: 240
; IeeeMode: 1
; LDSByteSize: 13340 bytes/workgroup (compile time only)
; SGPRBlocks: 11
; VGPRBlocks: 13
; NumSGPRsForWavesPerEU: 91
; NumVGPRsForWavesPerEU: 107
; AccumOffset: 108
; Occupancy: 4
; WaveLimiterHint : 1
; COMPUTE_PGM_RSRC2:SCRATCH_EN: 0
; COMPUTE_PGM_RSRC2:USER_SGPR: 6
; COMPUTE_PGM_RSRC2:TRAP_HANDLER: 0
; COMPUTE_PGM_RSRC2:TGID_X_EN: 1
; COMPUTE_PGM_RSRC2:TGID_Y_EN: 0
; COMPUTE_PGM_RSRC2:TGID_Z_EN: 0
; COMPUTE_PGM_RSRC2:TIDIG_COMP_CNT: 0
; COMPUTE_PGM_RSRC3_GFX90A:ACCUM_OFFSET: 26
; COMPUTE_PGM_RSRC3_GFX90A:TG_SPLIT: 0
	.section	.text._ZN7rocprim17ROCPRIM_400000_NS6detail17trampoline_kernelINS0_13select_configILj256ELj13ELNS0_17block_load_methodE3ELS4_3ELS4_3ELNS0_20block_scan_algorithmE0ELj4294967295EEENS1_25partition_config_selectorILNS1_17partition_subalgoE4EjNS0_10empty_typeEbEEZZNS1_14partition_implILS8_4ELb0ES6_15HIP_vector_typeIjLj2EENS0_17counting_iteratorIjlEEPS9_SG_NS0_5tupleIJPjSI_NS0_16reverse_iteratorISI_EEEEENSH_IJSG_SG_SG_EEES9_SI_JZNS1_25segmented_radix_sort_implINS0_14default_configELb0EPKhPhPKlPlN2at6native12_GLOBAL__N_18offset_tEEE10hipError_tPvRmT1_PNSt15iterator_traitsIS12_E10value_typeET2_T3_PNS13_IS18_E10value_typeET4_jRbjT5_S1E_jjP12ihipStream_tbEUljE_ZNSN_ISO_Lb0ESQ_SR_ST_SU_SY_EESZ_S10_S11_S12_S16_S17_S18_S1B_S1C_jS1D_jS1E_S1E_jjS1G_bEUljE0_EEESZ_S10_S11_S18_S1C_S1E_T6_T7_T9_mT8_S1G_bDpT10_ENKUlT_T0_E_clISt17integral_constantIbLb1EES1U_EEDaS1P_S1Q_EUlS1P_E_NS1_11comp_targetILNS1_3genE3ELNS1_11target_archE908ELNS1_3gpuE7ELNS1_3repE0EEENS1_30default_config_static_selectorELNS0_4arch9wavefront6targetE1EEEvS12_,"axG",@progbits,_ZN7rocprim17ROCPRIM_400000_NS6detail17trampoline_kernelINS0_13select_configILj256ELj13ELNS0_17block_load_methodE3ELS4_3ELS4_3ELNS0_20block_scan_algorithmE0ELj4294967295EEENS1_25partition_config_selectorILNS1_17partition_subalgoE4EjNS0_10empty_typeEbEEZZNS1_14partition_implILS8_4ELb0ES6_15HIP_vector_typeIjLj2EENS0_17counting_iteratorIjlEEPS9_SG_NS0_5tupleIJPjSI_NS0_16reverse_iteratorISI_EEEEENSH_IJSG_SG_SG_EEES9_SI_JZNS1_25segmented_radix_sort_implINS0_14default_configELb0EPKhPhPKlPlN2at6native12_GLOBAL__N_18offset_tEEE10hipError_tPvRmT1_PNSt15iterator_traitsIS12_E10value_typeET2_T3_PNS13_IS18_E10value_typeET4_jRbjT5_S1E_jjP12ihipStream_tbEUljE_ZNSN_ISO_Lb0ESQ_SR_ST_SU_SY_EESZ_S10_S11_S12_S16_S17_S18_S1B_S1C_jS1D_jS1E_S1E_jjS1G_bEUljE0_EEESZ_S10_S11_S18_S1C_S1E_T6_T7_T9_mT8_S1G_bDpT10_ENKUlT_T0_E_clISt17integral_constantIbLb1EES1U_EEDaS1P_S1Q_EUlS1P_E_NS1_11comp_targetILNS1_3genE3ELNS1_11target_archE908ELNS1_3gpuE7ELNS1_3repE0EEENS1_30default_config_static_selectorELNS0_4arch9wavefront6targetE1EEEvS12_,comdat
	.globl	_ZN7rocprim17ROCPRIM_400000_NS6detail17trampoline_kernelINS0_13select_configILj256ELj13ELNS0_17block_load_methodE3ELS4_3ELS4_3ELNS0_20block_scan_algorithmE0ELj4294967295EEENS1_25partition_config_selectorILNS1_17partition_subalgoE4EjNS0_10empty_typeEbEEZZNS1_14partition_implILS8_4ELb0ES6_15HIP_vector_typeIjLj2EENS0_17counting_iteratorIjlEEPS9_SG_NS0_5tupleIJPjSI_NS0_16reverse_iteratorISI_EEEEENSH_IJSG_SG_SG_EEES9_SI_JZNS1_25segmented_radix_sort_implINS0_14default_configELb0EPKhPhPKlPlN2at6native12_GLOBAL__N_18offset_tEEE10hipError_tPvRmT1_PNSt15iterator_traitsIS12_E10value_typeET2_T3_PNS13_IS18_E10value_typeET4_jRbjT5_S1E_jjP12ihipStream_tbEUljE_ZNSN_ISO_Lb0ESQ_SR_ST_SU_SY_EESZ_S10_S11_S12_S16_S17_S18_S1B_S1C_jS1D_jS1E_S1E_jjS1G_bEUljE0_EEESZ_S10_S11_S18_S1C_S1E_T6_T7_T9_mT8_S1G_bDpT10_ENKUlT_T0_E_clISt17integral_constantIbLb1EES1U_EEDaS1P_S1Q_EUlS1P_E_NS1_11comp_targetILNS1_3genE3ELNS1_11target_archE908ELNS1_3gpuE7ELNS1_3repE0EEENS1_30default_config_static_selectorELNS0_4arch9wavefront6targetE1EEEvS12_ ; -- Begin function _ZN7rocprim17ROCPRIM_400000_NS6detail17trampoline_kernelINS0_13select_configILj256ELj13ELNS0_17block_load_methodE3ELS4_3ELS4_3ELNS0_20block_scan_algorithmE0ELj4294967295EEENS1_25partition_config_selectorILNS1_17partition_subalgoE4EjNS0_10empty_typeEbEEZZNS1_14partition_implILS8_4ELb0ES6_15HIP_vector_typeIjLj2EENS0_17counting_iteratorIjlEEPS9_SG_NS0_5tupleIJPjSI_NS0_16reverse_iteratorISI_EEEEENSH_IJSG_SG_SG_EEES9_SI_JZNS1_25segmented_radix_sort_implINS0_14default_configELb0EPKhPhPKlPlN2at6native12_GLOBAL__N_18offset_tEEE10hipError_tPvRmT1_PNSt15iterator_traitsIS12_E10value_typeET2_T3_PNS13_IS18_E10value_typeET4_jRbjT5_S1E_jjP12ihipStream_tbEUljE_ZNSN_ISO_Lb0ESQ_SR_ST_SU_SY_EESZ_S10_S11_S12_S16_S17_S18_S1B_S1C_jS1D_jS1E_S1E_jjS1G_bEUljE0_EEESZ_S10_S11_S18_S1C_S1E_T6_T7_T9_mT8_S1G_bDpT10_ENKUlT_T0_E_clISt17integral_constantIbLb1EES1U_EEDaS1P_S1Q_EUlS1P_E_NS1_11comp_targetILNS1_3genE3ELNS1_11target_archE908ELNS1_3gpuE7ELNS1_3repE0EEENS1_30default_config_static_selectorELNS0_4arch9wavefront6targetE1EEEvS12_
	.p2align	8
	.type	_ZN7rocprim17ROCPRIM_400000_NS6detail17trampoline_kernelINS0_13select_configILj256ELj13ELNS0_17block_load_methodE3ELS4_3ELS4_3ELNS0_20block_scan_algorithmE0ELj4294967295EEENS1_25partition_config_selectorILNS1_17partition_subalgoE4EjNS0_10empty_typeEbEEZZNS1_14partition_implILS8_4ELb0ES6_15HIP_vector_typeIjLj2EENS0_17counting_iteratorIjlEEPS9_SG_NS0_5tupleIJPjSI_NS0_16reverse_iteratorISI_EEEEENSH_IJSG_SG_SG_EEES9_SI_JZNS1_25segmented_radix_sort_implINS0_14default_configELb0EPKhPhPKlPlN2at6native12_GLOBAL__N_18offset_tEEE10hipError_tPvRmT1_PNSt15iterator_traitsIS12_E10value_typeET2_T3_PNS13_IS18_E10value_typeET4_jRbjT5_S1E_jjP12ihipStream_tbEUljE_ZNSN_ISO_Lb0ESQ_SR_ST_SU_SY_EESZ_S10_S11_S12_S16_S17_S18_S1B_S1C_jS1D_jS1E_S1E_jjS1G_bEUljE0_EEESZ_S10_S11_S18_S1C_S1E_T6_T7_T9_mT8_S1G_bDpT10_ENKUlT_T0_E_clISt17integral_constantIbLb1EES1U_EEDaS1P_S1Q_EUlS1P_E_NS1_11comp_targetILNS1_3genE3ELNS1_11target_archE908ELNS1_3gpuE7ELNS1_3repE0EEENS1_30default_config_static_selectorELNS0_4arch9wavefront6targetE1EEEvS12_,@function
_ZN7rocprim17ROCPRIM_400000_NS6detail17trampoline_kernelINS0_13select_configILj256ELj13ELNS0_17block_load_methodE3ELS4_3ELS4_3ELNS0_20block_scan_algorithmE0ELj4294967295EEENS1_25partition_config_selectorILNS1_17partition_subalgoE4EjNS0_10empty_typeEbEEZZNS1_14partition_implILS8_4ELb0ES6_15HIP_vector_typeIjLj2EENS0_17counting_iteratorIjlEEPS9_SG_NS0_5tupleIJPjSI_NS0_16reverse_iteratorISI_EEEEENSH_IJSG_SG_SG_EEES9_SI_JZNS1_25segmented_radix_sort_implINS0_14default_configELb0EPKhPhPKlPlN2at6native12_GLOBAL__N_18offset_tEEE10hipError_tPvRmT1_PNSt15iterator_traitsIS12_E10value_typeET2_T3_PNS13_IS18_E10value_typeET4_jRbjT5_S1E_jjP12ihipStream_tbEUljE_ZNSN_ISO_Lb0ESQ_SR_ST_SU_SY_EESZ_S10_S11_S12_S16_S17_S18_S1B_S1C_jS1D_jS1E_S1E_jjS1G_bEUljE0_EEESZ_S10_S11_S18_S1C_S1E_T6_T7_T9_mT8_S1G_bDpT10_ENKUlT_T0_E_clISt17integral_constantIbLb1EES1U_EEDaS1P_S1Q_EUlS1P_E_NS1_11comp_targetILNS1_3genE3ELNS1_11target_archE908ELNS1_3gpuE7ELNS1_3repE0EEENS1_30default_config_static_selectorELNS0_4arch9wavefront6targetE1EEEvS12_: ; @_ZN7rocprim17ROCPRIM_400000_NS6detail17trampoline_kernelINS0_13select_configILj256ELj13ELNS0_17block_load_methodE3ELS4_3ELS4_3ELNS0_20block_scan_algorithmE0ELj4294967295EEENS1_25partition_config_selectorILNS1_17partition_subalgoE4EjNS0_10empty_typeEbEEZZNS1_14partition_implILS8_4ELb0ES6_15HIP_vector_typeIjLj2EENS0_17counting_iteratorIjlEEPS9_SG_NS0_5tupleIJPjSI_NS0_16reverse_iteratorISI_EEEEENSH_IJSG_SG_SG_EEES9_SI_JZNS1_25segmented_radix_sort_implINS0_14default_configELb0EPKhPhPKlPlN2at6native12_GLOBAL__N_18offset_tEEE10hipError_tPvRmT1_PNSt15iterator_traitsIS12_E10value_typeET2_T3_PNS13_IS18_E10value_typeET4_jRbjT5_S1E_jjP12ihipStream_tbEUljE_ZNSN_ISO_Lb0ESQ_SR_ST_SU_SY_EESZ_S10_S11_S12_S16_S17_S18_S1B_S1C_jS1D_jS1E_S1E_jjS1G_bEUljE0_EEESZ_S10_S11_S18_S1C_S1E_T6_T7_T9_mT8_S1G_bDpT10_ENKUlT_T0_E_clISt17integral_constantIbLb1EES1U_EEDaS1P_S1Q_EUlS1P_E_NS1_11comp_targetILNS1_3genE3ELNS1_11target_archE908ELNS1_3gpuE7ELNS1_3repE0EEENS1_30default_config_static_selectorELNS0_4arch9wavefront6targetE1EEEvS12_
; %bb.0:
	.section	.rodata,"a",@progbits
	.p2align	6, 0x0
	.amdhsa_kernel _ZN7rocprim17ROCPRIM_400000_NS6detail17trampoline_kernelINS0_13select_configILj256ELj13ELNS0_17block_load_methodE3ELS4_3ELS4_3ELNS0_20block_scan_algorithmE0ELj4294967295EEENS1_25partition_config_selectorILNS1_17partition_subalgoE4EjNS0_10empty_typeEbEEZZNS1_14partition_implILS8_4ELb0ES6_15HIP_vector_typeIjLj2EENS0_17counting_iteratorIjlEEPS9_SG_NS0_5tupleIJPjSI_NS0_16reverse_iteratorISI_EEEEENSH_IJSG_SG_SG_EEES9_SI_JZNS1_25segmented_radix_sort_implINS0_14default_configELb0EPKhPhPKlPlN2at6native12_GLOBAL__N_18offset_tEEE10hipError_tPvRmT1_PNSt15iterator_traitsIS12_E10value_typeET2_T3_PNS13_IS18_E10value_typeET4_jRbjT5_S1E_jjP12ihipStream_tbEUljE_ZNSN_ISO_Lb0ESQ_SR_ST_SU_SY_EESZ_S10_S11_S12_S16_S17_S18_S1B_S1C_jS1D_jS1E_S1E_jjS1G_bEUljE0_EEESZ_S10_S11_S18_S1C_S1E_T6_T7_T9_mT8_S1G_bDpT10_ENKUlT_T0_E_clISt17integral_constantIbLb1EES1U_EEDaS1P_S1Q_EUlS1P_E_NS1_11comp_targetILNS1_3genE3ELNS1_11target_archE908ELNS1_3gpuE7ELNS1_3repE0EEENS1_30default_config_static_selectorELNS0_4arch9wavefront6targetE1EEEvS12_
		.amdhsa_group_segment_fixed_size 0
		.amdhsa_private_segment_fixed_size 0
		.amdhsa_kernarg_size 184
		.amdhsa_user_sgpr_count 6
		.amdhsa_user_sgpr_private_segment_buffer 1
		.amdhsa_user_sgpr_dispatch_ptr 0
		.amdhsa_user_sgpr_queue_ptr 0
		.amdhsa_user_sgpr_kernarg_segment_ptr 1
		.amdhsa_user_sgpr_dispatch_id 0
		.amdhsa_user_sgpr_flat_scratch_init 0
		.amdhsa_user_sgpr_kernarg_preload_length 0
		.amdhsa_user_sgpr_kernarg_preload_offset 0
		.amdhsa_user_sgpr_private_segment_size 0
		.amdhsa_uses_dynamic_stack 0
		.amdhsa_system_sgpr_private_segment_wavefront_offset 0
		.amdhsa_system_sgpr_workgroup_id_x 1
		.amdhsa_system_sgpr_workgroup_id_y 0
		.amdhsa_system_sgpr_workgroup_id_z 0
		.amdhsa_system_sgpr_workgroup_info 0
		.amdhsa_system_vgpr_workitem_id 0
		.amdhsa_next_free_vgpr 1
		.amdhsa_next_free_sgpr 0
		.amdhsa_accum_offset 4
		.amdhsa_reserve_vcc 0
		.amdhsa_reserve_flat_scratch 0
		.amdhsa_float_round_mode_32 0
		.amdhsa_float_round_mode_16_64 0
		.amdhsa_float_denorm_mode_32 3
		.amdhsa_float_denorm_mode_16_64 3
		.amdhsa_dx10_clamp 1
		.amdhsa_ieee_mode 1
		.amdhsa_fp16_overflow 0
		.amdhsa_tg_split 0
		.amdhsa_exception_fp_ieee_invalid_op 0
		.amdhsa_exception_fp_denorm_src 0
		.amdhsa_exception_fp_ieee_div_zero 0
		.amdhsa_exception_fp_ieee_overflow 0
		.amdhsa_exception_fp_ieee_underflow 0
		.amdhsa_exception_fp_ieee_inexact 0
		.amdhsa_exception_int_div_zero 0
	.end_amdhsa_kernel
	.section	.text._ZN7rocprim17ROCPRIM_400000_NS6detail17trampoline_kernelINS0_13select_configILj256ELj13ELNS0_17block_load_methodE3ELS4_3ELS4_3ELNS0_20block_scan_algorithmE0ELj4294967295EEENS1_25partition_config_selectorILNS1_17partition_subalgoE4EjNS0_10empty_typeEbEEZZNS1_14partition_implILS8_4ELb0ES6_15HIP_vector_typeIjLj2EENS0_17counting_iteratorIjlEEPS9_SG_NS0_5tupleIJPjSI_NS0_16reverse_iteratorISI_EEEEENSH_IJSG_SG_SG_EEES9_SI_JZNS1_25segmented_radix_sort_implINS0_14default_configELb0EPKhPhPKlPlN2at6native12_GLOBAL__N_18offset_tEEE10hipError_tPvRmT1_PNSt15iterator_traitsIS12_E10value_typeET2_T3_PNS13_IS18_E10value_typeET4_jRbjT5_S1E_jjP12ihipStream_tbEUljE_ZNSN_ISO_Lb0ESQ_SR_ST_SU_SY_EESZ_S10_S11_S12_S16_S17_S18_S1B_S1C_jS1D_jS1E_S1E_jjS1G_bEUljE0_EEESZ_S10_S11_S18_S1C_S1E_T6_T7_T9_mT8_S1G_bDpT10_ENKUlT_T0_E_clISt17integral_constantIbLb1EES1U_EEDaS1P_S1Q_EUlS1P_E_NS1_11comp_targetILNS1_3genE3ELNS1_11target_archE908ELNS1_3gpuE7ELNS1_3repE0EEENS1_30default_config_static_selectorELNS0_4arch9wavefront6targetE1EEEvS12_,"axG",@progbits,_ZN7rocprim17ROCPRIM_400000_NS6detail17trampoline_kernelINS0_13select_configILj256ELj13ELNS0_17block_load_methodE3ELS4_3ELS4_3ELNS0_20block_scan_algorithmE0ELj4294967295EEENS1_25partition_config_selectorILNS1_17partition_subalgoE4EjNS0_10empty_typeEbEEZZNS1_14partition_implILS8_4ELb0ES6_15HIP_vector_typeIjLj2EENS0_17counting_iteratorIjlEEPS9_SG_NS0_5tupleIJPjSI_NS0_16reverse_iteratorISI_EEEEENSH_IJSG_SG_SG_EEES9_SI_JZNS1_25segmented_radix_sort_implINS0_14default_configELb0EPKhPhPKlPlN2at6native12_GLOBAL__N_18offset_tEEE10hipError_tPvRmT1_PNSt15iterator_traitsIS12_E10value_typeET2_T3_PNS13_IS18_E10value_typeET4_jRbjT5_S1E_jjP12ihipStream_tbEUljE_ZNSN_ISO_Lb0ESQ_SR_ST_SU_SY_EESZ_S10_S11_S12_S16_S17_S18_S1B_S1C_jS1D_jS1E_S1E_jjS1G_bEUljE0_EEESZ_S10_S11_S18_S1C_S1E_T6_T7_T9_mT8_S1G_bDpT10_ENKUlT_T0_E_clISt17integral_constantIbLb1EES1U_EEDaS1P_S1Q_EUlS1P_E_NS1_11comp_targetILNS1_3genE3ELNS1_11target_archE908ELNS1_3gpuE7ELNS1_3repE0EEENS1_30default_config_static_selectorELNS0_4arch9wavefront6targetE1EEEvS12_,comdat
.Lfunc_end133:
	.size	_ZN7rocprim17ROCPRIM_400000_NS6detail17trampoline_kernelINS0_13select_configILj256ELj13ELNS0_17block_load_methodE3ELS4_3ELS4_3ELNS0_20block_scan_algorithmE0ELj4294967295EEENS1_25partition_config_selectorILNS1_17partition_subalgoE4EjNS0_10empty_typeEbEEZZNS1_14partition_implILS8_4ELb0ES6_15HIP_vector_typeIjLj2EENS0_17counting_iteratorIjlEEPS9_SG_NS0_5tupleIJPjSI_NS0_16reverse_iteratorISI_EEEEENSH_IJSG_SG_SG_EEES9_SI_JZNS1_25segmented_radix_sort_implINS0_14default_configELb0EPKhPhPKlPlN2at6native12_GLOBAL__N_18offset_tEEE10hipError_tPvRmT1_PNSt15iterator_traitsIS12_E10value_typeET2_T3_PNS13_IS18_E10value_typeET4_jRbjT5_S1E_jjP12ihipStream_tbEUljE_ZNSN_ISO_Lb0ESQ_SR_ST_SU_SY_EESZ_S10_S11_S12_S16_S17_S18_S1B_S1C_jS1D_jS1E_S1E_jjS1G_bEUljE0_EEESZ_S10_S11_S18_S1C_S1E_T6_T7_T9_mT8_S1G_bDpT10_ENKUlT_T0_E_clISt17integral_constantIbLb1EES1U_EEDaS1P_S1Q_EUlS1P_E_NS1_11comp_targetILNS1_3genE3ELNS1_11target_archE908ELNS1_3gpuE7ELNS1_3repE0EEENS1_30default_config_static_selectorELNS0_4arch9wavefront6targetE1EEEvS12_, .Lfunc_end133-_ZN7rocprim17ROCPRIM_400000_NS6detail17trampoline_kernelINS0_13select_configILj256ELj13ELNS0_17block_load_methodE3ELS4_3ELS4_3ELNS0_20block_scan_algorithmE0ELj4294967295EEENS1_25partition_config_selectorILNS1_17partition_subalgoE4EjNS0_10empty_typeEbEEZZNS1_14partition_implILS8_4ELb0ES6_15HIP_vector_typeIjLj2EENS0_17counting_iteratorIjlEEPS9_SG_NS0_5tupleIJPjSI_NS0_16reverse_iteratorISI_EEEEENSH_IJSG_SG_SG_EEES9_SI_JZNS1_25segmented_radix_sort_implINS0_14default_configELb0EPKhPhPKlPlN2at6native12_GLOBAL__N_18offset_tEEE10hipError_tPvRmT1_PNSt15iterator_traitsIS12_E10value_typeET2_T3_PNS13_IS18_E10value_typeET4_jRbjT5_S1E_jjP12ihipStream_tbEUljE_ZNSN_ISO_Lb0ESQ_SR_ST_SU_SY_EESZ_S10_S11_S12_S16_S17_S18_S1B_S1C_jS1D_jS1E_S1E_jjS1G_bEUljE0_EEESZ_S10_S11_S18_S1C_S1E_T6_T7_T9_mT8_S1G_bDpT10_ENKUlT_T0_E_clISt17integral_constantIbLb1EES1U_EEDaS1P_S1Q_EUlS1P_E_NS1_11comp_targetILNS1_3genE3ELNS1_11target_archE908ELNS1_3gpuE7ELNS1_3repE0EEENS1_30default_config_static_selectorELNS0_4arch9wavefront6targetE1EEEvS12_
                                        ; -- End function
	.section	.AMDGPU.csdata,"",@progbits
; Kernel info:
; codeLenInByte = 0
; NumSgprs: 4
; NumVgprs: 0
; NumAgprs: 0
; TotalNumVgprs: 0
; ScratchSize: 0
; MemoryBound: 0
; FloatMode: 240
; IeeeMode: 1
; LDSByteSize: 0 bytes/workgroup (compile time only)
; SGPRBlocks: 0
; VGPRBlocks: 0
; NumSGPRsForWavesPerEU: 4
; NumVGPRsForWavesPerEU: 1
; AccumOffset: 4
; Occupancy: 8
; WaveLimiterHint : 0
; COMPUTE_PGM_RSRC2:SCRATCH_EN: 0
; COMPUTE_PGM_RSRC2:USER_SGPR: 6
; COMPUTE_PGM_RSRC2:TRAP_HANDLER: 0
; COMPUTE_PGM_RSRC2:TGID_X_EN: 1
; COMPUTE_PGM_RSRC2:TGID_Y_EN: 0
; COMPUTE_PGM_RSRC2:TGID_Z_EN: 0
; COMPUTE_PGM_RSRC2:TIDIG_COMP_CNT: 0
; COMPUTE_PGM_RSRC3_GFX90A:ACCUM_OFFSET: 0
; COMPUTE_PGM_RSRC3_GFX90A:TG_SPLIT: 0
	.section	.text._ZN7rocprim17ROCPRIM_400000_NS6detail17trampoline_kernelINS0_13select_configILj256ELj13ELNS0_17block_load_methodE3ELS4_3ELS4_3ELNS0_20block_scan_algorithmE0ELj4294967295EEENS1_25partition_config_selectorILNS1_17partition_subalgoE4EjNS0_10empty_typeEbEEZZNS1_14partition_implILS8_4ELb0ES6_15HIP_vector_typeIjLj2EENS0_17counting_iteratorIjlEEPS9_SG_NS0_5tupleIJPjSI_NS0_16reverse_iteratorISI_EEEEENSH_IJSG_SG_SG_EEES9_SI_JZNS1_25segmented_radix_sort_implINS0_14default_configELb0EPKhPhPKlPlN2at6native12_GLOBAL__N_18offset_tEEE10hipError_tPvRmT1_PNSt15iterator_traitsIS12_E10value_typeET2_T3_PNS13_IS18_E10value_typeET4_jRbjT5_S1E_jjP12ihipStream_tbEUljE_ZNSN_ISO_Lb0ESQ_SR_ST_SU_SY_EESZ_S10_S11_S12_S16_S17_S18_S1B_S1C_jS1D_jS1E_S1E_jjS1G_bEUljE0_EEESZ_S10_S11_S18_S1C_S1E_T6_T7_T9_mT8_S1G_bDpT10_ENKUlT_T0_E_clISt17integral_constantIbLb1EES1U_EEDaS1P_S1Q_EUlS1P_E_NS1_11comp_targetILNS1_3genE2ELNS1_11target_archE906ELNS1_3gpuE6ELNS1_3repE0EEENS1_30default_config_static_selectorELNS0_4arch9wavefront6targetE1EEEvS12_,"axG",@progbits,_ZN7rocprim17ROCPRIM_400000_NS6detail17trampoline_kernelINS0_13select_configILj256ELj13ELNS0_17block_load_methodE3ELS4_3ELS4_3ELNS0_20block_scan_algorithmE0ELj4294967295EEENS1_25partition_config_selectorILNS1_17partition_subalgoE4EjNS0_10empty_typeEbEEZZNS1_14partition_implILS8_4ELb0ES6_15HIP_vector_typeIjLj2EENS0_17counting_iteratorIjlEEPS9_SG_NS0_5tupleIJPjSI_NS0_16reverse_iteratorISI_EEEEENSH_IJSG_SG_SG_EEES9_SI_JZNS1_25segmented_radix_sort_implINS0_14default_configELb0EPKhPhPKlPlN2at6native12_GLOBAL__N_18offset_tEEE10hipError_tPvRmT1_PNSt15iterator_traitsIS12_E10value_typeET2_T3_PNS13_IS18_E10value_typeET4_jRbjT5_S1E_jjP12ihipStream_tbEUljE_ZNSN_ISO_Lb0ESQ_SR_ST_SU_SY_EESZ_S10_S11_S12_S16_S17_S18_S1B_S1C_jS1D_jS1E_S1E_jjS1G_bEUljE0_EEESZ_S10_S11_S18_S1C_S1E_T6_T7_T9_mT8_S1G_bDpT10_ENKUlT_T0_E_clISt17integral_constantIbLb1EES1U_EEDaS1P_S1Q_EUlS1P_E_NS1_11comp_targetILNS1_3genE2ELNS1_11target_archE906ELNS1_3gpuE6ELNS1_3repE0EEENS1_30default_config_static_selectorELNS0_4arch9wavefront6targetE1EEEvS12_,comdat
	.globl	_ZN7rocprim17ROCPRIM_400000_NS6detail17trampoline_kernelINS0_13select_configILj256ELj13ELNS0_17block_load_methodE3ELS4_3ELS4_3ELNS0_20block_scan_algorithmE0ELj4294967295EEENS1_25partition_config_selectorILNS1_17partition_subalgoE4EjNS0_10empty_typeEbEEZZNS1_14partition_implILS8_4ELb0ES6_15HIP_vector_typeIjLj2EENS0_17counting_iteratorIjlEEPS9_SG_NS0_5tupleIJPjSI_NS0_16reverse_iteratorISI_EEEEENSH_IJSG_SG_SG_EEES9_SI_JZNS1_25segmented_radix_sort_implINS0_14default_configELb0EPKhPhPKlPlN2at6native12_GLOBAL__N_18offset_tEEE10hipError_tPvRmT1_PNSt15iterator_traitsIS12_E10value_typeET2_T3_PNS13_IS18_E10value_typeET4_jRbjT5_S1E_jjP12ihipStream_tbEUljE_ZNSN_ISO_Lb0ESQ_SR_ST_SU_SY_EESZ_S10_S11_S12_S16_S17_S18_S1B_S1C_jS1D_jS1E_S1E_jjS1G_bEUljE0_EEESZ_S10_S11_S18_S1C_S1E_T6_T7_T9_mT8_S1G_bDpT10_ENKUlT_T0_E_clISt17integral_constantIbLb1EES1U_EEDaS1P_S1Q_EUlS1P_E_NS1_11comp_targetILNS1_3genE2ELNS1_11target_archE906ELNS1_3gpuE6ELNS1_3repE0EEENS1_30default_config_static_selectorELNS0_4arch9wavefront6targetE1EEEvS12_ ; -- Begin function _ZN7rocprim17ROCPRIM_400000_NS6detail17trampoline_kernelINS0_13select_configILj256ELj13ELNS0_17block_load_methodE3ELS4_3ELS4_3ELNS0_20block_scan_algorithmE0ELj4294967295EEENS1_25partition_config_selectorILNS1_17partition_subalgoE4EjNS0_10empty_typeEbEEZZNS1_14partition_implILS8_4ELb0ES6_15HIP_vector_typeIjLj2EENS0_17counting_iteratorIjlEEPS9_SG_NS0_5tupleIJPjSI_NS0_16reverse_iteratorISI_EEEEENSH_IJSG_SG_SG_EEES9_SI_JZNS1_25segmented_radix_sort_implINS0_14default_configELb0EPKhPhPKlPlN2at6native12_GLOBAL__N_18offset_tEEE10hipError_tPvRmT1_PNSt15iterator_traitsIS12_E10value_typeET2_T3_PNS13_IS18_E10value_typeET4_jRbjT5_S1E_jjP12ihipStream_tbEUljE_ZNSN_ISO_Lb0ESQ_SR_ST_SU_SY_EESZ_S10_S11_S12_S16_S17_S18_S1B_S1C_jS1D_jS1E_S1E_jjS1G_bEUljE0_EEESZ_S10_S11_S18_S1C_S1E_T6_T7_T9_mT8_S1G_bDpT10_ENKUlT_T0_E_clISt17integral_constantIbLb1EES1U_EEDaS1P_S1Q_EUlS1P_E_NS1_11comp_targetILNS1_3genE2ELNS1_11target_archE906ELNS1_3gpuE6ELNS1_3repE0EEENS1_30default_config_static_selectorELNS0_4arch9wavefront6targetE1EEEvS12_
	.p2align	8
	.type	_ZN7rocprim17ROCPRIM_400000_NS6detail17trampoline_kernelINS0_13select_configILj256ELj13ELNS0_17block_load_methodE3ELS4_3ELS4_3ELNS0_20block_scan_algorithmE0ELj4294967295EEENS1_25partition_config_selectorILNS1_17partition_subalgoE4EjNS0_10empty_typeEbEEZZNS1_14partition_implILS8_4ELb0ES6_15HIP_vector_typeIjLj2EENS0_17counting_iteratorIjlEEPS9_SG_NS0_5tupleIJPjSI_NS0_16reverse_iteratorISI_EEEEENSH_IJSG_SG_SG_EEES9_SI_JZNS1_25segmented_radix_sort_implINS0_14default_configELb0EPKhPhPKlPlN2at6native12_GLOBAL__N_18offset_tEEE10hipError_tPvRmT1_PNSt15iterator_traitsIS12_E10value_typeET2_T3_PNS13_IS18_E10value_typeET4_jRbjT5_S1E_jjP12ihipStream_tbEUljE_ZNSN_ISO_Lb0ESQ_SR_ST_SU_SY_EESZ_S10_S11_S12_S16_S17_S18_S1B_S1C_jS1D_jS1E_S1E_jjS1G_bEUljE0_EEESZ_S10_S11_S18_S1C_S1E_T6_T7_T9_mT8_S1G_bDpT10_ENKUlT_T0_E_clISt17integral_constantIbLb1EES1U_EEDaS1P_S1Q_EUlS1P_E_NS1_11comp_targetILNS1_3genE2ELNS1_11target_archE906ELNS1_3gpuE6ELNS1_3repE0EEENS1_30default_config_static_selectorELNS0_4arch9wavefront6targetE1EEEvS12_,@function
_ZN7rocprim17ROCPRIM_400000_NS6detail17trampoline_kernelINS0_13select_configILj256ELj13ELNS0_17block_load_methodE3ELS4_3ELS4_3ELNS0_20block_scan_algorithmE0ELj4294967295EEENS1_25partition_config_selectorILNS1_17partition_subalgoE4EjNS0_10empty_typeEbEEZZNS1_14partition_implILS8_4ELb0ES6_15HIP_vector_typeIjLj2EENS0_17counting_iteratorIjlEEPS9_SG_NS0_5tupleIJPjSI_NS0_16reverse_iteratorISI_EEEEENSH_IJSG_SG_SG_EEES9_SI_JZNS1_25segmented_radix_sort_implINS0_14default_configELb0EPKhPhPKlPlN2at6native12_GLOBAL__N_18offset_tEEE10hipError_tPvRmT1_PNSt15iterator_traitsIS12_E10value_typeET2_T3_PNS13_IS18_E10value_typeET4_jRbjT5_S1E_jjP12ihipStream_tbEUljE_ZNSN_ISO_Lb0ESQ_SR_ST_SU_SY_EESZ_S10_S11_S12_S16_S17_S18_S1B_S1C_jS1D_jS1E_S1E_jjS1G_bEUljE0_EEESZ_S10_S11_S18_S1C_S1E_T6_T7_T9_mT8_S1G_bDpT10_ENKUlT_T0_E_clISt17integral_constantIbLb1EES1U_EEDaS1P_S1Q_EUlS1P_E_NS1_11comp_targetILNS1_3genE2ELNS1_11target_archE906ELNS1_3gpuE6ELNS1_3repE0EEENS1_30default_config_static_selectorELNS0_4arch9wavefront6targetE1EEEvS12_: ; @_ZN7rocprim17ROCPRIM_400000_NS6detail17trampoline_kernelINS0_13select_configILj256ELj13ELNS0_17block_load_methodE3ELS4_3ELS4_3ELNS0_20block_scan_algorithmE0ELj4294967295EEENS1_25partition_config_selectorILNS1_17partition_subalgoE4EjNS0_10empty_typeEbEEZZNS1_14partition_implILS8_4ELb0ES6_15HIP_vector_typeIjLj2EENS0_17counting_iteratorIjlEEPS9_SG_NS0_5tupleIJPjSI_NS0_16reverse_iteratorISI_EEEEENSH_IJSG_SG_SG_EEES9_SI_JZNS1_25segmented_radix_sort_implINS0_14default_configELb0EPKhPhPKlPlN2at6native12_GLOBAL__N_18offset_tEEE10hipError_tPvRmT1_PNSt15iterator_traitsIS12_E10value_typeET2_T3_PNS13_IS18_E10value_typeET4_jRbjT5_S1E_jjP12ihipStream_tbEUljE_ZNSN_ISO_Lb0ESQ_SR_ST_SU_SY_EESZ_S10_S11_S12_S16_S17_S18_S1B_S1C_jS1D_jS1E_S1E_jjS1G_bEUljE0_EEESZ_S10_S11_S18_S1C_S1E_T6_T7_T9_mT8_S1G_bDpT10_ENKUlT_T0_E_clISt17integral_constantIbLb1EES1U_EEDaS1P_S1Q_EUlS1P_E_NS1_11comp_targetILNS1_3genE2ELNS1_11target_archE906ELNS1_3gpuE6ELNS1_3repE0EEENS1_30default_config_static_selectorELNS0_4arch9wavefront6targetE1EEEvS12_
; %bb.0:
	.section	.rodata,"a",@progbits
	.p2align	6, 0x0
	.amdhsa_kernel _ZN7rocprim17ROCPRIM_400000_NS6detail17trampoline_kernelINS0_13select_configILj256ELj13ELNS0_17block_load_methodE3ELS4_3ELS4_3ELNS0_20block_scan_algorithmE0ELj4294967295EEENS1_25partition_config_selectorILNS1_17partition_subalgoE4EjNS0_10empty_typeEbEEZZNS1_14partition_implILS8_4ELb0ES6_15HIP_vector_typeIjLj2EENS0_17counting_iteratorIjlEEPS9_SG_NS0_5tupleIJPjSI_NS0_16reverse_iteratorISI_EEEEENSH_IJSG_SG_SG_EEES9_SI_JZNS1_25segmented_radix_sort_implINS0_14default_configELb0EPKhPhPKlPlN2at6native12_GLOBAL__N_18offset_tEEE10hipError_tPvRmT1_PNSt15iterator_traitsIS12_E10value_typeET2_T3_PNS13_IS18_E10value_typeET4_jRbjT5_S1E_jjP12ihipStream_tbEUljE_ZNSN_ISO_Lb0ESQ_SR_ST_SU_SY_EESZ_S10_S11_S12_S16_S17_S18_S1B_S1C_jS1D_jS1E_S1E_jjS1G_bEUljE0_EEESZ_S10_S11_S18_S1C_S1E_T6_T7_T9_mT8_S1G_bDpT10_ENKUlT_T0_E_clISt17integral_constantIbLb1EES1U_EEDaS1P_S1Q_EUlS1P_E_NS1_11comp_targetILNS1_3genE2ELNS1_11target_archE906ELNS1_3gpuE6ELNS1_3repE0EEENS1_30default_config_static_selectorELNS0_4arch9wavefront6targetE1EEEvS12_
		.amdhsa_group_segment_fixed_size 0
		.amdhsa_private_segment_fixed_size 0
		.amdhsa_kernarg_size 184
		.amdhsa_user_sgpr_count 6
		.amdhsa_user_sgpr_private_segment_buffer 1
		.amdhsa_user_sgpr_dispatch_ptr 0
		.amdhsa_user_sgpr_queue_ptr 0
		.amdhsa_user_sgpr_kernarg_segment_ptr 1
		.amdhsa_user_sgpr_dispatch_id 0
		.amdhsa_user_sgpr_flat_scratch_init 0
		.amdhsa_user_sgpr_kernarg_preload_length 0
		.amdhsa_user_sgpr_kernarg_preload_offset 0
		.amdhsa_user_sgpr_private_segment_size 0
		.amdhsa_uses_dynamic_stack 0
		.amdhsa_system_sgpr_private_segment_wavefront_offset 0
		.amdhsa_system_sgpr_workgroup_id_x 1
		.amdhsa_system_sgpr_workgroup_id_y 0
		.amdhsa_system_sgpr_workgroup_id_z 0
		.amdhsa_system_sgpr_workgroup_info 0
		.amdhsa_system_vgpr_workitem_id 0
		.amdhsa_next_free_vgpr 1
		.amdhsa_next_free_sgpr 0
		.amdhsa_accum_offset 4
		.amdhsa_reserve_vcc 0
		.amdhsa_reserve_flat_scratch 0
		.amdhsa_float_round_mode_32 0
		.amdhsa_float_round_mode_16_64 0
		.amdhsa_float_denorm_mode_32 3
		.amdhsa_float_denorm_mode_16_64 3
		.amdhsa_dx10_clamp 1
		.amdhsa_ieee_mode 1
		.amdhsa_fp16_overflow 0
		.amdhsa_tg_split 0
		.amdhsa_exception_fp_ieee_invalid_op 0
		.amdhsa_exception_fp_denorm_src 0
		.amdhsa_exception_fp_ieee_div_zero 0
		.amdhsa_exception_fp_ieee_overflow 0
		.amdhsa_exception_fp_ieee_underflow 0
		.amdhsa_exception_fp_ieee_inexact 0
		.amdhsa_exception_int_div_zero 0
	.end_amdhsa_kernel
	.section	.text._ZN7rocprim17ROCPRIM_400000_NS6detail17trampoline_kernelINS0_13select_configILj256ELj13ELNS0_17block_load_methodE3ELS4_3ELS4_3ELNS0_20block_scan_algorithmE0ELj4294967295EEENS1_25partition_config_selectorILNS1_17partition_subalgoE4EjNS0_10empty_typeEbEEZZNS1_14partition_implILS8_4ELb0ES6_15HIP_vector_typeIjLj2EENS0_17counting_iteratorIjlEEPS9_SG_NS0_5tupleIJPjSI_NS0_16reverse_iteratorISI_EEEEENSH_IJSG_SG_SG_EEES9_SI_JZNS1_25segmented_radix_sort_implINS0_14default_configELb0EPKhPhPKlPlN2at6native12_GLOBAL__N_18offset_tEEE10hipError_tPvRmT1_PNSt15iterator_traitsIS12_E10value_typeET2_T3_PNS13_IS18_E10value_typeET4_jRbjT5_S1E_jjP12ihipStream_tbEUljE_ZNSN_ISO_Lb0ESQ_SR_ST_SU_SY_EESZ_S10_S11_S12_S16_S17_S18_S1B_S1C_jS1D_jS1E_S1E_jjS1G_bEUljE0_EEESZ_S10_S11_S18_S1C_S1E_T6_T7_T9_mT8_S1G_bDpT10_ENKUlT_T0_E_clISt17integral_constantIbLb1EES1U_EEDaS1P_S1Q_EUlS1P_E_NS1_11comp_targetILNS1_3genE2ELNS1_11target_archE906ELNS1_3gpuE6ELNS1_3repE0EEENS1_30default_config_static_selectorELNS0_4arch9wavefront6targetE1EEEvS12_,"axG",@progbits,_ZN7rocprim17ROCPRIM_400000_NS6detail17trampoline_kernelINS0_13select_configILj256ELj13ELNS0_17block_load_methodE3ELS4_3ELS4_3ELNS0_20block_scan_algorithmE0ELj4294967295EEENS1_25partition_config_selectorILNS1_17partition_subalgoE4EjNS0_10empty_typeEbEEZZNS1_14partition_implILS8_4ELb0ES6_15HIP_vector_typeIjLj2EENS0_17counting_iteratorIjlEEPS9_SG_NS0_5tupleIJPjSI_NS0_16reverse_iteratorISI_EEEEENSH_IJSG_SG_SG_EEES9_SI_JZNS1_25segmented_radix_sort_implINS0_14default_configELb0EPKhPhPKlPlN2at6native12_GLOBAL__N_18offset_tEEE10hipError_tPvRmT1_PNSt15iterator_traitsIS12_E10value_typeET2_T3_PNS13_IS18_E10value_typeET4_jRbjT5_S1E_jjP12ihipStream_tbEUljE_ZNSN_ISO_Lb0ESQ_SR_ST_SU_SY_EESZ_S10_S11_S12_S16_S17_S18_S1B_S1C_jS1D_jS1E_S1E_jjS1G_bEUljE0_EEESZ_S10_S11_S18_S1C_S1E_T6_T7_T9_mT8_S1G_bDpT10_ENKUlT_T0_E_clISt17integral_constantIbLb1EES1U_EEDaS1P_S1Q_EUlS1P_E_NS1_11comp_targetILNS1_3genE2ELNS1_11target_archE906ELNS1_3gpuE6ELNS1_3repE0EEENS1_30default_config_static_selectorELNS0_4arch9wavefront6targetE1EEEvS12_,comdat
.Lfunc_end134:
	.size	_ZN7rocprim17ROCPRIM_400000_NS6detail17trampoline_kernelINS0_13select_configILj256ELj13ELNS0_17block_load_methodE3ELS4_3ELS4_3ELNS0_20block_scan_algorithmE0ELj4294967295EEENS1_25partition_config_selectorILNS1_17partition_subalgoE4EjNS0_10empty_typeEbEEZZNS1_14partition_implILS8_4ELb0ES6_15HIP_vector_typeIjLj2EENS0_17counting_iteratorIjlEEPS9_SG_NS0_5tupleIJPjSI_NS0_16reverse_iteratorISI_EEEEENSH_IJSG_SG_SG_EEES9_SI_JZNS1_25segmented_radix_sort_implINS0_14default_configELb0EPKhPhPKlPlN2at6native12_GLOBAL__N_18offset_tEEE10hipError_tPvRmT1_PNSt15iterator_traitsIS12_E10value_typeET2_T3_PNS13_IS18_E10value_typeET4_jRbjT5_S1E_jjP12ihipStream_tbEUljE_ZNSN_ISO_Lb0ESQ_SR_ST_SU_SY_EESZ_S10_S11_S12_S16_S17_S18_S1B_S1C_jS1D_jS1E_S1E_jjS1G_bEUljE0_EEESZ_S10_S11_S18_S1C_S1E_T6_T7_T9_mT8_S1G_bDpT10_ENKUlT_T0_E_clISt17integral_constantIbLb1EES1U_EEDaS1P_S1Q_EUlS1P_E_NS1_11comp_targetILNS1_3genE2ELNS1_11target_archE906ELNS1_3gpuE6ELNS1_3repE0EEENS1_30default_config_static_selectorELNS0_4arch9wavefront6targetE1EEEvS12_, .Lfunc_end134-_ZN7rocprim17ROCPRIM_400000_NS6detail17trampoline_kernelINS0_13select_configILj256ELj13ELNS0_17block_load_methodE3ELS4_3ELS4_3ELNS0_20block_scan_algorithmE0ELj4294967295EEENS1_25partition_config_selectorILNS1_17partition_subalgoE4EjNS0_10empty_typeEbEEZZNS1_14partition_implILS8_4ELb0ES6_15HIP_vector_typeIjLj2EENS0_17counting_iteratorIjlEEPS9_SG_NS0_5tupleIJPjSI_NS0_16reverse_iteratorISI_EEEEENSH_IJSG_SG_SG_EEES9_SI_JZNS1_25segmented_radix_sort_implINS0_14default_configELb0EPKhPhPKlPlN2at6native12_GLOBAL__N_18offset_tEEE10hipError_tPvRmT1_PNSt15iterator_traitsIS12_E10value_typeET2_T3_PNS13_IS18_E10value_typeET4_jRbjT5_S1E_jjP12ihipStream_tbEUljE_ZNSN_ISO_Lb0ESQ_SR_ST_SU_SY_EESZ_S10_S11_S12_S16_S17_S18_S1B_S1C_jS1D_jS1E_S1E_jjS1G_bEUljE0_EEESZ_S10_S11_S18_S1C_S1E_T6_T7_T9_mT8_S1G_bDpT10_ENKUlT_T0_E_clISt17integral_constantIbLb1EES1U_EEDaS1P_S1Q_EUlS1P_E_NS1_11comp_targetILNS1_3genE2ELNS1_11target_archE906ELNS1_3gpuE6ELNS1_3repE0EEENS1_30default_config_static_selectorELNS0_4arch9wavefront6targetE1EEEvS12_
                                        ; -- End function
	.section	.AMDGPU.csdata,"",@progbits
; Kernel info:
; codeLenInByte = 0
; NumSgprs: 4
; NumVgprs: 0
; NumAgprs: 0
; TotalNumVgprs: 0
; ScratchSize: 0
; MemoryBound: 0
; FloatMode: 240
; IeeeMode: 1
; LDSByteSize: 0 bytes/workgroup (compile time only)
; SGPRBlocks: 0
; VGPRBlocks: 0
; NumSGPRsForWavesPerEU: 4
; NumVGPRsForWavesPerEU: 1
; AccumOffset: 4
; Occupancy: 8
; WaveLimiterHint : 0
; COMPUTE_PGM_RSRC2:SCRATCH_EN: 0
; COMPUTE_PGM_RSRC2:USER_SGPR: 6
; COMPUTE_PGM_RSRC2:TRAP_HANDLER: 0
; COMPUTE_PGM_RSRC2:TGID_X_EN: 1
; COMPUTE_PGM_RSRC2:TGID_Y_EN: 0
; COMPUTE_PGM_RSRC2:TGID_Z_EN: 0
; COMPUTE_PGM_RSRC2:TIDIG_COMP_CNT: 0
; COMPUTE_PGM_RSRC3_GFX90A:ACCUM_OFFSET: 0
; COMPUTE_PGM_RSRC3_GFX90A:TG_SPLIT: 0
	.section	.text._ZN7rocprim17ROCPRIM_400000_NS6detail17trampoline_kernelINS0_13select_configILj256ELj13ELNS0_17block_load_methodE3ELS4_3ELS4_3ELNS0_20block_scan_algorithmE0ELj4294967295EEENS1_25partition_config_selectorILNS1_17partition_subalgoE4EjNS0_10empty_typeEbEEZZNS1_14partition_implILS8_4ELb0ES6_15HIP_vector_typeIjLj2EENS0_17counting_iteratorIjlEEPS9_SG_NS0_5tupleIJPjSI_NS0_16reverse_iteratorISI_EEEEENSH_IJSG_SG_SG_EEES9_SI_JZNS1_25segmented_radix_sort_implINS0_14default_configELb0EPKhPhPKlPlN2at6native12_GLOBAL__N_18offset_tEEE10hipError_tPvRmT1_PNSt15iterator_traitsIS12_E10value_typeET2_T3_PNS13_IS18_E10value_typeET4_jRbjT5_S1E_jjP12ihipStream_tbEUljE_ZNSN_ISO_Lb0ESQ_SR_ST_SU_SY_EESZ_S10_S11_S12_S16_S17_S18_S1B_S1C_jS1D_jS1E_S1E_jjS1G_bEUljE0_EEESZ_S10_S11_S18_S1C_S1E_T6_T7_T9_mT8_S1G_bDpT10_ENKUlT_T0_E_clISt17integral_constantIbLb1EES1U_EEDaS1P_S1Q_EUlS1P_E_NS1_11comp_targetILNS1_3genE10ELNS1_11target_archE1200ELNS1_3gpuE4ELNS1_3repE0EEENS1_30default_config_static_selectorELNS0_4arch9wavefront6targetE1EEEvS12_,"axG",@progbits,_ZN7rocprim17ROCPRIM_400000_NS6detail17trampoline_kernelINS0_13select_configILj256ELj13ELNS0_17block_load_methodE3ELS4_3ELS4_3ELNS0_20block_scan_algorithmE0ELj4294967295EEENS1_25partition_config_selectorILNS1_17partition_subalgoE4EjNS0_10empty_typeEbEEZZNS1_14partition_implILS8_4ELb0ES6_15HIP_vector_typeIjLj2EENS0_17counting_iteratorIjlEEPS9_SG_NS0_5tupleIJPjSI_NS0_16reverse_iteratorISI_EEEEENSH_IJSG_SG_SG_EEES9_SI_JZNS1_25segmented_radix_sort_implINS0_14default_configELb0EPKhPhPKlPlN2at6native12_GLOBAL__N_18offset_tEEE10hipError_tPvRmT1_PNSt15iterator_traitsIS12_E10value_typeET2_T3_PNS13_IS18_E10value_typeET4_jRbjT5_S1E_jjP12ihipStream_tbEUljE_ZNSN_ISO_Lb0ESQ_SR_ST_SU_SY_EESZ_S10_S11_S12_S16_S17_S18_S1B_S1C_jS1D_jS1E_S1E_jjS1G_bEUljE0_EEESZ_S10_S11_S18_S1C_S1E_T6_T7_T9_mT8_S1G_bDpT10_ENKUlT_T0_E_clISt17integral_constantIbLb1EES1U_EEDaS1P_S1Q_EUlS1P_E_NS1_11comp_targetILNS1_3genE10ELNS1_11target_archE1200ELNS1_3gpuE4ELNS1_3repE0EEENS1_30default_config_static_selectorELNS0_4arch9wavefront6targetE1EEEvS12_,comdat
	.globl	_ZN7rocprim17ROCPRIM_400000_NS6detail17trampoline_kernelINS0_13select_configILj256ELj13ELNS0_17block_load_methodE3ELS4_3ELS4_3ELNS0_20block_scan_algorithmE0ELj4294967295EEENS1_25partition_config_selectorILNS1_17partition_subalgoE4EjNS0_10empty_typeEbEEZZNS1_14partition_implILS8_4ELb0ES6_15HIP_vector_typeIjLj2EENS0_17counting_iteratorIjlEEPS9_SG_NS0_5tupleIJPjSI_NS0_16reverse_iteratorISI_EEEEENSH_IJSG_SG_SG_EEES9_SI_JZNS1_25segmented_radix_sort_implINS0_14default_configELb0EPKhPhPKlPlN2at6native12_GLOBAL__N_18offset_tEEE10hipError_tPvRmT1_PNSt15iterator_traitsIS12_E10value_typeET2_T3_PNS13_IS18_E10value_typeET4_jRbjT5_S1E_jjP12ihipStream_tbEUljE_ZNSN_ISO_Lb0ESQ_SR_ST_SU_SY_EESZ_S10_S11_S12_S16_S17_S18_S1B_S1C_jS1D_jS1E_S1E_jjS1G_bEUljE0_EEESZ_S10_S11_S18_S1C_S1E_T6_T7_T9_mT8_S1G_bDpT10_ENKUlT_T0_E_clISt17integral_constantIbLb1EES1U_EEDaS1P_S1Q_EUlS1P_E_NS1_11comp_targetILNS1_3genE10ELNS1_11target_archE1200ELNS1_3gpuE4ELNS1_3repE0EEENS1_30default_config_static_selectorELNS0_4arch9wavefront6targetE1EEEvS12_ ; -- Begin function _ZN7rocprim17ROCPRIM_400000_NS6detail17trampoline_kernelINS0_13select_configILj256ELj13ELNS0_17block_load_methodE3ELS4_3ELS4_3ELNS0_20block_scan_algorithmE0ELj4294967295EEENS1_25partition_config_selectorILNS1_17partition_subalgoE4EjNS0_10empty_typeEbEEZZNS1_14partition_implILS8_4ELb0ES6_15HIP_vector_typeIjLj2EENS0_17counting_iteratorIjlEEPS9_SG_NS0_5tupleIJPjSI_NS0_16reverse_iteratorISI_EEEEENSH_IJSG_SG_SG_EEES9_SI_JZNS1_25segmented_radix_sort_implINS0_14default_configELb0EPKhPhPKlPlN2at6native12_GLOBAL__N_18offset_tEEE10hipError_tPvRmT1_PNSt15iterator_traitsIS12_E10value_typeET2_T3_PNS13_IS18_E10value_typeET4_jRbjT5_S1E_jjP12ihipStream_tbEUljE_ZNSN_ISO_Lb0ESQ_SR_ST_SU_SY_EESZ_S10_S11_S12_S16_S17_S18_S1B_S1C_jS1D_jS1E_S1E_jjS1G_bEUljE0_EEESZ_S10_S11_S18_S1C_S1E_T6_T7_T9_mT8_S1G_bDpT10_ENKUlT_T0_E_clISt17integral_constantIbLb1EES1U_EEDaS1P_S1Q_EUlS1P_E_NS1_11comp_targetILNS1_3genE10ELNS1_11target_archE1200ELNS1_3gpuE4ELNS1_3repE0EEENS1_30default_config_static_selectorELNS0_4arch9wavefront6targetE1EEEvS12_
	.p2align	8
	.type	_ZN7rocprim17ROCPRIM_400000_NS6detail17trampoline_kernelINS0_13select_configILj256ELj13ELNS0_17block_load_methodE3ELS4_3ELS4_3ELNS0_20block_scan_algorithmE0ELj4294967295EEENS1_25partition_config_selectorILNS1_17partition_subalgoE4EjNS0_10empty_typeEbEEZZNS1_14partition_implILS8_4ELb0ES6_15HIP_vector_typeIjLj2EENS0_17counting_iteratorIjlEEPS9_SG_NS0_5tupleIJPjSI_NS0_16reverse_iteratorISI_EEEEENSH_IJSG_SG_SG_EEES9_SI_JZNS1_25segmented_radix_sort_implINS0_14default_configELb0EPKhPhPKlPlN2at6native12_GLOBAL__N_18offset_tEEE10hipError_tPvRmT1_PNSt15iterator_traitsIS12_E10value_typeET2_T3_PNS13_IS18_E10value_typeET4_jRbjT5_S1E_jjP12ihipStream_tbEUljE_ZNSN_ISO_Lb0ESQ_SR_ST_SU_SY_EESZ_S10_S11_S12_S16_S17_S18_S1B_S1C_jS1D_jS1E_S1E_jjS1G_bEUljE0_EEESZ_S10_S11_S18_S1C_S1E_T6_T7_T9_mT8_S1G_bDpT10_ENKUlT_T0_E_clISt17integral_constantIbLb1EES1U_EEDaS1P_S1Q_EUlS1P_E_NS1_11comp_targetILNS1_3genE10ELNS1_11target_archE1200ELNS1_3gpuE4ELNS1_3repE0EEENS1_30default_config_static_selectorELNS0_4arch9wavefront6targetE1EEEvS12_,@function
_ZN7rocprim17ROCPRIM_400000_NS6detail17trampoline_kernelINS0_13select_configILj256ELj13ELNS0_17block_load_methodE3ELS4_3ELS4_3ELNS0_20block_scan_algorithmE0ELj4294967295EEENS1_25partition_config_selectorILNS1_17partition_subalgoE4EjNS0_10empty_typeEbEEZZNS1_14partition_implILS8_4ELb0ES6_15HIP_vector_typeIjLj2EENS0_17counting_iteratorIjlEEPS9_SG_NS0_5tupleIJPjSI_NS0_16reverse_iteratorISI_EEEEENSH_IJSG_SG_SG_EEES9_SI_JZNS1_25segmented_radix_sort_implINS0_14default_configELb0EPKhPhPKlPlN2at6native12_GLOBAL__N_18offset_tEEE10hipError_tPvRmT1_PNSt15iterator_traitsIS12_E10value_typeET2_T3_PNS13_IS18_E10value_typeET4_jRbjT5_S1E_jjP12ihipStream_tbEUljE_ZNSN_ISO_Lb0ESQ_SR_ST_SU_SY_EESZ_S10_S11_S12_S16_S17_S18_S1B_S1C_jS1D_jS1E_S1E_jjS1G_bEUljE0_EEESZ_S10_S11_S18_S1C_S1E_T6_T7_T9_mT8_S1G_bDpT10_ENKUlT_T0_E_clISt17integral_constantIbLb1EES1U_EEDaS1P_S1Q_EUlS1P_E_NS1_11comp_targetILNS1_3genE10ELNS1_11target_archE1200ELNS1_3gpuE4ELNS1_3repE0EEENS1_30default_config_static_selectorELNS0_4arch9wavefront6targetE1EEEvS12_: ; @_ZN7rocprim17ROCPRIM_400000_NS6detail17trampoline_kernelINS0_13select_configILj256ELj13ELNS0_17block_load_methodE3ELS4_3ELS4_3ELNS0_20block_scan_algorithmE0ELj4294967295EEENS1_25partition_config_selectorILNS1_17partition_subalgoE4EjNS0_10empty_typeEbEEZZNS1_14partition_implILS8_4ELb0ES6_15HIP_vector_typeIjLj2EENS0_17counting_iteratorIjlEEPS9_SG_NS0_5tupleIJPjSI_NS0_16reverse_iteratorISI_EEEEENSH_IJSG_SG_SG_EEES9_SI_JZNS1_25segmented_radix_sort_implINS0_14default_configELb0EPKhPhPKlPlN2at6native12_GLOBAL__N_18offset_tEEE10hipError_tPvRmT1_PNSt15iterator_traitsIS12_E10value_typeET2_T3_PNS13_IS18_E10value_typeET4_jRbjT5_S1E_jjP12ihipStream_tbEUljE_ZNSN_ISO_Lb0ESQ_SR_ST_SU_SY_EESZ_S10_S11_S12_S16_S17_S18_S1B_S1C_jS1D_jS1E_S1E_jjS1G_bEUljE0_EEESZ_S10_S11_S18_S1C_S1E_T6_T7_T9_mT8_S1G_bDpT10_ENKUlT_T0_E_clISt17integral_constantIbLb1EES1U_EEDaS1P_S1Q_EUlS1P_E_NS1_11comp_targetILNS1_3genE10ELNS1_11target_archE1200ELNS1_3gpuE4ELNS1_3repE0EEENS1_30default_config_static_selectorELNS0_4arch9wavefront6targetE1EEEvS12_
; %bb.0:
	.section	.rodata,"a",@progbits
	.p2align	6, 0x0
	.amdhsa_kernel _ZN7rocprim17ROCPRIM_400000_NS6detail17trampoline_kernelINS0_13select_configILj256ELj13ELNS0_17block_load_methodE3ELS4_3ELS4_3ELNS0_20block_scan_algorithmE0ELj4294967295EEENS1_25partition_config_selectorILNS1_17partition_subalgoE4EjNS0_10empty_typeEbEEZZNS1_14partition_implILS8_4ELb0ES6_15HIP_vector_typeIjLj2EENS0_17counting_iteratorIjlEEPS9_SG_NS0_5tupleIJPjSI_NS0_16reverse_iteratorISI_EEEEENSH_IJSG_SG_SG_EEES9_SI_JZNS1_25segmented_radix_sort_implINS0_14default_configELb0EPKhPhPKlPlN2at6native12_GLOBAL__N_18offset_tEEE10hipError_tPvRmT1_PNSt15iterator_traitsIS12_E10value_typeET2_T3_PNS13_IS18_E10value_typeET4_jRbjT5_S1E_jjP12ihipStream_tbEUljE_ZNSN_ISO_Lb0ESQ_SR_ST_SU_SY_EESZ_S10_S11_S12_S16_S17_S18_S1B_S1C_jS1D_jS1E_S1E_jjS1G_bEUljE0_EEESZ_S10_S11_S18_S1C_S1E_T6_T7_T9_mT8_S1G_bDpT10_ENKUlT_T0_E_clISt17integral_constantIbLb1EES1U_EEDaS1P_S1Q_EUlS1P_E_NS1_11comp_targetILNS1_3genE10ELNS1_11target_archE1200ELNS1_3gpuE4ELNS1_3repE0EEENS1_30default_config_static_selectorELNS0_4arch9wavefront6targetE1EEEvS12_
		.amdhsa_group_segment_fixed_size 0
		.amdhsa_private_segment_fixed_size 0
		.amdhsa_kernarg_size 184
		.amdhsa_user_sgpr_count 6
		.amdhsa_user_sgpr_private_segment_buffer 1
		.amdhsa_user_sgpr_dispatch_ptr 0
		.amdhsa_user_sgpr_queue_ptr 0
		.amdhsa_user_sgpr_kernarg_segment_ptr 1
		.amdhsa_user_sgpr_dispatch_id 0
		.amdhsa_user_sgpr_flat_scratch_init 0
		.amdhsa_user_sgpr_kernarg_preload_length 0
		.amdhsa_user_sgpr_kernarg_preload_offset 0
		.amdhsa_user_sgpr_private_segment_size 0
		.amdhsa_uses_dynamic_stack 0
		.amdhsa_system_sgpr_private_segment_wavefront_offset 0
		.amdhsa_system_sgpr_workgroup_id_x 1
		.amdhsa_system_sgpr_workgroup_id_y 0
		.amdhsa_system_sgpr_workgroup_id_z 0
		.amdhsa_system_sgpr_workgroup_info 0
		.amdhsa_system_vgpr_workitem_id 0
		.amdhsa_next_free_vgpr 1
		.amdhsa_next_free_sgpr 0
		.amdhsa_accum_offset 4
		.amdhsa_reserve_vcc 0
		.amdhsa_reserve_flat_scratch 0
		.amdhsa_float_round_mode_32 0
		.amdhsa_float_round_mode_16_64 0
		.amdhsa_float_denorm_mode_32 3
		.amdhsa_float_denorm_mode_16_64 3
		.amdhsa_dx10_clamp 1
		.amdhsa_ieee_mode 1
		.amdhsa_fp16_overflow 0
		.amdhsa_tg_split 0
		.amdhsa_exception_fp_ieee_invalid_op 0
		.amdhsa_exception_fp_denorm_src 0
		.amdhsa_exception_fp_ieee_div_zero 0
		.amdhsa_exception_fp_ieee_overflow 0
		.amdhsa_exception_fp_ieee_underflow 0
		.amdhsa_exception_fp_ieee_inexact 0
		.amdhsa_exception_int_div_zero 0
	.end_amdhsa_kernel
	.section	.text._ZN7rocprim17ROCPRIM_400000_NS6detail17trampoline_kernelINS0_13select_configILj256ELj13ELNS0_17block_load_methodE3ELS4_3ELS4_3ELNS0_20block_scan_algorithmE0ELj4294967295EEENS1_25partition_config_selectorILNS1_17partition_subalgoE4EjNS0_10empty_typeEbEEZZNS1_14partition_implILS8_4ELb0ES6_15HIP_vector_typeIjLj2EENS0_17counting_iteratorIjlEEPS9_SG_NS0_5tupleIJPjSI_NS0_16reverse_iteratorISI_EEEEENSH_IJSG_SG_SG_EEES9_SI_JZNS1_25segmented_radix_sort_implINS0_14default_configELb0EPKhPhPKlPlN2at6native12_GLOBAL__N_18offset_tEEE10hipError_tPvRmT1_PNSt15iterator_traitsIS12_E10value_typeET2_T3_PNS13_IS18_E10value_typeET4_jRbjT5_S1E_jjP12ihipStream_tbEUljE_ZNSN_ISO_Lb0ESQ_SR_ST_SU_SY_EESZ_S10_S11_S12_S16_S17_S18_S1B_S1C_jS1D_jS1E_S1E_jjS1G_bEUljE0_EEESZ_S10_S11_S18_S1C_S1E_T6_T7_T9_mT8_S1G_bDpT10_ENKUlT_T0_E_clISt17integral_constantIbLb1EES1U_EEDaS1P_S1Q_EUlS1P_E_NS1_11comp_targetILNS1_3genE10ELNS1_11target_archE1200ELNS1_3gpuE4ELNS1_3repE0EEENS1_30default_config_static_selectorELNS0_4arch9wavefront6targetE1EEEvS12_,"axG",@progbits,_ZN7rocprim17ROCPRIM_400000_NS6detail17trampoline_kernelINS0_13select_configILj256ELj13ELNS0_17block_load_methodE3ELS4_3ELS4_3ELNS0_20block_scan_algorithmE0ELj4294967295EEENS1_25partition_config_selectorILNS1_17partition_subalgoE4EjNS0_10empty_typeEbEEZZNS1_14partition_implILS8_4ELb0ES6_15HIP_vector_typeIjLj2EENS0_17counting_iteratorIjlEEPS9_SG_NS0_5tupleIJPjSI_NS0_16reverse_iteratorISI_EEEEENSH_IJSG_SG_SG_EEES9_SI_JZNS1_25segmented_radix_sort_implINS0_14default_configELb0EPKhPhPKlPlN2at6native12_GLOBAL__N_18offset_tEEE10hipError_tPvRmT1_PNSt15iterator_traitsIS12_E10value_typeET2_T3_PNS13_IS18_E10value_typeET4_jRbjT5_S1E_jjP12ihipStream_tbEUljE_ZNSN_ISO_Lb0ESQ_SR_ST_SU_SY_EESZ_S10_S11_S12_S16_S17_S18_S1B_S1C_jS1D_jS1E_S1E_jjS1G_bEUljE0_EEESZ_S10_S11_S18_S1C_S1E_T6_T7_T9_mT8_S1G_bDpT10_ENKUlT_T0_E_clISt17integral_constantIbLb1EES1U_EEDaS1P_S1Q_EUlS1P_E_NS1_11comp_targetILNS1_3genE10ELNS1_11target_archE1200ELNS1_3gpuE4ELNS1_3repE0EEENS1_30default_config_static_selectorELNS0_4arch9wavefront6targetE1EEEvS12_,comdat
.Lfunc_end135:
	.size	_ZN7rocprim17ROCPRIM_400000_NS6detail17trampoline_kernelINS0_13select_configILj256ELj13ELNS0_17block_load_methodE3ELS4_3ELS4_3ELNS0_20block_scan_algorithmE0ELj4294967295EEENS1_25partition_config_selectorILNS1_17partition_subalgoE4EjNS0_10empty_typeEbEEZZNS1_14partition_implILS8_4ELb0ES6_15HIP_vector_typeIjLj2EENS0_17counting_iteratorIjlEEPS9_SG_NS0_5tupleIJPjSI_NS0_16reverse_iteratorISI_EEEEENSH_IJSG_SG_SG_EEES9_SI_JZNS1_25segmented_radix_sort_implINS0_14default_configELb0EPKhPhPKlPlN2at6native12_GLOBAL__N_18offset_tEEE10hipError_tPvRmT1_PNSt15iterator_traitsIS12_E10value_typeET2_T3_PNS13_IS18_E10value_typeET4_jRbjT5_S1E_jjP12ihipStream_tbEUljE_ZNSN_ISO_Lb0ESQ_SR_ST_SU_SY_EESZ_S10_S11_S12_S16_S17_S18_S1B_S1C_jS1D_jS1E_S1E_jjS1G_bEUljE0_EEESZ_S10_S11_S18_S1C_S1E_T6_T7_T9_mT8_S1G_bDpT10_ENKUlT_T0_E_clISt17integral_constantIbLb1EES1U_EEDaS1P_S1Q_EUlS1P_E_NS1_11comp_targetILNS1_3genE10ELNS1_11target_archE1200ELNS1_3gpuE4ELNS1_3repE0EEENS1_30default_config_static_selectorELNS0_4arch9wavefront6targetE1EEEvS12_, .Lfunc_end135-_ZN7rocprim17ROCPRIM_400000_NS6detail17trampoline_kernelINS0_13select_configILj256ELj13ELNS0_17block_load_methodE3ELS4_3ELS4_3ELNS0_20block_scan_algorithmE0ELj4294967295EEENS1_25partition_config_selectorILNS1_17partition_subalgoE4EjNS0_10empty_typeEbEEZZNS1_14partition_implILS8_4ELb0ES6_15HIP_vector_typeIjLj2EENS0_17counting_iteratorIjlEEPS9_SG_NS0_5tupleIJPjSI_NS0_16reverse_iteratorISI_EEEEENSH_IJSG_SG_SG_EEES9_SI_JZNS1_25segmented_radix_sort_implINS0_14default_configELb0EPKhPhPKlPlN2at6native12_GLOBAL__N_18offset_tEEE10hipError_tPvRmT1_PNSt15iterator_traitsIS12_E10value_typeET2_T3_PNS13_IS18_E10value_typeET4_jRbjT5_S1E_jjP12ihipStream_tbEUljE_ZNSN_ISO_Lb0ESQ_SR_ST_SU_SY_EESZ_S10_S11_S12_S16_S17_S18_S1B_S1C_jS1D_jS1E_S1E_jjS1G_bEUljE0_EEESZ_S10_S11_S18_S1C_S1E_T6_T7_T9_mT8_S1G_bDpT10_ENKUlT_T0_E_clISt17integral_constantIbLb1EES1U_EEDaS1P_S1Q_EUlS1P_E_NS1_11comp_targetILNS1_3genE10ELNS1_11target_archE1200ELNS1_3gpuE4ELNS1_3repE0EEENS1_30default_config_static_selectorELNS0_4arch9wavefront6targetE1EEEvS12_
                                        ; -- End function
	.section	.AMDGPU.csdata,"",@progbits
; Kernel info:
; codeLenInByte = 0
; NumSgprs: 4
; NumVgprs: 0
; NumAgprs: 0
; TotalNumVgprs: 0
; ScratchSize: 0
; MemoryBound: 0
; FloatMode: 240
; IeeeMode: 1
; LDSByteSize: 0 bytes/workgroup (compile time only)
; SGPRBlocks: 0
; VGPRBlocks: 0
; NumSGPRsForWavesPerEU: 4
; NumVGPRsForWavesPerEU: 1
; AccumOffset: 4
; Occupancy: 8
; WaveLimiterHint : 0
; COMPUTE_PGM_RSRC2:SCRATCH_EN: 0
; COMPUTE_PGM_RSRC2:USER_SGPR: 6
; COMPUTE_PGM_RSRC2:TRAP_HANDLER: 0
; COMPUTE_PGM_RSRC2:TGID_X_EN: 1
; COMPUTE_PGM_RSRC2:TGID_Y_EN: 0
; COMPUTE_PGM_RSRC2:TGID_Z_EN: 0
; COMPUTE_PGM_RSRC2:TIDIG_COMP_CNT: 0
; COMPUTE_PGM_RSRC3_GFX90A:ACCUM_OFFSET: 0
; COMPUTE_PGM_RSRC3_GFX90A:TG_SPLIT: 0
	.section	.text._ZN7rocprim17ROCPRIM_400000_NS6detail17trampoline_kernelINS0_13select_configILj256ELj13ELNS0_17block_load_methodE3ELS4_3ELS4_3ELNS0_20block_scan_algorithmE0ELj4294967295EEENS1_25partition_config_selectorILNS1_17partition_subalgoE4EjNS0_10empty_typeEbEEZZNS1_14partition_implILS8_4ELb0ES6_15HIP_vector_typeIjLj2EENS0_17counting_iteratorIjlEEPS9_SG_NS0_5tupleIJPjSI_NS0_16reverse_iteratorISI_EEEEENSH_IJSG_SG_SG_EEES9_SI_JZNS1_25segmented_radix_sort_implINS0_14default_configELb0EPKhPhPKlPlN2at6native12_GLOBAL__N_18offset_tEEE10hipError_tPvRmT1_PNSt15iterator_traitsIS12_E10value_typeET2_T3_PNS13_IS18_E10value_typeET4_jRbjT5_S1E_jjP12ihipStream_tbEUljE_ZNSN_ISO_Lb0ESQ_SR_ST_SU_SY_EESZ_S10_S11_S12_S16_S17_S18_S1B_S1C_jS1D_jS1E_S1E_jjS1G_bEUljE0_EEESZ_S10_S11_S18_S1C_S1E_T6_T7_T9_mT8_S1G_bDpT10_ENKUlT_T0_E_clISt17integral_constantIbLb1EES1U_EEDaS1P_S1Q_EUlS1P_E_NS1_11comp_targetILNS1_3genE9ELNS1_11target_archE1100ELNS1_3gpuE3ELNS1_3repE0EEENS1_30default_config_static_selectorELNS0_4arch9wavefront6targetE1EEEvS12_,"axG",@progbits,_ZN7rocprim17ROCPRIM_400000_NS6detail17trampoline_kernelINS0_13select_configILj256ELj13ELNS0_17block_load_methodE3ELS4_3ELS4_3ELNS0_20block_scan_algorithmE0ELj4294967295EEENS1_25partition_config_selectorILNS1_17partition_subalgoE4EjNS0_10empty_typeEbEEZZNS1_14partition_implILS8_4ELb0ES6_15HIP_vector_typeIjLj2EENS0_17counting_iteratorIjlEEPS9_SG_NS0_5tupleIJPjSI_NS0_16reverse_iteratorISI_EEEEENSH_IJSG_SG_SG_EEES9_SI_JZNS1_25segmented_radix_sort_implINS0_14default_configELb0EPKhPhPKlPlN2at6native12_GLOBAL__N_18offset_tEEE10hipError_tPvRmT1_PNSt15iterator_traitsIS12_E10value_typeET2_T3_PNS13_IS18_E10value_typeET4_jRbjT5_S1E_jjP12ihipStream_tbEUljE_ZNSN_ISO_Lb0ESQ_SR_ST_SU_SY_EESZ_S10_S11_S12_S16_S17_S18_S1B_S1C_jS1D_jS1E_S1E_jjS1G_bEUljE0_EEESZ_S10_S11_S18_S1C_S1E_T6_T7_T9_mT8_S1G_bDpT10_ENKUlT_T0_E_clISt17integral_constantIbLb1EES1U_EEDaS1P_S1Q_EUlS1P_E_NS1_11comp_targetILNS1_3genE9ELNS1_11target_archE1100ELNS1_3gpuE3ELNS1_3repE0EEENS1_30default_config_static_selectorELNS0_4arch9wavefront6targetE1EEEvS12_,comdat
	.globl	_ZN7rocprim17ROCPRIM_400000_NS6detail17trampoline_kernelINS0_13select_configILj256ELj13ELNS0_17block_load_methodE3ELS4_3ELS4_3ELNS0_20block_scan_algorithmE0ELj4294967295EEENS1_25partition_config_selectorILNS1_17partition_subalgoE4EjNS0_10empty_typeEbEEZZNS1_14partition_implILS8_4ELb0ES6_15HIP_vector_typeIjLj2EENS0_17counting_iteratorIjlEEPS9_SG_NS0_5tupleIJPjSI_NS0_16reverse_iteratorISI_EEEEENSH_IJSG_SG_SG_EEES9_SI_JZNS1_25segmented_radix_sort_implINS0_14default_configELb0EPKhPhPKlPlN2at6native12_GLOBAL__N_18offset_tEEE10hipError_tPvRmT1_PNSt15iterator_traitsIS12_E10value_typeET2_T3_PNS13_IS18_E10value_typeET4_jRbjT5_S1E_jjP12ihipStream_tbEUljE_ZNSN_ISO_Lb0ESQ_SR_ST_SU_SY_EESZ_S10_S11_S12_S16_S17_S18_S1B_S1C_jS1D_jS1E_S1E_jjS1G_bEUljE0_EEESZ_S10_S11_S18_S1C_S1E_T6_T7_T9_mT8_S1G_bDpT10_ENKUlT_T0_E_clISt17integral_constantIbLb1EES1U_EEDaS1P_S1Q_EUlS1P_E_NS1_11comp_targetILNS1_3genE9ELNS1_11target_archE1100ELNS1_3gpuE3ELNS1_3repE0EEENS1_30default_config_static_selectorELNS0_4arch9wavefront6targetE1EEEvS12_ ; -- Begin function _ZN7rocprim17ROCPRIM_400000_NS6detail17trampoline_kernelINS0_13select_configILj256ELj13ELNS0_17block_load_methodE3ELS4_3ELS4_3ELNS0_20block_scan_algorithmE0ELj4294967295EEENS1_25partition_config_selectorILNS1_17partition_subalgoE4EjNS0_10empty_typeEbEEZZNS1_14partition_implILS8_4ELb0ES6_15HIP_vector_typeIjLj2EENS0_17counting_iteratorIjlEEPS9_SG_NS0_5tupleIJPjSI_NS0_16reverse_iteratorISI_EEEEENSH_IJSG_SG_SG_EEES9_SI_JZNS1_25segmented_radix_sort_implINS0_14default_configELb0EPKhPhPKlPlN2at6native12_GLOBAL__N_18offset_tEEE10hipError_tPvRmT1_PNSt15iterator_traitsIS12_E10value_typeET2_T3_PNS13_IS18_E10value_typeET4_jRbjT5_S1E_jjP12ihipStream_tbEUljE_ZNSN_ISO_Lb0ESQ_SR_ST_SU_SY_EESZ_S10_S11_S12_S16_S17_S18_S1B_S1C_jS1D_jS1E_S1E_jjS1G_bEUljE0_EEESZ_S10_S11_S18_S1C_S1E_T6_T7_T9_mT8_S1G_bDpT10_ENKUlT_T0_E_clISt17integral_constantIbLb1EES1U_EEDaS1P_S1Q_EUlS1P_E_NS1_11comp_targetILNS1_3genE9ELNS1_11target_archE1100ELNS1_3gpuE3ELNS1_3repE0EEENS1_30default_config_static_selectorELNS0_4arch9wavefront6targetE1EEEvS12_
	.p2align	8
	.type	_ZN7rocprim17ROCPRIM_400000_NS6detail17trampoline_kernelINS0_13select_configILj256ELj13ELNS0_17block_load_methodE3ELS4_3ELS4_3ELNS0_20block_scan_algorithmE0ELj4294967295EEENS1_25partition_config_selectorILNS1_17partition_subalgoE4EjNS0_10empty_typeEbEEZZNS1_14partition_implILS8_4ELb0ES6_15HIP_vector_typeIjLj2EENS0_17counting_iteratorIjlEEPS9_SG_NS0_5tupleIJPjSI_NS0_16reverse_iteratorISI_EEEEENSH_IJSG_SG_SG_EEES9_SI_JZNS1_25segmented_radix_sort_implINS0_14default_configELb0EPKhPhPKlPlN2at6native12_GLOBAL__N_18offset_tEEE10hipError_tPvRmT1_PNSt15iterator_traitsIS12_E10value_typeET2_T3_PNS13_IS18_E10value_typeET4_jRbjT5_S1E_jjP12ihipStream_tbEUljE_ZNSN_ISO_Lb0ESQ_SR_ST_SU_SY_EESZ_S10_S11_S12_S16_S17_S18_S1B_S1C_jS1D_jS1E_S1E_jjS1G_bEUljE0_EEESZ_S10_S11_S18_S1C_S1E_T6_T7_T9_mT8_S1G_bDpT10_ENKUlT_T0_E_clISt17integral_constantIbLb1EES1U_EEDaS1P_S1Q_EUlS1P_E_NS1_11comp_targetILNS1_3genE9ELNS1_11target_archE1100ELNS1_3gpuE3ELNS1_3repE0EEENS1_30default_config_static_selectorELNS0_4arch9wavefront6targetE1EEEvS12_,@function
_ZN7rocprim17ROCPRIM_400000_NS6detail17trampoline_kernelINS0_13select_configILj256ELj13ELNS0_17block_load_methodE3ELS4_3ELS4_3ELNS0_20block_scan_algorithmE0ELj4294967295EEENS1_25partition_config_selectorILNS1_17partition_subalgoE4EjNS0_10empty_typeEbEEZZNS1_14partition_implILS8_4ELb0ES6_15HIP_vector_typeIjLj2EENS0_17counting_iteratorIjlEEPS9_SG_NS0_5tupleIJPjSI_NS0_16reverse_iteratorISI_EEEEENSH_IJSG_SG_SG_EEES9_SI_JZNS1_25segmented_radix_sort_implINS0_14default_configELb0EPKhPhPKlPlN2at6native12_GLOBAL__N_18offset_tEEE10hipError_tPvRmT1_PNSt15iterator_traitsIS12_E10value_typeET2_T3_PNS13_IS18_E10value_typeET4_jRbjT5_S1E_jjP12ihipStream_tbEUljE_ZNSN_ISO_Lb0ESQ_SR_ST_SU_SY_EESZ_S10_S11_S12_S16_S17_S18_S1B_S1C_jS1D_jS1E_S1E_jjS1G_bEUljE0_EEESZ_S10_S11_S18_S1C_S1E_T6_T7_T9_mT8_S1G_bDpT10_ENKUlT_T0_E_clISt17integral_constantIbLb1EES1U_EEDaS1P_S1Q_EUlS1P_E_NS1_11comp_targetILNS1_3genE9ELNS1_11target_archE1100ELNS1_3gpuE3ELNS1_3repE0EEENS1_30default_config_static_selectorELNS0_4arch9wavefront6targetE1EEEvS12_: ; @_ZN7rocprim17ROCPRIM_400000_NS6detail17trampoline_kernelINS0_13select_configILj256ELj13ELNS0_17block_load_methodE3ELS4_3ELS4_3ELNS0_20block_scan_algorithmE0ELj4294967295EEENS1_25partition_config_selectorILNS1_17partition_subalgoE4EjNS0_10empty_typeEbEEZZNS1_14partition_implILS8_4ELb0ES6_15HIP_vector_typeIjLj2EENS0_17counting_iteratorIjlEEPS9_SG_NS0_5tupleIJPjSI_NS0_16reverse_iteratorISI_EEEEENSH_IJSG_SG_SG_EEES9_SI_JZNS1_25segmented_radix_sort_implINS0_14default_configELb0EPKhPhPKlPlN2at6native12_GLOBAL__N_18offset_tEEE10hipError_tPvRmT1_PNSt15iterator_traitsIS12_E10value_typeET2_T3_PNS13_IS18_E10value_typeET4_jRbjT5_S1E_jjP12ihipStream_tbEUljE_ZNSN_ISO_Lb0ESQ_SR_ST_SU_SY_EESZ_S10_S11_S12_S16_S17_S18_S1B_S1C_jS1D_jS1E_S1E_jjS1G_bEUljE0_EEESZ_S10_S11_S18_S1C_S1E_T6_T7_T9_mT8_S1G_bDpT10_ENKUlT_T0_E_clISt17integral_constantIbLb1EES1U_EEDaS1P_S1Q_EUlS1P_E_NS1_11comp_targetILNS1_3genE9ELNS1_11target_archE1100ELNS1_3gpuE3ELNS1_3repE0EEENS1_30default_config_static_selectorELNS0_4arch9wavefront6targetE1EEEvS12_
; %bb.0:
	.section	.rodata,"a",@progbits
	.p2align	6, 0x0
	.amdhsa_kernel _ZN7rocprim17ROCPRIM_400000_NS6detail17trampoline_kernelINS0_13select_configILj256ELj13ELNS0_17block_load_methodE3ELS4_3ELS4_3ELNS0_20block_scan_algorithmE0ELj4294967295EEENS1_25partition_config_selectorILNS1_17partition_subalgoE4EjNS0_10empty_typeEbEEZZNS1_14partition_implILS8_4ELb0ES6_15HIP_vector_typeIjLj2EENS0_17counting_iteratorIjlEEPS9_SG_NS0_5tupleIJPjSI_NS0_16reverse_iteratorISI_EEEEENSH_IJSG_SG_SG_EEES9_SI_JZNS1_25segmented_radix_sort_implINS0_14default_configELb0EPKhPhPKlPlN2at6native12_GLOBAL__N_18offset_tEEE10hipError_tPvRmT1_PNSt15iterator_traitsIS12_E10value_typeET2_T3_PNS13_IS18_E10value_typeET4_jRbjT5_S1E_jjP12ihipStream_tbEUljE_ZNSN_ISO_Lb0ESQ_SR_ST_SU_SY_EESZ_S10_S11_S12_S16_S17_S18_S1B_S1C_jS1D_jS1E_S1E_jjS1G_bEUljE0_EEESZ_S10_S11_S18_S1C_S1E_T6_T7_T9_mT8_S1G_bDpT10_ENKUlT_T0_E_clISt17integral_constantIbLb1EES1U_EEDaS1P_S1Q_EUlS1P_E_NS1_11comp_targetILNS1_3genE9ELNS1_11target_archE1100ELNS1_3gpuE3ELNS1_3repE0EEENS1_30default_config_static_selectorELNS0_4arch9wavefront6targetE1EEEvS12_
		.amdhsa_group_segment_fixed_size 0
		.amdhsa_private_segment_fixed_size 0
		.amdhsa_kernarg_size 184
		.amdhsa_user_sgpr_count 6
		.amdhsa_user_sgpr_private_segment_buffer 1
		.amdhsa_user_sgpr_dispatch_ptr 0
		.amdhsa_user_sgpr_queue_ptr 0
		.amdhsa_user_sgpr_kernarg_segment_ptr 1
		.amdhsa_user_sgpr_dispatch_id 0
		.amdhsa_user_sgpr_flat_scratch_init 0
		.amdhsa_user_sgpr_kernarg_preload_length 0
		.amdhsa_user_sgpr_kernarg_preload_offset 0
		.amdhsa_user_sgpr_private_segment_size 0
		.amdhsa_uses_dynamic_stack 0
		.amdhsa_system_sgpr_private_segment_wavefront_offset 0
		.amdhsa_system_sgpr_workgroup_id_x 1
		.amdhsa_system_sgpr_workgroup_id_y 0
		.amdhsa_system_sgpr_workgroup_id_z 0
		.amdhsa_system_sgpr_workgroup_info 0
		.amdhsa_system_vgpr_workitem_id 0
		.amdhsa_next_free_vgpr 1
		.amdhsa_next_free_sgpr 0
		.amdhsa_accum_offset 4
		.amdhsa_reserve_vcc 0
		.amdhsa_reserve_flat_scratch 0
		.amdhsa_float_round_mode_32 0
		.amdhsa_float_round_mode_16_64 0
		.amdhsa_float_denorm_mode_32 3
		.amdhsa_float_denorm_mode_16_64 3
		.amdhsa_dx10_clamp 1
		.amdhsa_ieee_mode 1
		.amdhsa_fp16_overflow 0
		.amdhsa_tg_split 0
		.amdhsa_exception_fp_ieee_invalid_op 0
		.amdhsa_exception_fp_denorm_src 0
		.amdhsa_exception_fp_ieee_div_zero 0
		.amdhsa_exception_fp_ieee_overflow 0
		.amdhsa_exception_fp_ieee_underflow 0
		.amdhsa_exception_fp_ieee_inexact 0
		.amdhsa_exception_int_div_zero 0
	.end_amdhsa_kernel
	.section	.text._ZN7rocprim17ROCPRIM_400000_NS6detail17trampoline_kernelINS0_13select_configILj256ELj13ELNS0_17block_load_methodE3ELS4_3ELS4_3ELNS0_20block_scan_algorithmE0ELj4294967295EEENS1_25partition_config_selectorILNS1_17partition_subalgoE4EjNS0_10empty_typeEbEEZZNS1_14partition_implILS8_4ELb0ES6_15HIP_vector_typeIjLj2EENS0_17counting_iteratorIjlEEPS9_SG_NS0_5tupleIJPjSI_NS0_16reverse_iteratorISI_EEEEENSH_IJSG_SG_SG_EEES9_SI_JZNS1_25segmented_radix_sort_implINS0_14default_configELb0EPKhPhPKlPlN2at6native12_GLOBAL__N_18offset_tEEE10hipError_tPvRmT1_PNSt15iterator_traitsIS12_E10value_typeET2_T3_PNS13_IS18_E10value_typeET4_jRbjT5_S1E_jjP12ihipStream_tbEUljE_ZNSN_ISO_Lb0ESQ_SR_ST_SU_SY_EESZ_S10_S11_S12_S16_S17_S18_S1B_S1C_jS1D_jS1E_S1E_jjS1G_bEUljE0_EEESZ_S10_S11_S18_S1C_S1E_T6_T7_T9_mT8_S1G_bDpT10_ENKUlT_T0_E_clISt17integral_constantIbLb1EES1U_EEDaS1P_S1Q_EUlS1P_E_NS1_11comp_targetILNS1_3genE9ELNS1_11target_archE1100ELNS1_3gpuE3ELNS1_3repE0EEENS1_30default_config_static_selectorELNS0_4arch9wavefront6targetE1EEEvS12_,"axG",@progbits,_ZN7rocprim17ROCPRIM_400000_NS6detail17trampoline_kernelINS0_13select_configILj256ELj13ELNS0_17block_load_methodE3ELS4_3ELS4_3ELNS0_20block_scan_algorithmE0ELj4294967295EEENS1_25partition_config_selectorILNS1_17partition_subalgoE4EjNS0_10empty_typeEbEEZZNS1_14partition_implILS8_4ELb0ES6_15HIP_vector_typeIjLj2EENS0_17counting_iteratorIjlEEPS9_SG_NS0_5tupleIJPjSI_NS0_16reverse_iteratorISI_EEEEENSH_IJSG_SG_SG_EEES9_SI_JZNS1_25segmented_radix_sort_implINS0_14default_configELb0EPKhPhPKlPlN2at6native12_GLOBAL__N_18offset_tEEE10hipError_tPvRmT1_PNSt15iterator_traitsIS12_E10value_typeET2_T3_PNS13_IS18_E10value_typeET4_jRbjT5_S1E_jjP12ihipStream_tbEUljE_ZNSN_ISO_Lb0ESQ_SR_ST_SU_SY_EESZ_S10_S11_S12_S16_S17_S18_S1B_S1C_jS1D_jS1E_S1E_jjS1G_bEUljE0_EEESZ_S10_S11_S18_S1C_S1E_T6_T7_T9_mT8_S1G_bDpT10_ENKUlT_T0_E_clISt17integral_constantIbLb1EES1U_EEDaS1P_S1Q_EUlS1P_E_NS1_11comp_targetILNS1_3genE9ELNS1_11target_archE1100ELNS1_3gpuE3ELNS1_3repE0EEENS1_30default_config_static_selectorELNS0_4arch9wavefront6targetE1EEEvS12_,comdat
.Lfunc_end136:
	.size	_ZN7rocprim17ROCPRIM_400000_NS6detail17trampoline_kernelINS0_13select_configILj256ELj13ELNS0_17block_load_methodE3ELS4_3ELS4_3ELNS0_20block_scan_algorithmE0ELj4294967295EEENS1_25partition_config_selectorILNS1_17partition_subalgoE4EjNS0_10empty_typeEbEEZZNS1_14partition_implILS8_4ELb0ES6_15HIP_vector_typeIjLj2EENS0_17counting_iteratorIjlEEPS9_SG_NS0_5tupleIJPjSI_NS0_16reverse_iteratorISI_EEEEENSH_IJSG_SG_SG_EEES9_SI_JZNS1_25segmented_radix_sort_implINS0_14default_configELb0EPKhPhPKlPlN2at6native12_GLOBAL__N_18offset_tEEE10hipError_tPvRmT1_PNSt15iterator_traitsIS12_E10value_typeET2_T3_PNS13_IS18_E10value_typeET4_jRbjT5_S1E_jjP12ihipStream_tbEUljE_ZNSN_ISO_Lb0ESQ_SR_ST_SU_SY_EESZ_S10_S11_S12_S16_S17_S18_S1B_S1C_jS1D_jS1E_S1E_jjS1G_bEUljE0_EEESZ_S10_S11_S18_S1C_S1E_T6_T7_T9_mT8_S1G_bDpT10_ENKUlT_T0_E_clISt17integral_constantIbLb1EES1U_EEDaS1P_S1Q_EUlS1P_E_NS1_11comp_targetILNS1_3genE9ELNS1_11target_archE1100ELNS1_3gpuE3ELNS1_3repE0EEENS1_30default_config_static_selectorELNS0_4arch9wavefront6targetE1EEEvS12_, .Lfunc_end136-_ZN7rocprim17ROCPRIM_400000_NS6detail17trampoline_kernelINS0_13select_configILj256ELj13ELNS0_17block_load_methodE3ELS4_3ELS4_3ELNS0_20block_scan_algorithmE0ELj4294967295EEENS1_25partition_config_selectorILNS1_17partition_subalgoE4EjNS0_10empty_typeEbEEZZNS1_14partition_implILS8_4ELb0ES6_15HIP_vector_typeIjLj2EENS0_17counting_iteratorIjlEEPS9_SG_NS0_5tupleIJPjSI_NS0_16reverse_iteratorISI_EEEEENSH_IJSG_SG_SG_EEES9_SI_JZNS1_25segmented_radix_sort_implINS0_14default_configELb0EPKhPhPKlPlN2at6native12_GLOBAL__N_18offset_tEEE10hipError_tPvRmT1_PNSt15iterator_traitsIS12_E10value_typeET2_T3_PNS13_IS18_E10value_typeET4_jRbjT5_S1E_jjP12ihipStream_tbEUljE_ZNSN_ISO_Lb0ESQ_SR_ST_SU_SY_EESZ_S10_S11_S12_S16_S17_S18_S1B_S1C_jS1D_jS1E_S1E_jjS1G_bEUljE0_EEESZ_S10_S11_S18_S1C_S1E_T6_T7_T9_mT8_S1G_bDpT10_ENKUlT_T0_E_clISt17integral_constantIbLb1EES1U_EEDaS1P_S1Q_EUlS1P_E_NS1_11comp_targetILNS1_3genE9ELNS1_11target_archE1100ELNS1_3gpuE3ELNS1_3repE0EEENS1_30default_config_static_selectorELNS0_4arch9wavefront6targetE1EEEvS12_
                                        ; -- End function
	.section	.AMDGPU.csdata,"",@progbits
; Kernel info:
; codeLenInByte = 0
; NumSgprs: 4
; NumVgprs: 0
; NumAgprs: 0
; TotalNumVgprs: 0
; ScratchSize: 0
; MemoryBound: 0
; FloatMode: 240
; IeeeMode: 1
; LDSByteSize: 0 bytes/workgroup (compile time only)
; SGPRBlocks: 0
; VGPRBlocks: 0
; NumSGPRsForWavesPerEU: 4
; NumVGPRsForWavesPerEU: 1
; AccumOffset: 4
; Occupancy: 8
; WaveLimiterHint : 0
; COMPUTE_PGM_RSRC2:SCRATCH_EN: 0
; COMPUTE_PGM_RSRC2:USER_SGPR: 6
; COMPUTE_PGM_RSRC2:TRAP_HANDLER: 0
; COMPUTE_PGM_RSRC2:TGID_X_EN: 1
; COMPUTE_PGM_RSRC2:TGID_Y_EN: 0
; COMPUTE_PGM_RSRC2:TGID_Z_EN: 0
; COMPUTE_PGM_RSRC2:TIDIG_COMP_CNT: 0
; COMPUTE_PGM_RSRC3_GFX90A:ACCUM_OFFSET: 0
; COMPUTE_PGM_RSRC3_GFX90A:TG_SPLIT: 0
	.section	.text._ZN7rocprim17ROCPRIM_400000_NS6detail17trampoline_kernelINS0_13select_configILj256ELj13ELNS0_17block_load_methodE3ELS4_3ELS4_3ELNS0_20block_scan_algorithmE0ELj4294967295EEENS1_25partition_config_selectorILNS1_17partition_subalgoE4EjNS0_10empty_typeEbEEZZNS1_14partition_implILS8_4ELb0ES6_15HIP_vector_typeIjLj2EENS0_17counting_iteratorIjlEEPS9_SG_NS0_5tupleIJPjSI_NS0_16reverse_iteratorISI_EEEEENSH_IJSG_SG_SG_EEES9_SI_JZNS1_25segmented_radix_sort_implINS0_14default_configELb0EPKhPhPKlPlN2at6native12_GLOBAL__N_18offset_tEEE10hipError_tPvRmT1_PNSt15iterator_traitsIS12_E10value_typeET2_T3_PNS13_IS18_E10value_typeET4_jRbjT5_S1E_jjP12ihipStream_tbEUljE_ZNSN_ISO_Lb0ESQ_SR_ST_SU_SY_EESZ_S10_S11_S12_S16_S17_S18_S1B_S1C_jS1D_jS1E_S1E_jjS1G_bEUljE0_EEESZ_S10_S11_S18_S1C_S1E_T6_T7_T9_mT8_S1G_bDpT10_ENKUlT_T0_E_clISt17integral_constantIbLb1EES1U_EEDaS1P_S1Q_EUlS1P_E_NS1_11comp_targetILNS1_3genE8ELNS1_11target_archE1030ELNS1_3gpuE2ELNS1_3repE0EEENS1_30default_config_static_selectorELNS0_4arch9wavefront6targetE1EEEvS12_,"axG",@progbits,_ZN7rocprim17ROCPRIM_400000_NS6detail17trampoline_kernelINS0_13select_configILj256ELj13ELNS0_17block_load_methodE3ELS4_3ELS4_3ELNS0_20block_scan_algorithmE0ELj4294967295EEENS1_25partition_config_selectorILNS1_17partition_subalgoE4EjNS0_10empty_typeEbEEZZNS1_14partition_implILS8_4ELb0ES6_15HIP_vector_typeIjLj2EENS0_17counting_iteratorIjlEEPS9_SG_NS0_5tupleIJPjSI_NS0_16reverse_iteratorISI_EEEEENSH_IJSG_SG_SG_EEES9_SI_JZNS1_25segmented_radix_sort_implINS0_14default_configELb0EPKhPhPKlPlN2at6native12_GLOBAL__N_18offset_tEEE10hipError_tPvRmT1_PNSt15iterator_traitsIS12_E10value_typeET2_T3_PNS13_IS18_E10value_typeET4_jRbjT5_S1E_jjP12ihipStream_tbEUljE_ZNSN_ISO_Lb0ESQ_SR_ST_SU_SY_EESZ_S10_S11_S12_S16_S17_S18_S1B_S1C_jS1D_jS1E_S1E_jjS1G_bEUljE0_EEESZ_S10_S11_S18_S1C_S1E_T6_T7_T9_mT8_S1G_bDpT10_ENKUlT_T0_E_clISt17integral_constantIbLb1EES1U_EEDaS1P_S1Q_EUlS1P_E_NS1_11comp_targetILNS1_3genE8ELNS1_11target_archE1030ELNS1_3gpuE2ELNS1_3repE0EEENS1_30default_config_static_selectorELNS0_4arch9wavefront6targetE1EEEvS12_,comdat
	.globl	_ZN7rocprim17ROCPRIM_400000_NS6detail17trampoline_kernelINS0_13select_configILj256ELj13ELNS0_17block_load_methodE3ELS4_3ELS4_3ELNS0_20block_scan_algorithmE0ELj4294967295EEENS1_25partition_config_selectorILNS1_17partition_subalgoE4EjNS0_10empty_typeEbEEZZNS1_14partition_implILS8_4ELb0ES6_15HIP_vector_typeIjLj2EENS0_17counting_iteratorIjlEEPS9_SG_NS0_5tupleIJPjSI_NS0_16reverse_iteratorISI_EEEEENSH_IJSG_SG_SG_EEES9_SI_JZNS1_25segmented_radix_sort_implINS0_14default_configELb0EPKhPhPKlPlN2at6native12_GLOBAL__N_18offset_tEEE10hipError_tPvRmT1_PNSt15iterator_traitsIS12_E10value_typeET2_T3_PNS13_IS18_E10value_typeET4_jRbjT5_S1E_jjP12ihipStream_tbEUljE_ZNSN_ISO_Lb0ESQ_SR_ST_SU_SY_EESZ_S10_S11_S12_S16_S17_S18_S1B_S1C_jS1D_jS1E_S1E_jjS1G_bEUljE0_EEESZ_S10_S11_S18_S1C_S1E_T6_T7_T9_mT8_S1G_bDpT10_ENKUlT_T0_E_clISt17integral_constantIbLb1EES1U_EEDaS1P_S1Q_EUlS1P_E_NS1_11comp_targetILNS1_3genE8ELNS1_11target_archE1030ELNS1_3gpuE2ELNS1_3repE0EEENS1_30default_config_static_selectorELNS0_4arch9wavefront6targetE1EEEvS12_ ; -- Begin function _ZN7rocprim17ROCPRIM_400000_NS6detail17trampoline_kernelINS0_13select_configILj256ELj13ELNS0_17block_load_methodE3ELS4_3ELS4_3ELNS0_20block_scan_algorithmE0ELj4294967295EEENS1_25partition_config_selectorILNS1_17partition_subalgoE4EjNS0_10empty_typeEbEEZZNS1_14partition_implILS8_4ELb0ES6_15HIP_vector_typeIjLj2EENS0_17counting_iteratorIjlEEPS9_SG_NS0_5tupleIJPjSI_NS0_16reverse_iteratorISI_EEEEENSH_IJSG_SG_SG_EEES9_SI_JZNS1_25segmented_radix_sort_implINS0_14default_configELb0EPKhPhPKlPlN2at6native12_GLOBAL__N_18offset_tEEE10hipError_tPvRmT1_PNSt15iterator_traitsIS12_E10value_typeET2_T3_PNS13_IS18_E10value_typeET4_jRbjT5_S1E_jjP12ihipStream_tbEUljE_ZNSN_ISO_Lb0ESQ_SR_ST_SU_SY_EESZ_S10_S11_S12_S16_S17_S18_S1B_S1C_jS1D_jS1E_S1E_jjS1G_bEUljE0_EEESZ_S10_S11_S18_S1C_S1E_T6_T7_T9_mT8_S1G_bDpT10_ENKUlT_T0_E_clISt17integral_constantIbLb1EES1U_EEDaS1P_S1Q_EUlS1P_E_NS1_11comp_targetILNS1_3genE8ELNS1_11target_archE1030ELNS1_3gpuE2ELNS1_3repE0EEENS1_30default_config_static_selectorELNS0_4arch9wavefront6targetE1EEEvS12_
	.p2align	8
	.type	_ZN7rocprim17ROCPRIM_400000_NS6detail17trampoline_kernelINS0_13select_configILj256ELj13ELNS0_17block_load_methodE3ELS4_3ELS4_3ELNS0_20block_scan_algorithmE0ELj4294967295EEENS1_25partition_config_selectorILNS1_17partition_subalgoE4EjNS0_10empty_typeEbEEZZNS1_14partition_implILS8_4ELb0ES6_15HIP_vector_typeIjLj2EENS0_17counting_iteratorIjlEEPS9_SG_NS0_5tupleIJPjSI_NS0_16reverse_iteratorISI_EEEEENSH_IJSG_SG_SG_EEES9_SI_JZNS1_25segmented_radix_sort_implINS0_14default_configELb0EPKhPhPKlPlN2at6native12_GLOBAL__N_18offset_tEEE10hipError_tPvRmT1_PNSt15iterator_traitsIS12_E10value_typeET2_T3_PNS13_IS18_E10value_typeET4_jRbjT5_S1E_jjP12ihipStream_tbEUljE_ZNSN_ISO_Lb0ESQ_SR_ST_SU_SY_EESZ_S10_S11_S12_S16_S17_S18_S1B_S1C_jS1D_jS1E_S1E_jjS1G_bEUljE0_EEESZ_S10_S11_S18_S1C_S1E_T6_T7_T9_mT8_S1G_bDpT10_ENKUlT_T0_E_clISt17integral_constantIbLb1EES1U_EEDaS1P_S1Q_EUlS1P_E_NS1_11comp_targetILNS1_3genE8ELNS1_11target_archE1030ELNS1_3gpuE2ELNS1_3repE0EEENS1_30default_config_static_selectorELNS0_4arch9wavefront6targetE1EEEvS12_,@function
_ZN7rocprim17ROCPRIM_400000_NS6detail17trampoline_kernelINS0_13select_configILj256ELj13ELNS0_17block_load_methodE3ELS4_3ELS4_3ELNS0_20block_scan_algorithmE0ELj4294967295EEENS1_25partition_config_selectorILNS1_17partition_subalgoE4EjNS0_10empty_typeEbEEZZNS1_14partition_implILS8_4ELb0ES6_15HIP_vector_typeIjLj2EENS0_17counting_iteratorIjlEEPS9_SG_NS0_5tupleIJPjSI_NS0_16reverse_iteratorISI_EEEEENSH_IJSG_SG_SG_EEES9_SI_JZNS1_25segmented_radix_sort_implINS0_14default_configELb0EPKhPhPKlPlN2at6native12_GLOBAL__N_18offset_tEEE10hipError_tPvRmT1_PNSt15iterator_traitsIS12_E10value_typeET2_T3_PNS13_IS18_E10value_typeET4_jRbjT5_S1E_jjP12ihipStream_tbEUljE_ZNSN_ISO_Lb0ESQ_SR_ST_SU_SY_EESZ_S10_S11_S12_S16_S17_S18_S1B_S1C_jS1D_jS1E_S1E_jjS1G_bEUljE0_EEESZ_S10_S11_S18_S1C_S1E_T6_T7_T9_mT8_S1G_bDpT10_ENKUlT_T0_E_clISt17integral_constantIbLb1EES1U_EEDaS1P_S1Q_EUlS1P_E_NS1_11comp_targetILNS1_3genE8ELNS1_11target_archE1030ELNS1_3gpuE2ELNS1_3repE0EEENS1_30default_config_static_selectorELNS0_4arch9wavefront6targetE1EEEvS12_: ; @_ZN7rocprim17ROCPRIM_400000_NS6detail17trampoline_kernelINS0_13select_configILj256ELj13ELNS0_17block_load_methodE3ELS4_3ELS4_3ELNS0_20block_scan_algorithmE0ELj4294967295EEENS1_25partition_config_selectorILNS1_17partition_subalgoE4EjNS0_10empty_typeEbEEZZNS1_14partition_implILS8_4ELb0ES6_15HIP_vector_typeIjLj2EENS0_17counting_iteratorIjlEEPS9_SG_NS0_5tupleIJPjSI_NS0_16reverse_iteratorISI_EEEEENSH_IJSG_SG_SG_EEES9_SI_JZNS1_25segmented_radix_sort_implINS0_14default_configELb0EPKhPhPKlPlN2at6native12_GLOBAL__N_18offset_tEEE10hipError_tPvRmT1_PNSt15iterator_traitsIS12_E10value_typeET2_T3_PNS13_IS18_E10value_typeET4_jRbjT5_S1E_jjP12ihipStream_tbEUljE_ZNSN_ISO_Lb0ESQ_SR_ST_SU_SY_EESZ_S10_S11_S12_S16_S17_S18_S1B_S1C_jS1D_jS1E_S1E_jjS1G_bEUljE0_EEESZ_S10_S11_S18_S1C_S1E_T6_T7_T9_mT8_S1G_bDpT10_ENKUlT_T0_E_clISt17integral_constantIbLb1EES1U_EEDaS1P_S1Q_EUlS1P_E_NS1_11comp_targetILNS1_3genE8ELNS1_11target_archE1030ELNS1_3gpuE2ELNS1_3repE0EEENS1_30default_config_static_selectorELNS0_4arch9wavefront6targetE1EEEvS12_
; %bb.0:
	.section	.rodata,"a",@progbits
	.p2align	6, 0x0
	.amdhsa_kernel _ZN7rocprim17ROCPRIM_400000_NS6detail17trampoline_kernelINS0_13select_configILj256ELj13ELNS0_17block_load_methodE3ELS4_3ELS4_3ELNS0_20block_scan_algorithmE0ELj4294967295EEENS1_25partition_config_selectorILNS1_17partition_subalgoE4EjNS0_10empty_typeEbEEZZNS1_14partition_implILS8_4ELb0ES6_15HIP_vector_typeIjLj2EENS0_17counting_iteratorIjlEEPS9_SG_NS0_5tupleIJPjSI_NS0_16reverse_iteratorISI_EEEEENSH_IJSG_SG_SG_EEES9_SI_JZNS1_25segmented_radix_sort_implINS0_14default_configELb0EPKhPhPKlPlN2at6native12_GLOBAL__N_18offset_tEEE10hipError_tPvRmT1_PNSt15iterator_traitsIS12_E10value_typeET2_T3_PNS13_IS18_E10value_typeET4_jRbjT5_S1E_jjP12ihipStream_tbEUljE_ZNSN_ISO_Lb0ESQ_SR_ST_SU_SY_EESZ_S10_S11_S12_S16_S17_S18_S1B_S1C_jS1D_jS1E_S1E_jjS1G_bEUljE0_EEESZ_S10_S11_S18_S1C_S1E_T6_T7_T9_mT8_S1G_bDpT10_ENKUlT_T0_E_clISt17integral_constantIbLb1EES1U_EEDaS1P_S1Q_EUlS1P_E_NS1_11comp_targetILNS1_3genE8ELNS1_11target_archE1030ELNS1_3gpuE2ELNS1_3repE0EEENS1_30default_config_static_selectorELNS0_4arch9wavefront6targetE1EEEvS12_
		.amdhsa_group_segment_fixed_size 0
		.amdhsa_private_segment_fixed_size 0
		.amdhsa_kernarg_size 184
		.amdhsa_user_sgpr_count 6
		.amdhsa_user_sgpr_private_segment_buffer 1
		.amdhsa_user_sgpr_dispatch_ptr 0
		.amdhsa_user_sgpr_queue_ptr 0
		.amdhsa_user_sgpr_kernarg_segment_ptr 1
		.amdhsa_user_sgpr_dispatch_id 0
		.amdhsa_user_sgpr_flat_scratch_init 0
		.amdhsa_user_sgpr_kernarg_preload_length 0
		.amdhsa_user_sgpr_kernarg_preload_offset 0
		.amdhsa_user_sgpr_private_segment_size 0
		.amdhsa_uses_dynamic_stack 0
		.amdhsa_system_sgpr_private_segment_wavefront_offset 0
		.amdhsa_system_sgpr_workgroup_id_x 1
		.amdhsa_system_sgpr_workgroup_id_y 0
		.amdhsa_system_sgpr_workgroup_id_z 0
		.amdhsa_system_sgpr_workgroup_info 0
		.amdhsa_system_vgpr_workitem_id 0
		.amdhsa_next_free_vgpr 1
		.amdhsa_next_free_sgpr 0
		.amdhsa_accum_offset 4
		.amdhsa_reserve_vcc 0
		.amdhsa_reserve_flat_scratch 0
		.amdhsa_float_round_mode_32 0
		.amdhsa_float_round_mode_16_64 0
		.amdhsa_float_denorm_mode_32 3
		.amdhsa_float_denorm_mode_16_64 3
		.amdhsa_dx10_clamp 1
		.amdhsa_ieee_mode 1
		.amdhsa_fp16_overflow 0
		.amdhsa_tg_split 0
		.amdhsa_exception_fp_ieee_invalid_op 0
		.amdhsa_exception_fp_denorm_src 0
		.amdhsa_exception_fp_ieee_div_zero 0
		.amdhsa_exception_fp_ieee_overflow 0
		.amdhsa_exception_fp_ieee_underflow 0
		.amdhsa_exception_fp_ieee_inexact 0
		.amdhsa_exception_int_div_zero 0
	.end_amdhsa_kernel
	.section	.text._ZN7rocprim17ROCPRIM_400000_NS6detail17trampoline_kernelINS0_13select_configILj256ELj13ELNS0_17block_load_methodE3ELS4_3ELS4_3ELNS0_20block_scan_algorithmE0ELj4294967295EEENS1_25partition_config_selectorILNS1_17partition_subalgoE4EjNS0_10empty_typeEbEEZZNS1_14partition_implILS8_4ELb0ES6_15HIP_vector_typeIjLj2EENS0_17counting_iteratorIjlEEPS9_SG_NS0_5tupleIJPjSI_NS0_16reverse_iteratorISI_EEEEENSH_IJSG_SG_SG_EEES9_SI_JZNS1_25segmented_radix_sort_implINS0_14default_configELb0EPKhPhPKlPlN2at6native12_GLOBAL__N_18offset_tEEE10hipError_tPvRmT1_PNSt15iterator_traitsIS12_E10value_typeET2_T3_PNS13_IS18_E10value_typeET4_jRbjT5_S1E_jjP12ihipStream_tbEUljE_ZNSN_ISO_Lb0ESQ_SR_ST_SU_SY_EESZ_S10_S11_S12_S16_S17_S18_S1B_S1C_jS1D_jS1E_S1E_jjS1G_bEUljE0_EEESZ_S10_S11_S18_S1C_S1E_T6_T7_T9_mT8_S1G_bDpT10_ENKUlT_T0_E_clISt17integral_constantIbLb1EES1U_EEDaS1P_S1Q_EUlS1P_E_NS1_11comp_targetILNS1_3genE8ELNS1_11target_archE1030ELNS1_3gpuE2ELNS1_3repE0EEENS1_30default_config_static_selectorELNS0_4arch9wavefront6targetE1EEEvS12_,"axG",@progbits,_ZN7rocprim17ROCPRIM_400000_NS6detail17trampoline_kernelINS0_13select_configILj256ELj13ELNS0_17block_load_methodE3ELS4_3ELS4_3ELNS0_20block_scan_algorithmE0ELj4294967295EEENS1_25partition_config_selectorILNS1_17partition_subalgoE4EjNS0_10empty_typeEbEEZZNS1_14partition_implILS8_4ELb0ES6_15HIP_vector_typeIjLj2EENS0_17counting_iteratorIjlEEPS9_SG_NS0_5tupleIJPjSI_NS0_16reverse_iteratorISI_EEEEENSH_IJSG_SG_SG_EEES9_SI_JZNS1_25segmented_radix_sort_implINS0_14default_configELb0EPKhPhPKlPlN2at6native12_GLOBAL__N_18offset_tEEE10hipError_tPvRmT1_PNSt15iterator_traitsIS12_E10value_typeET2_T3_PNS13_IS18_E10value_typeET4_jRbjT5_S1E_jjP12ihipStream_tbEUljE_ZNSN_ISO_Lb0ESQ_SR_ST_SU_SY_EESZ_S10_S11_S12_S16_S17_S18_S1B_S1C_jS1D_jS1E_S1E_jjS1G_bEUljE0_EEESZ_S10_S11_S18_S1C_S1E_T6_T7_T9_mT8_S1G_bDpT10_ENKUlT_T0_E_clISt17integral_constantIbLb1EES1U_EEDaS1P_S1Q_EUlS1P_E_NS1_11comp_targetILNS1_3genE8ELNS1_11target_archE1030ELNS1_3gpuE2ELNS1_3repE0EEENS1_30default_config_static_selectorELNS0_4arch9wavefront6targetE1EEEvS12_,comdat
.Lfunc_end137:
	.size	_ZN7rocprim17ROCPRIM_400000_NS6detail17trampoline_kernelINS0_13select_configILj256ELj13ELNS0_17block_load_methodE3ELS4_3ELS4_3ELNS0_20block_scan_algorithmE0ELj4294967295EEENS1_25partition_config_selectorILNS1_17partition_subalgoE4EjNS0_10empty_typeEbEEZZNS1_14partition_implILS8_4ELb0ES6_15HIP_vector_typeIjLj2EENS0_17counting_iteratorIjlEEPS9_SG_NS0_5tupleIJPjSI_NS0_16reverse_iteratorISI_EEEEENSH_IJSG_SG_SG_EEES9_SI_JZNS1_25segmented_radix_sort_implINS0_14default_configELb0EPKhPhPKlPlN2at6native12_GLOBAL__N_18offset_tEEE10hipError_tPvRmT1_PNSt15iterator_traitsIS12_E10value_typeET2_T3_PNS13_IS18_E10value_typeET4_jRbjT5_S1E_jjP12ihipStream_tbEUljE_ZNSN_ISO_Lb0ESQ_SR_ST_SU_SY_EESZ_S10_S11_S12_S16_S17_S18_S1B_S1C_jS1D_jS1E_S1E_jjS1G_bEUljE0_EEESZ_S10_S11_S18_S1C_S1E_T6_T7_T9_mT8_S1G_bDpT10_ENKUlT_T0_E_clISt17integral_constantIbLb1EES1U_EEDaS1P_S1Q_EUlS1P_E_NS1_11comp_targetILNS1_3genE8ELNS1_11target_archE1030ELNS1_3gpuE2ELNS1_3repE0EEENS1_30default_config_static_selectorELNS0_4arch9wavefront6targetE1EEEvS12_, .Lfunc_end137-_ZN7rocprim17ROCPRIM_400000_NS6detail17trampoline_kernelINS0_13select_configILj256ELj13ELNS0_17block_load_methodE3ELS4_3ELS4_3ELNS0_20block_scan_algorithmE0ELj4294967295EEENS1_25partition_config_selectorILNS1_17partition_subalgoE4EjNS0_10empty_typeEbEEZZNS1_14partition_implILS8_4ELb0ES6_15HIP_vector_typeIjLj2EENS0_17counting_iteratorIjlEEPS9_SG_NS0_5tupleIJPjSI_NS0_16reverse_iteratorISI_EEEEENSH_IJSG_SG_SG_EEES9_SI_JZNS1_25segmented_radix_sort_implINS0_14default_configELb0EPKhPhPKlPlN2at6native12_GLOBAL__N_18offset_tEEE10hipError_tPvRmT1_PNSt15iterator_traitsIS12_E10value_typeET2_T3_PNS13_IS18_E10value_typeET4_jRbjT5_S1E_jjP12ihipStream_tbEUljE_ZNSN_ISO_Lb0ESQ_SR_ST_SU_SY_EESZ_S10_S11_S12_S16_S17_S18_S1B_S1C_jS1D_jS1E_S1E_jjS1G_bEUljE0_EEESZ_S10_S11_S18_S1C_S1E_T6_T7_T9_mT8_S1G_bDpT10_ENKUlT_T0_E_clISt17integral_constantIbLb1EES1U_EEDaS1P_S1Q_EUlS1P_E_NS1_11comp_targetILNS1_3genE8ELNS1_11target_archE1030ELNS1_3gpuE2ELNS1_3repE0EEENS1_30default_config_static_selectorELNS0_4arch9wavefront6targetE1EEEvS12_
                                        ; -- End function
	.section	.AMDGPU.csdata,"",@progbits
; Kernel info:
; codeLenInByte = 0
; NumSgprs: 4
; NumVgprs: 0
; NumAgprs: 0
; TotalNumVgprs: 0
; ScratchSize: 0
; MemoryBound: 0
; FloatMode: 240
; IeeeMode: 1
; LDSByteSize: 0 bytes/workgroup (compile time only)
; SGPRBlocks: 0
; VGPRBlocks: 0
; NumSGPRsForWavesPerEU: 4
; NumVGPRsForWavesPerEU: 1
; AccumOffset: 4
; Occupancy: 8
; WaveLimiterHint : 0
; COMPUTE_PGM_RSRC2:SCRATCH_EN: 0
; COMPUTE_PGM_RSRC2:USER_SGPR: 6
; COMPUTE_PGM_RSRC2:TRAP_HANDLER: 0
; COMPUTE_PGM_RSRC2:TGID_X_EN: 1
; COMPUTE_PGM_RSRC2:TGID_Y_EN: 0
; COMPUTE_PGM_RSRC2:TGID_Z_EN: 0
; COMPUTE_PGM_RSRC2:TIDIG_COMP_CNT: 0
; COMPUTE_PGM_RSRC3_GFX90A:ACCUM_OFFSET: 0
; COMPUTE_PGM_RSRC3_GFX90A:TG_SPLIT: 0
	.section	.text._ZN7rocprim17ROCPRIM_400000_NS6detail17trampoline_kernelINS0_13select_configILj256ELj13ELNS0_17block_load_methodE3ELS4_3ELS4_3ELNS0_20block_scan_algorithmE0ELj4294967295EEENS1_25partition_config_selectorILNS1_17partition_subalgoE4EjNS0_10empty_typeEbEEZZNS1_14partition_implILS8_4ELb0ES6_15HIP_vector_typeIjLj2EENS0_17counting_iteratorIjlEEPS9_SG_NS0_5tupleIJPjSI_NS0_16reverse_iteratorISI_EEEEENSH_IJSG_SG_SG_EEES9_SI_JZNS1_25segmented_radix_sort_implINS0_14default_configELb0EPKhPhPKlPlN2at6native12_GLOBAL__N_18offset_tEEE10hipError_tPvRmT1_PNSt15iterator_traitsIS12_E10value_typeET2_T3_PNS13_IS18_E10value_typeET4_jRbjT5_S1E_jjP12ihipStream_tbEUljE_ZNSN_ISO_Lb0ESQ_SR_ST_SU_SY_EESZ_S10_S11_S12_S16_S17_S18_S1B_S1C_jS1D_jS1E_S1E_jjS1G_bEUljE0_EEESZ_S10_S11_S18_S1C_S1E_T6_T7_T9_mT8_S1G_bDpT10_ENKUlT_T0_E_clISt17integral_constantIbLb1EES1T_IbLb0EEEEDaS1P_S1Q_EUlS1P_E_NS1_11comp_targetILNS1_3genE0ELNS1_11target_archE4294967295ELNS1_3gpuE0ELNS1_3repE0EEENS1_30default_config_static_selectorELNS0_4arch9wavefront6targetE1EEEvS12_,"axG",@progbits,_ZN7rocprim17ROCPRIM_400000_NS6detail17trampoline_kernelINS0_13select_configILj256ELj13ELNS0_17block_load_methodE3ELS4_3ELS4_3ELNS0_20block_scan_algorithmE0ELj4294967295EEENS1_25partition_config_selectorILNS1_17partition_subalgoE4EjNS0_10empty_typeEbEEZZNS1_14partition_implILS8_4ELb0ES6_15HIP_vector_typeIjLj2EENS0_17counting_iteratorIjlEEPS9_SG_NS0_5tupleIJPjSI_NS0_16reverse_iteratorISI_EEEEENSH_IJSG_SG_SG_EEES9_SI_JZNS1_25segmented_radix_sort_implINS0_14default_configELb0EPKhPhPKlPlN2at6native12_GLOBAL__N_18offset_tEEE10hipError_tPvRmT1_PNSt15iterator_traitsIS12_E10value_typeET2_T3_PNS13_IS18_E10value_typeET4_jRbjT5_S1E_jjP12ihipStream_tbEUljE_ZNSN_ISO_Lb0ESQ_SR_ST_SU_SY_EESZ_S10_S11_S12_S16_S17_S18_S1B_S1C_jS1D_jS1E_S1E_jjS1G_bEUljE0_EEESZ_S10_S11_S18_S1C_S1E_T6_T7_T9_mT8_S1G_bDpT10_ENKUlT_T0_E_clISt17integral_constantIbLb1EES1T_IbLb0EEEEDaS1P_S1Q_EUlS1P_E_NS1_11comp_targetILNS1_3genE0ELNS1_11target_archE4294967295ELNS1_3gpuE0ELNS1_3repE0EEENS1_30default_config_static_selectorELNS0_4arch9wavefront6targetE1EEEvS12_,comdat
	.globl	_ZN7rocprim17ROCPRIM_400000_NS6detail17trampoline_kernelINS0_13select_configILj256ELj13ELNS0_17block_load_methodE3ELS4_3ELS4_3ELNS0_20block_scan_algorithmE0ELj4294967295EEENS1_25partition_config_selectorILNS1_17partition_subalgoE4EjNS0_10empty_typeEbEEZZNS1_14partition_implILS8_4ELb0ES6_15HIP_vector_typeIjLj2EENS0_17counting_iteratorIjlEEPS9_SG_NS0_5tupleIJPjSI_NS0_16reverse_iteratorISI_EEEEENSH_IJSG_SG_SG_EEES9_SI_JZNS1_25segmented_radix_sort_implINS0_14default_configELb0EPKhPhPKlPlN2at6native12_GLOBAL__N_18offset_tEEE10hipError_tPvRmT1_PNSt15iterator_traitsIS12_E10value_typeET2_T3_PNS13_IS18_E10value_typeET4_jRbjT5_S1E_jjP12ihipStream_tbEUljE_ZNSN_ISO_Lb0ESQ_SR_ST_SU_SY_EESZ_S10_S11_S12_S16_S17_S18_S1B_S1C_jS1D_jS1E_S1E_jjS1G_bEUljE0_EEESZ_S10_S11_S18_S1C_S1E_T6_T7_T9_mT8_S1G_bDpT10_ENKUlT_T0_E_clISt17integral_constantIbLb1EES1T_IbLb0EEEEDaS1P_S1Q_EUlS1P_E_NS1_11comp_targetILNS1_3genE0ELNS1_11target_archE4294967295ELNS1_3gpuE0ELNS1_3repE0EEENS1_30default_config_static_selectorELNS0_4arch9wavefront6targetE1EEEvS12_ ; -- Begin function _ZN7rocprim17ROCPRIM_400000_NS6detail17trampoline_kernelINS0_13select_configILj256ELj13ELNS0_17block_load_methodE3ELS4_3ELS4_3ELNS0_20block_scan_algorithmE0ELj4294967295EEENS1_25partition_config_selectorILNS1_17partition_subalgoE4EjNS0_10empty_typeEbEEZZNS1_14partition_implILS8_4ELb0ES6_15HIP_vector_typeIjLj2EENS0_17counting_iteratorIjlEEPS9_SG_NS0_5tupleIJPjSI_NS0_16reverse_iteratorISI_EEEEENSH_IJSG_SG_SG_EEES9_SI_JZNS1_25segmented_radix_sort_implINS0_14default_configELb0EPKhPhPKlPlN2at6native12_GLOBAL__N_18offset_tEEE10hipError_tPvRmT1_PNSt15iterator_traitsIS12_E10value_typeET2_T3_PNS13_IS18_E10value_typeET4_jRbjT5_S1E_jjP12ihipStream_tbEUljE_ZNSN_ISO_Lb0ESQ_SR_ST_SU_SY_EESZ_S10_S11_S12_S16_S17_S18_S1B_S1C_jS1D_jS1E_S1E_jjS1G_bEUljE0_EEESZ_S10_S11_S18_S1C_S1E_T6_T7_T9_mT8_S1G_bDpT10_ENKUlT_T0_E_clISt17integral_constantIbLb1EES1T_IbLb0EEEEDaS1P_S1Q_EUlS1P_E_NS1_11comp_targetILNS1_3genE0ELNS1_11target_archE4294967295ELNS1_3gpuE0ELNS1_3repE0EEENS1_30default_config_static_selectorELNS0_4arch9wavefront6targetE1EEEvS12_
	.p2align	8
	.type	_ZN7rocprim17ROCPRIM_400000_NS6detail17trampoline_kernelINS0_13select_configILj256ELj13ELNS0_17block_load_methodE3ELS4_3ELS4_3ELNS0_20block_scan_algorithmE0ELj4294967295EEENS1_25partition_config_selectorILNS1_17partition_subalgoE4EjNS0_10empty_typeEbEEZZNS1_14partition_implILS8_4ELb0ES6_15HIP_vector_typeIjLj2EENS0_17counting_iteratorIjlEEPS9_SG_NS0_5tupleIJPjSI_NS0_16reverse_iteratorISI_EEEEENSH_IJSG_SG_SG_EEES9_SI_JZNS1_25segmented_radix_sort_implINS0_14default_configELb0EPKhPhPKlPlN2at6native12_GLOBAL__N_18offset_tEEE10hipError_tPvRmT1_PNSt15iterator_traitsIS12_E10value_typeET2_T3_PNS13_IS18_E10value_typeET4_jRbjT5_S1E_jjP12ihipStream_tbEUljE_ZNSN_ISO_Lb0ESQ_SR_ST_SU_SY_EESZ_S10_S11_S12_S16_S17_S18_S1B_S1C_jS1D_jS1E_S1E_jjS1G_bEUljE0_EEESZ_S10_S11_S18_S1C_S1E_T6_T7_T9_mT8_S1G_bDpT10_ENKUlT_T0_E_clISt17integral_constantIbLb1EES1T_IbLb0EEEEDaS1P_S1Q_EUlS1P_E_NS1_11comp_targetILNS1_3genE0ELNS1_11target_archE4294967295ELNS1_3gpuE0ELNS1_3repE0EEENS1_30default_config_static_selectorELNS0_4arch9wavefront6targetE1EEEvS12_,@function
_ZN7rocprim17ROCPRIM_400000_NS6detail17trampoline_kernelINS0_13select_configILj256ELj13ELNS0_17block_load_methodE3ELS4_3ELS4_3ELNS0_20block_scan_algorithmE0ELj4294967295EEENS1_25partition_config_selectorILNS1_17partition_subalgoE4EjNS0_10empty_typeEbEEZZNS1_14partition_implILS8_4ELb0ES6_15HIP_vector_typeIjLj2EENS0_17counting_iteratorIjlEEPS9_SG_NS0_5tupleIJPjSI_NS0_16reverse_iteratorISI_EEEEENSH_IJSG_SG_SG_EEES9_SI_JZNS1_25segmented_radix_sort_implINS0_14default_configELb0EPKhPhPKlPlN2at6native12_GLOBAL__N_18offset_tEEE10hipError_tPvRmT1_PNSt15iterator_traitsIS12_E10value_typeET2_T3_PNS13_IS18_E10value_typeET4_jRbjT5_S1E_jjP12ihipStream_tbEUljE_ZNSN_ISO_Lb0ESQ_SR_ST_SU_SY_EESZ_S10_S11_S12_S16_S17_S18_S1B_S1C_jS1D_jS1E_S1E_jjS1G_bEUljE0_EEESZ_S10_S11_S18_S1C_S1E_T6_T7_T9_mT8_S1G_bDpT10_ENKUlT_T0_E_clISt17integral_constantIbLb1EES1T_IbLb0EEEEDaS1P_S1Q_EUlS1P_E_NS1_11comp_targetILNS1_3genE0ELNS1_11target_archE4294967295ELNS1_3gpuE0ELNS1_3repE0EEENS1_30default_config_static_selectorELNS0_4arch9wavefront6targetE1EEEvS12_: ; @_ZN7rocprim17ROCPRIM_400000_NS6detail17trampoline_kernelINS0_13select_configILj256ELj13ELNS0_17block_load_methodE3ELS4_3ELS4_3ELNS0_20block_scan_algorithmE0ELj4294967295EEENS1_25partition_config_selectorILNS1_17partition_subalgoE4EjNS0_10empty_typeEbEEZZNS1_14partition_implILS8_4ELb0ES6_15HIP_vector_typeIjLj2EENS0_17counting_iteratorIjlEEPS9_SG_NS0_5tupleIJPjSI_NS0_16reverse_iteratorISI_EEEEENSH_IJSG_SG_SG_EEES9_SI_JZNS1_25segmented_radix_sort_implINS0_14default_configELb0EPKhPhPKlPlN2at6native12_GLOBAL__N_18offset_tEEE10hipError_tPvRmT1_PNSt15iterator_traitsIS12_E10value_typeET2_T3_PNS13_IS18_E10value_typeET4_jRbjT5_S1E_jjP12ihipStream_tbEUljE_ZNSN_ISO_Lb0ESQ_SR_ST_SU_SY_EESZ_S10_S11_S12_S16_S17_S18_S1B_S1C_jS1D_jS1E_S1E_jjS1G_bEUljE0_EEESZ_S10_S11_S18_S1C_S1E_T6_T7_T9_mT8_S1G_bDpT10_ENKUlT_T0_E_clISt17integral_constantIbLb1EES1T_IbLb0EEEEDaS1P_S1Q_EUlS1P_E_NS1_11comp_targetILNS1_3genE0ELNS1_11target_archE4294967295ELNS1_3gpuE0ELNS1_3repE0EEENS1_30default_config_static_selectorELNS0_4arch9wavefront6targetE1EEEvS12_
; %bb.0:
	.section	.rodata,"a",@progbits
	.p2align	6, 0x0
	.amdhsa_kernel _ZN7rocprim17ROCPRIM_400000_NS6detail17trampoline_kernelINS0_13select_configILj256ELj13ELNS0_17block_load_methodE3ELS4_3ELS4_3ELNS0_20block_scan_algorithmE0ELj4294967295EEENS1_25partition_config_selectorILNS1_17partition_subalgoE4EjNS0_10empty_typeEbEEZZNS1_14partition_implILS8_4ELb0ES6_15HIP_vector_typeIjLj2EENS0_17counting_iteratorIjlEEPS9_SG_NS0_5tupleIJPjSI_NS0_16reverse_iteratorISI_EEEEENSH_IJSG_SG_SG_EEES9_SI_JZNS1_25segmented_radix_sort_implINS0_14default_configELb0EPKhPhPKlPlN2at6native12_GLOBAL__N_18offset_tEEE10hipError_tPvRmT1_PNSt15iterator_traitsIS12_E10value_typeET2_T3_PNS13_IS18_E10value_typeET4_jRbjT5_S1E_jjP12ihipStream_tbEUljE_ZNSN_ISO_Lb0ESQ_SR_ST_SU_SY_EESZ_S10_S11_S12_S16_S17_S18_S1B_S1C_jS1D_jS1E_S1E_jjS1G_bEUljE0_EEESZ_S10_S11_S18_S1C_S1E_T6_T7_T9_mT8_S1G_bDpT10_ENKUlT_T0_E_clISt17integral_constantIbLb1EES1T_IbLb0EEEEDaS1P_S1Q_EUlS1P_E_NS1_11comp_targetILNS1_3genE0ELNS1_11target_archE4294967295ELNS1_3gpuE0ELNS1_3repE0EEENS1_30default_config_static_selectorELNS0_4arch9wavefront6targetE1EEEvS12_
		.amdhsa_group_segment_fixed_size 0
		.amdhsa_private_segment_fixed_size 0
		.amdhsa_kernarg_size 176
		.amdhsa_user_sgpr_count 6
		.amdhsa_user_sgpr_private_segment_buffer 1
		.amdhsa_user_sgpr_dispatch_ptr 0
		.amdhsa_user_sgpr_queue_ptr 0
		.amdhsa_user_sgpr_kernarg_segment_ptr 1
		.amdhsa_user_sgpr_dispatch_id 0
		.amdhsa_user_sgpr_flat_scratch_init 0
		.amdhsa_user_sgpr_kernarg_preload_length 0
		.amdhsa_user_sgpr_kernarg_preload_offset 0
		.amdhsa_user_sgpr_private_segment_size 0
		.amdhsa_uses_dynamic_stack 0
		.amdhsa_system_sgpr_private_segment_wavefront_offset 0
		.amdhsa_system_sgpr_workgroup_id_x 1
		.amdhsa_system_sgpr_workgroup_id_y 0
		.amdhsa_system_sgpr_workgroup_id_z 0
		.amdhsa_system_sgpr_workgroup_info 0
		.amdhsa_system_vgpr_workitem_id 0
		.amdhsa_next_free_vgpr 1
		.amdhsa_next_free_sgpr 0
		.amdhsa_accum_offset 4
		.amdhsa_reserve_vcc 0
		.amdhsa_reserve_flat_scratch 0
		.amdhsa_float_round_mode_32 0
		.amdhsa_float_round_mode_16_64 0
		.amdhsa_float_denorm_mode_32 3
		.amdhsa_float_denorm_mode_16_64 3
		.amdhsa_dx10_clamp 1
		.amdhsa_ieee_mode 1
		.amdhsa_fp16_overflow 0
		.amdhsa_tg_split 0
		.amdhsa_exception_fp_ieee_invalid_op 0
		.amdhsa_exception_fp_denorm_src 0
		.amdhsa_exception_fp_ieee_div_zero 0
		.amdhsa_exception_fp_ieee_overflow 0
		.amdhsa_exception_fp_ieee_underflow 0
		.amdhsa_exception_fp_ieee_inexact 0
		.amdhsa_exception_int_div_zero 0
	.end_amdhsa_kernel
	.section	.text._ZN7rocprim17ROCPRIM_400000_NS6detail17trampoline_kernelINS0_13select_configILj256ELj13ELNS0_17block_load_methodE3ELS4_3ELS4_3ELNS0_20block_scan_algorithmE0ELj4294967295EEENS1_25partition_config_selectorILNS1_17partition_subalgoE4EjNS0_10empty_typeEbEEZZNS1_14partition_implILS8_4ELb0ES6_15HIP_vector_typeIjLj2EENS0_17counting_iteratorIjlEEPS9_SG_NS0_5tupleIJPjSI_NS0_16reverse_iteratorISI_EEEEENSH_IJSG_SG_SG_EEES9_SI_JZNS1_25segmented_radix_sort_implINS0_14default_configELb0EPKhPhPKlPlN2at6native12_GLOBAL__N_18offset_tEEE10hipError_tPvRmT1_PNSt15iterator_traitsIS12_E10value_typeET2_T3_PNS13_IS18_E10value_typeET4_jRbjT5_S1E_jjP12ihipStream_tbEUljE_ZNSN_ISO_Lb0ESQ_SR_ST_SU_SY_EESZ_S10_S11_S12_S16_S17_S18_S1B_S1C_jS1D_jS1E_S1E_jjS1G_bEUljE0_EEESZ_S10_S11_S18_S1C_S1E_T6_T7_T9_mT8_S1G_bDpT10_ENKUlT_T0_E_clISt17integral_constantIbLb1EES1T_IbLb0EEEEDaS1P_S1Q_EUlS1P_E_NS1_11comp_targetILNS1_3genE0ELNS1_11target_archE4294967295ELNS1_3gpuE0ELNS1_3repE0EEENS1_30default_config_static_selectorELNS0_4arch9wavefront6targetE1EEEvS12_,"axG",@progbits,_ZN7rocprim17ROCPRIM_400000_NS6detail17trampoline_kernelINS0_13select_configILj256ELj13ELNS0_17block_load_methodE3ELS4_3ELS4_3ELNS0_20block_scan_algorithmE0ELj4294967295EEENS1_25partition_config_selectorILNS1_17partition_subalgoE4EjNS0_10empty_typeEbEEZZNS1_14partition_implILS8_4ELb0ES6_15HIP_vector_typeIjLj2EENS0_17counting_iteratorIjlEEPS9_SG_NS0_5tupleIJPjSI_NS0_16reverse_iteratorISI_EEEEENSH_IJSG_SG_SG_EEES9_SI_JZNS1_25segmented_radix_sort_implINS0_14default_configELb0EPKhPhPKlPlN2at6native12_GLOBAL__N_18offset_tEEE10hipError_tPvRmT1_PNSt15iterator_traitsIS12_E10value_typeET2_T3_PNS13_IS18_E10value_typeET4_jRbjT5_S1E_jjP12ihipStream_tbEUljE_ZNSN_ISO_Lb0ESQ_SR_ST_SU_SY_EESZ_S10_S11_S12_S16_S17_S18_S1B_S1C_jS1D_jS1E_S1E_jjS1G_bEUljE0_EEESZ_S10_S11_S18_S1C_S1E_T6_T7_T9_mT8_S1G_bDpT10_ENKUlT_T0_E_clISt17integral_constantIbLb1EES1T_IbLb0EEEEDaS1P_S1Q_EUlS1P_E_NS1_11comp_targetILNS1_3genE0ELNS1_11target_archE4294967295ELNS1_3gpuE0ELNS1_3repE0EEENS1_30default_config_static_selectorELNS0_4arch9wavefront6targetE1EEEvS12_,comdat
.Lfunc_end138:
	.size	_ZN7rocprim17ROCPRIM_400000_NS6detail17trampoline_kernelINS0_13select_configILj256ELj13ELNS0_17block_load_methodE3ELS4_3ELS4_3ELNS0_20block_scan_algorithmE0ELj4294967295EEENS1_25partition_config_selectorILNS1_17partition_subalgoE4EjNS0_10empty_typeEbEEZZNS1_14partition_implILS8_4ELb0ES6_15HIP_vector_typeIjLj2EENS0_17counting_iteratorIjlEEPS9_SG_NS0_5tupleIJPjSI_NS0_16reverse_iteratorISI_EEEEENSH_IJSG_SG_SG_EEES9_SI_JZNS1_25segmented_radix_sort_implINS0_14default_configELb0EPKhPhPKlPlN2at6native12_GLOBAL__N_18offset_tEEE10hipError_tPvRmT1_PNSt15iterator_traitsIS12_E10value_typeET2_T3_PNS13_IS18_E10value_typeET4_jRbjT5_S1E_jjP12ihipStream_tbEUljE_ZNSN_ISO_Lb0ESQ_SR_ST_SU_SY_EESZ_S10_S11_S12_S16_S17_S18_S1B_S1C_jS1D_jS1E_S1E_jjS1G_bEUljE0_EEESZ_S10_S11_S18_S1C_S1E_T6_T7_T9_mT8_S1G_bDpT10_ENKUlT_T0_E_clISt17integral_constantIbLb1EES1T_IbLb0EEEEDaS1P_S1Q_EUlS1P_E_NS1_11comp_targetILNS1_3genE0ELNS1_11target_archE4294967295ELNS1_3gpuE0ELNS1_3repE0EEENS1_30default_config_static_selectorELNS0_4arch9wavefront6targetE1EEEvS12_, .Lfunc_end138-_ZN7rocprim17ROCPRIM_400000_NS6detail17trampoline_kernelINS0_13select_configILj256ELj13ELNS0_17block_load_methodE3ELS4_3ELS4_3ELNS0_20block_scan_algorithmE0ELj4294967295EEENS1_25partition_config_selectorILNS1_17partition_subalgoE4EjNS0_10empty_typeEbEEZZNS1_14partition_implILS8_4ELb0ES6_15HIP_vector_typeIjLj2EENS0_17counting_iteratorIjlEEPS9_SG_NS0_5tupleIJPjSI_NS0_16reverse_iteratorISI_EEEEENSH_IJSG_SG_SG_EEES9_SI_JZNS1_25segmented_radix_sort_implINS0_14default_configELb0EPKhPhPKlPlN2at6native12_GLOBAL__N_18offset_tEEE10hipError_tPvRmT1_PNSt15iterator_traitsIS12_E10value_typeET2_T3_PNS13_IS18_E10value_typeET4_jRbjT5_S1E_jjP12ihipStream_tbEUljE_ZNSN_ISO_Lb0ESQ_SR_ST_SU_SY_EESZ_S10_S11_S12_S16_S17_S18_S1B_S1C_jS1D_jS1E_S1E_jjS1G_bEUljE0_EEESZ_S10_S11_S18_S1C_S1E_T6_T7_T9_mT8_S1G_bDpT10_ENKUlT_T0_E_clISt17integral_constantIbLb1EES1T_IbLb0EEEEDaS1P_S1Q_EUlS1P_E_NS1_11comp_targetILNS1_3genE0ELNS1_11target_archE4294967295ELNS1_3gpuE0ELNS1_3repE0EEENS1_30default_config_static_selectorELNS0_4arch9wavefront6targetE1EEEvS12_
                                        ; -- End function
	.section	.AMDGPU.csdata,"",@progbits
; Kernel info:
; codeLenInByte = 0
; NumSgprs: 4
; NumVgprs: 0
; NumAgprs: 0
; TotalNumVgprs: 0
; ScratchSize: 0
; MemoryBound: 0
; FloatMode: 240
; IeeeMode: 1
; LDSByteSize: 0 bytes/workgroup (compile time only)
; SGPRBlocks: 0
; VGPRBlocks: 0
; NumSGPRsForWavesPerEU: 4
; NumVGPRsForWavesPerEU: 1
; AccumOffset: 4
; Occupancy: 8
; WaveLimiterHint : 0
; COMPUTE_PGM_RSRC2:SCRATCH_EN: 0
; COMPUTE_PGM_RSRC2:USER_SGPR: 6
; COMPUTE_PGM_RSRC2:TRAP_HANDLER: 0
; COMPUTE_PGM_RSRC2:TGID_X_EN: 1
; COMPUTE_PGM_RSRC2:TGID_Y_EN: 0
; COMPUTE_PGM_RSRC2:TGID_Z_EN: 0
; COMPUTE_PGM_RSRC2:TIDIG_COMP_CNT: 0
; COMPUTE_PGM_RSRC3_GFX90A:ACCUM_OFFSET: 0
; COMPUTE_PGM_RSRC3_GFX90A:TG_SPLIT: 0
	.section	.text._ZN7rocprim17ROCPRIM_400000_NS6detail17trampoline_kernelINS0_13select_configILj256ELj13ELNS0_17block_load_methodE3ELS4_3ELS4_3ELNS0_20block_scan_algorithmE0ELj4294967295EEENS1_25partition_config_selectorILNS1_17partition_subalgoE4EjNS0_10empty_typeEbEEZZNS1_14partition_implILS8_4ELb0ES6_15HIP_vector_typeIjLj2EENS0_17counting_iteratorIjlEEPS9_SG_NS0_5tupleIJPjSI_NS0_16reverse_iteratorISI_EEEEENSH_IJSG_SG_SG_EEES9_SI_JZNS1_25segmented_radix_sort_implINS0_14default_configELb0EPKhPhPKlPlN2at6native12_GLOBAL__N_18offset_tEEE10hipError_tPvRmT1_PNSt15iterator_traitsIS12_E10value_typeET2_T3_PNS13_IS18_E10value_typeET4_jRbjT5_S1E_jjP12ihipStream_tbEUljE_ZNSN_ISO_Lb0ESQ_SR_ST_SU_SY_EESZ_S10_S11_S12_S16_S17_S18_S1B_S1C_jS1D_jS1E_S1E_jjS1G_bEUljE0_EEESZ_S10_S11_S18_S1C_S1E_T6_T7_T9_mT8_S1G_bDpT10_ENKUlT_T0_E_clISt17integral_constantIbLb1EES1T_IbLb0EEEEDaS1P_S1Q_EUlS1P_E_NS1_11comp_targetILNS1_3genE5ELNS1_11target_archE942ELNS1_3gpuE9ELNS1_3repE0EEENS1_30default_config_static_selectorELNS0_4arch9wavefront6targetE1EEEvS12_,"axG",@progbits,_ZN7rocprim17ROCPRIM_400000_NS6detail17trampoline_kernelINS0_13select_configILj256ELj13ELNS0_17block_load_methodE3ELS4_3ELS4_3ELNS0_20block_scan_algorithmE0ELj4294967295EEENS1_25partition_config_selectorILNS1_17partition_subalgoE4EjNS0_10empty_typeEbEEZZNS1_14partition_implILS8_4ELb0ES6_15HIP_vector_typeIjLj2EENS0_17counting_iteratorIjlEEPS9_SG_NS0_5tupleIJPjSI_NS0_16reverse_iteratorISI_EEEEENSH_IJSG_SG_SG_EEES9_SI_JZNS1_25segmented_radix_sort_implINS0_14default_configELb0EPKhPhPKlPlN2at6native12_GLOBAL__N_18offset_tEEE10hipError_tPvRmT1_PNSt15iterator_traitsIS12_E10value_typeET2_T3_PNS13_IS18_E10value_typeET4_jRbjT5_S1E_jjP12ihipStream_tbEUljE_ZNSN_ISO_Lb0ESQ_SR_ST_SU_SY_EESZ_S10_S11_S12_S16_S17_S18_S1B_S1C_jS1D_jS1E_S1E_jjS1G_bEUljE0_EEESZ_S10_S11_S18_S1C_S1E_T6_T7_T9_mT8_S1G_bDpT10_ENKUlT_T0_E_clISt17integral_constantIbLb1EES1T_IbLb0EEEEDaS1P_S1Q_EUlS1P_E_NS1_11comp_targetILNS1_3genE5ELNS1_11target_archE942ELNS1_3gpuE9ELNS1_3repE0EEENS1_30default_config_static_selectorELNS0_4arch9wavefront6targetE1EEEvS12_,comdat
	.globl	_ZN7rocprim17ROCPRIM_400000_NS6detail17trampoline_kernelINS0_13select_configILj256ELj13ELNS0_17block_load_methodE3ELS4_3ELS4_3ELNS0_20block_scan_algorithmE0ELj4294967295EEENS1_25partition_config_selectorILNS1_17partition_subalgoE4EjNS0_10empty_typeEbEEZZNS1_14partition_implILS8_4ELb0ES6_15HIP_vector_typeIjLj2EENS0_17counting_iteratorIjlEEPS9_SG_NS0_5tupleIJPjSI_NS0_16reverse_iteratorISI_EEEEENSH_IJSG_SG_SG_EEES9_SI_JZNS1_25segmented_radix_sort_implINS0_14default_configELb0EPKhPhPKlPlN2at6native12_GLOBAL__N_18offset_tEEE10hipError_tPvRmT1_PNSt15iterator_traitsIS12_E10value_typeET2_T3_PNS13_IS18_E10value_typeET4_jRbjT5_S1E_jjP12ihipStream_tbEUljE_ZNSN_ISO_Lb0ESQ_SR_ST_SU_SY_EESZ_S10_S11_S12_S16_S17_S18_S1B_S1C_jS1D_jS1E_S1E_jjS1G_bEUljE0_EEESZ_S10_S11_S18_S1C_S1E_T6_T7_T9_mT8_S1G_bDpT10_ENKUlT_T0_E_clISt17integral_constantIbLb1EES1T_IbLb0EEEEDaS1P_S1Q_EUlS1P_E_NS1_11comp_targetILNS1_3genE5ELNS1_11target_archE942ELNS1_3gpuE9ELNS1_3repE0EEENS1_30default_config_static_selectorELNS0_4arch9wavefront6targetE1EEEvS12_ ; -- Begin function _ZN7rocprim17ROCPRIM_400000_NS6detail17trampoline_kernelINS0_13select_configILj256ELj13ELNS0_17block_load_methodE3ELS4_3ELS4_3ELNS0_20block_scan_algorithmE0ELj4294967295EEENS1_25partition_config_selectorILNS1_17partition_subalgoE4EjNS0_10empty_typeEbEEZZNS1_14partition_implILS8_4ELb0ES6_15HIP_vector_typeIjLj2EENS0_17counting_iteratorIjlEEPS9_SG_NS0_5tupleIJPjSI_NS0_16reverse_iteratorISI_EEEEENSH_IJSG_SG_SG_EEES9_SI_JZNS1_25segmented_radix_sort_implINS0_14default_configELb0EPKhPhPKlPlN2at6native12_GLOBAL__N_18offset_tEEE10hipError_tPvRmT1_PNSt15iterator_traitsIS12_E10value_typeET2_T3_PNS13_IS18_E10value_typeET4_jRbjT5_S1E_jjP12ihipStream_tbEUljE_ZNSN_ISO_Lb0ESQ_SR_ST_SU_SY_EESZ_S10_S11_S12_S16_S17_S18_S1B_S1C_jS1D_jS1E_S1E_jjS1G_bEUljE0_EEESZ_S10_S11_S18_S1C_S1E_T6_T7_T9_mT8_S1G_bDpT10_ENKUlT_T0_E_clISt17integral_constantIbLb1EES1T_IbLb0EEEEDaS1P_S1Q_EUlS1P_E_NS1_11comp_targetILNS1_3genE5ELNS1_11target_archE942ELNS1_3gpuE9ELNS1_3repE0EEENS1_30default_config_static_selectorELNS0_4arch9wavefront6targetE1EEEvS12_
	.p2align	8
	.type	_ZN7rocprim17ROCPRIM_400000_NS6detail17trampoline_kernelINS0_13select_configILj256ELj13ELNS0_17block_load_methodE3ELS4_3ELS4_3ELNS0_20block_scan_algorithmE0ELj4294967295EEENS1_25partition_config_selectorILNS1_17partition_subalgoE4EjNS0_10empty_typeEbEEZZNS1_14partition_implILS8_4ELb0ES6_15HIP_vector_typeIjLj2EENS0_17counting_iteratorIjlEEPS9_SG_NS0_5tupleIJPjSI_NS0_16reverse_iteratorISI_EEEEENSH_IJSG_SG_SG_EEES9_SI_JZNS1_25segmented_radix_sort_implINS0_14default_configELb0EPKhPhPKlPlN2at6native12_GLOBAL__N_18offset_tEEE10hipError_tPvRmT1_PNSt15iterator_traitsIS12_E10value_typeET2_T3_PNS13_IS18_E10value_typeET4_jRbjT5_S1E_jjP12ihipStream_tbEUljE_ZNSN_ISO_Lb0ESQ_SR_ST_SU_SY_EESZ_S10_S11_S12_S16_S17_S18_S1B_S1C_jS1D_jS1E_S1E_jjS1G_bEUljE0_EEESZ_S10_S11_S18_S1C_S1E_T6_T7_T9_mT8_S1G_bDpT10_ENKUlT_T0_E_clISt17integral_constantIbLb1EES1T_IbLb0EEEEDaS1P_S1Q_EUlS1P_E_NS1_11comp_targetILNS1_3genE5ELNS1_11target_archE942ELNS1_3gpuE9ELNS1_3repE0EEENS1_30default_config_static_selectorELNS0_4arch9wavefront6targetE1EEEvS12_,@function
_ZN7rocprim17ROCPRIM_400000_NS6detail17trampoline_kernelINS0_13select_configILj256ELj13ELNS0_17block_load_methodE3ELS4_3ELS4_3ELNS0_20block_scan_algorithmE0ELj4294967295EEENS1_25partition_config_selectorILNS1_17partition_subalgoE4EjNS0_10empty_typeEbEEZZNS1_14partition_implILS8_4ELb0ES6_15HIP_vector_typeIjLj2EENS0_17counting_iteratorIjlEEPS9_SG_NS0_5tupleIJPjSI_NS0_16reverse_iteratorISI_EEEEENSH_IJSG_SG_SG_EEES9_SI_JZNS1_25segmented_radix_sort_implINS0_14default_configELb0EPKhPhPKlPlN2at6native12_GLOBAL__N_18offset_tEEE10hipError_tPvRmT1_PNSt15iterator_traitsIS12_E10value_typeET2_T3_PNS13_IS18_E10value_typeET4_jRbjT5_S1E_jjP12ihipStream_tbEUljE_ZNSN_ISO_Lb0ESQ_SR_ST_SU_SY_EESZ_S10_S11_S12_S16_S17_S18_S1B_S1C_jS1D_jS1E_S1E_jjS1G_bEUljE0_EEESZ_S10_S11_S18_S1C_S1E_T6_T7_T9_mT8_S1G_bDpT10_ENKUlT_T0_E_clISt17integral_constantIbLb1EES1T_IbLb0EEEEDaS1P_S1Q_EUlS1P_E_NS1_11comp_targetILNS1_3genE5ELNS1_11target_archE942ELNS1_3gpuE9ELNS1_3repE0EEENS1_30default_config_static_selectorELNS0_4arch9wavefront6targetE1EEEvS12_: ; @_ZN7rocprim17ROCPRIM_400000_NS6detail17trampoline_kernelINS0_13select_configILj256ELj13ELNS0_17block_load_methodE3ELS4_3ELS4_3ELNS0_20block_scan_algorithmE0ELj4294967295EEENS1_25partition_config_selectorILNS1_17partition_subalgoE4EjNS0_10empty_typeEbEEZZNS1_14partition_implILS8_4ELb0ES6_15HIP_vector_typeIjLj2EENS0_17counting_iteratorIjlEEPS9_SG_NS0_5tupleIJPjSI_NS0_16reverse_iteratorISI_EEEEENSH_IJSG_SG_SG_EEES9_SI_JZNS1_25segmented_radix_sort_implINS0_14default_configELb0EPKhPhPKlPlN2at6native12_GLOBAL__N_18offset_tEEE10hipError_tPvRmT1_PNSt15iterator_traitsIS12_E10value_typeET2_T3_PNS13_IS18_E10value_typeET4_jRbjT5_S1E_jjP12ihipStream_tbEUljE_ZNSN_ISO_Lb0ESQ_SR_ST_SU_SY_EESZ_S10_S11_S12_S16_S17_S18_S1B_S1C_jS1D_jS1E_S1E_jjS1G_bEUljE0_EEESZ_S10_S11_S18_S1C_S1E_T6_T7_T9_mT8_S1G_bDpT10_ENKUlT_T0_E_clISt17integral_constantIbLb1EES1T_IbLb0EEEEDaS1P_S1Q_EUlS1P_E_NS1_11comp_targetILNS1_3genE5ELNS1_11target_archE942ELNS1_3gpuE9ELNS1_3repE0EEENS1_30default_config_static_selectorELNS0_4arch9wavefront6targetE1EEEvS12_
; %bb.0:
	.section	.rodata,"a",@progbits
	.p2align	6, 0x0
	.amdhsa_kernel _ZN7rocprim17ROCPRIM_400000_NS6detail17trampoline_kernelINS0_13select_configILj256ELj13ELNS0_17block_load_methodE3ELS4_3ELS4_3ELNS0_20block_scan_algorithmE0ELj4294967295EEENS1_25partition_config_selectorILNS1_17partition_subalgoE4EjNS0_10empty_typeEbEEZZNS1_14partition_implILS8_4ELb0ES6_15HIP_vector_typeIjLj2EENS0_17counting_iteratorIjlEEPS9_SG_NS0_5tupleIJPjSI_NS0_16reverse_iteratorISI_EEEEENSH_IJSG_SG_SG_EEES9_SI_JZNS1_25segmented_radix_sort_implINS0_14default_configELb0EPKhPhPKlPlN2at6native12_GLOBAL__N_18offset_tEEE10hipError_tPvRmT1_PNSt15iterator_traitsIS12_E10value_typeET2_T3_PNS13_IS18_E10value_typeET4_jRbjT5_S1E_jjP12ihipStream_tbEUljE_ZNSN_ISO_Lb0ESQ_SR_ST_SU_SY_EESZ_S10_S11_S12_S16_S17_S18_S1B_S1C_jS1D_jS1E_S1E_jjS1G_bEUljE0_EEESZ_S10_S11_S18_S1C_S1E_T6_T7_T9_mT8_S1G_bDpT10_ENKUlT_T0_E_clISt17integral_constantIbLb1EES1T_IbLb0EEEEDaS1P_S1Q_EUlS1P_E_NS1_11comp_targetILNS1_3genE5ELNS1_11target_archE942ELNS1_3gpuE9ELNS1_3repE0EEENS1_30default_config_static_selectorELNS0_4arch9wavefront6targetE1EEEvS12_
		.amdhsa_group_segment_fixed_size 0
		.amdhsa_private_segment_fixed_size 0
		.amdhsa_kernarg_size 176
		.amdhsa_user_sgpr_count 6
		.amdhsa_user_sgpr_private_segment_buffer 1
		.amdhsa_user_sgpr_dispatch_ptr 0
		.amdhsa_user_sgpr_queue_ptr 0
		.amdhsa_user_sgpr_kernarg_segment_ptr 1
		.amdhsa_user_sgpr_dispatch_id 0
		.amdhsa_user_sgpr_flat_scratch_init 0
		.amdhsa_user_sgpr_kernarg_preload_length 0
		.amdhsa_user_sgpr_kernarg_preload_offset 0
		.amdhsa_user_sgpr_private_segment_size 0
		.amdhsa_uses_dynamic_stack 0
		.amdhsa_system_sgpr_private_segment_wavefront_offset 0
		.amdhsa_system_sgpr_workgroup_id_x 1
		.amdhsa_system_sgpr_workgroup_id_y 0
		.amdhsa_system_sgpr_workgroup_id_z 0
		.amdhsa_system_sgpr_workgroup_info 0
		.amdhsa_system_vgpr_workitem_id 0
		.amdhsa_next_free_vgpr 1
		.amdhsa_next_free_sgpr 0
		.amdhsa_accum_offset 4
		.amdhsa_reserve_vcc 0
		.amdhsa_reserve_flat_scratch 0
		.amdhsa_float_round_mode_32 0
		.amdhsa_float_round_mode_16_64 0
		.amdhsa_float_denorm_mode_32 3
		.amdhsa_float_denorm_mode_16_64 3
		.amdhsa_dx10_clamp 1
		.amdhsa_ieee_mode 1
		.amdhsa_fp16_overflow 0
		.amdhsa_tg_split 0
		.amdhsa_exception_fp_ieee_invalid_op 0
		.amdhsa_exception_fp_denorm_src 0
		.amdhsa_exception_fp_ieee_div_zero 0
		.amdhsa_exception_fp_ieee_overflow 0
		.amdhsa_exception_fp_ieee_underflow 0
		.amdhsa_exception_fp_ieee_inexact 0
		.amdhsa_exception_int_div_zero 0
	.end_amdhsa_kernel
	.section	.text._ZN7rocprim17ROCPRIM_400000_NS6detail17trampoline_kernelINS0_13select_configILj256ELj13ELNS0_17block_load_methodE3ELS4_3ELS4_3ELNS0_20block_scan_algorithmE0ELj4294967295EEENS1_25partition_config_selectorILNS1_17partition_subalgoE4EjNS0_10empty_typeEbEEZZNS1_14partition_implILS8_4ELb0ES6_15HIP_vector_typeIjLj2EENS0_17counting_iteratorIjlEEPS9_SG_NS0_5tupleIJPjSI_NS0_16reverse_iteratorISI_EEEEENSH_IJSG_SG_SG_EEES9_SI_JZNS1_25segmented_radix_sort_implINS0_14default_configELb0EPKhPhPKlPlN2at6native12_GLOBAL__N_18offset_tEEE10hipError_tPvRmT1_PNSt15iterator_traitsIS12_E10value_typeET2_T3_PNS13_IS18_E10value_typeET4_jRbjT5_S1E_jjP12ihipStream_tbEUljE_ZNSN_ISO_Lb0ESQ_SR_ST_SU_SY_EESZ_S10_S11_S12_S16_S17_S18_S1B_S1C_jS1D_jS1E_S1E_jjS1G_bEUljE0_EEESZ_S10_S11_S18_S1C_S1E_T6_T7_T9_mT8_S1G_bDpT10_ENKUlT_T0_E_clISt17integral_constantIbLb1EES1T_IbLb0EEEEDaS1P_S1Q_EUlS1P_E_NS1_11comp_targetILNS1_3genE5ELNS1_11target_archE942ELNS1_3gpuE9ELNS1_3repE0EEENS1_30default_config_static_selectorELNS0_4arch9wavefront6targetE1EEEvS12_,"axG",@progbits,_ZN7rocprim17ROCPRIM_400000_NS6detail17trampoline_kernelINS0_13select_configILj256ELj13ELNS0_17block_load_methodE3ELS4_3ELS4_3ELNS0_20block_scan_algorithmE0ELj4294967295EEENS1_25partition_config_selectorILNS1_17partition_subalgoE4EjNS0_10empty_typeEbEEZZNS1_14partition_implILS8_4ELb0ES6_15HIP_vector_typeIjLj2EENS0_17counting_iteratorIjlEEPS9_SG_NS0_5tupleIJPjSI_NS0_16reverse_iteratorISI_EEEEENSH_IJSG_SG_SG_EEES9_SI_JZNS1_25segmented_radix_sort_implINS0_14default_configELb0EPKhPhPKlPlN2at6native12_GLOBAL__N_18offset_tEEE10hipError_tPvRmT1_PNSt15iterator_traitsIS12_E10value_typeET2_T3_PNS13_IS18_E10value_typeET4_jRbjT5_S1E_jjP12ihipStream_tbEUljE_ZNSN_ISO_Lb0ESQ_SR_ST_SU_SY_EESZ_S10_S11_S12_S16_S17_S18_S1B_S1C_jS1D_jS1E_S1E_jjS1G_bEUljE0_EEESZ_S10_S11_S18_S1C_S1E_T6_T7_T9_mT8_S1G_bDpT10_ENKUlT_T0_E_clISt17integral_constantIbLb1EES1T_IbLb0EEEEDaS1P_S1Q_EUlS1P_E_NS1_11comp_targetILNS1_3genE5ELNS1_11target_archE942ELNS1_3gpuE9ELNS1_3repE0EEENS1_30default_config_static_selectorELNS0_4arch9wavefront6targetE1EEEvS12_,comdat
.Lfunc_end139:
	.size	_ZN7rocprim17ROCPRIM_400000_NS6detail17trampoline_kernelINS0_13select_configILj256ELj13ELNS0_17block_load_methodE3ELS4_3ELS4_3ELNS0_20block_scan_algorithmE0ELj4294967295EEENS1_25partition_config_selectorILNS1_17partition_subalgoE4EjNS0_10empty_typeEbEEZZNS1_14partition_implILS8_4ELb0ES6_15HIP_vector_typeIjLj2EENS0_17counting_iteratorIjlEEPS9_SG_NS0_5tupleIJPjSI_NS0_16reverse_iteratorISI_EEEEENSH_IJSG_SG_SG_EEES9_SI_JZNS1_25segmented_radix_sort_implINS0_14default_configELb0EPKhPhPKlPlN2at6native12_GLOBAL__N_18offset_tEEE10hipError_tPvRmT1_PNSt15iterator_traitsIS12_E10value_typeET2_T3_PNS13_IS18_E10value_typeET4_jRbjT5_S1E_jjP12ihipStream_tbEUljE_ZNSN_ISO_Lb0ESQ_SR_ST_SU_SY_EESZ_S10_S11_S12_S16_S17_S18_S1B_S1C_jS1D_jS1E_S1E_jjS1G_bEUljE0_EEESZ_S10_S11_S18_S1C_S1E_T6_T7_T9_mT8_S1G_bDpT10_ENKUlT_T0_E_clISt17integral_constantIbLb1EES1T_IbLb0EEEEDaS1P_S1Q_EUlS1P_E_NS1_11comp_targetILNS1_3genE5ELNS1_11target_archE942ELNS1_3gpuE9ELNS1_3repE0EEENS1_30default_config_static_selectorELNS0_4arch9wavefront6targetE1EEEvS12_, .Lfunc_end139-_ZN7rocprim17ROCPRIM_400000_NS6detail17trampoline_kernelINS0_13select_configILj256ELj13ELNS0_17block_load_methodE3ELS4_3ELS4_3ELNS0_20block_scan_algorithmE0ELj4294967295EEENS1_25partition_config_selectorILNS1_17partition_subalgoE4EjNS0_10empty_typeEbEEZZNS1_14partition_implILS8_4ELb0ES6_15HIP_vector_typeIjLj2EENS0_17counting_iteratorIjlEEPS9_SG_NS0_5tupleIJPjSI_NS0_16reverse_iteratorISI_EEEEENSH_IJSG_SG_SG_EEES9_SI_JZNS1_25segmented_radix_sort_implINS0_14default_configELb0EPKhPhPKlPlN2at6native12_GLOBAL__N_18offset_tEEE10hipError_tPvRmT1_PNSt15iterator_traitsIS12_E10value_typeET2_T3_PNS13_IS18_E10value_typeET4_jRbjT5_S1E_jjP12ihipStream_tbEUljE_ZNSN_ISO_Lb0ESQ_SR_ST_SU_SY_EESZ_S10_S11_S12_S16_S17_S18_S1B_S1C_jS1D_jS1E_S1E_jjS1G_bEUljE0_EEESZ_S10_S11_S18_S1C_S1E_T6_T7_T9_mT8_S1G_bDpT10_ENKUlT_T0_E_clISt17integral_constantIbLb1EES1T_IbLb0EEEEDaS1P_S1Q_EUlS1P_E_NS1_11comp_targetILNS1_3genE5ELNS1_11target_archE942ELNS1_3gpuE9ELNS1_3repE0EEENS1_30default_config_static_selectorELNS0_4arch9wavefront6targetE1EEEvS12_
                                        ; -- End function
	.section	.AMDGPU.csdata,"",@progbits
; Kernel info:
; codeLenInByte = 0
; NumSgprs: 4
; NumVgprs: 0
; NumAgprs: 0
; TotalNumVgprs: 0
; ScratchSize: 0
; MemoryBound: 0
; FloatMode: 240
; IeeeMode: 1
; LDSByteSize: 0 bytes/workgroup (compile time only)
; SGPRBlocks: 0
; VGPRBlocks: 0
; NumSGPRsForWavesPerEU: 4
; NumVGPRsForWavesPerEU: 1
; AccumOffset: 4
; Occupancy: 8
; WaveLimiterHint : 0
; COMPUTE_PGM_RSRC2:SCRATCH_EN: 0
; COMPUTE_PGM_RSRC2:USER_SGPR: 6
; COMPUTE_PGM_RSRC2:TRAP_HANDLER: 0
; COMPUTE_PGM_RSRC2:TGID_X_EN: 1
; COMPUTE_PGM_RSRC2:TGID_Y_EN: 0
; COMPUTE_PGM_RSRC2:TGID_Z_EN: 0
; COMPUTE_PGM_RSRC2:TIDIG_COMP_CNT: 0
; COMPUTE_PGM_RSRC3_GFX90A:ACCUM_OFFSET: 0
; COMPUTE_PGM_RSRC3_GFX90A:TG_SPLIT: 0
	.section	.text._ZN7rocprim17ROCPRIM_400000_NS6detail17trampoline_kernelINS0_13select_configILj256ELj13ELNS0_17block_load_methodE3ELS4_3ELS4_3ELNS0_20block_scan_algorithmE0ELj4294967295EEENS1_25partition_config_selectorILNS1_17partition_subalgoE4EjNS0_10empty_typeEbEEZZNS1_14partition_implILS8_4ELb0ES6_15HIP_vector_typeIjLj2EENS0_17counting_iteratorIjlEEPS9_SG_NS0_5tupleIJPjSI_NS0_16reverse_iteratorISI_EEEEENSH_IJSG_SG_SG_EEES9_SI_JZNS1_25segmented_radix_sort_implINS0_14default_configELb0EPKhPhPKlPlN2at6native12_GLOBAL__N_18offset_tEEE10hipError_tPvRmT1_PNSt15iterator_traitsIS12_E10value_typeET2_T3_PNS13_IS18_E10value_typeET4_jRbjT5_S1E_jjP12ihipStream_tbEUljE_ZNSN_ISO_Lb0ESQ_SR_ST_SU_SY_EESZ_S10_S11_S12_S16_S17_S18_S1B_S1C_jS1D_jS1E_S1E_jjS1G_bEUljE0_EEESZ_S10_S11_S18_S1C_S1E_T6_T7_T9_mT8_S1G_bDpT10_ENKUlT_T0_E_clISt17integral_constantIbLb1EES1T_IbLb0EEEEDaS1P_S1Q_EUlS1P_E_NS1_11comp_targetILNS1_3genE4ELNS1_11target_archE910ELNS1_3gpuE8ELNS1_3repE0EEENS1_30default_config_static_selectorELNS0_4arch9wavefront6targetE1EEEvS12_,"axG",@progbits,_ZN7rocprim17ROCPRIM_400000_NS6detail17trampoline_kernelINS0_13select_configILj256ELj13ELNS0_17block_load_methodE3ELS4_3ELS4_3ELNS0_20block_scan_algorithmE0ELj4294967295EEENS1_25partition_config_selectorILNS1_17partition_subalgoE4EjNS0_10empty_typeEbEEZZNS1_14partition_implILS8_4ELb0ES6_15HIP_vector_typeIjLj2EENS0_17counting_iteratorIjlEEPS9_SG_NS0_5tupleIJPjSI_NS0_16reverse_iteratorISI_EEEEENSH_IJSG_SG_SG_EEES9_SI_JZNS1_25segmented_radix_sort_implINS0_14default_configELb0EPKhPhPKlPlN2at6native12_GLOBAL__N_18offset_tEEE10hipError_tPvRmT1_PNSt15iterator_traitsIS12_E10value_typeET2_T3_PNS13_IS18_E10value_typeET4_jRbjT5_S1E_jjP12ihipStream_tbEUljE_ZNSN_ISO_Lb0ESQ_SR_ST_SU_SY_EESZ_S10_S11_S12_S16_S17_S18_S1B_S1C_jS1D_jS1E_S1E_jjS1G_bEUljE0_EEESZ_S10_S11_S18_S1C_S1E_T6_T7_T9_mT8_S1G_bDpT10_ENKUlT_T0_E_clISt17integral_constantIbLb1EES1T_IbLb0EEEEDaS1P_S1Q_EUlS1P_E_NS1_11comp_targetILNS1_3genE4ELNS1_11target_archE910ELNS1_3gpuE8ELNS1_3repE0EEENS1_30default_config_static_selectorELNS0_4arch9wavefront6targetE1EEEvS12_,comdat
	.globl	_ZN7rocprim17ROCPRIM_400000_NS6detail17trampoline_kernelINS0_13select_configILj256ELj13ELNS0_17block_load_methodE3ELS4_3ELS4_3ELNS0_20block_scan_algorithmE0ELj4294967295EEENS1_25partition_config_selectorILNS1_17partition_subalgoE4EjNS0_10empty_typeEbEEZZNS1_14partition_implILS8_4ELb0ES6_15HIP_vector_typeIjLj2EENS0_17counting_iteratorIjlEEPS9_SG_NS0_5tupleIJPjSI_NS0_16reverse_iteratorISI_EEEEENSH_IJSG_SG_SG_EEES9_SI_JZNS1_25segmented_radix_sort_implINS0_14default_configELb0EPKhPhPKlPlN2at6native12_GLOBAL__N_18offset_tEEE10hipError_tPvRmT1_PNSt15iterator_traitsIS12_E10value_typeET2_T3_PNS13_IS18_E10value_typeET4_jRbjT5_S1E_jjP12ihipStream_tbEUljE_ZNSN_ISO_Lb0ESQ_SR_ST_SU_SY_EESZ_S10_S11_S12_S16_S17_S18_S1B_S1C_jS1D_jS1E_S1E_jjS1G_bEUljE0_EEESZ_S10_S11_S18_S1C_S1E_T6_T7_T9_mT8_S1G_bDpT10_ENKUlT_T0_E_clISt17integral_constantIbLb1EES1T_IbLb0EEEEDaS1P_S1Q_EUlS1P_E_NS1_11comp_targetILNS1_3genE4ELNS1_11target_archE910ELNS1_3gpuE8ELNS1_3repE0EEENS1_30default_config_static_selectorELNS0_4arch9wavefront6targetE1EEEvS12_ ; -- Begin function _ZN7rocprim17ROCPRIM_400000_NS6detail17trampoline_kernelINS0_13select_configILj256ELj13ELNS0_17block_load_methodE3ELS4_3ELS4_3ELNS0_20block_scan_algorithmE0ELj4294967295EEENS1_25partition_config_selectorILNS1_17partition_subalgoE4EjNS0_10empty_typeEbEEZZNS1_14partition_implILS8_4ELb0ES6_15HIP_vector_typeIjLj2EENS0_17counting_iteratorIjlEEPS9_SG_NS0_5tupleIJPjSI_NS0_16reverse_iteratorISI_EEEEENSH_IJSG_SG_SG_EEES9_SI_JZNS1_25segmented_radix_sort_implINS0_14default_configELb0EPKhPhPKlPlN2at6native12_GLOBAL__N_18offset_tEEE10hipError_tPvRmT1_PNSt15iterator_traitsIS12_E10value_typeET2_T3_PNS13_IS18_E10value_typeET4_jRbjT5_S1E_jjP12ihipStream_tbEUljE_ZNSN_ISO_Lb0ESQ_SR_ST_SU_SY_EESZ_S10_S11_S12_S16_S17_S18_S1B_S1C_jS1D_jS1E_S1E_jjS1G_bEUljE0_EEESZ_S10_S11_S18_S1C_S1E_T6_T7_T9_mT8_S1G_bDpT10_ENKUlT_T0_E_clISt17integral_constantIbLb1EES1T_IbLb0EEEEDaS1P_S1Q_EUlS1P_E_NS1_11comp_targetILNS1_3genE4ELNS1_11target_archE910ELNS1_3gpuE8ELNS1_3repE0EEENS1_30default_config_static_selectorELNS0_4arch9wavefront6targetE1EEEvS12_
	.p2align	8
	.type	_ZN7rocprim17ROCPRIM_400000_NS6detail17trampoline_kernelINS0_13select_configILj256ELj13ELNS0_17block_load_methodE3ELS4_3ELS4_3ELNS0_20block_scan_algorithmE0ELj4294967295EEENS1_25partition_config_selectorILNS1_17partition_subalgoE4EjNS0_10empty_typeEbEEZZNS1_14partition_implILS8_4ELb0ES6_15HIP_vector_typeIjLj2EENS0_17counting_iteratorIjlEEPS9_SG_NS0_5tupleIJPjSI_NS0_16reverse_iteratorISI_EEEEENSH_IJSG_SG_SG_EEES9_SI_JZNS1_25segmented_radix_sort_implINS0_14default_configELb0EPKhPhPKlPlN2at6native12_GLOBAL__N_18offset_tEEE10hipError_tPvRmT1_PNSt15iterator_traitsIS12_E10value_typeET2_T3_PNS13_IS18_E10value_typeET4_jRbjT5_S1E_jjP12ihipStream_tbEUljE_ZNSN_ISO_Lb0ESQ_SR_ST_SU_SY_EESZ_S10_S11_S12_S16_S17_S18_S1B_S1C_jS1D_jS1E_S1E_jjS1G_bEUljE0_EEESZ_S10_S11_S18_S1C_S1E_T6_T7_T9_mT8_S1G_bDpT10_ENKUlT_T0_E_clISt17integral_constantIbLb1EES1T_IbLb0EEEEDaS1P_S1Q_EUlS1P_E_NS1_11comp_targetILNS1_3genE4ELNS1_11target_archE910ELNS1_3gpuE8ELNS1_3repE0EEENS1_30default_config_static_selectorELNS0_4arch9wavefront6targetE1EEEvS12_,@function
_ZN7rocprim17ROCPRIM_400000_NS6detail17trampoline_kernelINS0_13select_configILj256ELj13ELNS0_17block_load_methodE3ELS4_3ELS4_3ELNS0_20block_scan_algorithmE0ELj4294967295EEENS1_25partition_config_selectorILNS1_17partition_subalgoE4EjNS0_10empty_typeEbEEZZNS1_14partition_implILS8_4ELb0ES6_15HIP_vector_typeIjLj2EENS0_17counting_iteratorIjlEEPS9_SG_NS0_5tupleIJPjSI_NS0_16reverse_iteratorISI_EEEEENSH_IJSG_SG_SG_EEES9_SI_JZNS1_25segmented_radix_sort_implINS0_14default_configELb0EPKhPhPKlPlN2at6native12_GLOBAL__N_18offset_tEEE10hipError_tPvRmT1_PNSt15iterator_traitsIS12_E10value_typeET2_T3_PNS13_IS18_E10value_typeET4_jRbjT5_S1E_jjP12ihipStream_tbEUljE_ZNSN_ISO_Lb0ESQ_SR_ST_SU_SY_EESZ_S10_S11_S12_S16_S17_S18_S1B_S1C_jS1D_jS1E_S1E_jjS1G_bEUljE0_EEESZ_S10_S11_S18_S1C_S1E_T6_T7_T9_mT8_S1G_bDpT10_ENKUlT_T0_E_clISt17integral_constantIbLb1EES1T_IbLb0EEEEDaS1P_S1Q_EUlS1P_E_NS1_11comp_targetILNS1_3genE4ELNS1_11target_archE910ELNS1_3gpuE8ELNS1_3repE0EEENS1_30default_config_static_selectorELNS0_4arch9wavefront6targetE1EEEvS12_: ; @_ZN7rocprim17ROCPRIM_400000_NS6detail17trampoline_kernelINS0_13select_configILj256ELj13ELNS0_17block_load_methodE3ELS4_3ELS4_3ELNS0_20block_scan_algorithmE0ELj4294967295EEENS1_25partition_config_selectorILNS1_17partition_subalgoE4EjNS0_10empty_typeEbEEZZNS1_14partition_implILS8_4ELb0ES6_15HIP_vector_typeIjLj2EENS0_17counting_iteratorIjlEEPS9_SG_NS0_5tupleIJPjSI_NS0_16reverse_iteratorISI_EEEEENSH_IJSG_SG_SG_EEES9_SI_JZNS1_25segmented_radix_sort_implINS0_14default_configELb0EPKhPhPKlPlN2at6native12_GLOBAL__N_18offset_tEEE10hipError_tPvRmT1_PNSt15iterator_traitsIS12_E10value_typeET2_T3_PNS13_IS18_E10value_typeET4_jRbjT5_S1E_jjP12ihipStream_tbEUljE_ZNSN_ISO_Lb0ESQ_SR_ST_SU_SY_EESZ_S10_S11_S12_S16_S17_S18_S1B_S1C_jS1D_jS1E_S1E_jjS1G_bEUljE0_EEESZ_S10_S11_S18_S1C_S1E_T6_T7_T9_mT8_S1G_bDpT10_ENKUlT_T0_E_clISt17integral_constantIbLb1EES1T_IbLb0EEEEDaS1P_S1Q_EUlS1P_E_NS1_11comp_targetILNS1_3genE4ELNS1_11target_archE910ELNS1_3gpuE8ELNS1_3repE0EEENS1_30default_config_static_selectorELNS0_4arch9wavefront6targetE1EEEvS12_
; %bb.0:
	s_load_dwordx2 s[0:1], s[4:5], 0x68
	s_load_dword s7, s[4:5], 0x8
	s_load_dwordx2 s[56:57], s[4:5], 0x10
	s_load_dwordx4 s[44:47], s[4:5], 0x58
	s_mul_i32 s33, s6, 0xd00
	s_waitcnt lgkmcnt(0)
	v_mov_b32_e32 v3, s1
	v_mov_b32_e32 v2, s0
	s_load_dword s1, s[4:5], 0x80
	s_load_dwordx2 s[60:61], s[4:5], 0xa8
	s_load_dwordx8 s[36:43], s[4:5], 0x88
	s_load_dwordx4 s[48:51], s[46:47], 0x0
	s_waitcnt lgkmcnt(0)
	s_add_i32 s8, s1, -1
	s_mulk_i32 s1, 0xd00
	s_add_u32 s2, s56, s1
	s_addc_u32 s3, s57, 0
	s_cmp_eq_u32 s6, s8
	s_cselect_b64 s[30:31], -1, 0
	s_cmp_lg_u32 s6, s8
	v_cmp_lt_u64_e32 vcc, s[2:3], v[2:3]
	s_cselect_b64 s[2:3], -1, 0
	s_add_i32 s7, s7, s33
	s_or_b64 s[2:3], s[2:3], vcc
	s_add_i32 s7, s7, s56
	v_add_u32_e32 v1, s7, v0
	s_mov_b64 s[8:9], -1
	s_and_b64 vcc, exec, s[2:3]
	s_cbranch_vccz .LBB140_2
; %bb.1:
	v_add_u32_e32 v2, 0x100, v1
	v_lshlrev_b32_e32 v14, 2, v0
	v_add_u32_e32 v3, 0x200, v1
	v_add_u32_e32 v4, 0x300, v1
	;; [unrolled: 1-line block ×11, first 2 shown]
	ds_write2st64_b32 v14, v1, v2 offset1:4
	ds_write2st64_b32 v14, v3, v4 offset0:8 offset1:12
	ds_write2st64_b32 v14, v5, v6 offset0:16 offset1:20
	;; [unrolled: 1-line block ×5, first 2 shown]
	ds_write_b32 v14, v13 offset:12288
	s_waitcnt lgkmcnt(0)
	s_barrier
	s_mov_b64 s[8:9], 0
.LBB140_2:
	s_andn2_b64 vcc, exec, s[8:9]
	s_add_i32 s1, s1, s56
	s_cbranch_vccnz .LBB140_4
; %bb.3:
	v_add_u32_e32 v2, 0x100, v1
	v_lshlrev_b32_e32 v14, 2, v0
	v_add_u32_e32 v3, 0x200, v1
	v_add_u32_e32 v4, 0x300, v1
	;; [unrolled: 1-line block ×11, first 2 shown]
	ds_write2st64_b32 v14, v1, v2 offset1:4
	ds_write2st64_b32 v14, v3, v4 offset0:8 offset1:12
	ds_write2st64_b32 v14, v5, v6 offset0:16 offset1:20
	;; [unrolled: 1-line block ×5, first 2 shown]
	ds_write_b32 v14, v13 offset:12288
	s_waitcnt lgkmcnt(0)
	s_barrier
.LBB140_4:
	v_mul_u32_u24_e32 v31, 13, v0
	v_lshlrev_b32_e32 v1, 2, v31
	s_load_dwordx4 s[52:55], s[4:5], 0x28
	s_load_dwordx2 s[34:35], s[4:5], 0x38
	s_waitcnt lgkmcnt(0)
	ds_read2_b32 v[18:19], v1 offset1:1
	ds_read2_b32 v[16:17], v1 offset0:2 offset1:3
	ds_read2_b32 v[14:15], v1 offset0:4 offset1:5
	;; [unrolled: 1-line block ×5, first 2 shown]
	ds_read_b32 v30, v1 offset:48
	v_cndmask_b32_e64 v1, 0, 1, s[2:3]
	s_sub_i32 s7, s0, s1
	v_cmp_ne_u32_e64 s[0:1], 1, v1
	s_andn2_b64 vcc, exec, s[2:3]
	s_waitcnt lgkmcnt(0)
	s_barrier
	s_cbranch_vccnz .LBB140_32
; %bb.5:
	v_add_u32_e32 v1, s37, v18
	v_add_u32_e32 v2, s39, v18
	v_mul_lo_u32 v1, v1, s36
	v_mul_lo_u32 v2, v2, s38
	v_sub_u32_e32 v1, v1, v2
	v_cmp_lt_u32_e32 vcc, s40, v1
	v_cmp_ge_u32_e64 s[2:3], s40, v1
	s_mov_b64 s[64:65], 0
	s_mov_b64 s[62:63], 0
	s_and_saveexec_b64 s[8:9], s[2:3]
; %bb.6:
	v_add_u32_e32 v1, s42, v18
	v_add_u32_e32 v2, s60, v18
	v_mul_lo_u32 v1, v1, s41
	v_mul_lo_u32 v2, v2, s43
	v_sub_u32_e32 v1, v1, v2
	v_cmp_lt_u32_e64 s[2:3], s61, v1
	s_and_b64 s[62:63], s[2:3], exec
; %bb.7:
	s_or_b64 exec, exec, s[8:9]
	v_add_u32_e32 v1, s37, v19
	v_add_u32_e32 v2, s39, v19
	v_mul_lo_u32 v1, v1, s36
	v_mul_lo_u32 v2, v2, s38
	v_sub_u32_e32 v1, v1, v2
	v_cmp_lt_u32_e64 s[2:3], s40, v1
	v_cmp_ge_u32_e64 s[8:9], s40, v1
	s_and_saveexec_b64 s[10:11], s[8:9]
; %bb.8:
	v_add_u32_e32 v1, s42, v19
	v_add_u32_e32 v2, s60, v19
	v_mul_lo_u32 v1, v1, s41
	v_mul_lo_u32 v2, v2, s43
	v_sub_u32_e32 v1, v1, v2
	v_cmp_lt_u32_e64 s[8:9], s61, v1
	s_and_b64 s[64:65], s[8:9], exec
; %bb.9:
	s_or_b64 exec, exec, s[10:11]
	v_add_u32_e32 v1, s37, v16
	v_add_u32_e32 v2, s39, v16
	v_mul_lo_u32 v1, v1, s36
	v_mul_lo_u32 v2, v2, s38
	v_sub_u32_e32 v1, v1, v2
	v_cmp_lt_u32_e64 s[26:27], s40, v1
	v_cmp_ge_u32_e64 s[8:9], s40, v1
	s_mov_b64 s[68:69], 0
	s_mov_b64 s[66:67], 0
	s_and_saveexec_b64 s[10:11], s[8:9]
; %bb.10:
	v_add_u32_e32 v1, s42, v16
	v_add_u32_e32 v2, s60, v16
	v_mul_lo_u32 v1, v1, s41
	v_mul_lo_u32 v2, v2, s43
	v_sub_u32_e32 v1, v1, v2
	v_cmp_lt_u32_e64 s[8:9], s61, v1
	s_and_b64 s[66:67], s[8:9], exec
; %bb.11:
	s_or_b64 exec, exec, s[10:11]
	v_add_u32_e32 v1, s37, v17
	v_add_u32_e32 v2, s39, v17
	v_mul_lo_u32 v1, v1, s36
	v_mul_lo_u32 v2, v2, s38
	v_sub_u32_e32 v1, v1, v2
	v_cmp_lt_u32_e64 s[8:9], s40, v1
	v_cmp_ge_u32_e64 s[10:11], s40, v1
	s_and_saveexec_b64 s[12:13], s[10:11]
; %bb.12:
	v_add_u32_e32 v1, s42, v17
	v_add_u32_e32 v2, s60, v17
	v_mul_lo_u32 v1, v1, s41
	v_mul_lo_u32 v2, v2, s43
	v_sub_u32_e32 v1, v1, v2
	v_cmp_lt_u32_e64 s[10:11], s61, v1
	s_and_b64 s[68:69], s[10:11], exec
; %bb.13:
	s_or_b64 exec, exec, s[12:13]
	v_add_u32_e32 v1, s37, v14
	v_add_u32_e32 v2, s39, v14
	v_mul_lo_u32 v1, v1, s36
	v_mul_lo_u32 v2, v2, s38
	v_sub_u32_e32 v1, v1, v2
	v_cmp_lt_u32_e64 s[10:11], s40, v1
	;; [unrolled: 38-line block ×5, first 2 shown]
	v_cmp_ge_u32_e64 s[24:25], s40, v1
	s_mov_b64 s[84:85], 0
	s_mov_b64 s[86:87], 0
	s_and_saveexec_b64 s[28:29], s[24:25]
; %bb.26:
	v_add_u32_e32 v1, s42, v8
	v_add_u32_e32 v2, s60, v8
	v_mul_lo_u32 v1, v1, s41
	v_mul_lo_u32 v2, v2, s43
	v_sub_u32_e32 v1, v1, v2
	v_cmp_lt_u32_e64 s[24:25], s61, v1
	s_and_b64 s[86:87], s[24:25], exec
; %bb.27:
	s_or_b64 exec, exec, s[28:29]
	v_add_u32_e32 v1, s37, v9
	v_add_u32_e32 v2, s39, v9
	v_mul_lo_u32 v1, v1, s36
	v_mul_lo_u32 v2, v2, s38
	v_sub_u32_e32 v1, v1, v2
	v_cmp_lt_u32_e64 s[24:25], s40, v1
	v_cmp_ge_u32_e64 s[28:29], s40, v1
	s_and_saveexec_b64 s[46:47], s[28:29]
; %bb.28:
	v_add_u32_e32 v1, s42, v9
	v_add_u32_e32 v2, s60, v9
	v_mul_lo_u32 v1, v1, s41
	v_mul_lo_u32 v2, v2, s43
	v_sub_u32_e32 v1, v1, v2
	v_cmp_lt_u32_e64 s[28:29], s61, v1
	s_and_b64 s[84:85], s[28:29], exec
; %bb.29:
	s_or_b64 exec, exec, s[46:47]
	v_add_u32_e32 v1, s37, v30
	v_add_u32_e32 v2, s39, v30
	v_mul_lo_u32 v1, v1, s36
	v_mul_lo_u32 v2, v2, s38
	v_sub_u32_e32 v1, v1, v2
	v_cmp_ge_u32_e64 s[28:29], s40, v1
	s_mov_b64 s[46:47], -1
	s_mov_b64 s[78:79], 0
	s_mov_b64 s[58:59], 0
	s_and_saveexec_b64 s[88:89], s[28:29]
; %bb.30:
	v_add_u32_e32 v1, s42, v30
	v_add_u32_e32 v2, s60, v30
	v_mul_lo_u32 v1, v1, s41
	v_mul_lo_u32 v2, v2, s43
	v_sub_u32_e32 v1, v1, v2
	v_cmp_lt_u32_e64 s[28:29], s61, v1
	s_and_b64 s[58:59], s[28:29], exec
	s_xor_b64 s[46:47], exec, -1
; %bb.31:
	s_or_b64 exec, exec, s[88:89]
	v_cndmask_b32_e64 v52, 0, 1, s[86:87]
	v_cndmask_b32_e64 v55, 0, 1, s[24:25]
	;; [unrolled: 1-line block ×22, first 2 shown]
	v_cndmask_b32_e64 v32, 0, 1, vcc
	v_cndmask_b32_e64 v54, 0, 1, s[84:85]
	s_load_dwordx2 s[12:13], s[4:5], 0x78
	s_add_i32 s18, s7, 0xd00
	s_and_b64 vcc, exec, s[78:79]
	s_cbranch_vccnz .LBB140_33
	s_branch .LBB140_86
.LBB140_32:
                                        ; implicit-def: $sgpr46_sgpr47
                                        ; implicit-def: $sgpr58_sgpr59
                                        ; implicit-def: $vgpr54
                                        ; implicit-def: $vgpr52
                                        ; implicit-def: $vgpr50
                                        ; implicit-def: $vgpr48
                                        ; implicit-def: $vgpr46
                                        ; implicit-def: $vgpr44
                                        ; implicit-def: $vgpr42
                                        ; implicit-def: $vgpr40
                                        ; implicit-def: $vgpr38
                                        ; implicit-def: $vgpr32
                                        ; implicit-def: $vgpr34
                                        ; implicit-def: $vgpr36
                                        ; implicit-def: $vgpr39
                                        ; implicit-def: $vgpr41
                                        ; implicit-def: $vgpr43
                                        ; implicit-def: $vgpr45
                                        ; implicit-def: $vgpr47
                                        ; implicit-def: $vgpr49
                                        ; implicit-def: $vgpr51
                                        ; implicit-def: $vgpr53
                                        ; implicit-def: $vgpr55
                                        ; implicit-def: $vgpr33
                                        ; implicit-def: $vgpr35
                                        ; implicit-def: $vgpr37
	s_load_dwordx2 s[12:13], s[4:5], 0x78
	s_add_i32 s18, s7, 0xd00
	s_cbranch_execz .LBB140_86
.LBB140_33:
	v_cmp_gt_u32_e32 vcc, s18, v31
	v_mov_b32_e32 v33, 0
	v_mov_b32_e32 v32, 0
	s_and_saveexec_b64 s[4:5], vcc
	s_cbranch_execz .LBB140_37
; %bb.34:
	v_add_u32_e32 v1, s37, v18
	v_add_u32_e32 v2, s39, v18
	v_mul_lo_u32 v1, v1, s36
	v_mul_lo_u32 v2, v2, s38
	v_sub_u32_e32 v1, v1, v2
	v_cmp_lt_u32_e32 vcc, s40, v1
	v_cmp_ge_u32_e64 s[2:3], s40, v1
	s_mov_b64 s[10:11], 0
	s_and_saveexec_b64 s[8:9], s[2:3]
; %bb.35:
	v_add_u32_e32 v1, s42, v18
	v_add_u32_e32 v2, s60, v18
	v_mul_lo_u32 v1, v1, s41
	v_mul_lo_u32 v2, v2, s43
	v_sub_u32_e32 v1, v1, v2
	v_cmp_lt_u32_e64 s[2:3], s61, v1
	s_and_b64 s[10:11], s[2:3], exec
; %bb.36:
	s_or_b64 exec, exec, s[8:9]
	v_cndmask_b32_e64 v32, 0, 1, vcc
	v_cndmask_b32_e64 v33, 0, 1, s[10:11]
.LBB140_37:
	s_or_b64 exec, exec, s[4:5]
	v_add_u32_e32 v1, 1, v31
	v_cmp_gt_u32_e32 vcc, s18, v1
	v_mov_b32_e32 v34, 0
	v_mov_b32_e32 v35, 0
	s_and_saveexec_b64 s[4:5], vcc
	s_cbranch_execz .LBB140_41
; %bb.38:
	v_add_u32_e32 v1, s37, v19
	v_add_u32_e32 v2, s39, v19
	v_mul_lo_u32 v1, v1, s36
	v_mul_lo_u32 v2, v2, s38
	v_sub_u32_e32 v1, v1, v2
	v_cmp_lt_u32_e32 vcc, s40, v1
	v_cmp_ge_u32_e64 s[2:3], s40, v1
	s_mov_b64 s[10:11], 0
	s_and_saveexec_b64 s[8:9], s[2:3]
; %bb.39:
	v_add_u32_e32 v1, s42, v19
	v_add_u32_e32 v2, s60, v19
	v_mul_lo_u32 v1, v1, s41
	v_mul_lo_u32 v2, v2, s43
	v_sub_u32_e32 v1, v1, v2
	v_cmp_lt_u32_e64 s[2:3], s61, v1
	s_and_b64 s[10:11], s[2:3], exec
; %bb.40:
	s_or_b64 exec, exec, s[8:9]
	v_cndmask_b32_e64 v34, 0, 1, vcc
	v_cndmask_b32_e64 v35, 0, 1, s[10:11]
.LBB140_41:
	s_or_b64 exec, exec, s[4:5]
	v_add_u32_e32 v1, 2, v31
	;; [unrolled: 30-line block ×12, first 2 shown]
	v_cmp_gt_u32_e32 vcc, s18, v1
	s_mov_b64 s[46:47], 0
	s_mov_b64 s[58:59], 0
	s_and_saveexec_b64 s[2:3], vcc
	s_cbranch_execz .LBB140_85
; %bb.82:
	v_add_u32_e32 v1, s37, v30
	v_add_u32_e32 v2, s39, v30
	v_mul_lo_u32 v1, v1, s36
	v_mul_lo_u32 v2, v2, s38
	v_sub_u32_e32 v1, v1, v2
	v_cmp_ge_u32_e32 vcc, s40, v1
	s_mov_b64 s[8:9], -1
	s_mov_b64 s[10:11], 0
	s_and_saveexec_b64 s[4:5], vcc
; %bb.83:
	v_add_u32_e32 v1, s42, v30
	v_add_u32_e32 v2, s60, v30
	v_mul_lo_u32 v1, v1, s41
	v_mul_lo_u32 v2, v2, s43
	v_sub_u32_e32 v1, v1, v2
	v_cmp_lt_u32_e32 vcc, s61, v1
	s_and_b64 s[10:11], vcc, exec
	s_xor_b64 s[8:9], exec, -1
; %bb.84:
	s_or_b64 exec, exec, s[4:5]
	s_and_b64 s[58:59], s[10:11], exec
	s_and_b64 s[46:47], s[8:9], exec
.LBB140_85:
	s_or_b64 exec, exec, s[2:3]
.LBB140_86:
	v_and_b32_e32 v63, 0xff, v33
	v_and_b32_e32 v74, 0xff, v35
	;; [unrolled: 1-line block ×5, first 2 shown]
	v_add3_u32 v2, v74, v65, v63
	v_and_b32_e32 v76, 0xff, v42
	v_and_b32_e32 v69, 0xff, v44
	v_add3_u32 v2, v2, v75, v67
	v_and_b32_e32 v62, 0xff, v32
	v_and_b32_e32 v56, 0xff, v34
	;; [unrolled: 1-line block ×5, first 2 shown]
	v_add3_u32 v2, v2, v76, v69
	v_and_b32_e32 v57, 0xff, v39
	v_and_b32_e32 v66, 0xff, v41
	v_and_b32_e32 v78, 0xff, v50
	v_and_b32_e32 v73, 0xff, v52
	v_add3_u32 v3, v56, v64, v62
	v_add3_u32 v2, v2, v77, v71
	v_and_b32_e32 v58, 0xff, v43
	v_and_b32_e32 v68, 0xff, v45
	v_and_b32_e32 v79, 0xff, v54
	v_cndmask_b32_e64 v1, 0, 1, s[58:59]
	v_add3_u32 v3, v3, v57, v66
	v_add3_u32 v2, v2, v78, v73
	v_and_b32_e32 v59, 0xff, v47
	v_and_b32_e32 v70, 0xff, v49
	v_add3_u32 v3, v3, v58, v68
	v_add3_u32 v86, v2, v79, v1
	v_mbcnt_lo_u32_b32 v1, -1, 0
	v_and_b32_e32 v60, 0xff, v51
	v_and_b32_e32 v72, 0xff, v53
	v_add3_u32 v3, v3, v59, v70
	v_mbcnt_hi_u32_b32 v80, -1, v1
	v_and_b32_e32 v61, 0xff, v55
	v_add3_u32 v3, v3, v60, v72
	v_cndmask_b32_e64 v4, 0, 1, s[46:47]
	v_and_b32_e32 v84, 15, v80
	s_cmp_lg_u32 s6, 0
	v_add3_u32 v85, v3, v61, v4
	v_cmp_eq_u32_e64 s[4:5], 0, v84
	v_cmp_lt_u32_e64 s[2:3], 1, v84
	v_cmp_lt_u32_e64 s[8:9], 3, v84
	;; [unrolled: 1-line block ×3, first 2 shown]
	v_and_b32_e32 v83, 16, v80
	v_cmp_lt_u32_e32 vcc, 31, v80
	v_lshrrev_b32_e32 v81, 6, v0
	v_or_b32_e32 v82, 63, v0
	s_cbranch_scc0 .LBB140_119
; %bb.87:
	v_mov_b32_dpp v1, v85 row_shr:1 row_mask:0xf bank_mask:0xf
	v_mov_b32_dpp v2, v86 row_shr:1 row_mask:0xf bank_mask:0xf
	v_add_u32_e32 v1, v1, v85
	v_add_u32_e32 v2, v2, v86
	v_cndmask_b32_e64 v2, v2, v86, s[4:5]
	v_cndmask_b32_e64 v1, v1, v85, s[4:5]
	s_nop 0
	v_mov_b32_dpp v4, v2 row_shr:2 row_mask:0xf bank_mask:0xf
	v_mov_b32_dpp v3, v1 row_shr:2 row_mask:0xf bank_mask:0xf
	v_add_u32_e32 v3, v1, v3
	v_add_u32_e32 v4, v2, v4
	v_cndmask_b32_e64 v2, v2, v4, s[2:3]
	v_cndmask_b32_e64 v1, v1, v3, s[2:3]
	s_nop 0
	v_mov_b32_dpp v4, v2 row_shr:4 row_mask:0xf bank_mask:0xf
	v_mov_b32_dpp v3, v1 row_shr:4 row_mask:0xf bank_mask:0xf
	v_add_u32_e32 v3, v1, v3
	v_add_u32_e32 v4, v2, v4
	v_cndmask_b32_e64 v2, v2, v4, s[8:9]
	v_cndmask_b32_e64 v1, v1, v3, s[8:9]
	v_cmp_eq_u32_e64 s[8:9], 0, v83
	v_mov_b32_dpp v4, v2 row_shr:8 row_mask:0xf bank_mask:0xf
	v_mov_b32_dpp v3, v1 row_shr:8 row_mask:0xf bank_mask:0xf
	v_add_u32_e32 v3, v1, v3
	v_add_u32_e32 v4, v2, v4
	v_cndmask_b32_e64 v2, v2, v4, s[10:11]
	v_cndmask_b32_e64 v1, v1, v3, s[10:11]
	s_nop 0
	v_mov_b32_dpp v4, v2 row_bcast:15 row_mask:0xf bank_mask:0xf
	v_mov_b32_dpp v3, v1 row_bcast:15 row_mask:0xf bank_mask:0xf
	v_add_u32_e32 v3, v1, v3
	v_add_u32_e32 v4, v2, v4
	v_cndmask_b32_e64 v2, v4, v2, s[8:9]
	v_cndmask_b32_e64 v1, v3, v1, s[8:9]
	s_nop 0
	v_mov_b32_dpp v4, v2 row_bcast:31 row_mask:0xf bank_mask:0xf
	v_mov_b32_dpp v3, v1 row_bcast:31 row_mask:0xf bank_mask:0xf
	v_add_u32_e32 v4, v2, v4
	v_add_u32_e32 v5, v1, v3
	v_cndmask_b32_e32 v3, v2, v4, vcc
	v_cndmask_b32_e32 v2, v1, v5, vcc
	v_cmp_eq_u32_e32 vcc, v82, v0
	s_and_saveexec_b64 s[8:9], vcc
	s_cbranch_execz .LBB140_89
; %bb.88:
	v_lshlrev_b32_e32 v1, 3, v81
	ds_write_b64 v1, v[2:3]
.LBB140_89:
	s_or_b64 exec, exec, s[8:9]
	v_cmp_gt_u32_e32 vcc, 4, v0
	s_waitcnt lgkmcnt(0)
	s_barrier
	s_and_saveexec_b64 s[8:9], vcc
	s_cbranch_execz .LBB140_91
; %bb.90:
	v_lshlrev_b32_e32 v1, 3, v0
	ds_read_b64 v[4:5], v1
	v_and_b32_e32 v6, 3, v80
	v_cmp_eq_u32_e32 vcc, 0, v6
	s_waitcnt lgkmcnt(0)
	v_mov_b32_dpp v7, v4 row_shr:1 row_mask:0xf bank_mask:0xf
	v_mov_b32_dpp v20, v5 row_shr:1 row_mask:0xf bank_mask:0xf
	v_add_u32_e32 v7, v7, v4
	v_add_u32_e32 v20, v20, v5
	v_cndmask_b32_e32 v5, v20, v5, vcc
	v_cndmask_b32_e32 v4, v7, v4, vcc
	v_cmp_lt_u32_e32 vcc, 1, v6
	v_mov_b32_dpp v20, v5 row_shr:2 row_mask:0xf bank_mask:0xf
	v_mov_b32_dpp v7, v4 row_shr:2 row_mask:0xf bank_mask:0xf
	v_cndmask_b32_e32 v6, 0, v7, vcc
	v_cndmask_b32_e32 v7, 0, v20, vcc
	v_add_u32_e32 v5, v7, v5
	v_add_u32_e32 v4, v6, v4
	ds_write_b64 v1, v[4:5]
.LBB140_91:
	s_or_b64 exec, exec, s[8:9]
	v_cmp_gt_u32_e32 vcc, 64, v0
	v_cmp_lt_u32_e64 s[8:9], 63, v0
	s_waitcnt lgkmcnt(0)
	s_barrier
	s_waitcnt lgkmcnt(0)
                                        ; implicit-def: $vgpr21
	s_and_saveexec_b64 s[10:11], s[8:9]
	s_xor_b64 s[8:9], exec, s[10:11]
	s_cbranch_execz .LBB140_93
; %bb.92:
	v_lshl_add_u32 v1, v81, 3, -8
	ds_read_b64 v[20:21], v1
	s_waitcnt lgkmcnt(0)
	v_add_u32_e32 v3, v21, v3
	v_add_u32_e32 v2, v20, v2
.LBB140_93:
	s_andn2_saveexec_b64 s[8:9], s[8:9]
; %bb.94:
                                        ; implicit-def: $vgpr20
; %bb.95:
	s_or_b64 exec, exec, s[8:9]
	v_add_u32_e32 v1, -1, v80
	v_and_b32_e32 v4, 64, v80
	v_cmp_lt_i32_e64 s[8:9], v1, v4
	v_cndmask_b32_e64 v1, v1, v80, s[8:9]
	v_lshlrev_b32_e32 v4, 2, v1
	ds_bpermute_b32 v1, v4, v2
	ds_bpermute_b32 v87, v4, v3
	v_cmp_eq_u32_e64 s[8:9], 0, v80
	s_and_saveexec_b64 s[10:11], vcc
	s_cbranch_execz .LBB140_118
; %bb.96:
	v_mov_b32_e32 v7, 0
	ds_read_b64 v[22:23], v7 offset:24
	s_and_saveexec_b64 s[14:15], s[8:9]
	s_cbranch_execz .LBB140_98
; %bb.97:
	s_add_i32 s16, s6, 64
	s_mov_b32 s17, 0
	s_lshl_b64 s[16:17], s[16:17], 4
	s_waitcnt lgkmcnt(0)
	v_and_b32_e32 v2, 0xff000000, v23
	v_and_b32_e32 v3, 0xff0000, v23
	s_add_u32 s16, s12, s16
	v_or_b32_e32 v2, v3, v2
	v_and_b32_e32 v3, 0xff00, v23
	s_addc_u32 s17, s13, s17
	v_or_b32_e32 v2, v2, v3
	v_or_b32_sdwa v5, v2, v23 dst_sel:DWORD dst_unused:UNUSED_PAD src0_sel:DWORD src1_sel:BYTE_0
	v_mov_b32_e32 v6, 1
	v_mov_b32_e32 v4, v22
	v_pk_mov_b32 v[2:3], s[16:17], s[16:17] op_sel:[0,1]
	;;#ASMSTART
	global_store_dwordx4 v[2:3], v[4:7] off	
s_waitcnt vmcnt(0)
	;;#ASMEND
.LBB140_98:
	s_or_b64 exec, exec, s[14:15]
	v_xad_u32 v24, v80, -1, s6
	v_add_u32_e32 v6, 64, v24
	v_lshlrev_b64 v[2:3], 4, v[6:7]
	v_mov_b32_e32 v4, s13
	v_add_co_u32_e32 v26, vcc, s12, v2
	v_addc_co_u32_e32 v27, vcc, v4, v3, vcc
	;;#ASMSTART
	global_load_dwordx4 v[2:5], v[26:27] off glc	
s_waitcnt vmcnt(0)
	;;#ASMEND
	v_and_b32_e32 v5, 0xff, v3
	v_and_b32_e32 v6, 0xff00, v3
	v_or3_b32 v5, 0, v5, v6
	v_or3_b32 v2, v2, 0, 0
	v_and_b32_e32 v6, 0xff000000, v3
	v_and_b32_e32 v3, 0xff0000, v3
	v_or3_b32 v3, v5, v3, v6
	v_or3_b32 v2, v2, 0, 0
	v_cmp_eq_u16_sdwa s[16:17], v4, v7 src0_sel:BYTE_0 src1_sel:DWORD
	s_and_saveexec_b64 s[14:15], s[16:17]
	s_cbranch_execz .LBB140_104
; %bb.99:
	s_mov_b32 s7, 1
	s_mov_b64 s[16:17], 0
	v_mov_b32_e32 v6, 0
.LBB140_100:                            ; =>This Loop Header: Depth=1
                                        ;     Child Loop BB140_101 Depth 2
	s_max_u32 s19, s7, 1
.LBB140_101:                            ;   Parent Loop BB140_100 Depth=1
                                        ; =>  This Inner Loop Header: Depth=2
	s_add_i32 s19, s19, -1
	s_cmp_eq_u32 s19, 0
	s_sleep 1
	s_cbranch_scc0 .LBB140_101
; %bb.102:                              ;   in Loop: Header=BB140_100 Depth=1
	s_cmp_lt_u32 s7, 32
	s_cselect_b64 s[20:21], -1, 0
	s_cmp_lg_u64 s[20:21], 0
	s_addc_u32 s7, s7, 0
	;;#ASMSTART
	global_load_dwordx4 v[2:5], v[26:27] off glc	
s_waitcnt vmcnt(0)
	;;#ASMEND
	v_cmp_ne_u16_sdwa s[20:21], v4, v6 src0_sel:BYTE_0 src1_sel:DWORD
	s_or_b64 s[16:17], s[20:21], s[16:17]
	s_andn2_b64 exec, exec, s[16:17]
	s_cbranch_execnz .LBB140_100
; %bb.103:
	s_or_b64 exec, exec, s[16:17]
.LBB140_104:
	s_or_b64 exec, exec, s[14:15]
	v_and_b32_e32 v89, 63, v80
	v_cmp_ne_u32_e32 vcc, 63, v89
	v_mov_b32_e32 v88, 2
	v_addc_co_u32_e32 v26, vcc, 0, v80, vcc
	v_cmp_eq_u16_sdwa s[14:15], v4, v88 src0_sel:BYTE_0 src1_sel:DWORD
	v_lshlrev_b64 v[6:7], v80, -1
	v_lshlrev_b32_e32 v90, 2, v26
	v_and_b32_e32 v5, s15, v7
	ds_bpermute_b32 v26, v90, v2
	ds_bpermute_b32 v27, v90, v3
	v_or_b32_e32 v5, 0x80000000, v5
	v_and_b32_e32 v25, s14, v6
	v_ffbl_b32_e32 v5, v5
	v_add_u32_e32 v5, 32, v5
	v_ffbl_b32_e32 v25, v25
	v_min_u32_e32 v5, v25, v5
	s_waitcnt lgkmcnt(1)
	v_add_u32_e32 v25, v26, v2
	s_waitcnt lgkmcnt(0)
	v_add_u32_e32 v26, v27, v3
	v_cmp_lt_u32_e32 vcc, v89, v5
	v_cndmask_b32_e32 v3, v3, v26, vcc
	v_cndmask_b32_e32 v2, v2, v25, vcc
	v_cmp_gt_u32_e32 vcc, 62, v89
	v_cndmask_b32_e64 v25, 0, 1, vcc
	v_lshlrev_b32_e32 v25, 1, v25
	v_add_lshl_u32 v91, v25, v80, 2
	ds_bpermute_b32 v25, v91, v2
	ds_bpermute_b32 v26, v91, v3
	v_add_u32_e32 v92, 2, v89
	v_cmp_gt_u32_e32 vcc, v92, v5
	v_add_u32_e32 v94, 4, v89
	s_waitcnt lgkmcnt(1)
	v_add_u32_e32 v25, v2, v25
	s_waitcnt lgkmcnt(0)
	v_add_u32_e32 v26, v3, v26
	v_cndmask_b32_e32 v3, v26, v3, vcc
	v_cndmask_b32_e32 v2, v25, v2, vcc
	v_cmp_gt_u32_e32 vcc, 60, v89
	v_cndmask_b32_e64 v25, 0, 1, vcc
	v_lshlrev_b32_e32 v25, 2, v25
	v_add_lshl_u32 v93, v25, v80, 2
	ds_bpermute_b32 v25, v93, v2
	ds_bpermute_b32 v26, v93, v3
	v_cmp_gt_u32_e32 vcc, v94, v5
	v_add_u32_e32 v96, 8, v89
	v_add_u32_e32 v98, 16, v89
	s_waitcnt lgkmcnt(1)
	v_add_u32_e32 v25, v2, v25
	s_waitcnt lgkmcnt(0)
	v_add_u32_e32 v26, v3, v26
	v_cndmask_b32_e32 v3, v26, v3, vcc
	v_cndmask_b32_e32 v2, v25, v2, vcc
	v_cmp_gt_u32_e32 vcc, 56, v89
	v_cndmask_b32_e64 v25, 0, 1, vcc
	v_lshlrev_b32_e32 v25, 3, v25
	v_add_lshl_u32 v95, v25, v80, 2
	ds_bpermute_b32 v25, v95, v2
	ds_bpermute_b32 v26, v95, v3
	v_cmp_gt_u32_e32 vcc, v96, v5
	v_add_u32_e32 v100, 32, v89
	s_waitcnt lgkmcnt(1)
	v_add_u32_e32 v25, v2, v25
	s_waitcnt lgkmcnt(0)
	v_add_u32_e32 v26, v3, v26
	v_cndmask_b32_e32 v3, v26, v3, vcc
	v_cndmask_b32_e32 v2, v25, v2, vcc
	v_cmp_gt_u32_e32 vcc, 48, v89
	v_cndmask_b32_e64 v25, 0, 1, vcc
	v_lshlrev_b32_e32 v25, 4, v25
	v_add_lshl_u32 v97, v25, v80, 2
	ds_bpermute_b32 v25, v97, v2
	ds_bpermute_b32 v26, v97, v3
	v_cmp_gt_u32_e32 vcc, v98, v5
	s_waitcnt lgkmcnt(1)
	v_add_u32_e32 v25, v2, v25
	s_waitcnt lgkmcnt(0)
	v_add_u32_e32 v26, v3, v26
	v_cndmask_b32_e32 v3, v26, v3, vcc
	v_cndmask_b32_e32 v2, v25, v2, vcc
	v_cmp_gt_u32_e32 vcc, 32, v89
	v_cndmask_b32_e64 v25, 0, 1, vcc
	v_lshlrev_b32_e32 v25, 5, v25
	v_add_lshl_u32 v99, v25, v80, 2
	ds_bpermute_b32 v25, v99, v2
	ds_bpermute_b32 v26, v99, v3
	v_cmp_le_u32_e32 vcc, v100, v5
	s_waitcnt lgkmcnt(1)
	v_cndmask_b32_e32 v5, 0, v25, vcc
	s_waitcnt lgkmcnt(0)
	v_cndmask_b32_e32 v25, 0, v26, vcc
	v_add_u32_e32 v3, v3, v25
	v_add_u32_e32 v2, v2, v5
	v_mov_b32_e32 v25, 0
	s_branch .LBB140_106
.LBB140_105:                            ;   in Loop: Header=BB140_106 Depth=1
	s_or_b64 exec, exec, s[14:15]
	v_cmp_eq_u16_sdwa s[14:15], v4, v88 src0_sel:BYTE_0 src1_sel:DWORD
	v_and_b32_e32 v5, s15, v7
	ds_bpermute_b32 v29, v90, v2
	ds_bpermute_b32 v101, v90, v3
	v_or_b32_e32 v5, 0x80000000, v5
	v_and_b32_e32 v28, s14, v6
	v_ffbl_b32_e32 v5, v5
	v_add_u32_e32 v5, 32, v5
	v_ffbl_b32_e32 v28, v28
	v_min_u32_e32 v5, v28, v5
	s_waitcnt lgkmcnt(1)
	v_add_u32_e32 v28, v29, v2
	s_waitcnt lgkmcnt(0)
	v_add_u32_e32 v29, v101, v3
	v_cmp_lt_u32_e32 vcc, v89, v5
	v_cndmask_b32_e32 v3, v3, v29, vcc
	v_cndmask_b32_e32 v2, v2, v28, vcc
	ds_bpermute_b32 v28, v91, v2
	ds_bpermute_b32 v29, v91, v3
	v_cmp_gt_u32_e32 vcc, v92, v5
	v_subrev_u32_e32 v24, 64, v24
	s_waitcnt lgkmcnt(1)
	v_add_u32_e32 v28, v2, v28
	s_waitcnt lgkmcnt(0)
	v_add_u32_e32 v29, v3, v29
	v_cndmask_b32_e32 v3, v29, v3, vcc
	v_cndmask_b32_e32 v2, v28, v2, vcc
	ds_bpermute_b32 v28, v93, v2
	ds_bpermute_b32 v29, v93, v3
	v_cmp_gt_u32_e32 vcc, v94, v5
	s_waitcnt lgkmcnt(1)
	v_add_u32_e32 v28, v2, v28
	s_waitcnt lgkmcnt(0)
	v_add_u32_e32 v29, v3, v29
	v_cndmask_b32_e32 v3, v29, v3, vcc
	v_cndmask_b32_e32 v2, v28, v2, vcc
	ds_bpermute_b32 v28, v95, v2
	ds_bpermute_b32 v29, v95, v3
	v_cmp_gt_u32_e32 vcc, v96, v5
	;; [unrolled: 9-line block ×3, first 2 shown]
	s_waitcnt lgkmcnt(1)
	v_add_u32_e32 v28, v2, v28
	s_waitcnt lgkmcnt(0)
	v_add_u32_e32 v29, v3, v29
	v_cndmask_b32_e32 v3, v29, v3, vcc
	v_cndmask_b32_e32 v2, v28, v2, vcc
	ds_bpermute_b32 v28, v99, v2
	ds_bpermute_b32 v29, v99, v3
	v_cmp_le_u32_e32 vcc, v100, v5
	s_waitcnt lgkmcnt(1)
	v_cndmask_b32_e32 v5, 0, v28, vcc
	s_waitcnt lgkmcnt(0)
	v_cndmask_b32_e32 v28, 0, v29, vcc
	v_add3_u32 v3, v28, v27, v3
	v_add3_u32 v2, v5, v26, v2
.LBB140_106:                            ; =>This Loop Header: Depth=1
                                        ;     Child Loop BB140_109 Depth 2
                                        ;       Child Loop BB140_110 Depth 3
	v_cmp_ne_u16_sdwa s[14:15], v4, v88 src0_sel:BYTE_0 src1_sel:DWORD
	v_cndmask_b32_e64 v4, 0, 1, s[14:15]
	;;#ASMSTART
	;;#ASMEND
	v_cmp_ne_u32_e32 vcc, 0, v4
	s_cmp_lg_u64 vcc, exec
	v_pk_mov_b32 v[26:27], v[2:3], v[2:3] op_sel:[0,1]
	s_cbranch_scc1 .LBB140_113
; %bb.107:                              ;   in Loop: Header=BB140_106 Depth=1
	v_lshlrev_b64 v[2:3], 4, v[24:25]
	v_mov_b32_e32 v4, s13
	v_add_co_u32_e32 v28, vcc, s12, v2
	v_addc_co_u32_e32 v29, vcc, v4, v3, vcc
	;;#ASMSTART
	global_load_dwordx4 v[2:5], v[28:29] off glc	
s_waitcnt vmcnt(0)
	;;#ASMEND
	v_and_b32_e32 v5, 0xff, v3
	v_and_b32_e32 v101, 0xff00, v3
	v_or3_b32 v5, 0, v5, v101
	v_or3_b32 v2, v2, 0, 0
	v_and_b32_e32 v101, 0xff000000, v3
	v_and_b32_e32 v3, 0xff0000, v3
	v_or3_b32 v3, v5, v3, v101
	v_or3_b32 v2, v2, 0, 0
	v_cmp_eq_u16_sdwa s[16:17], v4, v25 src0_sel:BYTE_0 src1_sel:DWORD
	s_and_saveexec_b64 s[14:15], s[16:17]
	s_cbranch_execz .LBB140_105
; %bb.108:                              ;   in Loop: Header=BB140_106 Depth=1
	s_mov_b32 s7, 1
	s_mov_b64 s[16:17], 0
.LBB140_109:                            ;   Parent Loop BB140_106 Depth=1
                                        ; =>  This Loop Header: Depth=2
                                        ;       Child Loop BB140_110 Depth 3
	s_max_u32 s19, s7, 1
.LBB140_110:                            ;   Parent Loop BB140_106 Depth=1
                                        ;     Parent Loop BB140_109 Depth=2
                                        ; =>    This Inner Loop Header: Depth=3
	s_add_i32 s19, s19, -1
	s_cmp_eq_u32 s19, 0
	s_sleep 1
	s_cbranch_scc0 .LBB140_110
; %bb.111:                              ;   in Loop: Header=BB140_109 Depth=2
	s_cmp_lt_u32 s7, 32
	s_cselect_b64 s[20:21], -1, 0
	s_cmp_lg_u64 s[20:21], 0
	s_addc_u32 s7, s7, 0
	;;#ASMSTART
	global_load_dwordx4 v[2:5], v[28:29] off glc	
s_waitcnt vmcnt(0)
	;;#ASMEND
	v_cmp_ne_u16_sdwa s[20:21], v4, v25 src0_sel:BYTE_0 src1_sel:DWORD
	s_or_b64 s[16:17], s[20:21], s[16:17]
	s_andn2_b64 exec, exec, s[16:17]
	s_cbranch_execnz .LBB140_109
; %bb.112:                              ;   in Loop: Header=BB140_106 Depth=1
	s_or_b64 exec, exec, s[16:17]
	s_branch .LBB140_105
.LBB140_113:                            ;   in Loop: Header=BB140_106 Depth=1
                                        ; implicit-def: $vgpr4
                                        ; implicit-def: $vgpr2_vgpr3
	s_cbranch_execz .LBB140_106
; %bb.114:
	s_and_saveexec_b64 s[14:15], s[8:9]
	s_cbranch_execz .LBB140_116
; %bb.115:
	s_add_i32 s6, s6, 64
	s_mov_b32 s7, 0
	v_add_u32_e32 v3, v27, v23
	s_lshl_b64 s[6:7], s[6:7], 4
	s_add_u32 s6, s12, s6
	v_and_b32_e32 v4, 0xff000000, v3
	v_and_b32_e32 v6, 0xff0000, v3
	s_addc_u32 s7, s13, s7
	v_or_b32_e32 v4, v6, v4
	v_and_b32_e32 v6, 0xff00, v3
	v_and_b32_e32 v3, 0xff, v3
	v_add_u32_e32 v2, v26, v22
	v_mov_b32_e32 v5, 0
	v_or3_b32 v3, v4, v6, v3
	v_mov_b32_e32 v4, 2
	v_pk_mov_b32 v[6:7], s[6:7], s[6:7] op_sel:[0,1]
	;;#ASMSTART
	global_store_dwordx4 v[6:7], v[2:5] off	
s_waitcnt vmcnt(0)
	;;#ASMEND
	s_movk_i32 s6, 0x3400
	v_add_u32_e64 v2, s6, 0
	ds_write2_b32 v2, v22, v23 offset1:2
	ds_write2_b32 v2, v26, v27 offset0:4 offset1:6
.LBB140_116:
	s_or_b64 exec, exec, s[14:15]
	v_cmp_eq_u32_e32 vcc, 0, v0
	s_and_b64 exec, exec, vcc
	s_cbranch_execz .LBB140_118
; %bb.117:
	v_mov_b32_e32 v2, 0
	ds_write_b64 v2, v[26:27] offset:24
.LBB140_118:
	s_or_b64 exec, exec, s[10:11]
	v_mov_b32_e32 v2, 0
	s_waitcnt lgkmcnt(0)
	s_barrier
	ds_read_b64 v[6:7], v2 offset:24
	s_movk_i32 s6, 0x3400
	v_cndmask_b32_e64 v2, v87, v21, s[8:9]
	v_cndmask_b32_e64 v1, v1, v20, s[8:9]
	v_add_u32_e64 v4, s6, 0
	s_waitcnt lgkmcnt(0)
	v_add_u32_e32 v20, v6, v1
	v_add_u32_e32 v1, v7, v2
	s_barrier
	ds_read2_b32 v[2:3], v4 offset1:2
	ds_read2_b32 v[4:5], v4 offset0:4 offset1:6
	v_cmp_eq_u32_e32 vcc, 0, v0
	v_cndmask_b32_e32 v1, v1, v7, vcc
	v_cndmask_b32_e32 v20, v20, v6, vcc
	s_branch .LBB140_129
.LBB140_119:
                                        ; implicit-def: $vgpr1
                                        ; implicit-def: $vgpr4
                                        ; implicit-def: $vgpr2
                                        ; implicit-def: $vgpr20_vgpr21
	s_cbranch_execz .LBB140_129
; %bb.120:
	s_nop 0
	v_mov_b32_dpp v1, v85 row_shr:1 row_mask:0xf bank_mask:0xf
	s_waitcnt lgkmcnt(0)
	v_mov_b32_dpp v2, v86 row_shr:1 row_mask:0xf bank_mask:0xf
	v_add_u32_e32 v1, v1, v85
	v_add_u32_e32 v2, v2, v86
	v_cndmask_b32_e64 v2, v2, v86, s[4:5]
	v_cndmask_b32_e64 v1, v1, v85, s[4:5]
	v_cmp_lt_u32_e32 vcc, 3, v84
	v_mov_b32_dpp v4, v2 row_shr:2 row_mask:0xf bank_mask:0xf
	v_mov_b32_dpp v3, v1 row_shr:2 row_mask:0xf bank_mask:0xf
	v_add_u32_e32 v3, v1, v3
	v_add_u32_e32 v4, v2, v4
	v_cndmask_b32_e64 v2, v2, v4, s[2:3]
	v_cndmask_b32_e64 v1, v1, v3, s[2:3]
	s_nop 0
	v_mov_b32_dpp v4, v2 row_shr:4 row_mask:0xf bank_mask:0xf
	v_mov_b32_dpp v3, v1 row_shr:4 row_mask:0xf bank_mask:0xf
	v_add_u32_e32 v3, v1, v3
	v_add_u32_e32 v4, v2, v4
	v_cndmask_b32_e32 v2, v2, v4, vcc
	v_cndmask_b32_e32 v1, v1, v3, vcc
	v_cmp_lt_u32_e32 vcc, 7, v84
	v_mov_b32_dpp v4, v2 row_shr:8 row_mask:0xf bank_mask:0xf
	v_mov_b32_dpp v3, v1 row_shr:8 row_mask:0xf bank_mask:0xf
	v_add_u32_e32 v3, v1, v3
	v_add_u32_e32 v4, v2, v4
	v_cndmask_b32_e32 v2, v2, v4, vcc
	v_cndmask_b32_e32 v1, v1, v3, vcc
	v_cmp_eq_u32_e32 vcc, 0, v83
	v_mov_b32_dpp v4, v2 row_bcast:15 row_mask:0xf bank_mask:0xf
	v_mov_b32_dpp v3, v1 row_bcast:15 row_mask:0xf bank_mask:0xf
	v_add_u32_e32 v3, v1, v3
	v_add_u32_e32 v4, v2, v4
	v_cndmask_b32_e32 v2, v4, v2, vcc
	v_cndmask_b32_e32 v1, v3, v1, vcc
	v_cmp_lt_u32_e32 vcc, 31, v80
	v_mov_b32_dpp v4, v2 row_bcast:31 row_mask:0xf bank_mask:0xf
	v_mov_b32_dpp v3, v1 row_bcast:31 row_mask:0xf bank_mask:0xf
	v_add_u32_e32 v4, v2, v4
	v_add_u32_e32 v5, v1, v3
	v_cndmask_b32_e32 v3, v2, v4, vcc
	v_cndmask_b32_e32 v2, v1, v5, vcc
	v_cmp_eq_u32_e32 vcc, v82, v0
	s_and_saveexec_b64 s[2:3], vcc
	s_cbranch_execz .LBB140_122
; %bb.121:
	v_lshlrev_b32_e32 v1, 3, v81
	ds_write_b64 v1, v[2:3]
.LBB140_122:
	s_or_b64 exec, exec, s[2:3]
	v_cmp_gt_u32_e32 vcc, 4, v0
	s_waitcnt lgkmcnt(0)
	s_barrier
	s_and_saveexec_b64 s[2:3], vcc
	s_cbranch_execz .LBB140_124
; %bb.123:
	v_lshlrev_b32_e32 v1, 3, v0
	ds_read_b64 v[4:5], v1
	v_and_b32_e32 v6, 3, v80
	v_cmp_eq_u32_e32 vcc, 0, v6
	s_waitcnt lgkmcnt(0)
	v_mov_b32_dpp v7, v4 row_shr:1 row_mask:0xf bank_mask:0xf
	v_mov_b32_dpp v20, v5 row_shr:1 row_mask:0xf bank_mask:0xf
	v_add_u32_e32 v7, v7, v4
	v_add_u32_e32 v20, v20, v5
	v_cndmask_b32_e32 v5, v20, v5, vcc
	v_cndmask_b32_e32 v4, v7, v4, vcc
	v_cmp_lt_u32_e32 vcc, 1, v6
	v_mov_b32_dpp v20, v5 row_shr:2 row_mask:0xf bank_mask:0xf
	v_mov_b32_dpp v7, v4 row_shr:2 row_mask:0xf bank_mask:0xf
	v_cndmask_b32_e32 v6, 0, v7, vcc
	v_cndmask_b32_e32 v7, 0, v20, vcc
	v_add_u32_e32 v5, v7, v5
	v_add_u32_e32 v4, v6, v4
	ds_write_b64 v1, v[4:5]
.LBB140_124:
	s_or_b64 exec, exec, s[2:3]
	v_cmp_lt_u32_e32 vcc, 63, v0
	v_mov_b32_e32 v4, 0
	v_mov_b32_e32 v6, 0
	;; [unrolled: 1-line block ×3, first 2 shown]
	s_waitcnt lgkmcnt(0)
	s_barrier
	s_and_saveexec_b64 s[2:3], vcc
	s_cbranch_execz .LBB140_126
; %bb.125:
	v_lshl_add_u32 v1, v81, 3, -8
	ds_read_b64 v[6:7], v1
.LBB140_126:
	s_or_b64 exec, exec, s[2:3]
	s_waitcnt lgkmcnt(0)
	v_add_u32_e32 v5, v7, v3
	v_add_u32_e32 v1, v6, v2
	v_add_u32_e32 v2, -1, v80
	v_and_b32_e32 v3, 64, v80
	v_cmp_lt_i32_e32 vcc, v2, v3
	v_cndmask_b32_e32 v2, v2, v80, vcc
	v_lshlrev_b32_e32 v20, 2, v2
	ds_read_b64 v[2:3], v4 offset:24
	ds_bpermute_b32 v1, v20, v1
	ds_bpermute_b32 v20, v20, v5
	v_cmp_eq_u32_e32 vcc, 0, v0
	s_waitcnt lgkmcnt(2)
	v_readfirstlane_b32 s4, v3
	s_and_saveexec_b64 s[2:3], vcc
	s_cbranch_execz .LBB140_128
; %bb.127:
	s_add_u32 s6, s12, 0x400
	s_mov_b32 s8, 0
	s_addc_u32 s7, s13, 0
	s_and_b32 s9, s4, 0xff000000
	s_and_b32 s11, s4, 0xff0000
	s_mov_b32 s10, s8
	s_or_b64 s[10:11], s[10:11], s[8:9]
	s_and_b32 s9, s4, 0xff00
	s_or_b64 s[10:11], s[10:11], s[8:9]
	s_and_b32 s9, s4, 0xff
	s_or_b64 s[8:9], s[10:11], s[8:9]
	v_mov_b32_e32 v3, s9
	v_mov_b32_e32 v4, 2
	;; [unrolled: 1-line block ×3, first 2 shown]
	v_pk_mov_b32 v[22:23], s[6:7], s[6:7] op_sel:[0,1]
	;;#ASMSTART
	global_store_dwordx4 v[22:23], v[2:5] off	
s_waitcnt vmcnt(0)
	;;#ASMEND
.LBB140_128:
	s_or_b64 exec, exec, s[2:3]
	v_cmp_eq_u32_e64 s[2:3], 0, v80
	s_waitcnt lgkmcnt(1)
	v_cndmask_b32_e64 v3, v1, v6, s[2:3]
	s_waitcnt lgkmcnt(0)
	v_cndmask_b32_e64 v1, v20, v7, s[2:3]
	v_mov_b32_e32 v4, 0
	v_cndmask_b32_e64 v1, v1, 0, vcc
	v_cndmask_b32_e64 v20, v3, 0, vcc
	s_barrier
	v_mov_b32_e32 v3, s4
	v_mov_b32_e32 v5, 0
.LBB140_129:
	v_add_u32_e32 v24, v1, v63
	v_add_u32_e32 v25, v24, v74
	;; [unrolled: 1-line block ×14, first 2 shown]
	v_mov_b32_e32 v7, s49
	s_waitcnt lgkmcnt(0)
	v_add_co_u32_e32 v6, vcc, s48, v4
	v_add_u32_e32 v64, v58, v68
	v_add_u32_e32 v68, v66, v71
	v_addc_co_u32_e32 v7, vcc, 0, v7, vcc
	v_add_u32_e32 v69, v68, v78
	v_mov_b32_e32 v22, s51
	v_sub_co_u32_e32 v23, vcc, s50, v2
	v_add_u32_e32 v71, v69, v73
	v_subbrev_co_u32_e32 v73, vcc, 0, v22, vcc
	v_add_co_u32_e32 v22, vcc, v23, v5
	v_addc_co_u32_e32 v23, vcc, 0, v73, vcc
	v_lshlrev_b32_e32 v73, 1, v2
	v_sub_u32_e32 v1, v1, v5
	v_add_u32_e32 v74, v73, v3
	v_sub_u32_e32 v20, v20, v4
	v_add_u32_e32 v1, v1, v2
	v_add_u32_e32 v31, v74, v31
	v_and_b32_e32 v33, 1, v33
	v_add_u32_e32 v74, v20, v1
	v_and_b32_e32 v32, 1, v32
	v_sub_u32_e32 v74, v31, v74
	v_cmp_eq_u32_e32 vcc, 1, v33
	v_cndmask_b32_e32 v1, v74, v1, vcc
	v_cmp_eq_u32_e32 vcc, 1, v32
	v_cndmask_b32_e32 v1, v1, v20, vcc
	v_lshlrev_b32_e32 v1, 2, v1
	v_sub_u32_e32 v20, v24, v5
	ds_write_b32 v1, v18
	v_sub_u32_e32 v1, v21, v4
	v_add_u32_e32 v20, v20, v2
	v_add_u32_e32 v24, v20, v1
	v_and_b32_e32 v21, 1, v35
	v_sub_u32_e32 v24, v31, v24
	v_and_b32_e32 v18, 1, v34
	v_add_u32_e32 v24, 1, v24
	v_cmp_eq_u32_e32 vcc, 1, v21
	v_cndmask_b32_e32 v20, v24, v20, vcc
	v_cmp_eq_u32_e32 vcc, 1, v18
	v_cndmask_b32_e32 v1, v20, v1, vcc
	v_lshlrev_b32_e32 v1, 2, v1
	ds_write_b32 v1, v19
	v_sub_u32_e32 v19, v25, v5
	v_sub_u32_e32 v1, v26, v4
	v_add_u32_e32 v19, v19, v2
	v_add_u32_e32 v21, v19, v1
	v_and_b32_e32 v20, 1, v37
	v_sub_u32_e32 v21, v31, v21
	v_and_b32_e32 v18, 1, v36
	v_add_u32_e32 v21, 2, v21
	v_cmp_eq_u32_e32 vcc, 1, v20
	v_cndmask_b32_e32 v19, v21, v19, vcc
	v_cmp_eq_u32_e32 vcc, 1, v18
	v_cndmask_b32_e32 v1, v19, v1, vcc
	v_lshlrev_b32_e32 v1, 2, v1
	v_sub_u32_e32 v18, v28, v5
	ds_write_b32 v1, v16
	v_sub_u32_e32 v1, v27, v4
	v_add_u32_e32 v18, v18, v2
	v_add_u32_e32 v20, v1, v18
	v_and_b32_e32 v19, 1, v38
	v_sub_u32_e32 v20, v31, v20
	v_and_b32_e32 v16, 1, v39
	v_add_u32_e32 v20, 3, v20
	v_cmp_eq_u32_e32 vcc, 1, v19
	v_cndmask_b32_e32 v18, v20, v18, vcc
	v_cmp_eq_u32_e32 vcc, 1, v16
	v_cndmask_b32_e32 v1, v18, v1, vcc
	v_lshlrev_b32_e32 v1, 2, v1
	ds_write_b32 v1, v17
	v_sub_u32_e32 v17, v29, v5
	v_sub_u32_e32 v1, v56, v4
	v_add_u32_e32 v17, v17, v2
	v_add_u32_e32 v19, v1, v17
	v_and_b32_e32 v18, 1, v40
	v_sub_u32_e32 v19, v31, v19
	v_and_b32_e32 v16, 1, v41
	v_add_u32_e32 v19, 4, v19
	;; [unrolled: 28-line block ×3, first 2 shown]
	v_cmp_eq_u32_e32 vcc, 1, v16
	v_cndmask_b32_e32 v15, v17, v15, vcc
	v_cmp_eq_u32_e32 vcc, 1, v14
	v_cndmask_b32_e32 v1, v15, v1, vcc
	v_lshlrev_b32_e32 v1, 2, v1
	v_sub_u32_e32 v14, v65, v5
	ds_write_b32 v1, v12
	v_sub_u32_e32 v1, v64, v4
	v_add_u32_e32 v14, v14, v2
	v_add_u32_e32 v16, v1, v14
	v_and_b32_e32 v15, 1, v46
	v_sub_u32_e32 v16, v31, v16
	v_and_b32_e32 v12, 1, v47
	v_add_u32_e32 v16, 7, v16
	v_cmp_eq_u32_e32 vcc, 1, v15
	v_cndmask_b32_e32 v14, v16, v14, vcc
	v_cmp_eq_u32_e32 vcc, 1, v12
	v_cndmask_b32_e32 v1, v14, v1, vcc
	v_lshlrev_b32_e32 v1, 2, v1
	v_add_u32_e32 v59, v64, v59
	ds_write_b32 v1, v13
	v_sub_u32_e32 v13, v66, v5
	v_sub_u32_e32 v1, v59, v4
	v_add_u32_e32 v13, v13, v2
	v_add_u32_e32 v15, v1, v13
	v_and_b32_e32 v14, 1, v48
	v_sub_u32_e32 v15, v31, v15
	v_and_b32_e32 v12, 1, v49
	v_add_u32_e32 v15, 8, v15
	v_cmp_eq_u32_e32 vcc, 1, v14
	v_cndmask_b32_e32 v13, v15, v13, vcc
	v_cmp_eq_u32_e32 vcc, 1, v12
	v_cndmask_b32_e32 v1, v13, v1, vcc
	v_add_u32_e32 v67, v59, v70
	v_lshlrev_b32_e32 v1, 2, v1
	v_sub_u32_e32 v12, v68, v5
	ds_write_b32 v1, v10
	v_sub_u32_e32 v1, v67, v4
	v_add_u32_e32 v12, v12, v2
	v_add_u32_e32 v14, v1, v12
	v_and_b32_e32 v13, 1, v50
	v_sub_u32_e32 v14, v31, v14
	v_and_b32_e32 v10, 1, v51
	v_add_u32_e32 v14, 9, v14
	v_cmp_eq_u32_e32 vcc, 1, v13
	v_cndmask_b32_e32 v12, v14, v12, vcc
	v_cmp_eq_u32_e32 vcc, 1, v10
	v_cndmask_b32_e32 v1, v12, v1, vcc
	v_lshlrev_b32_e32 v1, 2, v1
	v_add_u32_e32 v60, v67, v60
	ds_write_b32 v1, v11
	v_sub_u32_e32 v11, v69, v5
	v_sub_u32_e32 v1, v60, v4
	v_add_u32_e32 v11, v11, v2
	v_add_u32_e32 v13, v1, v11
	v_and_b32_e32 v12, 1, v52
	v_sub_u32_e32 v13, v31, v13
	v_and_b32_e32 v10, 1, v53
	v_add_u32_e32 v13, 10, v13
	v_cmp_eq_u32_e32 vcc, 1, v12
	v_cndmask_b32_e32 v11, v13, v11, vcc
	v_cmp_eq_u32_e32 vcc, 1, v10
	v_cndmask_b32_e32 v1, v11, v1, vcc
	v_add_u32_e32 v70, v60, v72
	v_lshlrev_b32_e32 v1, 2, v1
	v_sub_u32_e32 v10, v71, v5
	ds_write_b32 v1, v8
	v_sub_u32_e32 v1, v70, v4
	v_add_u32_e32 v10, v10, v2
	v_add_u32_e32 v12, v1, v10
	v_and_b32_e32 v11, 1, v54
	v_sub_u32_e32 v12, v31, v12
	v_and_b32_e32 v8, 1, v55
	v_add_u32_e32 v12, 11, v12
	v_cmp_eq_u32_e32 vcc, 1, v11
	v_cndmask_b32_e32 v10, v12, v10, vcc
	v_cmp_eq_u32_e32 vcc, 1, v8
	v_cndmask_b32_e32 v1, v10, v1, vcc
	v_add_u32_e32 v72, v71, v79
	v_add_u32_e32 v61, v70, v61
	v_lshlrev_b32_e32 v1, 2, v1
	ds_write_b32 v1, v9
	v_sub_u32_e32 v1, v61, v4
	v_sub_u32_e32 v4, v72, v5
	v_add_u32_e32 v4, v4, v2
	v_add_u32_e32 v8, v1, v4
	v_sub_u32_e32 v8, v31, v8
	v_add_u32_e32 v8, 12, v8
	v_cndmask_b32_e64 v4, v8, v4, s[58:59]
	v_cndmask_b32_e64 v1, v4, v1, s[46:47]
	v_lshlrev_b32_e32 v1, 2, v1
	ds_write_b32 v1, v30
	v_add_co_u32_e32 v1, vcc, v3, v73
	v_addc_co_u32_e64 v4, s[2:3], 0, 0, vcc
	v_add_co_u32_e32 v1, vcc, v1, v22
	v_addc_co_u32_e32 v4, vcc, v4, v23, vcc
	s_add_u32 s4, s56, s33
	v_add_co_u32_e32 v1, vcc, v1, v6
	s_addc_u32 s5, s57, 0
	v_addc_co_u32_e32 v4, vcc, v4, v7, vcc
	v_mov_b32_e32 v8, s5
	v_sub_co_u32_e32 v1, vcc, s4, v1
	v_subb_co_u32_e32 v4, vcc, v8, v4, vcc
	v_lshlrev_b64 v[8:9], 2, v[22:23]
	v_mov_b32_e32 v10, s55
	v_add_co_u32_e32 v8, vcc, s54, v8
	v_addc_co_u32_e32 v9, vcc, v10, v9, vcc
	v_lshlrev_b64 v[10:11], 2, v[6:7]
	v_mov_b32_e32 v13, s53
	v_add_co_u32_e32 v10, vcc, s52, v10
	s_add_u32 s6, s34, -4
	v_addc_co_u32_e32 v11, vcc, v13, v11, vcc
	s_addc_u32 s7, s35, -1
	v_add_u32_e32 v12, v2, v3
	s_and_b64 vcc, exec, s[0:1]
	s_mov_b64 s[0:1], -1
	s_waitcnt lgkmcnt(0)
	s_barrier
	s_cbranch_vccz .LBB140_133
; %bb.130:
	s_and_b64 vcc, exec, s[0:1]
	s_cbranch_vccnz .LBB140_238
.LBB140_131:
	v_cmp_eq_u32_e32 vcc, 0, v0
	s_and_b64 s[0:1], vcc, s[30:31]
	s_and_saveexec_b64 s[2:3], s[0:1]
	s_cbranch_execnz .LBB140_356
.LBB140_132:
	s_endpgm
.LBB140_133:
	v_cmp_le_u32_e32 vcc, v2, v0
	s_and_saveexec_b64 s[0:1], vcc
	s_xor_b64 s[0:1], exec, s[0:1]
	s_cbranch_execz .LBB140_139
; %bb.134:
	v_cmp_le_u32_e32 vcc, v12, v0
	s_and_saveexec_b64 s[2:3], vcc
	s_xor_b64 s[2:3], exec, s[2:3]
	s_cbranch_execz .LBB140_136
; %bb.135:
	v_lshlrev_b32_e32 v13, 2, v0
	v_add_co_u32_e32 v14, vcc, v1, v0
	ds_read_b32 v13, v13
	v_addc_co_u32_e32 v15, vcc, 0, v4, vcc
	v_lshlrev_b64 v[14:15], 2, v[14:15]
	v_mov_b32_e32 v16, s35
	v_sub_co_u32_e32 v14, vcc, s34, v14
	v_subb_co_u32_e32 v15, vcc, v16, v15, vcc
	s_waitcnt lgkmcnt(0)
	global_store_dword v[14:15], v13, off offset:-4
.LBB140_136:
	s_andn2_saveexec_b64 s[2:3], s[2:3]
	s_cbranch_execz .LBB140_138
; %bb.137:
	v_lshlrev_b32_e32 v13, 2, v0
	ds_read_b32 v14, v13
	v_readfirstlane_b32 s4, v8
	v_readfirstlane_b32 s5, v9
	s_waitcnt lgkmcnt(0)
	s_nop 3
	global_store_dword v13, v14, s[4:5]
.LBB140_138:
	s_or_b64 exec, exec, s[2:3]
.LBB140_139:
	s_andn2_saveexec_b64 s[0:1], s[0:1]
	s_cbranch_execz .LBB140_141
; %bb.140:
	v_lshlrev_b32_e32 v13, 2, v0
	ds_read_b32 v14, v13
	v_readfirstlane_b32 s2, v10
	v_readfirstlane_b32 s3, v11
	s_waitcnt lgkmcnt(0)
	s_nop 3
	global_store_dword v13, v14, s[2:3]
.LBB140_141:
	s_or_b64 exec, exec, s[0:1]
	v_or_b32_e32 v13, 0x100, v0
	v_cmp_le_u32_e32 vcc, v2, v13
	s_and_saveexec_b64 s[0:1], vcc
	s_xor_b64 s[0:1], exec, s[0:1]
	s_cbranch_execz .LBB140_147
; %bb.142:
	v_cmp_le_u32_e32 vcc, v12, v13
	s_and_saveexec_b64 s[2:3], vcc
	s_xor_b64 s[2:3], exec, s[2:3]
	s_cbranch_execz .LBB140_144
; %bb.143:
	v_lshlrev_b32_e32 v13, 2, v0
	ds_read_b32 v13, v13 offset:1024
	v_add_co_u32_e32 v14, vcc, v1, v0
	v_addc_co_u32_e32 v15, vcc, 0, v4, vcc
	v_lshlrev_b64 v[14:15], 2, v[14:15]
	v_mov_b32_e32 v16, s7
	v_sub_co_u32_e32 v14, vcc, s6, v14
	v_subb_co_u32_e32 v15, vcc, v16, v15, vcc
	s_waitcnt lgkmcnt(0)
	global_store_dword v[14:15], v13, off offset:-1024
.LBB140_144:
	s_andn2_saveexec_b64 s[2:3], s[2:3]
	s_cbranch_execz .LBB140_146
; %bb.145:
	v_lshlrev_b32_e32 v13, 2, v0
	ds_read_b32 v14, v13 offset:1024
	v_readfirstlane_b32 s4, v8
	v_readfirstlane_b32 s5, v9
	s_waitcnt lgkmcnt(0)
	s_nop 3
	global_store_dword v13, v14, s[4:5] offset:1024
.LBB140_146:
	s_or_b64 exec, exec, s[2:3]
.LBB140_147:
	s_andn2_saveexec_b64 s[0:1], s[0:1]
	s_cbranch_execz .LBB140_149
; %bb.148:
	v_lshlrev_b32_e32 v13, 2, v0
	ds_read_b32 v14, v13 offset:1024
	v_readfirstlane_b32 s2, v10
	v_readfirstlane_b32 s3, v11
	s_waitcnt lgkmcnt(0)
	s_nop 3
	global_store_dword v13, v14, s[2:3] offset:1024
.LBB140_149:
	s_or_b64 exec, exec, s[0:1]
	v_or_b32_e32 v13, 0x200, v0
	v_cmp_le_u32_e32 vcc, v2, v13
	s_and_saveexec_b64 s[0:1], vcc
	s_xor_b64 s[0:1], exec, s[0:1]
	s_cbranch_execz .LBB140_155
; %bb.150:
	v_cmp_le_u32_e32 vcc, v12, v13
	s_and_saveexec_b64 s[2:3], vcc
	s_xor_b64 s[2:3], exec, s[2:3]
	s_cbranch_execz .LBB140_152
; %bb.151:
	v_lshlrev_b32_e32 v13, 2, v0
	ds_read_b32 v13, v13 offset:2048
	v_add_co_u32_e32 v14, vcc, v1, v0
	v_addc_co_u32_e32 v15, vcc, 0, v4, vcc
	v_lshlrev_b64 v[14:15], 2, v[14:15]
	v_mov_b32_e32 v16, s7
	v_sub_co_u32_e32 v14, vcc, s6, v14
	v_subb_co_u32_e32 v15, vcc, v16, v15, vcc
	s_waitcnt lgkmcnt(0)
	global_store_dword v[14:15], v13, off offset:-2048
.LBB140_152:
	s_andn2_saveexec_b64 s[2:3], s[2:3]
	s_cbranch_execz .LBB140_154
; %bb.153:
	v_lshlrev_b32_e32 v13, 2, v0
	ds_read_b32 v14, v13 offset:2048
	v_readfirstlane_b32 s4, v8
	v_readfirstlane_b32 s5, v9
	s_waitcnt lgkmcnt(0)
	s_nop 3
	global_store_dword v13, v14, s[4:5] offset:2048
.LBB140_154:
	s_or_b64 exec, exec, s[2:3]
.LBB140_155:
	s_andn2_saveexec_b64 s[0:1], s[0:1]
	s_cbranch_execz .LBB140_157
; %bb.156:
	v_lshlrev_b32_e32 v13, 2, v0
	ds_read_b32 v14, v13 offset:2048
	v_readfirstlane_b32 s2, v10
	v_readfirstlane_b32 s3, v11
	s_waitcnt lgkmcnt(0)
	s_nop 3
	global_store_dword v13, v14, s[2:3] offset:2048
.LBB140_157:
	;; [unrolled: 47-line block ×3, first 2 shown]
	s_or_b64 exec, exec, s[0:1]
	v_or_b32_e32 v13, 0x400, v0
	v_cmp_le_u32_e32 vcc, v2, v13
	s_and_saveexec_b64 s[0:1], vcc
	s_xor_b64 s[0:1], exec, s[0:1]
	s_cbranch_execz .LBB140_171
; %bb.166:
	v_cmp_le_u32_e32 vcc, v12, v13
	s_and_saveexec_b64 s[2:3], vcc
	s_xor_b64 s[2:3], exec, s[2:3]
	s_cbranch_execz .LBB140_168
; %bb.167:
	v_lshlrev_b32_e32 v13, 2, v0
	ds_read_b32 v13, v13 offset:4096
	v_add_co_u32_e32 v14, vcc, v1, v0
	v_addc_co_u32_e32 v15, vcc, 0, v4, vcc
	v_lshlrev_b64 v[14:15], 2, v[14:15]
	v_mov_b32_e32 v16, s7
	v_sub_co_u32_e32 v14, vcc, s6, v14
	v_subb_co_u32_e32 v15, vcc, v16, v15, vcc
	s_waitcnt lgkmcnt(0)
	global_store_dword v[14:15], v13, off offset:-4096
                                        ; implicit-def: $vgpr13
.LBB140_168:
	s_andn2_saveexec_b64 s[2:3], s[2:3]
	s_cbranch_execz .LBB140_170
; %bb.169:
	v_lshlrev_b32_e32 v14, 2, v0
	ds_read_b32 v14, v14 offset:4096
	v_lshlrev_b32_e32 v13, 2, v13
	v_readfirstlane_b32 s4, v8
	v_readfirstlane_b32 s5, v9
	s_waitcnt lgkmcnt(0)
	s_nop 3
	global_store_dword v13, v14, s[4:5]
.LBB140_170:
	s_or_b64 exec, exec, s[2:3]
                                        ; implicit-def: $vgpr13
.LBB140_171:
	s_andn2_saveexec_b64 s[0:1], s[0:1]
	s_cbranch_execz .LBB140_173
; %bb.172:
	v_lshlrev_b32_e32 v14, 2, v0
	ds_read_b32 v14, v14 offset:4096
	v_lshlrev_b32_e32 v13, 2, v13
	v_readfirstlane_b32 s2, v10
	v_readfirstlane_b32 s3, v11
	s_waitcnt lgkmcnt(0)
	s_nop 3
	global_store_dword v13, v14, s[2:3]
.LBB140_173:
	s_or_b64 exec, exec, s[0:1]
	v_or_b32_e32 v13, 0x500, v0
	v_cmp_le_u32_e32 vcc, v2, v13
	s_and_saveexec_b64 s[0:1], vcc
	s_xor_b64 s[0:1], exec, s[0:1]
	s_cbranch_execz .LBB140_179
; %bb.174:
	v_cmp_le_u32_e32 vcc, v12, v13
	s_and_saveexec_b64 s[2:3], vcc
	s_xor_b64 s[2:3], exec, s[2:3]
	s_cbranch_execz .LBB140_176
; %bb.175:
	v_add_co_u32_e32 v14, vcc, v1, v13
	v_lshlrev_b32_e32 v13, 2, v0
	ds_read_b32 v13, v13 offset:5120
	v_addc_co_u32_e32 v15, vcc, 0, v4, vcc
	v_lshlrev_b64 v[14:15], 2, v[14:15]
	v_mov_b32_e32 v16, s7
	v_sub_co_u32_e32 v14, vcc, s6, v14
	v_subb_co_u32_e32 v15, vcc, v16, v15, vcc
	s_waitcnt lgkmcnt(0)
	global_store_dword v[14:15], v13, off
                                        ; implicit-def: $vgpr13
.LBB140_176:
	s_andn2_saveexec_b64 s[2:3], s[2:3]
	s_cbranch_execz .LBB140_178
; %bb.177:
	v_lshlrev_b32_e32 v14, 2, v0
	ds_read_b32 v14, v14 offset:5120
	v_lshlrev_b32_e32 v13, 2, v13
	v_readfirstlane_b32 s4, v8
	v_readfirstlane_b32 s5, v9
	s_waitcnt lgkmcnt(0)
	s_nop 3
	global_store_dword v13, v14, s[4:5]
.LBB140_178:
	s_or_b64 exec, exec, s[2:3]
                                        ; implicit-def: $vgpr13
.LBB140_179:
	s_andn2_saveexec_b64 s[0:1], s[0:1]
	s_cbranch_execz .LBB140_181
; %bb.180:
	v_lshlrev_b32_e32 v14, 2, v0
	ds_read_b32 v14, v14 offset:5120
	v_lshlrev_b32_e32 v13, 2, v13
	v_readfirstlane_b32 s2, v10
	v_readfirstlane_b32 s3, v11
	s_waitcnt lgkmcnt(0)
	s_nop 3
	global_store_dword v13, v14, s[2:3]
.LBB140_181:
	s_or_b64 exec, exec, s[0:1]
	v_or_b32_e32 v13, 0x600, v0
	v_cmp_le_u32_e32 vcc, v2, v13
	s_and_saveexec_b64 s[0:1], vcc
	s_xor_b64 s[0:1], exec, s[0:1]
	s_cbranch_execz .LBB140_187
; %bb.182:
	v_cmp_le_u32_e32 vcc, v12, v13
	s_and_saveexec_b64 s[2:3], vcc
	s_xor_b64 s[2:3], exec, s[2:3]
	s_cbranch_execz .LBB140_184
; %bb.183:
	v_add_co_u32_e32 v14, vcc, v1, v13
	v_lshlrev_b32_e32 v13, 2, v0
	ds_read_b32 v13, v13 offset:6144
	v_addc_co_u32_e32 v15, vcc, 0, v4, vcc
	v_lshlrev_b64 v[14:15], 2, v[14:15]
	v_mov_b32_e32 v16, s7
	v_sub_co_u32_e32 v14, vcc, s6, v14
	v_subb_co_u32_e32 v15, vcc, v16, v15, vcc
	s_waitcnt lgkmcnt(0)
	global_store_dword v[14:15], v13, off
                                        ; implicit-def: $vgpr13
.LBB140_184:
	s_andn2_saveexec_b64 s[2:3], s[2:3]
	s_cbranch_execz .LBB140_186
; %bb.185:
	v_lshlrev_b32_e32 v14, 2, v0
	ds_read_b32 v14, v14 offset:6144
	v_lshlrev_b32_e32 v13, 2, v13
	v_readfirstlane_b32 s4, v8
	v_readfirstlane_b32 s5, v9
	s_waitcnt lgkmcnt(0)
	s_nop 3
	global_store_dword v13, v14, s[4:5]
.LBB140_186:
	s_or_b64 exec, exec, s[2:3]
                                        ; implicit-def: $vgpr13
.LBB140_187:
	s_andn2_saveexec_b64 s[0:1], s[0:1]
	s_cbranch_execz .LBB140_189
; %bb.188:
	v_lshlrev_b32_e32 v14, 2, v0
	ds_read_b32 v14, v14 offset:6144
	v_lshlrev_b32_e32 v13, 2, v13
	v_readfirstlane_b32 s2, v10
	v_readfirstlane_b32 s3, v11
	s_waitcnt lgkmcnt(0)
	s_nop 3
	global_store_dword v13, v14, s[2:3]
.LBB140_189:
	s_or_b64 exec, exec, s[0:1]
	v_or_b32_e32 v13, 0x700, v0
	v_cmp_le_u32_e32 vcc, v2, v13
	s_and_saveexec_b64 s[0:1], vcc
	s_xor_b64 s[0:1], exec, s[0:1]
	s_cbranch_execz .LBB140_195
; %bb.190:
	v_cmp_le_u32_e32 vcc, v12, v13
	s_and_saveexec_b64 s[2:3], vcc
	s_xor_b64 s[2:3], exec, s[2:3]
	s_cbranch_execz .LBB140_192
; %bb.191:
	v_add_co_u32_e32 v14, vcc, v1, v13
	v_lshlrev_b32_e32 v13, 2, v0
	ds_read_b32 v13, v13 offset:7168
	v_addc_co_u32_e32 v15, vcc, 0, v4, vcc
	v_lshlrev_b64 v[14:15], 2, v[14:15]
	v_mov_b32_e32 v16, s7
	v_sub_co_u32_e32 v14, vcc, s6, v14
	v_subb_co_u32_e32 v15, vcc, v16, v15, vcc
	s_waitcnt lgkmcnt(0)
	global_store_dword v[14:15], v13, off
                                        ; implicit-def: $vgpr13
.LBB140_192:
	s_andn2_saveexec_b64 s[2:3], s[2:3]
	s_cbranch_execz .LBB140_194
; %bb.193:
	v_lshlrev_b32_e32 v14, 2, v0
	ds_read_b32 v14, v14 offset:7168
	v_lshlrev_b32_e32 v13, 2, v13
	v_readfirstlane_b32 s4, v8
	v_readfirstlane_b32 s5, v9
	s_waitcnt lgkmcnt(0)
	s_nop 3
	global_store_dword v13, v14, s[4:5]
.LBB140_194:
	s_or_b64 exec, exec, s[2:3]
                                        ; implicit-def: $vgpr13
.LBB140_195:
	s_andn2_saveexec_b64 s[0:1], s[0:1]
	s_cbranch_execz .LBB140_197
; %bb.196:
	v_lshlrev_b32_e32 v14, 2, v0
	ds_read_b32 v14, v14 offset:7168
	v_lshlrev_b32_e32 v13, 2, v13
	v_readfirstlane_b32 s2, v10
	v_readfirstlane_b32 s3, v11
	s_waitcnt lgkmcnt(0)
	s_nop 3
	global_store_dword v13, v14, s[2:3]
.LBB140_197:
	s_or_b64 exec, exec, s[0:1]
	v_or_b32_e32 v13, 0x800, v0
	v_cmp_le_u32_e32 vcc, v2, v13
	s_and_saveexec_b64 s[0:1], vcc
	s_xor_b64 s[0:1], exec, s[0:1]
	s_cbranch_execz .LBB140_203
; %bb.198:
	v_cmp_le_u32_e32 vcc, v12, v13
	s_and_saveexec_b64 s[2:3], vcc
	s_xor_b64 s[2:3], exec, s[2:3]
	s_cbranch_execz .LBB140_200
; %bb.199:
	v_add_co_u32_e32 v14, vcc, v1, v13
	v_lshlrev_b32_e32 v13, 2, v0
	ds_read_b32 v13, v13 offset:8192
	v_addc_co_u32_e32 v15, vcc, 0, v4, vcc
	v_lshlrev_b64 v[14:15], 2, v[14:15]
	v_mov_b32_e32 v16, s7
	v_sub_co_u32_e32 v14, vcc, s6, v14
	v_subb_co_u32_e32 v15, vcc, v16, v15, vcc
	s_waitcnt lgkmcnt(0)
	global_store_dword v[14:15], v13, off
                                        ; implicit-def: $vgpr13
.LBB140_200:
	s_andn2_saveexec_b64 s[2:3], s[2:3]
	s_cbranch_execz .LBB140_202
; %bb.201:
	v_lshlrev_b32_e32 v14, 2, v0
	ds_read_b32 v14, v14 offset:8192
	v_lshlrev_b32_e32 v13, 2, v13
	v_readfirstlane_b32 s4, v8
	v_readfirstlane_b32 s5, v9
	s_waitcnt lgkmcnt(0)
	s_nop 3
	global_store_dword v13, v14, s[4:5]
.LBB140_202:
	s_or_b64 exec, exec, s[2:3]
                                        ; implicit-def: $vgpr13
.LBB140_203:
	s_andn2_saveexec_b64 s[0:1], s[0:1]
	s_cbranch_execz .LBB140_205
; %bb.204:
	v_lshlrev_b32_e32 v14, 2, v0
	ds_read_b32 v14, v14 offset:8192
	v_lshlrev_b32_e32 v13, 2, v13
	v_readfirstlane_b32 s2, v10
	v_readfirstlane_b32 s3, v11
	s_waitcnt lgkmcnt(0)
	s_nop 3
	global_store_dword v13, v14, s[2:3]
.LBB140_205:
	s_or_b64 exec, exec, s[0:1]
	v_or_b32_e32 v13, 0x900, v0
	v_cmp_le_u32_e32 vcc, v2, v13
	s_and_saveexec_b64 s[0:1], vcc
	s_xor_b64 s[0:1], exec, s[0:1]
	s_cbranch_execz .LBB140_211
; %bb.206:
	v_cmp_le_u32_e32 vcc, v12, v13
	s_and_saveexec_b64 s[2:3], vcc
	s_xor_b64 s[2:3], exec, s[2:3]
	s_cbranch_execz .LBB140_208
; %bb.207:
	v_add_co_u32_e32 v14, vcc, v1, v13
	v_lshlrev_b32_e32 v13, 2, v0
	ds_read_b32 v13, v13 offset:9216
	v_addc_co_u32_e32 v15, vcc, 0, v4, vcc
	v_lshlrev_b64 v[14:15], 2, v[14:15]
	v_mov_b32_e32 v16, s7
	v_sub_co_u32_e32 v14, vcc, s6, v14
	v_subb_co_u32_e32 v15, vcc, v16, v15, vcc
	s_waitcnt lgkmcnt(0)
	global_store_dword v[14:15], v13, off
                                        ; implicit-def: $vgpr13
.LBB140_208:
	s_andn2_saveexec_b64 s[2:3], s[2:3]
	s_cbranch_execz .LBB140_210
; %bb.209:
	v_lshlrev_b32_e32 v14, 2, v0
	ds_read_b32 v14, v14 offset:9216
	v_lshlrev_b32_e32 v13, 2, v13
	v_readfirstlane_b32 s4, v8
	v_readfirstlane_b32 s5, v9
	s_waitcnt lgkmcnt(0)
	s_nop 3
	global_store_dword v13, v14, s[4:5]
.LBB140_210:
	s_or_b64 exec, exec, s[2:3]
                                        ; implicit-def: $vgpr13
.LBB140_211:
	s_andn2_saveexec_b64 s[0:1], s[0:1]
	s_cbranch_execz .LBB140_213
; %bb.212:
	v_lshlrev_b32_e32 v14, 2, v0
	ds_read_b32 v14, v14 offset:9216
	v_lshlrev_b32_e32 v13, 2, v13
	v_readfirstlane_b32 s2, v10
	v_readfirstlane_b32 s3, v11
	s_waitcnt lgkmcnt(0)
	s_nop 3
	global_store_dword v13, v14, s[2:3]
.LBB140_213:
	s_or_b64 exec, exec, s[0:1]
	v_or_b32_e32 v13, 0xa00, v0
	v_cmp_le_u32_e32 vcc, v2, v13
	s_and_saveexec_b64 s[0:1], vcc
	s_xor_b64 s[0:1], exec, s[0:1]
	s_cbranch_execz .LBB140_219
; %bb.214:
	v_cmp_le_u32_e32 vcc, v12, v13
	s_and_saveexec_b64 s[2:3], vcc
	s_xor_b64 s[2:3], exec, s[2:3]
	s_cbranch_execz .LBB140_216
; %bb.215:
	v_add_co_u32_e32 v14, vcc, v1, v13
	v_lshlrev_b32_e32 v13, 2, v0
	ds_read_b32 v13, v13 offset:10240
	v_addc_co_u32_e32 v15, vcc, 0, v4, vcc
	v_lshlrev_b64 v[14:15], 2, v[14:15]
	v_mov_b32_e32 v16, s7
	v_sub_co_u32_e32 v14, vcc, s6, v14
	v_subb_co_u32_e32 v15, vcc, v16, v15, vcc
	s_waitcnt lgkmcnt(0)
	global_store_dword v[14:15], v13, off
                                        ; implicit-def: $vgpr13
.LBB140_216:
	s_andn2_saveexec_b64 s[2:3], s[2:3]
	s_cbranch_execz .LBB140_218
; %bb.217:
	v_lshlrev_b32_e32 v14, 2, v0
	ds_read_b32 v14, v14 offset:10240
	v_lshlrev_b32_e32 v13, 2, v13
	v_readfirstlane_b32 s4, v8
	v_readfirstlane_b32 s5, v9
	s_waitcnt lgkmcnt(0)
	s_nop 3
	global_store_dword v13, v14, s[4:5]
.LBB140_218:
	s_or_b64 exec, exec, s[2:3]
                                        ; implicit-def: $vgpr13
.LBB140_219:
	s_andn2_saveexec_b64 s[0:1], s[0:1]
	s_cbranch_execz .LBB140_221
; %bb.220:
	v_lshlrev_b32_e32 v14, 2, v0
	ds_read_b32 v14, v14 offset:10240
	v_lshlrev_b32_e32 v13, 2, v13
	v_readfirstlane_b32 s2, v10
	v_readfirstlane_b32 s3, v11
	s_waitcnt lgkmcnt(0)
	s_nop 3
	global_store_dword v13, v14, s[2:3]
.LBB140_221:
	s_or_b64 exec, exec, s[0:1]
	v_or_b32_e32 v13, 0xb00, v0
	v_cmp_le_u32_e32 vcc, v2, v13
	s_and_saveexec_b64 s[0:1], vcc
	s_xor_b64 s[0:1], exec, s[0:1]
	s_cbranch_execz .LBB140_227
; %bb.222:
	v_cmp_le_u32_e32 vcc, v12, v13
	s_and_saveexec_b64 s[2:3], vcc
	s_xor_b64 s[2:3], exec, s[2:3]
	s_cbranch_execz .LBB140_224
; %bb.223:
	v_add_co_u32_e32 v14, vcc, v1, v13
	v_lshlrev_b32_e32 v13, 2, v0
	ds_read_b32 v13, v13 offset:11264
	v_addc_co_u32_e32 v15, vcc, 0, v4, vcc
	v_lshlrev_b64 v[14:15], 2, v[14:15]
	v_mov_b32_e32 v16, s7
	v_sub_co_u32_e32 v14, vcc, s6, v14
	v_subb_co_u32_e32 v15, vcc, v16, v15, vcc
	s_waitcnt lgkmcnt(0)
	global_store_dword v[14:15], v13, off
                                        ; implicit-def: $vgpr13
.LBB140_224:
	s_andn2_saveexec_b64 s[2:3], s[2:3]
	s_cbranch_execz .LBB140_226
; %bb.225:
	v_lshlrev_b32_e32 v14, 2, v0
	ds_read_b32 v14, v14 offset:11264
	v_lshlrev_b32_e32 v13, 2, v13
	v_readfirstlane_b32 s4, v8
	v_readfirstlane_b32 s5, v9
	s_waitcnt lgkmcnt(0)
	s_nop 3
	global_store_dword v13, v14, s[4:5]
.LBB140_226:
	s_or_b64 exec, exec, s[2:3]
                                        ; implicit-def: $vgpr13
.LBB140_227:
	s_andn2_saveexec_b64 s[0:1], s[0:1]
	s_cbranch_execz .LBB140_229
; %bb.228:
	v_lshlrev_b32_e32 v14, 2, v0
	ds_read_b32 v14, v14 offset:11264
	v_lshlrev_b32_e32 v13, 2, v13
	v_readfirstlane_b32 s2, v10
	v_readfirstlane_b32 s3, v11
	s_waitcnt lgkmcnt(0)
	s_nop 3
	global_store_dword v13, v14, s[2:3]
.LBB140_229:
	s_or_b64 exec, exec, s[0:1]
	v_or_b32_e32 v13, 0xc00, v0
	v_cmp_le_u32_e32 vcc, v2, v13
	s_and_saveexec_b64 s[0:1], vcc
	s_xor_b64 s[0:1], exec, s[0:1]
	s_cbranch_execz .LBB140_235
; %bb.230:
	v_cmp_le_u32_e32 vcc, v12, v13
	s_and_saveexec_b64 s[2:3], vcc
	s_xor_b64 s[2:3], exec, s[2:3]
	s_cbranch_execz .LBB140_232
; %bb.231:
	v_add_co_u32_e32 v14, vcc, v1, v13
	v_lshlrev_b32_e32 v13, 2, v0
	ds_read_b32 v13, v13 offset:12288
	v_addc_co_u32_e32 v15, vcc, 0, v4, vcc
	v_lshlrev_b64 v[14:15], 2, v[14:15]
	v_mov_b32_e32 v16, s7
	v_sub_co_u32_e32 v14, vcc, s6, v14
	v_subb_co_u32_e32 v15, vcc, v16, v15, vcc
	s_waitcnt lgkmcnt(0)
	global_store_dword v[14:15], v13, off
                                        ; implicit-def: $vgpr13
.LBB140_232:
	s_andn2_saveexec_b64 s[2:3], s[2:3]
	s_cbranch_execz .LBB140_234
; %bb.233:
	v_lshlrev_b32_e32 v14, 2, v0
	ds_read_b32 v14, v14 offset:12288
	v_lshlrev_b32_e32 v13, 2, v13
	v_readfirstlane_b32 s4, v8
	v_readfirstlane_b32 s5, v9
	s_waitcnt lgkmcnt(0)
	s_nop 3
	global_store_dword v13, v14, s[4:5]
.LBB140_234:
	s_or_b64 exec, exec, s[2:3]
                                        ; implicit-def: $vgpr13
.LBB140_235:
	s_andn2_saveexec_b64 s[0:1], s[0:1]
	s_cbranch_execz .LBB140_237
; %bb.236:
	v_lshlrev_b32_e32 v14, 2, v0
	ds_read_b32 v14, v14 offset:12288
	v_lshlrev_b32_e32 v13, 2, v13
	v_readfirstlane_b32 s2, v10
	v_readfirstlane_b32 s3, v11
	s_waitcnt lgkmcnt(0)
	s_nop 3
	global_store_dword v13, v14, s[2:3]
.LBB140_237:
	s_or_b64 exec, exec, s[0:1]
	s_branch .LBB140_131
.LBB140_238:
	v_cmp_gt_u32_e32 vcc, s18, v0
	s_and_saveexec_b64 s[0:1], vcc
	s_cbranch_execz .LBB140_247
; %bb.239:
	v_cmp_le_u32_e32 vcc, v2, v0
	s_and_saveexec_b64 s[2:3], vcc
	s_xor_b64 s[2:3], exec, s[2:3]
	s_cbranch_execz .LBB140_245
; %bb.240:
	v_cmp_le_u32_e32 vcc, v12, v0
	s_and_saveexec_b64 s[4:5], vcc
	s_xor_b64 s[4:5], exec, s[4:5]
	s_cbranch_execz .LBB140_242
; %bb.241:
	v_lshlrev_b32_e32 v13, 2, v0
	v_add_co_u32_e32 v14, vcc, v1, v0
	ds_read_b32 v13, v13
	v_addc_co_u32_e32 v15, vcc, 0, v4, vcc
	v_lshlrev_b64 v[14:15], 2, v[14:15]
	v_mov_b32_e32 v16, s35
	v_sub_co_u32_e32 v14, vcc, s34, v14
	v_subb_co_u32_e32 v15, vcc, v16, v15, vcc
	s_waitcnt lgkmcnt(0)
	global_store_dword v[14:15], v13, off offset:-4
.LBB140_242:
	s_andn2_saveexec_b64 s[4:5], s[4:5]
	s_cbranch_execz .LBB140_244
; %bb.243:
	v_lshlrev_b32_e32 v13, 2, v0
	ds_read_b32 v14, v13
	v_readfirstlane_b32 s8, v8
	v_readfirstlane_b32 s9, v9
	s_waitcnt lgkmcnt(0)
	s_nop 3
	global_store_dword v13, v14, s[8:9]
.LBB140_244:
	s_or_b64 exec, exec, s[4:5]
.LBB140_245:
	s_andn2_saveexec_b64 s[2:3], s[2:3]
	s_cbranch_execz .LBB140_247
; %bb.246:
	v_lshlrev_b32_e32 v13, 2, v0
	ds_read_b32 v14, v13
	v_readfirstlane_b32 s2, v10
	v_readfirstlane_b32 s3, v11
	s_waitcnt lgkmcnt(0)
	s_nop 3
	global_store_dword v13, v14, s[2:3]
.LBB140_247:
	s_or_b64 exec, exec, s[0:1]
	v_or_b32_e32 v13, 0x100, v0
	v_cmp_gt_u32_e32 vcc, s18, v13
	s_and_saveexec_b64 s[0:1], vcc
	s_cbranch_execz .LBB140_256
; %bb.248:
	v_cmp_le_u32_e32 vcc, v2, v13
	s_and_saveexec_b64 s[2:3], vcc
	s_xor_b64 s[2:3], exec, s[2:3]
	s_cbranch_execz .LBB140_254
; %bb.249:
	v_cmp_le_u32_e32 vcc, v12, v13
	s_and_saveexec_b64 s[4:5], vcc
	s_xor_b64 s[4:5], exec, s[4:5]
	s_cbranch_execz .LBB140_251
; %bb.250:
	v_lshlrev_b32_e32 v13, 2, v0
	ds_read_b32 v13, v13 offset:1024
	v_add_co_u32_e32 v14, vcc, v1, v0
	v_addc_co_u32_e32 v15, vcc, 0, v4, vcc
	v_lshlrev_b64 v[14:15], 2, v[14:15]
	v_mov_b32_e32 v16, s7
	v_sub_co_u32_e32 v14, vcc, s6, v14
	v_subb_co_u32_e32 v15, vcc, v16, v15, vcc
	s_waitcnt lgkmcnt(0)
	global_store_dword v[14:15], v13, off offset:-1024
.LBB140_251:
	s_andn2_saveexec_b64 s[4:5], s[4:5]
	s_cbranch_execz .LBB140_253
; %bb.252:
	v_lshlrev_b32_e32 v13, 2, v0
	ds_read_b32 v14, v13 offset:1024
	v_readfirstlane_b32 s8, v8
	v_readfirstlane_b32 s9, v9
	s_waitcnt lgkmcnt(0)
	s_nop 3
	global_store_dword v13, v14, s[8:9] offset:1024
.LBB140_253:
	s_or_b64 exec, exec, s[4:5]
.LBB140_254:
	s_andn2_saveexec_b64 s[2:3], s[2:3]
	s_cbranch_execz .LBB140_256
; %bb.255:
	v_lshlrev_b32_e32 v13, 2, v0
	ds_read_b32 v14, v13 offset:1024
	v_readfirstlane_b32 s2, v10
	v_readfirstlane_b32 s3, v11
	s_waitcnt lgkmcnt(0)
	s_nop 3
	global_store_dword v13, v14, s[2:3] offset:1024
.LBB140_256:
	s_or_b64 exec, exec, s[0:1]
	v_or_b32_e32 v13, 0x200, v0
	v_cmp_gt_u32_e32 vcc, s18, v13
	s_and_saveexec_b64 s[0:1], vcc
	s_cbranch_execz .LBB140_265
; %bb.257:
	v_cmp_le_u32_e32 vcc, v2, v13
	s_and_saveexec_b64 s[2:3], vcc
	s_xor_b64 s[2:3], exec, s[2:3]
	s_cbranch_execz .LBB140_263
; %bb.258:
	v_cmp_le_u32_e32 vcc, v12, v13
	s_and_saveexec_b64 s[4:5], vcc
	s_xor_b64 s[4:5], exec, s[4:5]
	s_cbranch_execz .LBB140_260
; %bb.259:
	v_lshlrev_b32_e32 v13, 2, v0
	ds_read_b32 v13, v13 offset:2048
	v_add_co_u32_e32 v14, vcc, v1, v0
	v_addc_co_u32_e32 v15, vcc, 0, v4, vcc
	v_lshlrev_b64 v[14:15], 2, v[14:15]
	v_mov_b32_e32 v16, s7
	v_sub_co_u32_e32 v14, vcc, s6, v14
	v_subb_co_u32_e32 v15, vcc, v16, v15, vcc
	s_waitcnt lgkmcnt(0)
	global_store_dword v[14:15], v13, off offset:-2048
.LBB140_260:
	s_andn2_saveexec_b64 s[4:5], s[4:5]
	s_cbranch_execz .LBB140_262
; %bb.261:
	v_lshlrev_b32_e32 v13, 2, v0
	ds_read_b32 v14, v13 offset:2048
	v_readfirstlane_b32 s8, v8
	v_readfirstlane_b32 s9, v9
	s_waitcnt lgkmcnt(0)
	s_nop 3
	global_store_dword v13, v14, s[8:9] offset:2048
.LBB140_262:
	s_or_b64 exec, exec, s[4:5]
.LBB140_263:
	s_andn2_saveexec_b64 s[2:3], s[2:3]
	s_cbranch_execz .LBB140_265
; %bb.264:
	v_lshlrev_b32_e32 v13, 2, v0
	ds_read_b32 v14, v13 offset:2048
	v_readfirstlane_b32 s2, v10
	v_readfirstlane_b32 s3, v11
	s_waitcnt lgkmcnt(0)
	s_nop 3
	global_store_dword v13, v14, s[2:3] offset:2048
.LBB140_265:
	;; [unrolled: 51-line block ×3, first 2 shown]
	s_or_b64 exec, exec, s[0:1]
	v_or_b32_e32 v13, 0x400, v0
	v_cmp_gt_u32_e32 vcc, s18, v13
	s_and_saveexec_b64 s[0:1], vcc
	s_cbranch_execz .LBB140_283
; %bb.275:
	v_cmp_le_u32_e32 vcc, v2, v13
	s_and_saveexec_b64 s[2:3], vcc
	s_xor_b64 s[2:3], exec, s[2:3]
	s_cbranch_execz .LBB140_281
; %bb.276:
	v_cmp_le_u32_e32 vcc, v12, v13
	s_and_saveexec_b64 s[4:5], vcc
	s_xor_b64 s[4:5], exec, s[4:5]
	s_cbranch_execz .LBB140_278
; %bb.277:
	v_lshlrev_b32_e32 v13, 2, v0
	ds_read_b32 v13, v13 offset:4096
	v_add_co_u32_e32 v14, vcc, v1, v0
	v_addc_co_u32_e32 v15, vcc, 0, v4, vcc
	v_lshlrev_b64 v[14:15], 2, v[14:15]
	v_mov_b32_e32 v16, s7
	v_sub_co_u32_e32 v14, vcc, s6, v14
	v_subb_co_u32_e32 v15, vcc, v16, v15, vcc
	s_waitcnt lgkmcnt(0)
	global_store_dword v[14:15], v13, off offset:-4096
                                        ; implicit-def: $vgpr13
.LBB140_278:
	s_andn2_saveexec_b64 s[4:5], s[4:5]
	s_cbranch_execz .LBB140_280
; %bb.279:
	v_lshlrev_b32_e32 v14, 2, v0
	ds_read_b32 v14, v14 offset:4096
	v_lshlrev_b32_e32 v13, 2, v13
	v_readfirstlane_b32 s8, v8
	v_readfirstlane_b32 s9, v9
	s_waitcnt lgkmcnt(0)
	s_nop 3
	global_store_dword v13, v14, s[8:9]
.LBB140_280:
	s_or_b64 exec, exec, s[4:5]
                                        ; implicit-def: $vgpr13
.LBB140_281:
	s_andn2_saveexec_b64 s[2:3], s[2:3]
	s_cbranch_execz .LBB140_283
; %bb.282:
	v_lshlrev_b32_e32 v14, 2, v0
	ds_read_b32 v14, v14 offset:4096
	v_lshlrev_b32_e32 v13, 2, v13
	v_readfirstlane_b32 s2, v10
	v_readfirstlane_b32 s3, v11
	s_waitcnt lgkmcnt(0)
	s_nop 3
	global_store_dword v13, v14, s[2:3]
.LBB140_283:
	s_or_b64 exec, exec, s[0:1]
	v_or_b32_e32 v13, 0x500, v0
	v_cmp_gt_u32_e32 vcc, s18, v13
	s_and_saveexec_b64 s[0:1], vcc
	s_cbranch_execz .LBB140_292
; %bb.284:
	v_cmp_le_u32_e32 vcc, v2, v13
	s_and_saveexec_b64 s[2:3], vcc
	s_xor_b64 s[2:3], exec, s[2:3]
	s_cbranch_execz .LBB140_290
; %bb.285:
	v_cmp_le_u32_e32 vcc, v12, v13
	s_and_saveexec_b64 s[4:5], vcc
	s_xor_b64 s[4:5], exec, s[4:5]
	s_cbranch_execz .LBB140_287
; %bb.286:
	v_add_co_u32_e32 v14, vcc, v1, v13
	v_lshlrev_b32_e32 v13, 2, v0
	ds_read_b32 v13, v13 offset:5120
	v_addc_co_u32_e32 v15, vcc, 0, v4, vcc
	v_lshlrev_b64 v[14:15], 2, v[14:15]
	v_mov_b32_e32 v16, s7
	v_sub_co_u32_e32 v14, vcc, s6, v14
	v_subb_co_u32_e32 v15, vcc, v16, v15, vcc
	s_waitcnt lgkmcnt(0)
	global_store_dword v[14:15], v13, off
                                        ; implicit-def: $vgpr13
.LBB140_287:
	s_andn2_saveexec_b64 s[4:5], s[4:5]
	s_cbranch_execz .LBB140_289
; %bb.288:
	v_lshlrev_b32_e32 v14, 2, v0
	ds_read_b32 v14, v14 offset:5120
	v_lshlrev_b32_e32 v13, 2, v13
	v_readfirstlane_b32 s8, v8
	v_readfirstlane_b32 s9, v9
	s_waitcnt lgkmcnt(0)
	s_nop 3
	global_store_dword v13, v14, s[8:9]
.LBB140_289:
	s_or_b64 exec, exec, s[4:5]
                                        ; implicit-def: $vgpr13
.LBB140_290:
	s_andn2_saveexec_b64 s[2:3], s[2:3]
	s_cbranch_execz .LBB140_292
; %bb.291:
	v_lshlrev_b32_e32 v14, 2, v0
	ds_read_b32 v14, v14 offset:5120
	v_lshlrev_b32_e32 v13, 2, v13
	v_readfirstlane_b32 s2, v10
	v_readfirstlane_b32 s3, v11
	s_waitcnt lgkmcnt(0)
	s_nop 3
	global_store_dword v13, v14, s[2:3]
.LBB140_292:
	s_or_b64 exec, exec, s[0:1]
	v_or_b32_e32 v13, 0x600, v0
	v_cmp_gt_u32_e32 vcc, s18, v13
	s_and_saveexec_b64 s[0:1], vcc
	s_cbranch_execz .LBB140_301
; %bb.293:
	v_cmp_le_u32_e32 vcc, v2, v13
	s_and_saveexec_b64 s[2:3], vcc
	s_xor_b64 s[2:3], exec, s[2:3]
	s_cbranch_execz .LBB140_299
; %bb.294:
	v_cmp_le_u32_e32 vcc, v12, v13
	s_and_saveexec_b64 s[4:5], vcc
	s_xor_b64 s[4:5], exec, s[4:5]
	s_cbranch_execz .LBB140_296
; %bb.295:
	v_add_co_u32_e32 v14, vcc, v1, v13
	v_lshlrev_b32_e32 v13, 2, v0
	ds_read_b32 v13, v13 offset:6144
	v_addc_co_u32_e32 v15, vcc, 0, v4, vcc
	v_lshlrev_b64 v[14:15], 2, v[14:15]
	v_mov_b32_e32 v16, s7
	v_sub_co_u32_e32 v14, vcc, s6, v14
	v_subb_co_u32_e32 v15, vcc, v16, v15, vcc
	s_waitcnt lgkmcnt(0)
	global_store_dword v[14:15], v13, off
                                        ; implicit-def: $vgpr13
.LBB140_296:
	s_andn2_saveexec_b64 s[4:5], s[4:5]
	s_cbranch_execz .LBB140_298
; %bb.297:
	v_lshlrev_b32_e32 v14, 2, v0
	ds_read_b32 v14, v14 offset:6144
	v_lshlrev_b32_e32 v13, 2, v13
	v_readfirstlane_b32 s8, v8
	v_readfirstlane_b32 s9, v9
	s_waitcnt lgkmcnt(0)
	s_nop 3
	global_store_dword v13, v14, s[8:9]
.LBB140_298:
	s_or_b64 exec, exec, s[4:5]
                                        ; implicit-def: $vgpr13
.LBB140_299:
	s_andn2_saveexec_b64 s[2:3], s[2:3]
	s_cbranch_execz .LBB140_301
; %bb.300:
	v_lshlrev_b32_e32 v14, 2, v0
	ds_read_b32 v14, v14 offset:6144
	v_lshlrev_b32_e32 v13, 2, v13
	v_readfirstlane_b32 s2, v10
	v_readfirstlane_b32 s3, v11
	s_waitcnt lgkmcnt(0)
	s_nop 3
	global_store_dword v13, v14, s[2:3]
.LBB140_301:
	s_or_b64 exec, exec, s[0:1]
	v_or_b32_e32 v13, 0x700, v0
	v_cmp_gt_u32_e32 vcc, s18, v13
	s_and_saveexec_b64 s[0:1], vcc
	s_cbranch_execz .LBB140_310
; %bb.302:
	v_cmp_le_u32_e32 vcc, v2, v13
	s_and_saveexec_b64 s[2:3], vcc
	s_xor_b64 s[2:3], exec, s[2:3]
	s_cbranch_execz .LBB140_308
; %bb.303:
	v_cmp_le_u32_e32 vcc, v12, v13
	s_and_saveexec_b64 s[4:5], vcc
	s_xor_b64 s[4:5], exec, s[4:5]
	s_cbranch_execz .LBB140_305
; %bb.304:
	v_add_co_u32_e32 v14, vcc, v1, v13
	v_lshlrev_b32_e32 v13, 2, v0
	ds_read_b32 v13, v13 offset:7168
	v_addc_co_u32_e32 v15, vcc, 0, v4, vcc
	v_lshlrev_b64 v[14:15], 2, v[14:15]
	v_mov_b32_e32 v16, s7
	v_sub_co_u32_e32 v14, vcc, s6, v14
	v_subb_co_u32_e32 v15, vcc, v16, v15, vcc
	s_waitcnt lgkmcnt(0)
	global_store_dword v[14:15], v13, off
                                        ; implicit-def: $vgpr13
.LBB140_305:
	s_andn2_saveexec_b64 s[4:5], s[4:5]
	s_cbranch_execz .LBB140_307
; %bb.306:
	v_lshlrev_b32_e32 v14, 2, v0
	ds_read_b32 v14, v14 offset:7168
	v_lshlrev_b32_e32 v13, 2, v13
	v_readfirstlane_b32 s8, v8
	v_readfirstlane_b32 s9, v9
	s_waitcnt lgkmcnt(0)
	s_nop 3
	global_store_dword v13, v14, s[8:9]
.LBB140_307:
	s_or_b64 exec, exec, s[4:5]
                                        ; implicit-def: $vgpr13
.LBB140_308:
	s_andn2_saveexec_b64 s[2:3], s[2:3]
	s_cbranch_execz .LBB140_310
; %bb.309:
	v_lshlrev_b32_e32 v14, 2, v0
	ds_read_b32 v14, v14 offset:7168
	v_lshlrev_b32_e32 v13, 2, v13
	v_readfirstlane_b32 s2, v10
	v_readfirstlane_b32 s3, v11
	s_waitcnt lgkmcnt(0)
	s_nop 3
	global_store_dword v13, v14, s[2:3]
.LBB140_310:
	s_or_b64 exec, exec, s[0:1]
	v_or_b32_e32 v13, 0x800, v0
	v_cmp_gt_u32_e32 vcc, s18, v13
	s_and_saveexec_b64 s[0:1], vcc
	s_cbranch_execz .LBB140_319
; %bb.311:
	v_cmp_le_u32_e32 vcc, v2, v13
	s_and_saveexec_b64 s[2:3], vcc
	s_xor_b64 s[2:3], exec, s[2:3]
	s_cbranch_execz .LBB140_317
; %bb.312:
	v_cmp_le_u32_e32 vcc, v12, v13
	s_and_saveexec_b64 s[4:5], vcc
	s_xor_b64 s[4:5], exec, s[4:5]
	s_cbranch_execz .LBB140_314
; %bb.313:
	v_add_co_u32_e32 v14, vcc, v1, v13
	v_lshlrev_b32_e32 v13, 2, v0
	ds_read_b32 v13, v13 offset:8192
	v_addc_co_u32_e32 v15, vcc, 0, v4, vcc
	v_lshlrev_b64 v[14:15], 2, v[14:15]
	v_mov_b32_e32 v16, s7
	v_sub_co_u32_e32 v14, vcc, s6, v14
	v_subb_co_u32_e32 v15, vcc, v16, v15, vcc
	s_waitcnt lgkmcnt(0)
	global_store_dword v[14:15], v13, off
                                        ; implicit-def: $vgpr13
.LBB140_314:
	s_andn2_saveexec_b64 s[4:5], s[4:5]
	s_cbranch_execz .LBB140_316
; %bb.315:
	v_lshlrev_b32_e32 v14, 2, v0
	ds_read_b32 v14, v14 offset:8192
	v_lshlrev_b32_e32 v13, 2, v13
	v_readfirstlane_b32 s8, v8
	v_readfirstlane_b32 s9, v9
	s_waitcnt lgkmcnt(0)
	s_nop 3
	global_store_dword v13, v14, s[8:9]
.LBB140_316:
	s_or_b64 exec, exec, s[4:5]
                                        ; implicit-def: $vgpr13
.LBB140_317:
	s_andn2_saveexec_b64 s[2:3], s[2:3]
	s_cbranch_execz .LBB140_319
; %bb.318:
	v_lshlrev_b32_e32 v14, 2, v0
	ds_read_b32 v14, v14 offset:8192
	v_lshlrev_b32_e32 v13, 2, v13
	v_readfirstlane_b32 s2, v10
	v_readfirstlane_b32 s3, v11
	s_waitcnt lgkmcnt(0)
	s_nop 3
	global_store_dword v13, v14, s[2:3]
.LBB140_319:
	s_or_b64 exec, exec, s[0:1]
	v_or_b32_e32 v13, 0x900, v0
	v_cmp_gt_u32_e32 vcc, s18, v13
	s_and_saveexec_b64 s[0:1], vcc
	s_cbranch_execz .LBB140_328
; %bb.320:
	v_cmp_le_u32_e32 vcc, v2, v13
	s_and_saveexec_b64 s[2:3], vcc
	s_xor_b64 s[2:3], exec, s[2:3]
	s_cbranch_execz .LBB140_326
; %bb.321:
	v_cmp_le_u32_e32 vcc, v12, v13
	s_and_saveexec_b64 s[4:5], vcc
	s_xor_b64 s[4:5], exec, s[4:5]
	s_cbranch_execz .LBB140_323
; %bb.322:
	v_add_co_u32_e32 v14, vcc, v1, v13
	v_lshlrev_b32_e32 v13, 2, v0
	ds_read_b32 v13, v13 offset:9216
	v_addc_co_u32_e32 v15, vcc, 0, v4, vcc
	v_lshlrev_b64 v[14:15], 2, v[14:15]
	v_mov_b32_e32 v16, s7
	v_sub_co_u32_e32 v14, vcc, s6, v14
	v_subb_co_u32_e32 v15, vcc, v16, v15, vcc
	s_waitcnt lgkmcnt(0)
	global_store_dword v[14:15], v13, off
                                        ; implicit-def: $vgpr13
.LBB140_323:
	s_andn2_saveexec_b64 s[4:5], s[4:5]
	s_cbranch_execz .LBB140_325
; %bb.324:
	v_lshlrev_b32_e32 v14, 2, v0
	ds_read_b32 v14, v14 offset:9216
	v_lshlrev_b32_e32 v13, 2, v13
	v_readfirstlane_b32 s8, v8
	v_readfirstlane_b32 s9, v9
	s_waitcnt lgkmcnt(0)
	s_nop 3
	global_store_dword v13, v14, s[8:9]
.LBB140_325:
	s_or_b64 exec, exec, s[4:5]
                                        ; implicit-def: $vgpr13
.LBB140_326:
	s_andn2_saveexec_b64 s[2:3], s[2:3]
	s_cbranch_execz .LBB140_328
; %bb.327:
	v_lshlrev_b32_e32 v14, 2, v0
	ds_read_b32 v14, v14 offset:9216
	v_lshlrev_b32_e32 v13, 2, v13
	v_readfirstlane_b32 s2, v10
	v_readfirstlane_b32 s3, v11
	s_waitcnt lgkmcnt(0)
	s_nop 3
	global_store_dword v13, v14, s[2:3]
.LBB140_328:
	s_or_b64 exec, exec, s[0:1]
	v_or_b32_e32 v13, 0xa00, v0
	v_cmp_gt_u32_e32 vcc, s18, v13
	s_and_saveexec_b64 s[0:1], vcc
	s_cbranch_execz .LBB140_337
; %bb.329:
	v_cmp_le_u32_e32 vcc, v2, v13
	s_and_saveexec_b64 s[2:3], vcc
	s_xor_b64 s[2:3], exec, s[2:3]
	s_cbranch_execz .LBB140_335
; %bb.330:
	v_cmp_le_u32_e32 vcc, v12, v13
	s_and_saveexec_b64 s[4:5], vcc
	s_xor_b64 s[4:5], exec, s[4:5]
	s_cbranch_execz .LBB140_332
; %bb.331:
	v_add_co_u32_e32 v14, vcc, v1, v13
	v_lshlrev_b32_e32 v13, 2, v0
	ds_read_b32 v13, v13 offset:10240
	v_addc_co_u32_e32 v15, vcc, 0, v4, vcc
	v_lshlrev_b64 v[14:15], 2, v[14:15]
	v_mov_b32_e32 v16, s7
	v_sub_co_u32_e32 v14, vcc, s6, v14
	v_subb_co_u32_e32 v15, vcc, v16, v15, vcc
	s_waitcnt lgkmcnt(0)
	global_store_dword v[14:15], v13, off
                                        ; implicit-def: $vgpr13
.LBB140_332:
	s_andn2_saveexec_b64 s[4:5], s[4:5]
	s_cbranch_execz .LBB140_334
; %bb.333:
	v_lshlrev_b32_e32 v14, 2, v0
	ds_read_b32 v14, v14 offset:10240
	v_lshlrev_b32_e32 v13, 2, v13
	v_readfirstlane_b32 s8, v8
	v_readfirstlane_b32 s9, v9
	s_waitcnt lgkmcnt(0)
	s_nop 3
	global_store_dword v13, v14, s[8:9]
.LBB140_334:
	s_or_b64 exec, exec, s[4:5]
                                        ; implicit-def: $vgpr13
.LBB140_335:
	s_andn2_saveexec_b64 s[2:3], s[2:3]
	s_cbranch_execz .LBB140_337
; %bb.336:
	v_lshlrev_b32_e32 v14, 2, v0
	ds_read_b32 v14, v14 offset:10240
	v_lshlrev_b32_e32 v13, 2, v13
	v_readfirstlane_b32 s2, v10
	v_readfirstlane_b32 s3, v11
	s_waitcnt lgkmcnt(0)
	s_nop 3
	global_store_dword v13, v14, s[2:3]
.LBB140_337:
	s_or_b64 exec, exec, s[0:1]
	v_or_b32_e32 v13, 0xb00, v0
	v_cmp_gt_u32_e32 vcc, s18, v13
	s_and_saveexec_b64 s[0:1], vcc
	s_cbranch_execz .LBB140_346
; %bb.338:
	v_cmp_le_u32_e32 vcc, v2, v13
	s_and_saveexec_b64 s[2:3], vcc
	s_xor_b64 s[2:3], exec, s[2:3]
	s_cbranch_execz .LBB140_344
; %bb.339:
	v_cmp_le_u32_e32 vcc, v12, v13
	s_and_saveexec_b64 s[4:5], vcc
	s_xor_b64 s[4:5], exec, s[4:5]
	s_cbranch_execz .LBB140_341
; %bb.340:
	v_add_co_u32_e32 v14, vcc, v1, v13
	v_lshlrev_b32_e32 v13, 2, v0
	ds_read_b32 v13, v13 offset:11264
	v_addc_co_u32_e32 v15, vcc, 0, v4, vcc
	v_lshlrev_b64 v[14:15], 2, v[14:15]
	v_mov_b32_e32 v16, s7
	v_sub_co_u32_e32 v14, vcc, s6, v14
	v_subb_co_u32_e32 v15, vcc, v16, v15, vcc
	s_waitcnt lgkmcnt(0)
	global_store_dword v[14:15], v13, off
                                        ; implicit-def: $vgpr13
.LBB140_341:
	s_andn2_saveexec_b64 s[4:5], s[4:5]
	s_cbranch_execz .LBB140_343
; %bb.342:
	v_lshlrev_b32_e32 v14, 2, v0
	ds_read_b32 v14, v14 offset:11264
	v_lshlrev_b32_e32 v13, 2, v13
	v_readfirstlane_b32 s8, v8
	v_readfirstlane_b32 s9, v9
	s_waitcnt lgkmcnt(0)
	s_nop 3
	global_store_dword v13, v14, s[8:9]
.LBB140_343:
	s_or_b64 exec, exec, s[4:5]
                                        ; implicit-def: $vgpr13
.LBB140_344:
	s_andn2_saveexec_b64 s[2:3], s[2:3]
	s_cbranch_execz .LBB140_346
; %bb.345:
	v_lshlrev_b32_e32 v14, 2, v0
	ds_read_b32 v14, v14 offset:11264
	v_lshlrev_b32_e32 v13, 2, v13
	v_readfirstlane_b32 s2, v10
	v_readfirstlane_b32 s3, v11
	s_waitcnt lgkmcnt(0)
	s_nop 3
	global_store_dword v13, v14, s[2:3]
.LBB140_346:
	s_or_b64 exec, exec, s[0:1]
	v_or_b32_e32 v13, 0xc00, v0
	v_cmp_gt_u32_e32 vcc, s18, v13
	s_and_saveexec_b64 s[0:1], vcc
	s_cbranch_execz .LBB140_355
; %bb.347:
	v_cmp_le_u32_e32 vcc, v2, v13
	s_and_saveexec_b64 s[2:3], vcc
	s_xor_b64 s[2:3], exec, s[2:3]
	s_cbranch_execz .LBB140_353
; %bb.348:
	v_cmp_le_u32_e32 vcc, v12, v13
	s_and_saveexec_b64 s[4:5], vcc
	s_xor_b64 s[4:5], exec, s[4:5]
	s_cbranch_execz .LBB140_350
; %bb.349:
	v_add_co_u32_e32 v8, vcc, v1, v13
	v_lshlrev_b32_e32 v1, 2, v0
	ds_read_b32 v1, v1 offset:12288
	v_addc_co_u32_e32 v9, vcc, 0, v4, vcc
	v_lshlrev_b64 v[8:9], 2, v[8:9]
	v_mov_b32_e32 v4, s7
	v_sub_co_u32_e32 v8, vcc, s6, v8
	v_subb_co_u32_e32 v9, vcc, v4, v9, vcc
	s_waitcnt lgkmcnt(0)
	global_store_dword v[8:9], v1, off
                                        ; implicit-def: $vgpr13
                                        ; implicit-def: $vgpr8_vgpr9
.LBB140_350:
	s_andn2_saveexec_b64 s[4:5], s[4:5]
	s_cbranch_execz .LBB140_352
; %bb.351:
	v_lshlrev_b32_e32 v1, 2, v0
	ds_read_b32 v1, v1 offset:12288
	v_lshlrev_b32_e32 v4, 2, v13
	v_readfirstlane_b32 s6, v8
	v_readfirstlane_b32 s7, v9
	s_waitcnt lgkmcnt(0)
	s_nop 3
	global_store_dword v4, v1, s[6:7]
.LBB140_352:
	s_or_b64 exec, exec, s[4:5]
                                        ; implicit-def: $vgpr13
                                        ; implicit-def: $vgpr10_vgpr11
.LBB140_353:
	s_andn2_saveexec_b64 s[2:3], s[2:3]
	s_cbranch_execz .LBB140_355
; %bb.354:
	v_lshlrev_b32_e32 v1, 2, v0
	ds_read_b32 v1, v1 offset:12288
	v_lshlrev_b32_e32 v4, 2, v13
	v_readfirstlane_b32 s2, v10
	v_readfirstlane_b32 s3, v11
	s_waitcnt lgkmcnt(0)
	s_nop 3
	global_store_dword v4, v1, s[2:3]
.LBB140_355:
	s_or_b64 exec, exec, s[0:1]
	v_cmp_eq_u32_e32 vcc, 0, v0
	s_and_b64 s[0:1], vcc, s[30:31]
	s_and_saveexec_b64 s[2:3], s[0:1]
	s_cbranch_execz .LBB140_132
.LBB140_356:
	v_add_co_u32_e32 v0, vcc, v6, v2
	v_addc_co_u32_e32 v1, vcc, 0, v7, vcc
	v_mov_b32_e32 v2, s51
	v_add_co_u32_e32 v3, vcc, s50, v3
	v_addc_co_u32_e32 v6, vcc, 0, v2, vcc
	v_add_co_u32_e32 v2, vcc, v3, v5
	v_mov_b32_e32 v4, 0
	v_addc_co_u32_e32 v3, vcc, 0, v6, vcc
	global_store_dwordx4 v4, v[0:3], s[44:45]
	s_endpgm
	.section	.rodata,"a",@progbits
	.p2align	6, 0x0
	.amdhsa_kernel _ZN7rocprim17ROCPRIM_400000_NS6detail17trampoline_kernelINS0_13select_configILj256ELj13ELNS0_17block_load_methodE3ELS4_3ELS4_3ELNS0_20block_scan_algorithmE0ELj4294967295EEENS1_25partition_config_selectorILNS1_17partition_subalgoE4EjNS0_10empty_typeEbEEZZNS1_14partition_implILS8_4ELb0ES6_15HIP_vector_typeIjLj2EENS0_17counting_iteratorIjlEEPS9_SG_NS0_5tupleIJPjSI_NS0_16reverse_iteratorISI_EEEEENSH_IJSG_SG_SG_EEES9_SI_JZNS1_25segmented_radix_sort_implINS0_14default_configELb0EPKhPhPKlPlN2at6native12_GLOBAL__N_18offset_tEEE10hipError_tPvRmT1_PNSt15iterator_traitsIS12_E10value_typeET2_T3_PNS13_IS18_E10value_typeET4_jRbjT5_S1E_jjP12ihipStream_tbEUljE_ZNSN_ISO_Lb0ESQ_SR_ST_SU_SY_EESZ_S10_S11_S12_S16_S17_S18_S1B_S1C_jS1D_jS1E_S1E_jjS1G_bEUljE0_EEESZ_S10_S11_S18_S1C_S1E_T6_T7_T9_mT8_S1G_bDpT10_ENKUlT_T0_E_clISt17integral_constantIbLb1EES1T_IbLb0EEEEDaS1P_S1Q_EUlS1P_E_NS1_11comp_targetILNS1_3genE4ELNS1_11target_archE910ELNS1_3gpuE8ELNS1_3repE0EEENS1_30default_config_static_selectorELNS0_4arch9wavefront6targetE1EEEvS12_
		.amdhsa_group_segment_fixed_size 13340
		.amdhsa_private_segment_fixed_size 0
		.amdhsa_kernarg_size 176
		.amdhsa_user_sgpr_count 6
		.amdhsa_user_sgpr_private_segment_buffer 1
		.amdhsa_user_sgpr_dispatch_ptr 0
		.amdhsa_user_sgpr_queue_ptr 0
		.amdhsa_user_sgpr_kernarg_segment_ptr 1
		.amdhsa_user_sgpr_dispatch_id 0
		.amdhsa_user_sgpr_flat_scratch_init 0
		.amdhsa_user_sgpr_kernarg_preload_length 0
		.amdhsa_user_sgpr_kernarg_preload_offset 0
		.amdhsa_user_sgpr_private_segment_size 0
		.amdhsa_uses_dynamic_stack 0
		.amdhsa_system_sgpr_private_segment_wavefront_offset 0
		.amdhsa_system_sgpr_workgroup_id_x 1
		.amdhsa_system_sgpr_workgroup_id_y 0
		.amdhsa_system_sgpr_workgroup_id_z 0
		.amdhsa_system_sgpr_workgroup_info 0
		.amdhsa_system_vgpr_workitem_id 0
		.amdhsa_next_free_vgpr 102
		.amdhsa_next_free_sgpr 90
		.amdhsa_accum_offset 104
		.amdhsa_reserve_vcc 1
		.amdhsa_reserve_flat_scratch 0
		.amdhsa_float_round_mode_32 0
		.amdhsa_float_round_mode_16_64 0
		.amdhsa_float_denorm_mode_32 3
		.amdhsa_float_denorm_mode_16_64 3
		.amdhsa_dx10_clamp 1
		.amdhsa_ieee_mode 1
		.amdhsa_fp16_overflow 0
		.amdhsa_tg_split 0
		.amdhsa_exception_fp_ieee_invalid_op 0
		.amdhsa_exception_fp_denorm_src 0
		.amdhsa_exception_fp_ieee_div_zero 0
		.amdhsa_exception_fp_ieee_overflow 0
		.amdhsa_exception_fp_ieee_underflow 0
		.amdhsa_exception_fp_ieee_inexact 0
		.amdhsa_exception_int_div_zero 0
	.end_amdhsa_kernel
	.section	.text._ZN7rocprim17ROCPRIM_400000_NS6detail17trampoline_kernelINS0_13select_configILj256ELj13ELNS0_17block_load_methodE3ELS4_3ELS4_3ELNS0_20block_scan_algorithmE0ELj4294967295EEENS1_25partition_config_selectorILNS1_17partition_subalgoE4EjNS0_10empty_typeEbEEZZNS1_14partition_implILS8_4ELb0ES6_15HIP_vector_typeIjLj2EENS0_17counting_iteratorIjlEEPS9_SG_NS0_5tupleIJPjSI_NS0_16reverse_iteratorISI_EEEEENSH_IJSG_SG_SG_EEES9_SI_JZNS1_25segmented_radix_sort_implINS0_14default_configELb0EPKhPhPKlPlN2at6native12_GLOBAL__N_18offset_tEEE10hipError_tPvRmT1_PNSt15iterator_traitsIS12_E10value_typeET2_T3_PNS13_IS18_E10value_typeET4_jRbjT5_S1E_jjP12ihipStream_tbEUljE_ZNSN_ISO_Lb0ESQ_SR_ST_SU_SY_EESZ_S10_S11_S12_S16_S17_S18_S1B_S1C_jS1D_jS1E_S1E_jjS1G_bEUljE0_EEESZ_S10_S11_S18_S1C_S1E_T6_T7_T9_mT8_S1G_bDpT10_ENKUlT_T0_E_clISt17integral_constantIbLb1EES1T_IbLb0EEEEDaS1P_S1Q_EUlS1P_E_NS1_11comp_targetILNS1_3genE4ELNS1_11target_archE910ELNS1_3gpuE8ELNS1_3repE0EEENS1_30default_config_static_selectorELNS0_4arch9wavefront6targetE1EEEvS12_,"axG",@progbits,_ZN7rocprim17ROCPRIM_400000_NS6detail17trampoline_kernelINS0_13select_configILj256ELj13ELNS0_17block_load_methodE3ELS4_3ELS4_3ELNS0_20block_scan_algorithmE0ELj4294967295EEENS1_25partition_config_selectorILNS1_17partition_subalgoE4EjNS0_10empty_typeEbEEZZNS1_14partition_implILS8_4ELb0ES6_15HIP_vector_typeIjLj2EENS0_17counting_iteratorIjlEEPS9_SG_NS0_5tupleIJPjSI_NS0_16reverse_iteratorISI_EEEEENSH_IJSG_SG_SG_EEES9_SI_JZNS1_25segmented_radix_sort_implINS0_14default_configELb0EPKhPhPKlPlN2at6native12_GLOBAL__N_18offset_tEEE10hipError_tPvRmT1_PNSt15iterator_traitsIS12_E10value_typeET2_T3_PNS13_IS18_E10value_typeET4_jRbjT5_S1E_jjP12ihipStream_tbEUljE_ZNSN_ISO_Lb0ESQ_SR_ST_SU_SY_EESZ_S10_S11_S12_S16_S17_S18_S1B_S1C_jS1D_jS1E_S1E_jjS1G_bEUljE0_EEESZ_S10_S11_S18_S1C_S1E_T6_T7_T9_mT8_S1G_bDpT10_ENKUlT_T0_E_clISt17integral_constantIbLb1EES1T_IbLb0EEEEDaS1P_S1Q_EUlS1P_E_NS1_11comp_targetILNS1_3genE4ELNS1_11target_archE910ELNS1_3gpuE8ELNS1_3repE0EEENS1_30default_config_static_selectorELNS0_4arch9wavefront6targetE1EEEvS12_,comdat
.Lfunc_end140:
	.size	_ZN7rocprim17ROCPRIM_400000_NS6detail17trampoline_kernelINS0_13select_configILj256ELj13ELNS0_17block_load_methodE3ELS4_3ELS4_3ELNS0_20block_scan_algorithmE0ELj4294967295EEENS1_25partition_config_selectorILNS1_17partition_subalgoE4EjNS0_10empty_typeEbEEZZNS1_14partition_implILS8_4ELb0ES6_15HIP_vector_typeIjLj2EENS0_17counting_iteratorIjlEEPS9_SG_NS0_5tupleIJPjSI_NS0_16reverse_iteratorISI_EEEEENSH_IJSG_SG_SG_EEES9_SI_JZNS1_25segmented_radix_sort_implINS0_14default_configELb0EPKhPhPKlPlN2at6native12_GLOBAL__N_18offset_tEEE10hipError_tPvRmT1_PNSt15iterator_traitsIS12_E10value_typeET2_T3_PNS13_IS18_E10value_typeET4_jRbjT5_S1E_jjP12ihipStream_tbEUljE_ZNSN_ISO_Lb0ESQ_SR_ST_SU_SY_EESZ_S10_S11_S12_S16_S17_S18_S1B_S1C_jS1D_jS1E_S1E_jjS1G_bEUljE0_EEESZ_S10_S11_S18_S1C_S1E_T6_T7_T9_mT8_S1G_bDpT10_ENKUlT_T0_E_clISt17integral_constantIbLb1EES1T_IbLb0EEEEDaS1P_S1Q_EUlS1P_E_NS1_11comp_targetILNS1_3genE4ELNS1_11target_archE910ELNS1_3gpuE8ELNS1_3repE0EEENS1_30default_config_static_selectorELNS0_4arch9wavefront6targetE1EEEvS12_, .Lfunc_end140-_ZN7rocprim17ROCPRIM_400000_NS6detail17trampoline_kernelINS0_13select_configILj256ELj13ELNS0_17block_load_methodE3ELS4_3ELS4_3ELNS0_20block_scan_algorithmE0ELj4294967295EEENS1_25partition_config_selectorILNS1_17partition_subalgoE4EjNS0_10empty_typeEbEEZZNS1_14partition_implILS8_4ELb0ES6_15HIP_vector_typeIjLj2EENS0_17counting_iteratorIjlEEPS9_SG_NS0_5tupleIJPjSI_NS0_16reverse_iteratorISI_EEEEENSH_IJSG_SG_SG_EEES9_SI_JZNS1_25segmented_radix_sort_implINS0_14default_configELb0EPKhPhPKlPlN2at6native12_GLOBAL__N_18offset_tEEE10hipError_tPvRmT1_PNSt15iterator_traitsIS12_E10value_typeET2_T3_PNS13_IS18_E10value_typeET4_jRbjT5_S1E_jjP12ihipStream_tbEUljE_ZNSN_ISO_Lb0ESQ_SR_ST_SU_SY_EESZ_S10_S11_S12_S16_S17_S18_S1B_S1C_jS1D_jS1E_S1E_jjS1G_bEUljE0_EEESZ_S10_S11_S18_S1C_S1E_T6_T7_T9_mT8_S1G_bDpT10_ENKUlT_T0_E_clISt17integral_constantIbLb1EES1T_IbLb0EEEEDaS1P_S1Q_EUlS1P_E_NS1_11comp_targetILNS1_3genE4ELNS1_11target_archE910ELNS1_3gpuE8ELNS1_3repE0EEENS1_30default_config_static_selectorELNS0_4arch9wavefront6targetE1EEEvS12_
                                        ; -- End function
	.section	.AMDGPU.csdata,"",@progbits
; Kernel info:
; codeLenInByte = 13412
; NumSgprs: 94
; NumVgprs: 102
; NumAgprs: 0
; TotalNumVgprs: 102
; ScratchSize: 0
; MemoryBound: 0
; FloatMode: 240
; IeeeMode: 1
; LDSByteSize: 13340 bytes/workgroup (compile time only)
; SGPRBlocks: 11
; VGPRBlocks: 12
; NumSGPRsForWavesPerEU: 94
; NumVGPRsForWavesPerEU: 102
; AccumOffset: 104
; Occupancy: 4
; WaveLimiterHint : 1
; COMPUTE_PGM_RSRC2:SCRATCH_EN: 0
; COMPUTE_PGM_RSRC2:USER_SGPR: 6
; COMPUTE_PGM_RSRC2:TRAP_HANDLER: 0
; COMPUTE_PGM_RSRC2:TGID_X_EN: 1
; COMPUTE_PGM_RSRC2:TGID_Y_EN: 0
; COMPUTE_PGM_RSRC2:TGID_Z_EN: 0
; COMPUTE_PGM_RSRC2:TIDIG_COMP_CNT: 0
; COMPUTE_PGM_RSRC3_GFX90A:ACCUM_OFFSET: 25
; COMPUTE_PGM_RSRC3_GFX90A:TG_SPLIT: 0
	.section	.text._ZN7rocprim17ROCPRIM_400000_NS6detail17trampoline_kernelINS0_13select_configILj256ELj13ELNS0_17block_load_methodE3ELS4_3ELS4_3ELNS0_20block_scan_algorithmE0ELj4294967295EEENS1_25partition_config_selectorILNS1_17partition_subalgoE4EjNS0_10empty_typeEbEEZZNS1_14partition_implILS8_4ELb0ES6_15HIP_vector_typeIjLj2EENS0_17counting_iteratorIjlEEPS9_SG_NS0_5tupleIJPjSI_NS0_16reverse_iteratorISI_EEEEENSH_IJSG_SG_SG_EEES9_SI_JZNS1_25segmented_radix_sort_implINS0_14default_configELb0EPKhPhPKlPlN2at6native12_GLOBAL__N_18offset_tEEE10hipError_tPvRmT1_PNSt15iterator_traitsIS12_E10value_typeET2_T3_PNS13_IS18_E10value_typeET4_jRbjT5_S1E_jjP12ihipStream_tbEUljE_ZNSN_ISO_Lb0ESQ_SR_ST_SU_SY_EESZ_S10_S11_S12_S16_S17_S18_S1B_S1C_jS1D_jS1E_S1E_jjS1G_bEUljE0_EEESZ_S10_S11_S18_S1C_S1E_T6_T7_T9_mT8_S1G_bDpT10_ENKUlT_T0_E_clISt17integral_constantIbLb1EES1T_IbLb0EEEEDaS1P_S1Q_EUlS1P_E_NS1_11comp_targetILNS1_3genE3ELNS1_11target_archE908ELNS1_3gpuE7ELNS1_3repE0EEENS1_30default_config_static_selectorELNS0_4arch9wavefront6targetE1EEEvS12_,"axG",@progbits,_ZN7rocprim17ROCPRIM_400000_NS6detail17trampoline_kernelINS0_13select_configILj256ELj13ELNS0_17block_load_methodE3ELS4_3ELS4_3ELNS0_20block_scan_algorithmE0ELj4294967295EEENS1_25partition_config_selectorILNS1_17partition_subalgoE4EjNS0_10empty_typeEbEEZZNS1_14partition_implILS8_4ELb0ES6_15HIP_vector_typeIjLj2EENS0_17counting_iteratorIjlEEPS9_SG_NS0_5tupleIJPjSI_NS0_16reverse_iteratorISI_EEEEENSH_IJSG_SG_SG_EEES9_SI_JZNS1_25segmented_radix_sort_implINS0_14default_configELb0EPKhPhPKlPlN2at6native12_GLOBAL__N_18offset_tEEE10hipError_tPvRmT1_PNSt15iterator_traitsIS12_E10value_typeET2_T3_PNS13_IS18_E10value_typeET4_jRbjT5_S1E_jjP12ihipStream_tbEUljE_ZNSN_ISO_Lb0ESQ_SR_ST_SU_SY_EESZ_S10_S11_S12_S16_S17_S18_S1B_S1C_jS1D_jS1E_S1E_jjS1G_bEUljE0_EEESZ_S10_S11_S18_S1C_S1E_T6_T7_T9_mT8_S1G_bDpT10_ENKUlT_T0_E_clISt17integral_constantIbLb1EES1T_IbLb0EEEEDaS1P_S1Q_EUlS1P_E_NS1_11comp_targetILNS1_3genE3ELNS1_11target_archE908ELNS1_3gpuE7ELNS1_3repE0EEENS1_30default_config_static_selectorELNS0_4arch9wavefront6targetE1EEEvS12_,comdat
	.globl	_ZN7rocprim17ROCPRIM_400000_NS6detail17trampoline_kernelINS0_13select_configILj256ELj13ELNS0_17block_load_methodE3ELS4_3ELS4_3ELNS0_20block_scan_algorithmE0ELj4294967295EEENS1_25partition_config_selectorILNS1_17partition_subalgoE4EjNS0_10empty_typeEbEEZZNS1_14partition_implILS8_4ELb0ES6_15HIP_vector_typeIjLj2EENS0_17counting_iteratorIjlEEPS9_SG_NS0_5tupleIJPjSI_NS0_16reverse_iteratorISI_EEEEENSH_IJSG_SG_SG_EEES9_SI_JZNS1_25segmented_radix_sort_implINS0_14default_configELb0EPKhPhPKlPlN2at6native12_GLOBAL__N_18offset_tEEE10hipError_tPvRmT1_PNSt15iterator_traitsIS12_E10value_typeET2_T3_PNS13_IS18_E10value_typeET4_jRbjT5_S1E_jjP12ihipStream_tbEUljE_ZNSN_ISO_Lb0ESQ_SR_ST_SU_SY_EESZ_S10_S11_S12_S16_S17_S18_S1B_S1C_jS1D_jS1E_S1E_jjS1G_bEUljE0_EEESZ_S10_S11_S18_S1C_S1E_T6_T7_T9_mT8_S1G_bDpT10_ENKUlT_T0_E_clISt17integral_constantIbLb1EES1T_IbLb0EEEEDaS1P_S1Q_EUlS1P_E_NS1_11comp_targetILNS1_3genE3ELNS1_11target_archE908ELNS1_3gpuE7ELNS1_3repE0EEENS1_30default_config_static_selectorELNS0_4arch9wavefront6targetE1EEEvS12_ ; -- Begin function _ZN7rocprim17ROCPRIM_400000_NS6detail17trampoline_kernelINS0_13select_configILj256ELj13ELNS0_17block_load_methodE3ELS4_3ELS4_3ELNS0_20block_scan_algorithmE0ELj4294967295EEENS1_25partition_config_selectorILNS1_17partition_subalgoE4EjNS0_10empty_typeEbEEZZNS1_14partition_implILS8_4ELb0ES6_15HIP_vector_typeIjLj2EENS0_17counting_iteratorIjlEEPS9_SG_NS0_5tupleIJPjSI_NS0_16reverse_iteratorISI_EEEEENSH_IJSG_SG_SG_EEES9_SI_JZNS1_25segmented_radix_sort_implINS0_14default_configELb0EPKhPhPKlPlN2at6native12_GLOBAL__N_18offset_tEEE10hipError_tPvRmT1_PNSt15iterator_traitsIS12_E10value_typeET2_T3_PNS13_IS18_E10value_typeET4_jRbjT5_S1E_jjP12ihipStream_tbEUljE_ZNSN_ISO_Lb0ESQ_SR_ST_SU_SY_EESZ_S10_S11_S12_S16_S17_S18_S1B_S1C_jS1D_jS1E_S1E_jjS1G_bEUljE0_EEESZ_S10_S11_S18_S1C_S1E_T6_T7_T9_mT8_S1G_bDpT10_ENKUlT_T0_E_clISt17integral_constantIbLb1EES1T_IbLb0EEEEDaS1P_S1Q_EUlS1P_E_NS1_11comp_targetILNS1_3genE3ELNS1_11target_archE908ELNS1_3gpuE7ELNS1_3repE0EEENS1_30default_config_static_selectorELNS0_4arch9wavefront6targetE1EEEvS12_
	.p2align	8
	.type	_ZN7rocprim17ROCPRIM_400000_NS6detail17trampoline_kernelINS0_13select_configILj256ELj13ELNS0_17block_load_methodE3ELS4_3ELS4_3ELNS0_20block_scan_algorithmE0ELj4294967295EEENS1_25partition_config_selectorILNS1_17partition_subalgoE4EjNS0_10empty_typeEbEEZZNS1_14partition_implILS8_4ELb0ES6_15HIP_vector_typeIjLj2EENS0_17counting_iteratorIjlEEPS9_SG_NS0_5tupleIJPjSI_NS0_16reverse_iteratorISI_EEEEENSH_IJSG_SG_SG_EEES9_SI_JZNS1_25segmented_radix_sort_implINS0_14default_configELb0EPKhPhPKlPlN2at6native12_GLOBAL__N_18offset_tEEE10hipError_tPvRmT1_PNSt15iterator_traitsIS12_E10value_typeET2_T3_PNS13_IS18_E10value_typeET4_jRbjT5_S1E_jjP12ihipStream_tbEUljE_ZNSN_ISO_Lb0ESQ_SR_ST_SU_SY_EESZ_S10_S11_S12_S16_S17_S18_S1B_S1C_jS1D_jS1E_S1E_jjS1G_bEUljE0_EEESZ_S10_S11_S18_S1C_S1E_T6_T7_T9_mT8_S1G_bDpT10_ENKUlT_T0_E_clISt17integral_constantIbLb1EES1T_IbLb0EEEEDaS1P_S1Q_EUlS1P_E_NS1_11comp_targetILNS1_3genE3ELNS1_11target_archE908ELNS1_3gpuE7ELNS1_3repE0EEENS1_30default_config_static_selectorELNS0_4arch9wavefront6targetE1EEEvS12_,@function
_ZN7rocprim17ROCPRIM_400000_NS6detail17trampoline_kernelINS0_13select_configILj256ELj13ELNS0_17block_load_methodE3ELS4_3ELS4_3ELNS0_20block_scan_algorithmE0ELj4294967295EEENS1_25partition_config_selectorILNS1_17partition_subalgoE4EjNS0_10empty_typeEbEEZZNS1_14partition_implILS8_4ELb0ES6_15HIP_vector_typeIjLj2EENS0_17counting_iteratorIjlEEPS9_SG_NS0_5tupleIJPjSI_NS0_16reverse_iteratorISI_EEEEENSH_IJSG_SG_SG_EEES9_SI_JZNS1_25segmented_radix_sort_implINS0_14default_configELb0EPKhPhPKlPlN2at6native12_GLOBAL__N_18offset_tEEE10hipError_tPvRmT1_PNSt15iterator_traitsIS12_E10value_typeET2_T3_PNS13_IS18_E10value_typeET4_jRbjT5_S1E_jjP12ihipStream_tbEUljE_ZNSN_ISO_Lb0ESQ_SR_ST_SU_SY_EESZ_S10_S11_S12_S16_S17_S18_S1B_S1C_jS1D_jS1E_S1E_jjS1G_bEUljE0_EEESZ_S10_S11_S18_S1C_S1E_T6_T7_T9_mT8_S1G_bDpT10_ENKUlT_T0_E_clISt17integral_constantIbLb1EES1T_IbLb0EEEEDaS1P_S1Q_EUlS1P_E_NS1_11comp_targetILNS1_3genE3ELNS1_11target_archE908ELNS1_3gpuE7ELNS1_3repE0EEENS1_30default_config_static_selectorELNS0_4arch9wavefront6targetE1EEEvS12_: ; @_ZN7rocprim17ROCPRIM_400000_NS6detail17trampoline_kernelINS0_13select_configILj256ELj13ELNS0_17block_load_methodE3ELS4_3ELS4_3ELNS0_20block_scan_algorithmE0ELj4294967295EEENS1_25partition_config_selectorILNS1_17partition_subalgoE4EjNS0_10empty_typeEbEEZZNS1_14partition_implILS8_4ELb0ES6_15HIP_vector_typeIjLj2EENS0_17counting_iteratorIjlEEPS9_SG_NS0_5tupleIJPjSI_NS0_16reverse_iteratorISI_EEEEENSH_IJSG_SG_SG_EEES9_SI_JZNS1_25segmented_radix_sort_implINS0_14default_configELb0EPKhPhPKlPlN2at6native12_GLOBAL__N_18offset_tEEE10hipError_tPvRmT1_PNSt15iterator_traitsIS12_E10value_typeET2_T3_PNS13_IS18_E10value_typeET4_jRbjT5_S1E_jjP12ihipStream_tbEUljE_ZNSN_ISO_Lb0ESQ_SR_ST_SU_SY_EESZ_S10_S11_S12_S16_S17_S18_S1B_S1C_jS1D_jS1E_S1E_jjS1G_bEUljE0_EEESZ_S10_S11_S18_S1C_S1E_T6_T7_T9_mT8_S1G_bDpT10_ENKUlT_T0_E_clISt17integral_constantIbLb1EES1T_IbLb0EEEEDaS1P_S1Q_EUlS1P_E_NS1_11comp_targetILNS1_3genE3ELNS1_11target_archE908ELNS1_3gpuE7ELNS1_3repE0EEENS1_30default_config_static_selectorELNS0_4arch9wavefront6targetE1EEEvS12_
; %bb.0:
	.section	.rodata,"a",@progbits
	.p2align	6, 0x0
	.amdhsa_kernel _ZN7rocprim17ROCPRIM_400000_NS6detail17trampoline_kernelINS0_13select_configILj256ELj13ELNS0_17block_load_methodE3ELS4_3ELS4_3ELNS0_20block_scan_algorithmE0ELj4294967295EEENS1_25partition_config_selectorILNS1_17partition_subalgoE4EjNS0_10empty_typeEbEEZZNS1_14partition_implILS8_4ELb0ES6_15HIP_vector_typeIjLj2EENS0_17counting_iteratorIjlEEPS9_SG_NS0_5tupleIJPjSI_NS0_16reverse_iteratorISI_EEEEENSH_IJSG_SG_SG_EEES9_SI_JZNS1_25segmented_radix_sort_implINS0_14default_configELb0EPKhPhPKlPlN2at6native12_GLOBAL__N_18offset_tEEE10hipError_tPvRmT1_PNSt15iterator_traitsIS12_E10value_typeET2_T3_PNS13_IS18_E10value_typeET4_jRbjT5_S1E_jjP12ihipStream_tbEUljE_ZNSN_ISO_Lb0ESQ_SR_ST_SU_SY_EESZ_S10_S11_S12_S16_S17_S18_S1B_S1C_jS1D_jS1E_S1E_jjS1G_bEUljE0_EEESZ_S10_S11_S18_S1C_S1E_T6_T7_T9_mT8_S1G_bDpT10_ENKUlT_T0_E_clISt17integral_constantIbLb1EES1T_IbLb0EEEEDaS1P_S1Q_EUlS1P_E_NS1_11comp_targetILNS1_3genE3ELNS1_11target_archE908ELNS1_3gpuE7ELNS1_3repE0EEENS1_30default_config_static_selectorELNS0_4arch9wavefront6targetE1EEEvS12_
		.amdhsa_group_segment_fixed_size 0
		.amdhsa_private_segment_fixed_size 0
		.amdhsa_kernarg_size 176
		.amdhsa_user_sgpr_count 6
		.amdhsa_user_sgpr_private_segment_buffer 1
		.amdhsa_user_sgpr_dispatch_ptr 0
		.amdhsa_user_sgpr_queue_ptr 0
		.amdhsa_user_sgpr_kernarg_segment_ptr 1
		.amdhsa_user_sgpr_dispatch_id 0
		.amdhsa_user_sgpr_flat_scratch_init 0
		.amdhsa_user_sgpr_kernarg_preload_length 0
		.amdhsa_user_sgpr_kernarg_preload_offset 0
		.amdhsa_user_sgpr_private_segment_size 0
		.amdhsa_uses_dynamic_stack 0
		.amdhsa_system_sgpr_private_segment_wavefront_offset 0
		.amdhsa_system_sgpr_workgroup_id_x 1
		.amdhsa_system_sgpr_workgroup_id_y 0
		.amdhsa_system_sgpr_workgroup_id_z 0
		.amdhsa_system_sgpr_workgroup_info 0
		.amdhsa_system_vgpr_workitem_id 0
		.amdhsa_next_free_vgpr 1
		.amdhsa_next_free_sgpr 0
		.amdhsa_accum_offset 4
		.amdhsa_reserve_vcc 0
		.amdhsa_reserve_flat_scratch 0
		.amdhsa_float_round_mode_32 0
		.amdhsa_float_round_mode_16_64 0
		.amdhsa_float_denorm_mode_32 3
		.amdhsa_float_denorm_mode_16_64 3
		.amdhsa_dx10_clamp 1
		.amdhsa_ieee_mode 1
		.amdhsa_fp16_overflow 0
		.amdhsa_tg_split 0
		.amdhsa_exception_fp_ieee_invalid_op 0
		.amdhsa_exception_fp_denorm_src 0
		.amdhsa_exception_fp_ieee_div_zero 0
		.amdhsa_exception_fp_ieee_overflow 0
		.amdhsa_exception_fp_ieee_underflow 0
		.amdhsa_exception_fp_ieee_inexact 0
		.amdhsa_exception_int_div_zero 0
	.end_amdhsa_kernel
	.section	.text._ZN7rocprim17ROCPRIM_400000_NS6detail17trampoline_kernelINS0_13select_configILj256ELj13ELNS0_17block_load_methodE3ELS4_3ELS4_3ELNS0_20block_scan_algorithmE0ELj4294967295EEENS1_25partition_config_selectorILNS1_17partition_subalgoE4EjNS0_10empty_typeEbEEZZNS1_14partition_implILS8_4ELb0ES6_15HIP_vector_typeIjLj2EENS0_17counting_iteratorIjlEEPS9_SG_NS0_5tupleIJPjSI_NS0_16reverse_iteratorISI_EEEEENSH_IJSG_SG_SG_EEES9_SI_JZNS1_25segmented_radix_sort_implINS0_14default_configELb0EPKhPhPKlPlN2at6native12_GLOBAL__N_18offset_tEEE10hipError_tPvRmT1_PNSt15iterator_traitsIS12_E10value_typeET2_T3_PNS13_IS18_E10value_typeET4_jRbjT5_S1E_jjP12ihipStream_tbEUljE_ZNSN_ISO_Lb0ESQ_SR_ST_SU_SY_EESZ_S10_S11_S12_S16_S17_S18_S1B_S1C_jS1D_jS1E_S1E_jjS1G_bEUljE0_EEESZ_S10_S11_S18_S1C_S1E_T6_T7_T9_mT8_S1G_bDpT10_ENKUlT_T0_E_clISt17integral_constantIbLb1EES1T_IbLb0EEEEDaS1P_S1Q_EUlS1P_E_NS1_11comp_targetILNS1_3genE3ELNS1_11target_archE908ELNS1_3gpuE7ELNS1_3repE0EEENS1_30default_config_static_selectorELNS0_4arch9wavefront6targetE1EEEvS12_,"axG",@progbits,_ZN7rocprim17ROCPRIM_400000_NS6detail17trampoline_kernelINS0_13select_configILj256ELj13ELNS0_17block_load_methodE3ELS4_3ELS4_3ELNS0_20block_scan_algorithmE0ELj4294967295EEENS1_25partition_config_selectorILNS1_17partition_subalgoE4EjNS0_10empty_typeEbEEZZNS1_14partition_implILS8_4ELb0ES6_15HIP_vector_typeIjLj2EENS0_17counting_iteratorIjlEEPS9_SG_NS0_5tupleIJPjSI_NS0_16reverse_iteratorISI_EEEEENSH_IJSG_SG_SG_EEES9_SI_JZNS1_25segmented_radix_sort_implINS0_14default_configELb0EPKhPhPKlPlN2at6native12_GLOBAL__N_18offset_tEEE10hipError_tPvRmT1_PNSt15iterator_traitsIS12_E10value_typeET2_T3_PNS13_IS18_E10value_typeET4_jRbjT5_S1E_jjP12ihipStream_tbEUljE_ZNSN_ISO_Lb0ESQ_SR_ST_SU_SY_EESZ_S10_S11_S12_S16_S17_S18_S1B_S1C_jS1D_jS1E_S1E_jjS1G_bEUljE0_EEESZ_S10_S11_S18_S1C_S1E_T6_T7_T9_mT8_S1G_bDpT10_ENKUlT_T0_E_clISt17integral_constantIbLb1EES1T_IbLb0EEEEDaS1P_S1Q_EUlS1P_E_NS1_11comp_targetILNS1_3genE3ELNS1_11target_archE908ELNS1_3gpuE7ELNS1_3repE0EEENS1_30default_config_static_selectorELNS0_4arch9wavefront6targetE1EEEvS12_,comdat
.Lfunc_end141:
	.size	_ZN7rocprim17ROCPRIM_400000_NS6detail17trampoline_kernelINS0_13select_configILj256ELj13ELNS0_17block_load_methodE3ELS4_3ELS4_3ELNS0_20block_scan_algorithmE0ELj4294967295EEENS1_25partition_config_selectorILNS1_17partition_subalgoE4EjNS0_10empty_typeEbEEZZNS1_14partition_implILS8_4ELb0ES6_15HIP_vector_typeIjLj2EENS0_17counting_iteratorIjlEEPS9_SG_NS0_5tupleIJPjSI_NS0_16reverse_iteratorISI_EEEEENSH_IJSG_SG_SG_EEES9_SI_JZNS1_25segmented_radix_sort_implINS0_14default_configELb0EPKhPhPKlPlN2at6native12_GLOBAL__N_18offset_tEEE10hipError_tPvRmT1_PNSt15iterator_traitsIS12_E10value_typeET2_T3_PNS13_IS18_E10value_typeET4_jRbjT5_S1E_jjP12ihipStream_tbEUljE_ZNSN_ISO_Lb0ESQ_SR_ST_SU_SY_EESZ_S10_S11_S12_S16_S17_S18_S1B_S1C_jS1D_jS1E_S1E_jjS1G_bEUljE0_EEESZ_S10_S11_S18_S1C_S1E_T6_T7_T9_mT8_S1G_bDpT10_ENKUlT_T0_E_clISt17integral_constantIbLb1EES1T_IbLb0EEEEDaS1P_S1Q_EUlS1P_E_NS1_11comp_targetILNS1_3genE3ELNS1_11target_archE908ELNS1_3gpuE7ELNS1_3repE0EEENS1_30default_config_static_selectorELNS0_4arch9wavefront6targetE1EEEvS12_, .Lfunc_end141-_ZN7rocprim17ROCPRIM_400000_NS6detail17trampoline_kernelINS0_13select_configILj256ELj13ELNS0_17block_load_methodE3ELS4_3ELS4_3ELNS0_20block_scan_algorithmE0ELj4294967295EEENS1_25partition_config_selectorILNS1_17partition_subalgoE4EjNS0_10empty_typeEbEEZZNS1_14partition_implILS8_4ELb0ES6_15HIP_vector_typeIjLj2EENS0_17counting_iteratorIjlEEPS9_SG_NS0_5tupleIJPjSI_NS0_16reverse_iteratorISI_EEEEENSH_IJSG_SG_SG_EEES9_SI_JZNS1_25segmented_radix_sort_implINS0_14default_configELb0EPKhPhPKlPlN2at6native12_GLOBAL__N_18offset_tEEE10hipError_tPvRmT1_PNSt15iterator_traitsIS12_E10value_typeET2_T3_PNS13_IS18_E10value_typeET4_jRbjT5_S1E_jjP12ihipStream_tbEUljE_ZNSN_ISO_Lb0ESQ_SR_ST_SU_SY_EESZ_S10_S11_S12_S16_S17_S18_S1B_S1C_jS1D_jS1E_S1E_jjS1G_bEUljE0_EEESZ_S10_S11_S18_S1C_S1E_T6_T7_T9_mT8_S1G_bDpT10_ENKUlT_T0_E_clISt17integral_constantIbLb1EES1T_IbLb0EEEEDaS1P_S1Q_EUlS1P_E_NS1_11comp_targetILNS1_3genE3ELNS1_11target_archE908ELNS1_3gpuE7ELNS1_3repE0EEENS1_30default_config_static_selectorELNS0_4arch9wavefront6targetE1EEEvS12_
                                        ; -- End function
	.section	.AMDGPU.csdata,"",@progbits
; Kernel info:
; codeLenInByte = 0
; NumSgprs: 4
; NumVgprs: 0
; NumAgprs: 0
; TotalNumVgprs: 0
; ScratchSize: 0
; MemoryBound: 0
; FloatMode: 240
; IeeeMode: 1
; LDSByteSize: 0 bytes/workgroup (compile time only)
; SGPRBlocks: 0
; VGPRBlocks: 0
; NumSGPRsForWavesPerEU: 4
; NumVGPRsForWavesPerEU: 1
; AccumOffset: 4
; Occupancy: 8
; WaveLimiterHint : 0
; COMPUTE_PGM_RSRC2:SCRATCH_EN: 0
; COMPUTE_PGM_RSRC2:USER_SGPR: 6
; COMPUTE_PGM_RSRC2:TRAP_HANDLER: 0
; COMPUTE_PGM_RSRC2:TGID_X_EN: 1
; COMPUTE_PGM_RSRC2:TGID_Y_EN: 0
; COMPUTE_PGM_RSRC2:TGID_Z_EN: 0
; COMPUTE_PGM_RSRC2:TIDIG_COMP_CNT: 0
; COMPUTE_PGM_RSRC3_GFX90A:ACCUM_OFFSET: 0
; COMPUTE_PGM_RSRC3_GFX90A:TG_SPLIT: 0
	.section	.text._ZN7rocprim17ROCPRIM_400000_NS6detail17trampoline_kernelINS0_13select_configILj256ELj13ELNS0_17block_load_methodE3ELS4_3ELS4_3ELNS0_20block_scan_algorithmE0ELj4294967295EEENS1_25partition_config_selectorILNS1_17partition_subalgoE4EjNS0_10empty_typeEbEEZZNS1_14partition_implILS8_4ELb0ES6_15HIP_vector_typeIjLj2EENS0_17counting_iteratorIjlEEPS9_SG_NS0_5tupleIJPjSI_NS0_16reverse_iteratorISI_EEEEENSH_IJSG_SG_SG_EEES9_SI_JZNS1_25segmented_radix_sort_implINS0_14default_configELb0EPKhPhPKlPlN2at6native12_GLOBAL__N_18offset_tEEE10hipError_tPvRmT1_PNSt15iterator_traitsIS12_E10value_typeET2_T3_PNS13_IS18_E10value_typeET4_jRbjT5_S1E_jjP12ihipStream_tbEUljE_ZNSN_ISO_Lb0ESQ_SR_ST_SU_SY_EESZ_S10_S11_S12_S16_S17_S18_S1B_S1C_jS1D_jS1E_S1E_jjS1G_bEUljE0_EEESZ_S10_S11_S18_S1C_S1E_T6_T7_T9_mT8_S1G_bDpT10_ENKUlT_T0_E_clISt17integral_constantIbLb1EES1T_IbLb0EEEEDaS1P_S1Q_EUlS1P_E_NS1_11comp_targetILNS1_3genE2ELNS1_11target_archE906ELNS1_3gpuE6ELNS1_3repE0EEENS1_30default_config_static_selectorELNS0_4arch9wavefront6targetE1EEEvS12_,"axG",@progbits,_ZN7rocprim17ROCPRIM_400000_NS6detail17trampoline_kernelINS0_13select_configILj256ELj13ELNS0_17block_load_methodE3ELS4_3ELS4_3ELNS0_20block_scan_algorithmE0ELj4294967295EEENS1_25partition_config_selectorILNS1_17partition_subalgoE4EjNS0_10empty_typeEbEEZZNS1_14partition_implILS8_4ELb0ES6_15HIP_vector_typeIjLj2EENS0_17counting_iteratorIjlEEPS9_SG_NS0_5tupleIJPjSI_NS0_16reverse_iteratorISI_EEEEENSH_IJSG_SG_SG_EEES9_SI_JZNS1_25segmented_radix_sort_implINS0_14default_configELb0EPKhPhPKlPlN2at6native12_GLOBAL__N_18offset_tEEE10hipError_tPvRmT1_PNSt15iterator_traitsIS12_E10value_typeET2_T3_PNS13_IS18_E10value_typeET4_jRbjT5_S1E_jjP12ihipStream_tbEUljE_ZNSN_ISO_Lb0ESQ_SR_ST_SU_SY_EESZ_S10_S11_S12_S16_S17_S18_S1B_S1C_jS1D_jS1E_S1E_jjS1G_bEUljE0_EEESZ_S10_S11_S18_S1C_S1E_T6_T7_T9_mT8_S1G_bDpT10_ENKUlT_T0_E_clISt17integral_constantIbLb1EES1T_IbLb0EEEEDaS1P_S1Q_EUlS1P_E_NS1_11comp_targetILNS1_3genE2ELNS1_11target_archE906ELNS1_3gpuE6ELNS1_3repE0EEENS1_30default_config_static_selectorELNS0_4arch9wavefront6targetE1EEEvS12_,comdat
	.globl	_ZN7rocprim17ROCPRIM_400000_NS6detail17trampoline_kernelINS0_13select_configILj256ELj13ELNS0_17block_load_methodE3ELS4_3ELS4_3ELNS0_20block_scan_algorithmE0ELj4294967295EEENS1_25partition_config_selectorILNS1_17partition_subalgoE4EjNS0_10empty_typeEbEEZZNS1_14partition_implILS8_4ELb0ES6_15HIP_vector_typeIjLj2EENS0_17counting_iteratorIjlEEPS9_SG_NS0_5tupleIJPjSI_NS0_16reverse_iteratorISI_EEEEENSH_IJSG_SG_SG_EEES9_SI_JZNS1_25segmented_radix_sort_implINS0_14default_configELb0EPKhPhPKlPlN2at6native12_GLOBAL__N_18offset_tEEE10hipError_tPvRmT1_PNSt15iterator_traitsIS12_E10value_typeET2_T3_PNS13_IS18_E10value_typeET4_jRbjT5_S1E_jjP12ihipStream_tbEUljE_ZNSN_ISO_Lb0ESQ_SR_ST_SU_SY_EESZ_S10_S11_S12_S16_S17_S18_S1B_S1C_jS1D_jS1E_S1E_jjS1G_bEUljE0_EEESZ_S10_S11_S18_S1C_S1E_T6_T7_T9_mT8_S1G_bDpT10_ENKUlT_T0_E_clISt17integral_constantIbLb1EES1T_IbLb0EEEEDaS1P_S1Q_EUlS1P_E_NS1_11comp_targetILNS1_3genE2ELNS1_11target_archE906ELNS1_3gpuE6ELNS1_3repE0EEENS1_30default_config_static_selectorELNS0_4arch9wavefront6targetE1EEEvS12_ ; -- Begin function _ZN7rocprim17ROCPRIM_400000_NS6detail17trampoline_kernelINS0_13select_configILj256ELj13ELNS0_17block_load_methodE3ELS4_3ELS4_3ELNS0_20block_scan_algorithmE0ELj4294967295EEENS1_25partition_config_selectorILNS1_17partition_subalgoE4EjNS0_10empty_typeEbEEZZNS1_14partition_implILS8_4ELb0ES6_15HIP_vector_typeIjLj2EENS0_17counting_iteratorIjlEEPS9_SG_NS0_5tupleIJPjSI_NS0_16reverse_iteratorISI_EEEEENSH_IJSG_SG_SG_EEES9_SI_JZNS1_25segmented_radix_sort_implINS0_14default_configELb0EPKhPhPKlPlN2at6native12_GLOBAL__N_18offset_tEEE10hipError_tPvRmT1_PNSt15iterator_traitsIS12_E10value_typeET2_T3_PNS13_IS18_E10value_typeET4_jRbjT5_S1E_jjP12ihipStream_tbEUljE_ZNSN_ISO_Lb0ESQ_SR_ST_SU_SY_EESZ_S10_S11_S12_S16_S17_S18_S1B_S1C_jS1D_jS1E_S1E_jjS1G_bEUljE0_EEESZ_S10_S11_S18_S1C_S1E_T6_T7_T9_mT8_S1G_bDpT10_ENKUlT_T0_E_clISt17integral_constantIbLb1EES1T_IbLb0EEEEDaS1P_S1Q_EUlS1P_E_NS1_11comp_targetILNS1_3genE2ELNS1_11target_archE906ELNS1_3gpuE6ELNS1_3repE0EEENS1_30default_config_static_selectorELNS0_4arch9wavefront6targetE1EEEvS12_
	.p2align	8
	.type	_ZN7rocprim17ROCPRIM_400000_NS6detail17trampoline_kernelINS0_13select_configILj256ELj13ELNS0_17block_load_methodE3ELS4_3ELS4_3ELNS0_20block_scan_algorithmE0ELj4294967295EEENS1_25partition_config_selectorILNS1_17partition_subalgoE4EjNS0_10empty_typeEbEEZZNS1_14partition_implILS8_4ELb0ES6_15HIP_vector_typeIjLj2EENS0_17counting_iteratorIjlEEPS9_SG_NS0_5tupleIJPjSI_NS0_16reverse_iteratorISI_EEEEENSH_IJSG_SG_SG_EEES9_SI_JZNS1_25segmented_radix_sort_implINS0_14default_configELb0EPKhPhPKlPlN2at6native12_GLOBAL__N_18offset_tEEE10hipError_tPvRmT1_PNSt15iterator_traitsIS12_E10value_typeET2_T3_PNS13_IS18_E10value_typeET4_jRbjT5_S1E_jjP12ihipStream_tbEUljE_ZNSN_ISO_Lb0ESQ_SR_ST_SU_SY_EESZ_S10_S11_S12_S16_S17_S18_S1B_S1C_jS1D_jS1E_S1E_jjS1G_bEUljE0_EEESZ_S10_S11_S18_S1C_S1E_T6_T7_T9_mT8_S1G_bDpT10_ENKUlT_T0_E_clISt17integral_constantIbLb1EES1T_IbLb0EEEEDaS1P_S1Q_EUlS1P_E_NS1_11comp_targetILNS1_3genE2ELNS1_11target_archE906ELNS1_3gpuE6ELNS1_3repE0EEENS1_30default_config_static_selectorELNS0_4arch9wavefront6targetE1EEEvS12_,@function
_ZN7rocprim17ROCPRIM_400000_NS6detail17trampoline_kernelINS0_13select_configILj256ELj13ELNS0_17block_load_methodE3ELS4_3ELS4_3ELNS0_20block_scan_algorithmE0ELj4294967295EEENS1_25partition_config_selectorILNS1_17partition_subalgoE4EjNS0_10empty_typeEbEEZZNS1_14partition_implILS8_4ELb0ES6_15HIP_vector_typeIjLj2EENS0_17counting_iteratorIjlEEPS9_SG_NS0_5tupleIJPjSI_NS0_16reverse_iteratorISI_EEEEENSH_IJSG_SG_SG_EEES9_SI_JZNS1_25segmented_radix_sort_implINS0_14default_configELb0EPKhPhPKlPlN2at6native12_GLOBAL__N_18offset_tEEE10hipError_tPvRmT1_PNSt15iterator_traitsIS12_E10value_typeET2_T3_PNS13_IS18_E10value_typeET4_jRbjT5_S1E_jjP12ihipStream_tbEUljE_ZNSN_ISO_Lb0ESQ_SR_ST_SU_SY_EESZ_S10_S11_S12_S16_S17_S18_S1B_S1C_jS1D_jS1E_S1E_jjS1G_bEUljE0_EEESZ_S10_S11_S18_S1C_S1E_T6_T7_T9_mT8_S1G_bDpT10_ENKUlT_T0_E_clISt17integral_constantIbLb1EES1T_IbLb0EEEEDaS1P_S1Q_EUlS1P_E_NS1_11comp_targetILNS1_3genE2ELNS1_11target_archE906ELNS1_3gpuE6ELNS1_3repE0EEENS1_30default_config_static_selectorELNS0_4arch9wavefront6targetE1EEEvS12_: ; @_ZN7rocprim17ROCPRIM_400000_NS6detail17trampoline_kernelINS0_13select_configILj256ELj13ELNS0_17block_load_methodE3ELS4_3ELS4_3ELNS0_20block_scan_algorithmE0ELj4294967295EEENS1_25partition_config_selectorILNS1_17partition_subalgoE4EjNS0_10empty_typeEbEEZZNS1_14partition_implILS8_4ELb0ES6_15HIP_vector_typeIjLj2EENS0_17counting_iteratorIjlEEPS9_SG_NS0_5tupleIJPjSI_NS0_16reverse_iteratorISI_EEEEENSH_IJSG_SG_SG_EEES9_SI_JZNS1_25segmented_radix_sort_implINS0_14default_configELb0EPKhPhPKlPlN2at6native12_GLOBAL__N_18offset_tEEE10hipError_tPvRmT1_PNSt15iterator_traitsIS12_E10value_typeET2_T3_PNS13_IS18_E10value_typeET4_jRbjT5_S1E_jjP12ihipStream_tbEUljE_ZNSN_ISO_Lb0ESQ_SR_ST_SU_SY_EESZ_S10_S11_S12_S16_S17_S18_S1B_S1C_jS1D_jS1E_S1E_jjS1G_bEUljE0_EEESZ_S10_S11_S18_S1C_S1E_T6_T7_T9_mT8_S1G_bDpT10_ENKUlT_T0_E_clISt17integral_constantIbLb1EES1T_IbLb0EEEEDaS1P_S1Q_EUlS1P_E_NS1_11comp_targetILNS1_3genE2ELNS1_11target_archE906ELNS1_3gpuE6ELNS1_3repE0EEENS1_30default_config_static_selectorELNS0_4arch9wavefront6targetE1EEEvS12_
; %bb.0:
	.section	.rodata,"a",@progbits
	.p2align	6, 0x0
	.amdhsa_kernel _ZN7rocprim17ROCPRIM_400000_NS6detail17trampoline_kernelINS0_13select_configILj256ELj13ELNS0_17block_load_methodE3ELS4_3ELS4_3ELNS0_20block_scan_algorithmE0ELj4294967295EEENS1_25partition_config_selectorILNS1_17partition_subalgoE4EjNS0_10empty_typeEbEEZZNS1_14partition_implILS8_4ELb0ES6_15HIP_vector_typeIjLj2EENS0_17counting_iteratorIjlEEPS9_SG_NS0_5tupleIJPjSI_NS0_16reverse_iteratorISI_EEEEENSH_IJSG_SG_SG_EEES9_SI_JZNS1_25segmented_radix_sort_implINS0_14default_configELb0EPKhPhPKlPlN2at6native12_GLOBAL__N_18offset_tEEE10hipError_tPvRmT1_PNSt15iterator_traitsIS12_E10value_typeET2_T3_PNS13_IS18_E10value_typeET4_jRbjT5_S1E_jjP12ihipStream_tbEUljE_ZNSN_ISO_Lb0ESQ_SR_ST_SU_SY_EESZ_S10_S11_S12_S16_S17_S18_S1B_S1C_jS1D_jS1E_S1E_jjS1G_bEUljE0_EEESZ_S10_S11_S18_S1C_S1E_T6_T7_T9_mT8_S1G_bDpT10_ENKUlT_T0_E_clISt17integral_constantIbLb1EES1T_IbLb0EEEEDaS1P_S1Q_EUlS1P_E_NS1_11comp_targetILNS1_3genE2ELNS1_11target_archE906ELNS1_3gpuE6ELNS1_3repE0EEENS1_30default_config_static_selectorELNS0_4arch9wavefront6targetE1EEEvS12_
		.amdhsa_group_segment_fixed_size 0
		.amdhsa_private_segment_fixed_size 0
		.amdhsa_kernarg_size 176
		.amdhsa_user_sgpr_count 6
		.amdhsa_user_sgpr_private_segment_buffer 1
		.amdhsa_user_sgpr_dispatch_ptr 0
		.amdhsa_user_sgpr_queue_ptr 0
		.amdhsa_user_sgpr_kernarg_segment_ptr 1
		.amdhsa_user_sgpr_dispatch_id 0
		.amdhsa_user_sgpr_flat_scratch_init 0
		.amdhsa_user_sgpr_kernarg_preload_length 0
		.amdhsa_user_sgpr_kernarg_preload_offset 0
		.amdhsa_user_sgpr_private_segment_size 0
		.amdhsa_uses_dynamic_stack 0
		.amdhsa_system_sgpr_private_segment_wavefront_offset 0
		.amdhsa_system_sgpr_workgroup_id_x 1
		.amdhsa_system_sgpr_workgroup_id_y 0
		.amdhsa_system_sgpr_workgroup_id_z 0
		.amdhsa_system_sgpr_workgroup_info 0
		.amdhsa_system_vgpr_workitem_id 0
		.amdhsa_next_free_vgpr 1
		.amdhsa_next_free_sgpr 0
		.amdhsa_accum_offset 4
		.amdhsa_reserve_vcc 0
		.amdhsa_reserve_flat_scratch 0
		.amdhsa_float_round_mode_32 0
		.amdhsa_float_round_mode_16_64 0
		.amdhsa_float_denorm_mode_32 3
		.amdhsa_float_denorm_mode_16_64 3
		.amdhsa_dx10_clamp 1
		.amdhsa_ieee_mode 1
		.amdhsa_fp16_overflow 0
		.amdhsa_tg_split 0
		.amdhsa_exception_fp_ieee_invalid_op 0
		.amdhsa_exception_fp_denorm_src 0
		.amdhsa_exception_fp_ieee_div_zero 0
		.amdhsa_exception_fp_ieee_overflow 0
		.amdhsa_exception_fp_ieee_underflow 0
		.amdhsa_exception_fp_ieee_inexact 0
		.amdhsa_exception_int_div_zero 0
	.end_amdhsa_kernel
	.section	.text._ZN7rocprim17ROCPRIM_400000_NS6detail17trampoline_kernelINS0_13select_configILj256ELj13ELNS0_17block_load_methodE3ELS4_3ELS4_3ELNS0_20block_scan_algorithmE0ELj4294967295EEENS1_25partition_config_selectorILNS1_17partition_subalgoE4EjNS0_10empty_typeEbEEZZNS1_14partition_implILS8_4ELb0ES6_15HIP_vector_typeIjLj2EENS0_17counting_iteratorIjlEEPS9_SG_NS0_5tupleIJPjSI_NS0_16reverse_iteratorISI_EEEEENSH_IJSG_SG_SG_EEES9_SI_JZNS1_25segmented_radix_sort_implINS0_14default_configELb0EPKhPhPKlPlN2at6native12_GLOBAL__N_18offset_tEEE10hipError_tPvRmT1_PNSt15iterator_traitsIS12_E10value_typeET2_T3_PNS13_IS18_E10value_typeET4_jRbjT5_S1E_jjP12ihipStream_tbEUljE_ZNSN_ISO_Lb0ESQ_SR_ST_SU_SY_EESZ_S10_S11_S12_S16_S17_S18_S1B_S1C_jS1D_jS1E_S1E_jjS1G_bEUljE0_EEESZ_S10_S11_S18_S1C_S1E_T6_T7_T9_mT8_S1G_bDpT10_ENKUlT_T0_E_clISt17integral_constantIbLb1EES1T_IbLb0EEEEDaS1P_S1Q_EUlS1P_E_NS1_11comp_targetILNS1_3genE2ELNS1_11target_archE906ELNS1_3gpuE6ELNS1_3repE0EEENS1_30default_config_static_selectorELNS0_4arch9wavefront6targetE1EEEvS12_,"axG",@progbits,_ZN7rocprim17ROCPRIM_400000_NS6detail17trampoline_kernelINS0_13select_configILj256ELj13ELNS0_17block_load_methodE3ELS4_3ELS4_3ELNS0_20block_scan_algorithmE0ELj4294967295EEENS1_25partition_config_selectorILNS1_17partition_subalgoE4EjNS0_10empty_typeEbEEZZNS1_14partition_implILS8_4ELb0ES6_15HIP_vector_typeIjLj2EENS0_17counting_iteratorIjlEEPS9_SG_NS0_5tupleIJPjSI_NS0_16reverse_iteratorISI_EEEEENSH_IJSG_SG_SG_EEES9_SI_JZNS1_25segmented_radix_sort_implINS0_14default_configELb0EPKhPhPKlPlN2at6native12_GLOBAL__N_18offset_tEEE10hipError_tPvRmT1_PNSt15iterator_traitsIS12_E10value_typeET2_T3_PNS13_IS18_E10value_typeET4_jRbjT5_S1E_jjP12ihipStream_tbEUljE_ZNSN_ISO_Lb0ESQ_SR_ST_SU_SY_EESZ_S10_S11_S12_S16_S17_S18_S1B_S1C_jS1D_jS1E_S1E_jjS1G_bEUljE0_EEESZ_S10_S11_S18_S1C_S1E_T6_T7_T9_mT8_S1G_bDpT10_ENKUlT_T0_E_clISt17integral_constantIbLb1EES1T_IbLb0EEEEDaS1P_S1Q_EUlS1P_E_NS1_11comp_targetILNS1_3genE2ELNS1_11target_archE906ELNS1_3gpuE6ELNS1_3repE0EEENS1_30default_config_static_selectorELNS0_4arch9wavefront6targetE1EEEvS12_,comdat
.Lfunc_end142:
	.size	_ZN7rocprim17ROCPRIM_400000_NS6detail17trampoline_kernelINS0_13select_configILj256ELj13ELNS0_17block_load_methodE3ELS4_3ELS4_3ELNS0_20block_scan_algorithmE0ELj4294967295EEENS1_25partition_config_selectorILNS1_17partition_subalgoE4EjNS0_10empty_typeEbEEZZNS1_14partition_implILS8_4ELb0ES6_15HIP_vector_typeIjLj2EENS0_17counting_iteratorIjlEEPS9_SG_NS0_5tupleIJPjSI_NS0_16reverse_iteratorISI_EEEEENSH_IJSG_SG_SG_EEES9_SI_JZNS1_25segmented_radix_sort_implINS0_14default_configELb0EPKhPhPKlPlN2at6native12_GLOBAL__N_18offset_tEEE10hipError_tPvRmT1_PNSt15iterator_traitsIS12_E10value_typeET2_T3_PNS13_IS18_E10value_typeET4_jRbjT5_S1E_jjP12ihipStream_tbEUljE_ZNSN_ISO_Lb0ESQ_SR_ST_SU_SY_EESZ_S10_S11_S12_S16_S17_S18_S1B_S1C_jS1D_jS1E_S1E_jjS1G_bEUljE0_EEESZ_S10_S11_S18_S1C_S1E_T6_T7_T9_mT8_S1G_bDpT10_ENKUlT_T0_E_clISt17integral_constantIbLb1EES1T_IbLb0EEEEDaS1P_S1Q_EUlS1P_E_NS1_11comp_targetILNS1_3genE2ELNS1_11target_archE906ELNS1_3gpuE6ELNS1_3repE0EEENS1_30default_config_static_selectorELNS0_4arch9wavefront6targetE1EEEvS12_, .Lfunc_end142-_ZN7rocprim17ROCPRIM_400000_NS6detail17trampoline_kernelINS0_13select_configILj256ELj13ELNS0_17block_load_methodE3ELS4_3ELS4_3ELNS0_20block_scan_algorithmE0ELj4294967295EEENS1_25partition_config_selectorILNS1_17partition_subalgoE4EjNS0_10empty_typeEbEEZZNS1_14partition_implILS8_4ELb0ES6_15HIP_vector_typeIjLj2EENS0_17counting_iteratorIjlEEPS9_SG_NS0_5tupleIJPjSI_NS0_16reverse_iteratorISI_EEEEENSH_IJSG_SG_SG_EEES9_SI_JZNS1_25segmented_radix_sort_implINS0_14default_configELb0EPKhPhPKlPlN2at6native12_GLOBAL__N_18offset_tEEE10hipError_tPvRmT1_PNSt15iterator_traitsIS12_E10value_typeET2_T3_PNS13_IS18_E10value_typeET4_jRbjT5_S1E_jjP12ihipStream_tbEUljE_ZNSN_ISO_Lb0ESQ_SR_ST_SU_SY_EESZ_S10_S11_S12_S16_S17_S18_S1B_S1C_jS1D_jS1E_S1E_jjS1G_bEUljE0_EEESZ_S10_S11_S18_S1C_S1E_T6_T7_T9_mT8_S1G_bDpT10_ENKUlT_T0_E_clISt17integral_constantIbLb1EES1T_IbLb0EEEEDaS1P_S1Q_EUlS1P_E_NS1_11comp_targetILNS1_3genE2ELNS1_11target_archE906ELNS1_3gpuE6ELNS1_3repE0EEENS1_30default_config_static_selectorELNS0_4arch9wavefront6targetE1EEEvS12_
                                        ; -- End function
	.section	.AMDGPU.csdata,"",@progbits
; Kernel info:
; codeLenInByte = 0
; NumSgprs: 4
; NumVgprs: 0
; NumAgprs: 0
; TotalNumVgprs: 0
; ScratchSize: 0
; MemoryBound: 0
; FloatMode: 240
; IeeeMode: 1
; LDSByteSize: 0 bytes/workgroup (compile time only)
; SGPRBlocks: 0
; VGPRBlocks: 0
; NumSGPRsForWavesPerEU: 4
; NumVGPRsForWavesPerEU: 1
; AccumOffset: 4
; Occupancy: 8
; WaveLimiterHint : 0
; COMPUTE_PGM_RSRC2:SCRATCH_EN: 0
; COMPUTE_PGM_RSRC2:USER_SGPR: 6
; COMPUTE_PGM_RSRC2:TRAP_HANDLER: 0
; COMPUTE_PGM_RSRC2:TGID_X_EN: 1
; COMPUTE_PGM_RSRC2:TGID_Y_EN: 0
; COMPUTE_PGM_RSRC2:TGID_Z_EN: 0
; COMPUTE_PGM_RSRC2:TIDIG_COMP_CNT: 0
; COMPUTE_PGM_RSRC3_GFX90A:ACCUM_OFFSET: 0
; COMPUTE_PGM_RSRC3_GFX90A:TG_SPLIT: 0
	.section	.text._ZN7rocprim17ROCPRIM_400000_NS6detail17trampoline_kernelINS0_13select_configILj256ELj13ELNS0_17block_load_methodE3ELS4_3ELS4_3ELNS0_20block_scan_algorithmE0ELj4294967295EEENS1_25partition_config_selectorILNS1_17partition_subalgoE4EjNS0_10empty_typeEbEEZZNS1_14partition_implILS8_4ELb0ES6_15HIP_vector_typeIjLj2EENS0_17counting_iteratorIjlEEPS9_SG_NS0_5tupleIJPjSI_NS0_16reverse_iteratorISI_EEEEENSH_IJSG_SG_SG_EEES9_SI_JZNS1_25segmented_radix_sort_implINS0_14default_configELb0EPKhPhPKlPlN2at6native12_GLOBAL__N_18offset_tEEE10hipError_tPvRmT1_PNSt15iterator_traitsIS12_E10value_typeET2_T3_PNS13_IS18_E10value_typeET4_jRbjT5_S1E_jjP12ihipStream_tbEUljE_ZNSN_ISO_Lb0ESQ_SR_ST_SU_SY_EESZ_S10_S11_S12_S16_S17_S18_S1B_S1C_jS1D_jS1E_S1E_jjS1G_bEUljE0_EEESZ_S10_S11_S18_S1C_S1E_T6_T7_T9_mT8_S1G_bDpT10_ENKUlT_T0_E_clISt17integral_constantIbLb1EES1T_IbLb0EEEEDaS1P_S1Q_EUlS1P_E_NS1_11comp_targetILNS1_3genE10ELNS1_11target_archE1200ELNS1_3gpuE4ELNS1_3repE0EEENS1_30default_config_static_selectorELNS0_4arch9wavefront6targetE1EEEvS12_,"axG",@progbits,_ZN7rocprim17ROCPRIM_400000_NS6detail17trampoline_kernelINS0_13select_configILj256ELj13ELNS0_17block_load_methodE3ELS4_3ELS4_3ELNS0_20block_scan_algorithmE0ELj4294967295EEENS1_25partition_config_selectorILNS1_17partition_subalgoE4EjNS0_10empty_typeEbEEZZNS1_14partition_implILS8_4ELb0ES6_15HIP_vector_typeIjLj2EENS0_17counting_iteratorIjlEEPS9_SG_NS0_5tupleIJPjSI_NS0_16reverse_iteratorISI_EEEEENSH_IJSG_SG_SG_EEES9_SI_JZNS1_25segmented_radix_sort_implINS0_14default_configELb0EPKhPhPKlPlN2at6native12_GLOBAL__N_18offset_tEEE10hipError_tPvRmT1_PNSt15iterator_traitsIS12_E10value_typeET2_T3_PNS13_IS18_E10value_typeET4_jRbjT5_S1E_jjP12ihipStream_tbEUljE_ZNSN_ISO_Lb0ESQ_SR_ST_SU_SY_EESZ_S10_S11_S12_S16_S17_S18_S1B_S1C_jS1D_jS1E_S1E_jjS1G_bEUljE0_EEESZ_S10_S11_S18_S1C_S1E_T6_T7_T9_mT8_S1G_bDpT10_ENKUlT_T0_E_clISt17integral_constantIbLb1EES1T_IbLb0EEEEDaS1P_S1Q_EUlS1P_E_NS1_11comp_targetILNS1_3genE10ELNS1_11target_archE1200ELNS1_3gpuE4ELNS1_3repE0EEENS1_30default_config_static_selectorELNS0_4arch9wavefront6targetE1EEEvS12_,comdat
	.globl	_ZN7rocprim17ROCPRIM_400000_NS6detail17trampoline_kernelINS0_13select_configILj256ELj13ELNS0_17block_load_methodE3ELS4_3ELS4_3ELNS0_20block_scan_algorithmE0ELj4294967295EEENS1_25partition_config_selectorILNS1_17partition_subalgoE4EjNS0_10empty_typeEbEEZZNS1_14partition_implILS8_4ELb0ES6_15HIP_vector_typeIjLj2EENS0_17counting_iteratorIjlEEPS9_SG_NS0_5tupleIJPjSI_NS0_16reverse_iteratorISI_EEEEENSH_IJSG_SG_SG_EEES9_SI_JZNS1_25segmented_radix_sort_implINS0_14default_configELb0EPKhPhPKlPlN2at6native12_GLOBAL__N_18offset_tEEE10hipError_tPvRmT1_PNSt15iterator_traitsIS12_E10value_typeET2_T3_PNS13_IS18_E10value_typeET4_jRbjT5_S1E_jjP12ihipStream_tbEUljE_ZNSN_ISO_Lb0ESQ_SR_ST_SU_SY_EESZ_S10_S11_S12_S16_S17_S18_S1B_S1C_jS1D_jS1E_S1E_jjS1G_bEUljE0_EEESZ_S10_S11_S18_S1C_S1E_T6_T7_T9_mT8_S1G_bDpT10_ENKUlT_T0_E_clISt17integral_constantIbLb1EES1T_IbLb0EEEEDaS1P_S1Q_EUlS1P_E_NS1_11comp_targetILNS1_3genE10ELNS1_11target_archE1200ELNS1_3gpuE4ELNS1_3repE0EEENS1_30default_config_static_selectorELNS0_4arch9wavefront6targetE1EEEvS12_ ; -- Begin function _ZN7rocprim17ROCPRIM_400000_NS6detail17trampoline_kernelINS0_13select_configILj256ELj13ELNS0_17block_load_methodE3ELS4_3ELS4_3ELNS0_20block_scan_algorithmE0ELj4294967295EEENS1_25partition_config_selectorILNS1_17partition_subalgoE4EjNS0_10empty_typeEbEEZZNS1_14partition_implILS8_4ELb0ES6_15HIP_vector_typeIjLj2EENS0_17counting_iteratorIjlEEPS9_SG_NS0_5tupleIJPjSI_NS0_16reverse_iteratorISI_EEEEENSH_IJSG_SG_SG_EEES9_SI_JZNS1_25segmented_radix_sort_implINS0_14default_configELb0EPKhPhPKlPlN2at6native12_GLOBAL__N_18offset_tEEE10hipError_tPvRmT1_PNSt15iterator_traitsIS12_E10value_typeET2_T3_PNS13_IS18_E10value_typeET4_jRbjT5_S1E_jjP12ihipStream_tbEUljE_ZNSN_ISO_Lb0ESQ_SR_ST_SU_SY_EESZ_S10_S11_S12_S16_S17_S18_S1B_S1C_jS1D_jS1E_S1E_jjS1G_bEUljE0_EEESZ_S10_S11_S18_S1C_S1E_T6_T7_T9_mT8_S1G_bDpT10_ENKUlT_T0_E_clISt17integral_constantIbLb1EES1T_IbLb0EEEEDaS1P_S1Q_EUlS1P_E_NS1_11comp_targetILNS1_3genE10ELNS1_11target_archE1200ELNS1_3gpuE4ELNS1_3repE0EEENS1_30default_config_static_selectorELNS0_4arch9wavefront6targetE1EEEvS12_
	.p2align	8
	.type	_ZN7rocprim17ROCPRIM_400000_NS6detail17trampoline_kernelINS0_13select_configILj256ELj13ELNS0_17block_load_methodE3ELS4_3ELS4_3ELNS0_20block_scan_algorithmE0ELj4294967295EEENS1_25partition_config_selectorILNS1_17partition_subalgoE4EjNS0_10empty_typeEbEEZZNS1_14partition_implILS8_4ELb0ES6_15HIP_vector_typeIjLj2EENS0_17counting_iteratorIjlEEPS9_SG_NS0_5tupleIJPjSI_NS0_16reverse_iteratorISI_EEEEENSH_IJSG_SG_SG_EEES9_SI_JZNS1_25segmented_radix_sort_implINS0_14default_configELb0EPKhPhPKlPlN2at6native12_GLOBAL__N_18offset_tEEE10hipError_tPvRmT1_PNSt15iterator_traitsIS12_E10value_typeET2_T3_PNS13_IS18_E10value_typeET4_jRbjT5_S1E_jjP12ihipStream_tbEUljE_ZNSN_ISO_Lb0ESQ_SR_ST_SU_SY_EESZ_S10_S11_S12_S16_S17_S18_S1B_S1C_jS1D_jS1E_S1E_jjS1G_bEUljE0_EEESZ_S10_S11_S18_S1C_S1E_T6_T7_T9_mT8_S1G_bDpT10_ENKUlT_T0_E_clISt17integral_constantIbLb1EES1T_IbLb0EEEEDaS1P_S1Q_EUlS1P_E_NS1_11comp_targetILNS1_3genE10ELNS1_11target_archE1200ELNS1_3gpuE4ELNS1_3repE0EEENS1_30default_config_static_selectorELNS0_4arch9wavefront6targetE1EEEvS12_,@function
_ZN7rocprim17ROCPRIM_400000_NS6detail17trampoline_kernelINS0_13select_configILj256ELj13ELNS0_17block_load_methodE3ELS4_3ELS4_3ELNS0_20block_scan_algorithmE0ELj4294967295EEENS1_25partition_config_selectorILNS1_17partition_subalgoE4EjNS0_10empty_typeEbEEZZNS1_14partition_implILS8_4ELb0ES6_15HIP_vector_typeIjLj2EENS0_17counting_iteratorIjlEEPS9_SG_NS0_5tupleIJPjSI_NS0_16reverse_iteratorISI_EEEEENSH_IJSG_SG_SG_EEES9_SI_JZNS1_25segmented_radix_sort_implINS0_14default_configELb0EPKhPhPKlPlN2at6native12_GLOBAL__N_18offset_tEEE10hipError_tPvRmT1_PNSt15iterator_traitsIS12_E10value_typeET2_T3_PNS13_IS18_E10value_typeET4_jRbjT5_S1E_jjP12ihipStream_tbEUljE_ZNSN_ISO_Lb0ESQ_SR_ST_SU_SY_EESZ_S10_S11_S12_S16_S17_S18_S1B_S1C_jS1D_jS1E_S1E_jjS1G_bEUljE0_EEESZ_S10_S11_S18_S1C_S1E_T6_T7_T9_mT8_S1G_bDpT10_ENKUlT_T0_E_clISt17integral_constantIbLb1EES1T_IbLb0EEEEDaS1P_S1Q_EUlS1P_E_NS1_11comp_targetILNS1_3genE10ELNS1_11target_archE1200ELNS1_3gpuE4ELNS1_3repE0EEENS1_30default_config_static_selectorELNS0_4arch9wavefront6targetE1EEEvS12_: ; @_ZN7rocprim17ROCPRIM_400000_NS6detail17trampoline_kernelINS0_13select_configILj256ELj13ELNS0_17block_load_methodE3ELS4_3ELS4_3ELNS0_20block_scan_algorithmE0ELj4294967295EEENS1_25partition_config_selectorILNS1_17partition_subalgoE4EjNS0_10empty_typeEbEEZZNS1_14partition_implILS8_4ELb0ES6_15HIP_vector_typeIjLj2EENS0_17counting_iteratorIjlEEPS9_SG_NS0_5tupleIJPjSI_NS0_16reverse_iteratorISI_EEEEENSH_IJSG_SG_SG_EEES9_SI_JZNS1_25segmented_radix_sort_implINS0_14default_configELb0EPKhPhPKlPlN2at6native12_GLOBAL__N_18offset_tEEE10hipError_tPvRmT1_PNSt15iterator_traitsIS12_E10value_typeET2_T3_PNS13_IS18_E10value_typeET4_jRbjT5_S1E_jjP12ihipStream_tbEUljE_ZNSN_ISO_Lb0ESQ_SR_ST_SU_SY_EESZ_S10_S11_S12_S16_S17_S18_S1B_S1C_jS1D_jS1E_S1E_jjS1G_bEUljE0_EEESZ_S10_S11_S18_S1C_S1E_T6_T7_T9_mT8_S1G_bDpT10_ENKUlT_T0_E_clISt17integral_constantIbLb1EES1T_IbLb0EEEEDaS1P_S1Q_EUlS1P_E_NS1_11comp_targetILNS1_3genE10ELNS1_11target_archE1200ELNS1_3gpuE4ELNS1_3repE0EEENS1_30default_config_static_selectorELNS0_4arch9wavefront6targetE1EEEvS12_
; %bb.0:
	.section	.rodata,"a",@progbits
	.p2align	6, 0x0
	.amdhsa_kernel _ZN7rocprim17ROCPRIM_400000_NS6detail17trampoline_kernelINS0_13select_configILj256ELj13ELNS0_17block_load_methodE3ELS4_3ELS4_3ELNS0_20block_scan_algorithmE0ELj4294967295EEENS1_25partition_config_selectorILNS1_17partition_subalgoE4EjNS0_10empty_typeEbEEZZNS1_14partition_implILS8_4ELb0ES6_15HIP_vector_typeIjLj2EENS0_17counting_iteratorIjlEEPS9_SG_NS0_5tupleIJPjSI_NS0_16reverse_iteratorISI_EEEEENSH_IJSG_SG_SG_EEES9_SI_JZNS1_25segmented_radix_sort_implINS0_14default_configELb0EPKhPhPKlPlN2at6native12_GLOBAL__N_18offset_tEEE10hipError_tPvRmT1_PNSt15iterator_traitsIS12_E10value_typeET2_T3_PNS13_IS18_E10value_typeET4_jRbjT5_S1E_jjP12ihipStream_tbEUljE_ZNSN_ISO_Lb0ESQ_SR_ST_SU_SY_EESZ_S10_S11_S12_S16_S17_S18_S1B_S1C_jS1D_jS1E_S1E_jjS1G_bEUljE0_EEESZ_S10_S11_S18_S1C_S1E_T6_T7_T9_mT8_S1G_bDpT10_ENKUlT_T0_E_clISt17integral_constantIbLb1EES1T_IbLb0EEEEDaS1P_S1Q_EUlS1P_E_NS1_11comp_targetILNS1_3genE10ELNS1_11target_archE1200ELNS1_3gpuE4ELNS1_3repE0EEENS1_30default_config_static_selectorELNS0_4arch9wavefront6targetE1EEEvS12_
		.amdhsa_group_segment_fixed_size 0
		.amdhsa_private_segment_fixed_size 0
		.amdhsa_kernarg_size 176
		.amdhsa_user_sgpr_count 6
		.amdhsa_user_sgpr_private_segment_buffer 1
		.amdhsa_user_sgpr_dispatch_ptr 0
		.amdhsa_user_sgpr_queue_ptr 0
		.amdhsa_user_sgpr_kernarg_segment_ptr 1
		.amdhsa_user_sgpr_dispatch_id 0
		.amdhsa_user_sgpr_flat_scratch_init 0
		.amdhsa_user_sgpr_kernarg_preload_length 0
		.amdhsa_user_sgpr_kernarg_preload_offset 0
		.amdhsa_user_sgpr_private_segment_size 0
		.amdhsa_uses_dynamic_stack 0
		.amdhsa_system_sgpr_private_segment_wavefront_offset 0
		.amdhsa_system_sgpr_workgroup_id_x 1
		.amdhsa_system_sgpr_workgroup_id_y 0
		.amdhsa_system_sgpr_workgroup_id_z 0
		.amdhsa_system_sgpr_workgroup_info 0
		.amdhsa_system_vgpr_workitem_id 0
		.amdhsa_next_free_vgpr 1
		.amdhsa_next_free_sgpr 0
		.amdhsa_accum_offset 4
		.amdhsa_reserve_vcc 0
		.amdhsa_reserve_flat_scratch 0
		.amdhsa_float_round_mode_32 0
		.amdhsa_float_round_mode_16_64 0
		.amdhsa_float_denorm_mode_32 3
		.amdhsa_float_denorm_mode_16_64 3
		.amdhsa_dx10_clamp 1
		.amdhsa_ieee_mode 1
		.amdhsa_fp16_overflow 0
		.amdhsa_tg_split 0
		.amdhsa_exception_fp_ieee_invalid_op 0
		.amdhsa_exception_fp_denorm_src 0
		.amdhsa_exception_fp_ieee_div_zero 0
		.amdhsa_exception_fp_ieee_overflow 0
		.amdhsa_exception_fp_ieee_underflow 0
		.amdhsa_exception_fp_ieee_inexact 0
		.amdhsa_exception_int_div_zero 0
	.end_amdhsa_kernel
	.section	.text._ZN7rocprim17ROCPRIM_400000_NS6detail17trampoline_kernelINS0_13select_configILj256ELj13ELNS0_17block_load_methodE3ELS4_3ELS4_3ELNS0_20block_scan_algorithmE0ELj4294967295EEENS1_25partition_config_selectorILNS1_17partition_subalgoE4EjNS0_10empty_typeEbEEZZNS1_14partition_implILS8_4ELb0ES6_15HIP_vector_typeIjLj2EENS0_17counting_iteratorIjlEEPS9_SG_NS0_5tupleIJPjSI_NS0_16reverse_iteratorISI_EEEEENSH_IJSG_SG_SG_EEES9_SI_JZNS1_25segmented_radix_sort_implINS0_14default_configELb0EPKhPhPKlPlN2at6native12_GLOBAL__N_18offset_tEEE10hipError_tPvRmT1_PNSt15iterator_traitsIS12_E10value_typeET2_T3_PNS13_IS18_E10value_typeET4_jRbjT5_S1E_jjP12ihipStream_tbEUljE_ZNSN_ISO_Lb0ESQ_SR_ST_SU_SY_EESZ_S10_S11_S12_S16_S17_S18_S1B_S1C_jS1D_jS1E_S1E_jjS1G_bEUljE0_EEESZ_S10_S11_S18_S1C_S1E_T6_T7_T9_mT8_S1G_bDpT10_ENKUlT_T0_E_clISt17integral_constantIbLb1EES1T_IbLb0EEEEDaS1P_S1Q_EUlS1P_E_NS1_11comp_targetILNS1_3genE10ELNS1_11target_archE1200ELNS1_3gpuE4ELNS1_3repE0EEENS1_30default_config_static_selectorELNS0_4arch9wavefront6targetE1EEEvS12_,"axG",@progbits,_ZN7rocprim17ROCPRIM_400000_NS6detail17trampoline_kernelINS0_13select_configILj256ELj13ELNS0_17block_load_methodE3ELS4_3ELS4_3ELNS0_20block_scan_algorithmE0ELj4294967295EEENS1_25partition_config_selectorILNS1_17partition_subalgoE4EjNS0_10empty_typeEbEEZZNS1_14partition_implILS8_4ELb0ES6_15HIP_vector_typeIjLj2EENS0_17counting_iteratorIjlEEPS9_SG_NS0_5tupleIJPjSI_NS0_16reverse_iteratorISI_EEEEENSH_IJSG_SG_SG_EEES9_SI_JZNS1_25segmented_radix_sort_implINS0_14default_configELb0EPKhPhPKlPlN2at6native12_GLOBAL__N_18offset_tEEE10hipError_tPvRmT1_PNSt15iterator_traitsIS12_E10value_typeET2_T3_PNS13_IS18_E10value_typeET4_jRbjT5_S1E_jjP12ihipStream_tbEUljE_ZNSN_ISO_Lb0ESQ_SR_ST_SU_SY_EESZ_S10_S11_S12_S16_S17_S18_S1B_S1C_jS1D_jS1E_S1E_jjS1G_bEUljE0_EEESZ_S10_S11_S18_S1C_S1E_T6_T7_T9_mT8_S1G_bDpT10_ENKUlT_T0_E_clISt17integral_constantIbLb1EES1T_IbLb0EEEEDaS1P_S1Q_EUlS1P_E_NS1_11comp_targetILNS1_3genE10ELNS1_11target_archE1200ELNS1_3gpuE4ELNS1_3repE0EEENS1_30default_config_static_selectorELNS0_4arch9wavefront6targetE1EEEvS12_,comdat
.Lfunc_end143:
	.size	_ZN7rocprim17ROCPRIM_400000_NS6detail17trampoline_kernelINS0_13select_configILj256ELj13ELNS0_17block_load_methodE3ELS4_3ELS4_3ELNS0_20block_scan_algorithmE0ELj4294967295EEENS1_25partition_config_selectorILNS1_17partition_subalgoE4EjNS0_10empty_typeEbEEZZNS1_14partition_implILS8_4ELb0ES6_15HIP_vector_typeIjLj2EENS0_17counting_iteratorIjlEEPS9_SG_NS0_5tupleIJPjSI_NS0_16reverse_iteratorISI_EEEEENSH_IJSG_SG_SG_EEES9_SI_JZNS1_25segmented_radix_sort_implINS0_14default_configELb0EPKhPhPKlPlN2at6native12_GLOBAL__N_18offset_tEEE10hipError_tPvRmT1_PNSt15iterator_traitsIS12_E10value_typeET2_T3_PNS13_IS18_E10value_typeET4_jRbjT5_S1E_jjP12ihipStream_tbEUljE_ZNSN_ISO_Lb0ESQ_SR_ST_SU_SY_EESZ_S10_S11_S12_S16_S17_S18_S1B_S1C_jS1D_jS1E_S1E_jjS1G_bEUljE0_EEESZ_S10_S11_S18_S1C_S1E_T6_T7_T9_mT8_S1G_bDpT10_ENKUlT_T0_E_clISt17integral_constantIbLb1EES1T_IbLb0EEEEDaS1P_S1Q_EUlS1P_E_NS1_11comp_targetILNS1_3genE10ELNS1_11target_archE1200ELNS1_3gpuE4ELNS1_3repE0EEENS1_30default_config_static_selectorELNS0_4arch9wavefront6targetE1EEEvS12_, .Lfunc_end143-_ZN7rocprim17ROCPRIM_400000_NS6detail17trampoline_kernelINS0_13select_configILj256ELj13ELNS0_17block_load_methodE3ELS4_3ELS4_3ELNS0_20block_scan_algorithmE0ELj4294967295EEENS1_25partition_config_selectorILNS1_17partition_subalgoE4EjNS0_10empty_typeEbEEZZNS1_14partition_implILS8_4ELb0ES6_15HIP_vector_typeIjLj2EENS0_17counting_iteratorIjlEEPS9_SG_NS0_5tupleIJPjSI_NS0_16reverse_iteratorISI_EEEEENSH_IJSG_SG_SG_EEES9_SI_JZNS1_25segmented_radix_sort_implINS0_14default_configELb0EPKhPhPKlPlN2at6native12_GLOBAL__N_18offset_tEEE10hipError_tPvRmT1_PNSt15iterator_traitsIS12_E10value_typeET2_T3_PNS13_IS18_E10value_typeET4_jRbjT5_S1E_jjP12ihipStream_tbEUljE_ZNSN_ISO_Lb0ESQ_SR_ST_SU_SY_EESZ_S10_S11_S12_S16_S17_S18_S1B_S1C_jS1D_jS1E_S1E_jjS1G_bEUljE0_EEESZ_S10_S11_S18_S1C_S1E_T6_T7_T9_mT8_S1G_bDpT10_ENKUlT_T0_E_clISt17integral_constantIbLb1EES1T_IbLb0EEEEDaS1P_S1Q_EUlS1P_E_NS1_11comp_targetILNS1_3genE10ELNS1_11target_archE1200ELNS1_3gpuE4ELNS1_3repE0EEENS1_30default_config_static_selectorELNS0_4arch9wavefront6targetE1EEEvS12_
                                        ; -- End function
	.section	.AMDGPU.csdata,"",@progbits
; Kernel info:
; codeLenInByte = 0
; NumSgprs: 4
; NumVgprs: 0
; NumAgprs: 0
; TotalNumVgprs: 0
; ScratchSize: 0
; MemoryBound: 0
; FloatMode: 240
; IeeeMode: 1
; LDSByteSize: 0 bytes/workgroup (compile time only)
; SGPRBlocks: 0
; VGPRBlocks: 0
; NumSGPRsForWavesPerEU: 4
; NumVGPRsForWavesPerEU: 1
; AccumOffset: 4
; Occupancy: 8
; WaveLimiterHint : 0
; COMPUTE_PGM_RSRC2:SCRATCH_EN: 0
; COMPUTE_PGM_RSRC2:USER_SGPR: 6
; COMPUTE_PGM_RSRC2:TRAP_HANDLER: 0
; COMPUTE_PGM_RSRC2:TGID_X_EN: 1
; COMPUTE_PGM_RSRC2:TGID_Y_EN: 0
; COMPUTE_PGM_RSRC2:TGID_Z_EN: 0
; COMPUTE_PGM_RSRC2:TIDIG_COMP_CNT: 0
; COMPUTE_PGM_RSRC3_GFX90A:ACCUM_OFFSET: 0
; COMPUTE_PGM_RSRC3_GFX90A:TG_SPLIT: 0
	.section	.text._ZN7rocprim17ROCPRIM_400000_NS6detail17trampoline_kernelINS0_13select_configILj256ELj13ELNS0_17block_load_methodE3ELS4_3ELS4_3ELNS0_20block_scan_algorithmE0ELj4294967295EEENS1_25partition_config_selectorILNS1_17partition_subalgoE4EjNS0_10empty_typeEbEEZZNS1_14partition_implILS8_4ELb0ES6_15HIP_vector_typeIjLj2EENS0_17counting_iteratorIjlEEPS9_SG_NS0_5tupleIJPjSI_NS0_16reverse_iteratorISI_EEEEENSH_IJSG_SG_SG_EEES9_SI_JZNS1_25segmented_radix_sort_implINS0_14default_configELb0EPKhPhPKlPlN2at6native12_GLOBAL__N_18offset_tEEE10hipError_tPvRmT1_PNSt15iterator_traitsIS12_E10value_typeET2_T3_PNS13_IS18_E10value_typeET4_jRbjT5_S1E_jjP12ihipStream_tbEUljE_ZNSN_ISO_Lb0ESQ_SR_ST_SU_SY_EESZ_S10_S11_S12_S16_S17_S18_S1B_S1C_jS1D_jS1E_S1E_jjS1G_bEUljE0_EEESZ_S10_S11_S18_S1C_S1E_T6_T7_T9_mT8_S1G_bDpT10_ENKUlT_T0_E_clISt17integral_constantIbLb1EES1T_IbLb0EEEEDaS1P_S1Q_EUlS1P_E_NS1_11comp_targetILNS1_3genE9ELNS1_11target_archE1100ELNS1_3gpuE3ELNS1_3repE0EEENS1_30default_config_static_selectorELNS0_4arch9wavefront6targetE1EEEvS12_,"axG",@progbits,_ZN7rocprim17ROCPRIM_400000_NS6detail17trampoline_kernelINS0_13select_configILj256ELj13ELNS0_17block_load_methodE3ELS4_3ELS4_3ELNS0_20block_scan_algorithmE0ELj4294967295EEENS1_25partition_config_selectorILNS1_17partition_subalgoE4EjNS0_10empty_typeEbEEZZNS1_14partition_implILS8_4ELb0ES6_15HIP_vector_typeIjLj2EENS0_17counting_iteratorIjlEEPS9_SG_NS0_5tupleIJPjSI_NS0_16reverse_iteratorISI_EEEEENSH_IJSG_SG_SG_EEES9_SI_JZNS1_25segmented_radix_sort_implINS0_14default_configELb0EPKhPhPKlPlN2at6native12_GLOBAL__N_18offset_tEEE10hipError_tPvRmT1_PNSt15iterator_traitsIS12_E10value_typeET2_T3_PNS13_IS18_E10value_typeET4_jRbjT5_S1E_jjP12ihipStream_tbEUljE_ZNSN_ISO_Lb0ESQ_SR_ST_SU_SY_EESZ_S10_S11_S12_S16_S17_S18_S1B_S1C_jS1D_jS1E_S1E_jjS1G_bEUljE0_EEESZ_S10_S11_S18_S1C_S1E_T6_T7_T9_mT8_S1G_bDpT10_ENKUlT_T0_E_clISt17integral_constantIbLb1EES1T_IbLb0EEEEDaS1P_S1Q_EUlS1P_E_NS1_11comp_targetILNS1_3genE9ELNS1_11target_archE1100ELNS1_3gpuE3ELNS1_3repE0EEENS1_30default_config_static_selectorELNS0_4arch9wavefront6targetE1EEEvS12_,comdat
	.globl	_ZN7rocprim17ROCPRIM_400000_NS6detail17trampoline_kernelINS0_13select_configILj256ELj13ELNS0_17block_load_methodE3ELS4_3ELS4_3ELNS0_20block_scan_algorithmE0ELj4294967295EEENS1_25partition_config_selectorILNS1_17partition_subalgoE4EjNS0_10empty_typeEbEEZZNS1_14partition_implILS8_4ELb0ES6_15HIP_vector_typeIjLj2EENS0_17counting_iteratorIjlEEPS9_SG_NS0_5tupleIJPjSI_NS0_16reverse_iteratorISI_EEEEENSH_IJSG_SG_SG_EEES9_SI_JZNS1_25segmented_radix_sort_implINS0_14default_configELb0EPKhPhPKlPlN2at6native12_GLOBAL__N_18offset_tEEE10hipError_tPvRmT1_PNSt15iterator_traitsIS12_E10value_typeET2_T3_PNS13_IS18_E10value_typeET4_jRbjT5_S1E_jjP12ihipStream_tbEUljE_ZNSN_ISO_Lb0ESQ_SR_ST_SU_SY_EESZ_S10_S11_S12_S16_S17_S18_S1B_S1C_jS1D_jS1E_S1E_jjS1G_bEUljE0_EEESZ_S10_S11_S18_S1C_S1E_T6_T7_T9_mT8_S1G_bDpT10_ENKUlT_T0_E_clISt17integral_constantIbLb1EES1T_IbLb0EEEEDaS1P_S1Q_EUlS1P_E_NS1_11comp_targetILNS1_3genE9ELNS1_11target_archE1100ELNS1_3gpuE3ELNS1_3repE0EEENS1_30default_config_static_selectorELNS0_4arch9wavefront6targetE1EEEvS12_ ; -- Begin function _ZN7rocprim17ROCPRIM_400000_NS6detail17trampoline_kernelINS0_13select_configILj256ELj13ELNS0_17block_load_methodE3ELS4_3ELS4_3ELNS0_20block_scan_algorithmE0ELj4294967295EEENS1_25partition_config_selectorILNS1_17partition_subalgoE4EjNS0_10empty_typeEbEEZZNS1_14partition_implILS8_4ELb0ES6_15HIP_vector_typeIjLj2EENS0_17counting_iteratorIjlEEPS9_SG_NS0_5tupleIJPjSI_NS0_16reverse_iteratorISI_EEEEENSH_IJSG_SG_SG_EEES9_SI_JZNS1_25segmented_radix_sort_implINS0_14default_configELb0EPKhPhPKlPlN2at6native12_GLOBAL__N_18offset_tEEE10hipError_tPvRmT1_PNSt15iterator_traitsIS12_E10value_typeET2_T3_PNS13_IS18_E10value_typeET4_jRbjT5_S1E_jjP12ihipStream_tbEUljE_ZNSN_ISO_Lb0ESQ_SR_ST_SU_SY_EESZ_S10_S11_S12_S16_S17_S18_S1B_S1C_jS1D_jS1E_S1E_jjS1G_bEUljE0_EEESZ_S10_S11_S18_S1C_S1E_T6_T7_T9_mT8_S1G_bDpT10_ENKUlT_T0_E_clISt17integral_constantIbLb1EES1T_IbLb0EEEEDaS1P_S1Q_EUlS1P_E_NS1_11comp_targetILNS1_3genE9ELNS1_11target_archE1100ELNS1_3gpuE3ELNS1_3repE0EEENS1_30default_config_static_selectorELNS0_4arch9wavefront6targetE1EEEvS12_
	.p2align	8
	.type	_ZN7rocprim17ROCPRIM_400000_NS6detail17trampoline_kernelINS0_13select_configILj256ELj13ELNS0_17block_load_methodE3ELS4_3ELS4_3ELNS0_20block_scan_algorithmE0ELj4294967295EEENS1_25partition_config_selectorILNS1_17partition_subalgoE4EjNS0_10empty_typeEbEEZZNS1_14partition_implILS8_4ELb0ES6_15HIP_vector_typeIjLj2EENS0_17counting_iteratorIjlEEPS9_SG_NS0_5tupleIJPjSI_NS0_16reverse_iteratorISI_EEEEENSH_IJSG_SG_SG_EEES9_SI_JZNS1_25segmented_radix_sort_implINS0_14default_configELb0EPKhPhPKlPlN2at6native12_GLOBAL__N_18offset_tEEE10hipError_tPvRmT1_PNSt15iterator_traitsIS12_E10value_typeET2_T3_PNS13_IS18_E10value_typeET4_jRbjT5_S1E_jjP12ihipStream_tbEUljE_ZNSN_ISO_Lb0ESQ_SR_ST_SU_SY_EESZ_S10_S11_S12_S16_S17_S18_S1B_S1C_jS1D_jS1E_S1E_jjS1G_bEUljE0_EEESZ_S10_S11_S18_S1C_S1E_T6_T7_T9_mT8_S1G_bDpT10_ENKUlT_T0_E_clISt17integral_constantIbLb1EES1T_IbLb0EEEEDaS1P_S1Q_EUlS1P_E_NS1_11comp_targetILNS1_3genE9ELNS1_11target_archE1100ELNS1_3gpuE3ELNS1_3repE0EEENS1_30default_config_static_selectorELNS0_4arch9wavefront6targetE1EEEvS12_,@function
_ZN7rocprim17ROCPRIM_400000_NS6detail17trampoline_kernelINS0_13select_configILj256ELj13ELNS0_17block_load_methodE3ELS4_3ELS4_3ELNS0_20block_scan_algorithmE0ELj4294967295EEENS1_25partition_config_selectorILNS1_17partition_subalgoE4EjNS0_10empty_typeEbEEZZNS1_14partition_implILS8_4ELb0ES6_15HIP_vector_typeIjLj2EENS0_17counting_iteratorIjlEEPS9_SG_NS0_5tupleIJPjSI_NS0_16reverse_iteratorISI_EEEEENSH_IJSG_SG_SG_EEES9_SI_JZNS1_25segmented_radix_sort_implINS0_14default_configELb0EPKhPhPKlPlN2at6native12_GLOBAL__N_18offset_tEEE10hipError_tPvRmT1_PNSt15iterator_traitsIS12_E10value_typeET2_T3_PNS13_IS18_E10value_typeET4_jRbjT5_S1E_jjP12ihipStream_tbEUljE_ZNSN_ISO_Lb0ESQ_SR_ST_SU_SY_EESZ_S10_S11_S12_S16_S17_S18_S1B_S1C_jS1D_jS1E_S1E_jjS1G_bEUljE0_EEESZ_S10_S11_S18_S1C_S1E_T6_T7_T9_mT8_S1G_bDpT10_ENKUlT_T0_E_clISt17integral_constantIbLb1EES1T_IbLb0EEEEDaS1P_S1Q_EUlS1P_E_NS1_11comp_targetILNS1_3genE9ELNS1_11target_archE1100ELNS1_3gpuE3ELNS1_3repE0EEENS1_30default_config_static_selectorELNS0_4arch9wavefront6targetE1EEEvS12_: ; @_ZN7rocprim17ROCPRIM_400000_NS6detail17trampoline_kernelINS0_13select_configILj256ELj13ELNS0_17block_load_methodE3ELS4_3ELS4_3ELNS0_20block_scan_algorithmE0ELj4294967295EEENS1_25partition_config_selectorILNS1_17partition_subalgoE4EjNS0_10empty_typeEbEEZZNS1_14partition_implILS8_4ELb0ES6_15HIP_vector_typeIjLj2EENS0_17counting_iteratorIjlEEPS9_SG_NS0_5tupleIJPjSI_NS0_16reverse_iteratorISI_EEEEENSH_IJSG_SG_SG_EEES9_SI_JZNS1_25segmented_radix_sort_implINS0_14default_configELb0EPKhPhPKlPlN2at6native12_GLOBAL__N_18offset_tEEE10hipError_tPvRmT1_PNSt15iterator_traitsIS12_E10value_typeET2_T3_PNS13_IS18_E10value_typeET4_jRbjT5_S1E_jjP12ihipStream_tbEUljE_ZNSN_ISO_Lb0ESQ_SR_ST_SU_SY_EESZ_S10_S11_S12_S16_S17_S18_S1B_S1C_jS1D_jS1E_S1E_jjS1G_bEUljE0_EEESZ_S10_S11_S18_S1C_S1E_T6_T7_T9_mT8_S1G_bDpT10_ENKUlT_T0_E_clISt17integral_constantIbLb1EES1T_IbLb0EEEEDaS1P_S1Q_EUlS1P_E_NS1_11comp_targetILNS1_3genE9ELNS1_11target_archE1100ELNS1_3gpuE3ELNS1_3repE0EEENS1_30default_config_static_selectorELNS0_4arch9wavefront6targetE1EEEvS12_
; %bb.0:
	.section	.rodata,"a",@progbits
	.p2align	6, 0x0
	.amdhsa_kernel _ZN7rocprim17ROCPRIM_400000_NS6detail17trampoline_kernelINS0_13select_configILj256ELj13ELNS0_17block_load_methodE3ELS4_3ELS4_3ELNS0_20block_scan_algorithmE0ELj4294967295EEENS1_25partition_config_selectorILNS1_17partition_subalgoE4EjNS0_10empty_typeEbEEZZNS1_14partition_implILS8_4ELb0ES6_15HIP_vector_typeIjLj2EENS0_17counting_iteratorIjlEEPS9_SG_NS0_5tupleIJPjSI_NS0_16reverse_iteratorISI_EEEEENSH_IJSG_SG_SG_EEES9_SI_JZNS1_25segmented_radix_sort_implINS0_14default_configELb0EPKhPhPKlPlN2at6native12_GLOBAL__N_18offset_tEEE10hipError_tPvRmT1_PNSt15iterator_traitsIS12_E10value_typeET2_T3_PNS13_IS18_E10value_typeET4_jRbjT5_S1E_jjP12ihipStream_tbEUljE_ZNSN_ISO_Lb0ESQ_SR_ST_SU_SY_EESZ_S10_S11_S12_S16_S17_S18_S1B_S1C_jS1D_jS1E_S1E_jjS1G_bEUljE0_EEESZ_S10_S11_S18_S1C_S1E_T6_T7_T9_mT8_S1G_bDpT10_ENKUlT_T0_E_clISt17integral_constantIbLb1EES1T_IbLb0EEEEDaS1P_S1Q_EUlS1P_E_NS1_11comp_targetILNS1_3genE9ELNS1_11target_archE1100ELNS1_3gpuE3ELNS1_3repE0EEENS1_30default_config_static_selectorELNS0_4arch9wavefront6targetE1EEEvS12_
		.amdhsa_group_segment_fixed_size 0
		.amdhsa_private_segment_fixed_size 0
		.amdhsa_kernarg_size 176
		.amdhsa_user_sgpr_count 6
		.amdhsa_user_sgpr_private_segment_buffer 1
		.amdhsa_user_sgpr_dispatch_ptr 0
		.amdhsa_user_sgpr_queue_ptr 0
		.amdhsa_user_sgpr_kernarg_segment_ptr 1
		.amdhsa_user_sgpr_dispatch_id 0
		.amdhsa_user_sgpr_flat_scratch_init 0
		.amdhsa_user_sgpr_kernarg_preload_length 0
		.amdhsa_user_sgpr_kernarg_preload_offset 0
		.amdhsa_user_sgpr_private_segment_size 0
		.amdhsa_uses_dynamic_stack 0
		.amdhsa_system_sgpr_private_segment_wavefront_offset 0
		.amdhsa_system_sgpr_workgroup_id_x 1
		.amdhsa_system_sgpr_workgroup_id_y 0
		.amdhsa_system_sgpr_workgroup_id_z 0
		.amdhsa_system_sgpr_workgroup_info 0
		.amdhsa_system_vgpr_workitem_id 0
		.amdhsa_next_free_vgpr 1
		.amdhsa_next_free_sgpr 0
		.amdhsa_accum_offset 4
		.amdhsa_reserve_vcc 0
		.amdhsa_reserve_flat_scratch 0
		.amdhsa_float_round_mode_32 0
		.amdhsa_float_round_mode_16_64 0
		.amdhsa_float_denorm_mode_32 3
		.amdhsa_float_denorm_mode_16_64 3
		.amdhsa_dx10_clamp 1
		.amdhsa_ieee_mode 1
		.amdhsa_fp16_overflow 0
		.amdhsa_tg_split 0
		.amdhsa_exception_fp_ieee_invalid_op 0
		.amdhsa_exception_fp_denorm_src 0
		.amdhsa_exception_fp_ieee_div_zero 0
		.amdhsa_exception_fp_ieee_overflow 0
		.amdhsa_exception_fp_ieee_underflow 0
		.amdhsa_exception_fp_ieee_inexact 0
		.amdhsa_exception_int_div_zero 0
	.end_amdhsa_kernel
	.section	.text._ZN7rocprim17ROCPRIM_400000_NS6detail17trampoline_kernelINS0_13select_configILj256ELj13ELNS0_17block_load_methodE3ELS4_3ELS4_3ELNS0_20block_scan_algorithmE0ELj4294967295EEENS1_25partition_config_selectorILNS1_17partition_subalgoE4EjNS0_10empty_typeEbEEZZNS1_14partition_implILS8_4ELb0ES6_15HIP_vector_typeIjLj2EENS0_17counting_iteratorIjlEEPS9_SG_NS0_5tupleIJPjSI_NS0_16reverse_iteratorISI_EEEEENSH_IJSG_SG_SG_EEES9_SI_JZNS1_25segmented_radix_sort_implINS0_14default_configELb0EPKhPhPKlPlN2at6native12_GLOBAL__N_18offset_tEEE10hipError_tPvRmT1_PNSt15iterator_traitsIS12_E10value_typeET2_T3_PNS13_IS18_E10value_typeET4_jRbjT5_S1E_jjP12ihipStream_tbEUljE_ZNSN_ISO_Lb0ESQ_SR_ST_SU_SY_EESZ_S10_S11_S12_S16_S17_S18_S1B_S1C_jS1D_jS1E_S1E_jjS1G_bEUljE0_EEESZ_S10_S11_S18_S1C_S1E_T6_T7_T9_mT8_S1G_bDpT10_ENKUlT_T0_E_clISt17integral_constantIbLb1EES1T_IbLb0EEEEDaS1P_S1Q_EUlS1P_E_NS1_11comp_targetILNS1_3genE9ELNS1_11target_archE1100ELNS1_3gpuE3ELNS1_3repE0EEENS1_30default_config_static_selectorELNS0_4arch9wavefront6targetE1EEEvS12_,"axG",@progbits,_ZN7rocprim17ROCPRIM_400000_NS6detail17trampoline_kernelINS0_13select_configILj256ELj13ELNS0_17block_load_methodE3ELS4_3ELS4_3ELNS0_20block_scan_algorithmE0ELj4294967295EEENS1_25partition_config_selectorILNS1_17partition_subalgoE4EjNS0_10empty_typeEbEEZZNS1_14partition_implILS8_4ELb0ES6_15HIP_vector_typeIjLj2EENS0_17counting_iteratorIjlEEPS9_SG_NS0_5tupleIJPjSI_NS0_16reverse_iteratorISI_EEEEENSH_IJSG_SG_SG_EEES9_SI_JZNS1_25segmented_radix_sort_implINS0_14default_configELb0EPKhPhPKlPlN2at6native12_GLOBAL__N_18offset_tEEE10hipError_tPvRmT1_PNSt15iterator_traitsIS12_E10value_typeET2_T3_PNS13_IS18_E10value_typeET4_jRbjT5_S1E_jjP12ihipStream_tbEUljE_ZNSN_ISO_Lb0ESQ_SR_ST_SU_SY_EESZ_S10_S11_S12_S16_S17_S18_S1B_S1C_jS1D_jS1E_S1E_jjS1G_bEUljE0_EEESZ_S10_S11_S18_S1C_S1E_T6_T7_T9_mT8_S1G_bDpT10_ENKUlT_T0_E_clISt17integral_constantIbLb1EES1T_IbLb0EEEEDaS1P_S1Q_EUlS1P_E_NS1_11comp_targetILNS1_3genE9ELNS1_11target_archE1100ELNS1_3gpuE3ELNS1_3repE0EEENS1_30default_config_static_selectorELNS0_4arch9wavefront6targetE1EEEvS12_,comdat
.Lfunc_end144:
	.size	_ZN7rocprim17ROCPRIM_400000_NS6detail17trampoline_kernelINS0_13select_configILj256ELj13ELNS0_17block_load_methodE3ELS4_3ELS4_3ELNS0_20block_scan_algorithmE0ELj4294967295EEENS1_25partition_config_selectorILNS1_17partition_subalgoE4EjNS0_10empty_typeEbEEZZNS1_14partition_implILS8_4ELb0ES6_15HIP_vector_typeIjLj2EENS0_17counting_iteratorIjlEEPS9_SG_NS0_5tupleIJPjSI_NS0_16reverse_iteratorISI_EEEEENSH_IJSG_SG_SG_EEES9_SI_JZNS1_25segmented_radix_sort_implINS0_14default_configELb0EPKhPhPKlPlN2at6native12_GLOBAL__N_18offset_tEEE10hipError_tPvRmT1_PNSt15iterator_traitsIS12_E10value_typeET2_T3_PNS13_IS18_E10value_typeET4_jRbjT5_S1E_jjP12ihipStream_tbEUljE_ZNSN_ISO_Lb0ESQ_SR_ST_SU_SY_EESZ_S10_S11_S12_S16_S17_S18_S1B_S1C_jS1D_jS1E_S1E_jjS1G_bEUljE0_EEESZ_S10_S11_S18_S1C_S1E_T6_T7_T9_mT8_S1G_bDpT10_ENKUlT_T0_E_clISt17integral_constantIbLb1EES1T_IbLb0EEEEDaS1P_S1Q_EUlS1P_E_NS1_11comp_targetILNS1_3genE9ELNS1_11target_archE1100ELNS1_3gpuE3ELNS1_3repE0EEENS1_30default_config_static_selectorELNS0_4arch9wavefront6targetE1EEEvS12_, .Lfunc_end144-_ZN7rocprim17ROCPRIM_400000_NS6detail17trampoline_kernelINS0_13select_configILj256ELj13ELNS0_17block_load_methodE3ELS4_3ELS4_3ELNS0_20block_scan_algorithmE0ELj4294967295EEENS1_25partition_config_selectorILNS1_17partition_subalgoE4EjNS0_10empty_typeEbEEZZNS1_14partition_implILS8_4ELb0ES6_15HIP_vector_typeIjLj2EENS0_17counting_iteratorIjlEEPS9_SG_NS0_5tupleIJPjSI_NS0_16reverse_iteratorISI_EEEEENSH_IJSG_SG_SG_EEES9_SI_JZNS1_25segmented_radix_sort_implINS0_14default_configELb0EPKhPhPKlPlN2at6native12_GLOBAL__N_18offset_tEEE10hipError_tPvRmT1_PNSt15iterator_traitsIS12_E10value_typeET2_T3_PNS13_IS18_E10value_typeET4_jRbjT5_S1E_jjP12ihipStream_tbEUljE_ZNSN_ISO_Lb0ESQ_SR_ST_SU_SY_EESZ_S10_S11_S12_S16_S17_S18_S1B_S1C_jS1D_jS1E_S1E_jjS1G_bEUljE0_EEESZ_S10_S11_S18_S1C_S1E_T6_T7_T9_mT8_S1G_bDpT10_ENKUlT_T0_E_clISt17integral_constantIbLb1EES1T_IbLb0EEEEDaS1P_S1Q_EUlS1P_E_NS1_11comp_targetILNS1_3genE9ELNS1_11target_archE1100ELNS1_3gpuE3ELNS1_3repE0EEENS1_30default_config_static_selectorELNS0_4arch9wavefront6targetE1EEEvS12_
                                        ; -- End function
	.section	.AMDGPU.csdata,"",@progbits
; Kernel info:
; codeLenInByte = 0
; NumSgprs: 4
; NumVgprs: 0
; NumAgprs: 0
; TotalNumVgprs: 0
; ScratchSize: 0
; MemoryBound: 0
; FloatMode: 240
; IeeeMode: 1
; LDSByteSize: 0 bytes/workgroup (compile time only)
; SGPRBlocks: 0
; VGPRBlocks: 0
; NumSGPRsForWavesPerEU: 4
; NumVGPRsForWavesPerEU: 1
; AccumOffset: 4
; Occupancy: 8
; WaveLimiterHint : 0
; COMPUTE_PGM_RSRC2:SCRATCH_EN: 0
; COMPUTE_PGM_RSRC2:USER_SGPR: 6
; COMPUTE_PGM_RSRC2:TRAP_HANDLER: 0
; COMPUTE_PGM_RSRC2:TGID_X_EN: 1
; COMPUTE_PGM_RSRC2:TGID_Y_EN: 0
; COMPUTE_PGM_RSRC2:TGID_Z_EN: 0
; COMPUTE_PGM_RSRC2:TIDIG_COMP_CNT: 0
; COMPUTE_PGM_RSRC3_GFX90A:ACCUM_OFFSET: 0
; COMPUTE_PGM_RSRC3_GFX90A:TG_SPLIT: 0
	.section	.text._ZN7rocprim17ROCPRIM_400000_NS6detail17trampoline_kernelINS0_13select_configILj256ELj13ELNS0_17block_load_methodE3ELS4_3ELS4_3ELNS0_20block_scan_algorithmE0ELj4294967295EEENS1_25partition_config_selectorILNS1_17partition_subalgoE4EjNS0_10empty_typeEbEEZZNS1_14partition_implILS8_4ELb0ES6_15HIP_vector_typeIjLj2EENS0_17counting_iteratorIjlEEPS9_SG_NS0_5tupleIJPjSI_NS0_16reverse_iteratorISI_EEEEENSH_IJSG_SG_SG_EEES9_SI_JZNS1_25segmented_radix_sort_implINS0_14default_configELb0EPKhPhPKlPlN2at6native12_GLOBAL__N_18offset_tEEE10hipError_tPvRmT1_PNSt15iterator_traitsIS12_E10value_typeET2_T3_PNS13_IS18_E10value_typeET4_jRbjT5_S1E_jjP12ihipStream_tbEUljE_ZNSN_ISO_Lb0ESQ_SR_ST_SU_SY_EESZ_S10_S11_S12_S16_S17_S18_S1B_S1C_jS1D_jS1E_S1E_jjS1G_bEUljE0_EEESZ_S10_S11_S18_S1C_S1E_T6_T7_T9_mT8_S1G_bDpT10_ENKUlT_T0_E_clISt17integral_constantIbLb1EES1T_IbLb0EEEEDaS1P_S1Q_EUlS1P_E_NS1_11comp_targetILNS1_3genE8ELNS1_11target_archE1030ELNS1_3gpuE2ELNS1_3repE0EEENS1_30default_config_static_selectorELNS0_4arch9wavefront6targetE1EEEvS12_,"axG",@progbits,_ZN7rocprim17ROCPRIM_400000_NS6detail17trampoline_kernelINS0_13select_configILj256ELj13ELNS0_17block_load_methodE3ELS4_3ELS4_3ELNS0_20block_scan_algorithmE0ELj4294967295EEENS1_25partition_config_selectorILNS1_17partition_subalgoE4EjNS0_10empty_typeEbEEZZNS1_14partition_implILS8_4ELb0ES6_15HIP_vector_typeIjLj2EENS0_17counting_iteratorIjlEEPS9_SG_NS0_5tupleIJPjSI_NS0_16reverse_iteratorISI_EEEEENSH_IJSG_SG_SG_EEES9_SI_JZNS1_25segmented_radix_sort_implINS0_14default_configELb0EPKhPhPKlPlN2at6native12_GLOBAL__N_18offset_tEEE10hipError_tPvRmT1_PNSt15iterator_traitsIS12_E10value_typeET2_T3_PNS13_IS18_E10value_typeET4_jRbjT5_S1E_jjP12ihipStream_tbEUljE_ZNSN_ISO_Lb0ESQ_SR_ST_SU_SY_EESZ_S10_S11_S12_S16_S17_S18_S1B_S1C_jS1D_jS1E_S1E_jjS1G_bEUljE0_EEESZ_S10_S11_S18_S1C_S1E_T6_T7_T9_mT8_S1G_bDpT10_ENKUlT_T0_E_clISt17integral_constantIbLb1EES1T_IbLb0EEEEDaS1P_S1Q_EUlS1P_E_NS1_11comp_targetILNS1_3genE8ELNS1_11target_archE1030ELNS1_3gpuE2ELNS1_3repE0EEENS1_30default_config_static_selectorELNS0_4arch9wavefront6targetE1EEEvS12_,comdat
	.globl	_ZN7rocprim17ROCPRIM_400000_NS6detail17trampoline_kernelINS0_13select_configILj256ELj13ELNS0_17block_load_methodE3ELS4_3ELS4_3ELNS0_20block_scan_algorithmE0ELj4294967295EEENS1_25partition_config_selectorILNS1_17partition_subalgoE4EjNS0_10empty_typeEbEEZZNS1_14partition_implILS8_4ELb0ES6_15HIP_vector_typeIjLj2EENS0_17counting_iteratorIjlEEPS9_SG_NS0_5tupleIJPjSI_NS0_16reverse_iteratorISI_EEEEENSH_IJSG_SG_SG_EEES9_SI_JZNS1_25segmented_radix_sort_implINS0_14default_configELb0EPKhPhPKlPlN2at6native12_GLOBAL__N_18offset_tEEE10hipError_tPvRmT1_PNSt15iterator_traitsIS12_E10value_typeET2_T3_PNS13_IS18_E10value_typeET4_jRbjT5_S1E_jjP12ihipStream_tbEUljE_ZNSN_ISO_Lb0ESQ_SR_ST_SU_SY_EESZ_S10_S11_S12_S16_S17_S18_S1B_S1C_jS1D_jS1E_S1E_jjS1G_bEUljE0_EEESZ_S10_S11_S18_S1C_S1E_T6_T7_T9_mT8_S1G_bDpT10_ENKUlT_T0_E_clISt17integral_constantIbLb1EES1T_IbLb0EEEEDaS1P_S1Q_EUlS1P_E_NS1_11comp_targetILNS1_3genE8ELNS1_11target_archE1030ELNS1_3gpuE2ELNS1_3repE0EEENS1_30default_config_static_selectorELNS0_4arch9wavefront6targetE1EEEvS12_ ; -- Begin function _ZN7rocprim17ROCPRIM_400000_NS6detail17trampoline_kernelINS0_13select_configILj256ELj13ELNS0_17block_load_methodE3ELS4_3ELS4_3ELNS0_20block_scan_algorithmE0ELj4294967295EEENS1_25partition_config_selectorILNS1_17partition_subalgoE4EjNS0_10empty_typeEbEEZZNS1_14partition_implILS8_4ELb0ES6_15HIP_vector_typeIjLj2EENS0_17counting_iteratorIjlEEPS9_SG_NS0_5tupleIJPjSI_NS0_16reverse_iteratorISI_EEEEENSH_IJSG_SG_SG_EEES9_SI_JZNS1_25segmented_radix_sort_implINS0_14default_configELb0EPKhPhPKlPlN2at6native12_GLOBAL__N_18offset_tEEE10hipError_tPvRmT1_PNSt15iterator_traitsIS12_E10value_typeET2_T3_PNS13_IS18_E10value_typeET4_jRbjT5_S1E_jjP12ihipStream_tbEUljE_ZNSN_ISO_Lb0ESQ_SR_ST_SU_SY_EESZ_S10_S11_S12_S16_S17_S18_S1B_S1C_jS1D_jS1E_S1E_jjS1G_bEUljE0_EEESZ_S10_S11_S18_S1C_S1E_T6_T7_T9_mT8_S1G_bDpT10_ENKUlT_T0_E_clISt17integral_constantIbLb1EES1T_IbLb0EEEEDaS1P_S1Q_EUlS1P_E_NS1_11comp_targetILNS1_3genE8ELNS1_11target_archE1030ELNS1_3gpuE2ELNS1_3repE0EEENS1_30default_config_static_selectorELNS0_4arch9wavefront6targetE1EEEvS12_
	.p2align	8
	.type	_ZN7rocprim17ROCPRIM_400000_NS6detail17trampoline_kernelINS0_13select_configILj256ELj13ELNS0_17block_load_methodE3ELS4_3ELS4_3ELNS0_20block_scan_algorithmE0ELj4294967295EEENS1_25partition_config_selectorILNS1_17partition_subalgoE4EjNS0_10empty_typeEbEEZZNS1_14partition_implILS8_4ELb0ES6_15HIP_vector_typeIjLj2EENS0_17counting_iteratorIjlEEPS9_SG_NS0_5tupleIJPjSI_NS0_16reverse_iteratorISI_EEEEENSH_IJSG_SG_SG_EEES9_SI_JZNS1_25segmented_radix_sort_implINS0_14default_configELb0EPKhPhPKlPlN2at6native12_GLOBAL__N_18offset_tEEE10hipError_tPvRmT1_PNSt15iterator_traitsIS12_E10value_typeET2_T3_PNS13_IS18_E10value_typeET4_jRbjT5_S1E_jjP12ihipStream_tbEUljE_ZNSN_ISO_Lb0ESQ_SR_ST_SU_SY_EESZ_S10_S11_S12_S16_S17_S18_S1B_S1C_jS1D_jS1E_S1E_jjS1G_bEUljE0_EEESZ_S10_S11_S18_S1C_S1E_T6_T7_T9_mT8_S1G_bDpT10_ENKUlT_T0_E_clISt17integral_constantIbLb1EES1T_IbLb0EEEEDaS1P_S1Q_EUlS1P_E_NS1_11comp_targetILNS1_3genE8ELNS1_11target_archE1030ELNS1_3gpuE2ELNS1_3repE0EEENS1_30default_config_static_selectorELNS0_4arch9wavefront6targetE1EEEvS12_,@function
_ZN7rocprim17ROCPRIM_400000_NS6detail17trampoline_kernelINS0_13select_configILj256ELj13ELNS0_17block_load_methodE3ELS4_3ELS4_3ELNS0_20block_scan_algorithmE0ELj4294967295EEENS1_25partition_config_selectorILNS1_17partition_subalgoE4EjNS0_10empty_typeEbEEZZNS1_14partition_implILS8_4ELb0ES6_15HIP_vector_typeIjLj2EENS0_17counting_iteratorIjlEEPS9_SG_NS0_5tupleIJPjSI_NS0_16reverse_iteratorISI_EEEEENSH_IJSG_SG_SG_EEES9_SI_JZNS1_25segmented_radix_sort_implINS0_14default_configELb0EPKhPhPKlPlN2at6native12_GLOBAL__N_18offset_tEEE10hipError_tPvRmT1_PNSt15iterator_traitsIS12_E10value_typeET2_T3_PNS13_IS18_E10value_typeET4_jRbjT5_S1E_jjP12ihipStream_tbEUljE_ZNSN_ISO_Lb0ESQ_SR_ST_SU_SY_EESZ_S10_S11_S12_S16_S17_S18_S1B_S1C_jS1D_jS1E_S1E_jjS1G_bEUljE0_EEESZ_S10_S11_S18_S1C_S1E_T6_T7_T9_mT8_S1G_bDpT10_ENKUlT_T0_E_clISt17integral_constantIbLb1EES1T_IbLb0EEEEDaS1P_S1Q_EUlS1P_E_NS1_11comp_targetILNS1_3genE8ELNS1_11target_archE1030ELNS1_3gpuE2ELNS1_3repE0EEENS1_30default_config_static_selectorELNS0_4arch9wavefront6targetE1EEEvS12_: ; @_ZN7rocprim17ROCPRIM_400000_NS6detail17trampoline_kernelINS0_13select_configILj256ELj13ELNS0_17block_load_methodE3ELS4_3ELS4_3ELNS0_20block_scan_algorithmE0ELj4294967295EEENS1_25partition_config_selectorILNS1_17partition_subalgoE4EjNS0_10empty_typeEbEEZZNS1_14partition_implILS8_4ELb0ES6_15HIP_vector_typeIjLj2EENS0_17counting_iteratorIjlEEPS9_SG_NS0_5tupleIJPjSI_NS0_16reverse_iteratorISI_EEEEENSH_IJSG_SG_SG_EEES9_SI_JZNS1_25segmented_radix_sort_implINS0_14default_configELb0EPKhPhPKlPlN2at6native12_GLOBAL__N_18offset_tEEE10hipError_tPvRmT1_PNSt15iterator_traitsIS12_E10value_typeET2_T3_PNS13_IS18_E10value_typeET4_jRbjT5_S1E_jjP12ihipStream_tbEUljE_ZNSN_ISO_Lb0ESQ_SR_ST_SU_SY_EESZ_S10_S11_S12_S16_S17_S18_S1B_S1C_jS1D_jS1E_S1E_jjS1G_bEUljE0_EEESZ_S10_S11_S18_S1C_S1E_T6_T7_T9_mT8_S1G_bDpT10_ENKUlT_T0_E_clISt17integral_constantIbLb1EES1T_IbLb0EEEEDaS1P_S1Q_EUlS1P_E_NS1_11comp_targetILNS1_3genE8ELNS1_11target_archE1030ELNS1_3gpuE2ELNS1_3repE0EEENS1_30default_config_static_selectorELNS0_4arch9wavefront6targetE1EEEvS12_
; %bb.0:
	.section	.rodata,"a",@progbits
	.p2align	6, 0x0
	.amdhsa_kernel _ZN7rocprim17ROCPRIM_400000_NS6detail17trampoline_kernelINS0_13select_configILj256ELj13ELNS0_17block_load_methodE3ELS4_3ELS4_3ELNS0_20block_scan_algorithmE0ELj4294967295EEENS1_25partition_config_selectorILNS1_17partition_subalgoE4EjNS0_10empty_typeEbEEZZNS1_14partition_implILS8_4ELb0ES6_15HIP_vector_typeIjLj2EENS0_17counting_iteratorIjlEEPS9_SG_NS0_5tupleIJPjSI_NS0_16reverse_iteratorISI_EEEEENSH_IJSG_SG_SG_EEES9_SI_JZNS1_25segmented_radix_sort_implINS0_14default_configELb0EPKhPhPKlPlN2at6native12_GLOBAL__N_18offset_tEEE10hipError_tPvRmT1_PNSt15iterator_traitsIS12_E10value_typeET2_T3_PNS13_IS18_E10value_typeET4_jRbjT5_S1E_jjP12ihipStream_tbEUljE_ZNSN_ISO_Lb0ESQ_SR_ST_SU_SY_EESZ_S10_S11_S12_S16_S17_S18_S1B_S1C_jS1D_jS1E_S1E_jjS1G_bEUljE0_EEESZ_S10_S11_S18_S1C_S1E_T6_T7_T9_mT8_S1G_bDpT10_ENKUlT_T0_E_clISt17integral_constantIbLb1EES1T_IbLb0EEEEDaS1P_S1Q_EUlS1P_E_NS1_11comp_targetILNS1_3genE8ELNS1_11target_archE1030ELNS1_3gpuE2ELNS1_3repE0EEENS1_30default_config_static_selectorELNS0_4arch9wavefront6targetE1EEEvS12_
		.amdhsa_group_segment_fixed_size 0
		.amdhsa_private_segment_fixed_size 0
		.amdhsa_kernarg_size 176
		.amdhsa_user_sgpr_count 6
		.amdhsa_user_sgpr_private_segment_buffer 1
		.amdhsa_user_sgpr_dispatch_ptr 0
		.amdhsa_user_sgpr_queue_ptr 0
		.amdhsa_user_sgpr_kernarg_segment_ptr 1
		.amdhsa_user_sgpr_dispatch_id 0
		.amdhsa_user_sgpr_flat_scratch_init 0
		.amdhsa_user_sgpr_kernarg_preload_length 0
		.amdhsa_user_sgpr_kernarg_preload_offset 0
		.amdhsa_user_sgpr_private_segment_size 0
		.amdhsa_uses_dynamic_stack 0
		.amdhsa_system_sgpr_private_segment_wavefront_offset 0
		.amdhsa_system_sgpr_workgroup_id_x 1
		.amdhsa_system_sgpr_workgroup_id_y 0
		.amdhsa_system_sgpr_workgroup_id_z 0
		.amdhsa_system_sgpr_workgroup_info 0
		.amdhsa_system_vgpr_workitem_id 0
		.amdhsa_next_free_vgpr 1
		.amdhsa_next_free_sgpr 0
		.amdhsa_accum_offset 4
		.amdhsa_reserve_vcc 0
		.amdhsa_reserve_flat_scratch 0
		.amdhsa_float_round_mode_32 0
		.amdhsa_float_round_mode_16_64 0
		.amdhsa_float_denorm_mode_32 3
		.amdhsa_float_denorm_mode_16_64 3
		.amdhsa_dx10_clamp 1
		.amdhsa_ieee_mode 1
		.amdhsa_fp16_overflow 0
		.amdhsa_tg_split 0
		.amdhsa_exception_fp_ieee_invalid_op 0
		.amdhsa_exception_fp_denorm_src 0
		.amdhsa_exception_fp_ieee_div_zero 0
		.amdhsa_exception_fp_ieee_overflow 0
		.amdhsa_exception_fp_ieee_underflow 0
		.amdhsa_exception_fp_ieee_inexact 0
		.amdhsa_exception_int_div_zero 0
	.end_amdhsa_kernel
	.section	.text._ZN7rocprim17ROCPRIM_400000_NS6detail17trampoline_kernelINS0_13select_configILj256ELj13ELNS0_17block_load_methodE3ELS4_3ELS4_3ELNS0_20block_scan_algorithmE0ELj4294967295EEENS1_25partition_config_selectorILNS1_17partition_subalgoE4EjNS0_10empty_typeEbEEZZNS1_14partition_implILS8_4ELb0ES6_15HIP_vector_typeIjLj2EENS0_17counting_iteratorIjlEEPS9_SG_NS0_5tupleIJPjSI_NS0_16reverse_iteratorISI_EEEEENSH_IJSG_SG_SG_EEES9_SI_JZNS1_25segmented_radix_sort_implINS0_14default_configELb0EPKhPhPKlPlN2at6native12_GLOBAL__N_18offset_tEEE10hipError_tPvRmT1_PNSt15iterator_traitsIS12_E10value_typeET2_T3_PNS13_IS18_E10value_typeET4_jRbjT5_S1E_jjP12ihipStream_tbEUljE_ZNSN_ISO_Lb0ESQ_SR_ST_SU_SY_EESZ_S10_S11_S12_S16_S17_S18_S1B_S1C_jS1D_jS1E_S1E_jjS1G_bEUljE0_EEESZ_S10_S11_S18_S1C_S1E_T6_T7_T9_mT8_S1G_bDpT10_ENKUlT_T0_E_clISt17integral_constantIbLb1EES1T_IbLb0EEEEDaS1P_S1Q_EUlS1P_E_NS1_11comp_targetILNS1_3genE8ELNS1_11target_archE1030ELNS1_3gpuE2ELNS1_3repE0EEENS1_30default_config_static_selectorELNS0_4arch9wavefront6targetE1EEEvS12_,"axG",@progbits,_ZN7rocprim17ROCPRIM_400000_NS6detail17trampoline_kernelINS0_13select_configILj256ELj13ELNS0_17block_load_methodE3ELS4_3ELS4_3ELNS0_20block_scan_algorithmE0ELj4294967295EEENS1_25partition_config_selectorILNS1_17partition_subalgoE4EjNS0_10empty_typeEbEEZZNS1_14partition_implILS8_4ELb0ES6_15HIP_vector_typeIjLj2EENS0_17counting_iteratorIjlEEPS9_SG_NS0_5tupleIJPjSI_NS0_16reverse_iteratorISI_EEEEENSH_IJSG_SG_SG_EEES9_SI_JZNS1_25segmented_radix_sort_implINS0_14default_configELb0EPKhPhPKlPlN2at6native12_GLOBAL__N_18offset_tEEE10hipError_tPvRmT1_PNSt15iterator_traitsIS12_E10value_typeET2_T3_PNS13_IS18_E10value_typeET4_jRbjT5_S1E_jjP12ihipStream_tbEUljE_ZNSN_ISO_Lb0ESQ_SR_ST_SU_SY_EESZ_S10_S11_S12_S16_S17_S18_S1B_S1C_jS1D_jS1E_S1E_jjS1G_bEUljE0_EEESZ_S10_S11_S18_S1C_S1E_T6_T7_T9_mT8_S1G_bDpT10_ENKUlT_T0_E_clISt17integral_constantIbLb1EES1T_IbLb0EEEEDaS1P_S1Q_EUlS1P_E_NS1_11comp_targetILNS1_3genE8ELNS1_11target_archE1030ELNS1_3gpuE2ELNS1_3repE0EEENS1_30default_config_static_selectorELNS0_4arch9wavefront6targetE1EEEvS12_,comdat
.Lfunc_end145:
	.size	_ZN7rocprim17ROCPRIM_400000_NS6detail17trampoline_kernelINS0_13select_configILj256ELj13ELNS0_17block_load_methodE3ELS4_3ELS4_3ELNS0_20block_scan_algorithmE0ELj4294967295EEENS1_25partition_config_selectorILNS1_17partition_subalgoE4EjNS0_10empty_typeEbEEZZNS1_14partition_implILS8_4ELb0ES6_15HIP_vector_typeIjLj2EENS0_17counting_iteratorIjlEEPS9_SG_NS0_5tupleIJPjSI_NS0_16reverse_iteratorISI_EEEEENSH_IJSG_SG_SG_EEES9_SI_JZNS1_25segmented_radix_sort_implINS0_14default_configELb0EPKhPhPKlPlN2at6native12_GLOBAL__N_18offset_tEEE10hipError_tPvRmT1_PNSt15iterator_traitsIS12_E10value_typeET2_T3_PNS13_IS18_E10value_typeET4_jRbjT5_S1E_jjP12ihipStream_tbEUljE_ZNSN_ISO_Lb0ESQ_SR_ST_SU_SY_EESZ_S10_S11_S12_S16_S17_S18_S1B_S1C_jS1D_jS1E_S1E_jjS1G_bEUljE0_EEESZ_S10_S11_S18_S1C_S1E_T6_T7_T9_mT8_S1G_bDpT10_ENKUlT_T0_E_clISt17integral_constantIbLb1EES1T_IbLb0EEEEDaS1P_S1Q_EUlS1P_E_NS1_11comp_targetILNS1_3genE8ELNS1_11target_archE1030ELNS1_3gpuE2ELNS1_3repE0EEENS1_30default_config_static_selectorELNS0_4arch9wavefront6targetE1EEEvS12_, .Lfunc_end145-_ZN7rocprim17ROCPRIM_400000_NS6detail17trampoline_kernelINS0_13select_configILj256ELj13ELNS0_17block_load_methodE3ELS4_3ELS4_3ELNS0_20block_scan_algorithmE0ELj4294967295EEENS1_25partition_config_selectorILNS1_17partition_subalgoE4EjNS0_10empty_typeEbEEZZNS1_14partition_implILS8_4ELb0ES6_15HIP_vector_typeIjLj2EENS0_17counting_iteratorIjlEEPS9_SG_NS0_5tupleIJPjSI_NS0_16reverse_iteratorISI_EEEEENSH_IJSG_SG_SG_EEES9_SI_JZNS1_25segmented_radix_sort_implINS0_14default_configELb0EPKhPhPKlPlN2at6native12_GLOBAL__N_18offset_tEEE10hipError_tPvRmT1_PNSt15iterator_traitsIS12_E10value_typeET2_T3_PNS13_IS18_E10value_typeET4_jRbjT5_S1E_jjP12ihipStream_tbEUljE_ZNSN_ISO_Lb0ESQ_SR_ST_SU_SY_EESZ_S10_S11_S12_S16_S17_S18_S1B_S1C_jS1D_jS1E_S1E_jjS1G_bEUljE0_EEESZ_S10_S11_S18_S1C_S1E_T6_T7_T9_mT8_S1G_bDpT10_ENKUlT_T0_E_clISt17integral_constantIbLb1EES1T_IbLb0EEEEDaS1P_S1Q_EUlS1P_E_NS1_11comp_targetILNS1_3genE8ELNS1_11target_archE1030ELNS1_3gpuE2ELNS1_3repE0EEENS1_30default_config_static_selectorELNS0_4arch9wavefront6targetE1EEEvS12_
                                        ; -- End function
	.section	.AMDGPU.csdata,"",@progbits
; Kernel info:
; codeLenInByte = 0
; NumSgprs: 4
; NumVgprs: 0
; NumAgprs: 0
; TotalNumVgprs: 0
; ScratchSize: 0
; MemoryBound: 0
; FloatMode: 240
; IeeeMode: 1
; LDSByteSize: 0 bytes/workgroup (compile time only)
; SGPRBlocks: 0
; VGPRBlocks: 0
; NumSGPRsForWavesPerEU: 4
; NumVGPRsForWavesPerEU: 1
; AccumOffset: 4
; Occupancy: 8
; WaveLimiterHint : 0
; COMPUTE_PGM_RSRC2:SCRATCH_EN: 0
; COMPUTE_PGM_RSRC2:USER_SGPR: 6
; COMPUTE_PGM_RSRC2:TRAP_HANDLER: 0
; COMPUTE_PGM_RSRC2:TGID_X_EN: 1
; COMPUTE_PGM_RSRC2:TGID_Y_EN: 0
; COMPUTE_PGM_RSRC2:TGID_Z_EN: 0
; COMPUTE_PGM_RSRC2:TIDIG_COMP_CNT: 0
; COMPUTE_PGM_RSRC3_GFX90A:ACCUM_OFFSET: 0
; COMPUTE_PGM_RSRC3_GFX90A:TG_SPLIT: 0
	.section	.text._ZN7rocprim17ROCPRIM_400000_NS6detail17trampoline_kernelINS0_13select_configILj256ELj13ELNS0_17block_load_methodE3ELS4_3ELS4_3ELNS0_20block_scan_algorithmE0ELj4294967295EEENS1_25partition_config_selectorILNS1_17partition_subalgoE4EjNS0_10empty_typeEbEEZZNS1_14partition_implILS8_4ELb0ES6_15HIP_vector_typeIjLj2EENS0_17counting_iteratorIjlEEPS9_SG_NS0_5tupleIJPjSI_NS0_16reverse_iteratorISI_EEEEENSH_IJSG_SG_SG_EEES9_SI_JZNS1_25segmented_radix_sort_implINS0_14default_configELb0EPKhPhPKlPlN2at6native12_GLOBAL__N_18offset_tEEE10hipError_tPvRmT1_PNSt15iterator_traitsIS12_E10value_typeET2_T3_PNS13_IS18_E10value_typeET4_jRbjT5_S1E_jjP12ihipStream_tbEUljE_ZNSN_ISO_Lb0ESQ_SR_ST_SU_SY_EESZ_S10_S11_S12_S16_S17_S18_S1B_S1C_jS1D_jS1E_S1E_jjS1G_bEUljE0_EEESZ_S10_S11_S18_S1C_S1E_T6_T7_T9_mT8_S1G_bDpT10_ENKUlT_T0_E_clISt17integral_constantIbLb0EES1T_IbLb1EEEEDaS1P_S1Q_EUlS1P_E_NS1_11comp_targetILNS1_3genE0ELNS1_11target_archE4294967295ELNS1_3gpuE0ELNS1_3repE0EEENS1_30default_config_static_selectorELNS0_4arch9wavefront6targetE1EEEvS12_,"axG",@progbits,_ZN7rocprim17ROCPRIM_400000_NS6detail17trampoline_kernelINS0_13select_configILj256ELj13ELNS0_17block_load_methodE3ELS4_3ELS4_3ELNS0_20block_scan_algorithmE0ELj4294967295EEENS1_25partition_config_selectorILNS1_17partition_subalgoE4EjNS0_10empty_typeEbEEZZNS1_14partition_implILS8_4ELb0ES6_15HIP_vector_typeIjLj2EENS0_17counting_iteratorIjlEEPS9_SG_NS0_5tupleIJPjSI_NS0_16reverse_iteratorISI_EEEEENSH_IJSG_SG_SG_EEES9_SI_JZNS1_25segmented_radix_sort_implINS0_14default_configELb0EPKhPhPKlPlN2at6native12_GLOBAL__N_18offset_tEEE10hipError_tPvRmT1_PNSt15iterator_traitsIS12_E10value_typeET2_T3_PNS13_IS18_E10value_typeET4_jRbjT5_S1E_jjP12ihipStream_tbEUljE_ZNSN_ISO_Lb0ESQ_SR_ST_SU_SY_EESZ_S10_S11_S12_S16_S17_S18_S1B_S1C_jS1D_jS1E_S1E_jjS1G_bEUljE0_EEESZ_S10_S11_S18_S1C_S1E_T6_T7_T9_mT8_S1G_bDpT10_ENKUlT_T0_E_clISt17integral_constantIbLb0EES1T_IbLb1EEEEDaS1P_S1Q_EUlS1P_E_NS1_11comp_targetILNS1_3genE0ELNS1_11target_archE4294967295ELNS1_3gpuE0ELNS1_3repE0EEENS1_30default_config_static_selectorELNS0_4arch9wavefront6targetE1EEEvS12_,comdat
	.globl	_ZN7rocprim17ROCPRIM_400000_NS6detail17trampoline_kernelINS0_13select_configILj256ELj13ELNS0_17block_load_methodE3ELS4_3ELS4_3ELNS0_20block_scan_algorithmE0ELj4294967295EEENS1_25partition_config_selectorILNS1_17partition_subalgoE4EjNS0_10empty_typeEbEEZZNS1_14partition_implILS8_4ELb0ES6_15HIP_vector_typeIjLj2EENS0_17counting_iteratorIjlEEPS9_SG_NS0_5tupleIJPjSI_NS0_16reverse_iteratorISI_EEEEENSH_IJSG_SG_SG_EEES9_SI_JZNS1_25segmented_radix_sort_implINS0_14default_configELb0EPKhPhPKlPlN2at6native12_GLOBAL__N_18offset_tEEE10hipError_tPvRmT1_PNSt15iterator_traitsIS12_E10value_typeET2_T3_PNS13_IS18_E10value_typeET4_jRbjT5_S1E_jjP12ihipStream_tbEUljE_ZNSN_ISO_Lb0ESQ_SR_ST_SU_SY_EESZ_S10_S11_S12_S16_S17_S18_S1B_S1C_jS1D_jS1E_S1E_jjS1G_bEUljE0_EEESZ_S10_S11_S18_S1C_S1E_T6_T7_T9_mT8_S1G_bDpT10_ENKUlT_T0_E_clISt17integral_constantIbLb0EES1T_IbLb1EEEEDaS1P_S1Q_EUlS1P_E_NS1_11comp_targetILNS1_3genE0ELNS1_11target_archE4294967295ELNS1_3gpuE0ELNS1_3repE0EEENS1_30default_config_static_selectorELNS0_4arch9wavefront6targetE1EEEvS12_ ; -- Begin function _ZN7rocprim17ROCPRIM_400000_NS6detail17trampoline_kernelINS0_13select_configILj256ELj13ELNS0_17block_load_methodE3ELS4_3ELS4_3ELNS0_20block_scan_algorithmE0ELj4294967295EEENS1_25partition_config_selectorILNS1_17partition_subalgoE4EjNS0_10empty_typeEbEEZZNS1_14partition_implILS8_4ELb0ES6_15HIP_vector_typeIjLj2EENS0_17counting_iteratorIjlEEPS9_SG_NS0_5tupleIJPjSI_NS0_16reverse_iteratorISI_EEEEENSH_IJSG_SG_SG_EEES9_SI_JZNS1_25segmented_radix_sort_implINS0_14default_configELb0EPKhPhPKlPlN2at6native12_GLOBAL__N_18offset_tEEE10hipError_tPvRmT1_PNSt15iterator_traitsIS12_E10value_typeET2_T3_PNS13_IS18_E10value_typeET4_jRbjT5_S1E_jjP12ihipStream_tbEUljE_ZNSN_ISO_Lb0ESQ_SR_ST_SU_SY_EESZ_S10_S11_S12_S16_S17_S18_S1B_S1C_jS1D_jS1E_S1E_jjS1G_bEUljE0_EEESZ_S10_S11_S18_S1C_S1E_T6_T7_T9_mT8_S1G_bDpT10_ENKUlT_T0_E_clISt17integral_constantIbLb0EES1T_IbLb1EEEEDaS1P_S1Q_EUlS1P_E_NS1_11comp_targetILNS1_3genE0ELNS1_11target_archE4294967295ELNS1_3gpuE0ELNS1_3repE0EEENS1_30default_config_static_selectorELNS0_4arch9wavefront6targetE1EEEvS12_
	.p2align	8
	.type	_ZN7rocprim17ROCPRIM_400000_NS6detail17trampoline_kernelINS0_13select_configILj256ELj13ELNS0_17block_load_methodE3ELS4_3ELS4_3ELNS0_20block_scan_algorithmE0ELj4294967295EEENS1_25partition_config_selectorILNS1_17partition_subalgoE4EjNS0_10empty_typeEbEEZZNS1_14partition_implILS8_4ELb0ES6_15HIP_vector_typeIjLj2EENS0_17counting_iteratorIjlEEPS9_SG_NS0_5tupleIJPjSI_NS0_16reverse_iteratorISI_EEEEENSH_IJSG_SG_SG_EEES9_SI_JZNS1_25segmented_radix_sort_implINS0_14default_configELb0EPKhPhPKlPlN2at6native12_GLOBAL__N_18offset_tEEE10hipError_tPvRmT1_PNSt15iterator_traitsIS12_E10value_typeET2_T3_PNS13_IS18_E10value_typeET4_jRbjT5_S1E_jjP12ihipStream_tbEUljE_ZNSN_ISO_Lb0ESQ_SR_ST_SU_SY_EESZ_S10_S11_S12_S16_S17_S18_S1B_S1C_jS1D_jS1E_S1E_jjS1G_bEUljE0_EEESZ_S10_S11_S18_S1C_S1E_T6_T7_T9_mT8_S1G_bDpT10_ENKUlT_T0_E_clISt17integral_constantIbLb0EES1T_IbLb1EEEEDaS1P_S1Q_EUlS1P_E_NS1_11comp_targetILNS1_3genE0ELNS1_11target_archE4294967295ELNS1_3gpuE0ELNS1_3repE0EEENS1_30default_config_static_selectorELNS0_4arch9wavefront6targetE1EEEvS12_,@function
_ZN7rocprim17ROCPRIM_400000_NS6detail17trampoline_kernelINS0_13select_configILj256ELj13ELNS0_17block_load_methodE3ELS4_3ELS4_3ELNS0_20block_scan_algorithmE0ELj4294967295EEENS1_25partition_config_selectorILNS1_17partition_subalgoE4EjNS0_10empty_typeEbEEZZNS1_14partition_implILS8_4ELb0ES6_15HIP_vector_typeIjLj2EENS0_17counting_iteratorIjlEEPS9_SG_NS0_5tupleIJPjSI_NS0_16reverse_iteratorISI_EEEEENSH_IJSG_SG_SG_EEES9_SI_JZNS1_25segmented_radix_sort_implINS0_14default_configELb0EPKhPhPKlPlN2at6native12_GLOBAL__N_18offset_tEEE10hipError_tPvRmT1_PNSt15iterator_traitsIS12_E10value_typeET2_T3_PNS13_IS18_E10value_typeET4_jRbjT5_S1E_jjP12ihipStream_tbEUljE_ZNSN_ISO_Lb0ESQ_SR_ST_SU_SY_EESZ_S10_S11_S12_S16_S17_S18_S1B_S1C_jS1D_jS1E_S1E_jjS1G_bEUljE0_EEESZ_S10_S11_S18_S1C_S1E_T6_T7_T9_mT8_S1G_bDpT10_ENKUlT_T0_E_clISt17integral_constantIbLb0EES1T_IbLb1EEEEDaS1P_S1Q_EUlS1P_E_NS1_11comp_targetILNS1_3genE0ELNS1_11target_archE4294967295ELNS1_3gpuE0ELNS1_3repE0EEENS1_30default_config_static_selectorELNS0_4arch9wavefront6targetE1EEEvS12_: ; @_ZN7rocprim17ROCPRIM_400000_NS6detail17trampoline_kernelINS0_13select_configILj256ELj13ELNS0_17block_load_methodE3ELS4_3ELS4_3ELNS0_20block_scan_algorithmE0ELj4294967295EEENS1_25partition_config_selectorILNS1_17partition_subalgoE4EjNS0_10empty_typeEbEEZZNS1_14partition_implILS8_4ELb0ES6_15HIP_vector_typeIjLj2EENS0_17counting_iteratorIjlEEPS9_SG_NS0_5tupleIJPjSI_NS0_16reverse_iteratorISI_EEEEENSH_IJSG_SG_SG_EEES9_SI_JZNS1_25segmented_radix_sort_implINS0_14default_configELb0EPKhPhPKlPlN2at6native12_GLOBAL__N_18offset_tEEE10hipError_tPvRmT1_PNSt15iterator_traitsIS12_E10value_typeET2_T3_PNS13_IS18_E10value_typeET4_jRbjT5_S1E_jjP12ihipStream_tbEUljE_ZNSN_ISO_Lb0ESQ_SR_ST_SU_SY_EESZ_S10_S11_S12_S16_S17_S18_S1B_S1C_jS1D_jS1E_S1E_jjS1G_bEUljE0_EEESZ_S10_S11_S18_S1C_S1E_T6_T7_T9_mT8_S1G_bDpT10_ENKUlT_T0_E_clISt17integral_constantIbLb0EES1T_IbLb1EEEEDaS1P_S1Q_EUlS1P_E_NS1_11comp_targetILNS1_3genE0ELNS1_11target_archE4294967295ELNS1_3gpuE0ELNS1_3repE0EEENS1_30default_config_static_selectorELNS0_4arch9wavefront6targetE1EEEvS12_
; %bb.0:
	.section	.rodata,"a",@progbits
	.p2align	6, 0x0
	.amdhsa_kernel _ZN7rocprim17ROCPRIM_400000_NS6detail17trampoline_kernelINS0_13select_configILj256ELj13ELNS0_17block_load_methodE3ELS4_3ELS4_3ELNS0_20block_scan_algorithmE0ELj4294967295EEENS1_25partition_config_selectorILNS1_17partition_subalgoE4EjNS0_10empty_typeEbEEZZNS1_14partition_implILS8_4ELb0ES6_15HIP_vector_typeIjLj2EENS0_17counting_iteratorIjlEEPS9_SG_NS0_5tupleIJPjSI_NS0_16reverse_iteratorISI_EEEEENSH_IJSG_SG_SG_EEES9_SI_JZNS1_25segmented_radix_sort_implINS0_14default_configELb0EPKhPhPKlPlN2at6native12_GLOBAL__N_18offset_tEEE10hipError_tPvRmT1_PNSt15iterator_traitsIS12_E10value_typeET2_T3_PNS13_IS18_E10value_typeET4_jRbjT5_S1E_jjP12ihipStream_tbEUljE_ZNSN_ISO_Lb0ESQ_SR_ST_SU_SY_EESZ_S10_S11_S12_S16_S17_S18_S1B_S1C_jS1D_jS1E_S1E_jjS1G_bEUljE0_EEESZ_S10_S11_S18_S1C_S1E_T6_T7_T9_mT8_S1G_bDpT10_ENKUlT_T0_E_clISt17integral_constantIbLb0EES1T_IbLb1EEEEDaS1P_S1Q_EUlS1P_E_NS1_11comp_targetILNS1_3genE0ELNS1_11target_archE4294967295ELNS1_3gpuE0ELNS1_3repE0EEENS1_30default_config_static_selectorELNS0_4arch9wavefront6targetE1EEEvS12_
		.amdhsa_group_segment_fixed_size 0
		.amdhsa_private_segment_fixed_size 0
		.amdhsa_kernarg_size 184
		.amdhsa_user_sgpr_count 6
		.amdhsa_user_sgpr_private_segment_buffer 1
		.amdhsa_user_sgpr_dispatch_ptr 0
		.amdhsa_user_sgpr_queue_ptr 0
		.amdhsa_user_sgpr_kernarg_segment_ptr 1
		.amdhsa_user_sgpr_dispatch_id 0
		.amdhsa_user_sgpr_flat_scratch_init 0
		.amdhsa_user_sgpr_kernarg_preload_length 0
		.amdhsa_user_sgpr_kernarg_preload_offset 0
		.amdhsa_user_sgpr_private_segment_size 0
		.amdhsa_uses_dynamic_stack 0
		.amdhsa_system_sgpr_private_segment_wavefront_offset 0
		.amdhsa_system_sgpr_workgroup_id_x 1
		.amdhsa_system_sgpr_workgroup_id_y 0
		.amdhsa_system_sgpr_workgroup_id_z 0
		.amdhsa_system_sgpr_workgroup_info 0
		.amdhsa_system_vgpr_workitem_id 0
		.amdhsa_next_free_vgpr 1
		.amdhsa_next_free_sgpr 0
		.amdhsa_accum_offset 4
		.amdhsa_reserve_vcc 0
		.amdhsa_reserve_flat_scratch 0
		.amdhsa_float_round_mode_32 0
		.amdhsa_float_round_mode_16_64 0
		.amdhsa_float_denorm_mode_32 3
		.amdhsa_float_denorm_mode_16_64 3
		.amdhsa_dx10_clamp 1
		.amdhsa_ieee_mode 1
		.amdhsa_fp16_overflow 0
		.amdhsa_tg_split 0
		.amdhsa_exception_fp_ieee_invalid_op 0
		.amdhsa_exception_fp_denorm_src 0
		.amdhsa_exception_fp_ieee_div_zero 0
		.amdhsa_exception_fp_ieee_overflow 0
		.amdhsa_exception_fp_ieee_underflow 0
		.amdhsa_exception_fp_ieee_inexact 0
		.amdhsa_exception_int_div_zero 0
	.end_amdhsa_kernel
	.section	.text._ZN7rocprim17ROCPRIM_400000_NS6detail17trampoline_kernelINS0_13select_configILj256ELj13ELNS0_17block_load_methodE3ELS4_3ELS4_3ELNS0_20block_scan_algorithmE0ELj4294967295EEENS1_25partition_config_selectorILNS1_17partition_subalgoE4EjNS0_10empty_typeEbEEZZNS1_14partition_implILS8_4ELb0ES6_15HIP_vector_typeIjLj2EENS0_17counting_iteratorIjlEEPS9_SG_NS0_5tupleIJPjSI_NS0_16reverse_iteratorISI_EEEEENSH_IJSG_SG_SG_EEES9_SI_JZNS1_25segmented_radix_sort_implINS0_14default_configELb0EPKhPhPKlPlN2at6native12_GLOBAL__N_18offset_tEEE10hipError_tPvRmT1_PNSt15iterator_traitsIS12_E10value_typeET2_T3_PNS13_IS18_E10value_typeET4_jRbjT5_S1E_jjP12ihipStream_tbEUljE_ZNSN_ISO_Lb0ESQ_SR_ST_SU_SY_EESZ_S10_S11_S12_S16_S17_S18_S1B_S1C_jS1D_jS1E_S1E_jjS1G_bEUljE0_EEESZ_S10_S11_S18_S1C_S1E_T6_T7_T9_mT8_S1G_bDpT10_ENKUlT_T0_E_clISt17integral_constantIbLb0EES1T_IbLb1EEEEDaS1P_S1Q_EUlS1P_E_NS1_11comp_targetILNS1_3genE0ELNS1_11target_archE4294967295ELNS1_3gpuE0ELNS1_3repE0EEENS1_30default_config_static_selectorELNS0_4arch9wavefront6targetE1EEEvS12_,"axG",@progbits,_ZN7rocprim17ROCPRIM_400000_NS6detail17trampoline_kernelINS0_13select_configILj256ELj13ELNS0_17block_load_methodE3ELS4_3ELS4_3ELNS0_20block_scan_algorithmE0ELj4294967295EEENS1_25partition_config_selectorILNS1_17partition_subalgoE4EjNS0_10empty_typeEbEEZZNS1_14partition_implILS8_4ELb0ES6_15HIP_vector_typeIjLj2EENS0_17counting_iteratorIjlEEPS9_SG_NS0_5tupleIJPjSI_NS0_16reverse_iteratorISI_EEEEENSH_IJSG_SG_SG_EEES9_SI_JZNS1_25segmented_radix_sort_implINS0_14default_configELb0EPKhPhPKlPlN2at6native12_GLOBAL__N_18offset_tEEE10hipError_tPvRmT1_PNSt15iterator_traitsIS12_E10value_typeET2_T3_PNS13_IS18_E10value_typeET4_jRbjT5_S1E_jjP12ihipStream_tbEUljE_ZNSN_ISO_Lb0ESQ_SR_ST_SU_SY_EESZ_S10_S11_S12_S16_S17_S18_S1B_S1C_jS1D_jS1E_S1E_jjS1G_bEUljE0_EEESZ_S10_S11_S18_S1C_S1E_T6_T7_T9_mT8_S1G_bDpT10_ENKUlT_T0_E_clISt17integral_constantIbLb0EES1T_IbLb1EEEEDaS1P_S1Q_EUlS1P_E_NS1_11comp_targetILNS1_3genE0ELNS1_11target_archE4294967295ELNS1_3gpuE0ELNS1_3repE0EEENS1_30default_config_static_selectorELNS0_4arch9wavefront6targetE1EEEvS12_,comdat
.Lfunc_end146:
	.size	_ZN7rocprim17ROCPRIM_400000_NS6detail17trampoline_kernelINS0_13select_configILj256ELj13ELNS0_17block_load_methodE3ELS4_3ELS4_3ELNS0_20block_scan_algorithmE0ELj4294967295EEENS1_25partition_config_selectorILNS1_17partition_subalgoE4EjNS0_10empty_typeEbEEZZNS1_14partition_implILS8_4ELb0ES6_15HIP_vector_typeIjLj2EENS0_17counting_iteratorIjlEEPS9_SG_NS0_5tupleIJPjSI_NS0_16reverse_iteratorISI_EEEEENSH_IJSG_SG_SG_EEES9_SI_JZNS1_25segmented_radix_sort_implINS0_14default_configELb0EPKhPhPKlPlN2at6native12_GLOBAL__N_18offset_tEEE10hipError_tPvRmT1_PNSt15iterator_traitsIS12_E10value_typeET2_T3_PNS13_IS18_E10value_typeET4_jRbjT5_S1E_jjP12ihipStream_tbEUljE_ZNSN_ISO_Lb0ESQ_SR_ST_SU_SY_EESZ_S10_S11_S12_S16_S17_S18_S1B_S1C_jS1D_jS1E_S1E_jjS1G_bEUljE0_EEESZ_S10_S11_S18_S1C_S1E_T6_T7_T9_mT8_S1G_bDpT10_ENKUlT_T0_E_clISt17integral_constantIbLb0EES1T_IbLb1EEEEDaS1P_S1Q_EUlS1P_E_NS1_11comp_targetILNS1_3genE0ELNS1_11target_archE4294967295ELNS1_3gpuE0ELNS1_3repE0EEENS1_30default_config_static_selectorELNS0_4arch9wavefront6targetE1EEEvS12_, .Lfunc_end146-_ZN7rocprim17ROCPRIM_400000_NS6detail17trampoline_kernelINS0_13select_configILj256ELj13ELNS0_17block_load_methodE3ELS4_3ELS4_3ELNS0_20block_scan_algorithmE0ELj4294967295EEENS1_25partition_config_selectorILNS1_17partition_subalgoE4EjNS0_10empty_typeEbEEZZNS1_14partition_implILS8_4ELb0ES6_15HIP_vector_typeIjLj2EENS0_17counting_iteratorIjlEEPS9_SG_NS0_5tupleIJPjSI_NS0_16reverse_iteratorISI_EEEEENSH_IJSG_SG_SG_EEES9_SI_JZNS1_25segmented_radix_sort_implINS0_14default_configELb0EPKhPhPKlPlN2at6native12_GLOBAL__N_18offset_tEEE10hipError_tPvRmT1_PNSt15iterator_traitsIS12_E10value_typeET2_T3_PNS13_IS18_E10value_typeET4_jRbjT5_S1E_jjP12ihipStream_tbEUljE_ZNSN_ISO_Lb0ESQ_SR_ST_SU_SY_EESZ_S10_S11_S12_S16_S17_S18_S1B_S1C_jS1D_jS1E_S1E_jjS1G_bEUljE0_EEESZ_S10_S11_S18_S1C_S1E_T6_T7_T9_mT8_S1G_bDpT10_ENKUlT_T0_E_clISt17integral_constantIbLb0EES1T_IbLb1EEEEDaS1P_S1Q_EUlS1P_E_NS1_11comp_targetILNS1_3genE0ELNS1_11target_archE4294967295ELNS1_3gpuE0ELNS1_3repE0EEENS1_30default_config_static_selectorELNS0_4arch9wavefront6targetE1EEEvS12_
                                        ; -- End function
	.section	.AMDGPU.csdata,"",@progbits
; Kernel info:
; codeLenInByte = 0
; NumSgprs: 4
; NumVgprs: 0
; NumAgprs: 0
; TotalNumVgprs: 0
; ScratchSize: 0
; MemoryBound: 0
; FloatMode: 240
; IeeeMode: 1
; LDSByteSize: 0 bytes/workgroup (compile time only)
; SGPRBlocks: 0
; VGPRBlocks: 0
; NumSGPRsForWavesPerEU: 4
; NumVGPRsForWavesPerEU: 1
; AccumOffset: 4
; Occupancy: 8
; WaveLimiterHint : 0
; COMPUTE_PGM_RSRC2:SCRATCH_EN: 0
; COMPUTE_PGM_RSRC2:USER_SGPR: 6
; COMPUTE_PGM_RSRC2:TRAP_HANDLER: 0
; COMPUTE_PGM_RSRC2:TGID_X_EN: 1
; COMPUTE_PGM_RSRC2:TGID_Y_EN: 0
; COMPUTE_PGM_RSRC2:TGID_Z_EN: 0
; COMPUTE_PGM_RSRC2:TIDIG_COMP_CNT: 0
; COMPUTE_PGM_RSRC3_GFX90A:ACCUM_OFFSET: 0
; COMPUTE_PGM_RSRC3_GFX90A:TG_SPLIT: 0
	.section	.text._ZN7rocprim17ROCPRIM_400000_NS6detail17trampoline_kernelINS0_13select_configILj256ELj13ELNS0_17block_load_methodE3ELS4_3ELS4_3ELNS0_20block_scan_algorithmE0ELj4294967295EEENS1_25partition_config_selectorILNS1_17partition_subalgoE4EjNS0_10empty_typeEbEEZZNS1_14partition_implILS8_4ELb0ES6_15HIP_vector_typeIjLj2EENS0_17counting_iteratorIjlEEPS9_SG_NS0_5tupleIJPjSI_NS0_16reverse_iteratorISI_EEEEENSH_IJSG_SG_SG_EEES9_SI_JZNS1_25segmented_radix_sort_implINS0_14default_configELb0EPKhPhPKlPlN2at6native12_GLOBAL__N_18offset_tEEE10hipError_tPvRmT1_PNSt15iterator_traitsIS12_E10value_typeET2_T3_PNS13_IS18_E10value_typeET4_jRbjT5_S1E_jjP12ihipStream_tbEUljE_ZNSN_ISO_Lb0ESQ_SR_ST_SU_SY_EESZ_S10_S11_S12_S16_S17_S18_S1B_S1C_jS1D_jS1E_S1E_jjS1G_bEUljE0_EEESZ_S10_S11_S18_S1C_S1E_T6_T7_T9_mT8_S1G_bDpT10_ENKUlT_T0_E_clISt17integral_constantIbLb0EES1T_IbLb1EEEEDaS1P_S1Q_EUlS1P_E_NS1_11comp_targetILNS1_3genE5ELNS1_11target_archE942ELNS1_3gpuE9ELNS1_3repE0EEENS1_30default_config_static_selectorELNS0_4arch9wavefront6targetE1EEEvS12_,"axG",@progbits,_ZN7rocprim17ROCPRIM_400000_NS6detail17trampoline_kernelINS0_13select_configILj256ELj13ELNS0_17block_load_methodE3ELS4_3ELS4_3ELNS0_20block_scan_algorithmE0ELj4294967295EEENS1_25partition_config_selectorILNS1_17partition_subalgoE4EjNS0_10empty_typeEbEEZZNS1_14partition_implILS8_4ELb0ES6_15HIP_vector_typeIjLj2EENS0_17counting_iteratorIjlEEPS9_SG_NS0_5tupleIJPjSI_NS0_16reverse_iteratorISI_EEEEENSH_IJSG_SG_SG_EEES9_SI_JZNS1_25segmented_radix_sort_implINS0_14default_configELb0EPKhPhPKlPlN2at6native12_GLOBAL__N_18offset_tEEE10hipError_tPvRmT1_PNSt15iterator_traitsIS12_E10value_typeET2_T3_PNS13_IS18_E10value_typeET4_jRbjT5_S1E_jjP12ihipStream_tbEUljE_ZNSN_ISO_Lb0ESQ_SR_ST_SU_SY_EESZ_S10_S11_S12_S16_S17_S18_S1B_S1C_jS1D_jS1E_S1E_jjS1G_bEUljE0_EEESZ_S10_S11_S18_S1C_S1E_T6_T7_T9_mT8_S1G_bDpT10_ENKUlT_T0_E_clISt17integral_constantIbLb0EES1T_IbLb1EEEEDaS1P_S1Q_EUlS1P_E_NS1_11comp_targetILNS1_3genE5ELNS1_11target_archE942ELNS1_3gpuE9ELNS1_3repE0EEENS1_30default_config_static_selectorELNS0_4arch9wavefront6targetE1EEEvS12_,comdat
	.globl	_ZN7rocprim17ROCPRIM_400000_NS6detail17trampoline_kernelINS0_13select_configILj256ELj13ELNS0_17block_load_methodE3ELS4_3ELS4_3ELNS0_20block_scan_algorithmE0ELj4294967295EEENS1_25partition_config_selectorILNS1_17partition_subalgoE4EjNS0_10empty_typeEbEEZZNS1_14partition_implILS8_4ELb0ES6_15HIP_vector_typeIjLj2EENS0_17counting_iteratorIjlEEPS9_SG_NS0_5tupleIJPjSI_NS0_16reverse_iteratorISI_EEEEENSH_IJSG_SG_SG_EEES9_SI_JZNS1_25segmented_radix_sort_implINS0_14default_configELb0EPKhPhPKlPlN2at6native12_GLOBAL__N_18offset_tEEE10hipError_tPvRmT1_PNSt15iterator_traitsIS12_E10value_typeET2_T3_PNS13_IS18_E10value_typeET4_jRbjT5_S1E_jjP12ihipStream_tbEUljE_ZNSN_ISO_Lb0ESQ_SR_ST_SU_SY_EESZ_S10_S11_S12_S16_S17_S18_S1B_S1C_jS1D_jS1E_S1E_jjS1G_bEUljE0_EEESZ_S10_S11_S18_S1C_S1E_T6_T7_T9_mT8_S1G_bDpT10_ENKUlT_T0_E_clISt17integral_constantIbLb0EES1T_IbLb1EEEEDaS1P_S1Q_EUlS1P_E_NS1_11comp_targetILNS1_3genE5ELNS1_11target_archE942ELNS1_3gpuE9ELNS1_3repE0EEENS1_30default_config_static_selectorELNS0_4arch9wavefront6targetE1EEEvS12_ ; -- Begin function _ZN7rocprim17ROCPRIM_400000_NS6detail17trampoline_kernelINS0_13select_configILj256ELj13ELNS0_17block_load_methodE3ELS4_3ELS4_3ELNS0_20block_scan_algorithmE0ELj4294967295EEENS1_25partition_config_selectorILNS1_17partition_subalgoE4EjNS0_10empty_typeEbEEZZNS1_14partition_implILS8_4ELb0ES6_15HIP_vector_typeIjLj2EENS0_17counting_iteratorIjlEEPS9_SG_NS0_5tupleIJPjSI_NS0_16reverse_iteratorISI_EEEEENSH_IJSG_SG_SG_EEES9_SI_JZNS1_25segmented_radix_sort_implINS0_14default_configELb0EPKhPhPKlPlN2at6native12_GLOBAL__N_18offset_tEEE10hipError_tPvRmT1_PNSt15iterator_traitsIS12_E10value_typeET2_T3_PNS13_IS18_E10value_typeET4_jRbjT5_S1E_jjP12ihipStream_tbEUljE_ZNSN_ISO_Lb0ESQ_SR_ST_SU_SY_EESZ_S10_S11_S12_S16_S17_S18_S1B_S1C_jS1D_jS1E_S1E_jjS1G_bEUljE0_EEESZ_S10_S11_S18_S1C_S1E_T6_T7_T9_mT8_S1G_bDpT10_ENKUlT_T0_E_clISt17integral_constantIbLb0EES1T_IbLb1EEEEDaS1P_S1Q_EUlS1P_E_NS1_11comp_targetILNS1_3genE5ELNS1_11target_archE942ELNS1_3gpuE9ELNS1_3repE0EEENS1_30default_config_static_selectorELNS0_4arch9wavefront6targetE1EEEvS12_
	.p2align	8
	.type	_ZN7rocprim17ROCPRIM_400000_NS6detail17trampoline_kernelINS0_13select_configILj256ELj13ELNS0_17block_load_methodE3ELS4_3ELS4_3ELNS0_20block_scan_algorithmE0ELj4294967295EEENS1_25partition_config_selectorILNS1_17partition_subalgoE4EjNS0_10empty_typeEbEEZZNS1_14partition_implILS8_4ELb0ES6_15HIP_vector_typeIjLj2EENS0_17counting_iteratorIjlEEPS9_SG_NS0_5tupleIJPjSI_NS0_16reverse_iteratorISI_EEEEENSH_IJSG_SG_SG_EEES9_SI_JZNS1_25segmented_radix_sort_implINS0_14default_configELb0EPKhPhPKlPlN2at6native12_GLOBAL__N_18offset_tEEE10hipError_tPvRmT1_PNSt15iterator_traitsIS12_E10value_typeET2_T3_PNS13_IS18_E10value_typeET4_jRbjT5_S1E_jjP12ihipStream_tbEUljE_ZNSN_ISO_Lb0ESQ_SR_ST_SU_SY_EESZ_S10_S11_S12_S16_S17_S18_S1B_S1C_jS1D_jS1E_S1E_jjS1G_bEUljE0_EEESZ_S10_S11_S18_S1C_S1E_T6_T7_T9_mT8_S1G_bDpT10_ENKUlT_T0_E_clISt17integral_constantIbLb0EES1T_IbLb1EEEEDaS1P_S1Q_EUlS1P_E_NS1_11comp_targetILNS1_3genE5ELNS1_11target_archE942ELNS1_3gpuE9ELNS1_3repE0EEENS1_30default_config_static_selectorELNS0_4arch9wavefront6targetE1EEEvS12_,@function
_ZN7rocprim17ROCPRIM_400000_NS6detail17trampoline_kernelINS0_13select_configILj256ELj13ELNS0_17block_load_methodE3ELS4_3ELS4_3ELNS0_20block_scan_algorithmE0ELj4294967295EEENS1_25partition_config_selectorILNS1_17partition_subalgoE4EjNS0_10empty_typeEbEEZZNS1_14partition_implILS8_4ELb0ES6_15HIP_vector_typeIjLj2EENS0_17counting_iteratorIjlEEPS9_SG_NS0_5tupleIJPjSI_NS0_16reverse_iteratorISI_EEEEENSH_IJSG_SG_SG_EEES9_SI_JZNS1_25segmented_radix_sort_implINS0_14default_configELb0EPKhPhPKlPlN2at6native12_GLOBAL__N_18offset_tEEE10hipError_tPvRmT1_PNSt15iterator_traitsIS12_E10value_typeET2_T3_PNS13_IS18_E10value_typeET4_jRbjT5_S1E_jjP12ihipStream_tbEUljE_ZNSN_ISO_Lb0ESQ_SR_ST_SU_SY_EESZ_S10_S11_S12_S16_S17_S18_S1B_S1C_jS1D_jS1E_S1E_jjS1G_bEUljE0_EEESZ_S10_S11_S18_S1C_S1E_T6_T7_T9_mT8_S1G_bDpT10_ENKUlT_T0_E_clISt17integral_constantIbLb0EES1T_IbLb1EEEEDaS1P_S1Q_EUlS1P_E_NS1_11comp_targetILNS1_3genE5ELNS1_11target_archE942ELNS1_3gpuE9ELNS1_3repE0EEENS1_30default_config_static_selectorELNS0_4arch9wavefront6targetE1EEEvS12_: ; @_ZN7rocprim17ROCPRIM_400000_NS6detail17trampoline_kernelINS0_13select_configILj256ELj13ELNS0_17block_load_methodE3ELS4_3ELS4_3ELNS0_20block_scan_algorithmE0ELj4294967295EEENS1_25partition_config_selectorILNS1_17partition_subalgoE4EjNS0_10empty_typeEbEEZZNS1_14partition_implILS8_4ELb0ES6_15HIP_vector_typeIjLj2EENS0_17counting_iteratorIjlEEPS9_SG_NS0_5tupleIJPjSI_NS0_16reverse_iteratorISI_EEEEENSH_IJSG_SG_SG_EEES9_SI_JZNS1_25segmented_radix_sort_implINS0_14default_configELb0EPKhPhPKlPlN2at6native12_GLOBAL__N_18offset_tEEE10hipError_tPvRmT1_PNSt15iterator_traitsIS12_E10value_typeET2_T3_PNS13_IS18_E10value_typeET4_jRbjT5_S1E_jjP12ihipStream_tbEUljE_ZNSN_ISO_Lb0ESQ_SR_ST_SU_SY_EESZ_S10_S11_S12_S16_S17_S18_S1B_S1C_jS1D_jS1E_S1E_jjS1G_bEUljE0_EEESZ_S10_S11_S18_S1C_S1E_T6_T7_T9_mT8_S1G_bDpT10_ENKUlT_T0_E_clISt17integral_constantIbLb0EES1T_IbLb1EEEEDaS1P_S1Q_EUlS1P_E_NS1_11comp_targetILNS1_3genE5ELNS1_11target_archE942ELNS1_3gpuE9ELNS1_3repE0EEENS1_30default_config_static_selectorELNS0_4arch9wavefront6targetE1EEEvS12_
; %bb.0:
	.section	.rodata,"a",@progbits
	.p2align	6, 0x0
	.amdhsa_kernel _ZN7rocprim17ROCPRIM_400000_NS6detail17trampoline_kernelINS0_13select_configILj256ELj13ELNS0_17block_load_methodE3ELS4_3ELS4_3ELNS0_20block_scan_algorithmE0ELj4294967295EEENS1_25partition_config_selectorILNS1_17partition_subalgoE4EjNS0_10empty_typeEbEEZZNS1_14partition_implILS8_4ELb0ES6_15HIP_vector_typeIjLj2EENS0_17counting_iteratorIjlEEPS9_SG_NS0_5tupleIJPjSI_NS0_16reverse_iteratorISI_EEEEENSH_IJSG_SG_SG_EEES9_SI_JZNS1_25segmented_radix_sort_implINS0_14default_configELb0EPKhPhPKlPlN2at6native12_GLOBAL__N_18offset_tEEE10hipError_tPvRmT1_PNSt15iterator_traitsIS12_E10value_typeET2_T3_PNS13_IS18_E10value_typeET4_jRbjT5_S1E_jjP12ihipStream_tbEUljE_ZNSN_ISO_Lb0ESQ_SR_ST_SU_SY_EESZ_S10_S11_S12_S16_S17_S18_S1B_S1C_jS1D_jS1E_S1E_jjS1G_bEUljE0_EEESZ_S10_S11_S18_S1C_S1E_T6_T7_T9_mT8_S1G_bDpT10_ENKUlT_T0_E_clISt17integral_constantIbLb0EES1T_IbLb1EEEEDaS1P_S1Q_EUlS1P_E_NS1_11comp_targetILNS1_3genE5ELNS1_11target_archE942ELNS1_3gpuE9ELNS1_3repE0EEENS1_30default_config_static_selectorELNS0_4arch9wavefront6targetE1EEEvS12_
		.amdhsa_group_segment_fixed_size 0
		.amdhsa_private_segment_fixed_size 0
		.amdhsa_kernarg_size 184
		.amdhsa_user_sgpr_count 6
		.amdhsa_user_sgpr_private_segment_buffer 1
		.amdhsa_user_sgpr_dispatch_ptr 0
		.amdhsa_user_sgpr_queue_ptr 0
		.amdhsa_user_sgpr_kernarg_segment_ptr 1
		.amdhsa_user_sgpr_dispatch_id 0
		.amdhsa_user_sgpr_flat_scratch_init 0
		.amdhsa_user_sgpr_kernarg_preload_length 0
		.amdhsa_user_sgpr_kernarg_preload_offset 0
		.amdhsa_user_sgpr_private_segment_size 0
		.amdhsa_uses_dynamic_stack 0
		.amdhsa_system_sgpr_private_segment_wavefront_offset 0
		.amdhsa_system_sgpr_workgroup_id_x 1
		.amdhsa_system_sgpr_workgroup_id_y 0
		.amdhsa_system_sgpr_workgroup_id_z 0
		.amdhsa_system_sgpr_workgroup_info 0
		.amdhsa_system_vgpr_workitem_id 0
		.amdhsa_next_free_vgpr 1
		.amdhsa_next_free_sgpr 0
		.amdhsa_accum_offset 4
		.amdhsa_reserve_vcc 0
		.amdhsa_reserve_flat_scratch 0
		.amdhsa_float_round_mode_32 0
		.amdhsa_float_round_mode_16_64 0
		.amdhsa_float_denorm_mode_32 3
		.amdhsa_float_denorm_mode_16_64 3
		.amdhsa_dx10_clamp 1
		.amdhsa_ieee_mode 1
		.amdhsa_fp16_overflow 0
		.amdhsa_tg_split 0
		.amdhsa_exception_fp_ieee_invalid_op 0
		.amdhsa_exception_fp_denorm_src 0
		.amdhsa_exception_fp_ieee_div_zero 0
		.amdhsa_exception_fp_ieee_overflow 0
		.amdhsa_exception_fp_ieee_underflow 0
		.amdhsa_exception_fp_ieee_inexact 0
		.amdhsa_exception_int_div_zero 0
	.end_amdhsa_kernel
	.section	.text._ZN7rocprim17ROCPRIM_400000_NS6detail17trampoline_kernelINS0_13select_configILj256ELj13ELNS0_17block_load_methodE3ELS4_3ELS4_3ELNS0_20block_scan_algorithmE0ELj4294967295EEENS1_25partition_config_selectorILNS1_17partition_subalgoE4EjNS0_10empty_typeEbEEZZNS1_14partition_implILS8_4ELb0ES6_15HIP_vector_typeIjLj2EENS0_17counting_iteratorIjlEEPS9_SG_NS0_5tupleIJPjSI_NS0_16reverse_iteratorISI_EEEEENSH_IJSG_SG_SG_EEES9_SI_JZNS1_25segmented_radix_sort_implINS0_14default_configELb0EPKhPhPKlPlN2at6native12_GLOBAL__N_18offset_tEEE10hipError_tPvRmT1_PNSt15iterator_traitsIS12_E10value_typeET2_T3_PNS13_IS18_E10value_typeET4_jRbjT5_S1E_jjP12ihipStream_tbEUljE_ZNSN_ISO_Lb0ESQ_SR_ST_SU_SY_EESZ_S10_S11_S12_S16_S17_S18_S1B_S1C_jS1D_jS1E_S1E_jjS1G_bEUljE0_EEESZ_S10_S11_S18_S1C_S1E_T6_T7_T9_mT8_S1G_bDpT10_ENKUlT_T0_E_clISt17integral_constantIbLb0EES1T_IbLb1EEEEDaS1P_S1Q_EUlS1P_E_NS1_11comp_targetILNS1_3genE5ELNS1_11target_archE942ELNS1_3gpuE9ELNS1_3repE0EEENS1_30default_config_static_selectorELNS0_4arch9wavefront6targetE1EEEvS12_,"axG",@progbits,_ZN7rocprim17ROCPRIM_400000_NS6detail17trampoline_kernelINS0_13select_configILj256ELj13ELNS0_17block_load_methodE3ELS4_3ELS4_3ELNS0_20block_scan_algorithmE0ELj4294967295EEENS1_25partition_config_selectorILNS1_17partition_subalgoE4EjNS0_10empty_typeEbEEZZNS1_14partition_implILS8_4ELb0ES6_15HIP_vector_typeIjLj2EENS0_17counting_iteratorIjlEEPS9_SG_NS0_5tupleIJPjSI_NS0_16reverse_iteratorISI_EEEEENSH_IJSG_SG_SG_EEES9_SI_JZNS1_25segmented_radix_sort_implINS0_14default_configELb0EPKhPhPKlPlN2at6native12_GLOBAL__N_18offset_tEEE10hipError_tPvRmT1_PNSt15iterator_traitsIS12_E10value_typeET2_T3_PNS13_IS18_E10value_typeET4_jRbjT5_S1E_jjP12ihipStream_tbEUljE_ZNSN_ISO_Lb0ESQ_SR_ST_SU_SY_EESZ_S10_S11_S12_S16_S17_S18_S1B_S1C_jS1D_jS1E_S1E_jjS1G_bEUljE0_EEESZ_S10_S11_S18_S1C_S1E_T6_T7_T9_mT8_S1G_bDpT10_ENKUlT_T0_E_clISt17integral_constantIbLb0EES1T_IbLb1EEEEDaS1P_S1Q_EUlS1P_E_NS1_11comp_targetILNS1_3genE5ELNS1_11target_archE942ELNS1_3gpuE9ELNS1_3repE0EEENS1_30default_config_static_selectorELNS0_4arch9wavefront6targetE1EEEvS12_,comdat
.Lfunc_end147:
	.size	_ZN7rocprim17ROCPRIM_400000_NS6detail17trampoline_kernelINS0_13select_configILj256ELj13ELNS0_17block_load_methodE3ELS4_3ELS4_3ELNS0_20block_scan_algorithmE0ELj4294967295EEENS1_25partition_config_selectorILNS1_17partition_subalgoE4EjNS0_10empty_typeEbEEZZNS1_14partition_implILS8_4ELb0ES6_15HIP_vector_typeIjLj2EENS0_17counting_iteratorIjlEEPS9_SG_NS0_5tupleIJPjSI_NS0_16reverse_iteratorISI_EEEEENSH_IJSG_SG_SG_EEES9_SI_JZNS1_25segmented_radix_sort_implINS0_14default_configELb0EPKhPhPKlPlN2at6native12_GLOBAL__N_18offset_tEEE10hipError_tPvRmT1_PNSt15iterator_traitsIS12_E10value_typeET2_T3_PNS13_IS18_E10value_typeET4_jRbjT5_S1E_jjP12ihipStream_tbEUljE_ZNSN_ISO_Lb0ESQ_SR_ST_SU_SY_EESZ_S10_S11_S12_S16_S17_S18_S1B_S1C_jS1D_jS1E_S1E_jjS1G_bEUljE0_EEESZ_S10_S11_S18_S1C_S1E_T6_T7_T9_mT8_S1G_bDpT10_ENKUlT_T0_E_clISt17integral_constantIbLb0EES1T_IbLb1EEEEDaS1P_S1Q_EUlS1P_E_NS1_11comp_targetILNS1_3genE5ELNS1_11target_archE942ELNS1_3gpuE9ELNS1_3repE0EEENS1_30default_config_static_selectorELNS0_4arch9wavefront6targetE1EEEvS12_, .Lfunc_end147-_ZN7rocprim17ROCPRIM_400000_NS6detail17trampoline_kernelINS0_13select_configILj256ELj13ELNS0_17block_load_methodE3ELS4_3ELS4_3ELNS0_20block_scan_algorithmE0ELj4294967295EEENS1_25partition_config_selectorILNS1_17partition_subalgoE4EjNS0_10empty_typeEbEEZZNS1_14partition_implILS8_4ELb0ES6_15HIP_vector_typeIjLj2EENS0_17counting_iteratorIjlEEPS9_SG_NS0_5tupleIJPjSI_NS0_16reverse_iteratorISI_EEEEENSH_IJSG_SG_SG_EEES9_SI_JZNS1_25segmented_radix_sort_implINS0_14default_configELb0EPKhPhPKlPlN2at6native12_GLOBAL__N_18offset_tEEE10hipError_tPvRmT1_PNSt15iterator_traitsIS12_E10value_typeET2_T3_PNS13_IS18_E10value_typeET4_jRbjT5_S1E_jjP12ihipStream_tbEUljE_ZNSN_ISO_Lb0ESQ_SR_ST_SU_SY_EESZ_S10_S11_S12_S16_S17_S18_S1B_S1C_jS1D_jS1E_S1E_jjS1G_bEUljE0_EEESZ_S10_S11_S18_S1C_S1E_T6_T7_T9_mT8_S1G_bDpT10_ENKUlT_T0_E_clISt17integral_constantIbLb0EES1T_IbLb1EEEEDaS1P_S1Q_EUlS1P_E_NS1_11comp_targetILNS1_3genE5ELNS1_11target_archE942ELNS1_3gpuE9ELNS1_3repE0EEENS1_30default_config_static_selectorELNS0_4arch9wavefront6targetE1EEEvS12_
                                        ; -- End function
	.section	.AMDGPU.csdata,"",@progbits
; Kernel info:
; codeLenInByte = 0
; NumSgprs: 4
; NumVgprs: 0
; NumAgprs: 0
; TotalNumVgprs: 0
; ScratchSize: 0
; MemoryBound: 0
; FloatMode: 240
; IeeeMode: 1
; LDSByteSize: 0 bytes/workgroup (compile time only)
; SGPRBlocks: 0
; VGPRBlocks: 0
; NumSGPRsForWavesPerEU: 4
; NumVGPRsForWavesPerEU: 1
; AccumOffset: 4
; Occupancy: 8
; WaveLimiterHint : 0
; COMPUTE_PGM_RSRC2:SCRATCH_EN: 0
; COMPUTE_PGM_RSRC2:USER_SGPR: 6
; COMPUTE_PGM_RSRC2:TRAP_HANDLER: 0
; COMPUTE_PGM_RSRC2:TGID_X_EN: 1
; COMPUTE_PGM_RSRC2:TGID_Y_EN: 0
; COMPUTE_PGM_RSRC2:TGID_Z_EN: 0
; COMPUTE_PGM_RSRC2:TIDIG_COMP_CNT: 0
; COMPUTE_PGM_RSRC3_GFX90A:ACCUM_OFFSET: 0
; COMPUTE_PGM_RSRC3_GFX90A:TG_SPLIT: 0
	.section	.text._ZN7rocprim17ROCPRIM_400000_NS6detail17trampoline_kernelINS0_13select_configILj256ELj13ELNS0_17block_load_methodE3ELS4_3ELS4_3ELNS0_20block_scan_algorithmE0ELj4294967295EEENS1_25partition_config_selectorILNS1_17partition_subalgoE4EjNS0_10empty_typeEbEEZZNS1_14partition_implILS8_4ELb0ES6_15HIP_vector_typeIjLj2EENS0_17counting_iteratorIjlEEPS9_SG_NS0_5tupleIJPjSI_NS0_16reverse_iteratorISI_EEEEENSH_IJSG_SG_SG_EEES9_SI_JZNS1_25segmented_radix_sort_implINS0_14default_configELb0EPKhPhPKlPlN2at6native12_GLOBAL__N_18offset_tEEE10hipError_tPvRmT1_PNSt15iterator_traitsIS12_E10value_typeET2_T3_PNS13_IS18_E10value_typeET4_jRbjT5_S1E_jjP12ihipStream_tbEUljE_ZNSN_ISO_Lb0ESQ_SR_ST_SU_SY_EESZ_S10_S11_S12_S16_S17_S18_S1B_S1C_jS1D_jS1E_S1E_jjS1G_bEUljE0_EEESZ_S10_S11_S18_S1C_S1E_T6_T7_T9_mT8_S1G_bDpT10_ENKUlT_T0_E_clISt17integral_constantIbLb0EES1T_IbLb1EEEEDaS1P_S1Q_EUlS1P_E_NS1_11comp_targetILNS1_3genE4ELNS1_11target_archE910ELNS1_3gpuE8ELNS1_3repE0EEENS1_30default_config_static_selectorELNS0_4arch9wavefront6targetE1EEEvS12_,"axG",@progbits,_ZN7rocprim17ROCPRIM_400000_NS6detail17trampoline_kernelINS0_13select_configILj256ELj13ELNS0_17block_load_methodE3ELS4_3ELS4_3ELNS0_20block_scan_algorithmE0ELj4294967295EEENS1_25partition_config_selectorILNS1_17partition_subalgoE4EjNS0_10empty_typeEbEEZZNS1_14partition_implILS8_4ELb0ES6_15HIP_vector_typeIjLj2EENS0_17counting_iteratorIjlEEPS9_SG_NS0_5tupleIJPjSI_NS0_16reverse_iteratorISI_EEEEENSH_IJSG_SG_SG_EEES9_SI_JZNS1_25segmented_radix_sort_implINS0_14default_configELb0EPKhPhPKlPlN2at6native12_GLOBAL__N_18offset_tEEE10hipError_tPvRmT1_PNSt15iterator_traitsIS12_E10value_typeET2_T3_PNS13_IS18_E10value_typeET4_jRbjT5_S1E_jjP12ihipStream_tbEUljE_ZNSN_ISO_Lb0ESQ_SR_ST_SU_SY_EESZ_S10_S11_S12_S16_S17_S18_S1B_S1C_jS1D_jS1E_S1E_jjS1G_bEUljE0_EEESZ_S10_S11_S18_S1C_S1E_T6_T7_T9_mT8_S1G_bDpT10_ENKUlT_T0_E_clISt17integral_constantIbLb0EES1T_IbLb1EEEEDaS1P_S1Q_EUlS1P_E_NS1_11comp_targetILNS1_3genE4ELNS1_11target_archE910ELNS1_3gpuE8ELNS1_3repE0EEENS1_30default_config_static_selectorELNS0_4arch9wavefront6targetE1EEEvS12_,comdat
	.globl	_ZN7rocprim17ROCPRIM_400000_NS6detail17trampoline_kernelINS0_13select_configILj256ELj13ELNS0_17block_load_methodE3ELS4_3ELS4_3ELNS0_20block_scan_algorithmE0ELj4294967295EEENS1_25partition_config_selectorILNS1_17partition_subalgoE4EjNS0_10empty_typeEbEEZZNS1_14partition_implILS8_4ELb0ES6_15HIP_vector_typeIjLj2EENS0_17counting_iteratorIjlEEPS9_SG_NS0_5tupleIJPjSI_NS0_16reverse_iteratorISI_EEEEENSH_IJSG_SG_SG_EEES9_SI_JZNS1_25segmented_radix_sort_implINS0_14default_configELb0EPKhPhPKlPlN2at6native12_GLOBAL__N_18offset_tEEE10hipError_tPvRmT1_PNSt15iterator_traitsIS12_E10value_typeET2_T3_PNS13_IS18_E10value_typeET4_jRbjT5_S1E_jjP12ihipStream_tbEUljE_ZNSN_ISO_Lb0ESQ_SR_ST_SU_SY_EESZ_S10_S11_S12_S16_S17_S18_S1B_S1C_jS1D_jS1E_S1E_jjS1G_bEUljE0_EEESZ_S10_S11_S18_S1C_S1E_T6_T7_T9_mT8_S1G_bDpT10_ENKUlT_T0_E_clISt17integral_constantIbLb0EES1T_IbLb1EEEEDaS1P_S1Q_EUlS1P_E_NS1_11comp_targetILNS1_3genE4ELNS1_11target_archE910ELNS1_3gpuE8ELNS1_3repE0EEENS1_30default_config_static_selectorELNS0_4arch9wavefront6targetE1EEEvS12_ ; -- Begin function _ZN7rocprim17ROCPRIM_400000_NS6detail17trampoline_kernelINS0_13select_configILj256ELj13ELNS0_17block_load_methodE3ELS4_3ELS4_3ELNS0_20block_scan_algorithmE0ELj4294967295EEENS1_25partition_config_selectorILNS1_17partition_subalgoE4EjNS0_10empty_typeEbEEZZNS1_14partition_implILS8_4ELb0ES6_15HIP_vector_typeIjLj2EENS0_17counting_iteratorIjlEEPS9_SG_NS0_5tupleIJPjSI_NS0_16reverse_iteratorISI_EEEEENSH_IJSG_SG_SG_EEES9_SI_JZNS1_25segmented_radix_sort_implINS0_14default_configELb0EPKhPhPKlPlN2at6native12_GLOBAL__N_18offset_tEEE10hipError_tPvRmT1_PNSt15iterator_traitsIS12_E10value_typeET2_T3_PNS13_IS18_E10value_typeET4_jRbjT5_S1E_jjP12ihipStream_tbEUljE_ZNSN_ISO_Lb0ESQ_SR_ST_SU_SY_EESZ_S10_S11_S12_S16_S17_S18_S1B_S1C_jS1D_jS1E_S1E_jjS1G_bEUljE0_EEESZ_S10_S11_S18_S1C_S1E_T6_T7_T9_mT8_S1G_bDpT10_ENKUlT_T0_E_clISt17integral_constantIbLb0EES1T_IbLb1EEEEDaS1P_S1Q_EUlS1P_E_NS1_11comp_targetILNS1_3genE4ELNS1_11target_archE910ELNS1_3gpuE8ELNS1_3repE0EEENS1_30default_config_static_selectorELNS0_4arch9wavefront6targetE1EEEvS12_
	.p2align	8
	.type	_ZN7rocprim17ROCPRIM_400000_NS6detail17trampoline_kernelINS0_13select_configILj256ELj13ELNS0_17block_load_methodE3ELS4_3ELS4_3ELNS0_20block_scan_algorithmE0ELj4294967295EEENS1_25partition_config_selectorILNS1_17partition_subalgoE4EjNS0_10empty_typeEbEEZZNS1_14partition_implILS8_4ELb0ES6_15HIP_vector_typeIjLj2EENS0_17counting_iteratorIjlEEPS9_SG_NS0_5tupleIJPjSI_NS0_16reverse_iteratorISI_EEEEENSH_IJSG_SG_SG_EEES9_SI_JZNS1_25segmented_radix_sort_implINS0_14default_configELb0EPKhPhPKlPlN2at6native12_GLOBAL__N_18offset_tEEE10hipError_tPvRmT1_PNSt15iterator_traitsIS12_E10value_typeET2_T3_PNS13_IS18_E10value_typeET4_jRbjT5_S1E_jjP12ihipStream_tbEUljE_ZNSN_ISO_Lb0ESQ_SR_ST_SU_SY_EESZ_S10_S11_S12_S16_S17_S18_S1B_S1C_jS1D_jS1E_S1E_jjS1G_bEUljE0_EEESZ_S10_S11_S18_S1C_S1E_T6_T7_T9_mT8_S1G_bDpT10_ENKUlT_T0_E_clISt17integral_constantIbLb0EES1T_IbLb1EEEEDaS1P_S1Q_EUlS1P_E_NS1_11comp_targetILNS1_3genE4ELNS1_11target_archE910ELNS1_3gpuE8ELNS1_3repE0EEENS1_30default_config_static_selectorELNS0_4arch9wavefront6targetE1EEEvS12_,@function
_ZN7rocprim17ROCPRIM_400000_NS6detail17trampoline_kernelINS0_13select_configILj256ELj13ELNS0_17block_load_methodE3ELS4_3ELS4_3ELNS0_20block_scan_algorithmE0ELj4294967295EEENS1_25partition_config_selectorILNS1_17partition_subalgoE4EjNS0_10empty_typeEbEEZZNS1_14partition_implILS8_4ELb0ES6_15HIP_vector_typeIjLj2EENS0_17counting_iteratorIjlEEPS9_SG_NS0_5tupleIJPjSI_NS0_16reverse_iteratorISI_EEEEENSH_IJSG_SG_SG_EEES9_SI_JZNS1_25segmented_radix_sort_implINS0_14default_configELb0EPKhPhPKlPlN2at6native12_GLOBAL__N_18offset_tEEE10hipError_tPvRmT1_PNSt15iterator_traitsIS12_E10value_typeET2_T3_PNS13_IS18_E10value_typeET4_jRbjT5_S1E_jjP12ihipStream_tbEUljE_ZNSN_ISO_Lb0ESQ_SR_ST_SU_SY_EESZ_S10_S11_S12_S16_S17_S18_S1B_S1C_jS1D_jS1E_S1E_jjS1G_bEUljE0_EEESZ_S10_S11_S18_S1C_S1E_T6_T7_T9_mT8_S1G_bDpT10_ENKUlT_T0_E_clISt17integral_constantIbLb0EES1T_IbLb1EEEEDaS1P_S1Q_EUlS1P_E_NS1_11comp_targetILNS1_3genE4ELNS1_11target_archE910ELNS1_3gpuE8ELNS1_3repE0EEENS1_30default_config_static_selectorELNS0_4arch9wavefront6targetE1EEEvS12_: ; @_ZN7rocprim17ROCPRIM_400000_NS6detail17trampoline_kernelINS0_13select_configILj256ELj13ELNS0_17block_load_methodE3ELS4_3ELS4_3ELNS0_20block_scan_algorithmE0ELj4294967295EEENS1_25partition_config_selectorILNS1_17partition_subalgoE4EjNS0_10empty_typeEbEEZZNS1_14partition_implILS8_4ELb0ES6_15HIP_vector_typeIjLj2EENS0_17counting_iteratorIjlEEPS9_SG_NS0_5tupleIJPjSI_NS0_16reverse_iteratorISI_EEEEENSH_IJSG_SG_SG_EEES9_SI_JZNS1_25segmented_radix_sort_implINS0_14default_configELb0EPKhPhPKlPlN2at6native12_GLOBAL__N_18offset_tEEE10hipError_tPvRmT1_PNSt15iterator_traitsIS12_E10value_typeET2_T3_PNS13_IS18_E10value_typeET4_jRbjT5_S1E_jjP12ihipStream_tbEUljE_ZNSN_ISO_Lb0ESQ_SR_ST_SU_SY_EESZ_S10_S11_S12_S16_S17_S18_S1B_S1C_jS1D_jS1E_S1E_jjS1G_bEUljE0_EEESZ_S10_S11_S18_S1C_S1E_T6_T7_T9_mT8_S1G_bDpT10_ENKUlT_T0_E_clISt17integral_constantIbLb0EES1T_IbLb1EEEEDaS1P_S1Q_EUlS1P_E_NS1_11comp_targetILNS1_3genE4ELNS1_11target_archE910ELNS1_3gpuE8ELNS1_3repE0EEENS1_30default_config_static_selectorELNS0_4arch9wavefront6targetE1EEEvS12_
; %bb.0:
	s_load_dwordx2 s[48:49], s[4:5], 0x10
	s_load_dwordx4 s[44:47], s[4:5], 0x28
	s_load_dwordx2 s[34:35], s[4:5], 0x38
	s_load_dwordx4 s[28:31], s[4:5], 0x58
	s_load_dwordx2 s[2:3], s[4:5], 0x68
	s_load_dwordx2 s[50:51], s[4:5], 0x78
	;; [unrolled: 1-line block ×3, first 2 shown]
	s_load_dwordx8 s[36:43], s[4:5], 0x90
	v_cmp_eq_u32_e64 s[0:1], 0, v0
	s_and_saveexec_b64 s[6:7], s[0:1]
	s_cbranch_execz .LBB148_4
; %bb.1:
	s_mov_b64 s[10:11], exec
	v_mbcnt_lo_u32_b32 v1, s10, 0
	v_mbcnt_hi_u32_b32 v1, s11, v1
	v_cmp_eq_u32_e32 vcc, 0, v1
                                        ; implicit-def: $vgpr2
	s_and_saveexec_b64 s[8:9], vcc
	s_cbranch_execz .LBB148_3
; %bb.2:
	s_load_dwordx2 s[12:13], s[4:5], 0x88
	s_bcnt1_i32_b64 s10, s[10:11]
	v_mov_b32_e32 v2, 0
	v_mov_b32_e32 v3, s10
	s_waitcnt lgkmcnt(0)
	global_atomic_add v2, v2, v3, s[12:13] glc
.LBB148_3:
	s_or_b64 exec, exec, s[8:9]
	s_waitcnt vmcnt(0)
	v_readfirstlane_b32 s8, v2
	v_add_u32_e32 v1, s8, v1
	v_mov_b32_e32 v2, 0
	ds_write_b32 v2, v1
.LBB148_4:
	s_or_b64 exec, exec, s[6:7]
	v_mov_b32_e32 v1, 0
	s_load_dword s7, s[4:5], 0x8
	s_load_dword s6, s[4:5], 0x80
	s_waitcnt lgkmcnt(0)
	s_barrier
	ds_read_b32 v8, v1
	s_waitcnt lgkmcnt(0)
	s_barrier
	global_load_dwordx4 v[2:5], v1, s[30:31]
	v_mov_b32_e32 v7, s3
	s_movk_i32 s3, 0xd00
	s_add_i32 s8, s7, s48
	v_mul_lo_u32 v34, v8, s3
	s_add_i32 s7, s6, -1
	s_mul_i32 s3, s6, 0xd00
	s_add_u32 s4, s48, s3
	v_readfirstlane_b32 s33, v8
	s_addc_u32 s5, s49, 0
	s_cmp_eq_u32 s33, s7
	v_mov_b32_e32 v6, s2
	s_cselect_b64 s[30:31], -1, 0
	s_cmp_lg_u32 s33, s7
	v_cmp_lt_u64_e32 vcc, s[4:5], v[6:7]
	s_cselect_b64 s[4:5], -1, 0
	s_or_b64 s[4:5], vcc, s[4:5]
	v_add_u32_e32 v1, s8, v34
	s_mov_b64 s[6:7], -1
	s_and_b64 vcc, exec, s[4:5]
	v_add_u32_e32 v1, v1, v0
	s_cbranch_vccz .LBB148_6
; %bb.5:
	v_add_u32_e32 v6, 0x100, v1
	v_lshlrev_b32_e32 v18, 2, v0
	v_add_u32_e32 v7, 0x200, v1
	v_add_u32_e32 v8, 0x300, v1
	;; [unrolled: 1-line block ×11, first 2 shown]
	ds_write2st64_b32 v18, v1, v6 offset1:4
	ds_write2st64_b32 v18, v7, v8 offset0:8 offset1:12
	ds_write2st64_b32 v18, v9, v10 offset0:16 offset1:20
	;; [unrolled: 1-line block ×5, first 2 shown]
	ds_write_b32 v18, v17 offset:12288
	s_waitcnt lgkmcnt(0)
	s_barrier
	s_mov_b64 s[6:7], 0
.LBB148_6:
	s_andn2_b64 vcc, exec, s[6:7]
	s_add_i32 s3, s3, s48
	s_cbranch_vccnz .LBB148_8
; %bb.7:
	v_add_u32_e32 v6, 0x100, v1
	v_lshlrev_b32_e32 v18, 2, v0
	v_add_u32_e32 v7, 0x200, v1
	v_add_u32_e32 v8, 0x300, v1
	;; [unrolled: 1-line block ×11, first 2 shown]
	ds_write2st64_b32 v18, v1, v6 offset1:4
	ds_write2st64_b32 v18, v7, v8 offset0:8 offset1:12
	ds_write2st64_b32 v18, v9, v10 offset0:16 offset1:20
	;; [unrolled: 1-line block ×5, first 2 shown]
	ds_write_b32 v18, v17 offset:12288
	s_waitcnt lgkmcnt(0)
	s_barrier
.LBB148_8:
	v_mul_u32_u24_e32 v36, 13, v0
	v_lshlrev_b32_e32 v1, 2, v36
	ds_read2_b32 v[22:23], v1 offset1:1
	ds_read2_b32 v[20:21], v1 offset0:2 offset1:3
	ds_read2_b32 v[18:19], v1 offset0:4 offset1:5
	;; [unrolled: 1-line block ×5, first 2 shown]
	ds_read_b32 v35, v1 offset:48
	v_cndmask_b32_e64 v1, 0, 1, s[4:5]
	s_sub_i32 s86, s2, s3
	v_cmp_ne_u32_e64 s[2:3], 1, v1
	s_andn2_b64 vcc, exec, s[4:5]
	s_waitcnt lgkmcnt(0)
	s_barrier
	s_cbranch_vccnz .LBB148_36
; %bb.9:
	v_add_u32_e32 v1, s37, v22
	v_add_u32_e32 v6, s39, v22
	v_mul_lo_u32 v1, v1, s36
	v_mul_lo_u32 v6, v6, s38
	v_sub_u32_e32 v1, v1, v6
	v_cmp_lt_u32_e32 vcc, s40, v1
	v_cmp_ge_u32_e64 s[4:5], s40, v1
	s_mov_b64 s[60:61], 0
	s_mov_b64 s[58:59], 0
	s_and_saveexec_b64 s[6:7], s[4:5]
; %bb.10:
	v_add_u32_e32 v1, s42, v22
	v_add_u32_e32 v6, s56, v22
	v_mul_lo_u32 v1, v1, s41
	v_mul_lo_u32 v6, v6, s43
	v_sub_u32_e32 v1, v1, v6
	v_cmp_lt_u32_e64 s[4:5], s57, v1
	s_and_b64 s[58:59], s[4:5], exec
; %bb.11:
	s_or_b64 exec, exec, s[6:7]
	v_add_u32_e32 v1, s37, v23
	v_add_u32_e32 v6, s39, v23
	v_mul_lo_u32 v1, v1, s36
	v_mul_lo_u32 v6, v6, s38
	v_sub_u32_e32 v1, v1, v6
	v_cmp_lt_u32_e64 s[4:5], s40, v1
	v_cmp_ge_u32_e64 s[6:7], s40, v1
	s_and_saveexec_b64 s[8:9], s[6:7]
; %bb.12:
	v_add_u32_e32 v1, s42, v23
	v_add_u32_e32 v6, s56, v23
	v_mul_lo_u32 v1, v1, s41
	v_mul_lo_u32 v6, v6, s43
	v_sub_u32_e32 v1, v1, v6
	v_cmp_lt_u32_e64 s[6:7], s57, v1
	s_and_b64 s[60:61], s[6:7], exec
; %bb.13:
	s_or_b64 exec, exec, s[8:9]
	v_add_u32_e32 v1, s37, v20
	v_add_u32_e32 v6, s39, v20
	v_mul_lo_u32 v1, v1, s36
	v_mul_lo_u32 v6, v6, s38
	v_sub_u32_e32 v1, v1, v6
	v_cmp_lt_u32_e64 s[6:7], s40, v1
	v_cmp_ge_u32_e64 s[8:9], s40, v1
	s_mov_b64 s[64:65], 0
	s_mov_b64 s[62:63], 0
	s_and_saveexec_b64 s[10:11], s[8:9]
; %bb.14:
	v_add_u32_e32 v1, s42, v20
	v_add_u32_e32 v6, s56, v20
	v_mul_lo_u32 v1, v1, s41
	v_mul_lo_u32 v6, v6, s43
	v_sub_u32_e32 v1, v1, v6
	v_cmp_lt_u32_e64 s[8:9], s57, v1
	s_and_b64 s[62:63], s[8:9], exec
; %bb.15:
	s_or_b64 exec, exec, s[10:11]
	v_add_u32_e32 v1, s37, v21
	v_add_u32_e32 v6, s39, v21
	v_mul_lo_u32 v1, v1, s36
	v_mul_lo_u32 v6, v6, s38
	v_sub_u32_e32 v1, v1, v6
	v_cmp_lt_u32_e64 s[8:9], s40, v1
	v_cmp_ge_u32_e64 s[10:11], s40, v1
	s_and_saveexec_b64 s[12:13], s[10:11]
; %bb.16:
	v_add_u32_e32 v1, s42, v21
	v_add_u32_e32 v6, s56, v21
	v_mul_lo_u32 v1, v1, s41
	v_mul_lo_u32 v6, v6, s43
	v_sub_u32_e32 v1, v1, v6
	v_cmp_lt_u32_e64 s[10:11], s57, v1
	s_and_b64 s[64:65], s[10:11], exec
; %bb.17:
	s_or_b64 exec, exec, s[12:13]
	v_add_u32_e32 v1, s37, v18
	v_add_u32_e32 v6, s39, v18
	v_mul_lo_u32 v1, v1, s36
	v_mul_lo_u32 v6, v6, s38
	v_sub_u32_e32 v1, v1, v6
	v_cmp_lt_u32_e64 s[10:11], s40, v1
	;; [unrolled: 38-line block ×5, first 2 shown]
	v_cmp_ge_u32_e64 s[24:25], s40, v1
	s_mov_b64 s[80:81], 0
	s_mov_b64 s[82:83], 0
	s_and_saveexec_b64 s[26:27], s[24:25]
; %bb.30:
	v_add_u32_e32 v1, s42, v12
	v_add_u32_e32 v6, s56, v12
	v_mul_lo_u32 v1, v1, s41
	v_mul_lo_u32 v6, v6, s43
	v_sub_u32_e32 v1, v1, v6
	v_cmp_lt_u32_e64 s[24:25], s57, v1
	s_and_b64 s[82:83], s[24:25], exec
; %bb.31:
	s_or_b64 exec, exec, s[26:27]
	v_add_u32_e32 v1, s37, v13
	v_add_u32_e32 v6, s39, v13
	v_mul_lo_u32 v1, v1, s36
	v_mul_lo_u32 v6, v6, s38
	v_sub_u32_e32 v1, v1, v6
	v_cmp_lt_u32_e64 s[24:25], s40, v1
	v_cmp_ge_u32_e64 s[26:27], s40, v1
	s_and_saveexec_b64 s[52:53], s[26:27]
; %bb.32:
	v_add_u32_e32 v1, s42, v13
	v_add_u32_e32 v6, s56, v13
	v_mul_lo_u32 v1, v1, s41
	v_mul_lo_u32 v6, v6, s43
	v_sub_u32_e32 v1, v1, v6
	v_cmp_lt_u32_e64 s[26:27], s57, v1
	s_and_b64 s[80:81], s[26:27], exec
; %bb.33:
	s_or_b64 exec, exec, s[52:53]
	v_add_u32_e32 v1, s37, v35
	v_add_u32_e32 v6, s39, v35
	v_mul_lo_u32 v1, v1, s36
	v_mul_lo_u32 v6, v6, s38
	v_sub_u32_e32 v1, v1, v6
	v_cmp_ge_u32_e64 s[26:27], s40, v1
	s_mov_b64 s[52:53], -1
	s_mov_b64 s[74:75], 0
	s_mov_b64 s[54:55], 0
	s_and_saveexec_b64 s[84:85], s[26:27]
; %bb.34:
	v_add_u32_e32 v1, s42, v35
	v_add_u32_e32 v6, s56, v35
	v_mul_lo_u32 v1, v1, s41
	v_mul_lo_u32 v6, v6, s43
	v_sub_u32_e32 v1, v1, v6
	v_cmp_lt_u32_e64 s[26:27], s57, v1
	s_and_b64 s[54:55], s[26:27], exec
	s_xor_b64 s[52:53], exec, -1
; %bb.35:
	s_or_b64 exec, exec, s[84:85]
	v_cndmask_b32_e64 v57, 0, 1, s[82:83]
	v_cndmask_b32_e64 v60, 0, 1, s[24:25]
	;; [unrolled: 1-line block ×22, first 2 shown]
	v_cndmask_b32_e64 v37, 0, 1, vcc
	v_cndmask_b32_e64 v59, 0, 1, s[80:81]
	s_add_i32 s16, s86, 0xd00
	s_and_b64 vcc, exec, s[74:75]
	s_cbranch_vccnz .LBB148_37
	s_branch .LBB148_90
.LBB148_36:
                                        ; implicit-def: $sgpr52_sgpr53
                                        ; implicit-def: $sgpr54_sgpr55
                                        ; implicit-def: $vgpr59
                                        ; implicit-def: $vgpr57
                                        ; implicit-def: $vgpr55
                                        ; implicit-def: $vgpr53
                                        ; implicit-def: $vgpr51
                                        ; implicit-def: $vgpr49
                                        ; implicit-def: $vgpr47
                                        ; implicit-def: $vgpr45
                                        ; implicit-def: $vgpr43
                                        ; implicit-def: $vgpr37
                                        ; implicit-def: $vgpr39
                                        ; implicit-def: $vgpr41
                                        ; implicit-def: $vgpr44
                                        ; implicit-def: $vgpr46
                                        ; implicit-def: $vgpr48
                                        ; implicit-def: $vgpr50
                                        ; implicit-def: $vgpr52
                                        ; implicit-def: $vgpr54
                                        ; implicit-def: $vgpr56
                                        ; implicit-def: $vgpr58
                                        ; implicit-def: $vgpr60
                                        ; implicit-def: $vgpr38
                                        ; implicit-def: $vgpr40
                                        ; implicit-def: $vgpr42
	s_add_i32 s16, s86, 0xd00
	s_cbranch_execz .LBB148_90
.LBB148_37:
	v_cmp_gt_u32_e32 vcc, s16, v36
	v_mov_b32_e32 v38, 0
	v_mov_b32_e32 v37, 0
	s_and_saveexec_b64 s[6:7], vcc
	s_cbranch_execz .LBB148_41
; %bb.38:
	v_add_u32_e32 v1, s37, v22
	v_add_u32_e32 v6, s39, v22
	v_mul_lo_u32 v1, v1, s36
	v_mul_lo_u32 v6, v6, s38
	v_sub_u32_e32 v1, v1, v6
	v_cmp_lt_u32_e32 vcc, s40, v1
	v_cmp_ge_u32_e64 s[4:5], s40, v1
	s_mov_b64 s[10:11], 0
	s_and_saveexec_b64 s[8:9], s[4:5]
; %bb.39:
	v_add_u32_e32 v1, s42, v22
	v_add_u32_e32 v6, s56, v22
	v_mul_lo_u32 v1, v1, s41
	v_mul_lo_u32 v6, v6, s43
	v_sub_u32_e32 v1, v1, v6
	v_cmp_lt_u32_e64 s[4:5], s57, v1
	s_and_b64 s[10:11], s[4:5], exec
; %bb.40:
	s_or_b64 exec, exec, s[8:9]
	v_cndmask_b32_e64 v37, 0, 1, vcc
	v_cndmask_b32_e64 v38, 0, 1, s[10:11]
.LBB148_41:
	s_or_b64 exec, exec, s[6:7]
	v_add_u32_e32 v1, 1, v36
	v_cmp_gt_u32_e32 vcc, s16, v1
	v_mov_b32_e32 v39, 0
	v_mov_b32_e32 v40, 0
	s_and_saveexec_b64 s[6:7], vcc
	s_cbranch_execz .LBB148_45
; %bb.42:
	v_add_u32_e32 v1, s37, v23
	v_add_u32_e32 v6, s39, v23
	v_mul_lo_u32 v1, v1, s36
	v_mul_lo_u32 v6, v6, s38
	v_sub_u32_e32 v1, v1, v6
	v_cmp_lt_u32_e32 vcc, s40, v1
	v_cmp_ge_u32_e64 s[4:5], s40, v1
	s_mov_b64 s[10:11], 0
	s_and_saveexec_b64 s[8:9], s[4:5]
; %bb.43:
	v_add_u32_e32 v1, s42, v23
	v_add_u32_e32 v6, s56, v23
	v_mul_lo_u32 v1, v1, s41
	v_mul_lo_u32 v6, v6, s43
	v_sub_u32_e32 v1, v1, v6
	v_cmp_lt_u32_e64 s[4:5], s57, v1
	s_and_b64 s[10:11], s[4:5], exec
; %bb.44:
	s_or_b64 exec, exec, s[8:9]
	v_cndmask_b32_e64 v39, 0, 1, vcc
	v_cndmask_b32_e64 v40, 0, 1, s[10:11]
.LBB148_45:
	s_or_b64 exec, exec, s[6:7]
	v_add_u32_e32 v1, 2, v36
	v_cmp_gt_u32_e32 vcc, s16, v1
	v_mov_b32_e32 v41, 0
	v_mov_b32_e32 v42, 0
	s_and_saveexec_b64 s[6:7], vcc
	s_cbranch_execz .LBB148_49
; %bb.46:
	v_add_u32_e32 v1, s37, v20
	v_add_u32_e32 v6, s39, v20
	v_mul_lo_u32 v1, v1, s36
	v_mul_lo_u32 v6, v6, s38
	v_sub_u32_e32 v1, v1, v6
	v_cmp_lt_u32_e32 vcc, s40, v1
	v_cmp_ge_u32_e64 s[4:5], s40, v1
	s_mov_b64 s[10:11], 0
	s_and_saveexec_b64 s[8:9], s[4:5]
; %bb.47:
	v_add_u32_e32 v1, s42, v20
	v_add_u32_e32 v6, s56, v20
	v_mul_lo_u32 v1, v1, s41
	v_mul_lo_u32 v6, v6, s43
	v_sub_u32_e32 v1, v1, v6
	v_cmp_lt_u32_e64 s[4:5], s57, v1
	s_and_b64 s[10:11], s[4:5], exec
; %bb.48:
	s_or_b64 exec, exec, s[8:9]
	v_cndmask_b32_e64 v41, 0, 1, vcc
	v_cndmask_b32_e64 v42, 0, 1, s[10:11]
.LBB148_49:
	s_or_b64 exec, exec, s[6:7]
	v_add_u32_e32 v1, 3, v36
	v_cmp_gt_u32_e32 vcc, s16, v1
	v_mov_b32_e32 v43, 0
	v_mov_b32_e32 v44, 0
	s_and_saveexec_b64 s[6:7], vcc
	s_cbranch_execz .LBB148_53
; %bb.50:
	v_add_u32_e32 v1, s37, v21
	v_add_u32_e32 v6, s39, v21
	v_mul_lo_u32 v1, v1, s36
	v_mul_lo_u32 v6, v6, s38
	v_sub_u32_e32 v1, v1, v6
	v_cmp_lt_u32_e32 vcc, s40, v1
	v_cmp_ge_u32_e64 s[4:5], s40, v1
	s_mov_b64 s[10:11], 0
	s_and_saveexec_b64 s[8:9], s[4:5]
; %bb.51:
	v_add_u32_e32 v1, s42, v21
	v_add_u32_e32 v6, s56, v21
	v_mul_lo_u32 v1, v1, s41
	v_mul_lo_u32 v6, v6, s43
	v_sub_u32_e32 v1, v1, v6
	v_cmp_lt_u32_e64 s[4:5], s57, v1
	s_and_b64 s[10:11], s[4:5], exec
; %bb.52:
	s_or_b64 exec, exec, s[8:9]
	v_cndmask_b32_e64 v44, 0, 1, vcc
	v_cndmask_b32_e64 v43, 0, 1, s[10:11]
.LBB148_53:
	s_or_b64 exec, exec, s[6:7]
	v_add_u32_e32 v1, 4, v36
	v_cmp_gt_u32_e32 vcc, s16, v1
	v_mov_b32_e32 v45, 0
	v_mov_b32_e32 v46, 0
	s_and_saveexec_b64 s[6:7], vcc
	s_cbranch_execz .LBB148_57
; %bb.54:
	v_add_u32_e32 v1, s37, v18
	v_add_u32_e32 v6, s39, v18
	v_mul_lo_u32 v1, v1, s36
	v_mul_lo_u32 v6, v6, s38
	v_sub_u32_e32 v1, v1, v6
	v_cmp_lt_u32_e32 vcc, s40, v1
	v_cmp_ge_u32_e64 s[4:5], s40, v1
	s_mov_b64 s[10:11], 0
	s_and_saveexec_b64 s[8:9], s[4:5]
; %bb.55:
	v_add_u32_e32 v1, s42, v18
	v_add_u32_e32 v6, s56, v18
	v_mul_lo_u32 v1, v1, s41
	v_mul_lo_u32 v6, v6, s43
	v_sub_u32_e32 v1, v1, v6
	v_cmp_lt_u32_e64 s[4:5], s57, v1
	s_and_b64 s[10:11], s[4:5], exec
; %bb.56:
	s_or_b64 exec, exec, s[8:9]
	v_cndmask_b32_e64 v46, 0, 1, vcc
	v_cndmask_b32_e64 v45, 0, 1, s[10:11]
.LBB148_57:
	s_or_b64 exec, exec, s[6:7]
	v_add_u32_e32 v1, 5, v36
	v_cmp_gt_u32_e32 vcc, s16, v1
	v_mov_b32_e32 v47, 0
	v_mov_b32_e32 v48, 0
	s_and_saveexec_b64 s[6:7], vcc
	s_cbranch_execz .LBB148_61
; %bb.58:
	v_add_u32_e32 v1, s37, v19
	v_add_u32_e32 v6, s39, v19
	v_mul_lo_u32 v1, v1, s36
	v_mul_lo_u32 v6, v6, s38
	v_sub_u32_e32 v1, v1, v6
	v_cmp_lt_u32_e32 vcc, s40, v1
	v_cmp_ge_u32_e64 s[4:5], s40, v1
	s_mov_b64 s[10:11], 0
	s_and_saveexec_b64 s[8:9], s[4:5]
; %bb.59:
	v_add_u32_e32 v1, s42, v19
	v_add_u32_e32 v6, s56, v19
	v_mul_lo_u32 v1, v1, s41
	v_mul_lo_u32 v6, v6, s43
	v_sub_u32_e32 v1, v1, v6
	v_cmp_lt_u32_e64 s[4:5], s57, v1
	s_and_b64 s[10:11], s[4:5], exec
; %bb.60:
	s_or_b64 exec, exec, s[8:9]
	v_cndmask_b32_e64 v48, 0, 1, vcc
	v_cndmask_b32_e64 v47, 0, 1, s[10:11]
.LBB148_61:
	s_or_b64 exec, exec, s[6:7]
	v_add_u32_e32 v1, 6, v36
	v_cmp_gt_u32_e32 vcc, s16, v1
	v_mov_b32_e32 v49, 0
	v_mov_b32_e32 v50, 0
	s_and_saveexec_b64 s[6:7], vcc
	s_cbranch_execz .LBB148_65
; %bb.62:
	v_add_u32_e32 v1, s37, v16
	v_add_u32_e32 v6, s39, v16
	v_mul_lo_u32 v1, v1, s36
	v_mul_lo_u32 v6, v6, s38
	v_sub_u32_e32 v1, v1, v6
	v_cmp_lt_u32_e32 vcc, s40, v1
	v_cmp_ge_u32_e64 s[4:5], s40, v1
	s_mov_b64 s[10:11], 0
	s_and_saveexec_b64 s[8:9], s[4:5]
; %bb.63:
	v_add_u32_e32 v1, s42, v16
	v_add_u32_e32 v6, s56, v16
	v_mul_lo_u32 v1, v1, s41
	v_mul_lo_u32 v6, v6, s43
	v_sub_u32_e32 v1, v1, v6
	v_cmp_lt_u32_e64 s[4:5], s57, v1
	s_and_b64 s[10:11], s[4:5], exec
; %bb.64:
	s_or_b64 exec, exec, s[8:9]
	v_cndmask_b32_e64 v50, 0, 1, vcc
	v_cndmask_b32_e64 v49, 0, 1, s[10:11]
.LBB148_65:
	s_or_b64 exec, exec, s[6:7]
	v_add_u32_e32 v1, 7, v36
	v_cmp_gt_u32_e32 vcc, s16, v1
	v_mov_b32_e32 v51, 0
	v_mov_b32_e32 v52, 0
	s_and_saveexec_b64 s[6:7], vcc
	s_cbranch_execz .LBB148_69
; %bb.66:
	v_add_u32_e32 v1, s37, v17
	v_add_u32_e32 v6, s39, v17
	v_mul_lo_u32 v1, v1, s36
	v_mul_lo_u32 v6, v6, s38
	v_sub_u32_e32 v1, v1, v6
	v_cmp_lt_u32_e32 vcc, s40, v1
	v_cmp_ge_u32_e64 s[4:5], s40, v1
	s_mov_b64 s[10:11], 0
	s_and_saveexec_b64 s[8:9], s[4:5]
; %bb.67:
	v_add_u32_e32 v1, s42, v17
	v_add_u32_e32 v6, s56, v17
	v_mul_lo_u32 v1, v1, s41
	v_mul_lo_u32 v6, v6, s43
	v_sub_u32_e32 v1, v1, v6
	v_cmp_lt_u32_e64 s[4:5], s57, v1
	s_and_b64 s[10:11], s[4:5], exec
; %bb.68:
	s_or_b64 exec, exec, s[8:9]
	v_cndmask_b32_e64 v52, 0, 1, vcc
	v_cndmask_b32_e64 v51, 0, 1, s[10:11]
.LBB148_69:
	s_or_b64 exec, exec, s[6:7]
	v_add_u32_e32 v1, 8, v36
	v_cmp_gt_u32_e32 vcc, s16, v1
	v_mov_b32_e32 v53, 0
	v_mov_b32_e32 v54, 0
	s_and_saveexec_b64 s[6:7], vcc
	s_cbranch_execz .LBB148_73
; %bb.70:
	v_add_u32_e32 v1, s37, v14
	v_add_u32_e32 v6, s39, v14
	v_mul_lo_u32 v1, v1, s36
	v_mul_lo_u32 v6, v6, s38
	v_sub_u32_e32 v1, v1, v6
	v_cmp_lt_u32_e32 vcc, s40, v1
	v_cmp_ge_u32_e64 s[4:5], s40, v1
	s_mov_b64 s[10:11], 0
	s_and_saveexec_b64 s[8:9], s[4:5]
; %bb.71:
	v_add_u32_e32 v1, s42, v14
	v_add_u32_e32 v6, s56, v14
	v_mul_lo_u32 v1, v1, s41
	v_mul_lo_u32 v6, v6, s43
	v_sub_u32_e32 v1, v1, v6
	v_cmp_lt_u32_e64 s[4:5], s57, v1
	s_and_b64 s[10:11], s[4:5], exec
; %bb.72:
	s_or_b64 exec, exec, s[8:9]
	v_cndmask_b32_e64 v54, 0, 1, vcc
	v_cndmask_b32_e64 v53, 0, 1, s[10:11]
.LBB148_73:
	s_or_b64 exec, exec, s[6:7]
	v_add_u32_e32 v1, 9, v36
	v_cmp_gt_u32_e32 vcc, s16, v1
	v_mov_b32_e32 v55, 0
	v_mov_b32_e32 v56, 0
	s_and_saveexec_b64 s[6:7], vcc
	s_cbranch_execz .LBB148_77
; %bb.74:
	v_add_u32_e32 v1, s37, v15
	v_add_u32_e32 v6, s39, v15
	v_mul_lo_u32 v1, v1, s36
	v_mul_lo_u32 v6, v6, s38
	v_sub_u32_e32 v1, v1, v6
	v_cmp_lt_u32_e32 vcc, s40, v1
	v_cmp_ge_u32_e64 s[4:5], s40, v1
	s_mov_b64 s[10:11], 0
	s_and_saveexec_b64 s[8:9], s[4:5]
; %bb.75:
	v_add_u32_e32 v1, s42, v15
	v_add_u32_e32 v6, s56, v15
	v_mul_lo_u32 v1, v1, s41
	v_mul_lo_u32 v6, v6, s43
	v_sub_u32_e32 v1, v1, v6
	v_cmp_lt_u32_e64 s[4:5], s57, v1
	s_and_b64 s[10:11], s[4:5], exec
; %bb.76:
	s_or_b64 exec, exec, s[8:9]
	v_cndmask_b32_e64 v56, 0, 1, vcc
	v_cndmask_b32_e64 v55, 0, 1, s[10:11]
.LBB148_77:
	s_or_b64 exec, exec, s[6:7]
	v_add_u32_e32 v1, 10, v36
	v_cmp_gt_u32_e32 vcc, s16, v1
	v_mov_b32_e32 v57, 0
	v_mov_b32_e32 v58, 0
	s_and_saveexec_b64 s[6:7], vcc
	s_cbranch_execz .LBB148_81
; %bb.78:
	v_add_u32_e32 v1, s37, v12
	v_add_u32_e32 v6, s39, v12
	v_mul_lo_u32 v1, v1, s36
	v_mul_lo_u32 v6, v6, s38
	v_sub_u32_e32 v1, v1, v6
	v_cmp_lt_u32_e32 vcc, s40, v1
	v_cmp_ge_u32_e64 s[4:5], s40, v1
	s_mov_b64 s[10:11], 0
	s_and_saveexec_b64 s[8:9], s[4:5]
; %bb.79:
	v_add_u32_e32 v1, s42, v12
	v_add_u32_e32 v6, s56, v12
	v_mul_lo_u32 v1, v1, s41
	v_mul_lo_u32 v6, v6, s43
	v_sub_u32_e32 v1, v1, v6
	v_cmp_lt_u32_e64 s[4:5], s57, v1
	s_and_b64 s[10:11], s[4:5], exec
; %bb.80:
	s_or_b64 exec, exec, s[8:9]
	v_cndmask_b32_e64 v58, 0, 1, vcc
	v_cndmask_b32_e64 v57, 0, 1, s[10:11]
.LBB148_81:
	s_or_b64 exec, exec, s[6:7]
	v_add_u32_e32 v1, 11, v36
	v_cmp_gt_u32_e32 vcc, s16, v1
	v_mov_b32_e32 v59, 0
	v_mov_b32_e32 v60, 0
	s_and_saveexec_b64 s[6:7], vcc
	s_cbranch_execz .LBB148_85
; %bb.82:
	v_add_u32_e32 v1, s37, v13
	v_add_u32_e32 v6, s39, v13
	v_mul_lo_u32 v1, v1, s36
	v_mul_lo_u32 v6, v6, s38
	v_sub_u32_e32 v1, v1, v6
	v_cmp_lt_u32_e32 vcc, s40, v1
	v_cmp_ge_u32_e64 s[4:5], s40, v1
	s_mov_b64 s[10:11], 0
	s_and_saveexec_b64 s[8:9], s[4:5]
; %bb.83:
	v_add_u32_e32 v1, s42, v13
	v_add_u32_e32 v6, s56, v13
	v_mul_lo_u32 v1, v1, s41
	v_mul_lo_u32 v6, v6, s43
	v_sub_u32_e32 v1, v1, v6
	v_cmp_lt_u32_e64 s[4:5], s57, v1
	s_and_b64 s[10:11], s[4:5], exec
; %bb.84:
	s_or_b64 exec, exec, s[8:9]
	v_cndmask_b32_e64 v60, 0, 1, vcc
	v_cndmask_b32_e64 v59, 0, 1, s[10:11]
.LBB148_85:
	s_or_b64 exec, exec, s[6:7]
	v_add_u32_e32 v1, 12, v36
	v_cmp_gt_u32_e32 vcc, s16, v1
	s_mov_b64 s[52:53], 0
	s_mov_b64 s[54:55], 0
	s_and_saveexec_b64 s[4:5], vcc
	s_cbranch_execz .LBB148_89
; %bb.86:
	v_add_u32_e32 v1, s37, v35
	v_add_u32_e32 v6, s39, v35
	v_mul_lo_u32 v1, v1, s36
	v_mul_lo_u32 v6, v6, s38
	v_sub_u32_e32 v1, v1, v6
	v_cmp_ge_u32_e32 vcc, s40, v1
	s_mov_b64 s[8:9], -1
	s_mov_b64 s[10:11], 0
	s_and_saveexec_b64 s[6:7], vcc
; %bb.87:
	v_add_u32_e32 v1, s42, v35
	v_add_u32_e32 v6, s56, v35
	v_mul_lo_u32 v1, v1, s41
	v_mul_lo_u32 v6, v6, s43
	v_sub_u32_e32 v1, v1, v6
	v_cmp_lt_u32_e32 vcc, s57, v1
	s_and_b64 s[10:11], vcc, exec
	s_xor_b64 s[8:9], exec, -1
; %bb.88:
	s_or_b64 exec, exec, s[6:7]
	s_and_b64 s[54:55], s[10:11], exec
	s_and_b64 s[52:53], s[8:9], exec
.LBB148_89:
	s_or_b64 exec, exec, s[4:5]
.LBB148_90:
	v_and_b32_e32 v68, 0xff, v38
	v_and_b32_e32 v79, 0xff, v40
	;; [unrolled: 1-line block ×5, first 2 shown]
	v_add3_u32 v6, v79, v70, v68
	v_and_b32_e32 v81, 0xff, v47
	v_and_b32_e32 v74, 0xff, v49
	v_add3_u32 v6, v6, v80, v72
	v_and_b32_e32 v67, 0xff, v37
	v_and_b32_e32 v61, 0xff, v39
	;; [unrolled: 1-line block ×5, first 2 shown]
	v_add3_u32 v6, v6, v81, v74
	v_and_b32_e32 v62, 0xff, v44
	v_and_b32_e32 v71, 0xff, v46
	;; [unrolled: 1-line block ×4, first 2 shown]
	v_add3_u32 v7, v61, v69, v67
	v_add3_u32 v6, v6, v82, v76
	v_and_b32_e32 v63, 0xff, v48
	v_and_b32_e32 v73, 0xff, v50
	;; [unrolled: 1-line block ×3, first 2 shown]
	v_cndmask_b32_e64 v1, 0, 1, s[54:55]
	v_add3_u32 v7, v7, v62, v71
	v_add3_u32 v6, v6, v83, v78
	v_and_b32_e32 v64, 0xff, v52
	v_and_b32_e32 v75, 0xff, v54
	v_add3_u32 v7, v7, v63, v73
	v_add3_u32 v91, v6, v84, v1
	v_mbcnt_lo_u32_b32 v1, -1, 0
	v_and_b32_e32 v65, 0xff, v56
	v_and_b32_e32 v77, 0xff, v58
	v_add3_u32 v7, v7, v64, v75
	v_mbcnt_hi_u32_b32 v85, -1, v1
	v_and_b32_e32 v66, 0xff, v60
	v_add3_u32 v7, v7, v65, v77
	v_cndmask_b32_e64 v8, 0, 1, s[52:53]
	v_and_b32_e32 v89, 15, v85
	s_cmp_lg_u32 s33, 0
	v_add3_u32 v90, v7, v66, v8
	v_cmp_eq_u32_e64 s[6:7], 0, v89
	v_cmp_lt_u32_e64 s[4:5], 1, v89
	v_cmp_lt_u32_e64 s[10:11], 3, v89
	;; [unrolled: 1-line block ×3, first 2 shown]
	v_and_b32_e32 v88, 16, v85
	v_cmp_lt_u32_e32 vcc, 31, v85
	v_lshrrev_b32_e32 v86, 6, v0
	v_or_b32_e32 v87, 63, v0
	s_cbranch_scc0 .LBB148_119
; %bb.91:
	v_mov_b32_dpp v1, v90 row_shr:1 row_mask:0xf bank_mask:0xf
	v_mov_b32_dpp v6, v91 row_shr:1 row_mask:0xf bank_mask:0xf
	v_add_u32_e32 v1, v1, v90
	v_add_u32_e32 v6, v6, v91
	v_cndmask_b32_e64 v6, v6, v91, s[6:7]
	v_cndmask_b32_e64 v1, v1, v90, s[6:7]
	s_nop 0
	v_mov_b32_dpp v8, v6 row_shr:2 row_mask:0xf bank_mask:0xf
	v_mov_b32_dpp v7, v1 row_shr:2 row_mask:0xf bank_mask:0xf
	v_add_u32_e32 v7, v1, v7
	v_add_u32_e32 v8, v6, v8
	v_cndmask_b32_e64 v6, v6, v8, s[4:5]
	v_cndmask_b32_e64 v1, v1, v7, s[4:5]
	s_nop 0
	;; [unrolled: 7-line block ×3, first 2 shown]
	v_mov_b32_dpp v8, v6 row_shr:8 row_mask:0xf bank_mask:0xf
	v_mov_b32_dpp v7, v1 row_shr:8 row_mask:0xf bank_mask:0xf
	v_add_u32_e32 v7, v1, v7
	v_add_u32_e32 v8, v6, v8
	v_cndmask_b32_e64 v6, v6, v8, s[8:9]
	v_cndmask_b32_e64 v1, v1, v7, s[8:9]
	v_cmp_eq_u32_e64 s[8:9], 0, v88
	v_mov_b32_dpp v8, v6 row_bcast:15 row_mask:0xf bank_mask:0xf
	v_mov_b32_dpp v7, v1 row_bcast:15 row_mask:0xf bank_mask:0xf
	v_add_u32_e32 v7, v1, v7
	v_add_u32_e32 v8, v6, v8
	v_cndmask_b32_e64 v6, v8, v6, s[8:9]
	v_cndmask_b32_e64 v1, v7, v1, s[8:9]
	s_nop 0
	v_mov_b32_dpp v8, v6 row_bcast:31 row_mask:0xf bank_mask:0xf
	v_mov_b32_dpp v7, v1 row_bcast:31 row_mask:0xf bank_mask:0xf
	v_add_u32_e32 v8, v6, v8
	v_add_u32_e32 v9, v1, v7
	v_cndmask_b32_e32 v7, v6, v8, vcc
	v_cndmask_b32_e32 v6, v1, v9, vcc
	v_cmp_eq_u32_e32 vcc, v87, v0
	s_and_saveexec_b64 s[8:9], vcc
	s_cbranch_execz .LBB148_93
; %bb.92:
	v_lshlrev_b32_e32 v1, 3, v86
	ds_write_b64 v1, v[6:7]
.LBB148_93:
	s_or_b64 exec, exec, s[8:9]
	v_cmp_gt_u32_e32 vcc, 4, v0
	s_waitcnt lgkmcnt(0)
	s_barrier
	s_and_saveexec_b64 s[8:9], vcc
	s_cbranch_execz .LBB148_95
; %bb.94:
	v_lshlrev_b32_e32 v1, 3, v0
	ds_read_b64 v[8:9], v1
	v_and_b32_e32 v10, 3, v85
	v_cmp_eq_u32_e32 vcc, 0, v10
	s_waitcnt lgkmcnt(0)
	v_mov_b32_dpp v11, v8 row_shr:1 row_mask:0xf bank_mask:0xf
	v_mov_b32_dpp v24, v9 row_shr:1 row_mask:0xf bank_mask:0xf
	v_add_u32_e32 v11, v11, v8
	v_add_u32_e32 v24, v24, v9
	v_cndmask_b32_e32 v9, v24, v9, vcc
	v_cndmask_b32_e32 v8, v11, v8, vcc
	v_cmp_lt_u32_e32 vcc, 1, v10
	v_mov_b32_dpp v24, v9 row_shr:2 row_mask:0xf bank_mask:0xf
	v_mov_b32_dpp v11, v8 row_shr:2 row_mask:0xf bank_mask:0xf
	v_cndmask_b32_e32 v10, 0, v11, vcc
	v_cndmask_b32_e32 v11, 0, v24, vcc
	v_add_u32_e32 v9, v11, v9
	v_add_u32_e32 v8, v10, v8
	ds_write_b64 v1, v[8:9]
.LBB148_95:
	s_or_b64 exec, exec, s[8:9]
	v_cmp_gt_u32_e32 vcc, 64, v0
	v_cmp_lt_u32_e64 s[8:9], 63, v0
	s_waitcnt lgkmcnt(0)
	s_barrier
	s_waitcnt lgkmcnt(0)
                                        ; implicit-def: $vgpr25
	s_and_saveexec_b64 s[10:11], s[8:9]
	s_xor_b64 s[8:9], exec, s[10:11]
	s_cbranch_execz .LBB148_97
; %bb.96:
	v_lshl_add_u32 v1, v86, 3, -8
	ds_read_b64 v[24:25], v1
	s_waitcnt lgkmcnt(0)
	v_add_u32_e32 v7, v25, v7
	v_add_u32_e32 v6, v24, v6
.LBB148_97:
	s_andn2_saveexec_b64 s[8:9], s[8:9]
; %bb.98:
                                        ; implicit-def: $vgpr24
; %bb.99:
	s_or_b64 exec, exec, s[8:9]
	v_add_u32_e32 v1, -1, v85
	v_and_b32_e32 v8, 64, v85
	v_cmp_lt_i32_e64 s[8:9], v1, v8
	v_cndmask_b32_e64 v1, v1, v85, s[8:9]
	v_lshlrev_b32_e32 v8, 2, v1
	ds_bpermute_b32 v1, v8, v6
	ds_bpermute_b32 v92, v8, v7
	v_cmp_eq_u32_e64 s[8:9], 0, v85
	s_and_saveexec_b64 s[10:11], vcc
	s_cbranch_execz .LBB148_118
; %bb.100:
	v_mov_b32_e32 v11, 0
	ds_read_b64 v[26:27], v11 offset:24
	s_and_saveexec_b64 s[12:13], s[8:9]
	s_cbranch_execz .LBB148_102
; %bb.101:
	s_add_i32 s14, s33, 64
	s_mov_b32 s15, 0
	s_lshl_b64 s[14:15], s[14:15], 4
	s_waitcnt lgkmcnt(0)
	v_and_b32_e32 v6, 0xff000000, v27
	v_and_b32_e32 v7, 0xff0000, v27
	s_add_u32 s14, s50, s14
	v_or_b32_e32 v6, v7, v6
	v_and_b32_e32 v7, 0xff00, v27
	s_addc_u32 s15, s51, s15
	v_or_b32_e32 v6, v6, v7
	v_or_b32_sdwa v9, v6, v27 dst_sel:DWORD dst_unused:UNUSED_PAD src0_sel:DWORD src1_sel:BYTE_0
	v_mov_b32_e32 v10, 1
	v_mov_b32_e32 v8, v26
	v_pk_mov_b32 v[6:7], s[14:15], s[14:15] op_sel:[0,1]
	;;#ASMSTART
	global_store_dwordx4 v[6:7], v[8:11] off	
s_waitcnt vmcnt(0)
	;;#ASMEND
.LBB148_102:
	s_or_b64 exec, exec, s[12:13]
	v_xad_u32 v28, v85, -1, s33
	v_add_u32_e32 v10, 64, v28
	v_lshlrev_b64 v[6:7], 4, v[10:11]
	v_mov_b32_e32 v8, s51
	v_add_co_u32_e32 v30, vcc, s50, v6
	v_addc_co_u32_e32 v31, vcc, v8, v7, vcc
	;;#ASMSTART
	global_load_dwordx4 v[6:9], v[30:31] off glc	
s_waitcnt vmcnt(0)
	;;#ASMEND
	v_and_b32_e32 v9, 0xff, v7
	v_and_b32_e32 v10, 0xff00, v7
	v_or3_b32 v9, 0, v9, v10
	v_or3_b32 v6, v6, 0, 0
	v_and_b32_e32 v10, 0xff000000, v7
	v_and_b32_e32 v7, 0xff0000, v7
	v_or3_b32 v7, v9, v7, v10
	v_or3_b32 v6, v6, 0, 0
	v_cmp_eq_u16_sdwa s[14:15], v8, v11 src0_sel:BYTE_0 src1_sel:DWORD
	s_and_saveexec_b64 s[12:13], s[14:15]
	s_cbranch_execz .LBB148_106
; %bb.103:
	s_mov_b64 s[14:15], 0
	v_mov_b32_e32 v10, 0
.LBB148_104:                            ; =>This Inner Loop Header: Depth=1
	;;#ASMSTART
	global_load_dwordx4 v[6:9], v[30:31] off glc	
s_waitcnt vmcnt(0)
	;;#ASMEND
	v_cmp_ne_u16_sdwa s[18:19], v8, v10 src0_sel:BYTE_0 src1_sel:DWORD
	s_or_b64 s[14:15], s[18:19], s[14:15]
	s_andn2_b64 exec, exec, s[14:15]
	s_cbranch_execnz .LBB148_104
; %bb.105:
	s_or_b64 exec, exec, s[14:15]
.LBB148_106:
	s_or_b64 exec, exec, s[12:13]
	v_and_b32_e32 v94, 63, v85
	v_cmp_ne_u32_e32 vcc, 63, v94
	v_mov_b32_e32 v93, 2
	v_addc_co_u32_e32 v30, vcc, 0, v85, vcc
	v_cmp_eq_u16_sdwa s[12:13], v8, v93 src0_sel:BYTE_0 src1_sel:DWORD
	v_lshlrev_b64 v[10:11], v85, -1
	v_lshlrev_b32_e32 v95, 2, v30
	v_and_b32_e32 v9, s13, v11
	ds_bpermute_b32 v30, v95, v6
	ds_bpermute_b32 v31, v95, v7
	v_or_b32_e32 v9, 0x80000000, v9
	v_and_b32_e32 v29, s12, v10
	v_ffbl_b32_e32 v9, v9
	v_add_u32_e32 v9, 32, v9
	v_ffbl_b32_e32 v29, v29
	v_min_u32_e32 v9, v29, v9
	s_waitcnt lgkmcnt(1)
	v_add_u32_e32 v29, v30, v6
	s_waitcnt lgkmcnt(0)
	v_add_u32_e32 v30, v31, v7
	v_cmp_lt_u32_e32 vcc, v94, v9
	v_cndmask_b32_e32 v7, v7, v30, vcc
	v_cndmask_b32_e32 v6, v6, v29, vcc
	v_cmp_gt_u32_e32 vcc, 62, v94
	v_cndmask_b32_e64 v29, 0, 1, vcc
	v_lshlrev_b32_e32 v29, 1, v29
	v_add_lshl_u32 v96, v29, v85, 2
	ds_bpermute_b32 v29, v96, v6
	ds_bpermute_b32 v30, v96, v7
	v_add_u32_e32 v97, 2, v94
	v_cmp_gt_u32_e32 vcc, v97, v9
	v_add_u32_e32 v99, 4, v94
	s_waitcnt lgkmcnt(1)
	v_add_u32_e32 v29, v6, v29
	s_waitcnt lgkmcnt(0)
	v_add_u32_e32 v30, v7, v30
	v_cndmask_b32_e32 v7, v30, v7, vcc
	v_cndmask_b32_e32 v6, v29, v6, vcc
	v_cmp_gt_u32_e32 vcc, 60, v94
	v_cndmask_b32_e64 v29, 0, 1, vcc
	v_lshlrev_b32_e32 v29, 2, v29
	v_add_lshl_u32 v98, v29, v85, 2
	ds_bpermute_b32 v29, v98, v6
	ds_bpermute_b32 v30, v98, v7
	v_cmp_gt_u32_e32 vcc, v99, v9
	v_add_u32_e32 v101, 8, v94
	v_add_u32_e32 v103, 16, v94
	s_waitcnt lgkmcnt(1)
	v_add_u32_e32 v29, v6, v29
	s_waitcnt lgkmcnt(0)
	v_add_u32_e32 v30, v7, v30
	v_cndmask_b32_e32 v7, v30, v7, vcc
	v_cndmask_b32_e32 v6, v29, v6, vcc
	v_cmp_gt_u32_e32 vcc, 56, v94
	v_cndmask_b32_e64 v29, 0, 1, vcc
	v_lshlrev_b32_e32 v29, 3, v29
	v_add_lshl_u32 v100, v29, v85, 2
	ds_bpermute_b32 v29, v100, v6
	ds_bpermute_b32 v30, v100, v7
	v_cmp_gt_u32_e32 vcc, v101, v9
	v_add_u32_e32 v105, 32, v94
	s_waitcnt lgkmcnt(1)
	v_add_u32_e32 v29, v6, v29
	s_waitcnt lgkmcnt(0)
	v_add_u32_e32 v30, v7, v30
	v_cndmask_b32_e32 v7, v30, v7, vcc
	v_cndmask_b32_e32 v6, v29, v6, vcc
	v_cmp_gt_u32_e32 vcc, 48, v94
	v_cndmask_b32_e64 v29, 0, 1, vcc
	v_lshlrev_b32_e32 v29, 4, v29
	v_add_lshl_u32 v102, v29, v85, 2
	ds_bpermute_b32 v29, v102, v6
	ds_bpermute_b32 v30, v102, v7
	v_cmp_gt_u32_e32 vcc, v103, v9
	s_waitcnt lgkmcnt(1)
	v_add_u32_e32 v29, v6, v29
	s_waitcnt lgkmcnt(0)
	v_add_u32_e32 v30, v7, v30
	v_cndmask_b32_e32 v7, v30, v7, vcc
	v_cndmask_b32_e32 v6, v29, v6, vcc
	v_cmp_gt_u32_e32 vcc, 32, v94
	v_cndmask_b32_e64 v29, 0, 1, vcc
	v_lshlrev_b32_e32 v29, 5, v29
	v_add_lshl_u32 v104, v29, v85, 2
	ds_bpermute_b32 v29, v104, v6
	ds_bpermute_b32 v30, v104, v7
	v_cmp_le_u32_e32 vcc, v105, v9
	s_waitcnt lgkmcnt(1)
	v_cndmask_b32_e32 v9, 0, v29, vcc
	s_waitcnt lgkmcnt(0)
	v_cndmask_b32_e32 v29, 0, v30, vcc
	v_add_u32_e32 v7, v7, v29
	v_add_u32_e32 v6, v6, v9
	v_mov_b32_e32 v29, 0
	s_branch .LBB148_108
.LBB148_107:                            ;   in Loop: Header=BB148_108 Depth=1
	s_or_b64 exec, exec, s[12:13]
	v_cmp_eq_u16_sdwa s[12:13], v8, v93 src0_sel:BYTE_0 src1_sel:DWORD
	v_and_b32_e32 v9, s13, v11
	ds_bpermute_b32 v33, v95, v6
	ds_bpermute_b32 v106, v95, v7
	v_or_b32_e32 v9, 0x80000000, v9
	v_and_b32_e32 v32, s12, v10
	v_ffbl_b32_e32 v9, v9
	v_add_u32_e32 v9, 32, v9
	v_ffbl_b32_e32 v32, v32
	v_min_u32_e32 v9, v32, v9
	s_waitcnt lgkmcnt(1)
	v_add_u32_e32 v32, v33, v6
	s_waitcnt lgkmcnt(0)
	v_add_u32_e32 v33, v106, v7
	v_cmp_lt_u32_e32 vcc, v94, v9
	v_cndmask_b32_e32 v7, v7, v33, vcc
	v_cndmask_b32_e32 v6, v6, v32, vcc
	ds_bpermute_b32 v32, v96, v6
	ds_bpermute_b32 v33, v96, v7
	v_cmp_gt_u32_e32 vcc, v97, v9
	v_subrev_u32_e32 v28, 64, v28
	s_waitcnt lgkmcnt(1)
	v_add_u32_e32 v32, v6, v32
	s_waitcnt lgkmcnt(0)
	v_add_u32_e32 v33, v7, v33
	v_cndmask_b32_e32 v7, v33, v7, vcc
	v_cndmask_b32_e32 v6, v32, v6, vcc
	ds_bpermute_b32 v32, v98, v6
	ds_bpermute_b32 v33, v98, v7
	v_cmp_gt_u32_e32 vcc, v99, v9
	s_waitcnt lgkmcnt(1)
	v_add_u32_e32 v32, v6, v32
	s_waitcnt lgkmcnt(0)
	v_add_u32_e32 v33, v7, v33
	v_cndmask_b32_e32 v7, v33, v7, vcc
	v_cndmask_b32_e32 v6, v32, v6, vcc
	ds_bpermute_b32 v32, v100, v6
	ds_bpermute_b32 v33, v100, v7
	v_cmp_gt_u32_e32 vcc, v101, v9
	s_waitcnt lgkmcnt(1)
	v_add_u32_e32 v32, v6, v32
	s_waitcnt lgkmcnt(0)
	v_add_u32_e32 v33, v7, v33
	v_cndmask_b32_e32 v7, v33, v7, vcc
	v_cndmask_b32_e32 v6, v32, v6, vcc
	ds_bpermute_b32 v32, v102, v6
	ds_bpermute_b32 v33, v102, v7
	v_cmp_gt_u32_e32 vcc, v103, v9
	s_waitcnt lgkmcnt(1)
	v_add_u32_e32 v32, v6, v32
	s_waitcnt lgkmcnt(0)
	v_add_u32_e32 v33, v7, v33
	v_cndmask_b32_e32 v7, v33, v7, vcc
	v_cndmask_b32_e32 v6, v32, v6, vcc
	ds_bpermute_b32 v32, v104, v6
	ds_bpermute_b32 v33, v104, v7
	v_cmp_le_u32_e32 vcc, v105, v9
	s_waitcnt lgkmcnt(1)
	v_cndmask_b32_e32 v9, 0, v32, vcc
	s_waitcnt lgkmcnt(0)
	v_cndmask_b32_e32 v32, 0, v33, vcc
	v_add3_u32 v7, v32, v31, v7
	v_add3_u32 v6, v9, v30, v6
.LBB148_108:                            ; =>This Loop Header: Depth=1
                                        ;     Child Loop BB148_111 Depth 2
	v_cmp_ne_u16_sdwa s[12:13], v8, v93 src0_sel:BYTE_0 src1_sel:DWORD
	v_cndmask_b32_e64 v8, 0, 1, s[12:13]
	;;#ASMSTART
	;;#ASMEND
	v_cmp_ne_u32_e32 vcc, 0, v8
	s_cmp_lg_u64 vcc, exec
	v_pk_mov_b32 v[30:31], v[6:7], v[6:7] op_sel:[0,1]
	s_cbranch_scc1 .LBB148_113
; %bb.109:                              ;   in Loop: Header=BB148_108 Depth=1
	v_lshlrev_b64 v[6:7], 4, v[28:29]
	v_mov_b32_e32 v8, s51
	v_add_co_u32_e32 v32, vcc, s50, v6
	v_addc_co_u32_e32 v33, vcc, v8, v7, vcc
	;;#ASMSTART
	global_load_dwordx4 v[6:9], v[32:33] off glc	
s_waitcnt vmcnt(0)
	;;#ASMEND
	v_and_b32_e32 v9, 0xff, v7
	v_and_b32_e32 v106, 0xff00, v7
	v_or3_b32 v9, 0, v9, v106
	v_or3_b32 v6, v6, 0, 0
	v_and_b32_e32 v106, 0xff000000, v7
	v_and_b32_e32 v7, 0xff0000, v7
	v_or3_b32 v7, v9, v7, v106
	v_or3_b32 v6, v6, 0, 0
	v_cmp_eq_u16_sdwa s[14:15], v8, v29 src0_sel:BYTE_0 src1_sel:DWORD
	s_and_saveexec_b64 s[12:13], s[14:15]
	s_cbranch_execz .LBB148_107
; %bb.110:                              ;   in Loop: Header=BB148_108 Depth=1
	s_mov_b64 s[14:15], 0
.LBB148_111:                            ;   Parent Loop BB148_108 Depth=1
                                        ; =>  This Inner Loop Header: Depth=2
	;;#ASMSTART
	global_load_dwordx4 v[6:9], v[32:33] off glc	
s_waitcnt vmcnt(0)
	;;#ASMEND
	v_cmp_ne_u16_sdwa s[18:19], v8, v29 src0_sel:BYTE_0 src1_sel:DWORD
	s_or_b64 s[14:15], s[18:19], s[14:15]
	s_andn2_b64 exec, exec, s[14:15]
	s_cbranch_execnz .LBB148_111
; %bb.112:                              ;   in Loop: Header=BB148_108 Depth=1
	s_or_b64 exec, exec, s[14:15]
	s_branch .LBB148_107
.LBB148_113:                            ;   in Loop: Header=BB148_108 Depth=1
                                        ; implicit-def: $vgpr8
                                        ; implicit-def: $vgpr6_vgpr7
	s_cbranch_execz .LBB148_108
; %bb.114:
	s_and_saveexec_b64 s[12:13], s[8:9]
	s_cbranch_execz .LBB148_116
; %bb.115:
	s_add_i32 s14, s33, 64
	s_mov_b32 s15, 0
	v_add_u32_e32 v7, v31, v27
	s_lshl_b64 s[14:15], s[14:15], 4
	s_add_u32 s14, s50, s14
	v_and_b32_e32 v8, 0xff000000, v7
	v_and_b32_e32 v10, 0xff0000, v7
	s_addc_u32 s15, s51, s15
	v_or_b32_e32 v8, v10, v8
	v_and_b32_e32 v10, 0xff00, v7
	v_and_b32_e32 v7, 0xff, v7
	v_add_u32_e32 v6, v30, v26
	v_mov_b32_e32 v9, 0
	v_or3_b32 v7, v8, v10, v7
	v_mov_b32_e32 v8, 2
	v_pk_mov_b32 v[10:11], s[14:15], s[14:15] op_sel:[0,1]
	;;#ASMSTART
	global_store_dwordx4 v[10:11], v[6:9] off	
s_waitcnt vmcnt(0)
	;;#ASMEND
	s_movk_i32 s14, 0x3400
	v_add_u32_e64 v6, s14, 0
	ds_write2_b32 v6, v26, v27 offset1:2
	ds_write2_b32 v6, v30, v31 offset0:4 offset1:6
.LBB148_116:
	s_or_b64 exec, exec, s[12:13]
	s_and_b64 exec, exec, s[0:1]
	s_cbranch_execz .LBB148_118
; %bb.117:
	v_mov_b32_e32 v6, 0
	ds_write_b64 v6, v[30:31] offset:24
.LBB148_118:
	s_or_b64 exec, exec, s[10:11]
	v_mov_b32_e32 v6, 0
	s_waitcnt lgkmcnt(0)
	s_barrier
	ds_read_b64 v[10:11], v6 offset:24
	v_cndmask_b32_e64 v25, v92, v25, s[8:9]
	v_cndmask_b32_e64 v1, v1, v24, s[8:9]
	s_movk_i32 s8, 0x3400
	s_waitcnt lgkmcnt(0)
	v_add_u32_e32 v24, v10, v1
	v_add_u32_e64 v1, s8, 0
	s_barrier
	ds_read2_b32 v[6:7], v1 offset1:2
	ds_read2_b32 v[8:9], v1 offset0:4 offset1:6
	v_add_u32_e32 v1, v11, v25
	v_cndmask_b32_e64 v1, v1, v11, s[0:1]
	v_cndmask_b32_e64 v10, v24, v10, s[0:1]
	s_branch .LBB148_129
.LBB148_119:
                                        ; implicit-def: $vgpr1
                                        ; implicit-def: $vgpr8
                                        ; implicit-def: $vgpr6
                                        ; implicit-def: $vgpr10_vgpr11
	s_cbranch_execz .LBB148_129
; %bb.120:
	s_nop 0
	v_mov_b32_dpp v1, v90 row_shr:1 row_mask:0xf bank_mask:0xf
	s_waitcnt lgkmcnt(1)
	v_mov_b32_dpp v6, v91 row_shr:1 row_mask:0xf bank_mask:0xf
	v_add_u32_e32 v1, v1, v90
	v_add_u32_e32 v6, v6, v91
	v_cndmask_b32_e64 v6, v6, v91, s[6:7]
	v_cndmask_b32_e64 v1, v1, v90, s[6:7]
	v_cmp_lt_u32_e32 vcc, 3, v89
	s_waitcnt lgkmcnt(0)
	v_mov_b32_dpp v8, v6 row_shr:2 row_mask:0xf bank_mask:0xf
	v_mov_b32_dpp v7, v1 row_shr:2 row_mask:0xf bank_mask:0xf
	v_add_u32_e32 v7, v1, v7
	v_add_u32_e32 v8, v6, v8
	v_cndmask_b32_e64 v6, v6, v8, s[4:5]
	v_cndmask_b32_e64 v1, v1, v7, s[4:5]
	s_nop 0
	v_mov_b32_dpp v8, v6 row_shr:4 row_mask:0xf bank_mask:0xf
	v_mov_b32_dpp v7, v1 row_shr:4 row_mask:0xf bank_mask:0xf
	v_add_u32_e32 v7, v1, v7
	v_add_u32_e32 v8, v6, v8
	v_cndmask_b32_e32 v6, v6, v8, vcc
	v_cndmask_b32_e32 v1, v1, v7, vcc
	v_cmp_lt_u32_e32 vcc, 7, v89
	v_mov_b32_dpp v8, v6 row_shr:8 row_mask:0xf bank_mask:0xf
	v_mov_b32_dpp v7, v1 row_shr:8 row_mask:0xf bank_mask:0xf
	v_add_u32_e32 v7, v1, v7
	v_add_u32_e32 v8, v6, v8
	v_cndmask_b32_e32 v6, v6, v8, vcc
	v_cndmask_b32_e32 v1, v1, v7, vcc
	v_cmp_eq_u32_e32 vcc, 0, v88
	v_mov_b32_dpp v8, v6 row_bcast:15 row_mask:0xf bank_mask:0xf
	v_mov_b32_dpp v7, v1 row_bcast:15 row_mask:0xf bank_mask:0xf
	v_add_u32_e32 v7, v1, v7
	v_add_u32_e32 v8, v6, v8
	v_cndmask_b32_e32 v6, v8, v6, vcc
	v_cndmask_b32_e32 v1, v7, v1, vcc
	v_cmp_lt_u32_e32 vcc, 31, v85
	v_mov_b32_dpp v8, v6 row_bcast:31 row_mask:0xf bank_mask:0xf
	v_mov_b32_dpp v7, v1 row_bcast:31 row_mask:0xf bank_mask:0xf
	v_add_u32_e32 v8, v6, v8
	v_add_u32_e32 v9, v1, v7
	v_cndmask_b32_e32 v7, v6, v8, vcc
	v_cndmask_b32_e32 v6, v1, v9, vcc
	v_cmp_eq_u32_e32 vcc, v87, v0
	s_and_saveexec_b64 s[4:5], vcc
	s_cbranch_execz .LBB148_122
; %bb.121:
	v_lshlrev_b32_e32 v1, 3, v86
	ds_write_b64 v1, v[6:7]
.LBB148_122:
	s_or_b64 exec, exec, s[4:5]
	v_cmp_gt_u32_e32 vcc, 4, v0
	s_waitcnt lgkmcnt(0)
	s_barrier
	s_and_saveexec_b64 s[4:5], vcc
	s_cbranch_execz .LBB148_124
; %bb.123:
	v_lshlrev_b32_e32 v1, 3, v0
	ds_read_b64 v[8:9], v1
	v_and_b32_e32 v10, 3, v85
	v_cmp_eq_u32_e32 vcc, 0, v10
	s_waitcnt lgkmcnt(0)
	v_mov_b32_dpp v11, v8 row_shr:1 row_mask:0xf bank_mask:0xf
	v_mov_b32_dpp v24, v9 row_shr:1 row_mask:0xf bank_mask:0xf
	v_add_u32_e32 v11, v11, v8
	v_add_u32_e32 v24, v24, v9
	v_cndmask_b32_e32 v9, v24, v9, vcc
	v_cndmask_b32_e32 v8, v11, v8, vcc
	v_cmp_lt_u32_e32 vcc, 1, v10
	v_mov_b32_dpp v24, v9 row_shr:2 row_mask:0xf bank_mask:0xf
	v_mov_b32_dpp v11, v8 row_shr:2 row_mask:0xf bank_mask:0xf
	v_cndmask_b32_e32 v10, 0, v11, vcc
	v_cndmask_b32_e32 v11, 0, v24, vcc
	v_add_u32_e32 v9, v11, v9
	v_add_u32_e32 v8, v10, v8
	ds_write_b64 v1, v[8:9]
.LBB148_124:
	s_or_b64 exec, exec, s[4:5]
	v_cmp_lt_u32_e32 vcc, 63, v0
	v_mov_b32_e32 v8, 0
	v_mov_b32_e32 v10, 0
	;; [unrolled: 1-line block ×3, first 2 shown]
	s_waitcnt lgkmcnt(0)
	s_barrier
	s_and_saveexec_b64 s[4:5], vcc
	s_cbranch_execz .LBB148_126
; %bb.125:
	v_lshl_add_u32 v1, v86, 3, -8
	ds_read_b64 v[10:11], v1
.LBB148_126:
	s_or_b64 exec, exec, s[4:5]
	s_waitcnt lgkmcnt(0)
	v_add_u32_e32 v9, v11, v7
	v_add_u32_e32 v1, v10, v6
	v_add_u32_e32 v6, -1, v85
	v_and_b32_e32 v7, 64, v85
	v_cmp_lt_i32_e32 vcc, v6, v7
	v_cndmask_b32_e32 v6, v6, v85, vcc
	v_lshlrev_b32_e32 v24, 2, v6
	ds_read_b64 v[6:7], v8 offset:24
	ds_bpermute_b32 v1, v24, v1
	ds_bpermute_b32 v24, v24, v9
	s_waitcnt lgkmcnt(2)
	v_readfirstlane_b32 s6, v7
	s_and_saveexec_b64 s[4:5], s[0:1]
	s_cbranch_execz .LBB148_128
; %bb.127:
	s_add_u32 s8, s50, 0x400
	s_mov_b32 s10, 0
	s_addc_u32 s9, s51, 0
	s_and_b32 s11, s6, 0xff000000
	s_and_b32 s13, s6, 0xff0000
	s_mov_b32 s12, s10
	s_or_b64 s[12:13], s[12:13], s[10:11]
	s_and_b32 s11, s6, 0xff00
	s_or_b64 s[12:13], s[12:13], s[10:11]
	s_and_b32 s11, s6, 0xff
	s_or_b64 s[10:11], s[12:13], s[10:11]
	v_mov_b32_e32 v7, s11
	v_mov_b32_e32 v8, 2
	;; [unrolled: 1-line block ×3, first 2 shown]
	v_pk_mov_b32 v[26:27], s[8:9], s[8:9] op_sel:[0,1]
	;;#ASMSTART
	global_store_dwordx4 v[26:27], v[6:9] off	
s_waitcnt vmcnt(0)
	;;#ASMEND
.LBB148_128:
	s_or_b64 exec, exec, s[4:5]
	v_cmp_eq_u32_e32 vcc, 0, v85
	s_waitcnt lgkmcnt(1)
	v_cndmask_b32_e32 v7, v1, v10, vcc
	s_waitcnt lgkmcnt(0)
	v_cndmask_b32_e32 v1, v24, v11, vcc
	v_mov_b32_e32 v8, 0
	v_cndmask_b32_e64 v1, v1, 0, s[0:1]
	v_cndmask_b32_e64 v10, v7, 0, s[0:1]
	s_barrier
	v_mov_b32_e32 v7, s6
	v_mov_b32_e32 v9, 0
.LBB148_129:
	v_add_u32_e32 v11, v10, v67
	v_add_u32_e32 v26, v1, v68
	;; [unrolled: 1-line block ×13, first 2 shown]
	s_waitcnt vmcnt(0) lgkmcnt(0)
	v_add_co_u32_e32 v2, vcc, v2, v8
	v_add_u32_e32 v68, v62, v74
	v_add_u32_e32 v64, v67, v64
	v_addc_co_u32_e32 v3, vcc, 0, v3, vcc
	v_add_u32_e32 v69, v68, v82
	v_add_u32_e32 v70, v64, v75
	v_sub_co_u32_e32 v24, vcc, v4, v6
	v_add_u32_e32 v71, v69, v76
	v_add_u32_e32 v65, v70, v65
	v_subbrev_co_u32_e32 v25, vcc, 0, v5, vcc
	v_lshlrev_b32_e32 v76, 1, v6
	v_sub_u32_e32 v1, v1, v9
	v_add_u32_e32 v73, v65, v77
	v_add_co_u32_e32 v24, vcc, v24, v9
	v_add_u32_e32 v77, v76, v7
	v_sub_u32_e32 v10, v10, v8
	v_add_u32_e32 v1, v1, v6
	v_addc_co_u32_e32 v25, vcc, 0, v25, vcc
	v_add_u32_e32 v36, v77, v36
	v_and_b32_e32 v38, 1, v38
	v_add_u32_e32 v77, v10, v1
	v_and_b32_e32 v37, 1, v37
	v_sub_u32_e32 v77, v36, v77
	v_cmp_eq_u32_e32 vcc, 1, v38
	v_cndmask_b32_e32 v1, v77, v1, vcc
	v_cmp_eq_u32_e32 vcc, 1, v37
	v_cndmask_b32_e32 v1, v1, v10, vcc
	v_lshlrev_b32_e32 v1, 2, v1
	ds_write_b32 v1, v22
	v_sub_u32_e32 v1, v11, v8
	v_sub_u32_e32 v11, v26, v9
	v_add_u32_e32 v11, v11, v6
	v_add_u32_e32 v26, v11, v1
	v_and_b32_e32 v22, 1, v40
	v_sub_u32_e32 v26, v36, v26
	v_and_b32_e32 v10, 1, v39
	v_add_u32_e32 v26, 1, v26
	v_cmp_eq_u32_e32 vcc, 1, v22
	v_cndmask_b32_e32 v11, v26, v11, vcc
	v_cmp_eq_u32_e32 vcc, 1, v10
	v_cndmask_b32_e32 v1, v11, v1, vcc
	v_lshlrev_b32_e32 v1, 2, v1
	v_sub_u32_e32 v11, v27, v9
	ds_write_b32 v1, v23
	v_sub_u32_e32 v1, v28, v8
	v_add_u32_e32 v11, v11, v6
	v_add_u32_e32 v23, v11, v1
	v_and_b32_e32 v22, 1, v42
	v_sub_u32_e32 v23, v36, v23
	v_and_b32_e32 v10, 1, v41
	v_add_u32_e32 v23, 2, v23
	v_cmp_eq_u32_e32 vcc, 1, v22
	v_cndmask_b32_e32 v11, v23, v11, vcc
	v_cmp_eq_u32_e32 vcc, 1, v10
	v_cndmask_b32_e32 v1, v11, v1, vcc
	v_lshlrev_b32_e32 v1, 2, v1
	v_sub_u32_e32 v11, v30, v9
	ds_write_b32 v1, v20
	;; [unrolled: 14-line block ×8, first 2 shown]
	v_sub_u32_e32 v1, v70, v8
	v_add_u32_e32 v11, v11, v6
	v_add_u32_e32 v16, v1, v11
	v_and_b32_e32 v14, 1, v55
	v_sub_u32_e32 v16, v36, v16
	v_and_b32_e32 v10, 1, v56
	v_add_u32_e32 v16, 9, v16
	v_cmp_eq_u32_e32 vcc, 1, v14
	v_cndmask_b32_e32 v11, v16, v11, vcc
	v_cmp_eq_u32_e32 vcc, 1, v10
	v_add_u32_e32 v72, v71, v83
	v_cndmask_b32_e32 v1, v11, v1, vcc
	v_lshlrev_b32_e32 v1, 2, v1
	v_sub_u32_e32 v11, v72, v9
	ds_write_b32 v1, v15
	v_sub_u32_e32 v1, v65, v8
	v_add_u32_e32 v11, v11, v6
	v_add_u32_e32 v15, v1, v11
	v_and_b32_e32 v14, 1, v57
	v_sub_u32_e32 v15, v36, v15
	v_and_b32_e32 v10, 1, v58
	v_add_u32_e32 v15, 10, v15
	v_cmp_eq_u32_e32 vcc, 1, v14
	v_cndmask_b32_e32 v11, v15, v11, vcc
	v_cmp_eq_u32_e32 vcc, 1, v10
	v_add_u32_e32 v74, v72, v78
	v_cndmask_b32_e32 v1, v11, v1, vcc
	v_lshlrev_b32_e32 v1, 2, v1
	v_sub_u32_e32 v11, v74, v9
	ds_write_b32 v1, v12
	v_sub_u32_e32 v1, v73, v8
	v_add_u32_e32 v11, v11, v6
	v_add_u32_e32 v14, v1, v11
	v_and_b32_e32 v12, 1, v59
	v_sub_u32_e32 v14, v36, v14
	v_and_b32_e32 v10, 1, v60
	v_add_u32_e32 v14, 11, v14
	v_cmp_eq_u32_e32 vcc, 1, v12
	v_cndmask_b32_e32 v11, v14, v11, vcc
	v_cmp_eq_u32_e32 vcc, 1, v10
	v_cndmask_b32_e32 v1, v11, v1, vcc
	v_add_u32_e32 v75, v74, v84
	v_add_u32_e32 v66, v73, v66
	v_lshlrev_b32_e32 v1, 2, v1
	ds_write_b32 v1, v13
	v_sub_u32_e32 v1, v66, v8
	v_sub_u32_e32 v8, v75, v9
	v_add_u32_e32 v8, v8, v6
	v_add_u32_e32 v10, v1, v8
	v_sub_u32_e32 v10, v36, v10
	v_add_u32_e32 v10, 12, v10
	v_cndmask_b32_e64 v8, v10, v8, s[54:55]
	v_cndmask_b32_e64 v1, v8, v1, s[52:53]
	v_lshlrev_b32_e32 v1, 2, v1
	ds_write_b32 v1, v35
	v_mov_b32_e32 v1, s49
	v_add_co_u32_e32 v8, vcc, s48, v34
	v_addc_co_u32_e32 v10, vcc, 0, v1, vcc
	v_add_co_u32_e32 v1, vcc, v7, v76
	v_addc_co_u32_e64 v11, s[4:5], 0, 0, vcc
	v_add_co_u32_e32 v1, vcc, v1, v24
	v_addc_co_u32_e32 v11, vcc, v11, v25, vcc
	v_add_co_u32_e32 v1, vcc, v1, v2
	v_addc_co_u32_e32 v11, vcc, v11, v3, vcc
	v_sub_co_u32_e32 v1, vcc, v8, v1
	v_subb_co_u32_e32 v8, vcc, v10, v11, vcc
	v_lshlrev_b64 v[10:11], 2, v[24:25]
	v_mov_b32_e32 v12, s47
	v_add_co_u32_e32 v10, vcc, s46, v10
	v_addc_co_u32_e32 v11, vcc, v12, v11, vcc
	v_lshlrev_b64 v[12:13], 2, v[2:3]
	v_mov_b32_e32 v15, s45
	v_add_co_u32_e32 v12, vcc, s44, v12
	s_add_u32 s8, s34, -4
	v_addc_co_u32_e32 v13, vcc, v15, v13, vcc
	s_addc_u32 s9, s35, -1
	v_add_u32_e32 v14, v6, v7
	s_and_b64 vcc, exec, s[2:3]
	s_mov_b64 s[2:3], -1
	s_waitcnt lgkmcnt(0)
	s_barrier
	s_cbranch_vccz .LBB148_133
; %bb.130:
	s_and_b64 vcc, exec, s[2:3]
	s_cbranch_vccnz .LBB148_238
.LBB148_131:
	s_and_b64 s[0:1], s[0:1], s[30:31]
	s_and_saveexec_b64 s[2:3], s[0:1]
	s_cbranch_execnz .LBB148_356
.LBB148_132:
	s_endpgm
.LBB148_133:
	v_cmp_le_u32_e32 vcc, v6, v0
	s_and_saveexec_b64 s[2:3], vcc
	s_xor_b64 s[2:3], exec, s[2:3]
	s_cbranch_execz .LBB148_139
; %bb.134:
	v_cmp_le_u32_e32 vcc, v14, v0
	s_and_saveexec_b64 s[4:5], vcc
	s_xor_b64 s[4:5], exec, s[4:5]
	s_cbranch_execz .LBB148_136
; %bb.135:
	v_lshlrev_b32_e32 v15, 2, v0
	v_add_co_u32_e32 v16, vcc, v1, v0
	ds_read_b32 v15, v15
	v_addc_co_u32_e32 v17, vcc, 0, v8, vcc
	v_lshlrev_b64 v[16:17], 2, v[16:17]
	v_mov_b32_e32 v18, s35
	v_sub_co_u32_e32 v16, vcc, s34, v16
	v_subb_co_u32_e32 v17, vcc, v18, v17, vcc
	s_waitcnt lgkmcnt(0)
	global_store_dword v[16:17], v15, off offset:-4
.LBB148_136:
	s_andn2_saveexec_b64 s[4:5], s[4:5]
	s_cbranch_execz .LBB148_138
; %bb.137:
	v_lshlrev_b32_e32 v15, 2, v0
	ds_read_b32 v16, v15
	v_readfirstlane_b32 s6, v10
	v_readfirstlane_b32 s7, v11
	s_waitcnt lgkmcnt(0)
	s_nop 3
	global_store_dword v15, v16, s[6:7]
.LBB148_138:
	s_or_b64 exec, exec, s[4:5]
.LBB148_139:
	s_andn2_saveexec_b64 s[2:3], s[2:3]
	s_cbranch_execz .LBB148_141
; %bb.140:
	v_lshlrev_b32_e32 v15, 2, v0
	ds_read_b32 v16, v15
	v_readfirstlane_b32 s4, v12
	v_readfirstlane_b32 s5, v13
	s_waitcnt lgkmcnt(0)
	s_nop 3
	global_store_dword v15, v16, s[4:5]
.LBB148_141:
	s_or_b64 exec, exec, s[2:3]
	v_or_b32_e32 v15, 0x100, v0
	v_cmp_le_u32_e32 vcc, v6, v15
	s_and_saveexec_b64 s[2:3], vcc
	s_xor_b64 s[2:3], exec, s[2:3]
	s_cbranch_execz .LBB148_147
; %bb.142:
	v_cmp_le_u32_e32 vcc, v14, v15
	s_and_saveexec_b64 s[4:5], vcc
	s_xor_b64 s[4:5], exec, s[4:5]
	s_cbranch_execz .LBB148_144
; %bb.143:
	v_lshlrev_b32_e32 v15, 2, v0
	ds_read_b32 v15, v15 offset:1024
	v_add_co_u32_e32 v16, vcc, v1, v0
	v_addc_co_u32_e32 v17, vcc, 0, v8, vcc
	v_lshlrev_b64 v[16:17], 2, v[16:17]
	v_mov_b32_e32 v18, s9
	v_sub_co_u32_e32 v16, vcc, s8, v16
	v_subb_co_u32_e32 v17, vcc, v18, v17, vcc
	s_waitcnt lgkmcnt(0)
	global_store_dword v[16:17], v15, off offset:-1024
.LBB148_144:
	s_andn2_saveexec_b64 s[4:5], s[4:5]
	s_cbranch_execz .LBB148_146
; %bb.145:
	v_lshlrev_b32_e32 v15, 2, v0
	ds_read_b32 v16, v15 offset:1024
	v_readfirstlane_b32 s6, v10
	v_readfirstlane_b32 s7, v11
	s_waitcnt lgkmcnt(0)
	s_nop 3
	global_store_dword v15, v16, s[6:7] offset:1024
.LBB148_146:
	s_or_b64 exec, exec, s[4:5]
.LBB148_147:
	s_andn2_saveexec_b64 s[2:3], s[2:3]
	s_cbranch_execz .LBB148_149
; %bb.148:
	v_lshlrev_b32_e32 v15, 2, v0
	ds_read_b32 v16, v15 offset:1024
	v_readfirstlane_b32 s4, v12
	v_readfirstlane_b32 s5, v13
	s_waitcnt lgkmcnt(0)
	s_nop 3
	global_store_dword v15, v16, s[4:5] offset:1024
.LBB148_149:
	s_or_b64 exec, exec, s[2:3]
	v_or_b32_e32 v15, 0x200, v0
	v_cmp_le_u32_e32 vcc, v6, v15
	s_and_saveexec_b64 s[2:3], vcc
	s_xor_b64 s[2:3], exec, s[2:3]
	s_cbranch_execz .LBB148_155
; %bb.150:
	v_cmp_le_u32_e32 vcc, v14, v15
	s_and_saveexec_b64 s[4:5], vcc
	s_xor_b64 s[4:5], exec, s[4:5]
	s_cbranch_execz .LBB148_152
; %bb.151:
	v_lshlrev_b32_e32 v15, 2, v0
	ds_read_b32 v15, v15 offset:2048
	v_add_co_u32_e32 v16, vcc, v1, v0
	v_addc_co_u32_e32 v17, vcc, 0, v8, vcc
	v_lshlrev_b64 v[16:17], 2, v[16:17]
	v_mov_b32_e32 v18, s9
	v_sub_co_u32_e32 v16, vcc, s8, v16
	v_subb_co_u32_e32 v17, vcc, v18, v17, vcc
	s_waitcnt lgkmcnt(0)
	global_store_dword v[16:17], v15, off offset:-2048
.LBB148_152:
	s_andn2_saveexec_b64 s[4:5], s[4:5]
	s_cbranch_execz .LBB148_154
; %bb.153:
	v_lshlrev_b32_e32 v15, 2, v0
	ds_read_b32 v16, v15 offset:2048
	v_readfirstlane_b32 s6, v10
	v_readfirstlane_b32 s7, v11
	s_waitcnt lgkmcnt(0)
	s_nop 3
	global_store_dword v15, v16, s[6:7] offset:2048
.LBB148_154:
	s_or_b64 exec, exec, s[4:5]
.LBB148_155:
	s_andn2_saveexec_b64 s[2:3], s[2:3]
	s_cbranch_execz .LBB148_157
; %bb.156:
	v_lshlrev_b32_e32 v15, 2, v0
	ds_read_b32 v16, v15 offset:2048
	v_readfirstlane_b32 s4, v12
	v_readfirstlane_b32 s5, v13
	s_waitcnt lgkmcnt(0)
	s_nop 3
	global_store_dword v15, v16, s[4:5] offset:2048
.LBB148_157:
	;; [unrolled: 47-line block ×3, first 2 shown]
	s_or_b64 exec, exec, s[2:3]
	v_or_b32_e32 v15, 0x400, v0
	v_cmp_le_u32_e32 vcc, v6, v15
	s_and_saveexec_b64 s[2:3], vcc
	s_xor_b64 s[2:3], exec, s[2:3]
	s_cbranch_execz .LBB148_171
; %bb.166:
	v_cmp_le_u32_e32 vcc, v14, v15
	s_and_saveexec_b64 s[4:5], vcc
	s_xor_b64 s[4:5], exec, s[4:5]
	s_cbranch_execz .LBB148_168
; %bb.167:
	v_lshlrev_b32_e32 v15, 2, v0
	ds_read_b32 v15, v15 offset:4096
	v_add_co_u32_e32 v16, vcc, v1, v0
	v_addc_co_u32_e32 v17, vcc, 0, v8, vcc
	v_lshlrev_b64 v[16:17], 2, v[16:17]
	v_mov_b32_e32 v18, s9
	v_sub_co_u32_e32 v16, vcc, s8, v16
	v_subb_co_u32_e32 v17, vcc, v18, v17, vcc
	s_waitcnt lgkmcnt(0)
	global_store_dword v[16:17], v15, off offset:-4096
                                        ; implicit-def: $vgpr15
.LBB148_168:
	s_andn2_saveexec_b64 s[4:5], s[4:5]
	s_cbranch_execz .LBB148_170
; %bb.169:
	v_lshlrev_b32_e32 v16, 2, v0
	ds_read_b32 v16, v16 offset:4096
	v_lshlrev_b32_e32 v15, 2, v15
	v_readfirstlane_b32 s6, v10
	v_readfirstlane_b32 s7, v11
	s_waitcnt lgkmcnt(0)
	s_nop 3
	global_store_dword v15, v16, s[6:7]
.LBB148_170:
	s_or_b64 exec, exec, s[4:5]
                                        ; implicit-def: $vgpr15
.LBB148_171:
	s_andn2_saveexec_b64 s[2:3], s[2:3]
	s_cbranch_execz .LBB148_173
; %bb.172:
	v_lshlrev_b32_e32 v16, 2, v0
	ds_read_b32 v16, v16 offset:4096
	v_lshlrev_b32_e32 v15, 2, v15
	v_readfirstlane_b32 s4, v12
	v_readfirstlane_b32 s5, v13
	s_waitcnt lgkmcnt(0)
	s_nop 3
	global_store_dword v15, v16, s[4:5]
.LBB148_173:
	s_or_b64 exec, exec, s[2:3]
	v_or_b32_e32 v15, 0x500, v0
	v_cmp_le_u32_e32 vcc, v6, v15
	s_and_saveexec_b64 s[2:3], vcc
	s_xor_b64 s[2:3], exec, s[2:3]
	s_cbranch_execz .LBB148_179
; %bb.174:
	v_cmp_le_u32_e32 vcc, v14, v15
	s_and_saveexec_b64 s[4:5], vcc
	s_xor_b64 s[4:5], exec, s[4:5]
	s_cbranch_execz .LBB148_176
; %bb.175:
	v_add_co_u32_e32 v16, vcc, v1, v15
	v_lshlrev_b32_e32 v15, 2, v0
	ds_read_b32 v15, v15 offset:5120
	v_addc_co_u32_e32 v17, vcc, 0, v8, vcc
	v_lshlrev_b64 v[16:17], 2, v[16:17]
	v_mov_b32_e32 v18, s9
	v_sub_co_u32_e32 v16, vcc, s8, v16
	v_subb_co_u32_e32 v17, vcc, v18, v17, vcc
	s_waitcnt lgkmcnt(0)
	global_store_dword v[16:17], v15, off
                                        ; implicit-def: $vgpr15
.LBB148_176:
	s_andn2_saveexec_b64 s[4:5], s[4:5]
	s_cbranch_execz .LBB148_178
; %bb.177:
	v_lshlrev_b32_e32 v16, 2, v0
	ds_read_b32 v16, v16 offset:5120
	v_lshlrev_b32_e32 v15, 2, v15
	v_readfirstlane_b32 s6, v10
	v_readfirstlane_b32 s7, v11
	s_waitcnt lgkmcnt(0)
	s_nop 3
	global_store_dword v15, v16, s[6:7]
.LBB148_178:
	s_or_b64 exec, exec, s[4:5]
                                        ; implicit-def: $vgpr15
.LBB148_179:
	s_andn2_saveexec_b64 s[2:3], s[2:3]
	s_cbranch_execz .LBB148_181
; %bb.180:
	v_lshlrev_b32_e32 v16, 2, v0
	ds_read_b32 v16, v16 offset:5120
	v_lshlrev_b32_e32 v15, 2, v15
	v_readfirstlane_b32 s4, v12
	v_readfirstlane_b32 s5, v13
	s_waitcnt lgkmcnt(0)
	s_nop 3
	global_store_dword v15, v16, s[4:5]
.LBB148_181:
	s_or_b64 exec, exec, s[2:3]
	v_or_b32_e32 v15, 0x600, v0
	v_cmp_le_u32_e32 vcc, v6, v15
	s_and_saveexec_b64 s[2:3], vcc
	s_xor_b64 s[2:3], exec, s[2:3]
	s_cbranch_execz .LBB148_187
; %bb.182:
	v_cmp_le_u32_e32 vcc, v14, v15
	s_and_saveexec_b64 s[4:5], vcc
	s_xor_b64 s[4:5], exec, s[4:5]
	s_cbranch_execz .LBB148_184
; %bb.183:
	v_add_co_u32_e32 v16, vcc, v1, v15
	v_lshlrev_b32_e32 v15, 2, v0
	ds_read_b32 v15, v15 offset:6144
	v_addc_co_u32_e32 v17, vcc, 0, v8, vcc
	v_lshlrev_b64 v[16:17], 2, v[16:17]
	v_mov_b32_e32 v18, s9
	v_sub_co_u32_e32 v16, vcc, s8, v16
	v_subb_co_u32_e32 v17, vcc, v18, v17, vcc
	s_waitcnt lgkmcnt(0)
	global_store_dword v[16:17], v15, off
                                        ; implicit-def: $vgpr15
.LBB148_184:
	s_andn2_saveexec_b64 s[4:5], s[4:5]
	s_cbranch_execz .LBB148_186
; %bb.185:
	v_lshlrev_b32_e32 v16, 2, v0
	ds_read_b32 v16, v16 offset:6144
	v_lshlrev_b32_e32 v15, 2, v15
	v_readfirstlane_b32 s6, v10
	v_readfirstlane_b32 s7, v11
	s_waitcnt lgkmcnt(0)
	s_nop 3
	global_store_dword v15, v16, s[6:7]
.LBB148_186:
	s_or_b64 exec, exec, s[4:5]
                                        ; implicit-def: $vgpr15
.LBB148_187:
	;; [unrolled: 51-line block ×8, first 2 shown]
	s_andn2_saveexec_b64 s[2:3], s[2:3]
	s_cbranch_execz .LBB148_237
; %bb.236:
	v_lshlrev_b32_e32 v16, 2, v0
	ds_read_b32 v16, v16 offset:12288
	v_lshlrev_b32_e32 v15, 2, v15
	v_readfirstlane_b32 s4, v12
	v_readfirstlane_b32 s5, v13
	s_waitcnt lgkmcnt(0)
	s_nop 3
	global_store_dword v15, v16, s[4:5]
.LBB148_237:
	s_or_b64 exec, exec, s[2:3]
	s_branch .LBB148_131
.LBB148_238:
	v_cmp_gt_u32_e32 vcc, s16, v0
	s_and_saveexec_b64 s[2:3], vcc
	s_cbranch_execz .LBB148_247
; %bb.239:
	v_cmp_le_u32_e32 vcc, v6, v0
	s_and_saveexec_b64 s[4:5], vcc
	s_xor_b64 s[4:5], exec, s[4:5]
	s_cbranch_execz .LBB148_245
; %bb.240:
	v_cmp_le_u32_e32 vcc, v14, v0
	s_and_saveexec_b64 s[6:7], vcc
	s_xor_b64 s[6:7], exec, s[6:7]
	s_cbranch_execz .LBB148_242
; %bb.241:
	v_lshlrev_b32_e32 v15, 2, v0
	v_add_co_u32_e32 v16, vcc, v1, v0
	ds_read_b32 v15, v15
	v_addc_co_u32_e32 v17, vcc, 0, v8, vcc
	v_lshlrev_b64 v[16:17], 2, v[16:17]
	v_mov_b32_e32 v18, s35
	v_sub_co_u32_e32 v16, vcc, s34, v16
	v_subb_co_u32_e32 v17, vcc, v18, v17, vcc
	s_waitcnt lgkmcnt(0)
	global_store_dword v[16:17], v15, off offset:-4
.LBB148_242:
	s_andn2_saveexec_b64 s[6:7], s[6:7]
	s_cbranch_execz .LBB148_244
; %bb.243:
	v_lshlrev_b32_e32 v15, 2, v0
	ds_read_b32 v16, v15
	v_readfirstlane_b32 s10, v10
	v_readfirstlane_b32 s11, v11
	s_waitcnt lgkmcnt(0)
	s_nop 3
	global_store_dword v15, v16, s[10:11]
.LBB148_244:
	s_or_b64 exec, exec, s[6:7]
.LBB148_245:
	s_andn2_saveexec_b64 s[4:5], s[4:5]
	s_cbranch_execz .LBB148_247
; %bb.246:
	v_lshlrev_b32_e32 v15, 2, v0
	ds_read_b32 v16, v15
	v_readfirstlane_b32 s4, v12
	v_readfirstlane_b32 s5, v13
	s_waitcnt lgkmcnt(0)
	s_nop 3
	global_store_dword v15, v16, s[4:5]
.LBB148_247:
	s_or_b64 exec, exec, s[2:3]
	v_or_b32_e32 v15, 0x100, v0
	v_cmp_gt_u32_e32 vcc, s16, v15
	s_and_saveexec_b64 s[2:3], vcc
	s_cbranch_execz .LBB148_256
; %bb.248:
	v_cmp_le_u32_e32 vcc, v6, v15
	s_and_saveexec_b64 s[4:5], vcc
	s_xor_b64 s[4:5], exec, s[4:5]
	s_cbranch_execz .LBB148_254
; %bb.249:
	v_cmp_le_u32_e32 vcc, v14, v15
	s_and_saveexec_b64 s[6:7], vcc
	s_xor_b64 s[6:7], exec, s[6:7]
	s_cbranch_execz .LBB148_251
; %bb.250:
	v_lshlrev_b32_e32 v15, 2, v0
	ds_read_b32 v15, v15 offset:1024
	v_add_co_u32_e32 v16, vcc, v1, v0
	v_addc_co_u32_e32 v17, vcc, 0, v8, vcc
	v_lshlrev_b64 v[16:17], 2, v[16:17]
	v_mov_b32_e32 v18, s9
	v_sub_co_u32_e32 v16, vcc, s8, v16
	v_subb_co_u32_e32 v17, vcc, v18, v17, vcc
	s_waitcnt lgkmcnt(0)
	global_store_dword v[16:17], v15, off offset:-1024
.LBB148_251:
	s_andn2_saveexec_b64 s[6:7], s[6:7]
	s_cbranch_execz .LBB148_253
; %bb.252:
	v_lshlrev_b32_e32 v15, 2, v0
	ds_read_b32 v16, v15 offset:1024
	v_readfirstlane_b32 s10, v10
	v_readfirstlane_b32 s11, v11
	s_waitcnt lgkmcnt(0)
	s_nop 3
	global_store_dword v15, v16, s[10:11] offset:1024
.LBB148_253:
	s_or_b64 exec, exec, s[6:7]
.LBB148_254:
	s_andn2_saveexec_b64 s[4:5], s[4:5]
	s_cbranch_execz .LBB148_256
; %bb.255:
	v_lshlrev_b32_e32 v15, 2, v0
	ds_read_b32 v16, v15 offset:1024
	v_readfirstlane_b32 s4, v12
	v_readfirstlane_b32 s5, v13
	s_waitcnt lgkmcnt(0)
	s_nop 3
	global_store_dword v15, v16, s[4:5] offset:1024
.LBB148_256:
	s_or_b64 exec, exec, s[2:3]
	v_or_b32_e32 v15, 0x200, v0
	v_cmp_gt_u32_e32 vcc, s16, v15
	s_and_saveexec_b64 s[2:3], vcc
	s_cbranch_execz .LBB148_265
; %bb.257:
	v_cmp_le_u32_e32 vcc, v6, v15
	s_and_saveexec_b64 s[4:5], vcc
	s_xor_b64 s[4:5], exec, s[4:5]
	s_cbranch_execz .LBB148_263
; %bb.258:
	v_cmp_le_u32_e32 vcc, v14, v15
	s_and_saveexec_b64 s[6:7], vcc
	s_xor_b64 s[6:7], exec, s[6:7]
	s_cbranch_execz .LBB148_260
; %bb.259:
	v_lshlrev_b32_e32 v15, 2, v0
	ds_read_b32 v15, v15 offset:2048
	v_add_co_u32_e32 v16, vcc, v1, v0
	v_addc_co_u32_e32 v17, vcc, 0, v8, vcc
	v_lshlrev_b64 v[16:17], 2, v[16:17]
	v_mov_b32_e32 v18, s9
	v_sub_co_u32_e32 v16, vcc, s8, v16
	v_subb_co_u32_e32 v17, vcc, v18, v17, vcc
	s_waitcnt lgkmcnt(0)
	global_store_dword v[16:17], v15, off offset:-2048
.LBB148_260:
	s_andn2_saveexec_b64 s[6:7], s[6:7]
	s_cbranch_execz .LBB148_262
; %bb.261:
	v_lshlrev_b32_e32 v15, 2, v0
	ds_read_b32 v16, v15 offset:2048
	v_readfirstlane_b32 s10, v10
	v_readfirstlane_b32 s11, v11
	s_waitcnt lgkmcnt(0)
	s_nop 3
	global_store_dword v15, v16, s[10:11] offset:2048
.LBB148_262:
	s_or_b64 exec, exec, s[6:7]
.LBB148_263:
	s_andn2_saveexec_b64 s[4:5], s[4:5]
	s_cbranch_execz .LBB148_265
; %bb.264:
	v_lshlrev_b32_e32 v15, 2, v0
	ds_read_b32 v16, v15 offset:2048
	v_readfirstlane_b32 s4, v12
	v_readfirstlane_b32 s5, v13
	s_waitcnt lgkmcnt(0)
	s_nop 3
	global_store_dword v15, v16, s[4:5] offset:2048
.LBB148_265:
	;; [unrolled: 51-line block ×3, first 2 shown]
	s_or_b64 exec, exec, s[2:3]
	v_or_b32_e32 v15, 0x400, v0
	v_cmp_gt_u32_e32 vcc, s16, v15
	s_and_saveexec_b64 s[2:3], vcc
	s_cbranch_execz .LBB148_283
; %bb.275:
	v_cmp_le_u32_e32 vcc, v6, v15
	s_and_saveexec_b64 s[4:5], vcc
	s_xor_b64 s[4:5], exec, s[4:5]
	s_cbranch_execz .LBB148_281
; %bb.276:
	v_cmp_le_u32_e32 vcc, v14, v15
	s_and_saveexec_b64 s[6:7], vcc
	s_xor_b64 s[6:7], exec, s[6:7]
	s_cbranch_execz .LBB148_278
; %bb.277:
	v_lshlrev_b32_e32 v15, 2, v0
	ds_read_b32 v15, v15 offset:4096
	v_add_co_u32_e32 v16, vcc, v1, v0
	v_addc_co_u32_e32 v17, vcc, 0, v8, vcc
	v_lshlrev_b64 v[16:17], 2, v[16:17]
	v_mov_b32_e32 v18, s9
	v_sub_co_u32_e32 v16, vcc, s8, v16
	v_subb_co_u32_e32 v17, vcc, v18, v17, vcc
	s_waitcnt lgkmcnt(0)
	global_store_dword v[16:17], v15, off offset:-4096
                                        ; implicit-def: $vgpr15
.LBB148_278:
	s_andn2_saveexec_b64 s[6:7], s[6:7]
	s_cbranch_execz .LBB148_280
; %bb.279:
	v_lshlrev_b32_e32 v16, 2, v0
	ds_read_b32 v16, v16 offset:4096
	v_lshlrev_b32_e32 v15, 2, v15
	v_readfirstlane_b32 s10, v10
	v_readfirstlane_b32 s11, v11
	s_waitcnt lgkmcnt(0)
	s_nop 3
	global_store_dword v15, v16, s[10:11]
.LBB148_280:
	s_or_b64 exec, exec, s[6:7]
                                        ; implicit-def: $vgpr15
.LBB148_281:
	s_andn2_saveexec_b64 s[4:5], s[4:5]
	s_cbranch_execz .LBB148_283
; %bb.282:
	v_lshlrev_b32_e32 v16, 2, v0
	ds_read_b32 v16, v16 offset:4096
	v_lshlrev_b32_e32 v15, 2, v15
	v_readfirstlane_b32 s4, v12
	v_readfirstlane_b32 s5, v13
	s_waitcnt lgkmcnt(0)
	s_nop 3
	global_store_dword v15, v16, s[4:5]
.LBB148_283:
	s_or_b64 exec, exec, s[2:3]
	v_or_b32_e32 v15, 0x500, v0
	v_cmp_gt_u32_e32 vcc, s16, v15
	s_and_saveexec_b64 s[2:3], vcc
	s_cbranch_execz .LBB148_292
; %bb.284:
	v_cmp_le_u32_e32 vcc, v6, v15
	s_and_saveexec_b64 s[4:5], vcc
	s_xor_b64 s[4:5], exec, s[4:5]
	s_cbranch_execz .LBB148_290
; %bb.285:
	v_cmp_le_u32_e32 vcc, v14, v15
	s_and_saveexec_b64 s[6:7], vcc
	s_xor_b64 s[6:7], exec, s[6:7]
	s_cbranch_execz .LBB148_287
; %bb.286:
	v_add_co_u32_e32 v16, vcc, v1, v15
	v_lshlrev_b32_e32 v15, 2, v0
	ds_read_b32 v15, v15 offset:5120
	v_addc_co_u32_e32 v17, vcc, 0, v8, vcc
	v_lshlrev_b64 v[16:17], 2, v[16:17]
	v_mov_b32_e32 v18, s9
	v_sub_co_u32_e32 v16, vcc, s8, v16
	v_subb_co_u32_e32 v17, vcc, v18, v17, vcc
	s_waitcnt lgkmcnt(0)
	global_store_dword v[16:17], v15, off
                                        ; implicit-def: $vgpr15
.LBB148_287:
	s_andn2_saveexec_b64 s[6:7], s[6:7]
	s_cbranch_execz .LBB148_289
; %bb.288:
	v_lshlrev_b32_e32 v16, 2, v0
	ds_read_b32 v16, v16 offset:5120
	v_lshlrev_b32_e32 v15, 2, v15
	v_readfirstlane_b32 s10, v10
	v_readfirstlane_b32 s11, v11
	s_waitcnt lgkmcnt(0)
	s_nop 3
	global_store_dword v15, v16, s[10:11]
.LBB148_289:
	s_or_b64 exec, exec, s[6:7]
                                        ; implicit-def: $vgpr15
.LBB148_290:
	s_andn2_saveexec_b64 s[4:5], s[4:5]
	s_cbranch_execz .LBB148_292
; %bb.291:
	v_lshlrev_b32_e32 v16, 2, v0
	ds_read_b32 v16, v16 offset:5120
	v_lshlrev_b32_e32 v15, 2, v15
	v_readfirstlane_b32 s4, v12
	v_readfirstlane_b32 s5, v13
	s_waitcnt lgkmcnt(0)
	s_nop 3
	global_store_dword v15, v16, s[4:5]
.LBB148_292:
	s_or_b64 exec, exec, s[2:3]
	v_or_b32_e32 v15, 0x600, v0
	v_cmp_gt_u32_e32 vcc, s16, v15
	s_and_saveexec_b64 s[2:3], vcc
	s_cbranch_execz .LBB148_301
; %bb.293:
	v_cmp_le_u32_e32 vcc, v6, v15
	s_and_saveexec_b64 s[4:5], vcc
	s_xor_b64 s[4:5], exec, s[4:5]
	s_cbranch_execz .LBB148_299
; %bb.294:
	v_cmp_le_u32_e32 vcc, v14, v15
	s_and_saveexec_b64 s[6:7], vcc
	s_xor_b64 s[6:7], exec, s[6:7]
	s_cbranch_execz .LBB148_296
; %bb.295:
	v_add_co_u32_e32 v16, vcc, v1, v15
	v_lshlrev_b32_e32 v15, 2, v0
	ds_read_b32 v15, v15 offset:6144
	v_addc_co_u32_e32 v17, vcc, 0, v8, vcc
	v_lshlrev_b64 v[16:17], 2, v[16:17]
	v_mov_b32_e32 v18, s9
	v_sub_co_u32_e32 v16, vcc, s8, v16
	v_subb_co_u32_e32 v17, vcc, v18, v17, vcc
	s_waitcnt lgkmcnt(0)
	global_store_dword v[16:17], v15, off
                                        ; implicit-def: $vgpr15
.LBB148_296:
	s_andn2_saveexec_b64 s[6:7], s[6:7]
	s_cbranch_execz .LBB148_298
; %bb.297:
	v_lshlrev_b32_e32 v16, 2, v0
	ds_read_b32 v16, v16 offset:6144
	v_lshlrev_b32_e32 v15, 2, v15
	v_readfirstlane_b32 s10, v10
	v_readfirstlane_b32 s11, v11
	s_waitcnt lgkmcnt(0)
	s_nop 3
	global_store_dword v15, v16, s[10:11]
.LBB148_298:
	s_or_b64 exec, exec, s[6:7]
                                        ; implicit-def: $vgpr15
.LBB148_299:
	s_andn2_saveexec_b64 s[4:5], s[4:5]
	s_cbranch_execz .LBB148_301
; %bb.300:
	v_lshlrev_b32_e32 v16, 2, v0
	ds_read_b32 v16, v16 offset:6144
	v_lshlrev_b32_e32 v15, 2, v15
	v_readfirstlane_b32 s4, v12
	v_readfirstlane_b32 s5, v13
	s_waitcnt lgkmcnt(0)
	s_nop 3
	global_store_dword v15, v16, s[4:5]
.LBB148_301:
	;; [unrolled: 55-line block ×7, first 2 shown]
	s_or_b64 exec, exec, s[2:3]
	v_or_b32_e32 v15, 0xc00, v0
	v_cmp_gt_u32_e32 vcc, s16, v15
	s_and_saveexec_b64 s[2:3], vcc
	s_cbranch_execz .LBB148_355
; %bb.347:
	v_cmp_le_u32_e32 vcc, v6, v15
	s_and_saveexec_b64 s[4:5], vcc
	s_xor_b64 s[4:5], exec, s[4:5]
	s_cbranch_execz .LBB148_353
; %bb.348:
	v_cmp_le_u32_e32 vcc, v14, v15
	s_and_saveexec_b64 s[6:7], vcc
	s_xor_b64 s[6:7], exec, s[6:7]
	s_cbranch_execz .LBB148_350
; %bb.349:
	v_add_co_u32_e32 v10, vcc, v1, v15
	v_lshlrev_b32_e32 v0, 2, v0
	v_addc_co_u32_e32 v11, vcc, 0, v8, vcc
	ds_read_b32 v8, v0 offset:12288
	v_lshlrev_b64 v[0:1], 2, v[10:11]
	v_mov_b32_e32 v10, s9
	v_sub_co_u32_e32 v0, vcc, s8, v0
	v_subb_co_u32_e32 v1, vcc, v10, v1, vcc
	s_waitcnt lgkmcnt(0)
	global_store_dword v[0:1], v8, off
                                        ; implicit-def: $vgpr0
                                        ; implicit-def: $vgpr15
                                        ; implicit-def: $vgpr10_vgpr11
.LBB148_350:
	s_andn2_saveexec_b64 s[6:7], s[6:7]
	s_cbranch_execz .LBB148_352
; %bb.351:
	v_lshlrev_b32_e32 v0, 2, v0
	ds_read_b32 v0, v0 offset:12288
	v_lshlrev_b32_e32 v1, 2, v15
	v_readfirstlane_b32 s8, v10
	v_readfirstlane_b32 s9, v11
	s_waitcnt lgkmcnt(0)
	s_nop 3
	global_store_dword v1, v0, s[8:9]
.LBB148_352:
	s_or_b64 exec, exec, s[6:7]
                                        ; implicit-def: $vgpr0
                                        ; implicit-def: $vgpr15
                                        ; implicit-def: $vgpr12_vgpr13
.LBB148_353:
	s_andn2_saveexec_b64 s[4:5], s[4:5]
	s_cbranch_execz .LBB148_355
; %bb.354:
	v_lshlrev_b32_e32 v0, 2, v0
	ds_read_b32 v0, v0 offset:12288
	v_lshlrev_b32_e32 v1, 2, v15
	v_readfirstlane_b32 s4, v12
	v_readfirstlane_b32 s5, v13
	s_waitcnt lgkmcnt(0)
	s_nop 3
	global_store_dword v1, v0, s[4:5]
.LBB148_355:
	s_or_b64 exec, exec, s[2:3]
	s_and_b64 s[0:1], s[0:1], s[30:31]
	s_and_saveexec_b64 s[2:3], s[0:1]
	s_cbranch_execz .LBB148_132
.LBB148_356:
	v_add_co_u32_e32 v0, vcc, v2, v6
	v_addc_co_u32_e32 v1, vcc, 0, v3, vcc
	v_add_co_u32_e32 v2, vcc, v4, v7
	v_addc_co_u32_e32 v3, vcc, 0, v5, vcc
	v_add_co_u32_e32 v2, vcc, v2, v9
	v_mov_b32_e32 v8, 0
	v_addc_co_u32_e32 v3, vcc, 0, v3, vcc
	global_store_dwordx4 v8, v[0:3], s[28:29]
	s_endpgm
	.section	.rodata,"a",@progbits
	.p2align	6, 0x0
	.amdhsa_kernel _ZN7rocprim17ROCPRIM_400000_NS6detail17trampoline_kernelINS0_13select_configILj256ELj13ELNS0_17block_load_methodE3ELS4_3ELS4_3ELNS0_20block_scan_algorithmE0ELj4294967295EEENS1_25partition_config_selectorILNS1_17partition_subalgoE4EjNS0_10empty_typeEbEEZZNS1_14partition_implILS8_4ELb0ES6_15HIP_vector_typeIjLj2EENS0_17counting_iteratorIjlEEPS9_SG_NS0_5tupleIJPjSI_NS0_16reverse_iteratorISI_EEEEENSH_IJSG_SG_SG_EEES9_SI_JZNS1_25segmented_radix_sort_implINS0_14default_configELb0EPKhPhPKlPlN2at6native12_GLOBAL__N_18offset_tEEE10hipError_tPvRmT1_PNSt15iterator_traitsIS12_E10value_typeET2_T3_PNS13_IS18_E10value_typeET4_jRbjT5_S1E_jjP12ihipStream_tbEUljE_ZNSN_ISO_Lb0ESQ_SR_ST_SU_SY_EESZ_S10_S11_S12_S16_S17_S18_S1B_S1C_jS1D_jS1E_S1E_jjS1G_bEUljE0_EEESZ_S10_S11_S18_S1C_S1E_T6_T7_T9_mT8_S1G_bDpT10_ENKUlT_T0_E_clISt17integral_constantIbLb0EES1T_IbLb1EEEEDaS1P_S1Q_EUlS1P_E_NS1_11comp_targetILNS1_3genE4ELNS1_11target_archE910ELNS1_3gpuE8ELNS1_3repE0EEENS1_30default_config_static_selectorELNS0_4arch9wavefront6targetE1EEEvS12_
		.amdhsa_group_segment_fixed_size 13340
		.amdhsa_private_segment_fixed_size 0
		.amdhsa_kernarg_size 184
		.amdhsa_user_sgpr_count 6
		.amdhsa_user_sgpr_private_segment_buffer 1
		.amdhsa_user_sgpr_dispatch_ptr 0
		.amdhsa_user_sgpr_queue_ptr 0
		.amdhsa_user_sgpr_kernarg_segment_ptr 1
		.amdhsa_user_sgpr_dispatch_id 0
		.amdhsa_user_sgpr_flat_scratch_init 0
		.amdhsa_user_sgpr_kernarg_preload_length 0
		.amdhsa_user_sgpr_kernarg_preload_offset 0
		.amdhsa_user_sgpr_private_segment_size 0
		.amdhsa_uses_dynamic_stack 0
		.amdhsa_system_sgpr_private_segment_wavefront_offset 0
		.amdhsa_system_sgpr_workgroup_id_x 1
		.amdhsa_system_sgpr_workgroup_id_y 0
		.amdhsa_system_sgpr_workgroup_id_z 0
		.amdhsa_system_sgpr_workgroup_info 0
		.amdhsa_system_vgpr_workitem_id 0
		.amdhsa_next_free_vgpr 107
		.amdhsa_next_free_sgpr 87
		.amdhsa_accum_offset 108
		.amdhsa_reserve_vcc 1
		.amdhsa_reserve_flat_scratch 0
		.amdhsa_float_round_mode_32 0
		.amdhsa_float_round_mode_16_64 0
		.amdhsa_float_denorm_mode_32 3
		.amdhsa_float_denorm_mode_16_64 3
		.amdhsa_dx10_clamp 1
		.amdhsa_ieee_mode 1
		.amdhsa_fp16_overflow 0
		.amdhsa_tg_split 0
		.amdhsa_exception_fp_ieee_invalid_op 0
		.amdhsa_exception_fp_denorm_src 0
		.amdhsa_exception_fp_ieee_div_zero 0
		.amdhsa_exception_fp_ieee_overflow 0
		.amdhsa_exception_fp_ieee_underflow 0
		.amdhsa_exception_fp_ieee_inexact 0
		.amdhsa_exception_int_div_zero 0
	.end_amdhsa_kernel
	.section	.text._ZN7rocprim17ROCPRIM_400000_NS6detail17trampoline_kernelINS0_13select_configILj256ELj13ELNS0_17block_load_methodE3ELS4_3ELS4_3ELNS0_20block_scan_algorithmE0ELj4294967295EEENS1_25partition_config_selectorILNS1_17partition_subalgoE4EjNS0_10empty_typeEbEEZZNS1_14partition_implILS8_4ELb0ES6_15HIP_vector_typeIjLj2EENS0_17counting_iteratorIjlEEPS9_SG_NS0_5tupleIJPjSI_NS0_16reverse_iteratorISI_EEEEENSH_IJSG_SG_SG_EEES9_SI_JZNS1_25segmented_radix_sort_implINS0_14default_configELb0EPKhPhPKlPlN2at6native12_GLOBAL__N_18offset_tEEE10hipError_tPvRmT1_PNSt15iterator_traitsIS12_E10value_typeET2_T3_PNS13_IS18_E10value_typeET4_jRbjT5_S1E_jjP12ihipStream_tbEUljE_ZNSN_ISO_Lb0ESQ_SR_ST_SU_SY_EESZ_S10_S11_S12_S16_S17_S18_S1B_S1C_jS1D_jS1E_S1E_jjS1G_bEUljE0_EEESZ_S10_S11_S18_S1C_S1E_T6_T7_T9_mT8_S1G_bDpT10_ENKUlT_T0_E_clISt17integral_constantIbLb0EES1T_IbLb1EEEEDaS1P_S1Q_EUlS1P_E_NS1_11comp_targetILNS1_3genE4ELNS1_11target_archE910ELNS1_3gpuE8ELNS1_3repE0EEENS1_30default_config_static_selectorELNS0_4arch9wavefront6targetE1EEEvS12_,"axG",@progbits,_ZN7rocprim17ROCPRIM_400000_NS6detail17trampoline_kernelINS0_13select_configILj256ELj13ELNS0_17block_load_methodE3ELS4_3ELS4_3ELNS0_20block_scan_algorithmE0ELj4294967295EEENS1_25partition_config_selectorILNS1_17partition_subalgoE4EjNS0_10empty_typeEbEEZZNS1_14partition_implILS8_4ELb0ES6_15HIP_vector_typeIjLj2EENS0_17counting_iteratorIjlEEPS9_SG_NS0_5tupleIJPjSI_NS0_16reverse_iteratorISI_EEEEENSH_IJSG_SG_SG_EEES9_SI_JZNS1_25segmented_radix_sort_implINS0_14default_configELb0EPKhPhPKlPlN2at6native12_GLOBAL__N_18offset_tEEE10hipError_tPvRmT1_PNSt15iterator_traitsIS12_E10value_typeET2_T3_PNS13_IS18_E10value_typeET4_jRbjT5_S1E_jjP12ihipStream_tbEUljE_ZNSN_ISO_Lb0ESQ_SR_ST_SU_SY_EESZ_S10_S11_S12_S16_S17_S18_S1B_S1C_jS1D_jS1E_S1E_jjS1G_bEUljE0_EEESZ_S10_S11_S18_S1C_S1E_T6_T7_T9_mT8_S1G_bDpT10_ENKUlT_T0_E_clISt17integral_constantIbLb0EES1T_IbLb1EEEEDaS1P_S1Q_EUlS1P_E_NS1_11comp_targetILNS1_3genE4ELNS1_11target_archE910ELNS1_3gpuE8ELNS1_3repE0EEENS1_30default_config_static_selectorELNS0_4arch9wavefront6targetE1EEEvS12_,comdat
.Lfunc_end148:
	.size	_ZN7rocprim17ROCPRIM_400000_NS6detail17trampoline_kernelINS0_13select_configILj256ELj13ELNS0_17block_load_methodE3ELS4_3ELS4_3ELNS0_20block_scan_algorithmE0ELj4294967295EEENS1_25partition_config_selectorILNS1_17partition_subalgoE4EjNS0_10empty_typeEbEEZZNS1_14partition_implILS8_4ELb0ES6_15HIP_vector_typeIjLj2EENS0_17counting_iteratorIjlEEPS9_SG_NS0_5tupleIJPjSI_NS0_16reverse_iteratorISI_EEEEENSH_IJSG_SG_SG_EEES9_SI_JZNS1_25segmented_radix_sort_implINS0_14default_configELb0EPKhPhPKlPlN2at6native12_GLOBAL__N_18offset_tEEE10hipError_tPvRmT1_PNSt15iterator_traitsIS12_E10value_typeET2_T3_PNS13_IS18_E10value_typeET4_jRbjT5_S1E_jjP12ihipStream_tbEUljE_ZNSN_ISO_Lb0ESQ_SR_ST_SU_SY_EESZ_S10_S11_S12_S16_S17_S18_S1B_S1C_jS1D_jS1E_S1E_jjS1G_bEUljE0_EEESZ_S10_S11_S18_S1C_S1E_T6_T7_T9_mT8_S1G_bDpT10_ENKUlT_T0_E_clISt17integral_constantIbLb0EES1T_IbLb1EEEEDaS1P_S1Q_EUlS1P_E_NS1_11comp_targetILNS1_3genE4ELNS1_11target_archE910ELNS1_3gpuE8ELNS1_3repE0EEENS1_30default_config_static_selectorELNS0_4arch9wavefront6targetE1EEEvS12_, .Lfunc_end148-_ZN7rocprim17ROCPRIM_400000_NS6detail17trampoline_kernelINS0_13select_configILj256ELj13ELNS0_17block_load_methodE3ELS4_3ELS4_3ELNS0_20block_scan_algorithmE0ELj4294967295EEENS1_25partition_config_selectorILNS1_17partition_subalgoE4EjNS0_10empty_typeEbEEZZNS1_14partition_implILS8_4ELb0ES6_15HIP_vector_typeIjLj2EENS0_17counting_iteratorIjlEEPS9_SG_NS0_5tupleIJPjSI_NS0_16reverse_iteratorISI_EEEEENSH_IJSG_SG_SG_EEES9_SI_JZNS1_25segmented_radix_sort_implINS0_14default_configELb0EPKhPhPKlPlN2at6native12_GLOBAL__N_18offset_tEEE10hipError_tPvRmT1_PNSt15iterator_traitsIS12_E10value_typeET2_T3_PNS13_IS18_E10value_typeET4_jRbjT5_S1E_jjP12ihipStream_tbEUljE_ZNSN_ISO_Lb0ESQ_SR_ST_SU_SY_EESZ_S10_S11_S12_S16_S17_S18_S1B_S1C_jS1D_jS1E_S1E_jjS1G_bEUljE0_EEESZ_S10_S11_S18_S1C_S1E_T6_T7_T9_mT8_S1G_bDpT10_ENKUlT_T0_E_clISt17integral_constantIbLb0EES1T_IbLb1EEEEDaS1P_S1Q_EUlS1P_E_NS1_11comp_targetILNS1_3genE4ELNS1_11target_archE910ELNS1_3gpuE8ELNS1_3repE0EEENS1_30default_config_static_selectorELNS0_4arch9wavefront6targetE1EEEvS12_
                                        ; -- End function
	.section	.AMDGPU.csdata,"",@progbits
; Kernel info:
; codeLenInByte = 13432
; NumSgprs: 91
; NumVgprs: 107
; NumAgprs: 0
; TotalNumVgprs: 107
; ScratchSize: 0
; MemoryBound: 0
; FloatMode: 240
; IeeeMode: 1
; LDSByteSize: 13340 bytes/workgroup (compile time only)
; SGPRBlocks: 11
; VGPRBlocks: 13
; NumSGPRsForWavesPerEU: 91
; NumVGPRsForWavesPerEU: 107
; AccumOffset: 108
; Occupancy: 4
; WaveLimiterHint : 1
; COMPUTE_PGM_RSRC2:SCRATCH_EN: 0
; COMPUTE_PGM_RSRC2:USER_SGPR: 6
; COMPUTE_PGM_RSRC2:TRAP_HANDLER: 0
; COMPUTE_PGM_RSRC2:TGID_X_EN: 1
; COMPUTE_PGM_RSRC2:TGID_Y_EN: 0
; COMPUTE_PGM_RSRC2:TGID_Z_EN: 0
; COMPUTE_PGM_RSRC2:TIDIG_COMP_CNT: 0
; COMPUTE_PGM_RSRC3_GFX90A:ACCUM_OFFSET: 26
; COMPUTE_PGM_RSRC3_GFX90A:TG_SPLIT: 0
	.section	.text._ZN7rocprim17ROCPRIM_400000_NS6detail17trampoline_kernelINS0_13select_configILj256ELj13ELNS0_17block_load_methodE3ELS4_3ELS4_3ELNS0_20block_scan_algorithmE0ELj4294967295EEENS1_25partition_config_selectorILNS1_17partition_subalgoE4EjNS0_10empty_typeEbEEZZNS1_14partition_implILS8_4ELb0ES6_15HIP_vector_typeIjLj2EENS0_17counting_iteratorIjlEEPS9_SG_NS0_5tupleIJPjSI_NS0_16reverse_iteratorISI_EEEEENSH_IJSG_SG_SG_EEES9_SI_JZNS1_25segmented_radix_sort_implINS0_14default_configELb0EPKhPhPKlPlN2at6native12_GLOBAL__N_18offset_tEEE10hipError_tPvRmT1_PNSt15iterator_traitsIS12_E10value_typeET2_T3_PNS13_IS18_E10value_typeET4_jRbjT5_S1E_jjP12ihipStream_tbEUljE_ZNSN_ISO_Lb0ESQ_SR_ST_SU_SY_EESZ_S10_S11_S12_S16_S17_S18_S1B_S1C_jS1D_jS1E_S1E_jjS1G_bEUljE0_EEESZ_S10_S11_S18_S1C_S1E_T6_T7_T9_mT8_S1G_bDpT10_ENKUlT_T0_E_clISt17integral_constantIbLb0EES1T_IbLb1EEEEDaS1P_S1Q_EUlS1P_E_NS1_11comp_targetILNS1_3genE3ELNS1_11target_archE908ELNS1_3gpuE7ELNS1_3repE0EEENS1_30default_config_static_selectorELNS0_4arch9wavefront6targetE1EEEvS12_,"axG",@progbits,_ZN7rocprim17ROCPRIM_400000_NS6detail17trampoline_kernelINS0_13select_configILj256ELj13ELNS0_17block_load_methodE3ELS4_3ELS4_3ELNS0_20block_scan_algorithmE0ELj4294967295EEENS1_25partition_config_selectorILNS1_17partition_subalgoE4EjNS0_10empty_typeEbEEZZNS1_14partition_implILS8_4ELb0ES6_15HIP_vector_typeIjLj2EENS0_17counting_iteratorIjlEEPS9_SG_NS0_5tupleIJPjSI_NS0_16reverse_iteratorISI_EEEEENSH_IJSG_SG_SG_EEES9_SI_JZNS1_25segmented_radix_sort_implINS0_14default_configELb0EPKhPhPKlPlN2at6native12_GLOBAL__N_18offset_tEEE10hipError_tPvRmT1_PNSt15iterator_traitsIS12_E10value_typeET2_T3_PNS13_IS18_E10value_typeET4_jRbjT5_S1E_jjP12ihipStream_tbEUljE_ZNSN_ISO_Lb0ESQ_SR_ST_SU_SY_EESZ_S10_S11_S12_S16_S17_S18_S1B_S1C_jS1D_jS1E_S1E_jjS1G_bEUljE0_EEESZ_S10_S11_S18_S1C_S1E_T6_T7_T9_mT8_S1G_bDpT10_ENKUlT_T0_E_clISt17integral_constantIbLb0EES1T_IbLb1EEEEDaS1P_S1Q_EUlS1P_E_NS1_11comp_targetILNS1_3genE3ELNS1_11target_archE908ELNS1_3gpuE7ELNS1_3repE0EEENS1_30default_config_static_selectorELNS0_4arch9wavefront6targetE1EEEvS12_,comdat
	.globl	_ZN7rocprim17ROCPRIM_400000_NS6detail17trampoline_kernelINS0_13select_configILj256ELj13ELNS0_17block_load_methodE3ELS4_3ELS4_3ELNS0_20block_scan_algorithmE0ELj4294967295EEENS1_25partition_config_selectorILNS1_17partition_subalgoE4EjNS0_10empty_typeEbEEZZNS1_14partition_implILS8_4ELb0ES6_15HIP_vector_typeIjLj2EENS0_17counting_iteratorIjlEEPS9_SG_NS0_5tupleIJPjSI_NS0_16reverse_iteratorISI_EEEEENSH_IJSG_SG_SG_EEES9_SI_JZNS1_25segmented_radix_sort_implINS0_14default_configELb0EPKhPhPKlPlN2at6native12_GLOBAL__N_18offset_tEEE10hipError_tPvRmT1_PNSt15iterator_traitsIS12_E10value_typeET2_T3_PNS13_IS18_E10value_typeET4_jRbjT5_S1E_jjP12ihipStream_tbEUljE_ZNSN_ISO_Lb0ESQ_SR_ST_SU_SY_EESZ_S10_S11_S12_S16_S17_S18_S1B_S1C_jS1D_jS1E_S1E_jjS1G_bEUljE0_EEESZ_S10_S11_S18_S1C_S1E_T6_T7_T9_mT8_S1G_bDpT10_ENKUlT_T0_E_clISt17integral_constantIbLb0EES1T_IbLb1EEEEDaS1P_S1Q_EUlS1P_E_NS1_11comp_targetILNS1_3genE3ELNS1_11target_archE908ELNS1_3gpuE7ELNS1_3repE0EEENS1_30default_config_static_selectorELNS0_4arch9wavefront6targetE1EEEvS12_ ; -- Begin function _ZN7rocprim17ROCPRIM_400000_NS6detail17trampoline_kernelINS0_13select_configILj256ELj13ELNS0_17block_load_methodE3ELS4_3ELS4_3ELNS0_20block_scan_algorithmE0ELj4294967295EEENS1_25partition_config_selectorILNS1_17partition_subalgoE4EjNS0_10empty_typeEbEEZZNS1_14partition_implILS8_4ELb0ES6_15HIP_vector_typeIjLj2EENS0_17counting_iteratorIjlEEPS9_SG_NS0_5tupleIJPjSI_NS0_16reverse_iteratorISI_EEEEENSH_IJSG_SG_SG_EEES9_SI_JZNS1_25segmented_radix_sort_implINS0_14default_configELb0EPKhPhPKlPlN2at6native12_GLOBAL__N_18offset_tEEE10hipError_tPvRmT1_PNSt15iterator_traitsIS12_E10value_typeET2_T3_PNS13_IS18_E10value_typeET4_jRbjT5_S1E_jjP12ihipStream_tbEUljE_ZNSN_ISO_Lb0ESQ_SR_ST_SU_SY_EESZ_S10_S11_S12_S16_S17_S18_S1B_S1C_jS1D_jS1E_S1E_jjS1G_bEUljE0_EEESZ_S10_S11_S18_S1C_S1E_T6_T7_T9_mT8_S1G_bDpT10_ENKUlT_T0_E_clISt17integral_constantIbLb0EES1T_IbLb1EEEEDaS1P_S1Q_EUlS1P_E_NS1_11comp_targetILNS1_3genE3ELNS1_11target_archE908ELNS1_3gpuE7ELNS1_3repE0EEENS1_30default_config_static_selectorELNS0_4arch9wavefront6targetE1EEEvS12_
	.p2align	8
	.type	_ZN7rocprim17ROCPRIM_400000_NS6detail17trampoline_kernelINS0_13select_configILj256ELj13ELNS0_17block_load_methodE3ELS4_3ELS4_3ELNS0_20block_scan_algorithmE0ELj4294967295EEENS1_25partition_config_selectorILNS1_17partition_subalgoE4EjNS0_10empty_typeEbEEZZNS1_14partition_implILS8_4ELb0ES6_15HIP_vector_typeIjLj2EENS0_17counting_iteratorIjlEEPS9_SG_NS0_5tupleIJPjSI_NS0_16reverse_iteratorISI_EEEEENSH_IJSG_SG_SG_EEES9_SI_JZNS1_25segmented_radix_sort_implINS0_14default_configELb0EPKhPhPKlPlN2at6native12_GLOBAL__N_18offset_tEEE10hipError_tPvRmT1_PNSt15iterator_traitsIS12_E10value_typeET2_T3_PNS13_IS18_E10value_typeET4_jRbjT5_S1E_jjP12ihipStream_tbEUljE_ZNSN_ISO_Lb0ESQ_SR_ST_SU_SY_EESZ_S10_S11_S12_S16_S17_S18_S1B_S1C_jS1D_jS1E_S1E_jjS1G_bEUljE0_EEESZ_S10_S11_S18_S1C_S1E_T6_T7_T9_mT8_S1G_bDpT10_ENKUlT_T0_E_clISt17integral_constantIbLb0EES1T_IbLb1EEEEDaS1P_S1Q_EUlS1P_E_NS1_11comp_targetILNS1_3genE3ELNS1_11target_archE908ELNS1_3gpuE7ELNS1_3repE0EEENS1_30default_config_static_selectorELNS0_4arch9wavefront6targetE1EEEvS12_,@function
_ZN7rocprim17ROCPRIM_400000_NS6detail17trampoline_kernelINS0_13select_configILj256ELj13ELNS0_17block_load_methodE3ELS4_3ELS4_3ELNS0_20block_scan_algorithmE0ELj4294967295EEENS1_25partition_config_selectorILNS1_17partition_subalgoE4EjNS0_10empty_typeEbEEZZNS1_14partition_implILS8_4ELb0ES6_15HIP_vector_typeIjLj2EENS0_17counting_iteratorIjlEEPS9_SG_NS0_5tupleIJPjSI_NS0_16reverse_iteratorISI_EEEEENSH_IJSG_SG_SG_EEES9_SI_JZNS1_25segmented_radix_sort_implINS0_14default_configELb0EPKhPhPKlPlN2at6native12_GLOBAL__N_18offset_tEEE10hipError_tPvRmT1_PNSt15iterator_traitsIS12_E10value_typeET2_T3_PNS13_IS18_E10value_typeET4_jRbjT5_S1E_jjP12ihipStream_tbEUljE_ZNSN_ISO_Lb0ESQ_SR_ST_SU_SY_EESZ_S10_S11_S12_S16_S17_S18_S1B_S1C_jS1D_jS1E_S1E_jjS1G_bEUljE0_EEESZ_S10_S11_S18_S1C_S1E_T6_T7_T9_mT8_S1G_bDpT10_ENKUlT_T0_E_clISt17integral_constantIbLb0EES1T_IbLb1EEEEDaS1P_S1Q_EUlS1P_E_NS1_11comp_targetILNS1_3genE3ELNS1_11target_archE908ELNS1_3gpuE7ELNS1_3repE0EEENS1_30default_config_static_selectorELNS0_4arch9wavefront6targetE1EEEvS12_: ; @_ZN7rocprim17ROCPRIM_400000_NS6detail17trampoline_kernelINS0_13select_configILj256ELj13ELNS0_17block_load_methodE3ELS4_3ELS4_3ELNS0_20block_scan_algorithmE0ELj4294967295EEENS1_25partition_config_selectorILNS1_17partition_subalgoE4EjNS0_10empty_typeEbEEZZNS1_14partition_implILS8_4ELb0ES6_15HIP_vector_typeIjLj2EENS0_17counting_iteratorIjlEEPS9_SG_NS0_5tupleIJPjSI_NS0_16reverse_iteratorISI_EEEEENSH_IJSG_SG_SG_EEES9_SI_JZNS1_25segmented_radix_sort_implINS0_14default_configELb0EPKhPhPKlPlN2at6native12_GLOBAL__N_18offset_tEEE10hipError_tPvRmT1_PNSt15iterator_traitsIS12_E10value_typeET2_T3_PNS13_IS18_E10value_typeET4_jRbjT5_S1E_jjP12ihipStream_tbEUljE_ZNSN_ISO_Lb0ESQ_SR_ST_SU_SY_EESZ_S10_S11_S12_S16_S17_S18_S1B_S1C_jS1D_jS1E_S1E_jjS1G_bEUljE0_EEESZ_S10_S11_S18_S1C_S1E_T6_T7_T9_mT8_S1G_bDpT10_ENKUlT_T0_E_clISt17integral_constantIbLb0EES1T_IbLb1EEEEDaS1P_S1Q_EUlS1P_E_NS1_11comp_targetILNS1_3genE3ELNS1_11target_archE908ELNS1_3gpuE7ELNS1_3repE0EEENS1_30default_config_static_selectorELNS0_4arch9wavefront6targetE1EEEvS12_
; %bb.0:
	.section	.rodata,"a",@progbits
	.p2align	6, 0x0
	.amdhsa_kernel _ZN7rocprim17ROCPRIM_400000_NS6detail17trampoline_kernelINS0_13select_configILj256ELj13ELNS0_17block_load_methodE3ELS4_3ELS4_3ELNS0_20block_scan_algorithmE0ELj4294967295EEENS1_25partition_config_selectorILNS1_17partition_subalgoE4EjNS0_10empty_typeEbEEZZNS1_14partition_implILS8_4ELb0ES6_15HIP_vector_typeIjLj2EENS0_17counting_iteratorIjlEEPS9_SG_NS0_5tupleIJPjSI_NS0_16reverse_iteratorISI_EEEEENSH_IJSG_SG_SG_EEES9_SI_JZNS1_25segmented_radix_sort_implINS0_14default_configELb0EPKhPhPKlPlN2at6native12_GLOBAL__N_18offset_tEEE10hipError_tPvRmT1_PNSt15iterator_traitsIS12_E10value_typeET2_T3_PNS13_IS18_E10value_typeET4_jRbjT5_S1E_jjP12ihipStream_tbEUljE_ZNSN_ISO_Lb0ESQ_SR_ST_SU_SY_EESZ_S10_S11_S12_S16_S17_S18_S1B_S1C_jS1D_jS1E_S1E_jjS1G_bEUljE0_EEESZ_S10_S11_S18_S1C_S1E_T6_T7_T9_mT8_S1G_bDpT10_ENKUlT_T0_E_clISt17integral_constantIbLb0EES1T_IbLb1EEEEDaS1P_S1Q_EUlS1P_E_NS1_11comp_targetILNS1_3genE3ELNS1_11target_archE908ELNS1_3gpuE7ELNS1_3repE0EEENS1_30default_config_static_selectorELNS0_4arch9wavefront6targetE1EEEvS12_
		.amdhsa_group_segment_fixed_size 0
		.amdhsa_private_segment_fixed_size 0
		.amdhsa_kernarg_size 184
		.amdhsa_user_sgpr_count 6
		.amdhsa_user_sgpr_private_segment_buffer 1
		.amdhsa_user_sgpr_dispatch_ptr 0
		.amdhsa_user_sgpr_queue_ptr 0
		.amdhsa_user_sgpr_kernarg_segment_ptr 1
		.amdhsa_user_sgpr_dispatch_id 0
		.amdhsa_user_sgpr_flat_scratch_init 0
		.amdhsa_user_sgpr_kernarg_preload_length 0
		.amdhsa_user_sgpr_kernarg_preload_offset 0
		.amdhsa_user_sgpr_private_segment_size 0
		.amdhsa_uses_dynamic_stack 0
		.amdhsa_system_sgpr_private_segment_wavefront_offset 0
		.amdhsa_system_sgpr_workgroup_id_x 1
		.amdhsa_system_sgpr_workgroup_id_y 0
		.amdhsa_system_sgpr_workgroup_id_z 0
		.amdhsa_system_sgpr_workgroup_info 0
		.amdhsa_system_vgpr_workitem_id 0
		.amdhsa_next_free_vgpr 1
		.amdhsa_next_free_sgpr 0
		.amdhsa_accum_offset 4
		.amdhsa_reserve_vcc 0
		.amdhsa_reserve_flat_scratch 0
		.amdhsa_float_round_mode_32 0
		.amdhsa_float_round_mode_16_64 0
		.amdhsa_float_denorm_mode_32 3
		.amdhsa_float_denorm_mode_16_64 3
		.amdhsa_dx10_clamp 1
		.amdhsa_ieee_mode 1
		.amdhsa_fp16_overflow 0
		.amdhsa_tg_split 0
		.amdhsa_exception_fp_ieee_invalid_op 0
		.amdhsa_exception_fp_denorm_src 0
		.amdhsa_exception_fp_ieee_div_zero 0
		.amdhsa_exception_fp_ieee_overflow 0
		.amdhsa_exception_fp_ieee_underflow 0
		.amdhsa_exception_fp_ieee_inexact 0
		.amdhsa_exception_int_div_zero 0
	.end_amdhsa_kernel
	.section	.text._ZN7rocprim17ROCPRIM_400000_NS6detail17trampoline_kernelINS0_13select_configILj256ELj13ELNS0_17block_load_methodE3ELS4_3ELS4_3ELNS0_20block_scan_algorithmE0ELj4294967295EEENS1_25partition_config_selectorILNS1_17partition_subalgoE4EjNS0_10empty_typeEbEEZZNS1_14partition_implILS8_4ELb0ES6_15HIP_vector_typeIjLj2EENS0_17counting_iteratorIjlEEPS9_SG_NS0_5tupleIJPjSI_NS0_16reverse_iteratorISI_EEEEENSH_IJSG_SG_SG_EEES9_SI_JZNS1_25segmented_radix_sort_implINS0_14default_configELb0EPKhPhPKlPlN2at6native12_GLOBAL__N_18offset_tEEE10hipError_tPvRmT1_PNSt15iterator_traitsIS12_E10value_typeET2_T3_PNS13_IS18_E10value_typeET4_jRbjT5_S1E_jjP12ihipStream_tbEUljE_ZNSN_ISO_Lb0ESQ_SR_ST_SU_SY_EESZ_S10_S11_S12_S16_S17_S18_S1B_S1C_jS1D_jS1E_S1E_jjS1G_bEUljE0_EEESZ_S10_S11_S18_S1C_S1E_T6_T7_T9_mT8_S1G_bDpT10_ENKUlT_T0_E_clISt17integral_constantIbLb0EES1T_IbLb1EEEEDaS1P_S1Q_EUlS1P_E_NS1_11comp_targetILNS1_3genE3ELNS1_11target_archE908ELNS1_3gpuE7ELNS1_3repE0EEENS1_30default_config_static_selectorELNS0_4arch9wavefront6targetE1EEEvS12_,"axG",@progbits,_ZN7rocprim17ROCPRIM_400000_NS6detail17trampoline_kernelINS0_13select_configILj256ELj13ELNS0_17block_load_methodE3ELS4_3ELS4_3ELNS0_20block_scan_algorithmE0ELj4294967295EEENS1_25partition_config_selectorILNS1_17partition_subalgoE4EjNS0_10empty_typeEbEEZZNS1_14partition_implILS8_4ELb0ES6_15HIP_vector_typeIjLj2EENS0_17counting_iteratorIjlEEPS9_SG_NS0_5tupleIJPjSI_NS0_16reverse_iteratorISI_EEEEENSH_IJSG_SG_SG_EEES9_SI_JZNS1_25segmented_radix_sort_implINS0_14default_configELb0EPKhPhPKlPlN2at6native12_GLOBAL__N_18offset_tEEE10hipError_tPvRmT1_PNSt15iterator_traitsIS12_E10value_typeET2_T3_PNS13_IS18_E10value_typeET4_jRbjT5_S1E_jjP12ihipStream_tbEUljE_ZNSN_ISO_Lb0ESQ_SR_ST_SU_SY_EESZ_S10_S11_S12_S16_S17_S18_S1B_S1C_jS1D_jS1E_S1E_jjS1G_bEUljE0_EEESZ_S10_S11_S18_S1C_S1E_T6_T7_T9_mT8_S1G_bDpT10_ENKUlT_T0_E_clISt17integral_constantIbLb0EES1T_IbLb1EEEEDaS1P_S1Q_EUlS1P_E_NS1_11comp_targetILNS1_3genE3ELNS1_11target_archE908ELNS1_3gpuE7ELNS1_3repE0EEENS1_30default_config_static_selectorELNS0_4arch9wavefront6targetE1EEEvS12_,comdat
.Lfunc_end149:
	.size	_ZN7rocprim17ROCPRIM_400000_NS6detail17trampoline_kernelINS0_13select_configILj256ELj13ELNS0_17block_load_methodE3ELS4_3ELS4_3ELNS0_20block_scan_algorithmE0ELj4294967295EEENS1_25partition_config_selectorILNS1_17partition_subalgoE4EjNS0_10empty_typeEbEEZZNS1_14partition_implILS8_4ELb0ES6_15HIP_vector_typeIjLj2EENS0_17counting_iteratorIjlEEPS9_SG_NS0_5tupleIJPjSI_NS0_16reverse_iteratorISI_EEEEENSH_IJSG_SG_SG_EEES9_SI_JZNS1_25segmented_radix_sort_implINS0_14default_configELb0EPKhPhPKlPlN2at6native12_GLOBAL__N_18offset_tEEE10hipError_tPvRmT1_PNSt15iterator_traitsIS12_E10value_typeET2_T3_PNS13_IS18_E10value_typeET4_jRbjT5_S1E_jjP12ihipStream_tbEUljE_ZNSN_ISO_Lb0ESQ_SR_ST_SU_SY_EESZ_S10_S11_S12_S16_S17_S18_S1B_S1C_jS1D_jS1E_S1E_jjS1G_bEUljE0_EEESZ_S10_S11_S18_S1C_S1E_T6_T7_T9_mT8_S1G_bDpT10_ENKUlT_T0_E_clISt17integral_constantIbLb0EES1T_IbLb1EEEEDaS1P_S1Q_EUlS1P_E_NS1_11comp_targetILNS1_3genE3ELNS1_11target_archE908ELNS1_3gpuE7ELNS1_3repE0EEENS1_30default_config_static_selectorELNS0_4arch9wavefront6targetE1EEEvS12_, .Lfunc_end149-_ZN7rocprim17ROCPRIM_400000_NS6detail17trampoline_kernelINS0_13select_configILj256ELj13ELNS0_17block_load_methodE3ELS4_3ELS4_3ELNS0_20block_scan_algorithmE0ELj4294967295EEENS1_25partition_config_selectorILNS1_17partition_subalgoE4EjNS0_10empty_typeEbEEZZNS1_14partition_implILS8_4ELb0ES6_15HIP_vector_typeIjLj2EENS0_17counting_iteratorIjlEEPS9_SG_NS0_5tupleIJPjSI_NS0_16reverse_iteratorISI_EEEEENSH_IJSG_SG_SG_EEES9_SI_JZNS1_25segmented_radix_sort_implINS0_14default_configELb0EPKhPhPKlPlN2at6native12_GLOBAL__N_18offset_tEEE10hipError_tPvRmT1_PNSt15iterator_traitsIS12_E10value_typeET2_T3_PNS13_IS18_E10value_typeET4_jRbjT5_S1E_jjP12ihipStream_tbEUljE_ZNSN_ISO_Lb0ESQ_SR_ST_SU_SY_EESZ_S10_S11_S12_S16_S17_S18_S1B_S1C_jS1D_jS1E_S1E_jjS1G_bEUljE0_EEESZ_S10_S11_S18_S1C_S1E_T6_T7_T9_mT8_S1G_bDpT10_ENKUlT_T0_E_clISt17integral_constantIbLb0EES1T_IbLb1EEEEDaS1P_S1Q_EUlS1P_E_NS1_11comp_targetILNS1_3genE3ELNS1_11target_archE908ELNS1_3gpuE7ELNS1_3repE0EEENS1_30default_config_static_selectorELNS0_4arch9wavefront6targetE1EEEvS12_
                                        ; -- End function
	.section	.AMDGPU.csdata,"",@progbits
; Kernel info:
; codeLenInByte = 0
; NumSgprs: 4
; NumVgprs: 0
; NumAgprs: 0
; TotalNumVgprs: 0
; ScratchSize: 0
; MemoryBound: 0
; FloatMode: 240
; IeeeMode: 1
; LDSByteSize: 0 bytes/workgroup (compile time only)
; SGPRBlocks: 0
; VGPRBlocks: 0
; NumSGPRsForWavesPerEU: 4
; NumVGPRsForWavesPerEU: 1
; AccumOffset: 4
; Occupancy: 8
; WaveLimiterHint : 0
; COMPUTE_PGM_RSRC2:SCRATCH_EN: 0
; COMPUTE_PGM_RSRC2:USER_SGPR: 6
; COMPUTE_PGM_RSRC2:TRAP_HANDLER: 0
; COMPUTE_PGM_RSRC2:TGID_X_EN: 1
; COMPUTE_PGM_RSRC2:TGID_Y_EN: 0
; COMPUTE_PGM_RSRC2:TGID_Z_EN: 0
; COMPUTE_PGM_RSRC2:TIDIG_COMP_CNT: 0
; COMPUTE_PGM_RSRC3_GFX90A:ACCUM_OFFSET: 0
; COMPUTE_PGM_RSRC3_GFX90A:TG_SPLIT: 0
	.section	.text._ZN7rocprim17ROCPRIM_400000_NS6detail17trampoline_kernelINS0_13select_configILj256ELj13ELNS0_17block_load_methodE3ELS4_3ELS4_3ELNS0_20block_scan_algorithmE0ELj4294967295EEENS1_25partition_config_selectorILNS1_17partition_subalgoE4EjNS0_10empty_typeEbEEZZNS1_14partition_implILS8_4ELb0ES6_15HIP_vector_typeIjLj2EENS0_17counting_iteratorIjlEEPS9_SG_NS0_5tupleIJPjSI_NS0_16reverse_iteratorISI_EEEEENSH_IJSG_SG_SG_EEES9_SI_JZNS1_25segmented_radix_sort_implINS0_14default_configELb0EPKhPhPKlPlN2at6native12_GLOBAL__N_18offset_tEEE10hipError_tPvRmT1_PNSt15iterator_traitsIS12_E10value_typeET2_T3_PNS13_IS18_E10value_typeET4_jRbjT5_S1E_jjP12ihipStream_tbEUljE_ZNSN_ISO_Lb0ESQ_SR_ST_SU_SY_EESZ_S10_S11_S12_S16_S17_S18_S1B_S1C_jS1D_jS1E_S1E_jjS1G_bEUljE0_EEESZ_S10_S11_S18_S1C_S1E_T6_T7_T9_mT8_S1G_bDpT10_ENKUlT_T0_E_clISt17integral_constantIbLb0EES1T_IbLb1EEEEDaS1P_S1Q_EUlS1P_E_NS1_11comp_targetILNS1_3genE2ELNS1_11target_archE906ELNS1_3gpuE6ELNS1_3repE0EEENS1_30default_config_static_selectorELNS0_4arch9wavefront6targetE1EEEvS12_,"axG",@progbits,_ZN7rocprim17ROCPRIM_400000_NS6detail17trampoline_kernelINS0_13select_configILj256ELj13ELNS0_17block_load_methodE3ELS4_3ELS4_3ELNS0_20block_scan_algorithmE0ELj4294967295EEENS1_25partition_config_selectorILNS1_17partition_subalgoE4EjNS0_10empty_typeEbEEZZNS1_14partition_implILS8_4ELb0ES6_15HIP_vector_typeIjLj2EENS0_17counting_iteratorIjlEEPS9_SG_NS0_5tupleIJPjSI_NS0_16reverse_iteratorISI_EEEEENSH_IJSG_SG_SG_EEES9_SI_JZNS1_25segmented_radix_sort_implINS0_14default_configELb0EPKhPhPKlPlN2at6native12_GLOBAL__N_18offset_tEEE10hipError_tPvRmT1_PNSt15iterator_traitsIS12_E10value_typeET2_T3_PNS13_IS18_E10value_typeET4_jRbjT5_S1E_jjP12ihipStream_tbEUljE_ZNSN_ISO_Lb0ESQ_SR_ST_SU_SY_EESZ_S10_S11_S12_S16_S17_S18_S1B_S1C_jS1D_jS1E_S1E_jjS1G_bEUljE0_EEESZ_S10_S11_S18_S1C_S1E_T6_T7_T9_mT8_S1G_bDpT10_ENKUlT_T0_E_clISt17integral_constantIbLb0EES1T_IbLb1EEEEDaS1P_S1Q_EUlS1P_E_NS1_11comp_targetILNS1_3genE2ELNS1_11target_archE906ELNS1_3gpuE6ELNS1_3repE0EEENS1_30default_config_static_selectorELNS0_4arch9wavefront6targetE1EEEvS12_,comdat
	.globl	_ZN7rocprim17ROCPRIM_400000_NS6detail17trampoline_kernelINS0_13select_configILj256ELj13ELNS0_17block_load_methodE3ELS4_3ELS4_3ELNS0_20block_scan_algorithmE0ELj4294967295EEENS1_25partition_config_selectorILNS1_17partition_subalgoE4EjNS0_10empty_typeEbEEZZNS1_14partition_implILS8_4ELb0ES6_15HIP_vector_typeIjLj2EENS0_17counting_iteratorIjlEEPS9_SG_NS0_5tupleIJPjSI_NS0_16reverse_iteratorISI_EEEEENSH_IJSG_SG_SG_EEES9_SI_JZNS1_25segmented_radix_sort_implINS0_14default_configELb0EPKhPhPKlPlN2at6native12_GLOBAL__N_18offset_tEEE10hipError_tPvRmT1_PNSt15iterator_traitsIS12_E10value_typeET2_T3_PNS13_IS18_E10value_typeET4_jRbjT5_S1E_jjP12ihipStream_tbEUljE_ZNSN_ISO_Lb0ESQ_SR_ST_SU_SY_EESZ_S10_S11_S12_S16_S17_S18_S1B_S1C_jS1D_jS1E_S1E_jjS1G_bEUljE0_EEESZ_S10_S11_S18_S1C_S1E_T6_T7_T9_mT8_S1G_bDpT10_ENKUlT_T0_E_clISt17integral_constantIbLb0EES1T_IbLb1EEEEDaS1P_S1Q_EUlS1P_E_NS1_11comp_targetILNS1_3genE2ELNS1_11target_archE906ELNS1_3gpuE6ELNS1_3repE0EEENS1_30default_config_static_selectorELNS0_4arch9wavefront6targetE1EEEvS12_ ; -- Begin function _ZN7rocprim17ROCPRIM_400000_NS6detail17trampoline_kernelINS0_13select_configILj256ELj13ELNS0_17block_load_methodE3ELS4_3ELS4_3ELNS0_20block_scan_algorithmE0ELj4294967295EEENS1_25partition_config_selectorILNS1_17partition_subalgoE4EjNS0_10empty_typeEbEEZZNS1_14partition_implILS8_4ELb0ES6_15HIP_vector_typeIjLj2EENS0_17counting_iteratorIjlEEPS9_SG_NS0_5tupleIJPjSI_NS0_16reverse_iteratorISI_EEEEENSH_IJSG_SG_SG_EEES9_SI_JZNS1_25segmented_radix_sort_implINS0_14default_configELb0EPKhPhPKlPlN2at6native12_GLOBAL__N_18offset_tEEE10hipError_tPvRmT1_PNSt15iterator_traitsIS12_E10value_typeET2_T3_PNS13_IS18_E10value_typeET4_jRbjT5_S1E_jjP12ihipStream_tbEUljE_ZNSN_ISO_Lb0ESQ_SR_ST_SU_SY_EESZ_S10_S11_S12_S16_S17_S18_S1B_S1C_jS1D_jS1E_S1E_jjS1G_bEUljE0_EEESZ_S10_S11_S18_S1C_S1E_T6_T7_T9_mT8_S1G_bDpT10_ENKUlT_T0_E_clISt17integral_constantIbLb0EES1T_IbLb1EEEEDaS1P_S1Q_EUlS1P_E_NS1_11comp_targetILNS1_3genE2ELNS1_11target_archE906ELNS1_3gpuE6ELNS1_3repE0EEENS1_30default_config_static_selectorELNS0_4arch9wavefront6targetE1EEEvS12_
	.p2align	8
	.type	_ZN7rocprim17ROCPRIM_400000_NS6detail17trampoline_kernelINS0_13select_configILj256ELj13ELNS0_17block_load_methodE3ELS4_3ELS4_3ELNS0_20block_scan_algorithmE0ELj4294967295EEENS1_25partition_config_selectorILNS1_17partition_subalgoE4EjNS0_10empty_typeEbEEZZNS1_14partition_implILS8_4ELb0ES6_15HIP_vector_typeIjLj2EENS0_17counting_iteratorIjlEEPS9_SG_NS0_5tupleIJPjSI_NS0_16reverse_iteratorISI_EEEEENSH_IJSG_SG_SG_EEES9_SI_JZNS1_25segmented_radix_sort_implINS0_14default_configELb0EPKhPhPKlPlN2at6native12_GLOBAL__N_18offset_tEEE10hipError_tPvRmT1_PNSt15iterator_traitsIS12_E10value_typeET2_T3_PNS13_IS18_E10value_typeET4_jRbjT5_S1E_jjP12ihipStream_tbEUljE_ZNSN_ISO_Lb0ESQ_SR_ST_SU_SY_EESZ_S10_S11_S12_S16_S17_S18_S1B_S1C_jS1D_jS1E_S1E_jjS1G_bEUljE0_EEESZ_S10_S11_S18_S1C_S1E_T6_T7_T9_mT8_S1G_bDpT10_ENKUlT_T0_E_clISt17integral_constantIbLb0EES1T_IbLb1EEEEDaS1P_S1Q_EUlS1P_E_NS1_11comp_targetILNS1_3genE2ELNS1_11target_archE906ELNS1_3gpuE6ELNS1_3repE0EEENS1_30default_config_static_selectorELNS0_4arch9wavefront6targetE1EEEvS12_,@function
_ZN7rocprim17ROCPRIM_400000_NS6detail17trampoline_kernelINS0_13select_configILj256ELj13ELNS0_17block_load_methodE3ELS4_3ELS4_3ELNS0_20block_scan_algorithmE0ELj4294967295EEENS1_25partition_config_selectorILNS1_17partition_subalgoE4EjNS0_10empty_typeEbEEZZNS1_14partition_implILS8_4ELb0ES6_15HIP_vector_typeIjLj2EENS0_17counting_iteratorIjlEEPS9_SG_NS0_5tupleIJPjSI_NS0_16reverse_iteratorISI_EEEEENSH_IJSG_SG_SG_EEES9_SI_JZNS1_25segmented_radix_sort_implINS0_14default_configELb0EPKhPhPKlPlN2at6native12_GLOBAL__N_18offset_tEEE10hipError_tPvRmT1_PNSt15iterator_traitsIS12_E10value_typeET2_T3_PNS13_IS18_E10value_typeET4_jRbjT5_S1E_jjP12ihipStream_tbEUljE_ZNSN_ISO_Lb0ESQ_SR_ST_SU_SY_EESZ_S10_S11_S12_S16_S17_S18_S1B_S1C_jS1D_jS1E_S1E_jjS1G_bEUljE0_EEESZ_S10_S11_S18_S1C_S1E_T6_T7_T9_mT8_S1G_bDpT10_ENKUlT_T0_E_clISt17integral_constantIbLb0EES1T_IbLb1EEEEDaS1P_S1Q_EUlS1P_E_NS1_11comp_targetILNS1_3genE2ELNS1_11target_archE906ELNS1_3gpuE6ELNS1_3repE0EEENS1_30default_config_static_selectorELNS0_4arch9wavefront6targetE1EEEvS12_: ; @_ZN7rocprim17ROCPRIM_400000_NS6detail17trampoline_kernelINS0_13select_configILj256ELj13ELNS0_17block_load_methodE3ELS4_3ELS4_3ELNS0_20block_scan_algorithmE0ELj4294967295EEENS1_25partition_config_selectorILNS1_17partition_subalgoE4EjNS0_10empty_typeEbEEZZNS1_14partition_implILS8_4ELb0ES6_15HIP_vector_typeIjLj2EENS0_17counting_iteratorIjlEEPS9_SG_NS0_5tupleIJPjSI_NS0_16reverse_iteratorISI_EEEEENSH_IJSG_SG_SG_EEES9_SI_JZNS1_25segmented_radix_sort_implINS0_14default_configELb0EPKhPhPKlPlN2at6native12_GLOBAL__N_18offset_tEEE10hipError_tPvRmT1_PNSt15iterator_traitsIS12_E10value_typeET2_T3_PNS13_IS18_E10value_typeET4_jRbjT5_S1E_jjP12ihipStream_tbEUljE_ZNSN_ISO_Lb0ESQ_SR_ST_SU_SY_EESZ_S10_S11_S12_S16_S17_S18_S1B_S1C_jS1D_jS1E_S1E_jjS1G_bEUljE0_EEESZ_S10_S11_S18_S1C_S1E_T6_T7_T9_mT8_S1G_bDpT10_ENKUlT_T0_E_clISt17integral_constantIbLb0EES1T_IbLb1EEEEDaS1P_S1Q_EUlS1P_E_NS1_11comp_targetILNS1_3genE2ELNS1_11target_archE906ELNS1_3gpuE6ELNS1_3repE0EEENS1_30default_config_static_selectorELNS0_4arch9wavefront6targetE1EEEvS12_
; %bb.0:
	.section	.rodata,"a",@progbits
	.p2align	6, 0x0
	.amdhsa_kernel _ZN7rocprim17ROCPRIM_400000_NS6detail17trampoline_kernelINS0_13select_configILj256ELj13ELNS0_17block_load_methodE3ELS4_3ELS4_3ELNS0_20block_scan_algorithmE0ELj4294967295EEENS1_25partition_config_selectorILNS1_17partition_subalgoE4EjNS0_10empty_typeEbEEZZNS1_14partition_implILS8_4ELb0ES6_15HIP_vector_typeIjLj2EENS0_17counting_iteratorIjlEEPS9_SG_NS0_5tupleIJPjSI_NS0_16reverse_iteratorISI_EEEEENSH_IJSG_SG_SG_EEES9_SI_JZNS1_25segmented_radix_sort_implINS0_14default_configELb0EPKhPhPKlPlN2at6native12_GLOBAL__N_18offset_tEEE10hipError_tPvRmT1_PNSt15iterator_traitsIS12_E10value_typeET2_T3_PNS13_IS18_E10value_typeET4_jRbjT5_S1E_jjP12ihipStream_tbEUljE_ZNSN_ISO_Lb0ESQ_SR_ST_SU_SY_EESZ_S10_S11_S12_S16_S17_S18_S1B_S1C_jS1D_jS1E_S1E_jjS1G_bEUljE0_EEESZ_S10_S11_S18_S1C_S1E_T6_T7_T9_mT8_S1G_bDpT10_ENKUlT_T0_E_clISt17integral_constantIbLb0EES1T_IbLb1EEEEDaS1P_S1Q_EUlS1P_E_NS1_11comp_targetILNS1_3genE2ELNS1_11target_archE906ELNS1_3gpuE6ELNS1_3repE0EEENS1_30default_config_static_selectorELNS0_4arch9wavefront6targetE1EEEvS12_
		.amdhsa_group_segment_fixed_size 0
		.amdhsa_private_segment_fixed_size 0
		.amdhsa_kernarg_size 184
		.amdhsa_user_sgpr_count 6
		.amdhsa_user_sgpr_private_segment_buffer 1
		.amdhsa_user_sgpr_dispatch_ptr 0
		.amdhsa_user_sgpr_queue_ptr 0
		.amdhsa_user_sgpr_kernarg_segment_ptr 1
		.amdhsa_user_sgpr_dispatch_id 0
		.amdhsa_user_sgpr_flat_scratch_init 0
		.amdhsa_user_sgpr_kernarg_preload_length 0
		.amdhsa_user_sgpr_kernarg_preload_offset 0
		.amdhsa_user_sgpr_private_segment_size 0
		.amdhsa_uses_dynamic_stack 0
		.amdhsa_system_sgpr_private_segment_wavefront_offset 0
		.amdhsa_system_sgpr_workgroup_id_x 1
		.amdhsa_system_sgpr_workgroup_id_y 0
		.amdhsa_system_sgpr_workgroup_id_z 0
		.amdhsa_system_sgpr_workgroup_info 0
		.amdhsa_system_vgpr_workitem_id 0
		.amdhsa_next_free_vgpr 1
		.amdhsa_next_free_sgpr 0
		.amdhsa_accum_offset 4
		.amdhsa_reserve_vcc 0
		.amdhsa_reserve_flat_scratch 0
		.amdhsa_float_round_mode_32 0
		.amdhsa_float_round_mode_16_64 0
		.amdhsa_float_denorm_mode_32 3
		.amdhsa_float_denorm_mode_16_64 3
		.amdhsa_dx10_clamp 1
		.amdhsa_ieee_mode 1
		.amdhsa_fp16_overflow 0
		.amdhsa_tg_split 0
		.amdhsa_exception_fp_ieee_invalid_op 0
		.amdhsa_exception_fp_denorm_src 0
		.amdhsa_exception_fp_ieee_div_zero 0
		.amdhsa_exception_fp_ieee_overflow 0
		.amdhsa_exception_fp_ieee_underflow 0
		.amdhsa_exception_fp_ieee_inexact 0
		.amdhsa_exception_int_div_zero 0
	.end_amdhsa_kernel
	.section	.text._ZN7rocprim17ROCPRIM_400000_NS6detail17trampoline_kernelINS0_13select_configILj256ELj13ELNS0_17block_load_methodE3ELS4_3ELS4_3ELNS0_20block_scan_algorithmE0ELj4294967295EEENS1_25partition_config_selectorILNS1_17partition_subalgoE4EjNS0_10empty_typeEbEEZZNS1_14partition_implILS8_4ELb0ES6_15HIP_vector_typeIjLj2EENS0_17counting_iteratorIjlEEPS9_SG_NS0_5tupleIJPjSI_NS0_16reverse_iteratorISI_EEEEENSH_IJSG_SG_SG_EEES9_SI_JZNS1_25segmented_radix_sort_implINS0_14default_configELb0EPKhPhPKlPlN2at6native12_GLOBAL__N_18offset_tEEE10hipError_tPvRmT1_PNSt15iterator_traitsIS12_E10value_typeET2_T3_PNS13_IS18_E10value_typeET4_jRbjT5_S1E_jjP12ihipStream_tbEUljE_ZNSN_ISO_Lb0ESQ_SR_ST_SU_SY_EESZ_S10_S11_S12_S16_S17_S18_S1B_S1C_jS1D_jS1E_S1E_jjS1G_bEUljE0_EEESZ_S10_S11_S18_S1C_S1E_T6_T7_T9_mT8_S1G_bDpT10_ENKUlT_T0_E_clISt17integral_constantIbLb0EES1T_IbLb1EEEEDaS1P_S1Q_EUlS1P_E_NS1_11comp_targetILNS1_3genE2ELNS1_11target_archE906ELNS1_3gpuE6ELNS1_3repE0EEENS1_30default_config_static_selectorELNS0_4arch9wavefront6targetE1EEEvS12_,"axG",@progbits,_ZN7rocprim17ROCPRIM_400000_NS6detail17trampoline_kernelINS0_13select_configILj256ELj13ELNS0_17block_load_methodE3ELS4_3ELS4_3ELNS0_20block_scan_algorithmE0ELj4294967295EEENS1_25partition_config_selectorILNS1_17partition_subalgoE4EjNS0_10empty_typeEbEEZZNS1_14partition_implILS8_4ELb0ES6_15HIP_vector_typeIjLj2EENS0_17counting_iteratorIjlEEPS9_SG_NS0_5tupleIJPjSI_NS0_16reverse_iteratorISI_EEEEENSH_IJSG_SG_SG_EEES9_SI_JZNS1_25segmented_radix_sort_implINS0_14default_configELb0EPKhPhPKlPlN2at6native12_GLOBAL__N_18offset_tEEE10hipError_tPvRmT1_PNSt15iterator_traitsIS12_E10value_typeET2_T3_PNS13_IS18_E10value_typeET4_jRbjT5_S1E_jjP12ihipStream_tbEUljE_ZNSN_ISO_Lb0ESQ_SR_ST_SU_SY_EESZ_S10_S11_S12_S16_S17_S18_S1B_S1C_jS1D_jS1E_S1E_jjS1G_bEUljE0_EEESZ_S10_S11_S18_S1C_S1E_T6_T7_T9_mT8_S1G_bDpT10_ENKUlT_T0_E_clISt17integral_constantIbLb0EES1T_IbLb1EEEEDaS1P_S1Q_EUlS1P_E_NS1_11comp_targetILNS1_3genE2ELNS1_11target_archE906ELNS1_3gpuE6ELNS1_3repE0EEENS1_30default_config_static_selectorELNS0_4arch9wavefront6targetE1EEEvS12_,comdat
.Lfunc_end150:
	.size	_ZN7rocprim17ROCPRIM_400000_NS6detail17trampoline_kernelINS0_13select_configILj256ELj13ELNS0_17block_load_methodE3ELS4_3ELS4_3ELNS0_20block_scan_algorithmE0ELj4294967295EEENS1_25partition_config_selectorILNS1_17partition_subalgoE4EjNS0_10empty_typeEbEEZZNS1_14partition_implILS8_4ELb0ES6_15HIP_vector_typeIjLj2EENS0_17counting_iteratorIjlEEPS9_SG_NS0_5tupleIJPjSI_NS0_16reverse_iteratorISI_EEEEENSH_IJSG_SG_SG_EEES9_SI_JZNS1_25segmented_radix_sort_implINS0_14default_configELb0EPKhPhPKlPlN2at6native12_GLOBAL__N_18offset_tEEE10hipError_tPvRmT1_PNSt15iterator_traitsIS12_E10value_typeET2_T3_PNS13_IS18_E10value_typeET4_jRbjT5_S1E_jjP12ihipStream_tbEUljE_ZNSN_ISO_Lb0ESQ_SR_ST_SU_SY_EESZ_S10_S11_S12_S16_S17_S18_S1B_S1C_jS1D_jS1E_S1E_jjS1G_bEUljE0_EEESZ_S10_S11_S18_S1C_S1E_T6_T7_T9_mT8_S1G_bDpT10_ENKUlT_T0_E_clISt17integral_constantIbLb0EES1T_IbLb1EEEEDaS1P_S1Q_EUlS1P_E_NS1_11comp_targetILNS1_3genE2ELNS1_11target_archE906ELNS1_3gpuE6ELNS1_3repE0EEENS1_30default_config_static_selectorELNS0_4arch9wavefront6targetE1EEEvS12_, .Lfunc_end150-_ZN7rocprim17ROCPRIM_400000_NS6detail17trampoline_kernelINS0_13select_configILj256ELj13ELNS0_17block_load_methodE3ELS4_3ELS4_3ELNS0_20block_scan_algorithmE0ELj4294967295EEENS1_25partition_config_selectorILNS1_17partition_subalgoE4EjNS0_10empty_typeEbEEZZNS1_14partition_implILS8_4ELb0ES6_15HIP_vector_typeIjLj2EENS0_17counting_iteratorIjlEEPS9_SG_NS0_5tupleIJPjSI_NS0_16reverse_iteratorISI_EEEEENSH_IJSG_SG_SG_EEES9_SI_JZNS1_25segmented_radix_sort_implINS0_14default_configELb0EPKhPhPKlPlN2at6native12_GLOBAL__N_18offset_tEEE10hipError_tPvRmT1_PNSt15iterator_traitsIS12_E10value_typeET2_T3_PNS13_IS18_E10value_typeET4_jRbjT5_S1E_jjP12ihipStream_tbEUljE_ZNSN_ISO_Lb0ESQ_SR_ST_SU_SY_EESZ_S10_S11_S12_S16_S17_S18_S1B_S1C_jS1D_jS1E_S1E_jjS1G_bEUljE0_EEESZ_S10_S11_S18_S1C_S1E_T6_T7_T9_mT8_S1G_bDpT10_ENKUlT_T0_E_clISt17integral_constantIbLb0EES1T_IbLb1EEEEDaS1P_S1Q_EUlS1P_E_NS1_11comp_targetILNS1_3genE2ELNS1_11target_archE906ELNS1_3gpuE6ELNS1_3repE0EEENS1_30default_config_static_selectorELNS0_4arch9wavefront6targetE1EEEvS12_
                                        ; -- End function
	.section	.AMDGPU.csdata,"",@progbits
; Kernel info:
; codeLenInByte = 0
; NumSgprs: 4
; NumVgprs: 0
; NumAgprs: 0
; TotalNumVgprs: 0
; ScratchSize: 0
; MemoryBound: 0
; FloatMode: 240
; IeeeMode: 1
; LDSByteSize: 0 bytes/workgroup (compile time only)
; SGPRBlocks: 0
; VGPRBlocks: 0
; NumSGPRsForWavesPerEU: 4
; NumVGPRsForWavesPerEU: 1
; AccumOffset: 4
; Occupancy: 8
; WaveLimiterHint : 0
; COMPUTE_PGM_RSRC2:SCRATCH_EN: 0
; COMPUTE_PGM_RSRC2:USER_SGPR: 6
; COMPUTE_PGM_RSRC2:TRAP_HANDLER: 0
; COMPUTE_PGM_RSRC2:TGID_X_EN: 1
; COMPUTE_PGM_RSRC2:TGID_Y_EN: 0
; COMPUTE_PGM_RSRC2:TGID_Z_EN: 0
; COMPUTE_PGM_RSRC2:TIDIG_COMP_CNT: 0
; COMPUTE_PGM_RSRC3_GFX90A:ACCUM_OFFSET: 0
; COMPUTE_PGM_RSRC3_GFX90A:TG_SPLIT: 0
	.section	.text._ZN7rocprim17ROCPRIM_400000_NS6detail17trampoline_kernelINS0_13select_configILj256ELj13ELNS0_17block_load_methodE3ELS4_3ELS4_3ELNS0_20block_scan_algorithmE0ELj4294967295EEENS1_25partition_config_selectorILNS1_17partition_subalgoE4EjNS0_10empty_typeEbEEZZNS1_14partition_implILS8_4ELb0ES6_15HIP_vector_typeIjLj2EENS0_17counting_iteratorIjlEEPS9_SG_NS0_5tupleIJPjSI_NS0_16reverse_iteratorISI_EEEEENSH_IJSG_SG_SG_EEES9_SI_JZNS1_25segmented_radix_sort_implINS0_14default_configELb0EPKhPhPKlPlN2at6native12_GLOBAL__N_18offset_tEEE10hipError_tPvRmT1_PNSt15iterator_traitsIS12_E10value_typeET2_T3_PNS13_IS18_E10value_typeET4_jRbjT5_S1E_jjP12ihipStream_tbEUljE_ZNSN_ISO_Lb0ESQ_SR_ST_SU_SY_EESZ_S10_S11_S12_S16_S17_S18_S1B_S1C_jS1D_jS1E_S1E_jjS1G_bEUljE0_EEESZ_S10_S11_S18_S1C_S1E_T6_T7_T9_mT8_S1G_bDpT10_ENKUlT_T0_E_clISt17integral_constantIbLb0EES1T_IbLb1EEEEDaS1P_S1Q_EUlS1P_E_NS1_11comp_targetILNS1_3genE10ELNS1_11target_archE1200ELNS1_3gpuE4ELNS1_3repE0EEENS1_30default_config_static_selectorELNS0_4arch9wavefront6targetE1EEEvS12_,"axG",@progbits,_ZN7rocprim17ROCPRIM_400000_NS6detail17trampoline_kernelINS0_13select_configILj256ELj13ELNS0_17block_load_methodE3ELS4_3ELS4_3ELNS0_20block_scan_algorithmE0ELj4294967295EEENS1_25partition_config_selectorILNS1_17partition_subalgoE4EjNS0_10empty_typeEbEEZZNS1_14partition_implILS8_4ELb0ES6_15HIP_vector_typeIjLj2EENS0_17counting_iteratorIjlEEPS9_SG_NS0_5tupleIJPjSI_NS0_16reverse_iteratorISI_EEEEENSH_IJSG_SG_SG_EEES9_SI_JZNS1_25segmented_radix_sort_implINS0_14default_configELb0EPKhPhPKlPlN2at6native12_GLOBAL__N_18offset_tEEE10hipError_tPvRmT1_PNSt15iterator_traitsIS12_E10value_typeET2_T3_PNS13_IS18_E10value_typeET4_jRbjT5_S1E_jjP12ihipStream_tbEUljE_ZNSN_ISO_Lb0ESQ_SR_ST_SU_SY_EESZ_S10_S11_S12_S16_S17_S18_S1B_S1C_jS1D_jS1E_S1E_jjS1G_bEUljE0_EEESZ_S10_S11_S18_S1C_S1E_T6_T7_T9_mT8_S1G_bDpT10_ENKUlT_T0_E_clISt17integral_constantIbLb0EES1T_IbLb1EEEEDaS1P_S1Q_EUlS1P_E_NS1_11comp_targetILNS1_3genE10ELNS1_11target_archE1200ELNS1_3gpuE4ELNS1_3repE0EEENS1_30default_config_static_selectorELNS0_4arch9wavefront6targetE1EEEvS12_,comdat
	.globl	_ZN7rocprim17ROCPRIM_400000_NS6detail17trampoline_kernelINS0_13select_configILj256ELj13ELNS0_17block_load_methodE3ELS4_3ELS4_3ELNS0_20block_scan_algorithmE0ELj4294967295EEENS1_25partition_config_selectorILNS1_17partition_subalgoE4EjNS0_10empty_typeEbEEZZNS1_14partition_implILS8_4ELb0ES6_15HIP_vector_typeIjLj2EENS0_17counting_iteratorIjlEEPS9_SG_NS0_5tupleIJPjSI_NS0_16reverse_iteratorISI_EEEEENSH_IJSG_SG_SG_EEES9_SI_JZNS1_25segmented_radix_sort_implINS0_14default_configELb0EPKhPhPKlPlN2at6native12_GLOBAL__N_18offset_tEEE10hipError_tPvRmT1_PNSt15iterator_traitsIS12_E10value_typeET2_T3_PNS13_IS18_E10value_typeET4_jRbjT5_S1E_jjP12ihipStream_tbEUljE_ZNSN_ISO_Lb0ESQ_SR_ST_SU_SY_EESZ_S10_S11_S12_S16_S17_S18_S1B_S1C_jS1D_jS1E_S1E_jjS1G_bEUljE0_EEESZ_S10_S11_S18_S1C_S1E_T6_T7_T9_mT8_S1G_bDpT10_ENKUlT_T0_E_clISt17integral_constantIbLb0EES1T_IbLb1EEEEDaS1P_S1Q_EUlS1P_E_NS1_11comp_targetILNS1_3genE10ELNS1_11target_archE1200ELNS1_3gpuE4ELNS1_3repE0EEENS1_30default_config_static_selectorELNS0_4arch9wavefront6targetE1EEEvS12_ ; -- Begin function _ZN7rocprim17ROCPRIM_400000_NS6detail17trampoline_kernelINS0_13select_configILj256ELj13ELNS0_17block_load_methodE3ELS4_3ELS4_3ELNS0_20block_scan_algorithmE0ELj4294967295EEENS1_25partition_config_selectorILNS1_17partition_subalgoE4EjNS0_10empty_typeEbEEZZNS1_14partition_implILS8_4ELb0ES6_15HIP_vector_typeIjLj2EENS0_17counting_iteratorIjlEEPS9_SG_NS0_5tupleIJPjSI_NS0_16reverse_iteratorISI_EEEEENSH_IJSG_SG_SG_EEES9_SI_JZNS1_25segmented_radix_sort_implINS0_14default_configELb0EPKhPhPKlPlN2at6native12_GLOBAL__N_18offset_tEEE10hipError_tPvRmT1_PNSt15iterator_traitsIS12_E10value_typeET2_T3_PNS13_IS18_E10value_typeET4_jRbjT5_S1E_jjP12ihipStream_tbEUljE_ZNSN_ISO_Lb0ESQ_SR_ST_SU_SY_EESZ_S10_S11_S12_S16_S17_S18_S1B_S1C_jS1D_jS1E_S1E_jjS1G_bEUljE0_EEESZ_S10_S11_S18_S1C_S1E_T6_T7_T9_mT8_S1G_bDpT10_ENKUlT_T0_E_clISt17integral_constantIbLb0EES1T_IbLb1EEEEDaS1P_S1Q_EUlS1P_E_NS1_11comp_targetILNS1_3genE10ELNS1_11target_archE1200ELNS1_3gpuE4ELNS1_3repE0EEENS1_30default_config_static_selectorELNS0_4arch9wavefront6targetE1EEEvS12_
	.p2align	8
	.type	_ZN7rocprim17ROCPRIM_400000_NS6detail17trampoline_kernelINS0_13select_configILj256ELj13ELNS0_17block_load_methodE3ELS4_3ELS4_3ELNS0_20block_scan_algorithmE0ELj4294967295EEENS1_25partition_config_selectorILNS1_17partition_subalgoE4EjNS0_10empty_typeEbEEZZNS1_14partition_implILS8_4ELb0ES6_15HIP_vector_typeIjLj2EENS0_17counting_iteratorIjlEEPS9_SG_NS0_5tupleIJPjSI_NS0_16reverse_iteratorISI_EEEEENSH_IJSG_SG_SG_EEES9_SI_JZNS1_25segmented_radix_sort_implINS0_14default_configELb0EPKhPhPKlPlN2at6native12_GLOBAL__N_18offset_tEEE10hipError_tPvRmT1_PNSt15iterator_traitsIS12_E10value_typeET2_T3_PNS13_IS18_E10value_typeET4_jRbjT5_S1E_jjP12ihipStream_tbEUljE_ZNSN_ISO_Lb0ESQ_SR_ST_SU_SY_EESZ_S10_S11_S12_S16_S17_S18_S1B_S1C_jS1D_jS1E_S1E_jjS1G_bEUljE0_EEESZ_S10_S11_S18_S1C_S1E_T6_T7_T9_mT8_S1G_bDpT10_ENKUlT_T0_E_clISt17integral_constantIbLb0EES1T_IbLb1EEEEDaS1P_S1Q_EUlS1P_E_NS1_11comp_targetILNS1_3genE10ELNS1_11target_archE1200ELNS1_3gpuE4ELNS1_3repE0EEENS1_30default_config_static_selectorELNS0_4arch9wavefront6targetE1EEEvS12_,@function
_ZN7rocprim17ROCPRIM_400000_NS6detail17trampoline_kernelINS0_13select_configILj256ELj13ELNS0_17block_load_methodE3ELS4_3ELS4_3ELNS0_20block_scan_algorithmE0ELj4294967295EEENS1_25partition_config_selectorILNS1_17partition_subalgoE4EjNS0_10empty_typeEbEEZZNS1_14partition_implILS8_4ELb0ES6_15HIP_vector_typeIjLj2EENS0_17counting_iteratorIjlEEPS9_SG_NS0_5tupleIJPjSI_NS0_16reverse_iteratorISI_EEEEENSH_IJSG_SG_SG_EEES9_SI_JZNS1_25segmented_radix_sort_implINS0_14default_configELb0EPKhPhPKlPlN2at6native12_GLOBAL__N_18offset_tEEE10hipError_tPvRmT1_PNSt15iterator_traitsIS12_E10value_typeET2_T3_PNS13_IS18_E10value_typeET4_jRbjT5_S1E_jjP12ihipStream_tbEUljE_ZNSN_ISO_Lb0ESQ_SR_ST_SU_SY_EESZ_S10_S11_S12_S16_S17_S18_S1B_S1C_jS1D_jS1E_S1E_jjS1G_bEUljE0_EEESZ_S10_S11_S18_S1C_S1E_T6_T7_T9_mT8_S1G_bDpT10_ENKUlT_T0_E_clISt17integral_constantIbLb0EES1T_IbLb1EEEEDaS1P_S1Q_EUlS1P_E_NS1_11comp_targetILNS1_3genE10ELNS1_11target_archE1200ELNS1_3gpuE4ELNS1_3repE0EEENS1_30default_config_static_selectorELNS0_4arch9wavefront6targetE1EEEvS12_: ; @_ZN7rocprim17ROCPRIM_400000_NS6detail17trampoline_kernelINS0_13select_configILj256ELj13ELNS0_17block_load_methodE3ELS4_3ELS4_3ELNS0_20block_scan_algorithmE0ELj4294967295EEENS1_25partition_config_selectorILNS1_17partition_subalgoE4EjNS0_10empty_typeEbEEZZNS1_14partition_implILS8_4ELb0ES6_15HIP_vector_typeIjLj2EENS0_17counting_iteratorIjlEEPS9_SG_NS0_5tupleIJPjSI_NS0_16reverse_iteratorISI_EEEEENSH_IJSG_SG_SG_EEES9_SI_JZNS1_25segmented_radix_sort_implINS0_14default_configELb0EPKhPhPKlPlN2at6native12_GLOBAL__N_18offset_tEEE10hipError_tPvRmT1_PNSt15iterator_traitsIS12_E10value_typeET2_T3_PNS13_IS18_E10value_typeET4_jRbjT5_S1E_jjP12ihipStream_tbEUljE_ZNSN_ISO_Lb0ESQ_SR_ST_SU_SY_EESZ_S10_S11_S12_S16_S17_S18_S1B_S1C_jS1D_jS1E_S1E_jjS1G_bEUljE0_EEESZ_S10_S11_S18_S1C_S1E_T6_T7_T9_mT8_S1G_bDpT10_ENKUlT_T0_E_clISt17integral_constantIbLb0EES1T_IbLb1EEEEDaS1P_S1Q_EUlS1P_E_NS1_11comp_targetILNS1_3genE10ELNS1_11target_archE1200ELNS1_3gpuE4ELNS1_3repE0EEENS1_30default_config_static_selectorELNS0_4arch9wavefront6targetE1EEEvS12_
; %bb.0:
	.section	.rodata,"a",@progbits
	.p2align	6, 0x0
	.amdhsa_kernel _ZN7rocprim17ROCPRIM_400000_NS6detail17trampoline_kernelINS0_13select_configILj256ELj13ELNS0_17block_load_methodE3ELS4_3ELS4_3ELNS0_20block_scan_algorithmE0ELj4294967295EEENS1_25partition_config_selectorILNS1_17partition_subalgoE4EjNS0_10empty_typeEbEEZZNS1_14partition_implILS8_4ELb0ES6_15HIP_vector_typeIjLj2EENS0_17counting_iteratorIjlEEPS9_SG_NS0_5tupleIJPjSI_NS0_16reverse_iteratorISI_EEEEENSH_IJSG_SG_SG_EEES9_SI_JZNS1_25segmented_radix_sort_implINS0_14default_configELb0EPKhPhPKlPlN2at6native12_GLOBAL__N_18offset_tEEE10hipError_tPvRmT1_PNSt15iterator_traitsIS12_E10value_typeET2_T3_PNS13_IS18_E10value_typeET4_jRbjT5_S1E_jjP12ihipStream_tbEUljE_ZNSN_ISO_Lb0ESQ_SR_ST_SU_SY_EESZ_S10_S11_S12_S16_S17_S18_S1B_S1C_jS1D_jS1E_S1E_jjS1G_bEUljE0_EEESZ_S10_S11_S18_S1C_S1E_T6_T7_T9_mT8_S1G_bDpT10_ENKUlT_T0_E_clISt17integral_constantIbLb0EES1T_IbLb1EEEEDaS1P_S1Q_EUlS1P_E_NS1_11comp_targetILNS1_3genE10ELNS1_11target_archE1200ELNS1_3gpuE4ELNS1_3repE0EEENS1_30default_config_static_selectorELNS0_4arch9wavefront6targetE1EEEvS12_
		.amdhsa_group_segment_fixed_size 0
		.amdhsa_private_segment_fixed_size 0
		.amdhsa_kernarg_size 184
		.amdhsa_user_sgpr_count 6
		.amdhsa_user_sgpr_private_segment_buffer 1
		.amdhsa_user_sgpr_dispatch_ptr 0
		.amdhsa_user_sgpr_queue_ptr 0
		.amdhsa_user_sgpr_kernarg_segment_ptr 1
		.amdhsa_user_sgpr_dispatch_id 0
		.amdhsa_user_sgpr_flat_scratch_init 0
		.amdhsa_user_sgpr_kernarg_preload_length 0
		.amdhsa_user_sgpr_kernarg_preload_offset 0
		.amdhsa_user_sgpr_private_segment_size 0
		.amdhsa_uses_dynamic_stack 0
		.amdhsa_system_sgpr_private_segment_wavefront_offset 0
		.amdhsa_system_sgpr_workgroup_id_x 1
		.amdhsa_system_sgpr_workgroup_id_y 0
		.amdhsa_system_sgpr_workgroup_id_z 0
		.amdhsa_system_sgpr_workgroup_info 0
		.amdhsa_system_vgpr_workitem_id 0
		.amdhsa_next_free_vgpr 1
		.amdhsa_next_free_sgpr 0
		.amdhsa_accum_offset 4
		.amdhsa_reserve_vcc 0
		.amdhsa_reserve_flat_scratch 0
		.amdhsa_float_round_mode_32 0
		.amdhsa_float_round_mode_16_64 0
		.amdhsa_float_denorm_mode_32 3
		.amdhsa_float_denorm_mode_16_64 3
		.amdhsa_dx10_clamp 1
		.amdhsa_ieee_mode 1
		.amdhsa_fp16_overflow 0
		.amdhsa_tg_split 0
		.amdhsa_exception_fp_ieee_invalid_op 0
		.amdhsa_exception_fp_denorm_src 0
		.amdhsa_exception_fp_ieee_div_zero 0
		.amdhsa_exception_fp_ieee_overflow 0
		.amdhsa_exception_fp_ieee_underflow 0
		.amdhsa_exception_fp_ieee_inexact 0
		.amdhsa_exception_int_div_zero 0
	.end_amdhsa_kernel
	.section	.text._ZN7rocprim17ROCPRIM_400000_NS6detail17trampoline_kernelINS0_13select_configILj256ELj13ELNS0_17block_load_methodE3ELS4_3ELS4_3ELNS0_20block_scan_algorithmE0ELj4294967295EEENS1_25partition_config_selectorILNS1_17partition_subalgoE4EjNS0_10empty_typeEbEEZZNS1_14partition_implILS8_4ELb0ES6_15HIP_vector_typeIjLj2EENS0_17counting_iteratorIjlEEPS9_SG_NS0_5tupleIJPjSI_NS0_16reverse_iteratorISI_EEEEENSH_IJSG_SG_SG_EEES9_SI_JZNS1_25segmented_radix_sort_implINS0_14default_configELb0EPKhPhPKlPlN2at6native12_GLOBAL__N_18offset_tEEE10hipError_tPvRmT1_PNSt15iterator_traitsIS12_E10value_typeET2_T3_PNS13_IS18_E10value_typeET4_jRbjT5_S1E_jjP12ihipStream_tbEUljE_ZNSN_ISO_Lb0ESQ_SR_ST_SU_SY_EESZ_S10_S11_S12_S16_S17_S18_S1B_S1C_jS1D_jS1E_S1E_jjS1G_bEUljE0_EEESZ_S10_S11_S18_S1C_S1E_T6_T7_T9_mT8_S1G_bDpT10_ENKUlT_T0_E_clISt17integral_constantIbLb0EES1T_IbLb1EEEEDaS1P_S1Q_EUlS1P_E_NS1_11comp_targetILNS1_3genE10ELNS1_11target_archE1200ELNS1_3gpuE4ELNS1_3repE0EEENS1_30default_config_static_selectorELNS0_4arch9wavefront6targetE1EEEvS12_,"axG",@progbits,_ZN7rocprim17ROCPRIM_400000_NS6detail17trampoline_kernelINS0_13select_configILj256ELj13ELNS0_17block_load_methodE3ELS4_3ELS4_3ELNS0_20block_scan_algorithmE0ELj4294967295EEENS1_25partition_config_selectorILNS1_17partition_subalgoE4EjNS0_10empty_typeEbEEZZNS1_14partition_implILS8_4ELb0ES6_15HIP_vector_typeIjLj2EENS0_17counting_iteratorIjlEEPS9_SG_NS0_5tupleIJPjSI_NS0_16reverse_iteratorISI_EEEEENSH_IJSG_SG_SG_EEES9_SI_JZNS1_25segmented_radix_sort_implINS0_14default_configELb0EPKhPhPKlPlN2at6native12_GLOBAL__N_18offset_tEEE10hipError_tPvRmT1_PNSt15iterator_traitsIS12_E10value_typeET2_T3_PNS13_IS18_E10value_typeET4_jRbjT5_S1E_jjP12ihipStream_tbEUljE_ZNSN_ISO_Lb0ESQ_SR_ST_SU_SY_EESZ_S10_S11_S12_S16_S17_S18_S1B_S1C_jS1D_jS1E_S1E_jjS1G_bEUljE0_EEESZ_S10_S11_S18_S1C_S1E_T6_T7_T9_mT8_S1G_bDpT10_ENKUlT_T0_E_clISt17integral_constantIbLb0EES1T_IbLb1EEEEDaS1P_S1Q_EUlS1P_E_NS1_11comp_targetILNS1_3genE10ELNS1_11target_archE1200ELNS1_3gpuE4ELNS1_3repE0EEENS1_30default_config_static_selectorELNS0_4arch9wavefront6targetE1EEEvS12_,comdat
.Lfunc_end151:
	.size	_ZN7rocprim17ROCPRIM_400000_NS6detail17trampoline_kernelINS0_13select_configILj256ELj13ELNS0_17block_load_methodE3ELS4_3ELS4_3ELNS0_20block_scan_algorithmE0ELj4294967295EEENS1_25partition_config_selectorILNS1_17partition_subalgoE4EjNS0_10empty_typeEbEEZZNS1_14partition_implILS8_4ELb0ES6_15HIP_vector_typeIjLj2EENS0_17counting_iteratorIjlEEPS9_SG_NS0_5tupleIJPjSI_NS0_16reverse_iteratorISI_EEEEENSH_IJSG_SG_SG_EEES9_SI_JZNS1_25segmented_radix_sort_implINS0_14default_configELb0EPKhPhPKlPlN2at6native12_GLOBAL__N_18offset_tEEE10hipError_tPvRmT1_PNSt15iterator_traitsIS12_E10value_typeET2_T3_PNS13_IS18_E10value_typeET4_jRbjT5_S1E_jjP12ihipStream_tbEUljE_ZNSN_ISO_Lb0ESQ_SR_ST_SU_SY_EESZ_S10_S11_S12_S16_S17_S18_S1B_S1C_jS1D_jS1E_S1E_jjS1G_bEUljE0_EEESZ_S10_S11_S18_S1C_S1E_T6_T7_T9_mT8_S1G_bDpT10_ENKUlT_T0_E_clISt17integral_constantIbLb0EES1T_IbLb1EEEEDaS1P_S1Q_EUlS1P_E_NS1_11comp_targetILNS1_3genE10ELNS1_11target_archE1200ELNS1_3gpuE4ELNS1_3repE0EEENS1_30default_config_static_selectorELNS0_4arch9wavefront6targetE1EEEvS12_, .Lfunc_end151-_ZN7rocprim17ROCPRIM_400000_NS6detail17trampoline_kernelINS0_13select_configILj256ELj13ELNS0_17block_load_methodE3ELS4_3ELS4_3ELNS0_20block_scan_algorithmE0ELj4294967295EEENS1_25partition_config_selectorILNS1_17partition_subalgoE4EjNS0_10empty_typeEbEEZZNS1_14partition_implILS8_4ELb0ES6_15HIP_vector_typeIjLj2EENS0_17counting_iteratorIjlEEPS9_SG_NS0_5tupleIJPjSI_NS0_16reverse_iteratorISI_EEEEENSH_IJSG_SG_SG_EEES9_SI_JZNS1_25segmented_radix_sort_implINS0_14default_configELb0EPKhPhPKlPlN2at6native12_GLOBAL__N_18offset_tEEE10hipError_tPvRmT1_PNSt15iterator_traitsIS12_E10value_typeET2_T3_PNS13_IS18_E10value_typeET4_jRbjT5_S1E_jjP12ihipStream_tbEUljE_ZNSN_ISO_Lb0ESQ_SR_ST_SU_SY_EESZ_S10_S11_S12_S16_S17_S18_S1B_S1C_jS1D_jS1E_S1E_jjS1G_bEUljE0_EEESZ_S10_S11_S18_S1C_S1E_T6_T7_T9_mT8_S1G_bDpT10_ENKUlT_T0_E_clISt17integral_constantIbLb0EES1T_IbLb1EEEEDaS1P_S1Q_EUlS1P_E_NS1_11comp_targetILNS1_3genE10ELNS1_11target_archE1200ELNS1_3gpuE4ELNS1_3repE0EEENS1_30default_config_static_selectorELNS0_4arch9wavefront6targetE1EEEvS12_
                                        ; -- End function
	.section	.AMDGPU.csdata,"",@progbits
; Kernel info:
; codeLenInByte = 0
; NumSgprs: 4
; NumVgprs: 0
; NumAgprs: 0
; TotalNumVgprs: 0
; ScratchSize: 0
; MemoryBound: 0
; FloatMode: 240
; IeeeMode: 1
; LDSByteSize: 0 bytes/workgroup (compile time only)
; SGPRBlocks: 0
; VGPRBlocks: 0
; NumSGPRsForWavesPerEU: 4
; NumVGPRsForWavesPerEU: 1
; AccumOffset: 4
; Occupancy: 8
; WaveLimiterHint : 0
; COMPUTE_PGM_RSRC2:SCRATCH_EN: 0
; COMPUTE_PGM_RSRC2:USER_SGPR: 6
; COMPUTE_PGM_RSRC2:TRAP_HANDLER: 0
; COMPUTE_PGM_RSRC2:TGID_X_EN: 1
; COMPUTE_PGM_RSRC2:TGID_Y_EN: 0
; COMPUTE_PGM_RSRC2:TGID_Z_EN: 0
; COMPUTE_PGM_RSRC2:TIDIG_COMP_CNT: 0
; COMPUTE_PGM_RSRC3_GFX90A:ACCUM_OFFSET: 0
; COMPUTE_PGM_RSRC3_GFX90A:TG_SPLIT: 0
	.section	.text._ZN7rocprim17ROCPRIM_400000_NS6detail17trampoline_kernelINS0_13select_configILj256ELj13ELNS0_17block_load_methodE3ELS4_3ELS4_3ELNS0_20block_scan_algorithmE0ELj4294967295EEENS1_25partition_config_selectorILNS1_17partition_subalgoE4EjNS0_10empty_typeEbEEZZNS1_14partition_implILS8_4ELb0ES6_15HIP_vector_typeIjLj2EENS0_17counting_iteratorIjlEEPS9_SG_NS0_5tupleIJPjSI_NS0_16reverse_iteratorISI_EEEEENSH_IJSG_SG_SG_EEES9_SI_JZNS1_25segmented_radix_sort_implINS0_14default_configELb0EPKhPhPKlPlN2at6native12_GLOBAL__N_18offset_tEEE10hipError_tPvRmT1_PNSt15iterator_traitsIS12_E10value_typeET2_T3_PNS13_IS18_E10value_typeET4_jRbjT5_S1E_jjP12ihipStream_tbEUljE_ZNSN_ISO_Lb0ESQ_SR_ST_SU_SY_EESZ_S10_S11_S12_S16_S17_S18_S1B_S1C_jS1D_jS1E_S1E_jjS1G_bEUljE0_EEESZ_S10_S11_S18_S1C_S1E_T6_T7_T9_mT8_S1G_bDpT10_ENKUlT_T0_E_clISt17integral_constantIbLb0EES1T_IbLb1EEEEDaS1P_S1Q_EUlS1P_E_NS1_11comp_targetILNS1_3genE9ELNS1_11target_archE1100ELNS1_3gpuE3ELNS1_3repE0EEENS1_30default_config_static_selectorELNS0_4arch9wavefront6targetE1EEEvS12_,"axG",@progbits,_ZN7rocprim17ROCPRIM_400000_NS6detail17trampoline_kernelINS0_13select_configILj256ELj13ELNS0_17block_load_methodE3ELS4_3ELS4_3ELNS0_20block_scan_algorithmE0ELj4294967295EEENS1_25partition_config_selectorILNS1_17partition_subalgoE4EjNS0_10empty_typeEbEEZZNS1_14partition_implILS8_4ELb0ES6_15HIP_vector_typeIjLj2EENS0_17counting_iteratorIjlEEPS9_SG_NS0_5tupleIJPjSI_NS0_16reverse_iteratorISI_EEEEENSH_IJSG_SG_SG_EEES9_SI_JZNS1_25segmented_radix_sort_implINS0_14default_configELb0EPKhPhPKlPlN2at6native12_GLOBAL__N_18offset_tEEE10hipError_tPvRmT1_PNSt15iterator_traitsIS12_E10value_typeET2_T3_PNS13_IS18_E10value_typeET4_jRbjT5_S1E_jjP12ihipStream_tbEUljE_ZNSN_ISO_Lb0ESQ_SR_ST_SU_SY_EESZ_S10_S11_S12_S16_S17_S18_S1B_S1C_jS1D_jS1E_S1E_jjS1G_bEUljE0_EEESZ_S10_S11_S18_S1C_S1E_T6_T7_T9_mT8_S1G_bDpT10_ENKUlT_T0_E_clISt17integral_constantIbLb0EES1T_IbLb1EEEEDaS1P_S1Q_EUlS1P_E_NS1_11comp_targetILNS1_3genE9ELNS1_11target_archE1100ELNS1_3gpuE3ELNS1_3repE0EEENS1_30default_config_static_selectorELNS0_4arch9wavefront6targetE1EEEvS12_,comdat
	.globl	_ZN7rocprim17ROCPRIM_400000_NS6detail17trampoline_kernelINS0_13select_configILj256ELj13ELNS0_17block_load_methodE3ELS4_3ELS4_3ELNS0_20block_scan_algorithmE0ELj4294967295EEENS1_25partition_config_selectorILNS1_17partition_subalgoE4EjNS0_10empty_typeEbEEZZNS1_14partition_implILS8_4ELb0ES6_15HIP_vector_typeIjLj2EENS0_17counting_iteratorIjlEEPS9_SG_NS0_5tupleIJPjSI_NS0_16reverse_iteratorISI_EEEEENSH_IJSG_SG_SG_EEES9_SI_JZNS1_25segmented_radix_sort_implINS0_14default_configELb0EPKhPhPKlPlN2at6native12_GLOBAL__N_18offset_tEEE10hipError_tPvRmT1_PNSt15iterator_traitsIS12_E10value_typeET2_T3_PNS13_IS18_E10value_typeET4_jRbjT5_S1E_jjP12ihipStream_tbEUljE_ZNSN_ISO_Lb0ESQ_SR_ST_SU_SY_EESZ_S10_S11_S12_S16_S17_S18_S1B_S1C_jS1D_jS1E_S1E_jjS1G_bEUljE0_EEESZ_S10_S11_S18_S1C_S1E_T6_T7_T9_mT8_S1G_bDpT10_ENKUlT_T0_E_clISt17integral_constantIbLb0EES1T_IbLb1EEEEDaS1P_S1Q_EUlS1P_E_NS1_11comp_targetILNS1_3genE9ELNS1_11target_archE1100ELNS1_3gpuE3ELNS1_3repE0EEENS1_30default_config_static_selectorELNS0_4arch9wavefront6targetE1EEEvS12_ ; -- Begin function _ZN7rocprim17ROCPRIM_400000_NS6detail17trampoline_kernelINS0_13select_configILj256ELj13ELNS0_17block_load_methodE3ELS4_3ELS4_3ELNS0_20block_scan_algorithmE0ELj4294967295EEENS1_25partition_config_selectorILNS1_17partition_subalgoE4EjNS0_10empty_typeEbEEZZNS1_14partition_implILS8_4ELb0ES6_15HIP_vector_typeIjLj2EENS0_17counting_iteratorIjlEEPS9_SG_NS0_5tupleIJPjSI_NS0_16reverse_iteratorISI_EEEEENSH_IJSG_SG_SG_EEES9_SI_JZNS1_25segmented_radix_sort_implINS0_14default_configELb0EPKhPhPKlPlN2at6native12_GLOBAL__N_18offset_tEEE10hipError_tPvRmT1_PNSt15iterator_traitsIS12_E10value_typeET2_T3_PNS13_IS18_E10value_typeET4_jRbjT5_S1E_jjP12ihipStream_tbEUljE_ZNSN_ISO_Lb0ESQ_SR_ST_SU_SY_EESZ_S10_S11_S12_S16_S17_S18_S1B_S1C_jS1D_jS1E_S1E_jjS1G_bEUljE0_EEESZ_S10_S11_S18_S1C_S1E_T6_T7_T9_mT8_S1G_bDpT10_ENKUlT_T0_E_clISt17integral_constantIbLb0EES1T_IbLb1EEEEDaS1P_S1Q_EUlS1P_E_NS1_11comp_targetILNS1_3genE9ELNS1_11target_archE1100ELNS1_3gpuE3ELNS1_3repE0EEENS1_30default_config_static_selectorELNS0_4arch9wavefront6targetE1EEEvS12_
	.p2align	8
	.type	_ZN7rocprim17ROCPRIM_400000_NS6detail17trampoline_kernelINS0_13select_configILj256ELj13ELNS0_17block_load_methodE3ELS4_3ELS4_3ELNS0_20block_scan_algorithmE0ELj4294967295EEENS1_25partition_config_selectorILNS1_17partition_subalgoE4EjNS0_10empty_typeEbEEZZNS1_14partition_implILS8_4ELb0ES6_15HIP_vector_typeIjLj2EENS0_17counting_iteratorIjlEEPS9_SG_NS0_5tupleIJPjSI_NS0_16reverse_iteratorISI_EEEEENSH_IJSG_SG_SG_EEES9_SI_JZNS1_25segmented_radix_sort_implINS0_14default_configELb0EPKhPhPKlPlN2at6native12_GLOBAL__N_18offset_tEEE10hipError_tPvRmT1_PNSt15iterator_traitsIS12_E10value_typeET2_T3_PNS13_IS18_E10value_typeET4_jRbjT5_S1E_jjP12ihipStream_tbEUljE_ZNSN_ISO_Lb0ESQ_SR_ST_SU_SY_EESZ_S10_S11_S12_S16_S17_S18_S1B_S1C_jS1D_jS1E_S1E_jjS1G_bEUljE0_EEESZ_S10_S11_S18_S1C_S1E_T6_T7_T9_mT8_S1G_bDpT10_ENKUlT_T0_E_clISt17integral_constantIbLb0EES1T_IbLb1EEEEDaS1P_S1Q_EUlS1P_E_NS1_11comp_targetILNS1_3genE9ELNS1_11target_archE1100ELNS1_3gpuE3ELNS1_3repE0EEENS1_30default_config_static_selectorELNS0_4arch9wavefront6targetE1EEEvS12_,@function
_ZN7rocprim17ROCPRIM_400000_NS6detail17trampoline_kernelINS0_13select_configILj256ELj13ELNS0_17block_load_methodE3ELS4_3ELS4_3ELNS0_20block_scan_algorithmE0ELj4294967295EEENS1_25partition_config_selectorILNS1_17partition_subalgoE4EjNS0_10empty_typeEbEEZZNS1_14partition_implILS8_4ELb0ES6_15HIP_vector_typeIjLj2EENS0_17counting_iteratorIjlEEPS9_SG_NS0_5tupleIJPjSI_NS0_16reverse_iteratorISI_EEEEENSH_IJSG_SG_SG_EEES9_SI_JZNS1_25segmented_radix_sort_implINS0_14default_configELb0EPKhPhPKlPlN2at6native12_GLOBAL__N_18offset_tEEE10hipError_tPvRmT1_PNSt15iterator_traitsIS12_E10value_typeET2_T3_PNS13_IS18_E10value_typeET4_jRbjT5_S1E_jjP12ihipStream_tbEUljE_ZNSN_ISO_Lb0ESQ_SR_ST_SU_SY_EESZ_S10_S11_S12_S16_S17_S18_S1B_S1C_jS1D_jS1E_S1E_jjS1G_bEUljE0_EEESZ_S10_S11_S18_S1C_S1E_T6_T7_T9_mT8_S1G_bDpT10_ENKUlT_T0_E_clISt17integral_constantIbLb0EES1T_IbLb1EEEEDaS1P_S1Q_EUlS1P_E_NS1_11comp_targetILNS1_3genE9ELNS1_11target_archE1100ELNS1_3gpuE3ELNS1_3repE0EEENS1_30default_config_static_selectorELNS0_4arch9wavefront6targetE1EEEvS12_: ; @_ZN7rocprim17ROCPRIM_400000_NS6detail17trampoline_kernelINS0_13select_configILj256ELj13ELNS0_17block_load_methodE3ELS4_3ELS4_3ELNS0_20block_scan_algorithmE0ELj4294967295EEENS1_25partition_config_selectorILNS1_17partition_subalgoE4EjNS0_10empty_typeEbEEZZNS1_14partition_implILS8_4ELb0ES6_15HIP_vector_typeIjLj2EENS0_17counting_iteratorIjlEEPS9_SG_NS0_5tupleIJPjSI_NS0_16reverse_iteratorISI_EEEEENSH_IJSG_SG_SG_EEES9_SI_JZNS1_25segmented_radix_sort_implINS0_14default_configELb0EPKhPhPKlPlN2at6native12_GLOBAL__N_18offset_tEEE10hipError_tPvRmT1_PNSt15iterator_traitsIS12_E10value_typeET2_T3_PNS13_IS18_E10value_typeET4_jRbjT5_S1E_jjP12ihipStream_tbEUljE_ZNSN_ISO_Lb0ESQ_SR_ST_SU_SY_EESZ_S10_S11_S12_S16_S17_S18_S1B_S1C_jS1D_jS1E_S1E_jjS1G_bEUljE0_EEESZ_S10_S11_S18_S1C_S1E_T6_T7_T9_mT8_S1G_bDpT10_ENKUlT_T0_E_clISt17integral_constantIbLb0EES1T_IbLb1EEEEDaS1P_S1Q_EUlS1P_E_NS1_11comp_targetILNS1_3genE9ELNS1_11target_archE1100ELNS1_3gpuE3ELNS1_3repE0EEENS1_30default_config_static_selectorELNS0_4arch9wavefront6targetE1EEEvS12_
; %bb.0:
	.section	.rodata,"a",@progbits
	.p2align	6, 0x0
	.amdhsa_kernel _ZN7rocprim17ROCPRIM_400000_NS6detail17trampoline_kernelINS0_13select_configILj256ELj13ELNS0_17block_load_methodE3ELS4_3ELS4_3ELNS0_20block_scan_algorithmE0ELj4294967295EEENS1_25partition_config_selectorILNS1_17partition_subalgoE4EjNS0_10empty_typeEbEEZZNS1_14partition_implILS8_4ELb0ES6_15HIP_vector_typeIjLj2EENS0_17counting_iteratorIjlEEPS9_SG_NS0_5tupleIJPjSI_NS0_16reverse_iteratorISI_EEEEENSH_IJSG_SG_SG_EEES9_SI_JZNS1_25segmented_radix_sort_implINS0_14default_configELb0EPKhPhPKlPlN2at6native12_GLOBAL__N_18offset_tEEE10hipError_tPvRmT1_PNSt15iterator_traitsIS12_E10value_typeET2_T3_PNS13_IS18_E10value_typeET4_jRbjT5_S1E_jjP12ihipStream_tbEUljE_ZNSN_ISO_Lb0ESQ_SR_ST_SU_SY_EESZ_S10_S11_S12_S16_S17_S18_S1B_S1C_jS1D_jS1E_S1E_jjS1G_bEUljE0_EEESZ_S10_S11_S18_S1C_S1E_T6_T7_T9_mT8_S1G_bDpT10_ENKUlT_T0_E_clISt17integral_constantIbLb0EES1T_IbLb1EEEEDaS1P_S1Q_EUlS1P_E_NS1_11comp_targetILNS1_3genE9ELNS1_11target_archE1100ELNS1_3gpuE3ELNS1_3repE0EEENS1_30default_config_static_selectorELNS0_4arch9wavefront6targetE1EEEvS12_
		.amdhsa_group_segment_fixed_size 0
		.amdhsa_private_segment_fixed_size 0
		.amdhsa_kernarg_size 184
		.amdhsa_user_sgpr_count 6
		.amdhsa_user_sgpr_private_segment_buffer 1
		.amdhsa_user_sgpr_dispatch_ptr 0
		.amdhsa_user_sgpr_queue_ptr 0
		.amdhsa_user_sgpr_kernarg_segment_ptr 1
		.amdhsa_user_sgpr_dispatch_id 0
		.amdhsa_user_sgpr_flat_scratch_init 0
		.amdhsa_user_sgpr_kernarg_preload_length 0
		.amdhsa_user_sgpr_kernarg_preload_offset 0
		.amdhsa_user_sgpr_private_segment_size 0
		.amdhsa_uses_dynamic_stack 0
		.amdhsa_system_sgpr_private_segment_wavefront_offset 0
		.amdhsa_system_sgpr_workgroup_id_x 1
		.amdhsa_system_sgpr_workgroup_id_y 0
		.amdhsa_system_sgpr_workgroup_id_z 0
		.amdhsa_system_sgpr_workgroup_info 0
		.amdhsa_system_vgpr_workitem_id 0
		.amdhsa_next_free_vgpr 1
		.amdhsa_next_free_sgpr 0
		.amdhsa_accum_offset 4
		.amdhsa_reserve_vcc 0
		.amdhsa_reserve_flat_scratch 0
		.amdhsa_float_round_mode_32 0
		.amdhsa_float_round_mode_16_64 0
		.amdhsa_float_denorm_mode_32 3
		.amdhsa_float_denorm_mode_16_64 3
		.amdhsa_dx10_clamp 1
		.amdhsa_ieee_mode 1
		.amdhsa_fp16_overflow 0
		.amdhsa_tg_split 0
		.amdhsa_exception_fp_ieee_invalid_op 0
		.amdhsa_exception_fp_denorm_src 0
		.amdhsa_exception_fp_ieee_div_zero 0
		.amdhsa_exception_fp_ieee_overflow 0
		.amdhsa_exception_fp_ieee_underflow 0
		.amdhsa_exception_fp_ieee_inexact 0
		.amdhsa_exception_int_div_zero 0
	.end_amdhsa_kernel
	.section	.text._ZN7rocprim17ROCPRIM_400000_NS6detail17trampoline_kernelINS0_13select_configILj256ELj13ELNS0_17block_load_methodE3ELS4_3ELS4_3ELNS0_20block_scan_algorithmE0ELj4294967295EEENS1_25partition_config_selectorILNS1_17partition_subalgoE4EjNS0_10empty_typeEbEEZZNS1_14partition_implILS8_4ELb0ES6_15HIP_vector_typeIjLj2EENS0_17counting_iteratorIjlEEPS9_SG_NS0_5tupleIJPjSI_NS0_16reverse_iteratorISI_EEEEENSH_IJSG_SG_SG_EEES9_SI_JZNS1_25segmented_radix_sort_implINS0_14default_configELb0EPKhPhPKlPlN2at6native12_GLOBAL__N_18offset_tEEE10hipError_tPvRmT1_PNSt15iterator_traitsIS12_E10value_typeET2_T3_PNS13_IS18_E10value_typeET4_jRbjT5_S1E_jjP12ihipStream_tbEUljE_ZNSN_ISO_Lb0ESQ_SR_ST_SU_SY_EESZ_S10_S11_S12_S16_S17_S18_S1B_S1C_jS1D_jS1E_S1E_jjS1G_bEUljE0_EEESZ_S10_S11_S18_S1C_S1E_T6_T7_T9_mT8_S1G_bDpT10_ENKUlT_T0_E_clISt17integral_constantIbLb0EES1T_IbLb1EEEEDaS1P_S1Q_EUlS1P_E_NS1_11comp_targetILNS1_3genE9ELNS1_11target_archE1100ELNS1_3gpuE3ELNS1_3repE0EEENS1_30default_config_static_selectorELNS0_4arch9wavefront6targetE1EEEvS12_,"axG",@progbits,_ZN7rocprim17ROCPRIM_400000_NS6detail17trampoline_kernelINS0_13select_configILj256ELj13ELNS0_17block_load_methodE3ELS4_3ELS4_3ELNS0_20block_scan_algorithmE0ELj4294967295EEENS1_25partition_config_selectorILNS1_17partition_subalgoE4EjNS0_10empty_typeEbEEZZNS1_14partition_implILS8_4ELb0ES6_15HIP_vector_typeIjLj2EENS0_17counting_iteratorIjlEEPS9_SG_NS0_5tupleIJPjSI_NS0_16reverse_iteratorISI_EEEEENSH_IJSG_SG_SG_EEES9_SI_JZNS1_25segmented_radix_sort_implINS0_14default_configELb0EPKhPhPKlPlN2at6native12_GLOBAL__N_18offset_tEEE10hipError_tPvRmT1_PNSt15iterator_traitsIS12_E10value_typeET2_T3_PNS13_IS18_E10value_typeET4_jRbjT5_S1E_jjP12ihipStream_tbEUljE_ZNSN_ISO_Lb0ESQ_SR_ST_SU_SY_EESZ_S10_S11_S12_S16_S17_S18_S1B_S1C_jS1D_jS1E_S1E_jjS1G_bEUljE0_EEESZ_S10_S11_S18_S1C_S1E_T6_T7_T9_mT8_S1G_bDpT10_ENKUlT_T0_E_clISt17integral_constantIbLb0EES1T_IbLb1EEEEDaS1P_S1Q_EUlS1P_E_NS1_11comp_targetILNS1_3genE9ELNS1_11target_archE1100ELNS1_3gpuE3ELNS1_3repE0EEENS1_30default_config_static_selectorELNS0_4arch9wavefront6targetE1EEEvS12_,comdat
.Lfunc_end152:
	.size	_ZN7rocprim17ROCPRIM_400000_NS6detail17trampoline_kernelINS0_13select_configILj256ELj13ELNS0_17block_load_methodE3ELS4_3ELS4_3ELNS0_20block_scan_algorithmE0ELj4294967295EEENS1_25partition_config_selectorILNS1_17partition_subalgoE4EjNS0_10empty_typeEbEEZZNS1_14partition_implILS8_4ELb0ES6_15HIP_vector_typeIjLj2EENS0_17counting_iteratorIjlEEPS9_SG_NS0_5tupleIJPjSI_NS0_16reverse_iteratorISI_EEEEENSH_IJSG_SG_SG_EEES9_SI_JZNS1_25segmented_radix_sort_implINS0_14default_configELb0EPKhPhPKlPlN2at6native12_GLOBAL__N_18offset_tEEE10hipError_tPvRmT1_PNSt15iterator_traitsIS12_E10value_typeET2_T3_PNS13_IS18_E10value_typeET4_jRbjT5_S1E_jjP12ihipStream_tbEUljE_ZNSN_ISO_Lb0ESQ_SR_ST_SU_SY_EESZ_S10_S11_S12_S16_S17_S18_S1B_S1C_jS1D_jS1E_S1E_jjS1G_bEUljE0_EEESZ_S10_S11_S18_S1C_S1E_T6_T7_T9_mT8_S1G_bDpT10_ENKUlT_T0_E_clISt17integral_constantIbLb0EES1T_IbLb1EEEEDaS1P_S1Q_EUlS1P_E_NS1_11comp_targetILNS1_3genE9ELNS1_11target_archE1100ELNS1_3gpuE3ELNS1_3repE0EEENS1_30default_config_static_selectorELNS0_4arch9wavefront6targetE1EEEvS12_, .Lfunc_end152-_ZN7rocprim17ROCPRIM_400000_NS6detail17trampoline_kernelINS0_13select_configILj256ELj13ELNS0_17block_load_methodE3ELS4_3ELS4_3ELNS0_20block_scan_algorithmE0ELj4294967295EEENS1_25partition_config_selectorILNS1_17partition_subalgoE4EjNS0_10empty_typeEbEEZZNS1_14partition_implILS8_4ELb0ES6_15HIP_vector_typeIjLj2EENS0_17counting_iteratorIjlEEPS9_SG_NS0_5tupleIJPjSI_NS0_16reverse_iteratorISI_EEEEENSH_IJSG_SG_SG_EEES9_SI_JZNS1_25segmented_radix_sort_implINS0_14default_configELb0EPKhPhPKlPlN2at6native12_GLOBAL__N_18offset_tEEE10hipError_tPvRmT1_PNSt15iterator_traitsIS12_E10value_typeET2_T3_PNS13_IS18_E10value_typeET4_jRbjT5_S1E_jjP12ihipStream_tbEUljE_ZNSN_ISO_Lb0ESQ_SR_ST_SU_SY_EESZ_S10_S11_S12_S16_S17_S18_S1B_S1C_jS1D_jS1E_S1E_jjS1G_bEUljE0_EEESZ_S10_S11_S18_S1C_S1E_T6_T7_T9_mT8_S1G_bDpT10_ENKUlT_T0_E_clISt17integral_constantIbLb0EES1T_IbLb1EEEEDaS1P_S1Q_EUlS1P_E_NS1_11comp_targetILNS1_3genE9ELNS1_11target_archE1100ELNS1_3gpuE3ELNS1_3repE0EEENS1_30default_config_static_selectorELNS0_4arch9wavefront6targetE1EEEvS12_
                                        ; -- End function
	.section	.AMDGPU.csdata,"",@progbits
; Kernel info:
; codeLenInByte = 0
; NumSgprs: 4
; NumVgprs: 0
; NumAgprs: 0
; TotalNumVgprs: 0
; ScratchSize: 0
; MemoryBound: 0
; FloatMode: 240
; IeeeMode: 1
; LDSByteSize: 0 bytes/workgroup (compile time only)
; SGPRBlocks: 0
; VGPRBlocks: 0
; NumSGPRsForWavesPerEU: 4
; NumVGPRsForWavesPerEU: 1
; AccumOffset: 4
; Occupancy: 8
; WaveLimiterHint : 0
; COMPUTE_PGM_RSRC2:SCRATCH_EN: 0
; COMPUTE_PGM_RSRC2:USER_SGPR: 6
; COMPUTE_PGM_RSRC2:TRAP_HANDLER: 0
; COMPUTE_PGM_RSRC2:TGID_X_EN: 1
; COMPUTE_PGM_RSRC2:TGID_Y_EN: 0
; COMPUTE_PGM_RSRC2:TGID_Z_EN: 0
; COMPUTE_PGM_RSRC2:TIDIG_COMP_CNT: 0
; COMPUTE_PGM_RSRC3_GFX90A:ACCUM_OFFSET: 0
; COMPUTE_PGM_RSRC3_GFX90A:TG_SPLIT: 0
	.section	.text._ZN7rocprim17ROCPRIM_400000_NS6detail17trampoline_kernelINS0_13select_configILj256ELj13ELNS0_17block_load_methodE3ELS4_3ELS4_3ELNS0_20block_scan_algorithmE0ELj4294967295EEENS1_25partition_config_selectorILNS1_17partition_subalgoE4EjNS0_10empty_typeEbEEZZNS1_14partition_implILS8_4ELb0ES6_15HIP_vector_typeIjLj2EENS0_17counting_iteratorIjlEEPS9_SG_NS0_5tupleIJPjSI_NS0_16reverse_iteratorISI_EEEEENSH_IJSG_SG_SG_EEES9_SI_JZNS1_25segmented_radix_sort_implINS0_14default_configELb0EPKhPhPKlPlN2at6native12_GLOBAL__N_18offset_tEEE10hipError_tPvRmT1_PNSt15iterator_traitsIS12_E10value_typeET2_T3_PNS13_IS18_E10value_typeET4_jRbjT5_S1E_jjP12ihipStream_tbEUljE_ZNSN_ISO_Lb0ESQ_SR_ST_SU_SY_EESZ_S10_S11_S12_S16_S17_S18_S1B_S1C_jS1D_jS1E_S1E_jjS1G_bEUljE0_EEESZ_S10_S11_S18_S1C_S1E_T6_T7_T9_mT8_S1G_bDpT10_ENKUlT_T0_E_clISt17integral_constantIbLb0EES1T_IbLb1EEEEDaS1P_S1Q_EUlS1P_E_NS1_11comp_targetILNS1_3genE8ELNS1_11target_archE1030ELNS1_3gpuE2ELNS1_3repE0EEENS1_30default_config_static_selectorELNS0_4arch9wavefront6targetE1EEEvS12_,"axG",@progbits,_ZN7rocprim17ROCPRIM_400000_NS6detail17trampoline_kernelINS0_13select_configILj256ELj13ELNS0_17block_load_methodE3ELS4_3ELS4_3ELNS0_20block_scan_algorithmE0ELj4294967295EEENS1_25partition_config_selectorILNS1_17partition_subalgoE4EjNS0_10empty_typeEbEEZZNS1_14partition_implILS8_4ELb0ES6_15HIP_vector_typeIjLj2EENS0_17counting_iteratorIjlEEPS9_SG_NS0_5tupleIJPjSI_NS0_16reverse_iteratorISI_EEEEENSH_IJSG_SG_SG_EEES9_SI_JZNS1_25segmented_radix_sort_implINS0_14default_configELb0EPKhPhPKlPlN2at6native12_GLOBAL__N_18offset_tEEE10hipError_tPvRmT1_PNSt15iterator_traitsIS12_E10value_typeET2_T3_PNS13_IS18_E10value_typeET4_jRbjT5_S1E_jjP12ihipStream_tbEUljE_ZNSN_ISO_Lb0ESQ_SR_ST_SU_SY_EESZ_S10_S11_S12_S16_S17_S18_S1B_S1C_jS1D_jS1E_S1E_jjS1G_bEUljE0_EEESZ_S10_S11_S18_S1C_S1E_T6_T7_T9_mT8_S1G_bDpT10_ENKUlT_T0_E_clISt17integral_constantIbLb0EES1T_IbLb1EEEEDaS1P_S1Q_EUlS1P_E_NS1_11comp_targetILNS1_3genE8ELNS1_11target_archE1030ELNS1_3gpuE2ELNS1_3repE0EEENS1_30default_config_static_selectorELNS0_4arch9wavefront6targetE1EEEvS12_,comdat
	.globl	_ZN7rocprim17ROCPRIM_400000_NS6detail17trampoline_kernelINS0_13select_configILj256ELj13ELNS0_17block_load_methodE3ELS4_3ELS4_3ELNS0_20block_scan_algorithmE0ELj4294967295EEENS1_25partition_config_selectorILNS1_17partition_subalgoE4EjNS0_10empty_typeEbEEZZNS1_14partition_implILS8_4ELb0ES6_15HIP_vector_typeIjLj2EENS0_17counting_iteratorIjlEEPS9_SG_NS0_5tupleIJPjSI_NS0_16reverse_iteratorISI_EEEEENSH_IJSG_SG_SG_EEES9_SI_JZNS1_25segmented_radix_sort_implINS0_14default_configELb0EPKhPhPKlPlN2at6native12_GLOBAL__N_18offset_tEEE10hipError_tPvRmT1_PNSt15iterator_traitsIS12_E10value_typeET2_T3_PNS13_IS18_E10value_typeET4_jRbjT5_S1E_jjP12ihipStream_tbEUljE_ZNSN_ISO_Lb0ESQ_SR_ST_SU_SY_EESZ_S10_S11_S12_S16_S17_S18_S1B_S1C_jS1D_jS1E_S1E_jjS1G_bEUljE0_EEESZ_S10_S11_S18_S1C_S1E_T6_T7_T9_mT8_S1G_bDpT10_ENKUlT_T0_E_clISt17integral_constantIbLb0EES1T_IbLb1EEEEDaS1P_S1Q_EUlS1P_E_NS1_11comp_targetILNS1_3genE8ELNS1_11target_archE1030ELNS1_3gpuE2ELNS1_3repE0EEENS1_30default_config_static_selectorELNS0_4arch9wavefront6targetE1EEEvS12_ ; -- Begin function _ZN7rocprim17ROCPRIM_400000_NS6detail17trampoline_kernelINS0_13select_configILj256ELj13ELNS0_17block_load_methodE3ELS4_3ELS4_3ELNS0_20block_scan_algorithmE0ELj4294967295EEENS1_25partition_config_selectorILNS1_17partition_subalgoE4EjNS0_10empty_typeEbEEZZNS1_14partition_implILS8_4ELb0ES6_15HIP_vector_typeIjLj2EENS0_17counting_iteratorIjlEEPS9_SG_NS0_5tupleIJPjSI_NS0_16reverse_iteratorISI_EEEEENSH_IJSG_SG_SG_EEES9_SI_JZNS1_25segmented_radix_sort_implINS0_14default_configELb0EPKhPhPKlPlN2at6native12_GLOBAL__N_18offset_tEEE10hipError_tPvRmT1_PNSt15iterator_traitsIS12_E10value_typeET2_T3_PNS13_IS18_E10value_typeET4_jRbjT5_S1E_jjP12ihipStream_tbEUljE_ZNSN_ISO_Lb0ESQ_SR_ST_SU_SY_EESZ_S10_S11_S12_S16_S17_S18_S1B_S1C_jS1D_jS1E_S1E_jjS1G_bEUljE0_EEESZ_S10_S11_S18_S1C_S1E_T6_T7_T9_mT8_S1G_bDpT10_ENKUlT_T0_E_clISt17integral_constantIbLb0EES1T_IbLb1EEEEDaS1P_S1Q_EUlS1P_E_NS1_11comp_targetILNS1_3genE8ELNS1_11target_archE1030ELNS1_3gpuE2ELNS1_3repE0EEENS1_30default_config_static_selectorELNS0_4arch9wavefront6targetE1EEEvS12_
	.p2align	8
	.type	_ZN7rocprim17ROCPRIM_400000_NS6detail17trampoline_kernelINS0_13select_configILj256ELj13ELNS0_17block_load_methodE3ELS4_3ELS4_3ELNS0_20block_scan_algorithmE0ELj4294967295EEENS1_25partition_config_selectorILNS1_17partition_subalgoE4EjNS0_10empty_typeEbEEZZNS1_14partition_implILS8_4ELb0ES6_15HIP_vector_typeIjLj2EENS0_17counting_iteratorIjlEEPS9_SG_NS0_5tupleIJPjSI_NS0_16reverse_iteratorISI_EEEEENSH_IJSG_SG_SG_EEES9_SI_JZNS1_25segmented_radix_sort_implINS0_14default_configELb0EPKhPhPKlPlN2at6native12_GLOBAL__N_18offset_tEEE10hipError_tPvRmT1_PNSt15iterator_traitsIS12_E10value_typeET2_T3_PNS13_IS18_E10value_typeET4_jRbjT5_S1E_jjP12ihipStream_tbEUljE_ZNSN_ISO_Lb0ESQ_SR_ST_SU_SY_EESZ_S10_S11_S12_S16_S17_S18_S1B_S1C_jS1D_jS1E_S1E_jjS1G_bEUljE0_EEESZ_S10_S11_S18_S1C_S1E_T6_T7_T9_mT8_S1G_bDpT10_ENKUlT_T0_E_clISt17integral_constantIbLb0EES1T_IbLb1EEEEDaS1P_S1Q_EUlS1P_E_NS1_11comp_targetILNS1_3genE8ELNS1_11target_archE1030ELNS1_3gpuE2ELNS1_3repE0EEENS1_30default_config_static_selectorELNS0_4arch9wavefront6targetE1EEEvS12_,@function
_ZN7rocprim17ROCPRIM_400000_NS6detail17trampoline_kernelINS0_13select_configILj256ELj13ELNS0_17block_load_methodE3ELS4_3ELS4_3ELNS0_20block_scan_algorithmE0ELj4294967295EEENS1_25partition_config_selectorILNS1_17partition_subalgoE4EjNS0_10empty_typeEbEEZZNS1_14partition_implILS8_4ELb0ES6_15HIP_vector_typeIjLj2EENS0_17counting_iteratorIjlEEPS9_SG_NS0_5tupleIJPjSI_NS0_16reverse_iteratorISI_EEEEENSH_IJSG_SG_SG_EEES9_SI_JZNS1_25segmented_radix_sort_implINS0_14default_configELb0EPKhPhPKlPlN2at6native12_GLOBAL__N_18offset_tEEE10hipError_tPvRmT1_PNSt15iterator_traitsIS12_E10value_typeET2_T3_PNS13_IS18_E10value_typeET4_jRbjT5_S1E_jjP12ihipStream_tbEUljE_ZNSN_ISO_Lb0ESQ_SR_ST_SU_SY_EESZ_S10_S11_S12_S16_S17_S18_S1B_S1C_jS1D_jS1E_S1E_jjS1G_bEUljE0_EEESZ_S10_S11_S18_S1C_S1E_T6_T7_T9_mT8_S1G_bDpT10_ENKUlT_T0_E_clISt17integral_constantIbLb0EES1T_IbLb1EEEEDaS1P_S1Q_EUlS1P_E_NS1_11comp_targetILNS1_3genE8ELNS1_11target_archE1030ELNS1_3gpuE2ELNS1_3repE0EEENS1_30default_config_static_selectorELNS0_4arch9wavefront6targetE1EEEvS12_: ; @_ZN7rocprim17ROCPRIM_400000_NS6detail17trampoline_kernelINS0_13select_configILj256ELj13ELNS0_17block_load_methodE3ELS4_3ELS4_3ELNS0_20block_scan_algorithmE0ELj4294967295EEENS1_25partition_config_selectorILNS1_17partition_subalgoE4EjNS0_10empty_typeEbEEZZNS1_14partition_implILS8_4ELb0ES6_15HIP_vector_typeIjLj2EENS0_17counting_iteratorIjlEEPS9_SG_NS0_5tupleIJPjSI_NS0_16reverse_iteratorISI_EEEEENSH_IJSG_SG_SG_EEES9_SI_JZNS1_25segmented_radix_sort_implINS0_14default_configELb0EPKhPhPKlPlN2at6native12_GLOBAL__N_18offset_tEEE10hipError_tPvRmT1_PNSt15iterator_traitsIS12_E10value_typeET2_T3_PNS13_IS18_E10value_typeET4_jRbjT5_S1E_jjP12ihipStream_tbEUljE_ZNSN_ISO_Lb0ESQ_SR_ST_SU_SY_EESZ_S10_S11_S12_S16_S17_S18_S1B_S1C_jS1D_jS1E_S1E_jjS1G_bEUljE0_EEESZ_S10_S11_S18_S1C_S1E_T6_T7_T9_mT8_S1G_bDpT10_ENKUlT_T0_E_clISt17integral_constantIbLb0EES1T_IbLb1EEEEDaS1P_S1Q_EUlS1P_E_NS1_11comp_targetILNS1_3genE8ELNS1_11target_archE1030ELNS1_3gpuE2ELNS1_3repE0EEENS1_30default_config_static_selectorELNS0_4arch9wavefront6targetE1EEEvS12_
; %bb.0:
	.section	.rodata,"a",@progbits
	.p2align	6, 0x0
	.amdhsa_kernel _ZN7rocprim17ROCPRIM_400000_NS6detail17trampoline_kernelINS0_13select_configILj256ELj13ELNS0_17block_load_methodE3ELS4_3ELS4_3ELNS0_20block_scan_algorithmE0ELj4294967295EEENS1_25partition_config_selectorILNS1_17partition_subalgoE4EjNS0_10empty_typeEbEEZZNS1_14partition_implILS8_4ELb0ES6_15HIP_vector_typeIjLj2EENS0_17counting_iteratorIjlEEPS9_SG_NS0_5tupleIJPjSI_NS0_16reverse_iteratorISI_EEEEENSH_IJSG_SG_SG_EEES9_SI_JZNS1_25segmented_radix_sort_implINS0_14default_configELb0EPKhPhPKlPlN2at6native12_GLOBAL__N_18offset_tEEE10hipError_tPvRmT1_PNSt15iterator_traitsIS12_E10value_typeET2_T3_PNS13_IS18_E10value_typeET4_jRbjT5_S1E_jjP12ihipStream_tbEUljE_ZNSN_ISO_Lb0ESQ_SR_ST_SU_SY_EESZ_S10_S11_S12_S16_S17_S18_S1B_S1C_jS1D_jS1E_S1E_jjS1G_bEUljE0_EEESZ_S10_S11_S18_S1C_S1E_T6_T7_T9_mT8_S1G_bDpT10_ENKUlT_T0_E_clISt17integral_constantIbLb0EES1T_IbLb1EEEEDaS1P_S1Q_EUlS1P_E_NS1_11comp_targetILNS1_3genE8ELNS1_11target_archE1030ELNS1_3gpuE2ELNS1_3repE0EEENS1_30default_config_static_selectorELNS0_4arch9wavefront6targetE1EEEvS12_
		.amdhsa_group_segment_fixed_size 0
		.amdhsa_private_segment_fixed_size 0
		.amdhsa_kernarg_size 184
		.amdhsa_user_sgpr_count 6
		.amdhsa_user_sgpr_private_segment_buffer 1
		.amdhsa_user_sgpr_dispatch_ptr 0
		.amdhsa_user_sgpr_queue_ptr 0
		.amdhsa_user_sgpr_kernarg_segment_ptr 1
		.amdhsa_user_sgpr_dispatch_id 0
		.amdhsa_user_sgpr_flat_scratch_init 0
		.amdhsa_user_sgpr_kernarg_preload_length 0
		.amdhsa_user_sgpr_kernarg_preload_offset 0
		.amdhsa_user_sgpr_private_segment_size 0
		.amdhsa_uses_dynamic_stack 0
		.amdhsa_system_sgpr_private_segment_wavefront_offset 0
		.amdhsa_system_sgpr_workgroup_id_x 1
		.amdhsa_system_sgpr_workgroup_id_y 0
		.amdhsa_system_sgpr_workgroup_id_z 0
		.amdhsa_system_sgpr_workgroup_info 0
		.amdhsa_system_vgpr_workitem_id 0
		.amdhsa_next_free_vgpr 1
		.amdhsa_next_free_sgpr 0
		.amdhsa_accum_offset 4
		.amdhsa_reserve_vcc 0
		.amdhsa_reserve_flat_scratch 0
		.amdhsa_float_round_mode_32 0
		.amdhsa_float_round_mode_16_64 0
		.amdhsa_float_denorm_mode_32 3
		.amdhsa_float_denorm_mode_16_64 3
		.amdhsa_dx10_clamp 1
		.amdhsa_ieee_mode 1
		.amdhsa_fp16_overflow 0
		.amdhsa_tg_split 0
		.amdhsa_exception_fp_ieee_invalid_op 0
		.amdhsa_exception_fp_denorm_src 0
		.amdhsa_exception_fp_ieee_div_zero 0
		.amdhsa_exception_fp_ieee_overflow 0
		.amdhsa_exception_fp_ieee_underflow 0
		.amdhsa_exception_fp_ieee_inexact 0
		.amdhsa_exception_int_div_zero 0
	.end_amdhsa_kernel
	.section	.text._ZN7rocprim17ROCPRIM_400000_NS6detail17trampoline_kernelINS0_13select_configILj256ELj13ELNS0_17block_load_methodE3ELS4_3ELS4_3ELNS0_20block_scan_algorithmE0ELj4294967295EEENS1_25partition_config_selectorILNS1_17partition_subalgoE4EjNS0_10empty_typeEbEEZZNS1_14partition_implILS8_4ELb0ES6_15HIP_vector_typeIjLj2EENS0_17counting_iteratorIjlEEPS9_SG_NS0_5tupleIJPjSI_NS0_16reverse_iteratorISI_EEEEENSH_IJSG_SG_SG_EEES9_SI_JZNS1_25segmented_radix_sort_implINS0_14default_configELb0EPKhPhPKlPlN2at6native12_GLOBAL__N_18offset_tEEE10hipError_tPvRmT1_PNSt15iterator_traitsIS12_E10value_typeET2_T3_PNS13_IS18_E10value_typeET4_jRbjT5_S1E_jjP12ihipStream_tbEUljE_ZNSN_ISO_Lb0ESQ_SR_ST_SU_SY_EESZ_S10_S11_S12_S16_S17_S18_S1B_S1C_jS1D_jS1E_S1E_jjS1G_bEUljE0_EEESZ_S10_S11_S18_S1C_S1E_T6_T7_T9_mT8_S1G_bDpT10_ENKUlT_T0_E_clISt17integral_constantIbLb0EES1T_IbLb1EEEEDaS1P_S1Q_EUlS1P_E_NS1_11comp_targetILNS1_3genE8ELNS1_11target_archE1030ELNS1_3gpuE2ELNS1_3repE0EEENS1_30default_config_static_selectorELNS0_4arch9wavefront6targetE1EEEvS12_,"axG",@progbits,_ZN7rocprim17ROCPRIM_400000_NS6detail17trampoline_kernelINS0_13select_configILj256ELj13ELNS0_17block_load_methodE3ELS4_3ELS4_3ELNS0_20block_scan_algorithmE0ELj4294967295EEENS1_25partition_config_selectorILNS1_17partition_subalgoE4EjNS0_10empty_typeEbEEZZNS1_14partition_implILS8_4ELb0ES6_15HIP_vector_typeIjLj2EENS0_17counting_iteratorIjlEEPS9_SG_NS0_5tupleIJPjSI_NS0_16reverse_iteratorISI_EEEEENSH_IJSG_SG_SG_EEES9_SI_JZNS1_25segmented_radix_sort_implINS0_14default_configELb0EPKhPhPKlPlN2at6native12_GLOBAL__N_18offset_tEEE10hipError_tPvRmT1_PNSt15iterator_traitsIS12_E10value_typeET2_T3_PNS13_IS18_E10value_typeET4_jRbjT5_S1E_jjP12ihipStream_tbEUljE_ZNSN_ISO_Lb0ESQ_SR_ST_SU_SY_EESZ_S10_S11_S12_S16_S17_S18_S1B_S1C_jS1D_jS1E_S1E_jjS1G_bEUljE0_EEESZ_S10_S11_S18_S1C_S1E_T6_T7_T9_mT8_S1G_bDpT10_ENKUlT_T0_E_clISt17integral_constantIbLb0EES1T_IbLb1EEEEDaS1P_S1Q_EUlS1P_E_NS1_11comp_targetILNS1_3genE8ELNS1_11target_archE1030ELNS1_3gpuE2ELNS1_3repE0EEENS1_30default_config_static_selectorELNS0_4arch9wavefront6targetE1EEEvS12_,comdat
.Lfunc_end153:
	.size	_ZN7rocprim17ROCPRIM_400000_NS6detail17trampoline_kernelINS0_13select_configILj256ELj13ELNS0_17block_load_methodE3ELS4_3ELS4_3ELNS0_20block_scan_algorithmE0ELj4294967295EEENS1_25partition_config_selectorILNS1_17partition_subalgoE4EjNS0_10empty_typeEbEEZZNS1_14partition_implILS8_4ELb0ES6_15HIP_vector_typeIjLj2EENS0_17counting_iteratorIjlEEPS9_SG_NS0_5tupleIJPjSI_NS0_16reverse_iteratorISI_EEEEENSH_IJSG_SG_SG_EEES9_SI_JZNS1_25segmented_radix_sort_implINS0_14default_configELb0EPKhPhPKlPlN2at6native12_GLOBAL__N_18offset_tEEE10hipError_tPvRmT1_PNSt15iterator_traitsIS12_E10value_typeET2_T3_PNS13_IS18_E10value_typeET4_jRbjT5_S1E_jjP12ihipStream_tbEUljE_ZNSN_ISO_Lb0ESQ_SR_ST_SU_SY_EESZ_S10_S11_S12_S16_S17_S18_S1B_S1C_jS1D_jS1E_S1E_jjS1G_bEUljE0_EEESZ_S10_S11_S18_S1C_S1E_T6_T7_T9_mT8_S1G_bDpT10_ENKUlT_T0_E_clISt17integral_constantIbLb0EES1T_IbLb1EEEEDaS1P_S1Q_EUlS1P_E_NS1_11comp_targetILNS1_3genE8ELNS1_11target_archE1030ELNS1_3gpuE2ELNS1_3repE0EEENS1_30default_config_static_selectorELNS0_4arch9wavefront6targetE1EEEvS12_, .Lfunc_end153-_ZN7rocprim17ROCPRIM_400000_NS6detail17trampoline_kernelINS0_13select_configILj256ELj13ELNS0_17block_load_methodE3ELS4_3ELS4_3ELNS0_20block_scan_algorithmE0ELj4294967295EEENS1_25partition_config_selectorILNS1_17partition_subalgoE4EjNS0_10empty_typeEbEEZZNS1_14partition_implILS8_4ELb0ES6_15HIP_vector_typeIjLj2EENS0_17counting_iteratorIjlEEPS9_SG_NS0_5tupleIJPjSI_NS0_16reverse_iteratorISI_EEEEENSH_IJSG_SG_SG_EEES9_SI_JZNS1_25segmented_radix_sort_implINS0_14default_configELb0EPKhPhPKlPlN2at6native12_GLOBAL__N_18offset_tEEE10hipError_tPvRmT1_PNSt15iterator_traitsIS12_E10value_typeET2_T3_PNS13_IS18_E10value_typeET4_jRbjT5_S1E_jjP12ihipStream_tbEUljE_ZNSN_ISO_Lb0ESQ_SR_ST_SU_SY_EESZ_S10_S11_S12_S16_S17_S18_S1B_S1C_jS1D_jS1E_S1E_jjS1G_bEUljE0_EEESZ_S10_S11_S18_S1C_S1E_T6_T7_T9_mT8_S1G_bDpT10_ENKUlT_T0_E_clISt17integral_constantIbLb0EES1T_IbLb1EEEEDaS1P_S1Q_EUlS1P_E_NS1_11comp_targetILNS1_3genE8ELNS1_11target_archE1030ELNS1_3gpuE2ELNS1_3repE0EEENS1_30default_config_static_selectorELNS0_4arch9wavefront6targetE1EEEvS12_
                                        ; -- End function
	.section	.AMDGPU.csdata,"",@progbits
; Kernel info:
; codeLenInByte = 0
; NumSgprs: 4
; NumVgprs: 0
; NumAgprs: 0
; TotalNumVgprs: 0
; ScratchSize: 0
; MemoryBound: 0
; FloatMode: 240
; IeeeMode: 1
; LDSByteSize: 0 bytes/workgroup (compile time only)
; SGPRBlocks: 0
; VGPRBlocks: 0
; NumSGPRsForWavesPerEU: 4
; NumVGPRsForWavesPerEU: 1
; AccumOffset: 4
; Occupancy: 8
; WaveLimiterHint : 0
; COMPUTE_PGM_RSRC2:SCRATCH_EN: 0
; COMPUTE_PGM_RSRC2:USER_SGPR: 6
; COMPUTE_PGM_RSRC2:TRAP_HANDLER: 0
; COMPUTE_PGM_RSRC2:TGID_X_EN: 1
; COMPUTE_PGM_RSRC2:TGID_Y_EN: 0
; COMPUTE_PGM_RSRC2:TGID_Z_EN: 0
; COMPUTE_PGM_RSRC2:TIDIG_COMP_CNT: 0
; COMPUTE_PGM_RSRC3_GFX90A:ACCUM_OFFSET: 0
; COMPUTE_PGM_RSRC3_GFX90A:TG_SPLIT: 0
	.section	.text._ZN7rocprim17ROCPRIM_400000_NS6detail17trampoline_kernelINS0_13select_configILj256ELj13ELNS0_17block_load_methodE3ELS4_3ELS4_3ELNS0_20block_scan_algorithmE0ELj4294967295EEENS1_25partition_config_selectorILNS1_17partition_subalgoE3EjNS0_10empty_typeEbEEZZNS1_14partition_implILS8_3ELb0ES6_jNS0_17counting_iteratorIjlEEPS9_SE_NS0_5tupleIJPjSE_EEENSF_IJSE_SE_EEES9_SG_JZNS1_25segmented_radix_sort_implINS0_14default_configELb0EPKhPhPKlPlN2at6native12_GLOBAL__N_18offset_tEEE10hipError_tPvRmT1_PNSt15iterator_traitsISY_E10value_typeET2_T3_PNSZ_IS14_E10value_typeET4_jRbjT5_S1A_jjP12ihipStream_tbEUljE_EEESV_SW_SX_S14_S18_S1A_T6_T7_T9_mT8_S1C_bDpT10_ENKUlT_T0_E_clISt17integral_constantIbLb0EES1P_EEDaS1K_S1L_EUlS1K_E_NS1_11comp_targetILNS1_3genE0ELNS1_11target_archE4294967295ELNS1_3gpuE0ELNS1_3repE0EEENS1_30default_config_static_selectorELNS0_4arch9wavefront6targetE1EEEvSY_,"axG",@progbits,_ZN7rocprim17ROCPRIM_400000_NS6detail17trampoline_kernelINS0_13select_configILj256ELj13ELNS0_17block_load_methodE3ELS4_3ELS4_3ELNS0_20block_scan_algorithmE0ELj4294967295EEENS1_25partition_config_selectorILNS1_17partition_subalgoE3EjNS0_10empty_typeEbEEZZNS1_14partition_implILS8_3ELb0ES6_jNS0_17counting_iteratorIjlEEPS9_SE_NS0_5tupleIJPjSE_EEENSF_IJSE_SE_EEES9_SG_JZNS1_25segmented_radix_sort_implINS0_14default_configELb0EPKhPhPKlPlN2at6native12_GLOBAL__N_18offset_tEEE10hipError_tPvRmT1_PNSt15iterator_traitsISY_E10value_typeET2_T3_PNSZ_IS14_E10value_typeET4_jRbjT5_S1A_jjP12ihipStream_tbEUljE_EEESV_SW_SX_S14_S18_S1A_T6_T7_T9_mT8_S1C_bDpT10_ENKUlT_T0_E_clISt17integral_constantIbLb0EES1P_EEDaS1K_S1L_EUlS1K_E_NS1_11comp_targetILNS1_3genE0ELNS1_11target_archE4294967295ELNS1_3gpuE0ELNS1_3repE0EEENS1_30default_config_static_selectorELNS0_4arch9wavefront6targetE1EEEvSY_,comdat
	.globl	_ZN7rocprim17ROCPRIM_400000_NS6detail17trampoline_kernelINS0_13select_configILj256ELj13ELNS0_17block_load_methodE3ELS4_3ELS4_3ELNS0_20block_scan_algorithmE0ELj4294967295EEENS1_25partition_config_selectorILNS1_17partition_subalgoE3EjNS0_10empty_typeEbEEZZNS1_14partition_implILS8_3ELb0ES6_jNS0_17counting_iteratorIjlEEPS9_SE_NS0_5tupleIJPjSE_EEENSF_IJSE_SE_EEES9_SG_JZNS1_25segmented_radix_sort_implINS0_14default_configELb0EPKhPhPKlPlN2at6native12_GLOBAL__N_18offset_tEEE10hipError_tPvRmT1_PNSt15iterator_traitsISY_E10value_typeET2_T3_PNSZ_IS14_E10value_typeET4_jRbjT5_S1A_jjP12ihipStream_tbEUljE_EEESV_SW_SX_S14_S18_S1A_T6_T7_T9_mT8_S1C_bDpT10_ENKUlT_T0_E_clISt17integral_constantIbLb0EES1P_EEDaS1K_S1L_EUlS1K_E_NS1_11comp_targetILNS1_3genE0ELNS1_11target_archE4294967295ELNS1_3gpuE0ELNS1_3repE0EEENS1_30default_config_static_selectorELNS0_4arch9wavefront6targetE1EEEvSY_ ; -- Begin function _ZN7rocprim17ROCPRIM_400000_NS6detail17trampoline_kernelINS0_13select_configILj256ELj13ELNS0_17block_load_methodE3ELS4_3ELS4_3ELNS0_20block_scan_algorithmE0ELj4294967295EEENS1_25partition_config_selectorILNS1_17partition_subalgoE3EjNS0_10empty_typeEbEEZZNS1_14partition_implILS8_3ELb0ES6_jNS0_17counting_iteratorIjlEEPS9_SE_NS0_5tupleIJPjSE_EEENSF_IJSE_SE_EEES9_SG_JZNS1_25segmented_radix_sort_implINS0_14default_configELb0EPKhPhPKlPlN2at6native12_GLOBAL__N_18offset_tEEE10hipError_tPvRmT1_PNSt15iterator_traitsISY_E10value_typeET2_T3_PNSZ_IS14_E10value_typeET4_jRbjT5_S1A_jjP12ihipStream_tbEUljE_EEESV_SW_SX_S14_S18_S1A_T6_T7_T9_mT8_S1C_bDpT10_ENKUlT_T0_E_clISt17integral_constantIbLb0EES1P_EEDaS1K_S1L_EUlS1K_E_NS1_11comp_targetILNS1_3genE0ELNS1_11target_archE4294967295ELNS1_3gpuE0ELNS1_3repE0EEENS1_30default_config_static_selectorELNS0_4arch9wavefront6targetE1EEEvSY_
	.p2align	8
	.type	_ZN7rocprim17ROCPRIM_400000_NS6detail17trampoline_kernelINS0_13select_configILj256ELj13ELNS0_17block_load_methodE3ELS4_3ELS4_3ELNS0_20block_scan_algorithmE0ELj4294967295EEENS1_25partition_config_selectorILNS1_17partition_subalgoE3EjNS0_10empty_typeEbEEZZNS1_14partition_implILS8_3ELb0ES6_jNS0_17counting_iteratorIjlEEPS9_SE_NS0_5tupleIJPjSE_EEENSF_IJSE_SE_EEES9_SG_JZNS1_25segmented_radix_sort_implINS0_14default_configELb0EPKhPhPKlPlN2at6native12_GLOBAL__N_18offset_tEEE10hipError_tPvRmT1_PNSt15iterator_traitsISY_E10value_typeET2_T3_PNSZ_IS14_E10value_typeET4_jRbjT5_S1A_jjP12ihipStream_tbEUljE_EEESV_SW_SX_S14_S18_S1A_T6_T7_T9_mT8_S1C_bDpT10_ENKUlT_T0_E_clISt17integral_constantIbLb0EES1P_EEDaS1K_S1L_EUlS1K_E_NS1_11comp_targetILNS1_3genE0ELNS1_11target_archE4294967295ELNS1_3gpuE0ELNS1_3repE0EEENS1_30default_config_static_selectorELNS0_4arch9wavefront6targetE1EEEvSY_,@function
_ZN7rocprim17ROCPRIM_400000_NS6detail17trampoline_kernelINS0_13select_configILj256ELj13ELNS0_17block_load_methodE3ELS4_3ELS4_3ELNS0_20block_scan_algorithmE0ELj4294967295EEENS1_25partition_config_selectorILNS1_17partition_subalgoE3EjNS0_10empty_typeEbEEZZNS1_14partition_implILS8_3ELb0ES6_jNS0_17counting_iteratorIjlEEPS9_SE_NS0_5tupleIJPjSE_EEENSF_IJSE_SE_EEES9_SG_JZNS1_25segmented_radix_sort_implINS0_14default_configELb0EPKhPhPKlPlN2at6native12_GLOBAL__N_18offset_tEEE10hipError_tPvRmT1_PNSt15iterator_traitsISY_E10value_typeET2_T3_PNSZ_IS14_E10value_typeET4_jRbjT5_S1A_jjP12ihipStream_tbEUljE_EEESV_SW_SX_S14_S18_S1A_T6_T7_T9_mT8_S1C_bDpT10_ENKUlT_T0_E_clISt17integral_constantIbLb0EES1P_EEDaS1K_S1L_EUlS1K_E_NS1_11comp_targetILNS1_3genE0ELNS1_11target_archE4294967295ELNS1_3gpuE0ELNS1_3repE0EEENS1_30default_config_static_selectorELNS0_4arch9wavefront6targetE1EEEvSY_: ; @_ZN7rocprim17ROCPRIM_400000_NS6detail17trampoline_kernelINS0_13select_configILj256ELj13ELNS0_17block_load_methodE3ELS4_3ELS4_3ELNS0_20block_scan_algorithmE0ELj4294967295EEENS1_25partition_config_selectorILNS1_17partition_subalgoE3EjNS0_10empty_typeEbEEZZNS1_14partition_implILS8_3ELb0ES6_jNS0_17counting_iteratorIjlEEPS9_SE_NS0_5tupleIJPjSE_EEENSF_IJSE_SE_EEES9_SG_JZNS1_25segmented_radix_sort_implINS0_14default_configELb0EPKhPhPKlPlN2at6native12_GLOBAL__N_18offset_tEEE10hipError_tPvRmT1_PNSt15iterator_traitsISY_E10value_typeET2_T3_PNSZ_IS14_E10value_typeET4_jRbjT5_S1A_jjP12ihipStream_tbEUljE_EEESV_SW_SX_S14_S18_S1A_T6_T7_T9_mT8_S1C_bDpT10_ENKUlT_T0_E_clISt17integral_constantIbLb0EES1P_EEDaS1K_S1L_EUlS1K_E_NS1_11comp_targetILNS1_3genE0ELNS1_11target_archE4294967295ELNS1_3gpuE0ELNS1_3repE0EEENS1_30default_config_static_selectorELNS0_4arch9wavefront6targetE1EEEvSY_
; %bb.0:
	.section	.rodata,"a",@progbits
	.p2align	6, 0x0
	.amdhsa_kernel _ZN7rocprim17ROCPRIM_400000_NS6detail17trampoline_kernelINS0_13select_configILj256ELj13ELNS0_17block_load_methodE3ELS4_3ELS4_3ELNS0_20block_scan_algorithmE0ELj4294967295EEENS1_25partition_config_selectorILNS1_17partition_subalgoE3EjNS0_10empty_typeEbEEZZNS1_14partition_implILS8_3ELb0ES6_jNS0_17counting_iteratorIjlEEPS9_SE_NS0_5tupleIJPjSE_EEENSF_IJSE_SE_EEES9_SG_JZNS1_25segmented_radix_sort_implINS0_14default_configELb0EPKhPhPKlPlN2at6native12_GLOBAL__N_18offset_tEEE10hipError_tPvRmT1_PNSt15iterator_traitsISY_E10value_typeET2_T3_PNSZ_IS14_E10value_typeET4_jRbjT5_S1A_jjP12ihipStream_tbEUljE_EEESV_SW_SX_S14_S18_S1A_T6_T7_T9_mT8_S1C_bDpT10_ENKUlT_T0_E_clISt17integral_constantIbLb0EES1P_EEDaS1K_S1L_EUlS1K_E_NS1_11comp_targetILNS1_3genE0ELNS1_11target_archE4294967295ELNS1_3gpuE0ELNS1_3repE0EEENS1_30default_config_static_selectorELNS0_4arch9wavefront6targetE1EEEvSY_
		.amdhsa_group_segment_fixed_size 0
		.amdhsa_private_segment_fixed_size 0
		.amdhsa_kernarg_size 144
		.amdhsa_user_sgpr_count 6
		.amdhsa_user_sgpr_private_segment_buffer 1
		.amdhsa_user_sgpr_dispatch_ptr 0
		.amdhsa_user_sgpr_queue_ptr 0
		.amdhsa_user_sgpr_kernarg_segment_ptr 1
		.amdhsa_user_sgpr_dispatch_id 0
		.amdhsa_user_sgpr_flat_scratch_init 0
		.amdhsa_user_sgpr_kernarg_preload_length 0
		.amdhsa_user_sgpr_kernarg_preload_offset 0
		.amdhsa_user_sgpr_private_segment_size 0
		.amdhsa_uses_dynamic_stack 0
		.amdhsa_system_sgpr_private_segment_wavefront_offset 0
		.amdhsa_system_sgpr_workgroup_id_x 1
		.amdhsa_system_sgpr_workgroup_id_y 0
		.amdhsa_system_sgpr_workgroup_id_z 0
		.amdhsa_system_sgpr_workgroup_info 0
		.amdhsa_system_vgpr_workitem_id 0
		.amdhsa_next_free_vgpr 1
		.amdhsa_next_free_sgpr 0
		.amdhsa_accum_offset 4
		.amdhsa_reserve_vcc 0
		.amdhsa_reserve_flat_scratch 0
		.amdhsa_float_round_mode_32 0
		.amdhsa_float_round_mode_16_64 0
		.amdhsa_float_denorm_mode_32 3
		.amdhsa_float_denorm_mode_16_64 3
		.amdhsa_dx10_clamp 1
		.amdhsa_ieee_mode 1
		.amdhsa_fp16_overflow 0
		.amdhsa_tg_split 0
		.amdhsa_exception_fp_ieee_invalid_op 0
		.amdhsa_exception_fp_denorm_src 0
		.amdhsa_exception_fp_ieee_div_zero 0
		.amdhsa_exception_fp_ieee_overflow 0
		.amdhsa_exception_fp_ieee_underflow 0
		.amdhsa_exception_fp_ieee_inexact 0
		.amdhsa_exception_int_div_zero 0
	.end_amdhsa_kernel
	.section	.text._ZN7rocprim17ROCPRIM_400000_NS6detail17trampoline_kernelINS0_13select_configILj256ELj13ELNS0_17block_load_methodE3ELS4_3ELS4_3ELNS0_20block_scan_algorithmE0ELj4294967295EEENS1_25partition_config_selectorILNS1_17partition_subalgoE3EjNS0_10empty_typeEbEEZZNS1_14partition_implILS8_3ELb0ES6_jNS0_17counting_iteratorIjlEEPS9_SE_NS0_5tupleIJPjSE_EEENSF_IJSE_SE_EEES9_SG_JZNS1_25segmented_radix_sort_implINS0_14default_configELb0EPKhPhPKlPlN2at6native12_GLOBAL__N_18offset_tEEE10hipError_tPvRmT1_PNSt15iterator_traitsISY_E10value_typeET2_T3_PNSZ_IS14_E10value_typeET4_jRbjT5_S1A_jjP12ihipStream_tbEUljE_EEESV_SW_SX_S14_S18_S1A_T6_T7_T9_mT8_S1C_bDpT10_ENKUlT_T0_E_clISt17integral_constantIbLb0EES1P_EEDaS1K_S1L_EUlS1K_E_NS1_11comp_targetILNS1_3genE0ELNS1_11target_archE4294967295ELNS1_3gpuE0ELNS1_3repE0EEENS1_30default_config_static_selectorELNS0_4arch9wavefront6targetE1EEEvSY_,"axG",@progbits,_ZN7rocprim17ROCPRIM_400000_NS6detail17trampoline_kernelINS0_13select_configILj256ELj13ELNS0_17block_load_methodE3ELS4_3ELS4_3ELNS0_20block_scan_algorithmE0ELj4294967295EEENS1_25partition_config_selectorILNS1_17partition_subalgoE3EjNS0_10empty_typeEbEEZZNS1_14partition_implILS8_3ELb0ES6_jNS0_17counting_iteratorIjlEEPS9_SE_NS0_5tupleIJPjSE_EEENSF_IJSE_SE_EEES9_SG_JZNS1_25segmented_radix_sort_implINS0_14default_configELb0EPKhPhPKlPlN2at6native12_GLOBAL__N_18offset_tEEE10hipError_tPvRmT1_PNSt15iterator_traitsISY_E10value_typeET2_T3_PNSZ_IS14_E10value_typeET4_jRbjT5_S1A_jjP12ihipStream_tbEUljE_EEESV_SW_SX_S14_S18_S1A_T6_T7_T9_mT8_S1C_bDpT10_ENKUlT_T0_E_clISt17integral_constantIbLb0EES1P_EEDaS1K_S1L_EUlS1K_E_NS1_11comp_targetILNS1_3genE0ELNS1_11target_archE4294967295ELNS1_3gpuE0ELNS1_3repE0EEENS1_30default_config_static_selectorELNS0_4arch9wavefront6targetE1EEEvSY_,comdat
.Lfunc_end154:
	.size	_ZN7rocprim17ROCPRIM_400000_NS6detail17trampoline_kernelINS0_13select_configILj256ELj13ELNS0_17block_load_methodE3ELS4_3ELS4_3ELNS0_20block_scan_algorithmE0ELj4294967295EEENS1_25partition_config_selectorILNS1_17partition_subalgoE3EjNS0_10empty_typeEbEEZZNS1_14partition_implILS8_3ELb0ES6_jNS0_17counting_iteratorIjlEEPS9_SE_NS0_5tupleIJPjSE_EEENSF_IJSE_SE_EEES9_SG_JZNS1_25segmented_radix_sort_implINS0_14default_configELb0EPKhPhPKlPlN2at6native12_GLOBAL__N_18offset_tEEE10hipError_tPvRmT1_PNSt15iterator_traitsISY_E10value_typeET2_T3_PNSZ_IS14_E10value_typeET4_jRbjT5_S1A_jjP12ihipStream_tbEUljE_EEESV_SW_SX_S14_S18_S1A_T6_T7_T9_mT8_S1C_bDpT10_ENKUlT_T0_E_clISt17integral_constantIbLb0EES1P_EEDaS1K_S1L_EUlS1K_E_NS1_11comp_targetILNS1_3genE0ELNS1_11target_archE4294967295ELNS1_3gpuE0ELNS1_3repE0EEENS1_30default_config_static_selectorELNS0_4arch9wavefront6targetE1EEEvSY_, .Lfunc_end154-_ZN7rocprim17ROCPRIM_400000_NS6detail17trampoline_kernelINS0_13select_configILj256ELj13ELNS0_17block_load_methodE3ELS4_3ELS4_3ELNS0_20block_scan_algorithmE0ELj4294967295EEENS1_25partition_config_selectorILNS1_17partition_subalgoE3EjNS0_10empty_typeEbEEZZNS1_14partition_implILS8_3ELb0ES6_jNS0_17counting_iteratorIjlEEPS9_SE_NS0_5tupleIJPjSE_EEENSF_IJSE_SE_EEES9_SG_JZNS1_25segmented_radix_sort_implINS0_14default_configELb0EPKhPhPKlPlN2at6native12_GLOBAL__N_18offset_tEEE10hipError_tPvRmT1_PNSt15iterator_traitsISY_E10value_typeET2_T3_PNSZ_IS14_E10value_typeET4_jRbjT5_S1A_jjP12ihipStream_tbEUljE_EEESV_SW_SX_S14_S18_S1A_T6_T7_T9_mT8_S1C_bDpT10_ENKUlT_T0_E_clISt17integral_constantIbLb0EES1P_EEDaS1K_S1L_EUlS1K_E_NS1_11comp_targetILNS1_3genE0ELNS1_11target_archE4294967295ELNS1_3gpuE0ELNS1_3repE0EEENS1_30default_config_static_selectorELNS0_4arch9wavefront6targetE1EEEvSY_
                                        ; -- End function
	.section	.AMDGPU.csdata,"",@progbits
; Kernel info:
; codeLenInByte = 0
; NumSgprs: 4
; NumVgprs: 0
; NumAgprs: 0
; TotalNumVgprs: 0
; ScratchSize: 0
; MemoryBound: 0
; FloatMode: 240
; IeeeMode: 1
; LDSByteSize: 0 bytes/workgroup (compile time only)
; SGPRBlocks: 0
; VGPRBlocks: 0
; NumSGPRsForWavesPerEU: 4
; NumVGPRsForWavesPerEU: 1
; AccumOffset: 4
; Occupancy: 8
; WaveLimiterHint : 0
; COMPUTE_PGM_RSRC2:SCRATCH_EN: 0
; COMPUTE_PGM_RSRC2:USER_SGPR: 6
; COMPUTE_PGM_RSRC2:TRAP_HANDLER: 0
; COMPUTE_PGM_RSRC2:TGID_X_EN: 1
; COMPUTE_PGM_RSRC2:TGID_Y_EN: 0
; COMPUTE_PGM_RSRC2:TGID_Z_EN: 0
; COMPUTE_PGM_RSRC2:TIDIG_COMP_CNT: 0
; COMPUTE_PGM_RSRC3_GFX90A:ACCUM_OFFSET: 0
; COMPUTE_PGM_RSRC3_GFX90A:TG_SPLIT: 0
	.section	.text._ZN7rocprim17ROCPRIM_400000_NS6detail17trampoline_kernelINS0_13select_configILj256ELj13ELNS0_17block_load_methodE3ELS4_3ELS4_3ELNS0_20block_scan_algorithmE0ELj4294967295EEENS1_25partition_config_selectorILNS1_17partition_subalgoE3EjNS0_10empty_typeEbEEZZNS1_14partition_implILS8_3ELb0ES6_jNS0_17counting_iteratorIjlEEPS9_SE_NS0_5tupleIJPjSE_EEENSF_IJSE_SE_EEES9_SG_JZNS1_25segmented_radix_sort_implINS0_14default_configELb0EPKhPhPKlPlN2at6native12_GLOBAL__N_18offset_tEEE10hipError_tPvRmT1_PNSt15iterator_traitsISY_E10value_typeET2_T3_PNSZ_IS14_E10value_typeET4_jRbjT5_S1A_jjP12ihipStream_tbEUljE_EEESV_SW_SX_S14_S18_S1A_T6_T7_T9_mT8_S1C_bDpT10_ENKUlT_T0_E_clISt17integral_constantIbLb0EES1P_EEDaS1K_S1L_EUlS1K_E_NS1_11comp_targetILNS1_3genE5ELNS1_11target_archE942ELNS1_3gpuE9ELNS1_3repE0EEENS1_30default_config_static_selectorELNS0_4arch9wavefront6targetE1EEEvSY_,"axG",@progbits,_ZN7rocprim17ROCPRIM_400000_NS6detail17trampoline_kernelINS0_13select_configILj256ELj13ELNS0_17block_load_methodE3ELS4_3ELS4_3ELNS0_20block_scan_algorithmE0ELj4294967295EEENS1_25partition_config_selectorILNS1_17partition_subalgoE3EjNS0_10empty_typeEbEEZZNS1_14partition_implILS8_3ELb0ES6_jNS0_17counting_iteratorIjlEEPS9_SE_NS0_5tupleIJPjSE_EEENSF_IJSE_SE_EEES9_SG_JZNS1_25segmented_radix_sort_implINS0_14default_configELb0EPKhPhPKlPlN2at6native12_GLOBAL__N_18offset_tEEE10hipError_tPvRmT1_PNSt15iterator_traitsISY_E10value_typeET2_T3_PNSZ_IS14_E10value_typeET4_jRbjT5_S1A_jjP12ihipStream_tbEUljE_EEESV_SW_SX_S14_S18_S1A_T6_T7_T9_mT8_S1C_bDpT10_ENKUlT_T0_E_clISt17integral_constantIbLb0EES1P_EEDaS1K_S1L_EUlS1K_E_NS1_11comp_targetILNS1_3genE5ELNS1_11target_archE942ELNS1_3gpuE9ELNS1_3repE0EEENS1_30default_config_static_selectorELNS0_4arch9wavefront6targetE1EEEvSY_,comdat
	.globl	_ZN7rocprim17ROCPRIM_400000_NS6detail17trampoline_kernelINS0_13select_configILj256ELj13ELNS0_17block_load_methodE3ELS4_3ELS4_3ELNS0_20block_scan_algorithmE0ELj4294967295EEENS1_25partition_config_selectorILNS1_17partition_subalgoE3EjNS0_10empty_typeEbEEZZNS1_14partition_implILS8_3ELb0ES6_jNS0_17counting_iteratorIjlEEPS9_SE_NS0_5tupleIJPjSE_EEENSF_IJSE_SE_EEES9_SG_JZNS1_25segmented_radix_sort_implINS0_14default_configELb0EPKhPhPKlPlN2at6native12_GLOBAL__N_18offset_tEEE10hipError_tPvRmT1_PNSt15iterator_traitsISY_E10value_typeET2_T3_PNSZ_IS14_E10value_typeET4_jRbjT5_S1A_jjP12ihipStream_tbEUljE_EEESV_SW_SX_S14_S18_S1A_T6_T7_T9_mT8_S1C_bDpT10_ENKUlT_T0_E_clISt17integral_constantIbLb0EES1P_EEDaS1K_S1L_EUlS1K_E_NS1_11comp_targetILNS1_3genE5ELNS1_11target_archE942ELNS1_3gpuE9ELNS1_3repE0EEENS1_30default_config_static_selectorELNS0_4arch9wavefront6targetE1EEEvSY_ ; -- Begin function _ZN7rocprim17ROCPRIM_400000_NS6detail17trampoline_kernelINS0_13select_configILj256ELj13ELNS0_17block_load_methodE3ELS4_3ELS4_3ELNS0_20block_scan_algorithmE0ELj4294967295EEENS1_25partition_config_selectorILNS1_17partition_subalgoE3EjNS0_10empty_typeEbEEZZNS1_14partition_implILS8_3ELb0ES6_jNS0_17counting_iteratorIjlEEPS9_SE_NS0_5tupleIJPjSE_EEENSF_IJSE_SE_EEES9_SG_JZNS1_25segmented_radix_sort_implINS0_14default_configELb0EPKhPhPKlPlN2at6native12_GLOBAL__N_18offset_tEEE10hipError_tPvRmT1_PNSt15iterator_traitsISY_E10value_typeET2_T3_PNSZ_IS14_E10value_typeET4_jRbjT5_S1A_jjP12ihipStream_tbEUljE_EEESV_SW_SX_S14_S18_S1A_T6_T7_T9_mT8_S1C_bDpT10_ENKUlT_T0_E_clISt17integral_constantIbLb0EES1P_EEDaS1K_S1L_EUlS1K_E_NS1_11comp_targetILNS1_3genE5ELNS1_11target_archE942ELNS1_3gpuE9ELNS1_3repE0EEENS1_30default_config_static_selectorELNS0_4arch9wavefront6targetE1EEEvSY_
	.p2align	8
	.type	_ZN7rocprim17ROCPRIM_400000_NS6detail17trampoline_kernelINS0_13select_configILj256ELj13ELNS0_17block_load_methodE3ELS4_3ELS4_3ELNS0_20block_scan_algorithmE0ELj4294967295EEENS1_25partition_config_selectorILNS1_17partition_subalgoE3EjNS0_10empty_typeEbEEZZNS1_14partition_implILS8_3ELb0ES6_jNS0_17counting_iteratorIjlEEPS9_SE_NS0_5tupleIJPjSE_EEENSF_IJSE_SE_EEES9_SG_JZNS1_25segmented_radix_sort_implINS0_14default_configELb0EPKhPhPKlPlN2at6native12_GLOBAL__N_18offset_tEEE10hipError_tPvRmT1_PNSt15iterator_traitsISY_E10value_typeET2_T3_PNSZ_IS14_E10value_typeET4_jRbjT5_S1A_jjP12ihipStream_tbEUljE_EEESV_SW_SX_S14_S18_S1A_T6_T7_T9_mT8_S1C_bDpT10_ENKUlT_T0_E_clISt17integral_constantIbLb0EES1P_EEDaS1K_S1L_EUlS1K_E_NS1_11comp_targetILNS1_3genE5ELNS1_11target_archE942ELNS1_3gpuE9ELNS1_3repE0EEENS1_30default_config_static_selectorELNS0_4arch9wavefront6targetE1EEEvSY_,@function
_ZN7rocprim17ROCPRIM_400000_NS6detail17trampoline_kernelINS0_13select_configILj256ELj13ELNS0_17block_load_methodE3ELS4_3ELS4_3ELNS0_20block_scan_algorithmE0ELj4294967295EEENS1_25partition_config_selectorILNS1_17partition_subalgoE3EjNS0_10empty_typeEbEEZZNS1_14partition_implILS8_3ELb0ES6_jNS0_17counting_iteratorIjlEEPS9_SE_NS0_5tupleIJPjSE_EEENSF_IJSE_SE_EEES9_SG_JZNS1_25segmented_radix_sort_implINS0_14default_configELb0EPKhPhPKlPlN2at6native12_GLOBAL__N_18offset_tEEE10hipError_tPvRmT1_PNSt15iterator_traitsISY_E10value_typeET2_T3_PNSZ_IS14_E10value_typeET4_jRbjT5_S1A_jjP12ihipStream_tbEUljE_EEESV_SW_SX_S14_S18_S1A_T6_T7_T9_mT8_S1C_bDpT10_ENKUlT_T0_E_clISt17integral_constantIbLb0EES1P_EEDaS1K_S1L_EUlS1K_E_NS1_11comp_targetILNS1_3genE5ELNS1_11target_archE942ELNS1_3gpuE9ELNS1_3repE0EEENS1_30default_config_static_selectorELNS0_4arch9wavefront6targetE1EEEvSY_: ; @_ZN7rocprim17ROCPRIM_400000_NS6detail17trampoline_kernelINS0_13select_configILj256ELj13ELNS0_17block_load_methodE3ELS4_3ELS4_3ELNS0_20block_scan_algorithmE0ELj4294967295EEENS1_25partition_config_selectorILNS1_17partition_subalgoE3EjNS0_10empty_typeEbEEZZNS1_14partition_implILS8_3ELb0ES6_jNS0_17counting_iteratorIjlEEPS9_SE_NS0_5tupleIJPjSE_EEENSF_IJSE_SE_EEES9_SG_JZNS1_25segmented_radix_sort_implINS0_14default_configELb0EPKhPhPKlPlN2at6native12_GLOBAL__N_18offset_tEEE10hipError_tPvRmT1_PNSt15iterator_traitsISY_E10value_typeET2_T3_PNSZ_IS14_E10value_typeET4_jRbjT5_S1A_jjP12ihipStream_tbEUljE_EEESV_SW_SX_S14_S18_S1A_T6_T7_T9_mT8_S1C_bDpT10_ENKUlT_T0_E_clISt17integral_constantIbLb0EES1P_EEDaS1K_S1L_EUlS1K_E_NS1_11comp_targetILNS1_3genE5ELNS1_11target_archE942ELNS1_3gpuE9ELNS1_3repE0EEENS1_30default_config_static_selectorELNS0_4arch9wavefront6targetE1EEEvSY_
; %bb.0:
	.section	.rodata,"a",@progbits
	.p2align	6, 0x0
	.amdhsa_kernel _ZN7rocprim17ROCPRIM_400000_NS6detail17trampoline_kernelINS0_13select_configILj256ELj13ELNS0_17block_load_methodE3ELS4_3ELS4_3ELNS0_20block_scan_algorithmE0ELj4294967295EEENS1_25partition_config_selectorILNS1_17partition_subalgoE3EjNS0_10empty_typeEbEEZZNS1_14partition_implILS8_3ELb0ES6_jNS0_17counting_iteratorIjlEEPS9_SE_NS0_5tupleIJPjSE_EEENSF_IJSE_SE_EEES9_SG_JZNS1_25segmented_radix_sort_implINS0_14default_configELb0EPKhPhPKlPlN2at6native12_GLOBAL__N_18offset_tEEE10hipError_tPvRmT1_PNSt15iterator_traitsISY_E10value_typeET2_T3_PNSZ_IS14_E10value_typeET4_jRbjT5_S1A_jjP12ihipStream_tbEUljE_EEESV_SW_SX_S14_S18_S1A_T6_T7_T9_mT8_S1C_bDpT10_ENKUlT_T0_E_clISt17integral_constantIbLb0EES1P_EEDaS1K_S1L_EUlS1K_E_NS1_11comp_targetILNS1_3genE5ELNS1_11target_archE942ELNS1_3gpuE9ELNS1_3repE0EEENS1_30default_config_static_selectorELNS0_4arch9wavefront6targetE1EEEvSY_
		.amdhsa_group_segment_fixed_size 0
		.amdhsa_private_segment_fixed_size 0
		.amdhsa_kernarg_size 144
		.amdhsa_user_sgpr_count 6
		.amdhsa_user_sgpr_private_segment_buffer 1
		.amdhsa_user_sgpr_dispatch_ptr 0
		.amdhsa_user_sgpr_queue_ptr 0
		.amdhsa_user_sgpr_kernarg_segment_ptr 1
		.amdhsa_user_sgpr_dispatch_id 0
		.amdhsa_user_sgpr_flat_scratch_init 0
		.amdhsa_user_sgpr_kernarg_preload_length 0
		.amdhsa_user_sgpr_kernarg_preload_offset 0
		.amdhsa_user_sgpr_private_segment_size 0
		.amdhsa_uses_dynamic_stack 0
		.amdhsa_system_sgpr_private_segment_wavefront_offset 0
		.amdhsa_system_sgpr_workgroup_id_x 1
		.amdhsa_system_sgpr_workgroup_id_y 0
		.amdhsa_system_sgpr_workgroup_id_z 0
		.amdhsa_system_sgpr_workgroup_info 0
		.amdhsa_system_vgpr_workitem_id 0
		.amdhsa_next_free_vgpr 1
		.amdhsa_next_free_sgpr 0
		.amdhsa_accum_offset 4
		.amdhsa_reserve_vcc 0
		.amdhsa_reserve_flat_scratch 0
		.amdhsa_float_round_mode_32 0
		.amdhsa_float_round_mode_16_64 0
		.amdhsa_float_denorm_mode_32 3
		.amdhsa_float_denorm_mode_16_64 3
		.amdhsa_dx10_clamp 1
		.amdhsa_ieee_mode 1
		.amdhsa_fp16_overflow 0
		.amdhsa_tg_split 0
		.amdhsa_exception_fp_ieee_invalid_op 0
		.amdhsa_exception_fp_denorm_src 0
		.amdhsa_exception_fp_ieee_div_zero 0
		.amdhsa_exception_fp_ieee_overflow 0
		.amdhsa_exception_fp_ieee_underflow 0
		.amdhsa_exception_fp_ieee_inexact 0
		.amdhsa_exception_int_div_zero 0
	.end_amdhsa_kernel
	.section	.text._ZN7rocprim17ROCPRIM_400000_NS6detail17trampoline_kernelINS0_13select_configILj256ELj13ELNS0_17block_load_methodE3ELS4_3ELS4_3ELNS0_20block_scan_algorithmE0ELj4294967295EEENS1_25partition_config_selectorILNS1_17partition_subalgoE3EjNS0_10empty_typeEbEEZZNS1_14partition_implILS8_3ELb0ES6_jNS0_17counting_iteratorIjlEEPS9_SE_NS0_5tupleIJPjSE_EEENSF_IJSE_SE_EEES9_SG_JZNS1_25segmented_radix_sort_implINS0_14default_configELb0EPKhPhPKlPlN2at6native12_GLOBAL__N_18offset_tEEE10hipError_tPvRmT1_PNSt15iterator_traitsISY_E10value_typeET2_T3_PNSZ_IS14_E10value_typeET4_jRbjT5_S1A_jjP12ihipStream_tbEUljE_EEESV_SW_SX_S14_S18_S1A_T6_T7_T9_mT8_S1C_bDpT10_ENKUlT_T0_E_clISt17integral_constantIbLb0EES1P_EEDaS1K_S1L_EUlS1K_E_NS1_11comp_targetILNS1_3genE5ELNS1_11target_archE942ELNS1_3gpuE9ELNS1_3repE0EEENS1_30default_config_static_selectorELNS0_4arch9wavefront6targetE1EEEvSY_,"axG",@progbits,_ZN7rocprim17ROCPRIM_400000_NS6detail17trampoline_kernelINS0_13select_configILj256ELj13ELNS0_17block_load_methodE3ELS4_3ELS4_3ELNS0_20block_scan_algorithmE0ELj4294967295EEENS1_25partition_config_selectorILNS1_17partition_subalgoE3EjNS0_10empty_typeEbEEZZNS1_14partition_implILS8_3ELb0ES6_jNS0_17counting_iteratorIjlEEPS9_SE_NS0_5tupleIJPjSE_EEENSF_IJSE_SE_EEES9_SG_JZNS1_25segmented_radix_sort_implINS0_14default_configELb0EPKhPhPKlPlN2at6native12_GLOBAL__N_18offset_tEEE10hipError_tPvRmT1_PNSt15iterator_traitsISY_E10value_typeET2_T3_PNSZ_IS14_E10value_typeET4_jRbjT5_S1A_jjP12ihipStream_tbEUljE_EEESV_SW_SX_S14_S18_S1A_T6_T7_T9_mT8_S1C_bDpT10_ENKUlT_T0_E_clISt17integral_constantIbLb0EES1P_EEDaS1K_S1L_EUlS1K_E_NS1_11comp_targetILNS1_3genE5ELNS1_11target_archE942ELNS1_3gpuE9ELNS1_3repE0EEENS1_30default_config_static_selectorELNS0_4arch9wavefront6targetE1EEEvSY_,comdat
.Lfunc_end155:
	.size	_ZN7rocprim17ROCPRIM_400000_NS6detail17trampoline_kernelINS0_13select_configILj256ELj13ELNS0_17block_load_methodE3ELS4_3ELS4_3ELNS0_20block_scan_algorithmE0ELj4294967295EEENS1_25partition_config_selectorILNS1_17partition_subalgoE3EjNS0_10empty_typeEbEEZZNS1_14partition_implILS8_3ELb0ES6_jNS0_17counting_iteratorIjlEEPS9_SE_NS0_5tupleIJPjSE_EEENSF_IJSE_SE_EEES9_SG_JZNS1_25segmented_radix_sort_implINS0_14default_configELb0EPKhPhPKlPlN2at6native12_GLOBAL__N_18offset_tEEE10hipError_tPvRmT1_PNSt15iterator_traitsISY_E10value_typeET2_T3_PNSZ_IS14_E10value_typeET4_jRbjT5_S1A_jjP12ihipStream_tbEUljE_EEESV_SW_SX_S14_S18_S1A_T6_T7_T9_mT8_S1C_bDpT10_ENKUlT_T0_E_clISt17integral_constantIbLb0EES1P_EEDaS1K_S1L_EUlS1K_E_NS1_11comp_targetILNS1_3genE5ELNS1_11target_archE942ELNS1_3gpuE9ELNS1_3repE0EEENS1_30default_config_static_selectorELNS0_4arch9wavefront6targetE1EEEvSY_, .Lfunc_end155-_ZN7rocprim17ROCPRIM_400000_NS6detail17trampoline_kernelINS0_13select_configILj256ELj13ELNS0_17block_load_methodE3ELS4_3ELS4_3ELNS0_20block_scan_algorithmE0ELj4294967295EEENS1_25partition_config_selectorILNS1_17partition_subalgoE3EjNS0_10empty_typeEbEEZZNS1_14partition_implILS8_3ELb0ES6_jNS0_17counting_iteratorIjlEEPS9_SE_NS0_5tupleIJPjSE_EEENSF_IJSE_SE_EEES9_SG_JZNS1_25segmented_radix_sort_implINS0_14default_configELb0EPKhPhPKlPlN2at6native12_GLOBAL__N_18offset_tEEE10hipError_tPvRmT1_PNSt15iterator_traitsISY_E10value_typeET2_T3_PNSZ_IS14_E10value_typeET4_jRbjT5_S1A_jjP12ihipStream_tbEUljE_EEESV_SW_SX_S14_S18_S1A_T6_T7_T9_mT8_S1C_bDpT10_ENKUlT_T0_E_clISt17integral_constantIbLb0EES1P_EEDaS1K_S1L_EUlS1K_E_NS1_11comp_targetILNS1_3genE5ELNS1_11target_archE942ELNS1_3gpuE9ELNS1_3repE0EEENS1_30default_config_static_selectorELNS0_4arch9wavefront6targetE1EEEvSY_
                                        ; -- End function
	.section	.AMDGPU.csdata,"",@progbits
; Kernel info:
; codeLenInByte = 0
; NumSgprs: 4
; NumVgprs: 0
; NumAgprs: 0
; TotalNumVgprs: 0
; ScratchSize: 0
; MemoryBound: 0
; FloatMode: 240
; IeeeMode: 1
; LDSByteSize: 0 bytes/workgroup (compile time only)
; SGPRBlocks: 0
; VGPRBlocks: 0
; NumSGPRsForWavesPerEU: 4
; NumVGPRsForWavesPerEU: 1
; AccumOffset: 4
; Occupancy: 8
; WaveLimiterHint : 0
; COMPUTE_PGM_RSRC2:SCRATCH_EN: 0
; COMPUTE_PGM_RSRC2:USER_SGPR: 6
; COMPUTE_PGM_RSRC2:TRAP_HANDLER: 0
; COMPUTE_PGM_RSRC2:TGID_X_EN: 1
; COMPUTE_PGM_RSRC2:TGID_Y_EN: 0
; COMPUTE_PGM_RSRC2:TGID_Z_EN: 0
; COMPUTE_PGM_RSRC2:TIDIG_COMP_CNT: 0
; COMPUTE_PGM_RSRC3_GFX90A:ACCUM_OFFSET: 0
; COMPUTE_PGM_RSRC3_GFX90A:TG_SPLIT: 0
	.section	.text._ZN7rocprim17ROCPRIM_400000_NS6detail17trampoline_kernelINS0_13select_configILj256ELj13ELNS0_17block_load_methodE3ELS4_3ELS4_3ELNS0_20block_scan_algorithmE0ELj4294967295EEENS1_25partition_config_selectorILNS1_17partition_subalgoE3EjNS0_10empty_typeEbEEZZNS1_14partition_implILS8_3ELb0ES6_jNS0_17counting_iteratorIjlEEPS9_SE_NS0_5tupleIJPjSE_EEENSF_IJSE_SE_EEES9_SG_JZNS1_25segmented_radix_sort_implINS0_14default_configELb0EPKhPhPKlPlN2at6native12_GLOBAL__N_18offset_tEEE10hipError_tPvRmT1_PNSt15iterator_traitsISY_E10value_typeET2_T3_PNSZ_IS14_E10value_typeET4_jRbjT5_S1A_jjP12ihipStream_tbEUljE_EEESV_SW_SX_S14_S18_S1A_T6_T7_T9_mT8_S1C_bDpT10_ENKUlT_T0_E_clISt17integral_constantIbLb0EES1P_EEDaS1K_S1L_EUlS1K_E_NS1_11comp_targetILNS1_3genE4ELNS1_11target_archE910ELNS1_3gpuE8ELNS1_3repE0EEENS1_30default_config_static_selectorELNS0_4arch9wavefront6targetE1EEEvSY_,"axG",@progbits,_ZN7rocprim17ROCPRIM_400000_NS6detail17trampoline_kernelINS0_13select_configILj256ELj13ELNS0_17block_load_methodE3ELS4_3ELS4_3ELNS0_20block_scan_algorithmE0ELj4294967295EEENS1_25partition_config_selectorILNS1_17partition_subalgoE3EjNS0_10empty_typeEbEEZZNS1_14partition_implILS8_3ELb0ES6_jNS0_17counting_iteratorIjlEEPS9_SE_NS0_5tupleIJPjSE_EEENSF_IJSE_SE_EEES9_SG_JZNS1_25segmented_radix_sort_implINS0_14default_configELb0EPKhPhPKlPlN2at6native12_GLOBAL__N_18offset_tEEE10hipError_tPvRmT1_PNSt15iterator_traitsISY_E10value_typeET2_T3_PNSZ_IS14_E10value_typeET4_jRbjT5_S1A_jjP12ihipStream_tbEUljE_EEESV_SW_SX_S14_S18_S1A_T6_T7_T9_mT8_S1C_bDpT10_ENKUlT_T0_E_clISt17integral_constantIbLb0EES1P_EEDaS1K_S1L_EUlS1K_E_NS1_11comp_targetILNS1_3genE4ELNS1_11target_archE910ELNS1_3gpuE8ELNS1_3repE0EEENS1_30default_config_static_selectorELNS0_4arch9wavefront6targetE1EEEvSY_,comdat
	.globl	_ZN7rocprim17ROCPRIM_400000_NS6detail17trampoline_kernelINS0_13select_configILj256ELj13ELNS0_17block_load_methodE3ELS4_3ELS4_3ELNS0_20block_scan_algorithmE0ELj4294967295EEENS1_25partition_config_selectorILNS1_17partition_subalgoE3EjNS0_10empty_typeEbEEZZNS1_14partition_implILS8_3ELb0ES6_jNS0_17counting_iteratorIjlEEPS9_SE_NS0_5tupleIJPjSE_EEENSF_IJSE_SE_EEES9_SG_JZNS1_25segmented_radix_sort_implINS0_14default_configELb0EPKhPhPKlPlN2at6native12_GLOBAL__N_18offset_tEEE10hipError_tPvRmT1_PNSt15iterator_traitsISY_E10value_typeET2_T3_PNSZ_IS14_E10value_typeET4_jRbjT5_S1A_jjP12ihipStream_tbEUljE_EEESV_SW_SX_S14_S18_S1A_T6_T7_T9_mT8_S1C_bDpT10_ENKUlT_T0_E_clISt17integral_constantIbLb0EES1P_EEDaS1K_S1L_EUlS1K_E_NS1_11comp_targetILNS1_3genE4ELNS1_11target_archE910ELNS1_3gpuE8ELNS1_3repE0EEENS1_30default_config_static_selectorELNS0_4arch9wavefront6targetE1EEEvSY_ ; -- Begin function _ZN7rocprim17ROCPRIM_400000_NS6detail17trampoline_kernelINS0_13select_configILj256ELj13ELNS0_17block_load_methodE3ELS4_3ELS4_3ELNS0_20block_scan_algorithmE0ELj4294967295EEENS1_25partition_config_selectorILNS1_17partition_subalgoE3EjNS0_10empty_typeEbEEZZNS1_14partition_implILS8_3ELb0ES6_jNS0_17counting_iteratorIjlEEPS9_SE_NS0_5tupleIJPjSE_EEENSF_IJSE_SE_EEES9_SG_JZNS1_25segmented_radix_sort_implINS0_14default_configELb0EPKhPhPKlPlN2at6native12_GLOBAL__N_18offset_tEEE10hipError_tPvRmT1_PNSt15iterator_traitsISY_E10value_typeET2_T3_PNSZ_IS14_E10value_typeET4_jRbjT5_S1A_jjP12ihipStream_tbEUljE_EEESV_SW_SX_S14_S18_S1A_T6_T7_T9_mT8_S1C_bDpT10_ENKUlT_T0_E_clISt17integral_constantIbLb0EES1P_EEDaS1K_S1L_EUlS1K_E_NS1_11comp_targetILNS1_3genE4ELNS1_11target_archE910ELNS1_3gpuE8ELNS1_3repE0EEENS1_30default_config_static_selectorELNS0_4arch9wavefront6targetE1EEEvSY_
	.p2align	8
	.type	_ZN7rocprim17ROCPRIM_400000_NS6detail17trampoline_kernelINS0_13select_configILj256ELj13ELNS0_17block_load_methodE3ELS4_3ELS4_3ELNS0_20block_scan_algorithmE0ELj4294967295EEENS1_25partition_config_selectorILNS1_17partition_subalgoE3EjNS0_10empty_typeEbEEZZNS1_14partition_implILS8_3ELb0ES6_jNS0_17counting_iteratorIjlEEPS9_SE_NS0_5tupleIJPjSE_EEENSF_IJSE_SE_EEES9_SG_JZNS1_25segmented_radix_sort_implINS0_14default_configELb0EPKhPhPKlPlN2at6native12_GLOBAL__N_18offset_tEEE10hipError_tPvRmT1_PNSt15iterator_traitsISY_E10value_typeET2_T3_PNSZ_IS14_E10value_typeET4_jRbjT5_S1A_jjP12ihipStream_tbEUljE_EEESV_SW_SX_S14_S18_S1A_T6_T7_T9_mT8_S1C_bDpT10_ENKUlT_T0_E_clISt17integral_constantIbLb0EES1P_EEDaS1K_S1L_EUlS1K_E_NS1_11comp_targetILNS1_3genE4ELNS1_11target_archE910ELNS1_3gpuE8ELNS1_3repE0EEENS1_30default_config_static_selectorELNS0_4arch9wavefront6targetE1EEEvSY_,@function
_ZN7rocprim17ROCPRIM_400000_NS6detail17trampoline_kernelINS0_13select_configILj256ELj13ELNS0_17block_load_methodE3ELS4_3ELS4_3ELNS0_20block_scan_algorithmE0ELj4294967295EEENS1_25partition_config_selectorILNS1_17partition_subalgoE3EjNS0_10empty_typeEbEEZZNS1_14partition_implILS8_3ELb0ES6_jNS0_17counting_iteratorIjlEEPS9_SE_NS0_5tupleIJPjSE_EEENSF_IJSE_SE_EEES9_SG_JZNS1_25segmented_radix_sort_implINS0_14default_configELb0EPKhPhPKlPlN2at6native12_GLOBAL__N_18offset_tEEE10hipError_tPvRmT1_PNSt15iterator_traitsISY_E10value_typeET2_T3_PNSZ_IS14_E10value_typeET4_jRbjT5_S1A_jjP12ihipStream_tbEUljE_EEESV_SW_SX_S14_S18_S1A_T6_T7_T9_mT8_S1C_bDpT10_ENKUlT_T0_E_clISt17integral_constantIbLb0EES1P_EEDaS1K_S1L_EUlS1K_E_NS1_11comp_targetILNS1_3genE4ELNS1_11target_archE910ELNS1_3gpuE8ELNS1_3repE0EEENS1_30default_config_static_selectorELNS0_4arch9wavefront6targetE1EEEvSY_: ; @_ZN7rocprim17ROCPRIM_400000_NS6detail17trampoline_kernelINS0_13select_configILj256ELj13ELNS0_17block_load_methodE3ELS4_3ELS4_3ELNS0_20block_scan_algorithmE0ELj4294967295EEENS1_25partition_config_selectorILNS1_17partition_subalgoE3EjNS0_10empty_typeEbEEZZNS1_14partition_implILS8_3ELb0ES6_jNS0_17counting_iteratorIjlEEPS9_SE_NS0_5tupleIJPjSE_EEENSF_IJSE_SE_EEES9_SG_JZNS1_25segmented_radix_sort_implINS0_14default_configELb0EPKhPhPKlPlN2at6native12_GLOBAL__N_18offset_tEEE10hipError_tPvRmT1_PNSt15iterator_traitsISY_E10value_typeET2_T3_PNSZ_IS14_E10value_typeET4_jRbjT5_S1A_jjP12ihipStream_tbEUljE_EEESV_SW_SX_S14_S18_S1A_T6_T7_T9_mT8_S1C_bDpT10_ENKUlT_T0_E_clISt17integral_constantIbLb0EES1P_EEDaS1K_S1L_EUlS1K_E_NS1_11comp_targetILNS1_3genE4ELNS1_11target_archE910ELNS1_3gpuE8ELNS1_3repE0EEENS1_30default_config_static_selectorELNS0_4arch9wavefront6targetE1EEEvSY_
; %bb.0:
	s_load_dwordx2 s[26:27], s[4:5], 0x58
	s_load_dwordx4 s[20:23], s[4:5], 0x48
	s_load_dword s13, s[4:5], 0x8
	s_load_dwordx2 s[28:29], s[4:5], 0x10
	s_load_dword s12, s[4:5], 0x70
	s_load_dword s7, s[4:5], 0x88
	s_load_dwordx4 s[8:11], s[4:5], 0x78
	s_waitcnt lgkmcnt(0)
	s_load_dwordx2 s[30:31], s[22:23], 0x0
	v_pk_mov_b32 v[2:3], s[26:27], s[26:27] op_sel:[0,1]
	s_add_i32 s2, s12, -1
	s_mulk_i32 s12, 0xd00
	s_add_u32 s0, s28, s12
	s_addc_u32 s1, s29, 0
	s_cmp_eq_u32 s6, s2
	s_cselect_b64 s[22:23], -1, 0
	s_cmp_lg_u32 s6, s2
	s_mul_i32 s42, s6, 0xd00
	v_cmp_lt_u64_e32 vcc, s[0:1], v[2:3]
	s_cselect_b64 s[0:1], -1, 0
	s_or_b64 s[2:3], s[0:1], vcc
	s_add_i32 s0, s13, s42
	s_add_i32 s0, s0, s28
	v_add_u32_e32 v2, s0, v0
	s_mov_b64 s[0:1], -1
	s_and_b64 vcc, exec, s[2:3]
	v_lshlrev_b32_e32 v1, 2, v0
	s_cbranch_vccz .LBB156_2
; %bb.1:
	v_add_u32_e32 v3, 0x100, v2
	v_add_u32_e32 v4, 0x200, v2
	;; [unrolled: 1-line block ×12, first 2 shown]
	ds_write2st64_b32 v1, v2, v3 offset1:4
	ds_write2st64_b32 v1, v4, v5 offset0:8 offset1:12
	ds_write2st64_b32 v1, v6, v7 offset0:16 offset1:20
	;; [unrolled: 1-line block ×5, first 2 shown]
	ds_write_b32 v1, v14 offset:12288
	s_waitcnt lgkmcnt(0)
	s_barrier
	s_mov_b64 s[0:1], 0
.LBB156_2:
	s_andn2_b64 vcc, exec, s[0:1]
	s_add_i32 s12, s12, s28
	s_cbranch_vccnz .LBB156_4
; %bb.3:
	v_add_u32_e32 v3, 0x100, v2
	v_add_u32_e32 v4, 0x200, v2
	v_add_u32_e32 v5, 0x300, v2
	v_add_u32_e32 v6, 0x400, v2
	v_add_u32_e32 v7, 0x500, v2
	v_add_u32_e32 v8, 0x600, v2
	v_add_u32_e32 v9, 0x700, v2
	v_add_u32_e32 v10, 0x800, v2
	v_add_u32_e32 v11, 0x900, v2
	v_add_u32_e32 v12, 0xa00, v2
	v_add_u32_e32 v13, 0xb00, v2
	v_add_u32_e32 v14, 0xc00, v2
	ds_write2st64_b32 v1, v2, v3 offset1:4
	ds_write2st64_b32 v1, v4, v5 offset0:8 offset1:12
	ds_write2st64_b32 v1, v6, v7 offset0:16 offset1:20
	ds_write2st64_b32 v1, v8, v9 offset0:24 offset1:28
	ds_write2st64_b32 v1, v10, v11 offset0:32 offset1:36
	ds_write2st64_b32 v1, v12, v13 offset0:40 offset1:44
	ds_write_b32 v1, v14 offset:12288
	s_waitcnt lgkmcnt(0)
	s_barrier
.LBB156_4:
	v_mul_u32_u24_e32 v33, 13, v0
	v_lshlrev_b32_e32 v2, 2, v33
	s_waitcnt lgkmcnt(0)
	ds_read2_b32 v[30:31], v2 offset1:1
	ds_read2_b32 v[28:29], v2 offset0:2 offset1:3
	ds_read2_b32 v[26:27], v2 offset0:4 offset1:5
	;; [unrolled: 1-line block ×5, first 2 shown]
	ds_read_b32 v32, v2 offset:48
	v_cndmask_b32_e64 v2, 0, 1, s[2:3]
	s_sub_i32 s33, s26, s12
	v_cmp_ne_u32_e64 s[0:1], 1, v2
	s_andn2_b64 vcc, exec, s[2:3]
	s_waitcnt lgkmcnt(0)
	s_barrier
	s_cbranch_vccnz .LBB156_6
; %bb.5:
	v_add_u32_e32 v2, s9, v30
	v_add_u32_e32 v3, s11, v30
	v_mul_lo_u32 v2, v2, s8
	v_mul_lo_u32 v3, v3, s10
	v_sub_u32_e32 v2, v2, v3
	v_add_u32_e32 v3, s9, v31
	v_add_u32_e32 v4, s11, v31
	v_mul_lo_u32 v3, v3, s8
	v_mul_lo_u32 v4, v4, s10
	v_sub_u32_e32 v3, v3, v4
	;; [unrolled: 5-line block ×6, first 2 shown]
	v_add_u32_e32 v8, s9, v24
	v_add_u32_e32 v9, s11, v24
	v_mul_lo_u32 v8, v8, s8
	v_mul_lo_u32 v9, v9, s10
	v_cmp_lt_u32_e32 vcc, s7, v2
	v_sub_u32_e32 v8, v8, v9
	v_add_u32_e32 v9, s9, v25
	v_add_u32_e32 v10, s11, v25
	v_cndmask_b32_e64 v2, 0, 1, vcc
	v_cmp_lt_u32_e32 vcc, s7, v3
	v_mul_lo_u32 v9, v9, s8
	v_mul_lo_u32 v10, v10, s10
	v_cndmask_b32_e64 v3, 0, 1, vcc
	v_cmp_lt_u32_e32 vcc, s7, v4
	v_sub_u32_e32 v9, v9, v10
	v_add_u32_e32 v10, s9, v22
	v_add_u32_e32 v11, s11, v22
	v_cndmask_b32_e64 v4, 0, 1, vcc
	v_cmp_lt_u32_e32 vcc, s7, v5
	v_mul_lo_u32 v10, v10, s8
	v_mul_lo_u32 v11, v11, s10
	v_cndmask_b32_e64 v5, 0, 1, vcc
	;; [unrolled: 9-line block ×4, first 2 shown]
	v_cmp_lt_u32_e32 vcc, s7, v10
	v_sub_u32_e32 v12, v12, v13
	v_add_u32_e32 v13, s9, v21
	v_add_u32_e32 v14, s11, v21
	v_lshlrev_b16_e32 v3, 8, v3
	v_cndmask_b32_e64 v10, 0, 1, vcc
	v_cmp_lt_u32_e32 vcc, s7, v11
	v_mul_lo_u32 v13, v13, s8
	v_mul_lo_u32 v14, v14, s10
	v_or_b32_e32 v2, v2, v3
	v_lshlrev_b16_e32 v3, 8, v5
	v_cndmask_b32_e64 v11, 0, 1, vcc
	v_cmp_lt_u32_e32 vcc, s7, v12
	v_sub_u32_e32 v13, v13, v14
	v_or_b32_sdwa v3, v4, v3 dst_sel:WORD_1 dst_unused:UNUSED_PAD src0_sel:DWORD src1_sel:DWORD
	v_cndmask_b32_e64 v12, 0, 1, vcc
	v_cmp_lt_u32_e32 vcc, s7, v13
	v_add_u32_e32 v14, s9, v32
	v_add_u32_e32 v15, s11, v32
	v_or_b32_sdwa v37, v2, v3 dst_sel:DWORD dst_unused:UNUSED_PAD src0_sel:WORD_0 src1_sel:DWORD
	v_lshlrev_b16_e32 v2, 8, v7
	v_lshlrev_b16_e32 v3, 8, v9
	v_cndmask_b32_e64 v13, 0, 1, vcc
	v_mul_lo_u32 v14, v14, s8
	v_mul_lo_u32 v15, v15, s10
	v_or_b32_e32 v2, v6, v2
	v_or_b32_sdwa v3, v8, v3 dst_sel:WORD_1 dst_unused:UNUSED_PAD src0_sel:DWORD src1_sel:DWORD
	v_sub_u32_e32 v14, v14, v15
	v_or_b32_sdwa v36, v2, v3 dst_sel:DWORD dst_unused:UNUSED_PAD src0_sel:WORD_0 src1_sel:DWORD
	v_lshlrev_b16_e32 v2, 8, v11
	v_lshlrev_b16_e32 v3, 8, v13
	v_cmp_lt_u32_e32 vcc, s7, v14
	v_or_b32_e32 v2, v10, v2
	v_or_b32_sdwa v3, v12, v3 dst_sel:WORD_1 dst_unused:UNUSED_PAD src0_sel:DWORD src1_sel:DWORD
	v_cndmask_b32_e64 v34, 0, 1, vcc
	v_or_b32_sdwa v35, v2, v3 dst_sel:DWORD dst_unused:UNUSED_PAD src0_sel:WORD_0 src1_sel:DWORD
	s_mov_b64 s[2:3], 0
	s_branch .LBB156_7
.LBB156_6:
	s_mov_b64 s[2:3], -1
                                        ; implicit-def: $vgpr34
                                        ; implicit-def: $vgpr35
                                        ; implicit-def: $vgpr36
                                        ; implicit-def: $vgpr37
.LBB156_7:
	s_load_dwordx2 s[24:25], s[4:5], 0x28
	s_load_dwordx2 s[34:35], s[4:5], 0x68
	s_andn2_b64 vcc, exec, s[2:3]
	s_addk_i32 s33, 0xd00
	s_cbranch_vccnz .LBB156_35
; %bb.8:
	v_cmp_gt_u32_e32 vcc, s33, v33
	v_mov_b32_e32 v3, 0
	v_mov_b32_e32 v2, 0
	s_and_saveexec_b64 s[2:3], vcc
; %bb.9:
	v_add_u32_e32 v2, s9, v30
	v_add_u32_e32 v4, s11, v30
	v_mul_lo_u32 v2, v2, s8
	v_mul_lo_u32 v4, v4, s10
	v_sub_u32_e32 v2, v2, v4
	v_cmp_lt_u32_e32 vcc, s7, v2
	v_cndmask_b32_e64 v2, 0, 1, vcc
; %bb.10:
	s_or_b64 exec, exec, s[2:3]
	v_add_u32_e32 v4, 1, v33
	v_cmp_gt_u32_e32 vcc, s33, v4
	s_and_saveexec_b64 s[2:3], vcc
; %bb.11:
	v_add_u32_e32 v3, s9, v31
	v_add_u32_e32 v4, s11, v31
	v_mul_lo_u32 v3, v3, s8
	v_mul_lo_u32 v4, v4, s10
	v_sub_u32_e32 v3, v3, v4
	v_cmp_lt_u32_e32 vcc, s7, v3
	v_cndmask_b32_e64 v3, 0, 1, vcc
; %bb.12:
	s_or_b64 exec, exec, s[2:3]
	v_add_u32_e32 v4, 2, v33
	v_cmp_gt_u32_e32 vcc, s33, v4
	v_mov_b32_e32 v5, 0
	v_mov_b32_e32 v4, 0
	s_and_saveexec_b64 s[2:3], vcc
; %bb.13:
	v_add_u32_e32 v4, s9, v28
	v_add_u32_e32 v6, s11, v28
	v_mul_lo_u32 v4, v4, s8
	v_mul_lo_u32 v6, v6, s10
	v_sub_u32_e32 v4, v4, v6
	v_cmp_lt_u32_e32 vcc, s7, v4
	v_cndmask_b32_e64 v4, 0, 1, vcc
; %bb.14:
	s_or_b64 exec, exec, s[2:3]
	v_add_u32_e32 v6, 3, v33
	v_cmp_gt_u32_e32 vcc, s33, v6
	s_and_saveexec_b64 s[2:3], vcc
; %bb.15:
	v_add_u32_e32 v5, s9, v29
	v_add_u32_e32 v6, s11, v29
	v_mul_lo_u32 v5, v5, s8
	v_mul_lo_u32 v6, v6, s10
	v_sub_u32_e32 v5, v5, v6
	v_cmp_lt_u32_e32 vcc, s7, v5
	v_cndmask_b32_e64 v5, 0, 1, vcc
; %bb.16:
	s_or_b64 exec, exec, s[2:3]
	v_add_u32_e32 v6, 4, v33
	;; [unrolled: 28-line block ×6, first 2 shown]
	v_cmp_gt_u32_e32 vcc, s33, v14
	v_mov_b32_e32 v34, 0
	s_and_saveexec_b64 s[2:3], vcc
; %bb.33:
	v_add_u32_e32 v14, s9, v32
	v_add_u32_e32 v15, s11, v32
	v_mul_lo_u32 v14, v14, s8
	v_mul_lo_u32 v15, v15, s10
	v_sub_u32_e32 v14, v14, v15
	v_cmp_lt_u32_e32 vcc, s7, v14
	v_cndmask_b32_e64 v34, 0, 1, vcc
; %bb.34:
	s_or_b64 exec, exec, s[2:3]
	v_lshlrev_b16_e32 v3, 8, v3
	v_or_b32_e32 v2, v2, v3
	v_lshlrev_b16_e32 v3, 8, v5
	v_or_b32_sdwa v3, v4, v3 dst_sel:WORD_1 dst_unused:UNUSED_PAD src0_sel:DWORD src1_sel:DWORD
	v_or_b32_sdwa v37, v2, v3 dst_sel:DWORD dst_unused:UNUSED_PAD src0_sel:WORD_0 src1_sel:DWORD
	v_lshlrev_b16_e32 v2, 8, v7
	v_lshlrev_b16_e32 v3, 8, v9
	v_or_b32_e32 v2, v6, v2
	v_or_b32_sdwa v3, v8, v3 dst_sel:WORD_1 dst_unused:UNUSED_PAD src0_sel:DWORD src1_sel:DWORD
	v_or_b32_sdwa v36, v2, v3 dst_sel:DWORD dst_unused:UNUSED_PAD src0_sel:WORD_0 src1_sel:DWORD
	v_lshlrev_b16_e32 v2, 8, v11
	v_lshlrev_b16_e32 v3, 8, v13
	v_or_b32_e32 v2, v10, v2
	v_or_b32_sdwa v3, v12, v3 dst_sel:WORD_1 dst_unused:UNUSED_PAD src0_sel:DWORD src1_sel:DWORD
	v_or_b32_sdwa v35, v2, v3 dst_sel:DWORD dst_unused:UNUSED_PAD src0_sel:WORD_0 src1_sel:DWORD
.LBB156_35:
	v_and_b32_e32 v41, 0xff, v37
	v_bfe_u32 v42, v37, 8, 8
	v_bfe_u32 v43, v37, 16, 8
	v_lshrrev_b32_e32 v40, 24, v37
	v_and_b32_e32 v44, 0xff, v36
	v_add3_u32 v3, v42, v41, v43
	v_bfe_u32 v45, v36, 8, 8
	v_bfe_u32 v46, v36, 16, 8
	v_add3_u32 v3, v3, v40, v44
	v_lshrrev_b32_e32 v39, 24, v36
	v_and_b32_e32 v47, 0xff, v35
	v_add3_u32 v3, v3, v45, v46
	v_bfe_u32 v48, v35, 8, 8
	v_bfe_u32 v49, v35, 16, 8
	v_add3_u32 v3, v3, v39, v47
	v_lshrrev_b32_e32 v38, 24, v35
	v_and_b32_e32 v2, 0xff, v34
	v_add3_u32 v3, v3, v48, v49
	v_add3_u32 v52, v3, v38, v2
	v_mbcnt_lo_u32_b32 v2, -1, 0
	v_mbcnt_hi_u32_b32 v50, -1, v2
	v_and_b32_e32 v2, 15, v50
	v_cmp_eq_u32_e64 s[14:15], 0, v2
	v_cmp_lt_u32_e64 s[12:13], 1, v2
	v_cmp_lt_u32_e64 s[10:11], 3, v2
	;; [unrolled: 1-line block ×3, first 2 shown]
	v_and_b32_e32 v2, 16, v50
	v_cmp_eq_u32_e64 s[18:19], 0, v2
	v_or_b32_e32 v2, 63, v0
	s_cmp_lg_u32 s6, 0
	v_cmp_lt_u32_e64 s[2:3], 31, v50
	v_lshrrev_b32_e32 v51, 6, v0
	v_cmp_eq_u32_e64 s[4:5], v2, v0
	s_cbranch_scc0 .LBB156_62
; %bb.36:
	v_mov_b32_dpp v2, v52 row_shr:1 row_mask:0xf bank_mask:0xf
	v_cndmask_b32_e64 v2, v2, 0, s[14:15]
	v_add_u32_e32 v2, v2, v52
	s_nop 1
	v_mov_b32_dpp v3, v2 row_shr:2 row_mask:0xf bank_mask:0xf
	v_cndmask_b32_e64 v3, 0, v3, s[12:13]
	v_add_u32_e32 v2, v2, v3
	s_nop 1
	;; [unrolled: 4-line block ×4, first 2 shown]
	v_mov_b32_dpp v3, v2 row_bcast:15 row_mask:0xf bank_mask:0xf
	v_cndmask_b32_e64 v3, v3, 0, s[18:19]
	v_add_u32_e32 v2, v2, v3
	s_nop 1
	v_mov_b32_dpp v3, v2 row_bcast:31 row_mask:0xf bank_mask:0xf
	v_cndmask_b32_e64 v3, 0, v3, s[2:3]
	v_add_u32_e32 v2, v2, v3
	s_and_saveexec_b64 s[16:17], s[4:5]
	s_cbranch_execz .LBB156_38
; %bb.37:
	v_lshlrev_b32_e32 v3, 2, v51
	ds_write_b32 v3, v2
.LBB156_38:
	s_or_b64 exec, exec, s[16:17]
	v_cmp_gt_u32_e32 vcc, 4, v0
	s_waitcnt lgkmcnt(0)
	s_barrier
	s_and_saveexec_b64 s[16:17], vcc
	s_cbranch_execz .LBB156_40
; %bb.39:
	ds_read_b32 v3, v1
	v_and_b32_e32 v4, 3, v50
	v_cmp_ne_u32_e32 vcc, 0, v4
	s_waitcnt lgkmcnt(0)
	v_mov_b32_dpp v5, v3 row_shr:1 row_mask:0xf bank_mask:0xf
	v_cndmask_b32_e32 v5, 0, v5, vcc
	v_add_u32_e32 v3, v5, v3
	v_cmp_lt_u32_e32 vcc, 1, v4
	s_nop 0
	v_mov_b32_dpp v5, v3 row_shr:2 row_mask:0xf bank_mask:0xf
	v_cndmask_b32_e32 v4, 0, v5, vcc
	v_add_u32_e32 v3, v3, v4
	ds_write_b32 v1, v3
.LBB156_40:
	s_or_b64 exec, exec, s[16:17]
	v_cmp_gt_u32_e32 vcc, 64, v0
	v_cmp_lt_u32_e64 s[16:17], 63, v0
	s_waitcnt lgkmcnt(0)
	s_barrier
	s_waitcnt lgkmcnt(0)
                                        ; implicit-def: $vgpr12
	s_and_saveexec_b64 s[36:37], s[16:17]
	s_cbranch_execz .LBB156_42
; %bb.41:
	v_lshl_add_u32 v3, v51, 2, -4
	ds_read_b32 v12, v3
	s_waitcnt lgkmcnt(0)
	v_add_u32_e32 v2, v12, v2
.LBB156_42:
	s_or_b64 exec, exec, s[36:37]
	v_add_u32_e32 v3, -1, v50
	v_and_b32_e32 v4, 64, v50
	v_cmp_lt_i32_e64 s[16:17], v3, v4
	v_cndmask_b32_e64 v3, v3, v50, s[16:17]
	v_lshlrev_b32_e32 v3, 2, v3
	ds_bpermute_b32 v13, v3, v2
	v_cmp_eq_u32_e64 s[16:17], 0, v50
	s_and_saveexec_b64 s[36:37], vcc
	s_cbranch_execz .LBB156_61
; %bb.43:
	v_mov_b32_e32 v9, 0
	ds_read_b32 v2, v9 offset:12
	s_and_saveexec_b64 s[38:39], s[16:17]
	s_cbranch_execz .LBB156_45
; %bb.44:
	s_add_i32 s40, s6, 64
	s_mov_b32 s41, 0
	s_lshl_b64 s[40:41], s[40:41], 3
	s_add_u32 s40, s34, s40
	v_mov_b32_e32 v3, 1
	s_addc_u32 s41, s35, s41
	s_waitcnt lgkmcnt(0)
	global_store_dwordx2 v9, v[2:3], s[40:41]
.LBB156_45:
	s_or_b64 exec, exec, s[38:39]
	v_xad_u32 v4, v50, -1, s6
	v_add_u32_e32 v8, 64, v4
	v_lshlrev_b64 v[6:7], 3, v[8:9]
	v_mov_b32_e32 v3, s35
	v_add_co_u32_e32 v10, vcc, s34, v6
	v_addc_co_u32_e32 v11, vcc, v3, v7, vcc
	global_load_dwordx2 v[6:7], v[10:11], off glc
	s_waitcnt vmcnt(0)
	v_cmp_eq_u16_sdwa s[40:41], v7, v9 src0_sel:BYTE_0 src1_sel:DWORD
	s_and_saveexec_b64 s[38:39], s[40:41]
	s_cbranch_execz .LBB156_49
; %bb.46:
	s_mov_b64 s[40:41], 0
	v_mov_b32_e32 v3, 0
.LBB156_47:                             ; =>This Inner Loop Header: Depth=1
	global_load_dwordx2 v[6:7], v[10:11], off glc
	s_waitcnt vmcnt(0)
	v_cmp_ne_u16_sdwa s[44:45], v7, v3 src0_sel:BYTE_0 src1_sel:DWORD
	s_or_b64 s[40:41], s[44:45], s[40:41]
	s_andn2_b64 exec, exec, s[40:41]
	s_cbranch_execnz .LBB156_47
; %bb.48:
	s_or_b64 exec, exec, s[40:41]
.LBB156_49:
	s_or_b64 exec, exec, s[38:39]
	v_and_b32_e32 v14, 63, v50
	v_mov_b32_e32 v3, 2
	v_cmp_ne_u32_e32 vcc, 63, v14
	v_cmp_eq_u16_sdwa s[38:39], v7, v3 src0_sel:BYTE_0 src1_sel:DWORD
	v_lshlrev_b64 v[8:9], v50, -1
	v_addc_co_u32_e32 v11, vcc, 0, v50, vcc
	v_and_b32_e32 v5, s39, v9
	v_lshlrev_b32_e32 v15, 2, v11
	v_or_b32_e32 v5, 0x80000000, v5
	ds_bpermute_b32 v11, v15, v6
	v_and_b32_e32 v10, s38, v8
	v_ffbl_b32_e32 v5, v5
	v_add_u32_e32 v5, 32, v5
	v_ffbl_b32_e32 v10, v10
	v_min_u32_e32 v5, v10, v5
	v_cmp_lt_u32_e32 vcc, v14, v5
	s_waitcnt lgkmcnt(0)
	v_cndmask_b32_e32 v10, 0, v11, vcc
	v_cmp_gt_u32_e32 vcc, 62, v14
	v_add_u32_e32 v6, v10, v6
	v_cndmask_b32_e64 v10, 0, 1, vcc
	v_lshlrev_b32_e32 v10, 1, v10
	v_add_lshl_u32 v16, v10, v50, 2
	ds_bpermute_b32 v10, v16, v6
	v_add_u32_e32 v17, 2, v14
	v_cmp_le_u32_e32 vcc, v17, v5
	v_add_u32_e32 v19, 4, v14
	v_add_u32_e32 v54, 8, v14
	s_waitcnt lgkmcnt(0)
	v_cndmask_b32_e32 v10, 0, v10, vcc
	v_cmp_gt_u32_e32 vcc, 60, v14
	v_add_u32_e32 v6, v6, v10
	v_cndmask_b32_e64 v10, 0, 1, vcc
	v_lshlrev_b32_e32 v10, 2, v10
	v_add_lshl_u32 v18, v10, v50, 2
	ds_bpermute_b32 v10, v18, v6
	v_cmp_le_u32_e32 vcc, v19, v5
	v_add_u32_e32 v57, 16, v14
	v_add_u32_e32 v59, 32, v14
	s_waitcnt lgkmcnt(0)
	v_cndmask_b32_e32 v10, 0, v10, vcc
	v_cmp_gt_u32_e32 vcc, 56, v14
	v_add_u32_e32 v6, v6, v10
	v_cndmask_b32_e64 v10, 0, 1, vcc
	v_lshlrev_b32_e32 v10, 3, v10
	v_add_lshl_u32 v53, v10, v50, 2
	ds_bpermute_b32 v10, v53, v6
	v_cmp_le_u32_e32 vcc, v54, v5
	s_waitcnt lgkmcnt(0)
	v_cndmask_b32_e32 v10, 0, v10, vcc
	v_cmp_gt_u32_e32 vcc, 48, v14
	v_add_u32_e32 v6, v6, v10
	v_cndmask_b32_e64 v10, 0, 1, vcc
	v_lshlrev_b32_e32 v10, 4, v10
	v_add_lshl_u32 v56, v10, v50, 2
	ds_bpermute_b32 v10, v56, v6
	v_cmp_le_u32_e32 vcc, v57, v5
	;; [unrolled: 9-line block ×3, first 2 shown]
	s_waitcnt lgkmcnt(0)
	v_cndmask_b32_e32 v5, 0, v10, vcc
	v_add_u32_e32 v6, v6, v5
	v_mov_b32_e32 v5, 0
	s_branch .LBB156_51
.LBB156_50:                             ;   in Loop: Header=BB156_51 Depth=1
	s_or_b64 exec, exec, s[38:39]
	v_cmp_eq_u16_sdwa s[38:39], v7, v3 src0_sel:BYTE_0 src1_sel:DWORD
	v_and_b32_e32 v10, s39, v9
	v_or_b32_e32 v10, 0x80000000, v10
	ds_bpermute_b32 v60, v15, v6
	v_and_b32_e32 v11, s38, v8
	v_ffbl_b32_e32 v10, v10
	v_add_u32_e32 v10, 32, v10
	v_ffbl_b32_e32 v11, v11
	v_min_u32_e32 v10, v11, v10
	v_cmp_lt_u32_e32 vcc, v14, v10
	s_waitcnt lgkmcnt(0)
	v_cndmask_b32_e32 v11, 0, v60, vcc
	v_add_u32_e32 v6, v11, v6
	ds_bpermute_b32 v11, v16, v6
	v_cmp_le_u32_e32 vcc, v17, v10
	v_subrev_u32_e32 v4, 64, v4
	s_waitcnt lgkmcnt(0)
	v_cndmask_b32_e32 v11, 0, v11, vcc
	v_add_u32_e32 v6, v6, v11
	ds_bpermute_b32 v11, v18, v6
	v_cmp_le_u32_e32 vcc, v19, v10
	s_waitcnt lgkmcnt(0)
	v_cndmask_b32_e32 v11, 0, v11, vcc
	v_add_u32_e32 v6, v6, v11
	ds_bpermute_b32 v11, v53, v6
	v_cmp_le_u32_e32 vcc, v54, v10
	;; [unrolled: 5-line block ×4, first 2 shown]
	s_waitcnt lgkmcnt(0)
	v_cndmask_b32_e32 v10, 0, v11, vcc
	v_add3_u32 v6, v10, v55, v6
.LBB156_51:                             ; =>This Loop Header: Depth=1
                                        ;     Child Loop BB156_54 Depth 2
	v_cmp_ne_u16_sdwa s[38:39], v7, v3 src0_sel:BYTE_0 src1_sel:DWORD
	v_cndmask_b32_e64 v7, 0, 1, s[38:39]
	;;#ASMSTART
	;;#ASMEND
	v_cmp_ne_u32_e32 vcc, 0, v7
	s_cmp_lg_u64 vcc, exec
	v_mov_b32_e32 v55, v6
	s_cbranch_scc1 .LBB156_56
; %bb.52:                               ;   in Loop: Header=BB156_51 Depth=1
	v_lshlrev_b64 v[6:7], 3, v[4:5]
	v_mov_b32_e32 v11, s35
	v_add_co_u32_e32 v10, vcc, s34, v6
	v_addc_co_u32_e32 v11, vcc, v11, v7, vcc
	global_load_dwordx2 v[6:7], v[10:11], off glc
	s_waitcnt vmcnt(0)
	v_cmp_eq_u16_sdwa s[40:41], v7, v5 src0_sel:BYTE_0 src1_sel:DWORD
	s_and_saveexec_b64 s[38:39], s[40:41]
	s_cbranch_execz .LBB156_50
; %bb.53:                               ;   in Loop: Header=BB156_51 Depth=1
	s_mov_b64 s[40:41], 0
.LBB156_54:                             ;   Parent Loop BB156_51 Depth=1
                                        ; =>  This Inner Loop Header: Depth=2
	global_load_dwordx2 v[6:7], v[10:11], off glc
	s_waitcnt vmcnt(0)
	v_cmp_ne_u16_sdwa s[44:45], v7, v5 src0_sel:BYTE_0 src1_sel:DWORD
	s_or_b64 s[40:41], s[44:45], s[40:41]
	s_andn2_b64 exec, exec, s[40:41]
	s_cbranch_execnz .LBB156_54
; %bb.55:                               ;   in Loop: Header=BB156_51 Depth=1
	s_or_b64 exec, exec, s[40:41]
	s_branch .LBB156_50
.LBB156_56:                             ;   in Loop: Header=BB156_51 Depth=1
                                        ; implicit-def: $vgpr6
                                        ; implicit-def: $vgpr7
	s_cbranch_execz .LBB156_51
; %bb.57:
	s_and_saveexec_b64 s[38:39], s[16:17]
	s_cbranch_execz .LBB156_59
; %bb.58:
	s_add_i32 s6, s6, 64
	s_mov_b32 s7, 0
	s_lshl_b64 s[6:7], s[6:7], 3
	s_add_u32 s6, s34, s6
	v_add_u32_e32 v4, v55, v2
	v_mov_b32_e32 v5, 2
	s_addc_u32 s7, s35, s7
	v_mov_b32_e32 v3, 0
	global_store_dwordx2 v3, v[4:5], s[6:7]
	s_movk_i32 s6, 0x3400
	v_add_u32_e64 v3, s6, 0
	ds_write2_b32 v3, v2, v55 offset1:2
.LBB156_59:
	s_or_b64 exec, exec, s[38:39]
	v_cmp_eq_u32_e32 vcc, 0, v0
	s_and_b64 exec, exec, vcc
	s_cbranch_execz .LBB156_61
; %bb.60:
	v_mov_b32_e32 v2, 0
	ds_write_b32 v2, v55 offset:12
.LBB156_61:
	s_or_b64 exec, exec, s[36:37]
	v_mov_b32_e32 v2, 0
	s_waitcnt lgkmcnt(0)
	s_barrier
	ds_read_b32 v2, v2 offset:12
	v_cndmask_b32_e64 v3, v13, v12, s[16:17]
	v_cmp_ne_u32_e32 vcc, 0, v0
	v_cndmask_b32_e32 v3, 0, v3, vcc
	s_movk_i32 s6, 0x3400
	s_waitcnt lgkmcnt(0)
	v_add_u32_e32 v2, v2, v3
	v_add_u32_e32 v3, v2, v41
	;; [unrolled: 1-line block ×8, first 2 shown]
	v_add_u32_e64 v12, s6, 0
	v_add_u32_e32 v10, v9, v39
	s_barrier
	ds_read2_b32 v[18:19], v12 offset1:2
	v_add_u32_e32 v11, v10, v47
	v_add_u32_e32 v12, v11, v48
	;; [unrolled: 1-line block ×4, first 2 shown]
	s_branch .LBB156_72
.LBB156_62:
                                        ; implicit-def: $vgpr19
                                        ; implicit-def: $vgpr2_vgpr3_vgpr4_vgpr5_vgpr6_vgpr7_vgpr8_vgpr9_vgpr10_vgpr11_vgpr12_vgpr13_vgpr14_vgpr15_vgpr16_vgpr17
	s_cbranch_execz .LBB156_72
; %bb.63:
	s_nop 0
	v_mov_b32_dpp v2, v52 row_shr:1 row_mask:0xf bank_mask:0xf
	v_cndmask_b32_e64 v2, v2, 0, s[14:15]
	v_add_u32_e32 v2, v2, v52
	s_nop 1
	v_mov_b32_dpp v3, v2 row_shr:2 row_mask:0xf bank_mask:0xf
	v_cndmask_b32_e64 v3, 0, v3, s[12:13]
	v_add_u32_e32 v2, v2, v3
	s_nop 1
	v_mov_b32_dpp v3, v2 row_shr:4 row_mask:0xf bank_mask:0xf
	v_cndmask_b32_e64 v3, 0, v3, s[10:11]
	v_add_u32_e32 v2, v2, v3
	s_nop 1
	v_mov_b32_dpp v3, v2 row_shr:8 row_mask:0xf bank_mask:0xf
	v_cndmask_b32_e64 v3, 0, v3, s[8:9]
	v_add_u32_e32 v2, v2, v3
	s_nop 1
	v_mov_b32_dpp v3, v2 row_bcast:15 row_mask:0xf bank_mask:0xf
	v_cndmask_b32_e64 v3, v3, 0, s[18:19]
	v_add_u32_e32 v2, v2, v3
	s_nop 1
	v_mov_b32_dpp v3, v2 row_bcast:31 row_mask:0xf bank_mask:0xf
	v_cndmask_b32_e64 v3, 0, v3, s[2:3]
	v_add_u32_e32 v2, v2, v3
	s_and_saveexec_b64 s[2:3], s[4:5]
	s_cbranch_execz .LBB156_65
; %bb.64:
	v_lshlrev_b32_e32 v3, 2, v51
	ds_write_b32 v3, v2
.LBB156_65:
	s_or_b64 exec, exec, s[2:3]
	v_cmp_gt_u32_e32 vcc, 4, v0
	s_waitcnt lgkmcnt(0)
	s_barrier
	s_and_saveexec_b64 s[2:3], vcc
	s_cbranch_execz .LBB156_67
; %bb.66:
	ds_read_b32 v3, v1
	v_and_b32_e32 v4, 3, v50
	v_cmp_ne_u32_e32 vcc, 0, v4
	s_waitcnt lgkmcnt(0)
	v_mov_b32_dpp v5, v3 row_shr:1 row_mask:0xf bank_mask:0xf
	v_cndmask_b32_e32 v5, 0, v5, vcc
	v_add_u32_e32 v3, v5, v3
	v_cmp_lt_u32_e32 vcc, 1, v4
	s_nop 0
	v_mov_b32_dpp v5, v3 row_shr:2 row_mask:0xf bank_mask:0xf
	v_cndmask_b32_e32 v4, 0, v5, vcc
	v_add_u32_e32 v3, v3, v4
	ds_write_b32 v1, v3
.LBB156_67:
	s_or_b64 exec, exec, s[2:3]
	v_cmp_lt_u32_e32 vcc, 63, v0
	v_mov_b32_e32 v4, 0
	v_mov_b32_e32 v3, 0
	s_waitcnt lgkmcnt(0)
	s_barrier
	s_and_saveexec_b64 s[2:3], vcc
	s_cbranch_execz .LBB156_69
; %bb.68:
	v_lshl_add_u32 v3, v51, 2, -4
	ds_read_b32 v3, v3
.LBB156_69:
	s_or_b64 exec, exec, s[2:3]
	v_add_u32_e32 v5, -1, v50
	v_and_b32_e32 v6, 64, v50
	v_cmp_lt_i32_e32 vcc, v5, v6
	v_cndmask_b32_e32 v5, v5, v50, vcc
	s_waitcnt lgkmcnt(0)
	v_add_u32_e32 v2, v3, v2
	v_lshlrev_b32_e32 v5, 2, v5
	ds_bpermute_b32 v2, v5, v2
	ds_read_b32 v18, v4 offset:12
	v_cmp_eq_u32_e32 vcc, 0, v0
	s_and_saveexec_b64 s[2:3], vcc
	s_cbranch_execz .LBB156_71
; %bb.70:
	v_mov_b32_e32 v4, 0
	v_mov_b32_e32 v19, 2
	s_waitcnt lgkmcnt(0)
	global_store_dwordx2 v4, v[18:19], s[34:35] offset:512
.LBB156_71:
	s_or_b64 exec, exec, s[2:3]
	v_cmp_eq_u32_e64 s[2:3], 0, v50
	s_waitcnt lgkmcnt(1)
	v_cndmask_b32_e64 v2, v2, v3, s[2:3]
	v_cndmask_b32_e64 v2, v2, 0, vcc
	v_add_u32_e32 v3, v2, v41
	v_add_u32_e32 v4, v3, v42
	v_add_u32_e32 v5, v4, v43
	v_add_u32_e32 v6, v5, v40
	v_add_u32_e32 v7, v6, v44
	v_add_u32_e32 v8, v7, v45
	v_add_u32_e32 v9, v8, v46
	v_add_u32_e32 v10, v9, v39
	v_add_u32_e32 v11, v10, v47
	v_add_u32_e32 v12, v11, v48
	v_add_u32_e32 v13, v12, v49
	v_mov_b32_e32 v19, 0
	v_add_u32_e32 v14, v13, v38
	s_waitcnt lgkmcnt(0)
	s_barrier
.LBB156_72:
	s_waitcnt lgkmcnt(0)
	v_add_u32_e32 v33, v18, v33
	v_sub_u32_e32 v2, v2, v19
	v_and_b32_e32 v42, 1, v37
	v_sub_u32_e32 v41, v33, v2
	v_cmp_eq_u32_e32 vcc, 1, v42
	v_cndmask_b32_e32 v2, v41, v2, vcc
	v_lshlrev_b32_e32 v2, 2, v2
	v_lshrrev_b32_e32 v17, 8, v37
	ds_write_b32 v2, v30
	v_sub_u32_e32 v2, v3, v19
	v_sub_u32_e32 v3, v33, v2
	v_and_b32_e32 v17, 1, v17
	v_add_u32_e32 v3, 1, v3
	v_cmp_eq_u32_e32 vcc, 1, v17
	v_cndmask_b32_e32 v2, v3, v2, vcc
	v_lshlrev_b32_e32 v2, 2, v2
	ds_write_b32 v2, v31
	v_sub_u32_e32 v2, v4, v19
	v_mov_b32_e32 v4, 1
	v_sub_u32_e32 v3, v33, v2
	v_and_b32_sdwa v17, v4, v37 dst_sel:DWORD dst_unused:UNUSED_PAD src0_sel:DWORD src1_sel:WORD_1
	v_add_u32_e32 v3, 2, v3
	v_cmp_eq_u32_e32 vcc, 1, v17
	v_cndmask_b32_e32 v2, v3, v2, vcc
	v_lshlrev_b32_e32 v2, 2, v2
	ds_write_b32 v2, v28
	v_sub_u32_e32 v2, v5, v19
	v_sub_u32_e32 v3, v33, v2
	v_and_b32_e32 v5, 1, v40
	v_add_u32_e32 v3, 3, v3
	v_cmp_eq_u32_e32 vcc, 1, v5
	v_cndmask_b32_e32 v2, v3, v2, vcc
	v_lshlrev_b32_e32 v2, 2, v2
	ds_write_b32 v2, v29
	v_sub_u32_e32 v2, v6, v19
	v_sub_u32_e32 v3, v33, v2
	v_and_b32_e32 v5, 1, v36
	v_add_u32_e32 v3, 4, v3
	v_cmp_eq_u32_e32 vcc, 1, v5
	v_cndmask_b32_e32 v2, v3, v2, vcc
	v_lshlrev_b32_e32 v2, 2, v2
	v_lshrrev_b32_e32 v16, 8, v36
	ds_write_b32 v2, v26
	v_sub_u32_e32 v2, v7, v19
	v_sub_u32_e32 v3, v33, v2
	v_and_b32_e32 v5, 1, v16
	v_add_u32_e32 v3, 5, v3
	v_cmp_eq_u32_e32 vcc, 1, v5
	v_cndmask_b32_e32 v2, v3, v2, vcc
	v_lshlrev_b32_e32 v2, 2, v2
	ds_write_b32 v2, v27
	v_sub_u32_e32 v2, v8, v19
	v_sub_u32_e32 v3, v33, v2
	v_and_b32_sdwa v5, v4, v36 dst_sel:DWORD dst_unused:UNUSED_PAD src0_sel:DWORD src1_sel:WORD_1
	v_add_u32_e32 v3, 6, v3
	v_cmp_eq_u32_e32 vcc, 1, v5
	v_cndmask_b32_e32 v2, v3, v2, vcc
	v_lshlrev_b32_e32 v2, 2, v2
	ds_write_b32 v2, v24
	v_sub_u32_e32 v2, v9, v19
	v_sub_u32_e32 v3, v33, v2
	v_and_b32_e32 v5, 1, v39
	v_add_u32_e32 v3, 7, v3
	v_cmp_eq_u32_e32 vcc, 1, v5
	v_cndmask_b32_e32 v2, v3, v2, vcc
	v_lshlrev_b32_e32 v2, 2, v2
	ds_write_b32 v2, v25
	v_sub_u32_e32 v2, v10, v19
	v_sub_u32_e32 v3, v33, v2
	v_and_b32_e32 v5, 1, v35
	v_add_u32_e32 v3, 8, v3
	v_cmp_eq_u32_e32 vcc, 1, v5
	v_cndmask_b32_e32 v2, v3, v2, vcc
	v_lshlrev_b32_e32 v2, 2, v2
	v_lshrrev_b32_e32 v15, 8, v35
	ds_write_b32 v2, v22
	v_sub_u32_e32 v2, v11, v19
	v_sub_u32_e32 v3, v33, v2
	v_and_b32_e32 v5, 1, v15
	v_add_u32_e32 v3, 9, v3
	v_cmp_eq_u32_e32 vcc, 1, v5
	v_cndmask_b32_e32 v2, v3, v2, vcc
	v_lshlrev_b32_e32 v2, 2, v2
	ds_write_b32 v2, v23
	v_sub_u32_e32 v2, v12, v19
	v_sub_u32_e32 v3, v33, v2
	v_and_b32_sdwa v4, v4, v35 dst_sel:DWORD dst_unused:UNUSED_PAD src0_sel:DWORD src1_sel:WORD_1
	v_add_u32_e32 v3, 10, v3
	v_cmp_eq_u32_e32 vcc, 1, v4
	v_cndmask_b32_e32 v2, v3, v2, vcc
	v_lshlrev_b32_e32 v2, 2, v2
	ds_write_b32 v2, v20
	v_sub_u32_e32 v2, v13, v19
	v_sub_u32_e32 v3, v33, v2
	v_and_b32_e32 v4, 1, v38
	v_add_u32_e32 v3, 11, v3
	v_cmp_eq_u32_e32 vcc, 1, v4
	v_cndmask_b32_e32 v2, v3, v2, vcc
	v_lshlrev_b32_e32 v2, 2, v2
	ds_write_b32 v2, v21
	v_sub_u32_e32 v2, v14, v19
	v_sub_u32_e32 v3, v33, v2
	v_and_b32_e32 v4, 1, v34
	v_add_u32_e32 v3, 12, v3
	v_cmp_eq_u32_e32 vcc, 1, v4
	v_cndmask_b32_e32 v2, v3, v2, vcc
	s_add_u32 s2, s28, s42
	v_lshlrev_b32_e32 v2, 2, v2
	s_addc_u32 s3, s29, 0
	ds_write_b32 v2, v32
	s_waitcnt lgkmcnt(0)
	s_barrier
	ds_read2st64_b32 v[12:13], v1 offset1:4
	ds_read2st64_b32 v[10:11], v1 offset0:8 offset1:12
	ds_read2st64_b32 v[8:9], v1 offset0:16 offset1:20
	;; [unrolled: 1-line block ×5, first 2 shown]
	ds_read_b32 v17, v1 offset:12288
	v_mov_b32_e32 v14, s31
	v_add_co_u32_e32 v1, vcc, s30, v19
	s_sub_u32 s2, s26, s2
	v_addc_co_u32_e32 v16, vcc, 0, v14, vcc
	s_subb_u32 s3, s27, s3
	v_mov_b32_e32 v14, s3
	v_add_co_u32_e32 v15, vcc, s2, v18
	v_addc_co_u32_e32 v14, vcc, 0, v14, vcc
	s_and_b64 vcc, exec, s[0:1]
	v_add_co_u32_e64 v19, s[0:1], v15, v1
	v_or_b32_e32 v32, 0x100, v0
	v_or_b32_e32 v31, 0x200, v0
	;; [unrolled: 1-line block ×12, first 2 shown]
	v_addc_co_u32_e64 v21, s[0:1], v14, v16, s[0:1]
	s_cbranch_vccnz .LBB156_126
; %bb.73:
	v_cmp_ge_u32_e32 vcc, v0, v18
                                        ; implicit-def: $vgpr14_vgpr15
	s_and_saveexec_b64 s[0:1], vcc
	s_xor_b64 s[0:1], exec, s[0:1]
; %bb.74:
	v_not_b32_e32 v14, v0
	v_ashrrev_i32_e32 v15, 31, v14
	v_add_co_u32_e32 v14, vcc, v19, v14
	v_addc_co_u32_e32 v15, vcc, v21, v15, vcc
; %bb.75:
	s_andn2_saveexec_b64 s[0:1], s[0:1]
; %bb.76:
	v_add_co_u32_e32 v14, vcc, v1, v0
	v_addc_co_u32_e32 v15, vcc, 0, v16, vcc
; %bb.77:
	s_or_b64 exec, exec, s[0:1]
	v_lshlrev_b64 v[14:15], 2, v[14:15]
	v_mov_b32_e32 v33, s25
	v_add_co_u32_e32 v14, vcc, s24, v14
	v_addc_co_u32_e32 v15, vcc, v33, v15, vcc
	v_cmp_ge_u32_e32 vcc, v32, v18
	s_waitcnt lgkmcnt(6)
	global_store_dword v[14:15], v12, off
                                        ; implicit-def: $vgpr14_vgpr15
	s_and_saveexec_b64 s[0:1], vcc
	s_xor_b64 s[0:1], exec, s[0:1]
; %bb.78:
	v_xor_b32_e32 v14, 0xfffffeff, v0
	v_ashrrev_i32_e32 v15, 31, v14
	v_add_co_u32_e32 v14, vcc, v19, v14
	v_addc_co_u32_e32 v15, vcc, v21, v15, vcc
; %bb.79:
	s_andn2_saveexec_b64 s[0:1], s[0:1]
; %bb.80:
	v_add_co_u32_e32 v14, vcc, v1, v32
	v_addc_co_u32_e32 v15, vcc, 0, v16, vcc
; %bb.81:
	s_or_b64 exec, exec, s[0:1]
	v_lshlrev_b64 v[14:15], 2, v[14:15]
	v_mov_b32_e32 v33, s25
	v_add_co_u32_e32 v14, vcc, s24, v14
	v_addc_co_u32_e32 v15, vcc, v33, v15, vcc
	v_cmp_ge_u32_e32 vcc, v31, v18
	global_store_dword v[14:15], v13, off
                                        ; implicit-def: $vgpr14_vgpr15
	s_and_saveexec_b64 s[0:1], vcc
	s_xor_b64 s[0:1], exec, s[0:1]
; %bb.82:
	v_xor_b32_e32 v14, 0xfffffdff, v0
	v_ashrrev_i32_e32 v15, 31, v14
	v_add_co_u32_e32 v14, vcc, v19, v14
	v_addc_co_u32_e32 v15, vcc, v21, v15, vcc
; %bb.83:
	s_andn2_saveexec_b64 s[0:1], s[0:1]
; %bb.84:
	v_add_co_u32_e32 v14, vcc, v1, v31
	v_addc_co_u32_e32 v15, vcc, 0, v16, vcc
; %bb.85:
	s_or_b64 exec, exec, s[0:1]
	v_lshlrev_b64 v[14:15], 2, v[14:15]
	v_mov_b32_e32 v33, s25
	v_add_co_u32_e32 v14, vcc, s24, v14
	v_addc_co_u32_e32 v15, vcc, v33, v15, vcc
	v_cmp_ge_u32_e32 vcc, v30, v18
	s_waitcnt lgkmcnt(5)
	global_store_dword v[14:15], v10, off
                                        ; implicit-def: $vgpr14_vgpr15
	s_and_saveexec_b64 s[0:1], vcc
	s_xor_b64 s[0:1], exec, s[0:1]
; %bb.86:
	v_xor_b32_e32 v14, 0xfffffcff, v0
	v_ashrrev_i32_e32 v15, 31, v14
	v_add_co_u32_e32 v14, vcc, v19, v14
	v_addc_co_u32_e32 v15, vcc, v21, v15, vcc
; %bb.87:
	s_andn2_saveexec_b64 s[0:1], s[0:1]
; %bb.88:
	v_add_co_u32_e32 v14, vcc, v1, v30
	v_addc_co_u32_e32 v15, vcc, 0, v16, vcc
; %bb.89:
	s_or_b64 exec, exec, s[0:1]
	v_lshlrev_b64 v[14:15], 2, v[14:15]
	v_mov_b32_e32 v33, s25
	v_add_co_u32_e32 v14, vcc, s24, v14
	v_addc_co_u32_e32 v15, vcc, v33, v15, vcc
	v_cmp_ge_u32_e32 vcc, v29, v18
	global_store_dword v[14:15], v11, off
                                        ; implicit-def: $vgpr14_vgpr15
	s_and_saveexec_b64 s[0:1], vcc
	s_xor_b64 s[0:1], exec, s[0:1]
; %bb.90:
	v_xor_b32_e32 v14, 0xfffffbff, v0
	;; [unrolled: 43-line block ×6, first 2 shown]
	v_ashrrev_i32_e32 v15, 31, v14
	v_add_co_u32_e32 v14, vcc, v19, v14
	v_addc_co_u32_e32 v15, vcc, v21, v15, vcc
; %bb.123:
	s_andn2_saveexec_b64 s[0:1], s[0:1]
; %bb.124:
	v_add_co_u32_e32 v14, vcc, v1, v20
	v_addc_co_u32_e32 v15, vcc, 0, v16, vcc
; %bb.125:
	s_or_b64 exec, exec, s[0:1]
	s_mov_b64 s[0:1], -1
	s_branch .LBB156_206
.LBB156_126:
	s_mov_b64 s[0:1], 0
                                        ; implicit-def: $vgpr14_vgpr15
	s_cbranch_execz .LBB156_206
; %bb.127:
	v_cmp_gt_u32_e32 vcc, s33, v0
	s_and_saveexec_b64 s[2:3], vcc
	s_cbranch_execz .LBB156_163
; %bb.128:
	v_cmp_ge_u32_e32 vcc, v0, v18
                                        ; implicit-def: $vgpr14_vgpr15
	s_and_saveexec_b64 s[4:5], vcc
	s_xor_b64 s[4:5], exec, s[4:5]
; %bb.129:
	v_not_b32_e32 v14, v0
	v_ashrrev_i32_e32 v15, 31, v14
	v_add_co_u32_e32 v14, vcc, v19, v14
	v_addc_co_u32_e32 v15, vcc, v21, v15, vcc
; %bb.130:
	s_andn2_saveexec_b64 s[4:5], s[4:5]
; %bb.131:
	v_add_co_u32_e32 v14, vcc, v1, v0
	v_addc_co_u32_e32 v15, vcc, 0, v16, vcc
; %bb.132:
	s_or_b64 exec, exec, s[4:5]
	v_lshlrev_b64 v[14:15], 2, v[14:15]
	v_mov_b32_e32 v33, s25
	v_add_co_u32_e32 v14, vcc, s24, v14
	v_addc_co_u32_e32 v15, vcc, v33, v15, vcc
	s_waitcnt lgkmcnt(6)
	global_store_dword v[14:15], v12, off
	s_or_b64 exec, exec, s[2:3]
	v_cmp_gt_u32_e32 vcc, s33, v32
	s_and_saveexec_b64 s[2:3], vcc
	s_cbranch_execnz .LBB156_164
.LBB156_133:
	s_or_b64 exec, exec, s[2:3]
	v_cmp_gt_u32_e32 vcc, s33, v31
	s_and_saveexec_b64 s[2:3], vcc
	s_cbranch_execz .LBB156_169
.LBB156_134:
	v_cmp_ge_u32_e32 vcc, v31, v18
                                        ; implicit-def: $vgpr12_vgpr13
	s_and_saveexec_b64 s[4:5], vcc
	s_xor_b64 s[4:5], exec, s[4:5]
	s_cbranch_execz .LBB156_136
; %bb.135:
	s_waitcnt lgkmcnt(6)
	v_xor_b32_e32 v12, 0xfffffdff, v0
	v_ashrrev_i32_e32 v13, 31, v12
	v_add_co_u32_e32 v12, vcc, v19, v12
	v_addc_co_u32_e32 v13, vcc, v21, v13, vcc
                                        ; implicit-def: $vgpr31
.LBB156_136:
	s_andn2_saveexec_b64 s[4:5], s[4:5]
	s_cbranch_execz .LBB156_138
; %bb.137:
	s_waitcnt lgkmcnt(6)
	v_add_co_u32_e32 v12, vcc, v1, v31
	v_addc_co_u32_e32 v13, vcc, 0, v16, vcc
.LBB156_138:
	s_or_b64 exec, exec, s[4:5]
	s_waitcnt lgkmcnt(6)
	v_lshlrev_b64 v[12:13], 2, v[12:13]
	v_mov_b32_e32 v14, s25
	v_add_co_u32_e32 v12, vcc, s24, v12
	v_addc_co_u32_e32 v13, vcc, v14, v13, vcc
	s_waitcnt lgkmcnt(5)
	global_store_dword v[12:13], v10, off
	s_or_b64 exec, exec, s[2:3]
	v_cmp_gt_u32_e32 vcc, s33, v30
	s_and_saveexec_b64 s[2:3], vcc
	s_cbranch_execnz .LBB156_170
.LBB156_139:
	s_or_b64 exec, exec, s[2:3]
	v_cmp_gt_u32_e32 vcc, s33, v29
	s_and_saveexec_b64 s[2:3], vcc
	s_cbranch_execz .LBB156_175
.LBB156_140:
	v_cmp_ge_u32_e32 vcc, v29, v18
                                        ; implicit-def: $vgpr10_vgpr11
	s_and_saveexec_b64 s[4:5], vcc
	s_xor_b64 s[4:5], exec, s[4:5]
	s_cbranch_execz .LBB156_142
; %bb.141:
	s_waitcnt lgkmcnt(5)
	v_xor_b32_e32 v10, 0xfffffbff, v0
	v_ashrrev_i32_e32 v11, 31, v10
	v_add_co_u32_e32 v10, vcc, v19, v10
	v_addc_co_u32_e32 v11, vcc, v21, v11, vcc
                                        ; implicit-def: $vgpr29
.LBB156_142:
	s_andn2_saveexec_b64 s[4:5], s[4:5]
	s_cbranch_execz .LBB156_144
; %bb.143:
	s_waitcnt lgkmcnt(5)
	v_add_co_u32_e32 v10, vcc, v1, v29
	v_addc_co_u32_e32 v11, vcc, 0, v16, vcc
.LBB156_144:
	s_or_b64 exec, exec, s[4:5]
	s_waitcnt lgkmcnt(5)
	v_lshlrev_b64 v[10:11], 2, v[10:11]
	v_mov_b32_e32 v12, s25
	v_add_co_u32_e32 v10, vcc, s24, v10
	v_addc_co_u32_e32 v11, vcc, v12, v11, vcc
	s_waitcnt lgkmcnt(4)
	global_store_dword v[10:11], v8, off
	s_or_b64 exec, exec, s[2:3]
	v_cmp_gt_u32_e32 vcc, s33, v28
	s_and_saveexec_b64 s[2:3], vcc
	s_cbranch_execnz .LBB156_176
.LBB156_145:
	s_or_b64 exec, exec, s[2:3]
	v_cmp_gt_u32_e32 vcc, s33, v27
	s_and_saveexec_b64 s[2:3], vcc
	s_cbranch_execz .LBB156_181
.LBB156_146:
	v_cmp_ge_u32_e32 vcc, v27, v18
                                        ; implicit-def: $vgpr8_vgpr9
	s_and_saveexec_b64 s[4:5], vcc
	s_xor_b64 s[4:5], exec, s[4:5]
	s_cbranch_execz .LBB156_148
; %bb.147:
	s_waitcnt lgkmcnt(4)
	v_xor_b32_e32 v8, 0xfffff9ff, v0
	v_ashrrev_i32_e32 v9, 31, v8
	v_add_co_u32_e32 v8, vcc, v19, v8
	v_addc_co_u32_e32 v9, vcc, v21, v9, vcc
                                        ; implicit-def: $vgpr27
.LBB156_148:
	s_andn2_saveexec_b64 s[4:5], s[4:5]
	s_cbranch_execz .LBB156_150
; %bb.149:
	s_waitcnt lgkmcnt(4)
	v_add_co_u32_e32 v8, vcc, v1, v27
	v_addc_co_u32_e32 v9, vcc, 0, v16, vcc
.LBB156_150:
	s_or_b64 exec, exec, s[4:5]
	s_waitcnt lgkmcnt(4)
	v_lshlrev_b64 v[8:9], 2, v[8:9]
	v_mov_b32_e32 v10, s25
	v_add_co_u32_e32 v8, vcc, s24, v8
	v_addc_co_u32_e32 v9, vcc, v10, v9, vcc
	s_waitcnt lgkmcnt(3)
	global_store_dword v[8:9], v6, off
	s_or_b64 exec, exec, s[2:3]
	v_cmp_gt_u32_e32 vcc, s33, v26
	s_and_saveexec_b64 s[2:3], vcc
	s_cbranch_execnz .LBB156_182
.LBB156_151:
	s_or_b64 exec, exec, s[2:3]
	v_cmp_gt_u32_e32 vcc, s33, v25
	s_and_saveexec_b64 s[2:3], vcc
	s_cbranch_execz .LBB156_187
.LBB156_152:
	v_cmp_ge_u32_e32 vcc, v25, v18
                                        ; implicit-def: $vgpr6_vgpr7
	s_and_saveexec_b64 s[4:5], vcc
	s_xor_b64 s[4:5], exec, s[4:5]
	s_cbranch_execz .LBB156_154
; %bb.153:
	s_waitcnt lgkmcnt(3)
	v_xor_b32_e32 v6, 0xfffff7ff, v0
	v_ashrrev_i32_e32 v7, 31, v6
	v_add_co_u32_e32 v6, vcc, v19, v6
	v_addc_co_u32_e32 v7, vcc, v21, v7, vcc
                                        ; implicit-def: $vgpr25
.LBB156_154:
	s_andn2_saveexec_b64 s[4:5], s[4:5]
	s_cbranch_execz .LBB156_156
; %bb.155:
	s_waitcnt lgkmcnt(3)
	v_add_co_u32_e32 v6, vcc, v1, v25
	v_addc_co_u32_e32 v7, vcc, 0, v16, vcc
.LBB156_156:
	s_or_b64 exec, exec, s[4:5]
	s_waitcnt lgkmcnt(3)
	v_lshlrev_b64 v[6:7], 2, v[6:7]
	v_mov_b32_e32 v8, s25
	v_add_co_u32_e32 v6, vcc, s24, v6
	v_addc_co_u32_e32 v7, vcc, v8, v7, vcc
	s_waitcnt lgkmcnt(2)
	global_store_dword v[6:7], v4, off
	s_or_b64 exec, exec, s[2:3]
	v_cmp_gt_u32_e32 vcc, s33, v24
	s_and_saveexec_b64 s[2:3], vcc
	s_cbranch_execnz .LBB156_188
.LBB156_157:
	s_or_b64 exec, exec, s[2:3]
	v_cmp_gt_u32_e32 vcc, s33, v23
	s_and_saveexec_b64 s[2:3], vcc
	s_cbranch_execz .LBB156_193
.LBB156_158:
	v_cmp_ge_u32_e32 vcc, v23, v18
                                        ; implicit-def: $vgpr4_vgpr5
	s_and_saveexec_b64 s[4:5], vcc
	s_xor_b64 s[4:5], exec, s[4:5]
	s_cbranch_execz .LBB156_160
; %bb.159:
	s_waitcnt lgkmcnt(2)
	v_xor_b32_e32 v4, 0xfffff5ff, v0
	v_ashrrev_i32_e32 v5, 31, v4
	v_add_co_u32_e32 v4, vcc, v19, v4
	v_addc_co_u32_e32 v5, vcc, v21, v5, vcc
                                        ; implicit-def: $vgpr23
.LBB156_160:
	s_andn2_saveexec_b64 s[4:5], s[4:5]
	s_cbranch_execz .LBB156_162
; %bb.161:
	s_waitcnt lgkmcnt(2)
	v_add_co_u32_e32 v4, vcc, v1, v23
	v_addc_co_u32_e32 v5, vcc, 0, v16, vcc
.LBB156_162:
	s_or_b64 exec, exec, s[4:5]
	s_waitcnt lgkmcnt(2)
	v_lshlrev_b64 v[4:5], 2, v[4:5]
	v_mov_b32_e32 v6, s25
	v_add_co_u32_e32 v4, vcc, s24, v4
	v_addc_co_u32_e32 v5, vcc, v6, v5, vcc
	s_waitcnt lgkmcnt(1)
	global_store_dword v[4:5], v2, off
	s_or_b64 exec, exec, s[2:3]
	v_cmp_gt_u32_e32 vcc, s33, v22
	s_and_saveexec_b64 s[2:3], vcc
	s_cbranch_execz .LBB156_199
	s_branch .LBB156_194
.LBB156_163:
	s_or_b64 exec, exec, s[2:3]
	v_cmp_gt_u32_e32 vcc, s33, v32
	s_and_saveexec_b64 s[2:3], vcc
	s_cbranch_execz .LBB156_133
.LBB156_164:
	v_cmp_ge_u32_e32 vcc, v32, v18
                                        ; implicit-def: $vgpr14_vgpr15
	s_and_saveexec_b64 s[4:5], vcc
	s_xor_b64 s[4:5], exec, s[4:5]
	s_cbranch_execz .LBB156_166
; %bb.165:
	s_waitcnt lgkmcnt(6)
	v_xor_b32_e32 v12, 0xfffffeff, v0
	v_ashrrev_i32_e32 v15, 31, v12
	v_add_co_u32_e32 v14, vcc, v19, v12
	v_addc_co_u32_e32 v15, vcc, v21, v15, vcc
                                        ; implicit-def: $vgpr32
.LBB156_166:
	s_andn2_saveexec_b64 s[4:5], s[4:5]
; %bb.167:
	v_add_co_u32_e32 v14, vcc, v1, v32
	v_addc_co_u32_e32 v15, vcc, 0, v16, vcc
; %bb.168:
	s_or_b64 exec, exec, s[4:5]
	v_lshlrev_b64 v[14:15], 2, v[14:15]
	s_waitcnt lgkmcnt(6)
	v_mov_b32_e32 v12, s25
	v_add_co_u32_e32 v14, vcc, s24, v14
	v_addc_co_u32_e32 v15, vcc, v12, v15, vcc
	global_store_dword v[14:15], v13, off
	s_or_b64 exec, exec, s[2:3]
	v_cmp_gt_u32_e32 vcc, s33, v31
	s_and_saveexec_b64 s[2:3], vcc
	s_cbranch_execnz .LBB156_134
.LBB156_169:
	s_or_b64 exec, exec, s[2:3]
	v_cmp_gt_u32_e32 vcc, s33, v30
	s_and_saveexec_b64 s[2:3], vcc
	s_cbranch_execz .LBB156_139
.LBB156_170:
	v_cmp_ge_u32_e32 vcc, v30, v18
                                        ; implicit-def: $vgpr12_vgpr13
	s_and_saveexec_b64 s[4:5], vcc
	s_xor_b64 s[4:5], exec, s[4:5]
	s_cbranch_execz .LBB156_172
; %bb.171:
	s_waitcnt lgkmcnt(5)
	v_xor_b32_e32 v10, 0xfffffcff, v0
	v_ashrrev_i32_e32 v13, 31, v10
	v_add_co_u32_e32 v12, vcc, v19, v10
	v_addc_co_u32_e32 v13, vcc, v21, v13, vcc
                                        ; implicit-def: $vgpr30
.LBB156_172:
	s_andn2_saveexec_b64 s[4:5], s[4:5]
	s_cbranch_execz .LBB156_174
; %bb.173:
	s_waitcnt lgkmcnt(6)
	v_add_co_u32_e32 v12, vcc, v1, v30
	v_addc_co_u32_e32 v13, vcc, 0, v16, vcc
.LBB156_174:
	s_or_b64 exec, exec, s[4:5]
	s_waitcnt lgkmcnt(6)
	v_lshlrev_b64 v[12:13], 2, v[12:13]
	s_waitcnt lgkmcnt(5)
	v_mov_b32_e32 v10, s25
	v_add_co_u32_e32 v12, vcc, s24, v12
	v_addc_co_u32_e32 v13, vcc, v10, v13, vcc
	global_store_dword v[12:13], v11, off
	s_or_b64 exec, exec, s[2:3]
	v_cmp_gt_u32_e32 vcc, s33, v29
	s_and_saveexec_b64 s[2:3], vcc
	s_cbranch_execnz .LBB156_140
.LBB156_175:
	s_or_b64 exec, exec, s[2:3]
	v_cmp_gt_u32_e32 vcc, s33, v28
	s_and_saveexec_b64 s[2:3], vcc
	s_cbranch_execz .LBB156_145
.LBB156_176:
	v_cmp_ge_u32_e32 vcc, v28, v18
                                        ; implicit-def: $vgpr10_vgpr11
	s_and_saveexec_b64 s[4:5], vcc
	s_xor_b64 s[4:5], exec, s[4:5]
	s_cbranch_execz .LBB156_178
; %bb.177:
	s_waitcnt lgkmcnt(4)
	v_xor_b32_e32 v8, 0xfffffaff, v0
	v_ashrrev_i32_e32 v11, 31, v8
	v_add_co_u32_e32 v10, vcc, v19, v8
	v_addc_co_u32_e32 v11, vcc, v21, v11, vcc
                                        ; implicit-def: $vgpr28
.LBB156_178:
	s_andn2_saveexec_b64 s[4:5], s[4:5]
	s_cbranch_execz .LBB156_180
; %bb.179:
	s_waitcnt lgkmcnt(5)
	v_add_co_u32_e32 v10, vcc, v1, v28
	v_addc_co_u32_e32 v11, vcc, 0, v16, vcc
.LBB156_180:
	s_or_b64 exec, exec, s[4:5]
	s_waitcnt lgkmcnt(5)
	v_lshlrev_b64 v[10:11], 2, v[10:11]
	s_waitcnt lgkmcnt(4)
	v_mov_b32_e32 v8, s25
	v_add_co_u32_e32 v10, vcc, s24, v10
	v_addc_co_u32_e32 v11, vcc, v8, v11, vcc
	global_store_dword v[10:11], v9, off
	s_or_b64 exec, exec, s[2:3]
	v_cmp_gt_u32_e32 vcc, s33, v27
	s_and_saveexec_b64 s[2:3], vcc
	s_cbranch_execnz .LBB156_146
.LBB156_181:
	s_or_b64 exec, exec, s[2:3]
	v_cmp_gt_u32_e32 vcc, s33, v26
	s_and_saveexec_b64 s[2:3], vcc
	s_cbranch_execz .LBB156_151
.LBB156_182:
	v_cmp_ge_u32_e32 vcc, v26, v18
                                        ; implicit-def: $vgpr8_vgpr9
	s_and_saveexec_b64 s[4:5], vcc
	s_xor_b64 s[4:5], exec, s[4:5]
	s_cbranch_execz .LBB156_184
; %bb.183:
	s_waitcnt lgkmcnt(3)
	v_xor_b32_e32 v6, 0xfffff8ff, v0
	v_ashrrev_i32_e32 v9, 31, v6
	v_add_co_u32_e32 v8, vcc, v19, v6
	v_addc_co_u32_e32 v9, vcc, v21, v9, vcc
                                        ; implicit-def: $vgpr26
.LBB156_184:
	s_andn2_saveexec_b64 s[4:5], s[4:5]
	s_cbranch_execz .LBB156_186
; %bb.185:
	s_waitcnt lgkmcnt(4)
	v_add_co_u32_e32 v8, vcc, v1, v26
	v_addc_co_u32_e32 v9, vcc, 0, v16, vcc
.LBB156_186:
	s_or_b64 exec, exec, s[4:5]
	s_waitcnt lgkmcnt(4)
	v_lshlrev_b64 v[8:9], 2, v[8:9]
	s_waitcnt lgkmcnt(3)
	v_mov_b32_e32 v6, s25
	v_add_co_u32_e32 v8, vcc, s24, v8
	v_addc_co_u32_e32 v9, vcc, v6, v9, vcc
	global_store_dword v[8:9], v7, off
	s_or_b64 exec, exec, s[2:3]
	v_cmp_gt_u32_e32 vcc, s33, v25
	s_and_saveexec_b64 s[2:3], vcc
	s_cbranch_execnz .LBB156_152
.LBB156_187:
	s_or_b64 exec, exec, s[2:3]
	v_cmp_gt_u32_e32 vcc, s33, v24
	s_and_saveexec_b64 s[2:3], vcc
	s_cbranch_execz .LBB156_157
.LBB156_188:
	v_cmp_ge_u32_e32 vcc, v24, v18
                                        ; implicit-def: $vgpr6_vgpr7
	s_and_saveexec_b64 s[4:5], vcc
	s_xor_b64 s[4:5], exec, s[4:5]
	s_cbranch_execz .LBB156_190
; %bb.189:
	s_waitcnt lgkmcnt(2)
	v_xor_b32_e32 v4, 0xfffff6ff, v0
	v_ashrrev_i32_e32 v7, 31, v4
	v_add_co_u32_e32 v6, vcc, v19, v4
	v_addc_co_u32_e32 v7, vcc, v21, v7, vcc
                                        ; implicit-def: $vgpr24
.LBB156_190:
	s_andn2_saveexec_b64 s[4:5], s[4:5]
	s_cbranch_execz .LBB156_192
; %bb.191:
	s_waitcnt lgkmcnt(3)
	v_add_co_u32_e32 v6, vcc, v1, v24
	v_addc_co_u32_e32 v7, vcc, 0, v16, vcc
.LBB156_192:
	s_or_b64 exec, exec, s[4:5]
	s_waitcnt lgkmcnt(3)
	v_lshlrev_b64 v[6:7], 2, v[6:7]
	s_waitcnt lgkmcnt(2)
	v_mov_b32_e32 v4, s25
	v_add_co_u32_e32 v6, vcc, s24, v6
	v_addc_co_u32_e32 v7, vcc, v4, v7, vcc
	global_store_dword v[6:7], v5, off
	s_or_b64 exec, exec, s[2:3]
	v_cmp_gt_u32_e32 vcc, s33, v23
	s_and_saveexec_b64 s[2:3], vcc
	s_cbranch_execnz .LBB156_158
.LBB156_193:
	s_or_b64 exec, exec, s[2:3]
	v_cmp_gt_u32_e32 vcc, s33, v22
	s_and_saveexec_b64 s[2:3], vcc
	s_cbranch_execz .LBB156_199
.LBB156_194:
	v_cmp_ge_u32_e32 vcc, v22, v18
                                        ; implicit-def: $vgpr4_vgpr5
	s_and_saveexec_b64 s[4:5], vcc
	s_xor_b64 s[4:5], exec, s[4:5]
	s_cbranch_execz .LBB156_196
; %bb.195:
	s_waitcnt lgkmcnt(1)
	v_xor_b32_e32 v2, 0xfffff4ff, v0
	v_ashrrev_i32_e32 v5, 31, v2
	v_add_co_u32_e32 v4, vcc, v19, v2
	v_addc_co_u32_e32 v5, vcc, v21, v5, vcc
                                        ; implicit-def: $vgpr22
.LBB156_196:
	s_andn2_saveexec_b64 s[4:5], s[4:5]
	s_cbranch_execz .LBB156_198
; %bb.197:
	s_waitcnt lgkmcnt(2)
	v_add_co_u32_e32 v4, vcc, v1, v22
	v_addc_co_u32_e32 v5, vcc, 0, v16, vcc
.LBB156_198:
	s_or_b64 exec, exec, s[4:5]
	s_waitcnt lgkmcnt(2)
	v_lshlrev_b64 v[4:5], 2, v[4:5]
	s_waitcnt lgkmcnt(1)
	v_mov_b32_e32 v2, s25
	v_add_co_u32_e32 v4, vcc, s24, v4
	v_addc_co_u32_e32 v5, vcc, v2, v5, vcc
	global_store_dword v[4:5], v3, off
.LBB156_199:
	s_or_b64 exec, exec, s[2:3]
	v_cmp_gt_u32_e32 vcc, s33, v20
                                        ; implicit-def: $vgpr14_vgpr15
	s_and_saveexec_b64 s[2:3], vcc
	s_cbranch_execz .LBB156_205
; %bb.200:
	v_cmp_ge_u32_e32 vcc, v20, v18
                                        ; implicit-def: $vgpr14_vgpr15
	s_and_saveexec_b64 s[4:5], vcc
	s_xor_b64 s[4:5], exec, s[4:5]
	s_cbranch_execz .LBB156_202
; %bb.201:
	s_waitcnt lgkmcnt(1)
	v_xor_b32_e32 v2, 0xfffff3ff, v0
	v_ashrrev_i32_e32 v3, 31, v2
	v_add_co_u32_e32 v14, vcc, v19, v2
	v_addc_co_u32_e32 v15, vcc, v21, v3, vcc
                                        ; implicit-def: $vgpr20
.LBB156_202:
	s_andn2_saveexec_b64 s[4:5], s[4:5]
; %bb.203:
	v_add_co_u32_e32 v14, vcc, v1, v20
	v_addc_co_u32_e32 v15, vcc, 0, v16, vcc
; %bb.204:
	s_or_b64 exec, exec, s[4:5]
	s_or_b64 s[0:1], s[0:1], exec
.LBB156_205:
	s_or_b64 exec, exec, s[2:3]
.LBB156_206:
	s_and_saveexec_b64 s[2:3], s[0:1]
	s_cbranch_execz .LBB156_208
; %bb.207:
	s_waitcnt lgkmcnt(1)
	v_lshlrev_b64 v[2:3], 2, v[14:15]
	v_mov_b32_e32 v4, s25
	v_add_co_u32_e32 v2, vcc, s24, v2
	v_addc_co_u32_e32 v3, vcc, v4, v3, vcc
	s_waitcnt lgkmcnt(0)
	global_store_dword v[2:3], v17, off
.LBB156_208:
	s_or_b64 exec, exec, s[2:3]
	v_cmp_eq_u32_e32 vcc, 0, v0
	s_and_b64 s[0:1], vcc, s[22:23]
	s_and_saveexec_b64 s[2:3], s[0:1]
	s_cbranch_execz .LBB156_210
; %bb.209:
	v_add_co_u32_e32 v0, vcc, v1, v18
	s_waitcnt lgkmcnt(1)
	v_mov_b32_e32 v2, 0
	v_addc_co_u32_e32 v1, vcc, 0, v16, vcc
	global_store_dwordx2 v2, v[0:1], s[20:21]
.LBB156_210:
	s_endpgm
	.section	.rodata,"a",@progbits
	.p2align	6, 0x0
	.amdhsa_kernel _ZN7rocprim17ROCPRIM_400000_NS6detail17trampoline_kernelINS0_13select_configILj256ELj13ELNS0_17block_load_methodE3ELS4_3ELS4_3ELNS0_20block_scan_algorithmE0ELj4294967295EEENS1_25partition_config_selectorILNS1_17partition_subalgoE3EjNS0_10empty_typeEbEEZZNS1_14partition_implILS8_3ELb0ES6_jNS0_17counting_iteratorIjlEEPS9_SE_NS0_5tupleIJPjSE_EEENSF_IJSE_SE_EEES9_SG_JZNS1_25segmented_radix_sort_implINS0_14default_configELb0EPKhPhPKlPlN2at6native12_GLOBAL__N_18offset_tEEE10hipError_tPvRmT1_PNSt15iterator_traitsISY_E10value_typeET2_T3_PNSZ_IS14_E10value_typeET4_jRbjT5_S1A_jjP12ihipStream_tbEUljE_EEESV_SW_SX_S14_S18_S1A_T6_T7_T9_mT8_S1C_bDpT10_ENKUlT_T0_E_clISt17integral_constantIbLb0EES1P_EEDaS1K_S1L_EUlS1K_E_NS1_11comp_targetILNS1_3genE4ELNS1_11target_archE910ELNS1_3gpuE8ELNS1_3repE0EEENS1_30default_config_static_selectorELNS0_4arch9wavefront6targetE1EEEvSY_
		.amdhsa_group_segment_fixed_size 13324
		.amdhsa_private_segment_fixed_size 0
		.amdhsa_kernarg_size 144
		.amdhsa_user_sgpr_count 6
		.amdhsa_user_sgpr_private_segment_buffer 1
		.amdhsa_user_sgpr_dispatch_ptr 0
		.amdhsa_user_sgpr_queue_ptr 0
		.amdhsa_user_sgpr_kernarg_segment_ptr 1
		.amdhsa_user_sgpr_dispatch_id 0
		.amdhsa_user_sgpr_flat_scratch_init 0
		.amdhsa_user_sgpr_kernarg_preload_length 0
		.amdhsa_user_sgpr_kernarg_preload_offset 0
		.amdhsa_user_sgpr_private_segment_size 0
		.amdhsa_uses_dynamic_stack 0
		.amdhsa_system_sgpr_private_segment_wavefront_offset 0
		.amdhsa_system_sgpr_workgroup_id_x 1
		.amdhsa_system_sgpr_workgroup_id_y 0
		.amdhsa_system_sgpr_workgroup_id_z 0
		.amdhsa_system_sgpr_workgroup_info 0
		.amdhsa_system_vgpr_workitem_id 0
		.amdhsa_next_free_vgpr 61
		.amdhsa_next_free_sgpr 46
		.amdhsa_accum_offset 64
		.amdhsa_reserve_vcc 1
		.amdhsa_reserve_flat_scratch 0
		.amdhsa_float_round_mode_32 0
		.amdhsa_float_round_mode_16_64 0
		.amdhsa_float_denorm_mode_32 3
		.amdhsa_float_denorm_mode_16_64 3
		.amdhsa_dx10_clamp 1
		.amdhsa_ieee_mode 1
		.amdhsa_fp16_overflow 0
		.amdhsa_tg_split 0
		.amdhsa_exception_fp_ieee_invalid_op 0
		.amdhsa_exception_fp_denorm_src 0
		.amdhsa_exception_fp_ieee_div_zero 0
		.amdhsa_exception_fp_ieee_overflow 0
		.amdhsa_exception_fp_ieee_underflow 0
		.amdhsa_exception_fp_ieee_inexact 0
		.amdhsa_exception_int_div_zero 0
	.end_amdhsa_kernel
	.section	.text._ZN7rocprim17ROCPRIM_400000_NS6detail17trampoline_kernelINS0_13select_configILj256ELj13ELNS0_17block_load_methodE3ELS4_3ELS4_3ELNS0_20block_scan_algorithmE0ELj4294967295EEENS1_25partition_config_selectorILNS1_17partition_subalgoE3EjNS0_10empty_typeEbEEZZNS1_14partition_implILS8_3ELb0ES6_jNS0_17counting_iteratorIjlEEPS9_SE_NS0_5tupleIJPjSE_EEENSF_IJSE_SE_EEES9_SG_JZNS1_25segmented_radix_sort_implINS0_14default_configELb0EPKhPhPKlPlN2at6native12_GLOBAL__N_18offset_tEEE10hipError_tPvRmT1_PNSt15iterator_traitsISY_E10value_typeET2_T3_PNSZ_IS14_E10value_typeET4_jRbjT5_S1A_jjP12ihipStream_tbEUljE_EEESV_SW_SX_S14_S18_S1A_T6_T7_T9_mT8_S1C_bDpT10_ENKUlT_T0_E_clISt17integral_constantIbLb0EES1P_EEDaS1K_S1L_EUlS1K_E_NS1_11comp_targetILNS1_3genE4ELNS1_11target_archE910ELNS1_3gpuE8ELNS1_3repE0EEENS1_30default_config_static_selectorELNS0_4arch9wavefront6targetE1EEEvSY_,"axG",@progbits,_ZN7rocprim17ROCPRIM_400000_NS6detail17trampoline_kernelINS0_13select_configILj256ELj13ELNS0_17block_load_methodE3ELS4_3ELS4_3ELNS0_20block_scan_algorithmE0ELj4294967295EEENS1_25partition_config_selectorILNS1_17partition_subalgoE3EjNS0_10empty_typeEbEEZZNS1_14partition_implILS8_3ELb0ES6_jNS0_17counting_iteratorIjlEEPS9_SE_NS0_5tupleIJPjSE_EEENSF_IJSE_SE_EEES9_SG_JZNS1_25segmented_radix_sort_implINS0_14default_configELb0EPKhPhPKlPlN2at6native12_GLOBAL__N_18offset_tEEE10hipError_tPvRmT1_PNSt15iterator_traitsISY_E10value_typeET2_T3_PNSZ_IS14_E10value_typeET4_jRbjT5_S1A_jjP12ihipStream_tbEUljE_EEESV_SW_SX_S14_S18_S1A_T6_T7_T9_mT8_S1C_bDpT10_ENKUlT_T0_E_clISt17integral_constantIbLb0EES1P_EEDaS1K_S1L_EUlS1K_E_NS1_11comp_targetILNS1_3genE4ELNS1_11target_archE910ELNS1_3gpuE8ELNS1_3repE0EEENS1_30default_config_static_selectorELNS0_4arch9wavefront6targetE1EEEvSY_,comdat
.Lfunc_end156:
	.size	_ZN7rocprim17ROCPRIM_400000_NS6detail17trampoline_kernelINS0_13select_configILj256ELj13ELNS0_17block_load_methodE3ELS4_3ELS4_3ELNS0_20block_scan_algorithmE0ELj4294967295EEENS1_25partition_config_selectorILNS1_17partition_subalgoE3EjNS0_10empty_typeEbEEZZNS1_14partition_implILS8_3ELb0ES6_jNS0_17counting_iteratorIjlEEPS9_SE_NS0_5tupleIJPjSE_EEENSF_IJSE_SE_EEES9_SG_JZNS1_25segmented_radix_sort_implINS0_14default_configELb0EPKhPhPKlPlN2at6native12_GLOBAL__N_18offset_tEEE10hipError_tPvRmT1_PNSt15iterator_traitsISY_E10value_typeET2_T3_PNSZ_IS14_E10value_typeET4_jRbjT5_S1A_jjP12ihipStream_tbEUljE_EEESV_SW_SX_S14_S18_S1A_T6_T7_T9_mT8_S1C_bDpT10_ENKUlT_T0_E_clISt17integral_constantIbLb0EES1P_EEDaS1K_S1L_EUlS1K_E_NS1_11comp_targetILNS1_3genE4ELNS1_11target_archE910ELNS1_3gpuE8ELNS1_3repE0EEENS1_30default_config_static_selectorELNS0_4arch9wavefront6targetE1EEEvSY_, .Lfunc_end156-_ZN7rocprim17ROCPRIM_400000_NS6detail17trampoline_kernelINS0_13select_configILj256ELj13ELNS0_17block_load_methodE3ELS4_3ELS4_3ELNS0_20block_scan_algorithmE0ELj4294967295EEENS1_25partition_config_selectorILNS1_17partition_subalgoE3EjNS0_10empty_typeEbEEZZNS1_14partition_implILS8_3ELb0ES6_jNS0_17counting_iteratorIjlEEPS9_SE_NS0_5tupleIJPjSE_EEENSF_IJSE_SE_EEES9_SG_JZNS1_25segmented_radix_sort_implINS0_14default_configELb0EPKhPhPKlPlN2at6native12_GLOBAL__N_18offset_tEEE10hipError_tPvRmT1_PNSt15iterator_traitsISY_E10value_typeET2_T3_PNSZ_IS14_E10value_typeET4_jRbjT5_S1A_jjP12ihipStream_tbEUljE_EEESV_SW_SX_S14_S18_S1A_T6_T7_T9_mT8_S1C_bDpT10_ENKUlT_T0_E_clISt17integral_constantIbLb0EES1P_EEDaS1K_S1L_EUlS1K_E_NS1_11comp_targetILNS1_3genE4ELNS1_11target_archE910ELNS1_3gpuE8ELNS1_3repE0EEENS1_30default_config_static_selectorELNS0_4arch9wavefront6targetE1EEEvSY_
                                        ; -- End function
	.section	.AMDGPU.csdata,"",@progbits
; Kernel info:
; codeLenInByte = 7676
; NumSgprs: 50
; NumVgprs: 61
; NumAgprs: 0
; TotalNumVgprs: 61
; ScratchSize: 0
; MemoryBound: 0
; FloatMode: 240
; IeeeMode: 1
; LDSByteSize: 13324 bytes/workgroup (compile time only)
; SGPRBlocks: 6
; VGPRBlocks: 7
; NumSGPRsForWavesPerEU: 50
; NumVGPRsForWavesPerEU: 61
; AccumOffset: 64
; Occupancy: 4
; WaveLimiterHint : 0
; COMPUTE_PGM_RSRC2:SCRATCH_EN: 0
; COMPUTE_PGM_RSRC2:USER_SGPR: 6
; COMPUTE_PGM_RSRC2:TRAP_HANDLER: 0
; COMPUTE_PGM_RSRC2:TGID_X_EN: 1
; COMPUTE_PGM_RSRC2:TGID_Y_EN: 0
; COMPUTE_PGM_RSRC2:TGID_Z_EN: 0
; COMPUTE_PGM_RSRC2:TIDIG_COMP_CNT: 0
; COMPUTE_PGM_RSRC3_GFX90A:ACCUM_OFFSET: 15
; COMPUTE_PGM_RSRC3_GFX90A:TG_SPLIT: 0
	.section	.text._ZN7rocprim17ROCPRIM_400000_NS6detail17trampoline_kernelINS0_13select_configILj256ELj13ELNS0_17block_load_methodE3ELS4_3ELS4_3ELNS0_20block_scan_algorithmE0ELj4294967295EEENS1_25partition_config_selectorILNS1_17partition_subalgoE3EjNS0_10empty_typeEbEEZZNS1_14partition_implILS8_3ELb0ES6_jNS0_17counting_iteratorIjlEEPS9_SE_NS0_5tupleIJPjSE_EEENSF_IJSE_SE_EEES9_SG_JZNS1_25segmented_radix_sort_implINS0_14default_configELb0EPKhPhPKlPlN2at6native12_GLOBAL__N_18offset_tEEE10hipError_tPvRmT1_PNSt15iterator_traitsISY_E10value_typeET2_T3_PNSZ_IS14_E10value_typeET4_jRbjT5_S1A_jjP12ihipStream_tbEUljE_EEESV_SW_SX_S14_S18_S1A_T6_T7_T9_mT8_S1C_bDpT10_ENKUlT_T0_E_clISt17integral_constantIbLb0EES1P_EEDaS1K_S1L_EUlS1K_E_NS1_11comp_targetILNS1_3genE3ELNS1_11target_archE908ELNS1_3gpuE7ELNS1_3repE0EEENS1_30default_config_static_selectorELNS0_4arch9wavefront6targetE1EEEvSY_,"axG",@progbits,_ZN7rocprim17ROCPRIM_400000_NS6detail17trampoline_kernelINS0_13select_configILj256ELj13ELNS0_17block_load_methodE3ELS4_3ELS4_3ELNS0_20block_scan_algorithmE0ELj4294967295EEENS1_25partition_config_selectorILNS1_17partition_subalgoE3EjNS0_10empty_typeEbEEZZNS1_14partition_implILS8_3ELb0ES6_jNS0_17counting_iteratorIjlEEPS9_SE_NS0_5tupleIJPjSE_EEENSF_IJSE_SE_EEES9_SG_JZNS1_25segmented_radix_sort_implINS0_14default_configELb0EPKhPhPKlPlN2at6native12_GLOBAL__N_18offset_tEEE10hipError_tPvRmT1_PNSt15iterator_traitsISY_E10value_typeET2_T3_PNSZ_IS14_E10value_typeET4_jRbjT5_S1A_jjP12ihipStream_tbEUljE_EEESV_SW_SX_S14_S18_S1A_T6_T7_T9_mT8_S1C_bDpT10_ENKUlT_T0_E_clISt17integral_constantIbLb0EES1P_EEDaS1K_S1L_EUlS1K_E_NS1_11comp_targetILNS1_3genE3ELNS1_11target_archE908ELNS1_3gpuE7ELNS1_3repE0EEENS1_30default_config_static_selectorELNS0_4arch9wavefront6targetE1EEEvSY_,comdat
	.globl	_ZN7rocprim17ROCPRIM_400000_NS6detail17trampoline_kernelINS0_13select_configILj256ELj13ELNS0_17block_load_methodE3ELS4_3ELS4_3ELNS0_20block_scan_algorithmE0ELj4294967295EEENS1_25partition_config_selectorILNS1_17partition_subalgoE3EjNS0_10empty_typeEbEEZZNS1_14partition_implILS8_3ELb0ES6_jNS0_17counting_iteratorIjlEEPS9_SE_NS0_5tupleIJPjSE_EEENSF_IJSE_SE_EEES9_SG_JZNS1_25segmented_radix_sort_implINS0_14default_configELb0EPKhPhPKlPlN2at6native12_GLOBAL__N_18offset_tEEE10hipError_tPvRmT1_PNSt15iterator_traitsISY_E10value_typeET2_T3_PNSZ_IS14_E10value_typeET4_jRbjT5_S1A_jjP12ihipStream_tbEUljE_EEESV_SW_SX_S14_S18_S1A_T6_T7_T9_mT8_S1C_bDpT10_ENKUlT_T0_E_clISt17integral_constantIbLb0EES1P_EEDaS1K_S1L_EUlS1K_E_NS1_11comp_targetILNS1_3genE3ELNS1_11target_archE908ELNS1_3gpuE7ELNS1_3repE0EEENS1_30default_config_static_selectorELNS0_4arch9wavefront6targetE1EEEvSY_ ; -- Begin function _ZN7rocprim17ROCPRIM_400000_NS6detail17trampoline_kernelINS0_13select_configILj256ELj13ELNS0_17block_load_methodE3ELS4_3ELS4_3ELNS0_20block_scan_algorithmE0ELj4294967295EEENS1_25partition_config_selectorILNS1_17partition_subalgoE3EjNS0_10empty_typeEbEEZZNS1_14partition_implILS8_3ELb0ES6_jNS0_17counting_iteratorIjlEEPS9_SE_NS0_5tupleIJPjSE_EEENSF_IJSE_SE_EEES9_SG_JZNS1_25segmented_radix_sort_implINS0_14default_configELb0EPKhPhPKlPlN2at6native12_GLOBAL__N_18offset_tEEE10hipError_tPvRmT1_PNSt15iterator_traitsISY_E10value_typeET2_T3_PNSZ_IS14_E10value_typeET4_jRbjT5_S1A_jjP12ihipStream_tbEUljE_EEESV_SW_SX_S14_S18_S1A_T6_T7_T9_mT8_S1C_bDpT10_ENKUlT_T0_E_clISt17integral_constantIbLb0EES1P_EEDaS1K_S1L_EUlS1K_E_NS1_11comp_targetILNS1_3genE3ELNS1_11target_archE908ELNS1_3gpuE7ELNS1_3repE0EEENS1_30default_config_static_selectorELNS0_4arch9wavefront6targetE1EEEvSY_
	.p2align	8
	.type	_ZN7rocprim17ROCPRIM_400000_NS6detail17trampoline_kernelINS0_13select_configILj256ELj13ELNS0_17block_load_methodE3ELS4_3ELS4_3ELNS0_20block_scan_algorithmE0ELj4294967295EEENS1_25partition_config_selectorILNS1_17partition_subalgoE3EjNS0_10empty_typeEbEEZZNS1_14partition_implILS8_3ELb0ES6_jNS0_17counting_iteratorIjlEEPS9_SE_NS0_5tupleIJPjSE_EEENSF_IJSE_SE_EEES9_SG_JZNS1_25segmented_radix_sort_implINS0_14default_configELb0EPKhPhPKlPlN2at6native12_GLOBAL__N_18offset_tEEE10hipError_tPvRmT1_PNSt15iterator_traitsISY_E10value_typeET2_T3_PNSZ_IS14_E10value_typeET4_jRbjT5_S1A_jjP12ihipStream_tbEUljE_EEESV_SW_SX_S14_S18_S1A_T6_T7_T9_mT8_S1C_bDpT10_ENKUlT_T0_E_clISt17integral_constantIbLb0EES1P_EEDaS1K_S1L_EUlS1K_E_NS1_11comp_targetILNS1_3genE3ELNS1_11target_archE908ELNS1_3gpuE7ELNS1_3repE0EEENS1_30default_config_static_selectorELNS0_4arch9wavefront6targetE1EEEvSY_,@function
_ZN7rocprim17ROCPRIM_400000_NS6detail17trampoline_kernelINS0_13select_configILj256ELj13ELNS0_17block_load_methodE3ELS4_3ELS4_3ELNS0_20block_scan_algorithmE0ELj4294967295EEENS1_25partition_config_selectorILNS1_17partition_subalgoE3EjNS0_10empty_typeEbEEZZNS1_14partition_implILS8_3ELb0ES6_jNS0_17counting_iteratorIjlEEPS9_SE_NS0_5tupleIJPjSE_EEENSF_IJSE_SE_EEES9_SG_JZNS1_25segmented_radix_sort_implINS0_14default_configELb0EPKhPhPKlPlN2at6native12_GLOBAL__N_18offset_tEEE10hipError_tPvRmT1_PNSt15iterator_traitsISY_E10value_typeET2_T3_PNSZ_IS14_E10value_typeET4_jRbjT5_S1A_jjP12ihipStream_tbEUljE_EEESV_SW_SX_S14_S18_S1A_T6_T7_T9_mT8_S1C_bDpT10_ENKUlT_T0_E_clISt17integral_constantIbLb0EES1P_EEDaS1K_S1L_EUlS1K_E_NS1_11comp_targetILNS1_3genE3ELNS1_11target_archE908ELNS1_3gpuE7ELNS1_3repE0EEENS1_30default_config_static_selectorELNS0_4arch9wavefront6targetE1EEEvSY_: ; @_ZN7rocprim17ROCPRIM_400000_NS6detail17trampoline_kernelINS0_13select_configILj256ELj13ELNS0_17block_load_methodE3ELS4_3ELS4_3ELNS0_20block_scan_algorithmE0ELj4294967295EEENS1_25partition_config_selectorILNS1_17partition_subalgoE3EjNS0_10empty_typeEbEEZZNS1_14partition_implILS8_3ELb0ES6_jNS0_17counting_iteratorIjlEEPS9_SE_NS0_5tupleIJPjSE_EEENSF_IJSE_SE_EEES9_SG_JZNS1_25segmented_radix_sort_implINS0_14default_configELb0EPKhPhPKlPlN2at6native12_GLOBAL__N_18offset_tEEE10hipError_tPvRmT1_PNSt15iterator_traitsISY_E10value_typeET2_T3_PNSZ_IS14_E10value_typeET4_jRbjT5_S1A_jjP12ihipStream_tbEUljE_EEESV_SW_SX_S14_S18_S1A_T6_T7_T9_mT8_S1C_bDpT10_ENKUlT_T0_E_clISt17integral_constantIbLb0EES1P_EEDaS1K_S1L_EUlS1K_E_NS1_11comp_targetILNS1_3genE3ELNS1_11target_archE908ELNS1_3gpuE7ELNS1_3repE0EEENS1_30default_config_static_selectorELNS0_4arch9wavefront6targetE1EEEvSY_
; %bb.0:
	.section	.rodata,"a",@progbits
	.p2align	6, 0x0
	.amdhsa_kernel _ZN7rocprim17ROCPRIM_400000_NS6detail17trampoline_kernelINS0_13select_configILj256ELj13ELNS0_17block_load_methodE3ELS4_3ELS4_3ELNS0_20block_scan_algorithmE0ELj4294967295EEENS1_25partition_config_selectorILNS1_17partition_subalgoE3EjNS0_10empty_typeEbEEZZNS1_14partition_implILS8_3ELb0ES6_jNS0_17counting_iteratorIjlEEPS9_SE_NS0_5tupleIJPjSE_EEENSF_IJSE_SE_EEES9_SG_JZNS1_25segmented_radix_sort_implINS0_14default_configELb0EPKhPhPKlPlN2at6native12_GLOBAL__N_18offset_tEEE10hipError_tPvRmT1_PNSt15iterator_traitsISY_E10value_typeET2_T3_PNSZ_IS14_E10value_typeET4_jRbjT5_S1A_jjP12ihipStream_tbEUljE_EEESV_SW_SX_S14_S18_S1A_T6_T7_T9_mT8_S1C_bDpT10_ENKUlT_T0_E_clISt17integral_constantIbLb0EES1P_EEDaS1K_S1L_EUlS1K_E_NS1_11comp_targetILNS1_3genE3ELNS1_11target_archE908ELNS1_3gpuE7ELNS1_3repE0EEENS1_30default_config_static_selectorELNS0_4arch9wavefront6targetE1EEEvSY_
		.amdhsa_group_segment_fixed_size 0
		.amdhsa_private_segment_fixed_size 0
		.amdhsa_kernarg_size 144
		.amdhsa_user_sgpr_count 6
		.amdhsa_user_sgpr_private_segment_buffer 1
		.amdhsa_user_sgpr_dispatch_ptr 0
		.amdhsa_user_sgpr_queue_ptr 0
		.amdhsa_user_sgpr_kernarg_segment_ptr 1
		.amdhsa_user_sgpr_dispatch_id 0
		.amdhsa_user_sgpr_flat_scratch_init 0
		.amdhsa_user_sgpr_kernarg_preload_length 0
		.amdhsa_user_sgpr_kernarg_preload_offset 0
		.amdhsa_user_sgpr_private_segment_size 0
		.amdhsa_uses_dynamic_stack 0
		.amdhsa_system_sgpr_private_segment_wavefront_offset 0
		.amdhsa_system_sgpr_workgroup_id_x 1
		.amdhsa_system_sgpr_workgroup_id_y 0
		.amdhsa_system_sgpr_workgroup_id_z 0
		.amdhsa_system_sgpr_workgroup_info 0
		.amdhsa_system_vgpr_workitem_id 0
		.amdhsa_next_free_vgpr 1
		.amdhsa_next_free_sgpr 0
		.amdhsa_accum_offset 4
		.amdhsa_reserve_vcc 0
		.amdhsa_reserve_flat_scratch 0
		.amdhsa_float_round_mode_32 0
		.amdhsa_float_round_mode_16_64 0
		.amdhsa_float_denorm_mode_32 3
		.amdhsa_float_denorm_mode_16_64 3
		.amdhsa_dx10_clamp 1
		.amdhsa_ieee_mode 1
		.amdhsa_fp16_overflow 0
		.amdhsa_tg_split 0
		.amdhsa_exception_fp_ieee_invalid_op 0
		.amdhsa_exception_fp_denorm_src 0
		.amdhsa_exception_fp_ieee_div_zero 0
		.amdhsa_exception_fp_ieee_overflow 0
		.amdhsa_exception_fp_ieee_underflow 0
		.amdhsa_exception_fp_ieee_inexact 0
		.amdhsa_exception_int_div_zero 0
	.end_amdhsa_kernel
	.section	.text._ZN7rocprim17ROCPRIM_400000_NS6detail17trampoline_kernelINS0_13select_configILj256ELj13ELNS0_17block_load_methodE3ELS4_3ELS4_3ELNS0_20block_scan_algorithmE0ELj4294967295EEENS1_25partition_config_selectorILNS1_17partition_subalgoE3EjNS0_10empty_typeEbEEZZNS1_14partition_implILS8_3ELb0ES6_jNS0_17counting_iteratorIjlEEPS9_SE_NS0_5tupleIJPjSE_EEENSF_IJSE_SE_EEES9_SG_JZNS1_25segmented_radix_sort_implINS0_14default_configELb0EPKhPhPKlPlN2at6native12_GLOBAL__N_18offset_tEEE10hipError_tPvRmT1_PNSt15iterator_traitsISY_E10value_typeET2_T3_PNSZ_IS14_E10value_typeET4_jRbjT5_S1A_jjP12ihipStream_tbEUljE_EEESV_SW_SX_S14_S18_S1A_T6_T7_T9_mT8_S1C_bDpT10_ENKUlT_T0_E_clISt17integral_constantIbLb0EES1P_EEDaS1K_S1L_EUlS1K_E_NS1_11comp_targetILNS1_3genE3ELNS1_11target_archE908ELNS1_3gpuE7ELNS1_3repE0EEENS1_30default_config_static_selectorELNS0_4arch9wavefront6targetE1EEEvSY_,"axG",@progbits,_ZN7rocprim17ROCPRIM_400000_NS6detail17trampoline_kernelINS0_13select_configILj256ELj13ELNS0_17block_load_methodE3ELS4_3ELS4_3ELNS0_20block_scan_algorithmE0ELj4294967295EEENS1_25partition_config_selectorILNS1_17partition_subalgoE3EjNS0_10empty_typeEbEEZZNS1_14partition_implILS8_3ELb0ES6_jNS0_17counting_iteratorIjlEEPS9_SE_NS0_5tupleIJPjSE_EEENSF_IJSE_SE_EEES9_SG_JZNS1_25segmented_radix_sort_implINS0_14default_configELb0EPKhPhPKlPlN2at6native12_GLOBAL__N_18offset_tEEE10hipError_tPvRmT1_PNSt15iterator_traitsISY_E10value_typeET2_T3_PNSZ_IS14_E10value_typeET4_jRbjT5_S1A_jjP12ihipStream_tbEUljE_EEESV_SW_SX_S14_S18_S1A_T6_T7_T9_mT8_S1C_bDpT10_ENKUlT_T0_E_clISt17integral_constantIbLb0EES1P_EEDaS1K_S1L_EUlS1K_E_NS1_11comp_targetILNS1_3genE3ELNS1_11target_archE908ELNS1_3gpuE7ELNS1_3repE0EEENS1_30default_config_static_selectorELNS0_4arch9wavefront6targetE1EEEvSY_,comdat
.Lfunc_end157:
	.size	_ZN7rocprim17ROCPRIM_400000_NS6detail17trampoline_kernelINS0_13select_configILj256ELj13ELNS0_17block_load_methodE3ELS4_3ELS4_3ELNS0_20block_scan_algorithmE0ELj4294967295EEENS1_25partition_config_selectorILNS1_17partition_subalgoE3EjNS0_10empty_typeEbEEZZNS1_14partition_implILS8_3ELb0ES6_jNS0_17counting_iteratorIjlEEPS9_SE_NS0_5tupleIJPjSE_EEENSF_IJSE_SE_EEES9_SG_JZNS1_25segmented_radix_sort_implINS0_14default_configELb0EPKhPhPKlPlN2at6native12_GLOBAL__N_18offset_tEEE10hipError_tPvRmT1_PNSt15iterator_traitsISY_E10value_typeET2_T3_PNSZ_IS14_E10value_typeET4_jRbjT5_S1A_jjP12ihipStream_tbEUljE_EEESV_SW_SX_S14_S18_S1A_T6_T7_T9_mT8_S1C_bDpT10_ENKUlT_T0_E_clISt17integral_constantIbLb0EES1P_EEDaS1K_S1L_EUlS1K_E_NS1_11comp_targetILNS1_3genE3ELNS1_11target_archE908ELNS1_3gpuE7ELNS1_3repE0EEENS1_30default_config_static_selectorELNS0_4arch9wavefront6targetE1EEEvSY_, .Lfunc_end157-_ZN7rocprim17ROCPRIM_400000_NS6detail17trampoline_kernelINS0_13select_configILj256ELj13ELNS0_17block_load_methodE3ELS4_3ELS4_3ELNS0_20block_scan_algorithmE0ELj4294967295EEENS1_25partition_config_selectorILNS1_17partition_subalgoE3EjNS0_10empty_typeEbEEZZNS1_14partition_implILS8_3ELb0ES6_jNS0_17counting_iteratorIjlEEPS9_SE_NS0_5tupleIJPjSE_EEENSF_IJSE_SE_EEES9_SG_JZNS1_25segmented_radix_sort_implINS0_14default_configELb0EPKhPhPKlPlN2at6native12_GLOBAL__N_18offset_tEEE10hipError_tPvRmT1_PNSt15iterator_traitsISY_E10value_typeET2_T3_PNSZ_IS14_E10value_typeET4_jRbjT5_S1A_jjP12ihipStream_tbEUljE_EEESV_SW_SX_S14_S18_S1A_T6_T7_T9_mT8_S1C_bDpT10_ENKUlT_T0_E_clISt17integral_constantIbLb0EES1P_EEDaS1K_S1L_EUlS1K_E_NS1_11comp_targetILNS1_3genE3ELNS1_11target_archE908ELNS1_3gpuE7ELNS1_3repE0EEENS1_30default_config_static_selectorELNS0_4arch9wavefront6targetE1EEEvSY_
                                        ; -- End function
	.section	.AMDGPU.csdata,"",@progbits
; Kernel info:
; codeLenInByte = 0
; NumSgprs: 4
; NumVgprs: 0
; NumAgprs: 0
; TotalNumVgprs: 0
; ScratchSize: 0
; MemoryBound: 0
; FloatMode: 240
; IeeeMode: 1
; LDSByteSize: 0 bytes/workgroup (compile time only)
; SGPRBlocks: 0
; VGPRBlocks: 0
; NumSGPRsForWavesPerEU: 4
; NumVGPRsForWavesPerEU: 1
; AccumOffset: 4
; Occupancy: 8
; WaveLimiterHint : 0
; COMPUTE_PGM_RSRC2:SCRATCH_EN: 0
; COMPUTE_PGM_RSRC2:USER_SGPR: 6
; COMPUTE_PGM_RSRC2:TRAP_HANDLER: 0
; COMPUTE_PGM_RSRC2:TGID_X_EN: 1
; COMPUTE_PGM_RSRC2:TGID_Y_EN: 0
; COMPUTE_PGM_RSRC2:TGID_Z_EN: 0
; COMPUTE_PGM_RSRC2:TIDIG_COMP_CNT: 0
; COMPUTE_PGM_RSRC3_GFX90A:ACCUM_OFFSET: 0
; COMPUTE_PGM_RSRC3_GFX90A:TG_SPLIT: 0
	.section	.text._ZN7rocprim17ROCPRIM_400000_NS6detail17trampoline_kernelINS0_13select_configILj256ELj13ELNS0_17block_load_methodE3ELS4_3ELS4_3ELNS0_20block_scan_algorithmE0ELj4294967295EEENS1_25partition_config_selectorILNS1_17partition_subalgoE3EjNS0_10empty_typeEbEEZZNS1_14partition_implILS8_3ELb0ES6_jNS0_17counting_iteratorIjlEEPS9_SE_NS0_5tupleIJPjSE_EEENSF_IJSE_SE_EEES9_SG_JZNS1_25segmented_radix_sort_implINS0_14default_configELb0EPKhPhPKlPlN2at6native12_GLOBAL__N_18offset_tEEE10hipError_tPvRmT1_PNSt15iterator_traitsISY_E10value_typeET2_T3_PNSZ_IS14_E10value_typeET4_jRbjT5_S1A_jjP12ihipStream_tbEUljE_EEESV_SW_SX_S14_S18_S1A_T6_T7_T9_mT8_S1C_bDpT10_ENKUlT_T0_E_clISt17integral_constantIbLb0EES1P_EEDaS1K_S1L_EUlS1K_E_NS1_11comp_targetILNS1_3genE2ELNS1_11target_archE906ELNS1_3gpuE6ELNS1_3repE0EEENS1_30default_config_static_selectorELNS0_4arch9wavefront6targetE1EEEvSY_,"axG",@progbits,_ZN7rocprim17ROCPRIM_400000_NS6detail17trampoline_kernelINS0_13select_configILj256ELj13ELNS0_17block_load_methodE3ELS4_3ELS4_3ELNS0_20block_scan_algorithmE0ELj4294967295EEENS1_25partition_config_selectorILNS1_17partition_subalgoE3EjNS0_10empty_typeEbEEZZNS1_14partition_implILS8_3ELb0ES6_jNS0_17counting_iteratorIjlEEPS9_SE_NS0_5tupleIJPjSE_EEENSF_IJSE_SE_EEES9_SG_JZNS1_25segmented_radix_sort_implINS0_14default_configELb0EPKhPhPKlPlN2at6native12_GLOBAL__N_18offset_tEEE10hipError_tPvRmT1_PNSt15iterator_traitsISY_E10value_typeET2_T3_PNSZ_IS14_E10value_typeET4_jRbjT5_S1A_jjP12ihipStream_tbEUljE_EEESV_SW_SX_S14_S18_S1A_T6_T7_T9_mT8_S1C_bDpT10_ENKUlT_T0_E_clISt17integral_constantIbLb0EES1P_EEDaS1K_S1L_EUlS1K_E_NS1_11comp_targetILNS1_3genE2ELNS1_11target_archE906ELNS1_3gpuE6ELNS1_3repE0EEENS1_30default_config_static_selectorELNS0_4arch9wavefront6targetE1EEEvSY_,comdat
	.globl	_ZN7rocprim17ROCPRIM_400000_NS6detail17trampoline_kernelINS0_13select_configILj256ELj13ELNS0_17block_load_methodE3ELS4_3ELS4_3ELNS0_20block_scan_algorithmE0ELj4294967295EEENS1_25partition_config_selectorILNS1_17partition_subalgoE3EjNS0_10empty_typeEbEEZZNS1_14partition_implILS8_3ELb0ES6_jNS0_17counting_iteratorIjlEEPS9_SE_NS0_5tupleIJPjSE_EEENSF_IJSE_SE_EEES9_SG_JZNS1_25segmented_radix_sort_implINS0_14default_configELb0EPKhPhPKlPlN2at6native12_GLOBAL__N_18offset_tEEE10hipError_tPvRmT1_PNSt15iterator_traitsISY_E10value_typeET2_T3_PNSZ_IS14_E10value_typeET4_jRbjT5_S1A_jjP12ihipStream_tbEUljE_EEESV_SW_SX_S14_S18_S1A_T6_T7_T9_mT8_S1C_bDpT10_ENKUlT_T0_E_clISt17integral_constantIbLb0EES1P_EEDaS1K_S1L_EUlS1K_E_NS1_11comp_targetILNS1_3genE2ELNS1_11target_archE906ELNS1_3gpuE6ELNS1_3repE0EEENS1_30default_config_static_selectorELNS0_4arch9wavefront6targetE1EEEvSY_ ; -- Begin function _ZN7rocprim17ROCPRIM_400000_NS6detail17trampoline_kernelINS0_13select_configILj256ELj13ELNS0_17block_load_methodE3ELS4_3ELS4_3ELNS0_20block_scan_algorithmE0ELj4294967295EEENS1_25partition_config_selectorILNS1_17partition_subalgoE3EjNS0_10empty_typeEbEEZZNS1_14partition_implILS8_3ELb0ES6_jNS0_17counting_iteratorIjlEEPS9_SE_NS0_5tupleIJPjSE_EEENSF_IJSE_SE_EEES9_SG_JZNS1_25segmented_radix_sort_implINS0_14default_configELb0EPKhPhPKlPlN2at6native12_GLOBAL__N_18offset_tEEE10hipError_tPvRmT1_PNSt15iterator_traitsISY_E10value_typeET2_T3_PNSZ_IS14_E10value_typeET4_jRbjT5_S1A_jjP12ihipStream_tbEUljE_EEESV_SW_SX_S14_S18_S1A_T6_T7_T9_mT8_S1C_bDpT10_ENKUlT_T0_E_clISt17integral_constantIbLb0EES1P_EEDaS1K_S1L_EUlS1K_E_NS1_11comp_targetILNS1_3genE2ELNS1_11target_archE906ELNS1_3gpuE6ELNS1_3repE0EEENS1_30default_config_static_selectorELNS0_4arch9wavefront6targetE1EEEvSY_
	.p2align	8
	.type	_ZN7rocprim17ROCPRIM_400000_NS6detail17trampoline_kernelINS0_13select_configILj256ELj13ELNS0_17block_load_methodE3ELS4_3ELS4_3ELNS0_20block_scan_algorithmE0ELj4294967295EEENS1_25partition_config_selectorILNS1_17partition_subalgoE3EjNS0_10empty_typeEbEEZZNS1_14partition_implILS8_3ELb0ES6_jNS0_17counting_iteratorIjlEEPS9_SE_NS0_5tupleIJPjSE_EEENSF_IJSE_SE_EEES9_SG_JZNS1_25segmented_radix_sort_implINS0_14default_configELb0EPKhPhPKlPlN2at6native12_GLOBAL__N_18offset_tEEE10hipError_tPvRmT1_PNSt15iterator_traitsISY_E10value_typeET2_T3_PNSZ_IS14_E10value_typeET4_jRbjT5_S1A_jjP12ihipStream_tbEUljE_EEESV_SW_SX_S14_S18_S1A_T6_T7_T9_mT8_S1C_bDpT10_ENKUlT_T0_E_clISt17integral_constantIbLb0EES1P_EEDaS1K_S1L_EUlS1K_E_NS1_11comp_targetILNS1_3genE2ELNS1_11target_archE906ELNS1_3gpuE6ELNS1_3repE0EEENS1_30default_config_static_selectorELNS0_4arch9wavefront6targetE1EEEvSY_,@function
_ZN7rocprim17ROCPRIM_400000_NS6detail17trampoline_kernelINS0_13select_configILj256ELj13ELNS0_17block_load_methodE3ELS4_3ELS4_3ELNS0_20block_scan_algorithmE0ELj4294967295EEENS1_25partition_config_selectorILNS1_17partition_subalgoE3EjNS0_10empty_typeEbEEZZNS1_14partition_implILS8_3ELb0ES6_jNS0_17counting_iteratorIjlEEPS9_SE_NS0_5tupleIJPjSE_EEENSF_IJSE_SE_EEES9_SG_JZNS1_25segmented_radix_sort_implINS0_14default_configELb0EPKhPhPKlPlN2at6native12_GLOBAL__N_18offset_tEEE10hipError_tPvRmT1_PNSt15iterator_traitsISY_E10value_typeET2_T3_PNSZ_IS14_E10value_typeET4_jRbjT5_S1A_jjP12ihipStream_tbEUljE_EEESV_SW_SX_S14_S18_S1A_T6_T7_T9_mT8_S1C_bDpT10_ENKUlT_T0_E_clISt17integral_constantIbLb0EES1P_EEDaS1K_S1L_EUlS1K_E_NS1_11comp_targetILNS1_3genE2ELNS1_11target_archE906ELNS1_3gpuE6ELNS1_3repE0EEENS1_30default_config_static_selectorELNS0_4arch9wavefront6targetE1EEEvSY_: ; @_ZN7rocprim17ROCPRIM_400000_NS6detail17trampoline_kernelINS0_13select_configILj256ELj13ELNS0_17block_load_methodE3ELS4_3ELS4_3ELNS0_20block_scan_algorithmE0ELj4294967295EEENS1_25partition_config_selectorILNS1_17partition_subalgoE3EjNS0_10empty_typeEbEEZZNS1_14partition_implILS8_3ELb0ES6_jNS0_17counting_iteratorIjlEEPS9_SE_NS0_5tupleIJPjSE_EEENSF_IJSE_SE_EEES9_SG_JZNS1_25segmented_radix_sort_implINS0_14default_configELb0EPKhPhPKlPlN2at6native12_GLOBAL__N_18offset_tEEE10hipError_tPvRmT1_PNSt15iterator_traitsISY_E10value_typeET2_T3_PNSZ_IS14_E10value_typeET4_jRbjT5_S1A_jjP12ihipStream_tbEUljE_EEESV_SW_SX_S14_S18_S1A_T6_T7_T9_mT8_S1C_bDpT10_ENKUlT_T0_E_clISt17integral_constantIbLb0EES1P_EEDaS1K_S1L_EUlS1K_E_NS1_11comp_targetILNS1_3genE2ELNS1_11target_archE906ELNS1_3gpuE6ELNS1_3repE0EEENS1_30default_config_static_selectorELNS0_4arch9wavefront6targetE1EEEvSY_
; %bb.0:
	.section	.rodata,"a",@progbits
	.p2align	6, 0x0
	.amdhsa_kernel _ZN7rocprim17ROCPRIM_400000_NS6detail17trampoline_kernelINS0_13select_configILj256ELj13ELNS0_17block_load_methodE3ELS4_3ELS4_3ELNS0_20block_scan_algorithmE0ELj4294967295EEENS1_25partition_config_selectorILNS1_17partition_subalgoE3EjNS0_10empty_typeEbEEZZNS1_14partition_implILS8_3ELb0ES6_jNS0_17counting_iteratorIjlEEPS9_SE_NS0_5tupleIJPjSE_EEENSF_IJSE_SE_EEES9_SG_JZNS1_25segmented_radix_sort_implINS0_14default_configELb0EPKhPhPKlPlN2at6native12_GLOBAL__N_18offset_tEEE10hipError_tPvRmT1_PNSt15iterator_traitsISY_E10value_typeET2_T3_PNSZ_IS14_E10value_typeET4_jRbjT5_S1A_jjP12ihipStream_tbEUljE_EEESV_SW_SX_S14_S18_S1A_T6_T7_T9_mT8_S1C_bDpT10_ENKUlT_T0_E_clISt17integral_constantIbLb0EES1P_EEDaS1K_S1L_EUlS1K_E_NS1_11comp_targetILNS1_3genE2ELNS1_11target_archE906ELNS1_3gpuE6ELNS1_3repE0EEENS1_30default_config_static_selectorELNS0_4arch9wavefront6targetE1EEEvSY_
		.amdhsa_group_segment_fixed_size 0
		.amdhsa_private_segment_fixed_size 0
		.amdhsa_kernarg_size 144
		.amdhsa_user_sgpr_count 6
		.amdhsa_user_sgpr_private_segment_buffer 1
		.amdhsa_user_sgpr_dispatch_ptr 0
		.amdhsa_user_sgpr_queue_ptr 0
		.amdhsa_user_sgpr_kernarg_segment_ptr 1
		.amdhsa_user_sgpr_dispatch_id 0
		.amdhsa_user_sgpr_flat_scratch_init 0
		.amdhsa_user_sgpr_kernarg_preload_length 0
		.amdhsa_user_sgpr_kernarg_preload_offset 0
		.amdhsa_user_sgpr_private_segment_size 0
		.amdhsa_uses_dynamic_stack 0
		.amdhsa_system_sgpr_private_segment_wavefront_offset 0
		.amdhsa_system_sgpr_workgroup_id_x 1
		.amdhsa_system_sgpr_workgroup_id_y 0
		.amdhsa_system_sgpr_workgroup_id_z 0
		.amdhsa_system_sgpr_workgroup_info 0
		.amdhsa_system_vgpr_workitem_id 0
		.amdhsa_next_free_vgpr 1
		.amdhsa_next_free_sgpr 0
		.amdhsa_accum_offset 4
		.amdhsa_reserve_vcc 0
		.amdhsa_reserve_flat_scratch 0
		.amdhsa_float_round_mode_32 0
		.amdhsa_float_round_mode_16_64 0
		.amdhsa_float_denorm_mode_32 3
		.amdhsa_float_denorm_mode_16_64 3
		.amdhsa_dx10_clamp 1
		.amdhsa_ieee_mode 1
		.amdhsa_fp16_overflow 0
		.amdhsa_tg_split 0
		.amdhsa_exception_fp_ieee_invalid_op 0
		.amdhsa_exception_fp_denorm_src 0
		.amdhsa_exception_fp_ieee_div_zero 0
		.amdhsa_exception_fp_ieee_overflow 0
		.amdhsa_exception_fp_ieee_underflow 0
		.amdhsa_exception_fp_ieee_inexact 0
		.amdhsa_exception_int_div_zero 0
	.end_amdhsa_kernel
	.section	.text._ZN7rocprim17ROCPRIM_400000_NS6detail17trampoline_kernelINS0_13select_configILj256ELj13ELNS0_17block_load_methodE3ELS4_3ELS4_3ELNS0_20block_scan_algorithmE0ELj4294967295EEENS1_25partition_config_selectorILNS1_17partition_subalgoE3EjNS0_10empty_typeEbEEZZNS1_14partition_implILS8_3ELb0ES6_jNS0_17counting_iteratorIjlEEPS9_SE_NS0_5tupleIJPjSE_EEENSF_IJSE_SE_EEES9_SG_JZNS1_25segmented_radix_sort_implINS0_14default_configELb0EPKhPhPKlPlN2at6native12_GLOBAL__N_18offset_tEEE10hipError_tPvRmT1_PNSt15iterator_traitsISY_E10value_typeET2_T3_PNSZ_IS14_E10value_typeET4_jRbjT5_S1A_jjP12ihipStream_tbEUljE_EEESV_SW_SX_S14_S18_S1A_T6_T7_T9_mT8_S1C_bDpT10_ENKUlT_T0_E_clISt17integral_constantIbLb0EES1P_EEDaS1K_S1L_EUlS1K_E_NS1_11comp_targetILNS1_3genE2ELNS1_11target_archE906ELNS1_3gpuE6ELNS1_3repE0EEENS1_30default_config_static_selectorELNS0_4arch9wavefront6targetE1EEEvSY_,"axG",@progbits,_ZN7rocprim17ROCPRIM_400000_NS6detail17trampoline_kernelINS0_13select_configILj256ELj13ELNS0_17block_load_methodE3ELS4_3ELS4_3ELNS0_20block_scan_algorithmE0ELj4294967295EEENS1_25partition_config_selectorILNS1_17partition_subalgoE3EjNS0_10empty_typeEbEEZZNS1_14partition_implILS8_3ELb0ES6_jNS0_17counting_iteratorIjlEEPS9_SE_NS0_5tupleIJPjSE_EEENSF_IJSE_SE_EEES9_SG_JZNS1_25segmented_radix_sort_implINS0_14default_configELb0EPKhPhPKlPlN2at6native12_GLOBAL__N_18offset_tEEE10hipError_tPvRmT1_PNSt15iterator_traitsISY_E10value_typeET2_T3_PNSZ_IS14_E10value_typeET4_jRbjT5_S1A_jjP12ihipStream_tbEUljE_EEESV_SW_SX_S14_S18_S1A_T6_T7_T9_mT8_S1C_bDpT10_ENKUlT_T0_E_clISt17integral_constantIbLb0EES1P_EEDaS1K_S1L_EUlS1K_E_NS1_11comp_targetILNS1_3genE2ELNS1_11target_archE906ELNS1_3gpuE6ELNS1_3repE0EEENS1_30default_config_static_selectorELNS0_4arch9wavefront6targetE1EEEvSY_,comdat
.Lfunc_end158:
	.size	_ZN7rocprim17ROCPRIM_400000_NS6detail17trampoline_kernelINS0_13select_configILj256ELj13ELNS0_17block_load_methodE3ELS4_3ELS4_3ELNS0_20block_scan_algorithmE0ELj4294967295EEENS1_25partition_config_selectorILNS1_17partition_subalgoE3EjNS0_10empty_typeEbEEZZNS1_14partition_implILS8_3ELb0ES6_jNS0_17counting_iteratorIjlEEPS9_SE_NS0_5tupleIJPjSE_EEENSF_IJSE_SE_EEES9_SG_JZNS1_25segmented_radix_sort_implINS0_14default_configELb0EPKhPhPKlPlN2at6native12_GLOBAL__N_18offset_tEEE10hipError_tPvRmT1_PNSt15iterator_traitsISY_E10value_typeET2_T3_PNSZ_IS14_E10value_typeET4_jRbjT5_S1A_jjP12ihipStream_tbEUljE_EEESV_SW_SX_S14_S18_S1A_T6_T7_T9_mT8_S1C_bDpT10_ENKUlT_T0_E_clISt17integral_constantIbLb0EES1P_EEDaS1K_S1L_EUlS1K_E_NS1_11comp_targetILNS1_3genE2ELNS1_11target_archE906ELNS1_3gpuE6ELNS1_3repE0EEENS1_30default_config_static_selectorELNS0_4arch9wavefront6targetE1EEEvSY_, .Lfunc_end158-_ZN7rocprim17ROCPRIM_400000_NS6detail17trampoline_kernelINS0_13select_configILj256ELj13ELNS0_17block_load_methodE3ELS4_3ELS4_3ELNS0_20block_scan_algorithmE0ELj4294967295EEENS1_25partition_config_selectorILNS1_17partition_subalgoE3EjNS0_10empty_typeEbEEZZNS1_14partition_implILS8_3ELb0ES6_jNS0_17counting_iteratorIjlEEPS9_SE_NS0_5tupleIJPjSE_EEENSF_IJSE_SE_EEES9_SG_JZNS1_25segmented_radix_sort_implINS0_14default_configELb0EPKhPhPKlPlN2at6native12_GLOBAL__N_18offset_tEEE10hipError_tPvRmT1_PNSt15iterator_traitsISY_E10value_typeET2_T3_PNSZ_IS14_E10value_typeET4_jRbjT5_S1A_jjP12ihipStream_tbEUljE_EEESV_SW_SX_S14_S18_S1A_T6_T7_T9_mT8_S1C_bDpT10_ENKUlT_T0_E_clISt17integral_constantIbLb0EES1P_EEDaS1K_S1L_EUlS1K_E_NS1_11comp_targetILNS1_3genE2ELNS1_11target_archE906ELNS1_3gpuE6ELNS1_3repE0EEENS1_30default_config_static_selectorELNS0_4arch9wavefront6targetE1EEEvSY_
                                        ; -- End function
	.section	.AMDGPU.csdata,"",@progbits
; Kernel info:
; codeLenInByte = 0
; NumSgprs: 4
; NumVgprs: 0
; NumAgprs: 0
; TotalNumVgprs: 0
; ScratchSize: 0
; MemoryBound: 0
; FloatMode: 240
; IeeeMode: 1
; LDSByteSize: 0 bytes/workgroup (compile time only)
; SGPRBlocks: 0
; VGPRBlocks: 0
; NumSGPRsForWavesPerEU: 4
; NumVGPRsForWavesPerEU: 1
; AccumOffset: 4
; Occupancy: 8
; WaveLimiterHint : 0
; COMPUTE_PGM_RSRC2:SCRATCH_EN: 0
; COMPUTE_PGM_RSRC2:USER_SGPR: 6
; COMPUTE_PGM_RSRC2:TRAP_HANDLER: 0
; COMPUTE_PGM_RSRC2:TGID_X_EN: 1
; COMPUTE_PGM_RSRC2:TGID_Y_EN: 0
; COMPUTE_PGM_RSRC2:TGID_Z_EN: 0
; COMPUTE_PGM_RSRC2:TIDIG_COMP_CNT: 0
; COMPUTE_PGM_RSRC3_GFX90A:ACCUM_OFFSET: 0
; COMPUTE_PGM_RSRC3_GFX90A:TG_SPLIT: 0
	.section	.text._ZN7rocprim17ROCPRIM_400000_NS6detail17trampoline_kernelINS0_13select_configILj256ELj13ELNS0_17block_load_methodE3ELS4_3ELS4_3ELNS0_20block_scan_algorithmE0ELj4294967295EEENS1_25partition_config_selectorILNS1_17partition_subalgoE3EjNS0_10empty_typeEbEEZZNS1_14partition_implILS8_3ELb0ES6_jNS0_17counting_iteratorIjlEEPS9_SE_NS0_5tupleIJPjSE_EEENSF_IJSE_SE_EEES9_SG_JZNS1_25segmented_radix_sort_implINS0_14default_configELb0EPKhPhPKlPlN2at6native12_GLOBAL__N_18offset_tEEE10hipError_tPvRmT1_PNSt15iterator_traitsISY_E10value_typeET2_T3_PNSZ_IS14_E10value_typeET4_jRbjT5_S1A_jjP12ihipStream_tbEUljE_EEESV_SW_SX_S14_S18_S1A_T6_T7_T9_mT8_S1C_bDpT10_ENKUlT_T0_E_clISt17integral_constantIbLb0EES1P_EEDaS1K_S1L_EUlS1K_E_NS1_11comp_targetILNS1_3genE10ELNS1_11target_archE1200ELNS1_3gpuE4ELNS1_3repE0EEENS1_30default_config_static_selectorELNS0_4arch9wavefront6targetE1EEEvSY_,"axG",@progbits,_ZN7rocprim17ROCPRIM_400000_NS6detail17trampoline_kernelINS0_13select_configILj256ELj13ELNS0_17block_load_methodE3ELS4_3ELS4_3ELNS0_20block_scan_algorithmE0ELj4294967295EEENS1_25partition_config_selectorILNS1_17partition_subalgoE3EjNS0_10empty_typeEbEEZZNS1_14partition_implILS8_3ELb0ES6_jNS0_17counting_iteratorIjlEEPS9_SE_NS0_5tupleIJPjSE_EEENSF_IJSE_SE_EEES9_SG_JZNS1_25segmented_radix_sort_implINS0_14default_configELb0EPKhPhPKlPlN2at6native12_GLOBAL__N_18offset_tEEE10hipError_tPvRmT1_PNSt15iterator_traitsISY_E10value_typeET2_T3_PNSZ_IS14_E10value_typeET4_jRbjT5_S1A_jjP12ihipStream_tbEUljE_EEESV_SW_SX_S14_S18_S1A_T6_T7_T9_mT8_S1C_bDpT10_ENKUlT_T0_E_clISt17integral_constantIbLb0EES1P_EEDaS1K_S1L_EUlS1K_E_NS1_11comp_targetILNS1_3genE10ELNS1_11target_archE1200ELNS1_3gpuE4ELNS1_3repE0EEENS1_30default_config_static_selectorELNS0_4arch9wavefront6targetE1EEEvSY_,comdat
	.globl	_ZN7rocprim17ROCPRIM_400000_NS6detail17trampoline_kernelINS0_13select_configILj256ELj13ELNS0_17block_load_methodE3ELS4_3ELS4_3ELNS0_20block_scan_algorithmE0ELj4294967295EEENS1_25partition_config_selectorILNS1_17partition_subalgoE3EjNS0_10empty_typeEbEEZZNS1_14partition_implILS8_3ELb0ES6_jNS0_17counting_iteratorIjlEEPS9_SE_NS0_5tupleIJPjSE_EEENSF_IJSE_SE_EEES9_SG_JZNS1_25segmented_radix_sort_implINS0_14default_configELb0EPKhPhPKlPlN2at6native12_GLOBAL__N_18offset_tEEE10hipError_tPvRmT1_PNSt15iterator_traitsISY_E10value_typeET2_T3_PNSZ_IS14_E10value_typeET4_jRbjT5_S1A_jjP12ihipStream_tbEUljE_EEESV_SW_SX_S14_S18_S1A_T6_T7_T9_mT8_S1C_bDpT10_ENKUlT_T0_E_clISt17integral_constantIbLb0EES1P_EEDaS1K_S1L_EUlS1K_E_NS1_11comp_targetILNS1_3genE10ELNS1_11target_archE1200ELNS1_3gpuE4ELNS1_3repE0EEENS1_30default_config_static_selectorELNS0_4arch9wavefront6targetE1EEEvSY_ ; -- Begin function _ZN7rocprim17ROCPRIM_400000_NS6detail17trampoline_kernelINS0_13select_configILj256ELj13ELNS0_17block_load_methodE3ELS4_3ELS4_3ELNS0_20block_scan_algorithmE0ELj4294967295EEENS1_25partition_config_selectorILNS1_17partition_subalgoE3EjNS0_10empty_typeEbEEZZNS1_14partition_implILS8_3ELb0ES6_jNS0_17counting_iteratorIjlEEPS9_SE_NS0_5tupleIJPjSE_EEENSF_IJSE_SE_EEES9_SG_JZNS1_25segmented_radix_sort_implINS0_14default_configELb0EPKhPhPKlPlN2at6native12_GLOBAL__N_18offset_tEEE10hipError_tPvRmT1_PNSt15iterator_traitsISY_E10value_typeET2_T3_PNSZ_IS14_E10value_typeET4_jRbjT5_S1A_jjP12ihipStream_tbEUljE_EEESV_SW_SX_S14_S18_S1A_T6_T7_T9_mT8_S1C_bDpT10_ENKUlT_T0_E_clISt17integral_constantIbLb0EES1P_EEDaS1K_S1L_EUlS1K_E_NS1_11comp_targetILNS1_3genE10ELNS1_11target_archE1200ELNS1_3gpuE4ELNS1_3repE0EEENS1_30default_config_static_selectorELNS0_4arch9wavefront6targetE1EEEvSY_
	.p2align	8
	.type	_ZN7rocprim17ROCPRIM_400000_NS6detail17trampoline_kernelINS0_13select_configILj256ELj13ELNS0_17block_load_methodE3ELS4_3ELS4_3ELNS0_20block_scan_algorithmE0ELj4294967295EEENS1_25partition_config_selectorILNS1_17partition_subalgoE3EjNS0_10empty_typeEbEEZZNS1_14partition_implILS8_3ELb0ES6_jNS0_17counting_iteratorIjlEEPS9_SE_NS0_5tupleIJPjSE_EEENSF_IJSE_SE_EEES9_SG_JZNS1_25segmented_radix_sort_implINS0_14default_configELb0EPKhPhPKlPlN2at6native12_GLOBAL__N_18offset_tEEE10hipError_tPvRmT1_PNSt15iterator_traitsISY_E10value_typeET2_T3_PNSZ_IS14_E10value_typeET4_jRbjT5_S1A_jjP12ihipStream_tbEUljE_EEESV_SW_SX_S14_S18_S1A_T6_T7_T9_mT8_S1C_bDpT10_ENKUlT_T0_E_clISt17integral_constantIbLb0EES1P_EEDaS1K_S1L_EUlS1K_E_NS1_11comp_targetILNS1_3genE10ELNS1_11target_archE1200ELNS1_3gpuE4ELNS1_3repE0EEENS1_30default_config_static_selectorELNS0_4arch9wavefront6targetE1EEEvSY_,@function
_ZN7rocprim17ROCPRIM_400000_NS6detail17trampoline_kernelINS0_13select_configILj256ELj13ELNS0_17block_load_methodE3ELS4_3ELS4_3ELNS0_20block_scan_algorithmE0ELj4294967295EEENS1_25partition_config_selectorILNS1_17partition_subalgoE3EjNS0_10empty_typeEbEEZZNS1_14partition_implILS8_3ELb0ES6_jNS0_17counting_iteratorIjlEEPS9_SE_NS0_5tupleIJPjSE_EEENSF_IJSE_SE_EEES9_SG_JZNS1_25segmented_radix_sort_implINS0_14default_configELb0EPKhPhPKlPlN2at6native12_GLOBAL__N_18offset_tEEE10hipError_tPvRmT1_PNSt15iterator_traitsISY_E10value_typeET2_T3_PNSZ_IS14_E10value_typeET4_jRbjT5_S1A_jjP12ihipStream_tbEUljE_EEESV_SW_SX_S14_S18_S1A_T6_T7_T9_mT8_S1C_bDpT10_ENKUlT_T0_E_clISt17integral_constantIbLb0EES1P_EEDaS1K_S1L_EUlS1K_E_NS1_11comp_targetILNS1_3genE10ELNS1_11target_archE1200ELNS1_3gpuE4ELNS1_3repE0EEENS1_30default_config_static_selectorELNS0_4arch9wavefront6targetE1EEEvSY_: ; @_ZN7rocprim17ROCPRIM_400000_NS6detail17trampoline_kernelINS0_13select_configILj256ELj13ELNS0_17block_load_methodE3ELS4_3ELS4_3ELNS0_20block_scan_algorithmE0ELj4294967295EEENS1_25partition_config_selectorILNS1_17partition_subalgoE3EjNS0_10empty_typeEbEEZZNS1_14partition_implILS8_3ELb0ES6_jNS0_17counting_iteratorIjlEEPS9_SE_NS0_5tupleIJPjSE_EEENSF_IJSE_SE_EEES9_SG_JZNS1_25segmented_radix_sort_implINS0_14default_configELb0EPKhPhPKlPlN2at6native12_GLOBAL__N_18offset_tEEE10hipError_tPvRmT1_PNSt15iterator_traitsISY_E10value_typeET2_T3_PNSZ_IS14_E10value_typeET4_jRbjT5_S1A_jjP12ihipStream_tbEUljE_EEESV_SW_SX_S14_S18_S1A_T6_T7_T9_mT8_S1C_bDpT10_ENKUlT_T0_E_clISt17integral_constantIbLb0EES1P_EEDaS1K_S1L_EUlS1K_E_NS1_11comp_targetILNS1_3genE10ELNS1_11target_archE1200ELNS1_3gpuE4ELNS1_3repE0EEENS1_30default_config_static_selectorELNS0_4arch9wavefront6targetE1EEEvSY_
; %bb.0:
	.section	.rodata,"a",@progbits
	.p2align	6, 0x0
	.amdhsa_kernel _ZN7rocprim17ROCPRIM_400000_NS6detail17trampoline_kernelINS0_13select_configILj256ELj13ELNS0_17block_load_methodE3ELS4_3ELS4_3ELNS0_20block_scan_algorithmE0ELj4294967295EEENS1_25partition_config_selectorILNS1_17partition_subalgoE3EjNS0_10empty_typeEbEEZZNS1_14partition_implILS8_3ELb0ES6_jNS0_17counting_iteratorIjlEEPS9_SE_NS0_5tupleIJPjSE_EEENSF_IJSE_SE_EEES9_SG_JZNS1_25segmented_radix_sort_implINS0_14default_configELb0EPKhPhPKlPlN2at6native12_GLOBAL__N_18offset_tEEE10hipError_tPvRmT1_PNSt15iterator_traitsISY_E10value_typeET2_T3_PNSZ_IS14_E10value_typeET4_jRbjT5_S1A_jjP12ihipStream_tbEUljE_EEESV_SW_SX_S14_S18_S1A_T6_T7_T9_mT8_S1C_bDpT10_ENKUlT_T0_E_clISt17integral_constantIbLb0EES1P_EEDaS1K_S1L_EUlS1K_E_NS1_11comp_targetILNS1_3genE10ELNS1_11target_archE1200ELNS1_3gpuE4ELNS1_3repE0EEENS1_30default_config_static_selectorELNS0_4arch9wavefront6targetE1EEEvSY_
		.amdhsa_group_segment_fixed_size 0
		.amdhsa_private_segment_fixed_size 0
		.amdhsa_kernarg_size 144
		.amdhsa_user_sgpr_count 6
		.amdhsa_user_sgpr_private_segment_buffer 1
		.amdhsa_user_sgpr_dispatch_ptr 0
		.amdhsa_user_sgpr_queue_ptr 0
		.amdhsa_user_sgpr_kernarg_segment_ptr 1
		.amdhsa_user_sgpr_dispatch_id 0
		.amdhsa_user_sgpr_flat_scratch_init 0
		.amdhsa_user_sgpr_kernarg_preload_length 0
		.amdhsa_user_sgpr_kernarg_preload_offset 0
		.amdhsa_user_sgpr_private_segment_size 0
		.amdhsa_uses_dynamic_stack 0
		.amdhsa_system_sgpr_private_segment_wavefront_offset 0
		.amdhsa_system_sgpr_workgroup_id_x 1
		.amdhsa_system_sgpr_workgroup_id_y 0
		.amdhsa_system_sgpr_workgroup_id_z 0
		.amdhsa_system_sgpr_workgroup_info 0
		.amdhsa_system_vgpr_workitem_id 0
		.amdhsa_next_free_vgpr 1
		.amdhsa_next_free_sgpr 0
		.amdhsa_accum_offset 4
		.amdhsa_reserve_vcc 0
		.amdhsa_reserve_flat_scratch 0
		.amdhsa_float_round_mode_32 0
		.amdhsa_float_round_mode_16_64 0
		.amdhsa_float_denorm_mode_32 3
		.amdhsa_float_denorm_mode_16_64 3
		.amdhsa_dx10_clamp 1
		.amdhsa_ieee_mode 1
		.amdhsa_fp16_overflow 0
		.amdhsa_tg_split 0
		.amdhsa_exception_fp_ieee_invalid_op 0
		.amdhsa_exception_fp_denorm_src 0
		.amdhsa_exception_fp_ieee_div_zero 0
		.amdhsa_exception_fp_ieee_overflow 0
		.amdhsa_exception_fp_ieee_underflow 0
		.amdhsa_exception_fp_ieee_inexact 0
		.amdhsa_exception_int_div_zero 0
	.end_amdhsa_kernel
	.section	.text._ZN7rocprim17ROCPRIM_400000_NS6detail17trampoline_kernelINS0_13select_configILj256ELj13ELNS0_17block_load_methodE3ELS4_3ELS4_3ELNS0_20block_scan_algorithmE0ELj4294967295EEENS1_25partition_config_selectorILNS1_17partition_subalgoE3EjNS0_10empty_typeEbEEZZNS1_14partition_implILS8_3ELb0ES6_jNS0_17counting_iteratorIjlEEPS9_SE_NS0_5tupleIJPjSE_EEENSF_IJSE_SE_EEES9_SG_JZNS1_25segmented_radix_sort_implINS0_14default_configELb0EPKhPhPKlPlN2at6native12_GLOBAL__N_18offset_tEEE10hipError_tPvRmT1_PNSt15iterator_traitsISY_E10value_typeET2_T3_PNSZ_IS14_E10value_typeET4_jRbjT5_S1A_jjP12ihipStream_tbEUljE_EEESV_SW_SX_S14_S18_S1A_T6_T7_T9_mT8_S1C_bDpT10_ENKUlT_T0_E_clISt17integral_constantIbLb0EES1P_EEDaS1K_S1L_EUlS1K_E_NS1_11comp_targetILNS1_3genE10ELNS1_11target_archE1200ELNS1_3gpuE4ELNS1_3repE0EEENS1_30default_config_static_selectorELNS0_4arch9wavefront6targetE1EEEvSY_,"axG",@progbits,_ZN7rocprim17ROCPRIM_400000_NS6detail17trampoline_kernelINS0_13select_configILj256ELj13ELNS0_17block_load_methodE3ELS4_3ELS4_3ELNS0_20block_scan_algorithmE0ELj4294967295EEENS1_25partition_config_selectorILNS1_17partition_subalgoE3EjNS0_10empty_typeEbEEZZNS1_14partition_implILS8_3ELb0ES6_jNS0_17counting_iteratorIjlEEPS9_SE_NS0_5tupleIJPjSE_EEENSF_IJSE_SE_EEES9_SG_JZNS1_25segmented_radix_sort_implINS0_14default_configELb0EPKhPhPKlPlN2at6native12_GLOBAL__N_18offset_tEEE10hipError_tPvRmT1_PNSt15iterator_traitsISY_E10value_typeET2_T3_PNSZ_IS14_E10value_typeET4_jRbjT5_S1A_jjP12ihipStream_tbEUljE_EEESV_SW_SX_S14_S18_S1A_T6_T7_T9_mT8_S1C_bDpT10_ENKUlT_T0_E_clISt17integral_constantIbLb0EES1P_EEDaS1K_S1L_EUlS1K_E_NS1_11comp_targetILNS1_3genE10ELNS1_11target_archE1200ELNS1_3gpuE4ELNS1_3repE0EEENS1_30default_config_static_selectorELNS0_4arch9wavefront6targetE1EEEvSY_,comdat
.Lfunc_end159:
	.size	_ZN7rocprim17ROCPRIM_400000_NS6detail17trampoline_kernelINS0_13select_configILj256ELj13ELNS0_17block_load_methodE3ELS4_3ELS4_3ELNS0_20block_scan_algorithmE0ELj4294967295EEENS1_25partition_config_selectorILNS1_17partition_subalgoE3EjNS0_10empty_typeEbEEZZNS1_14partition_implILS8_3ELb0ES6_jNS0_17counting_iteratorIjlEEPS9_SE_NS0_5tupleIJPjSE_EEENSF_IJSE_SE_EEES9_SG_JZNS1_25segmented_radix_sort_implINS0_14default_configELb0EPKhPhPKlPlN2at6native12_GLOBAL__N_18offset_tEEE10hipError_tPvRmT1_PNSt15iterator_traitsISY_E10value_typeET2_T3_PNSZ_IS14_E10value_typeET4_jRbjT5_S1A_jjP12ihipStream_tbEUljE_EEESV_SW_SX_S14_S18_S1A_T6_T7_T9_mT8_S1C_bDpT10_ENKUlT_T0_E_clISt17integral_constantIbLb0EES1P_EEDaS1K_S1L_EUlS1K_E_NS1_11comp_targetILNS1_3genE10ELNS1_11target_archE1200ELNS1_3gpuE4ELNS1_3repE0EEENS1_30default_config_static_selectorELNS0_4arch9wavefront6targetE1EEEvSY_, .Lfunc_end159-_ZN7rocprim17ROCPRIM_400000_NS6detail17trampoline_kernelINS0_13select_configILj256ELj13ELNS0_17block_load_methodE3ELS4_3ELS4_3ELNS0_20block_scan_algorithmE0ELj4294967295EEENS1_25partition_config_selectorILNS1_17partition_subalgoE3EjNS0_10empty_typeEbEEZZNS1_14partition_implILS8_3ELb0ES6_jNS0_17counting_iteratorIjlEEPS9_SE_NS0_5tupleIJPjSE_EEENSF_IJSE_SE_EEES9_SG_JZNS1_25segmented_radix_sort_implINS0_14default_configELb0EPKhPhPKlPlN2at6native12_GLOBAL__N_18offset_tEEE10hipError_tPvRmT1_PNSt15iterator_traitsISY_E10value_typeET2_T3_PNSZ_IS14_E10value_typeET4_jRbjT5_S1A_jjP12ihipStream_tbEUljE_EEESV_SW_SX_S14_S18_S1A_T6_T7_T9_mT8_S1C_bDpT10_ENKUlT_T0_E_clISt17integral_constantIbLb0EES1P_EEDaS1K_S1L_EUlS1K_E_NS1_11comp_targetILNS1_3genE10ELNS1_11target_archE1200ELNS1_3gpuE4ELNS1_3repE0EEENS1_30default_config_static_selectorELNS0_4arch9wavefront6targetE1EEEvSY_
                                        ; -- End function
	.section	.AMDGPU.csdata,"",@progbits
; Kernel info:
; codeLenInByte = 0
; NumSgprs: 4
; NumVgprs: 0
; NumAgprs: 0
; TotalNumVgprs: 0
; ScratchSize: 0
; MemoryBound: 0
; FloatMode: 240
; IeeeMode: 1
; LDSByteSize: 0 bytes/workgroup (compile time only)
; SGPRBlocks: 0
; VGPRBlocks: 0
; NumSGPRsForWavesPerEU: 4
; NumVGPRsForWavesPerEU: 1
; AccumOffset: 4
; Occupancy: 8
; WaveLimiterHint : 0
; COMPUTE_PGM_RSRC2:SCRATCH_EN: 0
; COMPUTE_PGM_RSRC2:USER_SGPR: 6
; COMPUTE_PGM_RSRC2:TRAP_HANDLER: 0
; COMPUTE_PGM_RSRC2:TGID_X_EN: 1
; COMPUTE_PGM_RSRC2:TGID_Y_EN: 0
; COMPUTE_PGM_RSRC2:TGID_Z_EN: 0
; COMPUTE_PGM_RSRC2:TIDIG_COMP_CNT: 0
; COMPUTE_PGM_RSRC3_GFX90A:ACCUM_OFFSET: 0
; COMPUTE_PGM_RSRC3_GFX90A:TG_SPLIT: 0
	.section	.text._ZN7rocprim17ROCPRIM_400000_NS6detail17trampoline_kernelINS0_13select_configILj256ELj13ELNS0_17block_load_methodE3ELS4_3ELS4_3ELNS0_20block_scan_algorithmE0ELj4294967295EEENS1_25partition_config_selectorILNS1_17partition_subalgoE3EjNS0_10empty_typeEbEEZZNS1_14partition_implILS8_3ELb0ES6_jNS0_17counting_iteratorIjlEEPS9_SE_NS0_5tupleIJPjSE_EEENSF_IJSE_SE_EEES9_SG_JZNS1_25segmented_radix_sort_implINS0_14default_configELb0EPKhPhPKlPlN2at6native12_GLOBAL__N_18offset_tEEE10hipError_tPvRmT1_PNSt15iterator_traitsISY_E10value_typeET2_T3_PNSZ_IS14_E10value_typeET4_jRbjT5_S1A_jjP12ihipStream_tbEUljE_EEESV_SW_SX_S14_S18_S1A_T6_T7_T9_mT8_S1C_bDpT10_ENKUlT_T0_E_clISt17integral_constantIbLb0EES1P_EEDaS1K_S1L_EUlS1K_E_NS1_11comp_targetILNS1_3genE9ELNS1_11target_archE1100ELNS1_3gpuE3ELNS1_3repE0EEENS1_30default_config_static_selectorELNS0_4arch9wavefront6targetE1EEEvSY_,"axG",@progbits,_ZN7rocprim17ROCPRIM_400000_NS6detail17trampoline_kernelINS0_13select_configILj256ELj13ELNS0_17block_load_methodE3ELS4_3ELS4_3ELNS0_20block_scan_algorithmE0ELj4294967295EEENS1_25partition_config_selectorILNS1_17partition_subalgoE3EjNS0_10empty_typeEbEEZZNS1_14partition_implILS8_3ELb0ES6_jNS0_17counting_iteratorIjlEEPS9_SE_NS0_5tupleIJPjSE_EEENSF_IJSE_SE_EEES9_SG_JZNS1_25segmented_radix_sort_implINS0_14default_configELb0EPKhPhPKlPlN2at6native12_GLOBAL__N_18offset_tEEE10hipError_tPvRmT1_PNSt15iterator_traitsISY_E10value_typeET2_T3_PNSZ_IS14_E10value_typeET4_jRbjT5_S1A_jjP12ihipStream_tbEUljE_EEESV_SW_SX_S14_S18_S1A_T6_T7_T9_mT8_S1C_bDpT10_ENKUlT_T0_E_clISt17integral_constantIbLb0EES1P_EEDaS1K_S1L_EUlS1K_E_NS1_11comp_targetILNS1_3genE9ELNS1_11target_archE1100ELNS1_3gpuE3ELNS1_3repE0EEENS1_30default_config_static_selectorELNS0_4arch9wavefront6targetE1EEEvSY_,comdat
	.globl	_ZN7rocprim17ROCPRIM_400000_NS6detail17trampoline_kernelINS0_13select_configILj256ELj13ELNS0_17block_load_methodE3ELS4_3ELS4_3ELNS0_20block_scan_algorithmE0ELj4294967295EEENS1_25partition_config_selectorILNS1_17partition_subalgoE3EjNS0_10empty_typeEbEEZZNS1_14partition_implILS8_3ELb0ES6_jNS0_17counting_iteratorIjlEEPS9_SE_NS0_5tupleIJPjSE_EEENSF_IJSE_SE_EEES9_SG_JZNS1_25segmented_radix_sort_implINS0_14default_configELb0EPKhPhPKlPlN2at6native12_GLOBAL__N_18offset_tEEE10hipError_tPvRmT1_PNSt15iterator_traitsISY_E10value_typeET2_T3_PNSZ_IS14_E10value_typeET4_jRbjT5_S1A_jjP12ihipStream_tbEUljE_EEESV_SW_SX_S14_S18_S1A_T6_T7_T9_mT8_S1C_bDpT10_ENKUlT_T0_E_clISt17integral_constantIbLb0EES1P_EEDaS1K_S1L_EUlS1K_E_NS1_11comp_targetILNS1_3genE9ELNS1_11target_archE1100ELNS1_3gpuE3ELNS1_3repE0EEENS1_30default_config_static_selectorELNS0_4arch9wavefront6targetE1EEEvSY_ ; -- Begin function _ZN7rocprim17ROCPRIM_400000_NS6detail17trampoline_kernelINS0_13select_configILj256ELj13ELNS0_17block_load_methodE3ELS4_3ELS4_3ELNS0_20block_scan_algorithmE0ELj4294967295EEENS1_25partition_config_selectorILNS1_17partition_subalgoE3EjNS0_10empty_typeEbEEZZNS1_14partition_implILS8_3ELb0ES6_jNS0_17counting_iteratorIjlEEPS9_SE_NS0_5tupleIJPjSE_EEENSF_IJSE_SE_EEES9_SG_JZNS1_25segmented_radix_sort_implINS0_14default_configELb0EPKhPhPKlPlN2at6native12_GLOBAL__N_18offset_tEEE10hipError_tPvRmT1_PNSt15iterator_traitsISY_E10value_typeET2_T3_PNSZ_IS14_E10value_typeET4_jRbjT5_S1A_jjP12ihipStream_tbEUljE_EEESV_SW_SX_S14_S18_S1A_T6_T7_T9_mT8_S1C_bDpT10_ENKUlT_T0_E_clISt17integral_constantIbLb0EES1P_EEDaS1K_S1L_EUlS1K_E_NS1_11comp_targetILNS1_3genE9ELNS1_11target_archE1100ELNS1_3gpuE3ELNS1_3repE0EEENS1_30default_config_static_selectorELNS0_4arch9wavefront6targetE1EEEvSY_
	.p2align	8
	.type	_ZN7rocprim17ROCPRIM_400000_NS6detail17trampoline_kernelINS0_13select_configILj256ELj13ELNS0_17block_load_methodE3ELS4_3ELS4_3ELNS0_20block_scan_algorithmE0ELj4294967295EEENS1_25partition_config_selectorILNS1_17partition_subalgoE3EjNS0_10empty_typeEbEEZZNS1_14partition_implILS8_3ELb0ES6_jNS0_17counting_iteratorIjlEEPS9_SE_NS0_5tupleIJPjSE_EEENSF_IJSE_SE_EEES9_SG_JZNS1_25segmented_radix_sort_implINS0_14default_configELb0EPKhPhPKlPlN2at6native12_GLOBAL__N_18offset_tEEE10hipError_tPvRmT1_PNSt15iterator_traitsISY_E10value_typeET2_T3_PNSZ_IS14_E10value_typeET4_jRbjT5_S1A_jjP12ihipStream_tbEUljE_EEESV_SW_SX_S14_S18_S1A_T6_T7_T9_mT8_S1C_bDpT10_ENKUlT_T0_E_clISt17integral_constantIbLb0EES1P_EEDaS1K_S1L_EUlS1K_E_NS1_11comp_targetILNS1_3genE9ELNS1_11target_archE1100ELNS1_3gpuE3ELNS1_3repE0EEENS1_30default_config_static_selectorELNS0_4arch9wavefront6targetE1EEEvSY_,@function
_ZN7rocprim17ROCPRIM_400000_NS6detail17trampoline_kernelINS0_13select_configILj256ELj13ELNS0_17block_load_methodE3ELS4_3ELS4_3ELNS0_20block_scan_algorithmE0ELj4294967295EEENS1_25partition_config_selectorILNS1_17partition_subalgoE3EjNS0_10empty_typeEbEEZZNS1_14partition_implILS8_3ELb0ES6_jNS0_17counting_iteratorIjlEEPS9_SE_NS0_5tupleIJPjSE_EEENSF_IJSE_SE_EEES9_SG_JZNS1_25segmented_radix_sort_implINS0_14default_configELb0EPKhPhPKlPlN2at6native12_GLOBAL__N_18offset_tEEE10hipError_tPvRmT1_PNSt15iterator_traitsISY_E10value_typeET2_T3_PNSZ_IS14_E10value_typeET4_jRbjT5_S1A_jjP12ihipStream_tbEUljE_EEESV_SW_SX_S14_S18_S1A_T6_T7_T9_mT8_S1C_bDpT10_ENKUlT_T0_E_clISt17integral_constantIbLb0EES1P_EEDaS1K_S1L_EUlS1K_E_NS1_11comp_targetILNS1_3genE9ELNS1_11target_archE1100ELNS1_3gpuE3ELNS1_3repE0EEENS1_30default_config_static_selectorELNS0_4arch9wavefront6targetE1EEEvSY_: ; @_ZN7rocprim17ROCPRIM_400000_NS6detail17trampoline_kernelINS0_13select_configILj256ELj13ELNS0_17block_load_methodE3ELS4_3ELS4_3ELNS0_20block_scan_algorithmE0ELj4294967295EEENS1_25partition_config_selectorILNS1_17partition_subalgoE3EjNS0_10empty_typeEbEEZZNS1_14partition_implILS8_3ELb0ES6_jNS0_17counting_iteratorIjlEEPS9_SE_NS0_5tupleIJPjSE_EEENSF_IJSE_SE_EEES9_SG_JZNS1_25segmented_radix_sort_implINS0_14default_configELb0EPKhPhPKlPlN2at6native12_GLOBAL__N_18offset_tEEE10hipError_tPvRmT1_PNSt15iterator_traitsISY_E10value_typeET2_T3_PNSZ_IS14_E10value_typeET4_jRbjT5_S1A_jjP12ihipStream_tbEUljE_EEESV_SW_SX_S14_S18_S1A_T6_T7_T9_mT8_S1C_bDpT10_ENKUlT_T0_E_clISt17integral_constantIbLb0EES1P_EEDaS1K_S1L_EUlS1K_E_NS1_11comp_targetILNS1_3genE9ELNS1_11target_archE1100ELNS1_3gpuE3ELNS1_3repE0EEENS1_30default_config_static_selectorELNS0_4arch9wavefront6targetE1EEEvSY_
; %bb.0:
	.section	.rodata,"a",@progbits
	.p2align	6, 0x0
	.amdhsa_kernel _ZN7rocprim17ROCPRIM_400000_NS6detail17trampoline_kernelINS0_13select_configILj256ELj13ELNS0_17block_load_methodE3ELS4_3ELS4_3ELNS0_20block_scan_algorithmE0ELj4294967295EEENS1_25partition_config_selectorILNS1_17partition_subalgoE3EjNS0_10empty_typeEbEEZZNS1_14partition_implILS8_3ELb0ES6_jNS0_17counting_iteratorIjlEEPS9_SE_NS0_5tupleIJPjSE_EEENSF_IJSE_SE_EEES9_SG_JZNS1_25segmented_radix_sort_implINS0_14default_configELb0EPKhPhPKlPlN2at6native12_GLOBAL__N_18offset_tEEE10hipError_tPvRmT1_PNSt15iterator_traitsISY_E10value_typeET2_T3_PNSZ_IS14_E10value_typeET4_jRbjT5_S1A_jjP12ihipStream_tbEUljE_EEESV_SW_SX_S14_S18_S1A_T6_T7_T9_mT8_S1C_bDpT10_ENKUlT_T0_E_clISt17integral_constantIbLb0EES1P_EEDaS1K_S1L_EUlS1K_E_NS1_11comp_targetILNS1_3genE9ELNS1_11target_archE1100ELNS1_3gpuE3ELNS1_3repE0EEENS1_30default_config_static_selectorELNS0_4arch9wavefront6targetE1EEEvSY_
		.amdhsa_group_segment_fixed_size 0
		.amdhsa_private_segment_fixed_size 0
		.amdhsa_kernarg_size 144
		.amdhsa_user_sgpr_count 6
		.amdhsa_user_sgpr_private_segment_buffer 1
		.amdhsa_user_sgpr_dispatch_ptr 0
		.amdhsa_user_sgpr_queue_ptr 0
		.amdhsa_user_sgpr_kernarg_segment_ptr 1
		.amdhsa_user_sgpr_dispatch_id 0
		.amdhsa_user_sgpr_flat_scratch_init 0
		.amdhsa_user_sgpr_kernarg_preload_length 0
		.amdhsa_user_sgpr_kernarg_preload_offset 0
		.amdhsa_user_sgpr_private_segment_size 0
		.amdhsa_uses_dynamic_stack 0
		.amdhsa_system_sgpr_private_segment_wavefront_offset 0
		.amdhsa_system_sgpr_workgroup_id_x 1
		.amdhsa_system_sgpr_workgroup_id_y 0
		.amdhsa_system_sgpr_workgroup_id_z 0
		.amdhsa_system_sgpr_workgroup_info 0
		.amdhsa_system_vgpr_workitem_id 0
		.amdhsa_next_free_vgpr 1
		.amdhsa_next_free_sgpr 0
		.amdhsa_accum_offset 4
		.amdhsa_reserve_vcc 0
		.amdhsa_reserve_flat_scratch 0
		.amdhsa_float_round_mode_32 0
		.amdhsa_float_round_mode_16_64 0
		.amdhsa_float_denorm_mode_32 3
		.amdhsa_float_denorm_mode_16_64 3
		.amdhsa_dx10_clamp 1
		.amdhsa_ieee_mode 1
		.amdhsa_fp16_overflow 0
		.amdhsa_tg_split 0
		.amdhsa_exception_fp_ieee_invalid_op 0
		.amdhsa_exception_fp_denorm_src 0
		.amdhsa_exception_fp_ieee_div_zero 0
		.amdhsa_exception_fp_ieee_overflow 0
		.amdhsa_exception_fp_ieee_underflow 0
		.amdhsa_exception_fp_ieee_inexact 0
		.amdhsa_exception_int_div_zero 0
	.end_amdhsa_kernel
	.section	.text._ZN7rocprim17ROCPRIM_400000_NS6detail17trampoline_kernelINS0_13select_configILj256ELj13ELNS0_17block_load_methodE3ELS4_3ELS4_3ELNS0_20block_scan_algorithmE0ELj4294967295EEENS1_25partition_config_selectorILNS1_17partition_subalgoE3EjNS0_10empty_typeEbEEZZNS1_14partition_implILS8_3ELb0ES6_jNS0_17counting_iteratorIjlEEPS9_SE_NS0_5tupleIJPjSE_EEENSF_IJSE_SE_EEES9_SG_JZNS1_25segmented_radix_sort_implINS0_14default_configELb0EPKhPhPKlPlN2at6native12_GLOBAL__N_18offset_tEEE10hipError_tPvRmT1_PNSt15iterator_traitsISY_E10value_typeET2_T3_PNSZ_IS14_E10value_typeET4_jRbjT5_S1A_jjP12ihipStream_tbEUljE_EEESV_SW_SX_S14_S18_S1A_T6_T7_T9_mT8_S1C_bDpT10_ENKUlT_T0_E_clISt17integral_constantIbLb0EES1P_EEDaS1K_S1L_EUlS1K_E_NS1_11comp_targetILNS1_3genE9ELNS1_11target_archE1100ELNS1_3gpuE3ELNS1_3repE0EEENS1_30default_config_static_selectorELNS0_4arch9wavefront6targetE1EEEvSY_,"axG",@progbits,_ZN7rocprim17ROCPRIM_400000_NS6detail17trampoline_kernelINS0_13select_configILj256ELj13ELNS0_17block_load_methodE3ELS4_3ELS4_3ELNS0_20block_scan_algorithmE0ELj4294967295EEENS1_25partition_config_selectorILNS1_17partition_subalgoE3EjNS0_10empty_typeEbEEZZNS1_14partition_implILS8_3ELb0ES6_jNS0_17counting_iteratorIjlEEPS9_SE_NS0_5tupleIJPjSE_EEENSF_IJSE_SE_EEES9_SG_JZNS1_25segmented_radix_sort_implINS0_14default_configELb0EPKhPhPKlPlN2at6native12_GLOBAL__N_18offset_tEEE10hipError_tPvRmT1_PNSt15iterator_traitsISY_E10value_typeET2_T3_PNSZ_IS14_E10value_typeET4_jRbjT5_S1A_jjP12ihipStream_tbEUljE_EEESV_SW_SX_S14_S18_S1A_T6_T7_T9_mT8_S1C_bDpT10_ENKUlT_T0_E_clISt17integral_constantIbLb0EES1P_EEDaS1K_S1L_EUlS1K_E_NS1_11comp_targetILNS1_3genE9ELNS1_11target_archE1100ELNS1_3gpuE3ELNS1_3repE0EEENS1_30default_config_static_selectorELNS0_4arch9wavefront6targetE1EEEvSY_,comdat
.Lfunc_end160:
	.size	_ZN7rocprim17ROCPRIM_400000_NS6detail17trampoline_kernelINS0_13select_configILj256ELj13ELNS0_17block_load_methodE3ELS4_3ELS4_3ELNS0_20block_scan_algorithmE0ELj4294967295EEENS1_25partition_config_selectorILNS1_17partition_subalgoE3EjNS0_10empty_typeEbEEZZNS1_14partition_implILS8_3ELb0ES6_jNS0_17counting_iteratorIjlEEPS9_SE_NS0_5tupleIJPjSE_EEENSF_IJSE_SE_EEES9_SG_JZNS1_25segmented_radix_sort_implINS0_14default_configELb0EPKhPhPKlPlN2at6native12_GLOBAL__N_18offset_tEEE10hipError_tPvRmT1_PNSt15iterator_traitsISY_E10value_typeET2_T3_PNSZ_IS14_E10value_typeET4_jRbjT5_S1A_jjP12ihipStream_tbEUljE_EEESV_SW_SX_S14_S18_S1A_T6_T7_T9_mT8_S1C_bDpT10_ENKUlT_T0_E_clISt17integral_constantIbLb0EES1P_EEDaS1K_S1L_EUlS1K_E_NS1_11comp_targetILNS1_3genE9ELNS1_11target_archE1100ELNS1_3gpuE3ELNS1_3repE0EEENS1_30default_config_static_selectorELNS0_4arch9wavefront6targetE1EEEvSY_, .Lfunc_end160-_ZN7rocprim17ROCPRIM_400000_NS6detail17trampoline_kernelINS0_13select_configILj256ELj13ELNS0_17block_load_methodE3ELS4_3ELS4_3ELNS0_20block_scan_algorithmE0ELj4294967295EEENS1_25partition_config_selectorILNS1_17partition_subalgoE3EjNS0_10empty_typeEbEEZZNS1_14partition_implILS8_3ELb0ES6_jNS0_17counting_iteratorIjlEEPS9_SE_NS0_5tupleIJPjSE_EEENSF_IJSE_SE_EEES9_SG_JZNS1_25segmented_radix_sort_implINS0_14default_configELb0EPKhPhPKlPlN2at6native12_GLOBAL__N_18offset_tEEE10hipError_tPvRmT1_PNSt15iterator_traitsISY_E10value_typeET2_T3_PNSZ_IS14_E10value_typeET4_jRbjT5_S1A_jjP12ihipStream_tbEUljE_EEESV_SW_SX_S14_S18_S1A_T6_T7_T9_mT8_S1C_bDpT10_ENKUlT_T0_E_clISt17integral_constantIbLb0EES1P_EEDaS1K_S1L_EUlS1K_E_NS1_11comp_targetILNS1_3genE9ELNS1_11target_archE1100ELNS1_3gpuE3ELNS1_3repE0EEENS1_30default_config_static_selectorELNS0_4arch9wavefront6targetE1EEEvSY_
                                        ; -- End function
	.section	.AMDGPU.csdata,"",@progbits
; Kernel info:
; codeLenInByte = 0
; NumSgprs: 4
; NumVgprs: 0
; NumAgprs: 0
; TotalNumVgprs: 0
; ScratchSize: 0
; MemoryBound: 0
; FloatMode: 240
; IeeeMode: 1
; LDSByteSize: 0 bytes/workgroup (compile time only)
; SGPRBlocks: 0
; VGPRBlocks: 0
; NumSGPRsForWavesPerEU: 4
; NumVGPRsForWavesPerEU: 1
; AccumOffset: 4
; Occupancy: 8
; WaveLimiterHint : 0
; COMPUTE_PGM_RSRC2:SCRATCH_EN: 0
; COMPUTE_PGM_RSRC2:USER_SGPR: 6
; COMPUTE_PGM_RSRC2:TRAP_HANDLER: 0
; COMPUTE_PGM_RSRC2:TGID_X_EN: 1
; COMPUTE_PGM_RSRC2:TGID_Y_EN: 0
; COMPUTE_PGM_RSRC2:TGID_Z_EN: 0
; COMPUTE_PGM_RSRC2:TIDIG_COMP_CNT: 0
; COMPUTE_PGM_RSRC3_GFX90A:ACCUM_OFFSET: 0
; COMPUTE_PGM_RSRC3_GFX90A:TG_SPLIT: 0
	.section	.text._ZN7rocprim17ROCPRIM_400000_NS6detail17trampoline_kernelINS0_13select_configILj256ELj13ELNS0_17block_load_methodE3ELS4_3ELS4_3ELNS0_20block_scan_algorithmE0ELj4294967295EEENS1_25partition_config_selectorILNS1_17partition_subalgoE3EjNS0_10empty_typeEbEEZZNS1_14partition_implILS8_3ELb0ES6_jNS0_17counting_iteratorIjlEEPS9_SE_NS0_5tupleIJPjSE_EEENSF_IJSE_SE_EEES9_SG_JZNS1_25segmented_radix_sort_implINS0_14default_configELb0EPKhPhPKlPlN2at6native12_GLOBAL__N_18offset_tEEE10hipError_tPvRmT1_PNSt15iterator_traitsISY_E10value_typeET2_T3_PNSZ_IS14_E10value_typeET4_jRbjT5_S1A_jjP12ihipStream_tbEUljE_EEESV_SW_SX_S14_S18_S1A_T6_T7_T9_mT8_S1C_bDpT10_ENKUlT_T0_E_clISt17integral_constantIbLb0EES1P_EEDaS1K_S1L_EUlS1K_E_NS1_11comp_targetILNS1_3genE8ELNS1_11target_archE1030ELNS1_3gpuE2ELNS1_3repE0EEENS1_30default_config_static_selectorELNS0_4arch9wavefront6targetE1EEEvSY_,"axG",@progbits,_ZN7rocprim17ROCPRIM_400000_NS6detail17trampoline_kernelINS0_13select_configILj256ELj13ELNS0_17block_load_methodE3ELS4_3ELS4_3ELNS0_20block_scan_algorithmE0ELj4294967295EEENS1_25partition_config_selectorILNS1_17partition_subalgoE3EjNS0_10empty_typeEbEEZZNS1_14partition_implILS8_3ELb0ES6_jNS0_17counting_iteratorIjlEEPS9_SE_NS0_5tupleIJPjSE_EEENSF_IJSE_SE_EEES9_SG_JZNS1_25segmented_radix_sort_implINS0_14default_configELb0EPKhPhPKlPlN2at6native12_GLOBAL__N_18offset_tEEE10hipError_tPvRmT1_PNSt15iterator_traitsISY_E10value_typeET2_T3_PNSZ_IS14_E10value_typeET4_jRbjT5_S1A_jjP12ihipStream_tbEUljE_EEESV_SW_SX_S14_S18_S1A_T6_T7_T9_mT8_S1C_bDpT10_ENKUlT_T0_E_clISt17integral_constantIbLb0EES1P_EEDaS1K_S1L_EUlS1K_E_NS1_11comp_targetILNS1_3genE8ELNS1_11target_archE1030ELNS1_3gpuE2ELNS1_3repE0EEENS1_30default_config_static_selectorELNS0_4arch9wavefront6targetE1EEEvSY_,comdat
	.globl	_ZN7rocprim17ROCPRIM_400000_NS6detail17trampoline_kernelINS0_13select_configILj256ELj13ELNS0_17block_load_methodE3ELS4_3ELS4_3ELNS0_20block_scan_algorithmE0ELj4294967295EEENS1_25partition_config_selectorILNS1_17partition_subalgoE3EjNS0_10empty_typeEbEEZZNS1_14partition_implILS8_3ELb0ES6_jNS0_17counting_iteratorIjlEEPS9_SE_NS0_5tupleIJPjSE_EEENSF_IJSE_SE_EEES9_SG_JZNS1_25segmented_radix_sort_implINS0_14default_configELb0EPKhPhPKlPlN2at6native12_GLOBAL__N_18offset_tEEE10hipError_tPvRmT1_PNSt15iterator_traitsISY_E10value_typeET2_T3_PNSZ_IS14_E10value_typeET4_jRbjT5_S1A_jjP12ihipStream_tbEUljE_EEESV_SW_SX_S14_S18_S1A_T6_T7_T9_mT8_S1C_bDpT10_ENKUlT_T0_E_clISt17integral_constantIbLb0EES1P_EEDaS1K_S1L_EUlS1K_E_NS1_11comp_targetILNS1_3genE8ELNS1_11target_archE1030ELNS1_3gpuE2ELNS1_3repE0EEENS1_30default_config_static_selectorELNS0_4arch9wavefront6targetE1EEEvSY_ ; -- Begin function _ZN7rocprim17ROCPRIM_400000_NS6detail17trampoline_kernelINS0_13select_configILj256ELj13ELNS0_17block_load_methodE3ELS4_3ELS4_3ELNS0_20block_scan_algorithmE0ELj4294967295EEENS1_25partition_config_selectorILNS1_17partition_subalgoE3EjNS0_10empty_typeEbEEZZNS1_14partition_implILS8_3ELb0ES6_jNS0_17counting_iteratorIjlEEPS9_SE_NS0_5tupleIJPjSE_EEENSF_IJSE_SE_EEES9_SG_JZNS1_25segmented_radix_sort_implINS0_14default_configELb0EPKhPhPKlPlN2at6native12_GLOBAL__N_18offset_tEEE10hipError_tPvRmT1_PNSt15iterator_traitsISY_E10value_typeET2_T3_PNSZ_IS14_E10value_typeET4_jRbjT5_S1A_jjP12ihipStream_tbEUljE_EEESV_SW_SX_S14_S18_S1A_T6_T7_T9_mT8_S1C_bDpT10_ENKUlT_T0_E_clISt17integral_constantIbLb0EES1P_EEDaS1K_S1L_EUlS1K_E_NS1_11comp_targetILNS1_3genE8ELNS1_11target_archE1030ELNS1_3gpuE2ELNS1_3repE0EEENS1_30default_config_static_selectorELNS0_4arch9wavefront6targetE1EEEvSY_
	.p2align	8
	.type	_ZN7rocprim17ROCPRIM_400000_NS6detail17trampoline_kernelINS0_13select_configILj256ELj13ELNS0_17block_load_methodE3ELS4_3ELS4_3ELNS0_20block_scan_algorithmE0ELj4294967295EEENS1_25partition_config_selectorILNS1_17partition_subalgoE3EjNS0_10empty_typeEbEEZZNS1_14partition_implILS8_3ELb0ES6_jNS0_17counting_iteratorIjlEEPS9_SE_NS0_5tupleIJPjSE_EEENSF_IJSE_SE_EEES9_SG_JZNS1_25segmented_radix_sort_implINS0_14default_configELb0EPKhPhPKlPlN2at6native12_GLOBAL__N_18offset_tEEE10hipError_tPvRmT1_PNSt15iterator_traitsISY_E10value_typeET2_T3_PNSZ_IS14_E10value_typeET4_jRbjT5_S1A_jjP12ihipStream_tbEUljE_EEESV_SW_SX_S14_S18_S1A_T6_T7_T9_mT8_S1C_bDpT10_ENKUlT_T0_E_clISt17integral_constantIbLb0EES1P_EEDaS1K_S1L_EUlS1K_E_NS1_11comp_targetILNS1_3genE8ELNS1_11target_archE1030ELNS1_3gpuE2ELNS1_3repE0EEENS1_30default_config_static_selectorELNS0_4arch9wavefront6targetE1EEEvSY_,@function
_ZN7rocprim17ROCPRIM_400000_NS6detail17trampoline_kernelINS0_13select_configILj256ELj13ELNS0_17block_load_methodE3ELS4_3ELS4_3ELNS0_20block_scan_algorithmE0ELj4294967295EEENS1_25partition_config_selectorILNS1_17partition_subalgoE3EjNS0_10empty_typeEbEEZZNS1_14partition_implILS8_3ELb0ES6_jNS0_17counting_iteratorIjlEEPS9_SE_NS0_5tupleIJPjSE_EEENSF_IJSE_SE_EEES9_SG_JZNS1_25segmented_radix_sort_implINS0_14default_configELb0EPKhPhPKlPlN2at6native12_GLOBAL__N_18offset_tEEE10hipError_tPvRmT1_PNSt15iterator_traitsISY_E10value_typeET2_T3_PNSZ_IS14_E10value_typeET4_jRbjT5_S1A_jjP12ihipStream_tbEUljE_EEESV_SW_SX_S14_S18_S1A_T6_T7_T9_mT8_S1C_bDpT10_ENKUlT_T0_E_clISt17integral_constantIbLb0EES1P_EEDaS1K_S1L_EUlS1K_E_NS1_11comp_targetILNS1_3genE8ELNS1_11target_archE1030ELNS1_3gpuE2ELNS1_3repE0EEENS1_30default_config_static_selectorELNS0_4arch9wavefront6targetE1EEEvSY_: ; @_ZN7rocprim17ROCPRIM_400000_NS6detail17trampoline_kernelINS0_13select_configILj256ELj13ELNS0_17block_load_methodE3ELS4_3ELS4_3ELNS0_20block_scan_algorithmE0ELj4294967295EEENS1_25partition_config_selectorILNS1_17partition_subalgoE3EjNS0_10empty_typeEbEEZZNS1_14partition_implILS8_3ELb0ES6_jNS0_17counting_iteratorIjlEEPS9_SE_NS0_5tupleIJPjSE_EEENSF_IJSE_SE_EEES9_SG_JZNS1_25segmented_radix_sort_implINS0_14default_configELb0EPKhPhPKlPlN2at6native12_GLOBAL__N_18offset_tEEE10hipError_tPvRmT1_PNSt15iterator_traitsISY_E10value_typeET2_T3_PNSZ_IS14_E10value_typeET4_jRbjT5_S1A_jjP12ihipStream_tbEUljE_EEESV_SW_SX_S14_S18_S1A_T6_T7_T9_mT8_S1C_bDpT10_ENKUlT_T0_E_clISt17integral_constantIbLb0EES1P_EEDaS1K_S1L_EUlS1K_E_NS1_11comp_targetILNS1_3genE8ELNS1_11target_archE1030ELNS1_3gpuE2ELNS1_3repE0EEENS1_30default_config_static_selectorELNS0_4arch9wavefront6targetE1EEEvSY_
; %bb.0:
	.section	.rodata,"a",@progbits
	.p2align	6, 0x0
	.amdhsa_kernel _ZN7rocprim17ROCPRIM_400000_NS6detail17trampoline_kernelINS0_13select_configILj256ELj13ELNS0_17block_load_methodE3ELS4_3ELS4_3ELNS0_20block_scan_algorithmE0ELj4294967295EEENS1_25partition_config_selectorILNS1_17partition_subalgoE3EjNS0_10empty_typeEbEEZZNS1_14partition_implILS8_3ELb0ES6_jNS0_17counting_iteratorIjlEEPS9_SE_NS0_5tupleIJPjSE_EEENSF_IJSE_SE_EEES9_SG_JZNS1_25segmented_radix_sort_implINS0_14default_configELb0EPKhPhPKlPlN2at6native12_GLOBAL__N_18offset_tEEE10hipError_tPvRmT1_PNSt15iterator_traitsISY_E10value_typeET2_T3_PNSZ_IS14_E10value_typeET4_jRbjT5_S1A_jjP12ihipStream_tbEUljE_EEESV_SW_SX_S14_S18_S1A_T6_T7_T9_mT8_S1C_bDpT10_ENKUlT_T0_E_clISt17integral_constantIbLb0EES1P_EEDaS1K_S1L_EUlS1K_E_NS1_11comp_targetILNS1_3genE8ELNS1_11target_archE1030ELNS1_3gpuE2ELNS1_3repE0EEENS1_30default_config_static_selectorELNS0_4arch9wavefront6targetE1EEEvSY_
		.amdhsa_group_segment_fixed_size 0
		.amdhsa_private_segment_fixed_size 0
		.amdhsa_kernarg_size 144
		.amdhsa_user_sgpr_count 6
		.amdhsa_user_sgpr_private_segment_buffer 1
		.amdhsa_user_sgpr_dispatch_ptr 0
		.amdhsa_user_sgpr_queue_ptr 0
		.amdhsa_user_sgpr_kernarg_segment_ptr 1
		.amdhsa_user_sgpr_dispatch_id 0
		.amdhsa_user_sgpr_flat_scratch_init 0
		.amdhsa_user_sgpr_kernarg_preload_length 0
		.amdhsa_user_sgpr_kernarg_preload_offset 0
		.amdhsa_user_sgpr_private_segment_size 0
		.amdhsa_uses_dynamic_stack 0
		.amdhsa_system_sgpr_private_segment_wavefront_offset 0
		.amdhsa_system_sgpr_workgroup_id_x 1
		.amdhsa_system_sgpr_workgroup_id_y 0
		.amdhsa_system_sgpr_workgroup_id_z 0
		.amdhsa_system_sgpr_workgroup_info 0
		.amdhsa_system_vgpr_workitem_id 0
		.amdhsa_next_free_vgpr 1
		.amdhsa_next_free_sgpr 0
		.amdhsa_accum_offset 4
		.amdhsa_reserve_vcc 0
		.amdhsa_reserve_flat_scratch 0
		.amdhsa_float_round_mode_32 0
		.amdhsa_float_round_mode_16_64 0
		.amdhsa_float_denorm_mode_32 3
		.amdhsa_float_denorm_mode_16_64 3
		.amdhsa_dx10_clamp 1
		.amdhsa_ieee_mode 1
		.amdhsa_fp16_overflow 0
		.amdhsa_tg_split 0
		.amdhsa_exception_fp_ieee_invalid_op 0
		.amdhsa_exception_fp_denorm_src 0
		.amdhsa_exception_fp_ieee_div_zero 0
		.amdhsa_exception_fp_ieee_overflow 0
		.amdhsa_exception_fp_ieee_underflow 0
		.amdhsa_exception_fp_ieee_inexact 0
		.amdhsa_exception_int_div_zero 0
	.end_amdhsa_kernel
	.section	.text._ZN7rocprim17ROCPRIM_400000_NS6detail17trampoline_kernelINS0_13select_configILj256ELj13ELNS0_17block_load_methodE3ELS4_3ELS4_3ELNS0_20block_scan_algorithmE0ELj4294967295EEENS1_25partition_config_selectorILNS1_17partition_subalgoE3EjNS0_10empty_typeEbEEZZNS1_14partition_implILS8_3ELb0ES6_jNS0_17counting_iteratorIjlEEPS9_SE_NS0_5tupleIJPjSE_EEENSF_IJSE_SE_EEES9_SG_JZNS1_25segmented_radix_sort_implINS0_14default_configELb0EPKhPhPKlPlN2at6native12_GLOBAL__N_18offset_tEEE10hipError_tPvRmT1_PNSt15iterator_traitsISY_E10value_typeET2_T3_PNSZ_IS14_E10value_typeET4_jRbjT5_S1A_jjP12ihipStream_tbEUljE_EEESV_SW_SX_S14_S18_S1A_T6_T7_T9_mT8_S1C_bDpT10_ENKUlT_T0_E_clISt17integral_constantIbLb0EES1P_EEDaS1K_S1L_EUlS1K_E_NS1_11comp_targetILNS1_3genE8ELNS1_11target_archE1030ELNS1_3gpuE2ELNS1_3repE0EEENS1_30default_config_static_selectorELNS0_4arch9wavefront6targetE1EEEvSY_,"axG",@progbits,_ZN7rocprim17ROCPRIM_400000_NS6detail17trampoline_kernelINS0_13select_configILj256ELj13ELNS0_17block_load_methodE3ELS4_3ELS4_3ELNS0_20block_scan_algorithmE0ELj4294967295EEENS1_25partition_config_selectorILNS1_17partition_subalgoE3EjNS0_10empty_typeEbEEZZNS1_14partition_implILS8_3ELb0ES6_jNS0_17counting_iteratorIjlEEPS9_SE_NS0_5tupleIJPjSE_EEENSF_IJSE_SE_EEES9_SG_JZNS1_25segmented_radix_sort_implINS0_14default_configELb0EPKhPhPKlPlN2at6native12_GLOBAL__N_18offset_tEEE10hipError_tPvRmT1_PNSt15iterator_traitsISY_E10value_typeET2_T3_PNSZ_IS14_E10value_typeET4_jRbjT5_S1A_jjP12ihipStream_tbEUljE_EEESV_SW_SX_S14_S18_S1A_T6_T7_T9_mT8_S1C_bDpT10_ENKUlT_T0_E_clISt17integral_constantIbLb0EES1P_EEDaS1K_S1L_EUlS1K_E_NS1_11comp_targetILNS1_3genE8ELNS1_11target_archE1030ELNS1_3gpuE2ELNS1_3repE0EEENS1_30default_config_static_selectorELNS0_4arch9wavefront6targetE1EEEvSY_,comdat
.Lfunc_end161:
	.size	_ZN7rocprim17ROCPRIM_400000_NS6detail17trampoline_kernelINS0_13select_configILj256ELj13ELNS0_17block_load_methodE3ELS4_3ELS4_3ELNS0_20block_scan_algorithmE0ELj4294967295EEENS1_25partition_config_selectorILNS1_17partition_subalgoE3EjNS0_10empty_typeEbEEZZNS1_14partition_implILS8_3ELb0ES6_jNS0_17counting_iteratorIjlEEPS9_SE_NS0_5tupleIJPjSE_EEENSF_IJSE_SE_EEES9_SG_JZNS1_25segmented_radix_sort_implINS0_14default_configELb0EPKhPhPKlPlN2at6native12_GLOBAL__N_18offset_tEEE10hipError_tPvRmT1_PNSt15iterator_traitsISY_E10value_typeET2_T3_PNSZ_IS14_E10value_typeET4_jRbjT5_S1A_jjP12ihipStream_tbEUljE_EEESV_SW_SX_S14_S18_S1A_T6_T7_T9_mT8_S1C_bDpT10_ENKUlT_T0_E_clISt17integral_constantIbLb0EES1P_EEDaS1K_S1L_EUlS1K_E_NS1_11comp_targetILNS1_3genE8ELNS1_11target_archE1030ELNS1_3gpuE2ELNS1_3repE0EEENS1_30default_config_static_selectorELNS0_4arch9wavefront6targetE1EEEvSY_, .Lfunc_end161-_ZN7rocprim17ROCPRIM_400000_NS6detail17trampoline_kernelINS0_13select_configILj256ELj13ELNS0_17block_load_methodE3ELS4_3ELS4_3ELNS0_20block_scan_algorithmE0ELj4294967295EEENS1_25partition_config_selectorILNS1_17partition_subalgoE3EjNS0_10empty_typeEbEEZZNS1_14partition_implILS8_3ELb0ES6_jNS0_17counting_iteratorIjlEEPS9_SE_NS0_5tupleIJPjSE_EEENSF_IJSE_SE_EEES9_SG_JZNS1_25segmented_radix_sort_implINS0_14default_configELb0EPKhPhPKlPlN2at6native12_GLOBAL__N_18offset_tEEE10hipError_tPvRmT1_PNSt15iterator_traitsISY_E10value_typeET2_T3_PNSZ_IS14_E10value_typeET4_jRbjT5_S1A_jjP12ihipStream_tbEUljE_EEESV_SW_SX_S14_S18_S1A_T6_T7_T9_mT8_S1C_bDpT10_ENKUlT_T0_E_clISt17integral_constantIbLb0EES1P_EEDaS1K_S1L_EUlS1K_E_NS1_11comp_targetILNS1_3genE8ELNS1_11target_archE1030ELNS1_3gpuE2ELNS1_3repE0EEENS1_30default_config_static_selectorELNS0_4arch9wavefront6targetE1EEEvSY_
                                        ; -- End function
	.section	.AMDGPU.csdata,"",@progbits
; Kernel info:
; codeLenInByte = 0
; NumSgprs: 4
; NumVgprs: 0
; NumAgprs: 0
; TotalNumVgprs: 0
; ScratchSize: 0
; MemoryBound: 0
; FloatMode: 240
; IeeeMode: 1
; LDSByteSize: 0 bytes/workgroup (compile time only)
; SGPRBlocks: 0
; VGPRBlocks: 0
; NumSGPRsForWavesPerEU: 4
; NumVGPRsForWavesPerEU: 1
; AccumOffset: 4
; Occupancy: 8
; WaveLimiterHint : 0
; COMPUTE_PGM_RSRC2:SCRATCH_EN: 0
; COMPUTE_PGM_RSRC2:USER_SGPR: 6
; COMPUTE_PGM_RSRC2:TRAP_HANDLER: 0
; COMPUTE_PGM_RSRC2:TGID_X_EN: 1
; COMPUTE_PGM_RSRC2:TGID_Y_EN: 0
; COMPUTE_PGM_RSRC2:TGID_Z_EN: 0
; COMPUTE_PGM_RSRC2:TIDIG_COMP_CNT: 0
; COMPUTE_PGM_RSRC3_GFX90A:ACCUM_OFFSET: 0
; COMPUTE_PGM_RSRC3_GFX90A:TG_SPLIT: 0
	.section	.text._ZN7rocprim17ROCPRIM_400000_NS6detail17trampoline_kernelINS0_13select_configILj256ELj13ELNS0_17block_load_methodE3ELS4_3ELS4_3ELNS0_20block_scan_algorithmE0ELj4294967295EEENS1_25partition_config_selectorILNS1_17partition_subalgoE3EjNS0_10empty_typeEbEEZZNS1_14partition_implILS8_3ELb0ES6_jNS0_17counting_iteratorIjlEEPS9_SE_NS0_5tupleIJPjSE_EEENSF_IJSE_SE_EEES9_SG_JZNS1_25segmented_radix_sort_implINS0_14default_configELb0EPKhPhPKlPlN2at6native12_GLOBAL__N_18offset_tEEE10hipError_tPvRmT1_PNSt15iterator_traitsISY_E10value_typeET2_T3_PNSZ_IS14_E10value_typeET4_jRbjT5_S1A_jjP12ihipStream_tbEUljE_EEESV_SW_SX_S14_S18_S1A_T6_T7_T9_mT8_S1C_bDpT10_ENKUlT_T0_E_clISt17integral_constantIbLb1EES1P_EEDaS1K_S1L_EUlS1K_E_NS1_11comp_targetILNS1_3genE0ELNS1_11target_archE4294967295ELNS1_3gpuE0ELNS1_3repE0EEENS1_30default_config_static_selectorELNS0_4arch9wavefront6targetE1EEEvSY_,"axG",@progbits,_ZN7rocprim17ROCPRIM_400000_NS6detail17trampoline_kernelINS0_13select_configILj256ELj13ELNS0_17block_load_methodE3ELS4_3ELS4_3ELNS0_20block_scan_algorithmE0ELj4294967295EEENS1_25partition_config_selectorILNS1_17partition_subalgoE3EjNS0_10empty_typeEbEEZZNS1_14partition_implILS8_3ELb0ES6_jNS0_17counting_iteratorIjlEEPS9_SE_NS0_5tupleIJPjSE_EEENSF_IJSE_SE_EEES9_SG_JZNS1_25segmented_radix_sort_implINS0_14default_configELb0EPKhPhPKlPlN2at6native12_GLOBAL__N_18offset_tEEE10hipError_tPvRmT1_PNSt15iterator_traitsISY_E10value_typeET2_T3_PNSZ_IS14_E10value_typeET4_jRbjT5_S1A_jjP12ihipStream_tbEUljE_EEESV_SW_SX_S14_S18_S1A_T6_T7_T9_mT8_S1C_bDpT10_ENKUlT_T0_E_clISt17integral_constantIbLb1EES1P_EEDaS1K_S1L_EUlS1K_E_NS1_11comp_targetILNS1_3genE0ELNS1_11target_archE4294967295ELNS1_3gpuE0ELNS1_3repE0EEENS1_30default_config_static_selectorELNS0_4arch9wavefront6targetE1EEEvSY_,comdat
	.globl	_ZN7rocprim17ROCPRIM_400000_NS6detail17trampoline_kernelINS0_13select_configILj256ELj13ELNS0_17block_load_methodE3ELS4_3ELS4_3ELNS0_20block_scan_algorithmE0ELj4294967295EEENS1_25partition_config_selectorILNS1_17partition_subalgoE3EjNS0_10empty_typeEbEEZZNS1_14partition_implILS8_3ELb0ES6_jNS0_17counting_iteratorIjlEEPS9_SE_NS0_5tupleIJPjSE_EEENSF_IJSE_SE_EEES9_SG_JZNS1_25segmented_radix_sort_implINS0_14default_configELb0EPKhPhPKlPlN2at6native12_GLOBAL__N_18offset_tEEE10hipError_tPvRmT1_PNSt15iterator_traitsISY_E10value_typeET2_T3_PNSZ_IS14_E10value_typeET4_jRbjT5_S1A_jjP12ihipStream_tbEUljE_EEESV_SW_SX_S14_S18_S1A_T6_T7_T9_mT8_S1C_bDpT10_ENKUlT_T0_E_clISt17integral_constantIbLb1EES1P_EEDaS1K_S1L_EUlS1K_E_NS1_11comp_targetILNS1_3genE0ELNS1_11target_archE4294967295ELNS1_3gpuE0ELNS1_3repE0EEENS1_30default_config_static_selectorELNS0_4arch9wavefront6targetE1EEEvSY_ ; -- Begin function _ZN7rocprim17ROCPRIM_400000_NS6detail17trampoline_kernelINS0_13select_configILj256ELj13ELNS0_17block_load_methodE3ELS4_3ELS4_3ELNS0_20block_scan_algorithmE0ELj4294967295EEENS1_25partition_config_selectorILNS1_17partition_subalgoE3EjNS0_10empty_typeEbEEZZNS1_14partition_implILS8_3ELb0ES6_jNS0_17counting_iteratorIjlEEPS9_SE_NS0_5tupleIJPjSE_EEENSF_IJSE_SE_EEES9_SG_JZNS1_25segmented_radix_sort_implINS0_14default_configELb0EPKhPhPKlPlN2at6native12_GLOBAL__N_18offset_tEEE10hipError_tPvRmT1_PNSt15iterator_traitsISY_E10value_typeET2_T3_PNSZ_IS14_E10value_typeET4_jRbjT5_S1A_jjP12ihipStream_tbEUljE_EEESV_SW_SX_S14_S18_S1A_T6_T7_T9_mT8_S1C_bDpT10_ENKUlT_T0_E_clISt17integral_constantIbLb1EES1P_EEDaS1K_S1L_EUlS1K_E_NS1_11comp_targetILNS1_3genE0ELNS1_11target_archE4294967295ELNS1_3gpuE0ELNS1_3repE0EEENS1_30default_config_static_selectorELNS0_4arch9wavefront6targetE1EEEvSY_
	.p2align	8
	.type	_ZN7rocprim17ROCPRIM_400000_NS6detail17trampoline_kernelINS0_13select_configILj256ELj13ELNS0_17block_load_methodE3ELS4_3ELS4_3ELNS0_20block_scan_algorithmE0ELj4294967295EEENS1_25partition_config_selectorILNS1_17partition_subalgoE3EjNS0_10empty_typeEbEEZZNS1_14partition_implILS8_3ELb0ES6_jNS0_17counting_iteratorIjlEEPS9_SE_NS0_5tupleIJPjSE_EEENSF_IJSE_SE_EEES9_SG_JZNS1_25segmented_radix_sort_implINS0_14default_configELb0EPKhPhPKlPlN2at6native12_GLOBAL__N_18offset_tEEE10hipError_tPvRmT1_PNSt15iterator_traitsISY_E10value_typeET2_T3_PNSZ_IS14_E10value_typeET4_jRbjT5_S1A_jjP12ihipStream_tbEUljE_EEESV_SW_SX_S14_S18_S1A_T6_T7_T9_mT8_S1C_bDpT10_ENKUlT_T0_E_clISt17integral_constantIbLb1EES1P_EEDaS1K_S1L_EUlS1K_E_NS1_11comp_targetILNS1_3genE0ELNS1_11target_archE4294967295ELNS1_3gpuE0ELNS1_3repE0EEENS1_30default_config_static_selectorELNS0_4arch9wavefront6targetE1EEEvSY_,@function
_ZN7rocprim17ROCPRIM_400000_NS6detail17trampoline_kernelINS0_13select_configILj256ELj13ELNS0_17block_load_methodE3ELS4_3ELS4_3ELNS0_20block_scan_algorithmE0ELj4294967295EEENS1_25partition_config_selectorILNS1_17partition_subalgoE3EjNS0_10empty_typeEbEEZZNS1_14partition_implILS8_3ELb0ES6_jNS0_17counting_iteratorIjlEEPS9_SE_NS0_5tupleIJPjSE_EEENSF_IJSE_SE_EEES9_SG_JZNS1_25segmented_radix_sort_implINS0_14default_configELb0EPKhPhPKlPlN2at6native12_GLOBAL__N_18offset_tEEE10hipError_tPvRmT1_PNSt15iterator_traitsISY_E10value_typeET2_T3_PNSZ_IS14_E10value_typeET4_jRbjT5_S1A_jjP12ihipStream_tbEUljE_EEESV_SW_SX_S14_S18_S1A_T6_T7_T9_mT8_S1C_bDpT10_ENKUlT_T0_E_clISt17integral_constantIbLb1EES1P_EEDaS1K_S1L_EUlS1K_E_NS1_11comp_targetILNS1_3genE0ELNS1_11target_archE4294967295ELNS1_3gpuE0ELNS1_3repE0EEENS1_30default_config_static_selectorELNS0_4arch9wavefront6targetE1EEEvSY_: ; @_ZN7rocprim17ROCPRIM_400000_NS6detail17trampoline_kernelINS0_13select_configILj256ELj13ELNS0_17block_load_methodE3ELS4_3ELS4_3ELNS0_20block_scan_algorithmE0ELj4294967295EEENS1_25partition_config_selectorILNS1_17partition_subalgoE3EjNS0_10empty_typeEbEEZZNS1_14partition_implILS8_3ELb0ES6_jNS0_17counting_iteratorIjlEEPS9_SE_NS0_5tupleIJPjSE_EEENSF_IJSE_SE_EEES9_SG_JZNS1_25segmented_radix_sort_implINS0_14default_configELb0EPKhPhPKlPlN2at6native12_GLOBAL__N_18offset_tEEE10hipError_tPvRmT1_PNSt15iterator_traitsISY_E10value_typeET2_T3_PNSZ_IS14_E10value_typeET4_jRbjT5_S1A_jjP12ihipStream_tbEUljE_EEESV_SW_SX_S14_S18_S1A_T6_T7_T9_mT8_S1C_bDpT10_ENKUlT_T0_E_clISt17integral_constantIbLb1EES1P_EEDaS1K_S1L_EUlS1K_E_NS1_11comp_targetILNS1_3genE0ELNS1_11target_archE4294967295ELNS1_3gpuE0ELNS1_3repE0EEENS1_30default_config_static_selectorELNS0_4arch9wavefront6targetE1EEEvSY_
; %bb.0:
	.section	.rodata,"a",@progbits
	.p2align	6, 0x0
	.amdhsa_kernel _ZN7rocprim17ROCPRIM_400000_NS6detail17trampoline_kernelINS0_13select_configILj256ELj13ELNS0_17block_load_methodE3ELS4_3ELS4_3ELNS0_20block_scan_algorithmE0ELj4294967295EEENS1_25partition_config_selectorILNS1_17partition_subalgoE3EjNS0_10empty_typeEbEEZZNS1_14partition_implILS8_3ELb0ES6_jNS0_17counting_iteratorIjlEEPS9_SE_NS0_5tupleIJPjSE_EEENSF_IJSE_SE_EEES9_SG_JZNS1_25segmented_radix_sort_implINS0_14default_configELb0EPKhPhPKlPlN2at6native12_GLOBAL__N_18offset_tEEE10hipError_tPvRmT1_PNSt15iterator_traitsISY_E10value_typeET2_T3_PNSZ_IS14_E10value_typeET4_jRbjT5_S1A_jjP12ihipStream_tbEUljE_EEESV_SW_SX_S14_S18_S1A_T6_T7_T9_mT8_S1C_bDpT10_ENKUlT_T0_E_clISt17integral_constantIbLb1EES1P_EEDaS1K_S1L_EUlS1K_E_NS1_11comp_targetILNS1_3genE0ELNS1_11target_archE4294967295ELNS1_3gpuE0ELNS1_3repE0EEENS1_30default_config_static_selectorELNS0_4arch9wavefront6targetE1EEEvSY_
		.amdhsa_group_segment_fixed_size 0
		.amdhsa_private_segment_fixed_size 0
		.amdhsa_kernarg_size 152
		.amdhsa_user_sgpr_count 6
		.amdhsa_user_sgpr_private_segment_buffer 1
		.amdhsa_user_sgpr_dispatch_ptr 0
		.amdhsa_user_sgpr_queue_ptr 0
		.amdhsa_user_sgpr_kernarg_segment_ptr 1
		.amdhsa_user_sgpr_dispatch_id 0
		.amdhsa_user_sgpr_flat_scratch_init 0
		.amdhsa_user_sgpr_kernarg_preload_length 0
		.amdhsa_user_sgpr_kernarg_preload_offset 0
		.amdhsa_user_sgpr_private_segment_size 0
		.amdhsa_uses_dynamic_stack 0
		.amdhsa_system_sgpr_private_segment_wavefront_offset 0
		.amdhsa_system_sgpr_workgroup_id_x 1
		.amdhsa_system_sgpr_workgroup_id_y 0
		.amdhsa_system_sgpr_workgroup_id_z 0
		.amdhsa_system_sgpr_workgroup_info 0
		.amdhsa_system_vgpr_workitem_id 0
		.amdhsa_next_free_vgpr 1
		.amdhsa_next_free_sgpr 0
		.amdhsa_accum_offset 4
		.amdhsa_reserve_vcc 0
		.amdhsa_reserve_flat_scratch 0
		.amdhsa_float_round_mode_32 0
		.amdhsa_float_round_mode_16_64 0
		.amdhsa_float_denorm_mode_32 3
		.amdhsa_float_denorm_mode_16_64 3
		.amdhsa_dx10_clamp 1
		.amdhsa_ieee_mode 1
		.amdhsa_fp16_overflow 0
		.amdhsa_tg_split 0
		.amdhsa_exception_fp_ieee_invalid_op 0
		.amdhsa_exception_fp_denorm_src 0
		.amdhsa_exception_fp_ieee_div_zero 0
		.amdhsa_exception_fp_ieee_overflow 0
		.amdhsa_exception_fp_ieee_underflow 0
		.amdhsa_exception_fp_ieee_inexact 0
		.amdhsa_exception_int_div_zero 0
	.end_amdhsa_kernel
	.section	.text._ZN7rocprim17ROCPRIM_400000_NS6detail17trampoline_kernelINS0_13select_configILj256ELj13ELNS0_17block_load_methodE3ELS4_3ELS4_3ELNS0_20block_scan_algorithmE0ELj4294967295EEENS1_25partition_config_selectorILNS1_17partition_subalgoE3EjNS0_10empty_typeEbEEZZNS1_14partition_implILS8_3ELb0ES6_jNS0_17counting_iteratorIjlEEPS9_SE_NS0_5tupleIJPjSE_EEENSF_IJSE_SE_EEES9_SG_JZNS1_25segmented_radix_sort_implINS0_14default_configELb0EPKhPhPKlPlN2at6native12_GLOBAL__N_18offset_tEEE10hipError_tPvRmT1_PNSt15iterator_traitsISY_E10value_typeET2_T3_PNSZ_IS14_E10value_typeET4_jRbjT5_S1A_jjP12ihipStream_tbEUljE_EEESV_SW_SX_S14_S18_S1A_T6_T7_T9_mT8_S1C_bDpT10_ENKUlT_T0_E_clISt17integral_constantIbLb1EES1P_EEDaS1K_S1L_EUlS1K_E_NS1_11comp_targetILNS1_3genE0ELNS1_11target_archE4294967295ELNS1_3gpuE0ELNS1_3repE0EEENS1_30default_config_static_selectorELNS0_4arch9wavefront6targetE1EEEvSY_,"axG",@progbits,_ZN7rocprim17ROCPRIM_400000_NS6detail17trampoline_kernelINS0_13select_configILj256ELj13ELNS0_17block_load_methodE3ELS4_3ELS4_3ELNS0_20block_scan_algorithmE0ELj4294967295EEENS1_25partition_config_selectorILNS1_17partition_subalgoE3EjNS0_10empty_typeEbEEZZNS1_14partition_implILS8_3ELb0ES6_jNS0_17counting_iteratorIjlEEPS9_SE_NS0_5tupleIJPjSE_EEENSF_IJSE_SE_EEES9_SG_JZNS1_25segmented_radix_sort_implINS0_14default_configELb0EPKhPhPKlPlN2at6native12_GLOBAL__N_18offset_tEEE10hipError_tPvRmT1_PNSt15iterator_traitsISY_E10value_typeET2_T3_PNSZ_IS14_E10value_typeET4_jRbjT5_S1A_jjP12ihipStream_tbEUljE_EEESV_SW_SX_S14_S18_S1A_T6_T7_T9_mT8_S1C_bDpT10_ENKUlT_T0_E_clISt17integral_constantIbLb1EES1P_EEDaS1K_S1L_EUlS1K_E_NS1_11comp_targetILNS1_3genE0ELNS1_11target_archE4294967295ELNS1_3gpuE0ELNS1_3repE0EEENS1_30default_config_static_selectorELNS0_4arch9wavefront6targetE1EEEvSY_,comdat
.Lfunc_end162:
	.size	_ZN7rocprim17ROCPRIM_400000_NS6detail17trampoline_kernelINS0_13select_configILj256ELj13ELNS0_17block_load_methodE3ELS4_3ELS4_3ELNS0_20block_scan_algorithmE0ELj4294967295EEENS1_25partition_config_selectorILNS1_17partition_subalgoE3EjNS0_10empty_typeEbEEZZNS1_14partition_implILS8_3ELb0ES6_jNS0_17counting_iteratorIjlEEPS9_SE_NS0_5tupleIJPjSE_EEENSF_IJSE_SE_EEES9_SG_JZNS1_25segmented_radix_sort_implINS0_14default_configELb0EPKhPhPKlPlN2at6native12_GLOBAL__N_18offset_tEEE10hipError_tPvRmT1_PNSt15iterator_traitsISY_E10value_typeET2_T3_PNSZ_IS14_E10value_typeET4_jRbjT5_S1A_jjP12ihipStream_tbEUljE_EEESV_SW_SX_S14_S18_S1A_T6_T7_T9_mT8_S1C_bDpT10_ENKUlT_T0_E_clISt17integral_constantIbLb1EES1P_EEDaS1K_S1L_EUlS1K_E_NS1_11comp_targetILNS1_3genE0ELNS1_11target_archE4294967295ELNS1_3gpuE0ELNS1_3repE0EEENS1_30default_config_static_selectorELNS0_4arch9wavefront6targetE1EEEvSY_, .Lfunc_end162-_ZN7rocprim17ROCPRIM_400000_NS6detail17trampoline_kernelINS0_13select_configILj256ELj13ELNS0_17block_load_methodE3ELS4_3ELS4_3ELNS0_20block_scan_algorithmE0ELj4294967295EEENS1_25partition_config_selectorILNS1_17partition_subalgoE3EjNS0_10empty_typeEbEEZZNS1_14partition_implILS8_3ELb0ES6_jNS0_17counting_iteratorIjlEEPS9_SE_NS0_5tupleIJPjSE_EEENSF_IJSE_SE_EEES9_SG_JZNS1_25segmented_radix_sort_implINS0_14default_configELb0EPKhPhPKlPlN2at6native12_GLOBAL__N_18offset_tEEE10hipError_tPvRmT1_PNSt15iterator_traitsISY_E10value_typeET2_T3_PNSZ_IS14_E10value_typeET4_jRbjT5_S1A_jjP12ihipStream_tbEUljE_EEESV_SW_SX_S14_S18_S1A_T6_T7_T9_mT8_S1C_bDpT10_ENKUlT_T0_E_clISt17integral_constantIbLb1EES1P_EEDaS1K_S1L_EUlS1K_E_NS1_11comp_targetILNS1_3genE0ELNS1_11target_archE4294967295ELNS1_3gpuE0ELNS1_3repE0EEENS1_30default_config_static_selectorELNS0_4arch9wavefront6targetE1EEEvSY_
                                        ; -- End function
	.section	.AMDGPU.csdata,"",@progbits
; Kernel info:
; codeLenInByte = 0
; NumSgprs: 4
; NumVgprs: 0
; NumAgprs: 0
; TotalNumVgprs: 0
; ScratchSize: 0
; MemoryBound: 0
; FloatMode: 240
; IeeeMode: 1
; LDSByteSize: 0 bytes/workgroup (compile time only)
; SGPRBlocks: 0
; VGPRBlocks: 0
; NumSGPRsForWavesPerEU: 4
; NumVGPRsForWavesPerEU: 1
; AccumOffset: 4
; Occupancy: 8
; WaveLimiterHint : 0
; COMPUTE_PGM_RSRC2:SCRATCH_EN: 0
; COMPUTE_PGM_RSRC2:USER_SGPR: 6
; COMPUTE_PGM_RSRC2:TRAP_HANDLER: 0
; COMPUTE_PGM_RSRC2:TGID_X_EN: 1
; COMPUTE_PGM_RSRC2:TGID_Y_EN: 0
; COMPUTE_PGM_RSRC2:TGID_Z_EN: 0
; COMPUTE_PGM_RSRC2:TIDIG_COMP_CNT: 0
; COMPUTE_PGM_RSRC3_GFX90A:ACCUM_OFFSET: 0
; COMPUTE_PGM_RSRC3_GFX90A:TG_SPLIT: 0
	.section	.text._ZN7rocprim17ROCPRIM_400000_NS6detail17trampoline_kernelINS0_13select_configILj256ELj13ELNS0_17block_load_methodE3ELS4_3ELS4_3ELNS0_20block_scan_algorithmE0ELj4294967295EEENS1_25partition_config_selectorILNS1_17partition_subalgoE3EjNS0_10empty_typeEbEEZZNS1_14partition_implILS8_3ELb0ES6_jNS0_17counting_iteratorIjlEEPS9_SE_NS0_5tupleIJPjSE_EEENSF_IJSE_SE_EEES9_SG_JZNS1_25segmented_radix_sort_implINS0_14default_configELb0EPKhPhPKlPlN2at6native12_GLOBAL__N_18offset_tEEE10hipError_tPvRmT1_PNSt15iterator_traitsISY_E10value_typeET2_T3_PNSZ_IS14_E10value_typeET4_jRbjT5_S1A_jjP12ihipStream_tbEUljE_EEESV_SW_SX_S14_S18_S1A_T6_T7_T9_mT8_S1C_bDpT10_ENKUlT_T0_E_clISt17integral_constantIbLb1EES1P_EEDaS1K_S1L_EUlS1K_E_NS1_11comp_targetILNS1_3genE5ELNS1_11target_archE942ELNS1_3gpuE9ELNS1_3repE0EEENS1_30default_config_static_selectorELNS0_4arch9wavefront6targetE1EEEvSY_,"axG",@progbits,_ZN7rocprim17ROCPRIM_400000_NS6detail17trampoline_kernelINS0_13select_configILj256ELj13ELNS0_17block_load_methodE3ELS4_3ELS4_3ELNS0_20block_scan_algorithmE0ELj4294967295EEENS1_25partition_config_selectorILNS1_17partition_subalgoE3EjNS0_10empty_typeEbEEZZNS1_14partition_implILS8_3ELb0ES6_jNS0_17counting_iteratorIjlEEPS9_SE_NS0_5tupleIJPjSE_EEENSF_IJSE_SE_EEES9_SG_JZNS1_25segmented_radix_sort_implINS0_14default_configELb0EPKhPhPKlPlN2at6native12_GLOBAL__N_18offset_tEEE10hipError_tPvRmT1_PNSt15iterator_traitsISY_E10value_typeET2_T3_PNSZ_IS14_E10value_typeET4_jRbjT5_S1A_jjP12ihipStream_tbEUljE_EEESV_SW_SX_S14_S18_S1A_T6_T7_T9_mT8_S1C_bDpT10_ENKUlT_T0_E_clISt17integral_constantIbLb1EES1P_EEDaS1K_S1L_EUlS1K_E_NS1_11comp_targetILNS1_3genE5ELNS1_11target_archE942ELNS1_3gpuE9ELNS1_3repE0EEENS1_30default_config_static_selectorELNS0_4arch9wavefront6targetE1EEEvSY_,comdat
	.globl	_ZN7rocprim17ROCPRIM_400000_NS6detail17trampoline_kernelINS0_13select_configILj256ELj13ELNS0_17block_load_methodE3ELS4_3ELS4_3ELNS0_20block_scan_algorithmE0ELj4294967295EEENS1_25partition_config_selectorILNS1_17partition_subalgoE3EjNS0_10empty_typeEbEEZZNS1_14partition_implILS8_3ELb0ES6_jNS0_17counting_iteratorIjlEEPS9_SE_NS0_5tupleIJPjSE_EEENSF_IJSE_SE_EEES9_SG_JZNS1_25segmented_radix_sort_implINS0_14default_configELb0EPKhPhPKlPlN2at6native12_GLOBAL__N_18offset_tEEE10hipError_tPvRmT1_PNSt15iterator_traitsISY_E10value_typeET2_T3_PNSZ_IS14_E10value_typeET4_jRbjT5_S1A_jjP12ihipStream_tbEUljE_EEESV_SW_SX_S14_S18_S1A_T6_T7_T9_mT8_S1C_bDpT10_ENKUlT_T0_E_clISt17integral_constantIbLb1EES1P_EEDaS1K_S1L_EUlS1K_E_NS1_11comp_targetILNS1_3genE5ELNS1_11target_archE942ELNS1_3gpuE9ELNS1_3repE0EEENS1_30default_config_static_selectorELNS0_4arch9wavefront6targetE1EEEvSY_ ; -- Begin function _ZN7rocprim17ROCPRIM_400000_NS6detail17trampoline_kernelINS0_13select_configILj256ELj13ELNS0_17block_load_methodE3ELS4_3ELS4_3ELNS0_20block_scan_algorithmE0ELj4294967295EEENS1_25partition_config_selectorILNS1_17partition_subalgoE3EjNS0_10empty_typeEbEEZZNS1_14partition_implILS8_3ELb0ES6_jNS0_17counting_iteratorIjlEEPS9_SE_NS0_5tupleIJPjSE_EEENSF_IJSE_SE_EEES9_SG_JZNS1_25segmented_radix_sort_implINS0_14default_configELb0EPKhPhPKlPlN2at6native12_GLOBAL__N_18offset_tEEE10hipError_tPvRmT1_PNSt15iterator_traitsISY_E10value_typeET2_T3_PNSZ_IS14_E10value_typeET4_jRbjT5_S1A_jjP12ihipStream_tbEUljE_EEESV_SW_SX_S14_S18_S1A_T6_T7_T9_mT8_S1C_bDpT10_ENKUlT_T0_E_clISt17integral_constantIbLb1EES1P_EEDaS1K_S1L_EUlS1K_E_NS1_11comp_targetILNS1_3genE5ELNS1_11target_archE942ELNS1_3gpuE9ELNS1_3repE0EEENS1_30default_config_static_selectorELNS0_4arch9wavefront6targetE1EEEvSY_
	.p2align	8
	.type	_ZN7rocprim17ROCPRIM_400000_NS6detail17trampoline_kernelINS0_13select_configILj256ELj13ELNS0_17block_load_methodE3ELS4_3ELS4_3ELNS0_20block_scan_algorithmE0ELj4294967295EEENS1_25partition_config_selectorILNS1_17partition_subalgoE3EjNS0_10empty_typeEbEEZZNS1_14partition_implILS8_3ELb0ES6_jNS0_17counting_iteratorIjlEEPS9_SE_NS0_5tupleIJPjSE_EEENSF_IJSE_SE_EEES9_SG_JZNS1_25segmented_radix_sort_implINS0_14default_configELb0EPKhPhPKlPlN2at6native12_GLOBAL__N_18offset_tEEE10hipError_tPvRmT1_PNSt15iterator_traitsISY_E10value_typeET2_T3_PNSZ_IS14_E10value_typeET4_jRbjT5_S1A_jjP12ihipStream_tbEUljE_EEESV_SW_SX_S14_S18_S1A_T6_T7_T9_mT8_S1C_bDpT10_ENKUlT_T0_E_clISt17integral_constantIbLb1EES1P_EEDaS1K_S1L_EUlS1K_E_NS1_11comp_targetILNS1_3genE5ELNS1_11target_archE942ELNS1_3gpuE9ELNS1_3repE0EEENS1_30default_config_static_selectorELNS0_4arch9wavefront6targetE1EEEvSY_,@function
_ZN7rocprim17ROCPRIM_400000_NS6detail17trampoline_kernelINS0_13select_configILj256ELj13ELNS0_17block_load_methodE3ELS4_3ELS4_3ELNS0_20block_scan_algorithmE0ELj4294967295EEENS1_25partition_config_selectorILNS1_17partition_subalgoE3EjNS0_10empty_typeEbEEZZNS1_14partition_implILS8_3ELb0ES6_jNS0_17counting_iteratorIjlEEPS9_SE_NS0_5tupleIJPjSE_EEENSF_IJSE_SE_EEES9_SG_JZNS1_25segmented_radix_sort_implINS0_14default_configELb0EPKhPhPKlPlN2at6native12_GLOBAL__N_18offset_tEEE10hipError_tPvRmT1_PNSt15iterator_traitsISY_E10value_typeET2_T3_PNSZ_IS14_E10value_typeET4_jRbjT5_S1A_jjP12ihipStream_tbEUljE_EEESV_SW_SX_S14_S18_S1A_T6_T7_T9_mT8_S1C_bDpT10_ENKUlT_T0_E_clISt17integral_constantIbLb1EES1P_EEDaS1K_S1L_EUlS1K_E_NS1_11comp_targetILNS1_3genE5ELNS1_11target_archE942ELNS1_3gpuE9ELNS1_3repE0EEENS1_30default_config_static_selectorELNS0_4arch9wavefront6targetE1EEEvSY_: ; @_ZN7rocprim17ROCPRIM_400000_NS6detail17trampoline_kernelINS0_13select_configILj256ELj13ELNS0_17block_load_methodE3ELS4_3ELS4_3ELNS0_20block_scan_algorithmE0ELj4294967295EEENS1_25partition_config_selectorILNS1_17partition_subalgoE3EjNS0_10empty_typeEbEEZZNS1_14partition_implILS8_3ELb0ES6_jNS0_17counting_iteratorIjlEEPS9_SE_NS0_5tupleIJPjSE_EEENSF_IJSE_SE_EEES9_SG_JZNS1_25segmented_radix_sort_implINS0_14default_configELb0EPKhPhPKlPlN2at6native12_GLOBAL__N_18offset_tEEE10hipError_tPvRmT1_PNSt15iterator_traitsISY_E10value_typeET2_T3_PNSZ_IS14_E10value_typeET4_jRbjT5_S1A_jjP12ihipStream_tbEUljE_EEESV_SW_SX_S14_S18_S1A_T6_T7_T9_mT8_S1C_bDpT10_ENKUlT_T0_E_clISt17integral_constantIbLb1EES1P_EEDaS1K_S1L_EUlS1K_E_NS1_11comp_targetILNS1_3genE5ELNS1_11target_archE942ELNS1_3gpuE9ELNS1_3repE0EEENS1_30default_config_static_selectorELNS0_4arch9wavefront6targetE1EEEvSY_
; %bb.0:
	.section	.rodata,"a",@progbits
	.p2align	6, 0x0
	.amdhsa_kernel _ZN7rocprim17ROCPRIM_400000_NS6detail17trampoline_kernelINS0_13select_configILj256ELj13ELNS0_17block_load_methodE3ELS4_3ELS4_3ELNS0_20block_scan_algorithmE0ELj4294967295EEENS1_25partition_config_selectorILNS1_17partition_subalgoE3EjNS0_10empty_typeEbEEZZNS1_14partition_implILS8_3ELb0ES6_jNS0_17counting_iteratorIjlEEPS9_SE_NS0_5tupleIJPjSE_EEENSF_IJSE_SE_EEES9_SG_JZNS1_25segmented_radix_sort_implINS0_14default_configELb0EPKhPhPKlPlN2at6native12_GLOBAL__N_18offset_tEEE10hipError_tPvRmT1_PNSt15iterator_traitsISY_E10value_typeET2_T3_PNSZ_IS14_E10value_typeET4_jRbjT5_S1A_jjP12ihipStream_tbEUljE_EEESV_SW_SX_S14_S18_S1A_T6_T7_T9_mT8_S1C_bDpT10_ENKUlT_T0_E_clISt17integral_constantIbLb1EES1P_EEDaS1K_S1L_EUlS1K_E_NS1_11comp_targetILNS1_3genE5ELNS1_11target_archE942ELNS1_3gpuE9ELNS1_3repE0EEENS1_30default_config_static_selectorELNS0_4arch9wavefront6targetE1EEEvSY_
		.amdhsa_group_segment_fixed_size 0
		.amdhsa_private_segment_fixed_size 0
		.amdhsa_kernarg_size 152
		.amdhsa_user_sgpr_count 6
		.amdhsa_user_sgpr_private_segment_buffer 1
		.amdhsa_user_sgpr_dispatch_ptr 0
		.amdhsa_user_sgpr_queue_ptr 0
		.amdhsa_user_sgpr_kernarg_segment_ptr 1
		.amdhsa_user_sgpr_dispatch_id 0
		.amdhsa_user_sgpr_flat_scratch_init 0
		.amdhsa_user_sgpr_kernarg_preload_length 0
		.amdhsa_user_sgpr_kernarg_preload_offset 0
		.amdhsa_user_sgpr_private_segment_size 0
		.amdhsa_uses_dynamic_stack 0
		.amdhsa_system_sgpr_private_segment_wavefront_offset 0
		.amdhsa_system_sgpr_workgroup_id_x 1
		.amdhsa_system_sgpr_workgroup_id_y 0
		.amdhsa_system_sgpr_workgroup_id_z 0
		.amdhsa_system_sgpr_workgroup_info 0
		.amdhsa_system_vgpr_workitem_id 0
		.amdhsa_next_free_vgpr 1
		.amdhsa_next_free_sgpr 0
		.amdhsa_accum_offset 4
		.amdhsa_reserve_vcc 0
		.amdhsa_reserve_flat_scratch 0
		.amdhsa_float_round_mode_32 0
		.amdhsa_float_round_mode_16_64 0
		.amdhsa_float_denorm_mode_32 3
		.amdhsa_float_denorm_mode_16_64 3
		.amdhsa_dx10_clamp 1
		.amdhsa_ieee_mode 1
		.amdhsa_fp16_overflow 0
		.amdhsa_tg_split 0
		.amdhsa_exception_fp_ieee_invalid_op 0
		.amdhsa_exception_fp_denorm_src 0
		.amdhsa_exception_fp_ieee_div_zero 0
		.amdhsa_exception_fp_ieee_overflow 0
		.amdhsa_exception_fp_ieee_underflow 0
		.amdhsa_exception_fp_ieee_inexact 0
		.amdhsa_exception_int_div_zero 0
	.end_amdhsa_kernel
	.section	.text._ZN7rocprim17ROCPRIM_400000_NS6detail17trampoline_kernelINS0_13select_configILj256ELj13ELNS0_17block_load_methodE3ELS4_3ELS4_3ELNS0_20block_scan_algorithmE0ELj4294967295EEENS1_25partition_config_selectorILNS1_17partition_subalgoE3EjNS0_10empty_typeEbEEZZNS1_14partition_implILS8_3ELb0ES6_jNS0_17counting_iteratorIjlEEPS9_SE_NS0_5tupleIJPjSE_EEENSF_IJSE_SE_EEES9_SG_JZNS1_25segmented_radix_sort_implINS0_14default_configELb0EPKhPhPKlPlN2at6native12_GLOBAL__N_18offset_tEEE10hipError_tPvRmT1_PNSt15iterator_traitsISY_E10value_typeET2_T3_PNSZ_IS14_E10value_typeET4_jRbjT5_S1A_jjP12ihipStream_tbEUljE_EEESV_SW_SX_S14_S18_S1A_T6_T7_T9_mT8_S1C_bDpT10_ENKUlT_T0_E_clISt17integral_constantIbLb1EES1P_EEDaS1K_S1L_EUlS1K_E_NS1_11comp_targetILNS1_3genE5ELNS1_11target_archE942ELNS1_3gpuE9ELNS1_3repE0EEENS1_30default_config_static_selectorELNS0_4arch9wavefront6targetE1EEEvSY_,"axG",@progbits,_ZN7rocprim17ROCPRIM_400000_NS6detail17trampoline_kernelINS0_13select_configILj256ELj13ELNS0_17block_load_methodE3ELS4_3ELS4_3ELNS0_20block_scan_algorithmE0ELj4294967295EEENS1_25partition_config_selectorILNS1_17partition_subalgoE3EjNS0_10empty_typeEbEEZZNS1_14partition_implILS8_3ELb0ES6_jNS0_17counting_iteratorIjlEEPS9_SE_NS0_5tupleIJPjSE_EEENSF_IJSE_SE_EEES9_SG_JZNS1_25segmented_radix_sort_implINS0_14default_configELb0EPKhPhPKlPlN2at6native12_GLOBAL__N_18offset_tEEE10hipError_tPvRmT1_PNSt15iterator_traitsISY_E10value_typeET2_T3_PNSZ_IS14_E10value_typeET4_jRbjT5_S1A_jjP12ihipStream_tbEUljE_EEESV_SW_SX_S14_S18_S1A_T6_T7_T9_mT8_S1C_bDpT10_ENKUlT_T0_E_clISt17integral_constantIbLb1EES1P_EEDaS1K_S1L_EUlS1K_E_NS1_11comp_targetILNS1_3genE5ELNS1_11target_archE942ELNS1_3gpuE9ELNS1_3repE0EEENS1_30default_config_static_selectorELNS0_4arch9wavefront6targetE1EEEvSY_,comdat
.Lfunc_end163:
	.size	_ZN7rocprim17ROCPRIM_400000_NS6detail17trampoline_kernelINS0_13select_configILj256ELj13ELNS0_17block_load_methodE3ELS4_3ELS4_3ELNS0_20block_scan_algorithmE0ELj4294967295EEENS1_25partition_config_selectorILNS1_17partition_subalgoE3EjNS0_10empty_typeEbEEZZNS1_14partition_implILS8_3ELb0ES6_jNS0_17counting_iteratorIjlEEPS9_SE_NS0_5tupleIJPjSE_EEENSF_IJSE_SE_EEES9_SG_JZNS1_25segmented_radix_sort_implINS0_14default_configELb0EPKhPhPKlPlN2at6native12_GLOBAL__N_18offset_tEEE10hipError_tPvRmT1_PNSt15iterator_traitsISY_E10value_typeET2_T3_PNSZ_IS14_E10value_typeET4_jRbjT5_S1A_jjP12ihipStream_tbEUljE_EEESV_SW_SX_S14_S18_S1A_T6_T7_T9_mT8_S1C_bDpT10_ENKUlT_T0_E_clISt17integral_constantIbLb1EES1P_EEDaS1K_S1L_EUlS1K_E_NS1_11comp_targetILNS1_3genE5ELNS1_11target_archE942ELNS1_3gpuE9ELNS1_3repE0EEENS1_30default_config_static_selectorELNS0_4arch9wavefront6targetE1EEEvSY_, .Lfunc_end163-_ZN7rocprim17ROCPRIM_400000_NS6detail17trampoline_kernelINS0_13select_configILj256ELj13ELNS0_17block_load_methodE3ELS4_3ELS4_3ELNS0_20block_scan_algorithmE0ELj4294967295EEENS1_25partition_config_selectorILNS1_17partition_subalgoE3EjNS0_10empty_typeEbEEZZNS1_14partition_implILS8_3ELb0ES6_jNS0_17counting_iteratorIjlEEPS9_SE_NS0_5tupleIJPjSE_EEENSF_IJSE_SE_EEES9_SG_JZNS1_25segmented_radix_sort_implINS0_14default_configELb0EPKhPhPKlPlN2at6native12_GLOBAL__N_18offset_tEEE10hipError_tPvRmT1_PNSt15iterator_traitsISY_E10value_typeET2_T3_PNSZ_IS14_E10value_typeET4_jRbjT5_S1A_jjP12ihipStream_tbEUljE_EEESV_SW_SX_S14_S18_S1A_T6_T7_T9_mT8_S1C_bDpT10_ENKUlT_T0_E_clISt17integral_constantIbLb1EES1P_EEDaS1K_S1L_EUlS1K_E_NS1_11comp_targetILNS1_3genE5ELNS1_11target_archE942ELNS1_3gpuE9ELNS1_3repE0EEENS1_30default_config_static_selectorELNS0_4arch9wavefront6targetE1EEEvSY_
                                        ; -- End function
	.section	.AMDGPU.csdata,"",@progbits
; Kernel info:
; codeLenInByte = 0
; NumSgprs: 4
; NumVgprs: 0
; NumAgprs: 0
; TotalNumVgprs: 0
; ScratchSize: 0
; MemoryBound: 0
; FloatMode: 240
; IeeeMode: 1
; LDSByteSize: 0 bytes/workgroup (compile time only)
; SGPRBlocks: 0
; VGPRBlocks: 0
; NumSGPRsForWavesPerEU: 4
; NumVGPRsForWavesPerEU: 1
; AccumOffset: 4
; Occupancy: 8
; WaveLimiterHint : 0
; COMPUTE_PGM_RSRC2:SCRATCH_EN: 0
; COMPUTE_PGM_RSRC2:USER_SGPR: 6
; COMPUTE_PGM_RSRC2:TRAP_HANDLER: 0
; COMPUTE_PGM_RSRC2:TGID_X_EN: 1
; COMPUTE_PGM_RSRC2:TGID_Y_EN: 0
; COMPUTE_PGM_RSRC2:TGID_Z_EN: 0
; COMPUTE_PGM_RSRC2:TIDIG_COMP_CNT: 0
; COMPUTE_PGM_RSRC3_GFX90A:ACCUM_OFFSET: 0
; COMPUTE_PGM_RSRC3_GFX90A:TG_SPLIT: 0
	.section	.text._ZN7rocprim17ROCPRIM_400000_NS6detail17trampoline_kernelINS0_13select_configILj256ELj13ELNS0_17block_load_methodE3ELS4_3ELS4_3ELNS0_20block_scan_algorithmE0ELj4294967295EEENS1_25partition_config_selectorILNS1_17partition_subalgoE3EjNS0_10empty_typeEbEEZZNS1_14partition_implILS8_3ELb0ES6_jNS0_17counting_iteratorIjlEEPS9_SE_NS0_5tupleIJPjSE_EEENSF_IJSE_SE_EEES9_SG_JZNS1_25segmented_radix_sort_implINS0_14default_configELb0EPKhPhPKlPlN2at6native12_GLOBAL__N_18offset_tEEE10hipError_tPvRmT1_PNSt15iterator_traitsISY_E10value_typeET2_T3_PNSZ_IS14_E10value_typeET4_jRbjT5_S1A_jjP12ihipStream_tbEUljE_EEESV_SW_SX_S14_S18_S1A_T6_T7_T9_mT8_S1C_bDpT10_ENKUlT_T0_E_clISt17integral_constantIbLb1EES1P_EEDaS1K_S1L_EUlS1K_E_NS1_11comp_targetILNS1_3genE4ELNS1_11target_archE910ELNS1_3gpuE8ELNS1_3repE0EEENS1_30default_config_static_selectorELNS0_4arch9wavefront6targetE1EEEvSY_,"axG",@progbits,_ZN7rocprim17ROCPRIM_400000_NS6detail17trampoline_kernelINS0_13select_configILj256ELj13ELNS0_17block_load_methodE3ELS4_3ELS4_3ELNS0_20block_scan_algorithmE0ELj4294967295EEENS1_25partition_config_selectorILNS1_17partition_subalgoE3EjNS0_10empty_typeEbEEZZNS1_14partition_implILS8_3ELb0ES6_jNS0_17counting_iteratorIjlEEPS9_SE_NS0_5tupleIJPjSE_EEENSF_IJSE_SE_EEES9_SG_JZNS1_25segmented_radix_sort_implINS0_14default_configELb0EPKhPhPKlPlN2at6native12_GLOBAL__N_18offset_tEEE10hipError_tPvRmT1_PNSt15iterator_traitsISY_E10value_typeET2_T3_PNSZ_IS14_E10value_typeET4_jRbjT5_S1A_jjP12ihipStream_tbEUljE_EEESV_SW_SX_S14_S18_S1A_T6_T7_T9_mT8_S1C_bDpT10_ENKUlT_T0_E_clISt17integral_constantIbLb1EES1P_EEDaS1K_S1L_EUlS1K_E_NS1_11comp_targetILNS1_3genE4ELNS1_11target_archE910ELNS1_3gpuE8ELNS1_3repE0EEENS1_30default_config_static_selectorELNS0_4arch9wavefront6targetE1EEEvSY_,comdat
	.globl	_ZN7rocprim17ROCPRIM_400000_NS6detail17trampoline_kernelINS0_13select_configILj256ELj13ELNS0_17block_load_methodE3ELS4_3ELS4_3ELNS0_20block_scan_algorithmE0ELj4294967295EEENS1_25partition_config_selectorILNS1_17partition_subalgoE3EjNS0_10empty_typeEbEEZZNS1_14partition_implILS8_3ELb0ES6_jNS0_17counting_iteratorIjlEEPS9_SE_NS0_5tupleIJPjSE_EEENSF_IJSE_SE_EEES9_SG_JZNS1_25segmented_radix_sort_implINS0_14default_configELb0EPKhPhPKlPlN2at6native12_GLOBAL__N_18offset_tEEE10hipError_tPvRmT1_PNSt15iterator_traitsISY_E10value_typeET2_T3_PNSZ_IS14_E10value_typeET4_jRbjT5_S1A_jjP12ihipStream_tbEUljE_EEESV_SW_SX_S14_S18_S1A_T6_T7_T9_mT8_S1C_bDpT10_ENKUlT_T0_E_clISt17integral_constantIbLb1EES1P_EEDaS1K_S1L_EUlS1K_E_NS1_11comp_targetILNS1_3genE4ELNS1_11target_archE910ELNS1_3gpuE8ELNS1_3repE0EEENS1_30default_config_static_selectorELNS0_4arch9wavefront6targetE1EEEvSY_ ; -- Begin function _ZN7rocprim17ROCPRIM_400000_NS6detail17trampoline_kernelINS0_13select_configILj256ELj13ELNS0_17block_load_methodE3ELS4_3ELS4_3ELNS0_20block_scan_algorithmE0ELj4294967295EEENS1_25partition_config_selectorILNS1_17partition_subalgoE3EjNS0_10empty_typeEbEEZZNS1_14partition_implILS8_3ELb0ES6_jNS0_17counting_iteratorIjlEEPS9_SE_NS0_5tupleIJPjSE_EEENSF_IJSE_SE_EEES9_SG_JZNS1_25segmented_radix_sort_implINS0_14default_configELb0EPKhPhPKlPlN2at6native12_GLOBAL__N_18offset_tEEE10hipError_tPvRmT1_PNSt15iterator_traitsISY_E10value_typeET2_T3_PNSZ_IS14_E10value_typeET4_jRbjT5_S1A_jjP12ihipStream_tbEUljE_EEESV_SW_SX_S14_S18_S1A_T6_T7_T9_mT8_S1C_bDpT10_ENKUlT_T0_E_clISt17integral_constantIbLb1EES1P_EEDaS1K_S1L_EUlS1K_E_NS1_11comp_targetILNS1_3genE4ELNS1_11target_archE910ELNS1_3gpuE8ELNS1_3repE0EEENS1_30default_config_static_selectorELNS0_4arch9wavefront6targetE1EEEvSY_
	.p2align	8
	.type	_ZN7rocprim17ROCPRIM_400000_NS6detail17trampoline_kernelINS0_13select_configILj256ELj13ELNS0_17block_load_methodE3ELS4_3ELS4_3ELNS0_20block_scan_algorithmE0ELj4294967295EEENS1_25partition_config_selectorILNS1_17partition_subalgoE3EjNS0_10empty_typeEbEEZZNS1_14partition_implILS8_3ELb0ES6_jNS0_17counting_iteratorIjlEEPS9_SE_NS0_5tupleIJPjSE_EEENSF_IJSE_SE_EEES9_SG_JZNS1_25segmented_radix_sort_implINS0_14default_configELb0EPKhPhPKlPlN2at6native12_GLOBAL__N_18offset_tEEE10hipError_tPvRmT1_PNSt15iterator_traitsISY_E10value_typeET2_T3_PNSZ_IS14_E10value_typeET4_jRbjT5_S1A_jjP12ihipStream_tbEUljE_EEESV_SW_SX_S14_S18_S1A_T6_T7_T9_mT8_S1C_bDpT10_ENKUlT_T0_E_clISt17integral_constantIbLb1EES1P_EEDaS1K_S1L_EUlS1K_E_NS1_11comp_targetILNS1_3genE4ELNS1_11target_archE910ELNS1_3gpuE8ELNS1_3repE0EEENS1_30default_config_static_selectorELNS0_4arch9wavefront6targetE1EEEvSY_,@function
_ZN7rocprim17ROCPRIM_400000_NS6detail17trampoline_kernelINS0_13select_configILj256ELj13ELNS0_17block_load_methodE3ELS4_3ELS4_3ELNS0_20block_scan_algorithmE0ELj4294967295EEENS1_25partition_config_selectorILNS1_17partition_subalgoE3EjNS0_10empty_typeEbEEZZNS1_14partition_implILS8_3ELb0ES6_jNS0_17counting_iteratorIjlEEPS9_SE_NS0_5tupleIJPjSE_EEENSF_IJSE_SE_EEES9_SG_JZNS1_25segmented_radix_sort_implINS0_14default_configELb0EPKhPhPKlPlN2at6native12_GLOBAL__N_18offset_tEEE10hipError_tPvRmT1_PNSt15iterator_traitsISY_E10value_typeET2_T3_PNSZ_IS14_E10value_typeET4_jRbjT5_S1A_jjP12ihipStream_tbEUljE_EEESV_SW_SX_S14_S18_S1A_T6_T7_T9_mT8_S1C_bDpT10_ENKUlT_T0_E_clISt17integral_constantIbLb1EES1P_EEDaS1K_S1L_EUlS1K_E_NS1_11comp_targetILNS1_3genE4ELNS1_11target_archE910ELNS1_3gpuE8ELNS1_3repE0EEENS1_30default_config_static_selectorELNS0_4arch9wavefront6targetE1EEEvSY_: ; @_ZN7rocprim17ROCPRIM_400000_NS6detail17trampoline_kernelINS0_13select_configILj256ELj13ELNS0_17block_load_methodE3ELS4_3ELS4_3ELNS0_20block_scan_algorithmE0ELj4294967295EEENS1_25partition_config_selectorILNS1_17partition_subalgoE3EjNS0_10empty_typeEbEEZZNS1_14partition_implILS8_3ELb0ES6_jNS0_17counting_iteratorIjlEEPS9_SE_NS0_5tupleIJPjSE_EEENSF_IJSE_SE_EEES9_SG_JZNS1_25segmented_radix_sort_implINS0_14default_configELb0EPKhPhPKlPlN2at6native12_GLOBAL__N_18offset_tEEE10hipError_tPvRmT1_PNSt15iterator_traitsISY_E10value_typeET2_T3_PNSZ_IS14_E10value_typeET4_jRbjT5_S1A_jjP12ihipStream_tbEUljE_EEESV_SW_SX_S14_S18_S1A_T6_T7_T9_mT8_S1C_bDpT10_ENKUlT_T0_E_clISt17integral_constantIbLb1EES1P_EEDaS1K_S1L_EUlS1K_E_NS1_11comp_targetILNS1_3genE4ELNS1_11target_archE910ELNS1_3gpuE8ELNS1_3repE0EEENS1_30default_config_static_selectorELNS0_4arch9wavefront6targetE1EEEvSY_
; %bb.0:
	s_load_dwordx2 s[28:29], s[4:5], 0x10
	s_load_dwordx2 s[24:25], s[4:5], 0x28
	;; [unrolled: 1-line block ×3, first 2 shown]
	s_load_dwordx4 s[20:23], s[4:5], 0x48
	s_load_dword s14, s[4:5], 0x90
	s_load_dwordx2 s[30:31], s[4:5], 0x68
	s_load_dwordx4 s[8:11], s[4:5], 0x80
	v_cmp_eq_u32_e64 s[0:1], 0, v0
	s_and_saveexec_b64 s[2:3], s[0:1]
	s_cbranch_execz .LBB164_4
; %bb.1:
	s_mov_b64 s[12:13], exec
	v_mbcnt_lo_u32_b32 v1, s12, 0
	v_mbcnt_hi_u32_b32 v1, s13, v1
	v_cmp_eq_u32_e32 vcc, 0, v1
                                        ; implicit-def: $vgpr2
	s_and_saveexec_b64 s[6:7], vcc
	s_cbranch_execz .LBB164_3
; %bb.2:
	s_load_dwordx2 s[16:17], s[4:5], 0x78
	s_bcnt1_i32_b64 s12, s[12:13]
	v_mov_b32_e32 v2, 0
	v_mov_b32_e32 v3, s12
	s_waitcnt lgkmcnt(0)
	global_atomic_add v2, v2, v3, s[16:17] glc
.LBB164_3:
	s_or_b64 exec, exec, s[6:7]
	s_waitcnt vmcnt(0)
	v_readfirstlane_b32 s6, v2
	v_add_u32_e32 v1, s6, v1
	v_mov_b32_e32 v2, 0
	ds_write_b32 v2, v1
.LBB164_4:
	s_or_b64 exec, exec, s[2:3]
	v_mov_b32_e32 v1, 0
	s_load_dword s2, s[4:5], 0x8
	s_load_dword s6, s[4:5], 0x70
	s_waitcnt lgkmcnt(0)
	s_barrier
	ds_read_b32 v2, v1
	s_waitcnt lgkmcnt(0)
	s_barrier
	global_load_dwordx2 v[20:21], v1, s[22:23]
	s_add_i32 s7, s2, s28
	s_movk_i32 s2, 0xd00
	s_add_i32 s4, s6, -1
	s_mulk_i32 s6, 0xd00
	v_mul_lo_u32 v1, v2, s2
	s_add_u32 s2, s28, s6
	v_readfirstlane_b32 s40, v2
	s_addc_u32 s3, s29, 0
	s_cmp_eq_u32 s40, s4
	v_pk_mov_b32 v[2:3], s[26:27], s[26:27] op_sel:[0,1]
	s_cselect_b64 s[22:23], -1, 0
	s_cmp_lg_u32 s40, s4
	v_cmp_lt_u64_e32 vcc, s[2:3], v[2:3]
	s_cselect_b64 s[2:3], -1, 0
	s_or_b64 s[4:5], vcc, s[2:3]
	v_add_u32_e32 v2, s7, v1
	s_mov_b64 s[2:3], -1
	s_and_b64 vcc, exec, s[4:5]
	v_add_u32_e32 v2, v2, v0
	v_lshlrev_b32_e32 v34, 2, v0
	s_cbranch_vccz .LBB164_6
; %bb.5:
	v_add_u32_e32 v3, 0x100, v2
	v_add_u32_e32 v4, 0x200, v2
	;; [unrolled: 1-line block ×12, first 2 shown]
	ds_write2st64_b32 v34, v2, v3 offset1:4
	ds_write2st64_b32 v34, v4, v5 offset0:8 offset1:12
	ds_write2st64_b32 v34, v6, v7 offset0:16 offset1:20
	;; [unrolled: 1-line block ×5, first 2 shown]
	ds_write_b32 v34, v14 offset:12288
	s_waitcnt lgkmcnt(0)
	s_barrier
	s_mov_b64 s[2:3], 0
.LBB164_6:
	s_andn2_b64 vcc, exec, s[2:3]
	s_add_i32 s6, s6, s28
	s_cbranch_vccnz .LBB164_8
; %bb.7:
	v_add_u32_e32 v3, 0x100, v2
	v_add_u32_e32 v4, 0x200, v2
	;; [unrolled: 1-line block ×12, first 2 shown]
	ds_write2st64_b32 v34, v2, v3 offset1:4
	ds_write2st64_b32 v34, v4, v5 offset0:8 offset1:12
	ds_write2st64_b32 v34, v6, v7 offset0:16 offset1:20
	;; [unrolled: 1-line block ×5, first 2 shown]
	ds_write_b32 v34, v14 offset:12288
	s_waitcnt lgkmcnt(0)
	s_barrier
.LBB164_8:
	v_mul_u32_u24_e32 v36, 13, v0
	v_lshlrev_b32_e32 v2, 2, v36
	ds_read2_b32 v[32:33], v2 offset1:1
	ds_read2_b32 v[30:31], v2 offset0:2 offset1:3
	ds_read2_b32 v[28:29], v2 offset0:4 offset1:5
	;; [unrolled: 1-line block ×5, first 2 shown]
	ds_read_b32 v35, v2 offset:48
	v_cndmask_b32_e64 v2, 0, 1, s[4:5]
	s_sub_i32 s33, s26, s6
	v_cmp_ne_u32_e64 s[2:3], 1, v2
	s_andn2_b64 vcc, exec, s[4:5]
	s_waitcnt lgkmcnt(0)
	s_barrier
	s_cbranch_vccnz .LBB164_10
; %bb.9:
	v_add_u32_e32 v2, s9, v32
	v_add_u32_e32 v3, s11, v32
	v_mul_lo_u32 v2, v2, s8
	v_mul_lo_u32 v3, v3, s10
	v_sub_u32_e32 v2, v2, v3
	v_add_u32_e32 v3, s9, v33
	v_add_u32_e32 v4, s11, v33
	v_mul_lo_u32 v3, v3, s8
	v_mul_lo_u32 v4, v4, s10
	v_sub_u32_e32 v3, v3, v4
	;; [unrolled: 5-line block ×6, first 2 shown]
	v_add_u32_e32 v8, s9, v26
	v_add_u32_e32 v9, s11, v26
	v_mul_lo_u32 v8, v8, s8
	v_mul_lo_u32 v9, v9, s10
	v_cmp_lt_u32_e32 vcc, s14, v2
	v_sub_u32_e32 v8, v8, v9
	v_add_u32_e32 v9, s9, v27
	v_add_u32_e32 v10, s11, v27
	v_cndmask_b32_e64 v2, 0, 1, vcc
	v_cmp_lt_u32_e32 vcc, s14, v3
	v_mul_lo_u32 v9, v9, s8
	v_mul_lo_u32 v10, v10, s10
	v_cndmask_b32_e64 v3, 0, 1, vcc
	v_cmp_lt_u32_e32 vcc, s14, v4
	v_sub_u32_e32 v9, v9, v10
	v_add_u32_e32 v10, s9, v24
	v_add_u32_e32 v11, s11, v24
	v_cndmask_b32_e64 v4, 0, 1, vcc
	v_cmp_lt_u32_e32 vcc, s14, v5
	v_mul_lo_u32 v10, v10, s8
	v_mul_lo_u32 v11, v11, s10
	v_cndmask_b32_e64 v5, 0, 1, vcc
	;; [unrolled: 9-line block ×4, first 2 shown]
	v_cmp_lt_u32_e32 vcc, s14, v10
	v_sub_u32_e32 v12, v12, v13
	v_add_u32_e32 v13, s9, v23
	v_add_u32_e32 v14, s11, v23
	v_lshlrev_b16_e32 v3, 8, v3
	v_cndmask_b32_e64 v10, 0, 1, vcc
	v_cmp_lt_u32_e32 vcc, s14, v11
	v_mul_lo_u32 v13, v13, s8
	v_mul_lo_u32 v14, v14, s10
	v_or_b32_e32 v2, v2, v3
	v_lshlrev_b16_e32 v3, 8, v5
	v_cndmask_b32_e64 v11, 0, 1, vcc
	v_cmp_lt_u32_e32 vcc, s14, v12
	v_sub_u32_e32 v13, v13, v14
	v_or_b32_sdwa v3, v4, v3 dst_sel:WORD_1 dst_unused:UNUSED_PAD src0_sel:DWORD src1_sel:DWORD
	v_cndmask_b32_e64 v12, 0, 1, vcc
	v_cmp_lt_u32_e32 vcc, s14, v13
	v_add_u32_e32 v14, s9, v35
	v_add_u32_e32 v15, s11, v35
	v_or_b32_sdwa v40, v2, v3 dst_sel:DWORD dst_unused:UNUSED_PAD src0_sel:WORD_0 src1_sel:DWORD
	v_lshlrev_b16_e32 v2, 8, v7
	v_lshlrev_b16_e32 v3, 8, v9
	v_cndmask_b32_e64 v13, 0, 1, vcc
	v_mul_lo_u32 v14, v14, s8
	v_mul_lo_u32 v15, v15, s10
	v_or_b32_e32 v2, v6, v2
	v_or_b32_sdwa v3, v8, v3 dst_sel:WORD_1 dst_unused:UNUSED_PAD src0_sel:DWORD src1_sel:DWORD
	v_sub_u32_e32 v14, v14, v15
	v_or_b32_sdwa v39, v2, v3 dst_sel:DWORD dst_unused:UNUSED_PAD src0_sel:WORD_0 src1_sel:DWORD
	v_lshlrev_b16_e32 v2, 8, v11
	v_lshlrev_b16_e32 v3, 8, v13
	v_cmp_lt_u32_e32 vcc, s14, v14
	v_or_b32_e32 v2, v10, v2
	v_or_b32_sdwa v3, v12, v3 dst_sel:WORD_1 dst_unused:UNUSED_PAD src0_sel:DWORD src1_sel:DWORD
	v_cndmask_b32_e64 v37, 0, 1, vcc
	v_or_b32_sdwa v38, v2, v3 dst_sel:DWORD dst_unused:UNUSED_PAD src0_sel:WORD_0 src1_sel:DWORD
	s_addk_i32 s33, 0xd00
	s_cbranch_execz .LBB164_11
	s_branch .LBB164_38
.LBB164_10:
                                        ; implicit-def: $vgpr37
                                        ; implicit-def: $vgpr38
                                        ; implicit-def: $vgpr39
                                        ; implicit-def: $vgpr40
	s_addk_i32 s33, 0xd00
.LBB164_11:
	v_cmp_gt_u32_e32 vcc, s33, v36
	v_mov_b32_e32 v3, 0
	v_mov_b32_e32 v2, 0
	s_and_saveexec_b64 s[4:5], vcc
; %bb.12:
	v_add_u32_e32 v2, s9, v32
	v_add_u32_e32 v4, s11, v32
	v_mul_lo_u32 v2, v2, s8
	v_mul_lo_u32 v4, v4, s10
	v_sub_u32_e32 v2, v2, v4
	v_cmp_lt_u32_e32 vcc, s14, v2
	v_cndmask_b32_e64 v2, 0, 1, vcc
; %bb.13:
	s_or_b64 exec, exec, s[4:5]
	v_add_u32_e32 v4, 1, v36
	v_cmp_gt_u32_e32 vcc, s33, v4
	s_and_saveexec_b64 s[4:5], vcc
; %bb.14:
	v_add_u32_e32 v3, s9, v33
	v_add_u32_e32 v4, s11, v33
	v_mul_lo_u32 v3, v3, s8
	v_mul_lo_u32 v4, v4, s10
	v_sub_u32_e32 v3, v3, v4
	v_cmp_lt_u32_e32 vcc, s14, v3
	v_cndmask_b32_e64 v3, 0, 1, vcc
; %bb.15:
	s_or_b64 exec, exec, s[4:5]
	v_add_u32_e32 v4, 2, v36
	v_cmp_gt_u32_e32 vcc, s33, v4
	v_mov_b32_e32 v5, 0
	v_mov_b32_e32 v4, 0
	s_and_saveexec_b64 s[4:5], vcc
; %bb.16:
	v_add_u32_e32 v4, s9, v30
	v_add_u32_e32 v6, s11, v30
	v_mul_lo_u32 v4, v4, s8
	v_mul_lo_u32 v6, v6, s10
	v_sub_u32_e32 v4, v4, v6
	v_cmp_lt_u32_e32 vcc, s14, v4
	v_cndmask_b32_e64 v4, 0, 1, vcc
; %bb.17:
	s_or_b64 exec, exec, s[4:5]
	v_add_u32_e32 v6, 3, v36
	v_cmp_gt_u32_e32 vcc, s33, v6
	s_and_saveexec_b64 s[4:5], vcc
; %bb.18:
	v_add_u32_e32 v5, s9, v31
	v_add_u32_e32 v6, s11, v31
	v_mul_lo_u32 v5, v5, s8
	v_mul_lo_u32 v6, v6, s10
	v_sub_u32_e32 v5, v5, v6
	v_cmp_lt_u32_e32 vcc, s14, v5
	v_cndmask_b32_e64 v5, 0, 1, vcc
; %bb.19:
	s_or_b64 exec, exec, s[4:5]
	v_add_u32_e32 v6, 4, v36
	;; [unrolled: 28-line block ×6, first 2 shown]
	v_cmp_gt_u32_e32 vcc, s33, v14
	v_mov_b32_e32 v37, 0
	s_and_saveexec_b64 s[4:5], vcc
; %bb.36:
	v_add_u32_e32 v14, s9, v35
	v_add_u32_e32 v15, s11, v35
	v_mul_lo_u32 v14, v14, s8
	v_mul_lo_u32 v15, v15, s10
	v_sub_u32_e32 v14, v14, v15
	v_cmp_lt_u32_e32 vcc, s14, v14
	v_cndmask_b32_e64 v37, 0, 1, vcc
; %bb.37:
	s_or_b64 exec, exec, s[4:5]
	v_lshlrev_b16_e32 v3, 8, v3
	v_or_b32_e32 v2, v2, v3
	v_lshlrev_b16_e32 v3, 8, v5
	v_or_b32_sdwa v3, v4, v3 dst_sel:WORD_1 dst_unused:UNUSED_PAD src0_sel:DWORD src1_sel:DWORD
	v_or_b32_sdwa v40, v2, v3 dst_sel:DWORD dst_unused:UNUSED_PAD src0_sel:WORD_0 src1_sel:DWORD
	v_lshlrev_b16_e32 v2, 8, v7
	v_lshlrev_b16_e32 v3, 8, v9
	v_or_b32_e32 v2, v6, v2
	v_or_b32_sdwa v3, v8, v3 dst_sel:WORD_1 dst_unused:UNUSED_PAD src0_sel:DWORD src1_sel:DWORD
	v_or_b32_sdwa v39, v2, v3 dst_sel:DWORD dst_unused:UNUSED_PAD src0_sel:WORD_0 src1_sel:DWORD
	v_lshlrev_b16_e32 v2, 8, v11
	v_lshlrev_b16_e32 v3, 8, v13
	v_or_b32_e32 v2, v10, v2
	v_or_b32_sdwa v3, v12, v3 dst_sel:WORD_1 dst_unused:UNUSED_PAD src0_sel:DWORD src1_sel:DWORD
	v_or_b32_sdwa v38, v2, v3 dst_sel:DWORD dst_unused:UNUSED_PAD src0_sel:WORD_0 src1_sel:DWORD
.LBB164_38:
	v_and_b32_e32 v44, 0xff, v40
	v_bfe_u32 v45, v40, 8, 8
	v_bfe_u32 v46, v40, 16, 8
	v_lshrrev_b32_e32 v43, 24, v40
	v_and_b32_e32 v47, 0xff, v39
	v_add3_u32 v3, v45, v44, v46
	v_bfe_u32 v48, v39, 8, 8
	v_bfe_u32 v49, v39, 16, 8
	v_add3_u32 v3, v3, v43, v47
	v_lshrrev_b32_e32 v42, 24, v39
	v_and_b32_e32 v50, 0xff, v38
	v_add3_u32 v3, v3, v48, v49
	v_bfe_u32 v51, v38, 8, 8
	v_bfe_u32 v52, v38, 16, 8
	v_add3_u32 v3, v3, v42, v50
	v_lshrrev_b32_e32 v41, 24, v38
	v_and_b32_e32 v2, 0xff, v37
	v_add3_u32 v3, v3, v51, v52
	v_add3_u32 v55, v3, v41, v2
	v_mbcnt_lo_u32_b32 v2, -1, 0
	v_mbcnt_hi_u32_b32 v53, -1, v2
	v_and_b32_e32 v2, 15, v53
	v_cmp_eq_u32_e64 s[16:17], 0, v2
	v_cmp_lt_u32_e64 s[14:15], 1, v2
	v_cmp_lt_u32_e64 s[12:13], 3, v2
	;; [unrolled: 1-line block ×3, first 2 shown]
	v_and_b32_e32 v2, 16, v53
	v_cmp_eq_u32_e64 s[8:9], 0, v2
	v_or_b32_e32 v2, 63, v0
	s_cmp_lg_u32 s40, 0
	v_cmp_lt_u32_e64 s[4:5], 31, v53
	v_lshrrev_b32_e32 v54, 6, v0
	v_cmp_eq_u32_e64 s[6:7], v2, v0
	s_cbranch_scc0 .LBB164_69
; %bb.39:
	v_mov_b32_dpp v2, v55 row_shr:1 row_mask:0xf bank_mask:0xf
	v_cndmask_b32_e64 v2, v2, 0, s[16:17]
	v_add_u32_e32 v2, v2, v55
	s_nop 1
	v_mov_b32_dpp v3, v2 row_shr:2 row_mask:0xf bank_mask:0xf
	v_cndmask_b32_e64 v3, 0, v3, s[14:15]
	v_add_u32_e32 v2, v2, v3
	s_nop 1
	;; [unrolled: 4-line block ×4, first 2 shown]
	v_mov_b32_dpp v3, v2 row_bcast:15 row_mask:0xf bank_mask:0xf
	v_cndmask_b32_e64 v3, v3, 0, s[8:9]
	v_add_u32_e32 v2, v2, v3
	s_nop 1
	v_mov_b32_dpp v3, v2 row_bcast:31 row_mask:0xf bank_mask:0xf
	v_cndmask_b32_e64 v3, 0, v3, s[4:5]
	v_add_u32_e32 v2, v2, v3
	s_and_saveexec_b64 s[18:19], s[6:7]
	s_cbranch_execz .LBB164_41
; %bb.40:
	v_lshlrev_b32_e32 v3, 2, v54
	ds_write_b32 v3, v2
.LBB164_41:
	s_or_b64 exec, exec, s[18:19]
	v_cmp_gt_u32_e32 vcc, 4, v0
	s_waitcnt lgkmcnt(0)
	s_barrier
	s_and_saveexec_b64 s[18:19], vcc
	s_cbranch_execz .LBB164_43
; %bb.42:
	ds_read_b32 v3, v34
	v_and_b32_e32 v4, 3, v53
	v_cmp_ne_u32_e32 vcc, 0, v4
	s_waitcnt lgkmcnt(0)
	v_mov_b32_dpp v5, v3 row_shr:1 row_mask:0xf bank_mask:0xf
	v_cndmask_b32_e32 v5, 0, v5, vcc
	v_add_u32_e32 v3, v5, v3
	v_cmp_lt_u32_e32 vcc, 1, v4
	s_nop 0
	v_mov_b32_dpp v5, v3 row_shr:2 row_mask:0xf bank_mask:0xf
	v_cndmask_b32_e32 v4, 0, v5, vcc
	v_add_u32_e32 v3, v3, v4
	ds_write_b32 v34, v3
.LBB164_43:
	s_or_b64 exec, exec, s[18:19]
	v_cmp_gt_u32_e32 vcc, 64, v0
	v_cmp_lt_u32_e64 s[18:19], 63, v0
	s_waitcnt lgkmcnt(0)
	s_barrier
	s_waitcnt lgkmcnt(0)
                                        ; implicit-def: $vgpr12
	s_and_saveexec_b64 s[34:35], s[18:19]
	s_cbranch_execz .LBB164_45
; %bb.44:
	v_lshl_add_u32 v3, v54, 2, -4
	ds_read_b32 v12, v3
	s_waitcnt lgkmcnt(0)
	v_add_u32_e32 v2, v12, v2
.LBB164_45:
	s_or_b64 exec, exec, s[34:35]
	v_add_u32_e32 v3, -1, v53
	v_and_b32_e32 v4, 64, v53
	v_cmp_lt_i32_e64 s[18:19], v3, v4
	v_cndmask_b32_e64 v3, v3, v53, s[18:19]
	v_lshlrev_b32_e32 v3, 2, v3
	ds_bpermute_b32 v13, v3, v2
	v_cmp_eq_u32_e64 s[18:19], 0, v53
	s_and_saveexec_b64 s[34:35], vcc
	s_cbranch_execz .LBB164_68
; %bb.46:
	v_mov_b32_e32 v11, 0
	ds_read_b32 v2, v11 offset:12
	s_and_saveexec_b64 s[36:37], s[18:19]
	s_cbranch_execz .LBB164_48
; %bb.47:
	s_add_i32 s38, s40, 64
	s_mov_b32 s39, 0
	s_lshl_b64 s[38:39], s[38:39], 3
	s_add_u32 s38, s30, s38
	v_mov_b32_e32 v3, 1
	s_addc_u32 s39, s31, s39
	s_waitcnt lgkmcnt(0)
	global_store_dwordx2 v11, v[2:3], s[38:39]
.LBB164_48:
	s_or_b64 exec, exec, s[36:37]
	v_xad_u32 v4, v53, -1, s40
	v_add_u32_e32 v10, 64, v4
	v_lshlrev_b64 v[6:7], 3, v[10:11]
	v_mov_b32_e32 v3, s31
	v_add_co_u32_e32 v6, vcc, s30, v6
	v_addc_co_u32_e32 v7, vcc, v3, v7, vcc
	global_load_dwordx2 v[8:9], v[6:7], off glc
	s_waitcnt vmcnt(0)
	v_cmp_eq_u16_sdwa s[38:39], v9, v11 src0_sel:BYTE_0 src1_sel:DWORD
	s_and_saveexec_b64 s[36:37], s[38:39]
	s_cbranch_execz .LBB164_54
; %bb.49:
	s_mov_b32 s41, 1
	s_mov_b64 s[38:39], 0
	v_mov_b32_e32 v3, 0
.LBB164_50:                             ; =>This Loop Header: Depth=1
                                        ;     Child Loop BB164_51 Depth 2
	s_max_u32 s42, s41, 1
.LBB164_51:                             ;   Parent Loop BB164_50 Depth=1
                                        ; =>  This Inner Loop Header: Depth=2
	s_add_i32 s42, s42, -1
	s_cmp_eq_u32 s42, 0
	s_sleep 1
	s_cbranch_scc0 .LBB164_51
; %bb.52:                               ;   in Loop: Header=BB164_50 Depth=1
	global_load_dwordx2 v[8:9], v[6:7], off glc
	s_cmp_lt_u32 s41, 32
	s_cselect_b64 s[42:43], -1, 0
	s_cmp_lg_u64 s[42:43], 0
	s_addc_u32 s41, s41, 0
	s_waitcnt vmcnt(0)
	v_cmp_ne_u16_sdwa s[42:43], v9, v3 src0_sel:BYTE_0 src1_sel:DWORD
	s_or_b64 s[38:39], s[42:43], s[38:39]
	s_andn2_b64 exec, exec, s[38:39]
	s_cbranch_execnz .LBB164_50
; %bb.53:
	s_or_b64 exec, exec, s[38:39]
.LBB164_54:
	s_or_b64 exec, exec, s[36:37]
	v_and_b32_e32 v14, 63, v53
	v_mov_b32_e32 v3, 2
	v_cmp_ne_u32_e32 vcc, 63, v14
	v_cmp_eq_u16_sdwa s[36:37], v9, v3 src0_sel:BYTE_0 src1_sel:DWORD
	v_lshlrev_b64 v[6:7], v53, -1
	v_addc_co_u32_e32 v11, vcc, 0, v53, vcc
	v_and_b32_e32 v5, s37, v7
	v_lshlrev_b32_e32 v15, 2, v11
	v_or_b32_e32 v5, 0x80000000, v5
	ds_bpermute_b32 v11, v15, v8
	v_and_b32_e32 v10, s36, v6
	v_ffbl_b32_e32 v5, v5
	v_add_u32_e32 v5, 32, v5
	v_ffbl_b32_e32 v10, v10
	v_min_u32_e32 v5, v10, v5
	v_cmp_lt_u32_e32 vcc, v14, v5
	s_waitcnt lgkmcnt(0)
	v_cndmask_b32_e32 v10, 0, v11, vcc
	v_cmp_gt_u32_e32 vcc, 62, v14
	v_add_u32_e32 v8, v10, v8
	v_cndmask_b32_e64 v10, 0, 1, vcc
	v_lshlrev_b32_e32 v10, 1, v10
	v_add_lshl_u32 v16, v10, v53, 2
	ds_bpermute_b32 v10, v16, v8
	v_add_u32_e32 v17, 2, v14
	v_cmp_le_u32_e32 vcc, v17, v5
	v_add_u32_e32 v19, 4, v14
	v_add_u32_e32 v57, 8, v14
	s_waitcnt lgkmcnt(0)
	v_cndmask_b32_e32 v10, 0, v10, vcc
	v_cmp_gt_u32_e32 vcc, 60, v14
	v_add_u32_e32 v8, v8, v10
	v_cndmask_b32_e64 v10, 0, 1, vcc
	v_lshlrev_b32_e32 v10, 2, v10
	v_add_lshl_u32 v18, v10, v53, 2
	ds_bpermute_b32 v10, v18, v8
	v_cmp_le_u32_e32 vcc, v19, v5
	v_add_u32_e32 v60, 16, v14
	v_add_u32_e32 v62, 32, v14
	s_waitcnt lgkmcnt(0)
	v_cndmask_b32_e32 v10, 0, v10, vcc
	v_cmp_gt_u32_e32 vcc, 56, v14
	v_add_u32_e32 v8, v8, v10
	v_cndmask_b32_e64 v10, 0, 1, vcc
	v_lshlrev_b32_e32 v10, 3, v10
	v_add_lshl_u32 v56, v10, v53, 2
	ds_bpermute_b32 v10, v56, v8
	v_cmp_le_u32_e32 vcc, v57, v5
	s_waitcnt lgkmcnt(0)
	v_cndmask_b32_e32 v10, 0, v10, vcc
	v_cmp_gt_u32_e32 vcc, 48, v14
	v_add_u32_e32 v8, v8, v10
	v_cndmask_b32_e64 v10, 0, 1, vcc
	v_lshlrev_b32_e32 v10, 4, v10
	v_add_lshl_u32 v59, v10, v53, 2
	ds_bpermute_b32 v10, v59, v8
	v_cmp_le_u32_e32 vcc, v60, v5
	;; [unrolled: 9-line block ×3, first 2 shown]
	s_waitcnt lgkmcnt(0)
	v_cndmask_b32_e32 v5, 0, v10, vcc
	v_add_u32_e32 v8, v8, v5
	v_mov_b32_e32 v5, 0
	s_branch .LBB164_56
.LBB164_55:                             ;   in Loop: Header=BB164_56 Depth=1
	s_or_b64 exec, exec, s[36:37]
	v_cmp_eq_u16_sdwa s[36:37], v9, v3 src0_sel:BYTE_0 src1_sel:DWORD
	v_and_b32_e32 v10, s37, v7
	v_or_b32_e32 v10, 0x80000000, v10
	ds_bpermute_b32 v63, v15, v8
	v_and_b32_e32 v11, s36, v6
	v_ffbl_b32_e32 v10, v10
	v_add_u32_e32 v10, 32, v10
	v_ffbl_b32_e32 v11, v11
	v_min_u32_e32 v10, v11, v10
	v_cmp_lt_u32_e32 vcc, v14, v10
	s_waitcnt lgkmcnt(0)
	v_cndmask_b32_e32 v11, 0, v63, vcc
	v_add_u32_e32 v8, v11, v8
	ds_bpermute_b32 v11, v16, v8
	v_cmp_le_u32_e32 vcc, v17, v10
	v_subrev_u32_e32 v4, 64, v4
	s_waitcnt lgkmcnt(0)
	v_cndmask_b32_e32 v11, 0, v11, vcc
	v_add_u32_e32 v8, v8, v11
	ds_bpermute_b32 v11, v18, v8
	v_cmp_le_u32_e32 vcc, v19, v10
	s_waitcnt lgkmcnt(0)
	v_cndmask_b32_e32 v11, 0, v11, vcc
	v_add_u32_e32 v8, v8, v11
	ds_bpermute_b32 v11, v56, v8
	v_cmp_le_u32_e32 vcc, v57, v10
	;; [unrolled: 5-line block ×4, first 2 shown]
	s_waitcnt lgkmcnt(0)
	v_cndmask_b32_e32 v10, 0, v11, vcc
	v_add3_u32 v8, v10, v58, v8
.LBB164_56:                             ; =>This Loop Header: Depth=1
                                        ;     Child Loop BB164_59 Depth 2
                                        ;       Child Loop BB164_60 Depth 3
	v_cmp_ne_u16_sdwa s[36:37], v9, v3 src0_sel:BYTE_0 src1_sel:DWORD
	v_cndmask_b32_e64 v9, 0, 1, s[36:37]
	;;#ASMSTART
	;;#ASMEND
	v_cmp_ne_u32_e32 vcc, 0, v9
	s_cmp_lg_u64 vcc, exec
	v_mov_b32_e32 v58, v8
	s_cbranch_scc1 .LBB164_63
; %bb.57:                               ;   in Loop: Header=BB164_56 Depth=1
	v_lshlrev_b64 v[8:9], 3, v[4:5]
	v_mov_b32_e32 v11, s31
	v_add_co_u32_e32 v10, vcc, s30, v8
	v_addc_co_u32_e32 v11, vcc, v11, v9, vcc
	global_load_dwordx2 v[8:9], v[10:11], off glc
	s_waitcnt vmcnt(0)
	v_cmp_eq_u16_sdwa s[38:39], v9, v5 src0_sel:BYTE_0 src1_sel:DWORD
	s_and_saveexec_b64 s[36:37], s[38:39]
	s_cbranch_execz .LBB164_55
; %bb.58:                               ;   in Loop: Header=BB164_56 Depth=1
	s_mov_b32 s41, 1
	s_mov_b64 s[38:39], 0
.LBB164_59:                             ;   Parent Loop BB164_56 Depth=1
                                        ; =>  This Loop Header: Depth=2
                                        ;       Child Loop BB164_60 Depth 3
	s_max_u32 s42, s41, 1
.LBB164_60:                             ;   Parent Loop BB164_56 Depth=1
                                        ;     Parent Loop BB164_59 Depth=2
                                        ; =>    This Inner Loop Header: Depth=3
	s_add_i32 s42, s42, -1
	s_cmp_eq_u32 s42, 0
	s_sleep 1
	s_cbranch_scc0 .LBB164_60
; %bb.61:                               ;   in Loop: Header=BB164_59 Depth=2
	global_load_dwordx2 v[8:9], v[10:11], off glc
	s_cmp_lt_u32 s41, 32
	s_cselect_b64 s[42:43], -1, 0
	s_cmp_lg_u64 s[42:43], 0
	s_addc_u32 s41, s41, 0
	s_waitcnt vmcnt(0)
	v_cmp_ne_u16_sdwa s[42:43], v9, v5 src0_sel:BYTE_0 src1_sel:DWORD
	s_or_b64 s[38:39], s[42:43], s[38:39]
	s_andn2_b64 exec, exec, s[38:39]
	s_cbranch_execnz .LBB164_59
; %bb.62:                               ;   in Loop: Header=BB164_56 Depth=1
	s_or_b64 exec, exec, s[38:39]
	s_branch .LBB164_55
.LBB164_63:                             ;   in Loop: Header=BB164_56 Depth=1
                                        ; implicit-def: $vgpr8
                                        ; implicit-def: $vgpr9
	s_cbranch_execz .LBB164_56
; %bb.64:
	s_and_saveexec_b64 s[36:37], s[18:19]
	s_cbranch_execz .LBB164_66
; %bb.65:
	s_add_i32 s38, s40, 64
	s_mov_b32 s39, 0
	s_lshl_b64 s[38:39], s[38:39], 3
	s_add_u32 s38, s30, s38
	v_add_u32_e32 v4, v58, v2
	v_mov_b32_e32 v5, 2
	s_addc_u32 s39, s31, s39
	v_mov_b32_e32 v3, 0
	global_store_dwordx2 v3, v[4:5], s[38:39]
	s_movk_i32 s38, 0x3400
	v_add_u32_e64 v3, s38, 0
	ds_write2_b32 v3, v2, v58 offset1:2
.LBB164_66:
	s_or_b64 exec, exec, s[36:37]
	s_and_b64 exec, exec, s[0:1]
	s_cbranch_execz .LBB164_68
; %bb.67:
	v_mov_b32_e32 v2, 0
	ds_write_b32 v2, v58 offset:12
.LBB164_68:
	s_or_b64 exec, exec, s[34:35]
	v_mov_b32_e32 v2, 0
	s_waitcnt lgkmcnt(0)
	s_barrier
	ds_read_b32 v2, v2 offset:12
	v_cndmask_b32_e64 v3, v13, v12, s[18:19]
	v_cndmask_b32_e64 v3, v3, 0, s[0:1]
	s_movk_i32 s18, 0x3400
	v_add_u32_e64 v12, s18, 0
	s_waitcnt lgkmcnt(0)
	v_add_u32_e32 v2, v2, v3
	v_add_u32_e32 v3, v2, v44
	;; [unrolled: 1-line block ×9, first 2 shown]
	s_barrier
	ds_read2_b32 v[18:19], v12 offset1:2
	v_add_u32_e32 v11, v10, v50
	v_add_u32_e32 v12, v11, v51
	v_add_u32_e32 v13, v12, v52
	v_add_u32_e32 v14, v13, v41
	s_branch .LBB164_79
.LBB164_69:
                                        ; implicit-def: $vgpr19
                                        ; implicit-def: $vgpr2_vgpr3_vgpr4_vgpr5_vgpr6_vgpr7_vgpr8_vgpr9_vgpr10_vgpr11_vgpr12_vgpr13_vgpr14_vgpr15_vgpr16_vgpr17
	s_cbranch_execz .LBB164_79
; %bb.70:
	s_nop 0
	v_mov_b32_dpp v2, v55 row_shr:1 row_mask:0xf bank_mask:0xf
	v_cndmask_b32_e64 v2, v2, 0, s[16:17]
	v_add_u32_e32 v2, v2, v55
	s_nop 1
	v_mov_b32_dpp v3, v2 row_shr:2 row_mask:0xf bank_mask:0xf
	v_cndmask_b32_e64 v3, 0, v3, s[14:15]
	v_add_u32_e32 v2, v2, v3
	;; [unrolled: 4-line block ×4, first 2 shown]
	s_nop 1
	v_mov_b32_dpp v3, v2 row_bcast:15 row_mask:0xf bank_mask:0xf
	v_cndmask_b32_e64 v3, v3, 0, s[8:9]
	v_add_u32_e32 v2, v2, v3
	s_nop 1
	v_mov_b32_dpp v3, v2 row_bcast:31 row_mask:0xf bank_mask:0xf
	v_cndmask_b32_e64 v3, 0, v3, s[4:5]
	v_add_u32_e32 v2, v2, v3
	s_and_saveexec_b64 s[4:5], s[6:7]
	s_cbranch_execz .LBB164_72
; %bb.71:
	v_lshlrev_b32_e32 v3, 2, v54
	ds_write_b32 v3, v2
.LBB164_72:
	s_or_b64 exec, exec, s[4:5]
	v_cmp_gt_u32_e32 vcc, 4, v0
	s_waitcnt lgkmcnt(0)
	s_barrier
	s_and_saveexec_b64 s[4:5], vcc
	s_cbranch_execz .LBB164_74
; %bb.73:
	ds_read_b32 v3, v34
	v_and_b32_e32 v4, 3, v53
	v_cmp_ne_u32_e32 vcc, 0, v4
	s_waitcnt lgkmcnt(0)
	v_mov_b32_dpp v5, v3 row_shr:1 row_mask:0xf bank_mask:0xf
	v_cndmask_b32_e32 v5, 0, v5, vcc
	v_add_u32_e32 v3, v5, v3
	v_cmp_lt_u32_e32 vcc, 1, v4
	s_nop 0
	v_mov_b32_dpp v5, v3 row_shr:2 row_mask:0xf bank_mask:0xf
	v_cndmask_b32_e32 v4, 0, v5, vcc
	v_add_u32_e32 v3, v3, v4
	ds_write_b32 v34, v3
.LBB164_74:
	s_or_b64 exec, exec, s[4:5]
	v_cmp_lt_u32_e32 vcc, 63, v0
	v_mov_b32_e32 v4, 0
	v_mov_b32_e32 v3, 0
	s_waitcnt lgkmcnt(0)
	s_barrier
	s_and_saveexec_b64 s[4:5], vcc
	s_cbranch_execz .LBB164_76
; %bb.75:
	v_lshl_add_u32 v3, v54, 2, -4
	ds_read_b32 v3, v3
.LBB164_76:
	s_or_b64 exec, exec, s[4:5]
	v_add_u32_e32 v5, -1, v53
	v_and_b32_e32 v6, 64, v53
	v_cmp_lt_i32_e32 vcc, v5, v6
	v_cndmask_b32_e32 v5, v5, v53, vcc
	s_waitcnt lgkmcnt(0)
	v_add_u32_e32 v2, v3, v2
	v_lshlrev_b32_e32 v5, 2, v5
	ds_bpermute_b32 v2, v5, v2
	ds_read_b32 v18, v4 offset:12
	s_and_saveexec_b64 s[4:5], s[0:1]
	s_cbranch_execz .LBB164_78
; %bb.77:
	v_mov_b32_e32 v4, 0
	v_mov_b32_e32 v19, 2
	s_waitcnt lgkmcnt(0)
	global_store_dwordx2 v4, v[18:19], s[30:31] offset:512
.LBB164_78:
	s_or_b64 exec, exec, s[4:5]
	v_cmp_eq_u32_e32 vcc, 0, v53
	s_waitcnt lgkmcnt(1)
	v_cndmask_b32_e32 v2, v2, v3, vcc
	v_cndmask_b32_e64 v2, v2, 0, s[0:1]
	v_add_u32_e32 v3, v2, v44
	v_add_u32_e32 v4, v3, v45
	;; [unrolled: 1-line block ×11, first 2 shown]
	v_mov_b32_e32 v19, 0
	v_add_u32_e32 v14, v13, v41
	s_waitcnt lgkmcnt(0)
	s_barrier
.LBB164_79:
	s_waitcnt lgkmcnt(0)
	v_add_u32_e32 v36, v18, v36
	v_sub_u32_e32 v2, v2, v19
	v_and_b32_e32 v45, 1, v40
	v_sub_u32_e32 v44, v36, v2
	v_cmp_eq_u32_e32 vcc, 1, v45
	v_cndmask_b32_e32 v2, v44, v2, vcc
	v_lshlrev_b32_e32 v2, 2, v2
	v_lshrrev_b32_e32 v17, 8, v40
	ds_write_b32 v2, v32
	v_sub_u32_e32 v2, v3, v19
	v_sub_u32_e32 v3, v36, v2
	v_and_b32_e32 v17, 1, v17
	v_add_u32_e32 v3, 1, v3
	v_cmp_eq_u32_e32 vcc, 1, v17
	v_cndmask_b32_e32 v2, v3, v2, vcc
	v_lshlrev_b32_e32 v2, 2, v2
	ds_write_b32 v2, v33
	v_sub_u32_e32 v2, v4, v19
	v_mov_b32_e32 v4, 1
	v_sub_u32_e32 v3, v36, v2
	v_and_b32_sdwa v17, v4, v40 dst_sel:DWORD dst_unused:UNUSED_PAD src0_sel:DWORD src1_sel:WORD_1
	v_add_u32_e32 v3, 2, v3
	v_cmp_eq_u32_e32 vcc, 1, v17
	v_cndmask_b32_e32 v2, v3, v2, vcc
	v_lshlrev_b32_e32 v2, 2, v2
	ds_write_b32 v2, v30
	v_sub_u32_e32 v2, v5, v19
	v_sub_u32_e32 v3, v36, v2
	v_and_b32_e32 v5, 1, v43
	v_add_u32_e32 v3, 3, v3
	v_cmp_eq_u32_e32 vcc, 1, v5
	v_cndmask_b32_e32 v2, v3, v2, vcc
	v_lshlrev_b32_e32 v2, 2, v2
	ds_write_b32 v2, v31
	v_sub_u32_e32 v2, v6, v19
	v_sub_u32_e32 v3, v36, v2
	v_and_b32_e32 v5, 1, v39
	v_add_u32_e32 v3, 4, v3
	v_cmp_eq_u32_e32 vcc, 1, v5
	v_cndmask_b32_e32 v2, v3, v2, vcc
	v_lshlrev_b32_e32 v2, 2, v2
	v_lshrrev_b32_e32 v16, 8, v39
	ds_write_b32 v2, v28
	v_sub_u32_e32 v2, v7, v19
	v_sub_u32_e32 v3, v36, v2
	v_and_b32_e32 v5, 1, v16
	v_add_u32_e32 v3, 5, v3
	v_cmp_eq_u32_e32 vcc, 1, v5
	v_cndmask_b32_e32 v2, v3, v2, vcc
	v_lshlrev_b32_e32 v2, 2, v2
	ds_write_b32 v2, v29
	v_sub_u32_e32 v2, v8, v19
	v_sub_u32_e32 v3, v36, v2
	v_and_b32_sdwa v5, v4, v39 dst_sel:DWORD dst_unused:UNUSED_PAD src0_sel:DWORD src1_sel:WORD_1
	v_add_u32_e32 v3, 6, v3
	v_cmp_eq_u32_e32 vcc, 1, v5
	v_cndmask_b32_e32 v2, v3, v2, vcc
	v_lshlrev_b32_e32 v2, 2, v2
	ds_write_b32 v2, v26
	v_sub_u32_e32 v2, v9, v19
	v_sub_u32_e32 v3, v36, v2
	v_and_b32_e32 v5, 1, v42
	v_add_u32_e32 v3, 7, v3
	v_cmp_eq_u32_e32 vcc, 1, v5
	v_cndmask_b32_e32 v2, v3, v2, vcc
	v_lshlrev_b32_e32 v2, 2, v2
	ds_write_b32 v2, v27
	v_sub_u32_e32 v2, v10, v19
	v_sub_u32_e32 v3, v36, v2
	v_and_b32_e32 v5, 1, v38
	v_add_u32_e32 v3, 8, v3
	v_cmp_eq_u32_e32 vcc, 1, v5
	v_cndmask_b32_e32 v2, v3, v2, vcc
	v_lshlrev_b32_e32 v2, 2, v2
	v_lshrrev_b32_e32 v15, 8, v38
	ds_write_b32 v2, v24
	v_sub_u32_e32 v2, v11, v19
	v_sub_u32_e32 v3, v36, v2
	v_and_b32_e32 v5, 1, v15
	v_add_u32_e32 v3, 9, v3
	v_cmp_eq_u32_e32 vcc, 1, v5
	v_cndmask_b32_e32 v2, v3, v2, vcc
	v_lshlrev_b32_e32 v2, 2, v2
	ds_write_b32 v2, v25
	v_sub_u32_e32 v2, v12, v19
	v_sub_u32_e32 v3, v36, v2
	v_and_b32_sdwa v4, v4, v38 dst_sel:DWORD dst_unused:UNUSED_PAD src0_sel:DWORD src1_sel:WORD_1
	v_add_u32_e32 v3, 10, v3
	v_cmp_eq_u32_e32 vcc, 1, v4
	v_cndmask_b32_e32 v2, v3, v2, vcc
	v_lshlrev_b32_e32 v2, 2, v2
	ds_write_b32 v2, v22
	v_sub_u32_e32 v2, v13, v19
	v_sub_u32_e32 v3, v36, v2
	v_and_b32_e32 v4, 1, v41
	v_add_u32_e32 v3, 11, v3
	v_cmp_eq_u32_e32 vcc, 1, v4
	v_cndmask_b32_e32 v2, v3, v2, vcc
	v_lshlrev_b32_e32 v2, 2, v2
	ds_write_b32 v2, v23
	v_sub_u32_e32 v2, v14, v19
	v_sub_u32_e32 v3, v36, v2
	v_and_b32_e32 v4, 1, v37
	v_add_u32_e32 v3, 12, v3
	v_cmp_eq_u32_e32 vcc, 1, v4
	v_cndmask_b32_e32 v2, v3, v2, vcc
	s_waitcnt vmcnt(0)
	v_add_co_u32_e32 v16, vcc, v20, v19
	v_addc_co_u32_e32 v17, vcc, 0, v21, vcc
	v_mov_b32_e32 v14, s29
	v_add_co_u32_e32 v1, vcc, s28, v1
	v_addc_co_u32_e32 v14, vcc, 0, v14, vcc
	v_lshlrev_b32_e32 v2, 2, v2
	v_mov_b32_e32 v15, s27
	v_sub_co_u32_e32 v1, vcc, s26, v1
	ds_write_b32 v2, v35
	s_waitcnt lgkmcnt(0)
	s_barrier
	ds_read2st64_b32 v[12:13], v34 offset1:4
	ds_read2st64_b32 v[10:11], v34 offset0:8 offset1:12
	ds_read2st64_b32 v[8:9], v34 offset0:16 offset1:20
	ds_read2st64_b32 v[6:7], v34 offset0:24 offset1:28
	ds_read2st64_b32 v[4:5], v34 offset0:32 offset1:36
	ds_read2st64_b32 v[2:3], v34 offset0:40 offset1:44
	ds_read_b32 v22, v34 offset:12288
	v_subb_co_u32_e32 v14, vcc, v15, v14, vcc
	v_add_co_u32_e32 v1, vcc, v1, v18
	v_addc_co_u32_e32 v14, vcc, 0, v14, vcc
	s_and_b64 vcc, exec, s[2:3]
	v_add_co_u32_e64 v1, s[2:3], v1, v16
	v_or_b32_e32 v35, 0x100, v0
	v_or_b32_e32 v33, 0x200, v0
	;; [unrolled: 1-line block ×12, first 2 shown]
	v_addc_co_u32_e64 v19, s[2:3], v14, v17, s[2:3]
	s_cbranch_vccnz .LBB164_136
; %bb.80:
	v_cmp_ge_u32_e32 vcc, v0, v18
                                        ; implicit-def: $vgpr14_vgpr15
	s_and_saveexec_b64 s[2:3], vcc
	s_xor_b64 s[2:3], exec, s[2:3]
; %bb.81:
	v_not_b32_e32 v14, v0
	v_ashrrev_i32_e32 v15, 31, v14
	v_add_co_u32_e32 v14, vcc, v1, v14
	v_addc_co_u32_e32 v15, vcc, v19, v15, vcc
; %bb.82:
	s_andn2_saveexec_b64 s[2:3], s[2:3]
; %bb.83:
	v_add_co_u32_e32 v14, vcc, v16, v0
	v_addc_co_u32_e32 v15, vcc, 0, v17, vcc
; %bb.84:
	s_or_b64 exec, exec, s[2:3]
	v_lshlrev_b64 v[14:15], 2, v[14:15]
	v_mov_b32_e32 v20, s25
	v_add_co_u32_e32 v14, vcc, s24, v14
	v_addc_co_u32_e32 v15, vcc, v20, v15, vcc
	v_cmp_ge_u32_e32 vcc, v35, v18
	s_waitcnt lgkmcnt(6)
	global_store_dword v[14:15], v12, off
                                        ; implicit-def: $vgpr14_vgpr15
	s_and_saveexec_b64 s[2:3], vcc
	s_xor_b64 s[2:3], exec, s[2:3]
; %bb.85:
	v_xor_b32_e32 v14, 0xfffffeff, v0
	v_ashrrev_i32_e32 v15, 31, v14
	v_add_co_u32_e32 v14, vcc, v1, v14
	v_addc_co_u32_e32 v15, vcc, v19, v15, vcc
; %bb.86:
	s_andn2_saveexec_b64 s[2:3], s[2:3]
; %bb.87:
	v_add_co_u32_e32 v14, vcc, v16, v35
	v_addc_co_u32_e32 v15, vcc, 0, v17, vcc
; %bb.88:
	s_or_b64 exec, exec, s[2:3]
	v_lshlrev_b64 v[14:15], 2, v[14:15]
	v_mov_b32_e32 v20, s25
	v_add_co_u32_e32 v14, vcc, s24, v14
	v_addc_co_u32_e32 v15, vcc, v20, v15, vcc
	v_cmp_ge_u32_e32 vcc, v33, v18
	global_store_dword v[14:15], v13, off
                                        ; implicit-def: $vgpr14_vgpr15
	s_and_saveexec_b64 s[2:3], vcc
	s_xor_b64 s[2:3], exec, s[2:3]
; %bb.89:
	v_xor_b32_e32 v14, 0xfffffdff, v0
	v_ashrrev_i32_e32 v15, 31, v14
	v_add_co_u32_e32 v14, vcc, v1, v14
	v_addc_co_u32_e32 v15, vcc, v19, v15, vcc
; %bb.90:
	s_andn2_saveexec_b64 s[2:3], s[2:3]
; %bb.91:
	v_add_co_u32_e32 v14, vcc, v16, v33
	v_addc_co_u32_e32 v15, vcc, 0, v17, vcc
; %bb.92:
	s_or_b64 exec, exec, s[2:3]
	v_lshlrev_b64 v[14:15], 2, v[14:15]
	v_mov_b32_e32 v20, s25
	v_add_co_u32_e32 v14, vcc, s24, v14
	v_addc_co_u32_e32 v15, vcc, v20, v15, vcc
	v_cmp_ge_u32_e32 vcc, v32, v18
	s_waitcnt lgkmcnt(5)
	global_store_dword v[14:15], v10, off
                                        ; implicit-def: $vgpr14_vgpr15
	s_and_saveexec_b64 s[2:3], vcc
	s_xor_b64 s[2:3], exec, s[2:3]
; %bb.93:
	v_xor_b32_e32 v14, 0xfffffcff, v0
	v_ashrrev_i32_e32 v15, 31, v14
	v_add_co_u32_e32 v14, vcc, v1, v14
	v_addc_co_u32_e32 v15, vcc, v19, v15, vcc
; %bb.94:
	s_andn2_saveexec_b64 s[2:3], s[2:3]
; %bb.95:
	v_add_co_u32_e32 v14, vcc, v16, v32
	v_addc_co_u32_e32 v15, vcc, 0, v17, vcc
; %bb.96:
	s_or_b64 exec, exec, s[2:3]
	v_lshlrev_b64 v[14:15], 2, v[14:15]
	v_mov_b32_e32 v20, s25
	v_add_co_u32_e32 v14, vcc, s24, v14
	v_addc_co_u32_e32 v15, vcc, v20, v15, vcc
	v_cmp_ge_u32_e32 vcc, v31, v18
	global_store_dword v[14:15], v11, off
                                        ; implicit-def: $vgpr14_vgpr15
	s_and_saveexec_b64 s[2:3], vcc
	s_xor_b64 s[2:3], exec, s[2:3]
; %bb.97:
	v_xor_b32_e32 v14, 0xfffffbff, v0
	v_ashrrev_i32_e32 v15, 31, v14
	v_add_co_u32_e32 v14, vcc, v1, v14
	v_addc_co_u32_e32 v15, vcc, v19, v15, vcc
; %bb.98:
	s_andn2_saveexec_b64 s[2:3], s[2:3]
; %bb.99:
	v_add_co_u32_e32 v14, vcc, v16, v31
	v_addc_co_u32_e32 v15, vcc, 0, v17, vcc
; %bb.100:
	s_or_b64 exec, exec, s[2:3]
	v_lshlrev_b64 v[14:15], 2, v[14:15]
	v_mov_b32_e32 v20, s25
	v_add_co_u32_e32 v14, vcc, s24, v14
	v_addc_co_u32_e32 v15, vcc, v20, v15, vcc
	v_cmp_ge_u32_e32 vcc, v30, v18
	s_waitcnt lgkmcnt(4)
	global_store_dword v[14:15], v8, off
                                        ; implicit-def: $vgpr14_vgpr15
	s_and_saveexec_b64 s[2:3], vcc
	s_xor_b64 s[2:3], exec, s[2:3]
; %bb.101:
	v_xor_b32_e32 v14, 0xfffffaff, v0
	v_ashrrev_i32_e32 v15, 31, v14
	v_add_co_u32_e32 v14, vcc, v1, v14
	v_addc_co_u32_e32 v15, vcc, v19, v15, vcc
; %bb.102:
	s_andn2_saveexec_b64 s[2:3], s[2:3]
; %bb.103:
	v_add_co_u32_e32 v14, vcc, v16, v30
	v_addc_co_u32_e32 v15, vcc, 0, v17, vcc
; %bb.104:
	s_or_b64 exec, exec, s[2:3]
	v_lshlrev_b64 v[14:15], 2, v[14:15]
	v_mov_b32_e32 v20, s25
	v_add_co_u32_e32 v14, vcc, s24, v14
	v_addc_co_u32_e32 v15, vcc, v20, v15, vcc
	v_cmp_ge_u32_e32 vcc, v29, v18
	global_store_dword v[14:15], v9, off
                                        ; implicit-def: $vgpr14_vgpr15
	s_and_saveexec_b64 s[2:3], vcc
	s_xor_b64 s[2:3], exec, s[2:3]
; %bb.105:
	v_xor_b32_e32 v14, 0xfffff9ff, v0
	v_ashrrev_i32_e32 v15, 31, v14
	v_add_co_u32_e32 v14, vcc, v1, v14
	v_addc_co_u32_e32 v15, vcc, v19, v15, vcc
; %bb.106:
	s_andn2_saveexec_b64 s[2:3], s[2:3]
; %bb.107:
	v_add_co_u32_e32 v14, vcc, v16, v29
	v_addc_co_u32_e32 v15, vcc, 0, v17, vcc
; %bb.108:
	s_or_b64 exec, exec, s[2:3]
	v_lshlrev_b64 v[14:15], 2, v[14:15]
	v_mov_b32_e32 v20, s25
	v_add_co_u32_e32 v14, vcc, s24, v14
	v_addc_co_u32_e32 v15, vcc, v20, v15, vcc
	v_cmp_ge_u32_e32 vcc, v28, v18
	s_waitcnt lgkmcnt(3)
	global_store_dword v[14:15], v6, off
                                        ; implicit-def: $vgpr14_vgpr15
	s_and_saveexec_b64 s[2:3], vcc
	s_xor_b64 s[2:3], exec, s[2:3]
; %bb.109:
	v_xor_b32_e32 v14, 0xfffff8ff, v0
	v_ashrrev_i32_e32 v15, 31, v14
	v_add_co_u32_e32 v14, vcc, v1, v14
	v_addc_co_u32_e32 v15, vcc, v19, v15, vcc
; %bb.110:
	s_andn2_saveexec_b64 s[2:3], s[2:3]
; %bb.111:
	v_add_co_u32_e32 v14, vcc, v16, v28
	v_addc_co_u32_e32 v15, vcc, 0, v17, vcc
; %bb.112:
	s_or_b64 exec, exec, s[2:3]
	v_lshlrev_b64 v[14:15], 2, v[14:15]
	v_mov_b32_e32 v20, s25
	v_add_co_u32_e32 v14, vcc, s24, v14
	v_addc_co_u32_e32 v15, vcc, v20, v15, vcc
	v_cmp_ge_u32_e32 vcc, v27, v18
	global_store_dword v[14:15], v7, off
                                        ; implicit-def: $vgpr14_vgpr15
	s_and_saveexec_b64 s[2:3], vcc
	s_xor_b64 s[2:3], exec, s[2:3]
; %bb.113:
	v_xor_b32_e32 v14, 0xfffff7ff, v0
	v_ashrrev_i32_e32 v15, 31, v14
	v_add_co_u32_e32 v14, vcc, v1, v14
	v_addc_co_u32_e32 v15, vcc, v19, v15, vcc
; %bb.114:
	s_andn2_saveexec_b64 s[2:3], s[2:3]
; %bb.115:
	v_add_co_u32_e32 v14, vcc, v16, v27
	v_addc_co_u32_e32 v15, vcc, 0, v17, vcc
; %bb.116:
	s_or_b64 exec, exec, s[2:3]
	v_lshlrev_b64 v[14:15], 2, v[14:15]
	v_mov_b32_e32 v20, s25
	v_add_co_u32_e32 v14, vcc, s24, v14
	v_addc_co_u32_e32 v15, vcc, v20, v15, vcc
	v_cmp_ge_u32_e32 vcc, v26, v18
	s_waitcnt lgkmcnt(2)
	global_store_dword v[14:15], v4, off
                                        ; implicit-def: $vgpr14_vgpr15
	s_and_saveexec_b64 s[2:3], vcc
	s_xor_b64 s[2:3], exec, s[2:3]
; %bb.117:
	v_xor_b32_e32 v14, 0xfffff6ff, v0
	v_ashrrev_i32_e32 v15, 31, v14
	v_add_co_u32_e32 v14, vcc, v1, v14
	v_addc_co_u32_e32 v15, vcc, v19, v15, vcc
; %bb.118:
	s_andn2_saveexec_b64 s[2:3], s[2:3]
; %bb.119:
	v_add_co_u32_e32 v14, vcc, v16, v26
	v_addc_co_u32_e32 v15, vcc, 0, v17, vcc
; %bb.120:
	s_or_b64 exec, exec, s[2:3]
	v_lshlrev_b64 v[14:15], 2, v[14:15]
	v_mov_b32_e32 v20, s25
	v_add_co_u32_e32 v14, vcc, s24, v14
	v_addc_co_u32_e32 v15, vcc, v20, v15, vcc
	v_cmp_ge_u32_e32 vcc, v25, v18
	global_store_dword v[14:15], v5, off
                                        ; implicit-def: $vgpr14_vgpr15
	s_and_saveexec_b64 s[2:3], vcc
	s_xor_b64 s[2:3], exec, s[2:3]
; %bb.121:
	v_xor_b32_e32 v14, 0xfffff5ff, v0
	v_ashrrev_i32_e32 v15, 31, v14
	v_add_co_u32_e32 v14, vcc, v1, v14
	v_addc_co_u32_e32 v15, vcc, v19, v15, vcc
; %bb.122:
	s_andn2_saveexec_b64 s[2:3], s[2:3]
; %bb.123:
	v_add_co_u32_e32 v14, vcc, v16, v25
	v_addc_co_u32_e32 v15, vcc, 0, v17, vcc
; %bb.124:
	s_or_b64 exec, exec, s[2:3]
	v_lshlrev_b64 v[14:15], 2, v[14:15]
	v_mov_b32_e32 v20, s25
	v_add_co_u32_e32 v14, vcc, s24, v14
	v_addc_co_u32_e32 v15, vcc, v20, v15, vcc
	v_cmp_ge_u32_e32 vcc, v24, v18
	s_waitcnt lgkmcnt(1)
	global_store_dword v[14:15], v2, off
                                        ; implicit-def: $vgpr14_vgpr15
	s_and_saveexec_b64 s[2:3], vcc
	s_xor_b64 s[2:3], exec, s[2:3]
; %bb.125:
	v_xor_b32_e32 v14, 0xfffff4ff, v0
	v_ashrrev_i32_e32 v15, 31, v14
	v_add_co_u32_e32 v14, vcc, v1, v14
	v_addc_co_u32_e32 v15, vcc, v19, v15, vcc
; %bb.126:
	s_andn2_saveexec_b64 s[2:3], s[2:3]
; %bb.127:
	v_add_co_u32_e32 v14, vcc, v16, v24
	v_addc_co_u32_e32 v15, vcc, 0, v17, vcc
; %bb.128:
	s_or_b64 exec, exec, s[2:3]
	v_lshlrev_b64 v[14:15], 2, v[14:15]
	v_mov_b32_e32 v20, s25
	v_add_co_u32_e32 v14, vcc, s24, v14
	v_addc_co_u32_e32 v15, vcc, v20, v15, vcc
	v_cmp_ge_u32_e32 vcc, v23, v18
	global_store_dword v[14:15], v3, off
                                        ; implicit-def: $vgpr14_vgpr15
	s_and_saveexec_b64 s[2:3], vcc
	s_xor_b64 s[2:3], exec, s[2:3]
; %bb.129:
	v_xor_b32_e32 v14, 0xfffff3ff, v0
	v_ashrrev_i32_e32 v15, 31, v14
	v_add_co_u32_e32 v14, vcc, v1, v14
	v_addc_co_u32_e32 v15, vcc, v19, v15, vcc
; %bb.130:
	s_andn2_saveexec_b64 s[2:3], s[2:3]
; %bb.131:
	v_add_co_u32_e32 v14, vcc, v16, v23
	v_addc_co_u32_e32 v15, vcc, 0, v17, vcc
; %bb.132:
	s_or_b64 exec, exec, s[2:3]
	s_mov_b64 s[2:3], -1
.LBB164_133:
	s_and_saveexec_b64 s[4:5], s[2:3]
	s_cbranch_execz .LBB164_216
.LBB164_134:
	v_lshlrev_b64 v[0:1], 2, v[14:15]
	s_waitcnt lgkmcnt(1)
	v_mov_b32_e32 v2, s25
	v_add_co_u32_e32 v0, vcc, s24, v0
	v_addc_co_u32_e32 v1, vcc, v2, v1, vcc
	s_waitcnt lgkmcnt(0)
	global_store_dword v[0:1], v22, off
	s_or_b64 exec, exec, s[4:5]
	s_and_b64 s[0:1], s[0:1], s[22:23]
	s_and_saveexec_b64 s[2:3], s[0:1]
	s_cbranch_execnz .LBB164_217
.LBB164_135:
	s_endpgm
.LBB164_136:
	s_mov_b64 s[2:3], 0
                                        ; implicit-def: $vgpr14_vgpr15
	s_cbranch_execz .LBB164_133
; %bb.137:
	v_cmp_gt_u32_e32 vcc, s33, v0
	s_and_saveexec_b64 s[4:5], vcc
	s_cbranch_execz .LBB164_173
; %bb.138:
	v_cmp_ge_u32_e32 vcc, v0, v18
                                        ; implicit-def: $vgpr14_vgpr15
	s_and_saveexec_b64 s[6:7], vcc
	s_xor_b64 s[6:7], exec, s[6:7]
; %bb.139:
	v_not_b32_e32 v14, v0
	v_ashrrev_i32_e32 v15, 31, v14
	v_add_co_u32_e32 v14, vcc, v1, v14
	v_addc_co_u32_e32 v15, vcc, v19, v15, vcc
; %bb.140:
	s_andn2_saveexec_b64 s[6:7], s[6:7]
; %bb.141:
	v_add_co_u32_e32 v14, vcc, v16, v0
	v_addc_co_u32_e32 v15, vcc, 0, v17, vcc
; %bb.142:
	s_or_b64 exec, exec, s[6:7]
	v_lshlrev_b64 v[14:15], 2, v[14:15]
	v_mov_b32_e32 v20, s25
	v_add_co_u32_e32 v14, vcc, s24, v14
	v_addc_co_u32_e32 v15, vcc, v20, v15, vcc
	s_waitcnt lgkmcnt(6)
	global_store_dword v[14:15], v12, off
	s_or_b64 exec, exec, s[4:5]
	v_cmp_gt_u32_e32 vcc, s33, v35
	s_and_saveexec_b64 s[4:5], vcc
	s_cbranch_execnz .LBB164_174
.LBB164_143:
	s_or_b64 exec, exec, s[4:5]
	v_cmp_gt_u32_e32 vcc, s33, v33
	s_and_saveexec_b64 s[4:5], vcc
	s_cbranch_execz .LBB164_179
.LBB164_144:
	v_cmp_ge_u32_e32 vcc, v33, v18
                                        ; implicit-def: $vgpr12_vgpr13
	s_and_saveexec_b64 s[6:7], vcc
	s_xor_b64 s[6:7], exec, s[6:7]
	s_cbranch_execz .LBB164_146
; %bb.145:
	s_waitcnt lgkmcnt(6)
	v_xor_b32_e32 v12, 0xfffffdff, v0
	v_ashrrev_i32_e32 v13, 31, v12
	v_add_co_u32_e32 v12, vcc, v1, v12
	v_addc_co_u32_e32 v13, vcc, v19, v13, vcc
                                        ; implicit-def: $vgpr33
.LBB164_146:
	s_andn2_saveexec_b64 s[6:7], s[6:7]
	s_cbranch_execz .LBB164_148
; %bb.147:
	s_waitcnt lgkmcnt(6)
	v_add_co_u32_e32 v12, vcc, v16, v33
	v_addc_co_u32_e32 v13, vcc, 0, v17, vcc
.LBB164_148:
	s_or_b64 exec, exec, s[6:7]
	s_waitcnt lgkmcnt(6)
	v_lshlrev_b64 v[12:13], 2, v[12:13]
	v_mov_b32_e32 v14, s25
	v_add_co_u32_e32 v12, vcc, s24, v12
	v_addc_co_u32_e32 v13, vcc, v14, v13, vcc
	s_waitcnt lgkmcnt(5)
	global_store_dword v[12:13], v10, off
	s_or_b64 exec, exec, s[4:5]
	v_cmp_gt_u32_e32 vcc, s33, v32
	s_and_saveexec_b64 s[4:5], vcc
	s_cbranch_execnz .LBB164_180
.LBB164_149:
	s_or_b64 exec, exec, s[4:5]
	v_cmp_gt_u32_e32 vcc, s33, v31
	s_and_saveexec_b64 s[4:5], vcc
	s_cbranch_execz .LBB164_185
.LBB164_150:
	v_cmp_ge_u32_e32 vcc, v31, v18
                                        ; implicit-def: $vgpr10_vgpr11
	s_and_saveexec_b64 s[6:7], vcc
	s_xor_b64 s[6:7], exec, s[6:7]
	s_cbranch_execz .LBB164_152
; %bb.151:
	s_waitcnt lgkmcnt(5)
	v_xor_b32_e32 v10, 0xfffffbff, v0
	v_ashrrev_i32_e32 v11, 31, v10
	v_add_co_u32_e32 v10, vcc, v1, v10
	v_addc_co_u32_e32 v11, vcc, v19, v11, vcc
                                        ; implicit-def: $vgpr31
.LBB164_152:
	s_andn2_saveexec_b64 s[6:7], s[6:7]
	s_cbranch_execz .LBB164_154
; %bb.153:
	s_waitcnt lgkmcnt(5)
	v_add_co_u32_e32 v10, vcc, v16, v31
	v_addc_co_u32_e32 v11, vcc, 0, v17, vcc
.LBB164_154:
	s_or_b64 exec, exec, s[6:7]
	s_waitcnt lgkmcnt(5)
	v_lshlrev_b64 v[10:11], 2, v[10:11]
	v_mov_b32_e32 v12, s25
	v_add_co_u32_e32 v10, vcc, s24, v10
	v_addc_co_u32_e32 v11, vcc, v12, v11, vcc
	s_waitcnt lgkmcnt(4)
	global_store_dword v[10:11], v8, off
	s_or_b64 exec, exec, s[4:5]
	v_cmp_gt_u32_e32 vcc, s33, v30
	s_and_saveexec_b64 s[4:5], vcc
	s_cbranch_execnz .LBB164_186
.LBB164_155:
	s_or_b64 exec, exec, s[4:5]
	v_cmp_gt_u32_e32 vcc, s33, v29
	s_and_saveexec_b64 s[4:5], vcc
	s_cbranch_execz .LBB164_191
.LBB164_156:
	v_cmp_ge_u32_e32 vcc, v29, v18
                                        ; implicit-def: $vgpr8_vgpr9
	s_and_saveexec_b64 s[6:7], vcc
	s_xor_b64 s[6:7], exec, s[6:7]
	s_cbranch_execz .LBB164_158
; %bb.157:
	s_waitcnt lgkmcnt(4)
	v_xor_b32_e32 v8, 0xfffff9ff, v0
	v_ashrrev_i32_e32 v9, 31, v8
	v_add_co_u32_e32 v8, vcc, v1, v8
	v_addc_co_u32_e32 v9, vcc, v19, v9, vcc
                                        ; implicit-def: $vgpr29
.LBB164_158:
	s_andn2_saveexec_b64 s[6:7], s[6:7]
	s_cbranch_execz .LBB164_160
; %bb.159:
	s_waitcnt lgkmcnt(4)
	v_add_co_u32_e32 v8, vcc, v16, v29
	v_addc_co_u32_e32 v9, vcc, 0, v17, vcc
.LBB164_160:
	s_or_b64 exec, exec, s[6:7]
	s_waitcnt lgkmcnt(4)
	v_lshlrev_b64 v[8:9], 2, v[8:9]
	v_mov_b32_e32 v10, s25
	v_add_co_u32_e32 v8, vcc, s24, v8
	v_addc_co_u32_e32 v9, vcc, v10, v9, vcc
	s_waitcnt lgkmcnt(3)
	global_store_dword v[8:9], v6, off
	s_or_b64 exec, exec, s[4:5]
	v_cmp_gt_u32_e32 vcc, s33, v28
	s_and_saveexec_b64 s[4:5], vcc
	s_cbranch_execnz .LBB164_192
.LBB164_161:
	s_or_b64 exec, exec, s[4:5]
	v_cmp_gt_u32_e32 vcc, s33, v27
	s_and_saveexec_b64 s[4:5], vcc
	s_cbranch_execz .LBB164_197
.LBB164_162:
	v_cmp_ge_u32_e32 vcc, v27, v18
                                        ; implicit-def: $vgpr6_vgpr7
	s_and_saveexec_b64 s[6:7], vcc
	s_xor_b64 s[6:7], exec, s[6:7]
	s_cbranch_execz .LBB164_164
; %bb.163:
	s_waitcnt lgkmcnt(3)
	v_xor_b32_e32 v6, 0xfffff7ff, v0
	v_ashrrev_i32_e32 v7, 31, v6
	v_add_co_u32_e32 v6, vcc, v1, v6
	v_addc_co_u32_e32 v7, vcc, v19, v7, vcc
                                        ; implicit-def: $vgpr27
.LBB164_164:
	s_andn2_saveexec_b64 s[6:7], s[6:7]
	s_cbranch_execz .LBB164_166
; %bb.165:
	s_waitcnt lgkmcnt(3)
	v_add_co_u32_e32 v6, vcc, v16, v27
	v_addc_co_u32_e32 v7, vcc, 0, v17, vcc
.LBB164_166:
	s_or_b64 exec, exec, s[6:7]
	s_waitcnt lgkmcnt(3)
	v_lshlrev_b64 v[6:7], 2, v[6:7]
	v_mov_b32_e32 v8, s25
	v_add_co_u32_e32 v6, vcc, s24, v6
	v_addc_co_u32_e32 v7, vcc, v8, v7, vcc
	s_waitcnt lgkmcnt(2)
	global_store_dword v[6:7], v4, off
	s_or_b64 exec, exec, s[4:5]
	v_cmp_gt_u32_e32 vcc, s33, v26
	s_and_saveexec_b64 s[4:5], vcc
	s_cbranch_execnz .LBB164_198
.LBB164_167:
	s_or_b64 exec, exec, s[4:5]
	v_cmp_gt_u32_e32 vcc, s33, v25
	s_and_saveexec_b64 s[4:5], vcc
	s_cbranch_execz .LBB164_203
.LBB164_168:
	v_cmp_ge_u32_e32 vcc, v25, v18
                                        ; implicit-def: $vgpr4_vgpr5
	s_and_saveexec_b64 s[6:7], vcc
	s_xor_b64 s[6:7], exec, s[6:7]
	s_cbranch_execz .LBB164_170
; %bb.169:
	s_waitcnt lgkmcnt(2)
	v_xor_b32_e32 v4, 0xfffff5ff, v0
	v_ashrrev_i32_e32 v5, 31, v4
	v_add_co_u32_e32 v4, vcc, v1, v4
	v_addc_co_u32_e32 v5, vcc, v19, v5, vcc
                                        ; implicit-def: $vgpr25
.LBB164_170:
	s_andn2_saveexec_b64 s[6:7], s[6:7]
	s_cbranch_execz .LBB164_172
; %bb.171:
	s_waitcnt lgkmcnt(2)
	v_add_co_u32_e32 v4, vcc, v16, v25
	v_addc_co_u32_e32 v5, vcc, 0, v17, vcc
.LBB164_172:
	s_or_b64 exec, exec, s[6:7]
	s_waitcnt lgkmcnt(2)
	v_lshlrev_b64 v[4:5], 2, v[4:5]
	v_mov_b32_e32 v6, s25
	v_add_co_u32_e32 v4, vcc, s24, v4
	v_addc_co_u32_e32 v5, vcc, v6, v5, vcc
	s_waitcnt lgkmcnt(1)
	global_store_dword v[4:5], v2, off
	s_or_b64 exec, exec, s[4:5]
	v_cmp_gt_u32_e32 vcc, s33, v24
	s_and_saveexec_b64 s[4:5], vcc
	s_cbranch_execz .LBB164_209
	s_branch .LBB164_204
.LBB164_173:
	s_or_b64 exec, exec, s[4:5]
	v_cmp_gt_u32_e32 vcc, s33, v35
	s_and_saveexec_b64 s[4:5], vcc
	s_cbranch_execz .LBB164_143
.LBB164_174:
	v_cmp_ge_u32_e32 vcc, v35, v18
                                        ; implicit-def: $vgpr14_vgpr15
	s_and_saveexec_b64 s[6:7], vcc
	s_xor_b64 s[6:7], exec, s[6:7]
	s_cbranch_execz .LBB164_176
; %bb.175:
	s_waitcnt lgkmcnt(6)
	v_xor_b32_e32 v12, 0xfffffeff, v0
	v_ashrrev_i32_e32 v15, 31, v12
	v_add_co_u32_e32 v14, vcc, v1, v12
	v_addc_co_u32_e32 v15, vcc, v19, v15, vcc
                                        ; implicit-def: $vgpr35
.LBB164_176:
	s_andn2_saveexec_b64 s[6:7], s[6:7]
; %bb.177:
	v_add_co_u32_e32 v14, vcc, v16, v35
	v_addc_co_u32_e32 v15, vcc, 0, v17, vcc
; %bb.178:
	s_or_b64 exec, exec, s[6:7]
	v_lshlrev_b64 v[14:15], 2, v[14:15]
	s_waitcnt lgkmcnt(6)
	v_mov_b32_e32 v12, s25
	v_add_co_u32_e32 v14, vcc, s24, v14
	v_addc_co_u32_e32 v15, vcc, v12, v15, vcc
	global_store_dword v[14:15], v13, off
	s_or_b64 exec, exec, s[4:5]
	v_cmp_gt_u32_e32 vcc, s33, v33
	s_and_saveexec_b64 s[4:5], vcc
	s_cbranch_execnz .LBB164_144
.LBB164_179:
	s_or_b64 exec, exec, s[4:5]
	v_cmp_gt_u32_e32 vcc, s33, v32
	s_and_saveexec_b64 s[4:5], vcc
	s_cbranch_execz .LBB164_149
.LBB164_180:
	v_cmp_ge_u32_e32 vcc, v32, v18
                                        ; implicit-def: $vgpr12_vgpr13
	s_and_saveexec_b64 s[6:7], vcc
	s_xor_b64 s[6:7], exec, s[6:7]
	s_cbranch_execz .LBB164_182
; %bb.181:
	s_waitcnt lgkmcnt(5)
	v_xor_b32_e32 v10, 0xfffffcff, v0
	v_ashrrev_i32_e32 v13, 31, v10
	v_add_co_u32_e32 v12, vcc, v1, v10
	v_addc_co_u32_e32 v13, vcc, v19, v13, vcc
                                        ; implicit-def: $vgpr32
.LBB164_182:
	s_andn2_saveexec_b64 s[6:7], s[6:7]
	s_cbranch_execz .LBB164_184
; %bb.183:
	s_waitcnt lgkmcnt(6)
	v_add_co_u32_e32 v12, vcc, v16, v32
	v_addc_co_u32_e32 v13, vcc, 0, v17, vcc
.LBB164_184:
	s_or_b64 exec, exec, s[6:7]
	s_waitcnt lgkmcnt(6)
	v_lshlrev_b64 v[12:13], 2, v[12:13]
	s_waitcnt lgkmcnt(5)
	v_mov_b32_e32 v10, s25
	v_add_co_u32_e32 v12, vcc, s24, v12
	v_addc_co_u32_e32 v13, vcc, v10, v13, vcc
	global_store_dword v[12:13], v11, off
	s_or_b64 exec, exec, s[4:5]
	v_cmp_gt_u32_e32 vcc, s33, v31
	s_and_saveexec_b64 s[4:5], vcc
	s_cbranch_execnz .LBB164_150
.LBB164_185:
	s_or_b64 exec, exec, s[4:5]
	v_cmp_gt_u32_e32 vcc, s33, v30
	s_and_saveexec_b64 s[4:5], vcc
	s_cbranch_execz .LBB164_155
.LBB164_186:
	v_cmp_ge_u32_e32 vcc, v30, v18
                                        ; implicit-def: $vgpr10_vgpr11
	s_and_saveexec_b64 s[6:7], vcc
	s_xor_b64 s[6:7], exec, s[6:7]
	s_cbranch_execz .LBB164_188
; %bb.187:
	s_waitcnt lgkmcnt(4)
	v_xor_b32_e32 v8, 0xfffffaff, v0
	v_ashrrev_i32_e32 v11, 31, v8
	v_add_co_u32_e32 v10, vcc, v1, v8
	v_addc_co_u32_e32 v11, vcc, v19, v11, vcc
                                        ; implicit-def: $vgpr30
.LBB164_188:
	s_andn2_saveexec_b64 s[6:7], s[6:7]
	s_cbranch_execz .LBB164_190
; %bb.189:
	s_waitcnt lgkmcnt(5)
	v_add_co_u32_e32 v10, vcc, v16, v30
	v_addc_co_u32_e32 v11, vcc, 0, v17, vcc
.LBB164_190:
	s_or_b64 exec, exec, s[6:7]
	s_waitcnt lgkmcnt(5)
	v_lshlrev_b64 v[10:11], 2, v[10:11]
	s_waitcnt lgkmcnt(4)
	v_mov_b32_e32 v8, s25
	v_add_co_u32_e32 v10, vcc, s24, v10
	v_addc_co_u32_e32 v11, vcc, v8, v11, vcc
	global_store_dword v[10:11], v9, off
	s_or_b64 exec, exec, s[4:5]
	v_cmp_gt_u32_e32 vcc, s33, v29
	s_and_saveexec_b64 s[4:5], vcc
	s_cbranch_execnz .LBB164_156
.LBB164_191:
	s_or_b64 exec, exec, s[4:5]
	v_cmp_gt_u32_e32 vcc, s33, v28
	s_and_saveexec_b64 s[4:5], vcc
	s_cbranch_execz .LBB164_161
.LBB164_192:
	v_cmp_ge_u32_e32 vcc, v28, v18
                                        ; implicit-def: $vgpr8_vgpr9
	s_and_saveexec_b64 s[6:7], vcc
	s_xor_b64 s[6:7], exec, s[6:7]
	s_cbranch_execz .LBB164_194
; %bb.193:
	s_waitcnt lgkmcnt(3)
	v_xor_b32_e32 v6, 0xfffff8ff, v0
	v_ashrrev_i32_e32 v9, 31, v6
	v_add_co_u32_e32 v8, vcc, v1, v6
	v_addc_co_u32_e32 v9, vcc, v19, v9, vcc
                                        ; implicit-def: $vgpr28
.LBB164_194:
	s_andn2_saveexec_b64 s[6:7], s[6:7]
	s_cbranch_execz .LBB164_196
; %bb.195:
	s_waitcnt lgkmcnt(4)
	v_add_co_u32_e32 v8, vcc, v16, v28
	v_addc_co_u32_e32 v9, vcc, 0, v17, vcc
.LBB164_196:
	s_or_b64 exec, exec, s[6:7]
	s_waitcnt lgkmcnt(4)
	v_lshlrev_b64 v[8:9], 2, v[8:9]
	s_waitcnt lgkmcnt(3)
	v_mov_b32_e32 v6, s25
	v_add_co_u32_e32 v8, vcc, s24, v8
	v_addc_co_u32_e32 v9, vcc, v6, v9, vcc
	global_store_dword v[8:9], v7, off
	s_or_b64 exec, exec, s[4:5]
	v_cmp_gt_u32_e32 vcc, s33, v27
	s_and_saveexec_b64 s[4:5], vcc
	s_cbranch_execnz .LBB164_162
.LBB164_197:
	s_or_b64 exec, exec, s[4:5]
	v_cmp_gt_u32_e32 vcc, s33, v26
	s_and_saveexec_b64 s[4:5], vcc
	s_cbranch_execz .LBB164_167
.LBB164_198:
	v_cmp_ge_u32_e32 vcc, v26, v18
                                        ; implicit-def: $vgpr6_vgpr7
	s_and_saveexec_b64 s[6:7], vcc
	s_xor_b64 s[6:7], exec, s[6:7]
	s_cbranch_execz .LBB164_200
; %bb.199:
	s_waitcnt lgkmcnt(2)
	v_xor_b32_e32 v4, 0xfffff6ff, v0
	v_ashrrev_i32_e32 v7, 31, v4
	v_add_co_u32_e32 v6, vcc, v1, v4
	v_addc_co_u32_e32 v7, vcc, v19, v7, vcc
                                        ; implicit-def: $vgpr26
.LBB164_200:
	s_andn2_saveexec_b64 s[6:7], s[6:7]
	s_cbranch_execz .LBB164_202
; %bb.201:
	s_waitcnt lgkmcnt(3)
	v_add_co_u32_e32 v6, vcc, v16, v26
	v_addc_co_u32_e32 v7, vcc, 0, v17, vcc
.LBB164_202:
	s_or_b64 exec, exec, s[6:7]
	s_waitcnt lgkmcnt(3)
	v_lshlrev_b64 v[6:7], 2, v[6:7]
	s_waitcnt lgkmcnt(2)
	v_mov_b32_e32 v4, s25
	v_add_co_u32_e32 v6, vcc, s24, v6
	v_addc_co_u32_e32 v7, vcc, v4, v7, vcc
	global_store_dword v[6:7], v5, off
	s_or_b64 exec, exec, s[4:5]
	v_cmp_gt_u32_e32 vcc, s33, v25
	s_and_saveexec_b64 s[4:5], vcc
	s_cbranch_execnz .LBB164_168
.LBB164_203:
	s_or_b64 exec, exec, s[4:5]
	v_cmp_gt_u32_e32 vcc, s33, v24
	s_and_saveexec_b64 s[4:5], vcc
	s_cbranch_execz .LBB164_209
.LBB164_204:
	v_cmp_ge_u32_e32 vcc, v24, v18
                                        ; implicit-def: $vgpr4_vgpr5
	s_and_saveexec_b64 s[6:7], vcc
	s_xor_b64 s[6:7], exec, s[6:7]
	s_cbranch_execz .LBB164_206
; %bb.205:
	s_waitcnt lgkmcnt(1)
	v_xor_b32_e32 v2, 0xfffff4ff, v0
	v_ashrrev_i32_e32 v5, 31, v2
	v_add_co_u32_e32 v4, vcc, v1, v2
	v_addc_co_u32_e32 v5, vcc, v19, v5, vcc
                                        ; implicit-def: $vgpr24
.LBB164_206:
	s_andn2_saveexec_b64 s[6:7], s[6:7]
	s_cbranch_execz .LBB164_208
; %bb.207:
	s_waitcnt lgkmcnt(2)
	v_add_co_u32_e32 v4, vcc, v16, v24
	v_addc_co_u32_e32 v5, vcc, 0, v17, vcc
.LBB164_208:
	s_or_b64 exec, exec, s[6:7]
	s_waitcnt lgkmcnt(2)
	v_lshlrev_b64 v[4:5], 2, v[4:5]
	s_waitcnt lgkmcnt(1)
	v_mov_b32_e32 v2, s25
	v_add_co_u32_e32 v4, vcc, s24, v4
	v_addc_co_u32_e32 v5, vcc, v2, v5, vcc
	global_store_dword v[4:5], v3, off
.LBB164_209:
	s_or_b64 exec, exec, s[4:5]
	v_cmp_gt_u32_e32 vcc, s33, v23
                                        ; implicit-def: $vgpr14_vgpr15
	s_and_saveexec_b64 s[4:5], vcc
	s_cbranch_execz .LBB164_215
; %bb.210:
	v_cmp_ge_u32_e32 vcc, v23, v18
                                        ; implicit-def: $vgpr14_vgpr15
	s_and_saveexec_b64 s[6:7], vcc
	s_xor_b64 s[6:7], exec, s[6:7]
	s_cbranch_execz .LBB164_212
; %bb.211:
	v_xor_b32_e32 v0, 0xfffff3ff, v0
	s_waitcnt lgkmcnt(1)
	v_ashrrev_i32_e32 v2, 31, v0
	v_add_co_u32_e32 v14, vcc, v1, v0
	v_addc_co_u32_e32 v15, vcc, v19, v2, vcc
                                        ; implicit-def: $vgpr23
.LBB164_212:
	s_andn2_saveexec_b64 s[6:7], s[6:7]
; %bb.213:
	v_add_co_u32_e32 v14, vcc, v16, v23
	v_addc_co_u32_e32 v15, vcc, 0, v17, vcc
; %bb.214:
	s_or_b64 exec, exec, s[6:7]
	s_or_b64 s[2:3], s[2:3], exec
.LBB164_215:
	s_or_b64 exec, exec, s[4:5]
	s_and_saveexec_b64 s[4:5], s[2:3]
	s_cbranch_execnz .LBB164_134
.LBB164_216:
	s_or_b64 exec, exec, s[4:5]
	s_and_b64 s[0:1], s[0:1], s[22:23]
	s_and_saveexec_b64 s[2:3], s[0:1]
	s_cbranch_execz .LBB164_135
.LBB164_217:
	v_add_co_u32_e32 v0, vcc, v16, v18
	s_waitcnt lgkmcnt(1)
	v_mov_b32_e32 v2, 0
	v_addc_co_u32_e32 v1, vcc, 0, v17, vcc
	global_store_dwordx2 v2, v[0:1], s[20:21]
	s_endpgm
	.section	.rodata,"a",@progbits
	.p2align	6, 0x0
	.amdhsa_kernel _ZN7rocprim17ROCPRIM_400000_NS6detail17trampoline_kernelINS0_13select_configILj256ELj13ELNS0_17block_load_methodE3ELS4_3ELS4_3ELNS0_20block_scan_algorithmE0ELj4294967295EEENS1_25partition_config_selectorILNS1_17partition_subalgoE3EjNS0_10empty_typeEbEEZZNS1_14partition_implILS8_3ELb0ES6_jNS0_17counting_iteratorIjlEEPS9_SE_NS0_5tupleIJPjSE_EEENSF_IJSE_SE_EEES9_SG_JZNS1_25segmented_radix_sort_implINS0_14default_configELb0EPKhPhPKlPlN2at6native12_GLOBAL__N_18offset_tEEE10hipError_tPvRmT1_PNSt15iterator_traitsISY_E10value_typeET2_T3_PNSZ_IS14_E10value_typeET4_jRbjT5_S1A_jjP12ihipStream_tbEUljE_EEESV_SW_SX_S14_S18_S1A_T6_T7_T9_mT8_S1C_bDpT10_ENKUlT_T0_E_clISt17integral_constantIbLb1EES1P_EEDaS1K_S1L_EUlS1K_E_NS1_11comp_targetILNS1_3genE4ELNS1_11target_archE910ELNS1_3gpuE8ELNS1_3repE0EEENS1_30default_config_static_selectorELNS0_4arch9wavefront6targetE1EEEvSY_
		.amdhsa_group_segment_fixed_size 13324
		.amdhsa_private_segment_fixed_size 0
		.amdhsa_kernarg_size 152
		.amdhsa_user_sgpr_count 6
		.amdhsa_user_sgpr_private_segment_buffer 1
		.amdhsa_user_sgpr_dispatch_ptr 0
		.amdhsa_user_sgpr_queue_ptr 0
		.amdhsa_user_sgpr_kernarg_segment_ptr 1
		.amdhsa_user_sgpr_dispatch_id 0
		.amdhsa_user_sgpr_flat_scratch_init 0
		.amdhsa_user_sgpr_kernarg_preload_length 0
		.amdhsa_user_sgpr_kernarg_preload_offset 0
		.amdhsa_user_sgpr_private_segment_size 0
		.amdhsa_uses_dynamic_stack 0
		.amdhsa_system_sgpr_private_segment_wavefront_offset 0
		.amdhsa_system_sgpr_workgroup_id_x 1
		.amdhsa_system_sgpr_workgroup_id_y 0
		.amdhsa_system_sgpr_workgroup_id_z 0
		.amdhsa_system_sgpr_workgroup_info 0
		.amdhsa_system_vgpr_workitem_id 0
		.amdhsa_next_free_vgpr 64
		.amdhsa_next_free_sgpr 44
		.amdhsa_accum_offset 64
		.amdhsa_reserve_vcc 1
		.amdhsa_reserve_flat_scratch 0
		.amdhsa_float_round_mode_32 0
		.amdhsa_float_round_mode_16_64 0
		.amdhsa_float_denorm_mode_32 3
		.amdhsa_float_denorm_mode_16_64 3
		.amdhsa_dx10_clamp 1
		.amdhsa_ieee_mode 1
		.amdhsa_fp16_overflow 0
		.amdhsa_tg_split 0
		.amdhsa_exception_fp_ieee_invalid_op 0
		.amdhsa_exception_fp_denorm_src 0
		.amdhsa_exception_fp_ieee_div_zero 0
		.amdhsa_exception_fp_ieee_overflow 0
		.amdhsa_exception_fp_ieee_underflow 0
		.amdhsa_exception_fp_ieee_inexact 0
		.amdhsa_exception_int_div_zero 0
	.end_amdhsa_kernel
	.section	.text._ZN7rocprim17ROCPRIM_400000_NS6detail17trampoline_kernelINS0_13select_configILj256ELj13ELNS0_17block_load_methodE3ELS4_3ELS4_3ELNS0_20block_scan_algorithmE0ELj4294967295EEENS1_25partition_config_selectorILNS1_17partition_subalgoE3EjNS0_10empty_typeEbEEZZNS1_14partition_implILS8_3ELb0ES6_jNS0_17counting_iteratorIjlEEPS9_SE_NS0_5tupleIJPjSE_EEENSF_IJSE_SE_EEES9_SG_JZNS1_25segmented_radix_sort_implINS0_14default_configELb0EPKhPhPKlPlN2at6native12_GLOBAL__N_18offset_tEEE10hipError_tPvRmT1_PNSt15iterator_traitsISY_E10value_typeET2_T3_PNSZ_IS14_E10value_typeET4_jRbjT5_S1A_jjP12ihipStream_tbEUljE_EEESV_SW_SX_S14_S18_S1A_T6_T7_T9_mT8_S1C_bDpT10_ENKUlT_T0_E_clISt17integral_constantIbLb1EES1P_EEDaS1K_S1L_EUlS1K_E_NS1_11comp_targetILNS1_3genE4ELNS1_11target_archE910ELNS1_3gpuE8ELNS1_3repE0EEENS1_30default_config_static_selectorELNS0_4arch9wavefront6targetE1EEEvSY_,"axG",@progbits,_ZN7rocprim17ROCPRIM_400000_NS6detail17trampoline_kernelINS0_13select_configILj256ELj13ELNS0_17block_load_methodE3ELS4_3ELS4_3ELNS0_20block_scan_algorithmE0ELj4294967295EEENS1_25partition_config_selectorILNS1_17partition_subalgoE3EjNS0_10empty_typeEbEEZZNS1_14partition_implILS8_3ELb0ES6_jNS0_17counting_iteratorIjlEEPS9_SE_NS0_5tupleIJPjSE_EEENSF_IJSE_SE_EEES9_SG_JZNS1_25segmented_radix_sort_implINS0_14default_configELb0EPKhPhPKlPlN2at6native12_GLOBAL__N_18offset_tEEE10hipError_tPvRmT1_PNSt15iterator_traitsISY_E10value_typeET2_T3_PNSZ_IS14_E10value_typeET4_jRbjT5_S1A_jjP12ihipStream_tbEUljE_EEESV_SW_SX_S14_S18_S1A_T6_T7_T9_mT8_S1C_bDpT10_ENKUlT_T0_E_clISt17integral_constantIbLb1EES1P_EEDaS1K_S1L_EUlS1K_E_NS1_11comp_targetILNS1_3genE4ELNS1_11target_archE910ELNS1_3gpuE8ELNS1_3repE0EEENS1_30default_config_static_selectorELNS0_4arch9wavefront6targetE1EEEvSY_,comdat
.Lfunc_end164:
	.size	_ZN7rocprim17ROCPRIM_400000_NS6detail17trampoline_kernelINS0_13select_configILj256ELj13ELNS0_17block_load_methodE3ELS4_3ELS4_3ELNS0_20block_scan_algorithmE0ELj4294967295EEENS1_25partition_config_selectorILNS1_17partition_subalgoE3EjNS0_10empty_typeEbEEZZNS1_14partition_implILS8_3ELb0ES6_jNS0_17counting_iteratorIjlEEPS9_SE_NS0_5tupleIJPjSE_EEENSF_IJSE_SE_EEES9_SG_JZNS1_25segmented_radix_sort_implINS0_14default_configELb0EPKhPhPKlPlN2at6native12_GLOBAL__N_18offset_tEEE10hipError_tPvRmT1_PNSt15iterator_traitsISY_E10value_typeET2_T3_PNSZ_IS14_E10value_typeET4_jRbjT5_S1A_jjP12ihipStream_tbEUljE_EEESV_SW_SX_S14_S18_S1A_T6_T7_T9_mT8_S1C_bDpT10_ENKUlT_T0_E_clISt17integral_constantIbLb1EES1P_EEDaS1K_S1L_EUlS1K_E_NS1_11comp_targetILNS1_3genE4ELNS1_11target_archE910ELNS1_3gpuE8ELNS1_3repE0EEENS1_30default_config_static_selectorELNS0_4arch9wavefront6targetE1EEEvSY_, .Lfunc_end164-_ZN7rocprim17ROCPRIM_400000_NS6detail17trampoline_kernelINS0_13select_configILj256ELj13ELNS0_17block_load_methodE3ELS4_3ELS4_3ELNS0_20block_scan_algorithmE0ELj4294967295EEENS1_25partition_config_selectorILNS1_17partition_subalgoE3EjNS0_10empty_typeEbEEZZNS1_14partition_implILS8_3ELb0ES6_jNS0_17counting_iteratorIjlEEPS9_SE_NS0_5tupleIJPjSE_EEENSF_IJSE_SE_EEES9_SG_JZNS1_25segmented_radix_sort_implINS0_14default_configELb0EPKhPhPKlPlN2at6native12_GLOBAL__N_18offset_tEEE10hipError_tPvRmT1_PNSt15iterator_traitsISY_E10value_typeET2_T3_PNSZ_IS14_E10value_typeET4_jRbjT5_S1A_jjP12ihipStream_tbEUljE_EEESV_SW_SX_S14_S18_S1A_T6_T7_T9_mT8_S1C_bDpT10_ENKUlT_T0_E_clISt17integral_constantIbLb1EES1P_EEDaS1K_S1L_EUlS1K_E_NS1_11comp_targetILNS1_3genE4ELNS1_11target_archE910ELNS1_3gpuE8ELNS1_3repE0EEENS1_30default_config_static_selectorELNS0_4arch9wavefront6targetE1EEEvSY_
                                        ; -- End function
	.section	.AMDGPU.csdata,"",@progbits
; Kernel info:
; codeLenInByte = 7896
; NumSgprs: 48
; NumVgprs: 64
; NumAgprs: 0
; TotalNumVgprs: 64
; ScratchSize: 0
; MemoryBound: 0
; FloatMode: 240
; IeeeMode: 1
; LDSByteSize: 13324 bytes/workgroup (compile time only)
; SGPRBlocks: 5
; VGPRBlocks: 7
; NumSGPRsForWavesPerEU: 48
; NumVGPRsForWavesPerEU: 64
; AccumOffset: 64
; Occupancy: 4
; WaveLimiterHint : 0
; COMPUTE_PGM_RSRC2:SCRATCH_EN: 0
; COMPUTE_PGM_RSRC2:USER_SGPR: 6
; COMPUTE_PGM_RSRC2:TRAP_HANDLER: 0
; COMPUTE_PGM_RSRC2:TGID_X_EN: 1
; COMPUTE_PGM_RSRC2:TGID_Y_EN: 0
; COMPUTE_PGM_RSRC2:TGID_Z_EN: 0
; COMPUTE_PGM_RSRC2:TIDIG_COMP_CNT: 0
; COMPUTE_PGM_RSRC3_GFX90A:ACCUM_OFFSET: 15
; COMPUTE_PGM_RSRC3_GFX90A:TG_SPLIT: 0
	.section	.text._ZN7rocprim17ROCPRIM_400000_NS6detail17trampoline_kernelINS0_13select_configILj256ELj13ELNS0_17block_load_methodE3ELS4_3ELS4_3ELNS0_20block_scan_algorithmE0ELj4294967295EEENS1_25partition_config_selectorILNS1_17partition_subalgoE3EjNS0_10empty_typeEbEEZZNS1_14partition_implILS8_3ELb0ES6_jNS0_17counting_iteratorIjlEEPS9_SE_NS0_5tupleIJPjSE_EEENSF_IJSE_SE_EEES9_SG_JZNS1_25segmented_radix_sort_implINS0_14default_configELb0EPKhPhPKlPlN2at6native12_GLOBAL__N_18offset_tEEE10hipError_tPvRmT1_PNSt15iterator_traitsISY_E10value_typeET2_T3_PNSZ_IS14_E10value_typeET4_jRbjT5_S1A_jjP12ihipStream_tbEUljE_EEESV_SW_SX_S14_S18_S1A_T6_T7_T9_mT8_S1C_bDpT10_ENKUlT_T0_E_clISt17integral_constantIbLb1EES1P_EEDaS1K_S1L_EUlS1K_E_NS1_11comp_targetILNS1_3genE3ELNS1_11target_archE908ELNS1_3gpuE7ELNS1_3repE0EEENS1_30default_config_static_selectorELNS0_4arch9wavefront6targetE1EEEvSY_,"axG",@progbits,_ZN7rocprim17ROCPRIM_400000_NS6detail17trampoline_kernelINS0_13select_configILj256ELj13ELNS0_17block_load_methodE3ELS4_3ELS4_3ELNS0_20block_scan_algorithmE0ELj4294967295EEENS1_25partition_config_selectorILNS1_17partition_subalgoE3EjNS0_10empty_typeEbEEZZNS1_14partition_implILS8_3ELb0ES6_jNS0_17counting_iteratorIjlEEPS9_SE_NS0_5tupleIJPjSE_EEENSF_IJSE_SE_EEES9_SG_JZNS1_25segmented_radix_sort_implINS0_14default_configELb0EPKhPhPKlPlN2at6native12_GLOBAL__N_18offset_tEEE10hipError_tPvRmT1_PNSt15iterator_traitsISY_E10value_typeET2_T3_PNSZ_IS14_E10value_typeET4_jRbjT5_S1A_jjP12ihipStream_tbEUljE_EEESV_SW_SX_S14_S18_S1A_T6_T7_T9_mT8_S1C_bDpT10_ENKUlT_T0_E_clISt17integral_constantIbLb1EES1P_EEDaS1K_S1L_EUlS1K_E_NS1_11comp_targetILNS1_3genE3ELNS1_11target_archE908ELNS1_3gpuE7ELNS1_3repE0EEENS1_30default_config_static_selectorELNS0_4arch9wavefront6targetE1EEEvSY_,comdat
	.globl	_ZN7rocprim17ROCPRIM_400000_NS6detail17trampoline_kernelINS0_13select_configILj256ELj13ELNS0_17block_load_methodE3ELS4_3ELS4_3ELNS0_20block_scan_algorithmE0ELj4294967295EEENS1_25partition_config_selectorILNS1_17partition_subalgoE3EjNS0_10empty_typeEbEEZZNS1_14partition_implILS8_3ELb0ES6_jNS0_17counting_iteratorIjlEEPS9_SE_NS0_5tupleIJPjSE_EEENSF_IJSE_SE_EEES9_SG_JZNS1_25segmented_radix_sort_implINS0_14default_configELb0EPKhPhPKlPlN2at6native12_GLOBAL__N_18offset_tEEE10hipError_tPvRmT1_PNSt15iterator_traitsISY_E10value_typeET2_T3_PNSZ_IS14_E10value_typeET4_jRbjT5_S1A_jjP12ihipStream_tbEUljE_EEESV_SW_SX_S14_S18_S1A_T6_T7_T9_mT8_S1C_bDpT10_ENKUlT_T0_E_clISt17integral_constantIbLb1EES1P_EEDaS1K_S1L_EUlS1K_E_NS1_11comp_targetILNS1_3genE3ELNS1_11target_archE908ELNS1_3gpuE7ELNS1_3repE0EEENS1_30default_config_static_selectorELNS0_4arch9wavefront6targetE1EEEvSY_ ; -- Begin function _ZN7rocprim17ROCPRIM_400000_NS6detail17trampoline_kernelINS0_13select_configILj256ELj13ELNS0_17block_load_methodE3ELS4_3ELS4_3ELNS0_20block_scan_algorithmE0ELj4294967295EEENS1_25partition_config_selectorILNS1_17partition_subalgoE3EjNS0_10empty_typeEbEEZZNS1_14partition_implILS8_3ELb0ES6_jNS0_17counting_iteratorIjlEEPS9_SE_NS0_5tupleIJPjSE_EEENSF_IJSE_SE_EEES9_SG_JZNS1_25segmented_radix_sort_implINS0_14default_configELb0EPKhPhPKlPlN2at6native12_GLOBAL__N_18offset_tEEE10hipError_tPvRmT1_PNSt15iterator_traitsISY_E10value_typeET2_T3_PNSZ_IS14_E10value_typeET4_jRbjT5_S1A_jjP12ihipStream_tbEUljE_EEESV_SW_SX_S14_S18_S1A_T6_T7_T9_mT8_S1C_bDpT10_ENKUlT_T0_E_clISt17integral_constantIbLb1EES1P_EEDaS1K_S1L_EUlS1K_E_NS1_11comp_targetILNS1_3genE3ELNS1_11target_archE908ELNS1_3gpuE7ELNS1_3repE0EEENS1_30default_config_static_selectorELNS0_4arch9wavefront6targetE1EEEvSY_
	.p2align	8
	.type	_ZN7rocprim17ROCPRIM_400000_NS6detail17trampoline_kernelINS0_13select_configILj256ELj13ELNS0_17block_load_methodE3ELS4_3ELS4_3ELNS0_20block_scan_algorithmE0ELj4294967295EEENS1_25partition_config_selectorILNS1_17partition_subalgoE3EjNS0_10empty_typeEbEEZZNS1_14partition_implILS8_3ELb0ES6_jNS0_17counting_iteratorIjlEEPS9_SE_NS0_5tupleIJPjSE_EEENSF_IJSE_SE_EEES9_SG_JZNS1_25segmented_radix_sort_implINS0_14default_configELb0EPKhPhPKlPlN2at6native12_GLOBAL__N_18offset_tEEE10hipError_tPvRmT1_PNSt15iterator_traitsISY_E10value_typeET2_T3_PNSZ_IS14_E10value_typeET4_jRbjT5_S1A_jjP12ihipStream_tbEUljE_EEESV_SW_SX_S14_S18_S1A_T6_T7_T9_mT8_S1C_bDpT10_ENKUlT_T0_E_clISt17integral_constantIbLb1EES1P_EEDaS1K_S1L_EUlS1K_E_NS1_11comp_targetILNS1_3genE3ELNS1_11target_archE908ELNS1_3gpuE7ELNS1_3repE0EEENS1_30default_config_static_selectorELNS0_4arch9wavefront6targetE1EEEvSY_,@function
_ZN7rocprim17ROCPRIM_400000_NS6detail17trampoline_kernelINS0_13select_configILj256ELj13ELNS0_17block_load_methodE3ELS4_3ELS4_3ELNS0_20block_scan_algorithmE0ELj4294967295EEENS1_25partition_config_selectorILNS1_17partition_subalgoE3EjNS0_10empty_typeEbEEZZNS1_14partition_implILS8_3ELb0ES6_jNS0_17counting_iteratorIjlEEPS9_SE_NS0_5tupleIJPjSE_EEENSF_IJSE_SE_EEES9_SG_JZNS1_25segmented_radix_sort_implINS0_14default_configELb0EPKhPhPKlPlN2at6native12_GLOBAL__N_18offset_tEEE10hipError_tPvRmT1_PNSt15iterator_traitsISY_E10value_typeET2_T3_PNSZ_IS14_E10value_typeET4_jRbjT5_S1A_jjP12ihipStream_tbEUljE_EEESV_SW_SX_S14_S18_S1A_T6_T7_T9_mT8_S1C_bDpT10_ENKUlT_T0_E_clISt17integral_constantIbLb1EES1P_EEDaS1K_S1L_EUlS1K_E_NS1_11comp_targetILNS1_3genE3ELNS1_11target_archE908ELNS1_3gpuE7ELNS1_3repE0EEENS1_30default_config_static_selectorELNS0_4arch9wavefront6targetE1EEEvSY_: ; @_ZN7rocprim17ROCPRIM_400000_NS6detail17trampoline_kernelINS0_13select_configILj256ELj13ELNS0_17block_load_methodE3ELS4_3ELS4_3ELNS0_20block_scan_algorithmE0ELj4294967295EEENS1_25partition_config_selectorILNS1_17partition_subalgoE3EjNS0_10empty_typeEbEEZZNS1_14partition_implILS8_3ELb0ES6_jNS0_17counting_iteratorIjlEEPS9_SE_NS0_5tupleIJPjSE_EEENSF_IJSE_SE_EEES9_SG_JZNS1_25segmented_radix_sort_implINS0_14default_configELb0EPKhPhPKlPlN2at6native12_GLOBAL__N_18offset_tEEE10hipError_tPvRmT1_PNSt15iterator_traitsISY_E10value_typeET2_T3_PNSZ_IS14_E10value_typeET4_jRbjT5_S1A_jjP12ihipStream_tbEUljE_EEESV_SW_SX_S14_S18_S1A_T6_T7_T9_mT8_S1C_bDpT10_ENKUlT_T0_E_clISt17integral_constantIbLb1EES1P_EEDaS1K_S1L_EUlS1K_E_NS1_11comp_targetILNS1_3genE3ELNS1_11target_archE908ELNS1_3gpuE7ELNS1_3repE0EEENS1_30default_config_static_selectorELNS0_4arch9wavefront6targetE1EEEvSY_
; %bb.0:
	.section	.rodata,"a",@progbits
	.p2align	6, 0x0
	.amdhsa_kernel _ZN7rocprim17ROCPRIM_400000_NS6detail17trampoline_kernelINS0_13select_configILj256ELj13ELNS0_17block_load_methodE3ELS4_3ELS4_3ELNS0_20block_scan_algorithmE0ELj4294967295EEENS1_25partition_config_selectorILNS1_17partition_subalgoE3EjNS0_10empty_typeEbEEZZNS1_14partition_implILS8_3ELb0ES6_jNS0_17counting_iteratorIjlEEPS9_SE_NS0_5tupleIJPjSE_EEENSF_IJSE_SE_EEES9_SG_JZNS1_25segmented_radix_sort_implINS0_14default_configELb0EPKhPhPKlPlN2at6native12_GLOBAL__N_18offset_tEEE10hipError_tPvRmT1_PNSt15iterator_traitsISY_E10value_typeET2_T3_PNSZ_IS14_E10value_typeET4_jRbjT5_S1A_jjP12ihipStream_tbEUljE_EEESV_SW_SX_S14_S18_S1A_T6_T7_T9_mT8_S1C_bDpT10_ENKUlT_T0_E_clISt17integral_constantIbLb1EES1P_EEDaS1K_S1L_EUlS1K_E_NS1_11comp_targetILNS1_3genE3ELNS1_11target_archE908ELNS1_3gpuE7ELNS1_3repE0EEENS1_30default_config_static_selectorELNS0_4arch9wavefront6targetE1EEEvSY_
		.amdhsa_group_segment_fixed_size 0
		.amdhsa_private_segment_fixed_size 0
		.amdhsa_kernarg_size 152
		.amdhsa_user_sgpr_count 6
		.amdhsa_user_sgpr_private_segment_buffer 1
		.amdhsa_user_sgpr_dispatch_ptr 0
		.amdhsa_user_sgpr_queue_ptr 0
		.amdhsa_user_sgpr_kernarg_segment_ptr 1
		.amdhsa_user_sgpr_dispatch_id 0
		.amdhsa_user_sgpr_flat_scratch_init 0
		.amdhsa_user_sgpr_kernarg_preload_length 0
		.amdhsa_user_sgpr_kernarg_preload_offset 0
		.amdhsa_user_sgpr_private_segment_size 0
		.amdhsa_uses_dynamic_stack 0
		.amdhsa_system_sgpr_private_segment_wavefront_offset 0
		.amdhsa_system_sgpr_workgroup_id_x 1
		.amdhsa_system_sgpr_workgroup_id_y 0
		.amdhsa_system_sgpr_workgroup_id_z 0
		.amdhsa_system_sgpr_workgroup_info 0
		.amdhsa_system_vgpr_workitem_id 0
		.amdhsa_next_free_vgpr 1
		.amdhsa_next_free_sgpr 0
		.amdhsa_accum_offset 4
		.amdhsa_reserve_vcc 0
		.amdhsa_reserve_flat_scratch 0
		.amdhsa_float_round_mode_32 0
		.amdhsa_float_round_mode_16_64 0
		.amdhsa_float_denorm_mode_32 3
		.amdhsa_float_denorm_mode_16_64 3
		.amdhsa_dx10_clamp 1
		.amdhsa_ieee_mode 1
		.amdhsa_fp16_overflow 0
		.amdhsa_tg_split 0
		.amdhsa_exception_fp_ieee_invalid_op 0
		.amdhsa_exception_fp_denorm_src 0
		.amdhsa_exception_fp_ieee_div_zero 0
		.amdhsa_exception_fp_ieee_overflow 0
		.amdhsa_exception_fp_ieee_underflow 0
		.amdhsa_exception_fp_ieee_inexact 0
		.amdhsa_exception_int_div_zero 0
	.end_amdhsa_kernel
	.section	.text._ZN7rocprim17ROCPRIM_400000_NS6detail17trampoline_kernelINS0_13select_configILj256ELj13ELNS0_17block_load_methodE3ELS4_3ELS4_3ELNS0_20block_scan_algorithmE0ELj4294967295EEENS1_25partition_config_selectorILNS1_17partition_subalgoE3EjNS0_10empty_typeEbEEZZNS1_14partition_implILS8_3ELb0ES6_jNS0_17counting_iteratorIjlEEPS9_SE_NS0_5tupleIJPjSE_EEENSF_IJSE_SE_EEES9_SG_JZNS1_25segmented_radix_sort_implINS0_14default_configELb0EPKhPhPKlPlN2at6native12_GLOBAL__N_18offset_tEEE10hipError_tPvRmT1_PNSt15iterator_traitsISY_E10value_typeET2_T3_PNSZ_IS14_E10value_typeET4_jRbjT5_S1A_jjP12ihipStream_tbEUljE_EEESV_SW_SX_S14_S18_S1A_T6_T7_T9_mT8_S1C_bDpT10_ENKUlT_T0_E_clISt17integral_constantIbLb1EES1P_EEDaS1K_S1L_EUlS1K_E_NS1_11comp_targetILNS1_3genE3ELNS1_11target_archE908ELNS1_3gpuE7ELNS1_3repE0EEENS1_30default_config_static_selectorELNS0_4arch9wavefront6targetE1EEEvSY_,"axG",@progbits,_ZN7rocprim17ROCPRIM_400000_NS6detail17trampoline_kernelINS0_13select_configILj256ELj13ELNS0_17block_load_methodE3ELS4_3ELS4_3ELNS0_20block_scan_algorithmE0ELj4294967295EEENS1_25partition_config_selectorILNS1_17partition_subalgoE3EjNS0_10empty_typeEbEEZZNS1_14partition_implILS8_3ELb0ES6_jNS0_17counting_iteratorIjlEEPS9_SE_NS0_5tupleIJPjSE_EEENSF_IJSE_SE_EEES9_SG_JZNS1_25segmented_radix_sort_implINS0_14default_configELb0EPKhPhPKlPlN2at6native12_GLOBAL__N_18offset_tEEE10hipError_tPvRmT1_PNSt15iterator_traitsISY_E10value_typeET2_T3_PNSZ_IS14_E10value_typeET4_jRbjT5_S1A_jjP12ihipStream_tbEUljE_EEESV_SW_SX_S14_S18_S1A_T6_T7_T9_mT8_S1C_bDpT10_ENKUlT_T0_E_clISt17integral_constantIbLb1EES1P_EEDaS1K_S1L_EUlS1K_E_NS1_11comp_targetILNS1_3genE3ELNS1_11target_archE908ELNS1_3gpuE7ELNS1_3repE0EEENS1_30default_config_static_selectorELNS0_4arch9wavefront6targetE1EEEvSY_,comdat
.Lfunc_end165:
	.size	_ZN7rocprim17ROCPRIM_400000_NS6detail17trampoline_kernelINS0_13select_configILj256ELj13ELNS0_17block_load_methodE3ELS4_3ELS4_3ELNS0_20block_scan_algorithmE0ELj4294967295EEENS1_25partition_config_selectorILNS1_17partition_subalgoE3EjNS0_10empty_typeEbEEZZNS1_14partition_implILS8_3ELb0ES6_jNS0_17counting_iteratorIjlEEPS9_SE_NS0_5tupleIJPjSE_EEENSF_IJSE_SE_EEES9_SG_JZNS1_25segmented_radix_sort_implINS0_14default_configELb0EPKhPhPKlPlN2at6native12_GLOBAL__N_18offset_tEEE10hipError_tPvRmT1_PNSt15iterator_traitsISY_E10value_typeET2_T3_PNSZ_IS14_E10value_typeET4_jRbjT5_S1A_jjP12ihipStream_tbEUljE_EEESV_SW_SX_S14_S18_S1A_T6_T7_T9_mT8_S1C_bDpT10_ENKUlT_T0_E_clISt17integral_constantIbLb1EES1P_EEDaS1K_S1L_EUlS1K_E_NS1_11comp_targetILNS1_3genE3ELNS1_11target_archE908ELNS1_3gpuE7ELNS1_3repE0EEENS1_30default_config_static_selectorELNS0_4arch9wavefront6targetE1EEEvSY_, .Lfunc_end165-_ZN7rocprim17ROCPRIM_400000_NS6detail17trampoline_kernelINS0_13select_configILj256ELj13ELNS0_17block_load_methodE3ELS4_3ELS4_3ELNS0_20block_scan_algorithmE0ELj4294967295EEENS1_25partition_config_selectorILNS1_17partition_subalgoE3EjNS0_10empty_typeEbEEZZNS1_14partition_implILS8_3ELb0ES6_jNS0_17counting_iteratorIjlEEPS9_SE_NS0_5tupleIJPjSE_EEENSF_IJSE_SE_EEES9_SG_JZNS1_25segmented_radix_sort_implINS0_14default_configELb0EPKhPhPKlPlN2at6native12_GLOBAL__N_18offset_tEEE10hipError_tPvRmT1_PNSt15iterator_traitsISY_E10value_typeET2_T3_PNSZ_IS14_E10value_typeET4_jRbjT5_S1A_jjP12ihipStream_tbEUljE_EEESV_SW_SX_S14_S18_S1A_T6_T7_T9_mT8_S1C_bDpT10_ENKUlT_T0_E_clISt17integral_constantIbLb1EES1P_EEDaS1K_S1L_EUlS1K_E_NS1_11comp_targetILNS1_3genE3ELNS1_11target_archE908ELNS1_3gpuE7ELNS1_3repE0EEENS1_30default_config_static_selectorELNS0_4arch9wavefront6targetE1EEEvSY_
                                        ; -- End function
	.section	.AMDGPU.csdata,"",@progbits
; Kernel info:
; codeLenInByte = 0
; NumSgprs: 4
; NumVgprs: 0
; NumAgprs: 0
; TotalNumVgprs: 0
; ScratchSize: 0
; MemoryBound: 0
; FloatMode: 240
; IeeeMode: 1
; LDSByteSize: 0 bytes/workgroup (compile time only)
; SGPRBlocks: 0
; VGPRBlocks: 0
; NumSGPRsForWavesPerEU: 4
; NumVGPRsForWavesPerEU: 1
; AccumOffset: 4
; Occupancy: 8
; WaveLimiterHint : 0
; COMPUTE_PGM_RSRC2:SCRATCH_EN: 0
; COMPUTE_PGM_RSRC2:USER_SGPR: 6
; COMPUTE_PGM_RSRC2:TRAP_HANDLER: 0
; COMPUTE_PGM_RSRC2:TGID_X_EN: 1
; COMPUTE_PGM_RSRC2:TGID_Y_EN: 0
; COMPUTE_PGM_RSRC2:TGID_Z_EN: 0
; COMPUTE_PGM_RSRC2:TIDIG_COMP_CNT: 0
; COMPUTE_PGM_RSRC3_GFX90A:ACCUM_OFFSET: 0
; COMPUTE_PGM_RSRC3_GFX90A:TG_SPLIT: 0
	.section	.text._ZN7rocprim17ROCPRIM_400000_NS6detail17trampoline_kernelINS0_13select_configILj256ELj13ELNS0_17block_load_methodE3ELS4_3ELS4_3ELNS0_20block_scan_algorithmE0ELj4294967295EEENS1_25partition_config_selectorILNS1_17partition_subalgoE3EjNS0_10empty_typeEbEEZZNS1_14partition_implILS8_3ELb0ES6_jNS0_17counting_iteratorIjlEEPS9_SE_NS0_5tupleIJPjSE_EEENSF_IJSE_SE_EEES9_SG_JZNS1_25segmented_radix_sort_implINS0_14default_configELb0EPKhPhPKlPlN2at6native12_GLOBAL__N_18offset_tEEE10hipError_tPvRmT1_PNSt15iterator_traitsISY_E10value_typeET2_T3_PNSZ_IS14_E10value_typeET4_jRbjT5_S1A_jjP12ihipStream_tbEUljE_EEESV_SW_SX_S14_S18_S1A_T6_T7_T9_mT8_S1C_bDpT10_ENKUlT_T0_E_clISt17integral_constantIbLb1EES1P_EEDaS1K_S1L_EUlS1K_E_NS1_11comp_targetILNS1_3genE2ELNS1_11target_archE906ELNS1_3gpuE6ELNS1_3repE0EEENS1_30default_config_static_selectorELNS0_4arch9wavefront6targetE1EEEvSY_,"axG",@progbits,_ZN7rocprim17ROCPRIM_400000_NS6detail17trampoline_kernelINS0_13select_configILj256ELj13ELNS0_17block_load_methodE3ELS4_3ELS4_3ELNS0_20block_scan_algorithmE0ELj4294967295EEENS1_25partition_config_selectorILNS1_17partition_subalgoE3EjNS0_10empty_typeEbEEZZNS1_14partition_implILS8_3ELb0ES6_jNS0_17counting_iteratorIjlEEPS9_SE_NS0_5tupleIJPjSE_EEENSF_IJSE_SE_EEES9_SG_JZNS1_25segmented_radix_sort_implINS0_14default_configELb0EPKhPhPKlPlN2at6native12_GLOBAL__N_18offset_tEEE10hipError_tPvRmT1_PNSt15iterator_traitsISY_E10value_typeET2_T3_PNSZ_IS14_E10value_typeET4_jRbjT5_S1A_jjP12ihipStream_tbEUljE_EEESV_SW_SX_S14_S18_S1A_T6_T7_T9_mT8_S1C_bDpT10_ENKUlT_T0_E_clISt17integral_constantIbLb1EES1P_EEDaS1K_S1L_EUlS1K_E_NS1_11comp_targetILNS1_3genE2ELNS1_11target_archE906ELNS1_3gpuE6ELNS1_3repE0EEENS1_30default_config_static_selectorELNS0_4arch9wavefront6targetE1EEEvSY_,comdat
	.globl	_ZN7rocprim17ROCPRIM_400000_NS6detail17trampoline_kernelINS0_13select_configILj256ELj13ELNS0_17block_load_methodE3ELS4_3ELS4_3ELNS0_20block_scan_algorithmE0ELj4294967295EEENS1_25partition_config_selectorILNS1_17partition_subalgoE3EjNS0_10empty_typeEbEEZZNS1_14partition_implILS8_3ELb0ES6_jNS0_17counting_iteratorIjlEEPS9_SE_NS0_5tupleIJPjSE_EEENSF_IJSE_SE_EEES9_SG_JZNS1_25segmented_radix_sort_implINS0_14default_configELb0EPKhPhPKlPlN2at6native12_GLOBAL__N_18offset_tEEE10hipError_tPvRmT1_PNSt15iterator_traitsISY_E10value_typeET2_T3_PNSZ_IS14_E10value_typeET4_jRbjT5_S1A_jjP12ihipStream_tbEUljE_EEESV_SW_SX_S14_S18_S1A_T6_T7_T9_mT8_S1C_bDpT10_ENKUlT_T0_E_clISt17integral_constantIbLb1EES1P_EEDaS1K_S1L_EUlS1K_E_NS1_11comp_targetILNS1_3genE2ELNS1_11target_archE906ELNS1_3gpuE6ELNS1_3repE0EEENS1_30default_config_static_selectorELNS0_4arch9wavefront6targetE1EEEvSY_ ; -- Begin function _ZN7rocprim17ROCPRIM_400000_NS6detail17trampoline_kernelINS0_13select_configILj256ELj13ELNS0_17block_load_methodE3ELS4_3ELS4_3ELNS0_20block_scan_algorithmE0ELj4294967295EEENS1_25partition_config_selectorILNS1_17partition_subalgoE3EjNS0_10empty_typeEbEEZZNS1_14partition_implILS8_3ELb0ES6_jNS0_17counting_iteratorIjlEEPS9_SE_NS0_5tupleIJPjSE_EEENSF_IJSE_SE_EEES9_SG_JZNS1_25segmented_radix_sort_implINS0_14default_configELb0EPKhPhPKlPlN2at6native12_GLOBAL__N_18offset_tEEE10hipError_tPvRmT1_PNSt15iterator_traitsISY_E10value_typeET2_T3_PNSZ_IS14_E10value_typeET4_jRbjT5_S1A_jjP12ihipStream_tbEUljE_EEESV_SW_SX_S14_S18_S1A_T6_T7_T9_mT8_S1C_bDpT10_ENKUlT_T0_E_clISt17integral_constantIbLb1EES1P_EEDaS1K_S1L_EUlS1K_E_NS1_11comp_targetILNS1_3genE2ELNS1_11target_archE906ELNS1_3gpuE6ELNS1_3repE0EEENS1_30default_config_static_selectorELNS0_4arch9wavefront6targetE1EEEvSY_
	.p2align	8
	.type	_ZN7rocprim17ROCPRIM_400000_NS6detail17trampoline_kernelINS0_13select_configILj256ELj13ELNS0_17block_load_methodE3ELS4_3ELS4_3ELNS0_20block_scan_algorithmE0ELj4294967295EEENS1_25partition_config_selectorILNS1_17partition_subalgoE3EjNS0_10empty_typeEbEEZZNS1_14partition_implILS8_3ELb0ES6_jNS0_17counting_iteratorIjlEEPS9_SE_NS0_5tupleIJPjSE_EEENSF_IJSE_SE_EEES9_SG_JZNS1_25segmented_radix_sort_implINS0_14default_configELb0EPKhPhPKlPlN2at6native12_GLOBAL__N_18offset_tEEE10hipError_tPvRmT1_PNSt15iterator_traitsISY_E10value_typeET2_T3_PNSZ_IS14_E10value_typeET4_jRbjT5_S1A_jjP12ihipStream_tbEUljE_EEESV_SW_SX_S14_S18_S1A_T6_T7_T9_mT8_S1C_bDpT10_ENKUlT_T0_E_clISt17integral_constantIbLb1EES1P_EEDaS1K_S1L_EUlS1K_E_NS1_11comp_targetILNS1_3genE2ELNS1_11target_archE906ELNS1_3gpuE6ELNS1_3repE0EEENS1_30default_config_static_selectorELNS0_4arch9wavefront6targetE1EEEvSY_,@function
_ZN7rocprim17ROCPRIM_400000_NS6detail17trampoline_kernelINS0_13select_configILj256ELj13ELNS0_17block_load_methodE3ELS4_3ELS4_3ELNS0_20block_scan_algorithmE0ELj4294967295EEENS1_25partition_config_selectorILNS1_17partition_subalgoE3EjNS0_10empty_typeEbEEZZNS1_14partition_implILS8_3ELb0ES6_jNS0_17counting_iteratorIjlEEPS9_SE_NS0_5tupleIJPjSE_EEENSF_IJSE_SE_EEES9_SG_JZNS1_25segmented_radix_sort_implINS0_14default_configELb0EPKhPhPKlPlN2at6native12_GLOBAL__N_18offset_tEEE10hipError_tPvRmT1_PNSt15iterator_traitsISY_E10value_typeET2_T3_PNSZ_IS14_E10value_typeET4_jRbjT5_S1A_jjP12ihipStream_tbEUljE_EEESV_SW_SX_S14_S18_S1A_T6_T7_T9_mT8_S1C_bDpT10_ENKUlT_T0_E_clISt17integral_constantIbLb1EES1P_EEDaS1K_S1L_EUlS1K_E_NS1_11comp_targetILNS1_3genE2ELNS1_11target_archE906ELNS1_3gpuE6ELNS1_3repE0EEENS1_30default_config_static_selectorELNS0_4arch9wavefront6targetE1EEEvSY_: ; @_ZN7rocprim17ROCPRIM_400000_NS6detail17trampoline_kernelINS0_13select_configILj256ELj13ELNS0_17block_load_methodE3ELS4_3ELS4_3ELNS0_20block_scan_algorithmE0ELj4294967295EEENS1_25partition_config_selectorILNS1_17partition_subalgoE3EjNS0_10empty_typeEbEEZZNS1_14partition_implILS8_3ELb0ES6_jNS0_17counting_iteratorIjlEEPS9_SE_NS0_5tupleIJPjSE_EEENSF_IJSE_SE_EEES9_SG_JZNS1_25segmented_radix_sort_implINS0_14default_configELb0EPKhPhPKlPlN2at6native12_GLOBAL__N_18offset_tEEE10hipError_tPvRmT1_PNSt15iterator_traitsISY_E10value_typeET2_T3_PNSZ_IS14_E10value_typeET4_jRbjT5_S1A_jjP12ihipStream_tbEUljE_EEESV_SW_SX_S14_S18_S1A_T6_T7_T9_mT8_S1C_bDpT10_ENKUlT_T0_E_clISt17integral_constantIbLb1EES1P_EEDaS1K_S1L_EUlS1K_E_NS1_11comp_targetILNS1_3genE2ELNS1_11target_archE906ELNS1_3gpuE6ELNS1_3repE0EEENS1_30default_config_static_selectorELNS0_4arch9wavefront6targetE1EEEvSY_
; %bb.0:
	.section	.rodata,"a",@progbits
	.p2align	6, 0x0
	.amdhsa_kernel _ZN7rocprim17ROCPRIM_400000_NS6detail17trampoline_kernelINS0_13select_configILj256ELj13ELNS0_17block_load_methodE3ELS4_3ELS4_3ELNS0_20block_scan_algorithmE0ELj4294967295EEENS1_25partition_config_selectorILNS1_17partition_subalgoE3EjNS0_10empty_typeEbEEZZNS1_14partition_implILS8_3ELb0ES6_jNS0_17counting_iteratorIjlEEPS9_SE_NS0_5tupleIJPjSE_EEENSF_IJSE_SE_EEES9_SG_JZNS1_25segmented_radix_sort_implINS0_14default_configELb0EPKhPhPKlPlN2at6native12_GLOBAL__N_18offset_tEEE10hipError_tPvRmT1_PNSt15iterator_traitsISY_E10value_typeET2_T3_PNSZ_IS14_E10value_typeET4_jRbjT5_S1A_jjP12ihipStream_tbEUljE_EEESV_SW_SX_S14_S18_S1A_T6_T7_T9_mT8_S1C_bDpT10_ENKUlT_T0_E_clISt17integral_constantIbLb1EES1P_EEDaS1K_S1L_EUlS1K_E_NS1_11comp_targetILNS1_3genE2ELNS1_11target_archE906ELNS1_3gpuE6ELNS1_3repE0EEENS1_30default_config_static_selectorELNS0_4arch9wavefront6targetE1EEEvSY_
		.amdhsa_group_segment_fixed_size 0
		.amdhsa_private_segment_fixed_size 0
		.amdhsa_kernarg_size 152
		.amdhsa_user_sgpr_count 6
		.amdhsa_user_sgpr_private_segment_buffer 1
		.amdhsa_user_sgpr_dispatch_ptr 0
		.amdhsa_user_sgpr_queue_ptr 0
		.amdhsa_user_sgpr_kernarg_segment_ptr 1
		.amdhsa_user_sgpr_dispatch_id 0
		.amdhsa_user_sgpr_flat_scratch_init 0
		.amdhsa_user_sgpr_kernarg_preload_length 0
		.amdhsa_user_sgpr_kernarg_preload_offset 0
		.amdhsa_user_sgpr_private_segment_size 0
		.amdhsa_uses_dynamic_stack 0
		.amdhsa_system_sgpr_private_segment_wavefront_offset 0
		.amdhsa_system_sgpr_workgroup_id_x 1
		.amdhsa_system_sgpr_workgroup_id_y 0
		.amdhsa_system_sgpr_workgroup_id_z 0
		.amdhsa_system_sgpr_workgroup_info 0
		.amdhsa_system_vgpr_workitem_id 0
		.amdhsa_next_free_vgpr 1
		.amdhsa_next_free_sgpr 0
		.amdhsa_accum_offset 4
		.amdhsa_reserve_vcc 0
		.amdhsa_reserve_flat_scratch 0
		.amdhsa_float_round_mode_32 0
		.amdhsa_float_round_mode_16_64 0
		.amdhsa_float_denorm_mode_32 3
		.amdhsa_float_denorm_mode_16_64 3
		.amdhsa_dx10_clamp 1
		.amdhsa_ieee_mode 1
		.amdhsa_fp16_overflow 0
		.amdhsa_tg_split 0
		.amdhsa_exception_fp_ieee_invalid_op 0
		.amdhsa_exception_fp_denorm_src 0
		.amdhsa_exception_fp_ieee_div_zero 0
		.amdhsa_exception_fp_ieee_overflow 0
		.amdhsa_exception_fp_ieee_underflow 0
		.amdhsa_exception_fp_ieee_inexact 0
		.amdhsa_exception_int_div_zero 0
	.end_amdhsa_kernel
	.section	.text._ZN7rocprim17ROCPRIM_400000_NS6detail17trampoline_kernelINS0_13select_configILj256ELj13ELNS0_17block_load_methodE3ELS4_3ELS4_3ELNS0_20block_scan_algorithmE0ELj4294967295EEENS1_25partition_config_selectorILNS1_17partition_subalgoE3EjNS0_10empty_typeEbEEZZNS1_14partition_implILS8_3ELb0ES6_jNS0_17counting_iteratorIjlEEPS9_SE_NS0_5tupleIJPjSE_EEENSF_IJSE_SE_EEES9_SG_JZNS1_25segmented_radix_sort_implINS0_14default_configELb0EPKhPhPKlPlN2at6native12_GLOBAL__N_18offset_tEEE10hipError_tPvRmT1_PNSt15iterator_traitsISY_E10value_typeET2_T3_PNSZ_IS14_E10value_typeET4_jRbjT5_S1A_jjP12ihipStream_tbEUljE_EEESV_SW_SX_S14_S18_S1A_T6_T7_T9_mT8_S1C_bDpT10_ENKUlT_T0_E_clISt17integral_constantIbLb1EES1P_EEDaS1K_S1L_EUlS1K_E_NS1_11comp_targetILNS1_3genE2ELNS1_11target_archE906ELNS1_3gpuE6ELNS1_3repE0EEENS1_30default_config_static_selectorELNS0_4arch9wavefront6targetE1EEEvSY_,"axG",@progbits,_ZN7rocprim17ROCPRIM_400000_NS6detail17trampoline_kernelINS0_13select_configILj256ELj13ELNS0_17block_load_methodE3ELS4_3ELS4_3ELNS0_20block_scan_algorithmE0ELj4294967295EEENS1_25partition_config_selectorILNS1_17partition_subalgoE3EjNS0_10empty_typeEbEEZZNS1_14partition_implILS8_3ELb0ES6_jNS0_17counting_iteratorIjlEEPS9_SE_NS0_5tupleIJPjSE_EEENSF_IJSE_SE_EEES9_SG_JZNS1_25segmented_radix_sort_implINS0_14default_configELb0EPKhPhPKlPlN2at6native12_GLOBAL__N_18offset_tEEE10hipError_tPvRmT1_PNSt15iterator_traitsISY_E10value_typeET2_T3_PNSZ_IS14_E10value_typeET4_jRbjT5_S1A_jjP12ihipStream_tbEUljE_EEESV_SW_SX_S14_S18_S1A_T6_T7_T9_mT8_S1C_bDpT10_ENKUlT_T0_E_clISt17integral_constantIbLb1EES1P_EEDaS1K_S1L_EUlS1K_E_NS1_11comp_targetILNS1_3genE2ELNS1_11target_archE906ELNS1_3gpuE6ELNS1_3repE0EEENS1_30default_config_static_selectorELNS0_4arch9wavefront6targetE1EEEvSY_,comdat
.Lfunc_end166:
	.size	_ZN7rocprim17ROCPRIM_400000_NS6detail17trampoline_kernelINS0_13select_configILj256ELj13ELNS0_17block_load_methodE3ELS4_3ELS4_3ELNS0_20block_scan_algorithmE0ELj4294967295EEENS1_25partition_config_selectorILNS1_17partition_subalgoE3EjNS0_10empty_typeEbEEZZNS1_14partition_implILS8_3ELb0ES6_jNS0_17counting_iteratorIjlEEPS9_SE_NS0_5tupleIJPjSE_EEENSF_IJSE_SE_EEES9_SG_JZNS1_25segmented_radix_sort_implINS0_14default_configELb0EPKhPhPKlPlN2at6native12_GLOBAL__N_18offset_tEEE10hipError_tPvRmT1_PNSt15iterator_traitsISY_E10value_typeET2_T3_PNSZ_IS14_E10value_typeET4_jRbjT5_S1A_jjP12ihipStream_tbEUljE_EEESV_SW_SX_S14_S18_S1A_T6_T7_T9_mT8_S1C_bDpT10_ENKUlT_T0_E_clISt17integral_constantIbLb1EES1P_EEDaS1K_S1L_EUlS1K_E_NS1_11comp_targetILNS1_3genE2ELNS1_11target_archE906ELNS1_3gpuE6ELNS1_3repE0EEENS1_30default_config_static_selectorELNS0_4arch9wavefront6targetE1EEEvSY_, .Lfunc_end166-_ZN7rocprim17ROCPRIM_400000_NS6detail17trampoline_kernelINS0_13select_configILj256ELj13ELNS0_17block_load_methodE3ELS4_3ELS4_3ELNS0_20block_scan_algorithmE0ELj4294967295EEENS1_25partition_config_selectorILNS1_17partition_subalgoE3EjNS0_10empty_typeEbEEZZNS1_14partition_implILS8_3ELb0ES6_jNS0_17counting_iteratorIjlEEPS9_SE_NS0_5tupleIJPjSE_EEENSF_IJSE_SE_EEES9_SG_JZNS1_25segmented_radix_sort_implINS0_14default_configELb0EPKhPhPKlPlN2at6native12_GLOBAL__N_18offset_tEEE10hipError_tPvRmT1_PNSt15iterator_traitsISY_E10value_typeET2_T3_PNSZ_IS14_E10value_typeET4_jRbjT5_S1A_jjP12ihipStream_tbEUljE_EEESV_SW_SX_S14_S18_S1A_T6_T7_T9_mT8_S1C_bDpT10_ENKUlT_T0_E_clISt17integral_constantIbLb1EES1P_EEDaS1K_S1L_EUlS1K_E_NS1_11comp_targetILNS1_3genE2ELNS1_11target_archE906ELNS1_3gpuE6ELNS1_3repE0EEENS1_30default_config_static_selectorELNS0_4arch9wavefront6targetE1EEEvSY_
                                        ; -- End function
	.section	.AMDGPU.csdata,"",@progbits
; Kernel info:
; codeLenInByte = 0
; NumSgprs: 4
; NumVgprs: 0
; NumAgprs: 0
; TotalNumVgprs: 0
; ScratchSize: 0
; MemoryBound: 0
; FloatMode: 240
; IeeeMode: 1
; LDSByteSize: 0 bytes/workgroup (compile time only)
; SGPRBlocks: 0
; VGPRBlocks: 0
; NumSGPRsForWavesPerEU: 4
; NumVGPRsForWavesPerEU: 1
; AccumOffset: 4
; Occupancy: 8
; WaveLimiterHint : 0
; COMPUTE_PGM_RSRC2:SCRATCH_EN: 0
; COMPUTE_PGM_RSRC2:USER_SGPR: 6
; COMPUTE_PGM_RSRC2:TRAP_HANDLER: 0
; COMPUTE_PGM_RSRC2:TGID_X_EN: 1
; COMPUTE_PGM_RSRC2:TGID_Y_EN: 0
; COMPUTE_PGM_RSRC2:TGID_Z_EN: 0
; COMPUTE_PGM_RSRC2:TIDIG_COMP_CNT: 0
; COMPUTE_PGM_RSRC3_GFX90A:ACCUM_OFFSET: 0
; COMPUTE_PGM_RSRC3_GFX90A:TG_SPLIT: 0
	.section	.text._ZN7rocprim17ROCPRIM_400000_NS6detail17trampoline_kernelINS0_13select_configILj256ELj13ELNS0_17block_load_methodE3ELS4_3ELS4_3ELNS0_20block_scan_algorithmE0ELj4294967295EEENS1_25partition_config_selectorILNS1_17partition_subalgoE3EjNS0_10empty_typeEbEEZZNS1_14partition_implILS8_3ELb0ES6_jNS0_17counting_iteratorIjlEEPS9_SE_NS0_5tupleIJPjSE_EEENSF_IJSE_SE_EEES9_SG_JZNS1_25segmented_radix_sort_implINS0_14default_configELb0EPKhPhPKlPlN2at6native12_GLOBAL__N_18offset_tEEE10hipError_tPvRmT1_PNSt15iterator_traitsISY_E10value_typeET2_T3_PNSZ_IS14_E10value_typeET4_jRbjT5_S1A_jjP12ihipStream_tbEUljE_EEESV_SW_SX_S14_S18_S1A_T6_T7_T9_mT8_S1C_bDpT10_ENKUlT_T0_E_clISt17integral_constantIbLb1EES1P_EEDaS1K_S1L_EUlS1K_E_NS1_11comp_targetILNS1_3genE10ELNS1_11target_archE1200ELNS1_3gpuE4ELNS1_3repE0EEENS1_30default_config_static_selectorELNS0_4arch9wavefront6targetE1EEEvSY_,"axG",@progbits,_ZN7rocprim17ROCPRIM_400000_NS6detail17trampoline_kernelINS0_13select_configILj256ELj13ELNS0_17block_load_methodE3ELS4_3ELS4_3ELNS0_20block_scan_algorithmE0ELj4294967295EEENS1_25partition_config_selectorILNS1_17partition_subalgoE3EjNS0_10empty_typeEbEEZZNS1_14partition_implILS8_3ELb0ES6_jNS0_17counting_iteratorIjlEEPS9_SE_NS0_5tupleIJPjSE_EEENSF_IJSE_SE_EEES9_SG_JZNS1_25segmented_radix_sort_implINS0_14default_configELb0EPKhPhPKlPlN2at6native12_GLOBAL__N_18offset_tEEE10hipError_tPvRmT1_PNSt15iterator_traitsISY_E10value_typeET2_T3_PNSZ_IS14_E10value_typeET4_jRbjT5_S1A_jjP12ihipStream_tbEUljE_EEESV_SW_SX_S14_S18_S1A_T6_T7_T9_mT8_S1C_bDpT10_ENKUlT_T0_E_clISt17integral_constantIbLb1EES1P_EEDaS1K_S1L_EUlS1K_E_NS1_11comp_targetILNS1_3genE10ELNS1_11target_archE1200ELNS1_3gpuE4ELNS1_3repE0EEENS1_30default_config_static_selectorELNS0_4arch9wavefront6targetE1EEEvSY_,comdat
	.globl	_ZN7rocprim17ROCPRIM_400000_NS6detail17trampoline_kernelINS0_13select_configILj256ELj13ELNS0_17block_load_methodE3ELS4_3ELS4_3ELNS0_20block_scan_algorithmE0ELj4294967295EEENS1_25partition_config_selectorILNS1_17partition_subalgoE3EjNS0_10empty_typeEbEEZZNS1_14partition_implILS8_3ELb0ES6_jNS0_17counting_iteratorIjlEEPS9_SE_NS0_5tupleIJPjSE_EEENSF_IJSE_SE_EEES9_SG_JZNS1_25segmented_radix_sort_implINS0_14default_configELb0EPKhPhPKlPlN2at6native12_GLOBAL__N_18offset_tEEE10hipError_tPvRmT1_PNSt15iterator_traitsISY_E10value_typeET2_T3_PNSZ_IS14_E10value_typeET4_jRbjT5_S1A_jjP12ihipStream_tbEUljE_EEESV_SW_SX_S14_S18_S1A_T6_T7_T9_mT8_S1C_bDpT10_ENKUlT_T0_E_clISt17integral_constantIbLb1EES1P_EEDaS1K_S1L_EUlS1K_E_NS1_11comp_targetILNS1_3genE10ELNS1_11target_archE1200ELNS1_3gpuE4ELNS1_3repE0EEENS1_30default_config_static_selectorELNS0_4arch9wavefront6targetE1EEEvSY_ ; -- Begin function _ZN7rocprim17ROCPRIM_400000_NS6detail17trampoline_kernelINS0_13select_configILj256ELj13ELNS0_17block_load_methodE3ELS4_3ELS4_3ELNS0_20block_scan_algorithmE0ELj4294967295EEENS1_25partition_config_selectorILNS1_17partition_subalgoE3EjNS0_10empty_typeEbEEZZNS1_14partition_implILS8_3ELb0ES6_jNS0_17counting_iteratorIjlEEPS9_SE_NS0_5tupleIJPjSE_EEENSF_IJSE_SE_EEES9_SG_JZNS1_25segmented_radix_sort_implINS0_14default_configELb0EPKhPhPKlPlN2at6native12_GLOBAL__N_18offset_tEEE10hipError_tPvRmT1_PNSt15iterator_traitsISY_E10value_typeET2_T3_PNSZ_IS14_E10value_typeET4_jRbjT5_S1A_jjP12ihipStream_tbEUljE_EEESV_SW_SX_S14_S18_S1A_T6_T7_T9_mT8_S1C_bDpT10_ENKUlT_T0_E_clISt17integral_constantIbLb1EES1P_EEDaS1K_S1L_EUlS1K_E_NS1_11comp_targetILNS1_3genE10ELNS1_11target_archE1200ELNS1_3gpuE4ELNS1_3repE0EEENS1_30default_config_static_selectorELNS0_4arch9wavefront6targetE1EEEvSY_
	.p2align	8
	.type	_ZN7rocprim17ROCPRIM_400000_NS6detail17trampoline_kernelINS0_13select_configILj256ELj13ELNS0_17block_load_methodE3ELS4_3ELS4_3ELNS0_20block_scan_algorithmE0ELj4294967295EEENS1_25partition_config_selectorILNS1_17partition_subalgoE3EjNS0_10empty_typeEbEEZZNS1_14partition_implILS8_3ELb0ES6_jNS0_17counting_iteratorIjlEEPS9_SE_NS0_5tupleIJPjSE_EEENSF_IJSE_SE_EEES9_SG_JZNS1_25segmented_radix_sort_implINS0_14default_configELb0EPKhPhPKlPlN2at6native12_GLOBAL__N_18offset_tEEE10hipError_tPvRmT1_PNSt15iterator_traitsISY_E10value_typeET2_T3_PNSZ_IS14_E10value_typeET4_jRbjT5_S1A_jjP12ihipStream_tbEUljE_EEESV_SW_SX_S14_S18_S1A_T6_T7_T9_mT8_S1C_bDpT10_ENKUlT_T0_E_clISt17integral_constantIbLb1EES1P_EEDaS1K_S1L_EUlS1K_E_NS1_11comp_targetILNS1_3genE10ELNS1_11target_archE1200ELNS1_3gpuE4ELNS1_3repE0EEENS1_30default_config_static_selectorELNS0_4arch9wavefront6targetE1EEEvSY_,@function
_ZN7rocprim17ROCPRIM_400000_NS6detail17trampoline_kernelINS0_13select_configILj256ELj13ELNS0_17block_load_methodE3ELS4_3ELS4_3ELNS0_20block_scan_algorithmE0ELj4294967295EEENS1_25partition_config_selectorILNS1_17partition_subalgoE3EjNS0_10empty_typeEbEEZZNS1_14partition_implILS8_3ELb0ES6_jNS0_17counting_iteratorIjlEEPS9_SE_NS0_5tupleIJPjSE_EEENSF_IJSE_SE_EEES9_SG_JZNS1_25segmented_radix_sort_implINS0_14default_configELb0EPKhPhPKlPlN2at6native12_GLOBAL__N_18offset_tEEE10hipError_tPvRmT1_PNSt15iterator_traitsISY_E10value_typeET2_T3_PNSZ_IS14_E10value_typeET4_jRbjT5_S1A_jjP12ihipStream_tbEUljE_EEESV_SW_SX_S14_S18_S1A_T6_T7_T9_mT8_S1C_bDpT10_ENKUlT_T0_E_clISt17integral_constantIbLb1EES1P_EEDaS1K_S1L_EUlS1K_E_NS1_11comp_targetILNS1_3genE10ELNS1_11target_archE1200ELNS1_3gpuE4ELNS1_3repE0EEENS1_30default_config_static_selectorELNS0_4arch9wavefront6targetE1EEEvSY_: ; @_ZN7rocprim17ROCPRIM_400000_NS6detail17trampoline_kernelINS0_13select_configILj256ELj13ELNS0_17block_load_methodE3ELS4_3ELS4_3ELNS0_20block_scan_algorithmE0ELj4294967295EEENS1_25partition_config_selectorILNS1_17partition_subalgoE3EjNS0_10empty_typeEbEEZZNS1_14partition_implILS8_3ELb0ES6_jNS0_17counting_iteratorIjlEEPS9_SE_NS0_5tupleIJPjSE_EEENSF_IJSE_SE_EEES9_SG_JZNS1_25segmented_radix_sort_implINS0_14default_configELb0EPKhPhPKlPlN2at6native12_GLOBAL__N_18offset_tEEE10hipError_tPvRmT1_PNSt15iterator_traitsISY_E10value_typeET2_T3_PNSZ_IS14_E10value_typeET4_jRbjT5_S1A_jjP12ihipStream_tbEUljE_EEESV_SW_SX_S14_S18_S1A_T6_T7_T9_mT8_S1C_bDpT10_ENKUlT_T0_E_clISt17integral_constantIbLb1EES1P_EEDaS1K_S1L_EUlS1K_E_NS1_11comp_targetILNS1_3genE10ELNS1_11target_archE1200ELNS1_3gpuE4ELNS1_3repE0EEENS1_30default_config_static_selectorELNS0_4arch9wavefront6targetE1EEEvSY_
; %bb.0:
	.section	.rodata,"a",@progbits
	.p2align	6, 0x0
	.amdhsa_kernel _ZN7rocprim17ROCPRIM_400000_NS6detail17trampoline_kernelINS0_13select_configILj256ELj13ELNS0_17block_load_methodE3ELS4_3ELS4_3ELNS0_20block_scan_algorithmE0ELj4294967295EEENS1_25partition_config_selectorILNS1_17partition_subalgoE3EjNS0_10empty_typeEbEEZZNS1_14partition_implILS8_3ELb0ES6_jNS0_17counting_iteratorIjlEEPS9_SE_NS0_5tupleIJPjSE_EEENSF_IJSE_SE_EEES9_SG_JZNS1_25segmented_radix_sort_implINS0_14default_configELb0EPKhPhPKlPlN2at6native12_GLOBAL__N_18offset_tEEE10hipError_tPvRmT1_PNSt15iterator_traitsISY_E10value_typeET2_T3_PNSZ_IS14_E10value_typeET4_jRbjT5_S1A_jjP12ihipStream_tbEUljE_EEESV_SW_SX_S14_S18_S1A_T6_T7_T9_mT8_S1C_bDpT10_ENKUlT_T0_E_clISt17integral_constantIbLb1EES1P_EEDaS1K_S1L_EUlS1K_E_NS1_11comp_targetILNS1_3genE10ELNS1_11target_archE1200ELNS1_3gpuE4ELNS1_3repE0EEENS1_30default_config_static_selectorELNS0_4arch9wavefront6targetE1EEEvSY_
		.amdhsa_group_segment_fixed_size 0
		.amdhsa_private_segment_fixed_size 0
		.amdhsa_kernarg_size 152
		.amdhsa_user_sgpr_count 6
		.amdhsa_user_sgpr_private_segment_buffer 1
		.amdhsa_user_sgpr_dispatch_ptr 0
		.amdhsa_user_sgpr_queue_ptr 0
		.amdhsa_user_sgpr_kernarg_segment_ptr 1
		.amdhsa_user_sgpr_dispatch_id 0
		.amdhsa_user_sgpr_flat_scratch_init 0
		.amdhsa_user_sgpr_kernarg_preload_length 0
		.amdhsa_user_sgpr_kernarg_preload_offset 0
		.amdhsa_user_sgpr_private_segment_size 0
		.amdhsa_uses_dynamic_stack 0
		.amdhsa_system_sgpr_private_segment_wavefront_offset 0
		.amdhsa_system_sgpr_workgroup_id_x 1
		.amdhsa_system_sgpr_workgroup_id_y 0
		.amdhsa_system_sgpr_workgroup_id_z 0
		.amdhsa_system_sgpr_workgroup_info 0
		.amdhsa_system_vgpr_workitem_id 0
		.amdhsa_next_free_vgpr 1
		.amdhsa_next_free_sgpr 0
		.amdhsa_accum_offset 4
		.amdhsa_reserve_vcc 0
		.amdhsa_reserve_flat_scratch 0
		.amdhsa_float_round_mode_32 0
		.amdhsa_float_round_mode_16_64 0
		.amdhsa_float_denorm_mode_32 3
		.amdhsa_float_denorm_mode_16_64 3
		.amdhsa_dx10_clamp 1
		.amdhsa_ieee_mode 1
		.amdhsa_fp16_overflow 0
		.amdhsa_tg_split 0
		.amdhsa_exception_fp_ieee_invalid_op 0
		.amdhsa_exception_fp_denorm_src 0
		.amdhsa_exception_fp_ieee_div_zero 0
		.amdhsa_exception_fp_ieee_overflow 0
		.amdhsa_exception_fp_ieee_underflow 0
		.amdhsa_exception_fp_ieee_inexact 0
		.amdhsa_exception_int_div_zero 0
	.end_amdhsa_kernel
	.section	.text._ZN7rocprim17ROCPRIM_400000_NS6detail17trampoline_kernelINS0_13select_configILj256ELj13ELNS0_17block_load_methodE3ELS4_3ELS4_3ELNS0_20block_scan_algorithmE0ELj4294967295EEENS1_25partition_config_selectorILNS1_17partition_subalgoE3EjNS0_10empty_typeEbEEZZNS1_14partition_implILS8_3ELb0ES6_jNS0_17counting_iteratorIjlEEPS9_SE_NS0_5tupleIJPjSE_EEENSF_IJSE_SE_EEES9_SG_JZNS1_25segmented_radix_sort_implINS0_14default_configELb0EPKhPhPKlPlN2at6native12_GLOBAL__N_18offset_tEEE10hipError_tPvRmT1_PNSt15iterator_traitsISY_E10value_typeET2_T3_PNSZ_IS14_E10value_typeET4_jRbjT5_S1A_jjP12ihipStream_tbEUljE_EEESV_SW_SX_S14_S18_S1A_T6_T7_T9_mT8_S1C_bDpT10_ENKUlT_T0_E_clISt17integral_constantIbLb1EES1P_EEDaS1K_S1L_EUlS1K_E_NS1_11comp_targetILNS1_3genE10ELNS1_11target_archE1200ELNS1_3gpuE4ELNS1_3repE0EEENS1_30default_config_static_selectorELNS0_4arch9wavefront6targetE1EEEvSY_,"axG",@progbits,_ZN7rocprim17ROCPRIM_400000_NS6detail17trampoline_kernelINS0_13select_configILj256ELj13ELNS0_17block_load_methodE3ELS4_3ELS4_3ELNS0_20block_scan_algorithmE0ELj4294967295EEENS1_25partition_config_selectorILNS1_17partition_subalgoE3EjNS0_10empty_typeEbEEZZNS1_14partition_implILS8_3ELb0ES6_jNS0_17counting_iteratorIjlEEPS9_SE_NS0_5tupleIJPjSE_EEENSF_IJSE_SE_EEES9_SG_JZNS1_25segmented_radix_sort_implINS0_14default_configELb0EPKhPhPKlPlN2at6native12_GLOBAL__N_18offset_tEEE10hipError_tPvRmT1_PNSt15iterator_traitsISY_E10value_typeET2_T3_PNSZ_IS14_E10value_typeET4_jRbjT5_S1A_jjP12ihipStream_tbEUljE_EEESV_SW_SX_S14_S18_S1A_T6_T7_T9_mT8_S1C_bDpT10_ENKUlT_T0_E_clISt17integral_constantIbLb1EES1P_EEDaS1K_S1L_EUlS1K_E_NS1_11comp_targetILNS1_3genE10ELNS1_11target_archE1200ELNS1_3gpuE4ELNS1_3repE0EEENS1_30default_config_static_selectorELNS0_4arch9wavefront6targetE1EEEvSY_,comdat
.Lfunc_end167:
	.size	_ZN7rocprim17ROCPRIM_400000_NS6detail17trampoline_kernelINS0_13select_configILj256ELj13ELNS0_17block_load_methodE3ELS4_3ELS4_3ELNS0_20block_scan_algorithmE0ELj4294967295EEENS1_25partition_config_selectorILNS1_17partition_subalgoE3EjNS0_10empty_typeEbEEZZNS1_14partition_implILS8_3ELb0ES6_jNS0_17counting_iteratorIjlEEPS9_SE_NS0_5tupleIJPjSE_EEENSF_IJSE_SE_EEES9_SG_JZNS1_25segmented_radix_sort_implINS0_14default_configELb0EPKhPhPKlPlN2at6native12_GLOBAL__N_18offset_tEEE10hipError_tPvRmT1_PNSt15iterator_traitsISY_E10value_typeET2_T3_PNSZ_IS14_E10value_typeET4_jRbjT5_S1A_jjP12ihipStream_tbEUljE_EEESV_SW_SX_S14_S18_S1A_T6_T7_T9_mT8_S1C_bDpT10_ENKUlT_T0_E_clISt17integral_constantIbLb1EES1P_EEDaS1K_S1L_EUlS1K_E_NS1_11comp_targetILNS1_3genE10ELNS1_11target_archE1200ELNS1_3gpuE4ELNS1_3repE0EEENS1_30default_config_static_selectorELNS0_4arch9wavefront6targetE1EEEvSY_, .Lfunc_end167-_ZN7rocprim17ROCPRIM_400000_NS6detail17trampoline_kernelINS0_13select_configILj256ELj13ELNS0_17block_load_methodE3ELS4_3ELS4_3ELNS0_20block_scan_algorithmE0ELj4294967295EEENS1_25partition_config_selectorILNS1_17partition_subalgoE3EjNS0_10empty_typeEbEEZZNS1_14partition_implILS8_3ELb0ES6_jNS0_17counting_iteratorIjlEEPS9_SE_NS0_5tupleIJPjSE_EEENSF_IJSE_SE_EEES9_SG_JZNS1_25segmented_radix_sort_implINS0_14default_configELb0EPKhPhPKlPlN2at6native12_GLOBAL__N_18offset_tEEE10hipError_tPvRmT1_PNSt15iterator_traitsISY_E10value_typeET2_T3_PNSZ_IS14_E10value_typeET4_jRbjT5_S1A_jjP12ihipStream_tbEUljE_EEESV_SW_SX_S14_S18_S1A_T6_T7_T9_mT8_S1C_bDpT10_ENKUlT_T0_E_clISt17integral_constantIbLb1EES1P_EEDaS1K_S1L_EUlS1K_E_NS1_11comp_targetILNS1_3genE10ELNS1_11target_archE1200ELNS1_3gpuE4ELNS1_3repE0EEENS1_30default_config_static_selectorELNS0_4arch9wavefront6targetE1EEEvSY_
                                        ; -- End function
	.section	.AMDGPU.csdata,"",@progbits
; Kernel info:
; codeLenInByte = 0
; NumSgprs: 4
; NumVgprs: 0
; NumAgprs: 0
; TotalNumVgprs: 0
; ScratchSize: 0
; MemoryBound: 0
; FloatMode: 240
; IeeeMode: 1
; LDSByteSize: 0 bytes/workgroup (compile time only)
; SGPRBlocks: 0
; VGPRBlocks: 0
; NumSGPRsForWavesPerEU: 4
; NumVGPRsForWavesPerEU: 1
; AccumOffset: 4
; Occupancy: 8
; WaveLimiterHint : 0
; COMPUTE_PGM_RSRC2:SCRATCH_EN: 0
; COMPUTE_PGM_RSRC2:USER_SGPR: 6
; COMPUTE_PGM_RSRC2:TRAP_HANDLER: 0
; COMPUTE_PGM_RSRC2:TGID_X_EN: 1
; COMPUTE_PGM_RSRC2:TGID_Y_EN: 0
; COMPUTE_PGM_RSRC2:TGID_Z_EN: 0
; COMPUTE_PGM_RSRC2:TIDIG_COMP_CNT: 0
; COMPUTE_PGM_RSRC3_GFX90A:ACCUM_OFFSET: 0
; COMPUTE_PGM_RSRC3_GFX90A:TG_SPLIT: 0
	.section	.text._ZN7rocprim17ROCPRIM_400000_NS6detail17trampoline_kernelINS0_13select_configILj256ELj13ELNS0_17block_load_methodE3ELS4_3ELS4_3ELNS0_20block_scan_algorithmE0ELj4294967295EEENS1_25partition_config_selectorILNS1_17partition_subalgoE3EjNS0_10empty_typeEbEEZZNS1_14partition_implILS8_3ELb0ES6_jNS0_17counting_iteratorIjlEEPS9_SE_NS0_5tupleIJPjSE_EEENSF_IJSE_SE_EEES9_SG_JZNS1_25segmented_radix_sort_implINS0_14default_configELb0EPKhPhPKlPlN2at6native12_GLOBAL__N_18offset_tEEE10hipError_tPvRmT1_PNSt15iterator_traitsISY_E10value_typeET2_T3_PNSZ_IS14_E10value_typeET4_jRbjT5_S1A_jjP12ihipStream_tbEUljE_EEESV_SW_SX_S14_S18_S1A_T6_T7_T9_mT8_S1C_bDpT10_ENKUlT_T0_E_clISt17integral_constantIbLb1EES1P_EEDaS1K_S1L_EUlS1K_E_NS1_11comp_targetILNS1_3genE9ELNS1_11target_archE1100ELNS1_3gpuE3ELNS1_3repE0EEENS1_30default_config_static_selectorELNS0_4arch9wavefront6targetE1EEEvSY_,"axG",@progbits,_ZN7rocprim17ROCPRIM_400000_NS6detail17trampoline_kernelINS0_13select_configILj256ELj13ELNS0_17block_load_methodE3ELS4_3ELS4_3ELNS0_20block_scan_algorithmE0ELj4294967295EEENS1_25partition_config_selectorILNS1_17partition_subalgoE3EjNS0_10empty_typeEbEEZZNS1_14partition_implILS8_3ELb0ES6_jNS0_17counting_iteratorIjlEEPS9_SE_NS0_5tupleIJPjSE_EEENSF_IJSE_SE_EEES9_SG_JZNS1_25segmented_radix_sort_implINS0_14default_configELb0EPKhPhPKlPlN2at6native12_GLOBAL__N_18offset_tEEE10hipError_tPvRmT1_PNSt15iterator_traitsISY_E10value_typeET2_T3_PNSZ_IS14_E10value_typeET4_jRbjT5_S1A_jjP12ihipStream_tbEUljE_EEESV_SW_SX_S14_S18_S1A_T6_T7_T9_mT8_S1C_bDpT10_ENKUlT_T0_E_clISt17integral_constantIbLb1EES1P_EEDaS1K_S1L_EUlS1K_E_NS1_11comp_targetILNS1_3genE9ELNS1_11target_archE1100ELNS1_3gpuE3ELNS1_3repE0EEENS1_30default_config_static_selectorELNS0_4arch9wavefront6targetE1EEEvSY_,comdat
	.globl	_ZN7rocprim17ROCPRIM_400000_NS6detail17trampoline_kernelINS0_13select_configILj256ELj13ELNS0_17block_load_methodE3ELS4_3ELS4_3ELNS0_20block_scan_algorithmE0ELj4294967295EEENS1_25partition_config_selectorILNS1_17partition_subalgoE3EjNS0_10empty_typeEbEEZZNS1_14partition_implILS8_3ELb0ES6_jNS0_17counting_iteratorIjlEEPS9_SE_NS0_5tupleIJPjSE_EEENSF_IJSE_SE_EEES9_SG_JZNS1_25segmented_radix_sort_implINS0_14default_configELb0EPKhPhPKlPlN2at6native12_GLOBAL__N_18offset_tEEE10hipError_tPvRmT1_PNSt15iterator_traitsISY_E10value_typeET2_T3_PNSZ_IS14_E10value_typeET4_jRbjT5_S1A_jjP12ihipStream_tbEUljE_EEESV_SW_SX_S14_S18_S1A_T6_T7_T9_mT8_S1C_bDpT10_ENKUlT_T0_E_clISt17integral_constantIbLb1EES1P_EEDaS1K_S1L_EUlS1K_E_NS1_11comp_targetILNS1_3genE9ELNS1_11target_archE1100ELNS1_3gpuE3ELNS1_3repE0EEENS1_30default_config_static_selectorELNS0_4arch9wavefront6targetE1EEEvSY_ ; -- Begin function _ZN7rocprim17ROCPRIM_400000_NS6detail17trampoline_kernelINS0_13select_configILj256ELj13ELNS0_17block_load_methodE3ELS4_3ELS4_3ELNS0_20block_scan_algorithmE0ELj4294967295EEENS1_25partition_config_selectorILNS1_17partition_subalgoE3EjNS0_10empty_typeEbEEZZNS1_14partition_implILS8_3ELb0ES6_jNS0_17counting_iteratorIjlEEPS9_SE_NS0_5tupleIJPjSE_EEENSF_IJSE_SE_EEES9_SG_JZNS1_25segmented_radix_sort_implINS0_14default_configELb0EPKhPhPKlPlN2at6native12_GLOBAL__N_18offset_tEEE10hipError_tPvRmT1_PNSt15iterator_traitsISY_E10value_typeET2_T3_PNSZ_IS14_E10value_typeET4_jRbjT5_S1A_jjP12ihipStream_tbEUljE_EEESV_SW_SX_S14_S18_S1A_T6_T7_T9_mT8_S1C_bDpT10_ENKUlT_T0_E_clISt17integral_constantIbLb1EES1P_EEDaS1K_S1L_EUlS1K_E_NS1_11comp_targetILNS1_3genE9ELNS1_11target_archE1100ELNS1_3gpuE3ELNS1_3repE0EEENS1_30default_config_static_selectorELNS0_4arch9wavefront6targetE1EEEvSY_
	.p2align	8
	.type	_ZN7rocprim17ROCPRIM_400000_NS6detail17trampoline_kernelINS0_13select_configILj256ELj13ELNS0_17block_load_methodE3ELS4_3ELS4_3ELNS0_20block_scan_algorithmE0ELj4294967295EEENS1_25partition_config_selectorILNS1_17partition_subalgoE3EjNS0_10empty_typeEbEEZZNS1_14partition_implILS8_3ELb0ES6_jNS0_17counting_iteratorIjlEEPS9_SE_NS0_5tupleIJPjSE_EEENSF_IJSE_SE_EEES9_SG_JZNS1_25segmented_radix_sort_implINS0_14default_configELb0EPKhPhPKlPlN2at6native12_GLOBAL__N_18offset_tEEE10hipError_tPvRmT1_PNSt15iterator_traitsISY_E10value_typeET2_T3_PNSZ_IS14_E10value_typeET4_jRbjT5_S1A_jjP12ihipStream_tbEUljE_EEESV_SW_SX_S14_S18_S1A_T6_T7_T9_mT8_S1C_bDpT10_ENKUlT_T0_E_clISt17integral_constantIbLb1EES1P_EEDaS1K_S1L_EUlS1K_E_NS1_11comp_targetILNS1_3genE9ELNS1_11target_archE1100ELNS1_3gpuE3ELNS1_3repE0EEENS1_30default_config_static_selectorELNS0_4arch9wavefront6targetE1EEEvSY_,@function
_ZN7rocprim17ROCPRIM_400000_NS6detail17trampoline_kernelINS0_13select_configILj256ELj13ELNS0_17block_load_methodE3ELS4_3ELS4_3ELNS0_20block_scan_algorithmE0ELj4294967295EEENS1_25partition_config_selectorILNS1_17partition_subalgoE3EjNS0_10empty_typeEbEEZZNS1_14partition_implILS8_3ELb0ES6_jNS0_17counting_iteratorIjlEEPS9_SE_NS0_5tupleIJPjSE_EEENSF_IJSE_SE_EEES9_SG_JZNS1_25segmented_radix_sort_implINS0_14default_configELb0EPKhPhPKlPlN2at6native12_GLOBAL__N_18offset_tEEE10hipError_tPvRmT1_PNSt15iterator_traitsISY_E10value_typeET2_T3_PNSZ_IS14_E10value_typeET4_jRbjT5_S1A_jjP12ihipStream_tbEUljE_EEESV_SW_SX_S14_S18_S1A_T6_T7_T9_mT8_S1C_bDpT10_ENKUlT_T0_E_clISt17integral_constantIbLb1EES1P_EEDaS1K_S1L_EUlS1K_E_NS1_11comp_targetILNS1_3genE9ELNS1_11target_archE1100ELNS1_3gpuE3ELNS1_3repE0EEENS1_30default_config_static_selectorELNS0_4arch9wavefront6targetE1EEEvSY_: ; @_ZN7rocprim17ROCPRIM_400000_NS6detail17trampoline_kernelINS0_13select_configILj256ELj13ELNS0_17block_load_methodE3ELS4_3ELS4_3ELNS0_20block_scan_algorithmE0ELj4294967295EEENS1_25partition_config_selectorILNS1_17partition_subalgoE3EjNS0_10empty_typeEbEEZZNS1_14partition_implILS8_3ELb0ES6_jNS0_17counting_iteratorIjlEEPS9_SE_NS0_5tupleIJPjSE_EEENSF_IJSE_SE_EEES9_SG_JZNS1_25segmented_radix_sort_implINS0_14default_configELb0EPKhPhPKlPlN2at6native12_GLOBAL__N_18offset_tEEE10hipError_tPvRmT1_PNSt15iterator_traitsISY_E10value_typeET2_T3_PNSZ_IS14_E10value_typeET4_jRbjT5_S1A_jjP12ihipStream_tbEUljE_EEESV_SW_SX_S14_S18_S1A_T6_T7_T9_mT8_S1C_bDpT10_ENKUlT_T0_E_clISt17integral_constantIbLb1EES1P_EEDaS1K_S1L_EUlS1K_E_NS1_11comp_targetILNS1_3genE9ELNS1_11target_archE1100ELNS1_3gpuE3ELNS1_3repE0EEENS1_30default_config_static_selectorELNS0_4arch9wavefront6targetE1EEEvSY_
; %bb.0:
	.section	.rodata,"a",@progbits
	.p2align	6, 0x0
	.amdhsa_kernel _ZN7rocprim17ROCPRIM_400000_NS6detail17trampoline_kernelINS0_13select_configILj256ELj13ELNS0_17block_load_methodE3ELS4_3ELS4_3ELNS0_20block_scan_algorithmE0ELj4294967295EEENS1_25partition_config_selectorILNS1_17partition_subalgoE3EjNS0_10empty_typeEbEEZZNS1_14partition_implILS8_3ELb0ES6_jNS0_17counting_iteratorIjlEEPS9_SE_NS0_5tupleIJPjSE_EEENSF_IJSE_SE_EEES9_SG_JZNS1_25segmented_radix_sort_implINS0_14default_configELb0EPKhPhPKlPlN2at6native12_GLOBAL__N_18offset_tEEE10hipError_tPvRmT1_PNSt15iterator_traitsISY_E10value_typeET2_T3_PNSZ_IS14_E10value_typeET4_jRbjT5_S1A_jjP12ihipStream_tbEUljE_EEESV_SW_SX_S14_S18_S1A_T6_T7_T9_mT8_S1C_bDpT10_ENKUlT_T0_E_clISt17integral_constantIbLb1EES1P_EEDaS1K_S1L_EUlS1K_E_NS1_11comp_targetILNS1_3genE9ELNS1_11target_archE1100ELNS1_3gpuE3ELNS1_3repE0EEENS1_30default_config_static_selectorELNS0_4arch9wavefront6targetE1EEEvSY_
		.amdhsa_group_segment_fixed_size 0
		.amdhsa_private_segment_fixed_size 0
		.amdhsa_kernarg_size 152
		.amdhsa_user_sgpr_count 6
		.amdhsa_user_sgpr_private_segment_buffer 1
		.amdhsa_user_sgpr_dispatch_ptr 0
		.amdhsa_user_sgpr_queue_ptr 0
		.amdhsa_user_sgpr_kernarg_segment_ptr 1
		.amdhsa_user_sgpr_dispatch_id 0
		.amdhsa_user_sgpr_flat_scratch_init 0
		.amdhsa_user_sgpr_kernarg_preload_length 0
		.amdhsa_user_sgpr_kernarg_preload_offset 0
		.amdhsa_user_sgpr_private_segment_size 0
		.amdhsa_uses_dynamic_stack 0
		.amdhsa_system_sgpr_private_segment_wavefront_offset 0
		.amdhsa_system_sgpr_workgroup_id_x 1
		.amdhsa_system_sgpr_workgroup_id_y 0
		.amdhsa_system_sgpr_workgroup_id_z 0
		.amdhsa_system_sgpr_workgroup_info 0
		.amdhsa_system_vgpr_workitem_id 0
		.amdhsa_next_free_vgpr 1
		.amdhsa_next_free_sgpr 0
		.amdhsa_accum_offset 4
		.amdhsa_reserve_vcc 0
		.amdhsa_reserve_flat_scratch 0
		.amdhsa_float_round_mode_32 0
		.amdhsa_float_round_mode_16_64 0
		.amdhsa_float_denorm_mode_32 3
		.amdhsa_float_denorm_mode_16_64 3
		.amdhsa_dx10_clamp 1
		.amdhsa_ieee_mode 1
		.amdhsa_fp16_overflow 0
		.amdhsa_tg_split 0
		.amdhsa_exception_fp_ieee_invalid_op 0
		.amdhsa_exception_fp_denorm_src 0
		.amdhsa_exception_fp_ieee_div_zero 0
		.amdhsa_exception_fp_ieee_overflow 0
		.amdhsa_exception_fp_ieee_underflow 0
		.amdhsa_exception_fp_ieee_inexact 0
		.amdhsa_exception_int_div_zero 0
	.end_amdhsa_kernel
	.section	.text._ZN7rocprim17ROCPRIM_400000_NS6detail17trampoline_kernelINS0_13select_configILj256ELj13ELNS0_17block_load_methodE3ELS4_3ELS4_3ELNS0_20block_scan_algorithmE0ELj4294967295EEENS1_25partition_config_selectorILNS1_17partition_subalgoE3EjNS0_10empty_typeEbEEZZNS1_14partition_implILS8_3ELb0ES6_jNS0_17counting_iteratorIjlEEPS9_SE_NS0_5tupleIJPjSE_EEENSF_IJSE_SE_EEES9_SG_JZNS1_25segmented_radix_sort_implINS0_14default_configELb0EPKhPhPKlPlN2at6native12_GLOBAL__N_18offset_tEEE10hipError_tPvRmT1_PNSt15iterator_traitsISY_E10value_typeET2_T3_PNSZ_IS14_E10value_typeET4_jRbjT5_S1A_jjP12ihipStream_tbEUljE_EEESV_SW_SX_S14_S18_S1A_T6_T7_T9_mT8_S1C_bDpT10_ENKUlT_T0_E_clISt17integral_constantIbLb1EES1P_EEDaS1K_S1L_EUlS1K_E_NS1_11comp_targetILNS1_3genE9ELNS1_11target_archE1100ELNS1_3gpuE3ELNS1_3repE0EEENS1_30default_config_static_selectorELNS0_4arch9wavefront6targetE1EEEvSY_,"axG",@progbits,_ZN7rocprim17ROCPRIM_400000_NS6detail17trampoline_kernelINS0_13select_configILj256ELj13ELNS0_17block_load_methodE3ELS4_3ELS4_3ELNS0_20block_scan_algorithmE0ELj4294967295EEENS1_25partition_config_selectorILNS1_17partition_subalgoE3EjNS0_10empty_typeEbEEZZNS1_14partition_implILS8_3ELb0ES6_jNS0_17counting_iteratorIjlEEPS9_SE_NS0_5tupleIJPjSE_EEENSF_IJSE_SE_EEES9_SG_JZNS1_25segmented_radix_sort_implINS0_14default_configELb0EPKhPhPKlPlN2at6native12_GLOBAL__N_18offset_tEEE10hipError_tPvRmT1_PNSt15iterator_traitsISY_E10value_typeET2_T3_PNSZ_IS14_E10value_typeET4_jRbjT5_S1A_jjP12ihipStream_tbEUljE_EEESV_SW_SX_S14_S18_S1A_T6_T7_T9_mT8_S1C_bDpT10_ENKUlT_T0_E_clISt17integral_constantIbLb1EES1P_EEDaS1K_S1L_EUlS1K_E_NS1_11comp_targetILNS1_3genE9ELNS1_11target_archE1100ELNS1_3gpuE3ELNS1_3repE0EEENS1_30default_config_static_selectorELNS0_4arch9wavefront6targetE1EEEvSY_,comdat
.Lfunc_end168:
	.size	_ZN7rocprim17ROCPRIM_400000_NS6detail17trampoline_kernelINS0_13select_configILj256ELj13ELNS0_17block_load_methodE3ELS4_3ELS4_3ELNS0_20block_scan_algorithmE0ELj4294967295EEENS1_25partition_config_selectorILNS1_17partition_subalgoE3EjNS0_10empty_typeEbEEZZNS1_14partition_implILS8_3ELb0ES6_jNS0_17counting_iteratorIjlEEPS9_SE_NS0_5tupleIJPjSE_EEENSF_IJSE_SE_EEES9_SG_JZNS1_25segmented_radix_sort_implINS0_14default_configELb0EPKhPhPKlPlN2at6native12_GLOBAL__N_18offset_tEEE10hipError_tPvRmT1_PNSt15iterator_traitsISY_E10value_typeET2_T3_PNSZ_IS14_E10value_typeET4_jRbjT5_S1A_jjP12ihipStream_tbEUljE_EEESV_SW_SX_S14_S18_S1A_T6_T7_T9_mT8_S1C_bDpT10_ENKUlT_T0_E_clISt17integral_constantIbLb1EES1P_EEDaS1K_S1L_EUlS1K_E_NS1_11comp_targetILNS1_3genE9ELNS1_11target_archE1100ELNS1_3gpuE3ELNS1_3repE0EEENS1_30default_config_static_selectorELNS0_4arch9wavefront6targetE1EEEvSY_, .Lfunc_end168-_ZN7rocprim17ROCPRIM_400000_NS6detail17trampoline_kernelINS0_13select_configILj256ELj13ELNS0_17block_load_methodE3ELS4_3ELS4_3ELNS0_20block_scan_algorithmE0ELj4294967295EEENS1_25partition_config_selectorILNS1_17partition_subalgoE3EjNS0_10empty_typeEbEEZZNS1_14partition_implILS8_3ELb0ES6_jNS0_17counting_iteratorIjlEEPS9_SE_NS0_5tupleIJPjSE_EEENSF_IJSE_SE_EEES9_SG_JZNS1_25segmented_radix_sort_implINS0_14default_configELb0EPKhPhPKlPlN2at6native12_GLOBAL__N_18offset_tEEE10hipError_tPvRmT1_PNSt15iterator_traitsISY_E10value_typeET2_T3_PNSZ_IS14_E10value_typeET4_jRbjT5_S1A_jjP12ihipStream_tbEUljE_EEESV_SW_SX_S14_S18_S1A_T6_T7_T9_mT8_S1C_bDpT10_ENKUlT_T0_E_clISt17integral_constantIbLb1EES1P_EEDaS1K_S1L_EUlS1K_E_NS1_11comp_targetILNS1_3genE9ELNS1_11target_archE1100ELNS1_3gpuE3ELNS1_3repE0EEENS1_30default_config_static_selectorELNS0_4arch9wavefront6targetE1EEEvSY_
                                        ; -- End function
	.section	.AMDGPU.csdata,"",@progbits
; Kernel info:
; codeLenInByte = 0
; NumSgprs: 4
; NumVgprs: 0
; NumAgprs: 0
; TotalNumVgprs: 0
; ScratchSize: 0
; MemoryBound: 0
; FloatMode: 240
; IeeeMode: 1
; LDSByteSize: 0 bytes/workgroup (compile time only)
; SGPRBlocks: 0
; VGPRBlocks: 0
; NumSGPRsForWavesPerEU: 4
; NumVGPRsForWavesPerEU: 1
; AccumOffset: 4
; Occupancy: 8
; WaveLimiterHint : 0
; COMPUTE_PGM_RSRC2:SCRATCH_EN: 0
; COMPUTE_PGM_RSRC2:USER_SGPR: 6
; COMPUTE_PGM_RSRC2:TRAP_HANDLER: 0
; COMPUTE_PGM_RSRC2:TGID_X_EN: 1
; COMPUTE_PGM_RSRC2:TGID_Y_EN: 0
; COMPUTE_PGM_RSRC2:TGID_Z_EN: 0
; COMPUTE_PGM_RSRC2:TIDIG_COMP_CNT: 0
; COMPUTE_PGM_RSRC3_GFX90A:ACCUM_OFFSET: 0
; COMPUTE_PGM_RSRC3_GFX90A:TG_SPLIT: 0
	.section	.text._ZN7rocprim17ROCPRIM_400000_NS6detail17trampoline_kernelINS0_13select_configILj256ELj13ELNS0_17block_load_methodE3ELS4_3ELS4_3ELNS0_20block_scan_algorithmE0ELj4294967295EEENS1_25partition_config_selectorILNS1_17partition_subalgoE3EjNS0_10empty_typeEbEEZZNS1_14partition_implILS8_3ELb0ES6_jNS0_17counting_iteratorIjlEEPS9_SE_NS0_5tupleIJPjSE_EEENSF_IJSE_SE_EEES9_SG_JZNS1_25segmented_radix_sort_implINS0_14default_configELb0EPKhPhPKlPlN2at6native12_GLOBAL__N_18offset_tEEE10hipError_tPvRmT1_PNSt15iterator_traitsISY_E10value_typeET2_T3_PNSZ_IS14_E10value_typeET4_jRbjT5_S1A_jjP12ihipStream_tbEUljE_EEESV_SW_SX_S14_S18_S1A_T6_T7_T9_mT8_S1C_bDpT10_ENKUlT_T0_E_clISt17integral_constantIbLb1EES1P_EEDaS1K_S1L_EUlS1K_E_NS1_11comp_targetILNS1_3genE8ELNS1_11target_archE1030ELNS1_3gpuE2ELNS1_3repE0EEENS1_30default_config_static_selectorELNS0_4arch9wavefront6targetE1EEEvSY_,"axG",@progbits,_ZN7rocprim17ROCPRIM_400000_NS6detail17trampoline_kernelINS0_13select_configILj256ELj13ELNS0_17block_load_methodE3ELS4_3ELS4_3ELNS0_20block_scan_algorithmE0ELj4294967295EEENS1_25partition_config_selectorILNS1_17partition_subalgoE3EjNS0_10empty_typeEbEEZZNS1_14partition_implILS8_3ELb0ES6_jNS0_17counting_iteratorIjlEEPS9_SE_NS0_5tupleIJPjSE_EEENSF_IJSE_SE_EEES9_SG_JZNS1_25segmented_radix_sort_implINS0_14default_configELb0EPKhPhPKlPlN2at6native12_GLOBAL__N_18offset_tEEE10hipError_tPvRmT1_PNSt15iterator_traitsISY_E10value_typeET2_T3_PNSZ_IS14_E10value_typeET4_jRbjT5_S1A_jjP12ihipStream_tbEUljE_EEESV_SW_SX_S14_S18_S1A_T6_T7_T9_mT8_S1C_bDpT10_ENKUlT_T0_E_clISt17integral_constantIbLb1EES1P_EEDaS1K_S1L_EUlS1K_E_NS1_11comp_targetILNS1_3genE8ELNS1_11target_archE1030ELNS1_3gpuE2ELNS1_3repE0EEENS1_30default_config_static_selectorELNS0_4arch9wavefront6targetE1EEEvSY_,comdat
	.globl	_ZN7rocprim17ROCPRIM_400000_NS6detail17trampoline_kernelINS0_13select_configILj256ELj13ELNS0_17block_load_methodE3ELS4_3ELS4_3ELNS0_20block_scan_algorithmE0ELj4294967295EEENS1_25partition_config_selectorILNS1_17partition_subalgoE3EjNS0_10empty_typeEbEEZZNS1_14partition_implILS8_3ELb0ES6_jNS0_17counting_iteratorIjlEEPS9_SE_NS0_5tupleIJPjSE_EEENSF_IJSE_SE_EEES9_SG_JZNS1_25segmented_radix_sort_implINS0_14default_configELb0EPKhPhPKlPlN2at6native12_GLOBAL__N_18offset_tEEE10hipError_tPvRmT1_PNSt15iterator_traitsISY_E10value_typeET2_T3_PNSZ_IS14_E10value_typeET4_jRbjT5_S1A_jjP12ihipStream_tbEUljE_EEESV_SW_SX_S14_S18_S1A_T6_T7_T9_mT8_S1C_bDpT10_ENKUlT_T0_E_clISt17integral_constantIbLb1EES1P_EEDaS1K_S1L_EUlS1K_E_NS1_11comp_targetILNS1_3genE8ELNS1_11target_archE1030ELNS1_3gpuE2ELNS1_3repE0EEENS1_30default_config_static_selectorELNS0_4arch9wavefront6targetE1EEEvSY_ ; -- Begin function _ZN7rocprim17ROCPRIM_400000_NS6detail17trampoline_kernelINS0_13select_configILj256ELj13ELNS0_17block_load_methodE3ELS4_3ELS4_3ELNS0_20block_scan_algorithmE0ELj4294967295EEENS1_25partition_config_selectorILNS1_17partition_subalgoE3EjNS0_10empty_typeEbEEZZNS1_14partition_implILS8_3ELb0ES6_jNS0_17counting_iteratorIjlEEPS9_SE_NS0_5tupleIJPjSE_EEENSF_IJSE_SE_EEES9_SG_JZNS1_25segmented_radix_sort_implINS0_14default_configELb0EPKhPhPKlPlN2at6native12_GLOBAL__N_18offset_tEEE10hipError_tPvRmT1_PNSt15iterator_traitsISY_E10value_typeET2_T3_PNSZ_IS14_E10value_typeET4_jRbjT5_S1A_jjP12ihipStream_tbEUljE_EEESV_SW_SX_S14_S18_S1A_T6_T7_T9_mT8_S1C_bDpT10_ENKUlT_T0_E_clISt17integral_constantIbLb1EES1P_EEDaS1K_S1L_EUlS1K_E_NS1_11comp_targetILNS1_3genE8ELNS1_11target_archE1030ELNS1_3gpuE2ELNS1_3repE0EEENS1_30default_config_static_selectorELNS0_4arch9wavefront6targetE1EEEvSY_
	.p2align	8
	.type	_ZN7rocprim17ROCPRIM_400000_NS6detail17trampoline_kernelINS0_13select_configILj256ELj13ELNS0_17block_load_methodE3ELS4_3ELS4_3ELNS0_20block_scan_algorithmE0ELj4294967295EEENS1_25partition_config_selectorILNS1_17partition_subalgoE3EjNS0_10empty_typeEbEEZZNS1_14partition_implILS8_3ELb0ES6_jNS0_17counting_iteratorIjlEEPS9_SE_NS0_5tupleIJPjSE_EEENSF_IJSE_SE_EEES9_SG_JZNS1_25segmented_radix_sort_implINS0_14default_configELb0EPKhPhPKlPlN2at6native12_GLOBAL__N_18offset_tEEE10hipError_tPvRmT1_PNSt15iterator_traitsISY_E10value_typeET2_T3_PNSZ_IS14_E10value_typeET4_jRbjT5_S1A_jjP12ihipStream_tbEUljE_EEESV_SW_SX_S14_S18_S1A_T6_T7_T9_mT8_S1C_bDpT10_ENKUlT_T0_E_clISt17integral_constantIbLb1EES1P_EEDaS1K_S1L_EUlS1K_E_NS1_11comp_targetILNS1_3genE8ELNS1_11target_archE1030ELNS1_3gpuE2ELNS1_3repE0EEENS1_30default_config_static_selectorELNS0_4arch9wavefront6targetE1EEEvSY_,@function
_ZN7rocprim17ROCPRIM_400000_NS6detail17trampoline_kernelINS0_13select_configILj256ELj13ELNS0_17block_load_methodE3ELS4_3ELS4_3ELNS0_20block_scan_algorithmE0ELj4294967295EEENS1_25partition_config_selectorILNS1_17partition_subalgoE3EjNS0_10empty_typeEbEEZZNS1_14partition_implILS8_3ELb0ES6_jNS0_17counting_iteratorIjlEEPS9_SE_NS0_5tupleIJPjSE_EEENSF_IJSE_SE_EEES9_SG_JZNS1_25segmented_radix_sort_implINS0_14default_configELb0EPKhPhPKlPlN2at6native12_GLOBAL__N_18offset_tEEE10hipError_tPvRmT1_PNSt15iterator_traitsISY_E10value_typeET2_T3_PNSZ_IS14_E10value_typeET4_jRbjT5_S1A_jjP12ihipStream_tbEUljE_EEESV_SW_SX_S14_S18_S1A_T6_T7_T9_mT8_S1C_bDpT10_ENKUlT_T0_E_clISt17integral_constantIbLb1EES1P_EEDaS1K_S1L_EUlS1K_E_NS1_11comp_targetILNS1_3genE8ELNS1_11target_archE1030ELNS1_3gpuE2ELNS1_3repE0EEENS1_30default_config_static_selectorELNS0_4arch9wavefront6targetE1EEEvSY_: ; @_ZN7rocprim17ROCPRIM_400000_NS6detail17trampoline_kernelINS0_13select_configILj256ELj13ELNS0_17block_load_methodE3ELS4_3ELS4_3ELNS0_20block_scan_algorithmE0ELj4294967295EEENS1_25partition_config_selectorILNS1_17partition_subalgoE3EjNS0_10empty_typeEbEEZZNS1_14partition_implILS8_3ELb0ES6_jNS0_17counting_iteratorIjlEEPS9_SE_NS0_5tupleIJPjSE_EEENSF_IJSE_SE_EEES9_SG_JZNS1_25segmented_radix_sort_implINS0_14default_configELb0EPKhPhPKlPlN2at6native12_GLOBAL__N_18offset_tEEE10hipError_tPvRmT1_PNSt15iterator_traitsISY_E10value_typeET2_T3_PNSZ_IS14_E10value_typeET4_jRbjT5_S1A_jjP12ihipStream_tbEUljE_EEESV_SW_SX_S14_S18_S1A_T6_T7_T9_mT8_S1C_bDpT10_ENKUlT_T0_E_clISt17integral_constantIbLb1EES1P_EEDaS1K_S1L_EUlS1K_E_NS1_11comp_targetILNS1_3genE8ELNS1_11target_archE1030ELNS1_3gpuE2ELNS1_3repE0EEENS1_30default_config_static_selectorELNS0_4arch9wavefront6targetE1EEEvSY_
; %bb.0:
	.section	.rodata,"a",@progbits
	.p2align	6, 0x0
	.amdhsa_kernel _ZN7rocprim17ROCPRIM_400000_NS6detail17trampoline_kernelINS0_13select_configILj256ELj13ELNS0_17block_load_methodE3ELS4_3ELS4_3ELNS0_20block_scan_algorithmE0ELj4294967295EEENS1_25partition_config_selectorILNS1_17partition_subalgoE3EjNS0_10empty_typeEbEEZZNS1_14partition_implILS8_3ELb0ES6_jNS0_17counting_iteratorIjlEEPS9_SE_NS0_5tupleIJPjSE_EEENSF_IJSE_SE_EEES9_SG_JZNS1_25segmented_radix_sort_implINS0_14default_configELb0EPKhPhPKlPlN2at6native12_GLOBAL__N_18offset_tEEE10hipError_tPvRmT1_PNSt15iterator_traitsISY_E10value_typeET2_T3_PNSZ_IS14_E10value_typeET4_jRbjT5_S1A_jjP12ihipStream_tbEUljE_EEESV_SW_SX_S14_S18_S1A_T6_T7_T9_mT8_S1C_bDpT10_ENKUlT_T0_E_clISt17integral_constantIbLb1EES1P_EEDaS1K_S1L_EUlS1K_E_NS1_11comp_targetILNS1_3genE8ELNS1_11target_archE1030ELNS1_3gpuE2ELNS1_3repE0EEENS1_30default_config_static_selectorELNS0_4arch9wavefront6targetE1EEEvSY_
		.amdhsa_group_segment_fixed_size 0
		.amdhsa_private_segment_fixed_size 0
		.amdhsa_kernarg_size 152
		.amdhsa_user_sgpr_count 6
		.amdhsa_user_sgpr_private_segment_buffer 1
		.amdhsa_user_sgpr_dispatch_ptr 0
		.amdhsa_user_sgpr_queue_ptr 0
		.amdhsa_user_sgpr_kernarg_segment_ptr 1
		.amdhsa_user_sgpr_dispatch_id 0
		.amdhsa_user_sgpr_flat_scratch_init 0
		.amdhsa_user_sgpr_kernarg_preload_length 0
		.amdhsa_user_sgpr_kernarg_preload_offset 0
		.amdhsa_user_sgpr_private_segment_size 0
		.amdhsa_uses_dynamic_stack 0
		.amdhsa_system_sgpr_private_segment_wavefront_offset 0
		.amdhsa_system_sgpr_workgroup_id_x 1
		.amdhsa_system_sgpr_workgroup_id_y 0
		.amdhsa_system_sgpr_workgroup_id_z 0
		.amdhsa_system_sgpr_workgroup_info 0
		.amdhsa_system_vgpr_workitem_id 0
		.amdhsa_next_free_vgpr 1
		.amdhsa_next_free_sgpr 0
		.amdhsa_accum_offset 4
		.amdhsa_reserve_vcc 0
		.amdhsa_reserve_flat_scratch 0
		.amdhsa_float_round_mode_32 0
		.amdhsa_float_round_mode_16_64 0
		.amdhsa_float_denorm_mode_32 3
		.amdhsa_float_denorm_mode_16_64 3
		.amdhsa_dx10_clamp 1
		.amdhsa_ieee_mode 1
		.amdhsa_fp16_overflow 0
		.amdhsa_tg_split 0
		.amdhsa_exception_fp_ieee_invalid_op 0
		.amdhsa_exception_fp_denorm_src 0
		.amdhsa_exception_fp_ieee_div_zero 0
		.amdhsa_exception_fp_ieee_overflow 0
		.amdhsa_exception_fp_ieee_underflow 0
		.amdhsa_exception_fp_ieee_inexact 0
		.amdhsa_exception_int_div_zero 0
	.end_amdhsa_kernel
	.section	.text._ZN7rocprim17ROCPRIM_400000_NS6detail17trampoline_kernelINS0_13select_configILj256ELj13ELNS0_17block_load_methodE3ELS4_3ELS4_3ELNS0_20block_scan_algorithmE0ELj4294967295EEENS1_25partition_config_selectorILNS1_17partition_subalgoE3EjNS0_10empty_typeEbEEZZNS1_14partition_implILS8_3ELb0ES6_jNS0_17counting_iteratorIjlEEPS9_SE_NS0_5tupleIJPjSE_EEENSF_IJSE_SE_EEES9_SG_JZNS1_25segmented_radix_sort_implINS0_14default_configELb0EPKhPhPKlPlN2at6native12_GLOBAL__N_18offset_tEEE10hipError_tPvRmT1_PNSt15iterator_traitsISY_E10value_typeET2_T3_PNSZ_IS14_E10value_typeET4_jRbjT5_S1A_jjP12ihipStream_tbEUljE_EEESV_SW_SX_S14_S18_S1A_T6_T7_T9_mT8_S1C_bDpT10_ENKUlT_T0_E_clISt17integral_constantIbLb1EES1P_EEDaS1K_S1L_EUlS1K_E_NS1_11comp_targetILNS1_3genE8ELNS1_11target_archE1030ELNS1_3gpuE2ELNS1_3repE0EEENS1_30default_config_static_selectorELNS0_4arch9wavefront6targetE1EEEvSY_,"axG",@progbits,_ZN7rocprim17ROCPRIM_400000_NS6detail17trampoline_kernelINS0_13select_configILj256ELj13ELNS0_17block_load_methodE3ELS4_3ELS4_3ELNS0_20block_scan_algorithmE0ELj4294967295EEENS1_25partition_config_selectorILNS1_17partition_subalgoE3EjNS0_10empty_typeEbEEZZNS1_14partition_implILS8_3ELb0ES6_jNS0_17counting_iteratorIjlEEPS9_SE_NS0_5tupleIJPjSE_EEENSF_IJSE_SE_EEES9_SG_JZNS1_25segmented_radix_sort_implINS0_14default_configELb0EPKhPhPKlPlN2at6native12_GLOBAL__N_18offset_tEEE10hipError_tPvRmT1_PNSt15iterator_traitsISY_E10value_typeET2_T3_PNSZ_IS14_E10value_typeET4_jRbjT5_S1A_jjP12ihipStream_tbEUljE_EEESV_SW_SX_S14_S18_S1A_T6_T7_T9_mT8_S1C_bDpT10_ENKUlT_T0_E_clISt17integral_constantIbLb1EES1P_EEDaS1K_S1L_EUlS1K_E_NS1_11comp_targetILNS1_3genE8ELNS1_11target_archE1030ELNS1_3gpuE2ELNS1_3repE0EEENS1_30default_config_static_selectorELNS0_4arch9wavefront6targetE1EEEvSY_,comdat
.Lfunc_end169:
	.size	_ZN7rocprim17ROCPRIM_400000_NS6detail17trampoline_kernelINS0_13select_configILj256ELj13ELNS0_17block_load_methodE3ELS4_3ELS4_3ELNS0_20block_scan_algorithmE0ELj4294967295EEENS1_25partition_config_selectorILNS1_17partition_subalgoE3EjNS0_10empty_typeEbEEZZNS1_14partition_implILS8_3ELb0ES6_jNS0_17counting_iteratorIjlEEPS9_SE_NS0_5tupleIJPjSE_EEENSF_IJSE_SE_EEES9_SG_JZNS1_25segmented_radix_sort_implINS0_14default_configELb0EPKhPhPKlPlN2at6native12_GLOBAL__N_18offset_tEEE10hipError_tPvRmT1_PNSt15iterator_traitsISY_E10value_typeET2_T3_PNSZ_IS14_E10value_typeET4_jRbjT5_S1A_jjP12ihipStream_tbEUljE_EEESV_SW_SX_S14_S18_S1A_T6_T7_T9_mT8_S1C_bDpT10_ENKUlT_T0_E_clISt17integral_constantIbLb1EES1P_EEDaS1K_S1L_EUlS1K_E_NS1_11comp_targetILNS1_3genE8ELNS1_11target_archE1030ELNS1_3gpuE2ELNS1_3repE0EEENS1_30default_config_static_selectorELNS0_4arch9wavefront6targetE1EEEvSY_, .Lfunc_end169-_ZN7rocprim17ROCPRIM_400000_NS6detail17trampoline_kernelINS0_13select_configILj256ELj13ELNS0_17block_load_methodE3ELS4_3ELS4_3ELNS0_20block_scan_algorithmE0ELj4294967295EEENS1_25partition_config_selectorILNS1_17partition_subalgoE3EjNS0_10empty_typeEbEEZZNS1_14partition_implILS8_3ELb0ES6_jNS0_17counting_iteratorIjlEEPS9_SE_NS0_5tupleIJPjSE_EEENSF_IJSE_SE_EEES9_SG_JZNS1_25segmented_radix_sort_implINS0_14default_configELb0EPKhPhPKlPlN2at6native12_GLOBAL__N_18offset_tEEE10hipError_tPvRmT1_PNSt15iterator_traitsISY_E10value_typeET2_T3_PNSZ_IS14_E10value_typeET4_jRbjT5_S1A_jjP12ihipStream_tbEUljE_EEESV_SW_SX_S14_S18_S1A_T6_T7_T9_mT8_S1C_bDpT10_ENKUlT_T0_E_clISt17integral_constantIbLb1EES1P_EEDaS1K_S1L_EUlS1K_E_NS1_11comp_targetILNS1_3genE8ELNS1_11target_archE1030ELNS1_3gpuE2ELNS1_3repE0EEENS1_30default_config_static_selectorELNS0_4arch9wavefront6targetE1EEEvSY_
                                        ; -- End function
	.section	.AMDGPU.csdata,"",@progbits
; Kernel info:
; codeLenInByte = 0
; NumSgprs: 4
; NumVgprs: 0
; NumAgprs: 0
; TotalNumVgprs: 0
; ScratchSize: 0
; MemoryBound: 0
; FloatMode: 240
; IeeeMode: 1
; LDSByteSize: 0 bytes/workgroup (compile time only)
; SGPRBlocks: 0
; VGPRBlocks: 0
; NumSGPRsForWavesPerEU: 4
; NumVGPRsForWavesPerEU: 1
; AccumOffset: 4
; Occupancy: 8
; WaveLimiterHint : 0
; COMPUTE_PGM_RSRC2:SCRATCH_EN: 0
; COMPUTE_PGM_RSRC2:USER_SGPR: 6
; COMPUTE_PGM_RSRC2:TRAP_HANDLER: 0
; COMPUTE_PGM_RSRC2:TGID_X_EN: 1
; COMPUTE_PGM_RSRC2:TGID_Y_EN: 0
; COMPUTE_PGM_RSRC2:TGID_Z_EN: 0
; COMPUTE_PGM_RSRC2:TIDIG_COMP_CNT: 0
; COMPUTE_PGM_RSRC3_GFX90A:ACCUM_OFFSET: 0
; COMPUTE_PGM_RSRC3_GFX90A:TG_SPLIT: 0
	.section	.text._ZN7rocprim17ROCPRIM_400000_NS6detail17trampoline_kernelINS0_13select_configILj256ELj13ELNS0_17block_load_methodE3ELS4_3ELS4_3ELNS0_20block_scan_algorithmE0ELj4294967295EEENS1_25partition_config_selectorILNS1_17partition_subalgoE3EjNS0_10empty_typeEbEEZZNS1_14partition_implILS8_3ELb0ES6_jNS0_17counting_iteratorIjlEEPS9_SE_NS0_5tupleIJPjSE_EEENSF_IJSE_SE_EEES9_SG_JZNS1_25segmented_radix_sort_implINS0_14default_configELb0EPKhPhPKlPlN2at6native12_GLOBAL__N_18offset_tEEE10hipError_tPvRmT1_PNSt15iterator_traitsISY_E10value_typeET2_T3_PNSZ_IS14_E10value_typeET4_jRbjT5_S1A_jjP12ihipStream_tbEUljE_EEESV_SW_SX_S14_S18_S1A_T6_T7_T9_mT8_S1C_bDpT10_ENKUlT_T0_E_clISt17integral_constantIbLb1EES1O_IbLb0EEEEDaS1K_S1L_EUlS1K_E_NS1_11comp_targetILNS1_3genE0ELNS1_11target_archE4294967295ELNS1_3gpuE0ELNS1_3repE0EEENS1_30default_config_static_selectorELNS0_4arch9wavefront6targetE1EEEvSY_,"axG",@progbits,_ZN7rocprim17ROCPRIM_400000_NS6detail17trampoline_kernelINS0_13select_configILj256ELj13ELNS0_17block_load_methodE3ELS4_3ELS4_3ELNS0_20block_scan_algorithmE0ELj4294967295EEENS1_25partition_config_selectorILNS1_17partition_subalgoE3EjNS0_10empty_typeEbEEZZNS1_14partition_implILS8_3ELb0ES6_jNS0_17counting_iteratorIjlEEPS9_SE_NS0_5tupleIJPjSE_EEENSF_IJSE_SE_EEES9_SG_JZNS1_25segmented_radix_sort_implINS0_14default_configELb0EPKhPhPKlPlN2at6native12_GLOBAL__N_18offset_tEEE10hipError_tPvRmT1_PNSt15iterator_traitsISY_E10value_typeET2_T3_PNSZ_IS14_E10value_typeET4_jRbjT5_S1A_jjP12ihipStream_tbEUljE_EEESV_SW_SX_S14_S18_S1A_T6_T7_T9_mT8_S1C_bDpT10_ENKUlT_T0_E_clISt17integral_constantIbLb1EES1O_IbLb0EEEEDaS1K_S1L_EUlS1K_E_NS1_11comp_targetILNS1_3genE0ELNS1_11target_archE4294967295ELNS1_3gpuE0ELNS1_3repE0EEENS1_30default_config_static_selectorELNS0_4arch9wavefront6targetE1EEEvSY_,comdat
	.globl	_ZN7rocprim17ROCPRIM_400000_NS6detail17trampoline_kernelINS0_13select_configILj256ELj13ELNS0_17block_load_methodE3ELS4_3ELS4_3ELNS0_20block_scan_algorithmE0ELj4294967295EEENS1_25partition_config_selectorILNS1_17partition_subalgoE3EjNS0_10empty_typeEbEEZZNS1_14partition_implILS8_3ELb0ES6_jNS0_17counting_iteratorIjlEEPS9_SE_NS0_5tupleIJPjSE_EEENSF_IJSE_SE_EEES9_SG_JZNS1_25segmented_radix_sort_implINS0_14default_configELb0EPKhPhPKlPlN2at6native12_GLOBAL__N_18offset_tEEE10hipError_tPvRmT1_PNSt15iterator_traitsISY_E10value_typeET2_T3_PNSZ_IS14_E10value_typeET4_jRbjT5_S1A_jjP12ihipStream_tbEUljE_EEESV_SW_SX_S14_S18_S1A_T6_T7_T9_mT8_S1C_bDpT10_ENKUlT_T0_E_clISt17integral_constantIbLb1EES1O_IbLb0EEEEDaS1K_S1L_EUlS1K_E_NS1_11comp_targetILNS1_3genE0ELNS1_11target_archE4294967295ELNS1_3gpuE0ELNS1_3repE0EEENS1_30default_config_static_selectorELNS0_4arch9wavefront6targetE1EEEvSY_ ; -- Begin function _ZN7rocprim17ROCPRIM_400000_NS6detail17trampoline_kernelINS0_13select_configILj256ELj13ELNS0_17block_load_methodE3ELS4_3ELS4_3ELNS0_20block_scan_algorithmE0ELj4294967295EEENS1_25partition_config_selectorILNS1_17partition_subalgoE3EjNS0_10empty_typeEbEEZZNS1_14partition_implILS8_3ELb0ES6_jNS0_17counting_iteratorIjlEEPS9_SE_NS0_5tupleIJPjSE_EEENSF_IJSE_SE_EEES9_SG_JZNS1_25segmented_radix_sort_implINS0_14default_configELb0EPKhPhPKlPlN2at6native12_GLOBAL__N_18offset_tEEE10hipError_tPvRmT1_PNSt15iterator_traitsISY_E10value_typeET2_T3_PNSZ_IS14_E10value_typeET4_jRbjT5_S1A_jjP12ihipStream_tbEUljE_EEESV_SW_SX_S14_S18_S1A_T6_T7_T9_mT8_S1C_bDpT10_ENKUlT_T0_E_clISt17integral_constantIbLb1EES1O_IbLb0EEEEDaS1K_S1L_EUlS1K_E_NS1_11comp_targetILNS1_3genE0ELNS1_11target_archE4294967295ELNS1_3gpuE0ELNS1_3repE0EEENS1_30default_config_static_selectorELNS0_4arch9wavefront6targetE1EEEvSY_
	.p2align	8
	.type	_ZN7rocprim17ROCPRIM_400000_NS6detail17trampoline_kernelINS0_13select_configILj256ELj13ELNS0_17block_load_methodE3ELS4_3ELS4_3ELNS0_20block_scan_algorithmE0ELj4294967295EEENS1_25partition_config_selectorILNS1_17partition_subalgoE3EjNS0_10empty_typeEbEEZZNS1_14partition_implILS8_3ELb0ES6_jNS0_17counting_iteratorIjlEEPS9_SE_NS0_5tupleIJPjSE_EEENSF_IJSE_SE_EEES9_SG_JZNS1_25segmented_radix_sort_implINS0_14default_configELb0EPKhPhPKlPlN2at6native12_GLOBAL__N_18offset_tEEE10hipError_tPvRmT1_PNSt15iterator_traitsISY_E10value_typeET2_T3_PNSZ_IS14_E10value_typeET4_jRbjT5_S1A_jjP12ihipStream_tbEUljE_EEESV_SW_SX_S14_S18_S1A_T6_T7_T9_mT8_S1C_bDpT10_ENKUlT_T0_E_clISt17integral_constantIbLb1EES1O_IbLb0EEEEDaS1K_S1L_EUlS1K_E_NS1_11comp_targetILNS1_3genE0ELNS1_11target_archE4294967295ELNS1_3gpuE0ELNS1_3repE0EEENS1_30default_config_static_selectorELNS0_4arch9wavefront6targetE1EEEvSY_,@function
_ZN7rocprim17ROCPRIM_400000_NS6detail17trampoline_kernelINS0_13select_configILj256ELj13ELNS0_17block_load_methodE3ELS4_3ELS4_3ELNS0_20block_scan_algorithmE0ELj4294967295EEENS1_25partition_config_selectorILNS1_17partition_subalgoE3EjNS0_10empty_typeEbEEZZNS1_14partition_implILS8_3ELb0ES6_jNS0_17counting_iteratorIjlEEPS9_SE_NS0_5tupleIJPjSE_EEENSF_IJSE_SE_EEES9_SG_JZNS1_25segmented_radix_sort_implINS0_14default_configELb0EPKhPhPKlPlN2at6native12_GLOBAL__N_18offset_tEEE10hipError_tPvRmT1_PNSt15iterator_traitsISY_E10value_typeET2_T3_PNSZ_IS14_E10value_typeET4_jRbjT5_S1A_jjP12ihipStream_tbEUljE_EEESV_SW_SX_S14_S18_S1A_T6_T7_T9_mT8_S1C_bDpT10_ENKUlT_T0_E_clISt17integral_constantIbLb1EES1O_IbLb0EEEEDaS1K_S1L_EUlS1K_E_NS1_11comp_targetILNS1_3genE0ELNS1_11target_archE4294967295ELNS1_3gpuE0ELNS1_3repE0EEENS1_30default_config_static_selectorELNS0_4arch9wavefront6targetE1EEEvSY_: ; @_ZN7rocprim17ROCPRIM_400000_NS6detail17trampoline_kernelINS0_13select_configILj256ELj13ELNS0_17block_load_methodE3ELS4_3ELS4_3ELNS0_20block_scan_algorithmE0ELj4294967295EEENS1_25partition_config_selectorILNS1_17partition_subalgoE3EjNS0_10empty_typeEbEEZZNS1_14partition_implILS8_3ELb0ES6_jNS0_17counting_iteratorIjlEEPS9_SE_NS0_5tupleIJPjSE_EEENSF_IJSE_SE_EEES9_SG_JZNS1_25segmented_radix_sort_implINS0_14default_configELb0EPKhPhPKlPlN2at6native12_GLOBAL__N_18offset_tEEE10hipError_tPvRmT1_PNSt15iterator_traitsISY_E10value_typeET2_T3_PNSZ_IS14_E10value_typeET4_jRbjT5_S1A_jjP12ihipStream_tbEUljE_EEESV_SW_SX_S14_S18_S1A_T6_T7_T9_mT8_S1C_bDpT10_ENKUlT_T0_E_clISt17integral_constantIbLb1EES1O_IbLb0EEEEDaS1K_S1L_EUlS1K_E_NS1_11comp_targetILNS1_3genE0ELNS1_11target_archE4294967295ELNS1_3gpuE0ELNS1_3repE0EEENS1_30default_config_static_selectorELNS0_4arch9wavefront6targetE1EEEvSY_
; %bb.0:
	.section	.rodata,"a",@progbits
	.p2align	6, 0x0
	.amdhsa_kernel _ZN7rocprim17ROCPRIM_400000_NS6detail17trampoline_kernelINS0_13select_configILj256ELj13ELNS0_17block_load_methodE3ELS4_3ELS4_3ELNS0_20block_scan_algorithmE0ELj4294967295EEENS1_25partition_config_selectorILNS1_17partition_subalgoE3EjNS0_10empty_typeEbEEZZNS1_14partition_implILS8_3ELb0ES6_jNS0_17counting_iteratorIjlEEPS9_SE_NS0_5tupleIJPjSE_EEENSF_IJSE_SE_EEES9_SG_JZNS1_25segmented_radix_sort_implINS0_14default_configELb0EPKhPhPKlPlN2at6native12_GLOBAL__N_18offset_tEEE10hipError_tPvRmT1_PNSt15iterator_traitsISY_E10value_typeET2_T3_PNSZ_IS14_E10value_typeET4_jRbjT5_S1A_jjP12ihipStream_tbEUljE_EEESV_SW_SX_S14_S18_S1A_T6_T7_T9_mT8_S1C_bDpT10_ENKUlT_T0_E_clISt17integral_constantIbLb1EES1O_IbLb0EEEEDaS1K_S1L_EUlS1K_E_NS1_11comp_targetILNS1_3genE0ELNS1_11target_archE4294967295ELNS1_3gpuE0ELNS1_3repE0EEENS1_30default_config_static_selectorELNS0_4arch9wavefront6targetE1EEEvSY_
		.amdhsa_group_segment_fixed_size 0
		.amdhsa_private_segment_fixed_size 0
		.amdhsa_kernarg_size 144
		.amdhsa_user_sgpr_count 6
		.amdhsa_user_sgpr_private_segment_buffer 1
		.amdhsa_user_sgpr_dispatch_ptr 0
		.amdhsa_user_sgpr_queue_ptr 0
		.amdhsa_user_sgpr_kernarg_segment_ptr 1
		.amdhsa_user_sgpr_dispatch_id 0
		.amdhsa_user_sgpr_flat_scratch_init 0
		.amdhsa_user_sgpr_kernarg_preload_length 0
		.amdhsa_user_sgpr_kernarg_preload_offset 0
		.amdhsa_user_sgpr_private_segment_size 0
		.amdhsa_uses_dynamic_stack 0
		.amdhsa_system_sgpr_private_segment_wavefront_offset 0
		.amdhsa_system_sgpr_workgroup_id_x 1
		.amdhsa_system_sgpr_workgroup_id_y 0
		.amdhsa_system_sgpr_workgroup_id_z 0
		.amdhsa_system_sgpr_workgroup_info 0
		.amdhsa_system_vgpr_workitem_id 0
		.amdhsa_next_free_vgpr 1
		.amdhsa_next_free_sgpr 0
		.amdhsa_accum_offset 4
		.amdhsa_reserve_vcc 0
		.amdhsa_reserve_flat_scratch 0
		.amdhsa_float_round_mode_32 0
		.amdhsa_float_round_mode_16_64 0
		.amdhsa_float_denorm_mode_32 3
		.amdhsa_float_denorm_mode_16_64 3
		.amdhsa_dx10_clamp 1
		.amdhsa_ieee_mode 1
		.amdhsa_fp16_overflow 0
		.amdhsa_tg_split 0
		.amdhsa_exception_fp_ieee_invalid_op 0
		.amdhsa_exception_fp_denorm_src 0
		.amdhsa_exception_fp_ieee_div_zero 0
		.amdhsa_exception_fp_ieee_overflow 0
		.amdhsa_exception_fp_ieee_underflow 0
		.amdhsa_exception_fp_ieee_inexact 0
		.amdhsa_exception_int_div_zero 0
	.end_amdhsa_kernel
	.section	.text._ZN7rocprim17ROCPRIM_400000_NS6detail17trampoline_kernelINS0_13select_configILj256ELj13ELNS0_17block_load_methodE3ELS4_3ELS4_3ELNS0_20block_scan_algorithmE0ELj4294967295EEENS1_25partition_config_selectorILNS1_17partition_subalgoE3EjNS0_10empty_typeEbEEZZNS1_14partition_implILS8_3ELb0ES6_jNS0_17counting_iteratorIjlEEPS9_SE_NS0_5tupleIJPjSE_EEENSF_IJSE_SE_EEES9_SG_JZNS1_25segmented_radix_sort_implINS0_14default_configELb0EPKhPhPKlPlN2at6native12_GLOBAL__N_18offset_tEEE10hipError_tPvRmT1_PNSt15iterator_traitsISY_E10value_typeET2_T3_PNSZ_IS14_E10value_typeET4_jRbjT5_S1A_jjP12ihipStream_tbEUljE_EEESV_SW_SX_S14_S18_S1A_T6_T7_T9_mT8_S1C_bDpT10_ENKUlT_T0_E_clISt17integral_constantIbLb1EES1O_IbLb0EEEEDaS1K_S1L_EUlS1K_E_NS1_11comp_targetILNS1_3genE0ELNS1_11target_archE4294967295ELNS1_3gpuE0ELNS1_3repE0EEENS1_30default_config_static_selectorELNS0_4arch9wavefront6targetE1EEEvSY_,"axG",@progbits,_ZN7rocprim17ROCPRIM_400000_NS6detail17trampoline_kernelINS0_13select_configILj256ELj13ELNS0_17block_load_methodE3ELS4_3ELS4_3ELNS0_20block_scan_algorithmE0ELj4294967295EEENS1_25partition_config_selectorILNS1_17partition_subalgoE3EjNS0_10empty_typeEbEEZZNS1_14partition_implILS8_3ELb0ES6_jNS0_17counting_iteratorIjlEEPS9_SE_NS0_5tupleIJPjSE_EEENSF_IJSE_SE_EEES9_SG_JZNS1_25segmented_radix_sort_implINS0_14default_configELb0EPKhPhPKlPlN2at6native12_GLOBAL__N_18offset_tEEE10hipError_tPvRmT1_PNSt15iterator_traitsISY_E10value_typeET2_T3_PNSZ_IS14_E10value_typeET4_jRbjT5_S1A_jjP12ihipStream_tbEUljE_EEESV_SW_SX_S14_S18_S1A_T6_T7_T9_mT8_S1C_bDpT10_ENKUlT_T0_E_clISt17integral_constantIbLb1EES1O_IbLb0EEEEDaS1K_S1L_EUlS1K_E_NS1_11comp_targetILNS1_3genE0ELNS1_11target_archE4294967295ELNS1_3gpuE0ELNS1_3repE0EEENS1_30default_config_static_selectorELNS0_4arch9wavefront6targetE1EEEvSY_,comdat
.Lfunc_end170:
	.size	_ZN7rocprim17ROCPRIM_400000_NS6detail17trampoline_kernelINS0_13select_configILj256ELj13ELNS0_17block_load_methodE3ELS4_3ELS4_3ELNS0_20block_scan_algorithmE0ELj4294967295EEENS1_25partition_config_selectorILNS1_17partition_subalgoE3EjNS0_10empty_typeEbEEZZNS1_14partition_implILS8_3ELb0ES6_jNS0_17counting_iteratorIjlEEPS9_SE_NS0_5tupleIJPjSE_EEENSF_IJSE_SE_EEES9_SG_JZNS1_25segmented_radix_sort_implINS0_14default_configELb0EPKhPhPKlPlN2at6native12_GLOBAL__N_18offset_tEEE10hipError_tPvRmT1_PNSt15iterator_traitsISY_E10value_typeET2_T3_PNSZ_IS14_E10value_typeET4_jRbjT5_S1A_jjP12ihipStream_tbEUljE_EEESV_SW_SX_S14_S18_S1A_T6_T7_T9_mT8_S1C_bDpT10_ENKUlT_T0_E_clISt17integral_constantIbLb1EES1O_IbLb0EEEEDaS1K_S1L_EUlS1K_E_NS1_11comp_targetILNS1_3genE0ELNS1_11target_archE4294967295ELNS1_3gpuE0ELNS1_3repE0EEENS1_30default_config_static_selectorELNS0_4arch9wavefront6targetE1EEEvSY_, .Lfunc_end170-_ZN7rocprim17ROCPRIM_400000_NS6detail17trampoline_kernelINS0_13select_configILj256ELj13ELNS0_17block_load_methodE3ELS4_3ELS4_3ELNS0_20block_scan_algorithmE0ELj4294967295EEENS1_25partition_config_selectorILNS1_17partition_subalgoE3EjNS0_10empty_typeEbEEZZNS1_14partition_implILS8_3ELb0ES6_jNS0_17counting_iteratorIjlEEPS9_SE_NS0_5tupleIJPjSE_EEENSF_IJSE_SE_EEES9_SG_JZNS1_25segmented_radix_sort_implINS0_14default_configELb0EPKhPhPKlPlN2at6native12_GLOBAL__N_18offset_tEEE10hipError_tPvRmT1_PNSt15iterator_traitsISY_E10value_typeET2_T3_PNSZ_IS14_E10value_typeET4_jRbjT5_S1A_jjP12ihipStream_tbEUljE_EEESV_SW_SX_S14_S18_S1A_T6_T7_T9_mT8_S1C_bDpT10_ENKUlT_T0_E_clISt17integral_constantIbLb1EES1O_IbLb0EEEEDaS1K_S1L_EUlS1K_E_NS1_11comp_targetILNS1_3genE0ELNS1_11target_archE4294967295ELNS1_3gpuE0ELNS1_3repE0EEENS1_30default_config_static_selectorELNS0_4arch9wavefront6targetE1EEEvSY_
                                        ; -- End function
	.section	.AMDGPU.csdata,"",@progbits
; Kernel info:
; codeLenInByte = 0
; NumSgprs: 4
; NumVgprs: 0
; NumAgprs: 0
; TotalNumVgprs: 0
; ScratchSize: 0
; MemoryBound: 0
; FloatMode: 240
; IeeeMode: 1
; LDSByteSize: 0 bytes/workgroup (compile time only)
; SGPRBlocks: 0
; VGPRBlocks: 0
; NumSGPRsForWavesPerEU: 4
; NumVGPRsForWavesPerEU: 1
; AccumOffset: 4
; Occupancy: 8
; WaveLimiterHint : 0
; COMPUTE_PGM_RSRC2:SCRATCH_EN: 0
; COMPUTE_PGM_RSRC2:USER_SGPR: 6
; COMPUTE_PGM_RSRC2:TRAP_HANDLER: 0
; COMPUTE_PGM_RSRC2:TGID_X_EN: 1
; COMPUTE_PGM_RSRC2:TGID_Y_EN: 0
; COMPUTE_PGM_RSRC2:TGID_Z_EN: 0
; COMPUTE_PGM_RSRC2:TIDIG_COMP_CNT: 0
; COMPUTE_PGM_RSRC3_GFX90A:ACCUM_OFFSET: 0
; COMPUTE_PGM_RSRC3_GFX90A:TG_SPLIT: 0
	.section	.text._ZN7rocprim17ROCPRIM_400000_NS6detail17trampoline_kernelINS0_13select_configILj256ELj13ELNS0_17block_load_methodE3ELS4_3ELS4_3ELNS0_20block_scan_algorithmE0ELj4294967295EEENS1_25partition_config_selectorILNS1_17partition_subalgoE3EjNS0_10empty_typeEbEEZZNS1_14partition_implILS8_3ELb0ES6_jNS0_17counting_iteratorIjlEEPS9_SE_NS0_5tupleIJPjSE_EEENSF_IJSE_SE_EEES9_SG_JZNS1_25segmented_radix_sort_implINS0_14default_configELb0EPKhPhPKlPlN2at6native12_GLOBAL__N_18offset_tEEE10hipError_tPvRmT1_PNSt15iterator_traitsISY_E10value_typeET2_T3_PNSZ_IS14_E10value_typeET4_jRbjT5_S1A_jjP12ihipStream_tbEUljE_EEESV_SW_SX_S14_S18_S1A_T6_T7_T9_mT8_S1C_bDpT10_ENKUlT_T0_E_clISt17integral_constantIbLb1EES1O_IbLb0EEEEDaS1K_S1L_EUlS1K_E_NS1_11comp_targetILNS1_3genE5ELNS1_11target_archE942ELNS1_3gpuE9ELNS1_3repE0EEENS1_30default_config_static_selectorELNS0_4arch9wavefront6targetE1EEEvSY_,"axG",@progbits,_ZN7rocprim17ROCPRIM_400000_NS6detail17trampoline_kernelINS0_13select_configILj256ELj13ELNS0_17block_load_methodE3ELS4_3ELS4_3ELNS0_20block_scan_algorithmE0ELj4294967295EEENS1_25partition_config_selectorILNS1_17partition_subalgoE3EjNS0_10empty_typeEbEEZZNS1_14partition_implILS8_3ELb0ES6_jNS0_17counting_iteratorIjlEEPS9_SE_NS0_5tupleIJPjSE_EEENSF_IJSE_SE_EEES9_SG_JZNS1_25segmented_radix_sort_implINS0_14default_configELb0EPKhPhPKlPlN2at6native12_GLOBAL__N_18offset_tEEE10hipError_tPvRmT1_PNSt15iterator_traitsISY_E10value_typeET2_T3_PNSZ_IS14_E10value_typeET4_jRbjT5_S1A_jjP12ihipStream_tbEUljE_EEESV_SW_SX_S14_S18_S1A_T6_T7_T9_mT8_S1C_bDpT10_ENKUlT_T0_E_clISt17integral_constantIbLb1EES1O_IbLb0EEEEDaS1K_S1L_EUlS1K_E_NS1_11comp_targetILNS1_3genE5ELNS1_11target_archE942ELNS1_3gpuE9ELNS1_3repE0EEENS1_30default_config_static_selectorELNS0_4arch9wavefront6targetE1EEEvSY_,comdat
	.globl	_ZN7rocprim17ROCPRIM_400000_NS6detail17trampoline_kernelINS0_13select_configILj256ELj13ELNS0_17block_load_methodE3ELS4_3ELS4_3ELNS0_20block_scan_algorithmE0ELj4294967295EEENS1_25partition_config_selectorILNS1_17partition_subalgoE3EjNS0_10empty_typeEbEEZZNS1_14partition_implILS8_3ELb0ES6_jNS0_17counting_iteratorIjlEEPS9_SE_NS0_5tupleIJPjSE_EEENSF_IJSE_SE_EEES9_SG_JZNS1_25segmented_radix_sort_implINS0_14default_configELb0EPKhPhPKlPlN2at6native12_GLOBAL__N_18offset_tEEE10hipError_tPvRmT1_PNSt15iterator_traitsISY_E10value_typeET2_T3_PNSZ_IS14_E10value_typeET4_jRbjT5_S1A_jjP12ihipStream_tbEUljE_EEESV_SW_SX_S14_S18_S1A_T6_T7_T9_mT8_S1C_bDpT10_ENKUlT_T0_E_clISt17integral_constantIbLb1EES1O_IbLb0EEEEDaS1K_S1L_EUlS1K_E_NS1_11comp_targetILNS1_3genE5ELNS1_11target_archE942ELNS1_3gpuE9ELNS1_3repE0EEENS1_30default_config_static_selectorELNS0_4arch9wavefront6targetE1EEEvSY_ ; -- Begin function _ZN7rocprim17ROCPRIM_400000_NS6detail17trampoline_kernelINS0_13select_configILj256ELj13ELNS0_17block_load_methodE3ELS4_3ELS4_3ELNS0_20block_scan_algorithmE0ELj4294967295EEENS1_25partition_config_selectorILNS1_17partition_subalgoE3EjNS0_10empty_typeEbEEZZNS1_14partition_implILS8_3ELb0ES6_jNS0_17counting_iteratorIjlEEPS9_SE_NS0_5tupleIJPjSE_EEENSF_IJSE_SE_EEES9_SG_JZNS1_25segmented_radix_sort_implINS0_14default_configELb0EPKhPhPKlPlN2at6native12_GLOBAL__N_18offset_tEEE10hipError_tPvRmT1_PNSt15iterator_traitsISY_E10value_typeET2_T3_PNSZ_IS14_E10value_typeET4_jRbjT5_S1A_jjP12ihipStream_tbEUljE_EEESV_SW_SX_S14_S18_S1A_T6_T7_T9_mT8_S1C_bDpT10_ENKUlT_T0_E_clISt17integral_constantIbLb1EES1O_IbLb0EEEEDaS1K_S1L_EUlS1K_E_NS1_11comp_targetILNS1_3genE5ELNS1_11target_archE942ELNS1_3gpuE9ELNS1_3repE0EEENS1_30default_config_static_selectorELNS0_4arch9wavefront6targetE1EEEvSY_
	.p2align	8
	.type	_ZN7rocprim17ROCPRIM_400000_NS6detail17trampoline_kernelINS0_13select_configILj256ELj13ELNS0_17block_load_methodE3ELS4_3ELS4_3ELNS0_20block_scan_algorithmE0ELj4294967295EEENS1_25partition_config_selectorILNS1_17partition_subalgoE3EjNS0_10empty_typeEbEEZZNS1_14partition_implILS8_3ELb0ES6_jNS0_17counting_iteratorIjlEEPS9_SE_NS0_5tupleIJPjSE_EEENSF_IJSE_SE_EEES9_SG_JZNS1_25segmented_radix_sort_implINS0_14default_configELb0EPKhPhPKlPlN2at6native12_GLOBAL__N_18offset_tEEE10hipError_tPvRmT1_PNSt15iterator_traitsISY_E10value_typeET2_T3_PNSZ_IS14_E10value_typeET4_jRbjT5_S1A_jjP12ihipStream_tbEUljE_EEESV_SW_SX_S14_S18_S1A_T6_T7_T9_mT8_S1C_bDpT10_ENKUlT_T0_E_clISt17integral_constantIbLb1EES1O_IbLb0EEEEDaS1K_S1L_EUlS1K_E_NS1_11comp_targetILNS1_3genE5ELNS1_11target_archE942ELNS1_3gpuE9ELNS1_3repE0EEENS1_30default_config_static_selectorELNS0_4arch9wavefront6targetE1EEEvSY_,@function
_ZN7rocprim17ROCPRIM_400000_NS6detail17trampoline_kernelINS0_13select_configILj256ELj13ELNS0_17block_load_methodE3ELS4_3ELS4_3ELNS0_20block_scan_algorithmE0ELj4294967295EEENS1_25partition_config_selectorILNS1_17partition_subalgoE3EjNS0_10empty_typeEbEEZZNS1_14partition_implILS8_3ELb0ES6_jNS0_17counting_iteratorIjlEEPS9_SE_NS0_5tupleIJPjSE_EEENSF_IJSE_SE_EEES9_SG_JZNS1_25segmented_radix_sort_implINS0_14default_configELb0EPKhPhPKlPlN2at6native12_GLOBAL__N_18offset_tEEE10hipError_tPvRmT1_PNSt15iterator_traitsISY_E10value_typeET2_T3_PNSZ_IS14_E10value_typeET4_jRbjT5_S1A_jjP12ihipStream_tbEUljE_EEESV_SW_SX_S14_S18_S1A_T6_T7_T9_mT8_S1C_bDpT10_ENKUlT_T0_E_clISt17integral_constantIbLb1EES1O_IbLb0EEEEDaS1K_S1L_EUlS1K_E_NS1_11comp_targetILNS1_3genE5ELNS1_11target_archE942ELNS1_3gpuE9ELNS1_3repE0EEENS1_30default_config_static_selectorELNS0_4arch9wavefront6targetE1EEEvSY_: ; @_ZN7rocprim17ROCPRIM_400000_NS6detail17trampoline_kernelINS0_13select_configILj256ELj13ELNS0_17block_load_methodE3ELS4_3ELS4_3ELNS0_20block_scan_algorithmE0ELj4294967295EEENS1_25partition_config_selectorILNS1_17partition_subalgoE3EjNS0_10empty_typeEbEEZZNS1_14partition_implILS8_3ELb0ES6_jNS0_17counting_iteratorIjlEEPS9_SE_NS0_5tupleIJPjSE_EEENSF_IJSE_SE_EEES9_SG_JZNS1_25segmented_radix_sort_implINS0_14default_configELb0EPKhPhPKlPlN2at6native12_GLOBAL__N_18offset_tEEE10hipError_tPvRmT1_PNSt15iterator_traitsISY_E10value_typeET2_T3_PNSZ_IS14_E10value_typeET4_jRbjT5_S1A_jjP12ihipStream_tbEUljE_EEESV_SW_SX_S14_S18_S1A_T6_T7_T9_mT8_S1C_bDpT10_ENKUlT_T0_E_clISt17integral_constantIbLb1EES1O_IbLb0EEEEDaS1K_S1L_EUlS1K_E_NS1_11comp_targetILNS1_3genE5ELNS1_11target_archE942ELNS1_3gpuE9ELNS1_3repE0EEENS1_30default_config_static_selectorELNS0_4arch9wavefront6targetE1EEEvSY_
; %bb.0:
	.section	.rodata,"a",@progbits
	.p2align	6, 0x0
	.amdhsa_kernel _ZN7rocprim17ROCPRIM_400000_NS6detail17trampoline_kernelINS0_13select_configILj256ELj13ELNS0_17block_load_methodE3ELS4_3ELS4_3ELNS0_20block_scan_algorithmE0ELj4294967295EEENS1_25partition_config_selectorILNS1_17partition_subalgoE3EjNS0_10empty_typeEbEEZZNS1_14partition_implILS8_3ELb0ES6_jNS0_17counting_iteratorIjlEEPS9_SE_NS0_5tupleIJPjSE_EEENSF_IJSE_SE_EEES9_SG_JZNS1_25segmented_radix_sort_implINS0_14default_configELb0EPKhPhPKlPlN2at6native12_GLOBAL__N_18offset_tEEE10hipError_tPvRmT1_PNSt15iterator_traitsISY_E10value_typeET2_T3_PNSZ_IS14_E10value_typeET4_jRbjT5_S1A_jjP12ihipStream_tbEUljE_EEESV_SW_SX_S14_S18_S1A_T6_T7_T9_mT8_S1C_bDpT10_ENKUlT_T0_E_clISt17integral_constantIbLb1EES1O_IbLb0EEEEDaS1K_S1L_EUlS1K_E_NS1_11comp_targetILNS1_3genE5ELNS1_11target_archE942ELNS1_3gpuE9ELNS1_3repE0EEENS1_30default_config_static_selectorELNS0_4arch9wavefront6targetE1EEEvSY_
		.amdhsa_group_segment_fixed_size 0
		.amdhsa_private_segment_fixed_size 0
		.amdhsa_kernarg_size 144
		.amdhsa_user_sgpr_count 6
		.amdhsa_user_sgpr_private_segment_buffer 1
		.amdhsa_user_sgpr_dispatch_ptr 0
		.amdhsa_user_sgpr_queue_ptr 0
		.amdhsa_user_sgpr_kernarg_segment_ptr 1
		.amdhsa_user_sgpr_dispatch_id 0
		.amdhsa_user_sgpr_flat_scratch_init 0
		.amdhsa_user_sgpr_kernarg_preload_length 0
		.amdhsa_user_sgpr_kernarg_preload_offset 0
		.amdhsa_user_sgpr_private_segment_size 0
		.amdhsa_uses_dynamic_stack 0
		.amdhsa_system_sgpr_private_segment_wavefront_offset 0
		.amdhsa_system_sgpr_workgroup_id_x 1
		.amdhsa_system_sgpr_workgroup_id_y 0
		.amdhsa_system_sgpr_workgroup_id_z 0
		.amdhsa_system_sgpr_workgroup_info 0
		.amdhsa_system_vgpr_workitem_id 0
		.amdhsa_next_free_vgpr 1
		.amdhsa_next_free_sgpr 0
		.amdhsa_accum_offset 4
		.amdhsa_reserve_vcc 0
		.amdhsa_reserve_flat_scratch 0
		.amdhsa_float_round_mode_32 0
		.amdhsa_float_round_mode_16_64 0
		.amdhsa_float_denorm_mode_32 3
		.amdhsa_float_denorm_mode_16_64 3
		.amdhsa_dx10_clamp 1
		.amdhsa_ieee_mode 1
		.amdhsa_fp16_overflow 0
		.amdhsa_tg_split 0
		.amdhsa_exception_fp_ieee_invalid_op 0
		.amdhsa_exception_fp_denorm_src 0
		.amdhsa_exception_fp_ieee_div_zero 0
		.amdhsa_exception_fp_ieee_overflow 0
		.amdhsa_exception_fp_ieee_underflow 0
		.amdhsa_exception_fp_ieee_inexact 0
		.amdhsa_exception_int_div_zero 0
	.end_amdhsa_kernel
	.section	.text._ZN7rocprim17ROCPRIM_400000_NS6detail17trampoline_kernelINS0_13select_configILj256ELj13ELNS0_17block_load_methodE3ELS4_3ELS4_3ELNS0_20block_scan_algorithmE0ELj4294967295EEENS1_25partition_config_selectorILNS1_17partition_subalgoE3EjNS0_10empty_typeEbEEZZNS1_14partition_implILS8_3ELb0ES6_jNS0_17counting_iteratorIjlEEPS9_SE_NS0_5tupleIJPjSE_EEENSF_IJSE_SE_EEES9_SG_JZNS1_25segmented_radix_sort_implINS0_14default_configELb0EPKhPhPKlPlN2at6native12_GLOBAL__N_18offset_tEEE10hipError_tPvRmT1_PNSt15iterator_traitsISY_E10value_typeET2_T3_PNSZ_IS14_E10value_typeET4_jRbjT5_S1A_jjP12ihipStream_tbEUljE_EEESV_SW_SX_S14_S18_S1A_T6_T7_T9_mT8_S1C_bDpT10_ENKUlT_T0_E_clISt17integral_constantIbLb1EES1O_IbLb0EEEEDaS1K_S1L_EUlS1K_E_NS1_11comp_targetILNS1_3genE5ELNS1_11target_archE942ELNS1_3gpuE9ELNS1_3repE0EEENS1_30default_config_static_selectorELNS0_4arch9wavefront6targetE1EEEvSY_,"axG",@progbits,_ZN7rocprim17ROCPRIM_400000_NS6detail17trampoline_kernelINS0_13select_configILj256ELj13ELNS0_17block_load_methodE3ELS4_3ELS4_3ELNS0_20block_scan_algorithmE0ELj4294967295EEENS1_25partition_config_selectorILNS1_17partition_subalgoE3EjNS0_10empty_typeEbEEZZNS1_14partition_implILS8_3ELb0ES6_jNS0_17counting_iteratorIjlEEPS9_SE_NS0_5tupleIJPjSE_EEENSF_IJSE_SE_EEES9_SG_JZNS1_25segmented_radix_sort_implINS0_14default_configELb0EPKhPhPKlPlN2at6native12_GLOBAL__N_18offset_tEEE10hipError_tPvRmT1_PNSt15iterator_traitsISY_E10value_typeET2_T3_PNSZ_IS14_E10value_typeET4_jRbjT5_S1A_jjP12ihipStream_tbEUljE_EEESV_SW_SX_S14_S18_S1A_T6_T7_T9_mT8_S1C_bDpT10_ENKUlT_T0_E_clISt17integral_constantIbLb1EES1O_IbLb0EEEEDaS1K_S1L_EUlS1K_E_NS1_11comp_targetILNS1_3genE5ELNS1_11target_archE942ELNS1_3gpuE9ELNS1_3repE0EEENS1_30default_config_static_selectorELNS0_4arch9wavefront6targetE1EEEvSY_,comdat
.Lfunc_end171:
	.size	_ZN7rocprim17ROCPRIM_400000_NS6detail17trampoline_kernelINS0_13select_configILj256ELj13ELNS0_17block_load_methodE3ELS4_3ELS4_3ELNS0_20block_scan_algorithmE0ELj4294967295EEENS1_25partition_config_selectorILNS1_17partition_subalgoE3EjNS0_10empty_typeEbEEZZNS1_14partition_implILS8_3ELb0ES6_jNS0_17counting_iteratorIjlEEPS9_SE_NS0_5tupleIJPjSE_EEENSF_IJSE_SE_EEES9_SG_JZNS1_25segmented_radix_sort_implINS0_14default_configELb0EPKhPhPKlPlN2at6native12_GLOBAL__N_18offset_tEEE10hipError_tPvRmT1_PNSt15iterator_traitsISY_E10value_typeET2_T3_PNSZ_IS14_E10value_typeET4_jRbjT5_S1A_jjP12ihipStream_tbEUljE_EEESV_SW_SX_S14_S18_S1A_T6_T7_T9_mT8_S1C_bDpT10_ENKUlT_T0_E_clISt17integral_constantIbLb1EES1O_IbLb0EEEEDaS1K_S1L_EUlS1K_E_NS1_11comp_targetILNS1_3genE5ELNS1_11target_archE942ELNS1_3gpuE9ELNS1_3repE0EEENS1_30default_config_static_selectorELNS0_4arch9wavefront6targetE1EEEvSY_, .Lfunc_end171-_ZN7rocprim17ROCPRIM_400000_NS6detail17trampoline_kernelINS0_13select_configILj256ELj13ELNS0_17block_load_methodE3ELS4_3ELS4_3ELNS0_20block_scan_algorithmE0ELj4294967295EEENS1_25partition_config_selectorILNS1_17partition_subalgoE3EjNS0_10empty_typeEbEEZZNS1_14partition_implILS8_3ELb0ES6_jNS0_17counting_iteratorIjlEEPS9_SE_NS0_5tupleIJPjSE_EEENSF_IJSE_SE_EEES9_SG_JZNS1_25segmented_radix_sort_implINS0_14default_configELb0EPKhPhPKlPlN2at6native12_GLOBAL__N_18offset_tEEE10hipError_tPvRmT1_PNSt15iterator_traitsISY_E10value_typeET2_T3_PNSZ_IS14_E10value_typeET4_jRbjT5_S1A_jjP12ihipStream_tbEUljE_EEESV_SW_SX_S14_S18_S1A_T6_T7_T9_mT8_S1C_bDpT10_ENKUlT_T0_E_clISt17integral_constantIbLb1EES1O_IbLb0EEEEDaS1K_S1L_EUlS1K_E_NS1_11comp_targetILNS1_3genE5ELNS1_11target_archE942ELNS1_3gpuE9ELNS1_3repE0EEENS1_30default_config_static_selectorELNS0_4arch9wavefront6targetE1EEEvSY_
                                        ; -- End function
	.section	.AMDGPU.csdata,"",@progbits
; Kernel info:
; codeLenInByte = 0
; NumSgprs: 4
; NumVgprs: 0
; NumAgprs: 0
; TotalNumVgprs: 0
; ScratchSize: 0
; MemoryBound: 0
; FloatMode: 240
; IeeeMode: 1
; LDSByteSize: 0 bytes/workgroup (compile time only)
; SGPRBlocks: 0
; VGPRBlocks: 0
; NumSGPRsForWavesPerEU: 4
; NumVGPRsForWavesPerEU: 1
; AccumOffset: 4
; Occupancy: 8
; WaveLimiterHint : 0
; COMPUTE_PGM_RSRC2:SCRATCH_EN: 0
; COMPUTE_PGM_RSRC2:USER_SGPR: 6
; COMPUTE_PGM_RSRC2:TRAP_HANDLER: 0
; COMPUTE_PGM_RSRC2:TGID_X_EN: 1
; COMPUTE_PGM_RSRC2:TGID_Y_EN: 0
; COMPUTE_PGM_RSRC2:TGID_Z_EN: 0
; COMPUTE_PGM_RSRC2:TIDIG_COMP_CNT: 0
; COMPUTE_PGM_RSRC3_GFX90A:ACCUM_OFFSET: 0
; COMPUTE_PGM_RSRC3_GFX90A:TG_SPLIT: 0
	.section	.text._ZN7rocprim17ROCPRIM_400000_NS6detail17trampoline_kernelINS0_13select_configILj256ELj13ELNS0_17block_load_methodE3ELS4_3ELS4_3ELNS0_20block_scan_algorithmE0ELj4294967295EEENS1_25partition_config_selectorILNS1_17partition_subalgoE3EjNS0_10empty_typeEbEEZZNS1_14partition_implILS8_3ELb0ES6_jNS0_17counting_iteratorIjlEEPS9_SE_NS0_5tupleIJPjSE_EEENSF_IJSE_SE_EEES9_SG_JZNS1_25segmented_radix_sort_implINS0_14default_configELb0EPKhPhPKlPlN2at6native12_GLOBAL__N_18offset_tEEE10hipError_tPvRmT1_PNSt15iterator_traitsISY_E10value_typeET2_T3_PNSZ_IS14_E10value_typeET4_jRbjT5_S1A_jjP12ihipStream_tbEUljE_EEESV_SW_SX_S14_S18_S1A_T6_T7_T9_mT8_S1C_bDpT10_ENKUlT_T0_E_clISt17integral_constantIbLb1EES1O_IbLb0EEEEDaS1K_S1L_EUlS1K_E_NS1_11comp_targetILNS1_3genE4ELNS1_11target_archE910ELNS1_3gpuE8ELNS1_3repE0EEENS1_30default_config_static_selectorELNS0_4arch9wavefront6targetE1EEEvSY_,"axG",@progbits,_ZN7rocprim17ROCPRIM_400000_NS6detail17trampoline_kernelINS0_13select_configILj256ELj13ELNS0_17block_load_methodE3ELS4_3ELS4_3ELNS0_20block_scan_algorithmE0ELj4294967295EEENS1_25partition_config_selectorILNS1_17partition_subalgoE3EjNS0_10empty_typeEbEEZZNS1_14partition_implILS8_3ELb0ES6_jNS0_17counting_iteratorIjlEEPS9_SE_NS0_5tupleIJPjSE_EEENSF_IJSE_SE_EEES9_SG_JZNS1_25segmented_radix_sort_implINS0_14default_configELb0EPKhPhPKlPlN2at6native12_GLOBAL__N_18offset_tEEE10hipError_tPvRmT1_PNSt15iterator_traitsISY_E10value_typeET2_T3_PNSZ_IS14_E10value_typeET4_jRbjT5_S1A_jjP12ihipStream_tbEUljE_EEESV_SW_SX_S14_S18_S1A_T6_T7_T9_mT8_S1C_bDpT10_ENKUlT_T0_E_clISt17integral_constantIbLb1EES1O_IbLb0EEEEDaS1K_S1L_EUlS1K_E_NS1_11comp_targetILNS1_3genE4ELNS1_11target_archE910ELNS1_3gpuE8ELNS1_3repE0EEENS1_30default_config_static_selectorELNS0_4arch9wavefront6targetE1EEEvSY_,comdat
	.globl	_ZN7rocprim17ROCPRIM_400000_NS6detail17trampoline_kernelINS0_13select_configILj256ELj13ELNS0_17block_load_methodE3ELS4_3ELS4_3ELNS0_20block_scan_algorithmE0ELj4294967295EEENS1_25partition_config_selectorILNS1_17partition_subalgoE3EjNS0_10empty_typeEbEEZZNS1_14partition_implILS8_3ELb0ES6_jNS0_17counting_iteratorIjlEEPS9_SE_NS0_5tupleIJPjSE_EEENSF_IJSE_SE_EEES9_SG_JZNS1_25segmented_radix_sort_implINS0_14default_configELb0EPKhPhPKlPlN2at6native12_GLOBAL__N_18offset_tEEE10hipError_tPvRmT1_PNSt15iterator_traitsISY_E10value_typeET2_T3_PNSZ_IS14_E10value_typeET4_jRbjT5_S1A_jjP12ihipStream_tbEUljE_EEESV_SW_SX_S14_S18_S1A_T6_T7_T9_mT8_S1C_bDpT10_ENKUlT_T0_E_clISt17integral_constantIbLb1EES1O_IbLb0EEEEDaS1K_S1L_EUlS1K_E_NS1_11comp_targetILNS1_3genE4ELNS1_11target_archE910ELNS1_3gpuE8ELNS1_3repE0EEENS1_30default_config_static_selectorELNS0_4arch9wavefront6targetE1EEEvSY_ ; -- Begin function _ZN7rocprim17ROCPRIM_400000_NS6detail17trampoline_kernelINS0_13select_configILj256ELj13ELNS0_17block_load_methodE3ELS4_3ELS4_3ELNS0_20block_scan_algorithmE0ELj4294967295EEENS1_25partition_config_selectorILNS1_17partition_subalgoE3EjNS0_10empty_typeEbEEZZNS1_14partition_implILS8_3ELb0ES6_jNS0_17counting_iteratorIjlEEPS9_SE_NS0_5tupleIJPjSE_EEENSF_IJSE_SE_EEES9_SG_JZNS1_25segmented_radix_sort_implINS0_14default_configELb0EPKhPhPKlPlN2at6native12_GLOBAL__N_18offset_tEEE10hipError_tPvRmT1_PNSt15iterator_traitsISY_E10value_typeET2_T3_PNSZ_IS14_E10value_typeET4_jRbjT5_S1A_jjP12ihipStream_tbEUljE_EEESV_SW_SX_S14_S18_S1A_T6_T7_T9_mT8_S1C_bDpT10_ENKUlT_T0_E_clISt17integral_constantIbLb1EES1O_IbLb0EEEEDaS1K_S1L_EUlS1K_E_NS1_11comp_targetILNS1_3genE4ELNS1_11target_archE910ELNS1_3gpuE8ELNS1_3repE0EEENS1_30default_config_static_selectorELNS0_4arch9wavefront6targetE1EEEvSY_
	.p2align	8
	.type	_ZN7rocprim17ROCPRIM_400000_NS6detail17trampoline_kernelINS0_13select_configILj256ELj13ELNS0_17block_load_methodE3ELS4_3ELS4_3ELNS0_20block_scan_algorithmE0ELj4294967295EEENS1_25partition_config_selectorILNS1_17partition_subalgoE3EjNS0_10empty_typeEbEEZZNS1_14partition_implILS8_3ELb0ES6_jNS0_17counting_iteratorIjlEEPS9_SE_NS0_5tupleIJPjSE_EEENSF_IJSE_SE_EEES9_SG_JZNS1_25segmented_radix_sort_implINS0_14default_configELb0EPKhPhPKlPlN2at6native12_GLOBAL__N_18offset_tEEE10hipError_tPvRmT1_PNSt15iterator_traitsISY_E10value_typeET2_T3_PNSZ_IS14_E10value_typeET4_jRbjT5_S1A_jjP12ihipStream_tbEUljE_EEESV_SW_SX_S14_S18_S1A_T6_T7_T9_mT8_S1C_bDpT10_ENKUlT_T0_E_clISt17integral_constantIbLb1EES1O_IbLb0EEEEDaS1K_S1L_EUlS1K_E_NS1_11comp_targetILNS1_3genE4ELNS1_11target_archE910ELNS1_3gpuE8ELNS1_3repE0EEENS1_30default_config_static_selectorELNS0_4arch9wavefront6targetE1EEEvSY_,@function
_ZN7rocprim17ROCPRIM_400000_NS6detail17trampoline_kernelINS0_13select_configILj256ELj13ELNS0_17block_load_methodE3ELS4_3ELS4_3ELNS0_20block_scan_algorithmE0ELj4294967295EEENS1_25partition_config_selectorILNS1_17partition_subalgoE3EjNS0_10empty_typeEbEEZZNS1_14partition_implILS8_3ELb0ES6_jNS0_17counting_iteratorIjlEEPS9_SE_NS0_5tupleIJPjSE_EEENSF_IJSE_SE_EEES9_SG_JZNS1_25segmented_radix_sort_implINS0_14default_configELb0EPKhPhPKlPlN2at6native12_GLOBAL__N_18offset_tEEE10hipError_tPvRmT1_PNSt15iterator_traitsISY_E10value_typeET2_T3_PNSZ_IS14_E10value_typeET4_jRbjT5_S1A_jjP12ihipStream_tbEUljE_EEESV_SW_SX_S14_S18_S1A_T6_T7_T9_mT8_S1C_bDpT10_ENKUlT_T0_E_clISt17integral_constantIbLb1EES1O_IbLb0EEEEDaS1K_S1L_EUlS1K_E_NS1_11comp_targetILNS1_3genE4ELNS1_11target_archE910ELNS1_3gpuE8ELNS1_3repE0EEENS1_30default_config_static_selectorELNS0_4arch9wavefront6targetE1EEEvSY_: ; @_ZN7rocprim17ROCPRIM_400000_NS6detail17trampoline_kernelINS0_13select_configILj256ELj13ELNS0_17block_load_methodE3ELS4_3ELS4_3ELNS0_20block_scan_algorithmE0ELj4294967295EEENS1_25partition_config_selectorILNS1_17partition_subalgoE3EjNS0_10empty_typeEbEEZZNS1_14partition_implILS8_3ELb0ES6_jNS0_17counting_iteratorIjlEEPS9_SE_NS0_5tupleIJPjSE_EEENSF_IJSE_SE_EEES9_SG_JZNS1_25segmented_radix_sort_implINS0_14default_configELb0EPKhPhPKlPlN2at6native12_GLOBAL__N_18offset_tEEE10hipError_tPvRmT1_PNSt15iterator_traitsISY_E10value_typeET2_T3_PNSZ_IS14_E10value_typeET4_jRbjT5_S1A_jjP12ihipStream_tbEUljE_EEESV_SW_SX_S14_S18_S1A_T6_T7_T9_mT8_S1C_bDpT10_ENKUlT_T0_E_clISt17integral_constantIbLb1EES1O_IbLb0EEEEDaS1K_S1L_EUlS1K_E_NS1_11comp_targetILNS1_3genE4ELNS1_11target_archE910ELNS1_3gpuE8ELNS1_3repE0EEENS1_30default_config_static_selectorELNS0_4arch9wavefront6targetE1EEEvSY_
; %bb.0:
	s_load_dwordx2 s[26:27], s[4:5], 0x58
	s_load_dwordx4 s[20:23], s[4:5], 0x48
	s_load_dword s13, s[4:5], 0x8
	s_load_dwordx2 s[28:29], s[4:5], 0x10
	s_load_dword s12, s[4:5], 0x70
	s_load_dword s7, s[4:5], 0x88
	s_load_dwordx4 s[8:11], s[4:5], 0x78
	s_waitcnt lgkmcnt(0)
	s_load_dwordx2 s[30:31], s[22:23], 0x0
	v_pk_mov_b32 v[2:3], s[26:27], s[26:27] op_sel:[0,1]
	s_add_i32 s2, s12, -1
	s_mulk_i32 s12, 0xd00
	s_add_u32 s0, s28, s12
	s_addc_u32 s1, s29, 0
	s_cmp_eq_u32 s6, s2
	s_cselect_b64 s[22:23], -1, 0
	s_cmp_lg_u32 s6, s2
	s_mul_i32 s42, s6, 0xd00
	v_cmp_lt_u64_e32 vcc, s[0:1], v[2:3]
	s_cselect_b64 s[0:1], -1, 0
	s_or_b64 s[2:3], s[0:1], vcc
	s_add_i32 s0, s13, s42
	s_add_i32 s0, s0, s28
	v_add_u32_e32 v2, s0, v0
	s_mov_b64 s[0:1], -1
	s_and_b64 vcc, exec, s[2:3]
	v_lshlrev_b32_e32 v1, 2, v0
	s_cbranch_vccz .LBB172_2
; %bb.1:
	v_add_u32_e32 v3, 0x100, v2
	v_add_u32_e32 v4, 0x200, v2
	;; [unrolled: 1-line block ×12, first 2 shown]
	ds_write2st64_b32 v1, v2, v3 offset1:4
	ds_write2st64_b32 v1, v4, v5 offset0:8 offset1:12
	ds_write2st64_b32 v1, v6, v7 offset0:16 offset1:20
	;; [unrolled: 1-line block ×5, first 2 shown]
	ds_write_b32 v1, v14 offset:12288
	s_waitcnt lgkmcnt(0)
	s_barrier
	s_mov_b64 s[0:1], 0
.LBB172_2:
	s_andn2_b64 vcc, exec, s[0:1]
	s_add_i32 s12, s12, s28
	s_cbranch_vccnz .LBB172_4
; %bb.3:
	v_add_u32_e32 v3, 0x100, v2
	v_add_u32_e32 v4, 0x200, v2
	;; [unrolled: 1-line block ×12, first 2 shown]
	ds_write2st64_b32 v1, v2, v3 offset1:4
	ds_write2st64_b32 v1, v4, v5 offset0:8 offset1:12
	ds_write2st64_b32 v1, v6, v7 offset0:16 offset1:20
	;; [unrolled: 1-line block ×5, first 2 shown]
	ds_write_b32 v1, v14 offset:12288
	s_waitcnt lgkmcnt(0)
	s_barrier
.LBB172_4:
	v_mul_u32_u24_e32 v33, 13, v0
	v_lshlrev_b32_e32 v2, 2, v33
	s_waitcnt lgkmcnt(0)
	ds_read2_b32 v[30:31], v2 offset1:1
	ds_read2_b32 v[28:29], v2 offset0:2 offset1:3
	ds_read2_b32 v[26:27], v2 offset0:4 offset1:5
	;; [unrolled: 1-line block ×5, first 2 shown]
	ds_read_b32 v32, v2 offset:48
	v_cndmask_b32_e64 v2, 0, 1, s[2:3]
	s_sub_i32 s33, s26, s12
	v_cmp_ne_u32_e64 s[0:1], 1, v2
	s_andn2_b64 vcc, exec, s[2:3]
	s_waitcnt lgkmcnt(0)
	s_barrier
	s_cbranch_vccnz .LBB172_6
; %bb.5:
	v_add_u32_e32 v2, s9, v30
	v_add_u32_e32 v3, s11, v30
	v_mul_lo_u32 v2, v2, s8
	v_mul_lo_u32 v3, v3, s10
	v_sub_u32_e32 v2, v2, v3
	v_add_u32_e32 v3, s9, v31
	v_add_u32_e32 v4, s11, v31
	v_mul_lo_u32 v3, v3, s8
	v_mul_lo_u32 v4, v4, s10
	v_sub_u32_e32 v3, v3, v4
	;; [unrolled: 5-line block ×6, first 2 shown]
	v_add_u32_e32 v8, s9, v24
	v_add_u32_e32 v9, s11, v24
	v_mul_lo_u32 v8, v8, s8
	v_mul_lo_u32 v9, v9, s10
	v_cmp_lt_u32_e32 vcc, s7, v2
	v_sub_u32_e32 v8, v8, v9
	v_add_u32_e32 v9, s9, v25
	v_add_u32_e32 v10, s11, v25
	v_cndmask_b32_e64 v2, 0, 1, vcc
	v_cmp_lt_u32_e32 vcc, s7, v3
	v_mul_lo_u32 v9, v9, s8
	v_mul_lo_u32 v10, v10, s10
	v_cndmask_b32_e64 v3, 0, 1, vcc
	v_cmp_lt_u32_e32 vcc, s7, v4
	v_sub_u32_e32 v9, v9, v10
	v_add_u32_e32 v10, s9, v22
	v_add_u32_e32 v11, s11, v22
	v_cndmask_b32_e64 v4, 0, 1, vcc
	v_cmp_lt_u32_e32 vcc, s7, v5
	v_mul_lo_u32 v10, v10, s8
	v_mul_lo_u32 v11, v11, s10
	v_cndmask_b32_e64 v5, 0, 1, vcc
	;; [unrolled: 9-line block ×4, first 2 shown]
	v_cmp_lt_u32_e32 vcc, s7, v10
	v_sub_u32_e32 v12, v12, v13
	v_add_u32_e32 v13, s9, v21
	v_add_u32_e32 v14, s11, v21
	v_lshlrev_b16_e32 v3, 8, v3
	v_cndmask_b32_e64 v10, 0, 1, vcc
	v_cmp_lt_u32_e32 vcc, s7, v11
	v_mul_lo_u32 v13, v13, s8
	v_mul_lo_u32 v14, v14, s10
	v_or_b32_e32 v2, v2, v3
	v_lshlrev_b16_e32 v3, 8, v5
	v_cndmask_b32_e64 v11, 0, 1, vcc
	v_cmp_lt_u32_e32 vcc, s7, v12
	v_sub_u32_e32 v13, v13, v14
	v_or_b32_sdwa v3, v4, v3 dst_sel:WORD_1 dst_unused:UNUSED_PAD src0_sel:DWORD src1_sel:DWORD
	v_cndmask_b32_e64 v12, 0, 1, vcc
	v_cmp_lt_u32_e32 vcc, s7, v13
	v_add_u32_e32 v14, s9, v32
	v_add_u32_e32 v15, s11, v32
	v_or_b32_sdwa v37, v2, v3 dst_sel:DWORD dst_unused:UNUSED_PAD src0_sel:WORD_0 src1_sel:DWORD
	v_lshlrev_b16_e32 v2, 8, v7
	v_lshlrev_b16_e32 v3, 8, v9
	v_cndmask_b32_e64 v13, 0, 1, vcc
	v_mul_lo_u32 v14, v14, s8
	v_mul_lo_u32 v15, v15, s10
	v_or_b32_e32 v2, v6, v2
	v_or_b32_sdwa v3, v8, v3 dst_sel:WORD_1 dst_unused:UNUSED_PAD src0_sel:DWORD src1_sel:DWORD
	v_sub_u32_e32 v14, v14, v15
	v_or_b32_sdwa v36, v2, v3 dst_sel:DWORD dst_unused:UNUSED_PAD src0_sel:WORD_0 src1_sel:DWORD
	v_lshlrev_b16_e32 v2, 8, v11
	v_lshlrev_b16_e32 v3, 8, v13
	v_cmp_lt_u32_e32 vcc, s7, v14
	v_or_b32_e32 v2, v10, v2
	v_or_b32_sdwa v3, v12, v3 dst_sel:WORD_1 dst_unused:UNUSED_PAD src0_sel:DWORD src1_sel:DWORD
	v_cndmask_b32_e64 v34, 0, 1, vcc
	v_or_b32_sdwa v35, v2, v3 dst_sel:DWORD dst_unused:UNUSED_PAD src0_sel:WORD_0 src1_sel:DWORD
	s_mov_b64 s[2:3], 0
	s_branch .LBB172_7
.LBB172_6:
	s_mov_b64 s[2:3], -1
                                        ; implicit-def: $vgpr34
                                        ; implicit-def: $vgpr35
                                        ; implicit-def: $vgpr36
                                        ; implicit-def: $vgpr37
.LBB172_7:
	s_load_dwordx2 s[24:25], s[4:5], 0x28
	s_load_dwordx2 s[34:35], s[4:5], 0x68
	s_andn2_b64 vcc, exec, s[2:3]
	s_addk_i32 s33, 0xd00
	s_cbranch_vccnz .LBB172_35
; %bb.8:
	v_cmp_gt_u32_e32 vcc, s33, v33
	v_mov_b32_e32 v3, 0
	v_mov_b32_e32 v2, 0
	s_and_saveexec_b64 s[2:3], vcc
; %bb.9:
	v_add_u32_e32 v2, s9, v30
	v_add_u32_e32 v4, s11, v30
	v_mul_lo_u32 v2, v2, s8
	v_mul_lo_u32 v4, v4, s10
	v_sub_u32_e32 v2, v2, v4
	v_cmp_lt_u32_e32 vcc, s7, v2
	v_cndmask_b32_e64 v2, 0, 1, vcc
; %bb.10:
	s_or_b64 exec, exec, s[2:3]
	v_add_u32_e32 v4, 1, v33
	v_cmp_gt_u32_e32 vcc, s33, v4
	s_and_saveexec_b64 s[2:3], vcc
; %bb.11:
	v_add_u32_e32 v3, s9, v31
	v_add_u32_e32 v4, s11, v31
	v_mul_lo_u32 v3, v3, s8
	v_mul_lo_u32 v4, v4, s10
	v_sub_u32_e32 v3, v3, v4
	v_cmp_lt_u32_e32 vcc, s7, v3
	v_cndmask_b32_e64 v3, 0, 1, vcc
; %bb.12:
	s_or_b64 exec, exec, s[2:3]
	v_add_u32_e32 v4, 2, v33
	v_cmp_gt_u32_e32 vcc, s33, v4
	v_mov_b32_e32 v5, 0
	v_mov_b32_e32 v4, 0
	s_and_saveexec_b64 s[2:3], vcc
; %bb.13:
	v_add_u32_e32 v4, s9, v28
	v_add_u32_e32 v6, s11, v28
	v_mul_lo_u32 v4, v4, s8
	v_mul_lo_u32 v6, v6, s10
	v_sub_u32_e32 v4, v4, v6
	v_cmp_lt_u32_e32 vcc, s7, v4
	v_cndmask_b32_e64 v4, 0, 1, vcc
; %bb.14:
	s_or_b64 exec, exec, s[2:3]
	v_add_u32_e32 v6, 3, v33
	v_cmp_gt_u32_e32 vcc, s33, v6
	s_and_saveexec_b64 s[2:3], vcc
; %bb.15:
	v_add_u32_e32 v5, s9, v29
	v_add_u32_e32 v6, s11, v29
	v_mul_lo_u32 v5, v5, s8
	v_mul_lo_u32 v6, v6, s10
	v_sub_u32_e32 v5, v5, v6
	v_cmp_lt_u32_e32 vcc, s7, v5
	v_cndmask_b32_e64 v5, 0, 1, vcc
; %bb.16:
	s_or_b64 exec, exec, s[2:3]
	v_add_u32_e32 v6, 4, v33
	v_cmp_gt_u32_e32 vcc, s33, v6
	v_mov_b32_e32 v7, 0
	v_mov_b32_e32 v6, 0
	s_and_saveexec_b64 s[2:3], vcc
; %bb.17:
	v_add_u32_e32 v6, s9, v26
	v_add_u32_e32 v8, s11, v26
	v_mul_lo_u32 v6, v6, s8
	v_mul_lo_u32 v8, v8, s10
	v_sub_u32_e32 v6, v6, v8
	v_cmp_lt_u32_e32 vcc, s7, v6
	v_cndmask_b32_e64 v6, 0, 1, vcc
; %bb.18:
	s_or_b64 exec, exec, s[2:3]
	v_add_u32_e32 v8, 5, v33
	v_cmp_gt_u32_e32 vcc, s33, v8
	s_and_saveexec_b64 s[2:3], vcc
; %bb.19:
	v_add_u32_e32 v7, s9, v27
	v_add_u32_e32 v8, s11, v27
	v_mul_lo_u32 v7, v7, s8
	v_mul_lo_u32 v8, v8, s10
	v_sub_u32_e32 v7, v7, v8
	v_cmp_lt_u32_e32 vcc, s7, v7
	v_cndmask_b32_e64 v7, 0, 1, vcc
; %bb.20:
	s_or_b64 exec, exec, s[2:3]
	v_add_u32_e32 v8, 6, v33
	v_cmp_gt_u32_e32 vcc, s33, v8
	v_mov_b32_e32 v9, 0
	v_mov_b32_e32 v8, 0
	s_and_saveexec_b64 s[2:3], vcc
; %bb.21:
	v_add_u32_e32 v8, s9, v24
	v_add_u32_e32 v10, s11, v24
	v_mul_lo_u32 v8, v8, s8
	v_mul_lo_u32 v10, v10, s10
	v_sub_u32_e32 v8, v8, v10
	v_cmp_lt_u32_e32 vcc, s7, v8
	v_cndmask_b32_e64 v8, 0, 1, vcc
; %bb.22:
	s_or_b64 exec, exec, s[2:3]
	v_add_u32_e32 v10, 7, v33
	v_cmp_gt_u32_e32 vcc, s33, v10
	s_and_saveexec_b64 s[2:3], vcc
; %bb.23:
	v_add_u32_e32 v9, s9, v25
	v_add_u32_e32 v10, s11, v25
	v_mul_lo_u32 v9, v9, s8
	v_mul_lo_u32 v10, v10, s10
	v_sub_u32_e32 v9, v9, v10
	v_cmp_lt_u32_e32 vcc, s7, v9
	v_cndmask_b32_e64 v9, 0, 1, vcc
; %bb.24:
	s_or_b64 exec, exec, s[2:3]
	v_add_u32_e32 v10, 8, v33
	v_cmp_gt_u32_e32 vcc, s33, v10
	v_mov_b32_e32 v11, 0
	v_mov_b32_e32 v10, 0
	s_and_saveexec_b64 s[2:3], vcc
; %bb.25:
	v_add_u32_e32 v10, s9, v22
	v_add_u32_e32 v12, s11, v22
	v_mul_lo_u32 v10, v10, s8
	v_mul_lo_u32 v12, v12, s10
	v_sub_u32_e32 v10, v10, v12
	v_cmp_lt_u32_e32 vcc, s7, v10
	v_cndmask_b32_e64 v10, 0, 1, vcc
; %bb.26:
	s_or_b64 exec, exec, s[2:3]
	v_add_u32_e32 v12, 9, v33
	v_cmp_gt_u32_e32 vcc, s33, v12
	s_and_saveexec_b64 s[2:3], vcc
; %bb.27:
	v_add_u32_e32 v11, s9, v23
	v_add_u32_e32 v12, s11, v23
	v_mul_lo_u32 v11, v11, s8
	v_mul_lo_u32 v12, v12, s10
	v_sub_u32_e32 v11, v11, v12
	v_cmp_lt_u32_e32 vcc, s7, v11
	v_cndmask_b32_e64 v11, 0, 1, vcc
; %bb.28:
	s_or_b64 exec, exec, s[2:3]
	v_add_u32_e32 v12, 10, v33
	v_cmp_gt_u32_e32 vcc, s33, v12
	v_mov_b32_e32 v13, 0
	v_mov_b32_e32 v12, 0
	s_and_saveexec_b64 s[2:3], vcc
; %bb.29:
	v_add_u32_e32 v12, s9, v20
	v_add_u32_e32 v14, s11, v20
	v_mul_lo_u32 v12, v12, s8
	v_mul_lo_u32 v14, v14, s10
	v_sub_u32_e32 v12, v12, v14
	v_cmp_lt_u32_e32 vcc, s7, v12
	v_cndmask_b32_e64 v12, 0, 1, vcc
; %bb.30:
	s_or_b64 exec, exec, s[2:3]
	v_add_u32_e32 v14, 11, v33
	v_cmp_gt_u32_e32 vcc, s33, v14
	s_and_saveexec_b64 s[2:3], vcc
; %bb.31:
	v_add_u32_e32 v13, s9, v21
	v_add_u32_e32 v14, s11, v21
	v_mul_lo_u32 v13, v13, s8
	v_mul_lo_u32 v14, v14, s10
	v_sub_u32_e32 v13, v13, v14
	v_cmp_lt_u32_e32 vcc, s7, v13
	v_cndmask_b32_e64 v13, 0, 1, vcc
; %bb.32:
	s_or_b64 exec, exec, s[2:3]
	v_add_u32_e32 v14, 12, v33
	v_cmp_gt_u32_e32 vcc, s33, v14
	v_mov_b32_e32 v34, 0
	s_and_saveexec_b64 s[2:3], vcc
; %bb.33:
	v_add_u32_e32 v14, s9, v32
	v_add_u32_e32 v15, s11, v32
	v_mul_lo_u32 v14, v14, s8
	v_mul_lo_u32 v15, v15, s10
	v_sub_u32_e32 v14, v14, v15
	v_cmp_lt_u32_e32 vcc, s7, v14
	v_cndmask_b32_e64 v34, 0, 1, vcc
; %bb.34:
	s_or_b64 exec, exec, s[2:3]
	v_lshlrev_b16_e32 v3, 8, v3
	v_or_b32_e32 v2, v2, v3
	v_lshlrev_b16_e32 v3, 8, v5
	v_or_b32_sdwa v3, v4, v3 dst_sel:WORD_1 dst_unused:UNUSED_PAD src0_sel:DWORD src1_sel:DWORD
	v_or_b32_sdwa v37, v2, v3 dst_sel:DWORD dst_unused:UNUSED_PAD src0_sel:WORD_0 src1_sel:DWORD
	v_lshlrev_b16_e32 v2, 8, v7
	v_lshlrev_b16_e32 v3, 8, v9
	v_or_b32_e32 v2, v6, v2
	v_or_b32_sdwa v3, v8, v3 dst_sel:WORD_1 dst_unused:UNUSED_PAD src0_sel:DWORD src1_sel:DWORD
	v_or_b32_sdwa v36, v2, v3 dst_sel:DWORD dst_unused:UNUSED_PAD src0_sel:WORD_0 src1_sel:DWORD
	v_lshlrev_b16_e32 v2, 8, v11
	v_lshlrev_b16_e32 v3, 8, v13
	v_or_b32_e32 v2, v10, v2
	v_or_b32_sdwa v3, v12, v3 dst_sel:WORD_1 dst_unused:UNUSED_PAD src0_sel:DWORD src1_sel:DWORD
	v_or_b32_sdwa v35, v2, v3 dst_sel:DWORD dst_unused:UNUSED_PAD src0_sel:WORD_0 src1_sel:DWORD
.LBB172_35:
	v_and_b32_e32 v41, 0xff, v37
	v_bfe_u32 v42, v37, 8, 8
	v_bfe_u32 v43, v37, 16, 8
	v_lshrrev_b32_e32 v40, 24, v37
	v_and_b32_e32 v44, 0xff, v36
	v_add3_u32 v3, v42, v41, v43
	v_bfe_u32 v45, v36, 8, 8
	v_bfe_u32 v46, v36, 16, 8
	v_add3_u32 v3, v3, v40, v44
	v_lshrrev_b32_e32 v39, 24, v36
	v_and_b32_e32 v47, 0xff, v35
	v_add3_u32 v3, v3, v45, v46
	v_bfe_u32 v48, v35, 8, 8
	v_bfe_u32 v49, v35, 16, 8
	v_add3_u32 v3, v3, v39, v47
	v_lshrrev_b32_e32 v38, 24, v35
	v_and_b32_e32 v2, 0xff, v34
	v_add3_u32 v3, v3, v48, v49
	v_add3_u32 v52, v3, v38, v2
	v_mbcnt_lo_u32_b32 v2, -1, 0
	v_mbcnt_hi_u32_b32 v50, -1, v2
	v_and_b32_e32 v2, 15, v50
	v_cmp_eq_u32_e64 s[14:15], 0, v2
	v_cmp_lt_u32_e64 s[12:13], 1, v2
	v_cmp_lt_u32_e64 s[10:11], 3, v2
	;; [unrolled: 1-line block ×3, first 2 shown]
	v_and_b32_e32 v2, 16, v50
	v_cmp_eq_u32_e64 s[18:19], 0, v2
	v_or_b32_e32 v2, 63, v0
	s_cmp_lg_u32 s6, 0
	v_cmp_lt_u32_e64 s[2:3], 31, v50
	v_lshrrev_b32_e32 v51, 6, v0
	v_cmp_eq_u32_e64 s[4:5], v2, v0
	s_cbranch_scc0 .LBB172_66
; %bb.36:
	v_mov_b32_dpp v2, v52 row_shr:1 row_mask:0xf bank_mask:0xf
	v_cndmask_b32_e64 v2, v2, 0, s[14:15]
	v_add_u32_e32 v2, v2, v52
	s_nop 1
	v_mov_b32_dpp v3, v2 row_shr:2 row_mask:0xf bank_mask:0xf
	v_cndmask_b32_e64 v3, 0, v3, s[12:13]
	v_add_u32_e32 v2, v2, v3
	s_nop 1
	;; [unrolled: 4-line block ×4, first 2 shown]
	v_mov_b32_dpp v3, v2 row_bcast:15 row_mask:0xf bank_mask:0xf
	v_cndmask_b32_e64 v3, v3, 0, s[18:19]
	v_add_u32_e32 v2, v2, v3
	s_nop 1
	v_mov_b32_dpp v3, v2 row_bcast:31 row_mask:0xf bank_mask:0xf
	v_cndmask_b32_e64 v3, 0, v3, s[2:3]
	v_add_u32_e32 v2, v2, v3
	s_and_saveexec_b64 s[16:17], s[4:5]
	s_cbranch_execz .LBB172_38
; %bb.37:
	v_lshlrev_b32_e32 v3, 2, v51
	ds_write_b32 v3, v2
.LBB172_38:
	s_or_b64 exec, exec, s[16:17]
	v_cmp_gt_u32_e32 vcc, 4, v0
	s_waitcnt lgkmcnt(0)
	s_barrier
	s_and_saveexec_b64 s[16:17], vcc
	s_cbranch_execz .LBB172_40
; %bb.39:
	ds_read_b32 v3, v1
	v_and_b32_e32 v4, 3, v50
	v_cmp_ne_u32_e32 vcc, 0, v4
	s_waitcnt lgkmcnt(0)
	v_mov_b32_dpp v5, v3 row_shr:1 row_mask:0xf bank_mask:0xf
	v_cndmask_b32_e32 v5, 0, v5, vcc
	v_add_u32_e32 v3, v5, v3
	v_cmp_lt_u32_e32 vcc, 1, v4
	s_nop 0
	v_mov_b32_dpp v5, v3 row_shr:2 row_mask:0xf bank_mask:0xf
	v_cndmask_b32_e32 v4, 0, v5, vcc
	v_add_u32_e32 v3, v3, v4
	ds_write_b32 v1, v3
.LBB172_40:
	s_or_b64 exec, exec, s[16:17]
	v_cmp_gt_u32_e32 vcc, 64, v0
	v_cmp_lt_u32_e64 s[16:17], 63, v0
	s_waitcnt lgkmcnt(0)
	s_barrier
	s_waitcnt lgkmcnt(0)
                                        ; implicit-def: $vgpr12
	s_and_saveexec_b64 s[36:37], s[16:17]
	s_cbranch_execz .LBB172_42
; %bb.41:
	v_lshl_add_u32 v3, v51, 2, -4
	ds_read_b32 v12, v3
	s_waitcnt lgkmcnt(0)
	v_add_u32_e32 v2, v12, v2
.LBB172_42:
	s_or_b64 exec, exec, s[36:37]
	v_add_u32_e32 v3, -1, v50
	v_and_b32_e32 v4, 64, v50
	v_cmp_lt_i32_e64 s[16:17], v3, v4
	v_cndmask_b32_e64 v3, v3, v50, s[16:17]
	v_lshlrev_b32_e32 v3, 2, v3
	ds_bpermute_b32 v13, v3, v2
	v_cmp_eq_u32_e64 s[16:17], 0, v50
	s_and_saveexec_b64 s[36:37], vcc
	s_cbranch_execz .LBB172_65
; %bb.43:
	v_mov_b32_e32 v11, 0
	ds_read_b32 v2, v11 offset:12
	s_and_saveexec_b64 s[38:39], s[16:17]
	s_cbranch_execz .LBB172_45
; %bb.44:
	s_add_i32 s40, s6, 64
	s_mov_b32 s41, 0
	s_lshl_b64 s[40:41], s[40:41], 3
	s_add_u32 s40, s34, s40
	v_mov_b32_e32 v3, 1
	s_addc_u32 s41, s35, s41
	s_waitcnt lgkmcnt(0)
	global_store_dwordx2 v11, v[2:3], s[40:41]
.LBB172_45:
	s_or_b64 exec, exec, s[38:39]
	v_xad_u32 v4, v50, -1, s6
	v_add_u32_e32 v10, 64, v4
	v_lshlrev_b64 v[6:7], 3, v[10:11]
	v_mov_b32_e32 v3, s35
	v_add_co_u32_e32 v6, vcc, s34, v6
	v_addc_co_u32_e32 v7, vcc, v3, v7, vcc
	global_load_dwordx2 v[8:9], v[6:7], off glc
	s_waitcnt vmcnt(0)
	v_cmp_eq_u16_sdwa s[40:41], v9, v11 src0_sel:BYTE_0 src1_sel:DWORD
	s_and_saveexec_b64 s[38:39], s[40:41]
	s_cbranch_execz .LBB172_51
; %bb.46:
	s_mov_b32 s7, 1
	s_mov_b64 s[40:41], 0
	v_mov_b32_e32 v3, 0
.LBB172_47:                             ; =>This Loop Header: Depth=1
                                        ;     Child Loop BB172_48 Depth 2
	s_max_u32 s43, s7, 1
.LBB172_48:                             ;   Parent Loop BB172_47 Depth=1
                                        ; =>  This Inner Loop Header: Depth=2
	s_add_i32 s43, s43, -1
	s_cmp_eq_u32 s43, 0
	s_sleep 1
	s_cbranch_scc0 .LBB172_48
; %bb.49:                               ;   in Loop: Header=BB172_47 Depth=1
	global_load_dwordx2 v[8:9], v[6:7], off glc
	s_cmp_lt_u32 s7, 32
	s_cselect_b64 s[44:45], -1, 0
	s_cmp_lg_u64 s[44:45], 0
	s_addc_u32 s7, s7, 0
	s_waitcnt vmcnt(0)
	v_cmp_ne_u16_sdwa s[44:45], v9, v3 src0_sel:BYTE_0 src1_sel:DWORD
	s_or_b64 s[40:41], s[44:45], s[40:41]
	s_andn2_b64 exec, exec, s[40:41]
	s_cbranch_execnz .LBB172_47
; %bb.50:
	s_or_b64 exec, exec, s[40:41]
.LBB172_51:
	s_or_b64 exec, exec, s[38:39]
	v_and_b32_e32 v14, 63, v50
	v_mov_b32_e32 v3, 2
	v_cmp_ne_u32_e32 vcc, 63, v14
	v_cmp_eq_u16_sdwa s[38:39], v9, v3 src0_sel:BYTE_0 src1_sel:DWORD
	v_lshlrev_b64 v[6:7], v50, -1
	v_addc_co_u32_e32 v11, vcc, 0, v50, vcc
	v_and_b32_e32 v5, s39, v7
	v_lshlrev_b32_e32 v15, 2, v11
	v_or_b32_e32 v5, 0x80000000, v5
	ds_bpermute_b32 v11, v15, v8
	v_and_b32_e32 v10, s38, v6
	v_ffbl_b32_e32 v5, v5
	v_add_u32_e32 v5, 32, v5
	v_ffbl_b32_e32 v10, v10
	v_min_u32_e32 v5, v10, v5
	v_cmp_lt_u32_e32 vcc, v14, v5
	s_waitcnt lgkmcnt(0)
	v_cndmask_b32_e32 v10, 0, v11, vcc
	v_cmp_gt_u32_e32 vcc, 62, v14
	v_add_u32_e32 v8, v10, v8
	v_cndmask_b32_e64 v10, 0, 1, vcc
	v_lshlrev_b32_e32 v10, 1, v10
	v_add_lshl_u32 v16, v10, v50, 2
	ds_bpermute_b32 v10, v16, v8
	v_add_u32_e32 v17, 2, v14
	v_cmp_le_u32_e32 vcc, v17, v5
	v_add_u32_e32 v19, 4, v14
	v_add_u32_e32 v54, 8, v14
	s_waitcnt lgkmcnt(0)
	v_cndmask_b32_e32 v10, 0, v10, vcc
	v_cmp_gt_u32_e32 vcc, 60, v14
	v_add_u32_e32 v8, v8, v10
	v_cndmask_b32_e64 v10, 0, 1, vcc
	v_lshlrev_b32_e32 v10, 2, v10
	v_add_lshl_u32 v18, v10, v50, 2
	ds_bpermute_b32 v10, v18, v8
	v_cmp_le_u32_e32 vcc, v19, v5
	v_add_u32_e32 v57, 16, v14
	v_add_u32_e32 v59, 32, v14
	s_waitcnt lgkmcnt(0)
	v_cndmask_b32_e32 v10, 0, v10, vcc
	v_cmp_gt_u32_e32 vcc, 56, v14
	v_add_u32_e32 v8, v8, v10
	v_cndmask_b32_e64 v10, 0, 1, vcc
	v_lshlrev_b32_e32 v10, 3, v10
	v_add_lshl_u32 v53, v10, v50, 2
	ds_bpermute_b32 v10, v53, v8
	v_cmp_le_u32_e32 vcc, v54, v5
	s_waitcnt lgkmcnt(0)
	v_cndmask_b32_e32 v10, 0, v10, vcc
	v_cmp_gt_u32_e32 vcc, 48, v14
	v_add_u32_e32 v8, v8, v10
	v_cndmask_b32_e64 v10, 0, 1, vcc
	v_lshlrev_b32_e32 v10, 4, v10
	v_add_lshl_u32 v56, v10, v50, 2
	ds_bpermute_b32 v10, v56, v8
	v_cmp_le_u32_e32 vcc, v57, v5
	;; [unrolled: 9-line block ×3, first 2 shown]
	s_waitcnt lgkmcnt(0)
	v_cndmask_b32_e32 v5, 0, v10, vcc
	v_add_u32_e32 v8, v8, v5
	v_mov_b32_e32 v5, 0
	s_branch .LBB172_53
.LBB172_52:                             ;   in Loop: Header=BB172_53 Depth=1
	s_or_b64 exec, exec, s[38:39]
	v_cmp_eq_u16_sdwa s[38:39], v9, v3 src0_sel:BYTE_0 src1_sel:DWORD
	v_and_b32_e32 v10, s39, v7
	v_or_b32_e32 v10, 0x80000000, v10
	ds_bpermute_b32 v60, v15, v8
	v_and_b32_e32 v11, s38, v6
	v_ffbl_b32_e32 v10, v10
	v_add_u32_e32 v10, 32, v10
	v_ffbl_b32_e32 v11, v11
	v_min_u32_e32 v10, v11, v10
	v_cmp_lt_u32_e32 vcc, v14, v10
	s_waitcnt lgkmcnt(0)
	v_cndmask_b32_e32 v11, 0, v60, vcc
	v_add_u32_e32 v8, v11, v8
	ds_bpermute_b32 v11, v16, v8
	v_cmp_le_u32_e32 vcc, v17, v10
	v_subrev_u32_e32 v4, 64, v4
	s_waitcnt lgkmcnt(0)
	v_cndmask_b32_e32 v11, 0, v11, vcc
	v_add_u32_e32 v8, v8, v11
	ds_bpermute_b32 v11, v18, v8
	v_cmp_le_u32_e32 vcc, v19, v10
	s_waitcnt lgkmcnt(0)
	v_cndmask_b32_e32 v11, 0, v11, vcc
	v_add_u32_e32 v8, v8, v11
	ds_bpermute_b32 v11, v53, v8
	v_cmp_le_u32_e32 vcc, v54, v10
	;; [unrolled: 5-line block ×4, first 2 shown]
	s_waitcnt lgkmcnt(0)
	v_cndmask_b32_e32 v10, 0, v11, vcc
	v_add3_u32 v8, v10, v55, v8
.LBB172_53:                             ; =>This Loop Header: Depth=1
                                        ;     Child Loop BB172_56 Depth 2
                                        ;       Child Loop BB172_57 Depth 3
	v_cmp_ne_u16_sdwa s[38:39], v9, v3 src0_sel:BYTE_0 src1_sel:DWORD
	v_cndmask_b32_e64 v9, 0, 1, s[38:39]
	;;#ASMSTART
	;;#ASMEND
	v_cmp_ne_u32_e32 vcc, 0, v9
	s_cmp_lg_u64 vcc, exec
	v_mov_b32_e32 v55, v8
	s_cbranch_scc1 .LBB172_60
; %bb.54:                               ;   in Loop: Header=BB172_53 Depth=1
	v_lshlrev_b64 v[8:9], 3, v[4:5]
	v_mov_b32_e32 v11, s35
	v_add_co_u32_e32 v10, vcc, s34, v8
	v_addc_co_u32_e32 v11, vcc, v11, v9, vcc
	global_load_dwordx2 v[8:9], v[10:11], off glc
	s_waitcnt vmcnt(0)
	v_cmp_eq_u16_sdwa s[40:41], v9, v5 src0_sel:BYTE_0 src1_sel:DWORD
	s_and_saveexec_b64 s[38:39], s[40:41]
	s_cbranch_execz .LBB172_52
; %bb.55:                               ;   in Loop: Header=BB172_53 Depth=1
	s_mov_b32 s7, 1
	s_mov_b64 s[40:41], 0
.LBB172_56:                             ;   Parent Loop BB172_53 Depth=1
                                        ; =>  This Loop Header: Depth=2
                                        ;       Child Loop BB172_57 Depth 3
	s_max_u32 s43, s7, 1
.LBB172_57:                             ;   Parent Loop BB172_53 Depth=1
                                        ;     Parent Loop BB172_56 Depth=2
                                        ; =>    This Inner Loop Header: Depth=3
	s_add_i32 s43, s43, -1
	s_cmp_eq_u32 s43, 0
	s_sleep 1
	s_cbranch_scc0 .LBB172_57
; %bb.58:                               ;   in Loop: Header=BB172_56 Depth=2
	global_load_dwordx2 v[8:9], v[10:11], off glc
	s_cmp_lt_u32 s7, 32
	s_cselect_b64 s[44:45], -1, 0
	s_cmp_lg_u64 s[44:45], 0
	s_addc_u32 s7, s7, 0
	s_waitcnt vmcnt(0)
	v_cmp_ne_u16_sdwa s[44:45], v9, v5 src0_sel:BYTE_0 src1_sel:DWORD
	s_or_b64 s[40:41], s[44:45], s[40:41]
	s_andn2_b64 exec, exec, s[40:41]
	s_cbranch_execnz .LBB172_56
; %bb.59:                               ;   in Loop: Header=BB172_53 Depth=1
	s_or_b64 exec, exec, s[40:41]
	s_branch .LBB172_52
.LBB172_60:                             ;   in Loop: Header=BB172_53 Depth=1
                                        ; implicit-def: $vgpr8
                                        ; implicit-def: $vgpr9
	s_cbranch_execz .LBB172_53
; %bb.61:
	s_and_saveexec_b64 s[38:39], s[16:17]
	s_cbranch_execz .LBB172_63
; %bb.62:
	s_add_i32 s6, s6, 64
	s_mov_b32 s7, 0
	s_lshl_b64 s[6:7], s[6:7], 3
	s_add_u32 s6, s34, s6
	v_add_u32_e32 v4, v55, v2
	v_mov_b32_e32 v5, 2
	s_addc_u32 s7, s35, s7
	v_mov_b32_e32 v3, 0
	global_store_dwordx2 v3, v[4:5], s[6:7]
	s_movk_i32 s6, 0x3400
	v_add_u32_e64 v3, s6, 0
	ds_write2_b32 v3, v2, v55 offset1:2
.LBB172_63:
	s_or_b64 exec, exec, s[38:39]
	v_cmp_eq_u32_e32 vcc, 0, v0
	s_and_b64 exec, exec, vcc
	s_cbranch_execz .LBB172_65
; %bb.64:
	v_mov_b32_e32 v2, 0
	ds_write_b32 v2, v55 offset:12
.LBB172_65:
	s_or_b64 exec, exec, s[36:37]
	v_mov_b32_e32 v2, 0
	s_waitcnt lgkmcnt(0)
	s_barrier
	ds_read_b32 v2, v2 offset:12
	v_cndmask_b32_e64 v3, v13, v12, s[16:17]
	v_cmp_ne_u32_e32 vcc, 0, v0
	v_cndmask_b32_e32 v3, 0, v3, vcc
	s_movk_i32 s6, 0x3400
	s_waitcnt lgkmcnt(0)
	v_add_u32_e32 v2, v2, v3
	v_add_u32_e32 v3, v2, v41
	;; [unrolled: 1-line block ×8, first 2 shown]
	v_add_u32_e64 v12, s6, 0
	v_add_u32_e32 v10, v9, v39
	s_barrier
	ds_read2_b32 v[18:19], v12 offset1:2
	v_add_u32_e32 v11, v10, v47
	v_add_u32_e32 v12, v11, v48
	;; [unrolled: 1-line block ×4, first 2 shown]
	s_branch .LBB172_76
.LBB172_66:
                                        ; implicit-def: $vgpr19
                                        ; implicit-def: $vgpr2_vgpr3_vgpr4_vgpr5_vgpr6_vgpr7_vgpr8_vgpr9_vgpr10_vgpr11_vgpr12_vgpr13_vgpr14_vgpr15_vgpr16_vgpr17
	s_cbranch_execz .LBB172_76
; %bb.67:
	s_nop 0
	v_mov_b32_dpp v2, v52 row_shr:1 row_mask:0xf bank_mask:0xf
	v_cndmask_b32_e64 v2, v2, 0, s[14:15]
	v_add_u32_e32 v2, v2, v52
	s_nop 1
	v_mov_b32_dpp v3, v2 row_shr:2 row_mask:0xf bank_mask:0xf
	v_cndmask_b32_e64 v3, 0, v3, s[12:13]
	v_add_u32_e32 v2, v2, v3
	;; [unrolled: 4-line block ×4, first 2 shown]
	s_nop 1
	v_mov_b32_dpp v3, v2 row_bcast:15 row_mask:0xf bank_mask:0xf
	v_cndmask_b32_e64 v3, v3, 0, s[18:19]
	v_add_u32_e32 v2, v2, v3
	s_nop 1
	v_mov_b32_dpp v3, v2 row_bcast:31 row_mask:0xf bank_mask:0xf
	v_cndmask_b32_e64 v3, 0, v3, s[2:3]
	v_add_u32_e32 v2, v2, v3
	s_and_saveexec_b64 s[2:3], s[4:5]
	s_cbranch_execz .LBB172_69
; %bb.68:
	v_lshlrev_b32_e32 v3, 2, v51
	ds_write_b32 v3, v2
.LBB172_69:
	s_or_b64 exec, exec, s[2:3]
	v_cmp_gt_u32_e32 vcc, 4, v0
	s_waitcnt lgkmcnt(0)
	s_barrier
	s_and_saveexec_b64 s[2:3], vcc
	s_cbranch_execz .LBB172_71
; %bb.70:
	ds_read_b32 v3, v1
	v_and_b32_e32 v4, 3, v50
	v_cmp_ne_u32_e32 vcc, 0, v4
	s_waitcnt lgkmcnt(0)
	v_mov_b32_dpp v5, v3 row_shr:1 row_mask:0xf bank_mask:0xf
	v_cndmask_b32_e32 v5, 0, v5, vcc
	v_add_u32_e32 v3, v5, v3
	v_cmp_lt_u32_e32 vcc, 1, v4
	s_nop 0
	v_mov_b32_dpp v5, v3 row_shr:2 row_mask:0xf bank_mask:0xf
	v_cndmask_b32_e32 v4, 0, v5, vcc
	v_add_u32_e32 v3, v3, v4
	ds_write_b32 v1, v3
.LBB172_71:
	s_or_b64 exec, exec, s[2:3]
	v_cmp_lt_u32_e32 vcc, 63, v0
	v_mov_b32_e32 v4, 0
	v_mov_b32_e32 v3, 0
	s_waitcnt lgkmcnt(0)
	s_barrier
	s_and_saveexec_b64 s[2:3], vcc
	s_cbranch_execz .LBB172_73
; %bb.72:
	v_lshl_add_u32 v3, v51, 2, -4
	ds_read_b32 v3, v3
.LBB172_73:
	s_or_b64 exec, exec, s[2:3]
	v_add_u32_e32 v5, -1, v50
	v_and_b32_e32 v6, 64, v50
	v_cmp_lt_i32_e32 vcc, v5, v6
	v_cndmask_b32_e32 v5, v5, v50, vcc
	s_waitcnt lgkmcnt(0)
	v_add_u32_e32 v2, v3, v2
	v_lshlrev_b32_e32 v5, 2, v5
	ds_bpermute_b32 v2, v5, v2
	ds_read_b32 v18, v4 offset:12
	v_cmp_eq_u32_e32 vcc, 0, v0
	s_and_saveexec_b64 s[2:3], vcc
	s_cbranch_execz .LBB172_75
; %bb.74:
	v_mov_b32_e32 v4, 0
	v_mov_b32_e32 v19, 2
	s_waitcnt lgkmcnt(0)
	global_store_dwordx2 v4, v[18:19], s[34:35] offset:512
.LBB172_75:
	s_or_b64 exec, exec, s[2:3]
	v_cmp_eq_u32_e64 s[2:3], 0, v50
	s_waitcnt lgkmcnt(1)
	v_cndmask_b32_e64 v2, v2, v3, s[2:3]
	v_cndmask_b32_e64 v2, v2, 0, vcc
	v_add_u32_e32 v3, v2, v41
	v_add_u32_e32 v4, v3, v42
	;; [unrolled: 1-line block ×11, first 2 shown]
	v_mov_b32_e32 v19, 0
	v_add_u32_e32 v14, v13, v38
	s_waitcnt lgkmcnt(0)
	s_barrier
.LBB172_76:
	s_waitcnt lgkmcnt(0)
	v_add_u32_e32 v33, v18, v33
	v_sub_u32_e32 v2, v2, v19
	v_and_b32_e32 v42, 1, v37
	v_sub_u32_e32 v41, v33, v2
	v_cmp_eq_u32_e32 vcc, 1, v42
	v_cndmask_b32_e32 v2, v41, v2, vcc
	v_lshlrev_b32_e32 v2, 2, v2
	v_lshrrev_b32_e32 v17, 8, v37
	ds_write_b32 v2, v30
	v_sub_u32_e32 v2, v3, v19
	v_sub_u32_e32 v3, v33, v2
	v_and_b32_e32 v17, 1, v17
	v_add_u32_e32 v3, 1, v3
	v_cmp_eq_u32_e32 vcc, 1, v17
	v_cndmask_b32_e32 v2, v3, v2, vcc
	v_lshlrev_b32_e32 v2, 2, v2
	ds_write_b32 v2, v31
	v_sub_u32_e32 v2, v4, v19
	v_mov_b32_e32 v4, 1
	v_sub_u32_e32 v3, v33, v2
	v_and_b32_sdwa v17, v4, v37 dst_sel:DWORD dst_unused:UNUSED_PAD src0_sel:DWORD src1_sel:WORD_1
	v_add_u32_e32 v3, 2, v3
	v_cmp_eq_u32_e32 vcc, 1, v17
	v_cndmask_b32_e32 v2, v3, v2, vcc
	v_lshlrev_b32_e32 v2, 2, v2
	ds_write_b32 v2, v28
	v_sub_u32_e32 v2, v5, v19
	v_sub_u32_e32 v3, v33, v2
	v_and_b32_e32 v5, 1, v40
	v_add_u32_e32 v3, 3, v3
	v_cmp_eq_u32_e32 vcc, 1, v5
	v_cndmask_b32_e32 v2, v3, v2, vcc
	v_lshlrev_b32_e32 v2, 2, v2
	ds_write_b32 v2, v29
	v_sub_u32_e32 v2, v6, v19
	v_sub_u32_e32 v3, v33, v2
	v_and_b32_e32 v5, 1, v36
	v_add_u32_e32 v3, 4, v3
	v_cmp_eq_u32_e32 vcc, 1, v5
	v_cndmask_b32_e32 v2, v3, v2, vcc
	v_lshlrev_b32_e32 v2, 2, v2
	v_lshrrev_b32_e32 v16, 8, v36
	ds_write_b32 v2, v26
	v_sub_u32_e32 v2, v7, v19
	v_sub_u32_e32 v3, v33, v2
	v_and_b32_e32 v5, 1, v16
	v_add_u32_e32 v3, 5, v3
	v_cmp_eq_u32_e32 vcc, 1, v5
	v_cndmask_b32_e32 v2, v3, v2, vcc
	v_lshlrev_b32_e32 v2, 2, v2
	ds_write_b32 v2, v27
	v_sub_u32_e32 v2, v8, v19
	v_sub_u32_e32 v3, v33, v2
	v_and_b32_sdwa v5, v4, v36 dst_sel:DWORD dst_unused:UNUSED_PAD src0_sel:DWORD src1_sel:WORD_1
	v_add_u32_e32 v3, 6, v3
	v_cmp_eq_u32_e32 vcc, 1, v5
	v_cndmask_b32_e32 v2, v3, v2, vcc
	v_lshlrev_b32_e32 v2, 2, v2
	ds_write_b32 v2, v24
	v_sub_u32_e32 v2, v9, v19
	v_sub_u32_e32 v3, v33, v2
	v_and_b32_e32 v5, 1, v39
	v_add_u32_e32 v3, 7, v3
	v_cmp_eq_u32_e32 vcc, 1, v5
	v_cndmask_b32_e32 v2, v3, v2, vcc
	v_lshlrev_b32_e32 v2, 2, v2
	ds_write_b32 v2, v25
	v_sub_u32_e32 v2, v10, v19
	v_sub_u32_e32 v3, v33, v2
	v_and_b32_e32 v5, 1, v35
	v_add_u32_e32 v3, 8, v3
	v_cmp_eq_u32_e32 vcc, 1, v5
	v_cndmask_b32_e32 v2, v3, v2, vcc
	v_lshlrev_b32_e32 v2, 2, v2
	v_lshrrev_b32_e32 v15, 8, v35
	ds_write_b32 v2, v22
	v_sub_u32_e32 v2, v11, v19
	v_sub_u32_e32 v3, v33, v2
	v_and_b32_e32 v5, 1, v15
	v_add_u32_e32 v3, 9, v3
	v_cmp_eq_u32_e32 vcc, 1, v5
	v_cndmask_b32_e32 v2, v3, v2, vcc
	v_lshlrev_b32_e32 v2, 2, v2
	ds_write_b32 v2, v23
	v_sub_u32_e32 v2, v12, v19
	v_sub_u32_e32 v3, v33, v2
	v_and_b32_sdwa v4, v4, v35 dst_sel:DWORD dst_unused:UNUSED_PAD src0_sel:DWORD src1_sel:WORD_1
	v_add_u32_e32 v3, 10, v3
	v_cmp_eq_u32_e32 vcc, 1, v4
	v_cndmask_b32_e32 v2, v3, v2, vcc
	v_lshlrev_b32_e32 v2, 2, v2
	ds_write_b32 v2, v20
	v_sub_u32_e32 v2, v13, v19
	v_sub_u32_e32 v3, v33, v2
	v_and_b32_e32 v4, 1, v38
	v_add_u32_e32 v3, 11, v3
	v_cmp_eq_u32_e32 vcc, 1, v4
	v_cndmask_b32_e32 v2, v3, v2, vcc
	v_lshlrev_b32_e32 v2, 2, v2
	ds_write_b32 v2, v21
	v_sub_u32_e32 v2, v14, v19
	v_sub_u32_e32 v3, v33, v2
	v_and_b32_e32 v4, 1, v34
	v_add_u32_e32 v3, 12, v3
	v_cmp_eq_u32_e32 vcc, 1, v4
	v_cndmask_b32_e32 v2, v3, v2, vcc
	s_add_u32 s2, s28, s42
	v_lshlrev_b32_e32 v2, 2, v2
	s_addc_u32 s3, s29, 0
	ds_write_b32 v2, v32
	s_waitcnt lgkmcnt(0)
	s_barrier
	ds_read2st64_b32 v[12:13], v1 offset1:4
	ds_read2st64_b32 v[10:11], v1 offset0:8 offset1:12
	ds_read2st64_b32 v[8:9], v1 offset0:16 offset1:20
	;; [unrolled: 1-line block ×5, first 2 shown]
	ds_read_b32 v17, v1 offset:12288
	v_mov_b32_e32 v14, s31
	v_add_co_u32_e32 v1, vcc, s30, v19
	s_sub_u32 s2, s26, s2
	v_addc_co_u32_e32 v16, vcc, 0, v14, vcc
	s_subb_u32 s3, s27, s3
	v_mov_b32_e32 v14, s3
	v_add_co_u32_e32 v15, vcc, s2, v18
	v_addc_co_u32_e32 v14, vcc, 0, v14, vcc
	s_and_b64 vcc, exec, s[0:1]
	v_add_co_u32_e64 v19, s[0:1], v15, v1
	v_or_b32_e32 v32, 0x100, v0
	v_or_b32_e32 v31, 0x200, v0
	;; [unrolled: 1-line block ×12, first 2 shown]
	v_addc_co_u32_e64 v21, s[0:1], v14, v16, s[0:1]
	s_cbranch_vccnz .LBB172_130
; %bb.77:
	v_cmp_ge_u32_e32 vcc, v0, v18
                                        ; implicit-def: $vgpr14_vgpr15
	s_and_saveexec_b64 s[0:1], vcc
	s_xor_b64 s[0:1], exec, s[0:1]
; %bb.78:
	v_not_b32_e32 v14, v0
	v_ashrrev_i32_e32 v15, 31, v14
	v_add_co_u32_e32 v14, vcc, v19, v14
	v_addc_co_u32_e32 v15, vcc, v21, v15, vcc
; %bb.79:
	s_andn2_saveexec_b64 s[0:1], s[0:1]
; %bb.80:
	v_add_co_u32_e32 v14, vcc, v1, v0
	v_addc_co_u32_e32 v15, vcc, 0, v16, vcc
; %bb.81:
	s_or_b64 exec, exec, s[0:1]
	v_lshlrev_b64 v[14:15], 2, v[14:15]
	v_mov_b32_e32 v33, s25
	v_add_co_u32_e32 v14, vcc, s24, v14
	v_addc_co_u32_e32 v15, vcc, v33, v15, vcc
	v_cmp_ge_u32_e32 vcc, v32, v18
	s_waitcnt lgkmcnt(6)
	global_store_dword v[14:15], v12, off
                                        ; implicit-def: $vgpr14_vgpr15
	s_and_saveexec_b64 s[0:1], vcc
	s_xor_b64 s[0:1], exec, s[0:1]
; %bb.82:
	v_xor_b32_e32 v14, 0xfffffeff, v0
	v_ashrrev_i32_e32 v15, 31, v14
	v_add_co_u32_e32 v14, vcc, v19, v14
	v_addc_co_u32_e32 v15, vcc, v21, v15, vcc
; %bb.83:
	s_andn2_saveexec_b64 s[0:1], s[0:1]
; %bb.84:
	v_add_co_u32_e32 v14, vcc, v1, v32
	v_addc_co_u32_e32 v15, vcc, 0, v16, vcc
; %bb.85:
	s_or_b64 exec, exec, s[0:1]
	v_lshlrev_b64 v[14:15], 2, v[14:15]
	v_mov_b32_e32 v33, s25
	v_add_co_u32_e32 v14, vcc, s24, v14
	v_addc_co_u32_e32 v15, vcc, v33, v15, vcc
	v_cmp_ge_u32_e32 vcc, v31, v18
	global_store_dword v[14:15], v13, off
                                        ; implicit-def: $vgpr14_vgpr15
	s_and_saveexec_b64 s[0:1], vcc
	s_xor_b64 s[0:1], exec, s[0:1]
; %bb.86:
	v_xor_b32_e32 v14, 0xfffffdff, v0
	v_ashrrev_i32_e32 v15, 31, v14
	v_add_co_u32_e32 v14, vcc, v19, v14
	v_addc_co_u32_e32 v15, vcc, v21, v15, vcc
; %bb.87:
	s_andn2_saveexec_b64 s[0:1], s[0:1]
; %bb.88:
	v_add_co_u32_e32 v14, vcc, v1, v31
	v_addc_co_u32_e32 v15, vcc, 0, v16, vcc
; %bb.89:
	s_or_b64 exec, exec, s[0:1]
	v_lshlrev_b64 v[14:15], 2, v[14:15]
	v_mov_b32_e32 v33, s25
	v_add_co_u32_e32 v14, vcc, s24, v14
	v_addc_co_u32_e32 v15, vcc, v33, v15, vcc
	v_cmp_ge_u32_e32 vcc, v30, v18
	s_waitcnt lgkmcnt(5)
	global_store_dword v[14:15], v10, off
                                        ; implicit-def: $vgpr14_vgpr15
	s_and_saveexec_b64 s[0:1], vcc
	s_xor_b64 s[0:1], exec, s[0:1]
; %bb.90:
	v_xor_b32_e32 v14, 0xfffffcff, v0
	v_ashrrev_i32_e32 v15, 31, v14
	v_add_co_u32_e32 v14, vcc, v19, v14
	v_addc_co_u32_e32 v15, vcc, v21, v15, vcc
; %bb.91:
	s_andn2_saveexec_b64 s[0:1], s[0:1]
; %bb.92:
	v_add_co_u32_e32 v14, vcc, v1, v30
	v_addc_co_u32_e32 v15, vcc, 0, v16, vcc
; %bb.93:
	s_or_b64 exec, exec, s[0:1]
	v_lshlrev_b64 v[14:15], 2, v[14:15]
	v_mov_b32_e32 v33, s25
	v_add_co_u32_e32 v14, vcc, s24, v14
	v_addc_co_u32_e32 v15, vcc, v33, v15, vcc
	v_cmp_ge_u32_e32 vcc, v29, v18
	global_store_dword v[14:15], v11, off
                                        ; implicit-def: $vgpr14_vgpr15
	s_and_saveexec_b64 s[0:1], vcc
	s_xor_b64 s[0:1], exec, s[0:1]
; %bb.94:
	v_xor_b32_e32 v14, 0xfffffbff, v0
	v_ashrrev_i32_e32 v15, 31, v14
	v_add_co_u32_e32 v14, vcc, v19, v14
	v_addc_co_u32_e32 v15, vcc, v21, v15, vcc
; %bb.95:
	s_andn2_saveexec_b64 s[0:1], s[0:1]
; %bb.96:
	v_add_co_u32_e32 v14, vcc, v1, v29
	v_addc_co_u32_e32 v15, vcc, 0, v16, vcc
; %bb.97:
	s_or_b64 exec, exec, s[0:1]
	v_lshlrev_b64 v[14:15], 2, v[14:15]
	v_mov_b32_e32 v33, s25
	v_add_co_u32_e32 v14, vcc, s24, v14
	v_addc_co_u32_e32 v15, vcc, v33, v15, vcc
	v_cmp_ge_u32_e32 vcc, v28, v18
	s_waitcnt lgkmcnt(4)
	global_store_dword v[14:15], v8, off
                                        ; implicit-def: $vgpr14_vgpr15
	s_and_saveexec_b64 s[0:1], vcc
	s_xor_b64 s[0:1], exec, s[0:1]
; %bb.98:
	v_xor_b32_e32 v14, 0xfffffaff, v0
	v_ashrrev_i32_e32 v15, 31, v14
	v_add_co_u32_e32 v14, vcc, v19, v14
	v_addc_co_u32_e32 v15, vcc, v21, v15, vcc
; %bb.99:
	s_andn2_saveexec_b64 s[0:1], s[0:1]
; %bb.100:
	v_add_co_u32_e32 v14, vcc, v1, v28
	v_addc_co_u32_e32 v15, vcc, 0, v16, vcc
; %bb.101:
	s_or_b64 exec, exec, s[0:1]
	v_lshlrev_b64 v[14:15], 2, v[14:15]
	v_mov_b32_e32 v33, s25
	v_add_co_u32_e32 v14, vcc, s24, v14
	v_addc_co_u32_e32 v15, vcc, v33, v15, vcc
	v_cmp_ge_u32_e32 vcc, v27, v18
	global_store_dword v[14:15], v9, off
                                        ; implicit-def: $vgpr14_vgpr15
	s_and_saveexec_b64 s[0:1], vcc
	s_xor_b64 s[0:1], exec, s[0:1]
; %bb.102:
	v_xor_b32_e32 v14, 0xfffff9ff, v0
	v_ashrrev_i32_e32 v15, 31, v14
	v_add_co_u32_e32 v14, vcc, v19, v14
	v_addc_co_u32_e32 v15, vcc, v21, v15, vcc
; %bb.103:
	s_andn2_saveexec_b64 s[0:1], s[0:1]
; %bb.104:
	v_add_co_u32_e32 v14, vcc, v1, v27
	v_addc_co_u32_e32 v15, vcc, 0, v16, vcc
; %bb.105:
	s_or_b64 exec, exec, s[0:1]
	v_lshlrev_b64 v[14:15], 2, v[14:15]
	v_mov_b32_e32 v33, s25
	v_add_co_u32_e32 v14, vcc, s24, v14
	v_addc_co_u32_e32 v15, vcc, v33, v15, vcc
	v_cmp_ge_u32_e32 vcc, v26, v18
	s_waitcnt lgkmcnt(3)
	global_store_dword v[14:15], v6, off
                                        ; implicit-def: $vgpr14_vgpr15
	s_and_saveexec_b64 s[0:1], vcc
	s_xor_b64 s[0:1], exec, s[0:1]
; %bb.106:
	v_xor_b32_e32 v14, 0xfffff8ff, v0
	v_ashrrev_i32_e32 v15, 31, v14
	v_add_co_u32_e32 v14, vcc, v19, v14
	v_addc_co_u32_e32 v15, vcc, v21, v15, vcc
; %bb.107:
	s_andn2_saveexec_b64 s[0:1], s[0:1]
; %bb.108:
	v_add_co_u32_e32 v14, vcc, v1, v26
	v_addc_co_u32_e32 v15, vcc, 0, v16, vcc
; %bb.109:
	s_or_b64 exec, exec, s[0:1]
	v_lshlrev_b64 v[14:15], 2, v[14:15]
	v_mov_b32_e32 v33, s25
	v_add_co_u32_e32 v14, vcc, s24, v14
	v_addc_co_u32_e32 v15, vcc, v33, v15, vcc
	v_cmp_ge_u32_e32 vcc, v25, v18
	global_store_dword v[14:15], v7, off
                                        ; implicit-def: $vgpr14_vgpr15
	s_and_saveexec_b64 s[0:1], vcc
	s_xor_b64 s[0:1], exec, s[0:1]
; %bb.110:
	v_xor_b32_e32 v14, 0xfffff7ff, v0
	v_ashrrev_i32_e32 v15, 31, v14
	v_add_co_u32_e32 v14, vcc, v19, v14
	v_addc_co_u32_e32 v15, vcc, v21, v15, vcc
; %bb.111:
	s_andn2_saveexec_b64 s[0:1], s[0:1]
; %bb.112:
	v_add_co_u32_e32 v14, vcc, v1, v25
	v_addc_co_u32_e32 v15, vcc, 0, v16, vcc
; %bb.113:
	s_or_b64 exec, exec, s[0:1]
	v_lshlrev_b64 v[14:15], 2, v[14:15]
	v_mov_b32_e32 v33, s25
	v_add_co_u32_e32 v14, vcc, s24, v14
	v_addc_co_u32_e32 v15, vcc, v33, v15, vcc
	v_cmp_ge_u32_e32 vcc, v24, v18
	s_waitcnt lgkmcnt(2)
	global_store_dword v[14:15], v4, off
                                        ; implicit-def: $vgpr14_vgpr15
	s_and_saveexec_b64 s[0:1], vcc
	s_xor_b64 s[0:1], exec, s[0:1]
; %bb.114:
	v_xor_b32_e32 v14, 0xfffff6ff, v0
	v_ashrrev_i32_e32 v15, 31, v14
	v_add_co_u32_e32 v14, vcc, v19, v14
	v_addc_co_u32_e32 v15, vcc, v21, v15, vcc
; %bb.115:
	s_andn2_saveexec_b64 s[0:1], s[0:1]
; %bb.116:
	v_add_co_u32_e32 v14, vcc, v1, v24
	v_addc_co_u32_e32 v15, vcc, 0, v16, vcc
; %bb.117:
	s_or_b64 exec, exec, s[0:1]
	v_lshlrev_b64 v[14:15], 2, v[14:15]
	v_mov_b32_e32 v33, s25
	v_add_co_u32_e32 v14, vcc, s24, v14
	v_addc_co_u32_e32 v15, vcc, v33, v15, vcc
	v_cmp_ge_u32_e32 vcc, v23, v18
	global_store_dword v[14:15], v5, off
                                        ; implicit-def: $vgpr14_vgpr15
	s_and_saveexec_b64 s[0:1], vcc
	s_xor_b64 s[0:1], exec, s[0:1]
; %bb.118:
	v_xor_b32_e32 v14, 0xfffff5ff, v0
	v_ashrrev_i32_e32 v15, 31, v14
	v_add_co_u32_e32 v14, vcc, v19, v14
	v_addc_co_u32_e32 v15, vcc, v21, v15, vcc
; %bb.119:
	s_andn2_saveexec_b64 s[0:1], s[0:1]
; %bb.120:
	v_add_co_u32_e32 v14, vcc, v1, v23
	v_addc_co_u32_e32 v15, vcc, 0, v16, vcc
; %bb.121:
	s_or_b64 exec, exec, s[0:1]
	v_lshlrev_b64 v[14:15], 2, v[14:15]
	v_mov_b32_e32 v33, s25
	v_add_co_u32_e32 v14, vcc, s24, v14
	v_addc_co_u32_e32 v15, vcc, v33, v15, vcc
	v_cmp_ge_u32_e32 vcc, v22, v18
	s_waitcnt lgkmcnt(1)
	global_store_dword v[14:15], v2, off
                                        ; implicit-def: $vgpr14_vgpr15
	s_and_saveexec_b64 s[0:1], vcc
	s_xor_b64 s[0:1], exec, s[0:1]
; %bb.122:
	v_xor_b32_e32 v14, 0xfffff4ff, v0
	v_ashrrev_i32_e32 v15, 31, v14
	v_add_co_u32_e32 v14, vcc, v19, v14
	v_addc_co_u32_e32 v15, vcc, v21, v15, vcc
; %bb.123:
	s_andn2_saveexec_b64 s[0:1], s[0:1]
; %bb.124:
	v_add_co_u32_e32 v14, vcc, v1, v22
	v_addc_co_u32_e32 v15, vcc, 0, v16, vcc
; %bb.125:
	s_or_b64 exec, exec, s[0:1]
	v_lshlrev_b64 v[14:15], 2, v[14:15]
	v_mov_b32_e32 v33, s25
	v_add_co_u32_e32 v14, vcc, s24, v14
	v_addc_co_u32_e32 v15, vcc, v33, v15, vcc
	v_cmp_ge_u32_e32 vcc, v20, v18
	global_store_dword v[14:15], v3, off
                                        ; implicit-def: $vgpr14_vgpr15
	s_and_saveexec_b64 s[0:1], vcc
	s_xor_b64 s[0:1], exec, s[0:1]
; %bb.126:
	v_xor_b32_e32 v14, 0xfffff3ff, v0
	v_ashrrev_i32_e32 v15, 31, v14
	v_add_co_u32_e32 v14, vcc, v19, v14
	v_addc_co_u32_e32 v15, vcc, v21, v15, vcc
; %bb.127:
	s_andn2_saveexec_b64 s[0:1], s[0:1]
; %bb.128:
	v_add_co_u32_e32 v14, vcc, v1, v20
	v_addc_co_u32_e32 v15, vcc, 0, v16, vcc
; %bb.129:
	s_or_b64 exec, exec, s[0:1]
	s_mov_b64 s[0:1], -1
	s_branch .LBB172_210
.LBB172_130:
	s_mov_b64 s[0:1], 0
                                        ; implicit-def: $vgpr14_vgpr15
	s_cbranch_execz .LBB172_210
; %bb.131:
	v_cmp_gt_u32_e32 vcc, s33, v0
	s_and_saveexec_b64 s[2:3], vcc
	s_cbranch_execz .LBB172_167
; %bb.132:
	v_cmp_ge_u32_e32 vcc, v0, v18
                                        ; implicit-def: $vgpr14_vgpr15
	s_and_saveexec_b64 s[4:5], vcc
	s_xor_b64 s[4:5], exec, s[4:5]
; %bb.133:
	v_not_b32_e32 v14, v0
	v_ashrrev_i32_e32 v15, 31, v14
	v_add_co_u32_e32 v14, vcc, v19, v14
	v_addc_co_u32_e32 v15, vcc, v21, v15, vcc
; %bb.134:
	s_andn2_saveexec_b64 s[4:5], s[4:5]
; %bb.135:
	v_add_co_u32_e32 v14, vcc, v1, v0
	v_addc_co_u32_e32 v15, vcc, 0, v16, vcc
; %bb.136:
	s_or_b64 exec, exec, s[4:5]
	v_lshlrev_b64 v[14:15], 2, v[14:15]
	v_mov_b32_e32 v33, s25
	v_add_co_u32_e32 v14, vcc, s24, v14
	v_addc_co_u32_e32 v15, vcc, v33, v15, vcc
	s_waitcnt lgkmcnt(6)
	global_store_dword v[14:15], v12, off
	s_or_b64 exec, exec, s[2:3]
	v_cmp_gt_u32_e32 vcc, s33, v32
	s_and_saveexec_b64 s[2:3], vcc
	s_cbranch_execnz .LBB172_168
.LBB172_137:
	s_or_b64 exec, exec, s[2:3]
	v_cmp_gt_u32_e32 vcc, s33, v31
	s_and_saveexec_b64 s[2:3], vcc
	s_cbranch_execz .LBB172_173
.LBB172_138:
	v_cmp_ge_u32_e32 vcc, v31, v18
                                        ; implicit-def: $vgpr12_vgpr13
	s_and_saveexec_b64 s[4:5], vcc
	s_xor_b64 s[4:5], exec, s[4:5]
	s_cbranch_execz .LBB172_140
; %bb.139:
	s_waitcnt lgkmcnt(6)
	v_xor_b32_e32 v12, 0xfffffdff, v0
	v_ashrrev_i32_e32 v13, 31, v12
	v_add_co_u32_e32 v12, vcc, v19, v12
	v_addc_co_u32_e32 v13, vcc, v21, v13, vcc
                                        ; implicit-def: $vgpr31
.LBB172_140:
	s_andn2_saveexec_b64 s[4:5], s[4:5]
	s_cbranch_execz .LBB172_142
; %bb.141:
	s_waitcnt lgkmcnt(6)
	v_add_co_u32_e32 v12, vcc, v1, v31
	v_addc_co_u32_e32 v13, vcc, 0, v16, vcc
.LBB172_142:
	s_or_b64 exec, exec, s[4:5]
	s_waitcnt lgkmcnt(6)
	v_lshlrev_b64 v[12:13], 2, v[12:13]
	v_mov_b32_e32 v14, s25
	v_add_co_u32_e32 v12, vcc, s24, v12
	v_addc_co_u32_e32 v13, vcc, v14, v13, vcc
	s_waitcnt lgkmcnt(5)
	global_store_dword v[12:13], v10, off
	s_or_b64 exec, exec, s[2:3]
	v_cmp_gt_u32_e32 vcc, s33, v30
	s_and_saveexec_b64 s[2:3], vcc
	s_cbranch_execnz .LBB172_174
.LBB172_143:
	s_or_b64 exec, exec, s[2:3]
	v_cmp_gt_u32_e32 vcc, s33, v29
	s_and_saveexec_b64 s[2:3], vcc
	s_cbranch_execz .LBB172_179
.LBB172_144:
	v_cmp_ge_u32_e32 vcc, v29, v18
                                        ; implicit-def: $vgpr10_vgpr11
	s_and_saveexec_b64 s[4:5], vcc
	s_xor_b64 s[4:5], exec, s[4:5]
	s_cbranch_execz .LBB172_146
; %bb.145:
	s_waitcnt lgkmcnt(5)
	v_xor_b32_e32 v10, 0xfffffbff, v0
	v_ashrrev_i32_e32 v11, 31, v10
	v_add_co_u32_e32 v10, vcc, v19, v10
	v_addc_co_u32_e32 v11, vcc, v21, v11, vcc
                                        ; implicit-def: $vgpr29
.LBB172_146:
	s_andn2_saveexec_b64 s[4:5], s[4:5]
	s_cbranch_execz .LBB172_148
; %bb.147:
	s_waitcnt lgkmcnt(5)
	v_add_co_u32_e32 v10, vcc, v1, v29
	v_addc_co_u32_e32 v11, vcc, 0, v16, vcc
.LBB172_148:
	s_or_b64 exec, exec, s[4:5]
	s_waitcnt lgkmcnt(5)
	v_lshlrev_b64 v[10:11], 2, v[10:11]
	v_mov_b32_e32 v12, s25
	v_add_co_u32_e32 v10, vcc, s24, v10
	v_addc_co_u32_e32 v11, vcc, v12, v11, vcc
	s_waitcnt lgkmcnt(4)
	global_store_dword v[10:11], v8, off
	s_or_b64 exec, exec, s[2:3]
	v_cmp_gt_u32_e32 vcc, s33, v28
	s_and_saveexec_b64 s[2:3], vcc
	s_cbranch_execnz .LBB172_180
.LBB172_149:
	s_or_b64 exec, exec, s[2:3]
	v_cmp_gt_u32_e32 vcc, s33, v27
	s_and_saveexec_b64 s[2:3], vcc
	s_cbranch_execz .LBB172_185
.LBB172_150:
	v_cmp_ge_u32_e32 vcc, v27, v18
                                        ; implicit-def: $vgpr8_vgpr9
	s_and_saveexec_b64 s[4:5], vcc
	s_xor_b64 s[4:5], exec, s[4:5]
	s_cbranch_execz .LBB172_152
; %bb.151:
	s_waitcnt lgkmcnt(4)
	v_xor_b32_e32 v8, 0xfffff9ff, v0
	v_ashrrev_i32_e32 v9, 31, v8
	v_add_co_u32_e32 v8, vcc, v19, v8
	v_addc_co_u32_e32 v9, vcc, v21, v9, vcc
                                        ; implicit-def: $vgpr27
.LBB172_152:
	s_andn2_saveexec_b64 s[4:5], s[4:5]
	s_cbranch_execz .LBB172_154
; %bb.153:
	s_waitcnt lgkmcnt(4)
	v_add_co_u32_e32 v8, vcc, v1, v27
	v_addc_co_u32_e32 v9, vcc, 0, v16, vcc
.LBB172_154:
	s_or_b64 exec, exec, s[4:5]
	s_waitcnt lgkmcnt(4)
	v_lshlrev_b64 v[8:9], 2, v[8:9]
	v_mov_b32_e32 v10, s25
	v_add_co_u32_e32 v8, vcc, s24, v8
	v_addc_co_u32_e32 v9, vcc, v10, v9, vcc
	s_waitcnt lgkmcnt(3)
	global_store_dword v[8:9], v6, off
	s_or_b64 exec, exec, s[2:3]
	v_cmp_gt_u32_e32 vcc, s33, v26
	s_and_saveexec_b64 s[2:3], vcc
	s_cbranch_execnz .LBB172_186
.LBB172_155:
	s_or_b64 exec, exec, s[2:3]
	v_cmp_gt_u32_e32 vcc, s33, v25
	s_and_saveexec_b64 s[2:3], vcc
	s_cbranch_execz .LBB172_191
.LBB172_156:
	v_cmp_ge_u32_e32 vcc, v25, v18
                                        ; implicit-def: $vgpr6_vgpr7
	s_and_saveexec_b64 s[4:5], vcc
	s_xor_b64 s[4:5], exec, s[4:5]
	s_cbranch_execz .LBB172_158
; %bb.157:
	s_waitcnt lgkmcnt(3)
	v_xor_b32_e32 v6, 0xfffff7ff, v0
	v_ashrrev_i32_e32 v7, 31, v6
	v_add_co_u32_e32 v6, vcc, v19, v6
	v_addc_co_u32_e32 v7, vcc, v21, v7, vcc
                                        ; implicit-def: $vgpr25
.LBB172_158:
	s_andn2_saveexec_b64 s[4:5], s[4:5]
	s_cbranch_execz .LBB172_160
; %bb.159:
	s_waitcnt lgkmcnt(3)
	v_add_co_u32_e32 v6, vcc, v1, v25
	v_addc_co_u32_e32 v7, vcc, 0, v16, vcc
.LBB172_160:
	s_or_b64 exec, exec, s[4:5]
	s_waitcnt lgkmcnt(3)
	v_lshlrev_b64 v[6:7], 2, v[6:7]
	v_mov_b32_e32 v8, s25
	v_add_co_u32_e32 v6, vcc, s24, v6
	v_addc_co_u32_e32 v7, vcc, v8, v7, vcc
	s_waitcnt lgkmcnt(2)
	global_store_dword v[6:7], v4, off
	s_or_b64 exec, exec, s[2:3]
	v_cmp_gt_u32_e32 vcc, s33, v24
	s_and_saveexec_b64 s[2:3], vcc
	s_cbranch_execnz .LBB172_192
.LBB172_161:
	s_or_b64 exec, exec, s[2:3]
	v_cmp_gt_u32_e32 vcc, s33, v23
	s_and_saveexec_b64 s[2:3], vcc
	s_cbranch_execz .LBB172_197
.LBB172_162:
	v_cmp_ge_u32_e32 vcc, v23, v18
                                        ; implicit-def: $vgpr4_vgpr5
	s_and_saveexec_b64 s[4:5], vcc
	s_xor_b64 s[4:5], exec, s[4:5]
	s_cbranch_execz .LBB172_164
; %bb.163:
	s_waitcnt lgkmcnt(2)
	v_xor_b32_e32 v4, 0xfffff5ff, v0
	v_ashrrev_i32_e32 v5, 31, v4
	v_add_co_u32_e32 v4, vcc, v19, v4
	v_addc_co_u32_e32 v5, vcc, v21, v5, vcc
                                        ; implicit-def: $vgpr23
.LBB172_164:
	s_andn2_saveexec_b64 s[4:5], s[4:5]
	s_cbranch_execz .LBB172_166
; %bb.165:
	s_waitcnt lgkmcnt(2)
	v_add_co_u32_e32 v4, vcc, v1, v23
	v_addc_co_u32_e32 v5, vcc, 0, v16, vcc
.LBB172_166:
	s_or_b64 exec, exec, s[4:5]
	s_waitcnt lgkmcnt(2)
	v_lshlrev_b64 v[4:5], 2, v[4:5]
	v_mov_b32_e32 v6, s25
	v_add_co_u32_e32 v4, vcc, s24, v4
	v_addc_co_u32_e32 v5, vcc, v6, v5, vcc
	s_waitcnt lgkmcnt(1)
	global_store_dword v[4:5], v2, off
	s_or_b64 exec, exec, s[2:3]
	v_cmp_gt_u32_e32 vcc, s33, v22
	s_and_saveexec_b64 s[2:3], vcc
	s_cbranch_execz .LBB172_203
	s_branch .LBB172_198
.LBB172_167:
	s_or_b64 exec, exec, s[2:3]
	v_cmp_gt_u32_e32 vcc, s33, v32
	s_and_saveexec_b64 s[2:3], vcc
	s_cbranch_execz .LBB172_137
.LBB172_168:
	v_cmp_ge_u32_e32 vcc, v32, v18
                                        ; implicit-def: $vgpr14_vgpr15
	s_and_saveexec_b64 s[4:5], vcc
	s_xor_b64 s[4:5], exec, s[4:5]
	s_cbranch_execz .LBB172_170
; %bb.169:
	s_waitcnt lgkmcnt(6)
	v_xor_b32_e32 v12, 0xfffffeff, v0
	v_ashrrev_i32_e32 v15, 31, v12
	v_add_co_u32_e32 v14, vcc, v19, v12
	v_addc_co_u32_e32 v15, vcc, v21, v15, vcc
                                        ; implicit-def: $vgpr32
.LBB172_170:
	s_andn2_saveexec_b64 s[4:5], s[4:5]
; %bb.171:
	v_add_co_u32_e32 v14, vcc, v1, v32
	v_addc_co_u32_e32 v15, vcc, 0, v16, vcc
; %bb.172:
	s_or_b64 exec, exec, s[4:5]
	v_lshlrev_b64 v[14:15], 2, v[14:15]
	s_waitcnt lgkmcnt(6)
	v_mov_b32_e32 v12, s25
	v_add_co_u32_e32 v14, vcc, s24, v14
	v_addc_co_u32_e32 v15, vcc, v12, v15, vcc
	global_store_dword v[14:15], v13, off
	s_or_b64 exec, exec, s[2:3]
	v_cmp_gt_u32_e32 vcc, s33, v31
	s_and_saveexec_b64 s[2:3], vcc
	s_cbranch_execnz .LBB172_138
.LBB172_173:
	s_or_b64 exec, exec, s[2:3]
	v_cmp_gt_u32_e32 vcc, s33, v30
	s_and_saveexec_b64 s[2:3], vcc
	s_cbranch_execz .LBB172_143
.LBB172_174:
	v_cmp_ge_u32_e32 vcc, v30, v18
                                        ; implicit-def: $vgpr12_vgpr13
	s_and_saveexec_b64 s[4:5], vcc
	s_xor_b64 s[4:5], exec, s[4:5]
	s_cbranch_execz .LBB172_176
; %bb.175:
	s_waitcnt lgkmcnt(5)
	v_xor_b32_e32 v10, 0xfffffcff, v0
	v_ashrrev_i32_e32 v13, 31, v10
	v_add_co_u32_e32 v12, vcc, v19, v10
	v_addc_co_u32_e32 v13, vcc, v21, v13, vcc
                                        ; implicit-def: $vgpr30
.LBB172_176:
	s_andn2_saveexec_b64 s[4:5], s[4:5]
	s_cbranch_execz .LBB172_178
; %bb.177:
	s_waitcnt lgkmcnt(6)
	v_add_co_u32_e32 v12, vcc, v1, v30
	v_addc_co_u32_e32 v13, vcc, 0, v16, vcc
.LBB172_178:
	s_or_b64 exec, exec, s[4:5]
	s_waitcnt lgkmcnt(6)
	v_lshlrev_b64 v[12:13], 2, v[12:13]
	s_waitcnt lgkmcnt(5)
	v_mov_b32_e32 v10, s25
	v_add_co_u32_e32 v12, vcc, s24, v12
	v_addc_co_u32_e32 v13, vcc, v10, v13, vcc
	global_store_dword v[12:13], v11, off
	s_or_b64 exec, exec, s[2:3]
	v_cmp_gt_u32_e32 vcc, s33, v29
	s_and_saveexec_b64 s[2:3], vcc
	s_cbranch_execnz .LBB172_144
.LBB172_179:
	s_or_b64 exec, exec, s[2:3]
	v_cmp_gt_u32_e32 vcc, s33, v28
	s_and_saveexec_b64 s[2:3], vcc
	s_cbranch_execz .LBB172_149
.LBB172_180:
	v_cmp_ge_u32_e32 vcc, v28, v18
                                        ; implicit-def: $vgpr10_vgpr11
	s_and_saveexec_b64 s[4:5], vcc
	s_xor_b64 s[4:5], exec, s[4:5]
	s_cbranch_execz .LBB172_182
; %bb.181:
	s_waitcnt lgkmcnt(4)
	v_xor_b32_e32 v8, 0xfffffaff, v0
	v_ashrrev_i32_e32 v11, 31, v8
	v_add_co_u32_e32 v10, vcc, v19, v8
	v_addc_co_u32_e32 v11, vcc, v21, v11, vcc
                                        ; implicit-def: $vgpr28
.LBB172_182:
	s_andn2_saveexec_b64 s[4:5], s[4:5]
	s_cbranch_execz .LBB172_184
; %bb.183:
	s_waitcnt lgkmcnt(5)
	v_add_co_u32_e32 v10, vcc, v1, v28
	v_addc_co_u32_e32 v11, vcc, 0, v16, vcc
.LBB172_184:
	s_or_b64 exec, exec, s[4:5]
	s_waitcnt lgkmcnt(5)
	v_lshlrev_b64 v[10:11], 2, v[10:11]
	s_waitcnt lgkmcnt(4)
	v_mov_b32_e32 v8, s25
	v_add_co_u32_e32 v10, vcc, s24, v10
	v_addc_co_u32_e32 v11, vcc, v8, v11, vcc
	global_store_dword v[10:11], v9, off
	s_or_b64 exec, exec, s[2:3]
	v_cmp_gt_u32_e32 vcc, s33, v27
	s_and_saveexec_b64 s[2:3], vcc
	s_cbranch_execnz .LBB172_150
.LBB172_185:
	s_or_b64 exec, exec, s[2:3]
	v_cmp_gt_u32_e32 vcc, s33, v26
	s_and_saveexec_b64 s[2:3], vcc
	s_cbranch_execz .LBB172_155
.LBB172_186:
	v_cmp_ge_u32_e32 vcc, v26, v18
                                        ; implicit-def: $vgpr8_vgpr9
	s_and_saveexec_b64 s[4:5], vcc
	s_xor_b64 s[4:5], exec, s[4:5]
	s_cbranch_execz .LBB172_188
; %bb.187:
	s_waitcnt lgkmcnt(3)
	v_xor_b32_e32 v6, 0xfffff8ff, v0
	v_ashrrev_i32_e32 v9, 31, v6
	v_add_co_u32_e32 v8, vcc, v19, v6
	v_addc_co_u32_e32 v9, vcc, v21, v9, vcc
                                        ; implicit-def: $vgpr26
.LBB172_188:
	s_andn2_saveexec_b64 s[4:5], s[4:5]
	s_cbranch_execz .LBB172_190
; %bb.189:
	s_waitcnt lgkmcnt(4)
	v_add_co_u32_e32 v8, vcc, v1, v26
	v_addc_co_u32_e32 v9, vcc, 0, v16, vcc
.LBB172_190:
	s_or_b64 exec, exec, s[4:5]
	s_waitcnt lgkmcnt(4)
	v_lshlrev_b64 v[8:9], 2, v[8:9]
	s_waitcnt lgkmcnt(3)
	v_mov_b32_e32 v6, s25
	v_add_co_u32_e32 v8, vcc, s24, v8
	v_addc_co_u32_e32 v9, vcc, v6, v9, vcc
	global_store_dword v[8:9], v7, off
	s_or_b64 exec, exec, s[2:3]
	v_cmp_gt_u32_e32 vcc, s33, v25
	s_and_saveexec_b64 s[2:3], vcc
	s_cbranch_execnz .LBB172_156
.LBB172_191:
	s_or_b64 exec, exec, s[2:3]
	v_cmp_gt_u32_e32 vcc, s33, v24
	s_and_saveexec_b64 s[2:3], vcc
	s_cbranch_execz .LBB172_161
.LBB172_192:
	v_cmp_ge_u32_e32 vcc, v24, v18
                                        ; implicit-def: $vgpr6_vgpr7
	s_and_saveexec_b64 s[4:5], vcc
	s_xor_b64 s[4:5], exec, s[4:5]
	s_cbranch_execz .LBB172_194
; %bb.193:
	s_waitcnt lgkmcnt(2)
	v_xor_b32_e32 v4, 0xfffff6ff, v0
	v_ashrrev_i32_e32 v7, 31, v4
	v_add_co_u32_e32 v6, vcc, v19, v4
	v_addc_co_u32_e32 v7, vcc, v21, v7, vcc
                                        ; implicit-def: $vgpr24
.LBB172_194:
	s_andn2_saveexec_b64 s[4:5], s[4:5]
	s_cbranch_execz .LBB172_196
; %bb.195:
	s_waitcnt lgkmcnt(3)
	v_add_co_u32_e32 v6, vcc, v1, v24
	v_addc_co_u32_e32 v7, vcc, 0, v16, vcc
.LBB172_196:
	s_or_b64 exec, exec, s[4:5]
	s_waitcnt lgkmcnt(3)
	v_lshlrev_b64 v[6:7], 2, v[6:7]
	s_waitcnt lgkmcnt(2)
	v_mov_b32_e32 v4, s25
	v_add_co_u32_e32 v6, vcc, s24, v6
	v_addc_co_u32_e32 v7, vcc, v4, v7, vcc
	global_store_dword v[6:7], v5, off
	s_or_b64 exec, exec, s[2:3]
	v_cmp_gt_u32_e32 vcc, s33, v23
	s_and_saveexec_b64 s[2:3], vcc
	s_cbranch_execnz .LBB172_162
.LBB172_197:
	s_or_b64 exec, exec, s[2:3]
	v_cmp_gt_u32_e32 vcc, s33, v22
	s_and_saveexec_b64 s[2:3], vcc
	s_cbranch_execz .LBB172_203
.LBB172_198:
	v_cmp_ge_u32_e32 vcc, v22, v18
                                        ; implicit-def: $vgpr4_vgpr5
	s_and_saveexec_b64 s[4:5], vcc
	s_xor_b64 s[4:5], exec, s[4:5]
	s_cbranch_execz .LBB172_200
; %bb.199:
	s_waitcnt lgkmcnt(1)
	v_xor_b32_e32 v2, 0xfffff4ff, v0
	v_ashrrev_i32_e32 v5, 31, v2
	v_add_co_u32_e32 v4, vcc, v19, v2
	v_addc_co_u32_e32 v5, vcc, v21, v5, vcc
                                        ; implicit-def: $vgpr22
.LBB172_200:
	s_andn2_saveexec_b64 s[4:5], s[4:5]
	s_cbranch_execz .LBB172_202
; %bb.201:
	s_waitcnt lgkmcnt(2)
	v_add_co_u32_e32 v4, vcc, v1, v22
	v_addc_co_u32_e32 v5, vcc, 0, v16, vcc
.LBB172_202:
	s_or_b64 exec, exec, s[4:5]
	s_waitcnt lgkmcnt(2)
	v_lshlrev_b64 v[4:5], 2, v[4:5]
	s_waitcnt lgkmcnt(1)
	v_mov_b32_e32 v2, s25
	v_add_co_u32_e32 v4, vcc, s24, v4
	v_addc_co_u32_e32 v5, vcc, v2, v5, vcc
	global_store_dword v[4:5], v3, off
.LBB172_203:
	s_or_b64 exec, exec, s[2:3]
	v_cmp_gt_u32_e32 vcc, s33, v20
                                        ; implicit-def: $vgpr14_vgpr15
	s_and_saveexec_b64 s[2:3], vcc
	s_cbranch_execz .LBB172_209
; %bb.204:
	v_cmp_ge_u32_e32 vcc, v20, v18
                                        ; implicit-def: $vgpr14_vgpr15
	s_and_saveexec_b64 s[4:5], vcc
	s_xor_b64 s[4:5], exec, s[4:5]
	s_cbranch_execz .LBB172_206
; %bb.205:
	s_waitcnt lgkmcnt(1)
	v_xor_b32_e32 v2, 0xfffff3ff, v0
	v_ashrrev_i32_e32 v3, 31, v2
	v_add_co_u32_e32 v14, vcc, v19, v2
	v_addc_co_u32_e32 v15, vcc, v21, v3, vcc
                                        ; implicit-def: $vgpr20
.LBB172_206:
	s_andn2_saveexec_b64 s[4:5], s[4:5]
; %bb.207:
	v_add_co_u32_e32 v14, vcc, v1, v20
	v_addc_co_u32_e32 v15, vcc, 0, v16, vcc
; %bb.208:
	s_or_b64 exec, exec, s[4:5]
	s_or_b64 s[0:1], s[0:1], exec
.LBB172_209:
	s_or_b64 exec, exec, s[2:3]
.LBB172_210:
	s_and_saveexec_b64 s[2:3], s[0:1]
	s_cbranch_execz .LBB172_212
; %bb.211:
	s_waitcnt lgkmcnt(1)
	v_lshlrev_b64 v[2:3], 2, v[14:15]
	v_mov_b32_e32 v4, s25
	v_add_co_u32_e32 v2, vcc, s24, v2
	v_addc_co_u32_e32 v3, vcc, v4, v3, vcc
	s_waitcnt lgkmcnt(0)
	global_store_dword v[2:3], v17, off
.LBB172_212:
	s_or_b64 exec, exec, s[2:3]
	v_cmp_eq_u32_e32 vcc, 0, v0
	s_and_b64 s[0:1], vcc, s[22:23]
	s_and_saveexec_b64 s[2:3], s[0:1]
	s_cbranch_execz .LBB172_214
; %bb.213:
	v_add_co_u32_e32 v0, vcc, v1, v18
	s_waitcnt lgkmcnt(1)
	v_mov_b32_e32 v2, 0
	v_addc_co_u32_e32 v1, vcc, 0, v16, vcc
	global_store_dwordx2 v2, v[0:1], s[20:21]
.LBB172_214:
	s_endpgm
	.section	.rodata,"a",@progbits
	.p2align	6, 0x0
	.amdhsa_kernel _ZN7rocprim17ROCPRIM_400000_NS6detail17trampoline_kernelINS0_13select_configILj256ELj13ELNS0_17block_load_methodE3ELS4_3ELS4_3ELNS0_20block_scan_algorithmE0ELj4294967295EEENS1_25partition_config_selectorILNS1_17partition_subalgoE3EjNS0_10empty_typeEbEEZZNS1_14partition_implILS8_3ELb0ES6_jNS0_17counting_iteratorIjlEEPS9_SE_NS0_5tupleIJPjSE_EEENSF_IJSE_SE_EEES9_SG_JZNS1_25segmented_radix_sort_implINS0_14default_configELb0EPKhPhPKlPlN2at6native12_GLOBAL__N_18offset_tEEE10hipError_tPvRmT1_PNSt15iterator_traitsISY_E10value_typeET2_T3_PNSZ_IS14_E10value_typeET4_jRbjT5_S1A_jjP12ihipStream_tbEUljE_EEESV_SW_SX_S14_S18_S1A_T6_T7_T9_mT8_S1C_bDpT10_ENKUlT_T0_E_clISt17integral_constantIbLb1EES1O_IbLb0EEEEDaS1K_S1L_EUlS1K_E_NS1_11comp_targetILNS1_3genE4ELNS1_11target_archE910ELNS1_3gpuE8ELNS1_3repE0EEENS1_30default_config_static_selectorELNS0_4arch9wavefront6targetE1EEEvSY_
		.amdhsa_group_segment_fixed_size 13324
		.amdhsa_private_segment_fixed_size 0
		.amdhsa_kernarg_size 144
		.amdhsa_user_sgpr_count 6
		.amdhsa_user_sgpr_private_segment_buffer 1
		.amdhsa_user_sgpr_dispatch_ptr 0
		.amdhsa_user_sgpr_queue_ptr 0
		.amdhsa_user_sgpr_kernarg_segment_ptr 1
		.amdhsa_user_sgpr_dispatch_id 0
		.amdhsa_user_sgpr_flat_scratch_init 0
		.amdhsa_user_sgpr_kernarg_preload_length 0
		.amdhsa_user_sgpr_kernarg_preload_offset 0
		.amdhsa_user_sgpr_private_segment_size 0
		.amdhsa_uses_dynamic_stack 0
		.amdhsa_system_sgpr_private_segment_wavefront_offset 0
		.amdhsa_system_sgpr_workgroup_id_x 1
		.amdhsa_system_sgpr_workgroup_id_y 0
		.amdhsa_system_sgpr_workgroup_id_z 0
		.amdhsa_system_sgpr_workgroup_info 0
		.amdhsa_system_vgpr_workitem_id 0
		.amdhsa_next_free_vgpr 61
		.amdhsa_next_free_sgpr 46
		.amdhsa_accum_offset 64
		.amdhsa_reserve_vcc 1
		.amdhsa_reserve_flat_scratch 0
		.amdhsa_float_round_mode_32 0
		.amdhsa_float_round_mode_16_64 0
		.amdhsa_float_denorm_mode_32 3
		.amdhsa_float_denorm_mode_16_64 3
		.amdhsa_dx10_clamp 1
		.amdhsa_ieee_mode 1
		.amdhsa_fp16_overflow 0
		.amdhsa_tg_split 0
		.amdhsa_exception_fp_ieee_invalid_op 0
		.amdhsa_exception_fp_denorm_src 0
		.amdhsa_exception_fp_ieee_div_zero 0
		.amdhsa_exception_fp_ieee_overflow 0
		.amdhsa_exception_fp_ieee_underflow 0
		.amdhsa_exception_fp_ieee_inexact 0
		.amdhsa_exception_int_div_zero 0
	.end_amdhsa_kernel
	.section	.text._ZN7rocprim17ROCPRIM_400000_NS6detail17trampoline_kernelINS0_13select_configILj256ELj13ELNS0_17block_load_methodE3ELS4_3ELS4_3ELNS0_20block_scan_algorithmE0ELj4294967295EEENS1_25partition_config_selectorILNS1_17partition_subalgoE3EjNS0_10empty_typeEbEEZZNS1_14partition_implILS8_3ELb0ES6_jNS0_17counting_iteratorIjlEEPS9_SE_NS0_5tupleIJPjSE_EEENSF_IJSE_SE_EEES9_SG_JZNS1_25segmented_radix_sort_implINS0_14default_configELb0EPKhPhPKlPlN2at6native12_GLOBAL__N_18offset_tEEE10hipError_tPvRmT1_PNSt15iterator_traitsISY_E10value_typeET2_T3_PNSZ_IS14_E10value_typeET4_jRbjT5_S1A_jjP12ihipStream_tbEUljE_EEESV_SW_SX_S14_S18_S1A_T6_T7_T9_mT8_S1C_bDpT10_ENKUlT_T0_E_clISt17integral_constantIbLb1EES1O_IbLb0EEEEDaS1K_S1L_EUlS1K_E_NS1_11comp_targetILNS1_3genE4ELNS1_11target_archE910ELNS1_3gpuE8ELNS1_3repE0EEENS1_30default_config_static_selectorELNS0_4arch9wavefront6targetE1EEEvSY_,"axG",@progbits,_ZN7rocprim17ROCPRIM_400000_NS6detail17trampoline_kernelINS0_13select_configILj256ELj13ELNS0_17block_load_methodE3ELS4_3ELS4_3ELNS0_20block_scan_algorithmE0ELj4294967295EEENS1_25partition_config_selectorILNS1_17partition_subalgoE3EjNS0_10empty_typeEbEEZZNS1_14partition_implILS8_3ELb0ES6_jNS0_17counting_iteratorIjlEEPS9_SE_NS0_5tupleIJPjSE_EEENSF_IJSE_SE_EEES9_SG_JZNS1_25segmented_radix_sort_implINS0_14default_configELb0EPKhPhPKlPlN2at6native12_GLOBAL__N_18offset_tEEE10hipError_tPvRmT1_PNSt15iterator_traitsISY_E10value_typeET2_T3_PNSZ_IS14_E10value_typeET4_jRbjT5_S1A_jjP12ihipStream_tbEUljE_EEESV_SW_SX_S14_S18_S1A_T6_T7_T9_mT8_S1C_bDpT10_ENKUlT_T0_E_clISt17integral_constantIbLb1EES1O_IbLb0EEEEDaS1K_S1L_EUlS1K_E_NS1_11comp_targetILNS1_3genE4ELNS1_11target_archE910ELNS1_3gpuE8ELNS1_3repE0EEENS1_30default_config_static_selectorELNS0_4arch9wavefront6targetE1EEEvSY_,comdat
.Lfunc_end172:
	.size	_ZN7rocprim17ROCPRIM_400000_NS6detail17trampoline_kernelINS0_13select_configILj256ELj13ELNS0_17block_load_methodE3ELS4_3ELS4_3ELNS0_20block_scan_algorithmE0ELj4294967295EEENS1_25partition_config_selectorILNS1_17partition_subalgoE3EjNS0_10empty_typeEbEEZZNS1_14partition_implILS8_3ELb0ES6_jNS0_17counting_iteratorIjlEEPS9_SE_NS0_5tupleIJPjSE_EEENSF_IJSE_SE_EEES9_SG_JZNS1_25segmented_radix_sort_implINS0_14default_configELb0EPKhPhPKlPlN2at6native12_GLOBAL__N_18offset_tEEE10hipError_tPvRmT1_PNSt15iterator_traitsISY_E10value_typeET2_T3_PNSZ_IS14_E10value_typeET4_jRbjT5_S1A_jjP12ihipStream_tbEUljE_EEESV_SW_SX_S14_S18_S1A_T6_T7_T9_mT8_S1C_bDpT10_ENKUlT_T0_E_clISt17integral_constantIbLb1EES1O_IbLb0EEEEDaS1K_S1L_EUlS1K_E_NS1_11comp_targetILNS1_3genE4ELNS1_11target_archE910ELNS1_3gpuE8ELNS1_3repE0EEENS1_30default_config_static_selectorELNS0_4arch9wavefront6targetE1EEEvSY_, .Lfunc_end172-_ZN7rocprim17ROCPRIM_400000_NS6detail17trampoline_kernelINS0_13select_configILj256ELj13ELNS0_17block_load_methodE3ELS4_3ELS4_3ELNS0_20block_scan_algorithmE0ELj4294967295EEENS1_25partition_config_selectorILNS1_17partition_subalgoE3EjNS0_10empty_typeEbEEZZNS1_14partition_implILS8_3ELb0ES6_jNS0_17counting_iteratorIjlEEPS9_SE_NS0_5tupleIJPjSE_EEENSF_IJSE_SE_EEES9_SG_JZNS1_25segmented_radix_sort_implINS0_14default_configELb0EPKhPhPKlPlN2at6native12_GLOBAL__N_18offset_tEEE10hipError_tPvRmT1_PNSt15iterator_traitsISY_E10value_typeET2_T3_PNSZ_IS14_E10value_typeET4_jRbjT5_S1A_jjP12ihipStream_tbEUljE_EEESV_SW_SX_S14_S18_S1A_T6_T7_T9_mT8_S1C_bDpT10_ENKUlT_T0_E_clISt17integral_constantIbLb1EES1O_IbLb0EEEEDaS1K_S1L_EUlS1K_E_NS1_11comp_targetILNS1_3genE4ELNS1_11target_archE910ELNS1_3gpuE8ELNS1_3repE0EEENS1_30default_config_static_selectorELNS0_4arch9wavefront6targetE1EEEvSY_
                                        ; -- End function
	.section	.AMDGPU.csdata,"",@progbits
; Kernel info:
; codeLenInByte = 7756
; NumSgprs: 50
; NumVgprs: 61
; NumAgprs: 0
; TotalNumVgprs: 61
; ScratchSize: 0
; MemoryBound: 0
; FloatMode: 240
; IeeeMode: 1
; LDSByteSize: 13324 bytes/workgroup (compile time only)
; SGPRBlocks: 6
; VGPRBlocks: 7
; NumSGPRsForWavesPerEU: 50
; NumVGPRsForWavesPerEU: 61
; AccumOffset: 64
; Occupancy: 4
; WaveLimiterHint : 0
; COMPUTE_PGM_RSRC2:SCRATCH_EN: 0
; COMPUTE_PGM_RSRC2:USER_SGPR: 6
; COMPUTE_PGM_RSRC2:TRAP_HANDLER: 0
; COMPUTE_PGM_RSRC2:TGID_X_EN: 1
; COMPUTE_PGM_RSRC2:TGID_Y_EN: 0
; COMPUTE_PGM_RSRC2:TGID_Z_EN: 0
; COMPUTE_PGM_RSRC2:TIDIG_COMP_CNT: 0
; COMPUTE_PGM_RSRC3_GFX90A:ACCUM_OFFSET: 15
; COMPUTE_PGM_RSRC3_GFX90A:TG_SPLIT: 0
	.section	.text._ZN7rocprim17ROCPRIM_400000_NS6detail17trampoline_kernelINS0_13select_configILj256ELj13ELNS0_17block_load_methodE3ELS4_3ELS4_3ELNS0_20block_scan_algorithmE0ELj4294967295EEENS1_25partition_config_selectorILNS1_17partition_subalgoE3EjNS0_10empty_typeEbEEZZNS1_14partition_implILS8_3ELb0ES6_jNS0_17counting_iteratorIjlEEPS9_SE_NS0_5tupleIJPjSE_EEENSF_IJSE_SE_EEES9_SG_JZNS1_25segmented_radix_sort_implINS0_14default_configELb0EPKhPhPKlPlN2at6native12_GLOBAL__N_18offset_tEEE10hipError_tPvRmT1_PNSt15iterator_traitsISY_E10value_typeET2_T3_PNSZ_IS14_E10value_typeET4_jRbjT5_S1A_jjP12ihipStream_tbEUljE_EEESV_SW_SX_S14_S18_S1A_T6_T7_T9_mT8_S1C_bDpT10_ENKUlT_T0_E_clISt17integral_constantIbLb1EES1O_IbLb0EEEEDaS1K_S1L_EUlS1K_E_NS1_11comp_targetILNS1_3genE3ELNS1_11target_archE908ELNS1_3gpuE7ELNS1_3repE0EEENS1_30default_config_static_selectorELNS0_4arch9wavefront6targetE1EEEvSY_,"axG",@progbits,_ZN7rocprim17ROCPRIM_400000_NS6detail17trampoline_kernelINS0_13select_configILj256ELj13ELNS0_17block_load_methodE3ELS4_3ELS4_3ELNS0_20block_scan_algorithmE0ELj4294967295EEENS1_25partition_config_selectorILNS1_17partition_subalgoE3EjNS0_10empty_typeEbEEZZNS1_14partition_implILS8_3ELb0ES6_jNS0_17counting_iteratorIjlEEPS9_SE_NS0_5tupleIJPjSE_EEENSF_IJSE_SE_EEES9_SG_JZNS1_25segmented_radix_sort_implINS0_14default_configELb0EPKhPhPKlPlN2at6native12_GLOBAL__N_18offset_tEEE10hipError_tPvRmT1_PNSt15iterator_traitsISY_E10value_typeET2_T3_PNSZ_IS14_E10value_typeET4_jRbjT5_S1A_jjP12ihipStream_tbEUljE_EEESV_SW_SX_S14_S18_S1A_T6_T7_T9_mT8_S1C_bDpT10_ENKUlT_T0_E_clISt17integral_constantIbLb1EES1O_IbLb0EEEEDaS1K_S1L_EUlS1K_E_NS1_11comp_targetILNS1_3genE3ELNS1_11target_archE908ELNS1_3gpuE7ELNS1_3repE0EEENS1_30default_config_static_selectorELNS0_4arch9wavefront6targetE1EEEvSY_,comdat
	.globl	_ZN7rocprim17ROCPRIM_400000_NS6detail17trampoline_kernelINS0_13select_configILj256ELj13ELNS0_17block_load_methodE3ELS4_3ELS4_3ELNS0_20block_scan_algorithmE0ELj4294967295EEENS1_25partition_config_selectorILNS1_17partition_subalgoE3EjNS0_10empty_typeEbEEZZNS1_14partition_implILS8_3ELb0ES6_jNS0_17counting_iteratorIjlEEPS9_SE_NS0_5tupleIJPjSE_EEENSF_IJSE_SE_EEES9_SG_JZNS1_25segmented_radix_sort_implINS0_14default_configELb0EPKhPhPKlPlN2at6native12_GLOBAL__N_18offset_tEEE10hipError_tPvRmT1_PNSt15iterator_traitsISY_E10value_typeET2_T3_PNSZ_IS14_E10value_typeET4_jRbjT5_S1A_jjP12ihipStream_tbEUljE_EEESV_SW_SX_S14_S18_S1A_T6_T7_T9_mT8_S1C_bDpT10_ENKUlT_T0_E_clISt17integral_constantIbLb1EES1O_IbLb0EEEEDaS1K_S1L_EUlS1K_E_NS1_11comp_targetILNS1_3genE3ELNS1_11target_archE908ELNS1_3gpuE7ELNS1_3repE0EEENS1_30default_config_static_selectorELNS0_4arch9wavefront6targetE1EEEvSY_ ; -- Begin function _ZN7rocprim17ROCPRIM_400000_NS6detail17trampoline_kernelINS0_13select_configILj256ELj13ELNS0_17block_load_methodE3ELS4_3ELS4_3ELNS0_20block_scan_algorithmE0ELj4294967295EEENS1_25partition_config_selectorILNS1_17partition_subalgoE3EjNS0_10empty_typeEbEEZZNS1_14partition_implILS8_3ELb0ES6_jNS0_17counting_iteratorIjlEEPS9_SE_NS0_5tupleIJPjSE_EEENSF_IJSE_SE_EEES9_SG_JZNS1_25segmented_radix_sort_implINS0_14default_configELb0EPKhPhPKlPlN2at6native12_GLOBAL__N_18offset_tEEE10hipError_tPvRmT1_PNSt15iterator_traitsISY_E10value_typeET2_T3_PNSZ_IS14_E10value_typeET4_jRbjT5_S1A_jjP12ihipStream_tbEUljE_EEESV_SW_SX_S14_S18_S1A_T6_T7_T9_mT8_S1C_bDpT10_ENKUlT_T0_E_clISt17integral_constantIbLb1EES1O_IbLb0EEEEDaS1K_S1L_EUlS1K_E_NS1_11comp_targetILNS1_3genE3ELNS1_11target_archE908ELNS1_3gpuE7ELNS1_3repE0EEENS1_30default_config_static_selectorELNS0_4arch9wavefront6targetE1EEEvSY_
	.p2align	8
	.type	_ZN7rocprim17ROCPRIM_400000_NS6detail17trampoline_kernelINS0_13select_configILj256ELj13ELNS0_17block_load_methodE3ELS4_3ELS4_3ELNS0_20block_scan_algorithmE0ELj4294967295EEENS1_25partition_config_selectorILNS1_17partition_subalgoE3EjNS0_10empty_typeEbEEZZNS1_14partition_implILS8_3ELb0ES6_jNS0_17counting_iteratorIjlEEPS9_SE_NS0_5tupleIJPjSE_EEENSF_IJSE_SE_EEES9_SG_JZNS1_25segmented_radix_sort_implINS0_14default_configELb0EPKhPhPKlPlN2at6native12_GLOBAL__N_18offset_tEEE10hipError_tPvRmT1_PNSt15iterator_traitsISY_E10value_typeET2_T3_PNSZ_IS14_E10value_typeET4_jRbjT5_S1A_jjP12ihipStream_tbEUljE_EEESV_SW_SX_S14_S18_S1A_T6_T7_T9_mT8_S1C_bDpT10_ENKUlT_T0_E_clISt17integral_constantIbLb1EES1O_IbLb0EEEEDaS1K_S1L_EUlS1K_E_NS1_11comp_targetILNS1_3genE3ELNS1_11target_archE908ELNS1_3gpuE7ELNS1_3repE0EEENS1_30default_config_static_selectorELNS0_4arch9wavefront6targetE1EEEvSY_,@function
_ZN7rocprim17ROCPRIM_400000_NS6detail17trampoline_kernelINS0_13select_configILj256ELj13ELNS0_17block_load_methodE3ELS4_3ELS4_3ELNS0_20block_scan_algorithmE0ELj4294967295EEENS1_25partition_config_selectorILNS1_17partition_subalgoE3EjNS0_10empty_typeEbEEZZNS1_14partition_implILS8_3ELb0ES6_jNS0_17counting_iteratorIjlEEPS9_SE_NS0_5tupleIJPjSE_EEENSF_IJSE_SE_EEES9_SG_JZNS1_25segmented_radix_sort_implINS0_14default_configELb0EPKhPhPKlPlN2at6native12_GLOBAL__N_18offset_tEEE10hipError_tPvRmT1_PNSt15iterator_traitsISY_E10value_typeET2_T3_PNSZ_IS14_E10value_typeET4_jRbjT5_S1A_jjP12ihipStream_tbEUljE_EEESV_SW_SX_S14_S18_S1A_T6_T7_T9_mT8_S1C_bDpT10_ENKUlT_T0_E_clISt17integral_constantIbLb1EES1O_IbLb0EEEEDaS1K_S1L_EUlS1K_E_NS1_11comp_targetILNS1_3genE3ELNS1_11target_archE908ELNS1_3gpuE7ELNS1_3repE0EEENS1_30default_config_static_selectorELNS0_4arch9wavefront6targetE1EEEvSY_: ; @_ZN7rocprim17ROCPRIM_400000_NS6detail17trampoline_kernelINS0_13select_configILj256ELj13ELNS0_17block_load_methodE3ELS4_3ELS4_3ELNS0_20block_scan_algorithmE0ELj4294967295EEENS1_25partition_config_selectorILNS1_17partition_subalgoE3EjNS0_10empty_typeEbEEZZNS1_14partition_implILS8_3ELb0ES6_jNS0_17counting_iteratorIjlEEPS9_SE_NS0_5tupleIJPjSE_EEENSF_IJSE_SE_EEES9_SG_JZNS1_25segmented_radix_sort_implINS0_14default_configELb0EPKhPhPKlPlN2at6native12_GLOBAL__N_18offset_tEEE10hipError_tPvRmT1_PNSt15iterator_traitsISY_E10value_typeET2_T3_PNSZ_IS14_E10value_typeET4_jRbjT5_S1A_jjP12ihipStream_tbEUljE_EEESV_SW_SX_S14_S18_S1A_T6_T7_T9_mT8_S1C_bDpT10_ENKUlT_T0_E_clISt17integral_constantIbLb1EES1O_IbLb0EEEEDaS1K_S1L_EUlS1K_E_NS1_11comp_targetILNS1_3genE3ELNS1_11target_archE908ELNS1_3gpuE7ELNS1_3repE0EEENS1_30default_config_static_selectorELNS0_4arch9wavefront6targetE1EEEvSY_
; %bb.0:
	.section	.rodata,"a",@progbits
	.p2align	6, 0x0
	.amdhsa_kernel _ZN7rocprim17ROCPRIM_400000_NS6detail17trampoline_kernelINS0_13select_configILj256ELj13ELNS0_17block_load_methodE3ELS4_3ELS4_3ELNS0_20block_scan_algorithmE0ELj4294967295EEENS1_25partition_config_selectorILNS1_17partition_subalgoE3EjNS0_10empty_typeEbEEZZNS1_14partition_implILS8_3ELb0ES6_jNS0_17counting_iteratorIjlEEPS9_SE_NS0_5tupleIJPjSE_EEENSF_IJSE_SE_EEES9_SG_JZNS1_25segmented_radix_sort_implINS0_14default_configELb0EPKhPhPKlPlN2at6native12_GLOBAL__N_18offset_tEEE10hipError_tPvRmT1_PNSt15iterator_traitsISY_E10value_typeET2_T3_PNSZ_IS14_E10value_typeET4_jRbjT5_S1A_jjP12ihipStream_tbEUljE_EEESV_SW_SX_S14_S18_S1A_T6_T7_T9_mT8_S1C_bDpT10_ENKUlT_T0_E_clISt17integral_constantIbLb1EES1O_IbLb0EEEEDaS1K_S1L_EUlS1K_E_NS1_11comp_targetILNS1_3genE3ELNS1_11target_archE908ELNS1_3gpuE7ELNS1_3repE0EEENS1_30default_config_static_selectorELNS0_4arch9wavefront6targetE1EEEvSY_
		.amdhsa_group_segment_fixed_size 0
		.amdhsa_private_segment_fixed_size 0
		.amdhsa_kernarg_size 144
		.amdhsa_user_sgpr_count 6
		.amdhsa_user_sgpr_private_segment_buffer 1
		.amdhsa_user_sgpr_dispatch_ptr 0
		.amdhsa_user_sgpr_queue_ptr 0
		.amdhsa_user_sgpr_kernarg_segment_ptr 1
		.amdhsa_user_sgpr_dispatch_id 0
		.amdhsa_user_sgpr_flat_scratch_init 0
		.amdhsa_user_sgpr_kernarg_preload_length 0
		.amdhsa_user_sgpr_kernarg_preload_offset 0
		.amdhsa_user_sgpr_private_segment_size 0
		.amdhsa_uses_dynamic_stack 0
		.amdhsa_system_sgpr_private_segment_wavefront_offset 0
		.amdhsa_system_sgpr_workgroup_id_x 1
		.amdhsa_system_sgpr_workgroup_id_y 0
		.amdhsa_system_sgpr_workgroup_id_z 0
		.amdhsa_system_sgpr_workgroup_info 0
		.amdhsa_system_vgpr_workitem_id 0
		.amdhsa_next_free_vgpr 1
		.amdhsa_next_free_sgpr 0
		.amdhsa_accum_offset 4
		.amdhsa_reserve_vcc 0
		.amdhsa_reserve_flat_scratch 0
		.amdhsa_float_round_mode_32 0
		.amdhsa_float_round_mode_16_64 0
		.amdhsa_float_denorm_mode_32 3
		.amdhsa_float_denorm_mode_16_64 3
		.amdhsa_dx10_clamp 1
		.amdhsa_ieee_mode 1
		.amdhsa_fp16_overflow 0
		.amdhsa_tg_split 0
		.amdhsa_exception_fp_ieee_invalid_op 0
		.amdhsa_exception_fp_denorm_src 0
		.amdhsa_exception_fp_ieee_div_zero 0
		.amdhsa_exception_fp_ieee_overflow 0
		.amdhsa_exception_fp_ieee_underflow 0
		.amdhsa_exception_fp_ieee_inexact 0
		.amdhsa_exception_int_div_zero 0
	.end_amdhsa_kernel
	.section	.text._ZN7rocprim17ROCPRIM_400000_NS6detail17trampoline_kernelINS0_13select_configILj256ELj13ELNS0_17block_load_methodE3ELS4_3ELS4_3ELNS0_20block_scan_algorithmE0ELj4294967295EEENS1_25partition_config_selectorILNS1_17partition_subalgoE3EjNS0_10empty_typeEbEEZZNS1_14partition_implILS8_3ELb0ES6_jNS0_17counting_iteratorIjlEEPS9_SE_NS0_5tupleIJPjSE_EEENSF_IJSE_SE_EEES9_SG_JZNS1_25segmented_radix_sort_implINS0_14default_configELb0EPKhPhPKlPlN2at6native12_GLOBAL__N_18offset_tEEE10hipError_tPvRmT1_PNSt15iterator_traitsISY_E10value_typeET2_T3_PNSZ_IS14_E10value_typeET4_jRbjT5_S1A_jjP12ihipStream_tbEUljE_EEESV_SW_SX_S14_S18_S1A_T6_T7_T9_mT8_S1C_bDpT10_ENKUlT_T0_E_clISt17integral_constantIbLb1EES1O_IbLb0EEEEDaS1K_S1L_EUlS1K_E_NS1_11comp_targetILNS1_3genE3ELNS1_11target_archE908ELNS1_3gpuE7ELNS1_3repE0EEENS1_30default_config_static_selectorELNS0_4arch9wavefront6targetE1EEEvSY_,"axG",@progbits,_ZN7rocprim17ROCPRIM_400000_NS6detail17trampoline_kernelINS0_13select_configILj256ELj13ELNS0_17block_load_methodE3ELS4_3ELS4_3ELNS0_20block_scan_algorithmE0ELj4294967295EEENS1_25partition_config_selectorILNS1_17partition_subalgoE3EjNS0_10empty_typeEbEEZZNS1_14partition_implILS8_3ELb0ES6_jNS0_17counting_iteratorIjlEEPS9_SE_NS0_5tupleIJPjSE_EEENSF_IJSE_SE_EEES9_SG_JZNS1_25segmented_radix_sort_implINS0_14default_configELb0EPKhPhPKlPlN2at6native12_GLOBAL__N_18offset_tEEE10hipError_tPvRmT1_PNSt15iterator_traitsISY_E10value_typeET2_T3_PNSZ_IS14_E10value_typeET4_jRbjT5_S1A_jjP12ihipStream_tbEUljE_EEESV_SW_SX_S14_S18_S1A_T6_T7_T9_mT8_S1C_bDpT10_ENKUlT_T0_E_clISt17integral_constantIbLb1EES1O_IbLb0EEEEDaS1K_S1L_EUlS1K_E_NS1_11comp_targetILNS1_3genE3ELNS1_11target_archE908ELNS1_3gpuE7ELNS1_3repE0EEENS1_30default_config_static_selectorELNS0_4arch9wavefront6targetE1EEEvSY_,comdat
.Lfunc_end173:
	.size	_ZN7rocprim17ROCPRIM_400000_NS6detail17trampoline_kernelINS0_13select_configILj256ELj13ELNS0_17block_load_methodE3ELS4_3ELS4_3ELNS0_20block_scan_algorithmE0ELj4294967295EEENS1_25partition_config_selectorILNS1_17partition_subalgoE3EjNS0_10empty_typeEbEEZZNS1_14partition_implILS8_3ELb0ES6_jNS0_17counting_iteratorIjlEEPS9_SE_NS0_5tupleIJPjSE_EEENSF_IJSE_SE_EEES9_SG_JZNS1_25segmented_radix_sort_implINS0_14default_configELb0EPKhPhPKlPlN2at6native12_GLOBAL__N_18offset_tEEE10hipError_tPvRmT1_PNSt15iterator_traitsISY_E10value_typeET2_T3_PNSZ_IS14_E10value_typeET4_jRbjT5_S1A_jjP12ihipStream_tbEUljE_EEESV_SW_SX_S14_S18_S1A_T6_T7_T9_mT8_S1C_bDpT10_ENKUlT_T0_E_clISt17integral_constantIbLb1EES1O_IbLb0EEEEDaS1K_S1L_EUlS1K_E_NS1_11comp_targetILNS1_3genE3ELNS1_11target_archE908ELNS1_3gpuE7ELNS1_3repE0EEENS1_30default_config_static_selectorELNS0_4arch9wavefront6targetE1EEEvSY_, .Lfunc_end173-_ZN7rocprim17ROCPRIM_400000_NS6detail17trampoline_kernelINS0_13select_configILj256ELj13ELNS0_17block_load_methodE3ELS4_3ELS4_3ELNS0_20block_scan_algorithmE0ELj4294967295EEENS1_25partition_config_selectorILNS1_17partition_subalgoE3EjNS0_10empty_typeEbEEZZNS1_14partition_implILS8_3ELb0ES6_jNS0_17counting_iteratorIjlEEPS9_SE_NS0_5tupleIJPjSE_EEENSF_IJSE_SE_EEES9_SG_JZNS1_25segmented_radix_sort_implINS0_14default_configELb0EPKhPhPKlPlN2at6native12_GLOBAL__N_18offset_tEEE10hipError_tPvRmT1_PNSt15iterator_traitsISY_E10value_typeET2_T3_PNSZ_IS14_E10value_typeET4_jRbjT5_S1A_jjP12ihipStream_tbEUljE_EEESV_SW_SX_S14_S18_S1A_T6_T7_T9_mT8_S1C_bDpT10_ENKUlT_T0_E_clISt17integral_constantIbLb1EES1O_IbLb0EEEEDaS1K_S1L_EUlS1K_E_NS1_11comp_targetILNS1_3genE3ELNS1_11target_archE908ELNS1_3gpuE7ELNS1_3repE0EEENS1_30default_config_static_selectorELNS0_4arch9wavefront6targetE1EEEvSY_
                                        ; -- End function
	.section	.AMDGPU.csdata,"",@progbits
; Kernel info:
; codeLenInByte = 0
; NumSgprs: 4
; NumVgprs: 0
; NumAgprs: 0
; TotalNumVgprs: 0
; ScratchSize: 0
; MemoryBound: 0
; FloatMode: 240
; IeeeMode: 1
; LDSByteSize: 0 bytes/workgroup (compile time only)
; SGPRBlocks: 0
; VGPRBlocks: 0
; NumSGPRsForWavesPerEU: 4
; NumVGPRsForWavesPerEU: 1
; AccumOffset: 4
; Occupancy: 8
; WaveLimiterHint : 0
; COMPUTE_PGM_RSRC2:SCRATCH_EN: 0
; COMPUTE_PGM_RSRC2:USER_SGPR: 6
; COMPUTE_PGM_RSRC2:TRAP_HANDLER: 0
; COMPUTE_PGM_RSRC2:TGID_X_EN: 1
; COMPUTE_PGM_RSRC2:TGID_Y_EN: 0
; COMPUTE_PGM_RSRC2:TGID_Z_EN: 0
; COMPUTE_PGM_RSRC2:TIDIG_COMP_CNT: 0
; COMPUTE_PGM_RSRC3_GFX90A:ACCUM_OFFSET: 0
; COMPUTE_PGM_RSRC3_GFX90A:TG_SPLIT: 0
	.section	.text._ZN7rocprim17ROCPRIM_400000_NS6detail17trampoline_kernelINS0_13select_configILj256ELj13ELNS0_17block_load_methodE3ELS4_3ELS4_3ELNS0_20block_scan_algorithmE0ELj4294967295EEENS1_25partition_config_selectorILNS1_17partition_subalgoE3EjNS0_10empty_typeEbEEZZNS1_14partition_implILS8_3ELb0ES6_jNS0_17counting_iteratorIjlEEPS9_SE_NS0_5tupleIJPjSE_EEENSF_IJSE_SE_EEES9_SG_JZNS1_25segmented_radix_sort_implINS0_14default_configELb0EPKhPhPKlPlN2at6native12_GLOBAL__N_18offset_tEEE10hipError_tPvRmT1_PNSt15iterator_traitsISY_E10value_typeET2_T3_PNSZ_IS14_E10value_typeET4_jRbjT5_S1A_jjP12ihipStream_tbEUljE_EEESV_SW_SX_S14_S18_S1A_T6_T7_T9_mT8_S1C_bDpT10_ENKUlT_T0_E_clISt17integral_constantIbLb1EES1O_IbLb0EEEEDaS1K_S1L_EUlS1K_E_NS1_11comp_targetILNS1_3genE2ELNS1_11target_archE906ELNS1_3gpuE6ELNS1_3repE0EEENS1_30default_config_static_selectorELNS0_4arch9wavefront6targetE1EEEvSY_,"axG",@progbits,_ZN7rocprim17ROCPRIM_400000_NS6detail17trampoline_kernelINS0_13select_configILj256ELj13ELNS0_17block_load_methodE3ELS4_3ELS4_3ELNS0_20block_scan_algorithmE0ELj4294967295EEENS1_25partition_config_selectorILNS1_17partition_subalgoE3EjNS0_10empty_typeEbEEZZNS1_14partition_implILS8_3ELb0ES6_jNS0_17counting_iteratorIjlEEPS9_SE_NS0_5tupleIJPjSE_EEENSF_IJSE_SE_EEES9_SG_JZNS1_25segmented_radix_sort_implINS0_14default_configELb0EPKhPhPKlPlN2at6native12_GLOBAL__N_18offset_tEEE10hipError_tPvRmT1_PNSt15iterator_traitsISY_E10value_typeET2_T3_PNSZ_IS14_E10value_typeET4_jRbjT5_S1A_jjP12ihipStream_tbEUljE_EEESV_SW_SX_S14_S18_S1A_T6_T7_T9_mT8_S1C_bDpT10_ENKUlT_T0_E_clISt17integral_constantIbLb1EES1O_IbLb0EEEEDaS1K_S1L_EUlS1K_E_NS1_11comp_targetILNS1_3genE2ELNS1_11target_archE906ELNS1_3gpuE6ELNS1_3repE0EEENS1_30default_config_static_selectorELNS0_4arch9wavefront6targetE1EEEvSY_,comdat
	.globl	_ZN7rocprim17ROCPRIM_400000_NS6detail17trampoline_kernelINS0_13select_configILj256ELj13ELNS0_17block_load_methodE3ELS4_3ELS4_3ELNS0_20block_scan_algorithmE0ELj4294967295EEENS1_25partition_config_selectorILNS1_17partition_subalgoE3EjNS0_10empty_typeEbEEZZNS1_14partition_implILS8_3ELb0ES6_jNS0_17counting_iteratorIjlEEPS9_SE_NS0_5tupleIJPjSE_EEENSF_IJSE_SE_EEES9_SG_JZNS1_25segmented_radix_sort_implINS0_14default_configELb0EPKhPhPKlPlN2at6native12_GLOBAL__N_18offset_tEEE10hipError_tPvRmT1_PNSt15iterator_traitsISY_E10value_typeET2_T3_PNSZ_IS14_E10value_typeET4_jRbjT5_S1A_jjP12ihipStream_tbEUljE_EEESV_SW_SX_S14_S18_S1A_T6_T7_T9_mT8_S1C_bDpT10_ENKUlT_T0_E_clISt17integral_constantIbLb1EES1O_IbLb0EEEEDaS1K_S1L_EUlS1K_E_NS1_11comp_targetILNS1_3genE2ELNS1_11target_archE906ELNS1_3gpuE6ELNS1_3repE0EEENS1_30default_config_static_selectorELNS0_4arch9wavefront6targetE1EEEvSY_ ; -- Begin function _ZN7rocprim17ROCPRIM_400000_NS6detail17trampoline_kernelINS0_13select_configILj256ELj13ELNS0_17block_load_methodE3ELS4_3ELS4_3ELNS0_20block_scan_algorithmE0ELj4294967295EEENS1_25partition_config_selectorILNS1_17partition_subalgoE3EjNS0_10empty_typeEbEEZZNS1_14partition_implILS8_3ELb0ES6_jNS0_17counting_iteratorIjlEEPS9_SE_NS0_5tupleIJPjSE_EEENSF_IJSE_SE_EEES9_SG_JZNS1_25segmented_radix_sort_implINS0_14default_configELb0EPKhPhPKlPlN2at6native12_GLOBAL__N_18offset_tEEE10hipError_tPvRmT1_PNSt15iterator_traitsISY_E10value_typeET2_T3_PNSZ_IS14_E10value_typeET4_jRbjT5_S1A_jjP12ihipStream_tbEUljE_EEESV_SW_SX_S14_S18_S1A_T6_T7_T9_mT8_S1C_bDpT10_ENKUlT_T0_E_clISt17integral_constantIbLb1EES1O_IbLb0EEEEDaS1K_S1L_EUlS1K_E_NS1_11comp_targetILNS1_3genE2ELNS1_11target_archE906ELNS1_3gpuE6ELNS1_3repE0EEENS1_30default_config_static_selectorELNS0_4arch9wavefront6targetE1EEEvSY_
	.p2align	8
	.type	_ZN7rocprim17ROCPRIM_400000_NS6detail17trampoline_kernelINS0_13select_configILj256ELj13ELNS0_17block_load_methodE3ELS4_3ELS4_3ELNS0_20block_scan_algorithmE0ELj4294967295EEENS1_25partition_config_selectorILNS1_17partition_subalgoE3EjNS0_10empty_typeEbEEZZNS1_14partition_implILS8_3ELb0ES6_jNS0_17counting_iteratorIjlEEPS9_SE_NS0_5tupleIJPjSE_EEENSF_IJSE_SE_EEES9_SG_JZNS1_25segmented_radix_sort_implINS0_14default_configELb0EPKhPhPKlPlN2at6native12_GLOBAL__N_18offset_tEEE10hipError_tPvRmT1_PNSt15iterator_traitsISY_E10value_typeET2_T3_PNSZ_IS14_E10value_typeET4_jRbjT5_S1A_jjP12ihipStream_tbEUljE_EEESV_SW_SX_S14_S18_S1A_T6_T7_T9_mT8_S1C_bDpT10_ENKUlT_T0_E_clISt17integral_constantIbLb1EES1O_IbLb0EEEEDaS1K_S1L_EUlS1K_E_NS1_11comp_targetILNS1_3genE2ELNS1_11target_archE906ELNS1_3gpuE6ELNS1_3repE0EEENS1_30default_config_static_selectorELNS0_4arch9wavefront6targetE1EEEvSY_,@function
_ZN7rocprim17ROCPRIM_400000_NS6detail17trampoline_kernelINS0_13select_configILj256ELj13ELNS0_17block_load_methodE3ELS4_3ELS4_3ELNS0_20block_scan_algorithmE0ELj4294967295EEENS1_25partition_config_selectorILNS1_17partition_subalgoE3EjNS0_10empty_typeEbEEZZNS1_14partition_implILS8_3ELb0ES6_jNS0_17counting_iteratorIjlEEPS9_SE_NS0_5tupleIJPjSE_EEENSF_IJSE_SE_EEES9_SG_JZNS1_25segmented_radix_sort_implINS0_14default_configELb0EPKhPhPKlPlN2at6native12_GLOBAL__N_18offset_tEEE10hipError_tPvRmT1_PNSt15iterator_traitsISY_E10value_typeET2_T3_PNSZ_IS14_E10value_typeET4_jRbjT5_S1A_jjP12ihipStream_tbEUljE_EEESV_SW_SX_S14_S18_S1A_T6_T7_T9_mT8_S1C_bDpT10_ENKUlT_T0_E_clISt17integral_constantIbLb1EES1O_IbLb0EEEEDaS1K_S1L_EUlS1K_E_NS1_11comp_targetILNS1_3genE2ELNS1_11target_archE906ELNS1_3gpuE6ELNS1_3repE0EEENS1_30default_config_static_selectorELNS0_4arch9wavefront6targetE1EEEvSY_: ; @_ZN7rocprim17ROCPRIM_400000_NS6detail17trampoline_kernelINS0_13select_configILj256ELj13ELNS0_17block_load_methodE3ELS4_3ELS4_3ELNS0_20block_scan_algorithmE0ELj4294967295EEENS1_25partition_config_selectorILNS1_17partition_subalgoE3EjNS0_10empty_typeEbEEZZNS1_14partition_implILS8_3ELb0ES6_jNS0_17counting_iteratorIjlEEPS9_SE_NS0_5tupleIJPjSE_EEENSF_IJSE_SE_EEES9_SG_JZNS1_25segmented_radix_sort_implINS0_14default_configELb0EPKhPhPKlPlN2at6native12_GLOBAL__N_18offset_tEEE10hipError_tPvRmT1_PNSt15iterator_traitsISY_E10value_typeET2_T3_PNSZ_IS14_E10value_typeET4_jRbjT5_S1A_jjP12ihipStream_tbEUljE_EEESV_SW_SX_S14_S18_S1A_T6_T7_T9_mT8_S1C_bDpT10_ENKUlT_T0_E_clISt17integral_constantIbLb1EES1O_IbLb0EEEEDaS1K_S1L_EUlS1K_E_NS1_11comp_targetILNS1_3genE2ELNS1_11target_archE906ELNS1_3gpuE6ELNS1_3repE0EEENS1_30default_config_static_selectorELNS0_4arch9wavefront6targetE1EEEvSY_
; %bb.0:
	.section	.rodata,"a",@progbits
	.p2align	6, 0x0
	.amdhsa_kernel _ZN7rocprim17ROCPRIM_400000_NS6detail17trampoline_kernelINS0_13select_configILj256ELj13ELNS0_17block_load_methodE3ELS4_3ELS4_3ELNS0_20block_scan_algorithmE0ELj4294967295EEENS1_25partition_config_selectorILNS1_17partition_subalgoE3EjNS0_10empty_typeEbEEZZNS1_14partition_implILS8_3ELb0ES6_jNS0_17counting_iteratorIjlEEPS9_SE_NS0_5tupleIJPjSE_EEENSF_IJSE_SE_EEES9_SG_JZNS1_25segmented_radix_sort_implINS0_14default_configELb0EPKhPhPKlPlN2at6native12_GLOBAL__N_18offset_tEEE10hipError_tPvRmT1_PNSt15iterator_traitsISY_E10value_typeET2_T3_PNSZ_IS14_E10value_typeET4_jRbjT5_S1A_jjP12ihipStream_tbEUljE_EEESV_SW_SX_S14_S18_S1A_T6_T7_T9_mT8_S1C_bDpT10_ENKUlT_T0_E_clISt17integral_constantIbLb1EES1O_IbLb0EEEEDaS1K_S1L_EUlS1K_E_NS1_11comp_targetILNS1_3genE2ELNS1_11target_archE906ELNS1_3gpuE6ELNS1_3repE0EEENS1_30default_config_static_selectorELNS0_4arch9wavefront6targetE1EEEvSY_
		.amdhsa_group_segment_fixed_size 0
		.amdhsa_private_segment_fixed_size 0
		.amdhsa_kernarg_size 144
		.amdhsa_user_sgpr_count 6
		.amdhsa_user_sgpr_private_segment_buffer 1
		.amdhsa_user_sgpr_dispatch_ptr 0
		.amdhsa_user_sgpr_queue_ptr 0
		.amdhsa_user_sgpr_kernarg_segment_ptr 1
		.amdhsa_user_sgpr_dispatch_id 0
		.amdhsa_user_sgpr_flat_scratch_init 0
		.amdhsa_user_sgpr_kernarg_preload_length 0
		.amdhsa_user_sgpr_kernarg_preload_offset 0
		.amdhsa_user_sgpr_private_segment_size 0
		.amdhsa_uses_dynamic_stack 0
		.amdhsa_system_sgpr_private_segment_wavefront_offset 0
		.amdhsa_system_sgpr_workgroup_id_x 1
		.amdhsa_system_sgpr_workgroup_id_y 0
		.amdhsa_system_sgpr_workgroup_id_z 0
		.amdhsa_system_sgpr_workgroup_info 0
		.amdhsa_system_vgpr_workitem_id 0
		.amdhsa_next_free_vgpr 1
		.amdhsa_next_free_sgpr 0
		.amdhsa_accum_offset 4
		.amdhsa_reserve_vcc 0
		.amdhsa_reserve_flat_scratch 0
		.amdhsa_float_round_mode_32 0
		.amdhsa_float_round_mode_16_64 0
		.amdhsa_float_denorm_mode_32 3
		.amdhsa_float_denorm_mode_16_64 3
		.amdhsa_dx10_clamp 1
		.amdhsa_ieee_mode 1
		.amdhsa_fp16_overflow 0
		.amdhsa_tg_split 0
		.amdhsa_exception_fp_ieee_invalid_op 0
		.amdhsa_exception_fp_denorm_src 0
		.amdhsa_exception_fp_ieee_div_zero 0
		.amdhsa_exception_fp_ieee_overflow 0
		.amdhsa_exception_fp_ieee_underflow 0
		.amdhsa_exception_fp_ieee_inexact 0
		.amdhsa_exception_int_div_zero 0
	.end_amdhsa_kernel
	.section	.text._ZN7rocprim17ROCPRIM_400000_NS6detail17trampoline_kernelINS0_13select_configILj256ELj13ELNS0_17block_load_methodE3ELS4_3ELS4_3ELNS0_20block_scan_algorithmE0ELj4294967295EEENS1_25partition_config_selectorILNS1_17partition_subalgoE3EjNS0_10empty_typeEbEEZZNS1_14partition_implILS8_3ELb0ES6_jNS0_17counting_iteratorIjlEEPS9_SE_NS0_5tupleIJPjSE_EEENSF_IJSE_SE_EEES9_SG_JZNS1_25segmented_radix_sort_implINS0_14default_configELb0EPKhPhPKlPlN2at6native12_GLOBAL__N_18offset_tEEE10hipError_tPvRmT1_PNSt15iterator_traitsISY_E10value_typeET2_T3_PNSZ_IS14_E10value_typeET4_jRbjT5_S1A_jjP12ihipStream_tbEUljE_EEESV_SW_SX_S14_S18_S1A_T6_T7_T9_mT8_S1C_bDpT10_ENKUlT_T0_E_clISt17integral_constantIbLb1EES1O_IbLb0EEEEDaS1K_S1L_EUlS1K_E_NS1_11comp_targetILNS1_3genE2ELNS1_11target_archE906ELNS1_3gpuE6ELNS1_3repE0EEENS1_30default_config_static_selectorELNS0_4arch9wavefront6targetE1EEEvSY_,"axG",@progbits,_ZN7rocprim17ROCPRIM_400000_NS6detail17trampoline_kernelINS0_13select_configILj256ELj13ELNS0_17block_load_methodE3ELS4_3ELS4_3ELNS0_20block_scan_algorithmE0ELj4294967295EEENS1_25partition_config_selectorILNS1_17partition_subalgoE3EjNS0_10empty_typeEbEEZZNS1_14partition_implILS8_3ELb0ES6_jNS0_17counting_iteratorIjlEEPS9_SE_NS0_5tupleIJPjSE_EEENSF_IJSE_SE_EEES9_SG_JZNS1_25segmented_radix_sort_implINS0_14default_configELb0EPKhPhPKlPlN2at6native12_GLOBAL__N_18offset_tEEE10hipError_tPvRmT1_PNSt15iterator_traitsISY_E10value_typeET2_T3_PNSZ_IS14_E10value_typeET4_jRbjT5_S1A_jjP12ihipStream_tbEUljE_EEESV_SW_SX_S14_S18_S1A_T6_T7_T9_mT8_S1C_bDpT10_ENKUlT_T0_E_clISt17integral_constantIbLb1EES1O_IbLb0EEEEDaS1K_S1L_EUlS1K_E_NS1_11comp_targetILNS1_3genE2ELNS1_11target_archE906ELNS1_3gpuE6ELNS1_3repE0EEENS1_30default_config_static_selectorELNS0_4arch9wavefront6targetE1EEEvSY_,comdat
.Lfunc_end174:
	.size	_ZN7rocprim17ROCPRIM_400000_NS6detail17trampoline_kernelINS0_13select_configILj256ELj13ELNS0_17block_load_methodE3ELS4_3ELS4_3ELNS0_20block_scan_algorithmE0ELj4294967295EEENS1_25partition_config_selectorILNS1_17partition_subalgoE3EjNS0_10empty_typeEbEEZZNS1_14partition_implILS8_3ELb0ES6_jNS0_17counting_iteratorIjlEEPS9_SE_NS0_5tupleIJPjSE_EEENSF_IJSE_SE_EEES9_SG_JZNS1_25segmented_radix_sort_implINS0_14default_configELb0EPKhPhPKlPlN2at6native12_GLOBAL__N_18offset_tEEE10hipError_tPvRmT1_PNSt15iterator_traitsISY_E10value_typeET2_T3_PNSZ_IS14_E10value_typeET4_jRbjT5_S1A_jjP12ihipStream_tbEUljE_EEESV_SW_SX_S14_S18_S1A_T6_T7_T9_mT8_S1C_bDpT10_ENKUlT_T0_E_clISt17integral_constantIbLb1EES1O_IbLb0EEEEDaS1K_S1L_EUlS1K_E_NS1_11comp_targetILNS1_3genE2ELNS1_11target_archE906ELNS1_3gpuE6ELNS1_3repE0EEENS1_30default_config_static_selectorELNS0_4arch9wavefront6targetE1EEEvSY_, .Lfunc_end174-_ZN7rocprim17ROCPRIM_400000_NS6detail17trampoline_kernelINS0_13select_configILj256ELj13ELNS0_17block_load_methodE3ELS4_3ELS4_3ELNS0_20block_scan_algorithmE0ELj4294967295EEENS1_25partition_config_selectorILNS1_17partition_subalgoE3EjNS0_10empty_typeEbEEZZNS1_14partition_implILS8_3ELb0ES6_jNS0_17counting_iteratorIjlEEPS9_SE_NS0_5tupleIJPjSE_EEENSF_IJSE_SE_EEES9_SG_JZNS1_25segmented_radix_sort_implINS0_14default_configELb0EPKhPhPKlPlN2at6native12_GLOBAL__N_18offset_tEEE10hipError_tPvRmT1_PNSt15iterator_traitsISY_E10value_typeET2_T3_PNSZ_IS14_E10value_typeET4_jRbjT5_S1A_jjP12ihipStream_tbEUljE_EEESV_SW_SX_S14_S18_S1A_T6_T7_T9_mT8_S1C_bDpT10_ENKUlT_T0_E_clISt17integral_constantIbLb1EES1O_IbLb0EEEEDaS1K_S1L_EUlS1K_E_NS1_11comp_targetILNS1_3genE2ELNS1_11target_archE906ELNS1_3gpuE6ELNS1_3repE0EEENS1_30default_config_static_selectorELNS0_4arch9wavefront6targetE1EEEvSY_
                                        ; -- End function
	.section	.AMDGPU.csdata,"",@progbits
; Kernel info:
; codeLenInByte = 0
; NumSgprs: 4
; NumVgprs: 0
; NumAgprs: 0
; TotalNumVgprs: 0
; ScratchSize: 0
; MemoryBound: 0
; FloatMode: 240
; IeeeMode: 1
; LDSByteSize: 0 bytes/workgroup (compile time only)
; SGPRBlocks: 0
; VGPRBlocks: 0
; NumSGPRsForWavesPerEU: 4
; NumVGPRsForWavesPerEU: 1
; AccumOffset: 4
; Occupancy: 8
; WaveLimiterHint : 0
; COMPUTE_PGM_RSRC2:SCRATCH_EN: 0
; COMPUTE_PGM_RSRC2:USER_SGPR: 6
; COMPUTE_PGM_RSRC2:TRAP_HANDLER: 0
; COMPUTE_PGM_RSRC2:TGID_X_EN: 1
; COMPUTE_PGM_RSRC2:TGID_Y_EN: 0
; COMPUTE_PGM_RSRC2:TGID_Z_EN: 0
; COMPUTE_PGM_RSRC2:TIDIG_COMP_CNT: 0
; COMPUTE_PGM_RSRC3_GFX90A:ACCUM_OFFSET: 0
; COMPUTE_PGM_RSRC3_GFX90A:TG_SPLIT: 0
	.section	.text._ZN7rocprim17ROCPRIM_400000_NS6detail17trampoline_kernelINS0_13select_configILj256ELj13ELNS0_17block_load_methodE3ELS4_3ELS4_3ELNS0_20block_scan_algorithmE0ELj4294967295EEENS1_25partition_config_selectorILNS1_17partition_subalgoE3EjNS0_10empty_typeEbEEZZNS1_14partition_implILS8_3ELb0ES6_jNS0_17counting_iteratorIjlEEPS9_SE_NS0_5tupleIJPjSE_EEENSF_IJSE_SE_EEES9_SG_JZNS1_25segmented_radix_sort_implINS0_14default_configELb0EPKhPhPKlPlN2at6native12_GLOBAL__N_18offset_tEEE10hipError_tPvRmT1_PNSt15iterator_traitsISY_E10value_typeET2_T3_PNSZ_IS14_E10value_typeET4_jRbjT5_S1A_jjP12ihipStream_tbEUljE_EEESV_SW_SX_S14_S18_S1A_T6_T7_T9_mT8_S1C_bDpT10_ENKUlT_T0_E_clISt17integral_constantIbLb1EES1O_IbLb0EEEEDaS1K_S1L_EUlS1K_E_NS1_11comp_targetILNS1_3genE10ELNS1_11target_archE1200ELNS1_3gpuE4ELNS1_3repE0EEENS1_30default_config_static_selectorELNS0_4arch9wavefront6targetE1EEEvSY_,"axG",@progbits,_ZN7rocprim17ROCPRIM_400000_NS6detail17trampoline_kernelINS0_13select_configILj256ELj13ELNS0_17block_load_methodE3ELS4_3ELS4_3ELNS0_20block_scan_algorithmE0ELj4294967295EEENS1_25partition_config_selectorILNS1_17partition_subalgoE3EjNS0_10empty_typeEbEEZZNS1_14partition_implILS8_3ELb0ES6_jNS0_17counting_iteratorIjlEEPS9_SE_NS0_5tupleIJPjSE_EEENSF_IJSE_SE_EEES9_SG_JZNS1_25segmented_radix_sort_implINS0_14default_configELb0EPKhPhPKlPlN2at6native12_GLOBAL__N_18offset_tEEE10hipError_tPvRmT1_PNSt15iterator_traitsISY_E10value_typeET2_T3_PNSZ_IS14_E10value_typeET4_jRbjT5_S1A_jjP12ihipStream_tbEUljE_EEESV_SW_SX_S14_S18_S1A_T6_T7_T9_mT8_S1C_bDpT10_ENKUlT_T0_E_clISt17integral_constantIbLb1EES1O_IbLb0EEEEDaS1K_S1L_EUlS1K_E_NS1_11comp_targetILNS1_3genE10ELNS1_11target_archE1200ELNS1_3gpuE4ELNS1_3repE0EEENS1_30default_config_static_selectorELNS0_4arch9wavefront6targetE1EEEvSY_,comdat
	.globl	_ZN7rocprim17ROCPRIM_400000_NS6detail17trampoline_kernelINS0_13select_configILj256ELj13ELNS0_17block_load_methodE3ELS4_3ELS4_3ELNS0_20block_scan_algorithmE0ELj4294967295EEENS1_25partition_config_selectorILNS1_17partition_subalgoE3EjNS0_10empty_typeEbEEZZNS1_14partition_implILS8_3ELb0ES6_jNS0_17counting_iteratorIjlEEPS9_SE_NS0_5tupleIJPjSE_EEENSF_IJSE_SE_EEES9_SG_JZNS1_25segmented_radix_sort_implINS0_14default_configELb0EPKhPhPKlPlN2at6native12_GLOBAL__N_18offset_tEEE10hipError_tPvRmT1_PNSt15iterator_traitsISY_E10value_typeET2_T3_PNSZ_IS14_E10value_typeET4_jRbjT5_S1A_jjP12ihipStream_tbEUljE_EEESV_SW_SX_S14_S18_S1A_T6_T7_T9_mT8_S1C_bDpT10_ENKUlT_T0_E_clISt17integral_constantIbLb1EES1O_IbLb0EEEEDaS1K_S1L_EUlS1K_E_NS1_11comp_targetILNS1_3genE10ELNS1_11target_archE1200ELNS1_3gpuE4ELNS1_3repE0EEENS1_30default_config_static_selectorELNS0_4arch9wavefront6targetE1EEEvSY_ ; -- Begin function _ZN7rocprim17ROCPRIM_400000_NS6detail17trampoline_kernelINS0_13select_configILj256ELj13ELNS0_17block_load_methodE3ELS4_3ELS4_3ELNS0_20block_scan_algorithmE0ELj4294967295EEENS1_25partition_config_selectorILNS1_17partition_subalgoE3EjNS0_10empty_typeEbEEZZNS1_14partition_implILS8_3ELb0ES6_jNS0_17counting_iteratorIjlEEPS9_SE_NS0_5tupleIJPjSE_EEENSF_IJSE_SE_EEES9_SG_JZNS1_25segmented_radix_sort_implINS0_14default_configELb0EPKhPhPKlPlN2at6native12_GLOBAL__N_18offset_tEEE10hipError_tPvRmT1_PNSt15iterator_traitsISY_E10value_typeET2_T3_PNSZ_IS14_E10value_typeET4_jRbjT5_S1A_jjP12ihipStream_tbEUljE_EEESV_SW_SX_S14_S18_S1A_T6_T7_T9_mT8_S1C_bDpT10_ENKUlT_T0_E_clISt17integral_constantIbLb1EES1O_IbLb0EEEEDaS1K_S1L_EUlS1K_E_NS1_11comp_targetILNS1_3genE10ELNS1_11target_archE1200ELNS1_3gpuE4ELNS1_3repE0EEENS1_30default_config_static_selectorELNS0_4arch9wavefront6targetE1EEEvSY_
	.p2align	8
	.type	_ZN7rocprim17ROCPRIM_400000_NS6detail17trampoline_kernelINS0_13select_configILj256ELj13ELNS0_17block_load_methodE3ELS4_3ELS4_3ELNS0_20block_scan_algorithmE0ELj4294967295EEENS1_25partition_config_selectorILNS1_17partition_subalgoE3EjNS0_10empty_typeEbEEZZNS1_14partition_implILS8_3ELb0ES6_jNS0_17counting_iteratorIjlEEPS9_SE_NS0_5tupleIJPjSE_EEENSF_IJSE_SE_EEES9_SG_JZNS1_25segmented_radix_sort_implINS0_14default_configELb0EPKhPhPKlPlN2at6native12_GLOBAL__N_18offset_tEEE10hipError_tPvRmT1_PNSt15iterator_traitsISY_E10value_typeET2_T3_PNSZ_IS14_E10value_typeET4_jRbjT5_S1A_jjP12ihipStream_tbEUljE_EEESV_SW_SX_S14_S18_S1A_T6_T7_T9_mT8_S1C_bDpT10_ENKUlT_T0_E_clISt17integral_constantIbLb1EES1O_IbLb0EEEEDaS1K_S1L_EUlS1K_E_NS1_11comp_targetILNS1_3genE10ELNS1_11target_archE1200ELNS1_3gpuE4ELNS1_3repE0EEENS1_30default_config_static_selectorELNS0_4arch9wavefront6targetE1EEEvSY_,@function
_ZN7rocprim17ROCPRIM_400000_NS6detail17trampoline_kernelINS0_13select_configILj256ELj13ELNS0_17block_load_methodE3ELS4_3ELS4_3ELNS0_20block_scan_algorithmE0ELj4294967295EEENS1_25partition_config_selectorILNS1_17partition_subalgoE3EjNS0_10empty_typeEbEEZZNS1_14partition_implILS8_3ELb0ES6_jNS0_17counting_iteratorIjlEEPS9_SE_NS0_5tupleIJPjSE_EEENSF_IJSE_SE_EEES9_SG_JZNS1_25segmented_radix_sort_implINS0_14default_configELb0EPKhPhPKlPlN2at6native12_GLOBAL__N_18offset_tEEE10hipError_tPvRmT1_PNSt15iterator_traitsISY_E10value_typeET2_T3_PNSZ_IS14_E10value_typeET4_jRbjT5_S1A_jjP12ihipStream_tbEUljE_EEESV_SW_SX_S14_S18_S1A_T6_T7_T9_mT8_S1C_bDpT10_ENKUlT_T0_E_clISt17integral_constantIbLb1EES1O_IbLb0EEEEDaS1K_S1L_EUlS1K_E_NS1_11comp_targetILNS1_3genE10ELNS1_11target_archE1200ELNS1_3gpuE4ELNS1_3repE0EEENS1_30default_config_static_selectorELNS0_4arch9wavefront6targetE1EEEvSY_: ; @_ZN7rocprim17ROCPRIM_400000_NS6detail17trampoline_kernelINS0_13select_configILj256ELj13ELNS0_17block_load_methodE3ELS4_3ELS4_3ELNS0_20block_scan_algorithmE0ELj4294967295EEENS1_25partition_config_selectorILNS1_17partition_subalgoE3EjNS0_10empty_typeEbEEZZNS1_14partition_implILS8_3ELb0ES6_jNS0_17counting_iteratorIjlEEPS9_SE_NS0_5tupleIJPjSE_EEENSF_IJSE_SE_EEES9_SG_JZNS1_25segmented_radix_sort_implINS0_14default_configELb0EPKhPhPKlPlN2at6native12_GLOBAL__N_18offset_tEEE10hipError_tPvRmT1_PNSt15iterator_traitsISY_E10value_typeET2_T3_PNSZ_IS14_E10value_typeET4_jRbjT5_S1A_jjP12ihipStream_tbEUljE_EEESV_SW_SX_S14_S18_S1A_T6_T7_T9_mT8_S1C_bDpT10_ENKUlT_T0_E_clISt17integral_constantIbLb1EES1O_IbLb0EEEEDaS1K_S1L_EUlS1K_E_NS1_11comp_targetILNS1_3genE10ELNS1_11target_archE1200ELNS1_3gpuE4ELNS1_3repE0EEENS1_30default_config_static_selectorELNS0_4arch9wavefront6targetE1EEEvSY_
; %bb.0:
	.section	.rodata,"a",@progbits
	.p2align	6, 0x0
	.amdhsa_kernel _ZN7rocprim17ROCPRIM_400000_NS6detail17trampoline_kernelINS0_13select_configILj256ELj13ELNS0_17block_load_methodE3ELS4_3ELS4_3ELNS0_20block_scan_algorithmE0ELj4294967295EEENS1_25partition_config_selectorILNS1_17partition_subalgoE3EjNS0_10empty_typeEbEEZZNS1_14partition_implILS8_3ELb0ES6_jNS0_17counting_iteratorIjlEEPS9_SE_NS0_5tupleIJPjSE_EEENSF_IJSE_SE_EEES9_SG_JZNS1_25segmented_radix_sort_implINS0_14default_configELb0EPKhPhPKlPlN2at6native12_GLOBAL__N_18offset_tEEE10hipError_tPvRmT1_PNSt15iterator_traitsISY_E10value_typeET2_T3_PNSZ_IS14_E10value_typeET4_jRbjT5_S1A_jjP12ihipStream_tbEUljE_EEESV_SW_SX_S14_S18_S1A_T6_T7_T9_mT8_S1C_bDpT10_ENKUlT_T0_E_clISt17integral_constantIbLb1EES1O_IbLb0EEEEDaS1K_S1L_EUlS1K_E_NS1_11comp_targetILNS1_3genE10ELNS1_11target_archE1200ELNS1_3gpuE4ELNS1_3repE0EEENS1_30default_config_static_selectorELNS0_4arch9wavefront6targetE1EEEvSY_
		.amdhsa_group_segment_fixed_size 0
		.amdhsa_private_segment_fixed_size 0
		.amdhsa_kernarg_size 144
		.amdhsa_user_sgpr_count 6
		.amdhsa_user_sgpr_private_segment_buffer 1
		.amdhsa_user_sgpr_dispatch_ptr 0
		.amdhsa_user_sgpr_queue_ptr 0
		.amdhsa_user_sgpr_kernarg_segment_ptr 1
		.amdhsa_user_sgpr_dispatch_id 0
		.amdhsa_user_sgpr_flat_scratch_init 0
		.amdhsa_user_sgpr_kernarg_preload_length 0
		.amdhsa_user_sgpr_kernarg_preload_offset 0
		.amdhsa_user_sgpr_private_segment_size 0
		.amdhsa_uses_dynamic_stack 0
		.amdhsa_system_sgpr_private_segment_wavefront_offset 0
		.amdhsa_system_sgpr_workgroup_id_x 1
		.amdhsa_system_sgpr_workgroup_id_y 0
		.amdhsa_system_sgpr_workgroup_id_z 0
		.amdhsa_system_sgpr_workgroup_info 0
		.amdhsa_system_vgpr_workitem_id 0
		.amdhsa_next_free_vgpr 1
		.amdhsa_next_free_sgpr 0
		.amdhsa_accum_offset 4
		.amdhsa_reserve_vcc 0
		.amdhsa_reserve_flat_scratch 0
		.amdhsa_float_round_mode_32 0
		.amdhsa_float_round_mode_16_64 0
		.amdhsa_float_denorm_mode_32 3
		.amdhsa_float_denorm_mode_16_64 3
		.amdhsa_dx10_clamp 1
		.amdhsa_ieee_mode 1
		.amdhsa_fp16_overflow 0
		.amdhsa_tg_split 0
		.amdhsa_exception_fp_ieee_invalid_op 0
		.amdhsa_exception_fp_denorm_src 0
		.amdhsa_exception_fp_ieee_div_zero 0
		.amdhsa_exception_fp_ieee_overflow 0
		.amdhsa_exception_fp_ieee_underflow 0
		.amdhsa_exception_fp_ieee_inexact 0
		.amdhsa_exception_int_div_zero 0
	.end_amdhsa_kernel
	.section	.text._ZN7rocprim17ROCPRIM_400000_NS6detail17trampoline_kernelINS0_13select_configILj256ELj13ELNS0_17block_load_methodE3ELS4_3ELS4_3ELNS0_20block_scan_algorithmE0ELj4294967295EEENS1_25partition_config_selectorILNS1_17partition_subalgoE3EjNS0_10empty_typeEbEEZZNS1_14partition_implILS8_3ELb0ES6_jNS0_17counting_iteratorIjlEEPS9_SE_NS0_5tupleIJPjSE_EEENSF_IJSE_SE_EEES9_SG_JZNS1_25segmented_radix_sort_implINS0_14default_configELb0EPKhPhPKlPlN2at6native12_GLOBAL__N_18offset_tEEE10hipError_tPvRmT1_PNSt15iterator_traitsISY_E10value_typeET2_T3_PNSZ_IS14_E10value_typeET4_jRbjT5_S1A_jjP12ihipStream_tbEUljE_EEESV_SW_SX_S14_S18_S1A_T6_T7_T9_mT8_S1C_bDpT10_ENKUlT_T0_E_clISt17integral_constantIbLb1EES1O_IbLb0EEEEDaS1K_S1L_EUlS1K_E_NS1_11comp_targetILNS1_3genE10ELNS1_11target_archE1200ELNS1_3gpuE4ELNS1_3repE0EEENS1_30default_config_static_selectorELNS0_4arch9wavefront6targetE1EEEvSY_,"axG",@progbits,_ZN7rocprim17ROCPRIM_400000_NS6detail17trampoline_kernelINS0_13select_configILj256ELj13ELNS0_17block_load_methodE3ELS4_3ELS4_3ELNS0_20block_scan_algorithmE0ELj4294967295EEENS1_25partition_config_selectorILNS1_17partition_subalgoE3EjNS0_10empty_typeEbEEZZNS1_14partition_implILS8_3ELb0ES6_jNS0_17counting_iteratorIjlEEPS9_SE_NS0_5tupleIJPjSE_EEENSF_IJSE_SE_EEES9_SG_JZNS1_25segmented_radix_sort_implINS0_14default_configELb0EPKhPhPKlPlN2at6native12_GLOBAL__N_18offset_tEEE10hipError_tPvRmT1_PNSt15iterator_traitsISY_E10value_typeET2_T3_PNSZ_IS14_E10value_typeET4_jRbjT5_S1A_jjP12ihipStream_tbEUljE_EEESV_SW_SX_S14_S18_S1A_T6_T7_T9_mT8_S1C_bDpT10_ENKUlT_T0_E_clISt17integral_constantIbLb1EES1O_IbLb0EEEEDaS1K_S1L_EUlS1K_E_NS1_11comp_targetILNS1_3genE10ELNS1_11target_archE1200ELNS1_3gpuE4ELNS1_3repE0EEENS1_30default_config_static_selectorELNS0_4arch9wavefront6targetE1EEEvSY_,comdat
.Lfunc_end175:
	.size	_ZN7rocprim17ROCPRIM_400000_NS6detail17trampoline_kernelINS0_13select_configILj256ELj13ELNS0_17block_load_methodE3ELS4_3ELS4_3ELNS0_20block_scan_algorithmE0ELj4294967295EEENS1_25partition_config_selectorILNS1_17partition_subalgoE3EjNS0_10empty_typeEbEEZZNS1_14partition_implILS8_3ELb0ES6_jNS0_17counting_iteratorIjlEEPS9_SE_NS0_5tupleIJPjSE_EEENSF_IJSE_SE_EEES9_SG_JZNS1_25segmented_radix_sort_implINS0_14default_configELb0EPKhPhPKlPlN2at6native12_GLOBAL__N_18offset_tEEE10hipError_tPvRmT1_PNSt15iterator_traitsISY_E10value_typeET2_T3_PNSZ_IS14_E10value_typeET4_jRbjT5_S1A_jjP12ihipStream_tbEUljE_EEESV_SW_SX_S14_S18_S1A_T6_T7_T9_mT8_S1C_bDpT10_ENKUlT_T0_E_clISt17integral_constantIbLb1EES1O_IbLb0EEEEDaS1K_S1L_EUlS1K_E_NS1_11comp_targetILNS1_3genE10ELNS1_11target_archE1200ELNS1_3gpuE4ELNS1_3repE0EEENS1_30default_config_static_selectorELNS0_4arch9wavefront6targetE1EEEvSY_, .Lfunc_end175-_ZN7rocprim17ROCPRIM_400000_NS6detail17trampoline_kernelINS0_13select_configILj256ELj13ELNS0_17block_load_methodE3ELS4_3ELS4_3ELNS0_20block_scan_algorithmE0ELj4294967295EEENS1_25partition_config_selectorILNS1_17partition_subalgoE3EjNS0_10empty_typeEbEEZZNS1_14partition_implILS8_3ELb0ES6_jNS0_17counting_iteratorIjlEEPS9_SE_NS0_5tupleIJPjSE_EEENSF_IJSE_SE_EEES9_SG_JZNS1_25segmented_radix_sort_implINS0_14default_configELb0EPKhPhPKlPlN2at6native12_GLOBAL__N_18offset_tEEE10hipError_tPvRmT1_PNSt15iterator_traitsISY_E10value_typeET2_T3_PNSZ_IS14_E10value_typeET4_jRbjT5_S1A_jjP12ihipStream_tbEUljE_EEESV_SW_SX_S14_S18_S1A_T6_T7_T9_mT8_S1C_bDpT10_ENKUlT_T0_E_clISt17integral_constantIbLb1EES1O_IbLb0EEEEDaS1K_S1L_EUlS1K_E_NS1_11comp_targetILNS1_3genE10ELNS1_11target_archE1200ELNS1_3gpuE4ELNS1_3repE0EEENS1_30default_config_static_selectorELNS0_4arch9wavefront6targetE1EEEvSY_
                                        ; -- End function
	.section	.AMDGPU.csdata,"",@progbits
; Kernel info:
; codeLenInByte = 0
; NumSgprs: 4
; NumVgprs: 0
; NumAgprs: 0
; TotalNumVgprs: 0
; ScratchSize: 0
; MemoryBound: 0
; FloatMode: 240
; IeeeMode: 1
; LDSByteSize: 0 bytes/workgroup (compile time only)
; SGPRBlocks: 0
; VGPRBlocks: 0
; NumSGPRsForWavesPerEU: 4
; NumVGPRsForWavesPerEU: 1
; AccumOffset: 4
; Occupancy: 8
; WaveLimiterHint : 0
; COMPUTE_PGM_RSRC2:SCRATCH_EN: 0
; COMPUTE_PGM_RSRC2:USER_SGPR: 6
; COMPUTE_PGM_RSRC2:TRAP_HANDLER: 0
; COMPUTE_PGM_RSRC2:TGID_X_EN: 1
; COMPUTE_PGM_RSRC2:TGID_Y_EN: 0
; COMPUTE_PGM_RSRC2:TGID_Z_EN: 0
; COMPUTE_PGM_RSRC2:TIDIG_COMP_CNT: 0
; COMPUTE_PGM_RSRC3_GFX90A:ACCUM_OFFSET: 0
; COMPUTE_PGM_RSRC3_GFX90A:TG_SPLIT: 0
	.section	.text._ZN7rocprim17ROCPRIM_400000_NS6detail17trampoline_kernelINS0_13select_configILj256ELj13ELNS0_17block_load_methodE3ELS4_3ELS4_3ELNS0_20block_scan_algorithmE0ELj4294967295EEENS1_25partition_config_selectorILNS1_17partition_subalgoE3EjNS0_10empty_typeEbEEZZNS1_14partition_implILS8_3ELb0ES6_jNS0_17counting_iteratorIjlEEPS9_SE_NS0_5tupleIJPjSE_EEENSF_IJSE_SE_EEES9_SG_JZNS1_25segmented_radix_sort_implINS0_14default_configELb0EPKhPhPKlPlN2at6native12_GLOBAL__N_18offset_tEEE10hipError_tPvRmT1_PNSt15iterator_traitsISY_E10value_typeET2_T3_PNSZ_IS14_E10value_typeET4_jRbjT5_S1A_jjP12ihipStream_tbEUljE_EEESV_SW_SX_S14_S18_S1A_T6_T7_T9_mT8_S1C_bDpT10_ENKUlT_T0_E_clISt17integral_constantIbLb1EES1O_IbLb0EEEEDaS1K_S1L_EUlS1K_E_NS1_11comp_targetILNS1_3genE9ELNS1_11target_archE1100ELNS1_3gpuE3ELNS1_3repE0EEENS1_30default_config_static_selectorELNS0_4arch9wavefront6targetE1EEEvSY_,"axG",@progbits,_ZN7rocprim17ROCPRIM_400000_NS6detail17trampoline_kernelINS0_13select_configILj256ELj13ELNS0_17block_load_methodE3ELS4_3ELS4_3ELNS0_20block_scan_algorithmE0ELj4294967295EEENS1_25partition_config_selectorILNS1_17partition_subalgoE3EjNS0_10empty_typeEbEEZZNS1_14partition_implILS8_3ELb0ES6_jNS0_17counting_iteratorIjlEEPS9_SE_NS0_5tupleIJPjSE_EEENSF_IJSE_SE_EEES9_SG_JZNS1_25segmented_radix_sort_implINS0_14default_configELb0EPKhPhPKlPlN2at6native12_GLOBAL__N_18offset_tEEE10hipError_tPvRmT1_PNSt15iterator_traitsISY_E10value_typeET2_T3_PNSZ_IS14_E10value_typeET4_jRbjT5_S1A_jjP12ihipStream_tbEUljE_EEESV_SW_SX_S14_S18_S1A_T6_T7_T9_mT8_S1C_bDpT10_ENKUlT_T0_E_clISt17integral_constantIbLb1EES1O_IbLb0EEEEDaS1K_S1L_EUlS1K_E_NS1_11comp_targetILNS1_3genE9ELNS1_11target_archE1100ELNS1_3gpuE3ELNS1_3repE0EEENS1_30default_config_static_selectorELNS0_4arch9wavefront6targetE1EEEvSY_,comdat
	.globl	_ZN7rocprim17ROCPRIM_400000_NS6detail17trampoline_kernelINS0_13select_configILj256ELj13ELNS0_17block_load_methodE3ELS4_3ELS4_3ELNS0_20block_scan_algorithmE0ELj4294967295EEENS1_25partition_config_selectorILNS1_17partition_subalgoE3EjNS0_10empty_typeEbEEZZNS1_14partition_implILS8_3ELb0ES6_jNS0_17counting_iteratorIjlEEPS9_SE_NS0_5tupleIJPjSE_EEENSF_IJSE_SE_EEES9_SG_JZNS1_25segmented_radix_sort_implINS0_14default_configELb0EPKhPhPKlPlN2at6native12_GLOBAL__N_18offset_tEEE10hipError_tPvRmT1_PNSt15iterator_traitsISY_E10value_typeET2_T3_PNSZ_IS14_E10value_typeET4_jRbjT5_S1A_jjP12ihipStream_tbEUljE_EEESV_SW_SX_S14_S18_S1A_T6_T7_T9_mT8_S1C_bDpT10_ENKUlT_T0_E_clISt17integral_constantIbLb1EES1O_IbLb0EEEEDaS1K_S1L_EUlS1K_E_NS1_11comp_targetILNS1_3genE9ELNS1_11target_archE1100ELNS1_3gpuE3ELNS1_3repE0EEENS1_30default_config_static_selectorELNS0_4arch9wavefront6targetE1EEEvSY_ ; -- Begin function _ZN7rocprim17ROCPRIM_400000_NS6detail17trampoline_kernelINS0_13select_configILj256ELj13ELNS0_17block_load_methodE3ELS4_3ELS4_3ELNS0_20block_scan_algorithmE0ELj4294967295EEENS1_25partition_config_selectorILNS1_17partition_subalgoE3EjNS0_10empty_typeEbEEZZNS1_14partition_implILS8_3ELb0ES6_jNS0_17counting_iteratorIjlEEPS9_SE_NS0_5tupleIJPjSE_EEENSF_IJSE_SE_EEES9_SG_JZNS1_25segmented_radix_sort_implINS0_14default_configELb0EPKhPhPKlPlN2at6native12_GLOBAL__N_18offset_tEEE10hipError_tPvRmT1_PNSt15iterator_traitsISY_E10value_typeET2_T3_PNSZ_IS14_E10value_typeET4_jRbjT5_S1A_jjP12ihipStream_tbEUljE_EEESV_SW_SX_S14_S18_S1A_T6_T7_T9_mT8_S1C_bDpT10_ENKUlT_T0_E_clISt17integral_constantIbLb1EES1O_IbLb0EEEEDaS1K_S1L_EUlS1K_E_NS1_11comp_targetILNS1_3genE9ELNS1_11target_archE1100ELNS1_3gpuE3ELNS1_3repE0EEENS1_30default_config_static_selectorELNS0_4arch9wavefront6targetE1EEEvSY_
	.p2align	8
	.type	_ZN7rocprim17ROCPRIM_400000_NS6detail17trampoline_kernelINS0_13select_configILj256ELj13ELNS0_17block_load_methodE3ELS4_3ELS4_3ELNS0_20block_scan_algorithmE0ELj4294967295EEENS1_25partition_config_selectorILNS1_17partition_subalgoE3EjNS0_10empty_typeEbEEZZNS1_14partition_implILS8_3ELb0ES6_jNS0_17counting_iteratorIjlEEPS9_SE_NS0_5tupleIJPjSE_EEENSF_IJSE_SE_EEES9_SG_JZNS1_25segmented_radix_sort_implINS0_14default_configELb0EPKhPhPKlPlN2at6native12_GLOBAL__N_18offset_tEEE10hipError_tPvRmT1_PNSt15iterator_traitsISY_E10value_typeET2_T3_PNSZ_IS14_E10value_typeET4_jRbjT5_S1A_jjP12ihipStream_tbEUljE_EEESV_SW_SX_S14_S18_S1A_T6_T7_T9_mT8_S1C_bDpT10_ENKUlT_T0_E_clISt17integral_constantIbLb1EES1O_IbLb0EEEEDaS1K_S1L_EUlS1K_E_NS1_11comp_targetILNS1_3genE9ELNS1_11target_archE1100ELNS1_3gpuE3ELNS1_3repE0EEENS1_30default_config_static_selectorELNS0_4arch9wavefront6targetE1EEEvSY_,@function
_ZN7rocprim17ROCPRIM_400000_NS6detail17trampoline_kernelINS0_13select_configILj256ELj13ELNS0_17block_load_methodE3ELS4_3ELS4_3ELNS0_20block_scan_algorithmE0ELj4294967295EEENS1_25partition_config_selectorILNS1_17partition_subalgoE3EjNS0_10empty_typeEbEEZZNS1_14partition_implILS8_3ELb0ES6_jNS0_17counting_iteratorIjlEEPS9_SE_NS0_5tupleIJPjSE_EEENSF_IJSE_SE_EEES9_SG_JZNS1_25segmented_radix_sort_implINS0_14default_configELb0EPKhPhPKlPlN2at6native12_GLOBAL__N_18offset_tEEE10hipError_tPvRmT1_PNSt15iterator_traitsISY_E10value_typeET2_T3_PNSZ_IS14_E10value_typeET4_jRbjT5_S1A_jjP12ihipStream_tbEUljE_EEESV_SW_SX_S14_S18_S1A_T6_T7_T9_mT8_S1C_bDpT10_ENKUlT_T0_E_clISt17integral_constantIbLb1EES1O_IbLb0EEEEDaS1K_S1L_EUlS1K_E_NS1_11comp_targetILNS1_3genE9ELNS1_11target_archE1100ELNS1_3gpuE3ELNS1_3repE0EEENS1_30default_config_static_selectorELNS0_4arch9wavefront6targetE1EEEvSY_: ; @_ZN7rocprim17ROCPRIM_400000_NS6detail17trampoline_kernelINS0_13select_configILj256ELj13ELNS0_17block_load_methodE3ELS4_3ELS4_3ELNS0_20block_scan_algorithmE0ELj4294967295EEENS1_25partition_config_selectorILNS1_17partition_subalgoE3EjNS0_10empty_typeEbEEZZNS1_14partition_implILS8_3ELb0ES6_jNS0_17counting_iteratorIjlEEPS9_SE_NS0_5tupleIJPjSE_EEENSF_IJSE_SE_EEES9_SG_JZNS1_25segmented_radix_sort_implINS0_14default_configELb0EPKhPhPKlPlN2at6native12_GLOBAL__N_18offset_tEEE10hipError_tPvRmT1_PNSt15iterator_traitsISY_E10value_typeET2_T3_PNSZ_IS14_E10value_typeET4_jRbjT5_S1A_jjP12ihipStream_tbEUljE_EEESV_SW_SX_S14_S18_S1A_T6_T7_T9_mT8_S1C_bDpT10_ENKUlT_T0_E_clISt17integral_constantIbLb1EES1O_IbLb0EEEEDaS1K_S1L_EUlS1K_E_NS1_11comp_targetILNS1_3genE9ELNS1_11target_archE1100ELNS1_3gpuE3ELNS1_3repE0EEENS1_30default_config_static_selectorELNS0_4arch9wavefront6targetE1EEEvSY_
; %bb.0:
	.section	.rodata,"a",@progbits
	.p2align	6, 0x0
	.amdhsa_kernel _ZN7rocprim17ROCPRIM_400000_NS6detail17trampoline_kernelINS0_13select_configILj256ELj13ELNS0_17block_load_methodE3ELS4_3ELS4_3ELNS0_20block_scan_algorithmE0ELj4294967295EEENS1_25partition_config_selectorILNS1_17partition_subalgoE3EjNS0_10empty_typeEbEEZZNS1_14partition_implILS8_3ELb0ES6_jNS0_17counting_iteratorIjlEEPS9_SE_NS0_5tupleIJPjSE_EEENSF_IJSE_SE_EEES9_SG_JZNS1_25segmented_radix_sort_implINS0_14default_configELb0EPKhPhPKlPlN2at6native12_GLOBAL__N_18offset_tEEE10hipError_tPvRmT1_PNSt15iterator_traitsISY_E10value_typeET2_T3_PNSZ_IS14_E10value_typeET4_jRbjT5_S1A_jjP12ihipStream_tbEUljE_EEESV_SW_SX_S14_S18_S1A_T6_T7_T9_mT8_S1C_bDpT10_ENKUlT_T0_E_clISt17integral_constantIbLb1EES1O_IbLb0EEEEDaS1K_S1L_EUlS1K_E_NS1_11comp_targetILNS1_3genE9ELNS1_11target_archE1100ELNS1_3gpuE3ELNS1_3repE0EEENS1_30default_config_static_selectorELNS0_4arch9wavefront6targetE1EEEvSY_
		.amdhsa_group_segment_fixed_size 0
		.amdhsa_private_segment_fixed_size 0
		.amdhsa_kernarg_size 144
		.amdhsa_user_sgpr_count 6
		.amdhsa_user_sgpr_private_segment_buffer 1
		.amdhsa_user_sgpr_dispatch_ptr 0
		.amdhsa_user_sgpr_queue_ptr 0
		.amdhsa_user_sgpr_kernarg_segment_ptr 1
		.amdhsa_user_sgpr_dispatch_id 0
		.amdhsa_user_sgpr_flat_scratch_init 0
		.amdhsa_user_sgpr_kernarg_preload_length 0
		.amdhsa_user_sgpr_kernarg_preload_offset 0
		.amdhsa_user_sgpr_private_segment_size 0
		.amdhsa_uses_dynamic_stack 0
		.amdhsa_system_sgpr_private_segment_wavefront_offset 0
		.amdhsa_system_sgpr_workgroup_id_x 1
		.amdhsa_system_sgpr_workgroup_id_y 0
		.amdhsa_system_sgpr_workgroup_id_z 0
		.amdhsa_system_sgpr_workgroup_info 0
		.amdhsa_system_vgpr_workitem_id 0
		.amdhsa_next_free_vgpr 1
		.amdhsa_next_free_sgpr 0
		.amdhsa_accum_offset 4
		.amdhsa_reserve_vcc 0
		.amdhsa_reserve_flat_scratch 0
		.amdhsa_float_round_mode_32 0
		.amdhsa_float_round_mode_16_64 0
		.amdhsa_float_denorm_mode_32 3
		.amdhsa_float_denorm_mode_16_64 3
		.amdhsa_dx10_clamp 1
		.amdhsa_ieee_mode 1
		.amdhsa_fp16_overflow 0
		.amdhsa_tg_split 0
		.amdhsa_exception_fp_ieee_invalid_op 0
		.amdhsa_exception_fp_denorm_src 0
		.amdhsa_exception_fp_ieee_div_zero 0
		.amdhsa_exception_fp_ieee_overflow 0
		.amdhsa_exception_fp_ieee_underflow 0
		.amdhsa_exception_fp_ieee_inexact 0
		.amdhsa_exception_int_div_zero 0
	.end_amdhsa_kernel
	.section	.text._ZN7rocprim17ROCPRIM_400000_NS6detail17trampoline_kernelINS0_13select_configILj256ELj13ELNS0_17block_load_methodE3ELS4_3ELS4_3ELNS0_20block_scan_algorithmE0ELj4294967295EEENS1_25partition_config_selectorILNS1_17partition_subalgoE3EjNS0_10empty_typeEbEEZZNS1_14partition_implILS8_3ELb0ES6_jNS0_17counting_iteratorIjlEEPS9_SE_NS0_5tupleIJPjSE_EEENSF_IJSE_SE_EEES9_SG_JZNS1_25segmented_radix_sort_implINS0_14default_configELb0EPKhPhPKlPlN2at6native12_GLOBAL__N_18offset_tEEE10hipError_tPvRmT1_PNSt15iterator_traitsISY_E10value_typeET2_T3_PNSZ_IS14_E10value_typeET4_jRbjT5_S1A_jjP12ihipStream_tbEUljE_EEESV_SW_SX_S14_S18_S1A_T6_T7_T9_mT8_S1C_bDpT10_ENKUlT_T0_E_clISt17integral_constantIbLb1EES1O_IbLb0EEEEDaS1K_S1L_EUlS1K_E_NS1_11comp_targetILNS1_3genE9ELNS1_11target_archE1100ELNS1_3gpuE3ELNS1_3repE0EEENS1_30default_config_static_selectorELNS0_4arch9wavefront6targetE1EEEvSY_,"axG",@progbits,_ZN7rocprim17ROCPRIM_400000_NS6detail17trampoline_kernelINS0_13select_configILj256ELj13ELNS0_17block_load_methodE3ELS4_3ELS4_3ELNS0_20block_scan_algorithmE0ELj4294967295EEENS1_25partition_config_selectorILNS1_17partition_subalgoE3EjNS0_10empty_typeEbEEZZNS1_14partition_implILS8_3ELb0ES6_jNS0_17counting_iteratorIjlEEPS9_SE_NS0_5tupleIJPjSE_EEENSF_IJSE_SE_EEES9_SG_JZNS1_25segmented_radix_sort_implINS0_14default_configELb0EPKhPhPKlPlN2at6native12_GLOBAL__N_18offset_tEEE10hipError_tPvRmT1_PNSt15iterator_traitsISY_E10value_typeET2_T3_PNSZ_IS14_E10value_typeET4_jRbjT5_S1A_jjP12ihipStream_tbEUljE_EEESV_SW_SX_S14_S18_S1A_T6_T7_T9_mT8_S1C_bDpT10_ENKUlT_T0_E_clISt17integral_constantIbLb1EES1O_IbLb0EEEEDaS1K_S1L_EUlS1K_E_NS1_11comp_targetILNS1_3genE9ELNS1_11target_archE1100ELNS1_3gpuE3ELNS1_3repE0EEENS1_30default_config_static_selectorELNS0_4arch9wavefront6targetE1EEEvSY_,comdat
.Lfunc_end176:
	.size	_ZN7rocprim17ROCPRIM_400000_NS6detail17trampoline_kernelINS0_13select_configILj256ELj13ELNS0_17block_load_methodE3ELS4_3ELS4_3ELNS0_20block_scan_algorithmE0ELj4294967295EEENS1_25partition_config_selectorILNS1_17partition_subalgoE3EjNS0_10empty_typeEbEEZZNS1_14partition_implILS8_3ELb0ES6_jNS0_17counting_iteratorIjlEEPS9_SE_NS0_5tupleIJPjSE_EEENSF_IJSE_SE_EEES9_SG_JZNS1_25segmented_radix_sort_implINS0_14default_configELb0EPKhPhPKlPlN2at6native12_GLOBAL__N_18offset_tEEE10hipError_tPvRmT1_PNSt15iterator_traitsISY_E10value_typeET2_T3_PNSZ_IS14_E10value_typeET4_jRbjT5_S1A_jjP12ihipStream_tbEUljE_EEESV_SW_SX_S14_S18_S1A_T6_T7_T9_mT8_S1C_bDpT10_ENKUlT_T0_E_clISt17integral_constantIbLb1EES1O_IbLb0EEEEDaS1K_S1L_EUlS1K_E_NS1_11comp_targetILNS1_3genE9ELNS1_11target_archE1100ELNS1_3gpuE3ELNS1_3repE0EEENS1_30default_config_static_selectorELNS0_4arch9wavefront6targetE1EEEvSY_, .Lfunc_end176-_ZN7rocprim17ROCPRIM_400000_NS6detail17trampoline_kernelINS0_13select_configILj256ELj13ELNS0_17block_load_methodE3ELS4_3ELS4_3ELNS0_20block_scan_algorithmE0ELj4294967295EEENS1_25partition_config_selectorILNS1_17partition_subalgoE3EjNS0_10empty_typeEbEEZZNS1_14partition_implILS8_3ELb0ES6_jNS0_17counting_iteratorIjlEEPS9_SE_NS0_5tupleIJPjSE_EEENSF_IJSE_SE_EEES9_SG_JZNS1_25segmented_radix_sort_implINS0_14default_configELb0EPKhPhPKlPlN2at6native12_GLOBAL__N_18offset_tEEE10hipError_tPvRmT1_PNSt15iterator_traitsISY_E10value_typeET2_T3_PNSZ_IS14_E10value_typeET4_jRbjT5_S1A_jjP12ihipStream_tbEUljE_EEESV_SW_SX_S14_S18_S1A_T6_T7_T9_mT8_S1C_bDpT10_ENKUlT_T0_E_clISt17integral_constantIbLb1EES1O_IbLb0EEEEDaS1K_S1L_EUlS1K_E_NS1_11comp_targetILNS1_3genE9ELNS1_11target_archE1100ELNS1_3gpuE3ELNS1_3repE0EEENS1_30default_config_static_selectorELNS0_4arch9wavefront6targetE1EEEvSY_
                                        ; -- End function
	.section	.AMDGPU.csdata,"",@progbits
; Kernel info:
; codeLenInByte = 0
; NumSgprs: 4
; NumVgprs: 0
; NumAgprs: 0
; TotalNumVgprs: 0
; ScratchSize: 0
; MemoryBound: 0
; FloatMode: 240
; IeeeMode: 1
; LDSByteSize: 0 bytes/workgroup (compile time only)
; SGPRBlocks: 0
; VGPRBlocks: 0
; NumSGPRsForWavesPerEU: 4
; NumVGPRsForWavesPerEU: 1
; AccumOffset: 4
; Occupancy: 8
; WaveLimiterHint : 0
; COMPUTE_PGM_RSRC2:SCRATCH_EN: 0
; COMPUTE_PGM_RSRC2:USER_SGPR: 6
; COMPUTE_PGM_RSRC2:TRAP_HANDLER: 0
; COMPUTE_PGM_RSRC2:TGID_X_EN: 1
; COMPUTE_PGM_RSRC2:TGID_Y_EN: 0
; COMPUTE_PGM_RSRC2:TGID_Z_EN: 0
; COMPUTE_PGM_RSRC2:TIDIG_COMP_CNT: 0
; COMPUTE_PGM_RSRC3_GFX90A:ACCUM_OFFSET: 0
; COMPUTE_PGM_RSRC3_GFX90A:TG_SPLIT: 0
	.section	.text._ZN7rocprim17ROCPRIM_400000_NS6detail17trampoline_kernelINS0_13select_configILj256ELj13ELNS0_17block_load_methodE3ELS4_3ELS4_3ELNS0_20block_scan_algorithmE0ELj4294967295EEENS1_25partition_config_selectorILNS1_17partition_subalgoE3EjNS0_10empty_typeEbEEZZNS1_14partition_implILS8_3ELb0ES6_jNS0_17counting_iteratorIjlEEPS9_SE_NS0_5tupleIJPjSE_EEENSF_IJSE_SE_EEES9_SG_JZNS1_25segmented_radix_sort_implINS0_14default_configELb0EPKhPhPKlPlN2at6native12_GLOBAL__N_18offset_tEEE10hipError_tPvRmT1_PNSt15iterator_traitsISY_E10value_typeET2_T3_PNSZ_IS14_E10value_typeET4_jRbjT5_S1A_jjP12ihipStream_tbEUljE_EEESV_SW_SX_S14_S18_S1A_T6_T7_T9_mT8_S1C_bDpT10_ENKUlT_T0_E_clISt17integral_constantIbLb1EES1O_IbLb0EEEEDaS1K_S1L_EUlS1K_E_NS1_11comp_targetILNS1_3genE8ELNS1_11target_archE1030ELNS1_3gpuE2ELNS1_3repE0EEENS1_30default_config_static_selectorELNS0_4arch9wavefront6targetE1EEEvSY_,"axG",@progbits,_ZN7rocprim17ROCPRIM_400000_NS6detail17trampoline_kernelINS0_13select_configILj256ELj13ELNS0_17block_load_methodE3ELS4_3ELS4_3ELNS0_20block_scan_algorithmE0ELj4294967295EEENS1_25partition_config_selectorILNS1_17partition_subalgoE3EjNS0_10empty_typeEbEEZZNS1_14partition_implILS8_3ELb0ES6_jNS0_17counting_iteratorIjlEEPS9_SE_NS0_5tupleIJPjSE_EEENSF_IJSE_SE_EEES9_SG_JZNS1_25segmented_radix_sort_implINS0_14default_configELb0EPKhPhPKlPlN2at6native12_GLOBAL__N_18offset_tEEE10hipError_tPvRmT1_PNSt15iterator_traitsISY_E10value_typeET2_T3_PNSZ_IS14_E10value_typeET4_jRbjT5_S1A_jjP12ihipStream_tbEUljE_EEESV_SW_SX_S14_S18_S1A_T6_T7_T9_mT8_S1C_bDpT10_ENKUlT_T0_E_clISt17integral_constantIbLb1EES1O_IbLb0EEEEDaS1K_S1L_EUlS1K_E_NS1_11comp_targetILNS1_3genE8ELNS1_11target_archE1030ELNS1_3gpuE2ELNS1_3repE0EEENS1_30default_config_static_selectorELNS0_4arch9wavefront6targetE1EEEvSY_,comdat
	.globl	_ZN7rocprim17ROCPRIM_400000_NS6detail17trampoline_kernelINS0_13select_configILj256ELj13ELNS0_17block_load_methodE3ELS4_3ELS4_3ELNS0_20block_scan_algorithmE0ELj4294967295EEENS1_25partition_config_selectorILNS1_17partition_subalgoE3EjNS0_10empty_typeEbEEZZNS1_14partition_implILS8_3ELb0ES6_jNS0_17counting_iteratorIjlEEPS9_SE_NS0_5tupleIJPjSE_EEENSF_IJSE_SE_EEES9_SG_JZNS1_25segmented_radix_sort_implINS0_14default_configELb0EPKhPhPKlPlN2at6native12_GLOBAL__N_18offset_tEEE10hipError_tPvRmT1_PNSt15iterator_traitsISY_E10value_typeET2_T3_PNSZ_IS14_E10value_typeET4_jRbjT5_S1A_jjP12ihipStream_tbEUljE_EEESV_SW_SX_S14_S18_S1A_T6_T7_T9_mT8_S1C_bDpT10_ENKUlT_T0_E_clISt17integral_constantIbLb1EES1O_IbLb0EEEEDaS1K_S1L_EUlS1K_E_NS1_11comp_targetILNS1_3genE8ELNS1_11target_archE1030ELNS1_3gpuE2ELNS1_3repE0EEENS1_30default_config_static_selectorELNS0_4arch9wavefront6targetE1EEEvSY_ ; -- Begin function _ZN7rocprim17ROCPRIM_400000_NS6detail17trampoline_kernelINS0_13select_configILj256ELj13ELNS0_17block_load_methodE3ELS4_3ELS4_3ELNS0_20block_scan_algorithmE0ELj4294967295EEENS1_25partition_config_selectorILNS1_17partition_subalgoE3EjNS0_10empty_typeEbEEZZNS1_14partition_implILS8_3ELb0ES6_jNS0_17counting_iteratorIjlEEPS9_SE_NS0_5tupleIJPjSE_EEENSF_IJSE_SE_EEES9_SG_JZNS1_25segmented_radix_sort_implINS0_14default_configELb0EPKhPhPKlPlN2at6native12_GLOBAL__N_18offset_tEEE10hipError_tPvRmT1_PNSt15iterator_traitsISY_E10value_typeET2_T3_PNSZ_IS14_E10value_typeET4_jRbjT5_S1A_jjP12ihipStream_tbEUljE_EEESV_SW_SX_S14_S18_S1A_T6_T7_T9_mT8_S1C_bDpT10_ENKUlT_T0_E_clISt17integral_constantIbLb1EES1O_IbLb0EEEEDaS1K_S1L_EUlS1K_E_NS1_11comp_targetILNS1_3genE8ELNS1_11target_archE1030ELNS1_3gpuE2ELNS1_3repE0EEENS1_30default_config_static_selectorELNS0_4arch9wavefront6targetE1EEEvSY_
	.p2align	8
	.type	_ZN7rocprim17ROCPRIM_400000_NS6detail17trampoline_kernelINS0_13select_configILj256ELj13ELNS0_17block_load_methodE3ELS4_3ELS4_3ELNS0_20block_scan_algorithmE0ELj4294967295EEENS1_25partition_config_selectorILNS1_17partition_subalgoE3EjNS0_10empty_typeEbEEZZNS1_14partition_implILS8_3ELb0ES6_jNS0_17counting_iteratorIjlEEPS9_SE_NS0_5tupleIJPjSE_EEENSF_IJSE_SE_EEES9_SG_JZNS1_25segmented_radix_sort_implINS0_14default_configELb0EPKhPhPKlPlN2at6native12_GLOBAL__N_18offset_tEEE10hipError_tPvRmT1_PNSt15iterator_traitsISY_E10value_typeET2_T3_PNSZ_IS14_E10value_typeET4_jRbjT5_S1A_jjP12ihipStream_tbEUljE_EEESV_SW_SX_S14_S18_S1A_T6_T7_T9_mT8_S1C_bDpT10_ENKUlT_T0_E_clISt17integral_constantIbLb1EES1O_IbLb0EEEEDaS1K_S1L_EUlS1K_E_NS1_11comp_targetILNS1_3genE8ELNS1_11target_archE1030ELNS1_3gpuE2ELNS1_3repE0EEENS1_30default_config_static_selectorELNS0_4arch9wavefront6targetE1EEEvSY_,@function
_ZN7rocprim17ROCPRIM_400000_NS6detail17trampoline_kernelINS0_13select_configILj256ELj13ELNS0_17block_load_methodE3ELS4_3ELS4_3ELNS0_20block_scan_algorithmE0ELj4294967295EEENS1_25partition_config_selectorILNS1_17partition_subalgoE3EjNS0_10empty_typeEbEEZZNS1_14partition_implILS8_3ELb0ES6_jNS0_17counting_iteratorIjlEEPS9_SE_NS0_5tupleIJPjSE_EEENSF_IJSE_SE_EEES9_SG_JZNS1_25segmented_radix_sort_implINS0_14default_configELb0EPKhPhPKlPlN2at6native12_GLOBAL__N_18offset_tEEE10hipError_tPvRmT1_PNSt15iterator_traitsISY_E10value_typeET2_T3_PNSZ_IS14_E10value_typeET4_jRbjT5_S1A_jjP12ihipStream_tbEUljE_EEESV_SW_SX_S14_S18_S1A_T6_T7_T9_mT8_S1C_bDpT10_ENKUlT_T0_E_clISt17integral_constantIbLb1EES1O_IbLb0EEEEDaS1K_S1L_EUlS1K_E_NS1_11comp_targetILNS1_3genE8ELNS1_11target_archE1030ELNS1_3gpuE2ELNS1_3repE0EEENS1_30default_config_static_selectorELNS0_4arch9wavefront6targetE1EEEvSY_: ; @_ZN7rocprim17ROCPRIM_400000_NS6detail17trampoline_kernelINS0_13select_configILj256ELj13ELNS0_17block_load_methodE3ELS4_3ELS4_3ELNS0_20block_scan_algorithmE0ELj4294967295EEENS1_25partition_config_selectorILNS1_17partition_subalgoE3EjNS0_10empty_typeEbEEZZNS1_14partition_implILS8_3ELb0ES6_jNS0_17counting_iteratorIjlEEPS9_SE_NS0_5tupleIJPjSE_EEENSF_IJSE_SE_EEES9_SG_JZNS1_25segmented_radix_sort_implINS0_14default_configELb0EPKhPhPKlPlN2at6native12_GLOBAL__N_18offset_tEEE10hipError_tPvRmT1_PNSt15iterator_traitsISY_E10value_typeET2_T3_PNSZ_IS14_E10value_typeET4_jRbjT5_S1A_jjP12ihipStream_tbEUljE_EEESV_SW_SX_S14_S18_S1A_T6_T7_T9_mT8_S1C_bDpT10_ENKUlT_T0_E_clISt17integral_constantIbLb1EES1O_IbLb0EEEEDaS1K_S1L_EUlS1K_E_NS1_11comp_targetILNS1_3genE8ELNS1_11target_archE1030ELNS1_3gpuE2ELNS1_3repE0EEENS1_30default_config_static_selectorELNS0_4arch9wavefront6targetE1EEEvSY_
; %bb.0:
	.section	.rodata,"a",@progbits
	.p2align	6, 0x0
	.amdhsa_kernel _ZN7rocprim17ROCPRIM_400000_NS6detail17trampoline_kernelINS0_13select_configILj256ELj13ELNS0_17block_load_methodE3ELS4_3ELS4_3ELNS0_20block_scan_algorithmE0ELj4294967295EEENS1_25partition_config_selectorILNS1_17partition_subalgoE3EjNS0_10empty_typeEbEEZZNS1_14partition_implILS8_3ELb0ES6_jNS0_17counting_iteratorIjlEEPS9_SE_NS0_5tupleIJPjSE_EEENSF_IJSE_SE_EEES9_SG_JZNS1_25segmented_radix_sort_implINS0_14default_configELb0EPKhPhPKlPlN2at6native12_GLOBAL__N_18offset_tEEE10hipError_tPvRmT1_PNSt15iterator_traitsISY_E10value_typeET2_T3_PNSZ_IS14_E10value_typeET4_jRbjT5_S1A_jjP12ihipStream_tbEUljE_EEESV_SW_SX_S14_S18_S1A_T6_T7_T9_mT8_S1C_bDpT10_ENKUlT_T0_E_clISt17integral_constantIbLb1EES1O_IbLb0EEEEDaS1K_S1L_EUlS1K_E_NS1_11comp_targetILNS1_3genE8ELNS1_11target_archE1030ELNS1_3gpuE2ELNS1_3repE0EEENS1_30default_config_static_selectorELNS0_4arch9wavefront6targetE1EEEvSY_
		.amdhsa_group_segment_fixed_size 0
		.amdhsa_private_segment_fixed_size 0
		.amdhsa_kernarg_size 144
		.amdhsa_user_sgpr_count 6
		.amdhsa_user_sgpr_private_segment_buffer 1
		.amdhsa_user_sgpr_dispatch_ptr 0
		.amdhsa_user_sgpr_queue_ptr 0
		.amdhsa_user_sgpr_kernarg_segment_ptr 1
		.amdhsa_user_sgpr_dispatch_id 0
		.amdhsa_user_sgpr_flat_scratch_init 0
		.amdhsa_user_sgpr_kernarg_preload_length 0
		.amdhsa_user_sgpr_kernarg_preload_offset 0
		.amdhsa_user_sgpr_private_segment_size 0
		.amdhsa_uses_dynamic_stack 0
		.amdhsa_system_sgpr_private_segment_wavefront_offset 0
		.amdhsa_system_sgpr_workgroup_id_x 1
		.amdhsa_system_sgpr_workgroup_id_y 0
		.amdhsa_system_sgpr_workgroup_id_z 0
		.amdhsa_system_sgpr_workgroup_info 0
		.amdhsa_system_vgpr_workitem_id 0
		.amdhsa_next_free_vgpr 1
		.amdhsa_next_free_sgpr 0
		.amdhsa_accum_offset 4
		.amdhsa_reserve_vcc 0
		.amdhsa_reserve_flat_scratch 0
		.amdhsa_float_round_mode_32 0
		.amdhsa_float_round_mode_16_64 0
		.amdhsa_float_denorm_mode_32 3
		.amdhsa_float_denorm_mode_16_64 3
		.amdhsa_dx10_clamp 1
		.amdhsa_ieee_mode 1
		.amdhsa_fp16_overflow 0
		.amdhsa_tg_split 0
		.amdhsa_exception_fp_ieee_invalid_op 0
		.amdhsa_exception_fp_denorm_src 0
		.amdhsa_exception_fp_ieee_div_zero 0
		.amdhsa_exception_fp_ieee_overflow 0
		.amdhsa_exception_fp_ieee_underflow 0
		.amdhsa_exception_fp_ieee_inexact 0
		.amdhsa_exception_int_div_zero 0
	.end_amdhsa_kernel
	.section	.text._ZN7rocprim17ROCPRIM_400000_NS6detail17trampoline_kernelINS0_13select_configILj256ELj13ELNS0_17block_load_methodE3ELS4_3ELS4_3ELNS0_20block_scan_algorithmE0ELj4294967295EEENS1_25partition_config_selectorILNS1_17partition_subalgoE3EjNS0_10empty_typeEbEEZZNS1_14partition_implILS8_3ELb0ES6_jNS0_17counting_iteratorIjlEEPS9_SE_NS0_5tupleIJPjSE_EEENSF_IJSE_SE_EEES9_SG_JZNS1_25segmented_radix_sort_implINS0_14default_configELb0EPKhPhPKlPlN2at6native12_GLOBAL__N_18offset_tEEE10hipError_tPvRmT1_PNSt15iterator_traitsISY_E10value_typeET2_T3_PNSZ_IS14_E10value_typeET4_jRbjT5_S1A_jjP12ihipStream_tbEUljE_EEESV_SW_SX_S14_S18_S1A_T6_T7_T9_mT8_S1C_bDpT10_ENKUlT_T0_E_clISt17integral_constantIbLb1EES1O_IbLb0EEEEDaS1K_S1L_EUlS1K_E_NS1_11comp_targetILNS1_3genE8ELNS1_11target_archE1030ELNS1_3gpuE2ELNS1_3repE0EEENS1_30default_config_static_selectorELNS0_4arch9wavefront6targetE1EEEvSY_,"axG",@progbits,_ZN7rocprim17ROCPRIM_400000_NS6detail17trampoline_kernelINS0_13select_configILj256ELj13ELNS0_17block_load_methodE3ELS4_3ELS4_3ELNS0_20block_scan_algorithmE0ELj4294967295EEENS1_25partition_config_selectorILNS1_17partition_subalgoE3EjNS0_10empty_typeEbEEZZNS1_14partition_implILS8_3ELb0ES6_jNS0_17counting_iteratorIjlEEPS9_SE_NS0_5tupleIJPjSE_EEENSF_IJSE_SE_EEES9_SG_JZNS1_25segmented_radix_sort_implINS0_14default_configELb0EPKhPhPKlPlN2at6native12_GLOBAL__N_18offset_tEEE10hipError_tPvRmT1_PNSt15iterator_traitsISY_E10value_typeET2_T3_PNSZ_IS14_E10value_typeET4_jRbjT5_S1A_jjP12ihipStream_tbEUljE_EEESV_SW_SX_S14_S18_S1A_T6_T7_T9_mT8_S1C_bDpT10_ENKUlT_T0_E_clISt17integral_constantIbLb1EES1O_IbLb0EEEEDaS1K_S1L_EUlS1K_E_NS1_11comp_targetILNS1_3genE8ELNS1_11target_archE1030ELNS1_3gpuE2ELNS1_3repE0EEENS1_30default_config_static_selectorELNS0_4arch9wavefront6targetE1EEEvSY_,comdat
.Lfunc_end177:
	.size	_ZN7rocprim17ROCPRIM_400000_NS6detail17trampoline_kernelINS0_13select_configILj256ELj13ELNS0_17block_load_methodE3ELS4_3ELS4_3ELNS0_20block_scan_algorithmE0ELj4294967295EEENS1_25partition_config_selectorILNS1_17partition_subalgoE3EjNS0_10empty_typeEbEEZZNS1_14partition_implILS8_3ELb0ES6_jNS0_17counting_iteratorIjlEEPS9_SE_NS0_5tupleIJPjSE_EEENSF_IJSE_SE_EEES9_SG_JZNS1_25segmented_radix_sort_implINS0_14default_configELb0EPKhPhPKlPlN2at6native12_GLOBAL__N_18offset_tEEE10hipError_tPvRmT1_PNSt15iterator_traitsISY_E10value_typeET2_T3_PNSZ_IS14_E10value_typeET4_jRbjT5_S1A_jjP12ihipStream_tbEUljE_EEESV_SW_SX_S14_S18_S1A_T6_T7_T9_mT8_S1C_bDpT10_ENKUlT_T0_E_clISt17integral_constantIbLb1EES1O_IbLb0EEEEDaS1K_S1L_EUlS1K_E_NS1_11comp_targetILNS1_3genE8ELNS1_11target_archE1030ELNS1_3gpuE2ELNS1_3repE0EEENS1_30default_config_static_selectorELNS0_4arch9wavefront6targetE1EEEvSY_, .Lfunc_end177-_ZN7rocprim17ROCPRIM_400000_NS6detail17trampoline_kernelINS0_13select_configILj256ELj13ELNS0_17block_load_methodE3ELS4_3ELS4_3ELNS0_20block_scan_algorithmE0ELj4294967295EEENS1_25partition_config_selectorILNS1_17partition_subalgoE3EjNS0_10empty_typeEbEEZZNS1_14partition_implILS8_3ELb0ES6_jNS0_17counting_iteratorIjlEEPS9_SE_NS0_5tupleIJPjSE_EEENSF_IJSE_SE_EEES9_SG_JZNS1_25segmented_radix_sort_implINS0_14default_configELb0EPKhPhPKlPlN2at6native12_GLOBAL__N_18offset_tEEE10hipError_tPvRmT1_PNSt15iterator_traitsISY_E10value_typeET2_T3_PNSZ_IS14_E10value_typeET4_jRbjT5_S1A_jjP12ihipStream_tbEUljE_EEESV_SW_SX_S14_S18_S1A_T6_T7_T9_mT8_S1C_bDpT10_ENKUlT_T0_E_clISt17integral_constantIbLb1EES1O_IbLb0EEEEDaS1K_S1L_EUlS1K_E_NS1_11comp_targetILNS1_3genE8ELNS1_11target_archE1030ELNS1_3gpuE2ELNS1_3repE0EEENS1_30default_config_static_selectorELNS0_4arch9wavefront6targetE1EEEvSY_
                                        ; -- End function
	.section	.AMDGPU.csdata,"",@progbits
; Kernel info:
; codeLenInByte = 0
; NumSgprs: 4
; NumVgprs: 0
; NumAgprs: 0
; TotalNumVgprs: 0
; ScratchSize: 0
; MemoryBound: 0
; FloatMode: 240
; IeeeMode: 1
; LDSByteSize: 0 bytes/workgroup (compile time only)
; SGPRBlocks: 0
; VGPRBlocks: 0
; NumSGPRsForWavesPerEU: 4
; NumVGPRsForWavesPerEU: 1
; AccumOffset: 4
; Occupancy: 8
; WaveLimiterHint : 0
; COMPUTE_PGM_RSRC2:SCRATCH_EN: 0
; COMPUTE_PGM_RSRC2:USER_SGPR: 6
; COMPUTE_PGM_RSRC2:TRAP_HANDLER: 0
; COMPUTE_PGM_RSRC2:TGID_X_EN: 1
; COMPUTE_PGM_RSRC2:TGID_Y_EN: 0
; COMPUTE_PGM_RSRC2:TGID_Z_EN: 0
; COMPUTE_PGM_RSRC2:TIDIG_COMP_CNT: 0
; COMPUTE_PGM_RSRC3_GFX90A:ACCUM_OFFSET: 0
; COMPUTE_PGM_RSRC3_GFX90A:TG_SPLIT: 0
	.section	.text._ZN7rocprim17ROCPRIM_400000_NS6detail17trampoline_kernelINS0_13select_configILj256ELj13ELNS0_17block_load_methodE3ELS4_3ELS4_3ELNS0_20block_scan_algorithmE0ELj4294967295EEENS1_25partition_config_selectorILNS1_17partition_subalgoE3EjNS0_10empty_typeEbEEZZNS1_14partition_implILS8_3ELb0ES6_jNS0_17counting_iteratorIjlEEPS9_SE_NS0_5tupleIJPjSE_EEENSF_IJSE_SE_EEES9_SG_JZNS1_25segmented_radix_sort_implINS0_14default_configELb0EPKhPhPKlPlN2at6native12_GLOBAL__N_18offset_tEEE10hipError_tPvRmT1_PNSt15iterator_traitsISY_E10value_typeET2_T3_PNSZ_IS14_E10value_typeET4_jRbjT5_S1A_jjP12ihipStream_tbEUljE_EEESV_SW_SX_S14_S18_S1A_T6_T7_T9_mT8_S1C_bDpT10_ENKUlT_T0_E_clISt17integral_constantIbLb0EES1O_IbLb1EEEEDaS1K_S1L_EUlS1K_E_NS1_11comp_targetILNS1_3genE0ELNS1_11target_archE4294967295ELNS1_3gpuE0ELNS1_3repE0EEENS1_30default_config_static_selectorELNS0_4arch9wavefront6targetE1EEEvSY_,"axG",@progbits,_ZN7rocprim17ROCPRIM_400000_NS6detail17trampoline_kernelINS0_13select_configILj256ELj13ELNS0_17block_load_methodE3ELS4_3ELS4_3ELNS0_20block_scan_algorithmE0ELj4294967295EEENS1_25partition_config_selectorILNS1_17partition_subalgoE3EjNS0_10empty_typeEbEEZZNS1_14partition_implILS8_3ELb0ES6_jNS0_17counting_iteratorIjlEEPS9_SE_NS0_5tupleIJPjSE_EEENSF_IJSE_SE_EEES9_SG_JZNS1_25segmented_radix_sort_implINS0_14default_configELb0EPKhPhPKlPlN2at6native12_GLOBAL__N_18offset_tEEE10hipError_tPvRmT1_PNSt15iterator_traitsISY_E10value_typeET2_T3_PNSZ_IS14_E10value_typeET4_jRbjT5_S1A_jjP12ihipStream_tbEUljE_EEESV_SW_SX_S14_S18_S1A_T6_T7_T9_mT8_S1C_bDpT10_ENKUlT_T0_E_clISt17integral_constantIbLb0EES1O_IbLb1EEEEDaS1K_S1L_EUlS1K_E_NS1_11comp_targetILNS1_3genE0ELNS1_11target_archE4294967295ELNS1_3gpuE0ELNS1_3repE0EEENS1_30default_config_static_selectorELNS0_4arch9wavefront6targetE1EEEvSY_,comdat
	.globl	_ZN7rocprim17ROCPRIM_400000_NS6detail17trampoline_kernelINS0_13select_configILj256ELj13ELNS0_17block_load_methodE3ELS4_3ELS4_3ELNS0_20block_scan_algorithmE0ELj4294967295EEENS1_25partition_config_selectorILNS1_17partition_subalgoE3EjNS0_10empty_typeEbEEZZNS1_14partition_implILS8_3ELb0ES6_jNS0_17counting_iteratorIjlEEPS9_SE_NS0_5tupleIJPjSE_EEENSF_IJSE_SE_EEES9_SG_JZNS1_25segmented_radix_sort_implINS0_14default_configELb0EPKhPhPKlPlN2at6native12_GLOBAL__N_18offset_tEEE10hipError_tPvRmT1_PNSt15iterator_traitsISY_E10value_typeET2_T3_PNSZ_IS14_E10value_typeET4_jRbjT5_S1A_jjP12ihipStream_tbEUljE_EEESV_SW_SX_S14_S18_S1A_T6_T7_T9_mT8_S1C_bDpT10_ENKUlT_T0_E_clISt17integral_constantIbLb0EES1O_IbLb1EEEEDaS1K_S1L_EUlS1K_E_NS1_11comp_targetILNS1_3genE0ELNS1_11target_archE4294967295ELNS1_3gpuE0ELNS1_3repE0EEENS1_30default_config_static_selectorELNS0_4arch9wavefront6targetE1EEEvSY_ ; -- Begin function _ZN7rocprim17ROCPRIM_400000_NS6detail17trampoline_kernelINS0_13select_configILj256ELj13ELNS0_17block_load_methodE3ELS4_3ELS4_3ELNS0_20block_scan_algorithmE0ELj4294967295EEENS1_25partition_config_selectorILNS1_17partition_subalgoE3EjNS0_10empty_typeEbEEZZNS1_14partition_implILS8_3ELb0ES6_jNS0_17counting_iteratorIjlEEPS9_SE_NS0_5tupleIJPjSE_EEENSF_IJSE_SE_EEES9_SG_JZNS1_25segmented_radix_sort_implINS0_14default_configELb0EPKhPhPKlPlN2at6native12_GLOBAL__N_18offset_tEEE10hipError_tPvRmT1_PNSt15iterator_traitsISY_E10value_typeET2_T3_PNSZ_IS14_E10value_typeET4_jRbjT5_S1A_jjP12ihipStream_tbEUljE_EEESV_SW_SX_S14_S18_S1A_T6_T7_T9_mT8_S1C_bDpT10_ENKUlT_T0_E_clISt17integral_constantIbLb0EES1O_IbLb1EEEEDaS1K_S1L_EUlS1K_E_NS1_11comp_targetILNS1_3genE0ELNS1_11target_archE4294967295ELNS1_3gpuE0ELNS1_3repE0EEENS1_30default_config_static_selectorELNS0_4arch9wavefront6targetE1EEEvSY_
	.p2align	8
	.type	_ZN7rocprim17ROCPRIM_400000_NS6detail17trampoline_kernelINS0_13select_configILj256ELj13ELNS0_17block_load_methodE3ELS4_3ELS4_3ELNS0_20block_scan_algorithmE0ELj4294967295EEENS1_25partition_config_selectorILNS1_17partition_subalgoE3EjNS0_10empty_typeEbEEZZNS1_14partition_implILS8_3ELb0ES6_jNS0_17counting_iteratorIjlEEPS9_SE_NS0_5tupleIJPjSE_EEENSF_IJSE_SE_EEES9_SG_JZNS1_25segmented_radix_sort_implINS0_14default_configELb0EPKhPhPKlPlN2at6native12_GLOBAL__N_18offset_tEEE10hipError_tPvRmT1_PNSt15iterator_traitsISY_E10value_typeET2_T3_PNSZ_IS14_E10value_typeET4_jRbjT5_S1A_jjP12ihipStream_tbEUljE_EEESV_SW_SX_S14_S18_S1A_T6_T7_T9_mT8_S1C_bDpT10_ENKUlT_T0_E_clISt17integral_constantIbLb0EES1O_IbLb1EEEEDaS1K_S1L_EUlS1K_E_NS1_11comp_targetILNS1_3genE0ELNS1_11target_archE4294967295ELNS1_3gpuE0ELNS1_3repE0EEENS1_30default_config_static_selectorELNS0_4arch9wavefront6targetE1EEEvSY_,@function
_ZN7rocprim17ROCPRIM_400000_NS6detail17trampoline_kernelINS0_13select_configILj256ELj13ELNS0_17block_load_methodE3ELS4_3ELS4_3ELNS0_20block_scan_algorithmE0ELj4294967295EEENS1_25partition_config_selectorILNS1_17partition_subalgoE3EjNS0_10empty_typeEbEEZZNS1_14partition_implILS8_3ELb0ES6_jNS0_17counting_iteratorIjlEEPS9_SE_NS0_5tupleIJPjSE_EEENSF_IJSE_SE_EEES9_SG_JZNS1_25segmented_radix_sort_implINS0_14default_configELb0EPKhPhPKlPlN2at6native12_GLOBAL__N_18offset_tEEE10hipError_tPvRmT1_PNSt15iterator_traitsISY_E10value_typeET2_T3_PNSZ_IS14_E10value_typeET4_jRbjT5_S1A_jjP12ihipStream_tbEUljE_EEESV_SW_SX_S14_S18_S1A_T6_T7_T9_mT8_S1C_bDpT10_ENKUlT_T0_E_clISt17integral_constantIbLb0EES1O_IbLb1EEEEDaS1K_S1L_EUlS1K_E_NS1_11comp_targetILNS1_3genE0ELNS1_11target_archE4294967295ELNS1_3gpuE0ELNS1_3repE0EEENS1_30default_config_static_selectorELNS0_4arch9wavefront6targetE1EEEvSY_: ; @_ZN7rocprim17ROCPRIM_400000_NS6detail17trampoline_kernelINS0_13select_configILj256ELj13ELNS0_17block_load_methodE3ELS4_3ELS4_3ELNS0_20block_scan_algorithmE0ELj4294967295EEENS1_25partition_config_selectorILNS1_17partition_subalgoE3EjNS0_10empty_typeEbEEZZNS1_14partition_implILS8_3ELb0ES6_jNS0_17counting_iteratorIjlEEPS9_SE_NS0_5tupleIJPjSE_EEENSF_IJSE_SE_EEES9_SG_JZNS1_25segmented_radix_sort_implINS0_14default_configELb0EPKhPhPKlPlN2at6native12_GLOBAL__N_18offset_tEEE10hipError_tPvRmT1_PNSt15iterator_traitsISY_E10value_typeET2_T3_PNSZ_IS14_E10value_typeET4_jRbjT5_S1A_jjP12ihipStream_tbEUljE_EEESV_SW_SX_S14_S18_S1A_T6_T7_T9_mT8_S1C_bDpT10_ENKUlT_T0_E_clISt17integral_constantIbLb0EES1O_IbLb1EEEEDaS1K_S1L_EUlS1K_E_NS1_11comp_targetILNS1_3genE0ELNS1_11target_archE4294967295ELNS1_3gpuE0ELNS1_3repE0EEENS1_30default_config_static_selectorELNS0_4arch9wavefront6targetE1EEEvSY_
; %bb.0:
	.section	.rodata,"a",@progbits
	.p2align	6, 0x0
	.amdhsa_kernel _ZN7rocprim17ROCPRIM_400000_NS6detail17trampoline_kernelINS0_13select_configILj256ELj13ELNS0_17block_load_methodE3ELS4_3ELS4_3ELNS0_20block_scan_algorithmE0ELj4294967295EEENS1_25partition_config_selectorILNS1_17partition_subalgoE3EjNS0_10empty_typeEbEEZZNS1_14partition_implILS8_3ELb0ES6_jNS0_17counting_iteratorIjlEEPS9_SE_NS0_5tupleIJPjSE_EEENSF_IJSE_SE_EEES9_SG_JZNS1_25segmented_radix_sort_implINS0_14default_configELb0EPKhPhPKlPlN2at6native12_GLOBAL__N_18offset_tEEE10hipError_tPvRmT1_PNSt15iterator_traitsISY_E10value_typeET2_T3_PNSZ_IS14_E10value_typeET4_jRbjT5_S1A_jjP12ihipStream_tbEUljE_EEESV_SW_SX_S14_S18_S1A_T6_T7_T9_mT8_S1C_bDpT10_ENKUlT_T0_E_clISt17integral_constantIbLb0EES1O_IbLb1EEEEDaS1K_S1L_EUlS1K_E_NS1_11comp_targetILNS1_3genE0ELNS1_11target_archE4294967295ELNS1_3gpuE0ELNS1_3repE0EEENS1_30default_config_static_selectorELNS0_4arch9wavefront6targetE1EEEvSY_
		.amdhsa_group_segment_fixed_size 0
		.amdhsa_private_segment_fixed_size 0
		.amdhsa_kernarg_size 152
		.amdhsa_user_sgpr_count 6
		.amdhsa_user_sgpr_private_segment_buffer 1
		.amdhsa_user_sgpr_dispatch_ptr 0
		.amdhsa_user_sgpr_queue_ptr 0
		.amdhsa_user_sgpr_kernarg_segment_ptr 1
		.amdhsa_user_sgpr_dispatch_id 0
		.amdhsa_user_sgpr_flat_scratch_init 0
		.amdhsa_user_sgpr_kernarg_preload_length 0
		.amdhsa_user_sgpr_kernarg_preload_offset 0
		.amdhsa_user_sgpr_private_segment_size 0
		.amdhsa_uses_dynamic_stack 0
		.amdhsa_system_sgpr_private_segment_wavefront_offset 0
		.amdhsa_system_sgpr_workgroup_id_x 1
		.amdhsa_system_sgpr_workgroup_id_y 0
		.amdhsa_system_sgpr_workgroup_id_z 0
		.amdhsa_system_sgpr_workgroup_info 0
		.amdhsa_system_vgpr_workitem_id 0
		.amdhsa_next_free_vgpr 1
		.amdhsa_next_free_sgpr 0
		.amdhsa_accum_offset 4
		.amdhsa_reserve_vcc 0
		.amdhsa_reserve_flat_scratch 0
		.amdhsa_float_round_mode_32 0
		.amdhsa_float_round_mode_16_64 0
		.amdhsa_float_denorm_mode_32 3
		.amdhsa_float_denorm_mode_16_64 3
		.amdhsa_dx10_clamp 1
		.amdhsa_ieee_mode 1
		.amdhsa_fp16_overflow 0
		.amdhsa_tg_split 0
		.amdhsa_exception_fp_ieee_invalid_op 0
		.amdhsa_exception_fp_denorm_src 0
		.amdhsa_exception_fp_ieee_div_zero 0
		.amdhsa_exception_fp_ieee_overflow 0
		.amdhsa_exception_fp_ieee_underflow 0
		.amdhsa_exception_fp_ieee_inexact 0
		.amdhsa_exception_int_div_zero 0
	.end_amdhsa_kernel
	.section	.text._ZN7rocprim17ROCPRIM_400000_NS6detail17trampoline_kernelINS0_13select_configILj256ELj13ELNS0_17block_load_methodE3ELS4_3ELS4_3ELNS0_20block_scan_algorithmE0ELj4294967295EEENS1_25partition_config_selectorILNS1_17partition_subalgoE3EjNS0_10empty_typeEbEEZZNS1_14partition_implILS8_3ELb0ES6_jNS0_17counting_iteratorIjlEEPS9_SE_NS0_5tupleIJPjSE_EEENSF_IJSE_SE_EEES9_SG_JZNS1_25segmented_radix_sort_implINS0_14default_configELb0EPKhPhPKlPlN2at6native12_GLOBAL__N_18offset_tEEE10hipError_tPvRmT1_PNSt15iterator_traitsISY_E10value_typeET2_T3_PNSZ_IS14_E10value_typeET4_jRbjT5_S1A_jjP12ihipStream_tbEUljE_EEESV_SW_SX_S14_S18_S1A_T6_T7_T9_mT8_S1C_bDpT10_ENKUlT_T0_E_clISt17integral_constantIbLb0EES1O_IbLb1EEEEDaS1K_S1L_EUlS1K_E_NS1_11comp_targetILNS1_3genE0ELNS1_11target_archE4294967295ELNS1_3gpuE0ELNS1_3repE0EEENS1_30default_config_static_selectorELNS0_4arch9wavefront6targetE1EEEvSY_,"axG",@progbits,_ZN7rocprim17ROCPRIM_400000_NS6detail17trampoline_kernelINS0_13select_configILj256ELj13ELNS0_17block_load_methodE3ELS4_3ELS4_3ELNS0_20block_scan_algorithmE0ELj4294967295EEENS1_25partition_config_selectorILNS1_17partition_subalgoE3EjNS0_10empty_typeEbEEZZNS1_14partition_implILS8_3ELb0ES6_jNS0_17counting_iteratorIjlEEPS9_SE_NS0_5tupleIJPjSE_EEENSF_IJSE_SE_EEES9_SG_JZNS1_25segmented_radix_sort_implINS0_14default_configELb0EPKhPhPKlPlN2at6native12_GLOBAL__N_18offset_tEEE10hipError_tPvRmT1_PNSt15iterator_traitsISY_E10value_typeET2_T3_PNSZ_IS14_E10value_typeET4_jRbjT5_S1A_jjP12ihipStream_tbEUljE_EEESV_SW_SX_S14_S18_S1A_T6_T7_T9_mT8_S1C_bDpT10_ENKUlT_T0_E_clISt17integral_constantIbLb0EES1O_IbLb1EEEEDaS1K_S1L_EUlS1K_E_NS1_11comp_targetILNS1_3genE0ELNS1_11target_archE4294967295ELNS1_3gpuE0ELNS1_3repE0EEENS1_30default_config_static_selectorELNS0_4arch9wavefront6targetE1EEEvSY_,comdat
.Lfunc_end178:
	.size	_ZN7rocprim17ROCPRIM_400000_NS6detail17trampoline_kernelINS0_13select_configILj256ELj13ELNS0_17block_load_methodE3ELS4_3ELS4_3ELNS0_20block_scan_algorithmE0ELj4294967295EEENS1_25partition_config_selectorILNS1_17partition_subalgoE3EjNS0_10empty_typeEbEEZZNS1_14partition_implILS8_3ELb0ES6_jNS0_17counting_iteratorIjlEEPS9_SE_NS0_5tupleIJPjSE_EEENSF_IJSE_SE_EEES9_SG_JZNS1_25segmented_radix_sort_implINS0_14default_configELb0EPKhPhPKlPlN2at6native12_GLOBAL__N_18offset_tEEE10hipError_tPvRmT1_PNSt15iterator_traitsISY_E10value_typeET2_T3_PNSZ_IS14_E10value_typeET4_jRbjT5_S1A_jjP12ihipStream_tbEUljE_EEESV_SW_SX_S14_S18_S1A_T6_T7_T9_mT8_S1C_bDpT10_ENKUlT_T0_E_clISt17integral_constantIbLb0EES1O_IbLb1EEEEDaS1K_S1L_EUlS1K_E_NS1_11comp_targetILNS1_3genE0ELNS1_11target_archE4294967295ELNS1_3gpuE0ELNS1_3repE0EEENS1_30default_config_static_selectorELNS0_4arch9wavefront6targetE1EEEvSY_, .Lfunc_end178-_ZN7rocprim17ROCPRIM_400000_NS6detail17trampoline_kernelINS0_13select_configILj256ELj13ELNS0_17block_load_methodE3ELS4_3ELS4_3ELNS0_20block_scan_algorithmE0ELj4294967295EEENS1_25partition_config_selectorILNS1_17partition_subalgoE3EjNS0_10empty_typeEbEEZZNS1_14partition_implILS8_3ELb0ES6_jNS0_17counting_iteratorIjlEEPS9_SE_NS0_5tupleIJPjSE_EEENSF_IJSE_SE_EEES9_SG_JZNS1_25segmented_radix_sort_implINS0_14default_configELb0EPKhPhPKlPlN2at6native12_GLOBAL__N_18offset_tEEE10hipError_tPvRmT1_PNSt15iterator_traitsISY_E10value_typeET2_T3_PNSZ_IS14_E10value_typeET4_jRbjT5_S1A_jjP12ihipStream_tbEUljE_EEESV_SW_SX_S14_S18_S1A_T6_T7_T9_mT8_S1C_bDpT10_ENKUlT_T0_E_clISt17integral_constantIbLb0EES1O_IbLb1EEEEDaS1K_S1L_EUlS1K_E_NS1_11comp_targetILNS1_3genE0ELNS1_11target_archE4294967295ELNS1_3gpuE0ELNS1_3repE0EEENS1_30default_config_static_selectorELNS0_4arch9wavefront6targetE1EEEvSY_
                                        ; -- End function
	.section	.AMDGPU.csdata,"",@progbits
; Kernel info:
; codeLenInByte = 0
; NumSgprs: 4
; NumVgprs: 0
; NumAgprs: 0
; TotalNumVgprs: 0
; ScratchSize: 0
; MemoryBound: 0
; FloatMode: 240
; IeeeMode: 1
; LDSByteSize: 0 bytes/workgroup (compile time only)
; SGPRBlocks: 0
; VGPRBlocks: 0
; NumSGPRsForWavesPerEU: 4
; NumVGPRsForWavesPerEU: 1
; AccumOffset: 4
; Occupancy: 8
; WaveLimiterHint : 0
; COMPUTE_PGM_RSRC2:SCRATCH_EN: 0
; COMPUTE_PGM_RSRC2:USER_SGPR: 6
; COMPUTE_PGM_RSRC2:TRAP_HANDLER: 0
; COMPUTE_PGM_RSRC2:TGID_X_EN: 1
; COMPUTE_PGM_RSRC2:TGID_Y_EN: 0
; COMPUTE_PGM_RSRC2:TGID_Z_EN: 0
; COMPUTE_PGM_RSRC2:TIDIG_COMP_CNT: 0
; COMPUTE_PGM_RSRC3_GFX90A:ACCUM_OFFSET: 0
; COMPUTE_PGM_RSRC3_GFX90A:TG_SPLIT: 0
	.section	.text._ZN7rocprim17ROCPRIM_400000_NS6detail17trampoline_kernelINS0_13select_configILj256ELj13ELNS0_17block_load_methodE3ELS4_3ELS4_3ELNS0_20block_scan_algorithmE0ELj4294967295EEENS1_25partition_config_selectorILNS1_17partition_subalgoE3EjNS0_10empty_typeEbEEZZNS1_14partition_implILS8_3ELb0ES6_jNS0_17counting_iteratorIjlEEPS9_SE_NS0_5tupleIJPjSE_EEENSF_IJSE_SE_EEES9_SG_JZNS1_25segmented_radix_sort_implINS0_14default_configELb0EPKhPhPKlPlN2at6native12_GLOBAL__N_18offset_tEEE10hipError_tPvRmT1_PNSt15iterator_traitsISY_E10value_typeET2_T3_PNSZ_IS14_E10value_typeET4_jRbjT5_S1A_jjP12ihipStream_tbEUljE_EEESV_SW_SX_S14_S18_S1A_T6_T7_T9_mT8_S1C_bDpT10_ENKUlT_T0_E_clISt17integral_constantIbLb0EES1O_IbLb1EEEEDaS1K_S1L_EUlS1K_E_NS1_11comp_targetILNS1_3genE5ELNS1_11target_archE942ELNS1_3gpuE9ELNS1_3repE0EEENS1_30default_config_static_selectorELNS0_4arch9wavefront6targetE1EEEvSY_,"axG",@progbits,_ZN7rocprim17ROCPRIM_400000_NS6detail17trampoline_kernelINS0_13select_configILj256ELj13ELNS0_17block_load_methodE3ELS4_3ELS4_3ELNS0_20block_scan_algorithmE0ELj4294967295EEENS1_25partition_config_selectorILNS1_17partition_subalgoE3EjNS0_10empty_typeEbEEZZNS1_14partition_implILS8_3ELb0ES6_jNS0_17counting_iteratorIjlEEPS9_SE_NS0_5tupleIJPjSE_EEENSF_IJSE_SE_EEES9_SG_JZNS1_25segmented_radix_sort_implINS0_14default_configELb0EPKhPhPKlPlN2at6native12_GLOBAL__N_18offset_tEEE10hipError_tPvRmT1_PNSt15iterator_traitsISY_E10value_typeET2_T3_PNSZ_IS14_E10value_typeET4_jRbjT5_S1A_jjP12ihipStream_tbEUljE_EEESV_SW_SX_S14_S18_S1A_T6_T7_T9_mT8_S1C_bDpT10_ENKUlT_T0_E_clISt17integral_constantIbLb0EES1O_IbLb1EEEEDaS1K_S1L_EUlS1K_E_NS1_11comp_targetILNS1_3genE5ELNS1_11target_archE942ELNS1_3gpuE9ELNS1_3repE0EEENS1_30default_config_static_selectorELNS0_4arch9wavefront6targetE1EEEvSY_,comdat
	.globl	_ZN7rocprim17ROCPRIM_400000_NS6detail17trampoline_kernelINS0_13select_configILj256ELj13ELNS0_17block_load_methodE3ELS4_3ELS4_3ELNS0_20block_scan_algorithmE0ELj4294967295EEENS1_25partition_config_selectorILNS1_17partition_subalgoE3EjNS0_10empty_typeEbEEZZNS1_14partition_implILS8_3ELb0ES6_jNS0_17counting_iteratorIjlEEPS9_SE_NS0_5tupleIJPjSE_EEENSF_IJSE_SE_EEES9_SG_JZNS1_25segmented_radix_sort_implINS0_14default_configELb0EPKhPhPKlPlN2at6native12_GLOBAL__N_18offset_tEEE10hipError_tPvRmT1_PNSt15iterator_traitsISY_E10value_typeET2_T3_PNSZ_IS14_E10value_typeET4_jRbjT5_S1A_jjP12ihipStream_tbEUljE_EEESV_SW_SX_S14_S18_S1A_T6_T7_T9_mT8_S1C_bDpT10_ENKUlT_T0_E_clISt17integral_constantIbLb0EES1O_IbLb1EEEEDaS1K_S1L_EUlS1K_E_NS1_11comp_targetILNS1_3genE5ELNS1_11target_archE942ELNS1_3gpuE9ELNS1_3repE0EEENS1_30default_config_static_selectorELNS0_4arch9wavefront6targetE1EEEvSY_ ; -- Begin function _ZN7rocprim17ROCPRIM_400000_NS6detail17trampoline_kernelINS0_13select_configILj256ELj13ELNS0_17block_load_methodE3ELS4_3ELS4_3ELNS0_20block_scan_algorithmE0ELj4294967295EEENS1_25partition_config_selectorILNS1_17partition_subalgoE3EjNS0_10empty_typeEbEEZZNS1_14partition_implILS8_3ELb0ES6_jNS0_17counting_iteratorIjlEEPS9_SE_NS0_5tupleIJPjSE_EEENSF_IJSE_SE_EEES9_SG_JZNS1_25segmented_radix_sort_implINS0_14default_configELb0EPKhPhPKlPlN2at6native12_GLOBAL__N_18offset_tEEE10hipError_tPvRmT1_PNSt15iterator_traitsISY_E10value_typeET2_T3_PNSZ_IS14_E10value_typeET4_jRbjT5_S1A_jjP12ihipStream_tbEUljE_EEESV_SW_SX_S14_S18_S1A_T6_T7_T9_mT8_S1C_bDpT10_ENKUlT_T0_E_clISt17integral_constantIbLb0EES1O_IbLb1EEEEDaS1K_S1L_EUlS1K_E_NS1_11comp_targetILNS1_3genE5ELNS1_11target_archE942ELNS1_3gpuE9ELNS1_3repE0EEENS1_30default_config_static_selectorELNS0_4arch9wavefront6targetE1EEEvSY_
	.p2align	8
	.type	_ZN7rocprim17ROCPRIM_400000_NS6detail17trampoline_kernelINS0_13select_configILj256ELj13ELNS0_17block_load_methodE3ELS4_3ELS4_3ELNS0_20block_scan_algorithmE0ELj4294967295EEENS1_25partition_config_selectorILNS1_17partition_subalgoE3EjNS0_10empty_typeEbEEZZNS1_14partition_implILS8_3ELb0ES6_jNS0_17counting_iteratorIjlEEPS9_SE_NS0_5tupleIJPjSE_EEENSF_IJSE_SE_EEES9_SG_JZNS1_25segmented_radix_sort_implINS0_14default_configELb0EPKhPhPKlPlN2at6native12_GLOBAL__N_18offset_tEEE10hipError_tPvRmT1_PNSt15iterator_traitsISY_E10value_typeET2_T3_PNSZ_IS14_E10value_typeET4_jRbjT5_S1A_jjP12ihipStream_tbEUljE_EEESV_SW_SX_S14_S18_S1A_T6_T7_T9_mT8_S1C_bDpT10_ENKUlT_T0_E_clISt17integral_constantIbLb0EES1O_IbLb1EEEEDaS1K_S1L_EUlS1K_E_NS1_11comp_targetILNS1_3genE5ELNS1_11target_archE942ELNS1_3gpuE9ELNS1_3repE0EEENS1_30default_config_static_selectorELNS0_4arch9wavefront6targetE1EEEvSY_,@function
_ZN7rocprim17ROCPRIM_400000_NS6detail17trampoline_kernelINS0_13select_configILj256ELj13ELNS0_17block_load_methodE3ELS4_3ELS4_3ELNS0_20block_scan_algorithmE0ELj4294967295EEENS1_25partition_config_selectorILNS1_17partition_subalgoE3EjNS0_10empty_typeEbEEZZNS1_14partition_implILS8_3ELb0ES6_jNS0_17counting_iteratorIjlEEPS9_SE_NS0_5tupleIJPjSE_EEENSF_IJSE_SE_EEES9_SG_JZNS1_25segmented_radix_sort_implINS0_14default_configELb0EPKhPhPKlPlN2at6native12_GLOBAL__N_18offset_tEEE10hipError_tPvRmT1_PNSt15iterator_traitsISY_E10value_typeET2_T3_PNSZ_IS14_E10value_typeET4_jRbjT5_S1A_jjP12ihipStream_tbEUljE_EEESV_SW_SX_S14_S18_S1A_T6_T7_T9_mT8_S1C_bDpT10_ENKUlT_T0_E_clISt17integral_constantIbLb0EES1O_IbLb1EEEEDaS1K_S1L_EUlS1K_E_NS1_11comp_targetILNS1_3genE5ELNS1_11target_archE942ELNS1_3gpuE9ELNS1_3repE0EEENS1_30default_config_static_selectorELNS0_4arch9wavefront6targetE1EEEvSY_: ; @_ZN7rocprim17ROCPRIM_400000_NS6detail17trampoline_kernelINS0_13select_configILj256ELj13ELNS0_17block_load_methodE3ELS4_3ELS4_3ELNS0_20block_scan_algorithmE0ELj4294967295EEENS1_25partition_config_selectorILNS1_17partition_subalgoE3EjNS0_10empty_typeEbEEZZNS1_14partition_implILS8_3ELb0ES6_jNS0_17counting_iteratorIjlEEPS9_SE_NS0_5tupleIJPjSE_EEENSF_IJSE_SE_EEES9_SG_JZNS1_25segmented_radix_sort_implINS0_14default_configELb0EPKhPhPKlPlN2at6native12_GLOBAL__N_18offset_tEEE10hipError_tPvRmT1_PNSt15iterator_traitsISY_E10value_typeET2_T3_PNSZ_IS14_E10value_typeET4_jRbjT5_S1A_jjP12ihipStream_tbEUljE_EEESV_SW_SX_S14_S18_S1A_T6_T7_T9_mT8_S1C_bDpT10_ENKUlT_T0_E_clISt17integral_constantIbLb0EES1O_IbLb1EEEEDaS1K_S1L_EUlS1K_E_NS1_11comp_targetILNS1_3genE5ELNS1_11target_archE942ELNS1_3gpuE9ELNS1_3repE0EEENS1_30default_config_static_selectorELNS0_4arch9wavefront6targetE1EEEvSY_
; %bb.0:
	.section	.rodata,"a",@progbits
	.p2align	6, 0x0
	.amdhsa_kernel _ZN7rocprim17ROCPRIM_400000_NS6detail17trampoline_kernelINS0_13select_configILj256ELj13ELNS0_17block_load_methodE3ELS4_3ELS4_3ELNS0_20block_scan_algorithmE0ELj4294967295EEENS1_25partition_config_selectorILNS1_17partition_subalgoE3EjNS0_10empty_typeEbEEZZNS1_14partition_implILS8_3ELb0ES6_jNS0_17counting_iteratorIjlEEPS9_SE_NS0_5tupleIJPjSE_EEENSF_IJSE_SE_EEES9_SG_JZNS1_25segmented_radix_sort_implINS0_14default_configELb0EPKhPhPKlPlN2at6native12_GLOBAL__N_18offset_tEEE10hipError_tPvRmT1_PNSt15iterator_traitsISY_E10value_typeET2_T3_PNSZ_IS14_E10value_typeET4_jRbjT5_S1A_jjP12ihipStream_tbEUljE_EEESV_SW_SX_S14_S18_S1A_T6_T7_T9_mT8_S1C_bDpT10_ENKUlT_T0_E_clISt17integral_constantIbLb0EES1O_IbLb1EEEEDaS1K_S1L_EUlS1K_E_NS1_11comp_targetILNS1_3genE5ELNS1_11target_archE942ELNS1_3gpuE9ELNS1_3repE0EEENS1_30default_config_static_selectorELNS0_4arch9wavefront6targetE1EEEvSY_
		.amdhsa_group_segment_fixed_size 0
		.amdhsa_private_segment_fixed_size 0
		.amdhsa_kernarg_size 152
		.amdhsa_user_sgpr_count 6
		.amdhsa_user_sgpr_private_segment_buffer 1
		.amdhsa_user_sgpr_dispatch_ptr 0
		.amdhsa_user_sgpr_queue_ptr 0
		.amdhsa_user_sgpr_kernarg_segment_ptr 1
		.amdhsa_user_sgpr_dispatch_id 0
		.amdhsa_user_sgpr_flat_scratch_init 0
		.amdhsa_user_sgpr_kernarg_preload_length 0
		.amdhsa_user_sgpr_kernarg_preload_offset 0
		.amdhsa_user_sgpr_private_segment_size 0
		.amdhsa_uses_dynamic_stack 0
		.amdhsa_system_sgpr_private_segment_wavefront_offset 0
		.amdhsa_system_sgpr_workgroup_id_x 1
		.amdhsa_system_sgpr_workgroup_id_y 0
		.amdhsa_system_sgpr_workgroup_id_z 0
		.amdhsa_system_sgpr_workgroup_info 0
		.amdhsa_system_vgpr_workitem_id 0
		.amdhsa_next_free_vgpr 1
		.amdhsa_next_free_sgpr 0
		.amdhsa_accum_offset 4
		.amdhsa_reserve_vcc 0
		.amdhsa_reserve_flat_scratch 0
		.amdhsa_float_round_mode_32 0
		.amdhsa_float_round_mode_16_64 0
		.amdhsa_float_denorm_mode_32 3
		.amdhsa_float_denorm_mode_16_64 3
		.amdhsa_dx10_clamp 1
		.amdhsa_ieee_mode 1
		.amdhsa_fp16_overflow 0
		.amdhsa_tg_split 0
		.amdhsa_exception_fp_ieee_invalid_op 0
		.amdhsa_exception_fp_denorm_src 0
		.amdhsa_exception_fp_ieee_div_zero 0
		.amdhsa_exception_fp_ieee_overflow 0
		.amdhsa_exception_fp_ieee_underflow 0
		.amdhsa_exception_fp_ieee_inexact 0
		.amdhsa_exception_int_div_zero 0
	.end_amdhsa_kernel
	.section	.text._ZN7rocprim17ROCPRIM_400000_NS6detail17trampoline_kernelINS0_13select_configILj256ELj13ELNS0_17block_load_methodE3ELS4_3ELS4_3ELNS0_20block_scan_algorithmE0ELj4294967295EEENS1_25partition_config_selectorILNS1_17partition_subalgoE3EjNS0_10empty_typeEbEEZZNS1_14partition_implILS8_3ELb0ES6_jNS0_17counting_iteratorIjlEEPS9_SE_NS0_5tupleIJPjSE_EEENSF_IJSE_SE_EEES9_SG_JZNS1_25segmented_radix_sort_implINS0_14default_configELb0EPKhPhPKlPlN2at6native12_GLOBAL__N_18offset_tEEE10hipError_tPvRmT1_PNSt15iterator_traitsISY_E10value_typeET2_T3_PNSZ_IS14_E10value_typeET4_jRbjT5_S1A_jjP12ihipStream_tbEUljE_EEESV_SW_SX_S14_S18_S1A_T6_T7_T9_mT8_S1C_bDpT10_ENKUlT_T0_E_clISt17integral_constantIbLb0EES1O_IbLb1EEEEDaS1K_S1L_EUlS1K_E_NS1_11comp_targetILNS1_3genE5ELNS1_11target_archE942ELNS1_3gpuE9ELNS1_3repE0EEENS1_30default_config_static_selectorELNS0_4arch9wavefront6targetE1EEEvSY_,"axG",@progbits,_ZN7rocprim17ROCPRIM_400000_NS6detail17trampoline_kernelINS0_13select_configILj256ELj13ELNS0_17block_load_methodE3ELS4_3ELS4_3ELNS0_20block_scan_algorithmE0ELj4294967295EEENS1_25partition_config_selectorILNS1_17partition_subalgoE3EjNS0_10empty_typeEbEEZZNS1_14partition_implILS8_3ELb0ES6_jNS0_17counting_iteratorIjlEEPS9_SE_NS0_5tupleIJPjSE_EEENSF_IJSE_SE_EEES9_SG_JZNS1_25segmented_radix_sort_implINS0_14default_configELb0EPKhPhPKlPlN2at6native12_GLOBAL__N_18offset_tEEE10hipError_tPvRmT1_PNSt15iterator_traitsISY_E10value_typeET2_T3_PNSZ_IS14_E10value_typeET4_jRbjT5_S1A_jjP12ihipStream_tbEUljE_EEESV_SW_SX_S14_S18_S1A_T6_T7_T9_mT8_S1C_bDpT10_ENKUlT_T0_E_clISt17integral_constantIbLb0EES1O_IbLb1EEEEDaS1K_S1L_EUlS1K_E_NS1_11comp_targetILNS1_3genE5ELNS1_11target_archE942ELNS1_3gpuE9ELNS1_3repE0EEENS1_30default_config_static_selectorELNS0_4arch9wavefront6targetE1EEEvSY_,comdat
.Lfunc_end179:
	.size	_ZN7rocprim17ROCPRIM_400000_NS6detail17trampoline_kernelINS0_13select_configILj256ELj13ELNS0_17block_load_methodE3ELS4_3ELS4_3ELNS0_20block_scan_algorithmE0ELj4294967295EEENS1_25partition_config_selectorILNS1_17partition_subalgoE3EjNS0_10empty_typeEbEEZZNS1_14partition_implILS8_3ELb0ES6_jNS0_17counting_iteratorIjlEEPS9_SE_NS0_5tupleIJPjSE_EEENSF_IJSE_SE_EEES9_SG_JZNS1_25segmented_radix_sort_implINS0_14default_configELb0EPKhPhPKlPlN2at6native12_GLOBAL__N_18offset_tEEE10hipError_tPvRmT1_PNSt15iterator_traitsISY_E10value_typeET2_T3_PNSZ_IS14_E10value_typeET4_jRbjT5_S1A_jjP12ihipStream_tbEUljE_EEESV_SW_SX_S14_S18_S1A_T6_T7_T9_mT8_S1C_bDpT10_ENKUlT_T0_E_clISt17integral_constantIbLb0EES1O_IbLb1EEEEDaS1K_S1L_EUlS1K_E_NS1_11comp_targetILNS1_3genE5ELNS1_11target_archE942ELNS1_3gpuE9ELNS1_3repE0EEENS1_30default_config_static_selectorELNS0_4arch9wavefront6targetE1EEEvSY_, .Lfunc_end179-_ZN7rocprim17ROCPRIM_400000_NS6detail17trampoline_kernelINS0_13select_configILj256ELj13ELNS0_17block_load_methodE3ELS4_3ELS4_3ELNS0_20block_scan_algorithmE0ELj4294967295EEENS1_25partition_config_selectorILNS1_17partition_subalgoE3EjNS0_10empty_typeEbEEZZNS1_14partition_implILS8_3ELb0ES6_jNS0_17counting_iteratorIjlEEPS9_SE_NS0_5tupleIJPjSE_EEENSF_IJSE_SE_EEES9_SG_JZNS1_25segmented_radix_sort_implINS0_14default_configELb0EPKhPhPKlPlN2at6native12_GLOBAL__N_18offset_tEEE10hipError_tPvRmT1_PNSt15iterator_traitsISY_E10value_typeET2_T3_PNSZ_IS14_E10value_typeET4_jRbjT5_S1A_jjP12ihipStream_tbEUljE_EEESV_SW_SX_S14_S18_S1A_T6_T7_T9_mT8_S1C_bDpT10_ENKUlT_T0_E_clISt17integral_constantIbLb0EES1O_IbLb1EEEEDaS1K_S1L_EUlS1K_E_NS1_11comp_targetILNS1_3genE5ELNS1_11target_archE942ELNS1_3gpuE9ELNS1_3repE0EEENS1_30default_config_static_selectorELNS0_4arch9wavefront6targetE1EEEvSY_
                                        ; -- End function
	.section	.AMDGPU.csdata,"",@progbits
; Kernel info:
; codeLenInByte = 0
; NumSgprs: 4
; NumVgprs: 0
; NumAgprs: 0
; TotalNumVgprs: 0
; ScratchSize: 0
; MemoryBound: 0
; FloatMode: 240
; IeeeMode: 1
; LDSByteSize: 0 bytes/workgroup (compile time only)
; SGPRBlocks: 0
; VGPRBlocks: 0
; NumSGPRsForWavesPerEU: 4
; NumVGPRsForWavesPerEU: 1
; AccumOffset: 4
; Occupancy: 8
; WaveLimiterHint : 0
; COMPUTE_PGM_RSRC2:SCRATCH_EN: 0
; COMPUTE_PGM_RSRC2:USER_SGPR: 6
; COMPUTE_PGM_RSRC2:TRAP_HANDLER: 0
; COMPUTE_PGM_RSRC2:TGID_X_EN: 1
; COMPUTE_PGM_RSRC2:TGID_Y_EN: 0
; COMPUTE_PGM_RSRC2:TGID_Z_EN: 0
; COMPUTE_PGM_RSRC2:TIDIG_COMP_CNT: 0
; COMPUTE_PGM_RSRC3_GFX90A:ACCUM_OFFSET: 0
; COMPUTE_PGM_RSRC3_GFX90A:TG_SPLIT: 0
	.section	.text._ZN7rocprim17ROCPRIM_400000_NS6detail17trampoline_kernelINS0_13select_configILj256ELj13ELNS0_17block_load_methodE3ELS4_3ELS4_3ELNS0_20block_scan_algorithmE0ELj4294967295EEENS1_25partition_config_selectorILNS1_17partition_subalgoE3EjNS0_10empty_typeEbEEZZNS1_14partition_implILS8_3ELb0ES6_jNS0_17counting_iteratorIjlEEPS9_SE_NS0_5tupleIJPjSE_EEENSF_IJSE_SE_EEES9_SG_JZNS1_25segmented_radix_sort_implINS0_14default_configELb0EPKhPhPKlPlN2at6native12_GLOBAL__N_18offset_tEEE10hipError_tPvRmT1_PNSt15iterator_traitsISY_E10value_typeET2_T3_PNSZ_IS14_E10value_typeET4_jRbjT5_S1A_jjP12ihipStream_tbEUljE_EEESV_SW_SX_S14_S18_S1A_T6_T7_T9_mT8_S1C_bDpT10_ENKUlT_T0_E_clISt17integral_constantIbLb0EES1O_IbLb1EEEEDaS1K_S1L_EUlS1K_E_NS1_11comp_targetILNS1_3genE4ELNS1_11target_archE910ELNS1_3gpuE8ELNS1_3repE0EEENS1_30default_config_static_selectorELNS0_4arch9wavefront6targetE1EEEvSY_,"axG",@progbits,_ZN7rocprim17ROCPRIM_400000_NS6detail17trampoline_kernelINS0_13select_configILj256ELj13ELNS0_17block_load_methodE3ELS4_3ELS4_3ELNS0_20block_scan_algorithmE0ELj4294967295EEENS1_25partition_config_selectorILNS1_17partition_subalgoE3EjNS0_10empty_typeEbEEZZNS1_14partition_implILS8_3ELb0ES6_jNS0_17counting_iteratorIjlEEPS9_SE_NS0_5tupleIJPjSE_EEENSF_IJSE_SE_EEES9_SG_JZNS1_25segmented_radix_sort_implINS0_14default_configELb0EPKhPhPKlPlN2at6native12_GLOBAL__N_18offset_tEEE10hipError_tPvRmT1_PNSt15iterator_traitsISY_E10value_typeET2_T3_PNSZ_IS14_E10value_typeET4_jRbjT5_S1A_jjP12ihipStream_tbEUljE_EEESV_SW_SX_S14_S18_S1A_T6_T7_T9_mT8_S1C_bDpT10_ENKUlT_T0_E_clISt17integral_constantIbLb0EES1O_IbLb1EEEEDaS1K_S1L_EUlS1K_E_NS1_11comp_targetILNS1_3genE4ELNS1_11target_archE910ELNS1_3gpuE8ELNS1_3repE0EEENS1_30default_config_static_selectorELNS0_4arch9wavefront6targetE1EEEvSY_,comdat
	.globl	_ZN7rocprim17ROCPRIM_400000_NS6detail17trampoline_kernelINS0_13select_configILj256ELj13ELNS0_17block_load_methodE3ELS4_3ELS4_3ELNS0_20block_scan_algorithmE0ELj4294967295EEENS1_25partition_config_selectorILNS1_17partition_subalgoE3EjNS0_10empty_typeEbEEZZNS1_14partition_implILS8_3ELb0ES6_jNS0_17counting_iteratorIjlEEPS9_SE_NS0_5tupleIJPjSE_EEENSF_IJSE_SE_EEES9_SG_JZNS1_25segmented_radix_sort_implINS0_14default_configELb0EPKhPhPKlPlN2at6native12_GLOBAL__N_18offset_tEEE10hipError_tPvRmT1_PNSt15iterator_traitsISY_E10value_typeET2_T3_PNSZ_IS14_E10value_typeET4_jRbjT5_S1A_jjP12ihipStream_tbEUljE_EEESV_SW_SX_S14_S18_S1A_T6_T7_T9_mT8_S1C_bDpT10_ENKUlT_T0_E_clISt17integral_constantIbLb0EES1O_IbLb1EEEEDaS1K_S1L_EUlS1K_E_NS1_11comp_targetILNS1_3genE4ELNS1_11target_archE910ELNS1_3gpuE8ELNS1_3repE0EEENS1_30default_config_static_selectorELNS0_4arch9wavefront6targetE1EEEvSY_ ; -- Begin function _ZN7rocprim17ROCPRIM_400000_NS6detail17trampoline_kernelINS0_13select_configILj256ELj13ELNS0_17block_load_methodE3ELS4_3ELS4_3ELNS0_20block_scan_algorithmE0ELj4294967295EEENS1_25partition_config_selectorILNS1_17partition_subalgoE3EjNS0_10empty_typeEbEEZZNS1_14partition_implILS8_3ELb0ES6_jNS0_17counting_iteratorIjlEEPS9_SE_NS0_5tupleIJPjSE_EEENSF_IJSE_SE_EEES9_SG_JZNS1_25segmented_radix_sort_implINS0_14default_configELb0EPKhPhPKlPlN2at6native12_GLOBAL__N_18offset_tEEE10hipError_tPvRmT1_PNSt15iterator_traitsISY_E10value_typeET2_T3_PNSZ_IS14_E10value_typeET4_jRbjT5_S1A_jjP12ihipStream_tbEUljE_EEESV_SW_SX_S14_S18_S1A_T6_T7_T9_mT8_S1C_bDpT10_ENKUlT_T0_E_clISt17integral_constantIbLb0EES1O_IbLb1EEEEDaS1K_S1L_EUlS1K_E_NS1_11comp_targetILNS1_3genE4ELNS1_11target_archE910ELNS1_3gpuE8ELNS1_3repE0EEENS1_30default_config_static_selectorELNS0_4arch9wavefront6targetE1EEEvSY_
	.p2align	8
	.type	_ZN7rocprim17ROCPRIM_400000_NS6detail17trampoline_kernelINS0_13select_configILj256ELj13ELNS0_17block_load_methodE3ELS4_3ELS4_3ELNS0_20block_scan_algorithmE0ELj4294967295EEENS1_25partition_config_selectorILNS1_17partition_subalgoE3EjNS0_10empty_typeEbEEZZNS1_14partition_implILS8_3ELb0ES6_jNS0_17counting_iteratorIjlEEPS9_SE_NS0_5tupleIJPjSE_EEENSF_IJSE_SE_EEES9_SG_JZNS1_25segmented_radix_sort_implINS0_14default_configELb0EPKhPhPKlPlN2at6native12_GLOBAL__N_18offset_tEEE10hipError_tPvRmT1_PNSt15iterator_traitsISY_E10value_typeET2_T3_PNSZ_IS14_E10value_typeET4_jRbjT5_S1A_jjP12ihipStream_tbEUljE_EEESV_SW_SX_S14_S18_S1A_T6_T7_T9_mT8_S1C_bDpT10_ENKUlT_T0_E_clISt17integral_constantIbLb0EES1O_IbLb1EEEEDaS1K_S1L_EUlS1K_E_NS1_11comp_targetILNS1_3genE4ELNS1_11target_archE910ELNS1_3gpuE8ELNS1_3repE0EEENS1_30default_config_static_selectorELNS0_4arch9wavefront6targetE1EEEvSY_,@function
_ZN7rocprim17ROCPRIM_400000_NS6detail17trampoline_kernelINS0_13select_configILj256ELj13ELNS0_17block_load_methodE3ELS4_3ELS4_3ELNS0_20block_scan_algorithmE0ELj4294967295EEENS1_25partition_config_selectorILNS1_17partition_subalgoE3EjNS0_10empty_typeEbEEZZNS1_14partition_implILS8_3ELb0ES6_jNS0_17counting_iteratorIjlEEPS9_SE_NS0_5tupleIJPjSE_EEENSF_IJSE_SE_EEES9_SG_JZNS1_25segmented_radix_sort_implINS0_14default_configELb0EPKhPhPKlPlN2at6native12_GLOBAL__N_18offset_tEEE10hipError_tPvRmT1_PNSt15iterator_traitsISY_E10value_typeET2_T3_PNSZ_IS14_E10value_typeET4_jRbjT5_S1A_jjP12ihipStream_tbEUljE_EEESV_SW_SX_S14_S18_S1A_T6_T7_T9_mT8_S1C_bDpT10_ENKUlT_T0_E_clISt17integral_constantIbLb0EES1O_IbLb1EEEEDaS1K_S1L_EUlS1K_E_NS1_11comp_targetILNS1_3genE4ELNS1_11target_archE910ELNS1_3gpuE8ELNS1_3repE0EEENS1_30default_config_static_selectorELNS0_4arch9wavefront6targetE1EEEvSY_: ; @_ZN7rocprim17ROCPRIM_400000_NS6detail17trampoline_kernelINS0_13select_configILj256ELj13ELNS0_17block_load_methodE3ELS4_3ELS4_3ELNS0_20block_scan_algorithmE0ELj4294967295EEENS1_25partition_config_selectorILNS1_17partition_subalgoE3EjNS0_10empty_typeEbEEZZNS1_14partition_implILS8_3ELb0ES6_jNS0_17counting_iteratorIjlEEPS9_SE_NS0_5tupleIJPjSE_EEENSF_IJSE_SE_EEES9_SG_JZNS1_25segmented_radix_sort_implINS0_14default_configELb0EPKhPhPKlPlN2at6native12_GLOBAL__N_18offset_tEEE10hipError_tPvRmT1_PNSt15iterator_traitsISY_E10value_typeET2_T3_PNSZ_IS14_E10value_typeET4_jRbjT5_S1A_jjP12ihipStream_tbEUljE_EEESV_SW_SX_S14_S18_S1A_T6_T7_T9_mT8_S1C_bDpT10_ENKUlT_T0_E_clISt17integral_constantIbLb0EES1O_IbLb1EEEEDaS1K_S1L_EUlS1K_E_NS1_11comp_targetILNS1_3genE4ELNS1_11target_archE910ELNS1_3gpuE8ELNS1_3repE0EEENS1_30default_config_static_selectorELNS0_4arch9wavefront6targetE1EEEvSY_
; %bb.0:
	s_load_dwordx2 s[28:29], s[4:5], 0x10
	s_load_dwordx2 s[24:25], s[4:5], 0x28
	s_load_dwordx2 s[26:27], s[4:5], 0x58
	s_load_dwordx4 s[20:23], s[4:5], 0x48
	s_load_dword s14, s[4:5], 0x90
	s_load_dwordx2 s[30:31], s[4:5], 0x68
	s_load_dwordx4 s[8:11], s[4:5], 0x80
	v_cmp_eq_u32_e64 s[0:1], 0, v0
	s_and_saveexec_b64 s[2:3], s[0:1]
	s_cbranch_execz .LBB180_4
; %bb.1:
	s_mov_b64 s[12:13], exec
	v_mbcnt_lo_u32_b32 v1, s12, 0
	v_mbcnt_hi_u32_b32 v1, s13, v1
	v_cmp_eq_u32_e32 vcc, 0, v1
                                        ; implicit-def: $vgpr2
	s_and_saveexec_b64 s[6:7], vcc
	s_cbranch_execz .LBB180_3
; %bb.2:
	s_load_dwordx2 s[16:17], s[4:5], 0x78
	s_bcnt1_i32_b64 s12, s[12:13]
	v_mov_b32_e32 v2, 0
	v_mov_b32_e32 v3, s12
	s_waitcnt lgkmcnt(0)
	global_atomic_add v2, v2, v3, s[16:17] glc
.LBB180_3:
	s_or_b64 exec, exec, s[6:7]
	s_waitcnt vmcnt(0)
	v_readfirstlane_b32 s6, v2
	v_add_u32_e32 v1, s6, v1
	v_mov_b32_e32 v2, 0
	ds_write_b32 v2, v1
.LBB180_4:
	s_or_b64 exec, exec, s[2:3]
	v_mov_b32_e32 v1, 0
	s_load_dword s2, s[4:5], 0x8
	s_load_dword s6, s[4:5], 0x70
	s_waitcnt lgkmcnt(0)
	s_barrier
	ds_read_b32 v2, v1
	s_waitcnt lgkmcnt(0)
	s_barrier
	global_load_dwordx2 v[20:21], v1, s[22:23]
	s_add_i32 s7, s2, s28
	s_movk_i32 s2, 0xd00
	s_add_i32 s4, s6, -1
	s_mulk_i32 s6, 0xd00
	v_mul_lo_u32 v34, v2, s2
	s_add_u32 s2, s28, s6
	v_readfirstlane_b32 s40, v2
	s_addc_u32 s3, s29, 0
	s_cmp_eq_u32 s40, s4
	v_pk_mov_b32 v[2:3], s[26:27], s[26:27] op_sel:[0,1]
	s_cselect_b64 s[22:23], -1, 0
	s_cmp_lg_u32 s40, s4
	v_cmp_lt_u64_e32 vcc, s[2:3], v[2:3]
	s_cselect_b64 s[2:3], -1, 0
	s_or_b64 s[4:5], vcc, s[2:3]
	v_add_u32_e32 v1, s7, v34
	s_mov_b64 s[2:3], -1
	s_and_b64 vcc, exec, s[4:5]
	v_add_u32_e32 v2, v1, v0
	v_lshlrev_b32_e32 v1, 2, v0
	s_cbranch_vccz .LBB180_6
; %bb.5:
	v_add_u32_e32 v3, 0x100, v2
	v_add_u32_e32 v4, 0x200, v2
	;; [unrolled: 1-line block ×12, first 2 shown]
	ds_write2st64_b32 v1, v2, v3 offset1:4
	ds_write2st64_b32 v1, v4, v5 offset0:8 offset1:12
	ds_write2st64_b32 v1, v6, v7 offset0:16 offset1:20
	;; [unrolled: 1-line block ×5, first 2 shown]
	ds_write_b32 v1, v14 offset:12288
	s_waitcnt lgkmcnt(0)
	s_barrier
	s_mov_b64 s[2:3], 0
.LBB180_6:
	s_andn2_b64 vcc, exec, s[2:3]
	s_add_i32 s6, s6, s28
	s_cbranch_vccnz .LBB180_8
; %bb.7:
	v_add_u32_e32 v3, 0x100, v2
	v_add_u32_e32 v4, 0x200, v2
	;; [unrolled: 1-line block ×12, first 2 shown]
	ds_write2st64_b32 v1, v2, v3 offset1:4
	ds_write2st64_b32 v1, v4, v5 offset0:8 offset1:12
	ds_write2st64_b32 v1, v6, v7 offset0:16 offset1:20
	;; [unrolled: 1-line block ×5, first 2 shown]
	ds_write_b32 v1, v14 offset:12288
	s_waitcnt lgkmcnt(0)
	s_barrier
.LBB180_8:
	v_mul_u32_u24_e32 v36, 13, v0
	v_lshlrev_b32_e32 v2, 2, v36
	ds_read2_b32 v[32:33], v2 offset1:1
	ds_read2_b32 v[30:31], v2 offset0:2 offset1:3
	ds_read2_b32 v[28:29], v2 offset0:4 offset1:5
	;; [unrolled: 1-line block ×5, first 2 shown]
	ds_read_b32 v35, v2 offset:48
	v_cndmask_b32_e64 v2, 0, 1, s[4:5]
	s_sub_i32 s33, s26, s6
	v_cmp_ne_u32_e64 s[2:3], 1, v2
	s_andn2_b64 vcc, exec, s[4:5]
	s_waitcnt lgkmcnt(0)
	s_barrier
	s_cbranch_vccnz .LBB180_10
; %bb.9:
	v_add_u32_e32 v2, s9, v32
	v_add_u32_e32 v3, s11, v32
	v_mul_lo_u32 v2, v2, s8
	v_mul_lo_u32 v3, v3, s10
	v_sub_u32_e32 v2, v2, v3
	v_add_u32_e32 v3, s9, v33
	v_add_u32_e32 v4, s11, v33
	v_mul_lo_u32 v3, v3, s8
	v_mul_lo_u32 v4, v4, s10
	v_sub_u32_e32 v3, v3, v4
	;; [unrolled: 5-line block ×6, first 2 shown]
	v_add_u32_e32 v8, s9, v26
	v_add_u32_e32 v9, s11, v26
	v_mul_lo_u32 v8, v8, s8
	v_mul_lo_u32 v9, v9, s10
	v_cmp_lt_u32_e32 vcc, s14, v2
	v_sub_u32_e32 v8, v8, v9
	v_add_u32_e32 v9, s9, v27
	v_add_u32_e32 v10, s11, v27
	v_cndmask_b32_e64 v2, 0, 1, vcc
	v_cmp_lt_u32_e32 vcc, s14, v3
	v_mul_lo_u32 v9, v9, s8
	v_mul_lo_u32 v10, v10, s10
	v_cndmask_b32_e64 v3, 0, 1, vcc
	v_cmp_lt_u32_e32 vcc, s14, v4
	v_sub_u32_e32 v9, v9, v10
	v_add_u32_e32 v10, s9, v24
	v_add_u32_e32 v11, s11, v24
	v_cndmask_b32_e64 v4, 0, 1, vcc
	v_cmp_lt_u32_e32 vcc, s14, v5
	v_mul_lo_u32 v10, v10, s8
	v_mul_lo_u32 v11, v11, s10
	v_cndmask_b32_e64 v5, 0, 1, vcc
	v_cmp_lt_u32_e32 vcc, s14, v6
	v_sub_u32_e32 v10, v10, v11
	v_add_u32_e32 v11, s9, v25
	v_add_u32_e32 v12, s11, v25
	v_cndmask_b32_e64 v6, 0, 1, vcc
	v_cmp_lt_u32_e32 vcc, s14, v7
	v_mul_lo_u32 v11, v11, s8
	v_mul_lo_u32 v12, v12, s10
	v_cndmask_b32_e64 v7, 0, 1, vcc
	v_cmp_lt_u32_e32 vcc, s14, v8
	v_sub_u32_e32 v11, v11, v12
	v_add_u32_e32 v12, s9, v22
	v_add_u32_e32 v13, s11, v22
	v_cndmask_b32_e64 v8, 0, 1, vcc
	v_cmp_lt_u32_e32 vcc, s14, v9
	v_mul_lo_u32 v12, v12, s8
	v_mul_lo_u32 v13, v13, s10
	v_cndmask_b32_e64 v9, 0, 1, vcc
	v_cmp_lt_u32_e32 vcc, s14, v10
	v_sub_u32_e32 v12, v12, v13
	v_add_u32_e32 v13, s9, v23
	v_add_u32_e32 v14, s11, v23
	v_lshlrev_b16_e32 v3, 8, v3
	v_cndmask_b32_e64 v10, 0, 1, vcc
	v_cmp_lt_u32_e32 vcc, s14, v11
	v_mul_lo_u32 v13, v13, s8
	v_mul_lo_u32 v14, v14, s10
	v_or_b32_e32 v2, v2, v3
	v_lshlrev_b16_e32 v3, 8, v5
	v_cndmask_b32_e64 v11, 0, 1, vcc
	v_cmp_lt_u32_e32 vcc, s14, v12
	v_sub_u32_e32 v13, v13, v14
	v_or_b32_sdwa v3, v4, v3 dst_sel:WORD_1 dst_unused:UNUSED_PAD src0_sel:DWORD src1_sel:DWORD
	v_cndmask_b32_e64 v12, 0, 1, vcc
	v_cmp_lt_u32_e32 vcc, s14, v13
	v_add_u32_e32 v14, s9, v35
	v_add_u32_e32 v15, s11, v35
	v_or_b32_sdwa v40, v2, v3 dst_sel:DWORD dst_unused:UNUSED_PAD src0_sel:WORD_0 src1_sel:DWORD
	v_lshlrev_b16_e32 v2, 8, v7
	v_lshlrev_b16_e32 v3, 8, v9
	v_cndmask_b32_e64 v13, 0, 1, vcc
	v_mul_lo_u32 v14, v14, s8
	v_mul_lo_u32 v15, v15, s10
	v_or_b32_e32 v2, v6, v2
	v_or_b32_sdwa v3, v8, v3 dst_sel:WORD_1 dst_unused:UNUSED_PAD src0_sel:DWORD src1_sel:DWORD
	v_sub_u32_e32 v14, v14, v15
	v_or_b32_sdwa v39, v2, v3 dst_sel:DWORD dst_unused:UNUSED_PAD src0_sel:WORD_0 src1_sel:DWORD
	v_lshlrev_b16_e32 v2, 8, v11
	v_lshlrev_b16_e32 v3, 8, v13
	v_cmp_lt_u32_e32 vcc, s14, v14
	v_or_b32_e32 v2, v10, v2
	v_or_b32_sdwa v3, v12, v3 dst_sel:WORD_1 dst_unused:UNUSED_PAD src0_sel:DWORD src1_sel:DWORD
	v_cndmask_b32_e64 v37, 0, 1, vcc
	v_or_b32_sdwa v38, v2, v3 dst_sel:DWORD dst_unused:UNUSED_PAD src0_sel:WORD_0 src1_sel:DWORD
	s_addk_i32 s33, 0xd00
	s_cbranch_execz .LBB180_11
	s_branch .LBB180_38
.LBB180_10:
                                        ; implicit-def: $vgpr37
                                        ; implicit-def: $vgpr38
                                        ; implicit-def: $vgpr39
                                        ; implicit-def: $vgpr40
	s_addk_i32 s33, 0xd00
.LBB180_11:
	v_cmp_gt_u32_e32 vcc, s33, v36
	v_mov_b32_e32 v3, 0
	v_mov_b32_e32 v2, 0
	s_and_saveexec_b64 s[4:5], vcc
; %bb.12:
	v_add_u32_e32 v2, s9, v32
	v_add_u32_e32 v4, s11, v32
	v_mul_lo_u32 v2, v2, s8
	v_mul_lo_u32 v4, v4, s10
	v_sub_u32_e32 v2, v2, v4
	v_cmp_lt_u32_e32 vcc, s14, v2
	v_cndmask_b32_e64 v2, 0, 1, vcc
; %bb.13:
	s_or_b64 exec, exec, s[4:5]
	v_add_u32_e32 v4, 1, v36
	v_cmp_gt_u32_e32 vcc, s33, v4
	s_and_saveexec_b64 s[4:5], vcc
; %bb.14:
	v_add_u32_e32 v3, s9, v33
	v_add_u32_e32 v4, s11, v33
	v_mul_lo_u32 v3, v3, s8
	v_mul_lo_u32 v4, v4, s10
	v_sub_u32_e32 v3, v3, v4
	v_cmp_lt_u32_e32 vcc, s14, v3
	v_cndmask_b32_e64 v3, 0, 1, vcc
; %bb.15:
	s_or_b64 exec, exec, s[4:5]
	v_add_u32_e32 v4, 2, v36
	v_cmp_gt_u32_e32 vcc, s33, v4
	v_mov_b32_e32 v5, 0
	v_mov_b32_e32 v4, 0
	s_and_saveexec_b64 s[4:5], vcc
; %bb.16:
	v_add_u32_e32 v4, s9, v30
	v_add_u32_e32 v6, s11, v30
	v_mul_lo_u32 v4, v4, s8
	v_mul_lo_u32 v6, v6, s10
	v_sub_u32_e32 v4, v4, v6
	v_cmp_lt_u32_e32 vcc, s14, v4
	v_cndmask_b32_e64 v4, 0, 1, vcc
; %bb.17:
	s_or_b64 exec, exec, s[4:5]
	v_add_u32_e32 v6, 3, v36
	v_cmp_gt_u32_e32 vcc, s33, v6
	s_and_saveexec_b64 s[4:5], vcc
; %bb.18:
	v_add_u32_e32 v5, s9, v31
	v_add_u32_e32 v6, s11, v31
	v_mul_lo_u32 v5, v5, s8
	v_mul_lo_u32 v6, v6, s10
	v_sub_u32_e32 v5, v5, v6
	v_cmp_lt_u32_e32 vcc, s14, v5
	v_cndmask_b32_e64 v5, 0, 1, vcc
; %bb.19:
	s_or_b64 exec, exec, s[4:5]
	v_add_u32_e32 v6, 4, v36
	;; [unrolled: 28-line block ×6, first 2 shown]
	v_cmp_gt_u32_e32 vcc, s33, v14
	v_mov_b32_e32 v37, 0
	s_and_saveexec_b64 s[4:5], vcc
; %bb.36:
	v_add_u32_e32 v14, s9, v35
	v_add_u32_e32 v15, s11, v35
	v_mul_lo_u32 v14, v14, s8
	v_mul_lo_u32 v15, v15, s10
	v_sub_u32_e32 v14, v14, v15
	v_cmp_lt_u32_e32 vcc, s14, v14
	v_cndmask_b32_e64 v37, 0, 1, vcc
; %bb.37:
	s_or_b64 exec, exec, s[4:5]
	v_lshlrev_b16_e32 v3, 8, v3
	v_or_b32_e32 v2, v2, v3
	v_lshlrev_b16_e32 v3, 8, v5
	v_or_b32_sdwa v3, v4, v3 dst_sel:WORD_1 dst_unused:UNUSED_PAD src0_sel:DWORD src1_sel:DWORD
	v_or_b32_sdwa v40, v2, v3 dst_sel:DWORD dst_unused:UNUSED_PAD src0_sel:WORD_0 src1_sel:DWORD
	v_lshlrev_b16_e32 v2, 8, v7
	v_lshlrev_b16_e32 v3, 8, v9
	v_or_b32_e32 v2, v6, v2
	v_or_b32_sdwa v3, v8, v3 dst_sel:WORD_1 dst_unused:UNUSED_PAD src0_sel:DWORD src1_sel:DWORD
	v_or_b32_sdwa v39, v2, v3 dst_sel:DWORD dst_unused:UNUSED_PAD src0_sel:WORD_0 src1_sel:DWORD
	v_lshlrev_b16_e32 v2, 8, v11
	v_lshlrev_b16_e32 v3, 8, v13
	v_or_b32_e32 v2, v10, v2
	v_or_b32_sdwa v3, v12, v3 dst_sel:WORD_1 dst_unused:UNUSED_PAD src0_sel:DWORD src1_sel:DWORD
	v_or_b32_sdwa v38, v2, v3 dst_sel:DWORD dst_unused:UNUSED_PAD src0_sel:WORD_0 src1_sel:DWORD
.LBB180_38:
	v_and_b32_e32 v44, 0xff, v40
	v_bfe_u32 v45, v40, 8, 8
	v_bfe_u32 v46, v40, 16, 8
	v_lshrrev_b32_e32 v43, 24, v40
	v_and_b32_e32 v47, 0xff, v39
	v_add3_u32 v3, v45, v44, v46
	v_bfe_u32 v48, v39, 8, 8
	v_bfe_u32 v49, v39, 16, 8
	v_add3_u32 v3, v3, v43, v47
	v_lshrrev_b32_e32 v42, 24, v39
	v_and_b32_e32 v50, 0xff, v38
	v_add3_u32 v3, v3, v48, v49
	v_bfe_u32 v51, v38, 8, 8
	v_bfe_u32 v52, v38, 16, 8
	v_add3_u32 v3, v3, v42, v50
	v_lshrrev_b32_e32 v41, 24, v38
	v_and_b32_e32 v2, 0xff, v37
	v_add3_u32 v3, v3, v51, v52
	v_add3_u32 v55, v3, v41, v2
	v_mbcnt_lo_u32_b32 v2, -1, 0
	v_mbcnt_hi_u32_b32 v53, -1, v2
	v_and_b32_e32 v2, 15, v53
	v_cmp_eq_u32_e64 s[16:17], 0, v2
	v_cmp_lt_u32_e64 s[14:15], 1, v2
	v_cmp_lt_u32_e64 s[12:13], 3, v2
	;; [unrolled: 1-line block ×3, first 2 shown]
	v_and_b32_e32 v2, 16, v53
	v_cmp_eq_u32_e64 s[8:9], 0, v2
	v_or_b32_e32 v2, 63, v0
	s_cmp_lg_u32 s40, 0
	v_cmp_lt_u32_e64 s[4:5], 31, v53
	v_lshrrev_b32_e32 v54, 6, v0
	v_cmp_eq_u32_e64 s[6:7], v2, v0
	s_cbranch_scc0 .LBB180_65
; %bb.39:
	v_mov_b32_dpp v2, v55 row_shr:1 row_mask:0xf bank_mask:0xf
	v_cndmask_b32_e64 v2, v2, 0, s[16:17]
	v_add_u32_e32 v2, v2, v55
	s_nop 1
	v_mov_b32_dpp v3, v2 row_shr:2 row_mask:0xf bank_mask:0xf
	v_cndmask_b32_e64 v3, 0, v3, s[14:15]
	v_add_u32_e32 v2, v2, v3
	s_nop 1
	;; [unrolled: 4-line block ×4, first 2 shown]
	v_mov_b32_dpp v3, v2 row_bcast:15 row_mask:0xf bank_mask:0xf
	v_cndmask_b32_e64 v3, v3, 0, s[8:9]
	v_add_u32_e32 v2, v2, v3
	s_nop 1
	v_mov_b32_dpp v3, v2 row_bcast:31 row_mask:0xf bank_mask:0xf
	v_cndmask_b32_e64 v3, 0, v3, s[4:5]
	v_add_u32_e32 v2, v2, v3
	s_and_saveexec_b64 s[18:19], s[6:7]
	s_cbranch_execz .LBB180_41
; %bb.40:
	v_lshlrev_b32_e32 v3, 2, v54
	ds_write_b32 v3, v2
.LBB180_41:
	s_or_b64 exec, exec, s[18:19]
	v_cmp_gt_u32_e32 vcc, 4, v0
	s_waitcnt lgkmcnt(0)
	s_barrier
	s_and_saveexec_b64 s[18:19], vcc
	s_cbranch_execz .LBB180_43
; %bb.42:
	ds_read_b32 v3, v1
	v_and_b32_e32 v4, 3, v53
	v_cmp_ne_u32_e32 vcc, 0, v4
	s_waitcnt lgkmcnt(0)
	v_mov_b32_dpp v5, v3 row_shr:1 row_mask:0xf bank_mask:0xf
	v_cndmask_b32_e32 v5, 0, v5, vcc
	v_add_u32_e32 v3, v5, v3
	v_cmp_lt_u32_e32 vcc, 1, v4
	s_nop 0
	v_mov_b32_dpp v5, v3 row_shr:2 row_mask:0xf bank_mask:0xf
	v_cndmask_b32_e32 v4, 0, v5, vcc
	v_add_u32_e32 v3, v3, v4
	ds_write_b32 v1, v3
.LBB180_43:
	s_or_b64 exec, exec, s[18:19]
	v_cmp_gt_u32_e32 vcc, 64, v0
	v_cmp_lt_u32_e64 s[18:19], 63, v0
	s_waitcnt lgkmcnt(0)
	s_barrier
	s_waitcnt lgkmcnt(0)
                                        ; implicit-def: $vgpr12
	s_and_saveexec_b64 s[34:35], s[18:19]
	s_cbranch_execz .LBB180_45
; %bb.44:
	v_lshl_add_u32 v3, v54, 2, -4
	ds_read_b32 v12, v3
	s_waitcnt lgkmcnt(0)
	v_add_u32_e32 v2, v12, v2
.LBB180_45:
	s_or_b64 exec, exec, s[34:35]
	v_add_u32_e32 v3, -1, v53
	v_and_b32_e32 v4, 64, v53
	v_cmp_lt_i32_e64 s[18:19], v3, v4
	v_cndmask_b32_e64 v3, v3, v53, s[18:19]
	v_lshlrev_b32_e32 v3, 2, v3
	ds_bpermute_b32 v13, v3, v2
	v_cmp_eq_u32_e64 s[18:19], 0, v53
	s_and_saveexec_b64 s[34:35], vcc
	s_cbranch_execz .LBB180_64
; %bb.46:
	v_mov_b32_e32 v9, 0
	ds_read_b32 v2, v9 offset:12
	s_and_saveexec_b64 s[36:37], s[18:19]
	s_cbranch_execz .LBB180_48
; %bb.47:
	s_add_i32 s38, s40, 64
	s_mov_b32 s39, 0
	s_lshl_b64 s[38:39], s[38:39], 3
	s_add_u32 s38, s30, s38
	v_mov_b32_e32 v3, 1
	s_addc_u32 s39, s31, s39
	s_waitcnt lgkmcnt(0)
	global_store_dwordx2 v9, v[2:3], s[38:39]
.LBB180_48:
	s_or_b64 exec, exec, s[36:37]
	v_xad_u32 v4, v53, -1, s40
	v_add_u32_e32 v8, 64, v4
	v_lshlrev_b64 v[6:7], 3, v[8:9]
	v_mov_b32_e32 v3, s31
	v_add_co_u32_e32 v10, vcc, s30, v6
	v_addc_co_u32_e32 v11, vcc, v3, v7, vcc
	global_load_dwordx2 v[6:7], v[10:11], off glc
	s_waitcnt vmcnt(0)
	v_cmp_eq_u16_sdwa s[38:39], v7, v9 src0_sel:BYTE_0 src1_sel:DWORD
	s_and_saveexec_b64 s[36:37], s[38:39]
	s_cbranch_execz .LBB180_52
; %bb.49:
	s_mov_b64 s[38:39], 0
	v_mov_b32_e32 v3, 0
.LBB180_50:                             ; =>This Inner Loop Header: Depth=1
	global_load_dwordx2 v[6:7], v[10:11], off glc
	s_waitcnt vmcnt(0)
	v_cmp_ne_u16_sdwa s[42:43], v7, v3 src0_sel:BYTE_0 src1_sel:DWORD
	s_or_b64 s[38:39], s[42:43], s[38:39]
	s_andn2_b64 exec, exec, s[38:39]
	s_cbranch_execnz .LBB180_50
; %bb.51:
	s_or_b64 exec, exec, s[38:39]
.LBB180_52:
	s_or_b64 exec, exec, s[36:37]
	v_and_b32_e32 v14, 63, v53
	v_mov_b32_e32 v3, 2
	v_cmp_ne_u32_e32 vcc, 63, v14
	v_cmp_eq_u16_sdwa s[36:37], v7, v3 src0_sel:BYTE_0 src1_sel:DWORD
	v_lshlrev_b64 v[8:9], v53, -1
	v_addc_co_u32_e32 v11, vcc, 0, v53, vcc
	v_and_b32_e32 v5, s37, v9
	v_lshlrev_b32_e32 v15, 2, v11
	v_or_b32_e32 v5, 0x80000000, v5
	ds_bpermute_b32 v11, v15, v6
	v_and_b32_e32 v10, s36, v8
	v_ffbl_b32_e32 v5, v5
	v_add_u32_e32 v5, 32, v5
	v_ffbl_b32_e32 v10, v10
	v_min_u32_e32 v5, v10, v5
	v_cmp_lt_u32_e32 vcc, v14, v5
	s_waitcnt lgkmcnt(0)
	v_cndmask_b32_e32 v10, 0, v11, vcc
	v_cmp_gt_u32_e32 vcc, 62, v14
	v_add_u32_e32 v6, v10, v6
	v_cndmask_b32_e64 v10, 0, 1, vcc
	v_lshlrev_b32_e32 v10, 1, v10
	v_add_lshl_u32 v16, v10, v53, 2
	ds_bpermute_b32 v10, v16, v6
	v_add_u32_e32 v17, 2, v14
	v_cmp_le_u32_e32 vcc, v17, v5
	v_add_u32_e32 v19, 4, v14
	v_add_u32_e32 v57, 8, v14
	s_waitcnt lgkmcnt(0)
	v_cndmask_b32_e32 v10, 0, v10, vcc
	v_cmp_gt_u32_e32 vcc, 60, v14
	v_add_u32_e32 v6, v6, v10
	v_cndmask_b32_e64 v10, 0, 1, vcc
	v_lshlrev_b32_e32 v10, 2, v10
	v_add_lshl_u32 v18, v10, v53, 2
	ds_bpermute_b32 v10, v18, v6
	v_cmp_le_u32_e32 vcc, v19, v5
	v_add_u32_e32 v60, 16, v14
	v_add_u32_e32 v62, 32, v14
	s_waitcnt lgkmcnt(0)
	v_cndmask_b32_e32 v10, 0, v10, vcc
	v_cmp_gt_u32_e32 vcc, 56, v14
	v_add_u32_e32 v6, v6, v10
	v_cndmask_b32_e64 v10, 0, 1, vcc
	v_lshlrev_b32_e32 v10, 3, v10
	v_add_lshl_u32 v56, v10, v53, 2
	ds_bpermute_b32 v10, v56, v6
	v_cmp_le_u32_e32 vcc, v57, v5
	s_waitcnt lgkmcnt(0)
	v_cndmask_b32_e32 v10, 0, v10, vcc
	v_cmp_gt_u32_e32 vcc, 48, v14
	v_add_u32_e32 v6, v6, v10
	v_cndmask_b32_e64 v10, 0, 1, vcc
	v_lshlrev_b32_e32 v10, 4, v10
	v_add_lshl_u32 v59, v10, v53, 2
	ds_bpermute_b32 v10, v59, v6
	v_cmp_le_u32_e32 vcc, v60, v5
	s_waitcnt lgkmcnt(0)
	v_cndmask_b32_e32 v10, 0, v10, vcc
	v_cmp_gt_u32_e32 vcc, 32, v14
	v_add_u32_e32 v6, v6, v10
	v_cndmask_b32_e64 v10, 0, 1, vcc
	v_lshlrev_b32_e32 v10, 5, v10
	v_add_lshl_u32 v61, v10, v53, 2
	ds_bpermute_b32 v10, v61, v6
	v_cmp_le_u32_e32 vcc, v62, v5
	s_waitcnt lgkmcnt(0)
	v_cndmask_b32_e32 v5, 0, v10, vcc
	v_add_u32_e32 v6, v6, v5
	v_mov_b32_e32 v5, 0
	s_branch .LBB180_54
.LBB180_53:                             ;   in Loop: Header=BB180_54 Depth=1
	s_or_b64 exec, exec, s[36:37]
	v_cmp_eq_u16_sdwa s[36:37], v7, v3 src0_sel:BYTE_0 src1_sel:DWORD
	v_and_b32_e32 v10, s37, v9
	v_or_b32_e32 v10, 0x80000000, v10
	ds_bpermute_b32 v63, v15, v6
	v_and_b32_e32 v11, s36, v8
	v_ffbl_b32_e32 v10, v10
	v_add_u32_e32 v10, 32, v10
	v_ffbl_b32_e32 v11, v11
	v_min_u32_e32 v10, v11, v10
	v_cmp_lt_u32_e32 vcc, v14, v10
	s_waitcnt lgkmcnt(0)
	v_cndmask_b32_e32 v11, 0, v63, vcc
	v_add_u32_e32 v6, v11, v6
	ds_bpermute_b32 v11, v16, v6
	v_cmp_le_u32_e32 vcc, v17, v10
	v_subrev_u32_e32 v4, 64, v4
	s_waitcnt lgkmcnt(0)
	v_cndmask_b32_e32 v11, 0, v11, vcc
	v_add_u32_e32 v6, v6, v11
	ds_bpermute_b32 v11, v18, v6
	v_cmp_le_u32_e32 vcc, v19, v10
	s_waitcnt lgkmcnt(0)
	v_cndmask_b32_e32 v11, 0, v11, vcc
	v_add_u32_e32 v6, v6, v11
	ds_bpermute_b32 v11, v56, v6
	v_cmp_le_u32_e32 vcc, v57, v10
	;; [unrolled: 5-line block ×4, first 2 shown]
	s_waitcnt lgkmcnt(0)
	v_cndmask_b32_e32 v10, 0, v11, vcc
	v_add3_u32 v6, v10, v58, v6
.LBB180_54:                             ; =>This Loop Header: Depth=1
                                        ;     Child Loop BB180_57 Depth 2
	v_cmp_ne_u16_sdwa s[36:37], v7, v3 src0_sel:BYTE_0 src1_sel:DWORD
	v_cndmask_b32_e64 v7, 0, 1, s[36:37]
	;;#ASMSTART
	;;#ASMEND
	v_cmp_ne_u32_e32 vcc, 0, v7
	s_cmp_lg_u64 vcc, exec
	v_mov_b32_e32 v58, v6
	s_cbranch_scc1 .LBB180_59
; %bb.55:                               ;   in Loop: Header=BB180_54 Depth=1
	v_lshlrev_b64 v[6:7], 3, v[4:5]
	v_mov_b32_e32 v11, s31
	v_add_co_u32_e32 v10, vcc, s30, v6
	v_addc_co_u32_e32 v11, vcc, v11, v7, vcc
	global_load_dwordx2 v[6:7], v[10:11], off glc
	s_waitcnt vmcnt(0)
	v_cmp_eq_u16_sdwa s[38:39], v7, v5 src0_sel:BYTE_0 src1_sel:DWORD
	s_and_saveexec_b64 s[36:37], s[38:39]
	s_cbranch_execz .LBB180_53
; %bb.56:                               ;   in Loop: Header=BB180_54 Depth=1
	s_mov_b64 s[38:39], 0
.LBB180_57:                             ;   Parent Loop BB180_54 Depth=1
                                        ; =>  This Inner Loop Header: Depth=2
	global_load_dwordx2 v[6:7], v[10:11], off glc
	s_waitcnt vmcnt(0)
	v_cmp_ne_u16_sdwa s[42:43], v7, v5 src0_sel:BYTE_0 src1_sel:DWORD
	s_or_b64 s[38:39], s[42:43], s[38:39]
	s_andn2_b64 exec, exec, s[38:39]
	s_cbranch_execnz .LBB180_57
; %bb.58:                               ;   in Loop: Header=BB180_54 Depth=1
	s_or_b64 exec, exec, s[38:39]
	s_branch .LBB180_53
.LBB180_59:                             ;   in Loop: Header=BB180_54 Depth=1
                                        ; implicit-def: $vgpr6
                                        ; implicit-def: $vgpr7
	s_cbranch_execz .LBB180_54
; %bb.60:
	s_and_saveexec_b64 s[36:37], s[18:19]
	s_cbranch_execz .LBB180_62
; %bb.61:
	s_add_i32 s38, s40, 64
	s_mov_b32 s39, 0
	s_lshl_b64 s[38:39], s[38:39], 3
	s_add_u32 s38, s30, s38
	v_add_u32_e32 v4, v58, v2
	v_mov_b32_e32 v5, 2
	s_addc_u32 s39, s31, s39
	v_mov_b32_e32 v3, 0
	global_store_dwordx2 v3, v[4:5], s[38:39]
	s_movk_i32 s38, 0x3400
	v_add_u32_e64 v3, s38, 0
	ds_write2_b32 v3, v2, v58 offset1:2
.LBB180_62:
	s_or_b64 exec, exec, s[36:37]
	s_and_b64 exec, exec, s[0:1]
	s_cbranch_execz .LBB180_64
; %bb.63:
	v_mov_b32_e32 v2, 0
	ds_write_b32 v2, v58 offset:12
.LBB180_64:
	s_or_b64 exec, exec, s[34:35]
	v_mov_b32_e32 v2, 0
	s_waitcnt lgkmcnt(0)
	s_barrier
	ds_read_b32 v2, v2 offset:12
	v_cndmask_b32_e64 v3, v13, v12, s[18:19]
	v_cndmask_b32_e64 v3, v3, 0, s[0:1]
	s_movk_i32 s18, 0x3400
	v_add_u32_e64 v12, s18, 0
	s_waitcnt lgkmcnt(0)
	v_add_u32_e32 v2, v2, v3
	v_add_u32_e32 v3, v2, v44
	;; [unrolled: 1-line block ×9, first 2 shown]
	s_barrier
	ds_read2_b32 v[18:19], v12 offset1:2
	v_add_u32_e32 v11, v10, v50
	v_add_u32_e32 v12, v11, v51
	v_add_u32_e32 v13, v12, v52
	v_add_u32_e32 v14, v13, v41
	s_branch .LBB180_75
.LBB180_65:
                                        ; implicit-def: $vgpr19
                                        ; implicit-def: $vgpr2_vgpr3_vgpr4_vgpr5_vgpr6_vgpr7_vgpr8_vgpr9_vgpr10_vgpr11_vgpr12_vgpr13_vgpr14_vgpr15_vgpr16_vgpr17
	s_cbranch_execz .LBB180_75
; %bb.66:
	s_nop 0
	v_mov_b32_dpp v2, v55 row_shr:1 row_mask:0xf bank_mask:0xf
	v_cndmask_b32_e64 v2, v2, 0, s[16:17]
	v_add_u32_e32 v2, v2, v55
	s_nop 1
	v_mov_b32_dpp v3, v2 row_shr:2 row_mask:0xf bank_mask:0xf
	v_cndmask_b32_e64 v3, 0, v3, s[14:15]
	v_add_u32_e32 v2, v2, v3
	;; [unrolled: 4-line block ×4, first 2 shown]
	s_nop 1
	v_mov_b32_dpp v3, v2 row_bcast:15 row_mask:0xf bank_mask:0xf
	v_cndmask_b32_e64 v3, v3, 0, s[8:9]
	v_add_u32_e32 v2, v2, v3
	s_nop 1
	v_mov_b32_dpp v3, v2 row_bcast:31 row_mask:0xf bank_mask:0xf
	v_cndmask_b32_e64 v3, 0, v3, s[4:5]
	v_add_u32_e32 v2, v2, v3
	s_and_saveexec_b64 s[4:5], s[6:7]
	s_cbranch_execz .LBB180_68
; %bb.67:
	v_lshlrev_b32_e32 v3, 2, v54
	ds_write_b32 v3, v2
.LBB180_68:
	s_or_b64 exec, exec, s[4:5]
	v_cmp_gt_u32_e32 vcc, 4, v0
	s_waitcnt lgkmcnt(0)
	s_barrier
	s_and_saveexec_b64 s[4:5], vcc
	s_cbranch_execz .LBB180_70
; %bb.69:
	ds_read_b32 v3, v1
	v_and_b32_e32 v4, 3, v53
	v_cmp_ne_u32_e32 vcc, 0, v4
	s_waitcnt lgkmcnt(0)
	v_mov_b32_dpp v5, v3 row_shr:1 row_mask:0xf bank_mask:0xf
	v_cndmask_b32_e32 v5, 0, v5, vcc
	v_add_u32_e32 v3, v5, v3
	v_cmp_lt_u32_e32 vcc, 1, v4
	s_nop 0
	v_mov_b32_dpp v5, v3 row_shr:2 row_mask:0xf bank_mask:0xf
	v_cndmask_b32_e32 v4, 0, v5, vcc
	v_add_u32_e32 v3, v3, v4
	ds_write_b32 v1, v3
.LBB180_70:
	s_or_b64 exec, exec, s[4:5]
	v_cmp_lt_u32_e32 vcc, 63, v0
	v_mov_b32_e32 v4, 0
	v_mov_b32_e32 v3, 0
	s_waitcnt lgkmcnt(0)
	s_barrier
	s_and_saveexec_b64 s[4:5], vcc
	s_cbranch_execz .LBB180_72
; %bb.71:
	v_lshl_add_u32 v3, v54, 2, -4
	ds_read_b32 v3, v3
.LBB180_72:
	s_or_b64 exec, exec, s[4:5]
	v_add_u32_e32 v5, -1, v53
	v_and_b32_e32 v6, 64, v53
	v_cmp_lt_i32_e32 vcc, v5, v6
	v_cndmask_b32_e32 v5, v5, v53, vcc
	s_waitcnt lgkmcnt(0)
	v_add_u32_e32 v2, v3, v2
	v_lshlrev_b32_e32 v5, 2, v5
	ds_bpermute_b32 v2, v5, v2
	ds_read_b32 v18, v4 offset:12
	s_and_saveexec_b64 s[4:5], s[0:1]
	s_cbranch_execz .LBB180_74
; %bb.73:
	v_mov_b32_e32 v4, 0
	v_mov_b32_e32 v19, 2
	s_waitcnt lgkmcnt(0)
	global_store_dwordx2 v4, v[18:19], s[30:31] offset:512
.LBB180_74:
	s_or_b64 exec, exec, s[4:5]
	v_cmp_eq_u32_e32 vcc, 0, v53
	s_waitcnt lgkmcnt(1)
	v_cndmask_b32_e32 v2, v2, v3, vcc
	v_cndmask_b32_e64 v2, v2, 0, s[0:1]
	v_add_u32_e32 v3, v2, v44
	v_add_u32_e32 v4, v3, v45
	;; [unrolled: 1-line block ×11, first 2 shown]
	v_mov_b32_e32 v19, 0
	v_add_u32_e32 v14, v13, v41
	s_waitcnt lgkmcnt(0)
	s_barrier
.LBB180_75:
	s_waitcnt lgkmcnt(0)
	v_add_u32_e32 v36, v18, v36
	v_sub_u32_e32 v2, v2, v19
	v_and_b32_e32 v45, 1, v40
	v_sub_u32_e32 v44, v36, v2
	v_cmp_eq_u32_e32 vcc, 1, v45
	v_cndmask_b32_e32 v2, v44, v2, vcc
	v_lshlrev_b32_e32 v2, 2, v2
	v_lshrrev_b32_e32 v17, 8, v40
	ds_write_b32 v2, v32
	v_sub_u32_e32 v2, v3, v19
	v_sub_u32_e32 v3, v36, v2
	v_and_b32_e32 v17, 1, v17
	v_add_u32_e32 v3, 1, v3
	v_cmp_eq_u32_e32 vcc, 1, v17
	v_cndmask_b32_e32 v2, v3, v2, vcc
	v_lshlrev_b32_e32 v2, 2, v2
	ds_write_b32 v2, v33
	v_sub_u32_e32 v2, v4, v19
	v_mov_b32_e32 v4, 1
	v_sub_u32_e32 v3, v36, v2
	v_and_b32_sdwa v17, v4, v40 dst_sel:DWORD dst_unused:UNUSED_PAD src0_sel:DWORD src1_sel:WORD_1
	v_add_u32_e32 v3, 2, v3
	v_cmp_eq_u32_e32 vcc, 1, v17
	v_cndmask_b32_e32 v2, v3, v2, vcc
	v_lshlrev_b32_e32 v2, 2, v2
	ds_write_b32 v2, v30
	v_sub_u32_e32 v2, v5, v19
	v_sub_u32_e32 v3, v36, v2
	v_and_b32_e32 v5, 1, v43
	v_add_u32_e32 v3, 3, v3
	v_cmp_eq_u32_e32 vcc, 1, v5
	v_cndmask_b32_e32 v2, v3, v2, vcc
	v_lshlrev_b32_e32 v2, 2, v2
	ds_write_b32 v2, v31
	v_sub_u32_e32 v2, v6, v19
	v_sub_u32_e32 v3, v36, v2
	v_and_b32_e32 v5, 1, v39
	v_add_u32_e32 v3, 4, v3
	v_cmp_eq_u32_e32 vcc, 1, v5
	v_cndmask_b32_e32 v2, v3, v2, vcc
	v_lshlrev_b32_e32 v2, 2, v2
	v_lshrrev_b32_e32 v16, 8, v39
	ds_write_b32 v2, v28
	v_sub_u32_e32 v2, v7, v19
	v_sub_u32_e32 v3, v36, v2
	v_and_b32_e32 v5, 1, v16
	v_add_u32_e32 v3, 5, v3
	v_cmp_eq_u32_e32 vcc, 1, v5
	v_cndmask_b32_e32 v2, v3, v2, vcc
	v_lshlrev_b32_e32 v2, 2, v2
	ds_write_b32 v2, v29
	v_sub_u32_e32 v2, v8, v19
	v_sub_u32_e32 v3, v36, v2
	v_and_b32_sdwa v5, v4, v39 dst_sel:DWORD dst_unused:UNUSED_PAD src0_sel:DWORD src1_sel:WORD_1
	v_add_u32_e32 v3, 6, v3
	v_cmp_eq_u32_e32 vcc, 1, v5
	v_cndmask_b32_e32 v2, v3, v2, vcc
	v_lshlrev_b32_e32 v2, 2, v2
	ds_write_b32 v2, v26
	v_sub_u32_e32 v2, v9, v19
	v_sub_u32_e32 v3, v36, v2
	v_and_b32_e32 v5, 1, v42
	v_add_u32_e32 v3, 7, v3
	v_cmp_eq_u32_e32 vcc, 1, v5
	v_cndmask_b32_e32 v2, v3, v2, vcc
	v_lshlrev_b32_e32 v2, 2, v2
	ds_write_b32 v2, v27
	v_sub_u32_e32 v2, v10, v19
	v_sub_u32_e32 v3, v36, v2
	v_and_b32_e32 v5, 1, v38
	v_add_u32_e32 v3, 8, v3
	v_cmp_eq_u32_e32 vcc, 1, v5
	v_cndmask_b32_e32 v2, v3, v2, vcc
	v_lshlrev_b32_e32 v2, 2, v2
	v_lshrrev_b32_e32 v15, 8, v38
	ds_write_b32 v2, v24
	v_sub_u32_e32 v2, v11, v19
	v_sub_u32_e32 v3, v36, v2
	v_and_b32_e32 v5, 1, v15
	v_add_u32_e32 v3, 9, v3
	v_cmp_eq_u32_e32 vcc, 1, v5
	v_cndmask_b32_e32 v2, v3, v2, vcc
	v_lshlrev_b32_e32 v2, 2, v2
	ds_write_b32 v2, v25
	v_sub_u32_e32 v2, v12, v19
	v_sub_u32_e32 v3, v36, v2
	v_and_b32_sdwa v4, v4, v38 dst_sel:DWORD dst_unused:UNUSED_PAD src0_sel:DWORD src1_sel:WORD_1
	v_add_u32_e32 v3, 10, v3
	v_cmp_eq_u32_e32 vcc, 1, v4
	v_cndmask_b32_e32 v2, v3, v2, vcc
	v_lshlrev_b32_e32 v2, 2, v2
	ds_write_b32 v2, v22
	v_sub_u32_e32 v2, v13, v19
	v_sub_u32_e32 v3, v36, v2
	v_and_b32_e32 v4, 1, v41
	v_add_u32_e32 v3, 11, v3
	v_cmp_eq_u32_e32 vcc, 1, v4
	v_cndmask_b32_e32 v2, v3, v2, vcc
	v_lshlrev_b32_e32 v2, 2, v2
	ds_write_b32 v2, v23
	v_sub_u32_e32 v2, v14, v19
	v_sub_u32_e32 v3, v36, v2
	v_and_b32_e32 v4, 1, v37
	v_add_u32_e32 v3, 12, v3
	v_cmp_eq_u32_e32 vcc, 1, v4
	v_cndmask_b32_e32 v2, v3, v2, vcc
	v_lshlrev_b32_e32 v2, 2, v2
	ds_write_b32 v2, v35
	s_waitcnt lgkmcnt(0)
	s_barrier
	ds_read2st64_b32 v[12:13], v1 offset1:4
	ds_read2st64_b32 v[10:11], v1 offset0:8 offset1:12
	ds_read2st64_b32 v[8:9], v1 offset0:16 offset1:20
	ds_read2st64_b32 v[6:7], v1 offset0:24 offset1:28
	ds_read2st64_b32 v[4:5], v1 offset0:32 offset1:36
	ds_read2st64_b32 v[2:3], v1 offset0:40 offset1:44
	ds_read_b32 v17, v1 offset:12288
	s_waitcnt vmcnt(0)
	v_add_co_u32_e32 v1, vcc, v20, v19
	v_addc_co_u32_e32 v16, vcc, 0, v21, vcc
	v_mov_b32_e32 v14, s29
	v_add_co_u32_e32 v15, vcc, s28, v34
	v_addc_co_u32_e32 v14, vcc, 0, v14, vcc
	v_mov_b32_e32 v19, s27
	v_sub_co_u32_e32 v15, vcc, s26, v15
	v_subb_co_u32_e32 v14, vcc, v19, v14, vcc
	v_add_co_u32_e32 v15, vcc, v15, v18
	v_addc_co_u32_e32 v14, vcc, 0, v14, vcc
	s_and_b64 vcc, exec, s[2:3]
	v_add_co_u32_e64 v19, s[2:3], v15, v1
	v_or_b32_e32 v33, 0x100, v0
	v_or_b32_e32 v32, 0x200, v0
	;; [unrolled: 1-line block ×12, first 2 shown]
	v_addc_co_u32_e64 v20, s[2:3], v14, v16, s[2:3]
	s_cbranch_vccnz .LBB180_132
; %bb.76:
	v_cmp_ge_u32_e32 vcc, v0, v18
                                        ; implicit-def: $vgpr14_vgpr15
	s_and_saveexec_b64 s[2:3], vcc
	s_xor_b64 s[2:3], exec, s[2:3]
; %bb.77:
	v_not_b32_e32 v14, v0
	v_ashrrev_i32_e32 v15, 31, v14
	v_add_co_u32_e32 v14, vcc, v19, v14
	v_addc_co_u32_e32 v15, vcc, v20, v15, vcc
; %bb.78:
	s_andn2_saveexec_b64 s[2:3], s[2:3]
; %bb.79:
	v_add_co_u32_e32 v14, vcc, v1, v0
	v_addc_co_u32_e32 v15, vcc, 0, v16, vcc
; %bb.80:
	s_or_b64 exec, exec, s[2:3]
	v_lshlrev_b64 v[14:15], 2, v[14:15]
	v_mov_b32_e32 v21, s25
	v_add_co_u32_e32 v14, vcc, s24, v14
	v_addc_co_u32_e32 v15, vcc, v21, v15, vcc
	v_cmp_ge_u32_e32 vcc, v33, v18
	s_waitcnt lgkmcnt(6)
	global_store_dword v[14:15], v12, off
                                        ; implicit-def: $vgpr14_vgpr15
	s_and_saveexec_b64 s[2:3], vcc
	s_xor_b64 s[2:3], exec, s[2:3]
; %bb.81:
	v_xor_b32_e32 v14, 0xfffffeff, v0
	v_ashrrev_i32_e32 v15, 31, v14
	v_add_co_u32_e32 v14, vcc, v19, v14
	v_addc_co_u32_e32 v15, vcc, v20, v15, vcc
; %bb.82:
	s_andn2_saveexec_b64 s[2:3], s[2:3]
; %bb.83:
	v_add_co_u32_e32 v14, vcc, v1, v33
	v_addc_co_u32_e32 v15, vcc, 0, v16, vcc
; %bb.84:
	s_or_b64 exec, exec, s[2:3]
	v_lshlrev_b64 v[14:15], 2, v[14:15]
	v_mov_b32_e32 v21, s25
	v_add_co_u32_e32 v14, vcc, s24, v14
	v_addc_co_u32_e32 v15, vcc, v21, v15, vcc
	v_cmp_ge_u32_e32 vcc, v32, v18
	global_store_dword v[14:15], v13, off
                                        ; implicit-def: $vgpr14_vgpr15
	s_and_saveexec_b64 s[2:3], vcc
	s_xor_b64 s[2:3], exec, s[2:3]
; %bb.85:
	v_xor_b32_e32 v14, 0xfffffdff, v0
	v_ashrrev_i32_e32 v15, 31, v14
	v_add_co_u32_e32 v14, vcc, v19, v14
	v_addc_co_u32_e32 v15, vcc, v20, v15, vcc
; %bb.86:
	s_andn2_saveexec_b64 s[2:3], s[2:3]
; %bb.87:
	v_add_co_u32_e32 v14, vcc, v1, v32
	v_addc_co_u32_e32 v15, vcc, 0, v16, vcc
; %bb.88:
	s_or_b64 exec, exec, s[2:3]
	v_lshlrev_b64 v[14:15], 2, v[14:15]
	v_mov_b32_e32 v21, s25
	v_add_co_u32_e32 v14, vcc, s24, v14
	v_addc_co_u32_e32 v15, vcc, v21, v15, vcc
	v_cmp_ge_u32_e32 vcc, v31, v18
	s_waitcnt lgkmcnt(5)
	global_store_dword v[14:15], v10, off
                                        ; implicit-def: $vgpr14_vgpr15
	s_and_saveexec_b64 s[2:3], vcc
	s_xor_b64 s[2:3], exec, s[2:3]
; %bb.89:
	v_xor_b32_e32 v14, 0xfffffcff, v0
	v_ashrrev_i32_e32 v15, 31, v14
	v_add_co_u32_e32 v14, vcc, v19, v14
	v_addc_co_u32_e32 v15, vcc, v20, v15, vcc
; %bb.90:
	s_andn2_saveexec_b64 s[2:3], s[2:3]
; %bb.91:
	v_add_co_u32_e32 v14, vcc, v1, v31
	v_addc_co_u32_e32 v15, vcc, 0, v16, vcc
; %bb.92:
	s_or_b64 exec, exec, s[2:3]
	v_lshlrev_b64 v[14:15], 2, v[14:15]
	v_mov_b32_e32 v21, s25
	v_add_co_u32_e32 v14, vcc, s24, v14
	v_addc_co_u32_e32 v15, vcc, v21, v15, vcc
	v_cmp_ge_u32_e32 vcc, v30, v18
	global_store_dword v[14:15], v11, off
                                        ; implicit-def: $vgpr14_vgpr15
	s_and_saveexec_b64 s[2:3], vcc
	s_xor_b64 s[2:3], exec, s[2:3]
; %bb.93:
	v_xor_b32_e32 v14, 0xfffffbff, v0
	;; [unrolled: 43-line block ×6, first 2 shown]
	v_ashrrev_i32_e32 v15, 31, v14
	v_add_co_u32_e32 v14, vcc, v19, v14
	v_addc_co_u32_e32 v15, vcc, v20, v15, vcc
; %bb.126:
	s_andn2_saveexec_b64 s[2:3], s[2:3]
; %bb.127:
	v_add_co_u32_e32 v14, vcc, v1, v22
	v_addc_co_u32_e32 v15, vcc, 0, v16, vcc
; %bb.128:
	s_or_b64 exec, exec, s[2:3]
	s_mov_b64 s[2:3], -1
.LBB180_129:
	s_and_saveexec_b64 s[4:5], s[2:3]
	s_cbranch_execz .LBB180_212
.LBB180_130:
	s_waitcnt lgkmcnt(1)
	v_lshlrev_b64 v[2:3], 2, v[14:15]
	v_mov_b32_e32 v0, s25
	v_add_co_u32_e32 v2, vcc, s24, v2
	v_addc_co_u32_e32 v3, vcc, v0, v3, vcc
	s_waitcnt lgkmcnt(0)
	global_store_dword v[2:3], v17, off
	s_or_b64 exec, exec, s[4:5]
	s_and_b64 s[0:1], s[0:1], s[22:23]
	s_and_saveexec_b64 s[2:3], s[0:1]
	s_cbranch_execnz .LBB180_213
.LBB180_131:
	s_endpgm
.LBB180_132:
	s_mov_b64 s[2:3], 0
                                        ; implicit-def: $vgpr14_vgpr15
	s_cbranch_execz .LBB180_129
; %bb.133:
	v_cmp_gt_u32_e32 vcc, s33, v0
	s_and_saveexec_b64 s[4:5], vcc
	s_cbranch_execz .LBB180_169
; %bb.134:
	v_cmp_ge_u32_e32 vcc, v0, v18
                                        ; implicit-def: $vgpr14_vgpr15
	s_and_saveexec_b64 s[6:7], vcc
	s_xor_b64 s[6:7], exec, s[6:7]
; %bb.135:
	v_not_b32_e32 v14, v0
	v_ashrrev_i32_e32 v15, 31, v14
	v_add_co_u32_e32 v14, vcc, v19, v14
	v_addc_co_u32_e32 v15, vcc, v20, v15, vcc
; %bb.136:
	s_andn2_saveexec_b64 s[6:7], s[6:7]
; %bb.137:
	v_add_co_u32_e32 v14, vcc, v1, v0
	v_addc_co_u32_e32 v15, vcc, 0, v16, vcc
; %bb.138:
	s_or_b64 exec, exec, s[6:7]
	v_lshlrev_b64 v[14:15], 2, v[14:15]
	v_mov_b32_e32 v21, s25
	v_add_co_u32_e32 v14, vcc, s24, v14
	v_addc_co_u32_e32 v15, vcc, v21, v15, vcc
	s_waitcnt lgkmcnt(6)
	global_store_dword v[14:15], v12, off
	s_or_b64 exec, exec, s[4:5]
	v_cmp_gt_u32_e32 vcc, s33, v33
	s_and_saveexec_b64 s[4:5], vcc
	s_cbranch_execnz .LBB180_170
.LBB180_139:
	s_or_b64 exec, exec, s[4:5]
	v_cmp_gt_u32_e32 vcc, s33, v32
	s_and_saveexec_b64 s[4:5], vcc
	s_cbranch_execz .LBB180_175
.LBB180_140:
	v_cmp_ge_u32_e32 vcc, v32, v18
                                        ; implicit-def: $vgpr12_vgpr13
	s_and_saveexec_b64 s[6:7], vcc
	s_xor_b64 s[6:7], exec, s[6:7]
	s_cbranch_execz .LBB180_142
; %bb.141:
	s_waitcnt lgkmcnt(6)
	v_xor_b32_e32 v12, 0xfffffdff, v0
	v_ashrrev_i32_e32 v13, 31, v12
	v_add_co_u32_e32 v12, vcc, v19, v12
	v_addc_co_u32_e32 v13, vcc, v20, v13, vcc
                                        ; implicit-def: $vgpr32
.LBB180_142:
	s_andn2_saveexec_b64 s[6:7], s[6:7]
	s_cbranch_execz .LBB180_144
; %bb.143:
	s_waitcnt lgkmcnt(6)
	v_add_co_u32_e32 v12, vcc, v1, v32
	v_addc_co_u32_e32 v13, vcc, 0, v16, vcc
.LBB180_144:
	s_or_b64 exec, exec, s[6:7]
	s_waitcnt lgkmcnt(6)
	v_lshlrev_b64 v[12:13], 2, v[12:13]
	v_mov_b32_e32 v14, s25
	v_add_co_u32_e32 v12, vcc, s24, v12
	v_addc_co_u32_e32 v13, vcc, v14, v13, vcc
	s_waitcnt lgkmcnt(5)
	global_store_dword v[12:13], v10, off
	s_or_b64 exec, exec, s[4:5]
	v_cmp_gt_u32_e32 vcc, s33, v31
	s_and_saveexec_b64 s[4:5], vcc
	s_cbranch_execnz .LBB180_176
.LBB180_145:
	s_or_b64 exec, exec, s[4:5]
	v_cmp_gt_u32_e32 vcc, s33, v30
	s_and_saveexec_b64 s[4:5], vcc
	s_cbranch_execz .LBB180_181
.LBB180_146:
	v_cmp_ge_u32_e32 vcc, v30, v18
                                        ; implicit-def: $vgpr10_vgpr11
	s_and_saveexec_b64 s[6:7], vcc
	s_xor_b64 s[6:7], exec, s[6:7]
	s_cbranch_execz .LBB180_148
; %bb.147:
	s_waitcnt lgkmcnt(5)
	v_xor_b32_e32 v10, 0xfffffbff, v0
	v_ashrrev_i32_e32 v11, 31, v10
	v_add_co_u32_e32 v10, vcc, v19, v10
	v_addc_co_u32_e32 v11, vcc, v20, v11, vcc
                                        ; implicit-def: $vgpr30
.LBB180_148:
	s_andn2_saveexec_b64 s[6:7], s[6:7]
	s_cbranch_execz .LBB180_150
; %bb.149:
	s_waitcnt lgkmcnt(5)
	v_add_co_u32_e32 v10, vcc, v1, v30
	v_addc_co_u32_e32 v11, vcc, 0, v16, vcc
.LBB180_150:
	s_or_b64 exec, exec, s[6:7]
	s_waitcnt lgkmcnt(5)
	v_lshlrev_b64 v[10:11], 2, v[10:11]
	v_mov_b32_e32 v12, s25
	v_add_co_u32_e32 v10, vcc, s24, v10
	v_addc_co_u32_e32 v11, vcc, v12, v11, vcc
	s_waitcnt lgkmcnt(4)
	global_store_dword v[10:11], v8, off
	s_or_b64 exec, exec, s[4:5]
	v_cmp_gt_u32_e32 vcc, s33, v29
	s_and_saveexec_b64 s[4:5], vcc
	s_cbranch_execnz .LBB180_182
.LBB180_151:
	s_or_b64 exec, exec, s[4:5]
	v_cmp_gt_u32_e32 vcc, s33, v28
	s_and_saveexec_b64 s[4:5], vcc
	s_cbranch_execz .LBB180_187
.LBB180_152:
	v_cmp_ge_u32_e32 vcc, v28, v18
                                        ; implicit-def: $vgpr8_vgpr9
	s_and_saveexec_b64 s[6:7], vcc
	s_xor_b64 s[6:7], exec, s[6:7]
	s_cbranch_execz .LBB180_154
; %bb.153:
	s_waitcnt lgkmcnt(4)
	v_xor_b32_e32 v8, 0xfffff9ff, v0
	v_ashrrev_i32_e32 v9, 31, v8
	v_add_co_u32_e32 v8, vcc, v19, v8
	v_addc_co_u32_e32 v9, vcc, v20, v9, vcc
                                        ; implicit-def: $vgpr28
.LBB180_154:
	s_andn2_saveexec_b64 s[6:7], s[6:7]
	s_cbranch_execz .LBB180_156
; %bb.155:
	s_waitcnt lgkmcnt(4)
	v_add_co_u32_e32 v8, vcc, v1, v28
	v_addc_co_u32_e32 v9, vcc, 0, v16, vcc
.LBB180_156:
	s_or_b64 exec, exec, s[6:7]
	s_waitcnt lgkmcnt(4)
	v_lshlrev_b64 v[8:9], 2, v[8:9]
	v_mov_b32_e32 v10, s25
	v_add_co_u32_e32 v8, vcc, s24, v8
	v_addc_co_u32_e32 v9, vcc, v10, v9, vcc
	s_waitcnt lgkmcnt(3)
	global_store_dword v[8:9], v6, off
	s_or_b64 exec, exec, s[4:5]
	v_cmp_gt_u32_e32 vcc, s33, v27
	s_and_saveexec_b64 s[4:5], vcc
	s_cbranch_execnz .LBB180_188
.LBB180_157:
	s_or_b64 exec, exec, s[4:5]
	v_cmp_gt_u32_e32 vcc, s33, v26
	s_and_saveexec_b64 s[4:5], vcc
	s_cbranch_execz .LBB180_193
.LBB180_158:
	v_cmp_ge_u32_e32 vcc, v26, v18
                                        ; implicit-def: $vgpr6_vgpr7
	s_and_saveexec_b64 s[6:7], vcc
	s_xor_b64 s[6:7], exec, s[6:7]
	s_cbranch_execz .LBB180_160
; %bb.159:
	s_waitcnt lgkmcnt(3)
	v_xor_b32_e32 v6, 0xfffff7ff, v0
	v_ashrrev_i32_e32 v7, 31, v6
	v_add_co_u32_e32 v6, vcc, v19, v6
	v_addc_co_u32_e32 v7, vcc, v20, v7, vcc
                                        ; implicit-def: $vgpr26
.LBB180_160:
	s_andn2_saveexec_b64 s[6:7], s[6:7]
	s_cbranch_execz .LBB180_162
; %bb.161:
	s_waitcnt lgkmcnt(3)
	v_add_co_u32_e32 v6, vcc, v1, v26
	v_addc_co_u32_e32 v7, vcc, 0, v16, vcc
.LBB180_162:
	s_or_b64 exec, exec, s[6:7]
	s_waitcnt lgkmcnt(3)
	v_lshlrev_b64 v[6:7], 2, v[6:7]
	v_mov_b32_e32 v8, s25
	v_add_co_u32_e32 v6, vcc, s24, v6
	v_addc_co_u32_e32 v7, vcc, v8, v7, vcc
	s_waitcnt lgkmcnt(2)
	global_store_dword v[6:7], v4, off
	s_or_b64 exec, exec, s[4:5]
	v_cmp_gt_u32_e32 vcc, s33, v25
	s_and_saveexec_b64 s[4:5], vcc
	s_cbranch_execnz .LBB180_194
.LBB180_163:
	s_or_b64 exec, exec, s[4:5]
	v_cmp_gt_u32_e32 vcc, s33, v24
	s_and_saveexec_b64 s[4:5], vcc
	s_cbranch_execz .LBB180_199
.LBB180_164:
	v_cmp_ge_u32_e32 vcc, v24, v18
                                        ; implicit-def: $vgpr4_vgpr5
	s_and_saveexec_b64 s[6:7], vcc
	s_xor_b64 s[6:7], exec, s[6:7]
	s_cbranch_execz .LBB180_166
; %bb.165:
	s_waitcnt lgkmcnt(2)
	v_xor_b32_e32 v4, 0xfffff5ff, v0
	v_ashrrev_i32_e32 v5, 31, v4
	v_add_co_u32_e32 v4, vcc, v19, v4
	v_addc_co_u32_e32 v5, vcc, v20, v5, vcc
                                        ; implicit-def: $vgpr24
.LBB180_166:
	s_andn2_saveexec_b64 s[6:7], s[6:7]
	s_cbranch_execz .LBB180_168
; %bb.167:
	s_waitcnt lgkmcnt(2)
	v_add_co_u32_e32 v4, vcc, v1, v24
	v_addc_co_u32_e32 v5, vcc, 0, v16, vcc
.LBB180_168:
	s_or_b64 exec, exec, s[6:7]
	s_waitcnt lgkmcnt(2)
	v_lshlrev_b64 v[4:5], 2, v[4:5]
	v_mov_b32_e32 v6, s25
	v_add_co_u32_e32 v4, vcc, s24, v4
	v_addc_co_u32_e32 v5, vcc, v6, v5, vcc
	s_waitcnt lgkmcnt(1)
	global_store_dword v[4:5], v2, off
	s_or_b64 exec, exec, s[4:5]
	v_cmp_gt_u32_e32 vcc, s33, v23
	s_and_saveexec_b64 s[4:5], vcc
	s_cbranch_execz .LBB180_205
	s_branch .LBB180_200
.LBB180_169:
	s_or_b64 exec, exec, s[4:5]
	v_cmp_gt_u32_e32 vcc, s33, v33
	s_and_saveexec_b64 s[4:5], vcc
	s_cbranch_execz .LBB180_139
.LBB180_170:
	v_cmp_ge_u32_e32 vcc, v33, v18
                                        ; implicit-def: $vgpr14_vgpr15
	s_and_saveexec_b64 s[6:7], vcc
	s_xor_b64 s[6:7], exec, s[6:7]
	s_cbranch_execz .LBB180_172
; %bb.171:
	s_waitcnt lgkmcnt(6)
	v_xor_b32_e32 v12, 0xfffffeff, v0
	v_ashrrev_i32_e32 v15, 31, v12
	v_add_co_u32_e32 v14, vcc, v19, v12
	v_addc_co_u32_e32 v15, vcc, v20, v15, vcc
                                        ; implicit-def: $vgpr33
.LBB180_172:
	s_andn2_saveexec_b64 s[6:7], s[6:7]
; %bb.173:
	v_add_co_u32_e32 v14, vcc, v1, v33
	v_addc_co_u32_e32 v15, vcc, 0, v16, vcc
; %bb.174:
	s_or_b64 exec, exec, s[6:7]
	v_lshlrev_b64 v[14:15], 2, v[14:15]
	s_waitcnt lgkmcnt(6)
	v_mov_b32_e32 v12, s25
	v_add_co_u32_e32 v14, vcc, s24, v14
	v_addc_co_u32_e32 v15, vcc, v12, v15, vcc
	global_store_dword v[14:15], v13, off
	s_or_b64 exec, exec, s[4:5]
	v_cmp_gt_u32_e32 vcc, s33, v32
	s_and_saveexec_b64 s[4:5], vcc
	s_cbranch_execnz .LBB180_140
.LBB180_175:
	s_or_b64 exec, exec, s[4:5]
	v_cmp_gt_u32_e32 vcc, s33, v31
	s_and_saveexec_b64 s[4:5], vcc
	s_cbranch_execz .LBB180_145
.LBB180_176:
	v_cmp_ge_u32_e32 vcc, v31, v18
                                        ; implicit-def: $vgpr12_vgpr13
	s_and_saveexec_b64 s[6:7], vcc
	s_xor_b64 s[6:7], exec, s[6:7]
	s_cbranch_execz .LBB180_178
; %bb.177:
	s_waitcnt lgkmcnt(5)
	v_xor_b32_e32 v10, 0xfffffcff, v0
	v_ashrrev_i32_e32 v13, 31, v10
	v_add_co_u32_e32 v12, vcc, v19, v10
	v_addc_co_u32_e32 v13, vcc, v20, v13, vcc
                                        ; implicit-def: $vgpr31
.LBB180_178:
	s_andn2_saveexec_b64 s[6:7], s[6:7]
	s_cbranch_execz .LBB180_180
; %bb.179:
	s_waitcnt lgkmcnt(6)
	v_add_co_u32_e32 v12, vcc, v1, v31
	v_addc_co_u32_e32 v13, vcc, 0, v16, vcc
.LBB180_180:
	s_or_b64 exec, exec, s[6:7]
	s_waitcnt lgkmcnt(6)
	v_lshlrev_b64 v[12:13], 2, v[12:13]
	s_waitcnt lgkmcnt(5)
	v_mov_b32_e32 v10, s25
	v_add_co_u32_e32 v12, vcc, s24, v12
	v_addc_co_u32_e32 v13, vcc, v10, v13, vcc
	global_store_dword v[12:13], v11, off
	s_or_b64 exec, exec, s[4:5]
	v_cmp_gt_u32_e32 vcc, s33, v30
	s_and_saveexec_b64 s[4:5], vcc
	s_cbranch_execnz .LBB180_146
.LBB180_181:
	s_or_b64 exec, exec, s[4:5]
	v_cmp_gt_u32_e32 vcc, s33, v29
	s_and_saveexec_b64 s[4:5], vcc
	s_cbranch_execz .LBB180_151
.LBB180_182:
	v_cmp_ge_u32_e32 vcc, v29, v18
                                        ; implicit-def: $vgpr10_vgpr11
	s_and_saveexec_b64 s[6:7], vcc
	s_xor_b64 s[6:7], exec, s[6:7]
	s_cbranch_execz .LBB180_184
; %bb.183:
	s_waitcnt lgkmcnt(4)
	v_xor_b32_e32 v8, 0xfffffaff, v0
	v_ashrrev_i32_e32 v11, 31, v8
	v_add_co_u32_e32 v10, vcc, v19, v8
	v_addc_co_u32_e32 v11, vcc, v20, v11, vcc
                                        ; implicit-def: $vgpr29
.LBB180_184:
	s_andn2_saveexec_b64 s[6:7], s[6:7]
	s_cbranch_execz .LBB180_186
; %bb.185:
	s_waitcnt lgkmcnt(5)
	v_add_co_u32_e32 v10, vcc, v1, v29
	v_addc_co_u32_e32 v11, vcc, 0, v16, vcc
.LBB180_186:
	s_or_b64 exec, exec, s[6:7]
	s_waitcnt lgkmcnt(5)
	v_lshlrev_b64 v[10:11], 2, v[10:11]
	s_waitcnt lgkmcnt(4)
	v_mov_b32_e32 v8, s25
	v_add_co_u32_e32 v10, vcc, s24, v10
	v_addc_co_u32_e32 v11, vcc, v8, v11, vcc
	global_store_dword v[10:11], v9, off
	s_or_b64 exec, exec, s[4:5]
	v_cmp_gt_u32_e32 vcc, s33, v28
	s_and_saveexec_b64 s[4:5], vcc
	s_cbranch_execnz .LBB180_152
.LBB180_187:
	s_or_b64 exec, exec, s[4:5]
	v_cmp_gt_u32_e32 vcc, s33, v27
	s_and_saveexec_b64 s[4:5], vcc
	s_cbranch_execz .LBB180_157
.LBB180_188:
	v_cmp_ge_u32_e32 vcc, v27, v18
                                        ; implicit-def: $vgpr8_vgpr9
	s_and_saveexec_b64 s[6:7], vcc
	s_xor_b64 s[6:7], exec, s[6:7]
	s_cbranch_execz .LBB180_190
; %bb.189:
	s_waitcnt lgkmcnt(3)
	v_xor_b32_e32 v6, 0xfffff8ff, v0
	v_ashrrev_i32_e32 v9, 31, v6
	v_add_co_u32_e32 v8, vcc, v19, v6
	v_addc_co_u32_e32 v9, vcc, v20, v9, vcc
                                        ; implicit-def: $vgpr27
.LBB180_190:
	s_andn2_saveexec_b64 s[6:7], s[6:7]
	s_cbranch_execz .LBB180_192
; %bb.191:
	s_waitcnt lgkmcnt(4)
	v_add_co_u32_e32 v8, vcc, v1, v27
	v_addc_co_u32_e32 v9, vcc, 0, v16, vcc
.LBB180_192:
	s_or_b64 exec, exec, s[6:7]
	s_waitcnt lgkmcnt(4)
	v_lshlrev_b64 v[8:9], 2, v[8:9]
	s_waitcnt lgkmcnt(3)
	v_mov_b32_e32 v6, s25
	v_add_co_u32_e32 v8, vcc, s24, v8
	v_addc_co_u32_e32 v9, vcc, v6, v9, vcc
	global_store_dword v[8:9], v7, off
	s_or_b64 exec, exec, s[4:5]
	v_cmp_gt_u32_e32 vcc, s33, v26
	s_and_saveexec_b64 s[4:5], vcc
	s_cbranch_execnz .LBB180_158
.LBB180_193:
	s_or_b64 exec, exec, s[4:5]
	v_cmp_gt_u32_e32 vcc, s33, v25
	s_and_saveexec_b64 s[4:5], vcc
	s_cbranch_execz .LBB180_163
.LBB180_194:
	v_cmp_ge_u32_e32 vcc, v25, v18
                                        ; implicit-def: $vgpr6_vgpr7
	s_and_saveexec_b64 s[6:7], vcc
	s_xor_b64 s[6:7], exec, s[6:7]
	s_cbranch_execz .LBB180_196
; %bb.195:
	s_waitcnt lgkmcnt(2)
	v_xor_b32_e32 v4, 0xfffff6ff, v0
	v_ashrrev_i32_e32 v7, 31, v4
	v_add_co_u32_e32 v6, vcc, v19, v4
	v_addc_co_u32_e32 v7, vcc, v20, v7, vcc
                                        ; implicit-def: $vgpr25
.LBB180_196:
	s_andn2_saveexec_b64 s[6:7], s[6:7]
	s_cbranch_execz .LBB180_198
; %bb.197:
	s_waitcnt lgkmcnt(3)
	v_add_co_u32_e32 v6, vcc, v1, v25
	v_addc_co_u32_e32 v7, vcc, 0, v16, vcc
.LBB180_198:
	s_or_b64 exec, exec, s[6:7]
	s_waitcnt lgkmcnt(3)
	v_lshlrev_b64 v[6:7], 2, v[6:7]
	s_waitcnt lgkmcnt(2)
	v_mov_b32_e32 v4, s25
	v_add_co_u32_e32 v6, vcc, s24, v6
	v_addc_co_u32_e32 v7, vcc, v4, v7, vcc
	global_store_dword v[6:7], v5, off
	s_or_b64 exec, exec, s[4:5]
	v_cmp_gt_u32_e32 vcc, s33, v24
	s_and_saveexec_b64 s[4:5], vcc
	s_cbranch_execnz .LBB180_164
.LBB180_199:
	s_or_b64 exec, exec, s[4:5]
	v_cmp_gt_u32_e32 vcc, s33, v23
	s_and_saveexec_b64 s[4:5], vcc
	s_cbranch_execz .LBB180_205
.LBB180_200:
	v_cmp_ge_u32_e32 vcc, v23, v18
                                        ; implicit-def: $vgpr4_vgpr5
	s_and_saveexec_b64 s[6:7], vcc
	s_xor_b64 s[6:7], exec, s[6:7]
	s_cbranch_execz .LBB180_202
; %bb.201:
	s_waitcnt lgkmcnt(1)
	v_xor_b32_e32 v2, 0xfffff4ff, v0
	v_ashrrev_i32_e32 v5, 31, v2
	v_add_co_u32_e32 v4, vcc, v19, v2
	v_addc_co_u32_e32 v5, vcc, v20, v5, vcc
                                        ; implicit-def: $vgpr23
.LBB180_202:
	s_andn2_saveexec_b64 s[6:7], s[6:7]
	s_cbranch_execz .LBB180_204
; %bb.203:
	s_waitcnt lgkmcnt(2)
	v_add_co_u32_e32 v4, vcc, v1, v23
	v_addc_co_u32_e32 v5, vcc, 0, v16, vcc
.LBB180_204:
	s_or_b64 exec, exec, s[6:7]
	s_waitcnt lgkmcnt(2)
	v_lshlrev_b64 v[4:5], 2, v[4:5]
	s_waitcnt lgkmcnt(1)
	v_mov_b32_e32 v2, s25
	v_add_co_u32_e32 v4, vcc, s24, v4
	v_addc_co_u32_e32 v5, vcc, v2, v5, vcc
	global_store_dword v[4:5], v3, off
.LBB180_205:
	s_or_b64 exec, exec, s[4:5]
	v_cmp_gt_u32_e32 vcc, s33, v22
                                        ; implicit-def: $vgpr14_vgpr15
	s_and_saveexec_b64 s[4:5], vcc
	s_cbranch_execz .LBB180_211
; %bb.206:
	v_cmp_ge_u32_e32 vcc, v22, v18
                                        ; implicit-def: $vgpr14_vgpr15
	s_and_saveexec_b64 s[6:7], vcc
	s_xor_b64 s[6:7], exec, s[6:7]
	s_cbranch_execz .LBB180_208
; %bb.207:
	v_xor_b32_e32 v0, 0xfffff3ff, v0
	s_waitcnt lgkmcnt(1)
	v_ashrrev_i32_e32 v2, 31, v0
	v_add_co_u32_e32 v14, vcc, v19, v0
	v_addc_co_u32_e32 v15, vcc, v20, v2, vcc
                                        ; implicit-def: $vgpr22
.LBB180_208:
	s_andn2_saveexec_b64 s[6:7], s[6:7]
; %bb.209:
	v_add_co_u32_e32 v14, vcc, v1, v22
	v_addc_co_u32_e32 v15, vcc, 0, v16, vcc
; %bb.210:
	s_or_b64 exec, exec, s[6:7]
	s_or_b64 s[2:3], s[2:3], exec
.LBB180_211:
	s_or_b64 exec, exec, s[4:5]
	s_and_saveexec_b64 s[4:5], s[2:3]
	s_cbranch_execnz .LBB180_130
.LBB180_212:
	s_or_b64 exec, exec, s[4:5]
	s_and_b64 s[0:1], s[0:1], s[22:23]
	s_and_saveexec_b64 s[2:3], s[0:1]
	s_cbranch_execz .LBB180_131
.LBB180_213:
	v_add_co_u32_e32 v0, vcc, v1, v18
	s_waitcnt lgkmcnt(1)
	v_mov_b32_e32 v2, 0
	v_addc_co_u32_e32 v1, vcc, 0, v16, vcc
	global_store_dwordx2 v2, v[0:1], s[20:21]
	s_endpgm
	.section	.rodata,"a",@progbits
	.p2align	6, 0x0
	.amdhsa_kernel _ZN7rocprim17ROCPRIM_400000_NS6detail17trampoline_kernelINS0_13select_configILj256ELj13ELNS0_17block_load_methodE3ELS4_3ELS4_3ELNS0_20block_scan_algorithmE0ELj4294967295EEENS1_25partition_config_selectorILNS1_17partition_subalgoE3EjNS0_10empty_typeEbEEZZNS1_14partition_implILS8_3ELb0ES6_jNS0_17counting_iteratorIjlEEPS9_SE_NS0_5tupleIJPjSE_EEENSF_IJSE_SE_EEES9_SG_JZNS1_25segmented_radix_sort_implINS0_14default_configELb0EPKhPhPKlPlN2at6native12_GLOBAL__N_18offset_tEEE10hipError_tPvRmT1_PNSt15iterator_traitsISY_E10value_typeET2_T3_PNSZ_IS14_E10value_typeET4_jRbjT5_S1A_jjP12ihipStream_tbEUljE_EEESV_SW_SX_S14_S18_S1A_T6_T7_T9_mT8_S1C_bDpT10_ENKUlT_T0_E_clISt17integral_constantIbLb0EES1O_IbLb1EEEEDaS1K_S1L_EUlS1K_E_NS1_11comp_targetILNS1_3genE4ELNS1_11target_archE910ELNS1_3gpuE8ELNS1_3repE0EEENS1_30default_config_static_selectorELNS0_4arch9wavefront6targetE1EEEvSY_
		.amdhsa_group_segment_fixed_size 13324
		.amdhsa_private_segment_fixed_size 0
		.amdhsa_kernarg_size 152
		.amdhsa_user_sgpr_count 6
		.amdhsa_user_sgpr_private_segment_buffer 1
		.amdhsa_user_sgpr_dispatch_ptr 0
		.amdhsa_user_sgpr_queue_ptr 0
		.amdhsa_user_sgpr_kernarg_segment_ptr 1
		.amdhsa_user_sgpr_dispatch_id 0
		.amdhsa_user_sgpr_flat_scratch_init 0
		.amdhsa_user_sgpr_kernarg_preload_length 0
		.amdhsa_user_sgpr_kernarg_preload_offset 0
		.amdhsa_user_sgpr_private_segment_size 0
		.amdhsa_uses_dynamic_stack 0
		.amdhsa_system_sgpr_private_segment_wavefront_offset 0
		.amdhsa_system_sgpr_workgroup_id_x 1
		.amdhsa_system_sgpr_workgroup_id_y 0
		.amdhsa_system_sgpr_workgroup_id_z 0
		.amdhsa_system_sgpr_workgroup_info 0
		.amdhsa_system_vgpr_workitem_id 0
		.amdhsa_next_free_vgpr 64
		.amdhsa_next_free_sgpr 44
		.amdhsa_accum_offset 64
		.amdhsa_reserve_vcc 1
		.amdhsa_reserve_flat_scratch 0
		.amdhsa_float_round_mode_32 0
		.amdhsa_float_round_mode_16_64 0
		.amdhsa_float_denorm_mode_32 3
		.amdhsa_float_denorm_mode_16_64 3
		.amdhsa_dx10_clamp 1
		.amdhsa_ieee_mode 1
		.amdhsa_fp16_overflow 0
		.amdhsa_tg_split 0
		.amdhsa_exception_fp_ieee_invalid_op 0
		.amdhsa_exception_fp_denorm_src 0
		.amdhsa_exception_fp_ieee_div_zero 0
		.amdhsa_exception_fp_ieee_overflow 0
		.amdhsa_exception_fp_ieee_underflow 0
		.amdhsa_exception_fp_ieee_inexact 0
		.amdhsa_exception_int_div_zero 0
	.end_amdhsa_kernel
	.section	.text._ZN7rocprim17ROCPRIM_400000_NS6detail17trampoline_kernelINS0_13select_configILj256ELj13ELNS0_17block_load_methodE3ELS4_3ELS4_3ELNS0_20block_scan_algorithmE0ELj4294967295EEENS1_25partition_config_selectorILNS1_17partition_subalgoE3EjNS0_10empty_typeEbEEZZNS1_14partition_implILS8_3ELb0ES6_jNS0_17counting_iteratorIjlEEPS9_SE_NS0_5tupleIJPjSE_EEENSF_IJSE_SE_EEES9_SG_JZNS1_25segmented_radix_sort_implINS0_14default_configELb0EPKhPhPKlPlN2at6native12_GLOBAL__N_18offset_tEEE10hipError_tPvRmT1_PNSt15iterator_traitsISY_E10value_typeET2_T3_PNSZ_IS14_E10value_typeET4_jRbjT5_S1A_jjP12ihipStream_tbEUljE_EEESV_SW_SX_S14_S18_S1A_T6_T7_T9_mT8_S1C_bDpT10_ENKUlT_T0_E_clISt17integral_constantIbLb0EES1O_IbLb1EEEEDaS1K_S1L_EUlS1K_E_NS1_11comp_targetILNS1_3genE4ELNS1_11target_archE910ELNS1_3gpuE8ELNS1_3repE0EEENS1_30default_config_static_selectorELNS0_4arch9wavefront6targetE1EEEvSY_,"axG",@progbits,_ZN7rocprim17ROCPRIM_400000_NS6detail17trampoline_kernelINS0_13select_configILj256ELj13ELNS0_17block_load_methodE3ELS4_3ELS4_3ELNS0_20block_scan_algorithmE0ELj4294967295EEENS1_25partition_config_selectorILNS1_17partition_subalgoE3EjNS0_10empty_typeEbEEZZNS1_14partition_implILS8_3ELb0ES6_jNS0_17counting_iteratorIjlEEPS9_SE_NS0_5tupleIJPjSE_EEENSF_IJSE_SE_EEES9_SG_JZNS1_25segmented_radix_sort_implINS0_14default_configELb0EPKhPhPKlPlN2at6native12_GLOBAL__N_18offset_tEEE10hipError_tPvRmT1_PNSt15iterator_traitsISY_E10value_typeET2_T3_PNSZ_IS14_E10value_typeET4_jRbjT5_S1A_jjP12ihipStream_tbEUljE_EEESV_SW_SX_S14_S18_S1A_T6_T7_T9_mT8_S1C_bDpT10_ENKUlT_T0_E_clISt17integral_constantIbLb0EES1O_IbLb1EEEEDaS1K_S1L_EUlS1K_E_NS1_11comp_targetILNS1_3genE4ELNS1_11target_archE910ELNS1_3gpuE8ELNS1_3repE0EEENS1_30default_config_static_selectorELNS0_4arch9wavefront6targetE1EEEvSY_,comdat
.Lfunc_end180:
	.size	_ZN7rocprim17ROCPRIM_400000_NS6detail17trampoline_kernelINS0_13select_configILj256ELj13ELNS0_17block_load_methodE3ELS4_3ELS4_3ELNS0_20block_scan_algorithmE0ELj4294967295EEENS1_25partition_config_selectorILNS1_17partition_subalgoE3EjNS0_10empty_typeEbEEZZNS1_14partition_implILS8_3ELb0ES6_jNS0_17counting_iteratorIjlEEPS9_SE_NS0_5tupleIJPjSE_EEENSF_IJSE_SE_EEES9_SG_JZNS1_25segmented_radix_sort_implINS0_14default_configELb0EPKhPhPKlPlN2at6native12_GLOBAL__N_18offset_tEEE10hipError_tPvRmT1_PNSt15iterator_traitsISY_E10value_typeET2_T3_PNSZ_IS14_E10value_typeET4_jRbjT5_S1A_jjP12ihipStream_tbEUljE_EEESV_SW_SX_S14_S18_S1A_T6_T7_T9_mT8_S1C_bDpT10_ENKUlT_T0_E_clISt17integral_constantIbLb0EES1O_IbLb1EEEEDaS1K_S1L_EUlS1K_E_NS1_11comp_targetILNS1_3genE4ELNS1_11target_archE910ELNS1_3gpuE8ELNS1_3repE0EEENS1_30default_config_static_selectorELNS0_4arch9wavefront6targetE1EEEvSY_, .Lfunc_end180-_ZN7rocprim17ROCPRIM_400000_NS6detail17trampoline_kernelINS0_13select_configILj256ELj13ELNS0_17block_load_methodE3ELS4_3ELS4_3ELNS0_20block_scan_algorithmE0ELj4294967295EEENS1_25partition_config_selectorILNS1_17partition_subalgoE3EjNS0_10empty_typeEbEEZZNS1_14partition_implILS8_3ELb0ES6_jNS0_17counting_iteratorIjlEEPS9_SE_NS0_5tupleIJPjSE_EEENSF_IJSE_SE_EEES9_SG_JZNS1_25segmented_radix_sort_implINS0_14default_configELb0EPKhPhPKlPlN2at6native12_GLOBAL__N_18offset_tEEE10hipError_tPvRmT1_PNSt15iterator_traitsISY_E10value_typeET2_T3_PNSZ_IS14_E10value_typeET4_jRbjT5_S1A_jjP12ihipStream_tbEUljE_EEESV_SW_SX_S14_S18_S1A_T6_T7_T9_mT8_S1C_bDpT10_ENKUlT_T0_E_clISt17integral_constantIbLb0EES1O_IbLb1EEEEDaS1K_S1L_EUlS1K_E_NS1_11comp_targetILNS1_3genE4ELNS1_11target_archE910ELNS1_3gpuE8ELNS1_3repE0EEENS1_30default_config_static_selectorELNS0_4arch9wavefront6targetE1EEEvSY_
                                        ; -- End function
	.section	.AMDGPU.csdata,"",@progbits
; Kernel info:
; codeLenInByte = 7816
; NumSgprs: 48
; NumVgprs: 64
; NumAgprs: 0
; TotalNumVgprs: 64
; ScratchSize: 0
; MemoryBound: 0
; FloatMode: 240
; IeeeMode: 1
; LDSByteSize: 13324 bytes/workgroup (compile time only)
; SGPRBlocks: 5
; VGPRBlocks: 7
; NumSGPRsForWavesPerEU: 48
; NumVGPRsForWavesPerEU: 64
; AccumOffset: 64
; Occupancy: 4
; WaveLimiterHint : 0
; COMPUTE_PGM_RSRC2:SCRATCH_EN: 0
; COMPUTE_PGM_RSRC2:USER_SGPR: 6
; COMPUTE_PGM_RSRC2:TRAP_HANDLER: 0
; COMPUTE_PGM_RSRC2:TGID_X_EN: 1
; COMPUTE_PGM_RSRC2:TGID_Y_EN: 0
; COMPUTE_PGM_RSRC2:TGID_Z_EN: 0
; COMPUTE_PGM_RSRC2:TIDIG_COMP_CNT: 0
; COMPUTE_PGM_RSRC3_GFX90A:ACCUM_OFFSET: 15
; COMPUTE_PGM_RSRC3_GFX90A:TG_SPLIT: 0
	.section	.text._ZN7rocprim17ROCPRIM_400000_NS6detail17trampoline_kernelINS0_13select_configILj256ELj13ELNS0_17block_load_methodE3ELS4_3ELS4_3ELNS0_20block_scan_algorithmE0ELj4294967295EEENS1_25partition_config_selectorILNS1_17partition_subalgoE3EjNS0_10empty_typeEbEEZZNS1_14partition_implILS8_3ELb0ES6_jNS0_17counting_iteratorIjlEEPS9_SE_NS0_5tupleIJPjSE_EEENSF_IJSE_SE_EEES9_SG_JZNS1_25segmented_radix_sort_implINS0_14default_configELb0EPKhPhPKlPlN2at6native12_GLOBAL__N_18offset_tEEE10hipError_tPvRmT1_PNSt15iterator_traitsISY_E10value_typeET2_T3_PNSZ_IS14_E10value_typeET4_jRbjT5_S1A_jjP12ihipStream_tbEUljE_EEESV_SW_SX_S14_S18_S1A_T6_T7_T9_mT8_S1C_bDpT10_ENKUlT_T0_E_clISt17integral_constantIbLb0EES1O_IbLb1EEEEDaS1K_S1L_EUlS1K_E_NS1_11comp_targetILNS1_3genE3ELNS1_11target_archE908ELNS1_3gpuE7ELNS1_3repE0EEENS1_30default_config_static_selectorELNS0_4arch9wavefront6targetE1EEEvSY_,"axG",@progbits,_ZN7rocprim17ROCPRIM_400000_NS6detail17trampoline_kernelINS0_13select_configILj256ELj13ELNS0_17block_load_methodE3ELS4_3ELS4_3ELNS0_20block_scan_algorithmE0ELj4294967295EEENS1_25partition_config_selectorILNS1_17partition_subalgoE3EjNS0_10empty_typeEbEEZZNS1_14partition_implILS8_3ELb0ES6_jNS0_17counting_iteratorIjlEEPS9_SE_NS0_5tupleIJPjSE_EEENSF_IJSE_SE_EEES9_SG_JZNS1_25segmented_radix_sort_implINS0_14default_configELb0EPKhPhPKlPlN2at6native12_GLOBAL__N_18offset_tEEE10hipError_tPvRmT1_PNSt15iterator_traitsISY_E10value_typeET2_T3_PNSZ_IS14_E10value_typeET4_jRbjT5_S1A_jjP12ihipStream_tbEUljE_EEESV_SW_SX_S14_S18_S1A_T6_T7_T9_mT8_S1C_bDpT10_ENKUlT_T0_E_clISt17integral_constantIbLb0EES1O_IbLb1EEEEDaS1K_S1L_EUlS1K_E_NS1_11comp_targetILNS1_3genE3ELNS1_11target_archE908ELNS1_3gpuE7ELNS1_3repE0EEENS1_30default_config_static_selectorELNS0_4arch9wavefront6targetE1EEEvSY_,comdat
	.globl	_ZN7rocprim17ROCPRIM_400000_NS6detail17trampoline_kernelINS0_13select_configILj256ELj13ELNS0_17block_load_methodE3ELS4_3ELS4_3ELNS0_20block_scan_algorithmE0ELj4294967295EEENS1_25partition_config_selectorILNS1_17partition_subalgoE3EjNS0_10empty_typeEbEEZZNS1_14partition_implILS8_3ELb0ES6_jNS0_17counting_iteratorIjlEEPS9_SE_NS0_5tupleIJPjSE_EEENSF_IJSE_SE_EEES9_SG_JZNS1_25segmented_radix_sort_implINS0_14default_configELb0EPKhPhPKlPlN2at6native12_GLOBAL__N_18offset_tEEE10hipError_tPvRmT1_PNSt15iterator_traitsISY_E10value_typeET2_T3_PNSZ_IS14_E10value_typeET4_jRbjT5_S1A_jjP12ihipStream_tbEUljE_EEESV_SW_SX_S14_S18_S1A_T6_T7_T9_mT8_S1C_bDpT10_ENKUlT_T0_E_clISt17integral_constantIbLb0EES1O_IbLb1EEEEDaS1K_S1L_EUlS1K_E_NS1_11comp_targetILNS1_3genE3ELNS1_11target_archE908ELNS1_3gpuE7ELNS1_3repE0EEENS1_30default_config_static_selectorELNS0_4arch9wavefront6targetE1EEEvSY_ ; -- Begin function _ZN7rocprim17ROCPRIM_400000_NS6detail17trampoline_kernelINS0_13select_configILj256ELj13ELNS0_17block_load_methodE3ELS4_3ELS4_3ELNS0_20block_scan_algorithmE0ELj4294967295EEENS1_25partition_config_selectorILNS1_17partition_subalgoE3EjNS0_10empty_typeEbEEZZNS1_14partition_implILS8_3ELb0ES6_jNS0_17counting_iteratorIjlEEPS9_SE_NS0_5tupleIJPjSE_EEENSF_IJSE_SE_EEES9_SG_JZNS1_25segmented_radix_sort_implINS0_14default_configELb0EPKhPhPKlPlN2at6native12_GLOBAL__N_18offset_tEEE10hipError_tPvRmT1_PNSt15iterator_traitsISY_E10value_typeET2_T3_PNSZ_IS14_E10value_typeET4_jRbjT5_S1A_jjP12ihipStream_tbEUljE_EEESV_SW_SX_S14_S18_S1A_T6_T7_T9_mT8_S1C_bDpT10_ENKUlT_T0_E_clISt17integral_constantIbLb0EES1O_IbLb1EEEEDaS1K_S1L_EUlS1K_E_NS1_11comp_targetILNS1_3genE3ELNS1_11target_archE908ELNS1_3gpuE7ELNS1_3repE0EEENS1_30default_config_static_selectorELNS0_4arch9wavefront6targetE1EEEvSY_
	.p2align	8
	.type	_ZN7rocprim17ROCPRIM_400000_NS6detail17trampoline_kernelINS0_13select_configILj256ELj13ELNS0_17block_load_methodE3ELS4_3ELS4_3ELNS0_20block_scan_algorithmE0ELj4294967295EEENS1_25partition_config_selectorILNS1_17partition_subalgoE3EjNS0_10empty_typeEbEEZZNS1_14partition_implILS8_3ELb0ES6_jNS0_17counting_iteratorIjlEEPS9_SE_NS0_5tupleIJPjSE_EEENSF_IJSE_SE_EEES9_SG_JZNS1_25segmented_radix_sort_implINS0_14default_configELb0EPKhPhPKlPlN2at6native12_GLOBAL__N_18offset_tEEE10hipError_tPvRmT1_PNSt15iterator_traitsISY_E10value_typeET2_T3_PNSZ_IS14_E10value_typeET4_jRbjT5_S1A_jjP12ihipStream_tbEUljE_EEESV_SW_SX_S14_S18_S1A_T6_T7_T9_mT8_S1C_bDpT10_ENKUlT_T0_E_clISt17integral_constantIbLb0EES1O_IbLb1EEEEDaS1K_S1L_EUlS1K_E_NS1_11comp_targetILNS1_3genE3ELNS1_11target_archE908ELNS1_3gpuE7ELNS1_3repE0EEENS1_30default_config_static_selectorELNS0_4arch9wavefront6targetE1EEEvSY_,@function
_ZN7rocprim17ROCPRIM_400000_NS6detail17trampoline_kernelINS0_13select_configILj256ELj13ELNS0_17block_load_methodE3ELS4_3ELS4_3ELNS0_20block_scan_algorithmE0ELj4294967295EEENS1_25partition_config_selectorILNS1_17partition_subalgoE3EjNS0_10empty_typeEbEEZZNS1_14partition_implILS8_3ELb0ES6_jNS0_17counting_iteratorIjlEEPS9_SE_NS0_5tupleIJPjSE_EEENSF_IJSE_SE_EEES9_SG_JZNS1_25segmented_radix_sort_implINS0_14default_configELb0EPKhPhPKlPlN2at6native12_GLOBAL__N_18offset_tEEE10hipError_tPvRmT1_PNSt15iterator_traitsISY_E10value_typeET2_T3_PNSZ_IS14_E10value_typeET4_jRbjT5_S1A_jjP12ihipStream_tbEUljE_EEESV_SW_SX_S14_S18_S1A_T6_T7_T9_mT8_S1C_bDpT10_ENKUlT_T0_E_clISt17integral_constantIbLb0EES1O_IbLb1EEEEDaS1K_S1L_EUlS1K_E_NS1_11comp_targetILNS1_3genE3ELNS1_11target_archE908ELNS1_3gpuE7ELNS1_3repE0EEENS1_30default_config_static_selectorELNS0_4arch9wavefront6targetE1EEEvSY_: ; @_ZN7rocprim17ROCPRIM_400000_NS6detail17trampoline_kernelINS0_13select_configILj256ELj13ELNS0_17block_load_methodE3ELS4_3ELS4_3ELNS0_20block_scan_algorithmE0ELj4294967295EEENS1_25partition_config_selectorILNS1_17partition_subalgoE3EjNS0_10empty_typeEbEEZZNS1_14partition_implILS8_3ELb0ES6_jNS0_17counting_iteratorIjlEEPS9_SE_NS0_5tupleIJPjSE_EEENSF_IJSE_SE_EEES9_SG_JZNS1_25segmented_radix_sort_implINS0_14default_configELb0EPKhPhPKlPlN2at6native12_GLOBAL__N_18offset_tEEE10hipError_tPvRmT1_PNSt15iterator_traitsISY_E10value_typeET2_T3_PNSZ_IS14_E10value_typeET4_jRbjT5_S1A_jjP12ihipStream_tbEUljE_EEESV_SW_SX_S14_S18_S1A_T6_T7_T9_mT8_S1C_bDpT10_ENKUlT_T0_E_clISt17integral_constantIbLb0EES1O_IbLb1EEEEDaS1K_S1L_EUlS1K_E_NS1_11comp_targetILNS1_3genE3ELNS1_11target_archE908ELNS1_3gpuE7ELNS1_3repE0EEENS1_30default_config_static_selectorELNS0_4arch9wavefront6targetE1EEEvSY_
; %bb.0:
	.section	.rodata,"a",@progbits
	.p2align	6, 0x0
	.amdhsa_kernel _ZN7rocprim17ROCPRIM_400000_NS6detail17trampoline_kernelINS0_13select_configILj256ELj13ELNS0_17block_load_methodE3ELS4_3ELS4_3ELNS0_20block_scan_algorithmE0ELj4294967295EEENS1_25partition_config_selectorILNS1_17partition_subalgoE3EjNS0_10empty_typeEbEEZZNS1_14partition_implILS8_3ELb0ES6_jNS0_17counting_iteratorIjlEEPS9_SE_NS0_5tupleIJPjSE_EEENSF_IJSE_SE_EEES9_SG_JZNS1_25segmented_radix_sort_implINS0_14default_configELb0EPKhPhPKlPlN2at6native12_GLOBAL__N_18offset_tEEE10hipError_tPvRmT1_PNSt15iterator_traitsISY_E10value_typeET2_T3_PNSZ_IS14_E10value_typeET4_jRbjT5_S1A_jjP12ihipStream_tbEUljE_EEESV_SW_SX_S14_S18_S1A_T6_T7_T9_mT8_S1C_bDpT10_ENKUlT_T0_E_clISt17integral_constantIbLb0EES1O_IbLb1EEEEDaS1K_S1L_EUlS1K_E_NS1_11comp_targetILNS1_3genE3ELNS1_11target_archE908ELNS1_3gpuE7ELNS1_3repE0EEENS1_30default_config_static_selectorELNS0_4arch9wavefront6targetE1EEEvSY_
		.amdhsa_group_segment_fixed_size 0
		.amdhsa_private_segment_fixed_size 0
		.amdhsa_kernarg_size 152
		.amdhsa_user_sgpr_count 6
		.amdhsa_user_sgpr_private_segment_buffer 1
		.amdhsa_user_sgpr_dispatch_ptr 0
		.amdhsa_user_sgpr_queue_ptr 0
		.amdhsa_user_sgpr_kernarg_segment_ptr 1
		.amdhsa_user_sgpr_dispatch_id 0
		.amdhsa_user_sgpr_flat_scratch_init 0
		.amdhsa_user_sgpr_kernarg_preload_length 0
		.amdhsa_user_sgpr_kernarg_preload_offset 0
		.amdhsa_user_sgpr_private_segment_size 0
		.amdhsa_uses_dynamic_stack 0
		.amdhsa_system_sgpr_private_segment_wavefront_offset 0
		.amdhsa_system_sgpr_workgroup_id_x 1
		.amdhsa_system_sgpr_workgroup_id_y 0
		.amdhsa_system_sgpr_workgroup_id_z 0
		.amdhsa_system_sgpr_workgroup_info 0
		.amdhsa_system_vgpr_workitem_id 0
		.amdhsa_next_free_vgpr 1
		.amdhsa_next_free_sgpr 0
		.amdhsa_accum_offset 4
		.amdhsa_reserve_vcc 0
		.amdhsa_reserve_flat_scratch 0
		.amdhsa_float_round_mode_32 0
		.amdhsa_float_round_mode_16_64 0
		.amdhsa_float_denorm_mode_32 3
		.amdhsa_float_denorm_mode_16_64 3
		.amdhsa_dx10_clamp 1
		.amdhsa_ieee_mode 1
		.amdhsa_fp16_overflow 0
		.amdhsa_tg_split 0
		.amdhsa_exception_fp_ieee_invalid_op 0
		.amdhsa_exception_fp_denorm_src 0
		.amdhsa_exception_fp_ieee_div_zero 0
		.amdhsa_exception_fp_ieee_overflow 0
		.amdhsa_exception_fp_ieee_underflow 0
		.amdhsa_exception_fp_ieee_inexact 0
		.amdhsa_exception_int_div_zero 0
	.end_amdhsa_kernel
	.section	.text._ZN7rocprim17ROCPRIM_400000_NS6detail17trampoline_kernelINS0_13select_configILj256ELj13ELNS0_17block_load_methodE3ELS4_3ELS4_3ELNS0_20block_scan_algorithmE0ELj4294967295EEENS1_25partition_config_selectorILNS1_17partition_subalgoE3EjNS0_10empty_typeEbEEZZNS1_14partition_implILS8_3ELb0ES6_jNS0_17counting_iteratorIjlEEPS9_SE_NS0_5tupleIJPjSE_EEENSF_IJSE_SE_EEES9_SG_JZNS1_25segmented_radix_sort_implINS0_14default_configELb0EPKhPhPKlPlN2at6native12_GLOBAL__N_18offset_tEEE10hipError_tPvRmT1_PNSt15iterator_traitsISY_E10value_typeET2_T3_PNSZ_IS14_E10value_typeET4_jRbjT5_S1A_jjP12ihipStream_tbEUljE_EEESV_SW_SX_S14_S18_S1A_T6_T7_T9_mT8_S1C_bDpT10_ENKUlT_T0_E_clISt17integral_constantIbLb0EES1O_IbLb1EEEEDaS1K_S1L_EUlS1K_E_NS1_11comp_targetILNS1_3genE3ELNS1_11target_archE908ELNS1_3gpuE7ELNS1_3repE0EEENS1_30default_config_static_selectorELNS0_4arch9wavefront6targetE1EEEvSY_,"axG",@progbits,_ZN7rocprim17ROCPRIM_400000_NS6detail17trampoline_kernelINS0_13select_configILj256ELj13ELNS0_17block_load_methodE3ELS4_3ELS4_3ELNS0_20block_scan_algorithmE0ELj4294967295EEENS1_25partition_config_selectorILNS1_17partition_subalgoE3EjNS0_10empty_typeEbEEZZNS1_14partition_implILS8_3ELb0ES6_jNS0_17counting_iteratorIjlEEPS9_SE_NS0_5tupleIJPjSE_EEENSF_IJSE_SE_EEES9_SG_JZNS1_25segmented_radix_sort_implINS0_14default_configELb0EPKhPhPKlPlN2at6native12_GLOBAL__N_18offset_tEEE10hipError_tPvRmT1_PNSt15iterator_traitsISY_E10value_typeET2_T3_PNSZ_IS14_E10value_typeET4_jRbjT5_S1A_jjP12ihipStream_tbEUljE_EEESV_SW_SX_S14_S18_S1A_T6_T7_T9_mT8_S1C_bDpT10_ENKUlT_T0_E_clISt17integral_constantIbLb0EES1O_IbLb1EEEEDaS1K_S1L_EUlS1K_E_NS1_11comp_targetILNS1_3genE3ELNS1_11target_archE908ELNS1_3gpuE7ELNS1_3repE0EEENS1_30default_config_static_selectorELNS0_4arch9wavefront6targetE1EEEvSY_,comdat
.Lfunc_end181:
	.size	_ZN7rocprim17ROCPRIM_400000_NS6detail17trampoline_kernelINS0_13select_configILj256ELj13ELNS0_17block_load_methodE3ELS4_3ELS4_3ELNS0_20block_scan_algorithmE0ELj4294967295EEENS1_25partition_config_selectorILNS1_17partition_subalgoE3EjNS0_10empty_typeEbEEZZNS1_14partition_implILS8_3ELb0ES6_jNS0_17counting_iteratorIjlEEPS9_SE_NS0_5tupleIJPjSE_EEENSF_IJSE_SE_EEES9_SG_JZNS1_25segmented_radix_sort_implINS0_14default_configELb0EPKhPhPKlPlN2at6native12_GLOBAL__N_18offset_tEEE10hipError_tPvRmT1_PNSt15iterator_traitsISY_E10value_typeET2_T3_PNSZ_IS14_E10value_typeET4_jRbjT5_S1A_jjP12ihipStream_tbEUljE_EEESV_SW_SX_S14_S18_S1A_T6_T7_T9_mT8_S1C_bDpT10_ENKUlT_T0_E_clISt17integral_constantIbLb0EES1O_IbLb1EEEEDaS1K_S1L_EUlS1K_E_NS1_11comp_targetILNS1_3genE3ELNS1_11target_archE908ELNS1_3gpuE7ELNS1_3repE0EEENS1_30default_config_static_selectorELNS0_4arch9wavefront6targetE1EEEvSY_, .Lfunc_end181-_ZN7rocprim17ROCPRIM_400000_NS6detail17trampoline_kernelINS0_13select_configILj256ELj13ELNS0_17block_load_methodE3ELS4_3ELS4_3ELNS0_20block_scan_algorithmE0ELj4294967295EEENS1_25partition_config_selectorILNS1_17partition_subalgoE3EjNS0_10empty_typeEbEEZZNS1_14partition_implILS8_3ELb0ES6_jNS0_17counting_iteratorIjlEEPS9_SE_NS0_5tupleIJPjSE_EEENSF_IJSE_SE_EEES9_SG_JZNS1_25segmented_radix_sort_implINS0_14default_configELb0EPKhPhPKlPlN2at6native12_GLOBAL__N_18offset_tEEE10hipError_tPvRmT1_PNSt15iterator_traitsISY_E10value_typeET2_T3_PNSZ_IS14_E10value_typeET4_jRbjT5_S1A_jjP12ihipStream_tbEUljE_EEESV_SW_SX_S14_S18_S1A_T6_T7_T9_mT8_S1C_bDpT10_ENKUlT_T0_E_clISt17integral_constantIbLb0EES1O_IbLb1EEEEDaS1K_S1L_EUlS1K_E_NS1_11comp_targetILNS1_3genE3ELNS1_11target_archE908ELNS1_3gpuE7ELNS1_3repE0EEENS1_30default_config_static_selectorELNS0_4arch9wavefront6targetE1EEEvSY_
                                        ; -- End function
	.section	.AMDGPU.csdata,"",@progbits
; Kernel info:
; codeLenInByte = 0
; NumSgprs: 4
; NumVgprs: 0
; NumAgprs: 0
; TotalNumVgprs: 0
; ScratchSize: 0
; MemoryBound: 0
; FloatMode: 240
; IeeeMode: 1
; LDSByteSize: 0 bytes/workgroup (compile time only)
; SGPRBlocks: 0
; VGPRBlocks: 0
; NumSGPRsForWavesPerEU: 4
; NumVGPRsForWavesPerEU: 1
; AccumOffset: 4
; Occupancy: 8
; WaveLimiterHint : 0
; COMPUTE_PGM_RSRC2:SCRATCH_EN: 0
; COMPUTE_PGM_RSRC2:USER_SGPR: 6
; COMPUTE_PGM_RSRC2:TRAP_HANDLER: 0
; COMPUTE_PGM_RSRC2:TGID_X_EN: 1
; COMPUTE_PGM_RSRC2:TGID_Y_EN: 0
; COMPUTE_PGM_RSRC2:TGID_Z_EN: 0
; COMPUTE_PGM_RSRC2:TIDIG_COMP_CNT: 0
; COMPUTE_PGM_RSRC3_GFX90A:ACCUM_OFFSET: 0
; COMPUTE_PGM_RSRC3_GFX90A:TG_SPLIT: 0
	.section	.text._ZN7rocprim17ROCPRIM_400000_NS6detail17trampoline_kernelINS0_13select_configILj256ELj13ELNS0_17block_load_methodE3ELS4_3ELS4_3ELNS0_20block_scan_algorithmE0ELj4294967295EEENS1_25partition_config_selectorILNS1_17partition_subalgoE3EjNS0_10empty_typeEbEEZZNS1_14partition_implILS8_3ELb0ES6_jNS0_17counting_iteratorIjlEEPS9_SE_NS0_5tupleIJPjSE_EEENSF_IJSE_SE_EEES9_SG_JZNS1_25segmented_radix_sort_implINS0_14default_configELb0EPKhPhPKlPlN2at6native12_GLOBAL__N_18offset_tEEE10hipError_tPvRmT1_PNSt15iterator_traitsISY_E10value_typeET2_T3_PNSZ_IS14_E10value_typeET4_jRbjT5_S1A_jjP12ihipStream_tbEUljE_EEESV_SW_SX_S14_S18_S1A_T6_T7_T9_mT8_S1C_bDpT10_ENKUlT_T0_E_clISt17integral_constantIbLb0EES1O_IbLb1EEEEDaS1K_S1L_EUlS1K_E_NS1_11comp_targetILNS1_3genE2ELNS1_11target_archE906ELNS1_3gpuE6ELNS1_3repE0EEENS1_30default_config_static_selectorELNS0_4arch9wavefront6targetE1EEEvSY_,"axG",@progbits,_ZN7rocprim17ROCPRIM_400000_NS6detail17trampoline_kernelINS0_13select_configILj256ELj13ELNS0_17block_load_methodE3ELS4_3ELS4_3ELNS0_20block_scan_algorithmE0ELj4294967295EEENS1_25partition_config_selectorILNS1_17partition_subalgoE3EjNS0_10empty_typeEbEEZZNS1_14partition_implILS8_3ELb0ES6_jNS0_17counting_iteratorIjlEEPS9_SE_NS0_5tupleIJPjSE_EEENSF_IJSE_SE_EEES9_SG_JZNS1_25segmented_radix_sort_implINS0_14default_configELb0EPKhPhPKlPlN2at6native12_GLOBAL__N_18offset_tEEE10hipError_tPvRmT1_PNSt15iterator_traitsISY_E10value_typeET2_T3_PNSZ_IS14_E10value_typeET4_jRbjT5_S1A_jjP12ihipStream_tbEUljE_EEESV_SW_SX_S14_S18_S1A_T6_T7_T9_mT8_S1C_bDpT10_ENKUlT_T0_E_clISt17integral_constantIbLb0EES1O_IbLb1EEEEDaS1K_S1L_EUlS1K_E_NS1_11comp_targetILNS1_3genE2ELNS1_11target_archE906ELNS1_3gpuE6ELNS1_3repE0EEENS1_30default_config_static_selectorELNS0_4arch9wavefront6targetE1EEEvSY_,comdat
	.globl	_ZN7rocprim17ROCPRIM_400000_NS6detail17trampoline_kernelINS0_13select_configILj256ELj13ELNS0_17block_load_methodE3ELS4_3ELS4_3ELNS0_20block_scan_algorithmE0ELj4294967295EEENS1_25partition_config_selectorILNS1_17partition_subalgoE3EjNS0_10empty_typeEbEEZZNS1_14partition_implILS8_3ELb0ES6_jNS0_17counting_iteratorIjlEEPS9_SE_NS0_5tupleIJPjSE_EEENSF_IJSE_SE_EEES9_SG_JZNS1_25segmented_radix_sort_implINS0_14default_configELb0EPKhPhPKlPlN2at6native12_GLOBAL__N_18offset_tEEE10hipError_tPvRmT1_PNSt15iterator_traitsISY_E10value_typeET2_T3_PNSZ_IS14_E10value_typeET4_jRbjT5_S1A_jjP12ihipStream_tbEUljE_EEESV_SW_SX_S14_S18_S1A_T6_T7_T9_mT8_S1C_bDpT10_ENKUlT_T0_E_clISt17integral_constantIbLb0EES1O_IbLb1EEEEDaS1K_S1L_EUlS1K_E_NS1_11comp_targetILNS1_3genE2ELNS1_11target_archE906ELNS1_3gpuE6ELNS1_3repE0EEENS1_30default_config_static_selectorELNS0_4arch9wavefront6targetE1EEEvSY_ ; -- Begin function _ZN7rocprim17ROCPRIM_400000_NS6detail17trampoline_kernelINS0_13select_configILj256ELj13ELNS0_17block_load_methodE3ELS4_3ELS4_3ELNS0_20block_scan_algorithmE0ELj4294967295EEENS1_25partition_config_selectorILNS1_17partition_subalgoE3EjNS0_10empty_typeEbEEZZNS1_14partition_implILS8_3ELb0ES6_jNS0_17counting_iteratorIjlEEPS9_SE_NS0_5tupleIJPjSE_EEENSF_IJSE_SE_EEES9_SG_JZNS1_25segmented_radix_sort_implINS0_14default_configELb0EPKhPhPKlPlN2at6native12_GLOBAL__N_18offset_tEEE10hipError_tPvRmT1_PNSt15iterator_traitsISY_E10value_typeET2_T3_PNSZ_IS14_E10value_typeET4_jRbjT5_S1A_jjP12ihipStream_tbEUljE_EEESV_SW_SX_S14_S18_S1A_T6_T7_T9_mT8_S1C_bDpT10_ENKUlT_T0_E_clISt17integral_constantIbLb0EES1O_IbLb1EEEEDaS1K_S1L_EUlS1K_E_NS1_11comp_targetILNS1_3genE2ELNS1_11target_archE906ELNS1_3gpuE6ELNS1_3repE0EEENS1_30default_config_static_selectorELNS0_4arch9wavefront6targetE1EEEvSY_
	.p2align	8
	.type	_ZN7rocprim17ROCPRIM_400000_NS6detail17trampoline_kernelINS0_13select_configILj256ELj13ELNS0_17block_load_methodE3ELS4_3ELS4_3ELNS0_20block_scan_algorithmE0ELj4294967295EEENS1_25partition_config_selectorILNS1_17partition_subalgoE3EjNS0_10empty_typeEbEEZZNS1_14partition_implILS8_3ELb0ES6_jNS0_17counting_iteratorIjlEEPS9_SE_NS0_5tupleIJPjSE_EEENSF_IJSE_SE_EEES9_SG_JZNS1_25segmented_radix_sort_implINS0_14default_configELb0EPKhPhPKlPlN2at6native12_GLOBAL__N_18offset_tEEE10hipError_tPvRmT1_PNSt15iterator_traitsISY_E10value_typeET2_T3_PNSZ_IS14_E10value_typeET4_jRbjT5_S1A_jjP12ihipStream_tbEUljE_EEESV_SW_SX_S14_S18_S1A_T6_T7_T9_mT8_S1C_bDpT10_ENKUlT_T0_E_clISt17integral_constantIbLb0EES1O_IbLb1EEEEDaS1K_S1L_EUlS1K_E_NS1_11comp_targetILNS1_3genE2ELNS1_11target_archE906ELNS1_3gpuE6ELNS1_3repE0EEENS1_30default_config_static_selectorELNS0_4arch9wavefront6targetE1EEEvSY_,@function
_ZN7rocprim17ROCPRIM_400000_NS6detail17trampoline_kernelINS0_13select_configILj256ELj13ELNS0_17block_load_methodE3ELS4_3ELS4_3ELNS0_20block_scan_algorithmE0ELj4294967295EEENS1_25partition_config_selectorILNS1_17partition_subalgoE3EjNS0_10empty_typeEbEEZZNS1_14partition_implILS8_3ELb0ES6_jNS0_17counting_iteratorIjlEEPS9_SE_NS0_5tupleIJPjSE_EEENSF_IJSE_SE_EEES9_SG_JZNS1_25segmented_radix_sort_implINS0_14default_configELb0EPKhPhPKlPlN2at6native12_GLOBAL__N_18offset_tEEE10hipError_tPvRmT1_PNSt15iterator_traitsISY_E10value_typeET2_T3_PNSZ_IS14_E10value_typeET4_jRbjT5_S1A_jjP12ihipStream_tbEUljE_EEESV_SW_SX_S14_S18_S1A_T6_T7_T9_mT8_S1C_bDpT10_ENKUlT_T0_E_clISt17integral_constantIbLb0EES1O_IbLb1EEEEDaS1K_S1L_EUlS1K_E_NS1_11comp_targetILNS1_3genE2ELNS1_11target_archE906ELNS1_3gpuE6ELNS1_3repE0EEENS1_30default_config_static_selectorELNS0_4arch9wavefront6targetE1EEEvSY_: ; @_ZN7rocprim17ROCPRIM_400000_NS6detail17trampoline_kernelINS0_13select_configILj256ELj13ELNS0_17block_load_methodE3ELS4_3ELS4_3ELNS0_20block_scan_algorithmE0ELj4294967295EEENS1_25partition_config_selectorILNS1_17partition_subalgoE3EjNS0_10empty_typeEbEEZZNS1_14partition_implILS8_3ELb0ES6_jNS0_17counting_iteratorIjlEEPS9_SE_NS0_5tupleIJPjSE_EEENSF_IJSE_SE_EEES9_SG_JZNS1_25segmented_radix_sort_implINS0_14default_configELb0EPKhPhPKlPlN2at6native12_GLOBAL__N_18offset_tEEE10hipError_tPvRmT1_PNSt15iterator_traitsISY_E10value_typeET2_T3_PNSZ_IS14_E10value_typeET4_jRbjT5_S1A_jjP12ihipStream_tbEUljE_EEESV_SW_SX_S14_S18_S1A_T6_T7_T9_mT8_S1C_bDpT10_ENKUlT_T0_E_clISt17integral_constantIbLb0EES1O_IbLb1EEEEDaS1K_S1L_EUlS1K_E_NS1_11comp_targetILNS1_3genE2ELNS1_11target_archE906ELNS1_3gpuE6ELNS1_3repE0EEENS1_30default_config_static_selectorELNS0_4arch9wavefront6targetE1EEEvSY_
; %bb.0:
	.section	.rodata,"a",@progbits
	.p2align	6, 0x0
	.amdhsa_kernel _ZN7rocprim17ROCPRIM_400000_NS6detail17trampoline_kernelINS0_13select_configILj256ELj13ELNS0_17block_load_methodE3ELS4_3ELS4_3ELNS0_20block_scan_algorithmE0ELj4294967295EEENS1_25partition_config_selectorILNS1_17partition_subalgoE3EjNS0_10empty_typeEbEEZZNS1_14partition_implILS8_3ELb0ES6_jNS0_17counting_iteratorIjlEEPS9_SE_NS0_5tupleIJPjSE_EEENSF_IJSE_SE_EEES9_SG_JZNS1_25segmented_radix_sort_implINS0_14default_configELb0EPKhPhPKlPlN2at6native12_GLOBAL__N_18offset_tEEE10hipError_tPvRmT1_PNSt15iterator_traitsISY_E10value_typeET2_T3_PNSZ_IS14_E10value_typeET4_jRbjT5_S1A_jjP12ihipStream_tbEUljE_EEESV_SW_SX_S14_S18_S1A_T6_T7_T9_mT8_S1C_bDpT10_ENKUlT_T0_E_clISt17integral_constantIbLb0EES1O_IbLb1EEEEDaS1K_S1L_EUlS1K_E_NS1_11comp_targetILNS1_3genE2ELNS1_11target_archE906ELNS1_3gpuE6ELNS1_3repE0EEENS1_30default_config_static_selectorELNS0_4arch9wavefront6targetE1EEEvSY_
		.amdhsa_group_segment_fixed_size 0
		.amdhsa_private_segment_fixed_size 0
		.amdhsa_kernarg_size 152
		.amdhsa_user_sgpr_count 6
		.amdhsa_user_sgpr_private_segment_buffer 1
		.amdhsa_user_sgpr_dispatch_ptr 0
		.amdhsa_user_sgpr_queue_ptr 0
		.amdhsa_user_sgpr_kernarg_segment_ptr 1
		.amdhsa_user_sgpr_dispatch_id 0
		.amdhsa_user_sgpr_flat_scratch_init 0
		.amdhsa_user_sgpr_kernarg_preload_length 0
		.amdhsa_user_sgpr_kernarg_preload_offset 0
		.amdhsa_user_sgpr_private_segment_size 0
		.amdhsa_uses_dynamic_stack 0
		.amdhsa_system_sgpr_private_segment_wavefront_offset 0
		.amdhsa_system_sgpr_workgroup_id_x 1
		.amdhsa_system_sgpr_workgroup_id_y 0
		.amdhsa_system_sgpr_workgroup_id_z 0
		.amdhsa_system_sgpr_workgroup_info 0
		.amdhsa_system_vgpr_workitem_id 0
		.amdhsa_next_free_vgpr 1
		.amdhsa_next_free_sgpr 0
		.amdhsa_accum_offset 4
		.amdhsa_reserve_vcc 0
		.amdhsa_reserve_flat_scratch 0
		.amdhsa_float_round_mode_32 0
		.amdhsa_float_round_mode_16_64 0
		.amdhsa_float_denorm_mode_32 3
		.amdhsa_float_denorm_mode_16_64 3
		.amdhsa_dx10_clamp 1
		.amdhsa_ieee_mode 1
		.amdhsa_fp16_overflow 0
		.amdhsa_tg_split 0
		.amdhsa_exception_fp_ieee_invalid_op 0
		.amdhsa_exception_fp_denorm_src 0
		.amdhsa_exception_fp_ieee_div_zero 0
		.amdhsa_exception_fp_ieee_overflow 0
		.amdhsa_exception_fp_ieee_underflow 0
		.amdhsa_exception_fp_ieee_inexact 0
		.amdhsa_exception_int_div_zero 0
	.end_amdhsa_kernel
	.section	.text._ZN7rocprim17ROCPRIM_400000_NS6detail17trampoline_kernelINS0_13select_configILj256ELj13ELNS0_17block_load_methodE3ELS4_3ELS4_3ELNS0_20block_scan_algorithmE0ELj4294967295EEENS1_25partition_config_selectorILNS1_17partition_subalgoE3EjNS0_10empty_typeEbEEZZNS1_14partition_implILS8_3ELb0ES6_jNS0_17counting_iteratorIjlEEPS9_SE_NS0_5tupleIJPjSE_EEENSF_IJSE_SE_EEES9_SG_JZNS1_25segmented_radix_sort_implINS0_14default_configELb0EPKhPhPKlPlN2at6native12_GLOBAL__N_18offset_tEEE10hipError_tPvRmT1_PNSt15iterator_traitsISY_E10value_typeET2_T3_PNSZ_IS14_E10value_typeET4_jRbjT5_S1A_jjP12ihipStream_tbEUljE_EEESV_SW_SX_S14_S18_S1A_T6_T7_T9_mT8_S1C_bDpT10_ENKUlT_T0_E_clISt17integral_constantIbLb0EES1O_IbLb1EEEEDaS1K_S1L_EUlS1K_E_NS1_11comp_targetILNS1_3genE2ELNS1_11target_archE906ELNS1_3gpuE6ELNS1_3repE0EEENS1_30default_config_static_selectorELNS0_4arch9wavefront6targetE1EEEvSY_,"axG",@progbits,_ZN7rocprim17ROCPRIM_400000_NS6detail17trampoline_kernelINS0_13select_configILj256ELj13ELNS0_17block_load_methodE3ELS4_3ELS4_3ELNS0_20block_scan_algorithmE0ELj4294967295EEENS1_25partition_config_selectorILNS1_17partition_subalgoE3EjNS0_10empty_typeEbEEZZNS1_14partition_implILS8_3ELb0ES6_jNS0_17counting_iteratorIjlEEPS9_SE_NS0_5tupleIJPjSE_EEENSF_IJSE_SE_EEES9_SG_JZNS1_25segmented_radix_sort_implINS0_14default_configELb0EPKhPhPKlPlN2at6native12_GLOBAL__N_18offset_tEEE10hipError_tPvRmT1_PNSt15iterator_traitsISY_E10value_typeET2_T3_PNSZ_IS14_E10value_typeET4_jRbjT5_S1A_jjP12ihipStream_tbEUljE_EEESV_SW_SX_S14_S18_S1A_T6_T7_T9_mT8_S1C_bDpT10_ENKUlT_T0_E_clISt17integral_constantIbLb0EES1O_IbLb1EEEEDaS1K_S1L_EUlS1K_E_NS1_11comp_targetILNS1_3genE2ELNS1_11target_archE906ELNS1_3gpuE6ELNS1_3repE0EEENS1_30default_config_static_selectorELNS0_4arch9wavefront6targetE1EEEvSY_,comdat
.Lfunc_end182:
	.size	_ZN7rocprim17ROCPRIM_400000_NS6detail17trampoline_kernelINS0_13select_configILj256ELj13ELNS0_17block_load_methodE3ELS4_3ELS4_3ELNS0_20block_scan_algorithmE0ELj4294967295EEENS1_25partition_config_selectorILNS1_17partition_subalgoE3EjNS0_10empty_typeEbEEZZNS1_14partition_implILS8_3ELb0ES6_jNS0_17counting_iteratorIjlEEPS9_SE_NS0_5tupleIJPjSE_EEENSF_IJSE_SE_EEES9_SG_JZNS1_25segmented_radix_sort_implINS0_14default_configELb0EPKhPhPKlPlN2at6native12_GLOBAL__N_18offset_tEEE10hipError_tPvRmT1_PNSt15iterator_traitsISY_E10value_typeET2_T3_PNSZ_IS14_E10value_typeET4_jRbjT5_S1A_jjP12ihipStream_tbEUljE_EEESV_SW_SX_S14_S18_S1A_T6_T7_T9_mT8_S1C_bDpT10_ENKUlT_T0_E_clISt17integral_constantIbLb0EES1O_IbLb1EEEEDaS1K_S1L_EUlS1K_E_NS1_11comp_targetILNS1_3genE2ELNS1_11target_archE906ELNS1_3gpuE6ELNS1_3repE0EEENS1_30default_config_static_selectorELNS0_4arch9wavefront6targetE1EEEvSY_, .Lfunc_end182-_ZN7rocprim17ROCPRIM_400000_NS6detail17trampoline_kernelINS0_13select_configILj256ELj13ELNS0_17block_load_methodE3ELS4_3ELS4_3ELNS0_20block_scan_algorithmE0ELj4294967295EEENS1_25partition_config_selectorILNS1_17partition_subalgoE3EjNS0_10empty_typeEbEEZZNS1_14partition_implILS8_3ELb0ES6_jNS0_17counting_iteratorIjlEEPS9_SE_NS0_5tupleIJPjSE_EEENSF_IJSE_SE_EEES9_SG_JZNS1_25segmented_radix_sort_implINS0_14default_configELb0EPKhPhPKlPlN2at6native12_GLOBAL__N_18offset_tEEE10hipError_tPvRmT1_PNSt15iterator_traitsISY_E10value_typeET2_T3_PNSZ_IS14_E10value_typeET4_jRbjT5_S1A_jjP12ihipStream_tbEUljE_EEESV_SW_SX_S14_S18_S1A_T6_T7_T9_mT8_S1C_bDpT10_ENKUlT_T0_E_clISt17integral_constantIbLb0EES1O_IbLb1EEEEDaS1K_S1L_EUlS1K_E_NS1_11comp_targetILNS1_3genE2ELNS1_11target_archE906ELNS1_3gpuE6ELNS1_3repE0EEENS1_30default_config_static_selectorELNS0_4arch9wavefront6targetE1EEEvSY_
                                        ; -- End function
	.section	.AMDGPU.csdata,"",@progbits
; Kernel info:
; codeLenInByte = 0
; NumSgprs: 4
; NumVgprs: 0
; NumAgprs: 0
; TotalNumVgprs: 0
; ScratchSize: 0
; MemoryBound: 0
; FloatMode: 240
; IeeeMode: 1
; LDSByteSize: 0 bytes/workgroup (compile time only)
; SGPRBlocks: 0
; VGPRBlocks: 0
; NumSGPRsForWavesPerEU: 4
; NumVGPRsForWavesPerEU: 1
; AccumOffset: 4
; Occupancy: 8
; WaveLimiterHint : 0
; COMPUTE_PGM_RSRC2:SCRATCH_EN: 0
; COMPUTE_PGM_RSRC2:USER_SGPR: 6
; COMPUTE_PGM_RSRC2:TRAP_HANDLER: 0
; COMPUTE_PGM_RSRC2:TGID_X_EN: 1
; COMPUTE_PGM_RSRC2:TGID_Y_EN: 0
; COMPUTE_PGM_RSRC2:TGID_Z_EN: 0
; COMPUTE_PGM_RSRC2:TIDIG_COMP_CNT: 0
; COMPUTE_PGM_RSRC3_GFX90A:ACCUM_OFFSET: 0
; COMPUTE_PGM_RSRC3_GFX90A:TG_SPLIT: 0
	.section	.text._ZN7rocprim17ROCPRIM_400000_NS6detail17trampoline_kernelINS0_13select_configILj256ELj13ELNS0_17block_load_methodE3ELS4_3ELS4_3ELNS0_20block_scan_algorithmE0ELj4294967295EEENS1_25partition_config_selectorILNS1_17partition_subalgoE3EjNS0_10empty_typeEbEEZZNS1_14partition_implILS8_3ELb0ES6_jNS0_17counting_iteratorIjlEEPS9_SE_NS0_5tupleIJPjSE_EEENSF_IJSE_SE_EEES9_SG_JZNS1_25segmented_radix_sort_implINS0_14default_configELb0EPKhPhPKlPlN2at6native12_GLOBAL__N_18offset_tEEE10hipError_tPvRmT1_PNSt15iterator_traitsISY_E10value_typeET2_T3_PNSZ_IS14_E10value_typeET4_jRbjT5_S1A_jjP12ihipStream_tbEUljE_EEESV_SW_SX_S14_S18_S1A_T6_T7_T9_mT8_S1C_bDpT10_ENKUlT_T0_E_clISt17integral_constantIbLb0EES1O_IbLb1EEEEDaS1K_S1L_EUlS1K_E_NS1_11comp_targetILNS1_3genE10ELNS1_11target_archE1200ELNS1_3gpuE4ELNS1_3repE0EEENS1_30default_config_static_selectorELNS0_4arch9wavefront6targetE1EEEvSY_,"axG",@progbits,_ZN7rocprim17ROCPRIM_400000_NS6detail17trampoline_kernelINS0_13select_configILj256ELj13ELNS0_17block_load_methodE3ELS4_3ELS4_3ELNS0_20block_scan_algorithmE0ELj4294967295EEENS1_25partition_config_selectorILNS1_17partition_subalgoE3EjNS0_10empty_typeEbEEZZNS1_14partition_implILS8_3ELb0ES6_jNS0_17counting_iteratorIjlEEPS9_SE_NS0_5tupleIJPjSE_EEENSF_IJSE_SE_EEES9_SG_JZNS1_25segmented_radix_sort_implINS0_14default_configELb0EPKhPhPKlPlN2at6native12_GLOBAL__N_18offset_tEEE10hipError_tPvRmT1_PNSt15iterator_traitsISY_E10value_typeET2_T3_PNSZ_IS14_E10value_typeET4_jRbjT5_S1A_jjP12ihipStream_tbEUljE_EEESV_SW_SX_S14_S18_S1A_T6_T7_T9_mT8_S1C_bDpT10_ENKUlT_T0_E_clISt17integral_constantIbLb0EES1O_IbLb1EEEEDaS1K_S1L_EUlS1K_E_NS1_11comp_targetILNS1_3genE10ELNS1_11target_archE1200ELNS1_3gpuE4ELNS1_3repE0EEENS1_30default_config_static_selectorELNS0_4arch9wavefront6targetE1EEEvSY_,comdat
	.globl	_ZN7rocprim17ROCPRIM_400000_NS6detail17trampoline_kernelINS0_13select_configILj256ELj13ELNS0_17block_load_methodE3ELS4_3ELS4_3ELNS0_20block_scan_algorithmE0ELj4294967295EEENS1_25partition_config_selectorILNS1_17partition_subalgoE3EjNS0_10empty_typeEbEEZZNS1_14partition_implILS8_3ELb0ES6_jNS0_17counting_iteratorIjlEEPS9_SE_NS0_5tupleIJPjSE_EEENSF_IJSE_SE_EEES9_SG_JZNS1_25segmented_radix_sort_implINS0_14default_configELb0EPKhPhPKlPlN2at6native12_GLOBAL__N_18offset_tEEE10hipError_tPvRmT1_PNSt15iterator_traitsISY_E10value_typeET2_T3_PNSZ_IS14_E10value_typeET4_jRbjT5_S1A_jjP12ihipStream_tbEUljE_EEESV_SW_SX_S14_S18_S1A_T6_T7_T9_mT8_S1C_bDpT10_ENKUlT_T0_E_clISt17integral_constantIbLb0EES1O_IbLb1EEEEDaS1K_S1L_EUlS1K_E_NS1_11comp_targetILNS1_3genE10ELNS1_11target_archE1200ELNS1_3gpuE4ELNS1_3repE0EEENS1_30default_config_static_selectorELNS0_4arch9wavefront6targetE1EEEvSY_ ; -- Begin function _ZN7rocprim17ROCPRIM_400000_NS6detail17trampoline_kernelINS0_13select_configILj256ELj13ELNS0_17block_load_methodE3ELS4_3ELS4_3ELNS0_20block_scan_algorithmE0ELj4294967295EEENS1_25partition_config_selectorILNS1_17partition_subalgoE3EjNS0_10empty_typeEbEEZZNS1_14partition_implILS8_3ELb0ES6_jNS0_17counting_iteratorIjlEEPS9_SE_NS0_5tupleIJPjSE_EEENSF_IJSE_SE_EEES9_SG_JZNS1_25segmented_radix_sort_implINS0_14default_configELb0EPKhPhPKlPlN2at6native12_GLOBAL__N_18offset_tEEE10hipError_tPvRmT1_PNSt15iterator_traitsISY_E10value_typeET2_T3_PNSZ_IS14_E10value_typeET4_jRbjT5_S1A_jjP12ihipStream_tbEUljE_EEESV_SW_SX_S14_S18_S1A_T6_T7_T9_mT8_S1C_bDpT10_ENKUlT_T0_E_clISt17integral_constantIbLb0EES1O_IbLb1EEEEDaS1K_S1L_EUlS1K_E_NS1_11comp_targetILNS1_3genE10ELNS1_11target_archE1200ELNS1_3gpuE4ELNS1_3repE0EEENS1_30default_config_static_selectorELNS0_4arch9wavefront6targetE1EEEvSY_
	.p2align	8
	.type	_ZN7rocprim17ROCPRIM_400000_NS6detail17trampoline_kernelINS0_13select_configILj256ELj13ELNS0_17block_load_methodE3ELS4_3ELS4_3ELNS0_20block_scan_algorithmE0ELj4294967295EEENS1_25partition_config_selectorILNS1_17partition_subalgoE3EjNS0_10empty_typeEbEEZZNS1_14partition_implILS8_3ELb0ES6_jNS0_17counting_iteratorIjlEEPS9_SE_NS0_5tupleIJPjSE_EEENSF_IJSE_SE_EEES9_SG_JZNS1_25segmented_radix_sort_implINS0_14default_configELb0EPKhPhPKlPlN2at6native12_GLOBAL__N_18offset_tEEE10hipError_tPvRmT1_PNSt15iterator_traitsISY_E10value_typeET2_T3_PNSZ_IS14_E10value_typeET4_jRbjT5_S1A_jjP12ihipStream_tbEUljE_EEESV_SW_SX_S14_S18_S1A_T6_T7_T9_mT8_S1C_bDpT10_ENKUlT_T0_E_clISt17integral_constantIbLb0EES1O_IbLb1EEEEDaS1K_S1L_EUlS1K_E_NS1_11comp_targetILNS1_3genE10ELNS1_11target_archE1200ELNS1_3gpuE4ELNS1_3repE0EEENS1_30default_config_static_selectorELNS0_4arch9wavefront6targetE1EEEvSY_,@function
_ZN7rocprim17ROCPRIM_400000_NS6detail17trampoline_kernelINS0_13select_configILj256ELj13ELNS0_17block_load_methodE3ELS4_3ELS4_3ELNS0_20block_scan_algorithmE0ELj4294967295EEENS1_25partition_config_selectorILNS1_17partition_subalgoE3EjNS0_10empty_typeEbEEZZNS1_14partition_implILS8_3ELb0ES6_jNS0_17counting_iteratorIjlEEPS9_SE_NS0_5tupleIJPjSE_EEENSF_IJSE_SE_EEES9_SG_JZNS1_25segmented_radix_sort_implINS0_14default_configELb0EPKhPhPKlPlN2at6native12_GLOBAL__N_18offset_tEEE10hipError_tPvRmT1_PNSt15iterator_traitsISY_E10value_typeET2_T3_PNSZ_IS14_E10value_typeET4_jRbjT5_S1A_jjP12ihipStream_tbEUljE_EEESV_SW_SX_S14_S18_S1A_T6_T7_T9_mT8_S1C_bDpT10_ENKUlT_T0_E_clISt17integral_constantIbLb0EES1O_IbLb1EEEEDaS1K_S1L_EUlS1K_E_NS1_11comp_targetILNS1_3genE10ELNS1_11target_archE1200ELNS1_3gpuE4ELNS1_3repE0EEENS1_30default_config_static_selectorELNS0_4arch9wavefront6targetE1EEEvSY_: ; @_ZN7rocprim17ROCPRIM_400000_NS6detail17trampoline_kernelINS0_13select_configILj256ELj13ELNS0_17block_load_methodE3ELS4_3ELS4_3ELNS0_20block_scan_algorithmE0ELj4294967295EEENS1_25partition_config_selectorILNS1_17partition_subalgoE3EjNS0_10empty_typeEbEEZZNS1_14partition_implILS8_3ELb0ES6_jNS0_17counting_iteratorIjlEEPS9_SE_NS0_5tupleIJPjSE_EEENSF_IJSE_SE_EEES9_SG_JZNS1_25segmented_radix_sort_implINS0_14default_configELb0EPKhPhPKlPlN2at6native12_GLOBAL__N_18offset_tEEE10hipError_tPvRmT1_PNSt15iterator_traitsISY_E10value_typeET2_T3_PNSZ_IS14_E10value_typeET4_jRbjT5_S1A_jjP12ihipStream_tbEUljE_EEESV_SW_SX_S14_S18_S1A_T6_T7_T9_mT8_S1C_bDpT10_ENKUlT_T0_E_clISt17integral_constantIbLb0EES1O_IbLb1EEEEDaS1K_S1L_EUlS1K_E_NS1_11comp_targetILNS1_3genE10ELNS1_11target_archE1200ELNS1_3gpuE4ELNS1_3repE0EEENS1_30default_config_static_selectorELNS0_4arch9wavefront6targetE1EEEvSY_
; %bb.0:
	.section	.rodata,"a",@progbits
	.p2align	6, 0x0
	.amdhsa_kernel _ZN7rocprim17ROCPRIM_400000_NS6detail17trampoline_kernelINS0_13select_configILj256ELj13ELNS0_17block_load_methodE3ELS4_3ELS4_3ELNS0_20block_scan_algorithmE0ELj4294967295EEENS1_25partition_config_selectorILNS1_17partition_subalgoE3EjNS0_10empty_typeEbEEZZNS1_14partition_implILS8_3ELb0ES6_jNS0_17counting_iteratorIjlEEPS9_SE_NS0_5tupleIJPjSE_EEENSF_IJSE_SE_EEES9_SG_JZNS1_25segmented_radix_sort_implINS0_14default_configELb0EPKhPhPKlPlN2at6native12_GLOBAL__N_18offset_tEEE10hipError_tPvRmT1_PNSt15iterator_traitsISY_E10value_typeET2_T3_PNSZ_IS14_E10value_typeET4_jRbjT5_S1A_jjP12ihipStream_tbEUljE_EEESV_SW_SX_S14_S18_S1A_T6_T7_T9_mT8_S1C_bDpT10_ENKUlT_T0_E_clISt17integral_constantIbLb0EES1O_IbLb1EEEEDaS1K_S1L_EUlS1K_E_NS1_11comp_targetILNS1_3genE10ELNS1_11target_archE1200ELNS1_3gpuE4ELNS1_3repE0EEENS1_30default_config_static_selectorELNS0_4arch9wavefront6targetE1EEEvSY_
		.amdhsa_group_segment_fixed_size 0
		.amdhsa_private_segment_fixed_size 0
		.amdhsa_kernarg_size 152
		.amdhsa_user_sgpr_count 6
		.amdhsa_user_sgpr_private_segment_buffer 1
		.amdhsa_user_sgpr_dispatch_ptr 0
		.amdhsa_user_sgpr_queue_ptr 0
		.amdhsa_user_sgpr_kernarg_segment_ptr 1
		.amdhsa_user_sgpr_dispatch_id 0
		.amdhsa_user_sgpr_flat_scratch_init 0
		.amdhsa_user_sgpr_kernarg_preload_length 0
		.amdhsa_user_sgpr_kernarg_preload_offset 0
		.amdhsa_user_sgpr_private_segment_size 0
		.amdhsa_uses_dynamic_stack 0
		.amdhsa_system_sgpr_private_segment_wavefront_offset 0
		.amdhsa_system_sgpr_workgroup_id_x 1
		.amdhsa_system_sgpr_workgroup_id_y 0
		.amdhsa_system_sgpr_workgroup_id_z 0
		.amdhsa_system_sgpr_workgroup_info 0
		.amdhsa_system_vgpr_workitem_id 0
		.amdhsa_next_free_vgpr 1
		.amdhsa_next_free_sgpr 0
		.amdhsa_accum_offset 4
		.amdhsa_reserve_vcc 0
		.amdhsa_reserve_flat_scratch 0
		.amdhsa_float_round_mode_32 0
		.amdhsa_float_round_mode_16_64 0
		.amdhsa_float_denorm_mode_32 3
		.amdhsa_float_denorm_mode_16_64 3
		.amdhsa_dx10_clamp 1
		.amdhsa_ieee_mode 1
		.amdhsa_fp16_overflow 0
		.amdhsa_tg_split 0
		.amdhsa_exception_fp_ieee_invalid_op 0
		.amdhsa_exception_fp_denorm_src 0
		.amdhsa_exception_fp_ieee_div_zero 0
		.amdhsa_exception_fp_ieee_overflow 0
		.amdhsa_exception_fp_ieee_underflow 0
		.amdhsa_exception_fp_ieee_inexact 0
		.amdhsa_exception_int_div_zero 0
	.end_amdhsa_kernel
	.section	.text._ZN7rocprim17ROCPRIM_400000_NS6detail17trampoline_kernelINS0_13select_configILj256ELj13ELNS0_17block_load_methodE3ELS4_3ELS4_3ELNS0_20block_scan_algorithmE0ELj4294967295EEENS1_25partition_config_selectorILNS1_17partition_subalgoE3EjNS0_10empty_typeEbEEZZNS1_14partition_implILS8_3ELb0ES6_jNS0_17counting_iteratorIjlEEPS9_SE_NS0_5tupleIJPjSE_EEENSF_IJSE_SE_EEES9_SG_JZNS1_25segmented_radix_sort_implINS0_14default_configELb0EPKhPhPKlPlN2at6native12_GLOBAL__N_18offset_tEEE10hipError_tPvRmT1_PNSt15iterator_traitsISY_E10value_typeET2_T3_PNSZ_IS14_E10value_typeET4_jRbjT5_S1A_jjP12ihipStream_tbEUljE_EEESV_SW_SX_S14_S18_S1A_T6_T7_T9_mT8_S1C_bDpT10_ENKUlT_T0_E_clISt17integral_constantIbLb0EES1O_IbLb1EEEEDaS1K_S1L_EUlS1K_E_NS1_11comp_targetILNS1_3genE10ELNS1_11target_archE1200ELNS1_3gpuE4ELNS1_3repE0EEENS1_30default_config_static_selectorELNS0_4arch9wavefront6targetE1EEEvSY_,"axG",@progbits,_ZN7rocprim17ROCPRIM_400000_NS6detail17trampoline_kernelINS0_13select_configILj256ELj13ELNS0_17block_load_methodE3ELS4_3ELS4_3ELNS0_20block_scan_algorithmE0ELj4294967295EEENS1_25partition_config_selectorILNS1_17partition_subalgoE3EjNS0_10empty_typeEbEEZZNS1_14partition_implILS8_3ELb0ES6_jNS0_17counting_iteratorIjlEEPS9_SE_NS0_5tupleIJPjSE_EEENSF_IJSE_SE_EEES9_SG_JZNS1_25segmented_radix_sort_implINS0_14default_configELb0EPKhPhPKlPlN2at6native12_GLOBAL__N_18offset_tEEE10hipError_tPvRmT1_PNSt15iterator_traitsISY_E10value_typeET2_T3_PNSZ_IS14_E10value_typeET4_jRbjT5_S1A_jjP12ihipStream_tbEUljE_EEESV_SW_SX_S14_S18_S1A_T6_T7_T9_mT8_S1C_bDpT10_ENKUlT_T0_E_clISt17integral_constantIbLb0EES1O_IbLb1EEEEDaS1K_S1L_EUlS1K_E_NS1_11comp_targetILNS1_3genE10ELNS1_11target_archE1200ELNS1_3gpuE4ELNS1_3repE0EEENS1_30default_config_static_selectorELNS0_4arch9wavefront6targetE1EEEvSY_,comdat
.Lfunc_end183:
	.size	_ZN7rocprim17ROCPRIM_400000_NS6detail17trampoline_kernelINS0_13select_configILj256ELj13ELNS0_17block_load_methodE3ELS4_3ELS4_3ELNS0_20block_scan_algorithmE0ELj4294967295EEENS1_25partition_config_selectorILNS1_17partition_subalgoE3EjNS0_10empty_typeEbEEZZNS1_14partition_implILS8_3ELb0ES6_jNS0_17counting_iteratorIjlEEPS9_SE_NS0_5tupleIJPjSE_EEENSF_IJSE_SE_EEES9_SG_JZNS1_25segmented_radix_sort_implINS0_14default_configELb0EPKhPhPKlPlN2at6native12_GLOBAL__N_18offset_tEEE10hipError_tPvRmT1_PNSt15iterator_traitsISY_E10value_typeET2_T3_PNSZ_IS14_E10value_typeET4_jRbjT5_S1A_jjP12ihipStream_tbEUljE_EEESV_SW_SX_S14_S18_S1A_T6_T7_T9_mT8_S1C_bDpT10_ENKUlT_T0_E_clISt17integral_constantIbLb0EES1O_IbLb1EEEEDaS1K_S1L_EUlS1K_E_NS1_11comp_targetILNS1_3genE10ELNS1_11target_archE1200ELNS1_3gpuE4ELNS1_3repE0EEENS1_30default_config_static_selectorELNS0_4arch9wavefront6targetE1EEEvSY_, .Lfunc_end183-_ZN7rocprim17ROCPRIM_400000_NS6detail17trampoline_kernelINS0_13select_configILj256ELj13ELNS0_17block_load_methodE3ELS4_3ELS4_3ELNS0_20block_scan_algorithmE0ELj4294967295EEENS1_25partition_config_selectorILNS1_17partition_subalgoE3EjNS0_10empty_typeEbEEZZNS1_14partition_implILS8_3ELb0ES6_jNS0_17counting_iteratorIjlEEPS9_SE_NS0_5tupleIJPjSE_EEENSF_IJSE_SE_EEES9_SG_JZNS1_25segmented_radix_sort_implINS0_14default_configELb0EPKhPhPKlPlN2at6native12_GLOBAL__N_18offset_tEEE10hipError_tPvRmT1_PNSt15iterator_traitsISY_E10value_typeET2_T3_PNSZ_IS14_E10value_typeET4_jRbjT5_S1A_jjP12ihipStream_tbEUljE_EEESV_SW_SX_S14_S18_S1A_T6_T7_T9_mT8_S1C_bDpT10_ENKUlT_T0_E_clISt17integral_constantIbLb0EES1O_IbLb1EEEEDaS1K_S1L_EUlS1K_E_NS1_11comp_targetILNS1_3genE10ELNS1_11target_archE1200ELNS1_3gpuE4ELNS1_3repE0EEENS1_30default_config_static_selectorELNS0_4arch9wavefront6targetE1EEEvSY_
                                        ; -- End function
	.section	.AMDGPU.csdata,"",@progbits
; Kernel info:
; codeLenInByte = 0
; NumSgprs: 4
; NumVgprs: 0
; NumAgprs: 0
; TotalNumVgprs: 0
; ScratchSize: 0
; MemoryBound: 0
; FloatMode: 240
; IeeeMode: 1
; LDSByteSize: 0 bytes/workgroup (compile time only)
; SGPRBlocks: 0
; VGPRBlocks: 0
; NumSGPRsForWavesPerEU: 4
; NumVGPRsForWavesPerEU: 1
; AccumOffset: 4
; Occupancy: 8
; WaveLimiterHint : 0
; COMPUTE_PGM_RSRC2:SCRATCH_EN: 0
; COMPUTE_PGM_RSRC2:USER_SGPR: 6
; COMPUTE_PGM_RSRC2:TRAP_HANDLER: 0
; COMPUTE_PGM_RSRC2:TGID_X_EN: 1
; COMPUTE_PGM_RSRC2:TGID_Y_EN: 0
; COMPUTE_PGM_RSRC2:TGID_Z_EN: 0
; COMPUTE_PGM_RSRC2:TIDIG_COMP_CNT: 0
; COMPUTE_PGM_RSRC3_GFX90A:ACCUM_OFFSET: 0
; COMPUTE_PGM_RSRC3_GFX90A:TG_SPLIT: 0
	.section	.text._ZN7rocprim17ROCPRIM_400000_NS6detail17trampoline_kernelINS0_13select_configILj256ELj13ELNS0_17block_load_methodE3ELS4_3ELS4_3ELNS0_20block_scan_algorithmE0ELj4294967295EEENS1_25partition_config_selectorILNS1_17partition_subalgoE3EjNS0_10empty_typeEbEEZZNS1_14partition_implILS8_3ELb0ES6_jNS0_17counting_iteratorIjlEEPS9_SE_NS0_5tupleIJPjSE_EEENSF_IJSE_SE_EEES9_SG_JZNS1_25segmented_radix_sort_implINS0_14default_configELb0EPKhPhPKlPlN2at6native12_GLOBAL__N_18offset_tEEE10hipError_tPvRmT1_PNSt15iterator_traitsISY_E10value_typeET2_T3_PNSZ_IS14_E10value_typeET4_jRbjT5_S1A_jjP12ihipStream_tbEUljE_EEESV_SW_SX_S14_S18_S1A_T6_T7_T9_mT8_S1C_bDpT10_ENKUlT_T0_E_clISt17integral_constantIbLb0EES1O_IbLb1EEEEDaS1K_S1L_EUlS1K_E_NS1_11comp_targetILNS1_3genE9ELNS1_11target_archE1100ELNS1_3gpuE3ELNS1_3repE0EEENS1_30default_config_static_selectorELNS0_4arch9wavefront6targetE1EEEvSY_,"axG",@progbits,_ZN7rocprim17ROCPRIM_400000_NS6detail17trampoline_kernelINS0_13select_configILj256ELj13ELNS0_17block_load_methodE3ELS4_3ELS4_3ELNS0_20block_scan_algorithmE0ELj4294967295EEENS1_25partition_config_selectorILNS1_17partition_subalgoE3EjNS0_10empty_typeEbEEZZNS1_14partition_implILS8_3ELb0ES6_jNS0_17counting_iteratorIjlEEPS9_SE_NS0_5tupleIJPjSE_EEENSF_IJSE_SE_EEES9_SG_JZNS1_25segmented_radix_sort_implINS0_14default_configELb0EPKhPhPKlPlN2at6native12_GLOBAL__N_18offset_tEEE10hipError_tPvRmT1_PNSt15iterator_traitsISY_E10value_typeET2_T3_PNSZ_IS14_E10value_typeET4_jRbjT5_S1A_jjP12ihipStream_tbEUljE_EEESV_SW_SX_S14_S18_S1A_T6_T7_T9_mT8_S1C_bDpT10_ENKUlT_T0_E_clISt17integral_constantIbLb0EES1O_IbLb1EEEEDaS1K_S1L_EUlS1K_E_NS1_11comp_targetILNS1_3genE9ELNS1_11target_archE1100ELNS1_3gpuE3ELNS1_3repE0EEENS1_30default_config_static_selectorELNS0_4arch9wavefront6targetE1EEEvSY_,comdat
	.globl	_ZN7rocprim17ROCPRIM_400000_NS6detail17trampoline_kernelINS0_13select_configILj256ELj13ELNS0_17block_load_methodE3ELS4_3ELS4_3ELNS0_20block_scan_algorithmE0ELj4294967295EEENS1_25partition_config_selectorILNS1_17partition_subalgoE3EjNS0_10empty_typeEbEEZZNS1_14partition_implILS8_3ELb0ES6_jNS0_17counting_iteratorIjlEEPS9_SE_NS0_5tupleIJPjSE_EEENSF_IJSE_SE_EEES9_SG_JZNS1_25segmented_radix_sort_implINS0_14default_configELb0EPKhPhPKlPlN2at6native12_GLOBAL__N_18offset_tEEE10hipError_tPvRmT1_PNSt15iterator_traitsISY_E10value_typeET2_T3_PNSZ_IS14_E10value_typeET4_jRbjT5_S1A_jjP12ihipStream_tbEUljE_EEESV_SW_SX_S14_S18_S1A_T6_T7_T9_mT8_S1C_bDpT10_ENKUlT_T0_E_clISt17integral_constantIbLb0EES1O_IbLb1EEEEDaS1K_S1L_EUlS1K_E_NS1_11comp_targetILNS1_3genE9ELNS1_11target_archE1100ELNS1_3gpuE3ELNS1_3repE0EEENS1_30default_config_static_selectorELNS0_4arch9wavefront6targetE1EEEvSY_ ; -- Begin function _ZN7rocprim17ROCPRIM_400000_NS6detail17trampoline_kernelINS0_13select_configILj256ELj13ELNS0_17block_load_methodE3ELS4_3ELS4_3ELNS0_20block_scan_algorithmE0ELj4294967295EEENS1_25partition_config_selectorILNS1_17partition_subalgoE3EjNS0_10empty_typeEbEEZZNS1_14partition_implILS8_3ELb0ES6_jNS0_17counting_iteratorIjlEEPS9_SE_NS0_5tupleIJPjSE_EEENSF_IJSE_SE_EEES9_SG_JZNS1_25segmented_radix_sort_implINS0_14default_configELb0EPKhPhPKlPlN2at6native12_GLOBAL__N_18offset_tEEE10hipError_tPvRmT1_PNSt15iterator_traitsISY_E10value_typeET2_T3_PNSZ_IS14_E10value_typeET4_jRbjT5_S1A_jjP12ihipStream_tbEUljE_EEESV_SW_SX_S14_S18_S1A_T6_T7_T9_mT8_S1C_bDpT10_ENKUlT_T0_E_clISt17integral_constantIbLb0EES1O_IbLb1EEEEDaS1K_S1L_EUlS1K_E_NS1_11comp_targetILNS1_3genE9ELNS1_11target_archE1100ELNS1_3gpuE3ELNS1_3repE0EEENS1_30default_config_static_selectorELNS0_4arch9wavefront6targetE1EEEvSY_
	.p2align	8
	.type	_ZN7rocprim17ROCPRIM_400000_NS6detail17trampoline_kernelINS0_13select_configILj256ELj13ELNS0_17block_load_methodE3ELS4_3ELS4_3ELNS0_20block_scan_algorithmE0ELj4294967295EEENS1_25partition_config_selectorILNS1_17partition_subalgoE3EjNS0_10empty_typeEbEEZZNS1_14partition_implILS8_3ELb0ES6_jNS0_17counting_iteratorIjlEEPS9_SE_NS0_5tupleIJPjSE_EEENSF_IJSE_SE_EEES9_SG_JZNS1_25segmented_radix_sort_implINS0_14default_configELb0EPKhPhPKlPlN2at6native12_GLOBAL__N_18offset_tEEE10hipError_tPvRmT1_PNSt15iterator_traitsISY_E10value_typeET2_T3_PNSZ_IS14_E10value_typeET4_jRbjT5_S1A_jjP12ihipStream_tbEUljE_EEESV_SW_SX_S14_S18_S1A_T6_T7_T9_mT8_S1C_bDpT10_ENKUlT_T0_E_clISt17integral_constantIbLb0EES1O_IbLb1EEEEDaS1K_S1L_EUlS1K_E_NS1_11comp_targetILNS1_3genE9ELNS1_11target_archE1100ELNS1_3gpuE3ELNS1_3repE0EEENS1_30default_config_static_selectorELNS0_4arch9wavefront6targetE1EEEvSY_,@function
_ZN7rocprim17ROCPRIM_400000_NS6detail17trampoline_kernelINS0_13select_configILj256ELj13ELNS0_17block_load_methodE3ELS4_3ELS4_3ELNS0_20block_scan_algorithmE0ELj4294967295EEENS1_25partition_config_selectorILNS1_17partition_subalgoE3EjNS0_10empty_typeEbEEZZNS1_14partition_implILS8_3ELb0ES6_jNS0_17counting_iteratorIjlEEPS9_SE_NS0_5tupleIJPjSE_EEENSF_IJSE_SE_EEES9_SG_JZNS1_25segmented_radix_sort_implINS0_14default_configELb0EPKhPhPKlPlN2at6native12_GLOBAL__N_18offset_tEEE10hipError_tPvRmT1_PNSt15iterator_traitsISY_E10value_typeET2_T3_PNSZ_IS14_E10value_typeET4_jRbjT5_S1A_jjP12ihipStream_tbEUljE_EEESV_SW_SX_S14_S18_S1A_T6_T7_T9_mT8_S1C_bDpT10_ENKUlT_T0_E_clISt17integral_constantIbLb0EES1O_IbLb1EEEEDaS1K_S1L_EUlS1K_E_NS1_11comp_targetILNS1_3genE9ELNS1_11target_archE1100ELNS1_3gpuE3ELNS1_3repE0EEENS1_30default_config_static_selectorELNS0_4arch9wavefront6targetE1EEEvSY_: ; @_ZN7rocprim17ROCPRIM_400000_NS6detail17trampoline_kernelINS0_13select_configILj256ELj13ELNS0_17block_load_methodE3ELS4_3ELS4_3ELNS0_20block_scan_algorithmE0ELj4294967295EEENS1_25partition_config_selectorILNS1_17partition_subalgoE3EjNS0_10empty_typeEbEEZZNS1_14partition_implILS8_3ELb0ES6_jNS0_17counting_iteratorIjlEEPS9_SE_NS0_5tupleIJPjSE_EEENSF_IJSE_SE_EEES9_SG_JZNS1_25segmented_radix_sort_implINS0_14default_configELb0EPKhPhPKlPlN2at6native12_GLOBAL__N_18offset_tEEE10hipError_tPvRmT1_PNSt15iterator_traitsISY_E10value_typeET2_T3_PNSZ_IS14_E10value_typeET4_jRbjT5_S1A_jjP12ihipStream_tbEUljE_EEESV_SW_SX_S14_S18_S1A_T6_T7_T9_mT8_S1C_bDpT10_ENKUlT_T0_E_clISt17integral_constantIbLb0EES1O_IbLb1EEEEDaS1K_S1L_EUlS1K_E_NS1_11comp_targetILNS1_3genE9ELNS1_11target_archE1100ELNS1_3gpuE3ELNS1_3repE0EEENS1_30default_config_static_selectorELNS0_4arch9wavefront6targetE1EEEvSY_
; %bb.0:
	.section	.rodata,"a",@progbits
	.p2align	6, 0x0
	.amdhsa_kernel _ZN7rocprim17ROCPRIM_400000_NS6detail17trampoline_kernelINS0_13select_configILj256ELj13ELNS0_17block_load_methodE3ELS4_3ELS4_3ELNS0_20block_scan_algorithmE0ELj4294967295EEENS1_25partition_config_selectorILNS1_17partition_subalgoE3EjNS0_10empty_typeEbEEZZNS1_14partition_implILS8_3ELb0ES6_jNS0_17counting_iteratorIjlEEPS9_SE_NS0_5tupleIJPjSE_EEENSF_IJSE_SE_EEES9_SG_JZNS1_25segmented_radix_sort_implINS0_14default_configELb0EPKhPhPKlPlN2at6native12_GLOBAL__N_18offset_tEEE10hipError_tPvRmT1_PNSt15iterator_traitsISY_E10value_typeET2_T3_PNSZ_IS14_E10value_typeET4_jRbjT5_S1A_jjP12ihipStream_tbEUljE_EEESV_SW_SX_S14_S18_S1A_T6_T7_T9_mT8_S1C_bDpT10_ENKUlT_T0_E_clISt17integral_constantIbLb0EES1O_IbLb1EEEEDaS1K_S1L_EUlS1K_E_NS1_11comp_targetILNS1_3genE9ELNS1_11target_archE1100ELNS1_3gpuE3ELNS1_3repE0EEENS1_30default_config_static_selectorELNS0_4arch9wavefront6targetE1EEEvSY_
		.amdhsa_group_segment_fixed_size 0
		.amdhsa_private_segment_fixed_size 0
		.amdhsa_kernarg_size 152
		.amdhsa_user_sgpr_count 6
		.amdhsa_user_sgpr_private_segment_buffer 1
		.amdhsa_user_sgpr_dispatch_ptr 0
		.amdhsa_user_sgpr_queue_ptr 0
		.amdhsa_user_sgpr_kernarg_segment_ptr 1
		.amdhsa_user_sgpr_dispatch_id 0
		.amdhsa_user_sgpr_flat_scratch_init 0
		.amdhsa_user_sgpr_kernarg_preload_length 0
		.amdhsa_user_sgpr_kernarg_preload_offset 0
		.amdhsa_user_sgpr_private_segment_size 0
		.amdhsa_uses_dynamic_stack 0
		.amdhsa_system_sgpr_private_segment_wavefront_offset 0
		.amdhsa_system_sgpr_workgroup_id_x 1
		.amdhsa_system_sgpr_workgroup_id_y 0
		.amdhsa_system_sgpr_workgroup_id_z 0
		.amdhsa_system_sgpr_workgroup_info 0
		.amdhsa_system_vgpr_workitem_id 0
		.amdhsa_next_free_vgpr 1
		.amdhsa_next_free_sgpr 0
		.amdhsa_accum_offset 4
		.amdhsa_reserve_vcc 0
		.amdhsa_reserve_flat_scratch 0
		.amdhsa_float_round_mode_32 0
		.amdhsa_float_round_mode_16_64 0
		.amdhsa_float_denorm_mode_32 3
		.amdhsa_float_denorm_mode_16_64 3
		.amdhsa_dx10_clamp 1
		.amdhsa_ieee_mode 1
		.amdhsa_fp16_overflow 0
		.amdhsa_tg_split 0
		.amdhsa_exception_fp_ieee_invalid_op 0
		.amdhsa_exception_fp_denorm_src 0
		.amdhsa_exception_fp_ieee_div_zero 0
		.amdhsa_exception_fp_ieee_overflow 0
		.amdhsa_exception_fp_ieee_underflow 0
		.amdhsa_exception_fp_ieee_inexact 0
		.amdhsa_exception_int_div_zero 0
	.end_amdhsa_kernel
	.section	.text._ZN7rocprim17ROCPRIM_400000_NS6detail17trampoline_kernelINS0_13select_configILj256ELj13ELNS0_17block_load_methodE3ELS4_3ELS4_3ELNS0_20block_scan_algorithmE0ELj4294967295EEENS1_25partition_config_selectorILNS1_17partition_subalgoE3EjNS0_10empty_typeEbEEZZNS1_14partition_implILS8_3ELb0ES6_jNS0_17counting_iteratorIjlEEPS9_SE_NS0_5tupleIJPjSE_EEENSF_IJSE_SE_EEES9_SG_JZNS1_25segmented_radix_sort_implINS0_14default_configELb0EPKhPhPKlPlN2at6native12_GLOBAL__N_18offset_tEEE10hipError_tPvRmT1_PNSt15iterator_traitsISY_E10value_typeET2_T3_PNSZ_IS14_E10value_typeET4_jRbjT5_S1A_jjP12ihipStream_tbEUljE_EEESV_SW_SX_S14_S18_S1A_T6_T7_T9_mT8_S1C_bDpT10_ENKUlT_T0_E_clISt17integral_constantIbLb0EES1O_IbLb1EEEEDaS1K_S1L_EUlS1K_E_NS1_11comp_targetILNS1_3genE9ELNS1_11target_archE1100ELNS1_3gpuE3ELNS1_3repE0EEENS1_30default_config_static_selectorELNS0_4arch9wavefront6targetE1EEEvSY_,"axG",@progbits,_ZN7rocprim17ROCPRIM_400000_NS6detail17trampoline_kernelINS0_13select_configILj256ELj13ELNS0_17block_load_methodE3ELS4_3ELS4_3ELNS0_20block_scan_algorithmE0ELj4294967295EEENS1_25partition_config_selectorILNS1_17partition_subalgoE3EjNS0_10empty_typeEbEEZZNS1_14partition_implILS8_3ELb0ES6_jNS0_17counting_iteratorIjlEEPS9_SE_NS0_5tupleIJPjSE_EEENSF_IJSE_SE_EEES9_SG_JZNS1_25segmented_radix_sort_implINS0_14default_configELb0EPKhPhPKlPlN2at6native12_GLOBAL__N_18offset_tEEE10hipError_tPvRmT1_PNSt15iterator_traitsISY_E10value_typeET2_T3_PNSZ_IS14_E10value_typeET4_jRbjT5_S1A_jjP12ihipStream_tbEUljE_EEESV_SW_SX_S14_S18_S1A_T6_T7_T9_mT8_S1C_bDpT10_ENKUlT_T0_E_clISt17integral_constantIbLb0EES1O_IbLb1EEEEDaS1K_S1L_EUlS1K_E_NS1_11comp_targetILNS1_3genE9ELNS1_11target_archE1100ELNS1_3gpuE3ELNS1_3repE0EEENS1_30default_config_static_selectorELNS0_4arch9wavefront6targetE1EEEvSY_,comdat
.Lfunc_end184:
	.size	_ZN7rocprim17ROCPRIM_400000_NS6detail17trampoline_kernelINS0_13select_configILj256ELj13ELNS0_17block_load_methodE3ELS4_3ELS4_3ELNS0_20block_scan_algorithmE0ELj4294967295EEENS1_25partition_config_selectorILNS1_17partition_subalgoE3EjNS0_10empty_typeEbEEZZNS1_14partition_implILS8_3ELb0ES6_jNS0_17counting_iteratorIjlEEPS9_SE_NS0_5tupleIJPjSE_EEENSF_IJSE_SE_EEES9_SG_JZNS1_25segmented_radix_sort_implINS0_14default_configELb0EPKhPhPKlPlN2at6native12_GLOBAL__N_18offset_tEEE10hipError_tPvRmT1_PNSt15iterator_traitsISY_E10value_typeET2_T3_PNSZ_IS14_E10value_typeET4_jRbjT5_S1A_jjP12ihipStream_tbEUljE_EEESV_SW_SX_S14_S18_S1A_T6_T7_T9_mT8_S1C_bDpT10_ENKUlT_T0_E_clISt17integral_constantIbLb0EES1O_IbLb1EEEEDaS1K_S1L_EUlS1K_E_NS1_11comp_targetILNS1_3genE9ELNS1_11target_archE1100ELNS1_3gpuE3ELNS1_3repE0EEENS1_30default_config_static_selectorELNS0_4arch9wavefront6targetE1EEEvSY_, .Lfunc_end184-_ZN7rocprim17ROCPRIM_400000_NS6detail17trampoline_kernelINS0_13select_configILj256ELj13ELNS0_17block_load_methodE3ELS4_3ELS4_3ELNS0_20block_scan_algorithmE0ELj4294967295EEENS1_25partition_config_selectorILNS1_17partition_subalgoE3EjNS0_10empty_typeEbEEZZNS1_14partition_implILS8_3ELb0ES6_jNS0_17counting_iteratorIjlEEPS9_SE_NS0_5tupleIJPjSE_EEENSF_IJSE_SE_EEES9_SG_JZNS1_25segmented_radix_sort_implINS0_14default_configELb0EPKhPhPKlPlN2at6native12_GLOBAL__N_18offset_tEEE10hipError_tPvRmT1_PNSt15iterator_traitsISY_E10value_typeET2_T3_PNSZ_IS14_E10value_typeET4_jRbjT5_S1A_jjP12ihipStream_tbEUljE_EEESV_SW_SX_S14_S18_S1A_T6_T7_T9_mT8_S1C_bDpT10_ENKUlT_T0_E_clISt17integral_constantIbLb0EES1O_IbLb1EEEEDaS1K_S1L_EUlS1K_E_NS1_11comp_targetILNS1_3genE9ELNS1_11target_archE1100ELNS1_3gpuE3ELNS1_3repE0EEENS1_30default_config_static_selectorELNS0_4arch9wavefront6targetE1EEEvSY_
                                        ; -- End function
	.section	.AMDGPU.csdata,"",@progbits
; Kernel info:
; codeLenInByte = 0
; NumSgprs: 4
; NumVgprs: 0
; NumAgprs: 0
; TotalNumVgprs: 0
; ScratchSize: 0
; MemoryBound: 0
; FloatMode: 240
; IeeeMode: 1
; LDSByteSize: 0 bytes/workgroup (compile time only)
; SGPRBlocks: 0
; VGPRBlocks: 0
; NumSGPRsForWavesPerEU: 4
; NumVGPRsForWavesPerEU: 1
; AccumOffset: 4
; Occupancy: 8
; WaveLimiterHint : 0
; COMPUTE_PGM_RSRC2:SCRATCH_EN: 0
; COMPUTE_PGM_RSRC2:USER_SGPR: 6
; COMPUTE_PGM_RSRC2:TRAP_HANDLER: 0
; COMPUTE_PGM_RSRC2:TGID_X_EN: 1
; COMPUTE_PGM_RSRC2:TGID_Y_EN: 0
; COMPUTE_PGM_RSRC2:TGID_Z_EN: 0
; COMPUTE_PGM_RSRC2:TIDIG_COMP_CNT: 0
; COMPUTE_PGM_RSRC3_GFX90A:ACCUM_OFFSET: 0
; COMPUTE_PGM_RSRC3_GFX90A:TG_SPLIT: 0
	.section	.text._ZN7rocprim17ROCPRIM_400000_NS6detail17trampoline_kernelINS0_13select_configILj256ELj13ELNS0_17block_load_methodE3ELS4_3ELS4_3ELNS0_20block_scan_algorithmE0ELj4294967295EEENS1_25partition_config_selectorILNS1_17partition_subalgoE3EjNS0_10empty_typeEbEEZZNS1_14partition_implILS8_3ELb0ES6_jNS0_17counting_iteratorIjlEEPS9_SE_NS0_5tupleIJPjSE_EEENSF_IJSE_SE_EEES9_SG_JZNS1_25segmented_radix_sort_implINS0_14default_configELb0EPKhPhPKlPlN2at6native12_GLOBAL__N_18offset_tEEE10hipError_tPvRmT1_PNSt15iterator_traitsISY_E10value_typeET2_T3_PNSZ_IS14_E10value_typeET4_jRbjT5_S1A_jjP12ihipStream_tbEUljE_EEESV_SW_SX_S14_S18_S1A_T6_T7_T9_mT8_S1C_bDpT10_ENKUlT_T0_E_clISt17integral_constantIbLb0EES1O_IbLb1EEEEDaS1K_S1L_EUlS1K_E_NS1_11comp_targetILNS1_3genE8ELNS1_11target_archE1030ELNS1_3gpuE2ELNS1_3repE0EEENS1_30default_config_static_selectorELNS0_4arch9wavefront6targetE1EEEvSY_,"axG",@progbits,_ZN7rocprim17ROCPRIM_400000_NS6detail17trampoline_kernelINS0_13select_configILj256ELj13ELNS0_17block_load_methodE3ELS4_3ELS4_3ELNS0_20block_scan_algorithmE0ELj4294967295EEENS1_25partition_config_selectorILNS1_17partition_subalgoE3EjNS0_10empty_typeEbEEZZNS1_14partition_implILS8_3ELb0ES6_jNS0_17counting_iteratorIjlEEPS9_SE_NS0_5tupleIJPjSE_EEENSF_IJSE_SE_EEES9_SG_JZNS1_25segmented_radix_sort_implINS0_14default_configELb0EPKhPhPKlPlN2at6native12_GLOBAL__N_18offset_tEEE10hipError_tPvRmT1_PNSt15iterator_traitsISY_E10value_typeET2_T3_PNSZ_IS14_E10value_typeET4_jRbjT5_S1A_jjP12ihipStream_tbEUljE_EEESV_SW_SX_S14_S18_S1A_T6_T7_T9_mT8_S1C_bDpT10_ENKUlT_T0_E_clISt17integral_constantIbLb0EES1O_IbLb1EEEEDaS1K_S1L_EUlS1K_E_NS1_11comp_targetILNS1_3genE8ELNS1_11target_archE1030ELNS1_3gpuE2ELNS1_3repE0EEENS1_30default_config_static_selectorELNS0_4arch9wavefront6targetE1EEEvSY_,comdat
	.globl	_ZN7rocprim17ROCPRIM_400000_NS6detail17trampoline_kernelINS0_13select_configILj256ELj13ELNS0_17block_load_methodE3ELS4_3ELS4_3ELNS0_20block_scan_algorithmE0ELj4294967295EEENS1_25partition_config_selectorILNS1_17partition_subalgoE3EjNS0_10empty_typeEbEEZZNS1_14partition_implILS8_3ELb0ES6_jNS0_17counting_iteratorIjlEEPS9_SE_NS0_5tupleIJPjSE_EEENSF_IJSE_SE_EEES9_SG_JZNS1_25segmented_radix_sort_implINS0_14default_configELb0EPKhPhPKlPlN2at6native12_GLOBAL__N_18offset_tEEE10hipError_tPvRmT1_PNSt15iterator_traitsISY_E10value_typeET2_T3_PNSZ_IS14_E10value_typeET4_jRbjT5_S1A_jjP12ihipStream_tbEUljE_EEESV_SW_SX_S14_S18_S1A_T6_T7_T9_mT8_S1C_bDpT10_ENKUlT_T0_E_clISt17integral_constantIbLb0EES1O_IbLb1EEEEDaS1K_S1L_EUlS1K_E_NS1_11comp_targetILNS1_3genE8ELNS1_11target_archE1030ELNS1_3gpuE2ELNS1_3repE0EEENS1_30default_config_static_selectorELNS0_4arch9wavefront6targetE1EEEvSY_ ; -- Begin function _ZN7rocprim17ROCPRIM_400000_NS6detail17trampoline_kernelINS0_13select_configILj256ELj13ELNS0_17block_load_methodE3ELS4_3ELS4_3ELNS0_20block_scan_algorithmE0ELj4294967295EEENS1_25partition_config_selectorILNS1_17partition_subalgoE3EjNS0_10empty_typeEbEEZZNS1_14partition_implILS8_3ELb0ES6_jNS0_17counting_iteratorIjlEEPS9_SE_NS0_5tupleIJPjSE_EEENSF_IJSE_SE_EEES9_SG_JZNS1_25segmented_radix_sort_implINS0_14default_configELb0EPKhPhPKlPlN2at6native12_GLOBAL__N_18offset_tEEE10hipError_tPvRmT1_PNSt15iterator_traitsISY_E10value_typeET2_T3_PNSZ_IS14_E10value_typeET4_jRbjT5_S1A_jjP12ihipStream_tbEUljE_EEESV_SW_SX_S14_S18_S1A_T6_T7_T9_mT8_S1C_bDpT10_ENKUlT_T0_E_clISt17integral_constantIbLb0EES1O_IbLb1EEEEDaS1K_S1L_EUlS1K_E_NS1_11comp_targetILNS1_3genE8ELNS1_11target_archE1030ELNS1_3gpuE2ELNS1_3repE0EEENS1_30default_config_static_selectorELNS0_4arch9wavefront6targetE1EEEvSY_
	.p2align	8
	.type	_ZN7rocprim17ROCPRIM_400000_NS6detail17trampoline_kernelINS0_13select_configILj256ELj13ELNS0_17block_load_methodE3ELS4_3ELS4_3ELNS0_20block_scan_algorithmE0ELj4294967295EEENS1_25partition_config_selectorILNS1_17partition_subalgoE3EjNS0_10empty_typeEbEEZZNS1_14partition_implILS8_3ELb0ES6_jNS0_17counting_iteratorIjlEEPS9_SE_NS0_5tupleIJPjSE_EEENSF_IJSE_SE_EEES9_SG_JZNS1_25segmented_radix_sort_implINS0_14default_configELb0EPKhPhPKlPlN2at6native12_GLOBAL__N_18offset_tEEE10hipError_tPvRmT1_PNSt15iterator_traitsISY_E10value_typeET2_T3_PNSZ_IS14_E10value_typeET4_jRbjT5_S1A_jjP12ihipStream_tbEUljE_EEESV_SW_SX_S14_S18_S1A_T6_T7_T9_mT8_S1C_bDpT10_ENKUlT_T0_E_clISt17integral_constantIbLb0EES1O_IbLb1EEEEDaS1K_S1L_EUlS1K_E_NS1_11comp_targetILNS1_3genE8ELNS1_11target_archE1030ELNS1_3gpuE2ELNS1_3repE0EEENS1_30default_config_static_selectorELNS0_4arch9wavefront6targetE1EEEvSY_,@function
_ZN7rocprim17ROCPRIM_400000_NS6detail17trampoline_kernelINS0_13select_configILj256ELj13ELNS0_17block_load_methodE3ELS4_3ELS4_3ELNS0_20block_scan_algorithmE0ELj4294967295EEENS1_25partition_config_selectorILNS1_17partition_subalgoE3EjNS0_10empty_typeEbEEZZNS1_14partition_implILS8_3ELb0ES6_jNS0_17counting_iteratorIjlEEPS9_SE_NS0_5tupleIJPjSE_EEENSF_IJSE_SE_EEES9_SG_JZNS1_25segmented_radix_sort_implINS0_14default_configELb0EPKhPhPKlPlN2at6native12_GLOBAL__N_18offset_tEEE10hipError_tPvRmT1_PNSt15iterator_traitsISY_E10value_typeET2_T3_PNSZ_IS14_E10value_typeET4_jRbjT5_S1A_jjP12ihipStream_tbEUljE_EEESV_SW_SX_S14_S18_S1A_T6_T7_T9_mT8_S1C_bDpT10_ENKUlT_T0_E_clISt17integral_constantIbLb0EES1O_IbLb1EEEEDaS1K_S1L_EUlS1K_E_NS1_11comp_targetILNS1_3genE8ELNS1_11target_archE1030ELNS1_3gpuE2ELNS1_3repE0EEENS1_30default_config_static_selectorELNS0_4arch9wavefront6targetE1EEEvSY_: ; @_ZN7rocprim17ROCPRIM_400000_NS6detail17trampoline_kernelINS0_13select_configILj256ELj13ELNS0_17block_load_methodE3ELS4_3ELS4_3ELNS0_20block_scan_algorithmE0ELj4294967295EEENS1_25partition_config_selectorILNS1_17partition_subalgoE3EjNS0_10empty_typeEbEEZZNS1_14partition_implILS8_3ELb0ES6_jNS0_17counting_iteratorIjlEEPS9_SE_NS0_5tupleIJPjSE_EEENSF_IJSE_SE_EEES9_SG_JZNS1_25segmented_radix_sort_implINS0_14default_configELb0EPKhPhPKlPlN2at6native12_GLOBAL__N_18offset_tEEE10hipError_tPvRmT1_PNSt15iterator_traitsISY_E10value_typeET2_T3_PNSZ_IS14_E10value_typeET4_jRbjT5_S1A_jjP12ihipStream_tbEUljE_EEESV_SW_SX_S14_S18_S1A_T6_T7_T9_mT8_S1C_bDpT10_ENKUlT_T0_E_clISt17integral_constantIbLb0EES1O_IbLb1EEEEDaS1K_S1L_EUlS1K_E_NS1_11comp_targetILNS1_3genE8ELNS1_11target_archE1030ELNS1_3gpuE2ELNS1_3repE0EEENS1_30default_config_static_selectorELNS0_4arch9wavefront6targetE1EEEvSY_
; %bb.0:
	.section	.rodata,"a",@progbits
	.p2align	6, 0x0
	.amdhsa_kernel _ZN7rocprim17ROCPRIM_400000_NS6detail17trampoline_kernelINS0_13select_configILj256ELj13ELNS0_17block_load_methodE3ELS4_3ELS4_3ELNS0_20block_scan_algorithmE0ELj4294967295EEENS1_25partition_config_selectorILNS1_17partition_subalgoE3EjNS0_10empty_typeEbEEZZNS1_14partition_implILS8_3ELb0ES6_jNS0_17counting_iteratorIjlEEPS9_SE_NS0_5tupleIJPjSE_EEENSF_IJSE_SE_EEES9_SG_JZNS1_25segmented_radix_sort_implINS0_14default_configELb0EPKhPhPKlPlN2at6native12_GLOBAL__N_18offset_tEEE10hipError_tPvRmT1_PNSt15iterator_traitsISY_E10value_typeET2_T3_PNSZ_IS14_E10value_typeET4_jRbjT5_S1A_jjP12ihipStream_tbEUljE_EEESV_SW_SX_S14_S18_S1A_T6_T7_T9_mT8_S1C_bDpT10_ENKUlT_T0_E_clISt17integral_constantIbLb0EES1O_IbLb1EEEEDaS1K_S1L_EUlS1K_E_NS1_11comp_targetILNS1_3genE8ELNS1_11target_archE1030ELNS1_3gpuE2ELNS1_3repE0EEENS1_30default_config_static_selectorELNS0_4arch9wavefront6targetE1EEEvSY_
		.amdhsa_group_segment_fixed_size 0
		.amdhsa_private_segment_fixed_size 0
		.amdhsa_kernarg_size 152
		.amdhsa_user_sgpr_count 6
		.amdhsa_user_sgpr_private_segment_buffer 1
		.amdhsa_user_sgpr_dispatch_ptr 0
		.amdhsa_user_sgpr_queue_ptr 0
		.amdhsa_user_sgpr_kernarg_segment_ptr 1
		.amdhsa_user_sgpr_dispatch_id 0
		.amdhsa_user_sgpr_flat_scratch_init 0
		.amdhsa_user_sgpr_kernarg_preload_length 0
		.amdhsa_user_sgpr_kernarg_preload_offset 0
		.amdhsa_user_sgpr_private_segment_size 0
		.amdhsa_uses_dynamic_stack 0
		.amdhsa_system_sgpr_private_segment_wavefront_offset 0
		.amdhsa_system_sgpr_workgroup_id_x 1
		.amdhsa_system_sgpr_workgroup_id_y 0
		.amdhsa_system_sgpr_workgroup_id_z 0
		.amdhsa_system_sgpr_workgroup_info 0
		.amdhsa_system_vgpr_workitem_id 0
		.amdhsa_next_free_vgpr 1
		.amdhsa_next_free_sgpr 0
		.amdhsa_accum_offset 4
		.amdhsa_reserve_vcc 0
		.amdhsa_reserve_flat_scratch 0
		.amdhsa_float_round_mode_32 0
		.amdhsa_float_round_mode_16_64 0
		.amdhsa_float_denorm_mode_32 3
		.amdhsa_float_denorm_mode_16_64 3
		.amdhsa_dx10_clamp 1
		.amdhsa_ieee_mode 1
		.amdhsa_fp16_overflow 0
		.amdhsa_tg_split 0
		.amdhsa_exception_fp_ieee_invalid_op 0
		.amdhsa_exception_fp_denorm_src 0
		.amdhsa_exception_fp_ieee_div_zero 0
		.amdhsa_exception_fp_ieee_overflow 0
		.amdhsa_exception_fp_ieee_underflow 0
		.amdhsa_exception_fp_ieee_inexact 0
		.amdhsa_exception_int_div_zero 0
	.end_amdhsa_kernel
	.section	.text._ZN7rocprim17ROCPRIM_400000_NS6detail17trampoline_kernelINS0_13select_configILj256ELj13ELNS0_17block_load_methodE3ELS4_3ELS4_3ELNS0_20block_scan_algorithmE0ELj4294967295EEENS1_25partition_config_selectorILNS1_17partition_subalgoE3EjNS0_10empty_typeEbEEZZNS1_14partition_implILS8_3ELb0ES6_jNS0_17counting_iteratorIjlEEPS9_SE_NS0_5tupleIJPjSE_EEENSF_IJSE_SE_EEES9_SG_JZNS1_25segmented_radix_sort_implINS0_14default_configELb0EPKhPhPKlPlN2at6native12_GLOBAL__N_18offset_tEEE10hipError_tPvRmT1_PNSt15iterator_traitsISY_E10value_typeET2_T3_PNSZ_IS14_E10value_typeET4_jRbjT5_S1A_jjP12ihipStream_tbEUljE_EEESV_SW_SX_S14_S18_S1A_T6_T7_T9_mT8_S1C_bDpT10_ENKUlT_T0_E_clISt17integral_constantIbLb0EES1O_IbLb1EEEEDaS1K_S1L_EUlS1K_E_NS1_11comp_targetILNS1_3genE8ELNS1_11target_archE1030ELNS1_3gpuE2ELNS1_3repE0EEENS1_30default_config_static_selectorELNS0_4arch9wavefront6targetE1EEEvSY_,"axG",@progbits,_ZN7rocprim17ROCPRIM_400000_NS6detail17trampoline_kernelINS0_13select_configILj256ELj13ELNS0_17block_load_methodE3ELS4_3ELS4_3ELNS0_20block_scan_algorithmE0ELj4294967295EEENS1_25partition_config_selectorILNS1_17partition_subalgoE3EjNS0_10empty_typeEbEEZZNS1_14partition_implILS8_3ELb0ES6_jNS0_17counting_iteratorIjlEEPS9_SE_NS0_5tupleIJPjSE_EEENSF_IJSE_SE_EEES9_SG_JZNS1_25segmented_radix_sort_implINS0_14default_configELb0EPKhPhPKlPlN2at6native12_GLOBAL__N_18offset_tEEE10hipError_tPvRmT1_PNSt15iterator_traitsISY_E10value_typeET2_T3_PNSZ_IS14_E10value_typeET4_jRbjT5_S1A_jjP12ihipStream_tbEUljE_EEESV_SW_SX_S14_S18_S1A_T6_T7_T9_mT8_S1C_bDpT10_ENKUlT_T0_E_clISt17integral_constantIbLb0EES1O_IbLb1EEEEDaS1K_S1L_EUlS1K_E_NS1_11comp_targetILNS1_3genE8ELNS1_11target_archE1030ELNS1_3gpuE2ELNS1_3repE0EEENS1_30default_config_static_selectorELNS0_4arch9wavefront6targetE1EEEvSY_,comdat
.Lfunc_end185:
	.size	_ZN7rocprim17ROCPRIM_400000_NS6detail17trampoline_kernelINS0_13select_configILj256ELj13ELNS0_17block_load_methodE3ELS4_3ELS4_3ELNS0_20block_scan_algorithmE0ELj4294967295EEENS1_25partition_config_selectorILNS1_17partition_subalgoE3EjNS0_10empty_typeEbEEZZNS1_14partition_implILS8_3ELb0ES6_jNS0_17counting_iteratorIjlEEPS9_SE_NS0_5tupleIJPjSE_EEENSF_IJSE_SE_EEES9_SG_JZNS1_25segmented_radix_sort_implINS0_14default_configELb0EPKhPhPKlPlN2at6native12_GLOBAL__N_18offset_tEEE10hipError_tPvRmT1_PNSt15iterator_traitsISY_E10value_typeET2_T3_PNSZ_IS14_E10value_typeET4_jRbjT5_S1A_jjP12ihipStream_tbEUljE_EEESV_SW_SX_S14_S18_S1A_T6_T7_T9_mT8_S1C_bDpT10_ENKUlT_T0_E_clISt17integral_constantIbLb0EES1O_IbLb1EEEEDaS1K_S1L_EUlS1K_E_NS1_11comp_targetILNS1_3genE8ELNS1_11target_archE1030ELNS1_3gpuE2ELNS1_3repE0EEENS1_30default_config_static_selectorELNS0_4arch9wavefront6targetE1EEEvSY_, .Lfunc_end185-_ZN7rocprim17ROCPRIM_400000_NS6detail17trampoline_kernelINS0_13select_configILj256ELj13ELNS0_17block_load_methodE3ELS4_3ELS4_3ELNS0_20block_scan_algorithmE0ELj4294967295EEENS1_25partition_config_selectorILNS1_17partition_subalgoE3EjNS0_10empty_typeEbEEZZNS1_14partition_implILS8_3ELb0ES6_jNS0_17counting_iteratorIjlEEPS9_SE_NS0_5tupleIJPjSE_EEENSF_IJSE_SE_EEES9_SG_JZNS1_25segmented_radix_sort_implINS0_14default_configELb0EPKhPhPKlPlN2at6native12_GLOBAL__N_18offset_tEEE10hipError_tPvRmT1_PNSt15iterator_traitsISY_E10value_typeET2_T3_PNSZ_IS14_E10value_typeET4_jRbjT5_S1A_jjP12ihipStream_tbEUljE_EEESV_SW_SX_S14_S18_S1A_T6_T7_T9_mT8_S1C_bDpT10_ENKUlT_T0_E_clISt17integral_constantIbLb0EES1O_IbLb1EEEEDaS1K_S1L_EUlS1K_E_NS1_11comp_targetILNS1_3genE8ELNS1_11target_archE1030ELNS1_3gpuE2ELNS1_3repE0EEENS1_30default_config_static_selectorELNS0_4arch9wavefront6targetE1EEEvSY_
                                        ; -- End function
	.section	.AMDGPU.csdata,"",@progbits
; Kernel info:
; codeLenInByte = 0
; NumSgprs: 4
; NumVgprs: 0
; NumAgprs: 0
; TotalNumVgprs: 0
; ScratchSize: 0
; MemoryBound: 0
; FloatMode: 240
; IeeeMode: 1
; LDSByteSize: 0 bytes/workgroup (compile time only)
; SGPRBlocks: 0
; VGPRBlocks: 0
; NumSGPRsForWavesPerEU: 4
; NumVGPRsForWavesPerEU: 1
; AccumOffset: 4
; Occupancy: 8
; WaveLimiterHint : 0
; COMPUTE_PGM_RSRC2:SCRATCH_EN: 0
; COMPUTE_PGM_RSRC2:USER_SGPR: 6
; COMPUTE_PGM_RSRC2:TRAP_HANDLER: 0
; COMPUTE_PGM_RSRC2:TGID_X_EN: 1
; COMPUTE_PGM_RSRC2:TGID_Y_EN: 0
; COMPUTE_PGM_RSRC2:TGID_Z_EN: 0
; COMPUTE_PGM_RSRC2:TIDIG_COMP_CNT: 0
; COMPUTE_PGM_RSRC3_GFX90A:ACCUM_OFFSET: 0
; COMPUTE_PGM_RSRC3_GFX90A:TG_SPLIT: 0
	.section	.text._ZN7rocprim17ROCPRIM_400000_NS6detail17trampoline_kernelINS0_14default_configENS1_36segmented_radix_sort_config_selectorIhlEEZNS1_25segmented_radix_sort_implIS3_Lb0EPKhPhPKlPlN2at6native12_GLOBAL__N_18offset_tEEE10hipError_tPvRmT1_PNSt15iterator_traitsISK_E10value_typeET2_T3_PNSL_ISQ_E10value_typeET4_jRbjT5_SW_jjP12ihipStream_tbEUlT_E_NS1_11comp_targetILNS1_3genE0ELNS1_11target_archE4294967295ELNS1_3gpuE0ELNS1_3repE0EEENS1_30default_config_static_selectorELNS0_4arch9wavefront6targetE1EEEvSK_,"axG",@progbits,_ZN7rocprim17ROCPRIM_400000_NS6detail17trampoline_kernelINS0_14default_configENS1_36segmented_radix_sort_config_selectorIhlEEZNS1_25segmented_radix_sort_implIS3_Lb0EPKhPhPKlPlN2at6native12_GLOBAL__N_18offset_tEEE10hipError_tPvRmT1_PNSt15iterator_traitsISK_E10value_typeET2_T3_PNSL_ISQ_E10value_typeET4_jRbjT5_SW_jjP12ihipStream_tbEUlT_E_NS1_11comp_targetILNS1_3genE0ELNS1_11target_archE4294967295ELNS1_3gpuE0ELNS1_3repE0EEENS1_30default_config_static_selectorELNS0_4arch9wavefront6targetE1EEEvSK_,comdat
	.globl	_ZN7rocprim17ROCPRIM_400000_NS6detail17trampoline_kernelINS0_14default_configENS1_36segmented_radix_sort_config_selectorIhlEEZNS1_25segmented_radix_sort_implIS3_Lb0EPKhPhPKlPlN2at6native12_GLOBAL__N_18offset_tEEE10hipError_tPvRmT1_PNSt15iterator_traitsISK_E10value_typeET2_T3_PNSL_ISQ_E10value_typeET4_jRbjT5_SW_jjP12ihipStream_tbEUlT_E_NS1_11comp_targetILNS1_3genE0ELNS1_11target_archE4294967295ELNS1_3gpuE0ELNS1_3repE0EEENS1_30default_config_static_selectorELNS0_4arch9wavefront6targetE1EEEvSK_ ; -- Begin function _ZN7rocprim17ROCPRIM_400000_NS6detail17trampoline_kernelINS0_14default_configENS1_36segmented_radix_sort_config_selectorIhlEEZNS1_25segmented_radix_sort_implIS3_Lb0EPKhPhPKlPlN2at6native12_GLOBAL__N_18offset_tEEE10hipError_tPvRmT1_PNSt15iterator_traitsISK_E10value_typeET2_T3_PNSL_ISQ_E10value_typeET4_jRbjT5_SW_jjP12ihipStream_tbEUlT_E_NS1_11comp_targetILNS1_3genE0ELNS1_11target_archE4294967295ELNS1_3gpuE0ELNS1_3repE0EEENS1_30default_config_static_selectorELNS0_4arch9wavefront6targetE1EEEvSK_
	.p2align	8
	.type	_ZN7rocprim17ROCPRIM_400000_NS6detail17trampoline_kernelINS0_14default_configENS1_36segmented_radix_sort_config_selectorIhlEEZNS1_25segmented_radix_sort_implIS3_Lb0EPKhPhPKlPlN2at6native12_GLOBAL__N_18offset_tEEE10hipError_tPvRmT1_PNSt15iterator_traitsISK_E10value_typeET2_T3_PNSL_ISQ_E10value_typeET4_jRbjT5_SW_jjP12ihipStream_tbEUlT_E_NS1_11comp_targetILNS1_3genE0ELNS1_11target_archE4294967295ELNS1_3gpuE0ELNS1_3repE0EEENS1_30default_config_static_selectorELNS0_4arch9wavefront6targetE1EEEvSK_,@function
_ZN7rocprim17ROCPRIM_400000_NS6detail17trampoline_kernelINS0_14default_configENS1_36segmented_radix_sort_config_selectorIhlEEZNS1_25segmented_radix_sort_implIS3_Lb0EPKhPhPKlPlN2at6native12_GLOBAL__N_18offset_tEEE10hipError_tPvRmT1_PNSt15iterator_traitsISK_E10value_typeET2_T3_PNSL_ISQ_E10value_typeET4_jRbjT5_SW_jjP12ihipStream_tbEUlT_E_NS1_11comp_targetILNS1_3genE0ELNS1_11target_archE4294967295ELNS1_3gpuE0ELNS1_3repE0EEENS1_30default_config_static_selectorELNS0_4arch9wavefront6targetE1EEEvSK_: ; @_ZN7rocprim17ROCPRIM_400000_NS6detail17trampoline_kernelINS0_14default_configENS1_36segmented_radix_sort_config_selectorIhlEEZNS1_25segmented_radix_sort_implIS3_Lb0EPKhPhPKlPlN2at6native12_GLOBAL__N_18offset_tEEE10hipError_tPvRmT1_PNSt15iterator_traitsISK_E10value_typeET2_T3_PNSL_ISQ_E10value_typeET4_jRbjT5_SW_jjP12ihipStream_tbEUlT_E_NS1_11comp_targetILNS1_3genE0ELNS1_11target_archE4294967295ELNS1_3gpuE0ELNS1_3repE0EEENS1_30default_config_static_selectorELNS0_4arch9wavefront6targetE1EEEvSK_
; %bb.0:
	.section	.rodata,"a",@progbits
	.p2align	6, 0x0
	.amdhsa_kernel _ZN7rocprim17ROCPRIM_400000_NS6detail17trampoline_kernelINS0_14default_configENS1_36segmented_radix_sort_config_selectorIhlEEZNS1_25segmented_radix_sort_implIS3_Lb0EPKhPhPKlPlN2at6native12_GLOBAL__N_18offset_tEEE10hipError_tPvRmT1_PNSt15iterator_traitsISK_E10value_typeET2_T3_PNSL_ISQ_E10value_typeET4_jRbjT5_SW_jjP12ihipStream_tbEUlT_E_NS1_11comp_targetILNS1_3genE0ELNS1_11target_archE4294967295ELNS1_3gpuE0ELNS1_3repE0EEENS1_30default_config_static_selectorELNS0_4arch9wavefront6targetE1EEEvSK_
		.amdhsa_group_segment_fixed_size 0
		.amdhsa_private_segment_fixed_size 0
		.amdhsa_kernarg_size 96
		.amdhsa_user_sgpr_count 6
		.amdhsa_user_sgpr_private_segment_buffer 1
		.amdhsa_user_sgpr_dispatch_ptr 0
		.amdhsa_user_sgpr_queue_ptr 0
		.amdhsa_user_sgpr_kernarg_segment_ptr 1
		.amdhsa_user_sgpr_dispatch_id 0
		.amdhsa_user_sgpr_flat_scratch_init 0
		.amdhsa_user_sgpr_kernarg_preload_length 0
		.amdhsa_user_sgpr_kernarg_preload_offset 0
		.amdhsa_user_sgpr_private_segment_size 0
		.amdhsa_uses_dynamic_stack 0
		.amdhsa_system_sgpr_private_segment_wavefront_offset 0
		.amdhsa_system_sgpr_workgroup_id_x 1
		.amdhsa_system_sgpr_workgroup_id_y 0
		.amdhsa_system_sgpr_workgroup_id_z 0
		.amdhsa_system_sgpr_workgroup_info 0
		.amdhsa_system_vgpr_workitem_id 0
		.amdhsa_next_free_vgpr 1
		.amdhsa_next_free_sgpr 0
		.amdhsa_accum_offset 4
		.amdhsa_reserve_vcc 0
		.amdhsa_reserve_flat_scratch 0
		.amdhsa_float_round_mode_32 0
		.amdhsa_float_round_mode_16_64 0
		.amdhsa_float_denorm_mode_32 3
		.amdhsa_float_denorm_mode_16_64 3
		.amdhsa_dx10_clamp 1
		.amdhsa_ieee_mode 1
		.amdhsa_fp16_overflow 0
		.amdhsa_tg_split 0
		.amdhsa_exception_fp_ieee_invalid_op 0
		.amdhsa_exception_fp_denorm_src 0
		.amdhsa_exception_fp_ieee_div_zero 0
		.amdhsa_exception_fp_ieee_overflow 0
		.amdhsa_exception_fp_ieee_underflow 0
		.amdhsa_exception_fp_ieee_inexact 0
		.amdhsa_exception_int_div_zero 0
	.end_amdhsa_kernel
	.section	.text._ZN7rocprim17ROCPRIM_400000_NS6detail17trampoline_kernelINS0_14default_configENS1_36segmented_radix_sort_config_selectorIhlEEZNS1_25segmented_radix_sort_implIS3_Lb0EPKhPhPKlPlN2at6native12_GLOBAL__N_18offset_tEEE10hipError_tPvRmT1_PNSt15iterator_traitsISK_E10value_typeET2_T3_PNSL_ISQ_E10value_typeET4_jRbjT5_SW_jjP12ihipStream_tbEUlT_E_NS1_11comp_targetILNS1_3genE0ELNS1_11target_archE4294967295ELNS1_3gpuE0ELNS1_3repE0EEENS1_30default_config_static_selectorELNS0_4arch9wavefront6targetE1EEEvSK_,"axG",@progbits,_ZN7rocprim17ROCPRIM_400000_NS6detail17trampoline_kernelINS0_14default_configENS1_36segmented_radix_sort_config_selectorIhlEEZNS1_25segmented_radix_sort_implIS3_Lb0EPKhPhPKlPlN2at6native12_GLOBAL__N_18offset_tEEE10hipError_tPvRmT1_PNSt15iterator_traitsISK_E10value_typeET2_T3_PNSL_ISQ_E10value_typeET4_jRbjT5_SW_jjP12ihipStream_tbEUlT_E_NS1_11comp_targetILNS1_3genE0ELNS1_11target_archE4294967295ELNS1_3gpuE0ELNS1_3repE0EEENS1_30default_config_static_selectorELNS0_4arch9wavefront6targetE1EEEvSK_,comdat
.Lfunc_end186:
	.size	_ZN7rocprim17ROCPRIM_400000_NS6detail17trampoline_kernelINS0_14default_configENS1_36segmented_radix_sort_config_selectorIhlEEZNS1_25segmented_radix_sort_implIS3_Lb0EPKhPhPKlPlN2at6native12_GLOBAL__N_18offset_tEEE10hipError_tPvRmT1_PNSt15iterator_traitsISK_E10value_typeET2_T3_PNSL_ISQ_E10value_typeET4_jRbjT5_SW_jjP12ihipStream_tbEUlT_E_NS1_11comp_targetILNS1_3genE0ELNS1_11target_archE4294967295ELNS1_3gpuE0ELNS1_3repE0EEENS1_30default_config_static_selectorELNS0_4arch9wavefront6targetE1EEEvSK_, .Lfunc_end186-_ZN7rocprim17ROCPRIM_400000_NS6detail17trampoline_kernelINS0_14default_configENS1_36segmented_radix_sort_config_selectorIhlEEZNS1_25segmented_radix_sort_implIS3_Lb0EPKhPhPKlPlN2at6native12_GLOBAL__N_18offset_tEEE10hipError_tPvRmT1_PNSt15iterator_traitsISK_E10value_typeET2_T3_PNSL_ISQ_E10value_typeET4_jRbjT5_SW_jjP12ihipStream_tbEUlT_E_NS1_11comp_targetILNS1_3genE0ELNS1_11target_archE4294967295ELNS1_3gpuE0ELNS1_3repE0EEENS1_30default_config_static_selectorELNS0_4arch9wavefront6targetE1EEEvSK_
                                        ; -- End function
	.section	.AMDGPU.csdata,"",@progbits
; Kernel info:
; codeLenInByte = 0
; NumSgprs: 4
; NumVgprs: 0
; NumAgprs: 0
; TotalNumVgprs: 0
; ScratchSize: 0
; MemoryBound: 0
; FloatMode: 240
; IeeeMode: 1
; LDSByteSize: 0 bytes/workgroup (compile time only)
; SGPRBlocks: 0
; VGPRBlocks: 0
; NumSGPRsForWavesPerEU: 4
; NumVGPRsForWavesPerEU: 1
; AccumOffset: 4
; Occupancy: 8
; WaveLimiterHint : 0
; COMPUTE_PGM_RSRC2:SCRATCH_EN: 0
; COMPUTE_PGM_RSRC2:USER_SGPR: 6
; COMPUTE_PGM_RSRC2:TRAP_HANDLER: 0
; COMPUTE_PGM_RSRC2:TGID_X_EN: 1
; COMPUTE_PGM_RSRC2:TGID_Y_EN: 0
; COMPUTE_PGM_RSRC2:TGID_Z_EN: 0
; COMPUTE_PGM_RSRC2:TIDIG_COMP_CNT: 0
; COMPUTE_PGM_RSRC3_GFX90A:ACCUM_OFFSET: 0
; COMPUTE_PGM_RSRC3_GFX90A:TG_SPLIT: 0
	.section	.text._ZN7rocprim17ROCPRIM_400000_NS6detail17trampoline_kernelINS0_14default_configENS1_36segmented_radix_sort_config_selectorIhlEEZNS1_25segmented_radix_sort_implIS3_Lb0EPKhPhPKlPlN2at6native12_GLOBAL__N_18offset_tEEE10hipError_tPvRmT1_PNSt15iterator_traitsISK_E10value_typeET2_T3_PNSL_ISQ_E10value_typeET4_jRbjT5_SW_jjP12ihipStream_tbEUlT_E_NS1_11comp_targetILNS1_3genE5ELNS1_11target_archE942ELNS1_3gpuE9ELNS1_3repE0EEENS1_30default_config_static_selectorELNS0_4arch9wavefront6targetE1EEEvSK_,"axG",@progbits,_ZN7rocprim17ROCPRIM_400000_NS6detail17trampoline_kernelINS0_14default_configENS1_36segmented_radix_sort_config_selectorIhlEEZNS1_25segmented_radix_sort_implIS3_Lb0EPKhPhPKlPlN2at6native12_GLOBAL__N_18offset_tEEE10hipError_tPvRmT1_PNSt15iterator_traitsISK_E10value_typeET2_T3_PNSL_ISQ_E10value_typeET4_jRbjT5_SW_jjP12ihipStream_tbEUlT_E_NS1_11comp_targetILNS1_3genE5ELNS1_11target_archE942ELNS1_3gpuE9ELNS1_3repE0EEENS1_30default_config_static_selectorELNS0_4arch9wavefront6targetE1EEEvSK_,comdat
	.globl	_ZN7rocprim17ROCPRIM_400000_NS6detail17trampoline_kernelINS0_14default_configENS1_36segmented_radix_sort_config_selectorIhlEEZNS1_25segmented_radix_sort_implIS3_Lb0EPKhPhPKlPlN2at6native12_GLOBAL__N_18offset_tEEE10hipError_tPvRmT1_PNSt15iterator_traitsISK_E10value_typeET2_T3_PNSL_ISQ_E10value_typeET4_jRbjT5_SW_jjP12ihipStream_tbEUlT_E_NS1_11comp_targetILNS1_3genE5ELNS1_11target_archE942ELNS1_3gpuE9ELNS1_3repE0EEENS1_30default_config_static_selectorELNS0_4arch9wavefront6targetE1EEEvSK_ ; -- Begin function _ZN7rocprim17ROCPRIM_400000_NS6detail17trampoline_kernelINS0_14default_configENS1_36segmented_radix_sort_config_selectorIhlEEZNS1_25segmented_radix_sort_implIS3_Lb0EPKhPhPKlPlN2at6native12_GLOBAL__N_18offset_tEEE10hipError_tPvRmT1_PNSt15iterator_traitsISK_E10value_typeET2_T3_PNSL_ISQ_E10value_typeET4_jRbjT5_SW_jjP12ihipStream_tbEUlT_E_NS1_11comp_targetILNS1_3genE5ELNS1_11target_archE942ELNS1_3gpuE9ELNS1_3repE0EEENS1_30default_config_static_selectorELNS0_4arch9wavefront6targetE1EEEvSK_
	.p2align	8
	.type	_ZN7rocprim17ROCPRIM_400000_NS6detail17trampoline_kernelINS0_14default_configENS1_36segmented_radix_sort_config_selectorIhlEEZNS1_25segmented_radix_sort_implIS3_Lb0EPKhPhPKlPlN2at6native12_GLOBAL__N_18offset_tEEE10hipError_tPvRmT1_PNSt15iterator_traitsISK_E10value_typeET2_T3_PNSL_ISQ_E10value_typeET4_jRbjT5_SW_jjP12ihipStream_tbEUlT_E_NS1_11comp_targetILNS1_3genE5ELNS1_11target_archE942ELNS1_3gpuE9ELNS1_3repE0EEENS1_30default_config_static_selectorELNS0_4arch9wavefront6targetE1EEEvSK_,@function
_ZN7rocprim17ROCPRIM_400000_NS6detail17trampoline_kernelINS0_14default_configENS1_36segmented_radix_sort_config_selectorIhlEEZNS1_25segmented_radix_sort_implIS3_Lb0EPKhPhPKlPlN2at6native12_GLOBAL__N_18offset_tEEE10hipError_tPvRmT1_PNSt15iterator_traitsISK_E10value_typeET2_T3_PNSL_ISQ_E10value_typeET4_jRbjT5_SW_jjP12ihipStream_tbEUlT_E_NS1_11comp_targetILNS1_3genE5ELNS1_11target_archE942ELNS1_3gpuE9ELNS1_3repE0EEENS1_30default_config_static_selectorELNS0_4arch9wavefront6targetE1EEEvSK_: ; @_ZN7rocprim17ROCPRIM_400000_NS6detail17trampoline_kernelINS0_14default_configENS1_36segmented_radix_sort_config_selectorIhlEEZNS1_25segmented_radix_sort_implIS3_Lb0EPKhPhPKlPlN2at6native12_GLOBAL__N_18offset_tEEE10hipError_tPvRmT1_PNSt15iterator_traitsISK_E10value_typeET2_T3_PNSL_ISQ_E10value_typeET4_jRbjT5_SW_jjP12ihipStream_tbEUlT_E_NS1_11comp_targetILNS1_3genE5ELNS1_11target_archE942ELNS1_3gpuE9ELNS1_3repE0EEENS1_30default_config_static_selectorELNS0_4arch9wavefront6targetE1EEEvSK_
; %bb.0:
	.section	.rodata,"a",@progbits
	.p2align	6, 0x0
	.amdhsa_kernel _ZN7rocprim17ROCPRIM_400000_NS6detail17trampoline_kernelINS0_14default_configENS1_36segmented_radix_sort_config_selectorIhlEEZNS1_25segmented_radix_sort_implIS3_Lb0EPKhPhPKlPlN2at6native12_GLOBAL__N_18offset_tEEE10hipError_tPvRmT1_PNSt15iterator_traitsISK_E10value_typeET2_T3_PNSL_ISQ_E10value_typeET4_jRbjT5_SW_jjP12ihipStream_tbEUlT_E_NS1_11comp_targetILNS1_3genE5ELNS1_11target_archE942ELNS1_3gpuE9ELNS1_3repE0EEENS1_30default_config_static_selectorELNS0_4arch9wavefront6targetE1EEEvSK_
		.amdhsa_group_segment_fixed_size 0
		.amdhsa_private_segment_fixed_size 0
		.amdhsa_kernarg_size 96
		.amdhsa_user_sgpr_count 6
		.amdhsa_user_sgpr_private_segment_buffer 1
		.amdhsa_user_sgpr_dispatch_ptr 0
		.amdhsa_user_sgpr_queue_ptr 0
		.amdhsa_user_sgpr_kernarg_segment_ptr 1
		.amdhsa_user_sgpr_dispatch_id 0
		.amdhsa_user_sgpr_flat_scratch_init 0
		.amdhsa_user_sgpr_kernarg_preload_length 0
		.amdhsa_user_sgpr_kernarg_preload_offset 0
		.amdhsa_user_sgpr_private_segment_size 0
		.amdhsa_uses_dynamic_stack 0
		.amdhsa_system_sgpr_private_segment_wavefront_offset 0
		.amdhsa_system_sgpr_workgroup_id_x 1
		.amdhsa_system_sgpr_workgroup_id_y 0
		.amdhsa_system_sgpr_workgroup_id_z 0
		.amdhsa_system_sgpr_workgroup_info 0
		.amdhsa_system_vgpr_workitem_id 0
		.amdhsa_next_free_vgpr 1
		.amdhsa_next_free_sgpr 0
		.amdhsa_accum_offset 4
		.amdhsa_reserve_vcc 0
		.amdhsa_reserve_flat_scratch 0
		.amdhsa_float_round_mode_32 0
		.amdhsa_float_round_mode_16_64 0
		.amdhsa_float_denorm_mode_32 3
		.amdhsa_float_denorm_mode_16_64 3
		.amdhsa_dx10_clamp 1
		.amdhsa_ieee_mode 1
		.amdhsa_fp16_overflow 0
		.amdhsa_tg_split 0
		.amdhsa_exception_fp_ieee_invalid_op 0
		.amdhsa_exception_fp_denorm_src 0
		.amdhsa_exception_fp_ieee_div_zero 0
		.amdhsa_exception_fp_ieee_overflow 0
		.amdhsa_exception_fp_ieee_underflow 0
		.amdhsa_exception_fp_ieee_inexact 0
		.amdhsa_exception_int_div_zero 0
	.end_amdhsa_kernel
	.section	.text._ZN7rocprim17ROCPRIM_400000_NS6detail17trampoline_kernelINS0_14default_configENS1_36segmented_radix_sort_config_selectorIhlEEZNS1_25segmented_radix_sort_implIS3_Lb0EPKhPhPKlPlN2at6native12_GLOBAL__N_18offset_tEEE10hipError_tPvRmT1_PNSt15iterator_traitsISK_E10value_typeET2_T3_PNSL_ISQ_E10value_typeET4_jRbjT5_SW_jjP12ihipStream_tbEUlT_E_NS1_11comp_targetILNS1_3genE5ELNS1_11target_archE942ELNS1_3gpuE9ELNS1_3repE0EEENS1_30default_config_static_selectorELNS0_4arch9wavefront6targetE1EEEvSK_,"axG",@progbits,_ZN7rocprim17ROCPRIM_400000_NS6detail17trampoline_kernelINS0_14default_configENS1_36segmented_radix_sort_config_selectorIhlEEZNS1_25segmented_radix_sort_implIS3_Lb0EPKhPhPKlPlN2at6native12_GLOBAL__N_18offset_tEEE10hipError_tPvRmT1_PNSt15iterator_traitsISK_E10value_typeET2_T3_PNSL_ISQ_E10value_typeET4_jRbjT5_SW_jjP12ihipStream_tbEUlT_E_NS1_11comp_targetILNS1_3genE5ELNS1_11target_archE942ELNS1_3gpuE9ELNS1_3repE0EEENS1_30default_config_static_selectorELNS0_4arch9wavefront6targetE1EEEvSK_,comdat
.Lfunc_end187:
	.size	_ZN7rocprim17ROCPRIM_400000_NS6detail17trampoline_kernelINS0_14default_configENS1_36segmented_radix_sort_config_selectorIhlEEZNS1_25segmented_radix_sort_implIS3_Lb0EPKhPhPKlPlN2at6native12_GLOBAL__N_18offset_tEEE10hipError_tPvRmT1_PNSt15iterator_traitsISK_E10value_typeET2_T3_PNSL_ISQ_E10value_typeET4_jRbjT5_SW_jjP12ihipStream_tbEUlT_E_NS1_11comp_targetILNS1_3genE5ELNS1_11target_archE942ELNS1_3gpuE9ELNS1_3repE0EEENS1_30default_config_static_selectorELNS0_4arch9wavefront6targetE1EEEvSK_, .Lfunc_end187-_ZN7rocprim17ROCPRIM_400000_NS6detail17trampoline_kernelINS0_14default_configENS1_36segmented_radix_sort_config_selectorIhlEEZNS1_25segmented_radix_sort_implIS3_Lb0EPKhPhPKlPlN2at6native12_GLOBAL__N_18offset_tEEE10hipError_tPvRmT1_PNSt15iterator_traitsISK_E10value_typeET2_T3_PNSL_ISQ_E10value_typeET4_jRbjT5_SW_jjP12ihipStream_tbEUlT_E_NS1_11comp_targetILNS1_3genE5ELNS1_11target_archE942ELNS1_3gpuE9ELNS1_3repE0EEENS1_30default_config_static_selectorELNS0_4arch9wavefront6targetE1EEEvSK_
                                        ; -- End function
	.section	.AMDGPU.csdata,"",@progbits
; Kernel info:
; codeLenInByte = 0
; NumSgprs: 4
; NumVgprs: 0
; NumAgprs: 0
; TotalNumVgprs: 0
; ScratchSize: 0
; MemoryBound: 0
; FloatMode: 240
; IeeeMode: 1
; LDSByteSize: 0 bytes/workgroup (compile time only)
; SGPRBlocks: 0
; VGPRBlocks: 0
; NumSGPRsForWavesPerEU: 4
; NumVGPRsForWavesPerEU: 1
; AccumOffset: 4
; Occupancy: 8
; WaveLimiterHint : 0
; COMPUTE_PGM_RSRC2:SCRATCH_EN: 0
; COMPUTE_PGM_RSRC2:USER_SGPR: 6
; COMPUTE_PGM_RSRC2:TRAP_HANDLER: 0
; COMPUTE_PGM_RSRC2:TGID_X_EN: 1
; COMPUTE_PGM_RSRC2:TGID_Y_EN: 0
; COMPUTE_PGM_RSRC2:TGID_Z_EN: 0
; COMPUTE_PGM_RSRC2:TIDIG_COMP_CNT: 0
; COMPUTE_PGM_RSRC3_GFX90A:ACCUM_OFFSET: 0
; COMPUTE_PGM_RSRC3_GFX90A:TG_SPLIT: 0
	.text
	.p2align	2                               ; -- Begin function _ZN7rocprim17ROCPRIM_400000_NS6detail40segmented_radix_sort_single_block_helperIhlLj256ELj8ELb0EE4sortIPKhPhPKlPlEEbT_T0_T1_T2_jjjjRNS3_12storage_typeE
	.type	_ZN7rocprim17ROCPRIM_400000_NS6detail40segmented_radix_sort_single_block_helperIhlLj256ELj8ELb0EE4sortIPKhPhPKlPlEEbT_T0_T1_T2_jjjjRNS3_12storage_typeE,@function
_ZN7rocprim17ROCPRIM_400000_NS6detail40segmented_radix_sort_single_block_helperIhlLj256ELj8ELb0EE4sortIPKhPhPKlPlEEbT_T0_T1_T2_jjjjRNS3_12storage_typeE: ; @_ZN7rocprim17ROCPRIM_400000_NS6detail40segmented_radix_sort_single_block_helperIhlLj256ELj8ELb0EE4sortIPKhPhPKlPlEEbT_T0_T1_T2_jjjjRNS3_12storage_typeE
; %bb.0:
	s_waitcnt vmcnt(0) expcnt(0) lgkmcnt(0)
	s_or_saveexec_b64 s[4:5], -1
	buffer_store_dword v40, off, s[0:3], s32 ; 4-byte Folded Spill
	s_mov_b64 exec, s[4:5]
	v_writelane_b32 v40, s34, 0
	v_writelane_b32 v40, s35, 1
	;; [unrolled: 1-line block ×15, first 2 shown]
	v_sub_u32_e32 v103, v9, v8
	s_movk_i32 s4, 0x801
	v_cmp_gt_u32_e32 vcc, s4, v103
	s_and_saveexec_b64 s[38:39], vcc
	s_cbranch_execz .LBB188_199
; %bb.1:
	s_movk_i32 s4, 0x400
	v_cmp_lt_u32_e32 vcc, s4, v103
	v_bfe_u32 v16, v31, 10, 10
	v_bfe_u32 v18, v31, 20, 10
	v_mbcnt_lo_u32_b32 v14, -1, 0
	s_and_saveexec_b64 s[4:5], vcc
	s_xor_b64 s[40:41], exec, s[4:5]
	s_cbranch_execz .LBB188_79
; %bb.2:
	s_load_dwordx2 s[4:5], s[8:9], 0x0
	v_mov_b32_e32 v9, 0
	v_add_co_u32_e32 v0, vcc, v0, v8
	v_mbcnt_hi_u32_b32 v15, -1, v14
	s_waitcnt lgkmcnt(0)
	s_cmp_lt_u32 s12, s4
	s_cselect_b32 s6, 12, 18
	s_cmp_lt_u32 s13, s5
	s_cselect_b32 s4, 14, 20
	s_add_u32 s4, s8, s4
	s_addc_u32 s5, s9, 0
	s_add_u32 s6, s8, s6
	global_load_ushort v19, v9, s[4:5]
	s_addc_u32 s7, s9, 0
	global_load_ushort v20, v9, s[6:7]
	v_addc_co_u32_e32 v1, vcc, 0, v1, vcc
	v_and_b32_e32 v14, 63, v15
	v_and_b32_e32 v22, 0x3ff, v31
	v_mov_b32_e32 v23, 0xff
	v_add_co_u32_e32 v21, vcc, v0, v14
	v_addc_co_u32_e32 v24, vcc, 0, v1, vcc
	v_mov_b32_e32 v113, 0xff
	v_mov_b32_e32 v115, 0xff
	;; [unrolled: 1-line block ×7, first 2 shown]
	s_waitcnt vmcnt(1)
	v_mad_u32_u24 v0, v18, v19, v16
	s_waitcnt vmcnt(0)
	v_mad_u64_u32 v[0:1], s[4:5], v0, v20, v[22:23]
	v_lshlrev_b32_e32 v1, 3, v0
	v_and_b32_e32 v16, 0xfffffe00, v1
	v_add_co_u32_e32 v18, vcc, v21, v16
	v_addc_co_u32_e32 v19, vcc, 0, v24, vcc
	v_or_b32_e32 v20, v16, v14
	v_cmp_lt_u32_e32 vcc, v20, v103
	v_mov_b32_e32 v1, 0xff
	s_and_saveexec_b64 s[4:5], vcc
	s_cbranch_execz .LBB188_4
; %bb.3:
	flat_load_ubyte v113, v[18:19]
	v_mov_b32_e32 v115, 0xff
	v_mov_b32_e32 v163, 0xff
	;; [unrolled: 1-line block ×7, first 2 shown]
.LBB188_4:
	s_or_b64 exec, exec, s[4:5]
	v_or_b32_e32 v21, 64, v20
	v_cmp_lt_u32_e64 s[4:5], v21, v103
	s_and_saveexec_b64 s[6:7], s[4:5]
	s_cbranch_execz .LBB188_6
; %bb.5:
	flat_load_ubyte v115, v[18:19] offset:64
.LBB188_6:
	s_or_b64 exec, exec, s[6:7]
	v_or_b32_e32 v21, 0x80, v20
	v_cmp_lt_u32_e64 s[6:7], v21, v103
	s_and_saveexec_b64 s[10:11], s[6:7]
	s_cbranch_execz .LBB188_8
; %bb.7:
	flat_load_ubyte v163, v[18:19] offset:128
.LBB188_8:
	;; [unrolled: 8-line block ×7, first 2 shown]
	s_or_b64 exec, exec, s[22:23]
	v_lshlrev_b64 v[24:25], 3, v[8:9]
	v_add_co_u32_e64 v4, s[22:23], v4, v24
	v_addc_co_u32_e64 v5, s[22:23], v5, v25, s[22:23]
	v_lshlrev_b32_e32 v9, 3, v14
	v_add_co_u32_e64 v9, s[22:23], v4, v9
	v_addc_co_u32_e64 v18, s[22:23], 0, v5, s[22:23]
	v_lshlrev_b64 v[4:5], 3, v[16:17]
	v_add_co_u32_e64 v4, s[22:23], v9, v4
	v_addc_co_u32_e64 v5, s[22:23], v18, v5, s[22:23]
                                        ; implicit-def: $vgpr18_vgpr19
	s_and_saveexec_b64 s[22:23], vcc
	s_cbranch_execnz .LBB188_112
; %bb.19:
	s_or_b64 exec, exec, s[22:23]
                                        ; implicit-def: $vgpr20_vgpr21
	s_and_saveexec_b64 s[22:23], s[4:5]
	s_cbranch_execnz .LBB188_113
.LBB188_20:
	s_or_b64 exec, exec, s[22:23]
                                        ; implicit-def: $vgpr70_vgpr71
	s_and_saveexec_b64 s[4:5], s[6:7]
	s_cbranch_execnz .LBB188_114
.LBB188_21:
	s_or_b64 exec, exec, s[4:5]
                                        ; implicit-def: $vgpr80_vgpr81
	s_and_saveexec_b64 s[4:5], s[10:11]
	s_cbranch_execnz .LBB188_115
.LBB188_22:
	s_or_b64 exec, exec, s[4:5]
                                        ; implicit-def: $vgpr82_vgpr83
	s_and_saveexec_b64 s[4:5], s[20:21]
	s_cbranch_execnz .LBB188_116
.LBB188_23:
	s_or_b64 exec, exec, s[4:5]
                                        ; implicit-def: $vgpr116_vgpr117
	s_and_saveexec_b64 s[4:5], s[14:15]
	s_cbranch_execnz .LBB188_117
.LBB188_24:
	s_or_b64 exec, exec, s[4:5]
                                        ; implicit-def: $vgpr132_vgpr133
	s_and_saveexec_b64 s[4:5], s[16:17]
	s_cbranch_execnz .LBB188_118
.LBB188_25:
	s_or_b64 exec, exec, s[4:5]
                                        ; implicit-def: $vgpr150_vgpr151
	s_and_saveexec_b64 s[4:5], s[18:19]
	s_cbranch_execz .LBB188_27
.LBB188_26:
	flat_load_dwordx2 v[150:151], v[4:5] offset:3584
.LBB188_27:
	s_or_b64 exec, exec, s[4:5]
	v_add_co_u32_e32 v9, vcc, 16, v12
	v_and_b32_e32 v17, 0x3c0, v22
	v_addc_co_u32_e32 v166, vcc, 0, v13, vcc
	v_lshlrev_b32_e32 v16, 4, v22
	v_min_u32_e32 v17, 0xc0, v17
	v_add_co_u32_e32 v26, vcc, v12, v16
	v_or_b32_e32 v17, 63, v17
	s_getpc_b64 s[4:5]
	s_add_u32 s4, s4, _ZN7rocprim17ROCPRIM_400000_NS16block_radix_sortIhLj256ELj8ElLj1ELj1ELj8ELNS0_26block_radix_rank_algorithmE2ELNS0_18block_padding_hintE2ELNS0_4arch9wavefront6targetE1EE19radix_bits_per_passE@rel32@lo+4
	s_addc_u32 s5, s5, _ZN7rocprim17ROCPRIM_400000_NS16block_radix_sortIhLj256ELj8ElLj1ELj1ELj8ELNS0_26block_radix_rank_algorithmE2ELNS0_18block_padding_hintE2ELNS0_4arch9wavefront6targetE1EE19radix_bits_per_passE@rel32@hi+12
	v_addc_co_u32_e32 v27, vcc, 0, v13, vcc
	v_and_b32_e32 v16, 15, v15
	v_cmp_eq_u32_e64 s[16:17], v17, v22
	v_add_u32_e32 v17, -1, v15
	v_and_b32_e32 v28, 64, v15
	s_load_dword s46, s[4:5], 0x0
	v_cmp_eq_u32_e32 vcc, 0, v16
	v_cmp_lt_u32_e64 s[4:5], 1, v16
	v_cmp_lt_u32_e64 s[6:7], 3, v16
	;; [unrolled: 1-line block ×3, first 2 shown]
	v_and_b32_e32 v16, 16, v15
	v_cmp_lt_i32_e64 s[22:23], v17, v28
	v_cmp_eq_u32_e64 s[30:31], 0, v16
	v_lshrrev_b32_e32 v16, 6, v22
	v_cndmask_b32_e64 v17, v17, v15, s[22:23]
	v_mov_b32_e32 v4, 0
	v_lshlrev_b32_e32 v176, 2, v17
	v_lshlrev_b32_e32 v17, 2, v16
	v_add_co_u32_e64 v28, s[26:27], v12, v17
	v_add_u32_e32 v16, -1, v16
	v_mov_b32_e32 v17, v4
	v_lshlrev_b32_e32 v5, 2, v22
	v_addc_co_u32_e64 v29, s[26:27], 0, v13, s[26:27]
	v_lshlrev_b64 v[16:17], 2, v[16:17]
	v_add_co_u32_e64 v30, s[26:27], v12, v5
	v_add_co_u32_e64 v32, s[34:35], v12, v16
	v_addc_co_u32_e64 v31, s[26:27], 0, v13, s[26:27]
	v_and_b32_e32 v5, 3, v15
	v_addc_co_u32_e64 v33, s[34:35], v13, v17, s[34:35]
	v_cmp_eq_u32_e64 s[26:27], 0, v5
	v_cmp_lt_u32_e64 s[28:29], 1, v5
	v_lshlrev_b32_e32 v5, 3, v22
	s_movk_i32 s34, 0x1e00
	v_and_or_b32 v5, v5, s34, v14
	v_add_co_u32_e64 v34, s[34:35], v12, v5
	v_addc_co_u32_e64 v35, s[34:35], 0, v13, s[34:35]
	v_lshrrev_b32_e32 v167, 6, v0
	v_cmp_lt_u32_e64 s[14:15], 31, v15
	v_cmp_gt_u32_e64 s[18:19], 4, v22
	v_cmp_lt_u32_e64 s[20:21], 63, v22
	v_cmp_eq_u32_e64 s[22:23], 0, v15
	v_cmp_eq_u32_e64 s[24:25], 0, v22
	v_mad_u64_u32 v[52:53], s[34:35], v5, 7, v[34:35]
	v_sub_u32_e32 v177, v11, v10
	s_mov_b64 s[42:43], 0
	v_mov_b32_e32 v14, 0
	v_mov_b32_e32 v15, v4
	;; [unrolled: 1-line block ×4, first 2 shown]
	s_waitcnt lgkmcnt(0)
	s_barrier
	s_branch .LBB188_29
.LBB188_28:                             ;   in Loop: Header=BB188_29 Depth=1
	s_or_b64 exec, exec, s[36:37]
	s_and_b64 s[34:35], exec, s[44:45]
	s_or_b64 s[42:43], s[34:35], s[42:43]
	s_andn2_b64 exec, exec, s[42:43]
	s_cbranch_execz .LBB188_53
.LBB188_29:                             ; =>This Inner Loop Header: Depth=1
	v_min_u32_e32 v5, s46, v177
	v_lshlrev_b32_e64 v5, v5, -1
	s_waitcnt vmcnt(0)
	v_pk_mov_b32 v[66:67], v[20:21], v[20:21] op_sel:[0,1]
	v_not_b32_e32 v20, v5
	v_lshrrev_b32_sdwa v5, v10, v113 dst_sel:DWORD dst_unused:UNUSED_PAD src0_sel:DWORD src1_sel:BYTE_0
	v_pk_mov_b32 v[68:69], v[18:19], v[18:19] op_sel:[0,1]
	v_and_b32_e32 v18, v5, v20
	v_lshlrev_b32_e32 v5, 2, v18
	v_add_lshl_u32 v5, v5, v167, 2
	v_pk_mov_b32 v[64:65], v[70:71], v[70:71] op_sel:[0,1]
	v_add_co_u32_e64 v70, s[34:35], v9, v5
	v_addc_co_u32_e64 v71, s[34:35], 0, v166, s[34:35]
	v_and_b32_e32 v5, 1, v18
	v_add_co_u32_e64 v19, s[34:35], -1, v5
	v_addc_co_u32_e64 v21, s[34:35], 0, -1, s[34:35]
	v_cmp_ne_u32_e64 s[34:35], 0, v5
	v_xor_b32_e32 v5, s35, v21
	v_and_b32_e32 v21, exec_hi, v5
	v_lshlrev_b32_e32 v5, 30, v18
	v_xor_b32_e32 v19, s34, v19
	v_cmp_gt_i64_e64 s[34:35], 0, v[4:5]
	v_not_b32_e32 v5, v5
	v_ashrrev_i32_e32 v5, 31, v5
	v_pk_mov_b32 v[54:55], v[80:81], v[80:81] op_sel:[0,1]
	v_and_b32_e32 v19, exec_lo, v19
	v_xor_b32_e32 v80, s35, v5
	v_xor_b32_e32 v5, s34, v5
	v_and_b32_e32 v19, v19, v5
	v_lshlrev_b32_e32 v5, 29, v18
	v_cmp_gt_i64_e64 s[34:35], 0, v[4:5]
	v_not_b32_e32 v5, v5
	v_ashrrev_i32_e32 v5, 31, v5
	v_and_b32_e32 v21, v21, v80
	v_xor_b32_e32 v80, s35, v5
	v_xor_b32_e32 v5, s34, v5
	v_and_b32_e32 v19, v19, v5
	v_lshlrev_b32_e32 v5, 28, v18
	v_cmp_gt_i64_e64 s[34:35], 0, v[4:5]
	v_not_b32_e32 v5, v5
	v_ashrrev_i32_e32 v5, 31, v5
	v_and_b32_e32 v21, v21, v80
	;; [unrolled: 8-line block ×5, first 2 shown]
	v_xor_b32_e32 v80, s35, v5
	v_xor_b32_e32 v5, s34, v5
	v_and_b32_e32 v21, v21, v80
	v_and_b32_e32 v80, v19, v5
	v_lshlrev_b32_e32 v5, 24, v18
	v_cmp_gt_i64_e64 s[34:35], 0, v[4:5]
	v_not_b32_e32 v5, v5
	v_ashrrev_i32_e32 v5, 31, v5
	v_xor_b32_e32 v18, s35, v5
	v_xor_b32_e32 v5, s34, v5
	v_and_b32_e32 v19, v21, v18
	v_and_b32_e32 v18, v80, v5
	v_mbcnt_lo_u32_b32 v5, v18, 0
	v_mbcnt_hi_u32_b32 v102, v19, v5
	v_cmp_eq_u32_e64 s[34:35], 0, v102
	v_cmp_ne_u64_e64 s[36:37], 0, v[18:19]
	v_pk_mov_b32 v[50:51], v[82:83], v[82:83] op_sel:[0,1]
	v_pk_mov_b32 v[48:49], v[116:117], v[116:117] op_sel:[0,1]
	;; [unrolled: 1-line block ×4, first 2 shown]
	s_and_b64 s[36:37], s[36:37], s[34:35]
	flat_store_dwordx4 v[26:27], v[14:17] offset:16
	s_waitcnt lgkmcnt(0)
	s_barrier
	s_waitcnt lgkmcnt(0)
	; wave barrier
	s_and_saveexec_b64 s[34:35], s[36:37]
	s_cbranch_execz .LBB188_31
; %bb.30:                               ;   in Loop: Header=BB188_29 Depth=1
	v_bcnt_u32_b32 v5, v18, 0
	v_bcnt_u32_b32 v5, v19, v5
	flat_store_dword v[70:71], v5
.LBB188_31:                             ;   in Loop: Header=BB188_29 Depth=1
	s_or_b64 exec, exec, s[34:35]
	v_lshrrev_b32_sdwa v5, v10, v115 dst_sel:DWORD dst_unused:UNUSED_PAD src0_sel:DWORD src1_sel:BYTE_0
	v_and_b32_e32 v18, v5, v20
	v_lshlrev_b32_e32 v5, 2, v18
	v_add_lshl_u32 v5, v5, v167, 2
	v_add_co_u32_e64 v80, s[34:35], v9, v5
	v_addc_co_u32_e64 v81, s[34:35], 0, v166, s[34:35]
	; wave barrier
	flat_load_dword v112, v[80:81]
	v_and_b32_e32 v5, 1, v18
	v_add_co_u32_e64 v19, s[34:35], -1, v5
	v_addc_co_u32_e64 v21, s[34:35], 0, -1, s[34:35]
	v_cmp_ne_u32_e64 s[34:35], 0, v5
	v_xor_b32_e32 v5, s35, v21
	v_and_b32_e32 v21, exec_hi, v5
	v_lshlrev_b32_e32 v5, 30, v18
	v_xor_b32_e32 v19, s34, v19
	v_cmp_gt_i64_e64 s[34:35], 0, v[4:5]
	v_not_b32_e32 v5, v5
	v_ashrrev_i32_e32 v5, 31, v5
	v_and_b32_e32 v19, exec_lo, v19
	v_xor_b32_e32 v82, s35, v5
	v_xor_b32_e32 v5, s34, v5
	v_and_b32_e32 v19, v19, v5
	v_lshlrev_b32_e32 v5, 29, v18
	v_cmp_gt_i64_e64 s[34:35], 0, v[4:5]
	v_not_b32_e32 v5, v5
	v_ashrrev_i32_e32 v5, 31, v5
	v_and_b32_e32 v21, v21, v82
	v_xor_b32_e32 v82, s35, v5
	v_xor_b32_e32 v5, s34, v5
	v_and_b32_e32 v19, v19, v5
	v_lshlrev_b32_e32 v5, 28, v18
	v_cmp_gt_i64_e64 s[34:35], 0, v[4:5]
	v_not_b32_e32 v5, v5
	v_ashrrev_i32_e32 v5, 31, v5
	v_and_b32_e32 v21, v21, v82
	v_xor_b32_e32 v82, s35, v5
	v_xor_b32_e32 v5, s34, v5
	v_and_b32_e32 v19, v19, v5
	v_lshlrev_b32_e32 v5, 27, v18
	v_cmp_gt_i64_e64 s[34:35], 0, v[4:5]
	v_not_b32_e32 v5, v5
	v_ashrrev_i32_e32 v5, 31, v5
	v_and_b32_e32 v21, v21, v82
	v_xor_b32_e32 v82, s35, v5
	v_xor_b32_e32 v5, s34, v5
	v_and_b32_e32 v19, v19, v5
	v_lshlrev_b32_e32 v5, 26, v18
	v_cmp_gt_i64_e64 s[34:35], 0, v[4:5]
	v_not_b32_e32 v5, v5
	v_ashrrev_i32_e32 v5, 31, v5
	v_and_b32_e32 v21, v21, v82
	v_xor_b32_e32 v82, s35, v5
	v_xor_b32_e32 v5, s34, v5
	v_and_b32_e32 v19, v19, v5
	v_lshlrev_b32_e32 v5, 25, v18
	v_cmp_gt_i64_e64 s[34:35], 0, v[4:5]
	v_not_b32_e32 v5, v5
	v_ashrrev_i32_e32 v5, 31, v5
	v_and_b32_e32 v21, v21, v82
	v_xor_b32_e32 v82, s35, v5
	v_xor_b32_e32 v5, s34, v5
	v_and_b32_e32 v21, v21, v82
	v_and_b32_e32 v82, v19, v5
	v_lshlrev_b32_e32 v5, 24, v18
	v_cmp_gt_i64_e64 s[34:35], 0, v[4:5]
	v_not_b32_e32 v5, v5
	v_ashrrev_i32_e32 v5, 31, v5
	v_xor_b32_e32 v18, s35, v5
	v_xor_b32_e32 v5, s34, v5
	v_and_b32_e32 v19, v21, v18
	v_and_b32_e32 v18, v82, v5
	v_mbcnt_lo_u32_b32 v5, v18, 0
	v_mbcnt_hi_u32_b32 v116, v19, v5
	v_cmp_eq_u32_e64 s[34:35], 0, v116
	v_cmp_ne_u64_e64 s[36:37], 0, v[18:19]
	s_and_b64 s[36:37], s[36:37], s[34:35]
	; wave barrier
	s_and_saveexec_b64 s[34:35], s[36:37]
	s_cbranch_execz .LBB188_33
; %bb.32:                               ;   in Loop: Header=BB188_29 Depth=1
	v_bcnt_u32_b32 v5, v18, 0
	v_bcnt_u32_b32 v5, v19, v5
	s_waitcnt vmcnt(0) lgkmcnt(0)
	v_add_u32_e32 v5, v112, v5
	flat_store_dword v[80:81], v5
.LBB188_33:                             ;   in Loop: Header=BB188_29 Depth=1
	s_or_b64 exec, exec, s[34:35]
	v_lshrrev_b32_sdwa v5, v10, v163 dst_sel:DWORD dst_unused:UNUSED_PAD src0_sel:DWORD src1_sel:BYTE_0
	v_and_b32_e32 v18, v5, v20
	v_lshlrev_b32_e32 v5, 2, v18
	v_add_lshl_u32 v5, v5, v167, 2
	v_add_co_u32_e64 v82, s[34:35], v9, v5
	v_addc_co_u32_e64 v83, s[34:35], 0, v166, s[34:35]
	; wave barrier
	flat_load_dword v117, v[82:83]
	v_and_b32_e32 v5, 1, v18
	v_add_co_u32_e64 v19, s[34:35], -1, v5
	v_addc_co_u32_e64 v21, s[34:35], 0, -1, s[34:35]
	v_cmp_ne_u32_e64 s[34:35], 0, v5
	v_xor_b32_e32 v5, s35, v21
	v_and_b32_e32 v21, exec_hi, v5
	v_lshlrev_b32_e32 v5, 30, v18
	v_xor_b32_e32 v19, s34, v19
	v_cmp_gt_i64_e64 s[34:35], 0, v[4:5]
	v_not_b32_e32 v5, v5
	v_ashrrev_i32_e32 v5, 31, v5
	v_and_b32_e32 v19, exec_lo, v19
	v_xor_b32_e32 v84, s35, v5
	v_xor_b32_e32 v5, s34, v5
	v_and_b32_e32 v19, v19, v5
	v_lshlrev_b32_e32 v5, 29, v18
	v_cmp_gt_i64_e64 s[34:35], 0, v[4:5]
	v_not_b32_e32 v5, v5
	v_ashrrev_i32_e32 v5, 31, v5
	v_and_b32_e32 v21, v21, v84
	v_xor_b32_e32 v84, s35, v5
	v_xor_b32_e32 v5, s34, v5
	v_and_b32_e32 v19, v19, v5
	v_lshlrev_b32_e32 v5, 28, v18
	v_cmp_gt_i64_e64 s[34:35], 0, v[4:5]
	v_not_b32_e32 v5, v5
	v_ashrrev_i32_e32 v5, 31, v5
	v_and_b32_e32 v21, v21, v84
	;; [unrolled: 8-line block ×5, first 2 shown]
	v_xor_b32_e32 v84, s35, v5
	v_xor_b32_e32 v5, s34, v5
	v_and_b32_e32 v21, v21, v84
	v_and_b32_e32 v84, v19, v5
	v_lshlrev_b32_e32 v5, 24, v18
	v_cmp_gt_i64_e64 s[34:35], 0, v[4:5]
	v_not_b32_e32 v5, v5
	v_ashrrev_i32_e32 v5, 31, v5
	v_xor_b32_e32 v18, s35, v5
	v_xor_b32_e32 v5, s34, v5
	v_and_b32_e32 v19, v21, v18
	v_and_b32_e32 v18, v84, v5
	v_mbcnt_lo_u32_b32 v5, v18, 0
	v_mbcnt_hi_u32_b32 v118, v19, v5
	v_cmp_eq_u32_e64 s[34:35], 0, v118
	v_cmp_ne_u64_e64 s[36:37], 0, v[18:19]
	s_and_b64 s[36:37], s[36:37], s[34:35]
	; wave barrier
	s_and_saveexec_b64 s[34:35], s[36:37]
	s_cbranch_execz .LBB188_35
; %bb.34:                               ;   in Loop: Header=BB188_29 Depth=1
	v_bcnt_u32_b32 v5, v18, 0
	v_bcnt_u32_b32 v5, v19, v5
	s_waitcnt vmcnt(0) lgkmcnt(0)
	v_add_u32_e32 v5, v117, v5
	flat_store_dword v[82:83], v5
.LBB188_35:                             ;   in Loop: Header=BB188_29 Depth=1
	s_or_b64 exec, exec, s[34:35]
	v_lshrrev_b32_sdwa v5, v10, v164 dst_sel:DWORD dst_unused:UNUSED_PAD src0_sel:DWORD src1_sel:BYTE_0
	v_and_b32_e32 v18, v5, v20
	v_lshlrev_b32_e32 v5, 2, v18
	v_add_lshl_u32 v5, v5, v167, 2
	v_add_co_u32_e64 v84, s[34:35], v9, v5
	v_addc_co_u32_e64 v85, s[34:35], 0, v166, s[34:35]
	; wave barrier
	flat_load_dword v119, v[84:85]
	v_and_b32_e32 v5, 1, v18
	v_add_co_u32_e64 v19, s[34:35], -1, v5
	v_addc_co_u32_e64 v21, s[34:35], 0, -1, s[34:35]
	v_cmp_ne_u32_e64 s[34:35], 0, v5
	v_xor_b32_e32 v5, s35, v21
	v_and_b32_e32 v21, exec_hi, v5
	v_lshlrev_b32_e32 v5, 30, v18
	v_xor_b32_e32 v19, s34, v19
	v_cmp_gt_i64_e64 s[34:35], 0, v[4:5]
	v_not_b32_e32 v5, v5
	v_ashrrev_i32_e32 v5, 31, v5
	v_and_b32_e32 v19, exec_lo, v19
	v_xor_b32_e32 v86, s35, v5
	v_xor_b32_e32 v5, s34, v5
	v_and_b32_e32 v19, v19, v5
	v_lshlrev_b32_e32 v5, 29, v18
	v_cmp_gt_i64_e64 s[34:35], 0, v[4:5]
	v_not_b32_e32 v5, v5
	v_ashrrev_i32_e32 v5, 31, v5
	v_and_b32_e32 v21, v21, v86
	v_xor_b32_e32 v86, s35, v5
	v_xor_b32_e32 v5, s34, v5
	v_and_b32_e32 v19, v19, v5
	v_lshlrev_b32_e32 v5, 28, v18
	v_cmp_gt_i64_e64 s[34:35], 0, v[4:5]
	v_not_b32_e32 v5, v5
	v_ashrrev_i32_e32 v5, 31, v5
	v_and_b32_e32 v21, v21, v86
	;; [unrolled: 8-line block ×5, first 2 shown]
	v_xor_b32_e32 v86, s35, v5
	v_xor_b32_e32 v5, s34, v5
	v_and_b32_e32 v21, v21, v86
	v_and_b32_e32 v86, v19, v5
	v_lshlrev_b32_e32 v5, 24, v18
	v_cmp_gt_i64_e64 s[34:35], 0, v[4:5]
	v_not_b32_e32 v5, v5
	v_ashrrev_i32_e32 v5, 31, v5
	v_xor_b32_e32 v18, s35, v5
	v_xor_b32_e32 v5, s34, v5
	v_and_b32_e32 v19, v21, v18
	v_and_b32_e32 v18, v86, v5
	v_mbcnt_lo_u32_b32 v5, v18, 0
	v_mbcnt_hi_u32_b32 v128, v19, v5
	v_cmp_eq_u32_e64 s[34:35], 0, v128
	v_cmp_ne_u64_e64 s[36:37], 0, v[18:19]
	s_and_b64 s[36:37], s[36:37], s[34:35]
	; wave barrier
	s_and_saveexec_b64 s[34:35], s[36:37]
	s_cbranch_execz .LBB188_37
; %bb.36:                               ;   in Loop: Header=BB188_29 Depth=1
	v_bcnt_u32_b32 v5, v18, 0
	v_bcnt_u32_b32 v5, v19, v5
	s_waitcnt vmcnt(0) lgkmcnt(0)
	v_add_u32_e32 v5, v119, v5
	flat_store_dword v[84:85], v5
.LBB188_37:                             ;   in Loop: Header=BB188_29 Depth=1
	s_or_b64 exec, exec, s[34:35]
	v_lshrrev_b32_sdwa v5, v10, v165 dst_sel:DWORD dst_unused:UNUSED_PAD src0_sel:DWORD src1_sel:BYTE_0
	v_and_b32_e32 v18, v5, v20
	v_lshlrev_b32_e32 v5, 2, v18
	v_add_lshl_u32 v5, v5, v167, 2
	v_add_co_u32_e64 v86, s[34:35], v9, v5
	v_addc_co_u32_e64 v87, s[34:35], 0, v166, s[34:35]
	; wave barrier
	flat_load_dword v129, v[86:87]
	v_and_b32_e32 v5, 1, v18
	v_add_co_u32_e64 v19, s[34:35], -1, v5
	v_addc_co_u32_e64 v21, s[34:35], 0, -1, s[34:35]
	v_cmp_ne_u32_e64 s[34:35], 0, v5
	v_xor_b32_e32 v5, s35, v21
	v_and_b32_e32 v21, exec_hi, v5
	v_lshlrev_b32_e32 v5, 30, v18
	v_xor_b32_e32 v19, s34, v19
	v_cmp_gt_i64_e64 s[34:35], 0, v[4:5]
	v_not_b32_e32 v5, v5
	v_ashrrev_i32_e32 v5, 31, v5
	v_and_b32_e32 v19, exec_lo, v19
	v_xor_b32_e32 v96, s35, v5
	v_xor_b32_e32 v5, s34, v5
	v_and_b32_e32 v19, v19, v5
	v_lshlrev_b32_e32 v5, 29, v18
	v_cmp_gt_i64_e64 s[34:35], 0, v[4:5]
	v_not_b32_e32 v5, v5
	v_ashrrev_i32_e32 v5, 31, v5
	v_and_b32_e32 v21, v21, v96
	v_xor_b32_e32 v96, s35, v5
	v_xor_b32_e32 v5, s34, v5
	v_and_b32_e32 v19, v19, v5
	v_lshlrev_b32_e32 v5, 28, v18
	v_cmp_gt_i64_e64 s[34:35], 0, v[4:5]
	v_not_b32_e32 v5, v5
	v_ashrrev_i32_e32 v5, 31, v5
	v_and_b32_e32 v21, v21, v96
	v_xor_b32_e32 v96, s35, v5
	v_xor_b32_e32 v5, s34, v5
	v_and_b32_e32 v19, v19, v5
	v_lshlrev_b32_e32 v5, 27, v18
	v_cmp_gt_i64_e64 s[34:35], 0, v[4:5]
	v_not_b32_e32 v5, v5
	v_ashrrev_i32_e32 v5, 31, v5
	v_and_b32_e32 v21, v21, v96
	v_xor_b32_e32 v96, s35, v5
	v_xor_b32_e32 v5, s34, v5
	v_and_b32_e32 v19, v19, v5
	v_lshlrev_b32_e32 v5, 26, v18
	v_cmp_gt_i64_e64 s[34:35], 0, v[4:5]
	v_not_b32_e32 v5, v5
	v_ashrrev_i32_e32 v5, 31, v5
	v_and_b32_e32 v21, v21, v96
	v_xor_b32_e32 v96, s35, v5
	v_xor_b32_e32 v5, s34, v5
	v_and_b32_e32 v19, v19, v5
	v_lshlrev_b32_e32 v5, 25, v18
	v_cmp_gt_i64_e64 s[34:35], 0, v[4:5]
	v_not_b32_e32 v5, v5
	v_ashrrev_i32_e32 v5, 31, v5
	v_and_b32_e32 v21, v21, v96
	v_xor_b32_e32 v96, s35, v5
	v_xor_b32_e32 v5, s34, v5
	v_and_b32_e32 v21, v21, v96
	v_and_b32_e32 v96, v19, v5
	v_lshlrev_b32_e32 v5, 24, v18
	v_cmp_gt_i64_e64 s[34:35], 0, v[4:5]
	v_not_b32_e32 v5, v5
	v_ashrrev_i32_e32 v5, 31, v5
	v_xor_b32_e32 v18, s35, v5
	v_xor_b32_e32 v5, s34, v5
	v_and_b32_e32 v19, v21, v18
	v_and_b32_e32 v18, v96, v5
	v_mbcnt_lo_u32_b32 v5, v18, 0
	v_mbcnt_hi_u32_b32 v130, v19, v5
	v_cmp_eq_u32_e64 s[34:35], 0, v130
	v_cmp_ne_u64_e64 s[36:37], 0, v[18:19]
	s_and_b64 s[36:37], s[36:37], s[34:35]
	; wave barrier
	s_and_saveexec_b64 s[34:35], s[36:37]
	s_cbranch_execz .LBB188_39
; %bb.38:                               ;   in Loop: Header=BB188_29 Depth=1
	v_bcnt_u32_b32 v5, v18, 0
	v_bcnt_u32_b32 v5, v19, v5
	s_waitcnt vmcnt(0) lgkmcnt(0)
	v_add_u32_e32 v5, v129, v5
	flat_store_dword v[86:87], v5
.LBB188_39:                             ;   in Loop: Header=BB188_29 Depth=1
	s_or_b64 exec, exec, s[34:35]
	v_lshrrev_b32_sdwa v5, v10, v162 dst_sel:DWORD dst_unused:UNUSED_PAD src0_sel:DWORD src1_sel:BYTE_0
	v_and_b32_e32 v18, v5, v20
	v_lshlrev_b32_e32 v5, 2, v18
	v_add_lshl_u32 v5, v5, v167, 2
	v_add_co_u32_e64 v96, s[34:35], v9, v5
	v_addc_co_u32_e64 v97, s[34:35], 0, v166, s[34:35]
	; wave barrier
	flat_load_dword v131, v[96:97]
	v_and_b32_e32 v5, 1, v18
	v_add_co_u32_e64 v19, s[34:35], -1, v5
	v_addc_co_u32_e64 v21, s[34:35], 0, -1, s[34:35]
	v_cmp_ne_u32_e64 s[34:35], 0, v5
	v_xor_b32_e32 v5, s35, v21
	v_and_b32_e32 v21, exec_hi, v5
	v_lshlrev_b32_e32 v5, 30, v18
	v_xor_b32_e32 v19, s34, v19
	v_cmp_gt_i64_e64 s[34:35], 0, v[4:5]
	v_not_b32_e32 v5, v5
	v_ashrrev_i32_e32 v5, 31, v5
	v_and_b32_e32 v19, exec_lo, v19
	v_xor_b32_e32 v98, s35, v5
	v_xor_b32_e32 v5, s34, v5
	v_and_b32_e32 v19, v19, v5
	v_lshlrev_b32_e32 v5, 29, v18
	v_cmp_gt_i64_e64 s[34:35], 0, v[4:5]
	v_not_b32_e32 v5, v5
	v_ashrrev_i32_e32 v5, 31, v5
	v_and_b32_e32 v21, v21, v98
	v_xor_b32_e32 v98, s35, v5
	v_xor_b32_e32 v5, s34, v5
	v_and_b32_e32 v19, v19, v5
	v_lshlrev_b32_e32 v5, 28, v18
	v_cmp_gt_i64_e64 s[34:35], 0, v[4:5]
	v_not_b32_e32 v5, v5
	v_ashrrev_i32_e32 v5, 31, v5
	v_and_b32_e32 v21, v21, v98
	;; [unrolled: 8-line block ×5, first 2 shown]
	v_xor_b32_e32 v98, s35, v5
	v_xor_b32_e32 v5, s34, v5
	v_and_b32_e32 v21, v21, v98
	v_and_b32_e32 v98, v19, v5
	v_lshlrev_b32_e32 v5, 24, v18
	v_cmp_gt_i64_e64 s[34:35], 0, v[4:5]
	v_not_b32_e32 v5, v5
	v_ashrrev_i32_e32 v5, 31, v5
	v_xor_b32_e32 v18, s35, v5
	v_xor_b32_e32 v5, s34, v5
	v_and_b32_e32 v19, v21, v18
	v_and_b32_e32 v18, v98, v5
	v_mbcnt_lo_u32_b32 v5, v18, 0
	v_mbcnt_hi_u32_b32 v132, v19, v5
	v_cmp_eq_u32_e64 s[34:35], 0, v132
	v_cmp_ne_u64_e64 s[36:37], 0, v[18:19]
	s_and_b64 s[36:37], s[36:37], s[34:35]
	; wave barrier
	s_and_saveexec_b64 s[34:35], s[36:37]
	s_cbranch_execz .LBB188_41
; %bb.40:                               ;   in Loop: Header=BB188_29 Depth=1
	v_bcnt_u32_b32 v5, v18, 0
	v_bcnt_u32_b32 v5, v19, v5
	s_waitcnt vmcnt(0) lgkmcnt(0)
	v_add_u32_e32 v5, v131, v5
	flat_store_dword v[96:97], v5
.LBB188_41:                             ;   in Loop: Header=BB188_29 Depth=1
	s_or_b64 exec, exec, s[34:35]
	v_lshrrev_b32_sdwa v5, v10, v1 dst_sel:DWORD dst_unused:UNUSED_PAD src0_sel:DWORD src1_sel:BYTE_0
	v_and_b32_e32 v18, v5, v20
	v_lshlrev_b32_e32 v5, 2, v18
	v_add_lshl_u32 v5, v5, v167, 2
	v_add_co_u32_e64 v98, s[34:35], v9, v5
	v_addc_co_u32_e64 v99, s[34:35], 0, v166, s[34:35]
	; wave barrier
	flat_load_dword v133, v[98:99]
	v_and_b32_e32 v5, 1, v18
	v_add_co_u32_e64 v19, s[34:35], -1, v5
	v_addc_co_u32_e64 v21, s[34:35], 0, -1, s[34:35]
	v_cmp_ne_u32_e64 s[34:35], 0, v5
	v_xor_b32_e32 v5, s35, v21
	v_and_b32_e32 v21, exec_hi, v5
	v_lshlrev_b32_e32 v5, 30, v18
	v_xor_b32_e32 v19, s34, v19
	v_cmp_gt_i64_e64 s[34:35], 0, v[4:5]
	v_not_b32_e32 v5, v5
	v_ashrrev_i32_e32 v5, 31, v5
	v_and_b32_e32 v19, exec_lo, v19
	v_xor_b32_e32 v100, s35, v5
	v_xor_b32_e32 v5, s34, v5
	v_and_b32_e32 v19, v19, v5
	v_lshlrev_b32_e32 v5, 29, v18
	v_cmp_gt_i64_e64 s[34:35], 0, v[4:5]
	v_not_b32_e32 v5, v5
	v_ashrrev_i32_e32 v5, 31, v5
	v_and_b32_e32 v21, v21, v100
	v_xor_b32_e32 v100, s35, v5
	v_xor_b32_e32 v5, s34, v5
	v_and_b32_e32 v19, v19, v5
	v_lshlrev_b32_e32 v5, 28, v18
	v_cmp_gt_i64_e64 s[34:35], 0, v[4:5]
	v_not_b32_e32 v5, v5
	v_ashrrev_i32_e32 v5, 31, v5
	v_and_b32_e32 v21, v21, v100
	;; [unrolled: 8-line block ×5, first 2 shown]
	v_xor_b32_e32 v100, s35, v5
	v_xor_b32_e32 v5, s34, v5
	v_and_b32_e32 v21, v21, v100
	v_and_b32_e32 v100, v19, v5
	v_lshlrev_b32_e32 v5, 24, v18
	v_cmp_gt_i64_e64 s[34:35], 0, v[4:5]
	v_not_b32_e32 v5, v5
	v_ashrrev_i32_e32 v5, 31, v5
	v_xor_b32_e32 v18, s35, v5
	v_xor_b32_e32 v5, s34, v5
	v_and_b32_e32 v19, v21, v18
	v_and_b32_e32 v18, v100, v5
	v_mbcnt_lo_u32_b32 v5, v18, 0
	v_mbcnt_hi_u32_b32 v134, v19, v5
	v_cmp_eq_u32_e64 s[34:35], 0, v134
	v_cmp_ne_u64_e64 s[36:37], 0, v[18:19]
	s_and_b64 s[36:37], s[36:37], s[34:35]
	; wave barrier
	s_and_saveexec_b64 s[34:35], s[36:37]
	s_cbranch_execz .LBB188_43
; %bb.42:                               ;   in Loop: Header=BB188_29 Depth=1
	v_bcnt_u32_b32 v5, v18, 0
	v_bcnt_u32_b32 v5, v19, v5
	s_waitcnt vmcnt(0) lgkmcnt(0)
	v_add_u32_e32 v5, v133, v5
	flat_store_dword v[98:99], v5
.LBB188_43:                             ;   in Loop: Header=BB188_29 Depth=1
	s_or_b64 exec, exec, s[34:35]
	v_lshrrev_b32_sdwa v5, v10, v23 dst_sel:DWORD dst_unused:UNUSED_PAD src0_sel:DWORD src1_sel:BYTE_0
	v_and_b32_e32 v18, v5, v20
	v_lshlrev_b32_e32 v5, 2, v18
	v_add_lshl_u32 v5, v5, v167, 2
	v_add_co_u32_e64 v100, s[34:35], v9, v5
	v_addc_co_u32_e64 v101, s[34:35], 0, v166, s[34:35]
	; wave barrier
	flat_load_dword v135, v[100:101]
	v_and_b32_e32 v5, 1, v18
	v_add_co_u32_e64 v19, s[34:35], -1, v5
	v_addc_co_u32_e64 v20, s[34:35], 0, -1, s[34:35]
	v_cmp_ne_u32_e64 s[34:35], 0, v5
	v_xor_b32_e32 v5, s35, v20
	v_and_b32_e32 v20, exec_hi, v5
	v_lshlrev_b32_e32 v5, 30, v18
	v_xor_b32_e32 v19, s34, v19
	v_cmp_gt_i64_e64 s[34:35], 0, v[4:5]
	v_not_b32_e32 v5, v5
	v_ashrrev_i32_e32 v5, 31, v5
	v_and_b32_e32 v19, exec_lo, v19
	v_xor_b32_e32 v21, s35, v5
	v_xor_b32_e32 v5, s34, v5
	v_and_b32_e32 v19, v19, v5
	v_lshlrev_b32_e32 v5, 29, v18
	v_cmp_gt_i64_e64 s[34:35], 0, v[4:5]
	v_not_b32_e32 v5, v5
	v_ashrrev_i32_e32 v5, 31, v5
	v_and_b32_e32 v20, v20, v21
	v_xor_b32_e32 v21, s35, v5
	v_xor_b32_e32 v5, s34, v5
	v_and_b32_e32 v19, v19, v5
	v_lshlrev_b32_e32 v5, 28, v18
	v_cmp_gt_i64_e64 s[34:35], 0, v[4:5]
	v_not_b32_e32 v5, v5
	v_ashrrev_i32_e32 v5, 31, v5
	v_and_b32_e32 v20, v20, v21
	v_xor_b32_e32 v21, s35, v5
	v_xor_b32_e32 v5, s34, v5
	v_and_b32_e32 v19, v19, v5
	v_lshlrev_b32_e32 v5, 27, v18
	v_cmp_gt_i64_e64 s[34:35], 0, v[4:5]
	v_not_b32_e32 v5, v5
	v_ashrrev_i32_e32 v5, 31, v5
	v_and_b32_e32 v20, v20, v21
	v_xor_b32_e32 v21, s35, v5
	v_xor_b32_e32 v5, s34, v5
	v_and_b32_e32 v19, v19, v5
	v_lshlrev_b32_e32 v5, 26, v18
	v_cmp_gt_i64_e64 s[34:35], 0, v[4:5]
	v_not_b32_e32 v5, v5
	v_ashrrev_i32_e32 v5, 31, v5
	v_and_b32_e32 v20, v20, v21
	v_xor_b32_e32 v21, s35, v5
	v_xor_b32_e32 v5, s34, v5
	v_and_b32_e32 v19, v19, v5
	v_lshlrev_b32_e32 v5, 25, v18
	v_cmp_gt_i64_e64 s[34:35], 0, v[4:5]
	v_not_b32_e32 v5, v5
	v_ashrrev_i32_e32 v5, 31, v5
	v_and_b32_e32 v20, v20, v21
	v_xor_b32_e32 v21, s35, v5
	v_xor_b32_e32 v5, s34, v5
	v_and_b32_e32 v20, v20, v21
	v_and_b32_e32 v21, v19, v5
	v_lshlrev_b32_e32 v5, 24, v18
	v_cmp_gt_i64_e64 s[34:35], 0, v[4:5]
	v_not_b32_e32 v5, v5
	v_ashrrev_i32_e32 v5, 31, v5
	v_xor_b32_e32 v18, s35, v5
	v_xor_b32_e32 v5, s34, v5
	v_and_b32_e32 v19, v20, v18
	v_and_b32_e32 v18, v21, v5
	v_mbcnt_lo_u32_b32 v5, v18, 0
	v_mbcnt_hi_u32_b32 v144, v19, v5
	v_cmp_eq_u32_e64 s[34:35], 0, v144
	v_cmp_ne_u64_e64 s[36:37], 0, v[18:19]
	s_and_b64 s[36:37], s[36:37], s[34:35]
	; wave barrier
	s_and_saveexec_b64 s[34:35], s[36:37]
	s_cbranch_execz .LBB188_45
; %bb.44:                               ;   in Loop: Header=BB188_29 Depth=1
	v_bcnt_u32_b32 v5, v18, 0
	v_bcnt_u32_b32 v5, v19, v5
	s_waitcnt vmcnt(0) lgkmcnt(0)
	v_add_u32_e32 v5, v135, v5
	flat_store_dword v[100:101], v5
.LBB188_45:                             ;   in Loop: Header=BB188_29 Depth=1
	s_or_b64 exec, exec, s[34:35]
	; wave barrier
	s_waitcnt lgkmcnt(0)
	s_barrier
	flat_load_dwordx4 v[18:21], v[26:27] offset:16
	s_waitcnt vmcnt(0) lgkmcnt(0)
	v_add_u32_e32 v5, v19, v18
	v_add3_u32 v5, v5, v20, v21
	s_nop 1
	v_mov_b32_dpp v21, v5 row_shr:1 row_mask:0xf bank_mask:0xf
	v_cndmask_b32_e64 v21, v21, 0, vcc
	v_add_u32_e32 v5, v21, v5
	s_nop 1
	v_mov_b32_dpp v21, v5 row_shr:2 row_mask:0xf bank_mask:0xf
	v_cndmask_b32_e64 v21, 0, v21, s[4:5]
	v_add_u32_e32 v5, v5, v21
	s_nop 1
	v_mov_b32_dpp v21, v5 row_shr:4 row_mask:0xf bank_mask:0xf
	v_cndmask_b32_e64 v21, 0, v21, s[6:7]
	;; [unrolled: 4-line block ×3, first 2 shown]
	v_add_u32_e32 v5, v5, v21
	s_nop 1
	v_mov_b32_dpp v21, v5 row_bcast:15 row_mask:0xf bank_mask:0xf
	v_cndmask_b32_e64 v21, v21, 0, s[30:31]
	v_add_u32_e32 v5, v5, v21
	s_nop 1
	v_mov_b32_dpp v21, v5 row_bcast:31 row_mask:0xf bank_mask:0xf
	v_cndmask_b32_e64 v21, 0, v21, s[14:15]
	v_add_u32_e32 v5, v5, v21
	s_and_saveexec_b64 s[34:35], s[16:17]
	s_cbranch_execz .LBB188_47
; %bb.46:                               ;   in Loop: Header=BB188_29 Depth=1
	flat_store_dword v[28:29], v5
.LBB188_47:                             ;   in Loop: Header=BB188_29 Depth=1
	s_or_b64 exec, exec, s[34:35]
	s_waitcnt lgkmcnt(0)
	s_barrier
	s_and_saveexec_b64 s[34:35], s[18:19]
	s_cbranch_execz .LBB188_49
; %bb.48:                               ;   in Loop: Header=BB188_29 Depth=1
	flat_load_dword v21, v[30:31]
	s_waitcnt vmcnt(0) lgkmcnt(0)
	s_nop 0
	v_mov_b32_dpp v114, v21 row_shr:1 row_mask:0xf bank_mask:0xf
	v_cndmask_b32_e64 v114, v114, 0, s[26:27]
	v_add_u32_e32 v21, v114, v21
	s_nop 1
	v_mov_b32_dpp v114, v21 row_shr:2 row_mask:0xf bank_mask:0xf
	v_cndmask_b32_e64 v114, 0, v114, s[28:29]
	v_add_u32_e32 v21, v21, v114
	flat_store_dword v[30:31], v21
.LBB188_49:                             ;   in Loop: Header=BB188_29 Depth=1
	s_or_b64 exec, exec, s[34:35]
	v_mov_b32_e32 v21, 0
	s_waitcnt lgkmcnt(0)
	s_barrier
	s_and_saveexec_b64 s[34:35], s[20:21]
	s_cbranch_execz .LBB188_51
; %bb.50:                               ;   in Loop: Header=BB188_29 Depth=1
	flat_load_dword v21, v[32:33]
.LBB188_51:                             ;   in Loop: Header=BB188_29 Depth=1
	s_or_b64 exec, exec, s[34:35]
	s_waitcnt vmcnt(0) lgkmcnt(0)
	v_add_u32_e32 v5, v21, v5
	ds_bpermute_b32 v5, v176, v5
	v_add_u32_e32 v10, 8, v10
	v_mov_b32_e32 v178, v1
	v_mov_b32_e32 v179, v23
	v_cmp_lt_u32_e64 s[34:35], v10, v11
	s_waitcnt lgkmcnt(0)
	v_cndmask_b32_e64 v5, v5, v21, s[22:23]
	v_cndmask_b32_e64 v146, v5, 0, s[24:25]
	v_add_u32_e32 v147, v146, v18
	v_add_u32_e32 v148, v147, v19
	;; [unrolled: 1-line block ×3, first 2 shown]
	flat_store_dwordx4 v[26:27], v[146:149] offset:16
	s_waitcnt lgkmcnt(0)
	s_barrier
	flat_load_dword v18, v[70:71]
	flat_load_dword v19, v[80:81]
	;; [unrolled: 1-line block ×8, first 2 shown]
	v_mov_b32_e32 v5, v113
	v_mov_b32_e32 v85, v115
	v_mov_b32_e32 v87, v163
	v_mov_b32_e32 v97, v164
	v_mov_b32_e32 v99, v165
	v_mov_b32_e32 v101, v162
	s_mov_b64 s[44:45], -1
	s_waitcnt lgkmcnt(0)
                                        ; implicit-def: $vgpr70_vgpr71
                                        ; implicit-def: $vgpr80_vgpr81
                                        ; implicit-def: $vgpr82_vgpr83
                                        ; implicit-def: $vgpr150_vgpr151
	s_waitcnt vmcnt(0) lgkmcnt(0)
	v_add_u32_e32 v114, v18, v102
	v_add3_u32 v112, v116, v112, v19
	v_add3_u32 v102, v118, v117, v20
	v_add_co_u32_e64 v118, s[36:37], v12, v114
	v_add3_u32 v100, v128, v119, v21
	v_addc_co_u32_e64 v119, s[36:37], 0, v13, s[36:37]
	v_add_co_u32_e64 v128, s[36:37], v12, v112
	v_add3_u32 v98, v130, v129, v145
	v_addc_co_u32_e64 v129, s[36:37], 0, v13, s[36:37]
	;; [unrolled: 3-line block ×3, first 2 shown]
	v_add3_u32 v86, v134, v133, v147
	v_add_co_u32_e64 v134, s[36:37], v12, v100
	v_add3_u32 v84, v144, v135, v148
	v_addc_co_u32_e64 v135, s[36:37], 0, v13, s[36:37]
	v_add_co_u32_e64 v144, s[36:37], v12, v98
	v_addc_co_u32_e64 v145, s[36:37], 0, v13, s[36:37]
	v_add_co_u32_e64 v146, s[36:37], v12, v96
	;; [unrolled: 2-line block ×4, first 2 shown]
	v_addc_co_u32_e64 v161, s[36:37], 0, v13, s[36:37]
                                        ; implicit-def: $vgpr18_vgpr19
                                        ; implicit-def: $vgpr20_vgpr21
                                        ; implicit-def: $vgpr116_vgpr117
                                        ; implicit-def: $vgpr132_vgpr133
	s_and_saveexec_b64 s[36:37], s[34:35]
	s_cbranch_execz .LBB188_28
; %bb.52:                               ;   in Loop: Header=BB188_29 Depth=1
	v_mad_u64_u32 v[18:19], s[34:35], v114, 7, v[118:119]
	s_barrier
	flat_store_byte v[118:119], v113
	flat_store_byte v[128:129], v115
	;; [unrolled: 1-line block ×8, first 2 shown]
	s_waitcnt lgkmcnt(0)
	s_barrier
	flat_load_ubyte v23, v[34:35] offset:448
	flat_load_ubyte v1, v[34:35] offset:384
	;; [unrolled: 1-line block ×7, first 2 shown]
	flat_load_ubyte v113, v[34:35]
	s_waitcnt lgkmcnt(0)
	s_barrier
	flat_store_dwordx2 v[18:19], v[68:69]
	v_mad_u64_u32 v[18:19], s[34:35], v112, 7, v[128:129]
	flat_store_dwordx2 v[18:19], v[66:67]
	v_mad_u64_u32 v[18:19], s[34:35], v102, 7, v[130:131]
	flat_store_dwordx2 v[18:19], v[64:65]
	v_mad_u64_u32 v[18:19], s[34:35], v100, 7, v[134:135]
	flat_store_dwordx2 v[18:19], v[54:55]
	v_mad_u64_u32 v[18:19], s[34:35], v98, 7, v[144:145]
	flat_store_dwordx2 v[18:19], v[50:51]
	v_mad_u64_u32 v[18:19], s[34:35], v96, 7, v[146:147]
	flat_store_dwordx2 v[18:19], v[48:49]
	v_mad_u64_u32 v[18:19], s[34:35], v86, 7, v[148:149]
	flat_store_dwordx2 v[18:19], v[38:39]
	v_mad_u64_u32 v[18:19], s[34:35], v84, 7, v[160:161]
	flat_store_dwordx2 v[18:19], v[36:37]
	s_waitcnt lgkmcnt(0)
	s_barrier
	flat_load_dwordx2 v[18:19], v[52:53]
	flat_load_dwordx2 v[20:21], v[52:53] offset:512
	flat_load_dwordx2 v[70:71], v[52:53] offset:1024
	;; [unrolled: 1-line block ×7, first 2 shown]
	v_add_u32_e32 v177, -8, v177
	s_xor_b64 s[44:45], exec, -1
	s_waitcnt lgkmcnt(0)
	s_barrier
	s_branch .LBB188_28
.LBB188_53:
	s_or_b64 exec, exec, s[42:43]
	v_add_co_u32_e32 v4, vcc, v12, v22
	s_barrier
	flat_store_byte v[118:119], v5
	flat_store_byte v[128:129], v85
	;; [unrolled: 1-line block ×8, first 2 shown]
	v_addc_co_u32_e32 v5, vcc, 0, v13, vcc
	v_mad_u64_u32 v[10:11], s[4:5], v114, 7, v[118:119]
	s_waitcnt lgkmcnt(0)
	s_barrier
	flat_load_ubyte v33, v[4:5]
	flat_load_ubyte v32, v[4:5] offset:256
	flat_load_ubyte v31, v[4:5] offset:512
	;; [unrolled: 1-line block ×5, first 2 shown]
	s_waitcnt vmcnt(0)
	flat_load_ubyte v23, v[4:5] offset:1536
	flat_load_ubyte v9, v[4:5] offset:1792
	s_waitcnt lgkmcnt(0)
	s_barrier
	flat_store_dwordx2 v[10:11], v[68:69]
	v_mad_u64_u32 v[10:11], s[4:5], v112, 7, v[128:129]
	flat_store_dwordx2 v[10:11], v[66:67]
	v_mad_u64_u32 v[10:11], s[4:5], v102, 7, v[130:131]
	;; [unrolled: 2-line block ×7, first 2 shown]
	v_mad_u64_u32 v[4:5], s[4:5], v22, 7, v[4:5]
	s_movk_i32 s4, 0x1000
	flat_store_dwordx2 v[10:11], v[36:37]
	v_add_co_u32_e32 v10, vcc, s4, v4
	v_mov_b32_e32 v1, 0x2000
	v_addc_co_u32_e32 v11, vcc, 0, v5, vcc
	v_lshl_or_b32 v1, v22, 3, v1
	v_add_co_u32_e32 v34, vcc, v12, v1
	s_movk_i32 s4, 0x2000
	v_addc_co_u32_e32 v35, vcc, 0, v13, vcc
	v_add_co_u32_e32 v36, vcc, s4, v4
	v_addc_co_u32_e32 v37, vcc, 0, v5, vcc
	s_movk_i32 s4, 0x3000
	v_add_co_u32_e32 v38, vcc, s4, v4
	s_waitcnt lgkmcnt(0)
	s_barrier
	flat_load_dwordx2 v[26:27], v[4:5]
	flat_load_dwordx2 v[20:21], v[4:5] offset:2048
	flat_load_dwordx2 v[18:19], v[10:11]
	flat_load_dwordx2 v[14:15], v[10:11] offset:2048
	v_addc_co_u32_e32 v39, vcc, 0, v5, vcc
	flat_load_dwordx2 v[16:17], v[34:35]
	flat_load_dwordx2 v[12:13], v[36:37] offset:2048
	flat_load_dwordx2 v[10:11], v[38:39]
	flat_load_dwordx2 v[4:5], v[38:39] offset:2048
	v_add_co_u32_e32 v2, vcc, v2, v8
	v_addc_co_u32_e32 v3, vcc, 0, v3, vcc
	v_add_co_u32_e32 v2, vcc, v2, v0
	v_addc_co_u32_e32 v3, vcc, 0, v3, vcc
	v_mov_b32_e32 v1, 0
	v_cmp_lt_u32_e32 vcc, v0, v103
	s_waitcnt lgkmcnt(0)
	s_barrier
	s_and_saveexec_b64 s[4:5], vcc
	s_cbranch_execz .LBB188_55
; %bb.54:
	flat_store_byte v[2:3], v33
.LBB188_55:
	s_or_b64 exec, exec, s[4:5]
	v_add_u32_e32 v8, 0x100, v0
	v_cmp_lt_u32_e64 s[16:17], v8, v103
	s_and_saveexec_b64 s[4:5], s[16:17]
	s_cbranch_execz .LBB188_57
; %bb.56:
	flat_store_byte v[2:3], v32 offset:256
.LBB188_57:
	s_or_b64 exec, exec, s[4:5]
	v_add_u32_e32 v8, 0x200, v0
	v_cmp_lt_u32_e64 s[18:19], v8, v103
	s_and_saveexec_b64 s[4:5], s[18:19]
	s_cbranch_execz .LBB188_59
; %bb.58:
	flat_store_byte v[2:3], v31 offset:512
.LBB188_59:
	;; [unrolled: 8-line block ×5, first 2 shown]
	s_or_b64 exec, exec, s[4:5]
	v_add_u32_e32 v8, 0x600, v0
	v_cmp_lt_u32_e64 s[6:7], v8, v103
	s_and_saveexec_b64 s[4:5], s[6:7]
	s_cbranch_execz .LBB188_67
; %bb.66:
	s_waitcnt vmcnt(0)
	flat_store_byte v[2:3], v23 offset:1536
.LBB188_67:
	s_or_b64 exec, exec, s[4:5]
	v_add_u32_e32 v8, 0x700, v0
	v_cmp_lt_u32_e64 s[4:5], v8, v103
	s_and_saveexec_b64 s[22:23], s[4:5]
	s_cbranch_execz .LBB188_69
; %bb.68:
	s_waitcnt vmcnt(0)
	flat_store_byte v[2:3], v9 offset:1792
.LBB188_69:
	s_or_b64 exec, exec, s[22:23]
	v_add_co_u32_e64 v2, s[22:23], v6, v24
	v_addc_co_u32_e64 v3, s[22:23], v7, v25, s[22:23]
	v_lshlrev_b64 v[0:1], 3, v[0:1]
	v_add_co_u32_e64 v0, s[22:23], v2, v0
	v_addc_co_u32_e64 v1, s[22:23], v3, v1, s[22:23]
	s_and_saveexec_b64 s[22:23], vcc
	s_cbranch_execnz .LBB188_119
; %bb.70:
	s_or_b64 exec, exec, s[22:23]
	s_and_saveexec_b64 s[22:23], s[16:17]
	s_cbranch_execnz .LBB188_120
.LBB188_71:
	s_or_b64 exec, exec, s[22:23]
	s_and_saveexec_b64 s[16:17], s[18:19]
	s_cbranch_execnz .LBB188_121
.LBB188_72:
	s_or_b64 exec, exec, s[16:17]
	s_and_saveexec_b64 s[16:17], s[14:15]
	s_cbranch_execnz .LBB188_122
.LBB188_73:
	s_or_b64 exec, exec, s[16:17]
	s_and_saveexec_b64 s[14:15], s[20:21]
	s_cbranch_execnz .LBB188_123
.LBB188_74:
	s_or_b64 exec, exec, s[14:15]
	s_and_saveexec_b64 s[14:15], s[10:11]
	s_cbranch_execnz .LBB188_124
.LBB188_75:
	s_or_b64 exec, exec, s[14:15]
	s_and_saveexec_b64 s[10:11], s[6:7]
	s_cbranch_execnz .LBB188_125
.LBB188_76:
	s_or_b64 exec, exec, s[10:11]
	s_and_saveexec_b64 s[6:7], s[4:5]
	s_cbranch_execz .LBB188_78
.LBB188_77:
	v_add_co_u32_e32 v0, vcc, 0x3000, v0
	v_addc_co_u32_e32 v1, vcc, 0, v1, vcc
	s_waitcnt vmcnt(0)
	flat_store_dwordx2 v[0:1], v[4:5] offset:2048
.LBB188_78:
	s_or_b64 exec, exec, s[6:7]
                                        ; implicit-def: $vgpr103
                                        ; implicit-def: $vgpr0
                                        ; implicit-def: $vgpr1
                                        ; implicit-def: $vgpr2
                                        ; implicit-def: $vgpr3
                                        ; implicit-def: $vgpr4
                                        ; implicit-def: $vgpr5
                                        ; implicit-def: $vgpr6
                                        ; implicit-def: $vgpr7
                                        ; implicit-def: $vgpr8
                                        ; implicit-def: $vgpr10
                                        ; implicit-def: $vgpr11
                                        ; implicit-def: $vgpr12
                                        ; implicit-def: $vgpr13
                                        ; implicit-def: $vgpr31
                                        ; implicit-def: $vgpr16
                                        ; implicit-def: $vgpr18
                                        ; implicit-def: $vgpr14
.LBB188_79:
	s_andn2_saveexec_b64 s[4:5], s[40:41]
	s_cbranch_execz .LBB188_199
; %bb.80:
	s_movk_i32 s4, 0x200
	v_cmp_lt_u32_e32 vcc, s4, v103
	s_and_saveexec_b64 s[4:5], vcc
	s_xor_b64 s[40:41], exec, s[4:5]
	s_cbranch_execz .LBB188_140
; %bb.81:
	s_load_dwordx2 s[4:5], s[8:9], 0x0
	s_waitcnt vmcnt(0)
	v_mov_b32_e32 v9, 0
	v_add_co_u32_e32 v0, vcc, v0, v8
	v_mbcnt_hi_u32_b32 v15, -1, v14
	s_waitcnt lgkmcnt(0)
	s_cmp_lt_u32 s12, s4
	s_cselect_b32 s6, 12, 18
	s_cmp_lt_u32 s13, s5
	s_cselect_b32 s4, 14, 20
	s_add_u32 s4, s8, s4
	s_addc_u32 s5, s9, 0
	s_add_u32 s6, s8, s6
	global_load_ushort v19, v9, s[4:5]
	s_addc_u32 s7, s9, 0
	global_load_ushort v20, v9, s[6:7]
	v_addc_co_u32_e32 v1, vcc, 0, v1, vcc
	v_and_b32_e32 v14, 63, v15
	v_and_b32_e32 v22, 0x3ff, v31
	v_mov_b32_e32 v23, 0xff
	v_add_co_u32_e32 v21, vcc, v0, v14
	v_addc_co_u32_e32 v24, vcc, 0, v1, vcc
	v_mov_b32_e32 v71, 0xff
	v_mov_b32_e32 v81, 0xff
	;; [unrolled: 1-line block ×3, first 2 shown]
	s_waitcnt vmcnt(1)
	v_mad_u32_u24 v0, v18, v19, v16
	s_waitcnt vmcnt(0)
	v_mad_u64_u32 v[0:1], s[4:5], v0, v20, v[22:23]
	v_lshlrev_b32_e32 v1, 2, v0
	v_and_b32_e32 v16, 0xffffff00, v1
	v_add_co_u32_e32 v18, vcc, v21, v16
	v_addc_co_u32_e32 v19, vcc, 0, v24, vcc
	v_or_b32_e32 v20, v16, v14
	v_cmp_lt_u32_e32 vcc, v20, v103
	v_mov_b32_e32 v1, 0xff
	s_and_saveexec_b64 s[4:5], vcc
	s_cbranch_execz .LBB188_83
; %bb.82:
	flat_load_ubyte v23, v[18:19]
	v_mov_b32_e32 v81, 0xff
	v_mov_b32_e32 v1, 0xff
	;; [unrolled: 1-line block ×3, first 2 shown]
.LBB188_83:
	s_or_b64 exec, exec, s[4:5]
	v_or_b32_e32 v21, 64, v20
	v_cmp_lt_u32_e64 s[4:5], v21, v103
	s_and_saveexec_b64 s[6:7], s[4:5]
	s_cbranch_execz .LBB188_85
; %bb.84:
	flat_load_ubyte v81, v[18:19] offset:64
.LBB188_85:
	s_or_b64 exec, exec, s[6:7]
	v_or_b32_e32 v21, 0x80, v20
	v_cmp_lt_u32_e64 s[6:7], v21, v103
	s_and_saveexec_b64 s[10:11], s[6:7]
	s_cbranch_execz .LBB188_87
; %bb.86:
	flat_load_ubyte v1, v[18:19] offset:128
.LBB188_87:
	;; [unrolled: 8-line block ×3, first 2 shown]
	s_or_b64 exec, exec, s[14:15]
	v_lshlrev_b64 v[24:25], 3, v[8:9]
	v_add_co_u32_e64 v4, s[14:15], v4, v24
	v_addc_co_u32_e64 v5, s[14:15], v5, v25, s[14:15]
	v_lshlrev_b32_e32 v9, 3, v14
	v_add_co_u32_e64 v9, s[14:15], v4, v9
	v_addc_co_u32_e64 v18, s[14:15], 0, v5, s[14:15]
	v_lshlrev_b64 v[4:5], 3, v[16:17]
	v_add_co_u32_e64 v4, s[14:15], v9, v4
	v_addc_co_u32_e64 v5, s[14:15], v18, v5, s[14:15]
                                        ; implicit-def: $vgpr18_vgpr19
	s_and_saveexec_b64 s[14:15], vcc
	s_cbranch_execnz .LBB188_164
; %bb.90:
	s_or_b64 exec, exec, s[14:15]
                                        ; implicit-def: $vgpr20_vgpr21
	s_and_saveexec_b64 s[14:15], s[4:5]
	s_cbranch_execnz .LBB188_165
.LBB188_91:
	s_or_b64 exec, exec, s[14:15]
                                        ; implicit-def: $vgpr54_vgpr55
	s_and_saveexec_b64 s[4:5], s[6:7]
	s_cbranch_execnz .LBB188_166
.LBB188_92:
	s_or_b64 exec, exec, s[4:5]
                                        ; implicit-def: $vgpr64_vgpr65
	s_and_saveexec_b64 s[4:5], s[10:11]
	s_cbranch_execz .LBB188_94
.LBB188_93:
	flat_load_dwordx2 v[64:65], v[4:5] offset:1536
.LBB188_94:
	s_or_b64 exec, exec, s[4:5]
	v_add_co_u32_e32 v9, vcc, 16, v12
	v_and_b32_e32 v17, 0x3c0, v22
	v_addc_co_u32_e32 v98, vcc, 0, v13, vcc
	v_lshlrev_b32_e32 v16, 4, v22
	v_min_u32_e32 v17, 0xc0, v17
	v_add_co_u32_e32 v26, vcc, v12, v16
	v_or_b32_e32 v17, 63, v17
	s_getpc_b64 s[4:5]
	s_add_u32 s4, s4, _ZN7rocprim17ROCPRIM_400000_NS16block_radix_sortIhLj256ELj4ElLj1ELj1ELj8ELNS0_26block_radix_rank_algorithmE2ELNS0_18block_padding_hintE2ELNS0_4arch9wavefront6targetE1EE19radix_bits_per_passE@rel32@lo+4
	s_addc_u32 s5, s5, _ZN7rocprim17ROCPRIM_400000_NS16block_radix_sortIhLj256ELj4ElLj1ELj1ELj8ELNS0_26block_radix_rank_algorithmE2ELNS0_18block_padding_hintE2ELNS0_4arch9wavefront6targetE1EE19radix_bits_per_passE@rel32@hi+12
	v_addc_co_u32_e32 v27, vcc, 0, v13, vcc
	v_and_b32_e32 v16, 15, v15
	v_cmp_eq_u32_e64 s[16:17], v17, v22
	v_add_u32_e32 v17, -1, v15
	v_and_b32_e32 v28, 64, v15
	s_load_dword s46, s[4:5], 0x0
	v_cmp_eq_u32_e32 vcc, 0, v16
	v_cmp_lt_u32_e64 s[4:5], 1, v16
	v_cmp_lt_u32_e64 s[6:7], 3, v16
	;; [unrolled: 1-line block ×3, first 2 shown]
	v_and_b32_e32 v16, 16, v15
	v_cmp_lt_i32_e64 s[22:23], v17, v28
	v_cmp_eq_u32_e64 s[30:31], 0, v16
	v_lshrrev_b32_e32 v16, 6, v22
	v_cndmask_b32_e64 v17, v17, v15, s[22:23]
	v_mov_b32_e32 v4, 0
	v_lshlrev_b32_e32 v100, 2, v17
	v_lshlrev_b32_e32 v17, 2, v16
	v_add_co_u32_e64 v28, s[26:27], v12, v17
	v_add_u32_e32 v16, -1, v16
	v_mov_b32_e32 v17, v4
	v_lshlrev_b64 v[16:17], 2, v[16:17]
	v_add_co_u32_e64 v32, s[34:35], v12, v16
	v_addc_co_u32_e64 v33, s[34:35], v13, v17, s[34:35]
	v_lshlrev_b32_e32 v5, 2, v22
	v_addc_co_u32_e64 v29, s[26:27], 0, v13, s[26:27]
	s_movk_i32 s34, 0xf00
	v_add_co_u32_e64 v30, s[26:27], v12, v5
	v_and_or_b32 v5, v5, s34, v14
	v_add_co_u32_e64 v34, s[34:35], v12, v5
	v_cmp_lt_u32_e64 s[14:15], 31, v15
	v_cmp_eq_u32_e64 s[22:23], 0, v15
	v_addc_co_u32_e64 v31, s[26:27], 0, v13, s[26:27]
	v_and_b32_e32 v15, 3, v15
	v_addc_co_u32_e64 v35, s[34:35], 0, v13, s[34:35]
	v_lshrrev_b32_e32 v99, 6, v0
	v_cmp_gt_u32_e64 s[18:19], 4, v22
	v_cmp_lt_u32_e64 s[20:21], 63, v22
	v_cmp_eq_u32_e64 s[24:25], 0, v22
	v_cmp_eq_u32_e64 s[26:27], 0, v15
	v_cmp_lt_u32_e64 s[28:29], 1, v15
	v_mad_u64_u32 v[52:53], s[34:35], v5, 7, v[34:35]
	v_sub_u32_e32 v101, v11, v10
	s_mov_b64 s[42:43], 0
	v_mov_b32_e32 v14, 0
	v_mov_b32_e32 v15, v4
	;; [unrolled: 1-line block ×4, first 2 shown]
	s_waitcnt lgkmcnt(0)
	s_barrier
	s_branch .LBB188_96
.LBB188_95:                             ;   in Loop: Header=BB188_96 Depth=1
	s_or_b64 exec, exec, s[36:37]
	s_and_b64 s[34:35], exec, s[44:45]
	s_or_b64 s[42:43], s[34:35], s[42:43]
	s_andn2_b64 exec, exec, s[42:43]
	s_cbranch_execz .LBB188_126
.LBB188_96:                             ; =>This Inner Loop Header: Depth=1
	v_min_u32_e32 v5, s46, v101
	v_lshlrev_b32_e64 v5, v5, -1
	s_waitcnt vmcnt(0)
	v_pk_mov_b32 v[48:49], v[20:21], v[20:21] op_sel:[0,1]
	v_not_b32_e32 v20, v5
	v_lshrrev_b32_sdwa v5, v10, v23 dst_sel:DWORD dst_unused:UNUSED_PAD src0_sel:DWORD src1_sel:BYTE_0
	v_pk_mov_b32 v[50:51], v[18:19], v[18:19] op_sel:[0,1]
	v_and_b32_e32 v18, v5, v20
	v_lshlrev_b32_e32 v5, 2, v18
	v_add_lshl_u32 v5, v5, v99, 2
	v_pk_mov_b32 v[38:39], v[54:55], v[54:55] op_sel:[0,1]
	v_add_co_u32_e64 v54, s[34:35], v9, v5
	v_addc_co_u32_e64 v55, s[34:35], 0, v98, s[34:35]
	v_and_b32_e32 v5, 1, v18
	v_add_co_u32_e64 v19, s[34:35], -1, v5
	v_addc_co_u32_e64 v21, s[34:35], 0, -1, s[34:35]
	v_cmp_ne_u32_e64 s[34:35], 0, v5
	v_xor_b32_e32 v5, s35, v21
	v_and_b32_e32 v21, exec_hi, v5
	v_lshlrev_b32_e32 v5, 30, v18
	v_xor_b32_e32 v19, s34, v19
	v_cmp_gt_i64_e64 s[34:35], 0, v[4:5]
	v_not_b32_e32 v5, v5
	v_ashrrev_i32_e32 v5, 31, v5
	v_pk_mov_b32 v[36:37], v[64:65], v[64:65] op_sel:[0,1]
	v_and_b32_e32 v19, exec_lo, v19
	v_xor_b32_e32 v64, s35, v5
	v_xor_b32_e32 v5, s34, v5
	v_and_b32_e32 v19, v19, v5
	v_lshlrev_b32_e32 v5, 29, v18
	v_cmp_gt_i64_e64 s[34:35], 0, v[4:5]
	v_not_b32_e32 v5, v5
	v_ashrrev_i32_e32 v5, 31, v5
	v_and_b32_e32 v21, v21, v64
	v_xor_b32_e32 v64, s35, v5
	v_xor_b32_e32 v5, s34, v5
	v_and_b32_e32 v19, v19, v5
	v_lshlrev_b32_e32 v5, 28, v18
	v_cmp_gt_i64_e64 s[34:35], 0, v[4:5]
	v_not_b32_e32 v5, v5
	v_ashrrev_i32_e32 v5, 31, v5
	v_and_b32_e32 v21, v21, v64
	v_xor_b32_e32 v64, s35, v5
	v_xor_b32_e32 v5, s34, v5
	v_and_b32_e32 v19, v19, v5
	v_lshlrev_b32_e32 v5, 27, v18
	v_cmp_gt_i64_e64 s[34:35], 0, v[4:5]
	v_not_b32_e32 v5, v5
	v_ashrrev_i32_e32 v5, 31, v5
	v_and_b32_e32 v21, v21, v64
	v_xor_b32_e32 v64, s35, v5
	v_xor_b32_e32 v5, s34, v5
	v_and_b32_e32 v19, v19, v5
	v_lshlrev_b32_e32 v5, 26, v18
	v_cmp_gt_i64_e64 s[34:35], 0, v[4:5]
	v_not_b32_e32 v5, v5
	v_ashrrev_i32_e32 v5, 31, v5
	v_and_b32_e32 v21, v21, v64
	v_xor_b32_e32 v64, s35, v5
	v_xor_b32_e32 v5, s34, v5
	v_and_b32_e32 v19, v19, v5
	v_lshlrev_b32_e32 v5, 25, v18
	v_cmp_gt_i64_e64 s[34:35], 0, v[4:5]
	v_not_b32_e32 v5, v5
	v_ashrrev_i32_e32 v5, 31, v5
	v_and_b32_e32 v21, v21, v64
	v_xor_b32_e32 v64, s35, v5
	v_xor_b32_e32 v5, s34, v5
	v_and_b32_e32 v21, v21, v64
	v_and_b32_e32 v64, v19, v5
	v_lshlrev_b32_e32 v5, 24, v18
	v_cmp_gt_i64_e64 s[34:35], 0, v[4:5]
	v_not_b32_e32 v5, v5
	v_ashrrev_i32_e32 v5, 31, v5
	v_xor_b32_e32 v18, s35, v5
	v_xor_b32_e32 v5, s34, v5
	v_and_b32_e32 v19, v21, v18
	v_and_b32_e32 v18, v64, v5
	v_mbcnt_lo_u32_b32 v5, v18, 0
	v_mbcnt_hi_u32_b32 v70, v19, v5
	v_cmp_eq_u32_e64 s[34:35], 0, v70
	v_cmp_ne_u64_e64 s[36:37], 0, v[18:19]
	s_and_b64 s[36:37], s[36:37], s[34:35]
	flat_store_dwordx4 v[26:27], v[14:17] offset:16
	s_waitcnt lgkmcnt(0)
	s_barrier
	s_waitcnt lgkmcnt(0)
	; wave barrier
	s_and_saveexec_b64 s[34:35], s[36:37]
	s_cbranch_execz .LBB188_98
; %bb.97:                               ;   in Loop: Header=BB188_96 Depth=1
	v_bcnt_u32_b32 v5, v18, 0
	v_bcnt_u32_b32 v5, v19, v5
	flat_store_dword v[54:55], v5
.LBB188_98:                             ;   in Loop: Header=BB188_96 Depth=1
	s_or_b64 exec, exec, s[34:35]
	v_lshrrev_b32_sdwa v5, v10, v81 dst_sel:DWORD dst_unused:UNUSED_PAD src0_sel:DWORD src1_sel:BYTE_0
	v_and_b32_e32 v18, v5, v20
	v_lshlrev_b32_e32 v5, 2, v18
	v_add_lshl_u32 v5, v5, v99, 2
	v_add_co_u32_e64 v64, s[34:35], v9, v5
	v_addc_co_u32_e64 v65, s[34:35], 0, v98, s[34:35]
	; wave barrier
	flat_load_dword v82, v[64:65]
	v_and_b32_e32 v5, 1, v18
	v_add_co_u32_e64 v19, s[34:35], -1, v5
	v_addc_co_u32_e64 v21, s[34:35], 0, -1, s[34:35]
	v_cmp_ne_u32_e64 s[34:35], 0, v5
	v_xor_b32_e32 v5, s35, v21
	v_and_b32_e32 v21, exec_hi, v5
	v_lshlrev_b32_e32 v5, 30, v18
	v_xor_b32_e32 v19, s34, v19
	v_cmp_gt_i64_e64 s[34:35], 0, v[4:5]
	v_not_b32_e32 v5, v5
	v_ashrrev_i32_e32 v5, 31, v5
	v_and_b32_e32 v19, exec_lo, v19
	v_xor_b32_e32 v66, s35, v5
	v_xor_b32_e32 v5, s34, v5
	v_and_b32_e32 v19, v19, v5
	v_lshlrev_b32_e32 v5, 29, v18
	v_cmp_gt_i64_e64 s[34:35], 0, v[4:5]
	v_not_b32_e32 v5, v5
	v_ashrrev_i32_e32 v5, 31, v5
	v_and_b32_e32 v21, v21, v66
	v_xor_b32_e32 v66, s35, v5
	v_xor_b32_e32 v5, s34, v5
	v_and_b32_e32 v19, v19, v5
	v_lshlrev_b32_e32 v5, 28, v18
	v_cmp_gt_i64_e64 s[34:35], 0, v[4:5]
	v_not_b32_e32 v5, v5
	v_ashrrev_i32_e32 v5, 31, v5
	v_and_b32_e32 v21, v21, v66
	;; [unrolled: 8-line block ×5, first 2 shown]
	v_xor_b32_e32 v66, s35, v5
	v_xor_b32_e32 v5, s34, v5
	v_and_b32_e32 v21, v21, v66
	v_and_b32_e32 v66, v19, v5
	v_lshlrev_b32_e32 v5, 24, v18
	v_cmp_gt_i64_e64 s[34:35], 0, v[4:5]
	v_not_b32_e32 v5, v5
	v_ashrrev_i32_e32 v5, 31, v5
	v_xor_b32_e32 v18, s35, v5
	v_xor_b32_e32 v5, s34, v5
	v_and_b32_e32 v19, v21, v18
	v_and_b32_e32 v18, v66, v5
	v_mbcnt_lo_u32_b32 v5, v18, 0
	v_mbcnt_hi_u32_b32 v83, v19, v5
	v_cmp_eq_u32_e64 s[34:35], 0, v83
	v_cmp_ne_u64_e64 s[36:37], 0, v[18:19]
	s_and_b64 s[36:37], s[36:37], s[34:35]
	; wave barrier
	s_and_saveexec_b64 s[34:35], s[36:37]
	s_cbranch_execz .LBB188_100
; %bb.99:                               ;   in Loop: Header=BB188_96 Depth=1
	v_bcnt_u32_b32 v5, v18, 0
	v_bcnt_u32_b32 v5, v19, v5
	s_waitcnt vmcnt(0) lgkmcnt(0)
	v_add_u32_e32 v5, v82, v5
	flat_store_dword v[64:65], v5
.LBB188_100:                            ;   in Loop: Header=BB188_96 Depth=1
	s_or_b64 exec, exec, s[34:35]
	v_lshrrev_b32_sdwa v5, v10, v1 dst_sel:DWORD dst_unused:UNUSED_PAD src0_sel:DWORD src1_sel:BYTE_0
	v_and_b32_e32 v18, v5, v20
	v_lshlrev_b32_e32 v5, 2, v18
	v_add_lshl_u32 v5, v5, v99, 2
	v_add_co_u32_e64 v66, s[34:35], v9, v5
	v_addc_co_u32_e64 v67, s[34:35], 0, v98, s[34:35]
	; wave barrier
	flat_load_dword v84, v[66:67]
	v_and_b32_e32 v5, 1, v18
	v_add_co_u32_e64 v19, s[34:35], -1, v5
	v_addc_co_u32_e64 v21, s[34:35], 0, -1, s[34:35]
	v_cmp_ne_u32_e64 s[34:35], 0, v5
	v_xor_b32_e32 v5, s35, v21
	v_and_b32_e32 v21, exec_hi, v5
	v_lshlrev_b32_e32 v5, 30, v18
	v_xor_b32_e32 v19, s34, v19
	v_cmp_gt_i64_e64 s[34:35], 0, v[4:5]
	v_not_b32_e32 v5, v5
	v_ashrrev_i32_e32 v5, 31, v5
	v_and_b32_e32 v19, exec_lo, v19
	v_xor_b32_e32 v68, s35, v5
	v_xor_b32_e32 v5, s34, v5
	v_and_b32_e32 v19, v19, v5
	v_lshlrev_b32_e32 v5, 29, v18
	v_cmp_gt_i64_e64 s[34:35], 0, v[4:5]
	v_not_b32_e32 v5, v5
	v_ashrrev_i32_e32 v5, 31, v5
	v_and_b32_e32 v21, v21, v68
	v_xor_b32_e32 v68, s35, v5
	v_xor_b32_e32 v5, s34, v5
	v_and_b32_e32 v19, v19, v5
	v_lshlrev_b32_e32 v5, 28, v18
	v_cmp_gt_i64_e64 s[34:35], 0, v[4:5]
	v_not_b32_e32 v5, v5
	v_ashrrev_i32_e32 v5, 31, v5
	v_and_b32_e32 v21, v21, v68
	;; [unrolled: 8-line block ×5, first 2 shown]
	v_xor_b32_e32 v68, s35, v5
	v_xor_b32_e32 v5, s34, v5
	v_and_b32_e32 v21, v21, v68
	v_and_b32_e32 v68, v19, v5
	v_lshlrev_b32_e32 v5, 24, v18
	v_cmp_gt_i64_e64 s[34:35], 0, v[4:5]
	v_not_b32_e32 v5, v5
	v_ashrrev_i32_e32 v5, 31, v5
	v_xor_b32_e32 v18, s35, v5
	v_xor_b32_e32 v5, s34, v5
	v_and_b32_e32 v19, v21, v18
	v_and_b32_e32 v18, v68, v5
	v_mbcnt_lo_u32_b32 v5, v18, 0
	v_mbcnt_hi_u32_b32 v85, v19, v5
	v_cmp_eq_u32_e64 s[34:35], 0, v85
	v_cmp_ne_u64_e64 s[36:37], 0, v[18:19]
	s_and_b64 s[36:37], s[36:37], s[34:35]
	; wave barrier
	s_and_saveexec_b64 s[34:35], s[36:37]
	s_cbranch_execz .LBB188_102
; %bb.101:                              ;   in Loop: Header=BB188_96 Depth=1
	v_bcnt_u32_b32 v5, v18, 0
	v_bcnt_u32_b32 v5, v19, v5
	s_waitcnt vmcnt(0) lgkmcnt(0)
	v_add_u32_e32 v5, v84, v5
	flat_store_dword v[66:67], v5
.LBB188_102:                            ;   in Loop: Header=BB188_96 Depth=1
	s_or_b64 exec, exec, s[34:35]
	v_lshrrev_b32_sdwa v5, v10, v71 dst_sel:DWORD dst_unused:UNUSED_PAD src0_sel:DWORD src1_sel:BYTE_0
	v_and_b32_e32 v18, v5, v20
	v_lshlrev_b32_e32 v5, 2, v18
	v_add_lshl_u32 v5, v5, v99, 2
	v_add_co_u32_e64 v68, s[34:35], v9, v5
	v_addc_co_u32_e64 v69, s[34:35], 0, v98, s[34:35]
	; wave barrier
	flat_load_dword v86, v[68:69]
	v_and_b32_e32 v5, 1, v18
	v_add_co_u32_e64 v19, s[34:35], -1, v5
	v_addc_co_u32_e64 v20, s[34:35], 0, -1, s[34:35]
	v_cmp_ne_u32_e64 s[34:35], 0, v5
	v_xor_b32_e32 v5, s35, v20
	v_and_b32_e32 v20, exec_hi, v5
	v_lshlrev_b32_e32 v5, 30, v18
	v_xor_b32_e32 v19, s34, v19
	v_cmp_gt_i64_e64 s[34:35], 0, v[4:5]
	v_not_b32_e32 v5, v5
	v_ashrrev_i32_e32 v5, 31, v5
	v_and_b32_e32 v19, exec_lo, v19
	v_xor_b32_e32 v21, s35, v5
	v_xor_b32_e32 v5, s34, v5
	v_and_b32_e32 v19, v19, v5
	v_lshlrev_b32_e32 v5, 29, v18
	v_cmp_gt_i64_e64 s[34:35], 0, v[4:5]
	v_not_b32_e32 v5, v5
	v_ashrrev_i32_e32 v5, 31, v5
	v_and_b32_e32 v20, v20, v21
	v_xor_b32_e32 v21, s35, v5
	v_xor_b32_e32 v5, s34, v5
	v_and_b32_e32 v19, v19, v5
	v_lshlrev_b32_e32 v5, 28, v18
	v_cmp_gt_i64_e64 s[34:35], 0, v[4:5]
	v_not_b32_e32 v5, v5
	v_ashrrev_i32_e32 v5, 31, v5
	v_and_b32_e32 v20, v20, v21
	;; [unrolled: 8-line block ×5, first 2 shown]
	v_xor_b32_e32 v21, s35, v5
	v_xor_b32_e32 v5, s34, v5
	v_and_b32_e32 v20, v20, v21
	v_and_b32_e32 v21, v19, v5
	v_lshlrev_b32_e32 v5, 24, v18
	v_cmp_gt_i64_e64 s[34:35], 0, v[4:5]
	v_not_b32_e32 v5, v5
	v_ashrrev_i32_e32 v5, 31, v5
	v_xor_b32_e32 v18, s35, v5
	v_xor_b32_e32 v5, s34, v5
	v_and_b32_e32 v19, v20, v18
	v_and_b32_e32 v18, v21, v5
	v_mbcnt_lo_u32_b32 v5, v18, 0
	v_mbcnt_hi_u32_b32 v87, v19, v5
	v_cmp_eq_u32_e64 s[34:35], 0, v87
	v_cmp_ne_u64_e64 s[36:37], 0, v[18:19]
	s_and_b64 s[36:37], s[36:37], s[34:35]
	; wave barrier
	s_and_saveexec_b64 s[34:35], s[36:37]
	s_cbranch_execz .LBB188_104
; %bb.103:                              ;   in Loop: Header=BB188_96 Depth=1
	v_bcnt_u32_b32 v5, v18, 0
	v_bcnt_u32_b32 v5, v19, v5
	s_waitcnt vmcnt(0) lgkmcnt(0)
	v_add_u32_e32 v5, v86, v5
	flat_store_dword v[68:69], v5
.LBB188_104:                            ;   in Loop: Header=BB188_96 Depth=1
	s_or_b64 exec, exec, s[34:35]
	; wave barrier
	s_waitcnt lgkmcnt(0)
	s_barrier
	flat_load_dwordx4 v[18:21], v[26:27] offset:16
	s_waitcnt vmcnt(0) lgkmcnt(0)
	v_add_u32_e32 v5, v19, v18
	v_add3_u32 v5, v5, v20, v21
	s_nop 1
	v_mov_b32_dpp v21, v5 row_shr:1 row_mask:0xf bank_mask:0xf
	v_cndmask_b32_e64 v21, v21, 0, vcc
	v_add_u32_e32 v5, v21, v5
	s_nop 1
	v_mov_b32_dpp v21, v5 row_shr:2 row_mask:0xf bank_mask:0xf
	v_cndmask_b32_e64 v21, 0, v21, s[4:5]
	v_add_u32_e32 v5, v5, v21
	s_nop 1
	v_mov_b32_dpp v21, v5 row_shr:4 row_mask:0xf bank_mask:0xf
	v_cndmask_b32_e64 v21, 0, v21, s[6:7]
	;; [unrolled: 4-line block ×3, first 2 shown]
	v_add_u32_e32 v5, v5, v21
	s_nop 1
	v_mov_b32_dpp v21, v5 row_bcast:15 row_mask:0xf bank_mask:0xf
	v_cndmask_b32_e64 v21, v21, 0, s[30:31]
	v_add_u32_e32 v5, v5, v21
	s_nop 1
	v_mov_b32_dpp v21, v5 row_bcast:31 row_mask:0xf bank_mask:0xf
	v_cndmask_b32_e64 v21, 0, v21, s[14:15]
	v_add_u32_e32 v5, v5, v21
	s_and_saveexec_b64 s[34:35], s[16:17]
	s_cbranch_execz .LBB188_106
; %bb.105:                              ;   in Loop: Header=BB188_96 Depth=1
	flat_store_dword v[28:29], v5
.LBB188_106:                            ;   in Loop: Header=BB188_96 Depth=1
	s_or_b64 exec, exec, s[34:35]
	s_waitcnt lgkmcnt(0)
	s_barrier
	s_and_saveexec_b64 s[34:35], s[18:19]
	s_cbranch_execz .LBB188_108
; %bb.107:                              ;   in Loop: Header=BB188_96 Depth=1
	flat_load_dword v21, v[30:31]
	s_waitcnt vmcnt(0) lgkmcnt(0)
	s_nop 0
	v_mov_b32_dpp v80, v21 row_shr:1 row_mask:0xf bank_mask:0xf
	v_cndmask_b32_e64 v80, v80, 0, s[26:27]
	v_add_u32_e32 v21, v80, v21
	s_nop 1
	v_mov_b32_dpp v80, v21 row_shr:2 row_mask:0xf bank_mask:0xf
	v_cndmask_b32_e64 v80, 0, v80, s[28:29]
	v_add_u32_e32 v21, v21, v80
	flat_store_dword v[30:31], v21
.LBB188_108:                            ;   in Loop: Header=BB188_96 Depth=1
	s_or_b64 exec, exec, s[34:35]
	v_mov_b32_e32 v21, 0
	s_waitcnt lgkmcnt(0)
	s_barrier
	s_and_saveexec_b64 s[34:35], s[20:21]
	s_cbranch_execz .LBB188_110
; %bb.109:                              ;   in Loop: Header=BB188_96 Depth=1
	flat_load_dword v21, v[32:33]
.LBB188_110:                            ;   in Loop: Header=BB188_96 Depth=1
	s_or_b64 exec, exec, s[34:35]
	s_waitcnt vmcnt(0) lgkmcnt(0)
	v_add_u32_e32 v5, v21, v5
	ds_bpermute_b32 v5, v100, v5
	v_add_u32_e32 v10, 8, v10
	v_mov_b32_e32 v102, v71
	v_cmp_lt_u32_e64 s[34:35], v10, v11
	s_mov_b64 s[44:45], -1
	s_waitcnt lgkmcnt(0)
	v_cndmask_b32_e64 v5, v5, v21, s[22:23]
	v_cndmask_b32_e64 v112, v5, 0, s[24:25]
	v_add_u32_e32 v113, v112, v18
	v_add_u32_e32 v114, v113, v19
	;; [unrolled: 1-line block ×3, first 2 shown]
	flat_store_dwordx4 v[26:27], v[112:115] offset:16
	s_waitcnt lgkmcnt(0)
	s_barrier
	flat_load_dword v18, v[54:55]
	flat_load_dword v19, v[64:65]
	;; [unrolled: 1-line block ×4, first 2 shown]
	v_mov_b32_e32 v5, v23
	v_mov_b32_e32 v67, v81
	v_mov_b32_e32 v69, v1
	s_waitcnt lgkmcnt(0)
                                        ; implicit-def: $vgpr54_vgpr55
                                        ; implicit-def: $vgpr64_vgpr65
	s_waitcnt vmcnt(0) lgkmcnt(0)
	v_add_u32_e32 v80, v18, v70
	v_add3_u32 v70, v83, v82, v19
	v_add_co_u32_e64 v82, s[36:37], v12, v80
	v_addc_co_u32_e64 v83, s[36:37], 0, v13, s[36:37]
	v_add3_u32 v68, v85, v84, v20
	v_add_co_u32_e64 v84, s[36:37], v12, v70
	v_addc_co_u32_e64 v85, s[36:37], 0, v13, s[36:37]
	;; [unrolled: 3-line block ×3, first 2 shown]
	v_add_co_u32_e64 v96, s[36:37], v12, v66
	v_addc_co_u32_e64 v97, s[36:37], 0, v13, s[36:37]
                                        ; implicit-def: $vgpr18_vgpr19
                                        ; implicit-def: $vgpr20_vgpr21
	s_and_saveexec_b64 s[36:37], s[34:35]
	s_cbranch_execz .LBB188_95
; %bb.111:                              ;   in Loop: Header=BB188_96 Depth=1
	v_mad_u64_u32 v[18:19], s[34:35], v80, 7, v[82:83]
	s_barrier
	flat_store_byte v[82:83], v23
	flat_store_byte v[84:85], v81
	;; [unrolled: 1-line block ×4, first 2 shown]
	s_waitcnt lgkmcnt(0)
	s_barrier
	flat_load_ubyte v71, v[34:35] offset:192
	flat_load_ubyte v1, v[34:35] offset:128
	;; [unrolled: 1-line block ×3, first 2 shown]
	flat_load_ubyte v23, v[34:35]
	s_waitcnt lgkmcnt(0)
	s_barrier
	flat_store_dwordx2 v[18:19], v[50:51]
	v_mad_u64_u32 v[18:19], s[34:35], v70, 7, v[84:85]
	flat_store_dwordx2 v[18:19], v[48:49]
	v_mad_u64_u32 v[18:19], s[34:35], v68, 7, v[86:87]
	;; [unrolled: 2-line block ×3, first 2 shown]
	flat_store_dwordx2 v[18:19], v[36:37]
	s_waitcnt lgkmcnt(0)
	s_barrier
	flat_load_dwordx2 v[18:19], v[52:53]
	flat_load_dwordx2 v[20:21], v[52:53] offset:512
	flat_load_dwordx2 v[54:55], v[52:53] offset:1024
	;; [unrolled: 1-line block ×3, first 2 shown]
	v_add_u32_e32 v101, -8, v101
	s_xor_b64 s[44:45], exec, -1
	s_waitcnt lgkmcnt(0)
	s_barrier
	s_branch .LBB188_95
.LBB188_112:
	flat_load_dwordx2 v[18:19], v[4:5]
	s_or_b64 exec, exec, s[22:23]
                                        ; implicit-def: $vgpr20_vgpr21
	s_and_saveexec_b64 s[22:23], s[4:5]
	s_cbranch_execz .LBB188_20
.LBB188_113:
	flat_load_dwordx2 v[20:21], v[4:5] offset:512
	s_or_b64 exec, exec, s[22:23]
                                        ; implicit-def: $vgpr70_vgpr71
	s_and_saveexec_b64 s[4:5], s[6:7]
	s_cbranch_execz .LBB188_21
.LBB188_114:
	flat_load_dwordx2 v[70:71], v[4:5] offset:1024
	s_or_b64 exec, exec, s[4:5]
                                        ; implicit-def: $vgpr80_vgpr81
	s_and_saveexec_b64 s[4:5], s[10:11]
	s_cbranch_execz .LBB188_22
.LBB188_115:
	flat_load_dwordx2 v[80:81], v[4:5] offset:1536
	s_or_b64 exec, exec, s[4:5]
                                        ; implicit-def: $vgpr82_vgpr83
	s_and_saveexec_b64 s[4:5], s[20:21]
	s_cbranch_execz .LBB188_23
.LBB188_116:
	flat_load_dwordx2 v[82:83], v[4:5] offset:2048
	s_or_b64 exec, exec, s[4:5]
                                        ; implicit-def: $vgpr116_vgpr117
	s_and_saveexec_b64 s[4:5], s[14:15]
	s_cbranch_execz .LBB188_24
.LBB188_117:
	flat_load_dwordx2 v[116:117], v[4:5] offset:2560
	s_or_b64 exec, exec, s[4:5]
                                        ; implicit-def: $vgpr132_vgpr133
	s_and_saveexec_b64 s[4:5], s[16:17]
	s_cbranch_execz .LBB188_25
.LBB188_118:
	flat_load_dwordx2 v[132:133], v[4:5] offset:3072
	s_or_b64 exec, exec, s[4:5]
                                        ; implicit-def: $vgpr150_vgpr151
	s_and_saveexec_b64 s[4:5], s[18:19]
	s_cbranch_execnz .LBB188_26
	s_branch .LBB188_27
.LBB188_119:
	s_waitcnt vmcnt(0)
	flat_store_dwordx2 v[0:1], v[26:27]
	s_or_b64 exec, exec, s[22:23]
	s_and_saveexec_b64 s[22:23], s[16:17]
	s_cbranch_execz .LBB188_71
.LBB188_120:
	s_waitcnt vmcnt(0)
	flat_store_dwordx2 v[0:1], v[20:21] offset:2048
	s_or_b64 exec, exec, s[22:23]
	s_and_saveexec_b64 s[16:17], s[18:19]
	s_cbranch_execz .LBB188_72
.LBB188_121:
	v_add_co_u32_e32 v2, vcc, 0x1000, v0
	v_addc_co_u32_e32 v3, vcc, 0, v1, vcc
	s_waitcnt vmcnt(0)
	flat_store_dwordx2 v[2:3], v[18:19]
	s_or_b64 exec, exec, s[16:17]
	s_and_saveexec_b64 s[16:17], s[14:15]
	s_cbranch_execz .LBB188_73
.LBB188_122:
	v_add_co_u32_e32 v2, vcc, 0x1000, v0
	v_addc_co_u32_e32 v3, vcc, 0, v1, vcc
	s_waitcnt vmcnt(0)
	flat_store_dwordx2 v[2:3], v[14:15] offset:2048
	s_or_b64 exec, exec, s[16:17]
	s_and_saveexec_b64 s[14:15], s[20:21]
	s_cbranch_execz .LBB188_74
.LBB188_123:
	v_add_co_u32_e32 v2, vcc, 0x2000, v0
	v_addc_co_u32_e32 v3, vcc, 0, v1, vcc
	s_waitcnt vmcnt(0)
	flat_store_dwordx2 v[2:3], v[16:17]
	s_or_b64 exec, exec, s[14:15]
	s_and_saveexec_b64 s[14:15], s[10:11]
	s_cbranch_execz .LBB188_75
.LBB188_124:
	v_add_co_u32_e32 v2, vcc, 0x2000, v0
	v_addc_co_u32_e32 v3, vcc, 0, v1, vcc
	s_waitcnt vmcnt(0)
	flat_store_dwordx2 v[2:3], v[12:13] offset:2048
	s_or_b64 exec, exec, s[14:15]
	s_and_saveexec_b64 s[10:11], s[6:7]
	s_cbranch_execz .LBB188_76
.LBB188_125:
	v_add_co_u32_e32 v2, vcc, 0x3000, v0
	v_addc_co_u32_e32 v3, vcc, 0, v1, vcc
	s_waitcnt vmcnt(0)
	flat_store_dwordx2 v[2:3], v[10:11]
	s_or_b64 exec, exec, s[10:11]
	s_and_saveexec_b64 s[6:7], s[4:5]
	s_cbranch_execnz .LBB188_77
	s_branch .LBB188_78
.LBB188_126:
	s_or_b64 exec, exec, s[42:43]
	v_add_co_u32_e32 v4, vcc, v12, v22
	s_barrier
	flat_store_byte v[82:83], v5
	flat_store_byte v[84:85], v67
	;; [unrolled: 1-line block ×4, first 2 shown]
	v_addc_co_u32_e32 v5, vcc, 0, v13, vcc
	v_mad_u64_u32 v[10:11], s[4:5], v80, 7, v[82:83]
	s_waitcnt lgkmcnt(0)
	s_barrier
	s_waitcnt vmcnt(0)
	flat_load_ubyte v18, v[4:5]
	flat_load_ubyte v17, v[4:5] offset:256
	flat_load_ubyte v16, v[4:5] offset:512
	;; [unrolled: 1-line block ×3, first 2 shown]
	s_waitcnt lgkmcnt(0)
	s_barrier
	flat_store_dwordx2 v[10:11], v[50:51]
	v_mad_u64_u32 v[10:11], s[4:5], v70, 7, v[84:85]
	flat_store_dwordx2 v[10:11], v[48:49]
	v_mad_u64_u32 v[10:11], s[4:5], v68, 7, v[86:87]
	flat_store_dwordx2 v[10:11], v[38:39]
	v_mad_u64_u32 v[10:11], s[4:5], v66, 7, v[96:97]
	v_mad_u64_u32 v[20:21], s[4:5], v22, 7, v[4:5]
	s_movk_i32 s4, 0x1000
	v_add_co_u32_e32 v22, vcc, s4, v20
	flat_store_dwordx2 v[10:11], v[36:37]
	s_waitcnt lgkmcnt(0)
	s_barrier
	v_addc_co_u32_e32 v23, vcc, 0, v21, vcc
	flat_load_dwordx2 v[14:15], v[20:21]
	flat_load_dwordx2 v[12:13], v[20:21] offset:2048
	flat_load_dwordx2 v[10:11], v[22:23]
	flat_load_dwordx2 v[4:5], v[22:23] offset:2048
	v_add_co_u32_e32 v2, vcc, v2, v8
	v_addc_co_u32_e32 v3, vcc, 0, v3, vcc
	v_add_co_u32_e32 v2, vcc, v2, v0
	v_addc_co_u32_e32 v3, vcc, 0, v3, vcc
	v_mov_b32_e32 v1, 0
	v_cmp_lt_u32_e32 vcc, v0, v103
	s_waitcnt lgkmcnt(0)
	s_barrier
	s_and_saveexec_b64 s[4:5], vcc
	s_cbranch_execz .LBB188_128
; %bb.127:
	s_waitcnt vmcnt(0)
	flat_store_byte v[2:3], v18
.LBB188_128:
	s_or_b64 exec, exec, s[4:5]
	v_add_u32_e32 v8, 0x100, v0
	v_cmp_lt_u32_e64 s[6:7], v8, v103
	s_and_saveexec_b64 s[4:5], s[6:7]
	s_cbranch_execz .LBB188_130
; %bb.129:
	s_waitcnt vmcnt(0)
	flat_store_byte v[2:3], v17 offset:256
.LBB188_130:
	s_or_b64 exec, exec, s[4:5]
	v_add_u32_e32 v8, 0x200, v0
	v_cmp_lt_u32_e64 s[10:11], v8, v103
	s_and_saveexec_b64 s[4:5], s[10:11]
	s_cbranch_execz .LBB188_132
; %bb.131:
	s_waitcnt vmcnt(0)
	flat_store_byte v[2:3], v16 offset:512
.LBB188_132:
	;; [unrolled: 9-line block ×3, first 2 shown]
	s_or_b64 exec, exec, s[14:15]
	v_add_co_u32_e64 v2, s[14:15], v6, v24
	v_addc_co_u32_e64 v3, s[14:15], v7, v25, s[14:15]
	v_lshlrev_b64 v[0:1], 3, v[0:1]
	v_add_co_u32_e64 v0, s[14:15], v2, v0
	v_addc_co_u32_e64 v1, s[14:15], v3, v1, s[14:15]
	s_and_saveexec_b64 s[14:15], vcc
	s_cbranch_execnz .LBB188_167
; %bb.135:
	s_or_b64 exec, exec, s[14:15]
	s_and_saveexec_b64 s[14:15], s[6:7]
	s_cbranch_execnz .LBB188_168
.LBB188_136:
	s_or_b64 exec, exec, s[14:15]
	s_and_saveexec_b64 s[6:7], s[10:11]
	s_cbranch_execnz .LBB188_169
.LBB188_137:
	s_or_b64 exec, exec, s[6:7]
	s_and_saveexec_b64 s[6:7], s[4:5]
	s_cbranch_execz .LBB188_139
.LBB188_138:
	v_add_co_u32_e32 v0, vcc, 0x1000, v0
	v_addc_co_u32_e32 v1, vcc, 0, v1, vcc
	s_waitcnt vmcnt(0)
	flat_store_dwordx2 v[0:1], v[4:5] offset:2048
.LBB188_139:
	s_or_b64 exec, exec, s[6:7]
                                        ; implicit-def: $vgpr103
                                        ; implicit-def: $vgpr0
                                        ; implicit-def: $vgpr1
                                        ; implicit-def: $vgpr2
                                        ; implicit-def: $vgpr3
                                        ; implicit-def: $vgpr4
                                        ; implicit-def: $vgpr5
                                        ; implicit-def: $vgpr6
                                        ; implicit-def: $vgpr7
                                        ; implicit-def: $vgpr8
                                        ; implicit-def: $vgpr10
                                        ; implicit-def: $vgpr11
                                        ; implicit-def: $vgpr12
                                        ; implicit-def: $vgpr13
                                        ; implicit-def: $vgpr31
                                        ; implicit-def: $vgpr16
                                        ; implicit-def: $vgpr18
                                        ; implicit-def: $vgpr14
.LBB188_140:
	s_andn2_saveexec_b64 s[4:5], s[40:41]
	s_cbranch_execz .LBB188_199
; %bb.141:
	s_load_dwordx2 s[4:5], s[8:9], 0x0
	s_waitcnt vmcnt(0)
	v_mov_b32_e32 v9, 0
	v_and_b32_e32 v24, 0x3ff, v31
	s_waitcnt lgkmcnt(0)
	s_cmp_lt_u32 s12, s4
	s_cselect_b32 s6, 12, 18
	s_cmp_lt_u32 s13, s5
	s_cselect_b32 s4, 14, 20
	s_add_u32 s4, s8, s4
	s_addc_u32 s5, s9, 0
	global_load_ushort v15, v9, s[4:5]
	s_add_u32 s4, s8, s6
	s_addc_u32 s5, s9, 0
	global_load_ushort v17, v9, s[4:5]
	s_movk_i32 s4, 0x100
	v_cmp_lt_u32_e32 vcc, s4, v103
	s_waitcnt vmcnt(1)
	v_mad_u32_u24 v15, v18, v15, v16
	s_waitcnt vmcnt(0)
	v_mad_u64_u32 v[22:23], s[4:5], v15, v17, v[24:25]
	s_and_saveexec_b64 s[4:5], vcc
	s_xor_b64 s[34:35], exec, s[4:5]
	s_cbranch_execz .LBB188_179
; %bb.142:
	v_add_co_u32_e32 v0, vcc, v0, v8
	v_mbcnt_hi_u32_b32 v15, -1, v14
	v_addc_co_u32_e32 v1, vcc, 0, v1, vcc
	v_and_b32_e32 v14, 63, v15
	v_lshlrev_b32_e32 v16, 1, v22
	v_add_co_u32_e32 v0, vcc, v0, v14
	v_and_b32_e32 v16, 0xffffff80, v16
	v_addc_co_u32_e32 v1, vcc, 0, v1, vcc
	v_add_co_u32_e32 v0, vcc, v0, v16
	v_addc_co_u32_e32 v1, vcc, 0, v1, vcc
	v_or_b32_e32 v18, v14, v16
	v_mov_b32_e32 v17, v9
	v_cmp_lt_u32_e32 vcc, v18, v103
	v_mov_b32_e32 v25, 0xff
	v_mov_b32_e32 v23, 0xff
	s_and_saveexec_b64 s[4:5], vcc
	s_cbranch_execz .LBB188_144
; %bb.143:
	flat_load_ubyte v25, v[0:1]
.LBB188_144:
	s_or_b64 exec, exec, s[4:5]
	v_or_b32_e32 v18, 64, v18
	v_cmp_lt_u32_e64 s[4:5], v18, v103
	s_and_saveexec_b64 s[6:7], s[4:5]
	s_cbranch_execz .LBB188_146
; %bb.145:
	flat_load_ubyte v23, v[0:1] offset:64
.LBB188_146:
	s_or_b64 exec, exec, s[6:7]
	v_lshlrev_b64 v[0:1], 3, v[8:9]
	v_add_co_u32_e64 v4, s[6:7], v4, v0
	v_addc_co_u32_e64 v5, s[6:7], v5, v1, s[6:7]
	v_lshlrev_b32_e32 v9, 3, v14
	v_add_co_u32_e64 v9, s[6:7], v4, v9
	v_addc_co_u32_e64 v18, s[6:7], 0, v5, s[6:7]
	v_lshlrev_b64 v[4:5], 3, v[16:17]
	v_add_co_u32_e64 v4, s[6:7], v9, v4
	v_addc_co_u32_e64 v5, s[6:7], v18, v5, s[6:7]
                                        ; implicit-def: $vgpr18_vgpr19
	s_and_saveexec_b64 s[6:7], vcc
	s_cbranch_execz .LBB188_148
; %bb.147:
	flat_load_dwordx2 v[18:19], v[4:5]
.LBB188_148:
	s_or_b64 exec, exec, s[6:7]
                                        ; implicit-def: $vgpr20_vgpr21
	s_and_saveexec_b64 s[6:7], s[4:5]
	s_cbranch_execz .LBB188_150
; %bb.149:
	flat_load_dwordx2 v[20:21], v[4:5] offset:512
.LBB188_150:
	s_or_b64 exec, exec, s[6:7]
	v_add_co_u32_e32 v9, vcc, 16, v12
	v_and_b32_e32 v17, 0x3c0, v24
	v_addc_co_u32_e32 v66, vcc, 0, v13, vcc
	v_lshlrev_b32_e32 v16, 4, v24
	v_min_u32_e32 v17, 0xc0, v17
	v_add_co_u32_e32 v26, vcc, v12, v16
	v_or_b32_e32 v17, 63, v17
	s_getpc_b64 s[4:5]
	s_add_u32 s4, s4, _ZN7rocprim17ROCPRIM_400000_NS16block_radix_sortIhLj256ELj2ElLj1ELj1ELj8ELNS0_26block_radix_rank_algorithmE2ELNS0_18block_padding_hintE2ELNS0_4arch9wavefront6targetE1EE19radix_bits_per_passE@rel32@lo+4
	s_addc_u32 s5, s5, _ZN7rocprim17ROCPRIM_400000_NS16block_radix_sortIhLj256ELj2ElLj1ELj1ELj8ELNS0_26block_radix_rank_algorithmE2ELNS0_18block_padding_hintE2ELNS0_4arch9wavefront6targetE1EE19radix_bits_per_passE@rel32@hi+12
	v_addc_co_u32_e32 v27, vcc, 0, v13, vcc
	v_and_b32_e32 v16, 15, v15
	v_cmp_eq_u32_e64 s[14:15], v17, v24
	v_add_u32_e32 v17, -1, v15
	v_and_b32_e32 v28, 64, v15
	s_load_dword s42, s[4:5], 0x0
	v_cmp_eq_u32_e32 vcc, 0, v16
	v_cmp_lt_u32_e64 s[4:5], 1, v16
	v_cmp_lt_u32_e64 s[6:7], 3, v16
	;; [unrolled: 1-line block ×3, first 2 shown]
	v_and_b32_e32 v16, 16, v15
	v_cmp_lt_i32_e64 s[20:21], v17, v28
	v_cmp_eq_u32_e64 s[10:11], 0, v16
	v_lshrrev_b32_e32 v16, 6, v24
	v_cndmask_b32_e64 v17, v17, v15, s[20:21]
	v_mov_b32_e32 v4, 0
	v_lshlrev_b32_e32 v68, 2, v17
	v_lshlrev_b32_e32 v17, 2, v16
	v_add_co_u32_e64 v28, s[24:25], v12, v17
	v_add_u32_e32 v16, -1, v16
	v_mov_b32_e32 v17, v4
	v_lshlrev_b32_e32 v5, 2, v24
	v_addc_co_u32_e64 v29, s[24:25], 0, v13, s[24:25]
	v_lshlrev_b64 v[16:17], 2, v[16:17]
	v_add_co_u32_e64 v30, s[24:25], v12, v5
	v_add_co_u32_e64 v32, s[28:29], v12, v16
	v_addc_co_u32_e64 v31, s[24:25], 0, v13, s[24:25]
	v_and_b32_e32 v5, 3, v15
	v_addc_co_u32_e64 v33, s[28:29], v13, v17, s[28:29]
	v_cmp_eq_u32_e64 s[24:25], 0, v5
	v_cmp_lt_u32_e64 s[26:27], 1, v5
	v_lshlrev_b32_e32 v5, 1, v24
	s_movk_i32 s28, 0x780
	v_and_or_b32 v5, v5, s28, v14
	v_add_co_u32_e64 v36, s[28:29], v12, v5
	v_addc_co_u32_e64 v37, s[28:29], 0, v13, s[28:29]
	v_lshrrev_b32_e32 v67, 6, v22
	v_cmp_lt_u32_e64 s[12:13], 31, v15
	v_cmp_gt_u32_e64 s[16:17], 4, v24
	v_cmp_lt_u32_e64 s[18:19], 63, v24
	v_cmp_eq_u32_e64 s[20:21], 0, v15
	v_cmp_eq_u32_e64 s[22:23], 0, v24
	v_mad_u64_u32 v[48:49], s[28:29], v5, 7, v[36:37]
	v_sub_u32_e32 v69, v11, v10
	s_mov_b64 s[36:37], 0
	v_mov_b32_e32 v14, 0
	v_mov_b32_e32 v15, v4
	;; [unrolled: 1-line block ×4, first 2 shown]
	s_waitcnt lgkmcnt(0)
	s_barrier
	s_branch .LBB188_152
.LBB188_151:                            ;   in Loop: Header=BB188_152 Depth=1
	s_or_b64 exec, exec, s[30:31]
	s_and_b64 s[28:29], exec, s[40:41]
	s_or_b64 s[36:37], s[28:29], s[36:37]
	s_andn2_b64 exec, exec, s[36:37]
	s_cbranch_execz .LBB188_170
.LBB188_152:                            ; =>This Inner Loop Header: Depth=1
	v_min_u32_e32 v5, s42, v69
	v_lshlrev_b32_e64 v5, v5, -1
	s_waitcnt vmcnt(0)
	v_pk_mov_b32 v[34:35], v[20:21], v[20:21] op_sel:[0,1]
	v_not_b32_e32 v20, v5
	v_lshrrev_b32_sdwa v5, v10, v25 dst_sel:DWORD dst_unused:UNUSED_PAD src0_sel:DWORD src1_sel:BYTE_0
	v_pk_mov_b32 v[38:39], v[18:19], v[18:19] op_sel:[0,1]
	v_and_b32_e32 v18, v5, v20
	v_lshlrev_b32_e32 v5, 2, v18
	v_add_lshl_u32 v5, v5, v67, 2
	v_add_co_u32_e64 v50, s[28:29], v9, v5
	v_addc_co_u32_e64 v51, s[28:29], 0, v66, s[28:29]
	v_and_b32_e32 v5, 1, v18
	v_add_co_u32_e64 v19, s[28:29], -1, v5
	v_addc_co_u32_e64 v21, s[28:29], 0, -1, s[28:29]
	v_cmp_ne_u32_e64 s[28:29], 0, v5
	v_xor_b32_e32 v5, s29, v21
	v_and_b32_e32 v21, exec_hi, v5
	v_lshlrev_b32_e32 v5, 30, v18
	v_xor_b32_e32 v19, s28, v19
	v_cmp_gt_i64_e64 s[28:29], 0, v[4:5]
	v_not_b32_e32 v5, v5
	v_ashrrev_i32_e32 v5, 31, v5
	v_and_b32_e32 v19, exec_lo, v19
	v_xor_b32_e32 v52, s29, v5
	v_xor_b32_e32 v5, s28, v5
	v_and_b32_e32 v19, v19, v5
	v_lshlrev_b32_e32 v5, 29, v18
	v_cmp_gt_i64_e64 s[28:29], 0, v[4:5]
	v_not_b32_e32 v5, v5
	v_ashrrev_i32_e32 v5, 31, v5
	v_and_b32_e32 v21, v21, v52
	v_xor_b32_e32 v52, s29, v5
	v_xor_b32_e32 v5, s28, v5
	v_and_b32_e32 v19, v19, v5
	v_lshlrev_b32_e32 v5, 28, v18
	v_cmp_gt_i64_e64 s[28:29], 0, v[4:5]
	v_not_b32_e32 v5, v5
	v_ashrrev_i32_e32 v5, 31, v5
	v_and_b32_e32 v21, v21, v52
	;; [unrolled: 8-line block ×5, first 2 shown]
	v_xor_b32_e32 v52, s29, v5
	v_xor_b32_e32 v5, s28, v5
	v_and_b32_e32 v21, v21, v52
	v_and_b32_e32 v52, v19, v5
	v_lshlrev_b32_e32 v5, 24, v18
	v_cmp_gt_i64_e64 s[28:29], 0, v[4:5]
	v_not_b32_e32 v5, v5
	v_ashrrev_i32_e32 v5, 31, v5
	v_xor_b32_e32 v18, s29, v5
	v_xor_b32_e32 v5, s28, v5
	v_and_b32_e32 v19, v21, v18
	v_and_b32_e32 v18, v52, v5
	v_mbcnt_lo_u32_b32 v5, v18, 0
	v_mbcnt_hi_u32_b32 v54, v19, v5
	v_cmp_eq_u32_e64 s[28:29], 0, v54
	v_cmp_ne_u64_e64 s[30:31], 0, v[18:19]
	s_and_b64 s[30:31], s[30:31], s[28:29]
	flat_store_dwordx4 v[26:27], v[14:17] offset:16
	s_waitcnt lgkmcnt(0)
	s_barrier
	s_waitcnt lgkmcnt(0)
	; wave barrier
	s_and_saveexec_b64 s[28:29], s[30:31]
	s_cbranch_execz .LBB188_154
; %bb.153:                              ;   in Loop: Header=BB188_152 Depth=1
	v_bcnt_u32_b32 v5, v18, 0
	v_bcnt_u32_b32 v5, v19, v5
	flat_store_dword v[50:51], v5
.LBB188_154:                            ;   in Loop: Header=BB188_152 Depth=1
	s_or_b64 exec, exec, s[28:29]
	v_lshrrev_b32_sdwa v5, v10, v23 dst_sel:DWORD dst_unused:UNUSED_PAD src0_sel:DWORD src1_sel:BYTE_0
	v_and_b32_e32 v18, v5, v20
	v_lshlrev_b32_e32 v5, 2, v18
	v_add_lshl_u32 v5, v5, v67, 2
	v_add_co_u32_e64 v52, s[28:29], v9, v5
	v_addc_co_u32_e64 v53, s[28:29], 0, v66, s[28:29]
	; wave barrier
	flat_load_dword v55, v[52:53]
	v_and_b32_e32 v5, 1, v18
	v_add_co_u32_e64 v19, s[28:29], -1, v5
	v_addc_co_u32_e64 v20, s[28:29], 0, -1, s[28:29]
	v_cmp_ne_u32_e64 s[28:29], 0, v5
	v_xor_b32_e32 v5, s29, v20
	v_and_b32_e32 v20, exec_hi, v5
	v_lshlrev_b32_e32 v5, 30, v18
	v_xor_b32_e32 v19, s28, v19
	v_cmp_gt_i64_e64 s[28:29], 0, v[4:5]
	v_not_b32_e32 v5, v5
	v_ashrrev_i32_e32 v5, 31, v5
	v_and_b32_e32 v19, exec_lo, v19
	v_xor_b32_e32 v21, s29, v5
	v_xor_b32_e32 v5, s28, v5
	v_and_b32_e32 v19, v19, v5
	v_lshlrev_b32_e32 v5, 29, v18
	v_cmp_gt_i64_e64 s[28:29], 0, v[4:5]
	v_not_b32_e32 v5, v5
	v_ashrrev_i32_e32 v5, 31, v5
	v_and_b32_e32 v20, v20, v21
	v_xor_b32_e32 v21, s29, v5
	v_xor_b32_e32 v5, s28, v5
	v_and_b32_e32 v19, v19, v5
	v_lshlrev_b32_e32 v5, 28, v18
	v_cmp_gt_i64_e64 s[28:29], 0, v[4:5]
	v_not_b32_e32 v5, v5
	v_ashrrev_i32_e32 v5, 31, v5
	v_and_b32_e32 v20, v20, v21
	;; [unrolled: 8-line block ×5, first 2 shown]
	v_xor_b32_e32 v21, s29, v5
	v_xor_b32_e32 v5, s28, v5
	v_and_b32_e32 v20, v20, v21
	v_and_b32_e32 v21, v19, v5
	v_lshlrev_b32_e32 v5, 24, v18
	v_cmp_gt_i64_e64 s[28:29], 0, v[4:5]
	v_not_b32_e32 v5, v5
	v_ashrrev_i32_e32 v5, 31, v5
	v_xor_b32_e32 v18, s29, v5
	v_xor_b32_e32 v5, s28, v5
	v_and_b32_e32 v19, v20, v18
	v_and_b32_e32 v18, v21, v5
	v_mbcnt_lo_u32_b32 v5, v18, 0
	v_mbcnt_hi_u32_b32 v5, v19, v5
	v_cmp_eq_u32_e64 s[28:29], 0, v5
	v_cmp_ne_u64_e64 s[30:31], 0, v[18:19]
	s_and_b64 s[30:31], s[30:31], s[28:29]
	; wave barrier
	s_and_saveexec_b64 s[28:29], s[30:31]
	s_cbranch_execz .LBB188_156
; %bb.155:                              ;   in Loop: Header=BB188_152 Depth=1
	v_bcnt_u32_b32 v18, v18, 0
	v_bcnt_u32_b32 v18, v19, v18
	s_waitcnt vmcnt(0) lgkmcnt(0)
	v_add_u32_e32 v18, v55, v18
	flat_store_dword v[52:53], v18
.LBB188_156:                            ;   in Loop: Header=BB188_152 Depth=1
	s_or_b64 exec, exec, s[28:29]
	; wave barrier
	s_waitcnt lgkmcnt(0)
	s_barrier
	flat_load_dwordx4 v[18:21], v[26:27] offset:16
	s_waitcnt vmcnt(0) lgkmcnt(0)
	v_add_u32_e32 v64, v19, v18
	v_add3_u32 v21, v64, v20, v21
	s_nop 1
	v_mov_b32_dpp v64, v21 row_shr:1 row_mask:0xf bank_mask:0xf
	v_cndmask_b32_e64 v64, v64, 0, vcc
	v_add_u32_e32 v21, v64, v21
	s_nop 1
	v_mov_b32_dpp v64, v21 row_shr:2 row_mask:0xf bank_mask:0xf
	v_cndmask_b32_e64 v64, 0, v64, s[4:5]
	v_add_u32_e32 v21, v21, v64
	s_nop 1
	v_mov_b32_dpp v64, v21 row_shr:4 row_mask:0xf bank_mask:0xf
	v_cndmask_b32_e64 v64, 0, v64, s[6:7]
	;; [unrolled: 4-line block ×3, first 2 shown]
	v_add_u32_e32 v21, v21, v64
	s_nop 1
	v_mov_b32_dpp v64, v21 row_bcast:15 row_mask:0xf bank_mask:0xf
	v_cndmask_b32_e64 v64, v64, 0, s[10:11]
	v_add_u32_e32 v21, v21, v64
	s_nop 1
	v_mov_b32_dpp v64, v21 row_bcast:31 row_mask:0xf bank_mask:0xf
	v_cndmask_b32_e64 v64, 0, v64, s[12:13]
	v_add_u32_e32 v21, v21, v64
	s_and_saveexec_b64 s[28:29], s[14:15]
	s_cbranch_execz .LBB188_158
; %bb.157:                              ;   in Loop: Header=BB188_152 Depth=1
	flat_store_dword v[28:29], v21
.LBB188_158:                            ;   in Loop: Header=BB188_152 Depth=1
	s_or_b64 exec, exec, s[28:29]
	s_waitcnt lgkmcnt(0)
	s_barrier
	s_and_saveexec_b64 s[28:29], s[16:17]
	s_cbranch_execz .LBB188_160
; %bb.159:                              ;   in Loop: Header=BB188_152 Depth=1
	flat_load_dword v64, v[30:31]
	s_waitcnt vmcnt(0) lgkmcnt(0)
	s_nop 0
	v_mov_b32_dpp v65, v64 row_shr:1 row_mask:0xf bank_mask:0xf
	v_cndmask_b32_e64 v65, v65, 0, s[24:25]
	v_add_u32_e32 v64, v65, v64
	s_nop 1
	v_mov_b32_dpp v65, v64 row_shr:2 row_mask:0xf bank_mask:0xf
	v_cndmask_b32_e64 v65, 0, v65, s[26:27]
	v_add_u32_e32 v64, v64, v65
	flat_store_dword v[30:31], v64
.LBB188_160:                            ;   in Loop: Header=BB188_152 Depth=1
	s_or_b64 exec, exec, s[28:29]
	v_mov_b32_e32 v64, 0
	s_waitcnt lgkmcnt(0)
	s_barrier
	s_and_saveexec_b64 s[28:29], s[18:19]
	s_cbranch_execz .LBB188_162
; %bb.161:                              ;   in Loop: Header=BB188_152 Depth=1
	flat_load_dword v64, v[32:33]
.LBB188_162:                            ;   in Loop: Header=BB188_152 Depth=1
	s_or_b64 exec, exec, s[28:29]
	s_waitcnt vmcnt(0) lgkmcnt(0)
	v_add_u32_e32 v21, v64, v21
	ds_bpermute_b32 v21, v68, v21
	v_add_u32_e32 v10, 8, v10
	v_cmp_lt_u32_e64 s[28:29], v10, v11
	s_mov_b64 s[40:41], -1
	s_waitcnt lgkmcnt(0)
	v_cndmask_b32_e64 v21, v21, v64, s[20:21]
	v_cndmask_b32_e64 v80, v21, 0, s[22:23]
	v_add_u32_e32 v81, v80, v18
	v_add_u32_e32 v82, v81, v19
	;; [unrolled: 1-line block ×3, first 2 shown]
	flat_store_dwordx4 v[26:27], v[80:83] offset:16
	s_waitcnt lgkmcnt(0)
	s_barrier
	flat_load_dword v18, v[50:51]
	flat_load_dword v19, v[52:53]
	v_mov_b32_e32 v51, v25
	v_mov_b32_e32 v53, v23
	s_waitcnt lgkmcnt(0)
                                        ; implicit-def: $vgpr20_vgpr21
	s_waitcnt vmcnt(0) lgkmcnt(0)
	v_add_u32_e32 v52, v18, v54
	v_add_co_u32_e64 v54, s[30:31], v12, v52
	v_add3_u32 v50, v5, v55, v19
	v_addc_co_u32_e64 v55, s[30:31], 0, v13, s[30:31]
	v_add_co_u32_e64 v64, s[30:31], v12, v50
	v_addc_co_u32_e64 v65, s[30:31], 0, v13, s[30:31]
                                        ; implicit-def: $vgpr18_vgpr19
	s_and_saveexec_b64 s[30:31], s[28:29]
	s_cbranch_execz .LBB188_151
; %bb.163:                              ;   in Loop: Header=BB188_152 Depth=1
	v_mad_u64_u32 v[18:19], s[28:29], v52, 7, v[54:55]
	s_barrier
	flat_store_byte v[54:55], v25
	flat_store_byte v[64:65], v23
	s_waitcnt lgkmcnt(0)
	s_barrier
	flat_load_ubyte v23, v[36:37] offset:64
	flat_load_ubyte v25, v[36:37]
	s_waitcnt lgkmcnt(0)
	s_barrier
	flat_store_dwordx2 v[18:19], v[38:39]
	v_mad_u64_u32 v[18:19], s[28:29], v50, 7, v[64:65]
	flat_store_dwordx2 v[18:19], v[34:35]
	s_waitcnt lgkmcnt(0)
	s_barrier
	flat_load_dwordx2 v[18:19], v[48:49]
	flat_load_dwordx2 v[20:21], v[48:49] offset:512
	v_add_u32_e32 v69, -8, v69
	s_xor_b64 s[40:41], exec, -1
	s_waitcnt lgkmcnt(0)
	s_barrier
	s_branch .LBB188_151
.LBB188_164:
	flat_load_dwordx2 v[18:19], v[4:5]
	s_or_b64 exec, exec, s[14:15]
                                        ; implicit-def: $vgpr20_vgpr21
	s_and_saveexec_b64 s[14:15], s[4:5]
	s_cbranch_execz .LBB188_91
.LBB188_165:
	flat_load_dwordx2 v[20:21], v[4:5] offset:512
	s_or_b64 exec, exec, s[14:15]
                                        ; implicit-def: $vgpr54_vgpr55
	s_and_saveexec_b64 s[4:5], s[6:7]
	s_cbranch_execz .LBB188_92
.LBB188_166:
	flat_load_dwordx2 v[54:55], v[4:5] offset:1024
	s_or_b64 exec, exec, s[4:5]
                                        ; implicit-def: $vgpr64_vgpr65
	s_and_saveexec_b64 s[4:5], s[10:11]
	s_cbranch_execnz .LBB188_93
	s_branch .LBB188_94
.LBB188_167:
	s_waitcnt vmcnt(0)
	flat_store_dwordx2 v[0:1], v[14:15]
	s_or_b64 exec, exec, s[14:15]
	s_and_saveexec_b64 s[14:15], s[6:7]
	s_cbranch_execz .LBB188_136
.LBB188_168:
	s_waitcnt vmcnt(0)
	flat_store_dwordx2 v[0:1], v[12:13] offset:2048
	s_or_b64 exec, exec, s[14:15]
	s_and_saveexec_b64 s[6:7], s[10:11]
	s_cbranch_execz .LBB188_137
.LBB188_169:
	v_add_co_u32_e32 v2, vcc, 0x1000, v0
	v_addc_co_u32_e32 v3, vcc, 0, v1, vcc
	s_waitcnt vmcnt(0)
	flat_store_dwordx2 v[2:3], v[10:11]
	s_or_b64 exec, exec, s[6:7]
	s_and_saveexec_b64 s[6:7], s[4:5]
	s_cbranch_execnz .LBB188_138
	s_branch .LBB188_139
.LBB188_170:
	s_or_b64 exec, exec, s[36:37]
	v_add_co_u32_e32 v4, vcc, v12, v24
	v_addc_co_u32_e32 v5, vcc, 0, v13, vcc
	v_mad_u64_u32 v[10:11], s[4:5], v52, 7, v[54:55]
	s_barrier
	flat_store_byte v[54:55], v51
	flat_store_byte v[64:65], v53
	s_waitcnt lgkmcnt(0)
	s_barrier
	flat_load_ubyte v12, v[4:5]
	flat_load_ubyte v9, v[4:5] offset:256
	s_waitcnt lgkmcnt(0)
	s_barrier
	flat_store_dwordx2 v[10:11], v[38:39]
	v_mad_u64_u32 v[10:11], s[4:5], v50, 7, v[64:65]
	v_mad_u64_u32 v[14:15], s[4:5], v24, 7, v[4:5]
	flat_store_dwordx2 v[10:11], v[34:35]
	s_waitcnt lgkmcnt(0)
	s_barrier
	flat_load_dwordx2 v[10:11], v[14:15]
	flat_load_dwordx2 v[4:5], v[14:15] offset:2048
	v_add_co_u32_e32 v2, vcc, v2, v8
	v_addc_co_u32_e32 v3, vcc, 0, v3, vcc
	v_add_co_u32_e32 v2, vcc, v2, v22
	v_addc_co_u32_e32 v3, vcc, 0, v3, vcc
	s_waitcnt vmcnt(0)
	v_mov_b32_e32 v23, 0
	v_cmp_lt_u32_e32 vcc, v22, v103
	s_waitcnt lgkmcnt(0)
	s_barrier
	s_and_saveexec_b64 s[4:5], vcc
	s_cbranch_execz .LBB188_172
; %bb.171:
	flat_store_byte v[2:3], v12
.LBB188_172:
	s_or_b64 exec, exec, s[4:5]
	v_add_u32_e32 v8, 0x100, v22
	v_cmp_lt_u32_e64 s[4:5], v8, v103
	s_and_saveexec_b64 s[6:7], s[4:5]
	s_cbranch_execz .LBB188_174
; %bb.173:
	flat_store_byte v[2:3], v9 offset:256
.LBB188_174:
	s_or_b64 exec, exec, s[6:7]
	v_add_co_u32_e64 v2, s[6:7], v6, v0
	v_addc_co_u32_e64 v3, s[6:7], v7, v1, s[6:7]
	v_lshlrev_b64 v[0:1], 3, v[22:23]
	v_add_co_u32_e64 v0, s[6:7], v2, v0
	v_addc_co_u32_e64 v1, s[6:7], v3, v1, s[6:7]
	s_and_saveexec_b64 s[6:7], vcc
	s_cbranch_execz .LBB188_176
; %bb.175:
	flat_store_dwordx2 v[0:1], v[10:11]
.LBB188_176:
	s_or_b64 exec, exec, s[6:7]
	s_and_saveexec_b64 s[6:7], s[4:5]
	s_cbranch_execz .LBB188_178
; %bb.177:
	flat_store_dwordx2 v[0:1], v[4:5] offset:2048
.LBB188_178:
	s_or_b64 exec, exec, s[6:7]
                                        ; implicit-def: $vgpr24
                                        ; implicit-def: $vgpr22_vgpr23
                                        ; implicit-def: $vgpr8_vgpr9
                                        ; implicit-def: $vgpr103
                                        ; implicit-def: $vgpr0
                                        ; implicit-def: $vgpr1
                                        ; implicit-def: $vgpr2
                                        ; implicit-def: $vgpr3
                                        ; implicit-def: $vgpr4
                                        ; implicit-def: $vgpr5
                                        ; implicit-def: $vgpr6
                                        ; implicit-def: $vgpr7
                                        ; implicit-def: $vgpr10
                                        ; implicit-def: $vgpr11
                                        ; implicit-def: $vgpr12
                                        ; implicit-def: $vgpr13
                                        ; implicit-def: $vgpr14
.LBB188_179:
	s_andn2_saveexec_b64 s[4:5], s[34:35]
	s_cbranch_execz .LBB188_199
; %bb.180:
	v_mbcnt_hi_u32_b32 v17, -1, v14
	v_bfi_b32 v15, 63, v17, v22
	v_and_b32_e32 v16, 63, v17
	v_and_b32_e32 v14, 0xffffffc0, v22
	v_cmp_lt_u32_e32 vcc, v15, v103
	v_mov_b32_e32 v21, 0xff
	s_and_saveexec_b64 s[6:7], vcc
	s_cbranch_execz .LBB188_182
; %bb.181:
	v_add_co_u32_e64 v0, s[4:5], v0, v8
	v_addc_co_u32_e64 v1, s[4:5], 0, v1, s[4:5]
	v_add_co_u32_e64 v0, s[4:5], v0, v16
	v_addc_co_u32_e64 v1, s[4:5], 0, v1, s[4:5]
	v_add_co_u32_e64 v0, s[4:5], v0, v14
	v_addc_co_u32_e64 v1, s[4:5], 0, v1, s[4:5]
	flat_load_ubyte v21, v[0:1]
.LBB188_182:
	s_or_b64 exec, exec, s[6:7]
	v_lshlrev_b64 v[0:1], 3, v[8:9]
                                        ; implicit-def: $vgpr18_vgpr19
	s_and_saveexec_b64 s[4:5], vcc
	s_cbranch_execz .LBB188_184
; %bb.183:
	v_add_co_u32_e32 v4, vcc, v4, v0
	v_addc_co_u32_e32 v5, vcc, v5, v1, vcc
	v_lshlrev_b32_e32 v9, 3, v16
	v_mov_b32_e32 v15, 0
	v_add_co_u32_e32 v9, vcc, v4, v9
	v_addc_co_u32_e32 v18, vcc, 0, v5, vcc
	v_lshlrev_b64 v[4:5], 3, v[14:15]
	v_add_co_u32_e32 v4, vcc, v9, v4
	v_addc_co_u32_e32 v5, vcc, v18, v5, vcc
	flat_load_dwordx2 v[18:19], v[4:5]
.LBB188_184:
	s_or_b64 exec, exec, s[4:5]
	v_add_co_u32_e32 v9, vcc, 16, v12
	v_and_b32_e32 v20, 0x3c0, v24
	v_addc_co_u32_e32 v23, vcc, 0, v13, vcc
	v_lshlrev_b32_e32 v14, 4, v24
	v_min_u32_e32 v15, 0xc0, v20
	v_add_co_u32_e32 v26, vcc, v12, v14
	v_or_b32_e32 v15, 63, v15
	s_getpc_b64 s[4:5]
	s_add_u32 s4, s4, _ZN7rocprim17ROCPRIM_400000_NS16block_radix_sortIhLj256ELj1ElLj1ELj1ELj8ELNS0_26block_radix_rank_algorithmE2ELNS0_18block_padding_hintE2ELNS0_4arch9wavefront6targetE1EE19radix_bits_per_passE@rel32@lo+4
	s_addc_u32 s5, s5, _ZN7rocprim17ROCPRIM_400000_NS16block_radix_sortIhLj256ELj1ElLj1ELj1ELj8ELNS0_26block_radix_rank_algorithmE2ELNS0_18block_padding_hintE2ELNS0_4arch9wavefront6targetE1EE19radix_bits_per_passE@rel32@hi+12
	v_addc_co_u32_e32 v27, vcc, 0, v13, vcc
	v_and_b32_e32 v14, 15, v17
	v_cmp_eq_u32_e64 s[14:15], v15, v24
	v_add_u32_e32 v15, -1, v17
	v_and_b32_e32 v28, 64, v17
	s_load_dword s40, s[4:5], 0x0
	v_cmp_eq_u32_e32 vcc, 0, v14
	v_cmp_lt_u32_e64 s[4:5], 1, v14
	v_cmp_lt_u32_e64 s[6:7], 3, v14
	;; [unrolled: 1-line block ×3, first 2 shown]
	v_and_b32_e32 v14, 16, v17
	v_cmp_lt_i32_e64 s[20:21], v15, v28
	v_cmp_eq_u32_e64 s[10:11], 0, v14
	v_lshrrev_b32_e32 v14, 6, v24
	v_cndmask_b32_e64 v15, v15, v17, s[20:21]
	v_lshlrev_b32_e32 v50, 2, v15
	v_lshlrev_b32_e32 v15, 2, v14
	v_mov_b32_e32 v4, 0
	v_add_co_u32_e64 v28, s[24:25], v12, v15
	v_lshlrev_b32_e32 v5, 2, v24
	v_addc_co_u32_e64 v29, s[24:25], 0, v13, s[24:25]
	v_add_u32_e32 v14, -1, v14
	v_mov_b32_e32 v15, v4
	v_add_co_u32_e64 v30, s[24:25], v12, v5
	v_lshlrev_b64 v[14:15], 2, v[14:15]
	v_addc_co_u32_e64 v31, s[24:25], 0, v13, s[24:25]
	v_and_b32_e32 v5, 3, v17
	v_add_co_u32_e64 v32, s[28:29], v12, v14
	v_cmp_eq_u32_e64 s[24:25], 0, v5
	v_cmp_lt_u32_e64 s[26:27], 1, v5
	v_addc_co_u32_e64 v33, s[28:29], v13, v15, s[28:29]
	v_or_b32_e32 v5, v16, v20
	v_add_co_u32_e64 v36, s[28:29], v12, v5
	v_addc_co_u32_e64 v37, s[28:29], 0, v13, s[28:29]
	v_lshrrev_b32_e32 v25, 6, v22
	v_cmp_lt_u32_e64 s[12:13], 31, v17
	v_cmp_gt_u32_e64 s[16:17], 4, v24
	v_cmp_lt_u32_e64 s[18:19], 63, v24
	v_cmp_eq_u32_e64 s[20:21], 0, v17
	v_cmp_eq_u32_e64 s[22:23], 0, v24
	v_mad_u64_u32 v[38:39], s[28:29], v5, 7, v[36:37]
	v_sub_u32_e32 v51, v11, v10
	s_mov_b64 s[34:35], 0
	v_mov_b32_e32 v14, 0
	v_mov_b32_e32 v15, v4
	v_mov_b32_e32 v16, v4
	v_mov_b32_e32 v17, v4
	s_waitcnt lgkmcnt(0)
	s_barrier
	s_branch .LBB188_186
.LBB188_185:                            ;   in Loop: Header=BB188_186 Depth=1
	s_or_b64 exec, exec, s[30:31]
	s_and_b64 s[28:29], exec, s[36:37]
	s_or_b64 s[34:35], s[28:29], s[34:35]
	s_andn2_b64 exec, exec, s[34:35]
	s_cbranch_execz .LBB188_196
.LBB188_186:                            ; =>This Inner Loop Header: Depth=1
	s_waitcnt vmcnt(0)
	v_mov_b32_e32 v52, v21
	v_pk_mov_b32 v[34:35], v[18:19], v[18:19] op_sel:[0,1]
	v_min_u32_e32 v5, s40, v51
	v_lshrrev_b32_sdwa v18, v10, v52 dst_sel:DWORD dst_unused:UNUSED_PAD src0_sel:DWORD src1_sel:BYTE_0
	v_bfe_u32 v18, v18, 0, v5
	v_lshlrev_b32_e32 v5, 2, v18
	v_add_lshl_u32 v5, v5, v25, 2
	v_add_co_u32_e64 v48, s[28:29], v9, v5
	v_addc_co_u32_e64 v49, s[28:29], 0, v23, s[28:29]
	v_and_b32_e32 v5, 1, v18
	v_add_co_u32_e64 v19, s[28:29], -1, v5
	v_addc_co_u32_e64 v20, s[28:29], 0, -1, s[28:29]
	v_cmp_ne_u32_e64 s[28:29], 0, v5
	v_xor_b32_e32 v5, s29, v20
	v_and_b32_e32 v20, exec_hi, v5
	v_lshlrev_b32_e32 v5, 30, v18
	v_xor_b32_e32 v19, s28, v19
	v_cmp_gt_i64_e64 s[28:29], 0, v[4:5]
	v_not_b32_e32 v5, v5
	v_ashrrev_i32_e32 v5, 31, v5
	v_and_b32_e32 v19, exec_lo, v19
	v_xor_b32_e32 v21, s29, v5
	v_xor_b32_e32 v5, s28, v5
	v_and_b32_e32 v19, v19, v5
	v_lshlrev_b32_e32 v5, 29, v18
	v_cmp_gt_i64_e64 s[28:29], 0, v[4:5]
	v_not_b32_e32 v5, v5
	v_ashrrev_i32_e32 v5, 31, v5
	v_and_b32_e32 v20, v20, v21
	v_xor_b32_e32 v21, s29, v5
	v_xor_b32_e32 v5, s28, v5
	v_and_b32_e32 v19, v19, v5
	v_lshlrev_b32_e32 v5, 28, v18
	v_cmp_gt_i64_e64 s[28:29], 0, v[4:5]
	v_not_b32_e32 v5, v5
	v_ashrrev_i32_e32 v5, 31, v5
	v_and_b32_e32 v20, v20, v21
	;; [unrolled: 8-line block ×5, first 2 shown]
	v_xor_b32_e32 v21, s29, v5
	v_xor_b32_e32 v5, s28, v5
	v_and_b32_e32 v20, v20, v21
	v_and_b32_e32 v21, v19, v5
	v_lshlrev_b32_e32 v5, 24, v18
	v_cmp_gt_i64_e64 s[28:29], 0, v[4:5]
	v_not_b32_e32 v5, v5
	v_ashrrev_i32_e32 v5, 31, v5
	v_xor_b32_e32 v18, s29, v5
	v_xor_b32_e32 v5, s28, v5
	v_and_b32_e32 v19, v20, v18
	v_and_b32_e32 v18, v21, v5
	v_mbcnt_lo_u32_b32 v5, v18, 0
	v_mbcnt_hi_u32_b32 v5, v19, v5
	v_cmp_eq_u32_e64 s[28:29], 0, v5
	v_cmp_ne_u64_e64 s[30:31], 0, v[18:19]
	s_and_b64 s[30:31], s[30:31], s[28:29]
	flat_store_dwordx4 v[26:27], v[14:17] offset:16
	s_waitcnt lgkmcnt(0)
	s_barrier
	s_waitcnt lgkmcnt(0)
	; wave barrier
	s_and_saveexec_b64 s[28:29], s[30:31]
	s_cbranch_execz .LBB188_188
; %bb.187:                              ;   in Loop: Header=BB188_186 Depth=1
	v_bcnt_u32_b32 v18, v18, 0
	v_bcnt_u32_b32 v18, v19, v18
	flat_store_dword v[48:49], v18
.LBB188_188:                            ;   in Loop: Header=BB188_186 Depth=1
	s_or_b64 exec, exec, s[28:29]
	; wave barrier
	s_waitcnt lgkmcnt(0)
	s_barrier
	flat_load_dwordx4 v[18:21], v[26:27] offset:16
	s_waitcnt vmcnt(0) lgkmcnt(0)
	v_add_u32_e32 v53, v19, v18
	v_add3_u32 v21, v53, v20, v21
	s_nop 1
	v_mov_b32_dpp v53, v21 row_shr:1 row_mask:0xf bank_mask:0xf
	v_cndmask_b32_e64 v53, v53, 0, vcc
	v_add_u32_e32 v21, v53, v21
	s_nop 1
	v_mov_b32_dpp v53, v21 row_shr:2 row_mask:0xf bank_mask:0xf
	v_cndmask_b32_e64 v53, 0, v53, s[4:5]
	v_add_u32_e32 v21, v21, v53
	s_nop 1
	v_mov_b32_dpp v53, v21 row_shr:4 row_mask:0xf bank_mask:0xf
	v_cndmask_b32_e64 v53, 0, v53, s[6:7]
	;; [unrolled: 4-line block ×3, first 2 shown]
	v_add_u32_e32 v21, v21, v53
	s_nop 1
	v_mov_b32_dpp v53, v21 row_bcast:15 row_mask:0xf bank_mask:0xf
	v_cndmask_b32_e64 v53, v53, 0, s[10:11]
	v_add_u32_e32 v21, v21, v53
	s_nop 1
	v_mov_b32_dpp v53, v21 row_bcast:31 row_mask:0xf bank_mask:0xf
	v_cndmask_b32_e64 v53, 0, v53, s[12:13]
	v_add_u32_e32 v21, v21, v53
	s_and_saveexec_b64 s[28:29], s[14:15]
	s_cbranch_execz .LBB188_190
; %bb.189:                              ;   in Loop: Header=BB188_186 Depth=1
	flat_store_dword v[28:29], v21
.LBB188_190:                            ;   in Loop: Header=BB188_186 Depth=1
	s_or_b64 exec, exec, s[28:29]
	s_waitcnt lgkmcnt(0)
	s_barrier
	s_and_saveexec_b64 s[28:29], s[16:17]
	s_cbranch_execz .LBB188_192
; %bb.191:                              ;   in Loop: Header=BB188_186 Depth=1
	flat_load_dword v53, v[30:31]
	s_waitcnt vmcnt(0) lgkmcnt(0)
	s_nop 0
	v_mov_b32_dpp v54, v53 row_shr:1 row_mask:0xf bank_mask:0xf
	v_cndmask_b32_e64 v54, v54, 0, s[24:25]
	v_add_u32_e32 v53, v54, v53
	s_nop 1
	v_mov_b32_dpp v54, v53 row_shr:2 row_mask:0xf bank_mask:0xf
	v_cndmask_b32_e64 v54, 0, v54, s[26:27]
	v_add_u32_e32 v53, v53, v54
	flat_store_dword v[30:31], v53
.LBB188_192:                            ;   in Loop: Header=BB188_186 Depth=1
	s_or_b64 exec, exec, s[28:29]
	v_mov_b32_e32 v53, 0
	s_waitcnt lgkmcnt(0)
	s_barrier
	s_and_saveexec_b64 s[28:29], s[18:19]
	s_cbranch_execz .LBB188_194
; %bb.193:                              ;   in Loop: Header=BB188_186 Depth=1
	flat_load_dword v53, v[32:33]
.LBB188_194:                            ;   in Loop: Header=BB188_186 Depth=1
	s_or_b64 exec, exec, s[28:29]
	s_waitcnt vmcnt(0) lgkmcnt(0)
	v_add_u32_e32 v21, v53, v21
	ds_bpermute_b32 v21, v50, v21
	v_add_u32_e32 v10, 8, v10
	v_cmp_lt_u32_e64 s[28:29], v10, v11
	s_mov_b64 s[36:37], -1
	s_waitcnt lgkmcnt(0)
	v_cndmask_b32_e64 v21, v21, v53, s[20:21]
	v_cndmask_b32_e64 v64, v21, 0, s[22:23]
	v_add_u32_e32 v65, v64, v18
	v_add_u32_e32 v66, v65, v19
	;; [unrolled: 1-line block ×3, first 2 shown]
	flat_store_dwordx4 v[26:27], v[64:67] offset:16
	s_waitcnt lgkmcnt(0)
	s_barrier
	flat_load_dword v18, v[48:49]
	s_waitcnt lgkmcnt(0)
                                        ; implicit-def: $vgpr21
	s_waitcnt vmcnt(0) lgkmcnt(0)
	v_add_u32_e32 v20, v18, v5
	v_add_co_u32_e64 v48, s[30:31], v12, v20
	v_addc_co_u32_e64 v49, s[30:31], 0, v13, s[30:31]
                                        ; implicit-def: $vgpr18_vgpr19
	s_and_saveexec_b64 s[30:31], s[28:29]
	s_cbranch_execz .LBB188_185
; %bb.195:                              ;   in Loop: Header=BB188_186 Depth=1
	v_mad_u64_u32 v[18:19], s[28:29], v20, 7, v[48:49]
	s_barrier
	flat_store_byte v[48:49], v52
	s_waitcnt lgkmcnt(0)
	s_barrier
	flat_load_ubyte v21, v[36:37]
	s_waitcnt lgkmcnt(0)
	s_barrier
	flat_store_dwordx2 v[18:19], v[34:35]
	s_waitcnt lgkmcnt(0)
	s_barrier
	flat_load_dwordx2 v[18:19], v[38:39]
	v_add_u32_e32 v51, -8, v51
	s_xor_b64 s[36:37], exec, -1
	s_waitcnt lgkmcnt(0)
	s_barrier
	s_branch .LBB188_185
.LBB188_196:
	s_or_b64 exec, exec, s[34:35]
	v_add_co_u32_e32 v4, vcc, v12, v24
	v_addc_co_u32_e32 v5, vcc, 0, v13, vcc
	s_barrier
	flat_store_byte v[48:49], v52
	s_waitcnt lgkmcnt(0)
	s_barrier
	flat_load_ubyte v9, v[4:5]
	v_mad_u64_u32 v[10:11], s[4:5], v20, 7, v[48:49]
	v_mad_u64_u32 v[4:5], s[4:5], v24, 7, v[4:5]
	s_waitcnt lgkmcnt(0)
	s_barrier
	flat_store_dwordx2 v[10:11], v[34:35]
	s_waitcnt lgkmcnt(0)
	s_barrier
	flat_load_dwordx2 v[4:5], v[4:5]
	v_cmp_lt_u32_e32 vcc, v22, v103
	s_waitcnt lgkmcnt(0)
	s_barrier
	s_and_saveexec_b64 s[4:5], vcc
	s_cbranch_execz .LBB188_198
; %bb.197:
	v_add_co_u32_e32 v6, vcc, v6, v0
	v_mov_b32_e32 v23, 0
	v_addc_co_u32_e32 v7, vcc, v7, v1, vcc
	v_lshlrev_b64 v[0:1], 3, v[22:23]
	v_add_co_u32_e32 v0, vcc, v6, v0
	v_addc_co_u32_e32 v1, vcc, v7, v1, vcc
	v_add_co_u32_e32 v2, vcc, v2, v8
	v_addc_co_u32_e32 v3, vcc, 0, v3, vcc
	;; [unrolled: 2-line block ×3, first 2 shown]
	s_waitcnt vmcnt(0)
	flat_store_byte v[2:3], v9
	flat_store_dwordx2 v[0:1], v[4:5]
.LBB188_198:
	s_or_b64 exec, exec, s[4:5]
.LBB188_199:
	s_or_b64 exec, exec, s[38:39]
	v_readlane_b32 s30, v40, 13
	v_readlane_b32 s31, v40, 14
	;; [unrolled: 1-line block ×15, first 2 shown]
	s_or_saveexec_b64 s[4:5], -1
	buffer_load_dword v40, off, s[0:3], s32 ; 4-byte Folded Reload
	s_mov_b64 exec, s[4:5]
	s_waitcnt vmcnt(0) lgkmcnt(0)
	s_setpc_b64 s[30:31]
.Lfunc_end188:
	.size	_ZN7rocprim17ROCPRIM_400000_NS6detail40segmented_radix_sort_single_block_helperIhlLj256ELj8ELb0EE4sortIPKhPhPKlPlEEbT_T0_T1_T2_jjjjRNS3_12storage_typeE, .Lfunc_end188-_ZN7rocprim17ROCPRIM_400000_NS6detail40segmented_radix_sort_single_block_helperIhlLj256ELj8ELb0EE4sortIPKhPhPKlPlEEbT_T0_T1_T2_jjjjRNS3_12storage_typeE
                                        ; -- End function
	.section	.AMDGPU.csdata,"",@progbits
; Function info:
; codeLenInByte = 15596
; NumSgprs: 51
; NumVgprs: 180
; NumAgprs: 0
; TotalNumVgprs: 180
; ScratchSize: 8
; MemoryBound: 1
	.section	.text._ZN7rocprim17ROCPRIM_400000_NS6detail17trampoline_kernelINS0_14default_configENS1_36segmented_radix_sort_config_selectorIhlEEZNS1_25segmented_radix_sort_implIS3_Lb0EPKhPhPKlPlN2at6native12_GLOBAL__N_18offset_tEEE10hipError_tPvRmT1_PNSt15iterator_traitsISK_E10value_typeET2_T3_PNSL_ISQ_E10value_typeET4_jRbjT5_SW_jjP12ihipStream_tbEUlT_E_NS1_11comp_targetILNS1_3genE4ELNS1_11target_archE910ELNS1_3gpuE8ELNS1_3repE0EEENS1_30default_config_static_selectorELNS0_4arch9wavefront6targetE1EEEvSK_,"axG",@progbits,_ZN7rocprim17ROCPRIM_400000_NS6detail17trampoline_kernelINS0_14default_configENS1_36segmented_radix_sort_config_selectorIhlEEZNS1_25segmented_radix_sort_implIS3_Lb0EPKhPhPKlPlN2at6native12_GLOBAL__N_18offset_tEEE10hipError_tPvRmT1_PNSt15iterator_traitsISK_E10value_typeET2_T3_PNSL_ISQ_E10value_typeET4_jRbjT5_SW_jjP12ihipStream_tbEUlT_E_NS1_11comp_targetILNS1_3genE4ELNS1_11target_archE910ELNS1_3gpuE8ELNS1_3repE0EEENS1_30default_config_static_selectorELNS0_4arch9wavefront6targetE1EEEvSK_,comdat
	.globl	_ZN7rocprim17ROCPRIM_400000_NS6detail17trampoline_kernelINS0_14default_configENS1_36segmented_radix_sort_config_selectorIhlEEZNS1_25segmented_radix_sort_implIS3_Lb0EPKhPhPKlPlN2at6native12_GLOBAL__N_18offset_tEEE10hipError_tPvRmT1_PNSt15iterator_traitsISK_E10value_typeET2_T3_PNSL_ISQ_E10value_typeET4_jRbjT5_SW_jjP12ihipStream_tbEUlT_E_NS1_11comp_targetILNS1_3genE4ELNS1_11target_archE910ELNS1_3gpuE8ELNS1_3repE0EEENS1_30default_config_static_selectorELNS0_4arch9wavefront6targetE1EEEvSK_ ; -- Begin function _ZN7rocprim17ROCPRIM_400000_NS6detail17trampoline_kernelINS0_14default_configENS1_36segmented_radix_sort_config_selectorIhlEEZNS1_25segmented_radix_sort_implIS3_Lb0EPKhPhPKlPlN2at6native12_GLOBAL__N_18offset_tEEE10hipError_tPvRmT1_PNSt15iterator_traitsISK_E10value_typeET2_T3_PNSL_ISQ_E10value_typeET4_jRbjT5_SW_jjP12ihipStream_tbEUlT_E_NS1_11comp_targetILNS1_3genE4ELNS1_11target_archE910ELNS1_3gpuE8ELNS1_3repE0EEENS1_30default_config_static_selectorELNS0_4arch9wavefront6targetE1EEEvSK_
	.p2align	8
	.type	_ZN7rocprim17ROCPRIM_400000_NS6detail17trampoline_kernelINS0_14default_configENS1_36segmented_radix_sort_config_selectorIhlEEZNS1_25segmented_radix_sort_implIS3_Lb0EPKhPhPKlPlN2at6native12_GLOBAL__N_18offset_tEEE10hipError_tPvRmT1_PNSt15iterator_traitsISK_E10value_typeET2_T3_PNSL_ISQ_E10value_typeET4_jRbjT5_SW_jjP12ihipStream_tbEUlT_E_NS1_11comp_targetILNS1_3genE4ELNS1_11target_archE910ELNS1_3gpuE8ELNS1_3repE0EEENS1_30default_config_static_selectorELNS0_4arch9wavefront6targetE1EEEvSK_,@function
_ZN7rocprim17ROCPRIM_400000_NS6detail17trampoline_kernelINS0_14default_configENS1_36segmented_radix_sort_config_selectorIhlEEZNS1_25segmented_radix_sort_implIS3_Lb0EPKhPhPKlPlN2at6native12_GLOBAL__N_18offset_tEEE10hipError_tPvRmT1_PNSt15iterator_traitsISK_E10value_typeET2_T3_PNSL_ISQ_E10value_typeET4_jRbjT5_SW_jjP12ihipStream_tbEUlT_E_NS1_11comp_targetILNS1_3genE4ELNS1_11target_archE910ELNS1_3gpuE8ELNS1_3repE0EEENS1_30default_config_static_selectorELNS0_4arch9wavefront6targetE1EEEvSK_: ; @_ZN7rocprim17ROCPRIM_400000_NS6detail17trampoline_kernelINS0_14default_configENS1_36segmented_radix_sort_config_selectorIhlEEZNS1_25segmented_radix_sort_implIS3_Lb0EPKhPhPKlPlN2at6native12_GLOBAL__N_18offset_tEEE10hipError_tPvRmT1_PNSt15iterator_traitsISK_E10value_typeET2_T3_PNSL_ISQ_E10value_typeET4_jRbjT5_SW_jjP12ihipStream_tbEUlT_E_NS1_11comp_targetILNS1_3genE4ELNS1_11target_archE910ELNS1_3gpuE8ELNS1_3repE0EEENS1_30default_config_static_selectorELNS0_4arch9wavefront6targetE1EEEvSK_
; %bb.0:
	s_add_u32 flat_scratch_lo, s6, s10
	s_addc_u32 flat_scratch_hi, s7, 0
	s_mov_b32 s33, s9
	s_mov_b64 s[48:49], s[4:5]
	s_mov_b32 s50, s8
	s_load_dwordx2 s[8:9], s[4:5], 0x38
	s_nop 0
	s_load_dwordx4 s[4:7], s[4:5], 0x40
	s_add_u32 s0, s0, s10
	s_mov_b32 s11, 0
	s_mov_b32 s10, s50
	s_addc_u32 s1, s1, 0
	s_lshl_b64 s[10:11], s[10:11], 2
	s_waitcnt lgkmcnt(0)
	s_add_u32 s8, s8, s10
	s_addc_u32 s9, s9, s11
	s_load_dword s8, s[8:9], 0x0
	s_mov_b32 s32, 0
	s_waitcnt lgkmcnt(0)
	s_add_i32 s51, s8, s5
	s_add_i32 s76, s8, s7
	s_mul_i32 s51, s51, s4
	s_mul_i32 s76, s76, s6
	s_cmp_le_u32 s76, s51
	s_cbranch_scc1 .LBB189_678
; %bb.1:
	s_load_dword s4, s[48:49], 0x30
	s_load_dwordx4 s[64:67], s[48:49], 0x20
	s_load_dwordx4 s[68:71], s[48:49], 0x50
	s_load_dwordx8 s[56:63], s[48:49], 0x0
	s_waitcnt lgkmcnt(0)
	s_bitcmp1_b32 s4, 0
	s_cselect_b64 s[54:55], -1, 0
	s_sub_i32 s71, s76, s51
	s_cmpk_lt_u32 s71, 0x801
	s_mov_b64 s[4:5], -1
	s_cbranch_scc0 .LBB189_7
; %bb.2:
	s_and_b32 s4, s68, 1
	v_cndmask_b32_e64 v1, 0, 1, s[54:55]
	v_cmp_ne_u32_e32 vcc, s4, v1
	s_mov_b64 s[4:5], -1
	s_cbranch_vccnz .LBB189_4
; %bb.3:
	s_add_u32 s8, s48, 0x60
	s_mov_b64 s[4:5], src_shared_base
	s_addc_u32 s9, s49, 0
	s_mov_b32 s12, s50
	s_mov_b32 s13, s33
	v_mov_b32_e32 v31, v0
	v_mov_b32_e32 v41, v0
	;; [unrolled: 1-line block ×16, first 2 shown]
	s_getpc_b64 s[6:7]
	s_add_u32 s6, s6, _ZN7rocprim17ROCPRIM_400000_NS6detail40segmented_radix_sort_single_block_helperIhlLj256ELj8ELb0EE4sortIPKhPhPKlPlEEbT_T0_T1_T2_jjjjRNS3_12storage_typeE@rel32@lo+4
	s_addc_u32 s7, s7, _ZN7rocprim17ROCPRIM_400000_NS6detail40segmented_radix_sort_single_block_helperIhlLj256ELj8ELb0EE4sortIPKhPhPKlPlEEbT_T0_T1_T2_jjjjRNS3_12storage_typeE@rel32@hi+12
	s_swappc_b64 s[30:31], s[6:7]
	v_mov_b32_e32 v0, v41
	s_mov_b64 s[4:5], 0
.LBB189_4:
	s_andn2_b64 vcc, exec, s[4:5]
	s_cbranch_vccnz .LBB189_6
; %bb.5:
	s_add_u32 s8, s48, 0x60
	s_mov_b64 s[4:5], src_shared_base
	s_addc_u32 s9, s49, 0
	s_mov_b32 s12, s50
	s_mov_b32 s13, s33
	v_mov_b32_e32 v31, v0
	v_mov_b32_e32 v41, v0
	;; [unrolled: 1-line block ×16, first 2 shown]
	s_getpc_b64 s[6:7]
	s_add_u32 s6, s6, _ZN7rocprim17ROCPRIM_400000_NS6detail40segmented_radix_sort_single_block_helperIhlLj256ELj8ELb0EE4sortIPKhPhPKlPlEEbT_T0_T1_T2_jjjjRNS3_12storage_typeE@rel32@lo+4
	s_addc_u32 s7, s7, _ZN7rocprim17ROCPRIM_400000_NS6detail40segmented_radix_sort_single_block_helperIhlLj256ELj8ELb0EE4sortIPKhPhPKlPlEEbT_T0_T1_T2_jjjjRNS3_12storage_typeE@rel32@hi+12
	s_swappc_b64 s[30:31], s[6:7]
	v_mov_b32_e32 v0, v41
.LBB189_6:
	s_mov_b64 s[4:5], 0
.LBB189_7:
	s_andn2_b64 vcc, exec, s[4:5]
	s_cbranch_vccnz .LBB189_678
; %bb.8:
	s_cmp_ge_u32 s69, s70
	s_cbranch_scc1 .LBB189_678
; %bb.9:
	v_and_b32_e32 v2, 0x3ff, v0
	v_mov_b32_e32 v1, s61
	v_add_co_u32_e32 v28, vcc, s60, v2
	v_addc_co_u32_e32 v29, vcc, 0, v1, vcc
	v_or_b32_e32 v1, 63, v2
	v_cmp_eq_u32_e64 s[6:7], v1, v2
	v_lshrrev_b32_e32 v1, 4, v2
	v_and_b32_e32 v35, 12, v1
	v_lshlrev_b32_e32 v1, 3, v2
	v_bfe_u32 v40, v0, 20, 10
	v_bfe_u32 v41, v0, 10, 10
	v_mul_u32_u24_e32 v0, 5, v2
	v_mov_b32_e32 v43, 0x410
	v_and_b32_e32 v39, 0x600, v1
	v_lshl_add_u32 v44, v0, 2, v43
	v_lshlrev_b32_e32 v0, 4, v2
	v_sub_u32_e32 v45, 0, v0
	v_lshlrev_b32_e32 v0, 3, v39
	v_mov_b32_e32 v1, s67
	v_add_co_u32_e32 v46, vcc, s66, v0
	v_addc_co_u32_e32 v47, vcc, 0, v1, vcc
	v_mov_b32_e32 v1, s61
	v_add_co_u32_e32 v48, vcc, s60, v39
	v_addc_co_u32_e32 v49, vcc, 0, v1, vcc
	;; [unrolled: 3-line block ×7, first 2 shown]
	v_lshlrev_b32_e32 v3, 2, v2
	v_mov_b32_e32 v0, s57
	v_add_co_u32_e32 v61, vcc, s56, v39
	s_movk_i32 s4, 0x100
	v_mad_u32_u24 v34, v2, 12, v3
	s_add_u32 s74, s48, 0x60
	s_movk_i32 s14, 0xff
	v_addc_co_u32_e32 v62, vcc, 0, v0, vcc
	v_mbcnt_lo_u32_b32 v0, -1, 0
	s_mov_b32 s73, 0
	v_mov_b32_e32 v4, 0
	v_or_b32_e32 v24, 0x100, v2
	v_or_b32_e32 v25, 0x200, v2
	;; [unrolled: 1-line block ×3, first 2 shown]
	v_and_b32_e32 v27, 3, v2
	v_or_b32_e32 v30, 0x400, v2
	v_or_b32_e32 v31, 0x500, v2
	;; [unrolled: 1-line block ×4, first 2 shown]
	v_cmp_gt_u32_e64 s[4:5], s4, v2
	v_or_b32_e32 v36, 0x4400, v35
	v_cmp_gt_u32_e64 s[8:9], 4, v2
	v_add_u32_e32 v37, 0x4400, v3
	v_cmp_lt_u32_e64 s[10:11], 63, v2
	v_add_u32_e32 v38, 0x43fc, v35
	s_addc_u32 s75, s49, 0
	v_add_u32_e32 v42, v34, v3
	v_cmp_eq_u32_e64 s[12:13], 0, v2
	v_cmp_ne_u32_e64 s[14:15], s14, v2
	v_mul_u32_u24_e32 v50, 7, v2
	v_mov_b32_e32 v63, 1
	v_mbcnt_hi_u32_b32 v64, -1, v0
	s_mov_b32 s68, s69
	s_branch .LBB189_12
.LBB189_10:                             ;   in Loop: Header=BB189_12 Depth=1
	s_waitcnt lgkmcnt(0)
	s_barrier
.LBB189_11:                             ;   in Loop: Header=BB189_12 Depth=1
	s_add_i32 s68, s68, 8
	s_cmp_ge_u32 s68, s70
	s_cbranch_scc1 .LBB189_678
.LBB189_12:                             ; =>This Loop Header: Depth=1
                                        ;     Child Loop BB189_16 Depth 2
                                        ;     Child Loop BB189_66 Depth 2
                                        ;     Child Loop BB189_182 Depth 2
                                        ;     Child Loop BB189_232 Depth 2
                                        ;     Child Loop BB189_350 Depth 2
                                        ;     Child Loop BB189_400 Depth 2
                                        ;     Child Loop BB189_516 Depth 2
                                        ;     Child Loop BB189_566 Depth 2
	s_sub_i32 s16, s70, s68
	s_min_u32 s16, s16, 8
	s_lshl_b32 s16, -1, s16
	s_xor_b64 s[54:55], s[54:55], -1
	s_not_b32 s77, s16
	s_cmp_lg_u32 s68, s69
	s_mov_b64 s[16:17], -1
	ds_write2st64_b32 v3, v4, v4 offset1:4
	ds_write2st64_b32 v3, v4, v4 offset0:8 offset1:12
	s_waitcnt lgkmcnt(0)
	s_cbranch_scc0 .LBB189_346
; %bb.13:                               ;   in Loop: Header=BB189_12 Depth=1
	s_and_b64 vcc, exec, s[54:55]
	s_cbranch_vccz .LBB189_179
; %bb.14:                               ;   in Loop: Header=BB189_12 Depth=1
	s_mov_b32 s20, s71
	s_mov_b32 s22, s51
	s_barrier
	s_waitcnt lgkmcnt(0)
                                        ; implicit-def: $vgpr5
                                        ; implicit-def: $vgpr6
                                        ; implicit-def: $vgpr7
                                        ; implicit-def: $vgpr8
                                        ; implicit-def: $vgpr9
                                        ; implicit-def: $vgpr10
                                        ; implicit-def: $vgpr11
                                        ; implicit-def: $vgpr12
	s_branch .LBB189_16
.LBB189_15:                             ;   in Loop: Header=BB189_16 Depth=2
	s_or_b64 exec, exec, s[16:17]
	s_addk_i32 s20, 0xf800
	s_cmp_ge_u32 s21, s76
	s_mov_b32 s22, s21
	s_cbranch_scc1 .LBB189_54
.LBB189_16:                             ;   Parent Loop BB189_12 Depth=1
                                        ; =>  This Inner Loop Header: Depth=2
	s_add_i32 s21, s22, 0x800
	s_cmp_gt_u32 s21, s76
	s_cbranch_scc1 .LBB189_19
; %bb.17:                               ;   in Loop: Header=BB189_16 Depth=2
	v_add_co_u32_e32 v0, vcc, s22, v28
	v_addc_co_u32_e32 v1, vcc, 0, v29, vcc
	global_load_ubyte v20, v[0:1], off offset:1536
	global_load_ubyte v19, v[0:1], off offset:1280
	;; [unrolled: 1-line block ×6, first 2 shown]
	global_load_ubyte v14, v[0:1], off
	v_add_co_u32_e32 v0, vcc, 0x700, v0
	v_addc_co_u32_e32 v1, vcc, 0, v1, vcc
	s_mov_b64 s[16:17], -1
	s_movk_i32 s25, 0x800
	s_cbranch_execz .LBB189_20
; %bb.18:                               ;   in Loop: Header=BB189_16 Depth=2
                                        ; implicit-def: $vgpr5
                                        ; implicit-def: $vgpr6
                                        ; implicit-def: $vgpr7
                                        ; implicit-def: $vgpr8
                                        ; implicit-def: $vgpr9
                                        ; implicit-def: $vgpr10
                                        ; implicit-def: $vgpr11
                                        ; implicit-def: $vgpr12
	v_mov_b32_e32 v13, s20
	s_and_saveexec_b64 s[18:19], s[16:17]
	s_cbranch_execnz .LBB189_31
	s_branch .LBB189_32
.LBB189_19:                             ;   in Loop: Header=BB189_16 Depth=2
	s_mov_b64 s[16:17], 0
                                        ; implicit-def: $sgpr25
                                        ; implicit-def: $vgpr14
                                        ; implicit-def: $vgpr15
                                        ; implicit-def: $vgpr16
                                        ; implicit-def: $vgpr17
                                        ; implicit-def: $vgpr18
                                        ; implicit-def: $vgpr19
                                        ; implicit-def: $vgpr20
                                        ; implicit-def: $vgpr0_vgpr1
.LBB189_20:                             ;   in Loop: Header=BB189_16 Depth=2
	s_add_u32 s23, s60, s22
	s_addc_u32 s24, s61, 0
	v_cmp_gt_u32_e32 vcc, s20, v2
	s_and_saveexec_b64 s[18:19], vcc
	s_cbranch_execz .LBB189_48
; %bb.21:                               ;   in Loop: Header=BB189_16 Depth=2
	v_mov_b32_e32 v1, s24
	v_add_co_u32_e32 v0, vcc, s23, v2
	v_addc_co_u32_e32 v1, vcc, 0, v1, vcc
	global_load_ubyte v5, v[0:1], off
	s_or_b64 exec, exec, s[18:19]
	v_cmp_gt_u32_e32 vcc, s20, v24
	s_and_saveexec_b64 s[18:19], vcc
	s_cbranch_execnz .LBB189_49
.LBB189_22:                             ;   in Loop: Header=BB189_16 Depth=2
	s_or_b64 exec, exec, s[18:19]
	v_cmp_gt_u32_e32 vcc, s20, v25
	s_and_saveexec_b64 s[18:19], vcc
	s_cbranch_execz .LBB189_50
.LBB189_23:                             ;   in Loop: Header=BB189_16 Depth=2
	v_mov_b32_e32 v1, s24
	v_add_co_u32_e32 v0, vcc, s23, v2
	v_addc_co_u32_e32 v1, vcc, 0, v1, vcc
	global_load_ubyte v7, v[0:1], off offset:512
	s_or_b64 exec, exec, s[18:19]
	v_cmp_gt_u32_e32 vcc, s20, v26
	s_and_saveexec_b64 s[18:19], vcc
	s_cbranch_execnz .LBB189_51
.LBB189_24:                             ;   in Loop: Header=BB189_16 Depth=2
	s_or_b64 exec, exec, s[18:19]
	v_cmp_gt_u32_e32 vcc, s20, v30
	s_and_saveexec_b64 s[18:19], vcc
	s_cbranch_execz .LBB189_52
.LBB189_25:                             ;   in Loop: Header=BB189_16 Depth=2
	v_mov_b32_e32 v1, s24
	v_add_co_u32_e32 v0, vcc, s23, v2
	v_addc_co_u32_e32 v1, vcc, 0, v1, vcc
	global_load_ubyte v9, v[0:1], off offset:1024
	s_or_b64 exec, exec, s[18:19]
	v_cmp_gt_u32_e32 vcc, s20, v31
	s_and_saveexec_b64 s[18:19], vcc
	s_cbranch_execnz .LBB189_53
.LBB189_26:                             ;   in Loop: Header=BB189_16 Depth=2
	s_or_b64 exec, exec, s[18:19]
	v_cmp_gt_u32_e32 vcc, s20, v32
	s_and_saveexec_b64 s[18:19], vcc
	s_cbranch_execz .LBB189_28
.LBB189_27:                             ;   in Loop: Header=BB189_16 Depth=2
	v_mov_b32_e32 v1, s24
	v_add_co_u32_e32 v0, vcc, s23, v2
	v_addc_co_u32_e32 v1, vcc, 0, v1, vcc
	global_load_ubyte v11, v[0:1], off offset:1536
.LBB189_28:                             ;   in Loop: Header=BB189_16 Depth=2
	s_or_b64 exec, exec, s[18:19]
	v_cmp_gt_u32_e32 vcc, s20, v33
                                        ; implicit-def: $sgpr25
                                        ; implicit-def: $vgpr0_vgpr1
	s_and_saveexec_b64 s[18:19], vcc
	s_cbranch_execz .LBB189_30
; %bb.29:                               ;   in Loop: Header=BB189_16 Depth=2
	v_mov_b32_e32 v0, s24
	v_add_co_u32_e32 v1, vcc, s23, v2
	s_waitcnt vmcnt(0)
	v_addc_co_u32_e32 v12, vcc, 0, v0, vcc
	v_add_co_u32_e32 v0, vcc, 0x700, v1
	s_sub_i32 s25, s76, s22
	v_addc_co_u32_e32 v1, vcc, 0, v12, vcc
	s_or_b64 s[16:17], s[16:17], exec
                                        ; implicit-def: $vgpr12
.LBB189_30:                             ;   in Loop: Header=BB189_16 Depth=2
	s_or_b64 exec, exec, s[18:19]
	s_waitcnt vmcnt(0)
	v_mov_b32_e32 v14, v5
	v_mov_b32_e32 v15, v6
	;; [unrolled: 1-line block ×8, first 2 shown]
	s_and_saveexec_b64 s[18:19], s[16:17]
	s_cbranch_execz .LBB189_32
.LBB189_31:                             ;   in Loop: Header=BB189_16 Depth=2
	global_load_ubyte v12, v[0:1], off
	v_mov_b32_e32 v13, s25
	s_waitcnt vmcnt(1)
	v_mov_b32_e32 v5, v14
	v_mov_b32_e32 v6, v15
	;; [unrolled: 1-line block ×7, first 2 shown]
.LBB189_32:                             ;   in Loop: Header=BB189_16 Depth=2
	s_or_b64 exec, exec, s[18:19]
	v_cmp_lt_u32_e32 vcc, v2, v13
	s_and_saveexec_b64 s[16:17], vcc
	s_cbranch_execz .LBB189_40
; %bb.33:                               ;   in Loop: Header=BB189_16 Depth=2
	v_lshrrev_b32_sdwa v0, s68, v5 dst_sel:DWORD dst_unused:UNUSED_PAD src0_sel:DWORD src1_sel:BYTE_0
	v_and_b32_e32 v0, s77, v0
	v_lshlrev_b32_e32 v1, 2, v27
	v_lshl_or_b32 v0, v0, 4, v1
	ds_add_u32 v0, v63
	s_or_b64 exec, exec, s[16:17]
	v_cmp_lt_u32_e32 vcc, v24, v13
	s_and_saveexec_b64 s[16:17], vcc
	s_cbranch_execnz .LBB189_41
.LBB189_34:                             ;   in Loop: Header=BB189_16 Depth=2
	s_or_b64 exec, exec, s[16:17]
	v_cmp_lt_u32_e32 vcc, v25, v13
	s_and_saveexec_b64 s[16:17], vcc
	s_cbranch_execz .LBB189_42
.LBB189_35:                             ;   in Loop: Header=BB189_16 Depth=2
	v_lshrrev_b32_sdwa v0, s68, v7 dst_sel:DWORD dst_unused:UNUSED_PAD src0_sel:DWORD src1_sel:BYTE_0
	v_and_b32_e32 v0, s77, v0
	v_lshlrev_b32_e32 v1, 2, v27
	v_lshl_or_b32 v0, v0, 4, v1
	ds_add_u32 v0, v63
	s_or_b64 exec, exec, s[16:17]
	v_cmp_lt_u32_e32 vcc, v26, v13
	s_and_saveexec_b64 s[16:17], vcc
	s_cbranch_execnz .LBB189_43
.LBB189_36:                             ;   in Loop: Header=BB189_16 Depth=2
	s_or_b64 exec, exec, s[16:17]
	v_cmp_lt_u32_e32 vcc, v30, v13
	s_and_saveexec_b64 s[16:17], vcc
	s_cbranch_execz .LBB189_44
.LBB189_37:                             ;   in Loop: Header=BB189_16 Depth=2
	v_lshrrev_b32_sdwa v0, s68, v9 dst_sel:DWORD dst_unused:UNUSED_PAD src0_sel:DWORD src1_sel:BYTE_0
	v_and_b32_e32 v0, s77, v0
	v_lshlrev_b32_e32 v1, 2, v27
	v_lshl_or_b32 v0, v0, 4, v1
	ds_add_u32 v0, v63
	s_or_b64 exec, exec, s[16:17]
	v_cmp_lt_u32_e32 vcc, v31, v13
	s_and_saveexec_b64 s[16:17], vcc
	s_cbranch_execnz .LBB189_45
.LBB189_38:                             ;   in Loop: Header=BB189_16 Depth=2
	s_or_b64 exec, exec, s[16:17]
	v_cmp_lt_u32_e32 vcc, v32, v13
	s_and_saveexec_b64 s[16:17], vcc
	s_cbranch_execz .LBB189_46
.LBB189_39:                             ;   in Loop: Header=BB189_16 Depth=2
	v_lshrrev_b32_sdwa v0, s68, v11 dst_sel:DWORD dst_unused:UNUSED_PAD src0_sel:DWORD src1_sel:BYTE_0
	v_and_b32_e32 v0, s77, v0
	v_lshlrev_b32_e32 v1, 2, v27
	v_lshl_or_b32 v0, v0, 4, v1
	ds_add_u32 v0, v63
	s_or_b64 exec, exec, s[16:17]
	v_cmp_lt_u32_e32 vcc, v33, v13
	s_and_saveexec_b64 s[16:17], vcc
	s_cbranch_execz .LBB189_15
	s_branch .LBB189_47
.LBB189_40:                             ;   in Loop: Header=BB189_16 Depth=2
	s_or_b64 exec, exec, s[16:17]
	v_cmp_lt_u32_e32 vcc, v24, v13
	s_and_saveexec_b64 s[16:17], vcc
	s_cbranch_execz .LBB189_34
.LBB189_41:                             ;   in Loop: Header=BB189_16 Depth=2
	v_lshrrev_b32_sdwa v0, s68, v6 dst_sel:DWORD dst_unused:UNUSED_PAD src0_sel:DWORD src1_sel:BYTE_0
	v_and_b32_e32 v0, s77, v0
	v_lshlrev_b32_e32 v1, 2, v27
	v_lshl_or_b32 v0, v0, 4, v1
	ds_add_u32 v0, v63
	s_or_b64 exec, exec, s[16:17]
	v_cmp_lt_u32_e32 vcc, v25, v13
	s_and_saveexec_b64 s[16:17], vcc
	s_cbranch_execnz .LBB189_35
.LBB189_42:                             ;   in Loop: Header=BB189_16 Depth=2
	s_or_b64 exec, exec, s[16:17]
	v_cmp_lt_u32_e32 vcc, v26, v13
	s_and_saveexec_b64 s[16:17], vcc
	s_cbranch_execz .LBB189_36
.LBB189_43:                             ;   in Loop: Header=BB189_16 Depth=2
	v_lshrrev_b32_sdwa v0, s68, v8 dst_sel:DWORD dst_unused:UNUSED_PAD src0_sel:DWORD src1_sel:BYTE_0
	v_and_b32_e32 v0, s77, v0
	v_lshlrev_b32_e32 v1, 2, v27
	v_lshl_or_b32 v0, v0, 4, v1
	ds_add_u32 v0, v63
	s_or_b64 exec, exec, s[16:17]
	v_cmp_lt_u32_e32 vcc, v30, v13
	s_and_saveexec_b64 s[16:17], vcc
	s_cbranch_execnz .LBB189_37
.LBB189_44:                             ;   in Loop: Header=BB189_16 Depth=2
	s_or_b64 exec, exec, s[16:17]
	v_cmp_lt_u32_e32 vcc, v31, v13
	s_and_saveexec_b64 s[16:17], vcc
	s_cbranch_execz .LBB189_38
.LBB189_45:                             ;   in Loop: Header=BB189_16 Depth=2
	v_lshrrev_b32_sdwa v0, s68, v10 dst_sel:DWORD dst_unused:UNUSED_PAD src0_sel:DWORD src1_sel:BYTE_0
	v_and_b32_e32 v0, s77, v0
	v_lshlrev_b32_e32 v1, 2, v27
	v_lshl_or_b32 v0, v0, 4, v1
	ds_add_u32 v0, v63
	s_or_b64 exec, exec, s[16:17]
	v_cmp_lt_u32_e32 vcc, v32, v13
	s_and_saveexec_b64 s[16:17], vcc
	s_cbranch_execnz .LBB189_39
.LBB189_46:                             ;   in Loop: Header=BB189_16 Depth=2
	s_or_b64 exec, exec, s[16:17]
	v_cmp_lt_u32_e32 vcc, v33, v13
	s_and_saveexec_b64 s[16:17], vcc
	s_cbranch_execz .LBB189_15
.LBB189_47:                             ;   in Loop: Header=BB189_16 Depth=2
	s_waitcnt vmcnt(0)
	v_lshrrev_b32_sdwa v0, s68, v12 dst_sel:DWORD dst_unused:UNUSED_PAD src0_sel:DWORD src1_sel:BYTE_0
	v_and_b32_e32 v0, s77, v0
	v_lshlrev_b32_e32 v1, 2, v27
	v_lshl_or_b32 v0, v0, 4, v1
	ds_add_u32 v0, v63
	s_branch .LBB189_15
.LBB189_48:                             ;   in Loop: Header=BB189_16 Depth=2
	s_or_b64 exec, exec, s[18:19]
	v_cmp_gt_u32_e32 vcc, s20, v24
	s_and_saveexec_b64 s[18:19], vcc
	s_cbranch_execz .LBB189_22
.LBB189_49:                             ;   in Loop: Header=BB189_16 Depth=2
	v_mov_b32_e32 v1, s24
	v_add_co_u32_e32 v0, vcc, s23, v2
	v_addc_co_u32_e32 v1, vcc, 0, v1, vcc
	global_load_ubyte v6, v[0:1], off offset:256
	s_or_b64 exec, exec, s[18:19]
	v_cmp_gt_u32_e32 vcc, s20, v25
	s_and_saveexec_b64 s[18:19], vcc
	s_cbranch_execnz .LBB189_23
.LBB189_50:                             ;   in Loop: Header=BB189_16 Depth=2
	s_or_b64 exec, exec, s[18:19]
	v_cmp_gt_u32_e32 vcc, s20, v26
	s_and_saveexec_b64 s[18:19], vcc
	s_cbranch_execz .LBB189_24
.LBB189_51:                             ;   in Loop: Header=BB189_16 Depth=2
	v_mov_b32_e32 v1, s24
	v_add_co_u32_e32 v0, vcc, s23, v2
	v_addc_co_u32_e32 v1, vcc, 0, v1, vcc
	global_load_ubyte v8, v[0:1], off offset:768
	s_or_b64 exec, exec, s[18:19]
	v_cmp_gt_u32_e32 vcc, s20, v30
	s_and_saveexec_b64 s[18:19], vcc
	s_cbranch_execnz .LBB189_25
.LBB189_52:                             ;   in Loop: Header=BB189_16 Depth=2
	s_or_b64 exec, exec, s[18:19]
	v_cmp_gt_u32_e32 vcc, s20, v31
	s_and_saveexec_b64 s[18:19], vcc
	s_cbranch_execz .LBB189_26
.LBB189_53:                             ;   in Loop: Header=BB189_16 Depth=2
	v_mov_b32_e32 v1, s24
	v_add_co_u32_e32 v0, vcc, s23, v2
	v_addc_co_u32_e32 v1, vcc, 0, v1, vcc
	global_load_ubyte v10, v[0:1], off offset:1280
	s_or_b64 exec, exec, s[18:19]
	v_cmp_gt_u32_e32 vcc, s20, v32
	s_and_saveexec_b64 s[18:19], vcc
	s_cbranch_execz .LBB189_28
	s_branch .LBB189_27
.LBB189_54:                             ;   in Loop: Header=BB189_12 Depth=1
	v_mov_b32_e32 v0, 0
	s_waitcnt lgkmcnt(0)
	s_barrier
	s_and_saveexec_b64 s[16:17], s[4:5]
	s_cbranch_execz .LBB189_56
; %bb.55:                               ;   in Loop: Header=BB189_12 Depth=1
	ds_read2_b64 v[6:9], v34 offset1:1
	s_waitcnt lgkmcnt(0)
	v_add_u32_e32 v0, v7, v6
	v_add3_u32 v0, v0, v8, v9
.LBB189_56:                             ;   in Loop: Header=BB189_12 Depth=1
	s_or_b64 exec, exec, s[16:17]
	v_and_b32_e32 v1, 15, v64
	v_mov_b32_dpp v5, v0 row_shr:1 row_mask:0xf bank_mask:0xf
	v_cmp_eq_u32_e64 s[16:17], 0, v1
	v_cndmask_b32_e64 v5, v5, 0, s[16:17]
	v_add_u32_e32 v0, v5, v0
	v_cmp_lt_u32_e64 s[18:19], 1, v1
	v_cmp_lt_u32_e64 s[20:21], 3, v1
	v_mov_b32_dpp v5, v0 row_shr:2 row_mask:0xf bank_mask:0xf
	v_cndmask_b32_e64 v5, 0, v5, s[18:19]
	v_add_u32_e32 v0, v0, v5
	v_cmp_lt_u32_e64 s[22:23], 7, v1
	v_cmp_lt_u32_e64 s[26:27], 31, v64
	v_mov_b32_dpp v5, v0 row_shr:4 row_mask:0xf bank_mask:0xf
	v_cndmask_b32_e64 v5, 0, v5, s[20:21]
	v_add_u32_e32 v0, v0, v5
	v_and_b32_e32 v6, 16, v64
	v_cmp_eq_u32_e64 s[24:25], 0, v6
	v_mov_b32_dpp v5, v0 row_shr:8 row_mask:0xf bank_mask:0xf
	v_cndmask_b32_e64 v1, 0, v5, s[22:23]
	v_add_u32_e32 v0, v0, v1
	v_bfe_i32 v5, v64, 4, 1
	s_nop 0
	v_mov_b32_dpp v1, v0 row_bcast:15 row_mask:0xf bank_mask:0xf
	v_and_b32_e32 v1, v5, v1
	v_add_u32_e32 v0, v0, v1
	s_nop 1
	v_mov_b32_dpp v1, v0 row_bcast:31 row_mask:0xf bank_mask:0xf
	v_cndmask_b32_e64 v1, 0, v1, s[26:27]
	v_add_u32_e32 v1, v0, v1
	s_and_saveexec_b64 s[28:29], s[6:7]
	s_cbranch_execz .LBB189_58
; %bb.57:                               ;   in Loop: Header=BB189_12 Depth=1
	ds_write_b32 v36, v1
.LBB189_58:                             ;   in Loop: Header=BB189_12 Depth=1
	s_or_b64 exec, exec, s[28:29]
	v_and_b32_e32 v0, 3, v64
	s_waitcnt lgkmcnt(0)
	s_barrier
	s_and_saveexec_b64 s[28:29], s[8:9]
	s_cbranch_execz .LBB189_60
; %bb.59:                               ;   in Loop: Header=BB189_12 Depth=1
	ds_read_b32 v5, v37
	v_cmp_ne_u32_e32 vcc, 0, v0
	s_waitcnt lgkmcnt(0)
	v_mov_b32_dpp v6, v5 row_shr:1 row_mask:0xf bank_mask:0xf
	v_cndmask_b32_e32 v6, 0, v6, vcc
	v_add_u32_e32 v5, v6, v5
	v_cmp_lt_u32_e32 vcc, 1, v0
	s_nop 0
	v_mov_b32_dpp v6, v5 row_shr:2 row_mask:0xf bank_mask:0xf
	v_cndmask_b32_e32 v6, 0, v6, vcc
	v_add_u32_e32 v5, v5, v6
	ds_write_b32 v37, v5
.LBB189_60:                             ;   in Loop: Header=BB189_12 Depth=1
	s_or_b64 exec, exec, s[28:29]
	v_mov_b32_e32 v5, 0
	s_waitcnt lgkmcnt(0)
	s_barrier
	s_and_saveexec_b64 s[28:29], s[10:11]
	s_cbranch_execz .LBB189_62
; %bb.61:                               ;   in Loop: Header=BB189_12 Depth=1
	ds_read_b32 v5, v38
.LBB189_62:                             ;   in Loop: Header=BB189_12 Depth=1
	s_or_b64 exec, exec, s[28:29]
	v_add_u32_e32 v6, -1, v64
	v_and_b32_e32 v7, 64, v64
	v_cmp_lt_i32_e32 vcc, v6, v7
	v_cndmask_b32_e32 v6, v6, v64, vcc
	s_waitcnt lgkmcnt(0)
	v_add_u32_e32 v1, v5, v1
	v_lshlrev_b32_e32 v65, 2, v6
	ds_bpermute_b32 v1, v65, v1
	v_cmp_eq_u32_e64 s[28:29], 0, v64
	s_waitcnt lgkmcnt(0)
	s_barrier
	s_and_saveexec_b64 s[30:31], s[4:5]
	s_cbranch_execz .LBB189_64
; %bb.63:                               ;   in Loop: Header=BB189_12 Depth=1
	v_cndmask_b32_e64 v1, v1, v5, s[28:29]
	v_add_u32_e32 v1, s51, v1
	ds_write_b32 v3, v1
.LBB189_64:                             ;   in Loop: Header=BB189_12 Depth=1
	s_or_b64 exec, exec, s[30:31]
	s_load_dword s30, s[74:75], 0x4
	s_load_dword s36, s[74:75], 0xc
	s_waitcnt vmcnt(6)
	v_and_b32_e32 v20, 63, v64
	v_add_co_u32_e32 v74, vcc, v48, v20
	s_waitcnt lgkmcnt(0)
	s_cmp_lt_u32 s33, s30
	s_cselect_b32 s30, 14, 20
	s_add_u32 s30, s74, s30
	s_addc_u32 s31, s75, 0
	global_load_ushort v5, v4, s[30:31]
	v_lshlrev_b32_e32 v21, 3, v20
	v_addc_co_u32_e32 v76, vcc, 0, v49, vcc
	v_add_co_u32_e32 v77, vcc, v46, v21
	v_addc_co_u32_e32 v78, vcc, 0, v47, vcc
	s_and_b32 s36, s36, 0xffff
	v_or_b32_e32 v72, v20, v39
	v_add_co_u32_e32 v86, vcc, 0x1c0, v74
	v_cmp_eq_u32_e64 s[30:31], 0, v0
	v_cmp_lt_u32_e64 s[34:35], 1, v0
	s_mov_b32 s78, s71
	v_or_b32_e32 v79, 64, v72
	v_or_b32_e32 v80, 0x80, v72
	;; [unrolled: 1-line block ×7, first 2 shown]
	v_addc_co_u32_e32 v87, vcc, 0, v76, vcc
	s_mov_b32 s72, s51
                                        ; implicit-def: $vgpr0_vgpr1
                                        ; implicit-def: $vgpr6_vgpr7
                                        ; implicit-def: $vgpr8_vgpr9
                                        ; implicit-def: $vgpr10_vgpr11
                                        ; implicit-def: $vgpr12_vgpr13
                                        ; implicit-def: $vgpr14_vgpr15
                                        ; implicit-def: $vgpr16_vgpr17
                                        ; implicit-def: $vgpr18_vgpr19
                                        ; implicit-def: $vgpr66
                                        ; implicit-def: $vgpr67
                                        ; implicit-def: $vgpr68
                                        ; implicit-def: $vgpr69
                                        ; implicit-def: $vgpr70
                                        ; implicit-def: $vgpr71
                                        ; implicit-def: $vgpr73
                                        ; implicit-def: $vgpr75
	s_waitcnt vmcnt(0)
	v_mad_u32_u24 v5, v40, v5, v41
	v_mad_u64_u32 v[20:21], s[36:37], v5, s36, v[2:3]
	v_lshrrev_b32_e32 v88, 6, v20
	s_branch .LBB189_66
.LBB189_65:                             ;   in Loop: Header=BB189_66 Depth=2
	s_or_b64 exec, exec, s[36:37]
	s_addk_i32 s78, 0xf800
	s_cmp_lt_u32 s79, s76
	s_mov_b32 s72, s79
	s_cbranch_scc0 .LBB189_178
.LBB189_66:                             ;   Parent Loop BB189_12 Depth=1
                                        ; =>  This Inner Loop Header: Depth=2
	s_add_i32 s79, s72, 0x800
	s_cmp_gt_u32 s79, s76
	s_cbranch_scc1 .LBB189_69
; %bb.67:                               ;   in Loop: Header=BB189_66 Depth=2
	v_add_co_u32_e32 v20, vcc, s72, v74
	v_addc_co_u32_e32 v21, vcc, 0, v76, vcc
	global_load_ubyte v90, v[20:21], off
	global_load_ubyte v91, v[20:21], off offset:64
	global_load_ubyte v92, v[20:21], off offset:128
	global_load_ubyte v93, v[20:21], off offset:192
	global_load_ubyte v94, v[20:21], off offset:256
	global_load_ubyte v95, v[20:21], off offset:320
	global_load_ubyte v96, v[20:21], off offset:384
	s_mov_b64 s[36:37], -1
	s_movk_i32 s40, 0x800
	s_cbranch_execz .LBB189_70
; %bb.68:                               ;   in Loop: Header=BB189_66 Depth=2
                                        ; implicit-def: $sgpr38
	v_mov_b32_e32 v97, s38
	v_mov_b32_e32 v89, s78
	s_and_saveexec_b64 s[38:39], s[36:37]
	s_cbranch_execnz .LBB189_85
	s_branch .LBB189_86
.LBB189_69:                             ;   in Loop: Header=BB189_66 Depth=2
	s_mov_b64 s[36:37], 0
                                        ; implicit-def: $sgpr40
                                        ; implicit-def: $vgpr90
                                        ; implicit-def: $vgpr91
                                        ; implicit-def: $vgpr92
                                        ; implicit-def: $vgpr93
                                        ; implicit-def: $vgpr94
                                        ; implicit-def: $vgpr95
                                        ; implicit-def: $vgpr96
.LBB189_70:                             ;   in Loop: Header=BB189_66 Depth=2
	v_add_co_u32_e32 v20, vcc, s72, v74
	v_addc_co_u32_e32 v21, vcc, 0, v76, vcc
	v_cmp_gt_u32_e32 vcc, s78, v72
	s_waitcnt vmcnt(5)
	v_mov_b32_e32 v91, 0xff
	v_mov_b32_e32 v90, 0xff
	s_and_saveexec_b64 s[36:37], vcc
	s_cbranch_execz .LBB189_72
; %bb.71:                               ;   in Loop: Header=BB189_66 Depth=2
	global_load_ubyte v90, v[20:21], off
.LBB189_72:                             ;   in Loop: Header=BB189_66 Depth=2
	s_or_b64 exec, exec, s[36:37]
	v_cmp_gt_u32_e32 vcc, s78, v79
	s_and_saveexec_b64 s[36:37], vcc
	s_cbranch_execz .LBB189_74
; %bb.73:                               ;   in Loop: Header=BB189_66 Depth=2
	global_load_ubyte v91, v[20:21], off offset:64
.LBB189_74:                             ;   in Loop: Header=BB189_66 Depth=2
	s_or_b64 exec, exec, s[36:37]
	v_cmp_gt_u32_e32 vcc, s78, v80
	s_waitcnt vmcnt(3)
	v_mov_b32_e32 v93, 0xff
	v_mov_b32_e32 v92, 0xff
	s_and_saveexec_b64 s[36:37], vcc
	s_cbranch_execz .LBB189_76
; %bb.75:                               ;   in Loop: Header=BB189_66 Depth=2
	global_load_ubyte v92, v[20:21], off offset:128
.LBB189_76:                             ;   in Loop: Header=BB189_66 Depth=2
	s_or_b64 exec, exec, s[36:37]
	v_cmp_gt_u32_e32 vcc, s78, v81
	s_and_saveexec_b64 s[36:37], vcc
	s_cbranch_execz .LBB189_78
; %bb.77:                               ;   in Loop: Header=BB189_66 Depth=2
	global_load_ubyte v93, v[20:21], off offset:192
.LBB189_78:                             ;   in Loop: Header=BB189_66 Depth=2
	s_or_b64 exec, exec, s[36:37]
	v_cmp_gt_u32_e32 vcc, s78, v82
	s_waitcnt vmcnt(1)
	v_mov_b32_e32 v95, 0xff
	v_mov_b32_e32 v94, 0xff
	s_and_saveexec_b64 s[36:37], vcc
	s_cbranch_execz .LBB189_80
; %bb.79:                               ;   in Loop: Header=BB189_66 Depth=2
	global_load_ubyte v94, v[20:21], off offset:256
.LBB189_80:                             ;   in Loop: Header=BB189_66 Depth=2
	s_or_b64 exec, exec, s[36:37]
	v_cmp_gt_u32_e32 vcc, s78, v83
	s_and_saveexec_b64 s[36:37], vcc
	s_cbranch_execz .LBB189_82
; %bb.81:                               ;   in Loop: Header=BB189_66 Depth=2
	global_load_ubyte v95, v[20:21], off offset:320
.LBB189_82:                             ;   in Loop: Header=BB189_66 Depth=2
	s_or_b64 exec, exec, s[36:37]
	v_cmp_gt_u32_e32 vcc, s78, v84
	s_waitcnt vmcnt(0)
	v_mov_b32_e32 v96, 0xff
	s_and_saveexec_b64 s[36:37], vcc
	s_cbranch_execz .LBB189_84
; %bb.83:                               ;   in Loop: Header=BB189_66 Depth=2
	global_load_ubyte v96, v[20:21], off offset:384
.LBB189_84:                             ;   in Loop: Header=BB189_66 Depth=2
	s_or_b64 exec, exec, s[36:37]
	s_sub_i32 s40, s76, s72
	v_cmp_gt_u32_e64 s[36:37], s78, v85
	s_movk_i32 s38, 0xff
	v_mov_b32_e32 v97, s38
	v_mov_b32_e32 v89, s78
	s_and_saveexec_b64 s[38:39], s[36:37]
	s_cbranch_execz .LBB189_86
.LBB189_85:                             ;   in Loop: Header=BB189_66 Depth=2
	v_mov_b32_e32 v5, s73
	v_add_co_u32_e32 v20, vcc, s72, v86
	v_addc_co_u32_e32 v21, vcc, v87, v5, vcc
	global_load_ubyte v97, v[20:21], off
	v_mov_b32_e32 v89, s40
.LBB189_86:                             ;   in Loop: Header=BB189_66 Depth=2
	s_or_b64 exec, exec, s[38:39]
	v_add_u32_e32 v5, 0x410, v42
	ds_write2_b32 v5, v4, v4 offset1:1
	ds_write2_b32 v44, v4, v4 offset0:2 offset1:3
	ds_write_b32 v44, v4 offset:16
	s_waitcnt vmcnt(6)
	v_lshrrev_b32_sdwa v5, s68, v90 dst_sel:DWORD dst_unused:UNUSED_PAD src0_sel:DWORD src1_sel:BYTE_0
	v_and_b32_e32 v20, s77, v5
	v_mad_u32_u24 v5, v20, 5, v88
	v_lshl_add_u32 v98, v5, 2, v43
	v_and_b32_e32 v5, 1, v20
	v_add_co_u32_e32 v21, vcc, -1, v5
	v_addc_co_u32_e64 v22, s[36:37], 0, -1, vcc
	v_cmp_ne_u32_e32 vcc, 0, v5
	v_xor_b32_e32 v5, vcc_hi, v22
	v_and_b32_e32 v22, exec_hi, v5
	v_lshlrev_b32_e32 v5, 30, v20
	v_xor_b32_e32 v21, vcc_lo, v21
	v_cmp_gt_i64_e32 vcc, 0, v[4:5]
	v_not_b32_e32 v5, v5
	v_ashrrev_i32_e32 v5, 31, v5
	v_and_b32_e32 v21, exec_lo, v21
	v_xor_b32_e32 v23, vcc_hi, v5
	v_xor_b32_e32 v5, vcc_lo, v5
	v_and_b32_e32 v21, v21, v5
	v_lshlrev_b32_e32 v5, 29, v20
	v_cmp_gt_i64_e32 vcc, 0, v[4:5]
	v_not_b32_e32 v5, v5
	v_ashrrev_i32_e32 v5, 31, v5
	v_and_b32_e32 v22, v22, v23
	v_xor_b32_e32 v23, vcc_hi, v5
	v_xor_b32_e32 v5, vcc_lo, v5
	v_and_b32_e32 v21, v21, v5
	v_lshlrev_b32_e32 v5, 28, v20
	v_cmp_gt_i64_e32 vcc, 0, v[4:5]
	v_not_b32_e32 v5, v5
	v_ashrrev_i32_e32 v5, 31, v5
	v_and_b32_e32 v22, v22, v23
	;; [unrolled: 8-line block ×5, first 2 shown]
	v_xor_b32_e32 v23, vcc_hi, v5
	v_xor_b32_e32 v5, vcc_lo, v5
	v_and_b32_e32 v22, v22, v23
	v_and_b32_e32 v23, v21, v5
	v_lshlrev_b32_e32 v5, 24, v20
	v_cmp_gt_i64_e32 vcc, 0, v[4:5]
	v_not_b32_e32 v5, v5
	v_ashrrev_i32_e32 v5, 31, v5
	v_xor_b32_e32 v20, vcc_hi, v5
	v_xor_b32_e32 v5, vcc_lo, v5
	v_and_b32_e32 v21, v22, v20
	v_and_b32_e32 v20, v23, v5
	v_mbcnt_lo_u32_b32 v5, v20, 0
	v_mbcnt_hi_u32_b32 v99, v21, v5
	v_cmp_eq_u32_e32 vcc, 0, v99
	v_cmp_ne_u64_e64 s[36:37], 0, v[20:21]
	s_and_b64 s[38:39], s[36:37], vcc
	s_waitcnt lgkmcnt(0)
	s_barrier
	s_waitcnt lgkmcnt(0)
	; wave barrier
	s_and_saveexec_b64 s[36:37], s[38:39]
	s_cbranch_execz .LBB189_88
; %bb.87:                               ;   in Loop: Header=BB189_66 Depth=2
	v_bcnt_u32_b32 v5, v20, 0
	v_bcnt_u32_b32 v5, v21, v5
	ds_write_b32 v98, v5
.LBB189_88:                             ;   in Loop: Header=BB189_66 Depth=2
	s_or_b64 exec, exec, s[36:37]
	s_waitcnt vmcnt(5)
	v_lshrrev_b32_sdwa v5, s68, v91 dst_sel:DWORD dst_unused:UNUSED_PAD src0_sel:DWORD src1_sel:BYTE_0
	v_and_b32_e32 v20, s77, v5
	v_mul_u32_u24_e32 v5, 5, v20
	v_add_lshl_u32 v5, v5, v88, 2
	; wave barrier
	v_add_u32_e32 v101, 0x410, v5
	ds_read_b32 v100, v5 offset:1040
	v_and_b32_e32 v5, 1, v20
	v_add_co_u32_e32 v21, vcc, -1, v5
	v_addc_co_u32_e64 v22, s[36:37], 0, -1, vcc
	v_cmp_ne_u32_e32 vcc, 0, v5
	v_xor_b32_e32 v5, vcc_hi, v22
	v_and_b32_e32 v22, exec_hi, v5
	v_lshlrev_b32_e32 v5, 30, v20
	v_xor_b32_e32 v21, vcc_lo, v21
	v_cmp_gt_i64_e32 vcc, 0, v[4:5]
	v_not_b32_e32 v5, v5
	v_ashrrev_i32_e32 v5, 31, v5
	v_and_b32_e32 v21, exec_lo, v21
	v_xor_b32_e32 v23, vcc_hi, v5
	v_xor_b32_e32 v5, vcc_lo, v5
	v_and_b32_e32 v21, v21, v5
	v_lshlrev_b32_e32 v5, 29, v20
	v_cmp_gt_i64_e32 vcc, 0, v[4:5]
	v_not_b32_e32 v5, v5
	v_ashrrev_i32_e32 v5, 31, v5
	v_and_b32_e32 v22, v22, v23
	v_xor_b32_e32 v23, vcc_hi, v5
	v_xor_b32_e32 v5, vcc_lo, v5
	v_and_b32_e32 v21, v21, v5
	v_lshlrev_b32_e32 v5, 28, v20
	v_cmp_gt_i64_e32 vcc, 0, v[4:5]
	v_not_b32_e32 v5, v5
	v_ashrrev_i32_e32 v5, 31, v5
	v_and_b32_e32 v22, v22, v23
	;; [unrolled: 8-line block ×5, first 2 shown]
	v_xor_b32_e32 v23, vcc_hi, v5
	v_xor_b32_e32 v5, vcc_lo, v5
	v_and_b32_e32 v22, v22, v23
	v_and_b32_e32 v23, v21, v5
	v_lshlrev_b32_e32 v5, 24, v20
	v_cmp_gt_i64_e32 vcc, 0, v[4:5]
	v_not_b32_e32 v5, v5
	v_ashrrev_i32_e32 v5, 31, v5
	v_xor_b32_e32 v20, vcc_hi, v5
	v_xor_b32_e32 v5, vcc_lo, v5
	v_and_b32_e32 v21, v22, v20
	v_and_b32_e32 v20, v23, v5
	v_mbcnt_lo_u32_b32 v5, v20, 0
	v_mbcnt_hi_u32_b32 v102, v21, v5
	v_cmp_eq_u32_e32 vcc, 0, v102
	v_cmp_ne_u64_e64 s[36:37], 0, v[20:21]
	s_and_b64 s[38:39], s[36:37], vcc
	; wave barrier
	s_and_saveexec_b64 s[36:37], s[38:39]
	s_cbranch_execz .LBB189_90
; %bb.89:                               ;   in Loop: Header=BB189_66 Depth=2
	v_bcnt_u32_b32 v5, v20, 0
	v_bcnt_u32_b32 v5, v21, v5
	s_waitcnt lgkmcnt(0)
	v_add_u32_e32 v5, v100, v5
	ds_write_b32 v101, v5
.LBB189_90:                             ;   in Loop: Header=BB189_66 Depth=2
	s_or_b64 exec, exec, s[36:37]
	s_waitcnt vmcnt(4)
	v_lshrrev_b32_sdwa v5, s68, v92 dst_sel:DWORD dst_unused:UNUSED_PAD src0_sel:DWORD src1_sel:BYTE_0
	v_and_b32_e32 v20, s77, v5
	v_mul_u32_u24_e32 v5, 5, v20
	v_add_lshl_u32 v5, v5, v88, 2
	; wave barrier
	v_add_u32_e32 v104, 0x410, v5
	ds_read_b32 v103, v5 offset:1040
	v_and_b32_e32 v5, 1, v20
	v_add_co_u32_e32 v21, vcc, -1, v5
	v_addc_co_u32_e64 v22, s[36:37], 0, -1, vcc
	v_cmp_ne_u32_e32 vcc, 0, v5
	v_xor_b32_e32 v5, vcc_hi, v22
	v_and_b32_e32 v22, exec_hi, v5
	v_lshlrev_b32_e32 v5, 30, v20
	v_xor_b32_e32 v21, vcc_lo, v21
	v_cmp_gt_i64_e32 vcc, 0, v[4:5]
	v_not_b32_e32 v5, v5
	v_ashrrev_i32_e32 v5, 31, v5
	v_and_b32_e32 v21, exec_lo, v21
	v_xor_b32_e32 v23, vcc_hi, v5
	v_xor_b32_e32 v5, vcc_lo, v5
	v_and_b32_e32 v21, v21, v5
	v_lshlrev_b32_e32 v5, 29, v20
	v_cmp_gt_i64_e32 vcc, 0, v[4:5]
	v_not_b32_e32 v5, v5
	v_ashrrev_i32_e32 v5, 31, v5
	v_and_b32_e32 v22, v22, v23
	v_xor_b32_e32 v23, vcc_hi, v5
	v_xor_b32_e32 v5, vcc_lo, v5
	v_and_b32_e32 v21, v21, v5
	v_lshlrev_b32_e32 v5, 28, v20
	v_cmp_gt_i64_e32 vcc, 0, v[4:5]
	v_not_b32_e32 v5, v5
	v_ashrrev_i32_e32 v5, 31, v5
	v_and_b32_e32 v22, v22, v23
	;; [unrolled: 8-line block ×5, first 2 shown]
	v_xor_b32_e32 v23, vcc_hi, v5
	v_xor_b32_e32 v5, vcc_lo, v5
	v_and_b32_e32 v22, v22, v23
	v_and_b32_e32 v23, v21, v5
	v_lshlrev_b32_e32 v5, 24, v20
	v_cmp_gt_i64_e32 vcc, 0, v[4:5]
	v_not_b32_e32 v5, v5
	v_ashrrev_i32_e32 v5, 31, v5
	v_xor_b32_e32 v20, vcc_hi, v5
	v_xor_b32_e32 v5, vcc_lo, v5
	v_and_b32_e32 v21, v22, v20
	v_and_b32_e32 v20, v23, v5
	v_mbcnt_lo_u32_b32 v5, v20, 0
	v_mbcnt_hi_u32_b32 v105, v21, v5
	v_cmp_eq_u32_e32 vcc, 0, v105
	v_cmp_ne_u64_e64 s[36:37], 0, v[20:21]
	s_and_b64 s[38:39], s[36:37], vcc
	; wave barrier
	s_and_saveexec_b64 s[36:37], s[38:39]
	s_cbranch_execz .LBB189_92
; %bb.91:                               ;   in Loop: Header=BB189_66 Depth=2
	v_bcnt_u32_b32 v5, v20, 0
	v_bcnt_u32_b32 v5, v21, v5
	s_waitcnt lgkmcnt(0)
	v_add_u32_e32 v5, v103, v5
	ds_write_b32 v104, v5
.LBB189_92:                             ;   in Loop: Header=BB189_66 Depth=2
	s_or_b64 exec, exec, s[36:37]
	s_waitcnt vmcnt(3)
	v_lshrrev_b32_sdwa v5, s68, v93 dst_sel:DWORD dst_unused:UNUSED_PAD src0_sel:DWORD src1_sel:BYTE_0
	v_and_b32_e32 v20, s77, v5
	v_mul_u32_u24_e32 v5, 5, v20
	v_add_lshl_u32 v5, v5, v88, 2
	; wave barrier
	v_add_u32_e32 v107, 0x410, v5
	ds_read_b32 v106, v5 offset:1040
	v_and_b32_e32 v5, 1, v20
	v_add_co_u32_e32 v21, vcc, -1, v5
	v_addc_co_u32_e64 v22, s[36:37], 0, -1, vcc
	v_cmp_ne_u32_e32 vcc, 0, v5
	v_xor_b32_e32 v5, vcc_hi, v22
	v_and_b32_e32 v22, exec_hi, v5
	v_lshlrev_b32_e32 v5, 30, v20
	v_xor_b32_e32 v21, vcc_lo, v21
	v_cmp_gt_i64_e32 vcc, 0, v[4:5]
	v_not_b32_e32 v5, v5
	v_ashrrev_i32_e32 v5, 31, v5
	v_and_b32_e32 v21, exec_lo, v21
	v_xor_b32_e32 v23, vcc_hi, v5
	v_xor_b32_e32 v5, vcc_lo, v5
	v_and_b32_e32 v21, v21, v5
	v_lshlrev_b32_e32 v5, 29, v20
	v_cmp_gt_i64_e32 vcc, 0, v[4:5]
	v_not_b32_e32 v5, v5
	v_ashrrev_i32_e32 v5, 31, v5
	v_and_b32_e32 v22, v22, v23
	v_xor_b32_e32 v23, vcc_hi, v5
	v_xor_b32_e32 v5, vcc_lo, v5
	v_and_b32_e32 v21, v21, v5
	v_lshlrev_b32_e32 v5, 28, v20
	v_cmp_gt_i64_e32 vcc, 0, v[4:5]
	v_not_b32_e32 v5, v5
	v_ashrrev_i32_e32 v5, 31, v5
	v_and_b32_e32 v22, v22, v23
	;; [unrolled: 8-line block ×5, first 2 shown]
	v_xor_b32_e32 v23, vcc_hi, v5
	v_xor_b32_e32 v5, vcc_lo, v5
	v_and_b32_e32 v22, v22, v23
	v_and_b32_e32 v23, v21, v5
	v_lshlrev_b32_e32 v5, 24, v20
	v_cmp_gt_i64_e32 vcc, 0, v[4:5]
	v_not_b32_e32 v5, v5
	v_ashrrev_i32_e32 v5, 31, v5
	v_xor_b32_e32 v20, vcc_hi, v5
	v_xor_b32_e32 v5, vcc_lo, v5
	v_and_b32_e32 v21, v22, v20
	v_and_b32_e32 v20, v23, v5
	v_mbcnt_lo_u32_b32 v5, v20, 0
	v_mbcnt_hi_u32_b32 v108, v21, v5
	v_cmp_eq_u32_e32 vcc, 0, v108
	v_cmp_ne_u64_e64 s[36:37], 0, v[20:21]
	s_and_b64 s[38:39], s[36:37], vcc
	; wave barrier
	s_and_saveexec_b64 s[36:37], s[38:39]
	s_cbranch_execz .LBB189_94
; %bb.93:                               ;   in Loop: Header=BB189_66 Depth=2
	v_bcnt_u32_b32 v5, v20, 0
	v_bcnt_u32_b32 v5, v21, v5
	s_waitcnt lgkmcnt(0)
	v_add_u32_e32 v5, v106, v5
	ds_write_b32 v107, v5
.LBB189_94:                             ;   in Loop: Header=BB189_66 Depth=2
	s_or_b64 exec, exec, s[36:37]
	s_waitcnt vmcnt(2)
	v_lshrrev_b32_sdwa v5, s68, v94 dst_sel:DWORD dst_unused:UNUSED_PAD src0_sel:DWORD src1_sel:BYTE_0
	v_and_b32_e32 v20, s77, v5
	v_mul_u32_u24_e32 v5, 5, v20
	v_add_lshl_u32 v5, v5, v88, 2
	; wave barrier
	v_add_u32_e32 v110, 0x410, v5
	ds_read_b32 v109, v5 offset:1040
	v_and_b32_e32 v5, 1, v20
	v_add_co_u32_e32 v21, vcc, -1, v5
	v_addc_co_u32_e64 v22, s[36:37], 0, -1, vcc
	v_cmp_ne_u32_e32 vcc, 0, v5
	v_xor_b32_e32 v5, vcc_hi, v22
	v_and_b32_e32 v22, exec_hi, v5
	v_lshlrev_b32_e32 v5, 30, v20
	v_xor_b32_e32 v21, vcc_lo, v21
	v_cmp_gt_i64_e32 vcc, 0, v[4:5]
	v_not_b32_e32 v5, v5
	v_ashrrev_i32_e32 v5, 31, v5
	v_and_b32_e32 v21, exec_lo, v21
	v_xor_b32_e32 v23, vcc_hi, v5
	v_xor_b32_e32 v5, vcc_lo, v5
	v_and_b32_e32 v21, v21, v5
	v_lshlrev_b32_e32 v5, 29, v20
	v_cmp_gt_i64_e32 vcc, 0, v[4:5]
	v_not_b32_e32 v5, v5
	v_ashrrev_i32_e32 v5, 31, v5
	v_and_b32_e32 v22, v22, v23
	v_xor_b32_e32 v23, vcc_hi, v5
	v_xor_b32_e32 v5, vcc_lo, v5
	v_and_b32_e32 v21, v21, v5
	v_lshlrev_b32_e32 v5, 28, v20
	v_cmp_gt_i64_e32 vcc, 0, v[4:5]
	v_not_b32_e32 v5, v5
	v_ashrrev_i32_e32 v5, 31, v5
	v_and_b32_e32 v22, v22, v23
	;; [unrolled: 8-line block ×5, first 2 shown]
	v_xor_b32_e32 v23, vcc_hi, v5
	v_xor_b32_e32 v5, vcc_lo, v5
	v_and_b32_e32 v22, v22, v23
	v_and_b32_e32 v23, v21, v5
	v_lshlrev_b32_e32 v5, 24, v20
	v_cmp_gt_i64_e32 vcc, 0, v[4:5]
	v_not_b32_e32 v5, v5
	v_ashrrev_i32_e32 v5, 31, v5
	v_xor_b32_e32 v20, vcc_hi, v5
	v_xor_b32_e32 v5, vcc_lo, v5
	v_and_b32_e32 v21, v22, v20
	v_and_b32_e32 v20, v23, v5
	v_mbcnt_lo_u32_b32 v5, v20, 0
	v_mbcnt_hi_u32_b32 v111, v21, v5
	v_cmp_eq_u32_e32 vcc, 0, v111
	v_cmp_ne_u64_e64 s[36:37], 0, v[20:21]
	s_and_b64 s[38:39], s[36:37], vcc
	; wave barrier
	s_and_saveexec_b64 s[36:37], s[38:39]
	s_cbranch_execz .LBB189_96
; %bb.95:                               ;   in Loop: Header=BB189_66 Depth=2
	v_bcnt_u32_b32 v5, v20, 0
	v_bcnt_u32_b32 v5, v21, v5
	s_waitcnt lgkmcnt(0)
	v_add_u32_e32 v5, v109, v5
	ds_write_b32 v110, v5
.LBB189_96:                             ;   in Loop: Header=BB189_66 Depth=2
	s_or_b64 exec, exec, s[36:37]
	s_waitcnt vmcnt(1)
	v_lshrrev_b32_sdwa v5, s68, v95 dst_sel:DWORD dst_unused:UNUSED_PAD src0_sel:DWORD src1_sel:BYTE_0
	v_and_b32_e32 v20, s77, v5
	v_mul_u32_u24_e32 v5, 5, v20
	v_add_lshl_u32 v5, v5, v88, 2
	; wave barrier
	v_add_u32_e32 v113, 0x410, v5
	ds_read_b32 v112, v5 offset:1040
	v_and_b32_e32 v5, 1, v20
	v_add_co_u32_e32 v21, vcc, -1, v5
	v_addc_co_u32_e64 v22, s[36:37], 0, -1, vcc
	v_cmp_ne_u32_e32 vcc, 0, v5
	v_xor_b32_e32 v5, vcc_hi, v22
	v_and_b32_e32 v22, exec_hi, v5
	v_lshlrev_b32_e32 v5, 30, v20
	v_xor_b32_e32 v21, vcc_lo, v21
	v_cmp_gt_i64_e32 vcc, 0, v[4:5]
	v_not_b32_e32 v5, v5
	v_ashrrev_i32_e32 v5, 31, v5
	v_and_b32_e32 v21, exec_lo, v21
	v_xor_b32_e32 v23, vcc_hi, v5
	v_xor_b32_e32 v5, vcc_lo, v5
	v_and_b32_e32 v21, v21, v5
	v_lshlrev_b32_e32 v5, 29, v20
	v_cmp_gt_i64_e32 vcc, 0, v[4:5]
	v_not_b32_e32 v5, v5
	v_ashrrev_i32_e32 v5, 31, v5
	v_and_b32_e32 v22, v22, v23
	v_xor_b32_e32 v23, vcc_hi, v5
	v_xor_b32_e32 v5, vcc_lo, v5
	v_and_b32_e32 v21, v21, v5
	v_lshlrev_b32_e32 v5, 28, v20
	v_cmp_gt_i64_e32 vcc, 0, v[4:5]
	v_not_b32_e32 v5, v5
	v_ashrrev_i32_e32 v5, 31, v5
	v_and_b32_e32 v22, v22, v23
	;; [unrolled: 8-line block ×5, first 2 shown]
	v_xor_b32_e32 v23, vcc_hi, v5
	v_xor_b32_e32 v5, vcc_lo, v5
	v_and_b32_e32 v22, v22, v23
	v_and_b32_e32 v23, v21, v5
	v_lshlrev_b32_e32 v5, 24, v20
	v_cmp_gt_i64_e32 vcc, 0, v[4:5]
	v_not_b32_e32 v5, v5
	v_ashrrev_i32_e32 v5, 31, v5
	v_xor_b32_e32 v20, vcc_hi, v5
	v_xor_b32_e32 v5, vcc_lo, v5
	v_and_b32_e32 v21, v22, v20
	v_and_b32_e32 v20, v23, v5
	v_mbcnt_lo_u32_b32 v5, v20, 0
	v_mbcnt_hi_u32_b32 v114, v21, v5
	v_cmp_eq_u32_e32 vcc, 0, v114
	v_cmp_ne_u64_e64 s[36:37], 0, v[20:21]
	s_and_b64 s[38:39], s[36:37], vcc
	; wave barrier
	s_and_saveexec_b64 s[36:37], s[38:39]
	s_cbranch_execz .LBB189_98
; %bb.97:                               ;   in Loop: Header=BB189_66 Depth=2
	v_bcnt_u32_b32 v5, v20, 0
	v_bcnt_u32_b32 v5, v21, v5
	s_waitcnt lgkmcnt(0)
	v_add_u32_e32 v5, v112, v5
	ds_write_b32 v113, v5
.LBB189_98:                             ;   in Loop: Header=BB189_66 Depth=2
	s_or_b64 exec, exec, s[36:37]
	s_waitcnt vmcnt(0)
	v_lshrrev_b32_sdwa v5, s68, v96 dst_sel:DWORD dst_unused:UNUSED_PAD src0_sel:DWORD src1_sel:BYTE_0
	v_and_b32_e32 v20, s77, v5
	v_mul_u32_u24_e32 v5, 5, v20
	v_add_lshl_u32 v5, v5, v88, 2
	; wave barrier
	v_add_u32_e32 v116, 0x410, v5
	ds_read_b32 v115, v5 offset:1040
	v_and_b32_e32 v5, 1, v20
	v_add_co_u32_e32 v21, vcc, -1, v5
	v_addc_co_u32_e64 v22, s[36:37], 0, -1, vcc
	v_cmp_ne_u32_e32 vcc, 0, v5
	v_xor_b32_e32 v5, vcc_hi, v22
	v_and_b32_e32 v22, exec_hi, v5
	v_lshlrev_b32_e32 v5, 30, v20
	v_xor_b32_e32 v21, vcc_lo, v21
	v_cmp_gt_i64_e32 vcc, 0, v[4:5]
	v_not_b32_e32 v5, v5
	v_ashrrev_i32_e32 v5, 31, v5
	v_and_b32_e32 v21, exec_lo, v21
	v_xor_b32_e32 v23, vcc_hi, v5
	v_xor_b32_e32 v5, vcc_lo, v5
	v_and_b32_e32 v21, v21, v5
	v_lshlrev_b32_e32 v5, 29, v20
	v_cmp_gt_i64_e32 vcc, 0, v[4:5]
	v_not_b32_e32 v5, v5
	v_ashrrev_i32_e32 v5, 31, v5
	v_and_b32_e32 v22, v22, v23
	v_xor_b32_e32 v23, vcc_hi, v5
	v_xor_b32_e32 v5, vcc_lo, v5
	v_and_b32_e32 v21, v21, v5
	v_lshlrev_b32_e32 v5, 28, v20
	v_cmp_gt_i64_e32 vcc, 0, v[4:5]
	v_not_b32_e32 v5, v5
	v_ashrrev_i32_e32 v5, 31, v5
	v_and_b32_e32 v22, v22, v23
	;; [unrolled: 8-line block ×5, first 2 shown]
	v_xor_b32_e32 v23, vcc_hi, v5
	v_xor_b32_e32 v5, vcc_lo, v5
	v_and_b32_e32 v22, v22, v23
	v_and_b32_e32 v23, v21, v5
	v_lshlrev_b32_e32 v5, 24, v20
	v_cmp_gt_i64_e32 vcc, 0, v[4:5]
	v_not_b32_e32 v5, v5
	v_ashrrev_i32_e32 v5, 31, v5
	v_xor_b32_e32 v20, vcc_hi, v5
	v_xor_b32_e32 v5, vcc_lo, v5
	v_and_b32_e32 v21, v22, v20
	v_and_b32_e32 v20, v23, v5
	v_mbcnt_lo_u32_b32 v5, v20, 0
	v_mbcnt_hi_u32_b32 v117, v21, v5
	v_cmp_eq_u32_e32 vcc, 0, v117
	v_cmp_ne_u64_e64 s[36:37], 0, v[20:21]
	s_and_b64 s[38:39], s[36:37], vcc
	; wave barrier
	s_and_saveexec_b64 s[36:37], s[38:39]
	s_cbranch_execz .LBB189_100
; %bb.99:                               ;   in Loop: Header=BB189_66 Depth=2
	v_bcnt_u32_b32 v5, v20, 0
	v_bcnt_u32_b32 v5, v21, v5
	s_waitcnt lgkmcnt(0)
	v_add_u32_e32 v5, v115, v5
	ds_write_b32 v116, v5
.LBB189_100:                            ;   in Loop: Header=BB189_66 Depth=2
	s_or_b64 exec, exec, s[36:37]
	v_lshrrev_b32_sdwa v5, s68, v97 dst_sel:DWORD dst_unused:UNUSED_PAD src0_sel:DWORD src1_sel:BYTE_0
	v_and_b32_e32 v20, s77, v5
	v_mul_u32_u24_e32 v5, 5, v20
	v_add_lshl_u32 v5, v5, v88, 2
	; wave barrier
	v_add_u32_e32 v119, 0x410, v5
	ds_read_b32 v118, v5 offset:1040
	v_and_b32_e32 v5, 1, v20
	v_add_co_u32_e32 v21, vcc, -1, v5
	v_addc_co_u32_e64 v22, s[36:37], 0, -1, vcc
	v_cmp_ne_u32_e32 vcc, 0, v5
	v_xor_b32_e32 v5, vcc_hi, v22
	v_and_b32_e32 v22, exec_hi, v5
	v_lshlrev_b32_e32 v5, 30, v20
	v_xor_b32_e32 v21, vcc_lo, v21
	v_cmp_gt_i64_e32 vcc, 0, v[4:5]
	v_not_b32_e32 v5, v5
	v_ashrrev_i32_e32 v5, 31, v5
	v_and_b32_e32 v21, exec_lo, v21
	v_xor_b32_e32 v23, vcc_hi, v5
	v_xor_b32_e32 v5, vcc_lo, v5
	v_and_b32_e32 v21, v21, v5
	v_lshlrev_b32_e32 v5, 29, v20
	v_cmp_gt_i64_e32 vcc, 0, v[4:5]
	v_not_b32_e32 v5, v5
	v_ashrrev_i32_e32 v5, 31, v5
	v_and_b32_e32 v22, v22, v23
	v_xor_b32_e32 v23, vcc_hi, v5
	v_xor_b32_e32 v5, vcc_lo, v5
	v_and_b32_e32 v21, v21, v5
	v_lshlrev_b32_e32 v5, 28, v20
	v_cmp_gt_i64_e32 vcc, 0, v[4:5]
	v_not_b32_e32 v5, v5
	v_ashrrev_i32_e32 v5, 31, v5
	v_and_b32_e32 v22, v22, v23
	;; [unrolled: 8-line block ×5, first 2 shown]
	v_xor_b32_e32 v23, vcc_hi, v5
	v_xor_b32_e32 v5, vcc_lo, v5
	v_and_b32_e32 v22, v22, v23
	v_and_b32_e32 v23, v21, v5
	v_lshlrev_b32_e32 v5, 24, v20
	v_cmp_gt_i64_e32 vcc, 0, v[4:5]
	v_not_b32_e32 v5, v5
	v_ashrrev_i32_e32 v5, 31, v5
	v_xor_b32_e32 v20, vcc_hi, v5
	v_xor_b32_e32 v5, vcc_lo, v5
	v_and_b32_e32 v21, v22, v20
	v_and_b32_e32 v20, v23, v5
	v_mbcnt_lo_u32_b32 v5, v20, 0
	v_mbcnt_hi_u32_b32 v120, v21, v5
	v_cmp_eq_u32_e32 vcc, 0, v120
	v_cmp_ne_u64_e64 s[36:37], 0, v[20:21]
	s_and_b64 s[38:39], s[36:37], vcc
	; wave barrier
	s_and_saveexec_b64 s[36:37], s[38:39]
	s_cbranch_execz .LBB189_102
; %bb.101:                              ;   in Loop: Header=BB189_66 Depth=2
	v_bcnt_u32_b32 v5, v20, 0
	v_bcnt_u32_b32 v5, v21, v5
	s_waitcnt lgkmcnt(0)
	v_add_u32_e32 v5, v118, v5
	ds_write_b32 v119, v5
.LBB189_102:                            ;   in Loop: Header=BB189_66 Depth=2
	s_or_b64 exec, exec, s[36:37]
	; wave barrier
	s_waitcnt lgkmcnt(0)
	s_barrier
	ds_read_b32 v5, v42 offset:1040
	ds_read2_b32 v[22:23], v44 offset0:1 offset1:2
	ds_read2_b32 v[20:21], v44 offset0:3 offset1:4
	s_waitcnt lgkmcnt(1)
	v_add3_u32 v121, v22, v5, v23
	s_waitcnt lgkmcnt(0)
	v_add3_u32 v21, v121, v20, v21
	s_nop 1
	v_mov_b32_dpp v121, v21 row_shr:1 row_mask:0xf bank_mask:0xf
	v_cndmask_b32_e64 v121, v121, 0, s[16:17]
	v_add_u32_e32 v21, v121, v21
	s_nop 1
	v_mov_b32_dpp v121, v21 row_shr:2 row_mask:0xf bank_mask:0xf
	v_cndmask_b32_e64 v121, 0, v121, s[18:19]
	v_add_u32_e32 v21, v21, v121
	s_nop 1
	v_mov_b32_dpp v121, v21 row_shr:4 row_mask:0xf bank_mask:0xf
	v_cndmask_b32_e64 v121, 0, v121, s[20:21]
	v_add_u32_e32 v21, v21, v121
	s_nop 1
	v_mov_b32_dpp v121, v21 row_shr:8 row_mask:0xf bank_mask:0xf
	v_cndmask_b32_e64 v121, 0, v121, s[22:23]
	v_add_u32_e32 v21, v21, v121
	s_nop 1
	v_mov_b32_dpp v121, v21 row_bcast:15 row_mask:0xf bank_mask:0xf
	v_cndmask_b32_e64 v121, v121, 0, s[24:25]
	v_add_u32_e32 v21, v21, v121
	s_nop 1
	v_mov_b32_dpp v121, v21 row_bcast:31 row_mask:0xf bank_mask:0xf
	v_cndmask_b32_e64 v121, 0, v121, s[26:27]
	v_add_u32_e32 v21, v21, v121
	s_and_saveexec_b64 s[36:37], s[6:7]
	s_cbranch_execz .LBB189_104
; %bb.103:                              ;   in Loop: Header=BB189_66 Depth=2
	ds_write_b32 v35, v21 offset:1024
.LBB189_104:                            ;   in Loop: Header=BB189_66 Depth=2
	s_or_b64 exec, exec, s[36:37]
	s_waitcnt lgkmcnt(0)
	s_barrier
	s_and_saveexec_b64 s[36:37], s[8:9]
	s_cbranch_execz .LBB189_106
; %bb.105:                              ;   in Loop: Header=BB189_66 Depth=2
	v_add_u32_e32 v121, v42, v45
	ds_read_b32 v122, v121 offset:1024
	s_waitcnt lgkmcnt(0)
	s_nop 0
	v_mov_b32_dpp v123, v122 row_shr:1 row_mask:0xf bank_mask:0xf
	v_cndmask_b32_e64 v123, v123, 0, s[30:31]
	v_add_u32_e32 v122, v123, v122
	s_nop 1
	v_mov_b32_dpp v123, v122 row_shr:2 row_mask:0xf bank_mask:0xf
	v_cndmask_b32_e64 v123, 0, v123, s[34:35]
	v_add_u32_e32 v122, v122, v123
	ds_write_b32 v121, v122 offset:1024
.LBB189_106:                            ;   in Loop: Header=BB189_66 Depth=2
	s_or_b64 exec, exec, s[36:37]
	v_mov_b32_e32 v121, 0
	s_waitcnt lgkmcnt(0)
	s_barrier
	s_and_saveexec_b64 s[36:37], s[10:11]
	s_cbranch_execz .LBB189_108
; %bb.107:                              ;   in Loop: Header=BB189_66 Depth=2
	ds_read_b32 v121, v35 offset:1020
.LBB189_108:                            ;   in Loop: Header=BB189_66 Depth=2
	s_or_b64 exec, exec, s[36:37]
	s_waitcnt lgkmcnt(0)
	v_add_u32_e32 v21, v121, v21
	ds_bpermute_b32 v21, v65, v21
	s_waitcnt lgkmcnt(0)
	v_cndmask_b32_e64 v21, v21, v121, s[28:29]
	v_cndmask_b32_e64 v21, v21, 0, s[12:13]
	v_add_u32_e32 v5, v21, v5
	ds_write_b32 v42, v21 offset:1040
	v_add_u32_e32 v21, v5, v22
	v_add_u32_e32 v22, v21, v23
	ds_write2_b32 v44, v5, v21 offset0:1 offset1:2
	v_add_u32_e32 v5, v22, v20
	ds_write2_b32 v44, v22, v5 offset0:3 offset1:4
	s_waitcnt lgkmcnt(0)
	s_barrier
	ds_read_b32 v20, v101
	ds_read_b32 v21, v104
	;; [unrolled: 1-line block ×8, first 2 shown]
	ds_read_b32 v101, v42 offset:1040
	v_mov_b32_e32 v5, 0x800
	s_and_saveexec_b64 s[36:37], s[14:15]
	s_cbranch_execz .LBB189_110
; %bb.109:                              ;   in Loop: Header=BB189_66 Depth=2
	ds_read_b32 v5, v42 offset:1060
.LBB189_110:                            ;   in Loop: Header=BB189_66 Depth=2
	s_or_b64 exec, exec, s[36:37]
	s_waitcnt lgkmcnt(0)
	s_barrier
	s_and_saveexec_b64 s[36:37], s[4:5]
	s_cbranch_execz .LBB189_112
; %bb.111:                              ;   in Loop: Header=BB189_66 Depth=2
	ds_read_b32 v104, v3
	s_waitcnt lgkmcnt(0)
	v_sub_u32_e32 v101, v104, v101
	ds_write_b32 v3, v101
.LBB189_112:                            ;   in Loop: Header=BB189_66 Depth=2
	s_or_b64 exec, exec, s[36:37]
	v_add_u32_e32 v104, v98, v99
	v_add3_u32 v102, v102, v100, v20
	v_add3_u32 v101, v105, v103, v21
	;; [unrolled: 1-line block ×7, first 2 shown]
	v_cmp_lt_u32_e64 s[48:49], v2, v89
	ds_write_b8 v104, v90 offset:1024
	ds_write_b8 v102, v91 offset:1024
	;; [unrolled: 1-line block ×8, first 2 shown]
	s_waitcnt lgkmcnt(0)
	s_barrier
	s_and_saveexec_b64 s[36:37], s[48:49]
	s_cbranch_execz .LBB189_120
; %bb.113:                              ;   in Loop: Header=BB189_66 Depth=2
	ds_read_u8 v20, v2 offset:1024
	s_waitcnt lgkmcnt(0)
	v_lshrrev_b32_sdwa v21, s68, v20 dst_sel:DWORD dst_unused:UNUSED_PAD src0_sel:DWORD src1_sel:BYTE_0
	v_and_b32_e32 v21, s77, v21
	v_lshlrev_b32_e32 v21, 2, v21
	ds_read_b32 v21, v21
	s_waitcnt lgkmcnt(0)
	v_add_u32_e32 v21, v21, v2
	global_store_byte v21, v20, s[58:59]
	s_or_b64 exec, exec, s[36:37]
	v_cmp_lt_u32_e64 s[46:47], v24, v89
	s_and_saveexec_b64 s[36:37], s[46:47]
	s_cbranch_execnz .LBB189_121
.LBB189_114:                            ;   in Loop: Header=BB189_66 Depth=2
	s_or_b64 exec, exec, s[36:37]
	v_cmp_lt_u32_e64 s[44:45], v25, v89
	s_and_saveexec_b64 s[36:37], s[44:45]
	s_cbranch_execz .LBB189_122
.LBB189_115:                            ;   in Loop: Header=BB189_66 Depth=2
	ds_read_u8 v20, v30 offset:512
	s_waitcnt lgkmcnt(0)
	v_lshrrev_b32_sdwa v21, s68, v20 dst_sel:DWORD dst_unused:UNUSED_PAD src0_sel:DWORD src1_sel:BYTE_0
	v_and_b32_e32 v21, s77, v21
	v_lshlrev_b32_e32 v21, 2, v21
	ds_read_b32 v21, v21
	s_waitcnt lgkmcnt(0)
	v_add_u32_e32 v21, v21, v25
	global_store_byte v21, v20, s[58:59]
	s_or_b64 exec, exec, s[36:37]
	v_cmp_lt_u32_e64 s[42:43], v26, v89
	s_and_saveexec_b64 s[36:37], s[42:43]
	s_cbranch_execnz .LBB189_123
.LBB189_116:                            ;   in Loop: Header=BB189_66 Depth=2
	s_or_b64 exec, exec, s[36:37]
	v_cmp_lt_u32_e64 s[40:41], v30, v89
	s_and_saveexec_b64 s[36:37], s[40:41]
	s_cbranch_execz .LBB189_124
.LBB189_117:                            ;   in Loop: Header=BB189_66 Depth=2
	ds_read_u8 v20, v30 offset:1024
	s_waitcnt lgkmcnt(0)
	v_lshrrev_b32_sdwa v21, s68, v20 dst_sel:DWORD dst_unused:UNUSED_PAD src0_sel:DWORD src1_sel:BYTE_0
	v_and_b32_e32 v21, s77, v21
	v_lshlrev_b32_e32 v21, 2, v21
	ds_read_b32 v21, v21
	s_waitcnt lgkmcnt(0)
	v_add_u32_e32 v21, v21, v30
	global_store_byte v21, v20, s[58:59]
	s_or_b64 exec, exec, s[36:37]
	v_cmp_lt_u32_e64 s[38:39], v31, v89
	s_and_saveexec_b64 s[36:37], s[38:39]
	s_cbranch_execnz .LBB189_125
.LBB189_118:                            ;   in Loop: Header=BB189_66 Depth=2
	s_or_b64 exec, exec, s[36:37]
	v_cmp_lt_u32_e64 s[36:37], v32, v89
	s_and_saveexec_b64 s[52:53], s[36:37]
	s_cbranch_execz .LBB189_126
.LBB189_119:                            ;   in Loop: Header=BB189_66 Depth=2
	ds_read_u8 v20, v30 offset:1536
	s_waitcnt lgkmcnt(0)
	v_lshrrev_b32_sdwa v21, s68, v20 dst_sel:DWORD dst_unused:UNUSED_PAD src0_sel:DWORD src1_sel:BYTE_0
	v_and_b32_e32 v21, s77, v21
	v_lshlrev_b32_e32 v21, 2, v21
	ds_read_b32 v21, v21
	s_waitcnt lgkmcnt(0)
	v_add_u32_e32 v21, v21, v32
	global_store_byte v21, v20, s[58:59]
	s_or_b64 exec, exec, s[52:53]
	v_cmp_lt_u32_e32 vcc, v33, v89
	s_and_saveexec_b64 s[52:53], vcc
	s_cbranch_execnz .LBB189_127
	s_branch .LBB189_128
.LBB189_120:                            ;   in Loop: Header=BB189_66 Depth=2
	s_or_b64 exec, exec, s[36:37]
	v_cmp_lt_u32_e64 s[46:47], v24, v89
	s_and_saveexec_b64 s[36:37], s[46:47]
	s_cbranch_execz .LBB189_114
.LBB189_121:                            ;   in Loop: Header=BB189_66 Depth=2
	ds_read_u8 v20, v30 offset:256
	s_waitcnt lgkmcnt(0)
	v_lshrrev_b32_sdwa v21, s68, v20 dst_sel:DWORD dst_unused:UNUSED_PAD src0_sel:DWORD src1_sel:BYTE_0
	v_and_b32_e32 v21, s77, v21
	v_lshlrev_b32_e32 v21, 2, v21
	ds_read_b32 v21, v21
	s_waitcnt lgkmcnt(0)
	v_add_u32_e32 v21, v21, v24
	global_store_byte v21, v20, s[58:59]
	s_or_b64 exec, exec, s[36:37]
	v_cmp_lt_u32_e64 s[44:45], v25, v89
	s_and_saveexec_b64 s[36:37], s[44:45]
	s_cbranch_execnz .LBB189_115
.LBB189_122:                            ;   in Loop: Header=BB189_66 Depth=2
	s_or_b64 exec, exec, s[36:37]
	v_cmp_lt_u32_e64 s[42:43], v26, v89
	s_and_saveexec_b64 s[36:37], s[42:43]
	s_cbranch_execz .LBB189_116
.LBB189_123:                            ;   in Loop: Header=BB189_66 Depth=2
	ds_read_u8 v20, v30 offset:768
	s_waitcnt lgkmcnt(0)
	v_lshrrev_b32_sdwa v21, s68, v20 dst_sel:DWORD dst_unused:UNUSED_PAD src0_sel:DWORD src1_sel:BYTE_0
	v_and_b32_e32 v21, s77, v21
	v_lshlrev_b32_e32 v21, 2, v21
	ds_read_b32 v21, v21
	s_waitcnt lgkmcnt(0)
	v_add_u32_e32 v21, v21, v26
	global_store_byte v21, v20, s[58:59]
	s_or_b64 exec, exec, s[36:37]
	v_cmp_lt_u32_e64 s[40:41], v30, v89
	s_and_saveexec_b64 s[36:37], s[40:41]
	s_cbranch_execnz .LBB189_117
.LBB189_124:                            ;   in Loop: Header=BB189_66 Depth=2
	s_or_b64 exec, exec, s[36:37]
	v_cmp_lt_u32_e64 s[38:39], v31, v89
	s_and_saveexec_b64 s[36:37], s[38:39]
	s_cbranch_execz .LBB189_118
.LBB189_125:                            ;   in Loop: Header=BB189_66 Depth=2
	ds_read_u8 v20, v30 offset:1280
	s_waitcnt lgkmcnt(0)
	v_lshrrev_b32_sdwa v21, s68, v20 dst_sel:DWORD dst_unused:UNUSED_PAD src0_sel:DWORD src1_sel:BYTE_0
	v_and_b32_e32 v21, s77, v21
	v_lshlrev_b32_e32 v21, 2, v21
	ds_read_b32 v21, v21
	s_waitcnt lgkmcnt(0)
	v_add_u32_e32 v21, v21, v31
	global_store_byte v21, v20, s[58:59]
	s_or_b64 exec, exec, s[36:37]
	v_cmp_lt_u32_e64 s[36:37], v32, v89
	s_and_saveexec_b64 s[52:53], s[36:37]
	s_cbranch_execnz .LBB189_119
.LBB189_126:                            ;   in Loop: Header=BB189_66 Depth=2
	s_or_b64 exec, exec, s[52:53]
	v_cmp_lt_u32_e32 vcc, v33, v89
	s_and_saveexec_b64 s[52:53], vcc
	s_cbranch_execz .LBB189_128
.LBB189_127:                            ;   in Loop: Header=BB189_66 Depth=2
	ds_read_u8 v20, v30 offset:1792
	s_waitcnt lgkmcnt(0)
	v_lshrrev_b32_sdwa v21, s68, v20 dst_sel:DWORD dst_unused:UNUSED_PAD src0_sel:DWORD src1_sel:BYTE_0
	v_and_b32_e32 v21, s77, v21
	v_lshlrev_b32_e32 v21, 2, v21
	ds_read_b32 v21, v21
	s_waitcnt lgkmcnt(0)
	v_add_u32_e32 v21, v21, v33
	global_store_byte v21, v20, s[58:59]
.LBB189_128:                            ;   in Loop: Header=BB189_66 Depth=2
	s_or_b64 exec, exec, s[52:53]
	s_lshl_b64 s[52:53], s[72:73], 3
	v_mov_b32_e32 v21, s53
	v_add_co_u32_e64 v20, s[52:53], s52, v77
	v_addc_co_u32_e64 v21, s[52:53], v78, v21, s[52:53]
	v_cmp_lt_u32_e64 s[52:53], v72, v89
	s_and_saveexec_b64 s[62:63], s[52:53]
	s_xor_b64 s[52:53], exec, s[62:63]
	s_cbranch_execz .LBB189_144
; %bb.129:                              ;   in Loop: Header=BB189_66 Depth=2
	global_load_dwordx2 v[18:19], v[20:21], off
	s_or_b64 exec, exec, s[52:53]
	v_cmp_lt_u32_e64 s[52:53], v79, v89
	s_and_saveexec_b64 s[62:63], s[52:53]
	s_cbranch_execnz .LBB189_145
.LBB189_130:                            ;   in Loop: Header=BB189_66 Depth=2
	s_or_b64 exec, exec, s[62:63]
	v_cmp_lt_u32_e64 s[52:53], v80, v89
	s_and_saveexec_b64 s[62:63], s[52:53]
	s_cbranch_execz .LBB189_146
.LBB189_131:                            ;   in Loop: Header=BB189_66 Depth=2
	global_load_dwordx2 v[14:15], v[20:21], off offset:1024
	s_or_b64 exec, exec, s[62:63]
	v_cmp_lt_u32_e64 s[52:53], v81, v89
	s_and_saveexec_b64 s[62:63], s[52:53]
	s_cbranch_execnz .LBB189_147
.LBB189_132:                            ;   in Loop: Header=BB189_66 Depth=2
	s_or_b64 exec, exec, s[62:63]
	v_cmp_lt_u32_e64 s[52:53], v82, v89
	s_and_saveexec_b64 s[62:63], s[52:53]
	s_cbranch_execz .LBB189_148
.LBB189_133:                            ;   in Loop: Header=BB189_66 Depth=2
	global_load_dwordx2 v[10:11], v[20:21], off offset:2048
	s_or_b64 exec, exec, s[62:63]
	v_cmp_lt_u32_e64 s[52:53], v83, v89
	s_and_saveexec_b64 s[62:63], s[52:53]
	s_cbranch_execnz .LBB189_149
.LBB189_134:                            ;   in Loop: Header=BB189_66 Depth=2
	s_or_b64 exec, exec, s[62:63]
	v_cmp_lt_u32_e64 s[52:53], v84, v89
	s_and_saveexec_b64 s[62:63], s[52:53]
	s_cbranch_execz .LBB189_150
.LBB189_135:                            ;   in Loop: Header=BB189_66 Depth=2
	global_load_dwordx2 v[6:7], v[20:21], off offset:3072
	s_or_b64 exec, exec, s[62:63]
	v_cmp_lt_u32_e64 s[52:53], v85, v89
	s_and_saveexec_b64 s[62:63], s[52:53]
	s_cbranch_execnz .LBB189_151
.LBB189_136:                            ;   in Loop: Header=BB189_66 Depth=2
	s_or_b64 exec, exec, s[62:63]
	s_and_saveexec_b64 s[52:53], s[48:49]
	s_cbranch_execz .LBB189_152
.LBB189_137:                            ;   in Loop: Header=BB189_66 Depth=2
	ds_read_u8 v20, v2 offset:1024
	s_waitcnt lgkmcnt(0)
	v_lshrrev_b32_e32 v20, s68, v20
	v_and_b32_e32 v75, s77, v20
	s_or_b64 exec, exec, s[52:53]
	s_and_saveexec_b64 s[52:53], s[46:47]
	s_cbranch_execnz .LBB189_153
.LBB189_138:                            ;   in Loop: Header=BB189_66 Depth=2
	s_or_b64 exec, exec, s[52:53]
	s_and_saveexec_b64 s[52:53], s[44:45]
	s_cbranch_execz .LBB189_154
.LBB189_139:                            ;   in Loop: Header=BB189_66 Depth=2
	ds_read_u8 v20, v30 offset:512
	s_waitcnt lgkmcnt(0)
	v_lshrrev_b32_e32 v20, s68, v20
	v_and_b32_e32 v71, s77, v20
	s_or_b64 exec, exec, s[52:53]
	s_and_saveexec_b64 s[52:53], s[42:43]
	s_cbranch_execnz .LBB189_155
.LBB189_140:                            ;   in Loop: Header=BB189_66 Depth=2
	s_or_b64 exec, exec, s[52:53]
	s_and_saveexec_b64 s[52:53], s[40:41]
	s_cbranch_execz .LBB189_156
.LBB189_141:                            ;   in Loop: Header=BB189_66 Depth=2
	ds_read_u8 v20, v30 offset:1024
	s_waitcnt lgkmcnt(0)
	v_lshrrev_b32_e32 v20, s68, v20
	v_and_b32_e32 v69, s77, v20
	s_or_b64 exec, exec, s[52:53]
	s_and_saveexec_b64 s[52:53], s[38:39]
	s_cbranch_execnz .LBB189_157
.LBB189_142:                            ;   in Loop: Header=BB189_66 Depth=2
	s_or_b64 exec, exec, s[52:53]
	s_and_saveexec_b64 s[52:53], s[36:37]
	s_cbranch_execz .LBB189_158
.LBB189_143:                            ;   in Loop: Header=BB189_66 Depth=2
	ds_read_u8 v20, v30 offset:1536
	s_waitcnt lgkmcnt(0)
	v_lshrrev_b32_e32 v20, s68, v20
	v_and_b32_e32 v67, s77, v20
	s_or_b64 exec, exec, s[52:53]
	s_and_saveexec_b64 s[52:53], vcc
	s_cbranch_execnz .LBB189_159
	s_branch .LBB189_160
.LBB189_144:                            ;   in Loop: Header=BB189_66 Depth=2
	s_or_b64 exec, exec, s[52:53]
	v_cmp_lt_u32_e64 s[52:53], v79, v89
	s_and_saveexec_b64 s[62:63], s[52:53]
	s_cbranch_execz .LBB189_130
.LBB189_145:                            ;   in Loop: Header=BB189_66 Depth=2
	global_load_dwordx2 v[16:17], v[20:21], off offset:512
	s_or_b64 exec, exec, s[62:63]
	v_cmp_lt_u32_e64 s[52:53], v80, v89
	s_and_saveexec_b64 s[62:63], s[52:53]
	s_cbranch_execnz .LBB189_131
.LBB189_146:                            ;   in Loop: Header=BB189_66 Depth=2
	s_or_b64 exec, exec, s[62:63]
	v_cmp_lt_u32_e64 s[52:53], v81, v89
	s_and_saveexec_b64 s[62:63], s[52:53]
	s_cbranch_execz .LBB189_132
.LBB189_147:                            ;   in Loop: Header=BB189_66 Depth=2
	global_load_dwordx2 v[12:13], v[20:21], off offset:1536
	s_or_b64 exec, exec, s[62:63]
	v_cmp_lt_u32_e64 s[52:53], v82, v89
	s_and_saveexec_b64 s[62:63], s[52:53]
	s_cbranch_execnz .LBB189_133
.LBB189_148:                            ;   in Loop: Header=BB189_66 Depth=2
	s_or_b64 exec, exec, s[62:63]
	v_cmp_lt_u32_e64 s[52:53], v83, v89
	s_and_saveexec_b64 s[62:63], s[52:53]
	s_cbranch_execz .LBB189_134
.LBB189_149:                            ;   in Loop: Header=BB189_66 Depth=2
	global_load_dwordx2 v[8:9], v[20:21], off offset:2560
	s_or_b64 exec, exec, s[62:63]
	v_cmp_lt_u32_e64 s[52:53], v84, v89
	s_and_saveexec_b64 s[62:63], s[52:53]
	s_cbranch_execnz .LBB189_135
.LBB189_150:                            ;   in Loop: Header=BB189_66 Depth=2
	s_or_b64 exec, exec, s[62:63]
	v_cmp_lt_u32_e64 s[52:53], v85, v89
	s_and_saveexec_b64 s[62:63], s[52:53]
	s_cbranch_execz .LBB189_136
.LBB189_151:                            ;   in Loop: Header=BB189_66 Depth=2
	global_load_dwordx2 v[0:1], v[20:21], off offset:3584
	s_or_b64 exec, exec, s[62:63]
	s_and_saveexec_b64 s[52:53], s[48:49]
	s_cbranch_execnz .LBB189_137
.LBB189_152:                            ;   in Loop: Header=BB189_66 Depth=2
	s_or_b64 exec, exec, s[52:53]
	s_and_saveexec_b64 s[52:53], s[46:47]
	s_cbranch_execz .LBB189_138
.LBB189_153:                            ;   in Loop: Header=BB189_66 Depth=2
	ds_read_u8 v20, v30 offset:256
	s_waitcnt lgkmcnt(0)
	v_lshrrev_b32_e32 v20, s68, v20
	v_and_b32_e32 v73, s77, v20
	s_or_b64 exec, exec, s[52:53]
	s_and_saveexec_b64 s[52:53], s[44:45]
	s_cbranch_execnz .LBB189_139
.LBB189_154:                            ;   in Loop: Header=BB189_66 Depth=2
	s_or_b64 exec, exec, s[52:53]
	s_and_saveexec_b64 s[52:53], s[42:43]
	s_cbranch_execz .LBB189_140
.LBB189_155:                            ;   in Loop: Header=BB189_66 Depth=2
	ds_read_u8 v20, v30 offset:768
	s_waitcnt lgkmcnt(0)
	v_lshrrev_b32_e32 v20, s68, v20
	v_and_b32_e32 v70, s77, v20
	s_or_b64 exec, exec, s[52:53]
	s_and_saveexec_b64 s[52:53], s[40:41]
	s_cbranch_execnz .LBB189_141
.LBB189_156:                            ;   in Loop: Header=BB189_66 Depth=2
	s_or_b64 exec, exec, s[52:53]
	s_and_saveexec_b64 s[52:53], s[38:39]
	s_cbranch_execz .LBB189_142
.LBB189_157:                            ;   in Loop: Header=BB189_66 Depth=2
	ds_read_u8 v20, v30 offset:1280
	s_waitcnt lgkmcnt(0)
	v_lshrrev_b32_e32 v20, s68, v20
	v_and_b32_e32 v68, s77, v20
	s_or_b64 exec, exec, s[52:53]
	s_and_saveexec_b64 s[52:53], s[36:37]
	s_cbranch_execnz .LBB189_143
.LBB189_158:                            ;   in Loop: Header=BB189_66 Depth=2
	s_or_b64 exec, exec, s[52:53]
	s_and_saveexec_b64 s[52:53], vcc
	s_cbranch_execz .LBB189_160
.LBB189_159:                            ;   in Loop: Header=BB189_66 Depth=2
	ds_read_u8 v20, v30 offset:1792
	s_waitcnt lgkmcnt(0)
	v_lshrrev_b32_e32 v20, s68, v20
	v_and_b32_e32 v66, s77, v20
.LBB189_160:                            ;   in Loop: Header=BB189_66 Depth=2
	s_or_b64 exec, exec, s[52:53]
	v_lshlrev_b32_e32 v20, 3, v104
	s_barrier
	s_waitcnt vmcnt(0)
	ds_write_b64 v20, v[18:19] offset:1024
	v_lshlrev_b32_e32 v20, 3, v102
	ds_write_b64 v20, v[16:17] offset:1024
	v_lshlrev_b32_e32 v20, 3, v101
	;; [unrolled: 2-line block ×7, first 2 shown]
	ds_write_b64 v20, v[0:1] offset:1024
	s_waitcnt lgkmcnt(0)
	s_barrier
	s_and_saveexec_b64 s[52:53], s[48:49]
	s_cbranch_execz .LBB189_168
; %bb.161:                              ;   in Loop: Header=BB189_66 Depth=2
	v_lshlrev_b32_e32 v20, 2, v75
	ds_read_b32 v22, v20
	v_add_u32_e32 v20, v2, v50
	ds_read_b64 v[20:21], v20 offset:1024
	v_mov_b32_e32 v23, v4
	v_mov_b32_e32 v89, s65
	s_waitcnt lgkmcnt(1)
	v_add_u32_e32 v22, v22, v2
	v_lshlrev_b64 v[22:23], 3, v[22:23]
	v_add_co_u32_e64 v22, s[48:49], s64, v22
	v_addc_co_u32_e64 v23, s[48:49], v89, v23, s[48:49]
	s_waitcnt lgkmcnt(0)
	global_store_dwordx2 v[22:23], v[20:21], off
	s_or_b64 exec, exec, s[52:53]
	s_and_saveexec_b64 s[48:49], s[46:47]
	s_cbranch_execnz .LBB189_169
.LBB189_162:                            ;   in Loop: Header=BB189_66 Depth=2
	s_or_b64 exec, exec, s[48:49]
	s_and_saveexec_b64 s[46:47], s[44:45]
	s_cbranch_execz .LBB189_170
.LBB189_163:                            ;   in Loop: Header=BB189_66 Depth=2
	v_lshlrev_b32_e32 v20, 2, v71
	ds_read_b32 v22, v20
	v_add_u32_e32 v20, v30, v50
	ds_read_b64 v[20:21], v20 offset:4096
	v_mov_b32_e32 v23, v4
	v_mov_b32_e32 v89, s65
	s_waitcnt lgkmcnt(1)
	v_add_u32_e32 v22, v22, v25
	v_lshlrev_b64 v[22:23], 3, v[22:23]
	v_add_co_u32_e64 v22, s[44:45], s64, v22
	v_addc_co_u32_e64 v23, s[44:45], v89, v23, s[44:45]
	s_waitcnt lgkmcnt(0)
	global_store_dwordx2 v[22:23], v[20:21], off
	s_or_b64 exec, exec, s[46:47]
	s_and_saveexec_b64 s[44:45], s[42:43]
	s_cbranch_execnz .LBB189_171
.LBB189_164:                            ;   in Loop: Header=BB189_66 Depth=2
	s_or_b64 exec, exec, s[44:45]
	s_and_saveexec_b64 s[42:43], s[40:41]
	s_cbranch_execz .LBB189_172
.LBB189_165:                            ;   in Loop: Header=BB189_66 Depth=2
	v_lshlrev_b32_e32 v20, 2, v69
	ds_read_b32 v22, v20
	v_add_u32_e32 v20, v30, v50
	ds_read_b64 v[20:21], v20 offset:8192
	v_mov_b32_e32 v23, v4
	v_mov_b32_e32 v89, s65
	s_waitcnt lgkmcnt(1)
	v_add_u32_e32 v22, v22, v30
	v_lshlrev_b64 v[22:23], 3, v[22:23]
	v_add_co_u32_e64 v22, s[40:41], s64, v22
	v_addc_co_u32_e64 v23, s[40:41], v89, v23, s[40:41]
	s_waitcnt lgkmcnt(0)
	global_store_dwordx2 v[22:23], v[20:21], off
	s_or_b64 exec, exec, s[42:43]
	s_and_saveexec_b64 s[40:41], s[38:39]
	s_cbranch_execnz .LBB189_173
.LBB189_166:                            ;   in Loop: Header=BB189_66 Depth=2
	s_or_b64 exec, exec, s[40:41]
	s_and_saveexec_b64 s[38:39], s[36:37]
	s_cbranch_execz .LBB189_174
.LBB189_167:                            ;   in Loop: Header=BB189_66 Depth=2
	v_lshlrev_b32_e32 v20, 2, v67
	ds_read_b32 v22, v20
	v_add_u32_e32 v20, v30, v50
	ds_read_b64 v[20:21], v20 offset:12288
	v_mov_b32_e32 v23, v4
	v_mov_b32_e32 v89, s65
	s_waitcnt lgkmcnt(1)
	v_add_u32_e32 v22, v22, v32
	v_lshlrev_b64 v[22:23], 3, v[22:23]
	v_add_co_u32_e64 v22, s[36:37], s64, v22
	v_addc_co_u32_e64 v23, s[36:37], v89, v23, s[36:37]
	s_waitcnt lgkmcnt(0)
	global_store_dwordx2 v[22:23], v[20:21], off
	s_or_b64 exec, exec, s[38:39]
	s_and_saveexec_b64 s[36:37], vcc
	s_cbranch_execnz .LBB189_175
	s_branch .LBB189_176
.LBB189_168:                            ;   in Loop: Header=BB189_66 Depth=2
	s_or_b64 exec, exec, s[52:53]
	s_and_saveexec_b64 s[48:49], s[46:47]
	s_cbranch_execz .LBB189_162
.LBB189_169:                            ;   in Loop: Header=BB189_66 Depth=2
	v_lshlrev_b32_e32 v20, 2, v73
	ds_read_b32 v22, v20
	v_add_u32_e32 v20, v30, v50
	ds_read_b64 v[20:21], v20 offset:2048
	v_mov_b32_e32 v23, v4
	v_mov_b32_e32 v89, s65
	s_waitcnt lgkmcnt(1)
	v_add_u32_e32 v22, v22, v24
	v_lshlrev_b64 v[22:23], 3, v[22:23]
	v_add_co_u32_e64 v22, s[46:47], s64, v22
	v_addc_co_u32_e64 v23, s[46:47], v89, v23, s[46:47]
	s_waitcnt lgkmcnt(0)
	global_store_dwordx2 v[22:23], v[20:21], off
	s_or_b64 exec, exec, s[48:49]
	s_and_saveexec_b64 s[46:47], s[44:45]
	s_cbranch_execnz .LBB189_163
.LBB189_170:                            ;   in Loop: Header=BB189_66 Depth=2
	s_or_b64 exec, exec, s[46:47]
	s_and_saveexec_b64 s[44:45], s[42:43]
	s_cbranch_execz .LBB189_164
.LBB189_171:                            ;   in Loop: Header=BB189_66 Depth=2
	v_lshlrev_b32_e32 v20, 2, v70
	ds_read_b32 v22, v20
	v_add_u32_e32 v20, v30, v50
	ds_read_b64 v[20:21], v20 offset:6144
	v_mov_b32_e32 v23, v4
	v_mov_b32_e32 v89, s65
	s_waitcnt lgkmcnt(1)
	v_add_u32_e32 v22, v22, v26
	v_lshlrev_b64 v[22:23], 3, v[22:23]
	v_add_co_u32_e64 v22, s[42:43], s64, v22
	v_addc_co_u32_e64 v23, s[42:43], v89, v23, s[42:43]
	s_waitcnt lgkmcnt(0)
	global_store_dwordx2 v[22:23], v[20:21], off
	s_or_b64 exec, exec, s[44:45]
	s_and_saveexec_b64 s[42:43], s[40:41]
	s_cbranch_execnz .LBB189_165
.LBB189_172:                            ;   in Loop: Header=BB189_66 Depth=2
	s_or_b64 exec, exec, s[42:43]
	s_and_saveexec_b64 s[40:41], s[38:39]
	s_cbranch_execz .LBB189_166
.LBB189_173:                            ;   in Loop: Header=BB189_66 Depth=2
	v_lshlrev_b32_e32 v20, 2, v68
	ds_read_b32 v22, v20
	v_add_u32_e32 v20, v30, v50
	ds_read_b64 v[20:21], v20 offset:10240
	v_mov_b32_e32 v23, v4
	v_mov_b32_e32 v89, s65
	s_waitcnt lgkmcnt(1)
	v_add_u32_e32 v22, v22, v31
	v_lshlrev_b64 v[22:23], 3, v[22:23]
	v_add_co_u32_e64 v22, s[38:39], s64, v22
	v_addc_co_u32_e64 v23, s[38:39], v89, v23, s[38:39]
	s_waitcnt lgkmcnt(0)
	global_store_dwordx2 v[22:23], v[20:21], off
	s_or_b64 exec, exec, s[40:41]
	s_and_saveexec_b64 s[38:39], s[36:37]
	s_cbranch_execnz .LBB189_167
.LBB189_174:                            ;   in Loop: Header=BB189_66 Depth=2
	s_or_b64 exec, exec, s[38:39]
	s_and_saveexec_b64 s[36:37], vcc
	s_cbranch_execz .LBB189_176
.LBB189_175:                            ;   in Loop: Header=BB189_66 Depth=2
	v_lshlrev_b32_e32 v20, 2, v66
	ds_read_b32 v22, v20
	v_add_u32_e32 v20, v30, v50
	ds_read_b64 v[20:21], v20 offset:14336
	v_mov_b32_e32 v23, v4
	v_mov_b32_e32 v89, s65
	s_waitcnt lgkmcnt(1)
	v_add_u32_e32 v22, v22, v33
	v_lshlrev_b64 v[22:23], 3, v[22:23]
	v_add_co_u32_e32 v22, vcc, s64, v22
	v_addc_co_u32_e32 v23, vcc, v89, v23, vcc
	s_waitcnt lgkmcnt(0)
	global_store_dwordx2 v[22:23], v[20:21], off
.LBB189_176:                            ;   in Loop: Header=BB189_66 Depth=2
	s_or_b64 exec, exec, s[36:37]
	s_barrier
	s_and_saveexec_b64 s[36:37], s[4:5]
	s_cbranch_execz .LBB189_65
; %bb.177:                              ;   in Loop: Header=BB189_66 Depth=2
	ds_read_b32 v20, v3
	s_waitcnt lgkmcnt(0)
	v_add_u32_e32 v5, v20, v5
	ds_write_b32 v3, v5
	s_branch .LBB189_65
.LBB189_178:                            ;   in Loop: Header=BB189_12 Depth=1
	s_waitcnt lgkmcnt(0)
	s_barrier
	s_mov_b64 s[16:17], 0
.LBB189_179:                            ;   in Loop: Header=BB189_12 Depth=1
	s_and_b64 vcc, exec, s[16:17]
	s_cbranch_vccz .LBB189_345
; %bb.180:                              ;   in Loop: Header=BB189_12 Depth=1
	s_mov_b32 s20, s71
	s_mov_b32 s22, s51
	s_barrier
	s_waitcnt lgkmcnt(0)
                                        ; implicit-def: $vgpr5
                                        ; implicit-def: $vgpr6
                                        ; implicit-def: $vgpr7
                                        ; implicit-def: $vgpr8
                                        ; implicit-def: $vgpr9
                                        ; implicit-def: $vgpr10
                                        ; implicit-def: $vgpr11
                                        ; implicit-def: $vgpr12
	s_branch .LBB189_182
.LBB189_181:                            ;   in Loop: Header=BB189_182 Depth=2
	s_or_b64 exec, exec, s[16:17]
	s_addk_i32 s20, 0xf800
	s_cmp_ge_u32 s21, s76
	s_mov_b32 s22, s21
	s_cbranch_scc1 .LBB189_220
.LBB189_182:                            ;   Parent Loop BB189_12 Depth=1
                                        ; =>  This Inner Loop Header: Depth=2
	s_add_i32 s21, s22, 0x800
	s_cmp_gt_u32 s21, s76
	s_cbranch_scc1 .LBB189_185
; %bb.183:                              ;   in Loop: Header=BB189_182 Depth=2
	v_add_co_u32_e32 v0, vcc, s22, v51
	v_addc_co_u32_e32 v1, vcc, 0, v52, vcc
	global_load_ubyte v20, v[0:1], off offset:1536
	global_load_ubyte v19, v[0:1], off offset:1280
	;; [unrolled: 1-line block ×6, first 2 shown]
	global_load_ubyte v14, v[0:1], off
	v_add_co_u32_e32 v0, vcc, 0x700, v0
	v_addc_co_u32_e32 v1, vcc, 0, v1, vcc
	s_mov_b64 s[16:17], -1
	s_movk_i32 s25, 0x800
	s_cbranch_execz .LBB189_186
; %bb.184:                              ;   in Loop: Header=BB189_182 Depth=2
                                        ; implicit-def: $vgpr5
                                        ; implicit-def: $vgpr6
                                        ; implicit-def: $vgpr7
                                        ; implicit-def: $vgpr8
                                        ; implicit-def: $vgpr9
                                        ; implicit-def: $vgpr10
                                        ; implicit-def: $vgpr11
                                        ; implicit-def: $vgpr12
	v_mov_b32_e32 v13, s20
	s_and_saveexec_b64 s[18:19], s[16:17]
	s_cbranch_execnz .LBB189_197
	s_branch .LBB189_198
.LBB189_185:                            ;   in Loop: Header=BB189_182 Depth=2
	s_mov_b64 s[16:17], 0
                                        ; implicit-def: $sgpr25
                                        ; implicit-def: $vgpr14
                                        ; implicit-def: $vgpr15
                                        ; implicit-def: $vgpr16
                                        ; implicit-def: $vgpr17
                                        ; implicit-def: $vgpr18
                                        ; implicit-def: $vgpr19
                                        ; implicit-def: $vgpr20
                                        ; implicit-def: $vgpr0_vgpr1
.LBB189_186:                            ;   in Loop: Header=BB189_182 Depth=2
	s_add_u32 s23, s58, s22
	s_addc_u32 s24, s59, 0
	v_cmp_gt_u32_e32 vcc, s20, v2
	s_and_saveexec_b64 s[18:19], vcc
	s_cbranch_execz .LBB189_214
; %bb.187:                              ;   in Loop: Header=BB189_182 Depth=2
	v_mov_b32_e32 v1, s24
	v_add_co_u32_e32 v0, vcc, s23, v2
	v_addc_co_u32_e32 v1, vcc, 0, v1, vcc
	global_load_ubyte v5, v[0:1], off
	s_or_b64 exec, exec, s[18:19]
	v_cmp_gt_u32_e32 vcc, s20, v24
	s_and_saveexec_b64 s[18:19], vcc
	s_cbranch_execnz .LBB189_215
.LBB189_188:                            ;   in Loop: Header=BB189_182 Depth=2
	s_or_b64 exec, exec, s[18:19]
	v_cmp_gt_u32_e32 vcc, s20, v25
	s_and_saveexec_b64 s[18:19], vcc
	s_cbranch_execz .LBB189_216
.LBB189_189:                            ;   in Loop: Header=BB189_182 Depth=2
	v_mov_b32_e32 v1, s24
	v_add_co_u32_e32 v0, vcc, s23, v2
	v_addc_co_u32_e32 v1, vcc, 0, v1, vcc
	global_load_ubyte v7, v[0:1], off offset:512
	s_or_b64 exec, exec, s[18:19]
	v_cmp_gt_u32_e32 vcc, s20, v26
	s_and_saveexec_b64 s[18:19], vcc
	s_cbranch_execnz .LBB189_217
.LBB189_190:                            ;   in Loop: Header=BB189_182 Depth=2
	s_or_b64 exec, exec, s[18:19]
	v_cmp_gt_u32_e32 vcc, s20, v30
	s_and_saveexec_b64 s[18:19], vcc
	s_cbranch_execz .LBB189_218
.LBB189_191:                            ;   in Loop: Header=BB189_182 Depth=2
	v_mov_b32_e32 v1, s24
	v_add_co_u32_e32 v0, vcc, s23, v2
	v_addc_co_u32_e32 v1, vcc, 0, v1, vcc
	global_load_ubyte v9, v[0:1], off offset:1024
	s_or_b64 exec, exec, s[18:19]
	v_cmp_gt_u32_e32 vcc, s20, v31
	s_and_saveexec_b64 s[18:19], vcc
	s_cbranch_execnz .LBB189_219
.LBB189_192:                            ;   in Loop: Header=BB189_182 Depth=2
	s_or_b64 exec, exec, s[18:19]
	v_cmp_gt_u32_e32 vcc, s20, v32
	s_and_saveexec_b64 s[18:19], vcc
	s_cbranch_execz .LBB189_194
.LBB189_193:                            ;   in Loop: Header=BB189_182 Depth=2
	v_mov_b32_e32 v1, s24
	v_add_co_u32_e32 v0, vcc, s23, v2
	v_addc_co_u32_e32 v1, vcc, 0, v1, vcc
	global_load_ubyte v11, v[0:1], off offset:1536
.LBB189_194:                            ;   in Loop: Header=BB189_182 Depth=2
	s_or_b64 exec, exec, s[18:19]
	v_cmp_gt_u32_e32 vcc, s20, v33
                                        ; implicit-def: $sgpr25
                                        ; implicit-def: $vgpr0_vgpr1
	s_and_saveexec_b64 s[18:19], vcc
	s_cbranch_execz .LBB189_196
; %bb.195:                              ;   in Loop: Header=BB189_182 Depth=2
	v_mov_b32_e32 v0, s24
	v_add_co_u32_e32 v1, vcc, s23, v2
	s_waitcnt vmcnt(0)
	v_addc_co_u32_e32 v12, vcc, 0, v0, vcc
	v_add_co_u32_e32 v0, vcc, 0x700, v1
	s_sub_i32 s25, s76, s22
	v_addc_co_u32_e32 v1, vcc, 0, v12, vcc
	s_or_b64 s[16:17], s[16:17], exec
                                        ; implicit-def: $vgpr12
.LBB189_196:                            ;   in Loop: Header=BB189_182 Depth=2
	s_or_b64 exec, exec, s[18:19]
	s_waitcnt vmcnt(0)
	v_mov_b32_e32 v14, v5
	v_mov_b32_e32 v15, v6
	;; [unrolled: 1-line block ×8, first 2 shown]
	s_and_saveexec_b64 s[18:19], s[16:17]
	s_cbranch_execz .LBB189_198
.LBB189_197:                            ;   in Loop: Header=BB189_182 Depth=2
	global_load_ubyte v12, v[0:1], off
	v_mov_b32_e32 v13, s25
	s_waitcnt vmcnt(1)
	v_mov_b32_e32 v5, v14
	v_mov_b32_e32 v6, v15
	v_mov_b32_e32 v7, v16
	v_mov_b32_e32 v8, v17
	v_mov_b32_e32 v9, v18
	v_mov_b32_e32 v10, v19
	v_mov_b32_e32 v11, v20
.LBB189_198:                            ;   in Loop: Header=BB189_182 Depth=2
	s_or_b64 exec, exec, s[18:19]
	v_cmp_lt_u32_e32 vcc, v2, v13
	s_and_saveexec_b64 s[16:17], vcc
	s_cbranch_execz .LBB189_206
; %bb.199:                              ;   in Loop: Header=BB189_182 Depth=2
	v_lshrrev_b32_sdwa v0, s68, v5 dst_sel:DWORD dst_unused:UNUSED_PAD src0_sel:DWORD src1_sel:BYTE_0
	v_and_b32_e32 v0, s77, v0
	v_lshlrev_b32_e32 v1, 2, v27
	v_lshl_or_b32 v0, v0, 4, v1
	ds_add_u32 v0, v63
	s_or_b64 exec, exec, s[16:17]
	v_cmp_lt_u32_e32 vcc, v24, v13
	s_and_saveexec_b64 s[16:17], vcc
	s_cbranch_execnz .LBB189_207
.LBB189_200:                            ;   in Loop: Header=BB189_182 Depth=2
	s_or_b64 exec, exec, s[16:17]
	v_cmp_lt_u32_e32 vcc, v25, v13
	s_and_saveexec_b64 s[16:17], vcc
	s_cbranch_execz .LBB189_208
.LBB189_201:                            ;   in Loop: Header=BB189_182 Depth=2
	v_lshrrev_b32_sdwa v0, s68, v7 dst_sel:DWORD dst_unused:UNUSED_PAD src0_sel:DWORD src1_sel:BYTE_0
	v_and_b32_e32 v0, s77, v0
	v_lshlrev_b32_e32 v1, 2, v27
	v_lshl_or_b32 v0, v0, 4, v1
	ds_add_u32 v0, v63
	s_or_b64 exec, exec, s[16:17]
	v_cmp_lt_u32_e32 vcc, v26, v13
	s_and_saveexec_b64 s[16:17], vcc
	s_cbranch_execnz .LBB189_209
.LBB189_202:                            ;   in Loop: Header=BB189_182 Depth=2
	s_or_b64 exec, exec, s[16:17]
	v_cmp_lt_u32_e32 vcc, v30, v13
	s_and_saveexec_b64 s[16:17], vcc
	s_cbranch_execz .LBB189_210
.LBB189_203:                            ;   in Loop: Header=BB189_182 Depth=2
	v_lshrrev_b32_sdwa v0, s68, v9 dst_sel:DWORD dst_unused:UNUSED_PAD src0_sel:DWORD src1_sel:BYTE_0
	v_and_b32_e32 v0, s77, v0
	v_lshlrev_b32_e32 v1, 2, v27
	v_lshl_or_b32 v0, v0, 4, v1
	ds_add_u32 v0, v63
	s_or_b64 exec, exec, s[16:17]
	v_cmp_lt_u32_e32 vcc, v31, v13
	s_and_saveexec_b64 s[16:17], vcc
	s_cbranch_execnz .LBB189_211
.LBB189_204:                            ;   in Loop: Header=BB189_182 Depth=2
	s_or_b64 exec, exec, s[16:17]
	v_cmp_lt_u32_e32 vcc, v32, v13
	s_and_saveexec_b64 s[16:17], vcc
	s_cbranch_execz .LBB189_212
.LBB189_205:                            ;   in Loop: Header=BB189_182 Depth=2
	v_lshrrev_b32_sdwa v0, s68, v11 dst_sel:DWORD dst_unused:UNUSED_PAD src0_sel:DWORD src1_sel:BYTE_0
	v_and_b32_e32 v0, s77, v0
	v_lshlrev_b32_e32 v1, 2, v27
	v_lshl_or_b32 v0, v0, 4, v1
	ds_add_u32 v0, v63
	s_or_b64 exec, exec, s[16:17]
	v_cmp_lt_u32_e32 vcc, v33, v13
	s_and_saveexec_b64 s[16:17], vcc
	s_cbranch_execz .LBB189_181
	s_branch .LBB189_213
.LBB189_206:                            ;   in Loop: Header=BB189_182 Depth=2
	s_or_b64 exec, exec, s[16:17]
	v_cmp_lt_u32_e32 vcc, v24, v13
	s_and_saveexec_b64 s[16:17], vcc
	s_cbranch_execz .LBB189_200
.LBB189_207:                            ;   in Loop: Header=BB189_182 Depth=2
	v_lshrrev_b32_sdwa v0, s68, v6 dst_sel:DWORD dst_unused:UNUSED_PAD src0_sel:DWORD src1_sel:BYTE_0
	v_and_b32_e32 v0, s77, v0
	v_lshlrev_b32_e32 v1, 2, v27
	v_lshl_or_b32 v0, v0, 4, v1
	ds_add_u32 v0, v63
	s_or_b64 exec, exec, s[16:17]
	v_cmp_lt_u32_e32 vcc, v25, v13
	s_and_saveexec_b64 s[16:17], vcc
	s_cbranch_execnz .LBB189_201
.LBB189_208:                            ;   in Loop: Header=BB189_182 Depth=2
	s_or_b64 exec, exec, s[16:17]
	v_cmp_lt_u32_e32 vcc, v26, v13
	s_and_saveexec_b64 s[16:17], vcc
	s_cbranch_execz .LBB189_202
.LBB189_209:                            ;   in Loop: Header=BB189_182 Depth=2
	v_lshrrev_b32_sdwa v0, s68, v8 dst_sel:DWORD dst_unused:UNUSED_PAD src0_sel:DWORD src1_sel:BYTE_0
	v_and_b32_e32 v0, s77, v0
	v_lshlrev_b32_e32 v1, 2, v27
	v_lshl_or_b32 v0, v0, 4, v1
	ds_add_u32 v0, v63
	s_or_b64 exec, exec, s[16:17]
	v_cmp_lt_u32_e32 vcc, v30, v13
	s_and_saveexec_b64 s[16:17], vcc
	s_cbranch_execnz .LBB189_203
.LBB189_210:                            ;   in Loop: Header=BB189_182 Depth=2
	s_or_b64 exec, exec, s[16:17]
	v_cmp_lt_u32_e32 vcc, v31, v13
	s_and_saveexec_b64 s[16:17], vcc
	s_cbranch_execz .LBB189_204
.LBB189_211:                            ;   in Loop: Header=BB189_182 Depth=2
	v_lshrrev_b32_sdwa v0, s68, v10 dst_sel:DWORD dst_unused:UNUSED_PAD src0_sel:DWORD src1_sel:BYTE_0
	v_and_b32_e32 v0, s77, v0
	v_lshlrev_b32_e32 v1, 2, v27
	v_lshl_or_b32 v0, v0, 4, v1
	ds_add_u32 v0, v63
	s_or_b64 exec, exec, s[16:17]
	v_cmp_lt_u32_e32 vcc, v32, v13
	s_and_saveexec_b64 s[16:17], vcc
	s_cbranch_execnz .LBB189_205
.LBB189_212:                            ;   in Loop: Header=BB189_182 Depth=2
	s_or_b64 exec, exec, s[16:17]
	v_cmp_lt_u32_e32 vcc, v33, v13
	s_and_saveexec_b64 s[16:17], vcc
	s_cbranch_execz .LBB189_181
.LBB189_213:                            ;   in Loop: Header=BB189_182 Depth=2
	s_waitcnt vmcnt(0)
	v_lshrrev_b32_sdwa v0, s68, v12 dst_sel:DWORD dst_unused:UNUSED_PAD src0_sel:DWORD src1_sel:BYTE_0
	v_and_b32_e32 v0, s77, v0
	v_lshlrev_b32_e32 v1, 2, v27
	v_lshl_or_b32 v0, v0, 4, v1
	ds_add_u32 v0, v63
	s_branch .LBB189_181
.LBB189_214:                            ;   in Loop: Header=BB189_182 Depth=2
	s_or_b64 exec, exec, s[18:19]
	v_cmp_gt_u32_e32 vcc, s20, v24
	s_and_saveexec_b64 s[18:19], vcc
	s_cbranch_execz .LBB189_188
.LBB189_215:                            ;   in Loop: Header=BB189_182 Depth=2
	v_mov_b32_e32 v1, s24
	v_add_co_u32_e32 v0, vcc, s23, v2
	v_addc_co_u32_e32 v1, vcc, 0, v1, vcc
	global_load_ubyte v6, v[0:1], off offset:256
	s_or_b64 exec, exec, s[18:19]
	v_cmp_gt_u32_e32 vcc, s20, v25
	s_and_saveexec_b64 s[18:19], vcc
	s_cbranch_execnz .LBB189_189
.LBB189_216:                            ;   in Loop: Header=BB189_182 Depth=2
	s_or_b64 exec, exec, s[18:19]
	v_cmp_gt_u32_e32 vcc, s20, v26
	s_and_saveexec_b64 s[18:19], vcc
	s_cbranch_execz .LBB189_190
.LBB189_217:                            ;   in Loop: Header=BB189_182 Depth=2
	v_mov_b32_e32 v1, s24
	v_add_co_u32_e32 v0, vcc, s23, v2
	v_addc_co_u32_e32 v1, vcc, 0, v1, vcc
	global_load_ubyte v8, v[0:1], off offset:768
	s_or_b64 exec, exec, s[18:19]
	v_cmp_gt_u32_e32 vcc, s20, v30
	s_and_saveexec_b64 s[18:19], vcc
	s_cbranch_execnz .LBB189_191
.LBB189_218:                            ;   in Loop: Header=BB189_182 Depth=2
	s_or_b64 exec, exec, s[18:19]
	v_cmp_gt_u32_e32 vcc, s20, v31
	s_and_saveexec_b64 s[18:19], vcc
	s_cbranch_execz .LBB189_192
.LBB189_219:                            ;   in Loop: Header=BB189_182 Depth=2
	v_mov_b32_e32 v1, s24
	v_add_co_u32_e32 v0, vcc, s23, v2
	v_addc_co_u32_e32 v1, vcc, 0, v1, vcc
	global_load_ubyte v10, v[0:1], off offset:1280
	s_or_b64 exec, exec, s[18:19]
	v_cmp_gt_u32_e32 vcc, s20, v32
	s_and_saveexec_b64 s[18:19], vcc
	s_cbranch_execz .LBB189_194
	s_branch .LBB189_193
.LBB189_220:                            ;   in Loop: Header=BB189_12 Depth=1
	v_mov_b32_e32 v0, 0
	s_waitcnt lgkmcnt(0)
	s_barrier
	s_and_saveexec_b64 s[16:17], s[4:5]
	s_cbranch_execz .LBB189_222
; %bb.221:                              ;   in Loop: Header=BB189_12 Depth=1
	ds_read2_b64 v[6:9], v34 offset1:1
	s_waitcnt lgkmcnt(0)
	v_add_u32_e32 v0, v7, v6
	v_add3_u32 v0, v0, v8, v9
.LBB189_222:                            ;   in Loop: Header=BB189_12 Depth=1
	s_or_b64 exec, exec, s[16:17]
	v_and_b32_e32 v1, 15, v64
	v_mov_b32_dpp v5, v0 row_shr:1 row_mask:0xf bank_mask:0xf
	v_cmp_eq_u32_e64 s[16:17], 0, v1
	v_cndmask_b32_e64 v5, v5, 0, s[16:17]
	v_add_u32_e32 v0, v5, v0
	v_cmp_lt_u32_e64 s[18:19], 1, v1
	v_cmp_lt_u32_e64 s[20:21], 3, v1
	v_mov_b32_dpp v5, v0 row_shr:2 row_mask:0xf bank_mask:0xf
	v_cndmask_b32_e64 v5, 0, v5, s[18:19]
	v_add_u32_e32 v0, v0, v5
	v_cmp_lt_u32_e64 s[22:23], 7, v1
	v_cmp_lt_u32_e64 s[26:27], 31, v64
	v_mov_b32_dpp v5, v0 row_shr:4 row_mask:0xf bank_mask:0xf
	v_cndmask_b32_e64 v5, 0, v5, s[20:21]
	v_add_u32_e32 v0, v0, v5
	v_and_b32_e32 v6, 16, v64
	v_cmp_eq_u32_e64 s[24:25], 0, v6
	v_mov_b32_dpp v5, v0 row_shr:8 row_mask:0xf bank_mask:0xf
	v_cndmask_b32_e64 v1, 0, v5, s[22:23]
	v_add_u32_e32 v0, v0, v1
	v_bfe_i32 v5, v64, 4, 1
	s_nop 0
	v_mov_b32_dpp v1, v0 row_bcast:15 row_mask:0xf bank_mask:0xf
	v_and_b32_e32 v1, v5, v1
	v_add_u32_e32 v0, v0, v1
	s_nop 1
	v_mov_b32_dpp v1, v0 row_bcast:31 row_mask:0xf bank_mask:0xf
	v_cndmask_b32_e64 v1, 0, v1, s[26:27]
	v_add_u32_e32 v1, v0, v1
	s_and_saveexec_b64 s[28:29], s[6:7]
	s_cbranch_execz .LBB189_224
; %bb.223:                              ;   in Loop: Header=BB189_12 Depth=1
	ds_write_b32 v36, v1
.LBB189_224:                            ;   in Loop: Header=BB189_12 Depth=1
	s_or_b64 exec, exec, s[28:29]
	v_and_b32_e32 v0, 3, v64
	s_waitcnt lgkmcnt(0)
	s_barrier
	s_and_saveexec_b64 s[28:29], s[8:9]
	s_cbranch_execz .LBB189_226
; %bb.225:                              ;   in Loop: Header=BB189_12 Depth=1
	ds_read_b32 v5, v37
	v_cmp_ne_u32_e32 vcc, 0, v0
	s_waitcnt lgkmcnt(0)
	v_mov_b32_dpp v6, v5 row_shr:1 row_mask:0xf bank_mask:0xf
	v_cndmask_b32_e32 v6, 0, v6, vcc
	v_add_u32_e32 v5, v6, v5
	v_cmp_lt_u32_e32 vcc, 1, v0
	s_nop 0
	v_mov_b32_dpp v6, v5 row_shr:2 row_mask:0xf bank_mask:0xf
	v_cndmask_b32_e32 v6, 0, v6, vcc
	v_add_u32_e32 v5, v5, v6
	ds_write_b32 v37, v5
.LBB189_226:                            ;   in Loop: Header=BB189_12 Depth=1
	s_or_b64 exec, exec, s[28:29]
	v_mov_b32_e32 v5, 0
	s_waitcnt lgkmcnt(0)
	s_barrier
	s_and_saveexec_b64 s[28:29], s[10:11]
	s_cbranch_execz .LBB189_228
; %bb.227:                              ;   in Loop: Header=BB189_12 Depth=1
	ds_read_b32 v5, v38
.LBB189_228:                            ;   in Loop: Header=BB189_12 Depth=1
	s_or_b64 exec, exec, s[28:29]
	v_add_u32_e32 v6, -1, v64
	v_and_b32_e32 v7, 64, v64
	v_cmp_lt_i32_e32 vcc, v6, v7
	v_cndmask_b32_e32 v6, v6, v64, vcc
	s_waitcnt lgkmcnt(0)
	v_add_u32_e32 v1, v5, v1
	v_lshlrev_b32_e32 v65, 2, v6
	ds_bpermute_b32 v1, v65, v1
	v_cmp_eq_u32_e64 s[28:29], 0, v64
	s_waitcnt lgkmcnt(0)
	s_barrier
	s_and_saveexec_b64 s[30:31], s[4:5]
	s_cbranch_execz .LBB189_230
; %bb.229:                              ;   in Loop: Header=BB189_12 Depth=1
	v_cndmask_b32_e64 v1, v1, v5, s[28:29]
	v_add_u32_e32 v1, s51, v1
	ds_write_b32 v3, v1
.LBB189_230:                            ;   in Loop: Header=BB189_12 Depth=1
	s_or_b64 exec, exec, s[30:31]
	s_load_dwordx2 s[30:31], s[74:75], 0x0
	v_and_b32_e32 v21, 63, v64
	v_add_co_u32_e32 v74, vcc, v55, v21
	v_lshlrev_b32_e32 v22, 3, v21
	s_waitcnt lgkmcnt(0)
	s_cmp_lt_u32 s50, s30
	s_cselect_b32 s34, 12, 18
	s_cmp_lt_u32 s33, s31
	s_cselect_b32 s30, 14, 20
	s_add_u32 s30, s74, s30
	s_addc_u32 s31, s75, 0
	s_add_u32 s34, s74, s34
	global_load_ushort v5, v4, s[30:31]
	s_addc_u32 s35, s75, 0
	global_load_ushort v20, v4, s[34:35]
	v_addc_co_u32_e32 v76, vcc, 0, v56, vcc
	v_add_co_u32_e32 v77, vcc, v53, v22
	v_addc_co_u32_e32 v78, vcc, 0, v54, vcc
	v_or_b32_e32 v72, v21, v39
	v_add_co_u32_e32 v86, vcc, 0x1c0, v74
	v_cmp_eq_u32_e64 s[30:31], 0, v0
	v_cmp_lt_u32_e64 s[34:35], 1, v0
	s_mov_b32 s78, s71
	v_or_b32_e32 v79, 64, v72
	v_or_b32_e32 v80, 0x80, v72
	;; [unrolled: 1-line block ×7, first 2 shown]
	v_addc_co_u32_e32 v87, vcc, 0, v76, vcc
	s_mov_b32 s72, s51
                                        ; implicit-def: $vgpr0_vgpr1
                                        ; implicit-def: $vgpr6_vgpr7
                                        ; implicit-def: $vgpr8_vgpr9
                                        ; implicit-def: $vgpr10_vgpr11
                                        ; implicit-def: $vgpr12_vgpr13
                                        ; implicit-def: $vgpr14_vgpr15
                                        ; implicit-def: $vgpr16_vgpr17
                                        ; implicit-def: $vgpr18_vgpr19
                                        ; implicit-def: $vgpr66
                                        ; implicit-def: $vgpr67
                                        ; implicit-def: $vgpr68
                                        ; implicit-def: $vgpr69
                                        ; implicit-def: $vgpr70
                                        ; implicit-def: $vgpr71
                                        ; implicit-def: $vgpr73
                                        ; implicit-def: $vgpr75
	s_waitcnt vmcnt(1)
	v_mad_u32_u24 v5, v40, v5, v41
	s_waitcnt vmcnt(0)
	v_mad_u64_u32 v[20:21], s[36:37], v5, v20, v[2:3]
	v_lshrrev_b32_e32 v88, 6, v20
	s_branch .LBB189_232
.LBB189_231:                            ;   in Loop: Header=BB189_232 Depth=2
	s_or_b64 exec, exec, s[36:37]
	s_addk_i32 s78, 0xf800
	s_cmp_lt_u32 s79, s76
	s_mov_b32 s72, s79
	s_cbranch_scc0 .LBB189_344
.LBB189_232:                            ;   Parent Loop BB189_12 Depth=1
                                        ; =>  This Inner Loop Header: Depth=2
	s_add_i32 s79, s72, 0x800
	s_cmp_gt_u32 s79, s76
	s_cbranch_scc1 .LBB189_235
; %bb.233:                              ;   in Loop: Header=BB189_232 Depth=2
	v_add_co_u32_e32 v20, vcc, s72, v74
	v_addc_co_u32_e32 v21, vcc, 0, v76, vcc
	global_load_ubyte v90, v[20:21], off
	global_load_ubyte v91, v[20:21], off offset:64
	global_load_ubyte v92, v[20:21], off offset:128
	;; [unrolled: 1-line block ×6, first 2 shown]
	s_mov_b64 s[36:37], -1
	s_movk_i32 s40, 0x800
	s_cbranch_execz .LBB189_236
; %bb.234:                              ;   in Loop: Header=BB189_232 Depth=2
                                        ; implicit-def: $sgpr38
	v_mov_b32_e32 v97, s38
	v_mov_b32_e32 v89, s78
	s_and_saveexec_b64 s[38:39], s[36:37]
	s_cbranch_execnz .LBB189_251
	s_branch .LBB189_252
.LBB189_235:                            ;   in Loop: Header=BB189_232 Depth=2
	s_mov_b64 s[36:37], 0
                                        ; implicit-def: $sgpr40
                                        ; implicit-def: $vgpr90
                                        ; implicit-def: $vgpr91
                                        ; implicit-def: $vgpr92
                                        ; implicit-def: $vgpr93
                                        ; implicit-def: $vgpr94
                                        ; implicit-def: $vgpr95
                                        ; implicit-def: $vgpr96
.LBB189_236:                            ;   in Loop: Header=BB189_232 Depth=2
	v_add_co_u32_e32 v20, vcc, s72, v74
	v_addc_co_u32_e32 v21, vcc, 0, v76, vcc
	v_cmp_gt_u32_e32 vcc, s78, v72
	s_waitcnt vmcnt(5)
	v_mov_b32_e32 v91, 0xff
	v_mov_b32_e32 v90, 0xff
	s_and_saveexec_b64 s[36:37], vcc
	s_cbranch_execz .LBB189_238
; %bb.237:                              ;   in Loop: Header=BB189_232 Depth=2
	global_load_ubyte v90, v[20:21], off
.LBB189_238:                            ;   in Loop: Header=BB189_232 Depth=2
	s_or_b64 exec, exec, s[36:37]
	v_cmp_gt_u32_e32 vcc, s78, v79
	s_and_saveexec_b64 s[36:37], vcc
	s_cbranch_execz .LBB189_240
; %bb.239:                              ;   in Loop: Header=BB189_232 Depth=2
	global_load_ubyte v91, v[20:21], off offset:64
.LBB189_240:                            ;   in Loop: Header=BB189_232 Depth=2
	s_or_b64 exec, exec, s[36:37]
	v_cmp_gt_u32_e32 vcc, s78, v80
	s_waitcnt vmcnt(3)
	v_mov_b32_e32 v93, 0xff
	v_mov_b32_e32 v92, 0xff
	s_and_saveexec_b64 s[36:37], vcc
	s_cbranch_execz .LBB189_242
; %bb.241:                              ;   in Loop: Header=BB189_232 Depth=2
	global_load_ubyte v92, v[20:21], off offset:128
.LBB189_242:                            ;   in Loop: Header=BB189_232 Depth=2
	s_or_b64 exec, exec, s[36:37]
	v_cmp_gt_u32_e32 vcc, s78, v81
	s_and_saveexec_b64 s[36:37], vcc
	s_cbranch_execz .LBB189_244
; %bb.243:                              ;   in Loop: Header=BB189_232 Depth=2
	global_load_ubyte v93, v[20:21], off offset:192
.LBB189_244:                            ;   in Loop: Header=BB189_232 Depth=2
	s_or_b64 exec, exec, s[36:37]
	v_cmp_gt_u32_e32 vcc, s78, v82
	s_waitcnt vmcnt(1)
	v_mov_b32_e32 v95, 0xff
	v_mov_b32_e32 v94, 0xff
	s_and_saveexec_b64 s[36:37], vcc
	s_cbranch_execz .LBB189_246
; %bb.245:                              ;   in Loop: Header=BB189_232 Depth=2
	global_load_ubyte v94, v[20:21], off offset:256
.LBB189_246:                            ;   in Loop: Header=BB189_232 Depth=2
	s_or_b64 exec, exec, s[36:37]
	v_cmp_gt_u32_e32 vcc, s78, v83
	s_and_saveexec_b64 s[36:37], vcc
	s_cbranch_execz .LBB189_248
; %bb.247:                              ;   in Loop: Header=BB189_232 Depth=2
	global_load_ubyte v95, v[20:21], off offset:320
.LBB189_248:                            ;   in Loop: Header=BB189_232 Depth=2
	s_or_b64 exec, exec, s[36:37]
	v_cmp_gt_u32_e32 vcc, s78, v84
	s_waitcnt vmcnt(0)
	v_mov_b32_e32 v96, 0xff
	s_and_saveexec_b64 s[36:37], vcc
	s_cbranch_execz .LBB189_250
; %bb.249:                              ;   in Loop: Header=BB189_232 Depth=2
	global_load_ubyte v96, v[20:21], off offset:384
.LBB189_250:                            ;   in Loop: Header=BB189_232 Depth=2
	s_or_b64 exec, exec, s[36:37]
	s_sub_i32 s40, s76, s72
	v_cmp_gt_u32_e64 s[36:37], s78, v85
	s_movk_i32 s38, 0xff
	v_mov_b32_e32 v97, s38
	v_mov_b32_e32 v89, s78
	s_and_saveexec_b64 s[38:39], s[36:37]
	s_cbranch_execz .LBB189_252
.LBB189_251:                            ;   in Loop: Header=BB189_232 Depth=2
	v_mov_b32_e32 v5, s73
	v_add_co_u32_e32 v20, vcc, s72, v86
	v_addc_co_u32_e32 v21, vcc, v87, v5, vcc
	global_load_ubyte v97, v[20:21], off
	v_mov_b32_e32 v89, s40
.LBB189_252:                            ;   in Loop: Header=BB189_232 Depth=2
	s_or_b64 exec, exec, s[38:39]
	v_add_u32_e32 v5, 0x410, v42
	ds_write2_b32 v5, v4, v4 offset1:1
	ds_write2_b32 v44, v4, v4 offset0:2 offset1:3
	ds_write_b32 v44, v4 offset:16
	s_waitcnt vmcnt(6)
	v_lshrrev_b32_sdwa v5, s68, v90 dst_sel:DWORD dst_unused:UNUSED_PAD src0_sel:DWORD src1_sel:BYTE_0
	v_and_b32_e32 v20, s77, v5
	v_mad_u32_u24 v5, v20, 5, v88
	v_lshl_add_u32 v98, v5, 2, v43
	v_and_b32_e32 v5, 1, v20
	v_add_co_u32_e32 v21, vcc, -1, v5
	v_addc_co_u32_e64 v22, s[36:37], 0, -1, vcc
	v_cmp_ne_u32_e32 vcc, 0, v5
	v_xor_b32_e32 v5, vcc_hi, v22
	v_and_b32_e32 v22, exec_hi, v5
	v_lshlrev_b32_e32 v5, 30, v20
	v_xor_b32_e32 v21, vcc_lo, v21
	v_cmp_gt_i64_e32 vcc, 0, v[4:5]
	v_not_b32_e32 v5, v5
	v_ashrrev_i32_e32 v5, 31, v5
	v_and_b32_e32 v21, exec_lo, v21
	v_xor_b32_e32 v23, vcc_hi, v5
	v_xor_b32_e32 v5, vcc_lo, v5
	v_and_b32_e32 v21, v21, v5
	v_lshlrev_b32_e32 v5, 29, v20
	v_cmp_gt_i64_e32 vcc, 0, v[4:5]
	v_not_b32_e32 v5, v5
	v_ashrrev_i32_e32 v5, 31, v5
	v_and_b32_e32 v22, v22, v23
	v_xor_b32_e32 v23, vcc_hi, v5
	v_xor_b32_e32 v5, vcc_lo, v5
	v_and_b32_e32 v21, v21, v5
	v_lshlrev_b32_e32 v5, 28, v20
	v_cmp_gt_i64_e32 vcc, 0, v[4:5]
	v_not_b32_e32 v5, v5
	v_ashrrev_i32_e32 v5, 31, v5
	v_and_b32_e32 v22, v22, v23
	;; [unrolled: 8-line block ×5, first 2 shown]
	v_xor_b32_e32 v23, vcc_hi, v5
	v_xor_b32_e32 v5, vcc_lo, v5
	v_and_b32_e32 v22, v22, v23
	v_and_b32_e32 v23, v21, v5
	v_lshlrev_b32_e32 v5, 24, v20
	v_cmp_gt_i64_e32 vcc, 0, v[4:5]
	v_not_b32_e32 v5, v5
	v_ashrrev_i32_e32 v5, 31, v5
	v_xor_b32_e32 v20, vcc_hi, v5
	v_xor_b32_e32 v5, vcc_lo, v5
	v_and_b32_e32 v21, v22, v20
	v_and_b32_e32 v20, v23, v5
	v_mbcnt_lo_u32_b32 v5, v20, 0
	v_mbcnt_hi_u32_b32 v99, v21, v5
	v_cmp_eq_u32_e32 vcc, 0, v99
	v_cmp_ne_u64_e64 s[36:37], 0, v[20:21]
	s_and_b64 s[38:39], s[36:37], vcc
	s_waitcnt lgkmcnt(0)
	s_barrier
	s_waitcnt lgkmcnt(0)
	; wave barrier
	s_and_saveexec_b64 s[36:37], s[38:39]
	s_cbranch_execz .LBB189_254
; %bb.253:                              ;   in Loop: Header=BB189_232 Depth=2
	v_bcnt_u32_b32 v5, v20, 0
	v_bcnt_u32_b32 v5, v21, v5
	ds_write_b32 v98, v5
.LBB189_254:                            ;   in Loop: Header=BB189_232 Depth=2
	s_or_b64 exec, exec, s[36:37]
	s_waitcnt vmcnt(5)
	v_lshrrev_b32_sdwa v5, s68, v91 dst_sel:DWORD dst_unused:UNUSED_PAD src0_sel:DWORD src1_sel:BYTE_0
	v_and_b32_e32 v20, s77, v5
	v_mul_u32_u24_e32 v5, 5, v20
	v_add_lshl_u32 v5, v5, v88, 2
	; wave barrier
	v_add_u32_e32 v101, 0x410, v5
	ds_read_b32 v100, v5 offset:1040
	v_and_b32_e32 v5, 1, v20
	v_add_co_u32_e32 v21, vcc, -1, v5
	v_addc_co_u32_e64 v22, s[36:37], 0, -1, vcc
	v_cmp_ne_u32_e32 vcc, 0, v5
	v_xor_b32_e32 v5, vcc_hi, v22
	v_and_b32_e32 v22, exec_hi, v5
	v_lshlrev_b32_e32 v5, 30, v20
	v_xor_b32_e32 v21, vcc_lo, v21
	v_cmp_gt_i64_e32 vcc, 0, v[4:5]
	v_not_b32_e32 v5, v5
	v_ashrrev_i32_e32 v5, 31, v5
	v_and_b32_e32 v21, exec_lo, v21
	v_xor_b32_e32 v23, vcc_hi, v5
	v_xor_b32_e32 v5, vcc_lo, v5
	v_and_b32_e32 v21, v21, v5
	v_lshlrev_b32_e32 v5, 29, v20
	v_cmp_gt_i64_e32 vcc, 0, v[4:5]
	v_not_b32_e32 v5, v5
	v_ashrrev_i32_e32 v5, 31, v5
	v_and_b32_e32 v22, v22, v23
	v_xor_b32_e32 v23, vcc_hi, v5
	v_xor_b32_e32 v5, vcc_lo, v5
	v_and_b32_e32 v21, v21, v5
	v_lshlrev_b32_e32 v5, 28, v20
	v_cmp_gt_i64_e32 vcc, 0, v[4:5]
	v_not_b32_e32 v5, v5
	v_ashrrev_i32_e32 v5, 31, v5
	v_and_b32_e32 v22, v22, v23
	;; [unrolled: 8-line block ×5, first 2 shown]
	v_xor_b32_e32 v23, vcc_hi, v5
	v_xor_b32_e32 v5, vcc_lo, v5
	v_and_b32_e32 v22, v22, v23
	v_and_b32_e32 v23, v21, v5
	v_lshlrev_b32_e32 v5, 24, v20
	v_cmp_gt_i64_e32 vcc, 0, v[4:5]
	v_not_b32_e32 v5, v5
	v_ashrrev_i32_e32 v5, 31, v5
	v_xor_b32_e32 v20, vcc_hi, v5
	v_xor_b32_e32 v5, vcc_lo, v5
	v_and_b32_e32 v21, v22, v20
	v_and_b32_e32 v20, v23, v5
	v_mbcnt_lo_u32_b32 v5, v20, 0
	v_mbcnt_hi_u32_b32 v102, v21, v5
	v_cmp_eq_u32_e32 vcc, 0, v102
	v_cmp_ne_u64_e64 s[36:37], 0, v[20:21]
	s_and_b64 s[38:39], s[36:37], vcc
	; wave barrier
	s_and_saveexec_b64 s[36:37], s[38:39]
	s_cbranch_execz .LBB189_256
; %bb.255:                              ;   in Loop: Header=BB189_232 Depth=2
	v_bcnt_u32_b32 v5, v20, 0
	v_bcnt_u32_b32 v5, v21, v5
	s_waitcnt lgkmcnt(0)
	v_add_u32_e32 v5, v100, v5
	ds_write_b32 v101, v5
.LBB189_256:                            ;   in Loop: Header=BB189_232 Depth=2
	s_or_b64 exec, exec, s[36:37]
	s_waitcnt vmcnt(4)
	v_lshrrev_b32_sdwa v5, s68, v92 dst_sel:DWORD dst_unused:UNUSED_PAD src0_sel:DWORD src1_sel:BYTE_0
	v_and_b32_e32 v20, s77, v5
	v_mul_u32_u24_e32 v5, 5, v20
	v_add_lshl_u32 v5, v5, v88, 2
	; wave barrier
	v_add_u32_e32 v104, 0x410, v5
	ds_read_b32 v103, v5 offset:1040
	v_and_b32_e32 v5, 1, v20
	v_add_co_u32_e32 v21, vcc, -1, v5
	v_addc_co_u32_e64 v22, s[36:37], 0, -1, vcc
	v_cmp_ne_u32_e32 vcc, 0, v5
	v_xor_b32_e32 v5, vcc_hi, v22
	v_and_b32_e32 v22, exec_hi, v5
	v_lshlrev_b32_e32 v5, 30, v20
	v_xor_b32_e32 v21, vcc_lo, v21
	v_cmp_gt_i64_e32 vcc, 0, v[4:5]
	v_not_b32_e32 v5, v5
	v_ashrrev_i32_e32 v5, 31, v5
	v_and_b32_e32 v21, exec_lo, v21
	v_xor_b32_e32 v23, vcc_hi, v5
	v_xor_b32_e32 v5, vcc_lo, v5
	v_and_b32_e32 v21, v21, v5
	v_lshlrev_b32_e32 v5, 29, v20
	v_cmp_gt_i64_e32 vcc, 0, v[4:5]
	v_not_b32_e32 v5, v5
	v_ashrrev_i32_e32 v5, 31, v5
	v_and_b32_e32 v22, v22, v23
	v_xor_b32_e32 v23, vcc_hi, v5
	v_xor_b32_e32 v5, vcc_lo, v5
	v_and_b32_e32 v21, v21, v5
	v_lshlrev_b32_e32 v5, 28, v20
	v_cmp_gt_i64_e32 vcc, 0, v[4:5]
	v_not_b32_e32 v5, v5
	v_ashrrev_i32_e32 v5, 31, v5
	v_and_b32_e32 v22, v22, v23
	;; [unrolled: 8-line block ×5, first 2 shown]
	v_xor_b32_e32 v23, vcc_hi, v5
	v_xor_b32_e32 v5, vcc_lo, v5
	v_and_b32_e32 v22, v22, v23
	v_and_b32_e32 v23, v21, v5
	v_lshlrev_b32_e32 v5, 24, v20
	v_cmp_gt_i64_e32 vcc, 0, v[4:5]
	v_not_b32_e32 v5, v5
	v_ashrrev_i32_e32 v5, 31, v5
	v_xor_b32_e32 v20, vcc_hi, v5
	v_xor_b32_e32 v5, vcc_lo, v5
	v_and_b32_e32 v21, v22, v20
	v_and_b32_e32 v20, v23, v5
	v_mbcnt_lo_u32_b32 v5, v20, 0
	v_mbcnt_hi_u32_b32 v105, v21, v5
	v_cmp_eq_u32_e32 vcc, 0, v105
	v_cmp_ne_u64_e64 s[36:37], 0, v[20:21]
	s_and_b64 s[38:39], s[36:37], vcc
	; wave barrier
	s_and_saveexec_b64 s[36:37], s[38:39]
	s_cbranch_execz .LBB189_258
; %bb.257:                              ;   in Loop: Header=BB189_232 Depth=2
	v_bcnt_u32_b32 v5, v20, 0
	v_bcnt_u32_b32 v5, v21, v5
	s_waitcnt lgkmcnt(0)
	v_add_u32_e32 v5, v103, v5
	ds_write_b32 v104, v5
.LBB189_258:                            ;   in Loop: Header=BB189_232 Depth=2
	s_or_b64 exec, exec, s[36:37]
	s_waitcnt vmcnt(3)
	v_lshrrev_b32_sdwa v5, s68, v93 dst_sel:DWORD dst_unused:UNUSED_PAD src0_sel:DWORD src1_sel:BYTE_0
	v_and_b32_e32 v20, s77, v5
	v_mul_u32_u24_e32 v5, 5, v20
	v_add_lshl_u32 v5, v5, v88, 2
	; wave barrier
	v_add_u32_e32 v107, 0x410, v5
	ds_read_b32 v106, v5 offset:1040
	v_and_b32_e32 v5, 1, v20
	v_add_co_u32_e32 v21, vcc, -1, v5
	v_addc_co_u32_e64 v22, s[36:37], 0, -1, vcc
	v_cmp_ne_u32_e32 vcc, 0, v5
	v_xor_b32_e32 v5, vcc_hi, v22
	v_and_b32_e32 v22, exec_hi, v5
	v_lshlrev_b32_e32 v5, 30, v20
	v_xor_b32_e32 v21, vcc_lo, v21
	v_cmp_gt_i64_e32 vcc, 0, v[4:5]
	v_not_b32_e32 v5, v5
	v_ashrrev_i32_e32 v5, 31, v5
	v_and_b32_e32 v21, exec_lo, v21
	v_xor_b32_e32 v23, vcc_hi, v5
	v_xor_b32_e32 v5, vcc_lo, v5
	v_and_b32_e32 v21, v21, v5
	v_lshlrev_b32_e32 v5, 29, v20
	v_cmp_gt_i64_e32 vcc, 0, v[4:5]
	v_not_b32_e32 v5, v5
	v_ashrrev_i32_e32 v5, 31, v5
	v_and_b32_e32 v22, v22, v23
	v_xor_b32_e32 v23, vcc_hi, v5
	v_xor_b32_e32 v5, vcc_lo, v5
	v_and_b32_e32 v21, v21, v5
	v_lshlrev_b32_e32 v5, 28, v20
	v_cmp_gt_i64_e32 vcc, 0, v[4:5]
	v_not_b32_e32 v5, v5
	v_ashrrev_i32_e32 v5, 31, v5
	v_and_b32_e32 v22, v22, v23
	;; [unrolled: 8-line block ×5, first 2 shown]
	v_xor_b32_e32 v23, vcc_hi, v5
	v_xor_b32_e32 v5, vcc_lo, v5
	v_and_b32_e32 v22, v22, v23
	v_and_b32_e32 v23, v21, v5
	v_lshlrev_b32_e32 v5, 24, v20
	v_cmp_gt_i64_e32 vcc, 0, v[4:5]
	v_not_b32_e32 v5, v5
	v_ashrrev_i32_e32 v5, 31, v5
	v_xor_b32_e32 v20, vcc_hi, v5
	v_xor_b32_e32 v5, vcc_lo, v5
	v_and_b32_e32 v21, v22, v20
	v_and_b32_e32 v20, v23, v5
	v_mbcnt_lo_u32_b32 v5, v20, 0
	v_mbcnt_hi_u32_b32 v108, v21, v5
	v_cmp_eq_u32_e32 vcc, 0, v108
	v_cmp_ne_u64_e64 s[36:37], 0, v[20:21]
	s_and_b64 s[38:39], s[36:37], vcc
	; wave barrier
	s_and_saveexec_b64 s[36:37], s[38:39]
	s_cbranch_execz .LBB189_260
; %bb.259:                              ;   in Loop: Header=BB189_232 Depth=2
	v_bcnt_u32_b32 v5, v20, 0
	v_bcnt_u32_b32 v5, v21, v5
	s_waitcnt lgkmcnt(0)
	v_add_u32_e32 v5, v106, v5
	ds_write_b32 v107, v5
.LBB189_260:                            ;   in Loop: Header=BB189_232 Depth=2
	s_or_b64 exec, exec, s[36:37]
	s_waitcnt vmcnt(2)
	v_lshrrev_b32_sdwa v5, s68, v94 dst_sel:DWORD dst_unused:UNUSED_PAD src0_sel:DWORD src1_sel:BYTE_0
	v_and_b32_e32 v20, s77, v5
	v_mul_u32_u24_e32 v5, 5, v20
	v_add_lshl_u32 v5, v5, v88, 2
	; wave barrier
	v_add_u32_e32 v110, 0x410, v5
	ds_read_b32 v109, v5 offset:1040
	v_and_b32_e32 v5, 1, v20
	v_add_co_u32_e32 v21, vcc, -1, v5
	v_addc_co_u32_e64 v22, s[36:37], 0, -1, vcc
	v_cmp_ne_u32_e32 vcc, 0, v5
	v_xor_b32_e32 v5, vcc_hi, v22
	v_and_b32_e32 v22, exec_hi, v5
	v_lshlrev_b32_e32 v5, 30, v20
	v_xor_b32_e32 v21, vcc_lo, v21
	v_cmp_gt_i64_e32 vcc, 0, v[4:5]
	v_not_b32_e32 v5, v5
	v_ashrrev_i32_e32 v5, 31, v5
	v_and_b32_e32 v21, exec_lo, v21
	v_xor_b32_e32 v23, vcc_hi, v5
	v_xor_b32_e32 v5, vcc_lo, v5
	v_and_b32_e32 v21, v21, v5
	v_lshlrev_b32_e32 v5, 29, v20
	v_cmp_gt_i64_e32 vcc, 0, v[4:5]
	v_not_b32_e32 v5, v5
	v_ashrrev_i32_e32 v5, 31, v5
	v_and_b32_e32 v22, v22, v23
	v_xor_b32_e32 v23, vcc_hi, v5
	v_xor_b32_e32 v5, vcc_lo, v5
	v_and_b32_e32 v21, v21, v5
	v_lshlrev_b32_e32 v5, 28, v20
	v_cmp_gt_i64_e32 vcc, 0, v[4:5]
	v_not_b32_e32 v5, v5
	v_ashrrev_i32_e32 v5, 31, v5
	v_and_b32_e32 v22, v22, v23
	;; [unrolled: 8-line block ×5, first 2 shown]
	v_xor_b32_e32 v23, vcc_hi, v5
	v_xor_b32_e32 v5, vcc_lo, v5
	v_and_b32_e32 v22, v22, v23
	v_and_b32_e32 v23, v21, v5
	v_lshlrev_b32_e32 v5, 24, v20
	v_cmp_gt_i64_e32 vcc, 0, v[4:5]
	v_not_b32_e32 v5, v5
	v_ashrrev_i32_e32 v5, 31, v5
	v_xor_b32_e32 v20, vcc_hi, v5
	v_xor_b32_e32 v5, vcc_lo, v5
	v_and_b32_e32 v21, v22, v20
	v_and_b32_e32 v20, v23, v5
	v_mbcnt_lo_u32_b32 v5, v20, 0
	v_mbcnt_hi_u32_b32 v111, v21, v5
	v_cmp_eq_u32_e32 vcc, 0, v111
	v_cmp_ne_u64_e64 s[36:37], 0, v[20:21]
	s_and_b64 s[38:39], s[36:37], vcc
	; wave barrier
	s_and_saveexec_b64 s[36:37], s[38:39]
	s_cbranch_execz .LBB189_262
; %bb.261:                              ;   in Loop: Header=BB189_232 Depth=2
	v_bcnt_u32_b32 v5, v20, 0
	v_bcnt_u32_b32 v5, v21, v5
	s_waitcnt lgkmcnt(0)
	v_add_u32_e32 v5, v109, v5
	ds_write_b32 v110, v5
.LBB189_262:                            ;   in Loop: Header=BB189_232 Depth=2
	s_or_b64 exec, exec, s[36:37]
	s_waitcnt vmcnt(1)
	v_lshrrev_b32_sdwa v5, s68, v95 dst_sel:DWORD dst_unused:UNUSED_PAD src0_sel:DWORD src1_sel:BYTE_0
	v_and_b32_e32 v20, s77, v5
	v_mul_u32_u24_e32 v5, 5, v20
	v_add_lshl_u32 v5, v5, v88, 2
	; wave barrier
	v_add_u32_e32 v113, 0x410, v5
	ds_read_b32 v112, v5 offset:1040
	v_and_b32_e32 v5, 1, v20
	v_add_co_u32_e32 v21, vcc, -1, v5
	v_addc_co_u32_e64 v22, s[36:37], 0, -1, vcc
	v_cmp_ne_u32_e32 vcc, 0, v5
	v_xor_b32_e32 v5, vcc_hi, v22
	v_and_b32_e32 v22, exec_hi, v5
	v_lshlrev_b32_e32 v5, 30, v20
	v_xor_b32_e32 v21, vcc_lo, v21
	v_cmp_gt_i64_e32 vcc, 0, v[4:5]
	v_not_b32_e32 v5, v5
	v_ashrrev_i32_e32 v5, 31, v5
	v_and_b32_e32 v21, exec_lo, v21
	v_xor_b32_e32 v23, vcc_hi, v5
	v_xor_b32_e32 v5, vcc_lo, v5
	v_and_b32_e32 v21, v21, v5
	v_lshlrev_b32_e32 v5, 29, v20
	v_cmp_gt_i64_e32 vcc, 0, v[4:5]
	v_not_b32_e32 v5, v5
	v_ashrrev_i32_e32 v5, 31, v5
	v_and_b32_e32 v22, v22, v23
	v_xor_b32_e32 v23, vcc_hi, v5
	v_xor_b32_e32 v5, vcc_lo, v5
	v_and_b32_e32 v21, v21, v5
	v_lshlrev_b32_e32 v5, 28, v20
	v_cmp_gt_i64_e32 vcc, 0, v[4:5]
	v_not_b32_e32 v5, v5
	v_ashrrev_i32_e32 v5, 31, v5
	v_and_b32_e32 v22, v22, v23
	;; [unrolled: 8-line block ×5, first 2 shown]
	v_xor_b32_e32 v23, vcc_hi, v5
	v_xor_b32_e32 v5, vcc_lo, v5
	v_and_b32_e32 v22, v22, v23
	v_and_b32_e32 v23, v21, v5
	v_lshlrev_b32_e32 v5, 24, v20
	v_cmp_gt_i64_e32 vcc, 0, v[4:5]
	v_not_b32_e32 v5, v5
	v_ashrrev_i32_e32 v5, 31, v5
	v_xor_b32_e32 v20, vcc_hi, v5
	v_xor_b32_e32 v5, vcc_lo, v5
	v_and_b32_e32 v21, v22, v20
	v_and_b32_e32 v20, v23, v5
	v_mbcnt_lo_u32_b32 v5, v20, 0
	v_mbcnt_hi_u32_b32 v114, v21, v5
	v_cmp_eq_u32_e32 vcc, 0, v114
	v_cmp_ne_u64_e64 s[36:37], 0, v[20:21]
	s_and_b64 s[38:39], s[36:37], vcc
	; wave barrier
	s_and_saveexec_b64 s[36:37], s[38:39]
	s_cbranch_execz .LBB189_264
; %bb.263:                              ;   in Loop: Header=BB189_232 Depth=2
	v_bcnt_u32_b32 v5, v20, 0
	v_bcnt_u32_b32 v5, v21, v5
	s_waitcnt lgkmcnt(0)
	v_add_u32_e32 v5, v112, v5
	ds_write_b32 v113, v5
.LBB189_264:                            ;   in Loop: Header=BB189_232 Depth=2
	s_or_b64 exec, exec, s[36:37]
	s_waitcnt vmcnt(0)
	v_lshrrev_b32_sdwa v5, s68, v96 dst_sel:DWORD dst_unused:UNUSED_PAD src0_sel:DWORD src1_sel:BYTE_0
	v_and_b32_e32 v20, s77, v5
	v_mul_u32_u24_e32 v5, 5, v20
	v_add_lshl_u32 v5, v5, v88, 2
	; wave barrier
	v_add_u32_e32 v116, 0x410, v5
	ds_read_b32 v115, v5 offset:1040
	v_and_b32_e32 v5, 1, v20
	v_add_co_u32_e32 v21, vcc, -1, v5
	v_addc_co_u32_e64 v22, s[36:37], 0, -1, vcc
	v_cmp_ne_u32_e32 vcc, 0, v5
	v_xor_b32_e32 v5, vcc_hi, v22
	v_and_b32_e32 v22, exec_hi, v5
	v_lshlrev_b32_e32 v5, 30, v20
	v_xor_b32_e32 v21, vcc_lo, v21
	v_cmp_gt_i64_e32 vcc, 0, v[4:5]
	v_not_b32_e32 v5, v5
	v_ashrrev_i32_e32 v5, 31, v5
	v_and_b32_e32 v21, exec_lo, v21
	v_xor_b32_e32 v23, vcc_hi, v5
	v_xor_b32_e32 v5, vcc_lo, v5
	v_and_b32_e32 v21, v21, v5
	v_lshlrev_b32_e32 v5, 29, v20
	v_cmp_gt_i64_e32 vcc, 0, v[4:5]
	v_not_b32_e32 v5, v5
	v_ashrrev_i32_e32 v5, 31, v5
	v_and_b32_e32 v22, v22, v23
	v_xor_b32_e32 v23, vcc_hi, v5
	v_xor_b32_e32 v5, vcc_lo, v5
	v_and_b32_e32 v21, v21, v5
	v_lshlrev_b32_e32 v5, 28, v20
	v_cmp_gt_i64_e32 vcc, 0, v[4:5]
	v_not_b32_e32 v5, v5
	v_ashrrev_i32_e32 v5, 31, v5
	v_and_b32_e32 v22, v22, v23
	;; [unrolled: 8-line block ×5, first 2 shown]
	v_xor_b32_e32 v23, vcc_hi, v5
	v_xor_b32_e32 v5, vcc_lo, v5
	v_and_b32_e32 v22, v22, v23
	v_and_b32_e32 v23, v21, v5
	v_lshlrev_b32_e32 v5, 24, v20
	v_cmp_gt_i64_e32 vcc, 0, v[4:5]
	v_not_b32_e32 v5, v5
	v_ashrrev_i32_e32 v5, 31, v5
	v_xor_b32_e32 v20, vcc_hi, v5
	v_xor_b32_e32 v5, vcc_lo, v5
	v_and_b32_e32 v21, v22, v20
	v_and_b32_e32 v20, v23, v5
	v_mbcnt_lo_u32_b32 v5, v20, 0
	v_mbcnt_hi_u32_b32 v117, v21, v5
	v_cmp_eq_u32_e32 vcc, 0, v117
	v_cmp_ne_u64_e64 s[36:37], 0, v[20:21]
	s_and_b64 s[38:39], s[36:37], vcc
	; wave barrier
	s_and_saveexec_b64 s[36:37], s[38:39]
	s_cbranch_execz .LBB189_266
; %bb.265:                              ;   in Loop: Header=BB189_232 Depth=2
	v_bcnt_u32_b32 v5, v20, 0
	v_bcnt_u32_b32 v5, v21, v5
	s_waitcnt lgkmcnt(0)
	v_add_u32_e32 v5, v115, v5
	ds_write_b32 v116, v5
.LBB189_266:                            ;   in Loop: Header=BB189_232 Depth=2
	s_or_b64 exec, exec, s[36:37]
	v_lshrrev_b32_sdwa v5, s68, v97 dst_sel:DWORD dst_unused:UNUSED_PAD src0_sel:DWORD src1_sel:BYTE_0
	v_and_b32_e32 v20, s77, v5
	v_mul_u32_u24_e32 v5, 5, v20
	v_add_lshl_u32 v5, v5, v88, 2
	; wave barrier
	v_add_u32_e32 v119, 0x410, v5
	ds_read_b32 v118, v5 offset:1040
	v_and_b32_e32 v5, 1, v20
	v_add_co_u32_e32 v21, vcc, -1, v5
	v_addc_co_u32_e64 v22, s[36:37], 0, -1, vcc
	v_cmp_ne_u32_e32 vcc, 0, v5
	v_xor_b32_e32 v5, vcc_hi, v22
	v_and_b32_e32 v22, exec_hi, v5
	v_lshlrev_b32_e32 v5, 30, v20
	v_xor_b32_e32 v21, vcc_lo, v21
	v_cmp_gt_i64_e32 vcc, 0, v[4:5]
	v_not_b32_e32 v5, v5
	v_ashrrev_i32_e32 v5, 31, v5
	v_and_b32_e32 v21, exec_lo, v21
	v_xor_b32_e32 v23, vcc_hi, v5
	v_xor_b32_e32 v5, vcc_lo, v5
	v_and_b32_e32 v21, v21, v5
	v_lshlrev_b32_e32 v5, 29, v20
	v_cmp_gt_i64_e32 vcc, 0, v[4:5]
	v_not_b32_e32 v5, v5
	v_ashrrev_i32_e32 v5, 31, v5
	v_and_b32_e32 v22, v22, v23
	v_xor_b32_e32 v23, vcc_hi, v5
	v_xor_b32_e32 v5, vcc_lo, v5
	v_and_b32_e32 v21, v21, v5
	v_lshlrev_b32_e32 v5, 28, v20
	v_cmp_gt_i64_e32 vcc, 0, v[4:5]
	v_not_b32_e32 v5, v5
	v_ashrrev_i32_e32 v5, 31, v5
	v_and_b32_e32 v22, v22, v23
	;; [unrolled: 8-line block ×5, first 2 shown]
	v_xor_b32_e32 v23, vcc_hi, v5
	v_xor_b32_e32 v5, vcc_lo, v5
	v_and_b32_e32 v22, v22, v23
	v_and_b32_e32 v23, v21, v5
	v_lshlrev_b32_e32 v5, 24, v20
	v_cmp_gt_i64_e32 vcc, 0, v[4:5]
	v_not_b32_e32 v5, v5
	v_ashrrev_i32_e32 v5, 31, v5
	v_xor_b32_e32 v20, vcc_hi, v5
	v_xor_b32_e32 v5, vcc_lo, v5
	v_and_b32_e32 v21, v22, v20
	v_and_b32_e32 v20, v23, v5
	v_mbcnt_lo_u32_b32 v5, v20, 0
	v_mbcnt_hi_u32_b32 v120, v21, v5
	v_cmp_eq_u32_e32 vcc, 0, v120
	v_cmp_ne_u64_e64 s[36:37], 0, v[20:21]
	s_and_b64 s[38:39], s[36:37], vcc
	; wave barrier
	s_and_saveexec_b64 s[36:37], s[38:39]
	s_cbranch_execz .LBB189_268
; %bb.267:                              ;   in Loop: Header=BB189_232 Depth=2
	v_bcnt_u32_b32 v5, v20, 0
	v_bcnt_u32_b32 v5, v21, v5
	s_waitcnt lgkmcnt(0)
	v_add_u32_e32 v5, v118, v5
	ds_write_b32 v119, v5
.LBB189_268:                            ;   in Loop: Header=BB189_232 Depth=2
	s_or_b64 exec, exec, s[36:37]
	; wave barrier
	s_waitcnt lgkmcnt(0)
	s_barrier
	ds_read_b32 v5, v42 offset:1040
	ds_read2_b32 v[22:23], v44 offset0:1 offset1:2
	ds_read2_b32 v[20:21], v44 offset0:3 offset1:4
	s_waitcnt lgkmcnt(1)
	v_add3_u32 v121, v22, v5, v23
	s_waitcnt lgkmcnt(0)
	v_add3_u32 v21, v121, v20, v21
	s_nop 1
	v_mov_b32_dpp v121, v21 row_shr:1 row_mask:0xf bank_mask:0xf
	v_cndmask_b32_e64 v121, v121, 0, s[16:17]
	v_add_u32_e32 v21, v121, v21
	s_nop 1
	v_mov_b32_dpp v121, v21 row_shr:2 row_mask:0xf bank_mask:0xf
	v_cndmask_b32_e64 v121, 0, v121, s[18:19]
	v_add_u32_e32 v21, v21, v121
	;; [unrolled: 4-line block ×4, first 2 shown]
	s_nop 1
	v_mov_b32_dpp v121, v21 row_bcast:15 row_mask:0xf bank_mask:0xf
	v_cndmask_b32_e64 v121, v121, 0, s[24:25]
	v_add_u32_e32 v21, v21, v121
	s_nop 1
	v_mov_b32_dpp v121, v21 row_bcast:31 row_mask:0xf bank_mask:0xf
	v_cndmask_b32_e64 v121, 0, v121, s[26:27]
	v_add_u32_e32 v21, v21, v121
	s_and_saveexec_b64 s[36:37], s[6:7]
	s_cbranch_execz .LBB189_270
; %bb.269:                              ;   in Loop: Header=BB189_232 Depth=2
	ds_write_b32 v35, v21 offset:1024
.LBB189_270:                            ;   in Loop: Header=BB189_232 Depth=2
	s_or_b64 exec, exec, s[36:37]
	s_waitcnt lgkmcnt(0)
	s_barrier
	s_and_saveexec_b64 s[36:37], s[8:9]
	s_cbranch_execz .LBB189_272
; %bb.271:                              ;   in Loop: Header=BB189_232 Depth=2
	v_add_u32_e32 v121, v42, v45
	ds_read_b32 v122, v121 offset:1024
	s_waitcnt lgkmcnt(0)
	s_nop 0
	v_mov_b32_dpp v123, v122 row_shr:1 row_mask:0xf bank_mask:0xf
	v_cndmask_b32_e64 v123, v123, 0, s[30:31]
	v_add_u32_e32 v122, v123, v122
	s_nop 1
	v_mov_b32_dpp v123, v122 row_shr:2 row_mask:0xf bank_mask:0xf
	v_cndmask_b32_e64 v123, 0, v123, s[34:35]
	v_add_u32_e32 v122, v122, v123
	ds_write_b32 v121, v122 offset:1024
.LBB189_272:                            ;   in Loop: Header=BB189_232 Depth=2
	s_or_b64 exec, exec, s[36:37]
	v_mov_b32_e32 v121, 0
	s_waitcnt lgkmcnt(0)
	s_barrier
	s_and_saveexec_b64 s[36:37], s[10:11]
	s_cbranch_execz .LBB189_274
; %bb.273:                              ;   in Loop: Header=BB189_232 Depth=2
	ds_read_b32 v121, v35 offset:1020
.LBB189_274:                            ;   in Loop: Header=BB189_232 Depth=2
	s_or_b64 exec, exec, s[36:37]
	s_waitcnt lgkmcnt(0)
	v_add_u32_e32 v21, v121, v21
	ds_bpermute_b32 v21, v65, v21
	s_waitcnt lgkmcnt(0)
	v_cndmask_b32_e64 v21, v21, v121, s[28:29]
	v_cndmask_b32_e64 v21, v21, 0, s[12:13]
	v_add_u32_e32 v5, v21, v5
	ds_write_b32 v42, v21 offset:1040
	v_add_u32_e32 v21, v5, v22
	v_add_u32_e32 v22, v21, v23
	ds_write2_b32 v44, v5, v21 offset0:1 offset1:2
	v_add_u32_e32 v5, v22, v20
	ds_write2_b32 v44, v22, v5 offset0:3 offset1:4
	s_waitcnt lgkmcnt(0)
	s_barrier
	ds_read_b32 v20, v101
	ds_read_b32 v21, v104
	;; [unrolled: 1-line block ×8, first 2 shown]
	ds_read_b32 v101, v42 offset:1040
	v_mov_b32_e32 v5, 0x800
	s_and_saveexec_b64 s[36:37], s[14:15]
	s_cbranch_execz .LBB189_276
; %bb.275:                              ;   in Loop: Header=BB189_232 Depth=2
	ds_read_b32 v5, v42 offset:1060
.LBB189_276:                            ;   in Loop: Header=BB189_232 Depth=2
	s_or_b64 exec, exec, s[36:37]
	s_waitcnt lgkmcnt(0)
	s_barrier
	s_and_saveexec_b64 s[36:37], s[4:5]
	s_cbranch_execz .LBB189_278
; %bb.277:                              ;   in Loop: Header=BB189_232 Depth=2
	ds_read_b32 v104, v3
	s_waitcnt lgkmcnt(0)
	v_sub_u32_e32 v101, v104, v101
	ds_write_b32 v3, v101
.LBB189_278:                            ;   in Loop: Header=BB189_232 Depth=2
	s_or_b64 exec, exec, s[36:37]
	v_add_u32_e32 v104, v98, v99
	v_add3_u32 v102, v102, v100, v20
	v_add3_u32 v101, v105, v103, v21
	;; [unrolled: 1-line block ×7, first 2 shown]
	v_cmp_lt_u32_e64 s[48:49], v2, v89
	ds_write_b8 v104, v90 offset:1024
	ds_write_b8 v102, v91 offset:1024
	;; [unrolled: 1-line block ×8, first 2 shown]
	s_waitcnt lgkmcnt(0)
	s_barrier
	s_and_saveexec_b64 s[36:37], s[48:49]
	s_cbranch_execz .LBB189_286
; %bb.279:                              ;   in Loop: Header=BB189_232 Depth=2
	ds_read_u8 v20, v2 offset:1024
	s_waitcnt lgkmcnt(0)
	v_lshrrev_b32_sdwa v21, s68, v20 dst_sel:DWORD dst_unused:UNUSED_PAD src0_sel:DWORD src1_sel:BYTE_0
	v_and_b32_e32 v21, s77, v21
	v_lshlrev_b32_e32 v21, 2, v21
	ds_read_b32 v21, v21
	s_waitcnt lgkmcnt(0)
	v_add_u32_e32 v21, v21, v2
	global_store_byte v21, v20, s[60:61]
	s_or_b64 exec, exec, s[36:37]
	v_cmp_lt_u32_e64 s[46:47], v24, v89
	s_and_saveexec_b64 s[36:37], s[46:47]
	s_cbranch_execnz .LBB189_287
.LBB189_280:                            ;   in Loop: Header=BB189_232 Depth=2
	s_or_b64 exec, exec, s[36:37]
	v_cmp_lt_u32_e64 s[44:45], v25, v89
	s_and_saveexec_b64 s[36:37], s[44:45]
	s_cbranch_execz .LBB189_288
.LBB189_281:                            ;   in Loop: Header=BB189_232 Depth=2
	ds_read_u8 v20, v30 offset:512
	s_waitcnt lgkmcnt(0)
	v_lshrrev_b32_sdwa v21, s68, v20 dst_sel:DWORD dst_unused:UNUSED_PAD src0_sel:DWORD src1_sel:BYTE_0
	v_and_b32_e32 v21, s77, v21
	v_lshlrev_b32_e32 v21, 2, v21
	ds_read_b32 v21, v21
	s_waitcnt lgkmcnt(0)
	v_add_u32_e32 v21, v21, v25
	global_store_byte v21, v20, s[60:61]
	s_or_b64 exec, exec, s[36:37]
	v_cmp_lt_u32_e64 s[42:43], v26, v89
	s_and_saveexec_b64 s[36:37], s[42:43]
	s_cbranch_execnz .LBB189_289
.LBB189_282:                            ;   in Loop: Header=BB189_232 Depth=2
	s_or_b64 exec, exec, s[36:37]
	v_cmp_lt_u32_e64 s[40:41], v30, v89
	s_and_saveexec_b64 s[36:37], s[40:41]
	s_cbranch_execz .LBB189_290
.LBB189_283:                            ;   in Loop: Header=BB189_232 Depth=2
	ds_read_u8 v20, v30 offset:1024
	s_waitcnt lgkmcnt(0)
	v_lshrrev_b32_sdwa v21, s68, v20 dst_sel:DWORD dst_unused:UNUSED_PAD src0_sel:DWORD src1_sel:BYTE_0
	v_and_b32_e32 v21, s77, v21
	v_lshlrev_b32_e32 v21, 2, v21
	ds_read_b32 v21, v21
	s_waitcnt lgkmcnt(0)
	v_add_u32_e32 v21, v21, v30
	global_store_byte v21, v20, s[60:61]
	s_or_b64 exec, exec, s[36:37]
	v_cmp_lt_u32_e64 s[38:39], v31, v89
	s_and_saveexec_b64 s[36:37], s[38:39]
	s_cbranch_execnz .LBB189_291
.LBB189_284:                            ;   in Loop: Header=BB189_232 Depth=2
	s_or_b64 exec, exec, s[36:37]
	v_cmp_lt_u32_e64 s[36:37], v32, v89
	s_and_saveexec_b64 s[52:53], s[36:37]
	s_cbranch_execz .LBB189_292
.LBB189_285:                            ;   in Loop: Header=BB189_232 Depth=2
	ds_read_u8 v20, v30 offset:1536
	s_waitcnt lgkmcnt(0)
	v_lshrrev_b32_sdwa v21, s68, v20 dst_sel:DWORD dst_unused:UNUSED_PAD src0_sel:DWORD src1_sel:BYTE_0
	v_and_b32_e32 v21, s77, v21
	v_lshlrev_b32_e32 v21, 2, v21
	ds_read_b32 v21, v21
	s_waitcnt lgkmcnt(0)
	v_add_u32_e32 v21, v21, v32
	global_store_byte v21, v20, s[60:61]
	s_or_b64 exec, exec, s[52:53]
	v_cmp_lt_u32_e32 vcc, v33, v89
	s_and_saveexec_b64 s[52:53], vcc
	s_cbranch_execnz .LBB189_293
	s_branch .LBB189_294
.LBB189_286:                            ;   in Loop: Header=BB189_232 Depth=2
	s_or_b64 exec, exec, s[36:37]
	v_cmp_lt_u32_e64 s[46:47], v24, v89
	s_and_saveexec_b64 s[36:37], s[46:47]
	s_cbranch_execz .LBB189_280
.LBB189_287:                            ;   in Loop: Header=BB189_232 Depth=2
	ds_read_u8 v20, v30 offset:256
	s_waitcnt lgkmcnt(0)
	v_lshrrev_b32_sdwa v21, s68, v20 dst_sel:DWORD dst_unused:UNUSED_PAD src0_sel:DWORD src1_sel:BYTE_0
	v_and_b32_e32 v21, s77, v21
	v_lshlrev_b32_e32 v21, 2, v21
	ds_read_b32 v21, v21
	s_waitcnt lgkmcnt(0)
	v_add_u32_e32 v21, v21, v24
	global_store_byte v21, v20, s[60:61]
	s_or_b64 exec, exec, s[36:37]
	v_cmp_lt_u32_e64 s[44:45], v25, v89
	s_and_saveexec_b64 s[36:37], s[44:45]
	s_cbranch_execnz .LBB189_281
.LBB189_288:                            ;   in Loop: Header=BB189_232 Depth=2
	s_or_b64 exec, exec, s[36:37]
	v_cmp_lt_u32_e64 s[42:43], v26, v89
	s_and_saveexec_b64 s[36:37], s[42:43]
	s_cbranch_execz .LBB189_282
.LBB189_289:                            ;   in Loop: Header=BB189_232 Depth=2
	ds_read_u8 v20, v30 offset:768
	s_waitcnt lgkmcnt(0)
	v_lshrrev_b32_sdwa v21, s68, v20 dst_sel:DWORD dst_unused:UNUSED_PAD src0_sel:DWORD src1_sel:BYTE_0
	v_and_b32_e32 v21, s77, v21
	v_lshlrev_b32_e32 v21, 2, v21
	ds_read_b32 v21, v21
	s_waitcnt lgkmcnt(0)
	v_add_u32_e32 v21, v21, v26
	global_store_byte v21, v20, s[60:61]
	s_or_b64 exec, exec, s[36:37]
	v_cmp_lt_u32_e64 s[40:41], v30, v89
	s_and_saveexec_b64 s[36:37], s[40:41]
	s_cbranch_execnz .LBB189_283
.LBB189_290:                            ;   in Loop: Header=BB189_232 Depth=2
	s_or_b64 exec, exec, s[36:37]
	v_cmp_lt_u32_e64 s[38:39], v31, v89
	s_and_saveexec_b64 s[36:37], s[38:39]
	s_cbranch_execz .LBB189_284
.LBB189_291:                            ;   in Loop: Header=BB189_232 Depth=2
	ds_read_u8 v20, v30 offset:1280
	s_waitcnt lgkmcnt(0)
	v_lshrrev_b32_sdwa v21, s68, v20 dst_sel:DWORD dst_unused:UNUSED_PAD src0_sel:DWORD src1_sel:BYTE_0
	v_and_b32_e32 v21, s77, v21
	v_lshlrev_b32_e32 v21, 2, v21
	ds_read_b32 v21, v21
	s_waitcnt lgkmcnt(0)
	v_add_u32_e32 v21, v21, v31
	global_store_byte v21, v20, s[60:61]
	s_or_b64 exec, exec, s[36:37]
	v_cmp_lt_u32_e64 s[36:37], v32, v89
	s_and_saveexec_b64 s[52:53], s[36:37]
	s_cbranch_execnz .LBB189_285
.LBB189_292:                            ;   in Loop: Header=BB189_232 Depth=2
	s_or_b64 exec, exec, s[52:53]
	v_cmp_lt_u32_e32 vcc, v33, v89
	s_and_saveexec_b64 s[52:53], vcc
	s_cbranch_execz .LBB189_294
.LBB189_293:                            ;   in Loop: Header=BB189_232 Depth=2
	ds_read_u8 v20, v30 offset:1792
	s_waitcnt lgkmcnt(0)
	v_lshrrev_b32_sdwa v21, s68, v20 dst_sel:DWORD dst_unused:UNUSED_PAD src0_sel:DWORD src1_sel:BYTE_0
	v_and_b32_e32 v21, s77, v21
	v_lshlrev_b32_e32 v21, 2, v21
	ds_read_b32 v21, v21
	s_waitcnt lgkmcnt(0)
	v_add_u32_e32 v21, v21, v33
	global_store_byte v21, v20, s[60:61]
.LBB189_294:                            ;   in Loop: Header=BB189_232 Depth=2
	s_or_b64 exec, exec, s[52:53]
	s_lshl_b64 s[52:53], s[72:73], 3
	v_mov_b32_e32 v21, s53
	v_add_co_u32_e64 v20, s[52:53], s52, v77
	v_addc_co_u32_e64 v21, s[52:53], v78, v21, s[52:53]
	v_cmp_lt_u32_e64 s[52:53], v72, v89
	s_and_saveexec_b64 s[62:63], s[52:53]
	s_xor_b64 s[52:53], exec, s[62:63]
	s_cbranch_execz .LBB189_310
; %bb.295:                              ;   in Loop: Header=BB189_232 Depth=2
	global_load_dwordx2 v[18:19], v[20:21], off
	s_or_b64 exec, exec, s[52:53]
	v_cmp_lt_u32_e64 s[52:53], v79, v89
	s_and_saveexec_b64 s[62:63], s[52:53]
	s_cbranch_execnz .LBB189_311
.LBB189_296:                            ;   in Loop: Header=BB189_232 Depth=2
	s_or_b64 exec, exec, s[62:63]
	v_cmp_lt_u32_e64 s[52:53], v80, v89
	s_and_saveexec_b64 s[62:63], s[52:53]
	s_cbranch_execz .LBB189_312
.LBB189_297:                            ;   in Loop: Header=BB189_232 Depth=2
	global_load_dwordx2 v[14:15], v[20:21], off offset:1024
	s_or_b64 exec, exec, s[62:63]
	v_cmp_lt_u32_e64 s[52:53], v81, v89
	s_and_saveexec_b64 s[62:63], s[52:53]
	s_cbranch_execnz .LBB189_313
.LBB189_298:                            ;   in Loop: Header=BB189_232 Depth=2
	s_or_b64 exec, exec, s[62:63]
	v_cmp_lt_u32_e64 s[52:53], v82, v89
	s_and_saveexec_b64 s[62:63], s[52:53]
	s_cbranch_execz .LBB189_314
.LBB189_299:                            ;   in Loop: Header=BB189_232 Depth=2
	global_load_dwordx2 v[10:11], v[20:21], off offset:2048
	s_or_b64 exec, exec, s[62:63]
	v_cmp_lt_u32_e64 s[52:53], v83, v89
	s_and_saveexec_b64 s[62:63], s[52:53]
	s_cbranch_execnz .LBB189_315
.LBB189_300:                            ;   in Loop: Header=BB189_232 Depth=2
	s_or_b64 exec, exec, s[62:63]
	v_cmp_lt_u32_e64 s[52:53], v84, v89
	s_and_saveexec_b64 s[62:63], s[52:53]
	s_cbranch_execz .LBB189_316
.LBB189_301:                            ;   in Loop: Header=BB189_232 Depth=2
	global_load_dwordx2 v[6:7], v[20:21], off offset:3072
	s_or_b64 exec, exec, s[62:63]
	v_cmp_lt_u32_e64 s[52:53], v85, v89
	s_and_saveexec_b64 s[62:63], s[52:53]
	s_cbranch_execnz .LBB189_317
.LBB189_302:                            ;   in Loop: Header=BB189_232 Depth=2
	s_or_b64 exec, exec, s[62:63]
	s_and_saveexec_b64 s[52:53], s[48:49]
	s_cbranch_execz .LBB189_318
.LBB189_303:                            ;   in Loop: Header=BB189_232 Depth=2
	ds_read_u8 v20, v2 offset:1024
	s_waitcnt lgkmcnt(0)
	v_lshrrev_b32_e32 v20, s68, v20
	v_and_b32_e32 v75, s77, v20
	s_or_b64 exec, exec, s[52:53]
	s_and_saveexec_b64 s[52:53], s[46:47]
	s_cbranch_execnz .LBB189_319
.LBB189_304:                            ;   in Loop: Header=BB189_232 Depth=2
	s_or_b64 exec, exec, s[52:53]
	s_and_saveexec_b64 s[52:53], s[44:45]
	s_cbranch_execz .LBB189_320
.LBB189_305:                            ;   in Loop: Header=BB189_232 Depth=2
	ds_read_u8 v20, v30 offset:512
	s_waitcnt lgkmcnt(0)
	v_lshrrev_b32_e32 v20, s68, v20
	v_and_b32_e32 v71, s77, v20
	s_or_b64 exec, exec, s[52:53]
	s_and_saveexec_b64 s[52:53], s[42:43]
	s_cbranch_execnz .LBB189_321
.LBB189_306:                            ;   in Loop: Header=BB189_232 Depth=2
	s_or_b64 exec, exec, s[52:53]
	s_and_saveexec_b64 s[52:53], s[40:41]
	s_cbranch_execz .LBB189_322
.LBB189_307:                            ;   in Loop: Header=BB189_232 Depth=2
	ds_read_u8 v20, v30 offset:1024
	s_waitcnt lgkmcnt(0)
	v_lshrrev_b32_e32 v20, s68, v20
	v_and_b32_e32 v69, s77, v20
	s_or_b64 exec, exec, s[52:53]
	s_and_saveexec_b64 s[52:53], s[38:39]
	s_cbranch_execnz .LBB189_323
.LBB189_308:                            ;   in Loop: Header=BB189_232 Depth=2
	s_or_b64 exec, exec, s[52:53]
	s_and_saveexec_b64 s[52:53], s[36:37]
	s_cbranch_execz .LBB189_324
.LBB189_309:                            ;   in Loop: Header=BB189_232 Depth=2
	ds_read_u8 v20, v30 offset:1536
	s_waitcnt lgkmcnt(0)
	v_lshrrev_b32_e32 v20, s68, v20
	v_and_b32_e32 v67, s77, v20
	s_or_b64 exec, exec, s[52:53]
	s_and_saveexec_b64 s[52:53], vcc
	s_cbranch_execnz .LBB189_325
	s_branch .LBB189_326
.LBB189_310:                            ;   in Loop: Header=BB189_232 Depth=2
	s_or_b64 exec, exec, s[52:53]
	v_cmp_lt_u32_e64 s[52:53], v79, v89
	s_and_saveexec_b64 s[62:63], s[52:53]
	s_cbranch_execz .LBB189_296
.LBB189_311:                            ;   in Loop: Header=BB189_232 Depth=2
	global_load_dwordx2 v[16:17], v[20:21], off offset:512
	s_or_b64 exec, exec, s[62:63]
	v_cmp_lt_u32_e64 s[52:53], v80, v89
	s_and_saveexec_b64 s[62:63], s[52:53]
	s_cbranch_execnz .LBB189_297
.LBB189_312:                            ;   in Loop: Header=BB189_232 Depth=2
	s_or_b64 exec, exec, s[62:63]
	v_cmp_lt_u32_e64 s[52:53], v81, v89
	s_and_saveexec_b64 s[62:63], s[52:53]
	s_cbranch_execz .LBB189_298
.LBB189_313:                            ;   in Loop: Header=BB189_232 Depth=2
	global_load_dwordx2 v[12:13], v[20:21], off offset:1536
	s_or_b64 exec, exec, s[62:63]
	v_cmp_lt_u32_e64 s[52:53], v82, v89
	s_and_saveexec_b64 s[62:63], s[52:53]
	s_cbranch_execnz .LBB189_299
.LBB189_314:                            ;   in Loop: Header=BB189_232 Depth=2
	s_or_b64 exec, exec, s[62:63]
	v_cmp_lt_u32_e64 s[52:53], v83, v89
	s_and_saveexec_b64 s[62:63], s[52:53]
	s_cbranch_execz .LBB189_300
.LBB189_315:                            ;   in Loop: Header=BB189_232 Depth=2
	global_load_dwordx2 v[8:9], v[20:21], off offset:2560
	s_or_b64 exec, exec, s[62:63]
	v_cmp_lt_u32_e64 s[52:53], v84, v89
	s_and_saveexec_b64 s[62:63], s[52:53]
	s_cbranch_execnz .LBB189_301
.LBB189_316:                            ;   in Loop: Header=BB189_232 Depth=2
	s_or_b64 exec, exec, s[62:63]
	v_cmp_lt_u32_e64 s[52:53], v85, v89
	s_and_saveexec_b64 s[62:63], s[52:53]
	s_cbranch_execz .LBB189_302
.LBB189_317:                            ;   in Loop: Header=BB189_232 Depth=2
	global_load_dwordx2 v[0:1], v[20:21], off offset:3584
	s_or_b64 exec, exec, s[62:63]
	s_and_saveexec_b64 s[52:53], s[48:49]
	s_cbranch_execnz .LBB189_303
.LBB189_318:                            ;   in Loop: Header=BB189_232 Depth=2
	s_or_b64 exec, exec, s[52:53]
	s_and_saveexec_b64 s[52:53], s[46:47]
	s_cbranch_execz .LBB189_304
.LBB189_319:                            ;   in Loop: Header=BB189_232 Depth=2
	ds_read_u8 v20, v30 offset:256
	s_waitcnt lgkmcnt(0)
	v_lshrrev_b32_e32 v20, s68, v20
	v_and_b32_e32 v73, s77, v20
	s_or_b64 exec, exec, s[52:53]
	s_and_saveexec_b64 s[52:53], s[44:45]
	s_cbranch_execnz .LBB189_305
.LBB189_320:                            ;   in Loop: Header=BB189_232 Depth=2
	s_or_b64 exec, exec, s[52:53]
	s_and_saveexec_b64 s[52:53], s[42:43]
	s_cbranch_execz .LBB189_306
.LBB189_321:                            ;   in Loop: Header=BB189_232 Depth=2
	ds_read_u8 v20, v30 offset:768
	s_waitcnt lgkmcnt(0)
	v_lshrrev_b32_e32 v20, s68, v20
	v_and_b32_e32 v70, s77, v20
	s_or_b64 exec, exec, s[52:53]
	s_and_saveexec_b64 s[52:53], s[40:41]
	s_cbranch_execnz .LBB189_307
.LBB189_322:                            ;   in Loop: Header=BB189_232 Depth=2
	s_or_b64 exec, exec, s[52:53]
	s_and_saveexec_b64 s[52:53], s[38:39]
	s_cbranch_execz .LBB189_308
.LBB189_323:                            ;   in Loop: Header=BB189_232 Depth=2
	ds_read_u8 v20, v30 offset:1280
	s_waitcnt lgkmcnt(0)
	v_lshrrev_b32_e32 v20, s68, v20
	v_and_b32_e32 v68, s77, v20
	s_or_b64 exec, exec, s[52:53]
	s_and_saveexec_b64 s[52:53], s[36:37]
	s_cbranch_execnz .LBB189_309
.LBB189_324:                            ;   in Loop: Header=BB189_232 Depth=2
	s_or_b64 exec, exec, s[52:53]
	s_and_saveexec_b64 s[52:53], vcc
	s_cbranch_execz .LBB189_326
.LBB189_325:                            ;   in Loop: Header=BB189_232 Depth=2
	ds_read_u8 v20, v30 offset:1792
	s_waitcnt lgkmcnt(0)
	v_lshrrev_b32_e32 v20, s68, v20
	v_and_b32_e32 v66, s77, v20
.LBB189_326:                            ;   in Loop: Header=BB189_232 Depth=2
	s_or_b64 exec, exec, s[52:53]
	v_lshlrev_b32_e32 v20, 3, v104
	s_barrier
	s_waitcnt vmcnt(0)
	ds_write_b64 v20, v[18:19] offset:1024
	v_lshlrev_b32_e32 v20, 3, v102
	ds_write_b64 v20, v[16:17] offset:1024
	v_lshlrev_b32_e32 v20, 3, v101
	;; [unrolled: 2-line block ×7, first 2 shown]
	ds_write_b64 v20, v[0:1] offset:1024
	s_waitcnt lgkmcnt(0)
	s_barrier
	s_and_saveexec_b64 s[52:53], s[48:49]
	s_cbranch_execz .LBB189_334
; %bb.327:                              ;   in Loop: Header=BB189_232 Depth=2
	v_lshlrev_b32_e32 v20, 2, v75
	ds_read_b32 v22, v20
	v_add_u32_e32 v20, v2, v50
	ds_read_b64 v[20:21], v20 offset:1024
	v_mov_b32_e32 v23, v4
	v_mov_b32_e32 v89, s67
	s_waitcnt lgkmcnt(1)
	v_add_u32_e32 v22, v22, v2
	v_lshlrev_b64 v[22:23], 3, v[22:23]
	v_add_co_u32_e64 v22, s[48:49], s66, v22
	v_addc_co_u32_e64 v23, s[48:49], v89, v23, s[48:49]
	s_waitcnt lgkmcnt(0)
	global_store_dwordx2 v[22:23], v[20:21], off
	s_or_b64 exec, exec, s[52:53]
	s_and_saveexec_b64 s[48:49], s[46:47]
	s_cbranch_execnz .LBB189_335
.LBB189_328:                            ;   in Loop: Header=BB189_232 Depth=2
	s_or_b64 exec, exec, s[48:49]
	s_and_saveexec_b64 s[46:47], s[44:45]
	s_cbranch_execz .LBB189_336
.LBB189_329:                            ;   in Loop: Header=BB189_232 Depth=2
	v_lshlrev_b32_e32 v20, 2, v71
	ds_read_b32 v22, v20
	v_add_u32_e32 v20, v30, v50
	ds_read_b64 v[20:21], v20 offset:4096
	v_mov_b32_e32 v23, v4
	v_mov_b32_e32 v89, s67
	s_waitcnt lgkmcnt(1)
	v_add_u32_e32 v22, v22, v25
	v_lshlrev_b64 v[22:23], 3, v[22:23]
	v_add_co_u32_e64 v22, s[44:45], s66, v22
	v_addc_co_u32_e64 v23, s[44:45], v89, v23, s[44:45]
	s_waitcnt lgkmcnt(0)
	global_store_dwordx2 v[22:23], v[20:21], off
	s_or_b64 exec, exec, s[46:47]
	s_and_saveexec_b64 s[44:45], s[42:43]
	s_cbranch_execnz .LBB189_337
.LBB189_330:                            ;   in Loop: Header=BB189_232 Depth=2
	s_or_b64 exec, exec, s[44:45]
	s_and_saveexec_b64 s[42:43], s[40:41]
	s_cbranch_execz .LBB189_338
.LBB189_331:                            ;   in Loop: Header=BB189_232 Depth=2
	v_lshlrev_b32_e32 v20, 2, v69
	ds_read_b32 v22, v20
	v_add_u32_e32 v20, v30, v50
	ds_read_b64 v[20:21], v20 offset:8192
	v_mov_b32_e32 v23, v4
	v_mov_b32_e32 v89, s67
	s_waitcnt lgkmcnt(1)
	v_add_u32_e32 v22, v22, v30
	v_lshlrev_b64 v[22:23], 3, v[22:23]
	v_add_co_u32_e64 v22, s[40:41], s66, v22
	v_addc_co_u32_e64 v23, s[40:41], v89, v23, s[40:41]
	s_waitcnt lgkmcnt(0)
	global_store_dwordx2 v[22:23], v[20:21], off
	s_or_b64 exec, exec, s[42:43]
	s_and_saveexec_b64 s[40:41], s[38:39]
	s_cbranch_execnz .LBB189_339
.LBB189_332:                            ;   in Loop: Header=BB189_232 Depth=2
	s_or_b64 exec, exec, s[40:41]
	s_and_saveexec_b64 s[38:39], s[36:37]
	s_cbranch_execz .LBB189_340
.LBB189_333:                            ;   in Loop: Header=BB189_232 Depth=2
	v_lshlrev_b32_e32 v20, 2, v67
	ds_read_b32 v22, v20
	v_add_u32_e32 v20, v30, v50
	ds_read_b64 v[20:21], v20 offset:12288
	v_mov_b32_e32 v23, v4
	v_mov_b32_e32 v89, s67
	s_waitcnt lgkmcnt(1)
	v_add_u32_e32 v22, v22, v32
	v_lshlrev_b64 v[22:23], 3, v[22:23]
	v_add_co_u32_e64 v22, s[36:37], s66, v22
	v_addc_co_u32_e64 v23, s[36:37], v89, v23, s[36:37]
	s_waitcnt lgkmcnt(0)
	global_store_dwordx2 v[22:23], v[20:21], off
	s_or_b64 exec, exec, s[38:39]
	s_and_saveexec_b64 s[36:37], vcc
	s_cbranch_execnz .LBB189_341
	s_branch .LBB189_342
.LBB189_334:                            ;   in Loop: Header=BB189_232 Depth=2
	s_or_b64 exec, exec, s[52:53]
	s_and_saveexec_b64 s[48:49], s[46:47]
	s_cbranch_execz .LBB189_328
.LBB189_335:                            ;   in Loop: Header=BB189_232 Depth=2
	v_lshlrev_b32_e32 v20, 2, v73
	ds_read_b32 v22, v20
	v_add_u32_e32 v20, v30, v50
	ds_read_b64 v[20:21], v20 offset:2048
	v_mov_b32_e32 v23, v4
	v_mov_b32_e32 v89, s67
	s_waitcnt lgkmcnt(1)
	v_add_u32_e32 v22, v22, v24
	v_lshlrev_b64 v[22:23], 3, v[22:23]
	v_add_co_u32_e64 v22, s[46:47], s66, v22
	v_addc_co_u32_e64 v23, s[46:47], v89, v23, s[46:47]
	s_waitcnt lgkmcnt(0)
	global_store_dwordx2 v[22:23], v[20:21], off
	s_or_b64 exec, exec, s[48:49]
	s_and_saveexec_b64 s[46:47], s[44:45]
	s_cbranch_execnz .LBB189_329
.LBB189_336:                            ;   in Loop: Header=BB189_232 Depth=2
	s_or_b64 exec, exec, s[46:47]
	s_and_saveexec_b64 s[44:45], s[42:43]
	s_cbranch_execz .LBB189_330
.LBB189_337:                            ;   in Loop: Header=BB189_232 Depth=2
	v_lshlrev_b32_e32 v20, 2, v70
	ds_read_b32 v22, v20
	v_add_u32_e32 v20, v30, v50
	ds_read_b64 v[20:21], v20 offset:6144
	v_mov_b32_e32 v23, v4
	v_mov_b32_e32 v89, s67
	s_waitcnt lgkmcnt(1)
	v_add_u32_e32 v22, v22, v26
	v_lshlrev_b64 v[22:23], 3, v[22:23]
	v_add_co_u32_e64 v22, s[42:43], s66, v22
	v_addc_co_u32_e64 v23, s[42:43], v89, v23, s[42:43]
	s_waitcnt lgkmcnt(0)
	global_store_dwordx2 v[22:23], v[20:21], off
	s_or_b64 exec, exec, s[44:45]
	s_and_saveexec_b64 s[42:43], s[40:41]
	s_cbranch_execnz .LBB189_331
.LBB189_338:                            ;   in Loop: Header=BB189_232 Depth=2
	s_or_b64 exec, exec, s[42:43]
	s_and_saveexec_b64 s[40:41], s[38:39]
	s_cbranch_execz .LBB189_332
.LBB189_339:                            ;   in Loop: Header=BB189_232 Depth=2
	v_lshlrev_b32_e32 v20, 2, v68
	ds_read_b32 v22, v20
	v_add_u32_e32 v20, v30, v50
	ds_read_b64 v[20:21], v20 offset:10240
	v_mov_b32_e32 v23, v4
	v_mov_b32_e32 v89, s67
	s_waitcnt lgkmcnt(1)
	v_add_u32_e32 v22, v22, v31
	v_lshlrev_b64 v[22:23], 3, v[22:23]
	v_add_co_u32_e64 v22, s[38:39], s66, v22
	v_addc_co_u32_e64 v23, s[38:39], v89, v23, s[38:39]
	s_waitcnt lgkmcnt(0)
	global_store_dwordx2 v[22:23], v[20:21], off
	s_or_b64 exec, exec, s[40:41]
	s_and_saveexec_b64 s[38:39], s[36:37]
	s_cbranch_execnz .LBB189_333
.LBB189_340:                            ;   in Loop: Header=BB189_232 Depth=2
	s_or_b64 exec, exec, s[38:39]
	s_and_saveexec_b64 s[36:37], vcc
	s_cbranch_execz .LBB189_342
.LBB189_341:                            ;   in Loop: Header=BB189_232 Depth=2
	v_lshlrev_b32_e32 v20, 2, v66
	ds_read_b32 v22, v20
	v_add_u32_e32 v20, v30, v50
	ds_read_b64 v[20:21], v20 offset:14336
	v_mov_b32_e32 v23, v4
	v_mov_b32_e32 v89, s67
	s_waitcnt lgkmcnt(1)
	v_add_u32_e32 v22, v22, v33
	v_lshlrev_b64 v[22:23], 3, v[22:23]
	v_add_co_u32_e32 v22, vcc, s66, v22
	v_addc_co_u32_e32 v23, vcc, v89, v23, vcc
	s_waitcnt lgkmcnt(0)
	global_store_dwordx2 v[22:23], v[20:21], off
.LBB189_342:                            ;   in Loop: Header=BB189_232 Depth=2
	s_or_b64 exec, exec, s[36:37]
	s_barrier
	s_and_saveexec_b64 s[36:37], s[4:5]
	s_cbranch_execz .LBB189_231
; %bb.343:                              ;   in Loop: Header=BB189_232 Depth=2
	ds_read_b32 v20, v3
	s_waitcnt lgkmcnt(0)
	v_add_u32_e32 v5, v20, v5
	ds_write_b32 v3, v5
	s_branch .LBB189_231
.LBB189_344:                            ;   in Loop: Header=BB189_12 Depth=1
	s_waitcnt lgkmcnt(0)
	s_barrier
.LBB189_345:                            ;   in Loop: Header=BB189_12 Depth=1
	s_mov_b64 s[16:17], 0
.LBB189_346:                            ;   in Loop: Header=BB189_12 Depth=1
	s_andn2_b64 vcc, exec, s[16:17]
	s_cbranch_vccnz .LBB189_11
; %bb.347:                              ;   in Loop: Header=BB189_12 Depth=1
	s_mov_b64 s[16:17], -1
	s_and_b64 vcc, exec, s[54:55]
	s_cbranch_vccz .LBB189_513
; %bb.348:                              ;   in Loop: Header=BB189_12 Depth=1
	s_mov_b32 s20, s71
	s_mov_b32 s22, s51
	s_barrier
	s_waitcnt lgkmcnt(0)
                                        ; implicit-def: $vgpr5
                                        ; implicit-def: $vgpr6
                                        ; implicit-def: $vgpr7
                                        ; implicit-def: $vgpr8
                                        ; implicit-def: $vgpr9
                                        ; implicit-def: $vgpr10
                                        ; implicit-def: $vgpr11
                                        ; implicit-def: $vgpr12
	s_branch .LBB189_350
.LBB189_349:                            ;   in Loop: Header=BB189_350 Depth=2
	s_or_b64 exec, exec, s[16:17]
	s_addk_i32 s20, 0xf800
	s_cmp_ge_u32 s21, s76
	s_mov_b32 s22, s21
	s_cbranch_scc1 .LBB189_388
.LBB189_350:                            ;   Parent Loop BB189_12 Depth=1
                                        ; =>  This Inner Loop Header: Depth=2
	s_add_i32 s21, s22, 0x800
	s_cmp_gt_u32 s21, s76
	s_cbranch_scc1 .LBB189_353
; %bb.351:                              ;   in Loop: Header=BB189_350 Depth=2
	v_add_co_u32_e32 v0, vcc, s22, v57
	v_addc_co_u32_e32 v1, vcc, 0, v58, vcc
	global_load_ubyte v20, v[0:1], off offset:1536
	global_load_ubyte v19, v[0:1], off offset:1280
	;; [unrolled: 1-line block ×6, first 2 shown]
	global_load_ubyte v14, v[0:1], off
	v_add_co_u32_e32 v0, vcc, 0x700, v0
	v_addc_co_u32_e32 v1, vcc, 0, v1, vcc
	s_mov_b64 s[16:17], -1
	s_movk_i32 s25, 0x800
	s_cbranch_execz .LBB189_354
; %bb.352:                              ;   in Loop: Header=BB189_350 Depth=2
                                        ; implicit-def: $vgpr5
                                        ; implicit-def: $vgpr6
                                        ; implicit-def: $vgpr7
                                        ; implicit-def: $vgpr8
                                        ; implicit-def: $vgpr9
                                        ; implicit-def: $vgpr10
                                        ; implicit-def: $vgpr11
                                        ; implicit-def: $vgpr12
	v_mov_b32_e32 v13, s20
	s_and_saveexec_b64 s[18:19], s[16:17]
	s_cbranch_execnz .LBB189_365
	s_branch .LBB189_366
.LBB189_353:                            ;   in Loop: Header=BB189_350 Depth=2
	s_mov_b64 s[16:17], 0
                                        ; implicit-def: $sgpr25
                                        ; implicit-def: $vgpr14
                                        ; implicit-def: $vgpr15
                                        ; implicit-def: $vgpr16
                                        ; implicit-def: $vgpr17
                                        ; implicit-def: $vgpr18
                                        ; implicit-def: $vgpr19
                                        ; implicit-def: $vgpr20
                                        ; implicit-def: $vgpr0_vgpr1
.LBB189_354:                            ;   in Loop: Header=BB189_350 Depth=2
	s_add_u32 s23, s56, s22
	s_addc_u32 s24, s57, 0
	v_cmp_gt_u32_e32 vcc, s20, v2
	s_and_saveexec_b64 s[18:19], vcc
	s_cbranch_execz .LBB189_382
; %bb.355:                              ;   in Loop: Header=BB189_350 Depth=2
	v_mov_b32_e32 v1, s24
	v_add_co_u32_e32 v0, vcc, s23, v2
	v_addc_co_u32_e32 v1, vcc, 0, v1, vcc
	global_load_ubyte v5, v[0:1], off
	s_or_b64 exec, exec, s[18:19]
	v_cmp_gt_u32_e32 vcc, s20, v24
	s_and_saveexec_b64 s[18:19], vcc
	s_cbranch_execnz .LBB189_383
.LBB189_356:                            ;   in Loop: Header=BB189_350 Depth=2
	s_or_b64 exec, exec, s[18:19]
	v_cmp_gt_u32_e32 vcc, s20, v25
	s_and_saveexec_b64 s[18:19], vcc
	s_cbranch_execz .LBB189_384
.LBB189_357:                            ;   in Loop: Header=BB189_350 Depth=2
	v_mov_b32_e32 v1, s24
	v_add_co_u32_e32 v0, vcc, s23, v2
	v_addc_co_u32_e32 v1, vcc, 0, v1, vcc
	global_load_ubyte v7, v[0:1], off offset:512
	s_or_b64 exec, exec, s[18:19]
	v_cmp_gt_u32_e32 vcc, s20, v26
	s_and_saveexec_b64 s[18:19], vcc
	s_cbranch_execnz .LBB189_385
.LBB189_358:                            ;   in Loop: Header=BB189_350 Depth=2
	s_or_b64 exec, exec, s[18:19]
	v_cmp_gt_u32_e32 vcc, s20, v30
	s_and_saveexec_b64 s[18:19], vcc
	s_cbranch_execz .LBB189_386
.LBB189_359:                            ;   in Loop: Header=BB189_350 Depth=2
	v_mov_b32_e32 v1, s24
	v_add_co_u32_e32 v0, vcc, s23, v2
	v_addc_co_u32_e32 v1, vcc, 0, v1, vcc
	global_load_ubyte v9, v[0:1], off offset:1024
	s_or_b64 exec, exec, s[18:19]
	v_cmp_gt_u32_e32 vcc, s20, v31
	s_and_saveexec_b64 s[18:19], vcc
	s_cbranch_execnz .LBB189_387
.LBB189_360:                            ;   in Loop: Header=BB189_350 Depth=2
	s_or_b64 exec, exec, s[18:19]
	v_cmp_gt_u32_e32 vcc, s20, v32
	s_and_saveexec_b64 s[18:19], vcc
	s_cbranch_execz .LBB189_362
.LBB189_361:                            ;   in Loop: Header=BB189_350 Depth=2
	v_mov_b32_e32 v1, s24
	v_add_co_u32_e32 v0, vcc, s23, v2
	v_addc_co_u32_e32 v1, vcc, 0, v1, vcc
	global_load_ubyte v11, v[0:1], off offset:1536
.LBB189_362:                            ;   in Loop: Header=BB189_350 Depth=2
	s_or_b64 exec, exec, s[18:19]
	v_cmp_gt_u32_e32 vcc, s20, v33
                                        ; implicit-def: $sgpr25
                                        ; implicit-def: $vgpr0_vgpr1
	s_and_saveexec_b64 s[18:19], vcc
	s_cbranch_execz .LBB189_364
; %bb.363:                              ;   in Loop: Header=BB189_350 Depth=2
	v_mov_b32_e32 v0, s24
	v_add_co_u32_e32 v1, vcc, s23, v2
	s_waitcnt vmcnt(0)
	v_addc_co_u32_e32 v12, vcc, 0, v0, vcc
	v_add_co_u32_e32 v0, vcc, 0x700, v1
	s_sub_i32 s25, s76, s22
	v_addc_co_u32_e32 v1, vcc, 0, v12, vcc
	s_or_b64 s[16:17], s[16:17], exec
                                        ; implicit-def: $vgpr12
.LBB189_364:                            ;   in Loop: Header=BB189_350 Depth=2
	s_or_b64 exec, exec, s[18:19]
	s_waitcnt vmcnt(0)
	v_mov_b32_e32 v14, v5
	v_mov_b32_e32 v15, v6
	;; [unrolled: 1-line block ×8, first 2 shown]
	s_and_saveexec_b64 s[18:19], s[16:17]
	s_cbranch_execz .LBB189_366
.LBB189_365:                            ;   in Loop: Header=BB189_350 Depth=2
	global_load_ubyte v12, v[0:1], off
	v_mov_b32_e32 v13, s25
	s_waitcnt vmcnt(1)
	v_mov_b32_e32 v5, v14
	v_mov_b32_e32 v6, v15
	;; [unrolled: 1-line block ×7, first 2 shown]
.LBB189_366:                            ;   in Loop: Header=BB189_350 Depth=2
	s_or_b64 exec, exec, s[18:19]
	v_cmp_lt_u32_e32 vcc, v2, v13
	s_and_saveexec_b64 s[16:17], vcc
	s_cbranch_execz .LBB189_374
; %bb.367:                              ;   in Loop: Header=BB189_350 Depth=2
	v_lshrrev_b32_sdwa v0, s69, v5 dst_sel:DWORD dst_unused:UNUSED_PAD src0_sel:DWORD src1_sel:BYTE_0
	v_and_b32_e32 v0, s77, v0
	v_lshlrev_b32_e32 v1, 2, v27
	v_lshl_or_b32 v0, v0, 4, v1
	ds_add_u32 v0, v63
	s_or_b64 exec, exec, s[16:17]
	v_cmp_lt_u32_e32 vcc, v24, v13
	s_and_saveexec_b64 s[16:17], vcc
	s_cbranch_execnz .LBB189_375
.LBB189_368:                            ;   in Loop: Header=BB189_350 Depth=2
	s_or_b64 exec, exec, s[16:17]
	v_cmp_lt_u32_e32 vcc, v25, v13
	s_and_saveexec_b64 s[16:17], vcc
	s_cbranch_execz .LBB189_376
.LBB189_369:                            ;   in Loop: Header=BB189_350 Depth=2
	v_lshrrev_b32_sdwa v0, s69, v7 dst_sel:DWORD dst_unused:UNUSED_PAD src0_sel:DWORD src1_sel:BYTE_0
	v_and_b32_e32 v0, s77, v0
	v_lshlrev_b32_e32 v1, 2, v27
	v_lshl_or_b32 v0, v0, 4, v1
	ds_add_u32 v0, v63
	s_or_b64 exec, exec, s[16:17]
	v_cmp_lt_u32_e32 vcc, v26, v13
	s_and_saveexec_b64 s[16:17], vcc
	s_cbranch_execnz .LBB189_377
.LBB189_370:                            ;   in Loop: Header=BB189_350 Depth=2
	s_or_b64 exec, exec, s[16:17]
	v_cmp_lt_u32_e32 vcc, v30, v13
	s_and_saveexec_b64 s[16:17], vcc
	s_cbranch_execz .LBB189_378
.LBB189_371:                            ;   in Loop: Header=BB189_350 Depth=2
	v_lshrrev_b32_sdwa v0, s69, v9 dst_sel:DWORD dst_unused:UNUSED_PAD src0_sel:DWORD src1_sel:BYTE_0
	v_and_b32_e32 v0, s77, v0
	v_lshlrev_b32_e32 v1, 2, v27
	v_lshl_or_b32 v0, v0, 4, v1
	ds_add_u32 v0, v63
	s_or_b64 exec, exec, s[16:17]
	v_cmp_lt_u32_e32 vcc, v31, v13
	s_and_saveexec_b64 s[16:17], vcc
	s_cbranch_execnz .LBB189_379
.LBB189_372:                            ;   in Loop: Header=BB189_350 Depth=2
	s_or_b64 exec, exec, s[16:17]
	v_cmp_lt_u32_e32 vcc, v32, v13
	s_and_saveexec_b64 s[16:17], vcc
	s_cbranch_execz .LBB189_380
.LBB189_373:                            ;   in Loop: Header=BB189_350 Depth=2
	v_lshrrev_b32_sdwa v0, s69, v11 dst_sel:DWORD dst_unused:UNUSED_PAD src0_sel:DWORD src1_sel:BYTE_0
	v_and_b32_e32 v0, s77, v0
	v_lshlrev_b32_e32 v1, 2, v27
	v_lshl_or_b32 v0, v0, 4, v1
	ds_add_u32 v0, v63
	s_or_b64 exec, exec, s[16:17]
	v_cmp_lt_u32_e32 vcc, v33, v13
	s_and_saveexec_b64 s[16:17], vcc
	s_cbranch_execz .LBB189_349
	s_branch .LBB189_381
.LBB189_374:                            ;   in Loop: Header=BB189_350 Depth=2
	s_or_b64 exec, exec, s[16:17]
	v_cmp_lt_u32_e32 vcc, v24, v13
	s_and_saveexec_b64 s[16:17], vcc
	s_cbranch_execz .LBB189_368
.LBB189_375:                            ;   in Loop: Header=BB189_350 Depth=2
	v_lshrrev_b32_sdwa v0, s69, v6 dst_sel:DWORD dst_unused:UNUSED_PAD src0_sel:DWORD src1_sel:BYTE_0
	v_and_b32_e32 v0, s77, v0
	v_lshlrev_b32_e32 v1, 2, v27
	v_lshl_or_b32 v0, v0, 4, v1
	ds_add_u32 v0, v63
	s_or_b64 exec, exec, s[16:17]
	v_cmp_lt_u32_e32 vcc, v25, v13
	s_and_saveexec_b64 s[16:17], vcc
	s_cbranch_execnz .LBB189_369
.LBB189_376:                            ;   in Loop: Header=BB189_350 Depth=2
	s_or_b64 exec, exec, s[16:17]
	v_cmp_lt_u32_e32 vcc, v26, v13
	s_and_saveexec_b64 s[16:17], vcc
	s_cbranch_execz .LBB189_370
.LBB189_377:                            ;   in Loop: Header=BB189_350 Depth=2
	v_lshrrev_b32_sdwa v0, s69, v8 dst_sel:DWORD dst_unused:UNUSED_PAD src0_sel:DWORD src1_sel:BYTE_0
	v_and_b32_e32 v0, s77, v0
	v_lshlrev_b32_e32 v1, 2, v27
	v_lshl_or_b32 v0, v0, 4, v1
	ds_add_u32 v0, v63
	s_or_b64 exec, exec, s[16:17]
	v_cmp_lt_u32_e32 vcc, v30, v13
	s_and_saveexec_b64 s[16:17], vcc
	s_cbranch_execnz .LBB189_371
.LBB189_378:                            ;   in Loop: Header=BB189_350 Depth=2
	s_or_b64 exec, exec, s[16:17]
	v_cmp_lt_u32_e32 vcc, v31, v13
	s_and_saveexec_b64 s[16:17], vcc
	s_cbranch_execz .LBB189_372
.LBB189_379:                            ;   in Loop: Header=BB189_350 Depth=2
	v_lshrrev_b32_sdwa v0, s69, v10 dst_sel:DWORD dst_unused:UNUSED_PAD src0_sel:DWORD src1_sel:BYTE_0
	v_and_b32_e32 v0, s77, v0
	v_lshlrev_b32_e32 v1, 2, v27
	v_lshl_or_b32 v0, v0, 4, v1
	ds_add_u32 v0, v63
	s_or_b64 exec, exec, s[16:17]
	v_cmp_lt_u32_e32 vcc, v32, v13
	s_and_saveexec_b64 s[16:17], vcc
	s_cbranch_execnz .LBB189_373
.LBB189_380:                            ;   in Loop: Header=BB189_350 Depth=2
	s_or_b64 exec, exec, s[16:17]
	v_cmp_lt_u32_e32 vcc, v33, v13
	s_and_saveexec_b64 s[16:17], vcc
	s_cbranch_execz .LBB189_349
.LBB189_381:                            ;   in Loop: Header=BB189_350 Depth=2
	s_waitcnt vmcnt(0)
	v_lshrrev_b32_sdwa v0, s69, v12 dst_sel:DWORD dst_unused:UNUSED_PAD src0_sel:DWORD src1_sel:BYTE_0
	v_and_b32_e32 v0, s77, v0
	v_lshlrev_b32_e32 v1, 2, v27
	v_lshl_or_b32 v0, v0, 4, v1
	ds_add_u32 v0, v63
	s_branch .LBB189_349
.LBB189_382:                            ;   in Loop: Header=BB189_350 Depth=2
	s_or_b64 exec, exec, s[18:19]
	v_cmp_gt_u32_e32 vcc, s20, v24
	s_and_saveexec_b64 s[18:19], vcc
	s_cbranch_execz .LBB189_356
.LBB189_383:                            ;   in Loop: Header=BB189_350 Depth=2
	v_mov_b32_e32 v1, s24
	v_add_co_u32_e32 v0, vcc, s23, v2
	v_addc_co_u32_e32 v1, vcc, 0, v1, vcc
	global_load_ubyte v6, v[0:1], off offset:256
	s_or_b64 exec, exec, s[18:19]
	v_cmp_gt_u32_e32 vcc, s20, v25
	s_and_saveexec_b64 s[18:19], vcc
	s_cbranch_execnz .LBB189_357
.LBB189_384:                            ;   in Loop: Header=BB189_350 Depth=2
	s_or_b64 exec, exec, s[18:19]
	v_cmp_gt_u32_e32 vcc, s20, v26
	s_and_saveexec_b64 s[18:19], vcc
	s_cbranch_execz .LBB189_358
.LBB189_385:                            ;   in Loop: Header=BB189_350 Depth=2
	v_mov_b32_e32 v1, s24
	v_add_co_u32_e32 v0, vcc, s23, v2
	v_addc_co_u32_e32 v1, vcc, 0, v1, vcc
	global_load_ubyte v8, v[0:1], off offset:768
	s_or_b64 exec, exec, s[18:19]
	v_cmp_gt_u32_e32 vcc, s20, v30
	s_and_saveexec_b64 s[18:19], vcc
	s_cbranch_execnz .LBB189_359
.LBB189_386:                            ;   in Loop: Header=BB189_350 Depth=2
	s_or_b64 exec, exec, s[18:19]
	v_cmp_gt_u32_e32 vcc, s20, v31
	s_and_saveexec_b64 s[18:19], vcc
	s_cbranch_execz .LBB189_360
.LBB189_387:                            ;   in Loop: Header=BB189_350 Depth=2
	v_mov_b32_e32 v1, s24
	v_add_co_u32_e32 v0, vcc, s23, v2
	v_addc_co_u32_e32 v1, vcc, 0, v1, vcc
	global_load_ubyte v10, v[0:1], off offset:1280
	s_or_b64 exec, exec, s[18:19]
	v_cmp_gt_u32_e32 vcc, s20, v32
	s_and_saveexec_b64 s[18:19], vcc
	s_cbranch_execz .LBB189_362
	s_branch .LBB189_361
.LBB189_388:                            ;   in Loop: Header=BB189_12 Depth=1
	v_mov_b32_e32 v0, 0
	s_waitcnt lgkmcnt(0)
	s_barrier
	s_and_saveexec_b64 s[16:17], s[4:5]
	s_cbranch_execz .LBB189_390
; %bb.389:                              ;   in Loop: Header=BB189_12 Depth=1
	ds_read2_b64 v[6:9], v34 offset1:1
	s_waitcnt lgkmcnt(0)
	v_add_u32_e32 v0, v7, v6
	v_add3_u32 v0, v0, v8, v9
.LBB189_390:                            ;   in Loop: Header=BB189_12 Depth=1
	s_or_b64 exec, exec, s[16:17]
	v_and_b32_e32 v1, 15, v64
	v_mov_b32_dpp v5, v0 row_shr:1 row_mask:0xf bank_mask:0xf
	v_cmp_eq_u32_e64 s[16:17], 0, v1
	v_cndmask_b32_e64 v5, v5, 0, s[16:17]
	v_add_u32_e32 v0, v5, v0
	v_cmp_lt_u32_e64 s[18:19], 1, v1
	v_cmp_lt_u32_e64 s[20:21], 3, v1
	v_mov_b32_dpp v5, v0 row_shr:2 row_mask:0xf bank_mask:0xf
	v_cndmask_b32_e64 v5, 0, v5, s[18:19]
	v_add_u32_e32 v0, v0, v5
	v_cmp_lt_u32_e64 s[22:23], 7, v1
	v_cmp_lt_u32_e64 s[26:27], 31, v64
	v_mov_b32_dpp v5, v0 row_shr:4 row_mask:0xf bank_mask:0xf
	v_cndmask_b32_e64 v5, 0, v5, s[20:21]
	v_add_u32_e32 v0, v0, v5
	v_and_b32_e32 v6, 16, v64
	v_cmp_eq_u32_e64 s[24:25], 0, v6
	v_mov_b32_dpp v5, v0 row_shr:8 row_mask:0xf bank_mask:0xf
	v_cndmask_b32_e64 v1, 0, v5, s[22:23]
	v_add_u32_e32 v0, v0, v1
	v_bfe_i32 v5, v64, 4, 1
	s_nop 0
	v_mov_b32_dpp v1, v0 row_bcast:15 row_mask:0xf bank_mask:0xf
	v_and_b32_e32 v1, v5, v1
	v_add_u32_e32 v0, v0, v1
	s_nop 1
	v_mov_b32_dpp v1, v0 row_bcast:31 row_mask:0xf bank_mask:0xf
	v_cndmask_b32_e64 v1, 0, v1, s[26:27]
	v_add_u32_e32 v1, v0, v1
	s_and_saveexec_b64 s[28:29], s[6:7]
	s_cbranch_execz .LBB189_392
; %bb.391:                              ;   in Loop: Header=BB189_12 Depth=1
	ds_write_b32 v36, v1
.LBB189_392:                            ;   in Loop: Header=BB189_12 Depth=1
	s_or_b64 exec, exec, s[28:29]
	v_and_b32_e32 v0, 3, v64
	s_waitcnt lgkmcnt(0)
	s_barrier
	s_and_saveexec_b64 s[28:29], s[8:9]
	s_cbranch_execz .LBB189_394
; %bb.393:                              ;   in Loop: Header=BB189_12 Depth=1
	ds_read_b32 v5, v37
	v_cmp_ne_u32_e32 vcc, 0, v0
	s_waitcnt lgkmcnt(0)
	v_mov_b32_dpp v6, v5 row_shr:1 row_mask:0xf bank_mask:0xf
	v_cndmask_b32_e32 v6, 0, v6, vcc
	v_add_u32_e32 v5, v6, v5
	v_cmp_lt_u32_e32 vcc, 1, v0
	s_nop 0
	v_mov_b32_dpp v6, v5 row_shr:2 row_mask:0xf bank_mask:0xf
	v_cndmask_b32_e32 v6, 0, v6, vcc
	v_add_u32_e32 v5, v5, v6
	ds_write_b32 v37, v5
.LBB189_394:                            ;   in Loop: Header=BB189_12 Depth=1
	s_or_b64 exec, exec, s[28:29]
	v_mov_b32_e32 v5, 0
	s_waitcnt lgkmcnt(0)
	s_barrier
	s_and_saveexec_b64 s[28:29], s[10:11]
	s_cbranch_execz .LBB189_396
; %bb.395:                              ;   in Loop: Header=BB189_12 Depth=1
	ds_read_b32 v5, v38
.LBB189_396:                            ;   in Loop: Header=BB189_12 Depth=1
	s_or_b64 exec, exec, s[28:29]
	v_add_u32_e32 v6, -1, v64
	v_and_b32_e32 v7, 64, v64
	v_cmp_lt_i32_e32 vcc, v6, v7
	v_cndmask_b32_e32 v6, v6, v64, vcc
	s_waitcnt lgkmcnt(0)
	v_add_u32_e32 v1, v5, v1
	v_lshlrev_b32_e32 v65, 2, v6
	ds_bpermute_b32 v1, v65, v1
	v_cmp_eq_u32_e64 s[28:29], 0, v64
	s_waitcnt lgkmcnt(0)
	s_barrier
	s_and_saveexec_b64 s[30:31], s[4:5]
	s_cbranch_execz .LBB189_398
; %bb.397:                              ;   in Loop: Header=BB189_12 Depth=1
	v_cndmask_b32_e64 v1, v1, v5, s[28:29]
	v_add_u32_e32 v1, s51, v1
	ds_write_b32 v3, v1
.LBB189_398:                            ;   in Loop: Header=BB189_12 Depth=1
	s_or_b64 exec, exec, s[30:31]
	s_load_dwordx2 s[30:31], s[74:75], 0x0
	v_and_b32_e32 v21, 63, v64
	v_add_co_u32_e32 v74, vcc, v61, v21
	v_lshlrev_b32_e32 v22, 3, v21
	s_waitcnt lgkmcnt(0)
	s_cmp_lt_u32 s50, s30
	s_cselect_b32 s34, 12, 18
	s_cmp_lt_u32 s33, s31
	s_cselect_b32 s30, 14, 20
	s_add_u32 s30, s74, s30
	s_addc_u32 s31, s75, 0
	s_add_u32 s34, s74, s34
	global_load_ushort v5, v4, s[30:31]
	s_addc_u32 s35, s75, 0
	global_load_ushort v20, v4, s[34:35]
	v_addc_co_u32_e32 v76, vcc, 0, v62, vcc
	v_add_co_u32_e32 v77, vcc, v59, v22
	v_addc_co_u32_e32 v78, vcc, 0, v60, vcc
	v_or_b32_e32 v72, v21, v39
	v_add_co_u32_e32 v86, vcc, 0x1c0, v74
	v_cmp_eq_u32_e64 s[30:31], 0, v0
	v_cmp_lt_u32_e64 s[34:35], 1, v0
	s_mov_b32 s78, s71
	v_or_b32_e32 v79, 64, v72
	v_or_b32_e32 v80, 0x80, v72
	;; [unrolled: 1-line block ×7, first 2 shown]
	v_addc_co_u32_e32 v87, vcc, 0, v76, vcc
	s_mov_b32 s72, s51
                                        ; implicit-def: $vgpr0_vgpr1
                                        ; implicit-def: $vgpr6_vgpr7
                                        ; implicit-def: $vgpr8_vgpr9
                                        ; implicit-def: $vgpr10_vgpr11
                                        ; implicit-def: $vgpr12_vgpr13
                                        ; implicit-def: $vgpr14_vgpr15
                                        ; implicit-def: $vgpr16_vgpr17
                                        ; implicit-def: $vgpr18_vgpr19
                                        ; implicit-def: $vgpr66
                                        ; implicit-def: $vgpr67
                                        ; implicit-def: $vgpr68
                                        ; implicit-def: $vgpr69
                                        ; implicit-def: $vgpr70
                                        ; implicit-def: $vgpr71
                                        ; implicit-def: $vgpr73
                                        ; implicit-def: $vgpr75
	s_waitcnt vmcnt(1)
	v_mad_u32_u24 v5, v40, v5, v41
	s_waitcnt vmcnt(0)
	v_mad_u64_u32 v[20:21], s[36:37], v5, v20, v[2:3]
	v_lshrrev_b32_e32 v88, 6, v20
	s_branch .LBB189_400
.LBB189_399:                            ;   in Loop: Header=BB189_400 Depth=2
	s_or_b64 exec, exec, s[36:37]
	s_addk_i32 s78, 0xf800
	s_cmp_lt_u32 s79, s76
	s_mov_b32 s72, s79
	s_cbranch_scc0 .LBB189_512
.LBB189_400:                            ;   Parent Loop BB189_12 Depth=1
                                        ; =>  This Inner Loop Header: Depth=2
	s_add_i32 s79, s72, 0x800
	s_cmp_gt_u32 s79, s76
	s_cbranch_scc1 .LBB189_403
; %bb.401:                              ;   in Loop: Header=BB189_400 Depth=2
	v_add_co_u32_e32 v20, vcc, s72, v74
	v_addc_co_u32_e32 v21, vcc, 0, v76, vcc
	global_load_ubyte v90, v[20:21], off
	global_load_ubyte v91, v[20:21], off offset:64
	global_load_ubyte v92, v[20:21], off offset:128
	;; [unrolled: 1-line block ×6, first 2 shown]
	s_mov_b64 s[36:37], -1
	s_movk_i32 s40, 0x800
	s_cbranch_execz .LBB189_404
; %bb.402:                              ;   in Loop: Header=BB189_400 Depth=2
                                        ; implicit-def: $sgpr38
	v_mov_b32_e32 v97, s38
	v_mov_b32_e32 v89, s78
	s_and_saveexec_b64 s[38:39], s[36:37]
	s_cbranch_execnz .LBB189_419
	s_branch .LBB189_420
.LBB189_403:                            ;   in Loop: Header=BB189_400 Depth=2
	s_mov_b64 s[36:37], 0
                                        ; implicit-def: $sgpr40
                                        ; implicit-def: $vgpr90
                                        ; implicit-def: $vgpr91
                                        ; implicit-def: $vgpr92
                                        ; implicit-def: $vgpr93
                                        ; implicit-def: $vgpr94
                                        ; implicit-def: $vgpr95
                                        ; implicit-def: $vgpr96
.LBB189_404:                            ;   in Loop: Header=BB189_400 Depth=2
	v_add_co_u32_e32 v20, vcc, s72, v74
	v_addc_co_u32_e32 v21, vcc, 0, v76, vcc
	v_cmp_gt_u32_e32 vcc, s78, v72
	s_waitcnt vmcnt(5)
	v_mov_b32_e32 v91, 0xff
	v_mov_b32_e32 v90, 0xff
	s_and_saveexec_b64 s[36:37], vcc
	s_cbranch_execz .LBB189_406
; %bb.405:                              ;   in Loop: Header=BB189_400 Depth=2
	global_load_ubyte v90, v[20:21], off
.LBB189_406:                            ;   in Loop: Header=BB189_400 Depth=2
	s_or_b64 exec, exec, s[36:37]
	v_cmp_gt_u32_e32 vcc, s78, v79
	s_and_saveexec_b64 s[36:37], vcc
	s_cbranch_execz .LBB189_408
; %bb.407:                              ;   in Loop: Header=BB189_400 Depth=2
	global_load_ubyte v91, v[20:21], off offset:64
.LBB189_408:                            ;   in Loop: Header=BB189_400 Depth=2
	s_or_b64 exec, exec, s[36:37]
	v_cmp_gt_u32_e32 vcc, s78, v80
	s_waitcnt vmcnt(3)
	v_mov_b32_e32 v93, 0xff
	v_mov_b32_e32 v92, 0xff
	s_and_saveexec_b64 s[36:37], vcc
	s_cbranch_execz .LBB189_410
; %bb.409:                              ;   in Loop: Header=BB189_400 Depth=2
	global_load_ubyte v92, v[20:21], off offset:128
.LBB189_410:                            ;   in Loop: Header=BB189_400 Depth=2
	s_or_b64 exec, exec, s[36:37]
	v_cmp_gt_u32_e32 vcc, s78, v81
	s_and_saveexec_b64 s[36:37], vcc
	s_cbranch_execz .LBB189_412
; %bb.411:                              ;   in Loop: Header=BB189_400 Depth=2
	global_load_ubyte v93, v[20:21], off offset:192
.LBB189_412:                            ;   in Loop: Header=BB189_400 Depth=2
	s_or_b64 exec, exec, s[36:37]
	v_cmp_gt_u32_e32 vcc, s78, v82
	s_waitcnt vmcnt(1)
	v_mov_b32_e32 v95, 0xff
	v_mov_b32_e32 v94, 0xff
	s_and_saveexec_b64 s[36:37], vcc
	s_cbranch_execz .LBB189_414
; %bb.413:                              ;   in Loop: Header=BB189_400 Depth=2
	global_load_ubyte v94, v[20:21], off offset:256
.LBB189_414:                            ;   in Loop: Header=BB189_400 Depth=2
	s_or_b64 exec, exec, s[36:37]
	v_cmp_gt_u32_e32 vcc, s78, v83
	s_and_saveexec_b64 s[36:37], vcc
	s_cbranch_execz .LBB189_416
; %bb.415:                              ;   in Loop: Header=BB189_400 Depth=2
	global_load_ubyte v95, v[20:21], off offset:320
.LBB189_416:                            ;   in Loop: Header=BB189_400 Depth=2
	s_or_b64 exec, exec, s[36:37]
	v_cmp_gt_u32_e32 vcc, s78, v84
	s_waitcnt vmcnt(0)
	v_mov_b32_e32 v96, 0xff
	s_and_saveexec_b64 s[36:37], vcc
	s_cbranch_execz .LBB189_418
; %bb.417:                              ;   in Loop: Header=BB189_400 Depth=2
	global_load_ubyte v96, v[20:21], off offset:384
.LBB189_418:                            ;   in Loop: Header=BB189_400 Depth=2
	s_or_b64 exec, exec, s[36:37]
	s_sub_i32 s40, s76, s72
	v_cmp_gt_u32_e64 s[36:37], s78, v85
	s_movk_i32 s38, 0xff
	v_mov_b32_e32 v97, s38
	v_mov_b32_e32 v89, s78
	s_and_saveexec_b64 s[38:39], s[36:37]
	s_cbranch_execz .LBB189_420
.LBB189_419:                            ;   in Loop: Header=BB189_400 Depth=2
	v_mov_b32_e32 v5, s73
	v_add_co_u32_e32 v20, vcc, s72, v86
	v_addc_co_u32_e32 v21, vcc, v87, v5, vcc
	global_load_ubyte v97, v[20:21], off
	v_mov_b32_e32 v89, s40
.LBB189_420:                            ;   in Loop: Header=BB189_400 Depth=2
	s_or_b64 exec, exec, s[38:39]
	v_add_u32_e32 v5, 0x410, v42
	ds_write2_b32 v5, v4, v4 offset1:1
	ds_write2_b32 v44, v4, v4 offset0:2 offset1:3
	ds_write_b32 v44, v4 offset:16
	s_waitcnt vmcnt(6)
	v_lshrrev_b32_sdwa v5, s69, v90 dst_sel:DWORD dst_unused:UNUSED_PAD src0_sel:DWORD src1_sel:BYTE_0
	v_and_b32_e32 v20, s77, v5
	v_mad_u32_u24 v5, v20, 5, v88
	v_lshl_add_u32 v98, v5, 2, v43
	v_and_b32_e32 v5, 1, v20
	v_add_co_u32_e32 v21, vcc, -1, v5
	v_addc_co_u32_e64 v22, s[36:37], 0, -1, vcc
	v_cmp_ne_u32_e32 vcc, 0, v5
	v_xor_b32_e32 v5, vcc_hi, v22
	v_and_b32_e32 v22, exec_hi, v5
	v_lshlrev_b32_e32 v5, 30, v20
	v_xor_b32_e32 v21, vcc_lo, v21
	v_cmp_gt_i64_e32 vcc, 0, v[4:5]
	v_not_b32_e32 v5, v5
	v_ashrrev_i32_e32 v5, 31, v5
	v_and_b32_e32 v21, exec_lo, v21
	v_xor_b32_e32 v23, vcc_hi, v5
	v_xor_b32_e32 v5, vcc_lo, v5
	v_and_b32_e32 v21, v21, v5
	v_lshlrev_b32_e32 v5, 29, v20
	v_cmp_gt_i64_e32 vcc, 0, v[4:5]
	v_not_b32_e32 v5, v5
	v_ashrrev_i32_e32 v5, 31, v5
	v_and_b32_e32 v22, v22, v23
	v_xor_b32_e32 v23, vcc_hi, v5
	v_xor_b32_e32 v5, vcc_lo, v5
	v_and_b32_e32 v21, v21, v5
	v_lshlrev_b32_e32 v5, 28, v20
	v_cmp_gt_i64_e32 vcc, 0, v[4:5]
	v_not_b32_e32 v5, v5
	v_ashrrev_i32_e32 v5, 31, v5
	v_and_b32_e32 v22, v22, v23
	v_xor_b32_e32 v23, vcc_hi, v5
	v_xor_b32_e32 v5, vcc_lo, v5
	v_and_b32_e32 v21, v21, v5
	v_lshlrev_b32_e32 v5, 27, v20
	v_cmp_gt_i64_e32 vcc, 0, v[4:5]
	v_not_b32_e32 v5, v5
	v_ashrrev_i32_e32 v5, 31, v5
	v_and_b32_e32 v22, v22, v23
	v_xor_b32_e32 v23, vcc_hi, v5
	v_xor_b32_e32 v5, vcc_lo, v5
	v_and_b32_e32 v21, v21, v5
	v_lshlrev_b32_e32 v5, 26, v20
	v_cmp_gt_i64_e32 vcc, 0, v[4:5]
	v_not_b32_e32 v5, v5
	v_ashrrev_i32_e32 v5, 31, v5
	v_and_b32_e32 v22, v22, v23
	v_xor_b32_e32 v23, vcc_hi, v5
	v_xor_b32_e32 v5, vcc_lo, v5
	v_and_b32_e32 v21, v21, v5
	v_lshlrev_b32_e32 v5, 25, v20
	v_cmp_gt_i64_e32 vcc, 0, v[4:5]
	v_not_b32_e32 v5, v5
	v_ashrrev_i32_e32 v5, 31, v5
	v_and_b32_e32 v22, v22, v23
	v_xor_b32_e32 v23, vcc_hi, v5
	v_xor_b32_e32 v5, vcc_lo, v5
	v_and_b32_e32 v22, v22, v23
	v_and_b32_e32 v23, v21, v5
	v_lshlrev_b32_e32 v5, 24, v20
	v_cmp_gt_i64_e32 vcc, 0, v[4:5]
	v_not_b32_e32 v5, v5
	v_ashrrev_i32_e32 v5, 31, v5
	v_xor_b32_e32 v20, vcc_hi, v5
	v_xor_b32_e32 v5, vcc_lo, v5
	v_and_b32_e32 v21, v22, v20
	v_and_b32_e32 v20, v23, v5
	v_mbcnt_lo_u32_b32 v5, v20, 0
	v_mbcnt_hi_u32_b32 v99, v21, v5
	v_cmp_eq_u32_e32 vcc, 0, v99
	v_cmp_ne_u64_e64 s[36:37], 0, v[20:21]
	s_and_b64 s[38:39], s[36:37], vcc
	s_waitcnt lgkmcnt(0)
	s_barrier
	s_waitcnt lgkmcnt(0)
	; wave barrier
	s_and_saveexec_b64 s[36:37], s[38:39]
	s_cbranch_execz .LBB189_422
; %bb.421:                              ;   in Loop: Header=BB189_400 Depth=2
	v_bcnt_u32_b32 v5, v20, 0
	v_bcnt_u32_b32 v5, v21, v5
	ds_write_b32 v98, v5
.LBB189_422:                            ;   in Loop: Header=BB189_400 Depth=2
	s_or_b64 exec, exec, s[36:37]
	s_waitcnt vmcnt(5)
	v_lshrrev_b32_sdwa v5, s69, v91 dst_sel:DWORD dst_unused:UNUSED_PAD src0_sel:DWORD src1_sel:BYTE_0
	v_and_b32_e32 v20, s77, v5
	v_mul_u32_u24_e32 v5, 5, v20
	v_add_lshl_u32 v5, v5, v88, 2
	; wave barrier
	v_add_u32_e32 v101, 0x410, v5
	ds_read_b32 v100, v5 offset:1040
	v_and_b32_e32 v5, 1, v20
	v_add_co_u32_e32 v21, vcc, -1, v5
	v_addc_co_u32_e64 v22, s[36:37], 0, -1, vcc
	v_cmp_ne_u32_e32 vcc, 0, v5
	v_xor_b32_e32 v5, vcc_hi, v22
	v_and_b32_e32 v22, exec_hi, v5
	v_lshlrev_b32_e32 v5, 30, v20
	v_xor_b32_e32 v21, vcc_lo, v21
	v_cmp_gt_i64_e32 vcc, 0, v[4:5]
	v_not_b32_e32 v5, v5
	v_ashrrev_i32_e32 v5, 31, v5
	v_and_b32_e32 v21, exec_lo, v21
	v_xor_b32_e32 v23, vcc_hi, v5
	v_xor_b32_e32 v5, vcc_lo, v5
	v_and_b32_e32 v21, v21, v5
	v_lshlrev_b32_e32 v5, 29, v20
	v_cmp_gt_i64_e32 vcc, 0, v[4:5]
	v_not_b32_e32 v5, v5
	v_ashrrev_i32_e32 v5, 31, v5
	v_and_b32_e32 v22, v22, v23
	v_xor_b32_e32 v23, vcc_hi, v5
	v_xor_b32_e32 v5, vcc_lo, v5
	v_and_b32_e32 v21, v21, v5
	v_lshlrev_b32_e32 v5, 28, v20
	v_cmp_gt_i64_e32 vcc, 0, v[4:5]
	v_not_b32_e32 v5, v5
	v_ashrrev_i32_e32 v5, 31, v5
	v_and_b32_e32 v22, v22, v23
	;; [unrolled: 8-line block ×5, first 2 shown]
	v_xor_b32_e32 v23, vcc_hi, v5
	v_xor_b32_e32 v5, vcc_lo, v5
	v_and_b32_e32 v22, v22, v23
	v_and_b32_e32 v23, v21, v5
	v_lshlrev_b32_e32 v5, 24, v20
	v_cmp_gt_i64_e32 vcc, 0, v[4:5]
	v_not_b32_e32 v5, v5
	v_ashrrev_i32_e32 v5, 31, v5
	v_xor_b32_e32 v20, vcc_hi, v5
	v_xor_b32_e32 v5, vcc_lo, v5
	v_and_b32_e32 v21, v22, v20
	v_and_b32_e32 v20, v23, v5
	v_mbcnt_lo_u32_b32 v5, v20, 0
	v_mbcnt_hi_u32_b32 v102, v21, v5
	v_cmp_eq_u32_e32 vcc, 0, v102
	v_cmp_ne_u64_e64 s[36:37], 0, v[20:21]
	s_and_b64 s[38:39], s[36:37], vcc
	; wave barrier
	s_and_saveexec_b64 s[36:37], s[38:39]
	s_cbranch_execz .LBB189_424
; %bb.423:                              ;   in Loop: Header=BB189_400 Depth=2
	v_bcnt_u32_b32 v5, v20, 0
	v_bcnt_u32_b32 v5, v21, v5
	s_waitcnt lgkmcnt(0)
	v_add_u32_e32 v5, v100, v5
	ds_write_b32 v101, v5
.LBB189_424:                            ;   in Loop: Header=BB189_400 Depth=2
	s_or_b64 exec, exec, s[36:37]
	s_waitcnt vmcnt(4)
	v_lshrrev_b32_sdwa v5, s69, v92 dst_sel:DWORD dst_unused:UNUSED_PAD src0_sel:DWORD src1_sel:BYTE_0
	v_and_b32_e32 v20, s77, v5
	v_mul_u32_u24_e32 v5, 5, v20
	v_add_lshl_u32 v5, v5, v88, 2
	; wave barrier
	v_add_u32_e32 v104, 0x410, v5
	ds_read_b32 v103, v5 offset:1040
	v_and_b32_e32 v5, 1, v20
	v_add_co_u32_e32 v21, vcc, -1, v5
	v_addc_co_u32_e64 v22, s[36:37], 0, -1, vcc
	v_cmp_ne_u32_e32 vcc, 0, v5
	v_xor_b32_e32 v5, vcc_hi, v22
	v_and_b32_e32 v22, exec_hi, v5
	v_lshlrev_b32_e32 v5, 30, v20
	v_xor_b32_e32 v21, vcc_lo, v21
	v_cmp_gt_i64_e32 vcc, 0, v[4:5]
	v_not_b32_e32 v5, v5
	v_ashrrev_i32_e32 v5, 31, v5
	v_and_b32_e32 v21, exec_lo, v21
	v_xor_b32_e32 v23, vcc_hi, v5
	v_xor_b32_e32 v5, vcc_lo, v5
	v_and_b32_e32 v21, v21, v5
	v_lshlrev_b32_e32 v5, 29, v20
	v_cmp_gt_i64_e32 vcc, 0, v[4:5]
	v_not_b32_e32 v5, v5
	v_ashrrev_i32_e32 v5, 31, v5
	v_and_b32_e32 v22, v22, v23
	v_xor_b32_e32 v23, vcc_hi, v5
	v_xor_b32_e32 v5, vcc_lo, v5
	v_and_b32_e32 v21, v21, v5
	v_lshlrev_b32_e32 v5, 28, v20
	v_cmp_gt_i64_e32 vcc, 0, v[4:5]
	v_not_b32_e32 v5, v5
	v_ashrrev_i32_e32 v5, 31, v5
	v_and_b32_e32 v22, v22, v23
	;; [unrolled: 8-line block ×5, first 2 shown]
	v_xor_b32_e32 v23, vcc_hi, v5
	v_xor_b32_e32 v5, vcc_lo, v5
	v_and_b32_e32 v22, v22, v23
	v_and_b32_e32 v23, v21, v5
	v_lshlrev_b32_e32 v5, 24, v20
	v_cmp_gt_i64_e32 vcc, 0, v[4:5]
	v_not_b32_e32 v5, v5
	v_ashrrev_i32_e32 v5, 31, v5
	v_xor_b32_e32 v20, vcc_hi, v5
	v_xor_b32_e32 v5, vcc_lo, v5
	v_and_b32_e32 v21, v22, v20
	v_and_b32_e32 v20, v23, v5
	v_mbcnt_lo_u32_b32 v5, v20, 0
	v_mbcnt_hi_u32_b32 v105, v21, v5
	v_cmp_eq_u32_e32 vcc, 0, v105
	v_cmp_ne_u64_e64 s[36:37], 0, v[20:21]
	s_and_b64 s[38:39], s[36:37], vcc
	; wave barrier
	s_and_saveexec_b64 s[36:37], s[38:39]
	s_cbranch_execz .LBB189_426
; %bb.425:                              ;   in Loop: Header=BB189_400 Depth=2
	v_bcnt_u32_b32 v5, v20, 0
	v_bcnt_u32_b32 v5, v21, v5
	s_waitcnt lgkmcnt(0)
	v_add_u32_e32 v5, v103, v5
	ds_write_b32 v104, v5
.LBB189_426:                            ;   in Loop: Header=BB189_400 Depth=2
	s_or_b64 exec, exec, s[36:37]
	s_waitcnt vmcnt(3)
	v_lshrrev_b32_sdwa v5, s69, v93 dst_sel:DWORD dst_unused:UNUSED_PAD src0_sel:DWORD src1_sel:BYTE_0
	v_and_b32_e32 v20, s77, v5
	v_mul_u32_u24_e32 v5, 5, v20
	v_add_lshl_u32 v5, v5, v88, 2
	; wave barrier
	v_add_u32_e32 v107, 0x410, v5
	ds_read_b32 v106, v5 offset:1040
	v_and_b32_e32 v5, 1, v20
	v_add_co_u32_e32 v21, vcc, -1, v5
	v_addc_co_u32_e64 v22, s[36:37], 0, -1, vcc
	v_cmp_ne_u32_e32 vcc, 0, v5
	v_xor_b32_e32 v5, vcc_hi, v22
	v_and_b32_e32 v22, exec_hi, v5
	v_lshlrev_b32_e32 v5, 30, v20
	v_xor_b32_e32 v21, vcc_lo, v21
	v_cmp_gt_i64_e32 vcc, 0, v[4:5]
	v_not_b32_e32 v5, v5
	v_ashrrev_i32_e32 v5, 31, v5
	v_and_b32_e32 v21, exec_lo, v21
	v_xor_b32_e32 v23, vcc_hi, v5
	v_xor_b32_e32 v5, vcc_lo, v5
	v_and_b32_e32 v21, v21, v5
	v_lshlrev_b32_e32 v5, 29, v20
	v_cmp_gt_i64_e32 vcc, 0, v[4:5]
	v_not_b32_e32 v5, v5
	v_ashrrev_i32_e32 v5, 31, v5
	v_and_b32_e32 v22, v22, v23
	v_xor_b32_e32 v23, vcc_hi, v5
	v_xor_b32_e32 v5, vcc_lo, v5
	v_and_b32_e32 v21, v21, v5
	v_lshlrev_b32_e32 v5, 28, v20
	v_cmp_gt_i64_e32 vcc, 0, v[4:5]
	v_not_b32_e32 v5, v5
	v_ashrrev_i32_e32 v5, 31, v5
	v_and_b32_e32 v22, v22, v23
	;; [unrolled: 8-line block ×5, first 2 shown]
	v_xor_b32_e32 v23, vcc_hi, v5
	v_xor_b32_e32 v5, vcc_lo, v5
	v_and_b32_e32 v22, v22, v23
	v_and_b32_e32 v23, v21, v5
	v_lshlrev_b32_e32 v5, 24, v20
	v_cmp_gt_i64_e32 vcc, 0, v[4:5]
	v_not_b32_e32 v5, v5
	v_ashrrev_i32_e32 v5, 31, v5
	v_xor_b32_e32 v20, vcc_hi, v5
	v_xor_b32_e32 v5, vcc_lo, v5
	v_and_b32_e32 v21, v22, v20
	v_and_b32_e32 v20, v23, v5
	v_mbcnt_lo_u32_b32 v5, v20, 0
	v_mbcnt_hi_u32_b32 v108, v21, v5
	v_cmp_eq_u32_e32 vcc, 0, v108
	v_cmp_ne_u64_e64 s[36:37], 0, v[20:21]
	s_and_b64 s[38:39], s[36:37], vcc
	; wave barrier
	s_and_saveexec_b64 s[36:37], s[38:39]
	s_cbranch_execz .LBB189_428
; %bb.427:                              ;   in Loop: Header=BB189_400 Depth=2
	v_bcnt_u32_b32 v5, v20, 0
	v_bcnt_u32_b32 v5, v21, v5
	s_waitcnt lgkmcnt(0)
	v_add_u32_e32 v5, v106, v5
	ds_write_b32 v107, v5
.LBB189_428:                            ;   in Loop: Header=BB189_400 Depth=2
	s_or_b64 exec, exec, s[36:37]
	s_waitcnt vmcnt(2)
	v_lshrrev_b32_sdwa v5, s69, v94 dst_sel:DWORD dst_unused:UNUSED_PAD src0_sel:DWORD src1_sel:BYTE_0
	v_and_b32_e32 v20, s77, v5
	v_mul_u32_u24_e32 v5, 5, v20
	v_add_lshl_u32 v5, v5, v88, 2
	; wave barrier
	v_add_u32_e32 v110, 0x410, v5
	ds_read_b32 v109, v5 offset:1040
	v_and_b32_e32 v5, 1, v20
	v_add_co_u32_e32 v21, vcc, -1, v5
	v_addc_co_u32_e64 v22, s[36:37], 0, -1, vcc
	v_cmp_ne_u32_e32 vcc, 0, v5
	v_xor_b32_e32 v5, vcc_hi, v22
	v_and_b32_e32 v22, exec_hi, v5
	v_lshlrev_b32_e32 v5, 30, v20
	v_xor_b32_e32 v21, vcc_lo, v21
	v_cmp_gt_i64_e32 vcc, 0, v[4:5]
	v_not_b32_e32 v5, v5
	v_ashrrev_i32_e32 v5, 31, v5
	v_and_b32_e32 v21, exec_lo, v21
	v_xor_b32_e32 v23, vcc_hi, v5
	v_xor_b32_e32 v5, vcc_lo, v5
	v_and_b32_e32 v21, v21, v5
	v_lshlrev_b32_e32 v5, 29, v20
	v_cmp_gt_i64_e32 vcc, 0, v[4:5]
	v_not_b32_e32 v5, v5
	v_ashrrev_i32_e32 v5, 31, v5
	v_and_b32_e32 v22, v22, v23
	v_xor_b32_e32 v23, vcc_hi, v5
	v_xor_b32_e32 v5, vcc_lo, v5
	v_and_b32_e32 v21, v21, v5
	v_lshlrev_b32_e32 v5, 28, v20
	v_cmp_gt_i64_e32 vcc, 0, v[4:5]
	v_not_b32_e32 v5, v5
	v_ashrrev_i32_e32 v5, 31, v5
	v_and_b32_e32 v22, v22, v23
	;; [unrolled: 8-line block ×5, first 2 shown]
	v_xor_b32_e32 v23, vcc_hi, v5
	v_xor_b32_e32 v5, vcc_lo, v5
	v_and_b32_e32 v22, v22, v23
	v_and_b32_e32 v23, v21, v5
	v_lshlrev_b32_e32 v5, 24, v20
	v_cmp_gt_i64_e32 vcc, 0, v[4:5]
	v_not_b32_e32 v5, v5
	v_ashrrev_i32_e32 v5, 31, v5
	v_xor_b32_e32 v20, vcc_hi, v5
	v_xor_b32_e32 v5, vcc_lo, v5
	v_and_b32_e32 v21, v22, v20
	v_and_b32_e32 v20, v23, v5
	v_mbcnt_lo_u32_b32 v5, v20, 0
	v_mbcnt_hi_u32_b32 v111, v21, v5
	v_cmp_eq_u32_e32 vcc, 0, v111
	v_cmp_ne_u64_e64 s[36:37], 0, v[20:21]
	s_and_b64 s[38:39], s[36:37], vcc
	; wave barrier
	s_and_saveexec_b64 s[36:37], s[38:39]
	s_cbranch_execz .LBB189_430
; %bb.429:                              ;   in Loop: Header=BB189_400 Depth=2
	v_bcnt_u32_b32 v5, v20, 0
	v_bcnt_u32_b32 v5, v21, v5
	s_waitcnt lgkmcnt(0)
	v_add_u32_e32 v5, v109, v5
	ds_write_b32 v110, v5
.LBB189_430:                            ;   in Loop: Header=BB189_400 Depth=2
	s_or_b64 exec, exec, s[36:37]
	s_waitcnt vmcnt(1)
	v_lshrrev_b32_sdwa v5, s69, v95 dst_sel:DWORD dst_unused:UNUSED_PAD src0_sel:DWORD src1_sel:BYTE_0
	v_and_b32_e32 v20, s77, v5
	v_mul_u32_u24_e32 v5, 5, v20
	v_add_lshl_u32 v5, v5, v88, 2
	; wave barrier
	v_add_u32_e32 v113, 0x410, v5
	ds_read_b32 v112, v5 offset:1040
	v_and_b32_e32 v5, 1, v20
	v_add_co_u32_e32 v21, vcc, -1, v5
	v_addc_co_u32_e64 v22, s[36:37], 0, -1, vcc
	v_cmp_ne_u32_e32 vcc, 0, v5
	v_xor_b32_e32 v5, vcc_hi, v22
	v_and_b32_e32 v22, exec_hi, v5
	v_lshlrev_b32_e32 v5, 30, v20
	v_xor_b32_e32 v21, vcc_lo, v21
	v_cmp_gt_i64_e32 vcc, 0, v[4:5]
	v_not_b32_e32 v5, v5
	v_ashrrev_i32_e32 v5, 31, v5
	v_and_b32_e32 v21, exec_lo, v21
	v_xor_b32_e32 v23, vcc_hi, v5
	v_xor_b32_e32 v5, vcc_lo, v5
	v_and_b32_e32 v21, v21, v5
	v_lshlrev_b32_e32 v5, 29, v20
	v_cmp_gt_i64_e32 vcc, 0, v[4:5]
	v_not_b32_e32 v5, v5
	v_ashrrev_i32_e32 v5, 31, v5
	v_and_b32_e32 v22, v22, v23
	v_xor_b32_e32 v23, vcc_hi, v5
	v_xor_b32_e32 v5, vcc_lo, v5
	v_and_b32_e32 v21, v21, v5
	v_lshlrev_b32_e32 v5, 28, v20
	v_cmp_gt_i64_e32 vcc, 0, v[4:5]
	v_not_b32_e32 v5, v5
	v_ashrrev_i32_e32 v5, 31, v5
	v_and_b32_e32 v22, v22, v23
	;; [unrolled: 8-line block ×5, first 2 shown]
	v_xor_b32_e32 v23, vcc_hi, v5
	v_xor_b32_e32 v5, vcc_lo, v5
	v_and_b32_e32 v22, v22, v23
	v_and_b32_e32 v23, v21, v5
	v_lshlrev_b32_e32 v5, 24, v20
	v_cmp_gt_i64_e32 vcc, 0, v[4:5]
	v_not_b32_e32 v5, v5
	v_ashrrev_i32_e32 v5, 31, v5
	v_xor_b32_e32 v20, vcc_hi, v5
	v_xor_b32_e32 v5, vcc_lo, v5
	v_and_b32_e32 v21, v22, v20
	v_and_b32_e32 v20, v23, v5
	v_mbcnt_lo_u32_b32 v5, v20, 0
	v_mbcnt_hi_u32_b32 v114, v21, v5
	v_cmp_eq_u32_e32 vcc, 0, v114
	v_cmp_ne_u64_e64 s[36:37], 0, v[20:21]
	s_and_b64 s[38:39], s[36:37], vcc
	; wave barrier
	s_and_saveexec_b64 s[36:37], s[38:39]
	s_cbranch_execz .LBB189_432
; %bb.431:                              ;   in Loop: Header=BB189_400 Depth=2
	v_bcnt_u32_b32 v5, v20, 0
	v_bcnt_u32_b32 v5, v21, v5
	s_waitcnt lgkmcnt(0)
	v_add_u32_e32 v5, v112, v5
	ds_write_b32 v113, v5
.LBB189_432:                            ;   in Loop: Header=BB189_400 Depth=2
	s_or_b64 exec, exec, s[36:37]
	s_waitcnt vmcnt(0)
	v_lshrrev_b32_sdwa v5, s69, v96 dst_sel:DWORD dst_unused:UNUSED_PAD src0_sel:DWORD src1_sel:BYTE_0
	v_and_b32_e32 v20, s77, v5
	v_mul_u32_u24_e32 v5, 5, v20
	v_add_lshl_u32 v5, v5, v88, 2
	; wave barrier
	v_add_u32_e32 v116, 0x410, v5
	ds_read_b32 v115, v5 offset:1040
	v_and_b32_e32 v5, 1, v20
	v_add_co_u32_e32 v21, vcc, -1, v5
	v_addc_co_u32_e64 v22, s[36:37], 0, -1, vcc
	v_cmp_ne_u32_e32 vcc, 0, v5
	v_xor_b32_e32 v5, vcc_hi, v22
	v_and_b32_e32 v22, exec_hi, v5
	v_lshlrev_b32_e32 v5, 30, v20
	v_xor_b32_e32 v21, vcc_lo, v21
	v_cmp_gt_i64_e32 vcc, 0, v[4:5]
	v_not_b32_e32 v5, v5
	v_ashrrev_i32_e32 v5, 31, v5
	v_and_b32_e32 v21, exec_lo, v21
	v_xor_b32_e32 v23, vcc_hi, v5
	v_xor_b32_e32 v5, vcc_lo, v5
	v_and_b32_e32 v21, v21, v5
	v_lshlrev_b32_e32 v5, 29, v20
	v_cmp_gt_i64_e32 vcc, 0, v[4:5]
	v_not_b32_e32 v5, v5
	v_ashrrev_i32_e32 v5, 31, v5
	v_and_b32_e32 v22, v22, v23
	v_xor_b32_e32 v23, vcc_hi, v5
	v_xor_b32_e32 v5, vcc_lo, v5
	v_and_b32_e32 v21, v21, v5
	v_lshlrev_b32_e32 v5, 28, v20
	v_cmp_gt_i64_e32 vcc, 0, v[4:5]
	v_not_b32_e32 v5, v5
	v_ashrrev_i32_e32 v5, 31, v5
	v_and_b32_e32 v22, v22, v23
	;; [unrolled: 8-line block ×5, first 2 shown]
	v_xor_b32_e32 v23, vcc_hi, v5
	v_xor_b32_e32 v5, vcc_lo, v5
	v_and_b32_e32 v22, v22, v23
	v_and_b32_e32 v23, v21, v5
	v_lshlrev_b32_e32 v5, 24, v20
	v_cmp_gt_i64_e32 vcc, 0, v[4:5]
	v_not_b32_e32 v5, v5
	v_ashrrev_i32_e32 v5, 31, v5
	v_xor_b32_e32 v20, vcc_hi, v5
	v_xor_b32_e32 v5, vcc_lo, v5
	v_and_b32_e32 v21, v22, v20
	v_and_b32_e32 v20, v23, v5
	v_mbcnt_lo_u32_b32 v5, v20, 0
	v_mbcnt_hi_u32_b32 v117, v21, v5
	v_cmp_eq_u32_e32 vcc, 0, v117
	v_cmp_ne_u64_e64 s[36:37], 0, v[20:21]
	s_and_b64 s[38:39], s[36:37], vcc
	; wave barrier
	s_and_saveexec_b64 s[36:37], s[38:39]
	s_cbranch_execz .LBB189_434
; %bb.433:                              ;   in Loop: Header=BB189_400 Depth=2
	v_bcnt_u32_b32 v5, v20, 0
	v_bcnt_u32_b32 v5, v21, v5
	s_waitcnt lgkmcnt(0)
	v_add_u32_e32 v5, v115, v5
	ds_write_b32 v116, v5
.LBB189_434:                            ;   in Loop: Header=BB189_400 Depth=2
	s_or_b64 exec, exec, s[36:37]
	v_lshrrev_b32_sdwa v5, s69, v97 dst_sel:DWORD dst_unused:UNUSED_PAD src0_sel:DWORD src1_sel:BYTE_0
	v_and_b32_e32 v20, s77, v5
	v_mul_u32_u24_e32 v5, 5, v20
	v_add_lshl_u32 v5, v5, v88, 2
	; wave barrier
	v_add_u32_e32 v119, 0x410, v5
	ds_read_b32 v118, v5 offset:1040
	v_and_b32_e32 v5, 1, v20
	v_add_co_u32_e32 v21, vcc, -1, v5
	v_addc_co_u32_e64 v22, s[36:37], 0, -1, vcc
	v_cmp_ne_u32_e32 vcc, 0, v5
	v_xor_b32_e32 v5, vcc_hi, v22
	v_and_b32_e32 v22, exec_hi, v5
	v_lshlrev_b32_e32 v5, 30, v20
	v_xor_b32_e32 v21, vcc_lo, v21
	v_cmp_gt_i64_e32 vcc, 0, v[4:5]
	v_not_b32_e32 v5, v5
	v_ashrrev_i32_e32 v5, 31, v5
	v_and_b32_e32 v21, exec_lo, v21
	v_xor_b32_e32 v23, vcc_hi, v5
	v_xor_b32_e32 v5, vcc_lo, v5
	v_and_b32_e32 v21, v21, v5
	v_lshlrev_b32_e32 v5, 29, v20
	v_cmp_gt_i64_e32 vcc, 0, v[4:5]
	v_not_b32_e32 v5, v5
	v_ashrrev_i32_e32 v5, 31, v5
	v_and_b32_e32 v22, v22, v23
	v_xor_b32_e32 v23, vcc_hi, v5
	v_xor_b32_e32 v5, vcc_lo, v5
	v_and_b32_e32 v21, v21, v5
	v_lshlrev_b32_e32 v5, 28, v20
	v_cmp_gt_i64_e32 vcc, 0, v[4:5]
	v_not_b32_e32 v5, v5
	v_ashrrev_i32_e32 v5, 31, v5
	v_and_b32_e32 v22, v22, v23
	;; [unrolled: 8-line block ×5, first 2 shown]
	v_xor_b32_e32 v23, vcc_hi, v5
	v_xor_b32_e32 v5, vcc_lo, v5
	v_and_b32_e32 v22, v22, v23
	v_and_b32_e32 v23, v21, v5
	v_lshlrev_b32_e32 v5, 24, v20
	v_cmp_gt_i64_e32 vcc, 0, v[4:5]
	v_not_b32_e32 v5, v5
	v_ashrrev_i32_e32 v5, 31, v5
	v_xor_b32_e32 v20, vcc_hi, v5
	v_xor_b32_e32 v5, vcc_lo, v5
	v_and_b32_e32 v21, v22, v20
	v_and_b32_e32 v20, v23, v5
	v_mbcnt_lo_u32_b32 v5, v20, 0
	v_mbcnt_hi_u32_b32 v120, v21, v5
	v_cmp_eq_u32_e32 vcc, 0, v120
	v_cmp_ne_u64_e64 s[36:37], 0, v[20:21]
	s_and_b64 s[38:39], s[36:37], vcc
	; wave barrier
	s_and_saveexec_b64 s[36:37], s[38:39]
	s_cbranch_execz .LBB189_436
; %bb.435:                              ;   in Loop: Header=BB189_400 Depth=2
	v_bcnt_u32_b32 v5, v20, 0
	v_bcnt_u32_b32 v5, v21, v5
	s_waitcnt lgkmcnt(0)
	v_add_u32_e32 v5, v118, v5
	ds_write_b32 v119, v5
.LBB189_436:                            ;   in Loop: Header=BB189_400 Depth=2
	s_or_b64 exec, exec, s[36:37]
	; wave barrier
	s_waitcnt lgkmcnt(0)
	s_barrier
	ds_read_b32 v5, v42 offset:1040
	ds_read2_b32 v[22:23], v44 offset0:1 offset1:2
	ds_read2_b32 v[20:21], v44 offset0:3 offset1:4
	s_waitcnt lgkmcnt(1)
	v_add3_u32 v121, v22, v5, v23
	s_waitcnt lgkmcnt(0)
	v_add3_u32 v21, v121, v20, v21
	s_nop 1
	v_mov_b32_dpp v121, v21 row_shr:1 row_mask:0xf bank_mask:0xf
	v_cndmask_b32_e64 v121, v121, 0, s[16:17]
	v_add_u32_e32 v21, v121, v21
	s_nop 1
	v_mov_b32_dpp v121, v21 row_shr:2 row_mask:0xf bank_mask:0xf
	v_cndmask_b32_e64 v121, 0, v121, s[18:19]
	v_add_u32_e32 v21, v21, v121
	;; [unrolled: 4-line block ×4, first 2 shown]
	s_nop 1
	v_mov_b32_dpp v121, v21 row_bcast:15 row_mask:0xf bank_mask:0xf
	v_cndmask_b32_e64 v121, v121, 0, s[24:25]
	v_add_u32_e32 v21, v21, v121
	s_nop 1
	v_mov_b32_dpp v121, v21 row_bcast:31 row_mask:0xf bank_mask:0xf
	v_cndmask_b32_e64 v121, 0, v121, s[26:27]
	v_add_u32_e32 v21, v21, v121
	s_and_saveexec_b64 s[36:37], s[6:7]
	s_cbranch_execz .LBB189_438
; %bb.437:                              ;   in Loop: Header=BB189_400 Depth=2
	ds_write_b32 v35, v21 offset:1024
.LBB189_438:                            ;   in Loop: Header=BB189_400 Depth=2
	s_or_b64 exec, exec, s[36:37]
	s_waitcnt lgkmcnt(0)
	s_barrier
	s_and_saveexec_b64 s[36:37], s[8:9]
	s_cbranch_execz .LBB189_440
; %bb.439:                              ;   in Loop: Header=BB189_400 Depth=2
	v_add_u32_e32 v121, v42, v45
	ds_read_b32 v122, v121 offset:1024
	s_waitcnt lgkmcnt(0)
	s_nop 0
	v_mov_b32_dpp v123, v122 row_shr:1 row_mask:0xf bank_mask:0xf
	v_cndmask_b32_e64 v123, v123, 0, s[30:31]
	v_add_u32_e32 v122, v123, v122
	s_nop 1
	v_mov_b32_dpp v123, v122 row_shr:2 row_mask:0xf bank_mask:0xf
	v_cndmask_b32_e64 v123, 0, v123, s[34:35]
	v_add_u32_e32 v122, v122, v123
	ds_write_b32 v121, v122 offset:1024
.LBB189_440:                            ;   in Loop: Header=BB189_400 Depth=2
	s_or_b64 exec, exec, s[36:37]
	v_mov_b32_e32 v121, 0
	s_waitcnt lgkmcnt(0)
	s_barrier
	s_and_saveexec_b64 s[36:37], s[10:11]
	s_cbranch_execz .LBB189_442
; %bb.441:                              ;   in Loop: Header=BB189_400 Depth=2
	ds_read_b32 v121, v35 offset:1020
.LBB189_442:                            ;   in Loop: Header=BB189_400 Depth=2
	s_or_b64 exec, exec, s[36:37]
	s_waitcnt lgkmcnt(0)
	v_add_u32_e32 v21, v121, v21
	ds_bpermute_b32 v21, v65, v21
	s_waitcnt lgkmcnt(0)
	v_cndmask_b32_e64 v21, v21, v121, s[28:29]
	v_cndmask_b32_e64 v21, v21, 0, s[12:13]
	v_add_u32_e32 v5, v21, v5
	ds_write_b32 v42, v21 offset:1040
	v_add_u32_e32 v21, v5, v22
	v_add_u32_e32 v22, v21, v23
	ds_write2_b32 v44, v5, v21 offset0:1 offset1:2
	v_add_u32_e32 v5, v22, v20
	ds_write2_b32 v44, v22, v5 offset0:3 offset1:4
	s_waitcnt lgkmcnt(0)
	s_barrier
	ds_read_b32 v20, v101
	ds_read_b32 v21, v104
	;; [unrolled: 1-line block ×8, first 2 shown]
	ds_read_b32 v101, v42 offset:1040
	v_mov_b32_e32 v5, 0x800
	s_and_saveexec_b64 s[36:37], s[14:15]
	s_cbranch_execz .LBB189_444
; %bb.443:                              ;   in Loop: Header=BB189_400 Depth=2
	ds_read_b32 v5, v42 offset:1060
.LBB189_444:                            ;   in Loop: Header=BB189_400 Depth=2
	s_or_b64 exec, exec, s[36:37]
	s_waitcnt lgkmcnt(0)
	s_barrier
	s_and_saveexec_b64 s[36:37], s[4:5]
	s_cbranch_execz .LBB189_446
; %bb.445:                              ;   in Loop: Header=BB189_400 Depth=2
	ds_read_b32 v104, v3
	s_waitcnt lgkmcnt(0)
	v_sub_u32_e32 v101, v104, v101
	ds_write_b32 v3, v101
.LBB189_446:                            ;   in Loop: Header=BB189_400 Depth=2
	s_or_b64 exec, exec, s[36:37]
	v_add_u32_e32 v104, v98, v99
	v_add3_u32 v102, v102, v100, v20
	v_add3_u32 v101, v105, v103, v21
	;; [unrolled: 1-line block ×7, first 2 shown]
	v_cmp_lt_u32_e64 s[48:49], v2, v89
	ds_write_b8 v104, v90 offset:1024
	ds_write_b8 v102, v91 offset:1024
	;; [unrolled: 1-line block ×8, first 2 shown]
	s_waitcnt lgkmcnt(0)
	s_barrier
	s_and_saveexec_b64 s[36:37], s[48:49]
	s_cbranch_execz .LBB189_454
; %bb.447:                              ;   in Loop: Header=BB189_400 Depth=2
	ds_read_u8 v20, v2 offset:1024
	s_waitcnt lgkmcnt(0)
	v_lshrrev_b32_sdwa v21, s69, v20 dst_sel:DWORD dst_unused:UNUSED_PAD src0_sel:DWORD src1_sel:BYTE_0
	v_and_b32_e32 v21, s77, v21
	v_lshlrev_b32_e32 v21, 2, v21
	ds_read_b32 v21, v21
	s_waitcnt lgkmcnt(0)
	v_add_u32_e32 v21, v21, v2
	global_store_byte v21, v20, s[58:59]
	s_or_b64 exec, exec, s[36:37]
	v_cmp_lt_u32_e64 s[46:47], v24, v89
	s_and_saveexec_b64 s[36:37], s[46:47]
	s_cbranch_execnz .LBB189_455
.LBB189_448:                            ;   in Loop: Header=BB189_400 Depth=2
	s_or_b64 exec, exec, s[36:37]
	v_cmp_lt_u32_e64 s[44:45], v25, v89
	s_and_saveexec_b64 s[36:37], s[44:45]
	s_cbranch_execz .LBB189_456
.LBB189_449:                            ;   in Loop: Header=BB189_400 Depth=2
	ds_read_u8 v20, v30 offset:512
	s_waitcnt lgkmcnt(0)
	v_lshrrev_b32_sdwa v21, s69, v20 dst_sel:DWORD dst_unused:UNUSED_PAD src0_sel:DWORD src1_sel:BYTE_0
	v_and_b32_e32 v21, s77, v21
	v_lshlrev_b32_e32 v21, 2, v21
	ds_read_b32 v21, v21
	s_waitcnt lgkmcnt(0)
	v_add_u32_e32 v21, v21, v25
	global_store_byte v21, v20, s[58:59]
	s_or_b64 exec, exec, s[36:37]
	v_cmp_lt_u32_e64 s[42:43], v26, v89
	s_and_saveexec_b64 s[36:37], s[42:43]
	s_cbranch_execnz .LBB189_457
.LBB189_450:                            ;   in Loop: Header=BB189_400 Depth=2
	s_or_b64 exec, exec, s[36:37]
	v_cmp_lt_u32_e64 s[40:41], v30, v89
	s_and_saveexec_b64 s[36:37], s[40:41]
	s_cbranch_execz .LBB189_458
.LBB189_451:                            ;   in Loop: Header=BB189_400 Depth=2
	ds_read_u8 v20, v30 offset:1024
	s_waitcnt lgkmcnt(0)
	v_lshrrev_b32_sdwa v21, s69, v20 dst_sel:DWORD dst_unused:UNUSED_PAD src0_sel:DWORD src1_sel:BYTE_0
	v_and_b32_e32 v21, s77, v21
	v_lshlrev_b32_e32 v21, 2, v21
	ds_read_b32 v21, v21
	s_waitcnt lgkmcnt(0)
	v_add_u32_e32 v21, v21, v30
	global_store_byte v21, v20, s[58:59]
	s_or_b64 exec, exec, s[36:37]
	v_cmp_lt_u32_e64 s[38:39], v31, v89
	s_and_saveexec_b64 s[36:37], s[38:39]
	s_cbranch_execnz .LBB189_459
.LBB189_452:                            ;   in Loop: Header=BB189_400 Depth=2
	s_or_b64 exec, exec, s[36:37]
	v_cmp_lt_u32_e64 s[36:37], v32, v89
	s_and_saveexec_b64 s[52:53], s[36:37]
	s_cbranch_execz .LBB189_460
.LBB189_453:                            ;   in Loop: Header=BB189_400 Depth=2
	ds_read_u8 v20, v30 offset:1536
	s_waitcnt lgkmcnt(0)
	v_lshrrev_b32_sdwa v21, s69, v20 dst_sel:DWORD dst_unused:UNUSED_PAD src0_sel:DWORD src1_sel:BYTE_0
	v_and_b32_e32 v21, s77, v21
	v_lshlrev_b32_e32 v21, 2, v21
	ds_read_b32 v21, v21
	s_waitcnt lgkmcnt(0)
	v_add_u32_e32 v21, v21, v32
	global_store_byte v21, v20, s[58:59]
	s_or_b64 exec, exec, s[52:53]
	v_cmp_lt_u32_e32 vcc, v33, v89
	s_and_saveexec_b64 s[52:53], vcc
	s_cbranch_execnz .LBB189_461
	s_branch .LBB189_462
.LBB189_454:                            ;   in Loop: Header=BB189_400 Depth=2
	s_or_b64 exec, exec, s[36:37]
	v_cmp_lt_u32_e64 s[46:47], v24, v89
	s_and_saveexec_b64 s[36:37], s[46:47]
	s_cbranch_execz .LBB189_448
.LBB189_455:                            ;   in Loop: Header=BB189_400 Depth=2
	ds_read_u8 v20, v30 offset:256
	s_waitcnt lgkmcnt(0)
	v_lshrrev_b32_sdwa v21, s69, v20 dst_sel:DWORD dst_unused:UNUSED_PAD src0_sel:DWORD src1_sel:BYTE_0
	v_and_b32_e32 v21, s77, v21
	v_lshlrev_b32_e32 v21, 2, v21
	ds_read_b32 v21, v21
	s_waitcnt lgkmcnt(0)
	v_add_u32_e32 v21, v21, v24
	global_store_byte v21, v20, s[58:59]
	s_or_b64 exec, exec, s[36:37]
	v_cmp_lt_u32_e64 s[44:45], v25, v89
	s_and_saveexec_b64 s[36:37], s[44:45]
	s_cbranch_execnz .LBB189_449
.LBB189_456:                            ;   in Loop: Header=BB189_400 Depth=2
	s_or_b64 exec, exec, s[36:37]
	v_cmp_lt_u32_e64 s[42:43], v26, v89
	s_and_saveexec_b64 s[36:37], s[42:43]
	s_cbranch_execz .LBB189_450
.LBB189_457:                            ;   in Loop: Header=BB189_400 Depth=2
	ds_read_u8 v20, v30 offset:768
	s_waitcnt lgkmcnt(0)
	v_lshrrev_b32_sdwa v21, s69, v20 dst_sel:DWORD dst_unused:UNUSED_PAD src0_sel:DWORD src1_sel:BYTE_0
	v_and_b32_e32 v21, s77, v21
	v_lshlrev_b32_e32 v21, 2, v21
	ds_read_b32 v21, v21
	s_waitcnt lgkmcnt(0)
	v_add_u32_e32 v21, v21, v26
	global_store_byte v21, v20, s[58:59]
	s_or_b64 exec, exec, s[36:37]
	v_cmp_lt_u32_e64 s[40:41], v30, v89
	s_and_saveexec_b64 s[36:37], s[40:41]
	s_cbranch_execnz .LBB189_451
.LBB189_458:                            ;   in Loop: Header=BB189_400 Depth=2
	s_or_b64 exec, exec, s[36:37]
	v_cmp_lt_u32_e64 s[38:39], v31, v89
	s_and_saveexec_b64 s[36:37], s[38:39]
	s_cbranch_execz .LBB189_452
.LBB189_459:                            ;   in Loop: Header=BB189_400 Depth=2
	ds_read_u8 v20, v30 offset:1280
	s_waitcnt lgkmcnt(0)
	v_lshrrev_b32_sdwa v21, s69, v20 dst_sel:DWORD dst_unused:UNUSED_PAD src0_sel:DWORD src1_sel:BYTE_0
	v_and_b32_e32 v21, s77, v21
	v_lshlrev_b32_e32 v21, 2, v21
	ds_read_b32 v21, v21
	s_waitcnt lgkmcnt(0)
	v_add_u32_e32 v21, v21, v31
	global_store_byte v21, v20, s[58:59]
	s_or_b64 exec, exec, s[36:37]
	v_cmp_lt_u32_e64 s[36:37], v32, v89
	s_and_saveexec_b64 s[52:53], s[36:37]
	s_cbranch_execnz .LBB189_453
.LBB189_460:                            ;   in Loop: Header=BB189_400 Depth=2
	s_or_b64 exec, exec, s[52:53]
	v_cmp_lt_u32_e32 vcc, v33, v89
	s_and_saveexec_b64 s[52:53], vcc
	s_cbranch_execz .LBB189_462
.LBB189_461:                            ;   in Loop: Header=BB189_400 Depth=2
	ds_read_u8 v20, v30 offset:1792
	s_waitcnt lgkmcnt(0)
	v_lshrrev_b32_sdwa v21, s69, v20 dst_sel:DWORD dst_unused:UNUSED_PAD src0_sel:DWORD src1_sel:BYTE_0
	v_and_b32_e32 v21, s77, v21
	v_lshlrev_b32_e32 v21, 2, v21
	ds_read_b32 v21, v21
	s_waitcnt lgkmcnt(0)
	v_add_u32_e32 v21, v21, v33
	global_store_byte v21, v20, s[58:59]
.LBB189_462:                            ;   in Loop: Header=BB189_400 Depth=2
	s_or_b64 exec, exec, s[52:53]
	s_lshl_b64 s[52:53], s[72:73], 3
	v_mov_b32_e32 v21, s53
	v_add_co_u32_e64 v20, s[52:53], s52, v77
	v_addc_co_u32_e64 v21, s[52:53], v78, v21, s[52:53]
	v_cmp_lt_u32_e64 s[52:53], v72, v89
	s_and_saveexec_b64 s[62:63], s[52:53]
	s_xor_b64 s[52:53], exec, s[62:63]
	s_cbranch_execz .LBB189_478
; %bb.463:                              ;   in Loop: Header=BB189_400 Depth=2
	global_load_dwordx2 v[18:19], v[20:21], off
	s_or_b64 exec, exec, s[52:53]
	v_cmp_lt_u32_e64 s[52:53], v79, v89
	s_and_saveexec_b64 s[62:63], s[52:53]
	s_cbranch_execnz .LBB189_479
.LBB189_464:                            ;   in Loop: Header=BB189_400 Depth=2
	s_or_b64 exec, exec, s[62:63]
	v_cmp_lt_u32_e64 s[52:53], v80, v89
	s_and_saveexec_b64 s[62:63], s[52:53]
	s_cbranch_execz .LBB189_480
.LBB189_465:                            ;   in Loop: Header=BB189_400 Depth=2
	global_load_dwordx2 v[14:15], v[20:21], off offset:1024
	s_or_b64 exec, exec, s[62:63]
	v_cmp_lt_u32_e64 s[52:53], v81, v89
	s_and_saveexec_b64 s[62:63], s[52:53]
	s_cbranch_execnz .LBB189_481
.LBB189_466:                            ;   in Loop: Header=BB189_400 Depth=2
	s_or_b64 exec, exec, s[62:63]
	v_cmp_lt_u32_e64 s[52:53], v82, v89
	s_and_saveexec_b64 s[62:63], s[52:53]
	s_cbranch_execz .LBB189_482
.LBB189_467:                            ;   in Loop: Header=BB189_400 Depth=2
	global_load_dwordx2 v[10:11], v[20:21], off offset:2048
	s_or_b64 exec, exec, s[62:63]
	v_cmp_lt_u32_e64 s[52:53], v83, v89
	s_and_saveexec_b64 s[62:63], s[52:53]
	s_cbranch_execnz .LBB189_483
.LBB189_468:                            ;   in Loop: Header=BB189_400 Depth=2
	s_or_b64 exec, exec, s[62:63]
	v_cmp_lt_u32_e64 s[52:53], v84, v89
	s_and_saveexec_b64 s[62:63], s[52:53]
	s_cbranch_execz .LBB189_484
.LBB189_469:                            ;   in Loop: Header=BB189_400 Depth=2
	global_load_dwordx2 v[6:7], v[20:21], off offset:3072
	s_or_b64 exec, exec, s[62:63]
	v_cmp_lt_u32_e64 s[52:53], v85, v89
	s_and_saveexec_b64 s[62:63], s[52:53]
	s_cbranch_execnz .LBB189_485
.LBB189_470:                            ;   in Loop: Header=BB189_400 Depth=2
	s_or_b64 exec, exec, s[62:63]
	s_and_saveexec_b64 s[52:53], s[48:49]
	s_cbranch_execz .LBB189_486
.LBB189_471:                            ;   in Loop: Header=BB189_400 Depth=2
	ds_read_u8 v20, v2 offset:1024
	s_waitcnt lgkmcnt(0)
	v_lshrrev_b32_e32 v20, s69, v20
	v_and_b32_e32 v75, s77, v20
	s_or_b64 exec, exec, s[52:53]
	s_and_saveexec_b64 s[52:53], s[46:47]
	s_cbranch_execnz .LBB189_487
.LBB189_472:                            ;   in Loop: Header=BB189_400 Depth=2
	s_or_b64 exec, exec, s[52:53]
	s_and_saveexec_b64 s[52:53], s[44:45]
	s_cbranch_execz .LBB189_488
.LBB189_473:                            ;   in Loop: Header=BB189_400 Depth=2
	ds_read_u8 v20, v30 offset:512
	s_waitcnt lgkmcnt(0)
	v_lshrrev_b32_e32 v20, s69, v20
	v_and_b32_e32 v71, s77, v20
	s_or_b64 exec, exec, s[52:53]
	s_and_saveexec_b64 s[52:53], s[42:43]
	s_cbranch_execnz .LBB189_489
.LBB189_474:                            ;   in Loop: Header=BB189_400 Depth=2
	s_or_b64 exec, exec, s[52:53]
	s_and_saveexec_b64 s[52:53], s[40:41]
	s_cbranch_execz .LBB189_490
.LBB189_475:                            ;   in Loop: Header=BB189_400 Depth=2
	ds_read_u8 v20, v30 offset:1024
	s_waitcnt lgkmcnt(0)
	v_lshrrev_b32_e32 v20, s69, v20
	v_and_b32_e32 v69, s77, v20
	s_or_b64 exec, exec, s[52:53]
	s_and_saveexec_b64 s[52:53], s[38:39]
	s_cbranch_execnz .LBB189_491
.LBB189_476:                            ;   in Loop: Header=BB189_400 Depth=2
	s_or_b64 exec, exec, s[52:53]
	s_and_saveexec_b64 s[52:53], s[36:37]
	s_cbranch_execz .LBB189_492
.LBB189_477:                            ;   in Loop: Header=BB189_400 Depth=2
	ds_read_u8 v20, v30 offset:1536
	s_waitcnt lgkmcnt(0)
	v_lshrrev_b32_e32 v20, s69, v20
	v_and_b32_e32 v67, s77, v20
	s_or_b64 exec, exec, s[52:53]
	s_and_saveexec_b64 s[52:53], vcc
	s_cbranch_execnz .LBB189_493
	s_branch .LBB189_494
.LBB189_478:                            ;   in Loop: Header=BB189_400 Depth=2
	s_or_b64 exec, exec, s[52:53]
	v_cmp_lt_u32_e64 s[52:53], v79, v89
	s_and_saveexec_b64 s[62:63], s[52:53]
	s_cbranch_execz .LBB189_464
.LBB189_479:                            ;   in Loop: Header=BB189_400 Depth=2
	global_load_dwordx2 v[16:17], v[20:21], off offset:512
	s_or_b64 exec, exec, s[62:63]
	v_cmp_lt_u32_e64 s[52:53], v80, v89
	s_and_saveexec_b64 s[62:63], s[52:53]
	s_cbranch_execnz .LBB189_465
.LBB189_480:                            ;   in Loop: Header=BB189_400 Depth=2
	s_or_b64 exec, exec, s[62:63]
	v_cmp_lt_u32_e64 s[52:53], v81, v89
	s_and_saveexec_b64 s[62:63], s[52:53]
	s_cbranch_execz .LBB189_466
.LBB189_481:                            ;   in Loop: Header=BB189_400 Depth=2
	global_load_dwordx2 v[12:13], v[20:21], off offset:1536
	s_or_b64 exec, exec, s[62:63]
	v_cmp_lt_u32_e64 s[52:53], v82, v89
	s_and_saveexec_b64 s[62:63], s[52:53]
	s_cbranch_execnz .LBB189_467
.LBB189_482:                            ;   in Loop: Header=BB189_400 Depth=2
	s_or_b64 exec, exec, s[62:63]
	v_cmp_lt_u32_e64 s[52:53], v83, v89
	s_and_saveexec_b64 s[62:63], s[52:53]
	s_cbranch_execz .LBB189_468
.LBB189_483:                            ;   in Loop: Header=BB189_400 Depth=2
	global_load_dwordx2 v[8:9], v[20:21], off offset:2560
	s_or_b64 exec, exec, s[62:63]
	v_cmp_lt_u32_e64 s[52:53], v84, v89
	s_and_saveexec_b64 s[62:63], s[52:53]
	s_cbranch_execnz .LBB189_469
.LBB189_484:                            ;   in Loop: Header=BB189_400 Depth=2
	s_or_b64 exec, exec, s[62:63]
	v_cmp_lt_u32_e64 s[52:53], v85, v89
	s_and_saveexec_b64 s[62:63], s[52:53]
	s_cbranch_execz .LBB189_470
.LBB189_485:                            ;   in Loop: Header=BB189_400 Depth=2
	global_load_dwordx2 v[0:1], v[20:21], off offset:3584
	s_or_b64 exec, exec, s[62:63]
	s_and_saveexec_b64 s[52:53], s[48:49]
	s_cbranch_execnz .LBB189_471
.LBB189_486:                            ;   in Loop: Header=BB189_400 Depth=2
	s_or_b64 exec, exec, s[52:53]
	s_and_saveexec_b64 s[52:53], s[46:47]
	s_cbranch_execz .LBB189_472
.LBB189_487:                            ;   in Loop: Header=BB189_400 Depth=2
	ds_read_u8 v20, v30 offset:256
	s_waitcnt lgkmcnt(0)
	v_lshrrev_b32_e32 v20, s69, v20
	v_and_b32_e32 v73, s77, v20
	s_or_b64 exec, exec, s[52:53]
	s_and_saveexec_b64 s[52:53], s[44:45]
	s_cbranch_execnz .LBB189_473
.LBB189_488:                            ;   in Loop: Header=BB189_400 Depth=2
	s_or_b64 exec, exec, s[52:53]
	s_and_saveexec_b64 s[52:53], s[42:43]
	s_cbranch_execz .LBB189_474
.LBB189_489:                            ;   in Loop: Header=BB189_400 Depth=2
	ds_read_u8 v20, v30 offset:768
	s_waitcnt lgkmcnt(0)
	v_lshrrev_b32_e32 v20, s69, v20
	v_and_b32_e32 v70, s77, v20
	s_or_b64 exec, exec, s[52:53]
	s_and_saveexec_b64 s[52:53], s[40:41]
	s_cbranch_execnz .LBB189_475
.LBB189_490:                            ;   in Loop: Header=BB189_400 Depth=2
	s_or_b64 exec, exec, s[52:53]
	s_and_saveexec_b64 s[52:53], s[38:39]
	s_cbranch_execz .LBB189_476
.LBB189_491:                            ;   in Loop: Header=BB189_400 Depth=2
	ds_read_u8 v20, v30 offset:1280
	s_waitcnt lgkmcnt(0)
	v_lshrrev_b32_e32 v20, s69, v20
	v_and_b32_e32 v68, s77, v20
	s_or_b64 exec, exec, s[52:53]
	s_and_saveexec_b64 s[52:53], s[36:37]
	s_cbranch_execnz .LBB189_477
.LBB189_492:                            ;   in Loop: Header=BB189_400 Depth=2
	s_or_b64 exec, exec, s[52:53]
	s_and_saveexec_b64 s[52:53], vcc
	s_cbranch_execz .LBB189_494
.LBB189_493:                            ;   in Loop: Header=BB189_400 Depth=2
	ds_read_u8 v20, v30 offset:1792
	s_waitcnt lgkmcnt(0)
	v_lshrrev_b32_e32 v20, s69, v20
	v_and_b32_e32 v66, s77, v20
.LBB189_494:                            ;   in Loop: Header=BB189_400 Depth=2
	s_or_b64 exec, exec, s[52:53]
	v_lshlrev_b32_e32 v20, 3, v104
	s_barrier
	s_waitcnt vmcnt(0)
	ds_write_b64 v20, v[18:19] offset:1024
	v_lshlrev_b32_e32 v20, 3, v102
	ds_write_b64 v20, v[16:17] offset:1024
	v_lshlrev_b32_e32 v20, 3, v101
	;; [unrolled: 2-line block ×7, first 2 shown]
	ds_write_b64 v20, v[0:1] offset:1024
	s_waitcnt lgkmcnt(0)
	s_barrier
	s_and_saveexec_b64 s[52:53], s[48:49]
	s_cbranch_execz .LBB189_502
; %bb.495:                              ;   in Loop: Header=BB189_400 Depth=2
	v_lshlrev_b32_e32 v20, 2, v75
	ds_read_b32 v22, v20
	v_add_u32_e32 v20, v2, v50
	ds_read_b64 v[20:21], v20 offset:1024
	v_mov_b32_e32 v23, v4
	v_mov_b32_e32 v89, s65
	s_waitcnt lgkmcnt(1)
	v_add_u32_e32 v22, v22, v2
	v_lshlrev_b64 v[22:23], 3, v[22:23]
	v_add_co_u32_e64 v22, s[48:49], s64, v22
	v_addc_co_u32_e64 v23, s[48:49], v89, v23, s[48:49]
	s_waitcnt lgkmcnt(0)
	global_store_dwordx2 v[22:23], v[20:21], off
	s_or_b64 exec, exec, s[52:53]
	s_and_saveexec_b64 s[48:49], s[46:47]
	s_cbranch_execnz .LBB189_503
.LBB189_496:                            ;   in Loop: Header=BB189_400 Depth=2
	s_or_b64 exec, exec, s[48:49]
	s_and_saveexec_b64 s[46:47], s[44:45]
	s_cbranch_execz .LBB189_504
.LBB189_497:                            ;   in Loop: Header=BB189_400 Depth=2
	v_lshlrev_b32_e32 v20, 2, v71
	ds_read_b32 v22, v20
	v_add_u32_e32 v20, v30, v50
	ds_read_b64 v[20:21], v20 offset:4096
	v_mov_b32_e32 v23, v4
	v_mov_b32_e32 v89, s65
	s_waitcnt lgkmcnt(1)
	v_add_u32_e32 v22, v22, v25
	v_lshlrev_b64 v[22:23], 3, v[22:23]
	v_add_co_u32_e64 v22, s[44:45], s64, v22
	v_addc_co_u32_e64 v23, s[44:45], v89, v23, s[44:45]
	s_waitcnt lgkmcnt(0)
	global_store_dwordx2 v[22:23], v[20:21], off
	s_or_b64 exec, exec, s[46:47]
	s_and_saveexec_b64 s[44:45], s[42:43]
	s_cbranch_execnz .LBB189_505
.LBB189_498:                            ;   in Loop: Header=BB189_400 Depth=2
	s_or_b64 exec, exec, s[44:45]
	s_and_saveexec_b64 s[42:43], s[40:41]
	s_cbranch_execz .LBB189_506
.LBB189_499:                            ;   in Loop: Header=BB189_400 Depth=2
	v_lshlrev_b32_e32 v20, 2, v69
	ds_read_b32 v22, v20
	v_add_u32_e32 v20, v30, v50
	ds_read_b64 v[20:21], v20 offset:8192
	v_mov_b32_e32 v23, v4
	v_mov_b32_e32 v89, s65
	s_waitcnt lgkmcnt(1)
	v_add_u32_e32 v22, v22, v30
	v_lshlrev_b64 v[22:23], 3, v[22:23]
	v_add_co_u32_e64 v22, s[40:41], s64, v22
	v_addc_co_u32_e64 v23, s[40:41], v89, v23, s[40:41]
	s_waitcnt lgkmcnt(0)
	global_store_dwordx2 v[22:23], v[20:21], off
	s_or_b64 exec, exec, s[42:43]
	s_and_saveexec_b64 s[40:41], s[38:39]
	s_cbranch_execnz .LBB189_507
.LBB189_500:                            ;   in Loop: Header=BB189_400 Depth=2
	s_or_b64 exec, exec, s[40:41]
	s_and_saveexec_b64 s[38:39], s[36:37]
	s_cbranch_execz .LBB189_508
.LBB189_501:                            ;   in Loop: Header=BB189_400 Depth=2
	v_lshlrev_b32_e32 v20, 2, v67
	ds_read_b32 v22, v20
	v_add_u32_e32 v20, v30, v50
	ds_read_b64 v[20:21], v20 offset:12288
	v_mov_b32_e32 v23, v4
	v_mov_b32_e32 v89, s65
	s_waitcnt lgkmcnt(1)
	v_add_u32_e32 v22, v22, v32
	v_lshlrev_b64 v[22:23], 3, v[22:23]
	v_add_co_u32_e64 v22, s[36:37], s64, v22
	v_addc_co_u32_e64 v23, s[36:37], v89, v23, s[36:37]
	s_waitcnt lgkmcnt(0)
	global_store_dwordx2 v[22:23], v[20:21], off
	s_or_b64 exec, exec, s[38:39]
	s_and_saveexec_b64 s[36:37], vcc
	s_cbranch_execnz .LBB189_509
	s_branch .LBB189_510
.LBB189_502:                            ;   in Loop: Header=BB189_400 Depth=2
	s_or_b64 exec, exec, s[52:53]
	s_and_saveexec_b64 s[48:49], s[46:47]
	s_cbranch_execz .LBB189_496
.LBB189_503:                            ;   in Loop: Header=BB189_400 Depth=2
	v_lshlrev_b32_e32 v20, 2, v73
	ds_read_b32 v22, v20
	v_add_u32_e32 v20, v30, v50
	ds_read_b64 v[20:21], v20 offset:2048
	v_mov_b32_e32 v23, v4
	v_mov_b32_e32 v89, s65
	s_waitcnt lgkmcnt(1)
	v_add_u32_e32 v22, v22, v24
	v_lshlrev_b64 v[22:23], 3, v[22:23]
	v_add_co_u32_e64 v22, s[46:47], s64, v22
	v_addc_co_u32_e64 v23, s[46:47], v89, v23, s[46:47]
	s_waitcnt lgkmcnt(0)
	global_store_dwordx2 v[22:23], v[20:21], off
	s_or_b64 exec, exec, s[48:49]
	s_and_saveexec_b64 s[46:47], s[44:45]
	s_cbranch_execnz .LBB189_497
.LBB189_504:                            ;   in Loop: Header=BB189_400 Depth=2
	s_or_b64 exec, exec, s[46:47]
	s_and_saveexec_b64 s[44:45], s[42:43]
	s_cbranch_execz .LBB189_498
.LBB189_505:                            ;   in Loop: Header=BB189_400 Depth=2
	v_lshlrev_b32_e32 v20, 2, v70
	ds_read_b32 v22, v20
	v_add_u32_e32 v20, v30, v50
	ds_read_b64 v[20:21], v20 offset:6144
	v_mov_b32_e32 v23, v4
	v_mov_b32_e32 v89, s65
	s_waitcnt lgkmcnt(1)
	v_add_u32_e32 v22, v22, v26
	v_lshlrev_b64 v[22:23], 3, v[22:23]
	v_add_co_u32_e64 v22, s[42:43], s64, v22
	v_addc_co_u32_e64 v23, s[42:43], v89, v23, s[42:43]
	s_waitcnt lgkmcnt(0)
	global_store_dwordx2 v[22:23], v[20:21], off
	s_or_b64 exec, exec, s[44:45]
	s_and_saveexec_b64 s[42:43], s[40:41]
	s_cbranch_execnz .LBB189_499
.LBB189_506:                            ;   in Loop: Header=BB189_400 Depth=2
	s_or_b64 exec, exec, s[42:43]
	s_and_saveexec_b64 s[40:41], s[38:39]
	s_cbranch_execz .LBB189_500
.LBB189_507:                            ;   in Loop: Header=BB189_400 Depth=2
	v_lshlrev_b32_e32 v20, 2, v68
	ds_read_b32 v22, v20
	v_add_u32_e32 v20, v30, v50
	ds_read_b64 v[20:21], v20 offset:10240
	v_mov_b32_e32 v23, v4
	v_mov_b32_e32 v89, s65
	s_waitcnt lgkmcnt(1)
	v_add_u32_e32 v22, v22, v31
	v_lshlrev_b64 v[22:23], 3, v[22:23]
	v_add_co_u32_e64 v22, s[38:39], s64, v22
	v_addc_co_u32_e64 v23, s[38:39], v89, v23, s[38:39]
	s_waitcnt lgkmcnt(0)
	global_store_dwordx2 v[22:23], v[20:21], off
	s_or_b64 exec, exec, s[40:41]
	s_and_saveexec_b64 s[38:39], s[36:37]
	s_cbranch_execnz .LBB189_501
.LBB189_508:                            ;   in Loop: Header=BB189_400 Depth=2
	s_or_b64 exec, exec, s[38:39]
	s_and_saveexec_b64 s[36:37], vcc
	s_cbranch_execz .LBB189_510
.LBB189_509:                            ;   in Loop: Header=BB189_400 Depth=2
	v_lshlrev_b32_e32 v20, 2, v66
	ds_read_b32 v22, v20
	v_add_u32_e32 v20, v30, v50
	ds_read_b64 v[20:21], v20 offset:14336
	v_mov_b32_e32 v23, v4
	v_mov_b32_e32 v89, s65
	s_waitcnt lgkmcnt(1)
	v_add_u32_e32 v22, v22, v33
	v_lshlrev_b64 v[22:23], 3, v[22:23]
	v_add_co_u32_e32 v22, vcc, s64, v22
	v_addc_co_u32_e32 v23, vcc, v89, v23, vcc
	s_waitcnt lgkmcnt(0)
	global_store_dwordx2 v[22:23], v[20:21], off
.LBB189_510:                            ;   in Loop: Header=BB189_400 Depth=2
	s_or_b64 exec, exec, s[36:37]
	s_barrier
	s_and_saveexec_b64 s[36:37], s[4:5]
	s_cbranch_execz .LBB189_399
; %bb.511:                              ;   in Loop: Header=BB189_400 Depth=2
	ds_read_b32 v20, v3
	s_waitcnt lgkmcnt(0)
	v_add_u32_e32 v5, v20, v5
	ds_write_b32 v3, v5
	s_branch .LBB189_399
.LBB189_512:                            ;   in Loop: Header=BB189_12 Depth=1
	s_waitcnt lgkmcnt(0)
	s_barrier
	s_mov_b64 s[16:17], 0
.LBB189_513:                            ;   in Loop: Header=BB189_12 Depth=1
	s_and_b64 vcc, exec, s[16:17]
	s_cbranch_vccz .LBB189_11
; %bb.514:                              ;   in Loop: Header=BB189_12 Depth=1
	s_mov_b32 s20, s71
	s_mov_b32 s22, s51
	s_barrier
	s_waitcnt lgkmcnt(0)
                                        ; implicit-def: $vgpr5
                                        ; implicit-def: $vgpr6
                                        ; implicit-def: $vgpr7
                                        ; implicit-def: $vgpr8
                                        ; implicit-def: $vgpr9
                                        ; implicit-def: $vgpr10
                                        ; implicit-def: $vgpr11
                                        ; implicit-def: $vgpr12
	s_branch .LBB189_516
.LBB189_515:                            ;   in Loop: Header=BB189_516 Depth=2
	s_or_b64 exec, exec, s[16:17]
	s_addk_i32 s20, 0xf800
	s_cmp_ge_u32 s21, s76
	s_mov_b32 s22, s21
	s_cbranch_scc1 .LBB189_554
.LBB189_516:                            ;   Parent Loop BB189_12 Depth=1
                                        ; =>  This Inner Loop Header: Depth=2
	s_add_i32 s21, s22, 0x800
	s_cmp_gt_u32 s21, s76
	s_cbranch_scc1 .LBB189_519
; %bb.517:                              ;   in Loop: Header=BB189_516 Depth=2
	v_add_co_u32_e32 v0, vcc, s22, v57
	v_addc_co_u32_e32 v1, vcc, 0, v58, vcc
	global_load_ubyte v19, v[0:1], off offset:1536
	global_load_ubyte v18, v[0:1], off offset:1280
	;; [unrolled: 1-line block ×6, first 2 shown]
	global_load_ubyte v13, v[0:1], off
	v_add_co_u32_e32 v0, vcc, 0x700, v0
	v_addc_co_u32_e32 v1, vcc, 0, v1, vcc
	s_mov_b64 s[16:17], -1
	s_movk_i32 s25, 0x800
	s_cbranch_execz .LBB189_520
; %bb.518:                              ;   in Loop: Header=BB189_516 Depth=2
                                        ; implicit-def: $vgpr5
                                        ; implicit-def: $vgpr6
                                        ; implicit-def: $vgpr7
                                        ; implicit-def: $vgpr8
                                        ; implicit-def: $vgpr9
                                        ; implicit-def: $vgpr10
                                        ; implicit-def: $vgpr11
                                        ; implicit-def: $vgpr12
	v_mov_b32_e32 v20, s20
	s_and_saveexec_b64 s[18:19], s[16:17]
	s_cbranch_execnz .LBB189_531
	s_branch .LBB189_532
.LBB189_519:                            ;   in Loop: Header=BB189_516 Depth=2
	s_mov_b64 s[16:17], 0
                                        ; implicit-def: $sgpr25
                                        ; implicit-def: $vgpr13
                                        ; implicit-def: $vgpr14
                                        ; implicit-def: $vgpr15
                                        ; implicit-def: $vgpr16
                                        ; implicit-def: $vgpr17
                                        ; implicit-def: $vgpr18
                                        ; implicit-def: $vgpr19
                                        ; implicit-def: $vgpr0_vgpr1
.LBB189_520:                            ;   in Loop: Header=BB189_516 Depth=2
	s_add_u32 s23, s56, s22
	s_addc_u32 s24, s57, 0
	v_cmp_gt_u32_e32 vcc, s20, v2
	s_and_saveexec_b64 s[18:19], vcc
	s_cbranch_execz .LBB189_548
; %bb.521:                              ;   in Loop: Header=BB189_516 Depth=2
	v_mov_b32_e32 v1, s24
	v_add_co_u32_e32 v0, vcc, s23, v2
	v_addc_co_u32_e32 v1, vcc, 0, v1, vcc
	global_load_ubyte v5, v[0:1], off
	s_or_b64 exec, exec, s[18:19]
	v_cmp_gt_u32_e32 vcc, s20, v24
	s_and_saveexec_b64 s[18:19], vcc
	s_cbranch_execnz .LBB189_549
.LBB189_522:                            ;   in Loop: Header=BB189_516 Depth=2
	s_or_b64 exec, exec, s[18:19]
	v_cmp_gt_u32_e32 vcc, s20, v25
	s_and_saveexec_b64 s[18:19], vcc
	s_cbranch_execz .LBB189_550
.LBB189_523:                            ;   in Loop: Header=BB189_516 Depth=2
	v_mov_b32_e32 v1, s24
	v_add_co_u32_e32 v0, vcc, s23, v2
	v_addc_co_u32_e32 v1, vcc, 0, v1, vcc
	global_load_ubyte v7, v[0:1], off offset:512
	s_or_b64 exec, exec, s[18:19]
	v_cmp_gt_u32_e32 vcc, s20, v26
	s_and_saveexec_b64 s[18:19], vcc
	s_cbranch_execnz .LBB189_551
.LBB189_524:                            ;   in Loop: Header=BB189_516 Depth=2
	s_or_b64 exec, exec, s[18:19]
	v_cmp_gt_u32_e32 vcc, s20, v30
	s_and_saveexec_b64 s[18:19], vcc
	s_cbranch_execz .LBB189_552
.LBB189_525:                            ;   in Loop: Header=BB189_516 Depth=2
	v_mov_b32_e32 v1, s24
	v_add_co_u32_e32 v0, vcc, s23, v2
	v_addc_co_u32_e32 v1, vcc, 0, v1, vcc
	global_load_ubyte v9, v[0:1], off offset:1024
	s_or_b64 exec, exec, s[18:19]
	v_cmp_gt_u32_e32 vcc, s20, v31
	s_and_saveexec_b64 s[18:19], vcc
	s_cbranch_execnz .LBB189_553
.LBB189_526:                            ;   in Loop: Header=BB189_516 Depth=2
	s_or_b64 exec, exec, s[18:19]
	v_cmp_gt_u32_e32 vcc, s20, v32
	s_and_saveexec_b64 s[18:19], vcc
	s_cbranch_execz .LBB189_528
.LBB189_527:                            ;   in Loop: Header=BB189_516 Depth=2
	v_mov_b32_e32 v1, s24
	v_add_co_u32_e32 v0, vcc, s23, v2
	v_addc_co_u32_e32 v1, vcc, 0, v1, vcc
	global_load_ubyte v11, v[0:1], off offset:1536
.LBB189_528:                            ;   in Loop: Header=BB189_516 Depth=2
	s_or_b64 exec, exec, s[18:19]
	v_cmp_gt_u32_e32 vcc, s20, v33
                                        ; implicit-def: $sgpr25
                                        ; implicit-def: $vgpr0_vgpr1
	s_and_saveexec_b64 s[18:19], vcc
	s_cbranch_execz .LBB189_530
; %bb.529:                              ;   in Loop: Header=BB189_516 Depth=2
	v_mov_b32_e32 v0, s24
	v_add_co_u32_e32 v1, vcc, s23, v2
	s_waitcnt vmcnt(0)
	v_addc_co_u32_e32 v12, vcc, 0, v0, vcc
	v_add_co_u32_e32 v0, vcc, 0x700, v1
	s_sub_i32 s25, s76, s22
	v_addc_co_u32_e32 v1, vcc, 0, v12, vcc
	s_or_b64 s[16:17], s[16:17], exec
                                        ; implicit-def: $vgpr12
.LBB189_530:                            ;   in Loop: Header=BB189_516 Depth=2
	s_or_b64 exec, exec, s[18:19]
	s_waitcnt vmcnt(0)
	v_mov_b32_e32 v13, v5
	v_mov_b32_e32 v14, v6
	;; [unrolled: 1-line block ×8, first 2 shown]
	s_and_saveexec_b64 s[18:19], s[16:17]
	s_cbranch_execz .LBB189_532
.LBB189_531:                            ;   in Loop: Header=BB189_516 Depth=2
	global_load_ubyte v12, v[0:1], off
	v_mov_b32_e32 v20, s25
	s_waitcnt vmcnt(1)
	v_mov_b32_e32 v5, v13
	v_mov_b32_e32 v6, v14
	;; [unrolled: 1-line block ×7, first 2 shown]
.LBB189_532:                            ;   in Loop: Header=BB189_516 Depth=2
	s_or_b64 exec, exec, s[18:19]
	v_cmp_lt_u32_e32 vcc, v2, v20
	v_lshlrev_b32_e32 v0, 2, v27
	s_and_saveexec_b64 s[16:17], vcc
	s_cbranch_execz .LBB189_540
; %bb.533:                              ;   in Loop: Header=BB189_516 Depth=2
	v_lshrrev_b32_sdwa v1, s69, v5 dst_sel:DWORD dst_unused:UNUSED_PAD src0_sel:DWORD src1_sel:BYTE_0
	v_and_b32_e32 v1, s77, v1
	v_lshl_or_b32 v1, v1, 4, v0
	ds_add_u32 v1, v63
	s_or_b64 exec, exec, s[16:17]
	v_cmp_lt_u32_e32 vcc, v24, v20
	s_and_saveexec_b64 s[16:17], vcc
	s_cbranch_execnz .LBB189_541
.LBB189_534:                            ;   in Loop: Header=BB189_516 Depth=2
	s_or_b64 exec, exec, s[16:17]
	v_cmp_lt_u32_e32 vcc, v25, v20
	s_and_saveexec_b64 s[16:17], vcc
	s_cbranch_execz .LBB189_542
.LBB189_535:                            ;   in Loop: Header=BB189_516 Depth=2
	v_lshrrev_b32_sdwa v1, s69, v7 dst_sel:DWORD dst_unused:UNUSED_PAD src0_sel:DWORD src1_sel:BYTE_0
	v_and_b32_e32 v1, s77, v1
	v_lshl_or_b32 v1, v1, 4, v0
	ds_add_u32 v1, v63
	s_or_b64 exec, exec, s[16:17]
	v_cmp_lt_u32_e32 vcc, v26, v20
	s_and_saveexec_b64 s[16:17], vcc
	s_cbranch_execnz .LBB189_543
.LBB189_536:                            ;   in Loop: Header=BB189_516 Depth=2
	s_or_b64 exec, exec, s[16:17]
	v_cmp_lt_u32_e32 vcc, v30, v20
	s_and_saveexec_b64 s[16:17], vcc
	s_cbranch_execz .LBB189_544
.LBB189_537:                            ;   in Loop: Header=BB189_516 Depth=2
	v_lshrrev_b32_sdwa v1, s69, v9 dst_sel:DWORD dst_unused:UNUSED_PAD src0_sel:DWORD src1_sel:BYTE_0
	v_and_b32_e32 v1, s77, v1
	v_lshl_or_b32 v1, v1, 4, v0
	ds_add_u32 v1, v63
	s_or_b64 exec, exec, s[16:17]
	v_cmp_lt_u32_e32 vcc, v31, v20
	s_and_saveexec_b64 s[16:17], vcc
	s_cbranch_execnz .LBB189_545
.LBB189_538:                            ;   in Loop: Header=BB189_516 Depth=2
	s_or_b64 exec, exec, s[16:17]
	v_cmp_lt_u32_e32 vcc, v32, v20
	s_and_saveexec_b64 s[16:17], vcc
	s_cbranch_execz .LBB189_546
.LBB189_539:                            ;   in Loop: Header=BB189_516 Depth=2
	v_lshrrev_b32_sdwa v1, s69, v11 dst_sel:DWORD dst_unused:UNUSED_PAD src0_sel:DWORD src1_sel:BYTE_0
	v_and_b32_e32 v1, s77, v1
	v_lshl_or_b32 v1, v1, 4, v0
	ds_add_u32 v1, v63
	s_or_b64 exec, exec, s[16:17]
	v_cmp_lt_u32_e32 vcc, v33, v20
	s_and_saveexec_b64 s[16:17], vcc
	s_cbranch_execz .LBB189_515
	s_branch .LBB189_547
.LBB189_540:                            ;   in Loop: Header=BB189_516 Depth=2
	s_or_b64 exec, exec, s[16:17]
	v_cmp_lt_u32_e32 vcc, v24, v20
	s_and_saveexec_b64 s[16:17], vcc
	s_cbranch_execz .LBB189_534
.LBB189_541:                            ;   in Loop: Header=BB189_516 Depth=2
	v_lshrrev_b32_sdwa v1, s69, v6 dst_sel:DWORD dst_unused:UNUSED_PAD src0_sel:DWORD src1_sel:BYTE_0
	v_and_b32_e32 v1, s77, v1
	v_lshl_or_b32 v1, v1, 4, v0
	ds_add_u32 v1, v63
	s_or_b64 exec, exec, s[16:17]
	v_cmp_lt_u32_e32 vcc, v25, v20
	s_and_saveexec_b64 s[16:17], vcc
	s_cbranch_execnz .LBB189_535
.LBB189_542:                            ;   in Loop: Header=BB189_516 Depth=2
	s_or_b64 exec, exec, s[16:17]
	v_cmp_lt_u32_e32 vcc, v26, v20
	s_and_saveexec_b64 s[16:17], vcc
	s_cbranch_execz .LBB189_536
.LBB189_543:                            ;   in Loop: Header=BB189_516 Depth=2
	v_lshrrev_b32_sdwa v1, s69, v8 dst_sel:DWORD dst_unused:UNUSED_PAD src0_sel:DWORD src1_sel:BYTE_0
	v_and_b32_e32 v1, s77, v1
	v_lshl_or_b32 v1, v1, 4, v0
	ds_add_u32 v1, v63
	s_or_b64 exec, exec, s[16:17]
	v_cmp_lt_u32_e32 vcc, v30, v20
	s_and_saveexec_b64 s[16:17], vcc
	s_cbranch_execnz .LBB189_537
.LBB189_544:                            ;   in Loop: Header=BB189_516 Depth=2
	s_or_b64 exec, exec, s[16:17]
	v_cmp_lt_u32_e32 vcc, v31, v20
	s_and_saveexec_b64 s[16:17], vcc
	s_cbranch_execz .LBB189_538
.LBB189_545:                            ;   in Loop: Header=BB189_516 Depth=2
	v_lshrrev_b32_sdwa v1, s69, v10 dst_sel:DWORD dst_unused:UNUSED_PAD src0_sel:DWORD src1_sel:BYTE_0
	v_and_b32_e32 v1, s77, v1
	v_lshl_or_b32 v1, v1, 4, v0
	ds_add_u32 v1, v63
	s_or_b64 exec, exec, s[16:17]
	v_cmp_lt_u32_e32 vcc, v32, v20
	s_and_saveexec_b64 s[16:17], vcc
	s_cbranch_execnz .LBB189_539
.LBB189_546:                            ;   in Loop: Header=BB189_516 Depth=2
	s_or_b64 exec, exec, s[16:17]
	v_cmp_lt_u32_e32 vcc, v33, v20
	s_and_saveexec_b64 s[16:17], vcc
	s_cbranch_execz .LBB189_515
.LBB189_547:                            ;   in Loop: Header=BB189_516 Depth=2
	s_waitcnt vmcnt(0)
	v_lshrrev_b32_sdwa v1, s69, v12 dst_sel:DWORD dst_unused:UNUSED_PAD src0_sel:DWORD src1_sel:BYTE_0
	v_and_b32_e32 v1, s77, v1
	v_lshl_or_b32 v0, v1, 4, v0
	ds_add_u32 v0, v63
	s_branch .LBB189_515
.LBB189_548:                            ;   in Loop: Header=BB189_516 Depth=2
	s_or_b64 exec, exec, s[18:19]
	v_cmp_gt_u32_e32 vcc, s20, v24
	s_and_saveexec_b64 s[18:19], vcc
	s_cbranch_execz .LBB189_522
.LBB189_549:                            ;   in Loop: Header=BB189_516 Depth=2
	v_mov_b32_e32 v1, s24
	v_add_co_u32_e32 v0, vcc, s23, v2
	v_addc_co_u32_e32 v1, vcc, 0, v1, vcc
	global_load_ubyte v6, v[0:1], off offset:256
	s_or_b64 exec, exec, s[18:19]
	v_cmp_gt_u32_e32 vcc, s20, v25
	s_and_saveexec_b64 s[18:19], vcc
	s_cbranch_execnz .LBB189_523
.LBB189_550:                            ;   in Loop: Header=BB189_516 Depth=2
	s_or_b64 exec, exec, s[18:19]
	v_cmp_gt_u32_e32 vcc, s20, v26
	s_and_saveexec_b64 s[18:19], vcc
	s_cbranch_execz .LBB189_524
.LBB189_551:                            ;   in Loop: Header=BB189_516 Depth=2
	v_mov_b32_e32 v1, s24
	v_add_co_u32_e32 v0, vcc, s23, v2
	v_addc_co_u32_e32 v1, vcc, 0, v1, vcc
	global_load_ubyte v8, v[0:1], off offset:768
	s_or_b64 exec, exec, s[18:19]
	v_cmp_gt_u32_e32 vcc, s20, v30
	s_and_saveexec_b64 s[18:19], vcc
	s_cbranch_execnz .LBB189_525
.LBB189_552:                            ;   in Loop: Header=BB189_516 Depth=2
	s_or_b64 exec, exec, s[18:19]
	v_cmp_gt_u32_e32 vcc, s20, v31
	s_and_saveexec_b64 s[18:19], vcc
	s_cbranch_execz .LBB189_526
.LBB189_553:                            ;   in Loop: Header=BB189_516 Depth=2
	v_mov_b32_e32 v1, s24
	v_add_co_u32_e32 v0, vcc, s23, v2
	v_addc_co_u32_e32 v1, vcc, 0, v1, vcc
	global_load_ubyte v10, v[0:1], off offset:1280
	s_or_b64 exec, exec, s[18:19]
	v_cmp_gt_u32_e32 vcc, s20, v32
	s_and_saveexec_b64 s[18:19], vcc
	s_cbranch_execz .LBB189_528
	s_branch .LBB189_527
.LBB189_554:                            ;   in Loop: Header=BB189_12 Depth=1
	v_mov_b32_e32 v0, 0
	s_waitcnt lgkmcnt(0)
	s_barrier
	s_and_saveexec_b64 s[16:17], s[4:5]
	s_cbranch_execz .LBB189_556
; %bb.555:                              ;   in Loop: Header=BB189_12 Depth=1
	ds_read2_b64 v[6:9], v34 offset1:1
	s_waitcnt lgkmcnt(0)
	v_add_u32_e32 v0, v7, v6
	v_add3_u32 v0, v0, v8, v9
.LBB189_556:                            ;   in Loop: Header=BB189_12 Depth=1
	s_or_b64 exec, exec, s[16:17]
	v_and_b32_e32 v1, 15, v64
	v_mov_b32_dpp v5, v0 row_shr:1 row_mask:0xf bank_mask:0xf
	v_cmp_eq_u32_e64 s[16:17], 0, v1
	v_cndmask_b32_e64 v5, v5, 0, s[16:17]
	v_add_u32_e32 v0, v5, v0
	v_cmp_lt_u32_e64 s[18:19], 1, v1
	v_cmp_lt_u32_e64 s[20:21], 3, v1
	v_mov_b32_dpp v5, v0 row_shr:2 row_mask:0xf bank_mask:0xf
	v_cndmask_b32_e64 v5, 0, v5, s[18:19]
	v_add_u32_e32 v0, v0, v5
	v_cmp_lt_u32_e64 s[22:23], 7, v1
	v_cmp_lt_u32_e64 s[26:27], 31, v64
	v_mov_b32_dpp v5, v0 row_shr:4 row_mask:0xf bank_mask:0xf
	v_cndmask_b32_e64 v5, 0, v5, s[20:21]
	v_add_u32_e32 v0, v0, v5
	v_and_b32_e32 v6, 16, v64
	v_cmp_eq_u32_e64 s[24:25], 0, v6
	v_mov_b32_dpp v5, v0 row_shr:8 row_mask:0xf bank_mask:0xf
	v_cndmask_b32_e64 v1, 0, v5, s[22:23]
	v_add_u32_e32 v0, v0, v1
	v_bfe_i32 v5, v64, 4, 1
	s_nop 0
	v_mov_b32_dpp v1, v0 row_bcast:15 row_mask:0xf bank_mask:0xf
	v_and_b32_e32 v1, v5, v1
	v_add_u32_e32 v0, v0, v1
	s_nop 1
	v_mov_b32_dpp v1, v0 row_bcast:31 row_mask:0xf bank_mask:0xf
	v_cndmask_b32_e64 v1, 0, v1, s[26:27]
	v_add_u32_e32 v1, v0, v1
	s_and_saveexec_b64 s[28:29], s[6:7]
	s_cbranch_execz .LBB189_558
; %bb.557:                              ;   in Loop: Header=BB189_12 Depth=1
	ds_write_b32 v36, v1
.LBB189_558:                            ;   in Loop: Header=BB189_12 Depth=1
	s_or_b64 exec, exec, s[28:29]
	v_and_b32_e32 v0, 3, v64
	s_waitcnt lgkmcnt(0)
	s_barrier
	s_and_saveexec_b64 s[28:29], s[8:9]
	s_cbranch_execz .LBB189_560
; %bb.559:                              ;   in Loop: Header=BB189_12 Depth=1
	ds_read_b32 v5, v37
	v_cmp_ne_u32_e32 vcc, 0, v0
	s_waitcnt lgkmcnt(0)
	v_mov_b32_dpp v6, v5 row_shr:1 row_mask:0xf bank_mask:0xf
	v_cndmask_b32_e32 v6, 0, v6, vcc
	v_add_u32_e32 v5, v6, v5
	v_cmp_lt_u32_e32 vcc, 1, v0
	s_nop 0
	v_mov_b32_dpp v6, v5 row_shr:2 row_mask:0xf bank_mask:0xf
	v_cndmask_b32_e32 v6, 0, v6, vcc
	v_add_u32_e32 v5, v5, v6
	ds_write_b32 v37, v5
.LBB189_560:                            ;   in Loop: Header=BB189_12 Depth=1
	s_or_b64 exec, exec, s[28:29]
	v_mov_b32_e32 v5, 0
	s_waitcnt lgkmcnt(0)
	s_barrier
	s_and_saveexec_b64 s[28:29], s[10:11]
	s_cbranch_execz .LBB189_562
; %bb.561:                              ;   in Loop: Header=BB189_12 Depth=1
	ds_read_b32 v5, v38
.LBB189_562:                            ;   in Loop: Header=BB189_12 Depth=1
	s_or_b64 exec, exec, s[28:29]
	v_add_u32_e32 v6, -1, v64
	v_and_b32_e32 v7, 64, v64
	v_cmp_lt_i32_e32 vcc, v6, v7
	v_cndmask_b32_e32 v6, v6, v64, vcc
	s_waitcnt lgkmcnt(0)
	v_add_u32_e32 v1, v5, v1
	v_lshlrev_b32_e32 v65, 2, v6
	ds_bpermute_b32 v1, v65, v1
	v_cmp_eq_u32_e64 s[28:29], 0, v64
	s_waitcnt lgkmcnt(0)
	s_barrier
	s_and_saveexec_b64 s[30:31], s[4:5]
	s_cbranch_execz .LBB189_564
; %bb.563:                              ;   in Loop: Header=BB189_12 Depth=1
	v_cndmask_b32_e64 v1, v1, v5, s[28:29]
	v_add_u32_e32 v1, s51, v1
	ds_write_b32 v3, v1
.LBB189_564:                            ;   in Loop: Header=BB189_12 Depth=1
	s_or_b64 exec, exec, s[30:31]
	s_load_dwordx2 s[30:31], s[74:75], 0x0
	v_and_b32_e32 v21, 63, v64
	v_add_co_u32_e32 v74, vcc, v61, v21
	v_lshlrev_b32_e32 v22, 3, v21
	s_waitcnt lgkmcnt(0)
	s_cmp_lt_u32 s50, s30
	s_cselect_b32 s34, 12, 18
	s_cmp_lt_u32 s33, s31
	s_cselect_b32 s30, 14, 20
	s_add_u32 s30, s74, s30
	s_addc_u32 s31, s75, 0
	s_add_u32 s34, s74, s34
	global_load_ushort v5, v4, s[30:31]
	s_addc_u32 s35, s75, 0
	global_load_ushort v20, v4, s[34:35]
	v_addc_co_u32_e32 v76, vcc, 0, v62, vcc
	v_add_co_u32_e32 v77, vcc, v59, v22
	v_addc_co_u32_e32 v78, vcc, 0, v60, vcc
	v_or_b32_e32 v72, v21, v39
	v_add_co_u32_e32 v86, vcc, 0x1c0, v74
	v_cmp_eq_u32_e64 s[30:31], 0, v0
	v_cmp_lt_u32_e64 s[34:35], 1, v0
	s_mov_b32 s78, s71
	v_or_b32_e32 v79, 64, v72
	v_or_b32_e32 v80, 0x80, v72
	;; [unrolled: 1-line block ×7, first 2 shown]
	v_addc_co_u32_e32 v87, vcc, 0, v76, vcc
	s_mov_b32 s72, s51
                                        ; implicit-def: $vgpr0_vgpr1
                                        ; implicit-def: $vgpr6_vgpr7
                                        ; implicit-def: $vgpr8_vgpr9
                                        ; implicit-def: $vgpr10_vgpr11
                                        ; implicit-def: $vgpr12_vgpr13
                                        ; implicit-def: $vgpr14_vgpr15
                                        ; implicit-def: $vgpr16_vgpr17
                                        ; implicit-def: $vgpr18_vgpr19
                                        ; implicit-def: $vgpr66
                                        ; implicit-def: $vgpr67
                                        ; implicit-def: $vgpr68
                                        ; implicit-def: $vgpr69
                                        ; implicit-def: $vgpr70
                                        ; implicit-def: $vgpr71
                                        ; implicit-def: $vgpr73
                                        ; implicit-def: $vgpr75
	s_waitcnt vmcnt(1)
	v_mad_u32_u24 v5, v40, v5, v41
	s_waitcnt vmcnt(0)
	v_mad_u64_u32 v[20:21], s[36:37], v5, v20, v[2:3]
	v_lshrrev_b32_e32 v88, 6, v20
	s_branch .LBB189_566
.LBB189_565:                            ;   in Loop: Header=BB189_566 Depth=2
	s_or_b64 exec, exec, s[36:37]
	s_addk_i32 s78, 0xf800
	s_cmp_lt_u32 s79, s76
	s_mov_b32 s72, s79
	s_cbranch_scc0 .LBB189_10
.LBB189_566:                            ;   Parent Loop BB189_12 Depth=1
                                        ; =>  This Inner Loop Header: Depth=2
	s_add_i32 s79, s72, 0x800
	s_cmp_gt_u32 s79, s76
	s_cbranch_scc1 .LBB189_569
; %bb.567:                              ;   in Loop: Header=BB189_566 Depth=2
	v_add_co_u32_e32 v20, vcc, s72, v74
	v_addc_co_u32_e32 v21, vcc, 0, v76, vcc
	global_load_ubyte v90, v[20:21], off
	global_load_ubyte v91, v[20:21], off offset:64
	global_load_ubyte v92, v[20:21], off offset:128
	;; [unrolled: 1-line block ×6, first 2 shown]
	s_mov_b64 s[36:37], -1
	s_movk_i32 s40, 0x800
	s_cbranch_execz .LBB189_570
; %bb.568:                              ;   in Loop: Header=BB189_566 Depth=2
                                        ; implicit-def: $sgpr38
	v_mov_b32_e32 v97, s38
	v_mov_b32_e32 v89, s78
	s_and_saveexec_b64 s[38:39], s[36:37]
	s_cbranch_execnz .LBB189_585
	s_branch .LBB189_586
.LBB189_569:                            ;   in Loop: Header=BB189_566 Depth=2
	s_mov_b64 s[36:37], 0
                                        ; implicit-def: $sgpr40
                                        ; implicit-def: $vgpr90
                                        ; implicit-def: $vgpr91
                                        ; implicit-def: $vgpr92
                                        ; implicit-def: $vgpr93
                                        ; implicit-def: $vgpr94
                                        ; implicit-def: $vgpr95
                                        ; implicit-def: $vgpr96
.LBB189_570:                            ;   in Loop: Header=BB189_566 Depth=2
	v_add_co_u32_e32 v20, vcc, s72, v74
	v_addc_co_u32_e32 v21, vcc, 0, v76, vcc
	v_cmp_gt_u32_e32 vcc, s78, v72
	s_waitcnt vmcnt(5)
	v_mov_b32_e32 v91, 0xff
	v_mov_b32_e32 v90, 0xff
	s_and_saveexec_b64 s[36:37], vcc
	s_cbranch_execz .LBB189_572
; %bb.571:                              ;   in Loop: Header=BB189_566 Depth=2
	global_load_ubyte v90, v[20:21], off
.LBB189_572:                            ;   in Loop: Header=BB189_566 Depth=2
	s_or_b64 exec, exec, s[36:37]
	v_cmp_gt_u32_e32 vcc, s78, v79
	s_and_saveexec_b64 s[36:37], vcc
	s_cbranch_execz .LBB189_574
; %bb.573:                              ;   in Loop: Header=BB189_566 Depth=2
	global_load_ubyte v91, v[20:21], off offset:64
.LBB189_574:                            ;   in Loop: Header=BB189_566 Depth=2
	s_or_b64 exec, exec, s[36:37]
	v_cmp_gt_u32_e32 vcc, s78, v80
	s_waitcnt vmcnt(3)
	v_mov_b32_e32 v93, 0xff
	v_mov_b32_e32 v92, 0xff
	s_and_saveexec_b64 s[36:37], vcc
	s_cbranch_execz .LBB189_576
; %bb.575:                              ;   in Loop: Header=BB189_566 Depth=2
	global_load_ubyte v92, v[20:21], off offset:128
.LBB189_576:                            ;   in Loop: Header=BB189_566 Depth=2
	s_or_b64 exec, exec, s[36:37]
	v_cmp_gt_u32_e32 vcc, s78, v81
	s_and_saveexec_b64 s[36:37], vcc
	s_cbranch_execz .LBB189_578
; %bb.577:                              ;   in Loop: Header=BB189_566 Depth=2
	global_load_ubyte v93, v[20:21], off offset:192
.LBB189_578:                            ;   in Loop: Header=BB189_566 Depth=2
	s_or_b64 exec, exec, s[36:37]
	v_cmp_gt_u32_e32 vcc, s78, v82
	s_waitcnt vmcnt(1)
	v_mov_b32_e32 v95, 0xff
	v_mov_b32_e32 v94, 0xff
	s_and_saveexec_b64 s[36:37], vcc
	s_cbranch_execz .LBB189_580
; %bb.579:                              ;   in Loop: Header=BB189_566 Depth=2
	global_load_ubyte v94, v[20:21], off offset:256
.LBB189_580:                            ;   in Loop: Header=BB189_566 Depth=2
	s_or_b64 exec, exec, s[36:37]
	v_cmp_gt_u32_e32 vcc, s78, v83
	s_and_saveexec_b64 s[36:37], vcc
	s_cbranch_execz .LBB189_582
; %bb.581:                              ;   in Loop: Header=BB189_566 Depth=2
	global_load_ubyte v95, v[20:21], off offset:320
.LBB189_582:                            ;   in Loop: Header=BB189_566 Depth=2
	s_or_b64 exec, exec, s[36:37]
	v_cmp_gt_u32_e32 vcc, s78, v84
	s_waitcnt vmcnt(0)
	v_mov_b32_e32 v96, 0xff
	s_and_saveexec_b64 s[36:37], vcc
	s_cbranch_execz .LBB189_584
; %bb.583:                              ;   in Loop: Header=BB189_566 Depth=2
	global_load_ubyte v96, v[20:21], off offset:384
.LBB189_584:                            ;   in Loop: Header=BB189_566 Depth=2
	s_or_b64 exec, exec, s[36:37]
	s_sub_i32 s40, s76, s72
	v_cmp_gt_u32_e64 s[36:37], s78, v85
	s_movk_i32 s38, 0xff
	v_mov_b32_e32 v97, s38
	v_mov_b32_e32 v89, s78
	s_and_saveexec_b64 s[38:39], s[36:37]
	s_cbranch_execz .LBB189_586
.LBB189_585:                            ;   in Loop: Header=BB189_566 Depth=2
	v_mov_b32_e32 v5, s73
	v_add_co_u32_e32 v20, vcc, s72, v86
	v_addc_co_u32_e32 v21, vcc, v87, v5, vcc
	global_load_ubyte v97, v[20:21], off
	v_mov_b32_e32 v89, s40
.LBB189_586:                            ;   in Loop: Header=BB189_566 Depth=2
	s_or_b64 exec, exec, s[38:39]
	v_add_u32_e32 v5, 0x410, v42
	ds_write2_b32 v5, v4, v4 offset1:1
	ds_write2_b32 v44, v4, v4 offset0:2 offset1:3
	ds_write_b32 v44, v4 offset:16
	s_waitcnt vmcnt(6)
	v_lshrrev_b32_sdwa v5, s69, v90 dst_sel:DWORD dst_unused:UNUSED_PAD src0_sel:DWORD src1_sel:BYTE_0
	v_and_b32_e32 v20, s77, v5
	v_mad_u32_u24 v5, v20, 5, v88
	v_lshl_add_u32 v98, v5, 2, v43
	v_and_b32_e32 v5, 1, v20
	v_add_co_u32_e32 v21, vcc, -1, v5
	v_addc_co_u32_e64 v22, s[36:37], 0, -1, vcc
	v_cmp_ne_u32_e32 vcc, 0, v5
	v_xor_b32_e32 v5, vcc_hi, v22
	v_and_b32_e32 v22, exec_hi, v5
	v_lshlrev_b32_e32 v5, 30, v20
	v_xor_b32_e32 v21, vcc_lo, v21
	v_cmp_gt_i64_e32 vcc, 0, v[4:5]
	v_not_b32_e32 v5, v5
	v_ashrrev_i32_e32 v5, 31, v5
	v_and_b32_e32 v21, exec_lo, v21
	v_xor_b32_e32 v23, vcc_hi, v5
	v_xor_b32_e32 v5, vcc_lo, v5
	v_and_b32_e32 v21, v21, v5
	v_lshlrev_b32_e32 v5, 29, v20
	v_cmp_gt_i64_e32 vcc, 0, v[4:5]
	v_not_b32_e32 v5, v5
	v_ashrrev_i32_e32 v5, 31, v5
	v_and_b32_e32 v22, v22, v23
	v_xor_b32_e32 v23, vcc_hi, v5
	v_xor_b32_e32 v5, vcc_lo, v5
	v_and_b32_e32 v21, v21, v5
	v_lshlrev_b32_e32 v5, 28, v20
	v_cmp_gt_i64_e32 vcc, 0, v[4:5]
	v_not_b32_e32 v5, v5
	v_ashrrev_i32_e32 v5, 31, v5
	v_and_b32_e32 v22, v22, v23
	;; [unrolled: 8-line block ×5, first 2 shown]
	v_xor_b32_e32 v23, vcc_hi, v5
	v_xor_b32_e32 v5, vcc_lo, v5
	v_and_b32_e32 v22, v22, v23
	v_and_b32_e32 v23, v21, v5
	v_lshlrev_b32_e32 v5, 24, v20
	v_cmp_gt_i64_e32 vcc, 0, v[4:5]
	v_not_b32_e32 v5, v5
	v_ashrrev_i32_e32 v5, 31, v5
	v_xor_b32_e32 v20, vcc_hi, v5
	v_xor_b32_e32 v5, vcc_lo, v5
	v_and_b32_e32 v21, v22, v20
	v_and_b32_e32 v20, v23, v5
	v_mbcnt_lo_u32_b32 v5, v20, 0
	v_mbcnt_hi_u32_b32 v99, v21, v5
	v_cmp_eq_u32_e32 vcc, 0, v99
	v_cmp_ne_u64_e64 s[36:37], 0, v[20:21]
	s_and_b64 s[38:39], s[36:37], vcc
	s_waitcnt lgkmcnt(0)
	s_barrier
	s_waitcnt lgkmcnt(0)
	; wave barrier
	s_and_saveexec_b64 s[36:37], s[38:39]
	s_cbranch_execz .LBB189_588
; %bb.587:                              ;   in Loop: Header=BB189_566 Depth=2
	v_bcnt_u32_b32 v5, v20, 0
	v_bcnt_u32_b32 v5, v21, v5
	ds_write_b32 v98, v5
.LBB189_588:                            ;   in Loop: Header=BB189_566 Depth=2
	s_or_b64 exec, exec, s[36:37]
	s_waitcnt vmcnt(5)
	v_lshrrev_b32_sdwa v5, s69, v91 dst_sel:DWORD dst_unused:UNUSED_PAD src0_sel:DWORD src1_sel:BYTE_0
	v_and_b32_e32 v20, s77, v5
	v_mul_u32_u24_e32 v5, 5, v20
	v_add_lshl_u32 v5, v5, v88, 2
	; wave barrier
	v_add_u32_e32 v101, 0x410, v5
	ds_read_b32 v100, v5 offset:1040
	v_and_b32_e32 v5, 1, v20
	v_add_co_u32_e32 v21, vcc, -1, v5
	v_addc_co_u32_e64 v22, s[36:37], 0, -1, vcc
	v_cmp_ne_u32_e32 vcc, 0, v5
	v_xor_b32_e32 v5, vcc_hi, v22
	v_and_b32_e32 v22, exec_hi, v5
	v_lshlrev_b32_e32 v5, 30, v20
	v_xor_b32_e32 v21, vcc_lo, v21
	v_cmp_gt_i64_e32 vcc, 0, v[4:5]
	v_not_b32_e32 v5, v5
	v_ashrrev_i32_e32 v5, 31, v5
	v_and_b32_e32 v21, exec_lo, v21
	v_xor_b32_e32 v23, vcc_hi, v5
	v_xor_b32_e32 v5, vcc_lo, v5
	v_and_b32_e32 v21, v21, v5
	v_lshlrev_b32_e32 v5, 29, v20
	v_cmp_gt_i64_e32 vcc, 0, v[4:5]
	v_not_b32_e32 v5, v5
	v_ashrrev_i32_e32 v5, 31, v5
	v_and_b32_e32 v22, v22, v23
	v_xor_b32_e32 v23, vcc_hi, v5
	v_xor_b32_e32 v5, vcc_lo, v5
	v_and_b32_e32 v21, v21, v5
	v_lshlrev_b32_e32 v5, 28, v20
	v_cmp_gt_i64_e32 vcc, 0, v[4:5]
	v_not_b32_e32 v5, v5
	v_ashrrev_i32_e32 v5, 31, v5
	v_and_b32_e32 v22, v22, v23
	;; [unrolled: 8-line block ×5, first 2 shown]
	v_xor_b32_e32 v23, vcc_hi, v5
	v_xor_b32_e32 v5, vcc_lo, v5
	v_and_b32_e32 v22, v22, v23
	v_and_b32_e32 v23, v21, v5
	v_lshlrev_b32_e32 v5, 24, v20
	v_cmp_gt_i64_e32 vcc, 0, v[4:5]
	v_not_b32_e32 v5, v5
	v_ashrrev_i32_e32 v5, 31, v5
	v_xor_b32_e32 v20, vcc_hi, v5
	v_xor_b32_e32 v5, vcc_lo, v5
	v_and_b32_e32 v21, v22, v20
	v_and_b32_e32 v20, v23, v5
	v_mbcnt_lo_u32_b32 v5, v20, 0
	v_mbcnt_hi_u32_b32 v102, v21, v5
	v_cmp_eq_u32_e32 vcc, 0, v102
	v_cmp_ne_u64_e64 s[36:37], 0, v[20:21]
	s_and_b64 s[38:39], s[36:37], vcc
	; wave barrier
	s_and_saveexec_b64 s[36:37], s[38:39]
	s_cbranch_execz .LBB189_590
; %bb.589:                              ;   in Loop: Header=BB189_566 Depth=2
	v_bcnt_u32_b32 v5, v20, 0
	v_bcnt_u32_b32 v5, v21, v5
	s_waitcnt lgkmcnt(0)
	v_add_u32_e32 v5, v100, v5
	ds_write_b32 v101, v5
.LBB189_590:                            ;   in Loop: Header=BB189_566 Depth=2
	s_or_b64 exec, exec, s[36:37]
	s_waitcnt vmcnt(4)
	v_lshrrev_b32_sdwa v5, s69, v92 dst_sel:DWORD dst_unused:UNUSED_PAD src0_sel:DWORD src1_sel:BYTE_0
	v_and_b32_e32 v20, s77, v5
	v_mul_u32_u24_e32 v5, 5, v20
	v_add_lshl_u32 v5, v5, v88, 2
	; wave barrier
	v_add_u32_e32 v104, 0x410, v5
	ds_read_b32 v103, v5 offset:1040
	v_and_b32_e32 v5, 1, v20
	v_add_co_u32_e32 v21, vcc, -1, v5
	v_addc_co_u32_e64 v22, s[36:37], 0, -1, vcc
	v_cmp_ne_u32_e32 vcc, 0, v5
	v_xor_b32_e32 v5, vcc_hi, v22
	v_and_b32_e32 v22, exec_hi, v5
	v_lshlrev_b32_e32 v5, 30, v20
	v_xor_b32_e32 v21, vcc_lo, v21
	v_cmp_gt_i64_e32 vcc, 0, v[4:5]
	v_not_b32_e32 v5, v5
	v_ashrrev_i32_e32 v5, 31, v5
	v_and_b32_e32 v21, exec_lo, v21
	v_xor_b32_e32 v23, vcc_hi, v5
	v_xor_b32_e32 v5, vcc_lo, v5
	v_and_b32_e32 v21, v21, v5
	v_lshlrev_b32_e32 v5, 29, v20
	v_cmp_gt_i64_e32 vcc, 0, v[4:5]
	v_not_b32_e32 v5, v5
	v_ashrrev_i32_e32 v5, 31, v5
	v_and_b32_e32 v22, v22, v23
	v_xor_b32_e32 v23, vcc_hi, v5
	v_xor_b32_e32 v5, vcc_lo, v5
	v_and_b32_e32 v21, v21, v5
	v_lshlrev_b32_e32 v5, 28, v20
	v_cmp_gt_i64_e32 vcc, 0, v[4:5]
	v_not_b32_e32 v5, v5
	v_ashrrev_i32_e32 v5, 31, v5
	v_and_b32_e32 v22, v22, v23
	;; [unrolled: 8-line block ×5, first 2 shown]
	v_xor_b32_e32 v23, vcc_hi, v5
	v_xor_b32_e32 v5, vcc_lo, v5
	v_and_b32_e32 v22, v22, v23
	v_and_b32_e32 v23, v21, v5
	v_lshlrev_b32_e32 v5, 24, v20
	v_cmp_gt_i64_e32 vcc, 0, v[4:5]
	v_not_b32_e32 v5, v5
	v_ashrrev_i32_e32 v5, 31, v5
	v_xor_b32_e32 v20, vcc_hi, v5
	v_xor_b32_e32 v5, vcc_lo, v5
	v_and_b32_e32 v21, v22, v20
	v_and_b32_e32 v20, v23, v5
	v_mbcnt_lo_u32_b32 v5, v20, 0
	v_mbcnt_hi_u32_b32 v105, v21, v5
	v_cmp_eq_u32_e32 vcc, 0, v105
	v_cmp_ne_u64_e64 s[36:37], 0, v[20:21]
	s_and_b64 s[38:39], s[36:37], vcc
	; wave barrier
	s_and_saveexec_b64 s[36:37], s[38:39]
	s_cbranch_execz .LBB189_592
; %bb.591:                              ;   in Loop: Header=BB189_566 Depth=2
	v_bcnt_u32_b32 v5, v20, 0
	v_bcnt_u32_b32 v5, v21, v5
	s_waitcnt lgkmcnt(0)
	v_add_u32_e32 v5, v103, v5
	ds_write_b32 v104, v5
.LBB189_592:                            ;   in Loop: Header=BB189_566 Depth=2
	s_or_b64 exec, exec, s[36:37]
	s_waitcnt vmcnt(3)
	v_lshrrev_b32_sdwa v5, s69, v93 dst_sel:DWORD dst_unused:UNUSED_PAD src0_sel:DWORD src1_sel:BYTE_0
	v_and_b32_e32 v20, s77, v5
	v_mul_u32_u24_e32 v5, 5, v20
	v_add_lshl_u32 v5, v5, v88, 2
	; wave barrier
	v_add_u32_e32 v107, 0x410, v5
	ds_read_b32 v106, v5 offset:1040
	v_and_b32_e32 v5, 1, v20
	v_add_co_u32_e32 v21, vcc, -1, v5
	v_addc_co_u32_e64 v22, s[36:37], 0, -1, vcc
	v_cmp_ne_u32_e32 vcc, 0, v5
	v_xor_b32_e32 v5, vcc_hi, v22
	v_and_b32_e32 v22, exec_hi, v5
	v_lshlrev_b32_e32 v5, 30, v20
	v_xor_b32_e32 v21, vcc_lo, v21
	v_cmp_gt_i64_e32 vcc, 0, v[4:5]
	v_not_b32_e32 v5, v5
	v_ashrrev_i32_e32 v5, 31, v5
	v_and_b32_e32 v21, exec_lo, v21
	v_xor_b32_e32 v23, vcc_hi, v5
	v_xor_b32_e32 v5, vcc_lo, v5
	v_and_b32_e32 v21, v21, v5
	v_lshlrev_b32_e32 v5, 29, v20
	v_cmp_gt_i64_e32 vcc, 0, v[4:5]
	v_not_b32_e32 v5, v5
	v_ashrrev_i32_e32 v5, 31, v5
	v_and_b32_e32 v22, v22, v23
	v_xor_b32_e32 v23, vcc_hi, v5
	v_xor_b32_e32 v5, vcc_lo, v5
	v_and_b32_e32 v21, v21, v5
	v_lshlrev_b32_e32 v5, 28, v20
	v_cmp_gt_i64_e32 vcc, 0, v[4:5]
	v_not_b32_e32 v5, v5
	v_ashrrev_i32_e32 v5, 31, v5
	v_and_b32_e32 v22, v22, v23
	;; [unrolled: 8-line block ×5, first 2 shown]
	v_xor_b32_e32 v23, vcc_hi, v5
	v_xor_b32_e32 v5, vcc_lo, v5
	v_and_b32_e32 v22, v22, v23
	v_and_b32_e32 v23, v21, v5
	v_lshlrev_b32_e32 v5, 24, v20
	v_cmp_gt_i64_e32 vcc, 0, v[4:5]
	v_not_b32_e32 v5, v5
	v_ashrrev_i32_e32 v5, 31, v5
	v_xor_b32_e32 v20, vcc_hi, v5
	v_xor_b32_e32 v5, vcc_lo, v5
	v_and_b32_e32 v21, v22, v20
	v_and_b32_e32 v20, v23, v5
	v_mbcnt_lo_u32_b32 v5, v20, 0
	v_mbcnt_hi_u32_b32 v108, v21, v5
	v_cmp_eq_u32_e32 vcc, 0, v108
	v_cmp_ne_u64_e64 s[36:37], 0, v[20:21]
	s_and_b64 s[38:39], s[36:37], vcc
	; wave barrier
	s_and_saveexec_b64 s[36:37], s[38:39]
	s_cbranch_execz .LBB189_594
; %bb.593:                              ;   in Loop: Header=BB189_566 Depth=2
	v_bcnt_u32_b32 v5, v20, 0
	v_bcnt_u32_b32 v5, v21, v5
	s_waitcnt lgkmcnt(0)
	v_add_u32_e32 v5, v106, v5
	ds_write_b32 v107, v5
.LBB189_594:                            ;   in Loop: Header=BB189_566 Depth=2
	s_or_b64 exec, exec, s[36:37]
	s_waitcnt vmcnt(2)
	v_lshrrev_b32_sdwa v5, s69, v94 dst_sel:DWORD dst_unused:UNUSED_PAD src0_sel:DWORD src1_sel:BYTE_0
	v_and_b32_e32 v20, s77, v5
	v_mul_u32_u24_e32 v5, 5, v20
	v_add_lshl_u32 v5, v5, v88, 2
	; wave barrier
	v_add_u32_e32 v110, 0x410, v5
	ds_read_b32 v109, v5 offset:1040
	v_and_b32_e32 v5, 1, v20
	v_add_co_u32_e32 v21, vcc, -1, v5
	v_addc_co_u32_e64 v22, s[36:37], 0, -1, vcc
	v_cmp_ne_u32_e32 vcc, 0, v5
	v_xor_b32_e32 v5, vcc_hi, v22
	v_and_b32_e32 v22, exec_hi, v5
	v_lshlrev_b32_e32 v5, 30, v20
	v_xor_b32_e32 v21, vcc_lo, v21
	v_cmp_gt_i64_e32 vcc, 0, v[4:5]
	v_not_b32_e32 v5, v5
	v_ashrrev_i32_e32 v5, 31, v5
	v_and_b32_e32 v21, exec_lo, v21
	v_xor_b32_e32 v23, vcc_hi, v5
	v_xor_b32_e32 v5, vcc_lo, v5
	v_and_b32_e32 v21, v21, v5
	v_lshlrev_b32_e32 v5, 29, v20
	v_cmp_gt_i64_e32 vcc, 0, v[4:5]
	v_not_b32_e32 v5, v5
	v_ashrrev_i32_e32 v5, 31, v5
	v_and_b32_e32 v22, v22, v23
	v_xor_b32_e32 v23, vcc_hi, v5
	v_xor_b32_e32 v5, vcc_lo, v5
	v_and_b32_e32 v21, v21, v5
	v_lshlrev_b32_e32 v5, 28, v20
	v_cmp_gt_i64_e32 vcc, 0, v[4:5]
	v_not_b32_e32 v5, v5
	v_ashrrev_i32_e32 v5, 31, v5
	v_and_b32_e32 v22, v22, v23
	;; [unrolled: 8-line block ×5, first 2 shown]
	v_xor_b32_e32 v23, vcc_hi, v5
	v_xor_b32_e32 v5, vcc_lo, v5
	v_and_b32_e32 v22, v22, v23
	v_and_b32_e32 v23, v21, v5
	v_lshlrev_b32_e32 v5, 24, v20
	v_cmp_gt_i64_e32 vcc, 0, v[4:5]
	v_not_b32_e32 v5, v5
	v_ashrrev_i32_e32 v5, 31, v5
	v_xor_b32_e32 v20, vcc_hi, v5
	v_xor_b32_e32 v5, vcc_lo, v5
	v_and_b32_e32 v21, v22, v20
	v_and_b32_e32 v20, v23, v5
	v_mbcnt_lo_u32_b32 v5, v20, 0
	v_mbcnt_hi_u32_b32 v111, v21, v5
	v_cmp_eq_u32_e32 vcc, 0, v111
	v_cmp_ne_u64_e64 s[36:37], 0, v[20:21]
	s_and_b64 s[38:39], s[36:37], vcc
	; wave barrier
	s_and_saveexec_b64 s[36:37], s[38:39]
	s_cbranch_execz .LBB189_596
; %bb.595:                              ;   in Loop: Header=BB189_566 Depth=2
	v_bcnt_u32_b32 v5, v20, 0
	v_bcnt_u32_b32 v5, v21, v5
	s_waitcnt lgkmcnt(0)
	v_add_u32_e32 v5, v109, v5
	ds_write_b32 v110, v5
.LBB189_596:                            ;   in Loop: Header=BB189_566 Depth=2
	s_or_b64 exec, exec, s[36:37]
	s_waitcnt vmcnt(1)
	v_lshrrev_b32_sdwa v5, s69, v95 dst_sel:DWORD dst_unused:UNUSED_PAD src0_sel:DWORD src1_sel:BYTE_0
	v_and_b32_e32 v20, s77, v5
	v_mul_u32_u24_e32 v5, 5, v20
	v_add_lshl_u32 v5, v5, v88, 2
	; wave barrier
	v_add_u32_e32 v113, 0x410, v5
	ds_read_b32 v112, v5 offset:1040
	v_and_b32_e32 v5, 1, v20
	v_add_co_u32_e32 v21, vcc, -1, v5
	v_addc_co_u32_e64 v22, s[36:37], 0, -1, vcc
	v_cmp_ne_u32_e32 vcc, 0, v5
	v_xor_b32_e32 v5, vcc_hi, v22
	v_and_b32_e32 v22, exec_hi, v5
	v_lshlrev_b32_e32 v5, 30, v20
	v_xor_b32_e32 v21, vcc_lo, v21
	v_cmp_gt_i64_e32 vcc, 0, v[4:5]
	v_not_b32_e32 v5, v5
	v_ashrrev_i32_e32 v5, 31, v5
	v_and_b32_e32 v21, exec_lo, v21
	v_xor_b32_e32 v23, vcc_hi, v5
	v_xor_b32_e32 v5, vcc_lo, v5
	v_and_b32_e32 v21, v21, v5
	v_lshlrev_b32_e32 v5, 29, v20
	v_cmp_gt_i64_e32 vcc, 0, v[4:5]
	v_not_b32_e32 v5, v5
	v_ashrrev_i32_e32 v5, 31, v5
	v_and_b32_e32 v22, v22, v23
	v_xor_b32_e32 v23, vcc_hi, v5
	v_xor_b32_e32 v5, vcc_lo, v5
	v_and_b32_e32 v21, v21, v5
	v_lshlrev_b32_e32 v5, 28, v20
	v_cmp_gt_i64_e32 vcc, 0, v[4:5]
	v_not_b32_e32 v5, v5
	v_ashrrev_i32_e32 v5, 31, v5
	v_and_b32_e32 v22, v22, v23
	;; [unrolled: 8-line block ×5, first 2 shown]
	v_xor_b32_e32 v23, vcc_hi, v5
	v_xor_b32_e32 v5, vcc_lo, v5
	v_and_b32_e32 v22, v22, v23
	v_and_b32_e32 v23, v21, v5
	v_lshlrev_b32_e32 v5, 24, v20
	v_cmp_gt_i64_e32 vcc, 0, v[4:5]
	v_not_b32_e32 v5, v5
	v_ashrrev_i32_e32 v5, 31, v5
	v_xor_b32_e32 v20, vcc_hi, v5
	v_xor_b32_e32 v5, vcc_lo, v5
	v_and_b32_e32 v21, v22, v20
	v_and_b32_e32 v20, v23, v5
	v_mbcnt_lo_u32_b32 v5, v20, 0
	v_mbcnt_hi_u32_b32 v114, v21, v5
	v_cmp_eq_u32_e32 vcc, 0, v114
	v_cmp_ne_u64_e64 s[36:37], 0, v[20:21]
	s_and_b64 s[38:39], s[36:37], vcc
	; wave barrier
	s_and_saveexec_b64 s[36:37], s[38:39]
	s_cbranch_execz .LBB189_598
; %bb.597:                              ;   in Loop: Header=BB189_566 Depth=2
	v_bcnt_u32_b32 v5, v20, 0
	v_bcnt_u32_b32 v5, v21, v5
	s_waitcnt lgkmcnt(0)
	v_add_u32_e32 v5, v112, v5
	ds_write_b32 v113, v5
.LBB189_598:                            ;   in Loop: Header=BB189_566 Depth=2
	s_or_b64 exec, exec, s[36:37]
	s_waitcnt vmcnt(0)
	v_lshrrev_b32_sdwa v5, s69, v96 dst_sel:DWORD dst_unused:UNUSED_PAD src0_sel:DWORD src1_sel:BYTE_0
	v_and_b32_e32 v20, s77, v5
	v_mul_u32_u24_e32 v5, 5, v20
	v_add_lshl_u32 v5, v5, v88, 2
	; wave barrier
	v_add_u32_e32 v116, 0x410, v5
	ds_read_b32 v115, v5 offset:1040
	v_and_b32_e32 v5, 1, v20
	v_add_co_u32_e32 v21, vcc, -1, v5
	v_addc_co_u32_e64 v22, s[36:37], 0, -1, vcc
	v_cmp_ne_u32_e32 vcc, 0, v5
	v_xor_b32_e32 v5, vcc_hi, v22
	v_and_b32_e32 v22, exec_hi, v5
	v_lshlrev_b32_e32 v5, 30, v20
	v_xor_b32_e32 v21, vcc_lo, v21
	v_cmp_gt_i64_e32 vcc, 0, v[4:5]
	v_not_b32_e32 v5, v5
	v_ashrrev_i32_e32 v5, 31, v5
	v_and_b32_e32 v21, exec_lo, v21
	v_xor_b32_e32 v23, vcc_hi, v5
	v_xor_b32_e32 v5, vcc_lo, v5
	v_and_b32_e32 v21, v21, v5
	v_lshlrev_b32_e32 v5, 29, v20
	v_cmp_gt_i64_e32 vcc, 0, v[4:5]
	v_not_b32_e32 v5, v5
	v_ashrrev_i32_e32 v5, 31, v5
	v_and_b32_e32 v22, v22, v23
	v_xor_b32_e32 v23, vcc_hi, v5
	v_xor_b32_e32 v5, vcc_lo, v5
	v_and_b32_e32 v21, v21, v5
	v_lshlrev_b32_e32 v5, 28, v20
	v_cmp_gt_i64_e32 vcc, 0, v[4:5]
	v_not_b32_e32 v5, v5
	v_ashrrev_i32_e32 v5, 31, v5
	v_and_b32_e32 v22, v22, v23
	;; [unrolled: 8-line block ×5, first 2 shown]
	v_xor_b32_e32 v23, vcc_hi, v5
	v_xor_b32_e32 v5, vcc_lo, v5
	v_and_b32_e32 v22, v22, v23
	v_and_b32_e32 v23, v21, v5
	v_lshlrev_b32_e32 v5, 24, v20
	v_cmp_gt_i64_e32 vcc, 0, v[4:5]
	v_not_b32_e32 v5, v5
	v_ashrrev_i32_e32 v5, 31, v5
	v_xor_b32_e32 v20, vcc_hi, v5
	v_xor_b32_e32 v5, vcc_lo, v5
	v_and_b32_e32 v21, v22, v20
	v_and_b32_e32 v20, v23, v5
	v_mbcnt_lo_u32_b32 v5, v20, 0
	v_mbcnt_hi_u32_b32 v117, v21, v5
	v_cmp_eq_u32_e32 vcc, 0, v117
	v_cmp_ne_u64_e64 s[36:37], 0, v[20:21]
	s_and_b64 s[38:39], s[36:37], vcc
	; wave barrier
	s_and_saveexec_b64 s[36:37], s[38:39]
	s_cbranch_execz .LBB189_600
; %bb.599:                              ;   in Loop: Header=BB189_566 Depth=2
	v_bcnt_u32_b32 v5, v20, 0
	v_bcnt_u32_b32 v5, v21, v5
	s_waitcnt lgkmcnt(0)
	v_add_u32_e32 v5, v115, v5
	ds_write_b32 v116, v5
.LBB189_600:                            ;   in Loop: Header=BB189_566 Depth=2
	s_or_b64 exec, exec, s[36:37]
	v_lshrrev_b32_sdwa v5, s69, v97 dst_sel:DWORD dst_unused:UNUSED_PAD src0_sel:DWORD src1_sel:BYTE_0
	v_and_b32_e32 v20, s77, v5
	v_mul_u32_u24_e32 v5, 5, v20
	v_add_lshl_u32 v5, v5, v88, 2
	; wave barrier
	v_add_u32_e32 v119, 0x410, v5
	ds_read_b32 v118, v5 offset:1040
	v_and_b32_e32 v5, 1, v20
	v_add_co_u32_e32 v21, vcc, -1, v5
	v_addc_co_u32_e64 v22, s[36:37], 0, -1, vcc
	v_cmp_ne_u32_e32 vcc, 0, v5
	v_xor_b32_e32 v5, vcc_hi, v22
	v_and_b32_e32 v22, exec_hi, v5
	v_lshlrev_b32_e32 v5, 30, v20
	v_xor_b32_e32 v21, vcc_lo, v21
	v_cmp_gt_i64_e32 vcc, 0, v[4:5]
	v_not_b32_e32 v5, v5
	v_ashrrev_i32_e32 v5, 31, v5
	v_and_b32_e32 v21, exec_lo, v21
	v_xor_b32_e32 v23, vcc_hi, v5
	v_xor_b32_e32 v5, vcc_lo, v5
	v_and_b32_e32 v21, v21, v5
	v_lshlrev_b32_e32 v5, 29, v20
	v_cmp_gt_i64_e32 vcc, 0, v[4:5]
	v_not_b32_e32 v5, v5
	v_ashrrev_i32_e32 v5, 31, v5
	v_and_b32_e32 v22, v22, v23
	v_xor_b32_e32 v23, vcc_hi, v5
	v_xor_b32_e32 v5, vcc_lo, v5
	v_and_b32_e32 v21, v21, v5
	v_lshlrev_b32_e32 v5, 28, v20
	v_cmp_gt_i64_e32 vcc, 0, v[4:5]
	v_not_b32_e32 v5, v5
	v_ashrrev_i32_e32 v5, 31, v5
	v_and_b32_e32 v22, v22, v23
	;; [unrolled: 8-line block ×5, first 2 shown]
	v_xor_b32_e32 v23, vcc_hi, v5
	v_xor_b32_e32 v5, vcc_lo, v5
	v_and_b32_e32 v22, v22, v23
	v_and_b32_e32 v23, v21, v5
	v_lshlrev_b32_e32 v5, 24, v20
	v_cmp_gt_i64_e32 vcc, 0, v[4:5]
	v_not_b32_e32 v5, v5
	v_ashrrev_i32_e32 v5, 31, v5
	v_xor_b32_e32 v20, vcc_hi, v5
	v_xor_b32_e32 v5, vcc_lo, v5
	v_and_b32_e32 v21, v22, v20
	v_and_b32_e32 v20, v23, v5
	v_mbcnt_lo_u32_b32 v5, v20, 0
	v_mbcnt_hi_u32_b32 v120, v21, v5
	v_cmp_eq_u32_e32 vcc, 0, v120
	v_cmp_ne_u64_e64 s[36:37], 0, v[20:21]
	s_and_b64 s[38:39], s[36:37], vcc
	; wave barrier
	s_and_saveexec_b64 s[36:37], s[38:39]
	s_cbranch_execz .LBB189_602
; %bb.601:                              ;   in Loop: Header=BB189_566 Depth=2
	v_bcnt_u32_b32 v5, v20, 0
	v_bcnt_u32_b32 v5, v21, v5
	s_waitcnt lgkmcnt(0)
	v_add_u32_e32 v5, v118, v5
	ds_write_b32 v119, v5
.LBB189_602:                            ;   in Loop: Header=BB189_566 Depth=2
	s_or_b64 exec, exec, s[36:37]
	; wave barrier
	s_waitcnt lgkmcnt(0)
	s_barrier
	ds_read_b32 v5, v42 offset:1040
	ds_read2_b32 v[22:23], v44 offset0:1 offset1:2
	ds_read2_b32 v[20:21], v44 offset0:3 offset1:4
	s_waitcnt lgkmcnt(1)
	v_add3_u32 v121, v22, v5, v23
	s_waitcnt lgkmcnt(0)
	v_add3_u32 v21, v121, v20, v21
	s_nop 1
	v_mov_b32_dpp v121, v21 row_shr:1 row_mask:0xf bank_mask:0xf
	v_cndmask_b32_e64 v121, v121, 0, s[16:17]
	v_add_u32_e32 v21, v121, v21
	s_nop 1
	v_mov_b32_dpp v121, v21 row_shr:2 row_mask:0xf bank_mask:0xf
	v_cndmask_b32_e64 v121, 0, v121, s[18:19]
	v_add_u32_e32 v21, v21, v121
	;; [unrolled: 4-line block ×4, first 2 shown]
	s_nop 1
	v_mov_b32_dpp v121, v21 row_bcast:15 row_mask:0xf bank_mask:0xf
	v_cndmask_b32_e64 v121, v121, 0, s[24:25]
	v_add_u32_e32 v21, v21, v121
	s_nop 1
	v_mov_b32_dpp v121, v21 row_bcast:31 row_mask:0xf bank_mask:0xf
	v_cndmask_b32_e64 v121, 0, v121, s[26:27]
	v_add_u32_e32 v21, v21, v121
	s_and_saveexec_b64 s[36:37], s[6:7]
	s_cbranch_execz .LBB189_604
; %bb.603:                              ;   in Loop: Header=BB189_566 Depth=2
	ds_write_b32 v35, v21 offset:1024
.LBB189_604:                            ;   in Loop: Header=BB189_566 Depth=2
	s_or_b64 exec, exec, s[36:37]
	s_waitcnt lgkmcnt(0)
	s_barrier
	s_and_saveexec_b64 s[36:37], s[8:9]
	s_cbranch_execz .LBB189_606
; %bb.605:                              ;   in Loop: Header=BB189_566 Depth=2
	v_add_u32_e32 v121, v42, v45
	ds_read_b32 v122, v121 offset:1024
	s_waitcnt lgkmcnt(0)
	s_nop 0
	v_mov_b32_dpp v123, v122 row_shr:1 row_mask:0xf bank_mask:0xf
	v_cndmask_b32_e64 v123, v123, 0, s[30:31]
	v_add_u32_e32 v122, v123, v122
	s_nop 1
	v_mov_b32_dpp v123, v122 row_shr:2 row_mask:0xf bank_mask:0xf
	v_cndmask_b32_e64 v123, 0, v123, s[34:35]
	v_add_u32_e32 v122, v122, v123
	ds_write_b32 v121, v122 offset:1024
.LBB189_606:                            ;   in Loop: Header=BB189_566 Depth=2
	s_or_b64 exec, exec, s[36:37]
	v_mov_b32_e32 v121, 0
	s_waitcnt lgkmcnt(0)
	s_barrier
	s_and_saveexec_b64 s[36:37], s[10:11]
	s_cbranch_execz .LBB189_608
; %bb.607:                              ;   in Loop: Header=BB189_566 Depth=2
	ds_read_b32 v121, v35 offset:1020
.LBB189_608:                            ;   in Loop: Header=BB189_566 Depth=2
	s_or_b64 exec, exec, s[36:37]
	s_waitcnt lgkmcnt(0)
	v_add_u32_e32 v21, v121, v21
	ds_bpermute_b32 v21, v65, v21
	s_waitcnt lgkmcnt(0)
	v_cndmask_b32_e64 v21, v21, v121, s[28:29]
	v_cndmask_b32_e64 v21, v21, 0, s[12:13]
	v_add_u32_e32 v5, v21, v5
	ds_write_b32 v42, v21 offset:1040
	v_add_u32_e32 v21, v5, v22
	v_add_u32_e32 v22, v21, v23
	ds_write2_b32 v44, v5, v21 offset0:1 offset1:2
	v_add_u32_e32 v5, v22, v20
	ds_write2_b32 v44, v22, v5 offset0:3 offset1:4
	s_waitcnt lgkmcnt(0)
	s_barrier
	ds_read_b32 v20, v101
	ds_read_b32 v21, v104
	ds_read_b32 v22, v107
	ds_read_b32 v23, v110
	ds_read_b32 v107, v113
	ds_read_b32 v110, v116
	ds_read_b32 v113, v119
	ds_read_b32 v98, v98
	ds_read_b32 v101, v42 offset:1040
	v_mov_b32_e32 v5, 0x800
	s_and_saveexec_b64 s[36:37], s[14:15]
	s_cbranch_execz .LBB189_610
; %bb.609:                              ;   in Loop: Header=BB189_566 Depth=2
	ds_read_b32 v5, v42 offset:1060
.LBB189_610:                            ;   in Loop: Header=BB189_566 Depth=2
	s_or_b64 exec, exec, s[36:37]
	s_waitcnt lgkmcnt(0)
	s_barrier
	s_and_saveexec_b64 s[36:37], s[4:5]
	s_cbranch_execz .LBB189_612
; %bb.611:                              ;   in Loop: Header=BB189_566 Depth=2
	ds_read_b32 v104, v3
	s_waitcnt lgkmcnt(0)
	v_sub_u32_e32 v101, v104, v101
	ds_write_b32 v3, v101
.LBB189_612:                            ;   in Loop: Header=BB189_566 Depth=2
	s_or_b64 exec, exec, s[36:37]
	v_add_u32_e32 v104, v98, v99
	v_add3_u32 v102, v102, v100, v20
	v_add3_u32 v101, v105, v103, v21
	;; [unrolled: 1-line block ×7, first 2 shown]
	v_cmp_lt_u32_e64 s[48:49], v2, v89
	ds_write_b8 v104, v90 offset:1024
	ds_write_b8 v102, v91 offset:1024
	;; [unrolled: 1-line block ×8, first 2 shown]
	s_waitcnt lgkmcnt(0)
	s_barrier
	s_and_saveexec_b64 s[36:37], s[48:49]
	s_cbranch_execz .LBB189_620
; %bb.613:                              ;   in Loop: Header=BB189_566 Depth=2
	ds_read_u8 v20, v2 offset:1024
	s_waitcnt lgkmcnt(0)
	v_lshrrev_b32_sdwa v21, s69, v20 dst_sel:DWORD dst_unused:UNUSED_PAD src0_sel:DWORD src1_sel:BYTE_0
	v_and_b32_e32 v21, s77, v21
	v_lshlrev_b32_e32 v21, 2, v21
	ds_read_b32 v21, v21
	s_waitcnt lgkmcnt(0)
	v_add_u32_e32 v21, v21, v2
	global_store_byte v21, v20, s[60:61]
	s_or_b64 exec, exec, s[36:37]
	v_cmp_lt_u32_e64 s[46:47], v24, v89
	s_and_saveexec_b64 s[36:37], s[46:47]
	s_cbranch_execnz .LBB189_621
.LBB189_614:                            ;   in Loop: Header=BB189_566 Depth=2
	s_or_b64 exec, exec, s[36:37]
	v_cmp_lt_u32_e64 s[44:45], v25, v89
	s_and_saveexec_b64 s[36:37], s[44:45]
	s_cbranch_execz .LBB189_622
.LBB189_615:                            ;   in Loop: Header=BB189_566 Depth=2
	ds_read_u8 v20, v30 offset:512
	s_waitcnt lgkmcnt(0)
	v_lshrrev_b32_sdwa v21, s69, v20 dst_sel:DWORD dst_unused:UNUSED_PAD src0_sel:DWORD src1_sel:BYTE_0
	v_and_b32_e32 v21, s77, v21
	v_lshlrev_b32_e32 v21, 2, v21
	ds_read_b32 v21, v21
	s_waitcnt lgkmcnt(0)
	v_add_u32_e32 v21, v21, v25
	global_store_byte v21, v20, s[60:61]
	s_or_b64 exec, exec, s[36:37]
	v_cmp_lt_u32_e64 s[42:43], v26, v89
	s_and_saveexec_b64 s[36:37], s[42:43]
	s_cbranch_execnz .LBB189_623
.LBB189_616:                            ;   in Loop: Header=BB189_566 Depth=2
	s_or_b64 exec, exec, s[36:37]
	v_cmp_lt_u32_e64 s[40:41], v30, v89
	s_and_saveexec_b64 s[36:37], s[40:41]
	s_cbranch_execz .LBB189_624
.LBB189_617:                            ;   in Loop: Header=BB189_566 Depth=2
	ds_read_u8 v20, v30 offset:1024
	s_waitcnt lgkmcnt(0)
	v_lshrrev_b32_sdwa v21, s69, v20 dst_sel:DWORD dst_unused:UNUSED_PAD src0_sel:DWORD src1_sel:BYTE_0
	v_and_b32_e32 v21, s77, v21
	v_lshlrev_b32_e32 v21, 2, v21
	ds_read_b32 v21, v21
	s_waitcnt lgkmcnt(0)
	v_add_u32_e32 v21, v21, v30
	global_store_byte v21, v20, s[60:61]
	s_or_b64 exec, exec, s[36:37]
	v_cmp_lt_u32_e64 s[38:39], v31, v89
	s_and_saveexec_b64 s[36:37], s[38:39]
	s_cbranch_execnz .LBB189_625
.LBB189_618:                            ;   in Loop: Header=BB189_566 Depth=2
	s_or_b64 exec, exec, s[36:37]
	v_cmp_lt_u32_e64 s[36:37], v32, v89
	s_and_saveexec_b64 s[52:53], s[36:37]
	s_cbranch_execz .LBB189_626
.LBB189_619:                            ;   in Loop: Header=BB189_566 Depth=2
	ds_read_u8 v20, v30 offset:1536
	s_waitcnt lgkmcnt(0)
	v_lshrrev_b32_sdwa v21, s69, v20 dst_sel:DWORD dst_unused:UNUSED_PAD src0_sel:DWORD src1_sel:BYTE_0
	v_and_b32_e32 v21, s77, v21
	v_lshlrev_b32_e32 v21, 2, v21
	ds_read_b32 v21, v21
	s_waitcnt lgkmcnt(0)
	v_add_u32_e32 v21, v21, v32
	global_store_byte v21, v20, s[60:61]
	s_or_b64 exec, exec, s[52:53]
	v_cmp_lt_u32_e32 vcc, v33, v89
	s_and_saveexec_b64 s[52:53], vcc
	s_cbranch_execnz .LBB189_627
	s_branch .LBB189_628
.LBB189_620:                            ;   in Loop: Header=BB189_566 Depth=2
	s_or_b64 exec, exec, s[36:37]
	v_cmp_lt_u32_e64 s[46:47], v24, v89
	s_and_saveexec_b64 s[36:37], s[46:47]
	s_cbranch_execz .LBB189_614
.LBB189_621:                            ;   in Loop: Header=BB189_566 Depth=2
	ds_read_u8 v20, v30 offset:256
	s_waitcnt lgkmcnt(0)
	v_lshrrev_b32_sdwa v21, s69, v20 dst_sel:DWORD dst_unused:UNUSED_PAD src0_sel:DWORD src1_sel:BYTE_0
	v_and_b32_e32 v21, s77, v21
	v_lshlrev_b32_e32 v21, 2, v21
	ds_read_b32 v21, v21
	s_waitcnt lgkmcnt(0)
	v_add_u32_e32 v21, v21, v24
	global_store_byte v21, v20, s[60:61]
	s_or_b64 exec, exec, s[36:37]
	v_cmp_lt_u32_e64 s[44:45], v25, v89
	s_and_saveexec_b64 s[36:37], s[44:45]
	s_cbranch_execnz .LBB189_615
.LBB189_622:                            ;   in Loop: Header=BB189_566 Depth=2
	s_or_b64 exec, exec, s[36:37]
	v_cmp_lt_u32_e64 s[42:43], v26, v89
	s_and_saveexec_b64 s[36:37], s[42:43]
	s_cbranch_execz .LBB189_616
.LBB189_623:                            ;   in Loop: Header=BB189_566 Depth=2
	ds_read_u8 v20, v30 offset:768
	s_waitcnt lgkmcnt(0)
	v_lshrrev_b32_sdwa v21, s69, v20 dst_sel:DWORD dst_unused:UNUSED_PAD src0_sel:DWORD src1_sel:BYTE_0
	v_and_b32_e32 v21, s77, v21
	v_lshlrev_b32_e32 v21, 2, v21
	ds_read_b32 v21, v21
	s_waitcnt lgkmcnt(0)
	v_add_u32_e32 v21, v21, v26
	global_store_byte v21, v20, s[60:61]
	s_or_b64 exec, exec, s[36:37]
	v_cmp_lt_u32_e64 s[40:41], v30, v89
	s_and_saveexec_b64 s[36:37], s[40:41]
	s_cbranch_execnz .LBB189_617
.LBB189_624:                            ;   in Loop: Header=BB189_566 Depth=2
	s_or_b64 exec, exec, s[36:37]
	v_cmp_lt_u32_e64 s[38:39], v31, v89
	s_and_saveexec_b64 s[36:37], s[38:39]
	s_cbranch_execz .LBB189_618
.LBB189_625:                            ;   in Loop: Header=BB189_566 Depth=2
	ds_read_u8 v20, v30 offset:1280
	s_waitcnt lgkmcnt(0)
	v_lshrrev_b32_sdwa v21, s69, v20 dst_sel:DWORD dst_unused:UNUSED_PAD src0_sel:DWORD src1_sel:BYTE_0
	v_and_b32_e32 v21, s77, v21
	v_lshlrev_b32_e32 v21, 2, v21
	ds_read_b32 v21, v21
	s_waitcnt lgkmcnt(0)
	v_add_u32_e32 v21, v21, v31
	global_store_byte v21, v20, s[60:61]
	s_or_b64 exec, exec, s[36:37]
	v_cmp_lt_u32_e64 s[36:37], v32, v89
	s_and_saveexec_b64 s[52:53], s[36:37]
	s_cbranch_execnz .LBB189_619
.LBB189_626:                            ;   in Loop: Header=BB189_566 Depth=2
	s_or_b64 exec, exec, s[52:53]
	v_cmp_lt_u32_e32 vcc, v33, v89
	s_and_saveexec_b64 s[52:53], vcc
	s_cbranch_execz .LBB189_628
.LBB189_627:                            ;   in Loop: Header=BB189_566 Depth=2
	ds_read_u8 v20, v30 offset:1792
	s_waitcnt lgkmcnt(0)
	v_lshrrev_b32_sdwa v21, s69, v20 dst_sel:DWORD dst_unused:UNUSED_PAD src0_sel:DWORD src1_sel:BYTE_0
	v_and_b32_e32 v21, s77, v21
	v_lshlrev_b32_e32 v21, 2, v21
	ds_read_b32 v21, v21
	s_waitcnt lgkmcnt(0)
	v_add_u32_e32 v21, v21, v33
	global_store_byte v21, v20, s[60:61]
.LBB189_628:                            ;   in Loop: Header=BB189_566 Depth=2
	s_or_b64 exec, exec, s[52:53]
	s_lshl_b64 s[52:53], s[72:73], 3
	v_mov_b32_e32 v21, s53
	v_add_co_u32_e64 v20, s[52:53], s52, v77
	v_addc_co_u32_e64 v21, s[52:53], v78, v21, s[52:53]
	v_cmp_lt_u32_e64 s[52:53], v72, v89
	s_and_saveexec_b64 s[62:63], s[52:53]
	s_xor_b64 s[52:53], exec, s[62:63]
	s_cbranch_execz .LBB189_644
; %bb.629:                              ;   in Loop: Header=BB189_566 Depth=2
	global_load_dwordx2 v[18:19], v[20:21], off
	s_or_b64 exec, exec, s[52:53]
	v_cmp_lt_u32_e64 s[52:53], v79, v89
	s_and_saveexec_b64 s[62:63], s[52:53]
	s_cbranch_execnz .LBB189_645
.LBB189_630:                            ;   in Loop: Header=BB189_566 Depth=2
	s_or_b64 exec, exec, s[62:63]
	v_cmp_lt_u32_e64 s[52:53], v80, v89
	s_and_saveexec_b64 s[62:63], s[52:53]
	s_cbranch_execz .LBB189_646
.LBB189_631:                            ;   in Loop: Header=BB189_566 Depth=2
	global_load_dwordx2 v[14:15], v[20:21], off offset:1024
	s_or_b64 exec, exec, s[62:63]
	v_cmp_lt_u32_e64 s[52:53], v81, v89
	s_and_saveexec_b64 s[62:63], s[52:53]
	s_cbranch_execnz .LBB189_647
.LBB189_632:                            ;   in Loop: Header=BB189_566 Depth=2
	s_or_b64 exec, exec, s[62:63]
	v_cmp_lt_u32_e64 s[52:53], v82, v89
	s_and_saveexec_b64 s[62:63], s[52:53]
	s_cbranch_execz .LBB189_648
.LBB189_633:                            ;   in Loop: Header=BB189_566 Depth=2
	global_load_dwordx2 v[10:11], v[20:21], off offset:2048
	s_or_b64 exec, exec, s[62:63]
	v_cmp_lt_u32_e64 s[52:53], v83, v89
	s_and_saveexec_b64 s[62:63], s[52:53]
	s_cbranch_execnz .LBB189_649
.LBB189_634:                            ;   in Loop: Header=BB189_566 Depth=2
	s_or_b64 exec, exec, s[62:63]
	v_cmp_lt_u32_e64 s[52:53], v84, v89
	s_and_saveexec_b64 s[62:63], s[52:53]
	s_cbranch_execz .LBB189_650
.LBB189_635:                            ;   in Loop: Header=BB189_566 Depth=2
	global_load_dwordx2 v[6:7], v[20:21], off offset:3072
	s_or_b64 exec, exec, s[62:63]
	v_cmp_lt_u32_e64 s[52:53], v85, v89
	s_and_saveexec_b64 s[62:63], s[52:53]
	s_cbranch_execnz .LBB189_651
.LBB189_636:                            ;   in Loop: Header=BB189_566 Depth=2
	s_or_b64 exec, exec, s[62:63]
	s_and_saveexec_b64 s[52:53], s[48:49]
	s_cbranch_execz .LBB189_652
.LBB189_637:                            ;   in Loop: Header=BB189_566 Depth=2
	ds_read_u8 v20, v2 offset:1024
	s_waitcnt lgkmcnt(0)
	v_lshrrev_b32_e32 v20, s69, v20
	v_and_b32_e32 v75, s77, v20
	s_or_b64 exec, exec, s[52:53]
	s_and_saveexec_b64 s[52:53], s[46:47]
	s_cbranch_execnz .LBB189_653
.LBB189_638:                            ;   in Loop: Header=BB189_566 Depth=2
	s_or_b64 exec, exec, s[52:53]
	s_and_saveexec_b64 s[52:53], s[44:45]
	s_cbranch_execz .LBB189_654
.LBB189_639:                            ;   in Loop: Header=BB189_566 Depth=2
	ds_read_u8 v20, v30 offset:512
	s_waitcnt lgkmcnt(0)
	v_lshrrev_b32_e32 v20, s69, v20
	v_and_b32_e32 v71, s77, v20
	s_or_b64 exec, exec, s[52:53]
	s_and_saveexec_b64 s[52:53], s[42:43]
	s_cbranch_execnz .LBB189_655
.LBB189_640:                            ;   in Loop: Header=BB189_566 Depth=2
	s_or_b64 exec, exec, s[52:53]
	s_and_saveexec_b64 s[52:53], s[40:41]
	s_cbranch_execz .LBB189_656
.LBB189_641:                            ;   in Loop: Header=BB189_566 Depth=2
	ds_read_u8 v20, v30 offset:1024
	s_waitcnt lgkmcnt(0)
	v_lshrrev_b32_e32 v20, s69, v20
	v_and_b32_e32 v69, s77, v20
	s_or_b64 exec, exec, s[52:53]
	s_and_saveexec_b64 s[52:53], s[38:39]
	s_cbranch_execnz .LBB189_657
.LBB189_642:                            ;   in Loop: Header=BB189_566 Depth=2
	s_or_b64 exec, exec, s[52:53]
	s_and_saveexec_b64 s[52:53], s[36:37]
	s_cbranch_execz .LBB189_658
.LBB189_643:                            ;   in Loop: Header=BB189_566 Depth=2
	ds_read_u8 v20, v30 offset:1536
	s_waitcnt lgkmcnt(0)
	v_lshrrev_b32_e32 v20, s69, v20
	v_and_b32_e32 v67, s77, v20
	s_or_b64 exec, exec, s[52:53]
	s_and_saveexec_b64 s[52:53], vcc
	s_cbranch_execnz .LBB189_659
	s_branch .LBB189_660
.LBB189_644:                            ;   in Loop: Header=BB189_566 Depth=2
	s_or_b64 exec, exec, s[52:53]
	v_cmp_lt_u32_e64 s[52:53], v79, v89
	s_and_saveexec_b64 s[62:63], s[52:53]
	s_cbranch_execz .LBB189_630
.LBB189_645:                            ;   in Loop: Header=BB189_566 Depth=2
	global_load_dwordx2 v[16:17], v[20:21], off offset:512
	s_or_b64 exec, exec, s[62:63]
	v_cmp_lt_u32_e64 s[52:53], v80, v89
	s_and_saveexec_b64 s[62:63], s[52:53]
	s_cbranch_execnz .LBB189_631
.LBB189_646:                            ;   in Loop: Header=BB189_566 Depth=2
	s_or_b64 exec, exec, s[62:63]
	v_cmp_lt_u32_e64 s[52:53], v81, v89
	s_and_saveexec_b64 s[62:63], s[52:53]
	s_cbranch_execz .LBB189_632
.LBB189_647:                            ;   in Loop: Header=BB189_566 Depth=2
	global_load_dwordx2 v[12:13], v[20:21], off offset:1536
	s_or_b64 exec, exec, s[62:63]
	v_cmp_lt_u32_e64 s[52:53], v82, v89
	s_and_saveexec_b64 s[62:63], s[52:53]
	s_cbranch_execnz .LBB189_633
.LBB189_648:                            ;   in Loop: Header=BB189_566 Depth=2
	s_or_b64 exec, exec, s[62:63]
	v_cmp_lt_u32_e64 s[52:53], v83, v89
	s_and_saveexec_b64 s[62:63], s[52:53]
	s_cbranch_execz .LBB189_634
.LBB189_649:                            ;   in Loop: Header=BB189_566 Depth=2
	global_load_dwordx2 v[8:9], v[20:21], off offset:2560
	s_or_b64 exec, exec, s[62:63]
	v_cmp_lt_u32_e64 s[52:53], v84, v89
	s_and_saveexec_b64 s[62:63], s[52:53]
	s_cbranch_execnz .LBB189_635
.LBB189_650:                            ;   in Loop: Header=BB189_566 Depth=2
	s_or_b64 exec, exec, s[62:63]
	v_cmp_lt_u32_e64 s[52:53], v85, v89
	s_and_saveexec_b64 s[62:63], s[52:53]
	s_cbranch_execz .LBB189_636
.LBB189_651:                            ;   in Loop: Header=BB189_566 Depth=2
	global_load_dwordx2 v[0:1], v[20:21], off offset:3584
	s_or_b64 exec, exec, s[62:63]
	s_and_saveexec_b64 s[52:53], s[48:49]
	s_cbranch_execnz .LBB189_637
.LBB189_652:                            ;   in Loop: Header=BB189_566 Depth=2
	s_or_b64 exec, exec, s[52:53]
	s_and_saveexec_b64 s[52:53], s[46:47]
	s_cbranch_execz .LBB189_638
.LBB189_653:                            ;   in Loop: Header=BB189_566 Depth=2
	ds_read_u8 v20, v30 offset:256
	s_waitcnt lgkmcnt(0)
	v_lshrrev_b32_e32 v20, s69, v20
	v_and_b32_e32 v73, s77, v20
	s_or_b64 exec, exec, s[52:53]
	s_and_saveexec_b64 s[52:53], s[44:45]
	s_cbranch_execnz .LBB189_639
.LBB189_654:                            ;   in Loop: Header=BB189_566 Depth=2
	s_or_b64 exec, exec, s[52:53]
	s_and_saveexec_b64 s[52:53], s[42:43]
	s_cbranch_execz .LBB189_640
.LBB189_655:                            ;   in Loop: Header=BB189_566 Depth=2
	ds_read_u8 v20, v30 offset:768
	s_waitcnt lgkmcnt(0)
	v_lshrrev_b32_e32 v20, s69, v20
	v_and_b32_e32 v70, s77, v20
	s_or_b64 exec, exec, s[52:53]
	s_and_saveexec_b64 s[52:53], s[40:41]
	s_cbranch_execnz .LBB189_641
.LBB189_656:                            ;   in Loop: Header=BB189_566 Depth=2
	s_or_b64 exec, exec, s[52:53]
	s_and_saveexec_b64 s[52:53], s[38:39]
	s_cbranch_execz .LBB189_642
.LBB189_657:                            ;   in Loop: Header=BB189_566 Depth=2
	ds_read_u8 v20, v30 offset:1280
	s_waitcnt lgkmcnt(0)
	v_lshrrev_b32_e32 v20, s69, v20
	v_and_b32_e32 v68, s77, v20
	s_or_b64 exec, exec, s[52:53]
	s_and_saveexec_b64 s[52:53], s[36:37]
	s_cbranch_execnz .LBB189_643
.LBB189_658:                            ;   in Loop: Header=BB189_566 Depth=2
	s_or_b64 exec, exec, s[52:53]
	s_and_saveexec_b64 s[52:53], vcc
	s_cbranch_execz .LBB189_660
.LBB189_659:                            ;   in Loop: Header=BB189_566 Depth=2
	ds_read_u8 v20, v30 offset:1792
	s_waitcnt lgkmcnt(0)
	v_lshrrev_b32_e32 v20, s69, v20
	v_and_b32_e32 v66, s77, v20
.LBB189_660:                            ;   in Loop: Header=BB189_566 Depth=2
	s_or_b64 exec, exec, s[52:53]
	v_lshlrev_b32_e32 v20, 3, v104
	s_barrier
	s_waitcnt vmcnt(0)
	ds_write_b64 v20, v[18:19] offset:1024
	v_lshlrev_b32_e32 v20, 3, v102
	ds_write_b64 v20, v[16:17] offset:1024
	v_lshlrev_b32_e32 v20, 3, v101
	;; [unrolled: 2-line block ×7, first 2 shown]
	ds_write_b64 v20, v[0:1] offset:1024
	s_waitcnt lgkmcnt(0)
	s_barrier
	s_and_saveexec_b64 s[52:53], s[48:49]
	s_cbranch_execz .LBB189_668
; %bb.661:                              ;   in Loop: Header=BB189_566 Depth=2
	v_lshlrev_b32_e32 v20, 2, v75
	ds_read_b32 v22, v20
	v_add_u32_e32 v20, v2, v50
	ds_read_b64 v[20:21], v20 offset:1024
	v_mov_b32_e32 v23, v4
	v_mov_b32_e32 v89, s67
	s_waitcnt lgkmcnt(1)
	v_add_u32_e32 v22, v22, v2
	v_lshlrev_b64 v[22:23], 3, v[22:23]
	v_add_co_u32_e64 v22, s[48:49], s66, v22
	v_addc_co_u32_e64 v23, s[48:49], v89, v23, s[48:49]
	s_waitcnt lgkmcnt(0)
	global_store_dwordx2 v[22:23], v[20:21], off
	s_or_b64 exec, exec, s[52:53]
	v_add_u32_e32 v20, v30, v50
	s_and_saveexec_b64 s[48:49], s[46:47]
	s_cbranch_execnz .LBB189_669
.LBB189_662:                            ;   in Loop: Header=BB189_566 Depth=2
	s_or_b64 exec, exec, s[48:49]
	s_and_saveexec_b64 s[46:47], s[44:45]
	s_cbranch_execz .LBB189_670
.LBB189_663:                            ;   in Loop: Header=BB189_566 Depth=2
	v_lshlrev_b32_e32 v21, 2, v71
	ds_read_b32 v21, v21
	ds_read_b64 v[22:23], v20 offset:4096
	v_mov_b32_e32 v91, v4
	v_mov_b32_e32 v89, s67
	s_waitcnt lgkmcnt(1)
	v_add_u32_e32 v90, v21, v25
	v_lshlrev_b64 v[90:91], 3, v[90:91]
	v_add_co_u32_e64 v90, s[44:45], s66, v90
	v_addc_co_u32_e64 v91, s[44:45], v89, v91, s[44:45]
	s_waitcnt lgkmcnt(0)
	global_store_dwordx2 v[90:91], v[22:23], off
	s_or_b64 exec, exec, s[46:47]
	s_and_saveexec_b64 s[44:45], s[42:43]
	s_cbranch_execnz .LBB189_671
.LBB189_664:                            ;   in Loop: Header=BB189_566 Depth=2
	s_or_b64 exec, exec, s[44:45]
	s_and_saveexec_b64 s[42:43], s[40:41]
	s_cbranch_execz .LBB189_672
.LBB189_665:                            ;   in Loop: Header=BB189_566 Depth=2
	v_lshlrev_b32_e32 v21, 2, v69
	ds_read_b32 v21, v21
	ds_read_b64 v[22:23], v20 offset:8192
	v_mov_b32_e32 v91, v4
	v_mov_b32_e32 v89, s67
	s_waitcnt lgkmcnt(1)
	v_add_u32_e32 v90, v21, v30
	v_lshlrev_b64 v[90:91], 3, v[90:91]
	v_add_co_u32_e64 v90, s[40:41], s66, v90
	v_addc_co_u32_e64 v91, s[40:41], v89, v91, s[40:41]
	s_waitcnt lgkmcnt(0)
	global_store_dwordx2 v[90:91], v[22:23], off
	s_or_b64 exec, exec, s[42:43]
	s_and_saveexec_b64 s[40:41], s[38:39]
	s_cbranch_execnz .LBB189_673
.LBB189_666:                            ;   in Loop: Header=BB189_566 Depth=2
	s_or_b64 exec, exec, s[40:41]
	s_and_saveexec_b64 s[38:39], s[36:37]
	s_cbranch_execz .LBB189_674
.LBB189_667:                            ;   in Loop: Header=BB189_566 Depth=2
	v_lshlrev_b32_e32 v21, 2, v67
	ds_read_b32 v21, v21
	ds_read_b64 v[22:23], v20 offset:12288
	v_mov_b32_e32 v91, v4
	v_mov_b32_e32 v89, s67
	s_waitcnt lgkmcnt(1)
	v_add_u32_e32 v90, v21, v32
	v_lshlrev_b64 v[90:91], 3, v[90:91]
	v_add_co_u32_e64 v90, s[36:37], s66, v90
	v_addc_co_u32_e64 v91, s[36:37], v89, v91, s[36:37]
	s_waitcnt lgkmcnt(0)
	global_store_dwordx2 v[90:91], v[22:23], off
	s_or_b64 exec, exec, s[38:39]
	s_and_saveexec_b64 s[36:37], vcc
	s_cbranch_execnz .LBB189_675
	s_branch .LBB189_676
.LBB189_668:                            ;   in Loop: Header=BB189_566 Depth=2
	s_or_b64 exec, exec, s[52:53]
	v_add_u32_e32 v20, v30, v50
	s_and_saveexec_b64 s[48:49], s[46:47]
	s_cbranch_execz .LBB189_662
.LBB189_669:                            ;   in Loop: Header=BB189_566 Depth=2
	v_lshlrev_b32_e32 v21, 2, v73
	ds_read_b32 v21, v21
	ds_read_b64 v[22:23], v20 offset:2048
	v_mov_b32_e32 v91, v4
	v_mov_b32_e32 v89, s67
	s_waitcnt lgkmcnt(1)
	v_add_u32_e32 v90, v21, v24
	v_lshlrev_b64 v[90:91], 3, v[90:91]
	v_add_co_u32_e64 v90, s[46:47], s66, v90
	v_addc_co_u32_e64 v91, s[46:47], v89, v91, s[46:47]
	s_waitcnt lgkmcnt(0)
	global_store_dwordx2 v[90:91], v[22:23], off
	s_or_b64 exec, exec, s[48:49]
	s_and_saveexec_b64 s[46:47], s[44:45]
	s_cbranch_execnz .LBB189_663
.LBB189_670:                            ;   in Loop: Header=BB189_566 Depth=2
	s_or_b64 exec, exec, s[46:47]
	s_and_saveexec_b64 s[44:45], s[42:43]
	s_cbranch_execz .LBB189_664
.LBB189_671:                            ;   in Loop: Header=BB189_566 Depth=2
	v_lshlrev_b32_e32 v21, 2, v70
	ds_read_b32 v21, v21
	ds_read_b64 v[22:23], v20 offset:6144
	v_mov_b32_e32 v91, v4
	v_mov_b32_e32 v89, s67
	s_waitcnt lgkmcnt(1)
	v_add_u32_e32 v90, v21, v26
	v_lshlrev_b64 v[90:91], 3, v[90:91]
	v_add_co_u32_e64 v90, s[42:43], s66, v90
	v_addc_co_u32_e64 v91, s[42:43], v89, v91, s[42:43]
	s_waitcnt lgkmcnt(0)
	global_store_dwordx2 v[90:91], v[22:23], off
	s_or_b64 exec, exec, s[44:45]
	s_and_saveexec_b64 s[42:43], s[40:41]
	s_cbranch_execnz .LBB189_665
.LBB189_672:                            ;   in Loop: Header=BB189_566 Depth=2
	s_or_b64 exec, exec, s[42:43]
	s_and_saveexec_b64 s[40:41], s[38:39]
	s_cbranch_execz .LBB189_666
.LBB189_673:                            ;   in Loop: Header=BB189_566 Depth=2
	v_lshlrev_b32_e32 v21, 2, v68
	ds_read_b32 v21, v21
	ds_read_b64 v[22:23], v20 offset:10240
	v_mov_b32_e32 v91, v4
	v_mov_b32_e32 v89, s67
	s_waitcnt lgkmcnt(1)
	v_add_u32_e32 v90, v21, v31
	v_lshlrev_b64 v[90:91], 3, v[90:91]
	v_add_co_u32_e64 v90, s[38:39], s66, v90
	v_addc_co_u32_e64 v91, s[38:39], v89, v91, s[38:39]
	s_waitcnt lgkmcnt(0)
	global_store_dwordx2 v[90:91], v[22:23], off
	s_or_b64 exec, exec, s[40:41]
	s_and_saveexec_b64 s[38:39], s[36:37]
	s_cbranch_execnz .LBB189_667
.LBB189_674:                            ;   in Loop: Header=BB189_566 Depth=2
	s_or_b64 exec, exec, s[38:39]
	s_and_saveexec_b64 s[36:37], vcc
	s_cbranch_execz .LBB189_676
.LBB189_675:                            ;   in Loop: Header=BB189_566 Depth=2
	v_lshlrev_b32_e32 v21, 2, v66
	ds_read_b32 v22, v21
	ds_read_b64 v[20:21], v20 offset:14336
	v_mov_b32_e32 v23, v4
	v_mov_b32_e32 v89, s67
	s_waitcnt lgkmcnt(1)
	v_add_u32_e32 v22, v22, v33
	v_lshlrev_b64 v[22:23], 3, v[22:23]
	v_add_co_u32_e32 v22, vcc, s66, v22
	v_addc_co_u32_e32 v23, vcc, v89, v23, vcc
	s_waitcnt lgkmcnt(0)
	global_store_dwordx2 v[22:23], v[20:21], off
.LBB189_676:                            ;   in Loop: Header=BB189_566 Depth=2
	s_or_b64 exec, exec, s[36:37]
	s_barrier
	s_and_saveexec_b64 s[36:37], s[4:5]
	s_cbranch_execz .LBB189_565
; %bb.677:                              ;   in Loop: Header=BB189_566 Depth=2
	ds_read_b32 v20, v3
	s_waitcnt lgkmcnt(0)
	v_add_u32_e32 v5, v20, v5
	ds_write_b32 v3, v5
	s_branch .LBB189_565
.LBB189_678:
	s_endpgm
	.section	.rodata,"a",@progbits
	.p2align	6, 0x0
	.amdhsa_kernel _ZN7rocprim17ROCPRIM_400000_NS6detail17trampoline_kernelINS0_14default_configENS1_36segmented_radix_sort_config_selectorIhlEEZNS1_25segmented_radix_sort_implIS3_Lb0EPKhPhPKlPlN2at6native12_GLOBAL__N_18offset_tEEE10hipError_tPvRmT1_PNSt15iterator_traitsISK_E10value_typeET2_T3_PNSL_ISQ_E10value_typeET4_jRbjT5_SW_jjP12ihipStream_tbEUlT_E_NS1_11comp_targetILNS1_3genE4ELNS1_11target_archE910ELNS1_3gpuE8ELNS1_3repE0EEENS1_30default_config_static_selectorELNS0_4arch9wavefront6targetE1EEEvSK_
		.amdhsa_group_segment_fixed_size 17424
		.amdhsa_private_segment_fixed_size 8
		.amdhsa_kernarg_size 352
		.amdhsa_user_sgpr_count 8
		.amdhsa_user_sgpr_private_segment_buffer 1
		.amdhsa_user_sgpr_dispatch_ptr 0
		.amdhsa_user_sgpr_queue_ptr 0
		.amdhsa_user_sgpr_kernarg_segment_ptr 1
		.amdhsa_user_sgpr_dispatch_id 0
		.amdhsa_user_sgpr_flat_scratch_init 1
		.amdhsa_user_sgpr_kernarg_preload_length 0
		.amdhsa_user_sgpr_kernarg_preload_offset 0
		.amdhsa_user_sgpr_private_segment_size 0
		.amdhsa_uses_dynamic_stack 0
		.amdhsa_system_sgpr_private_segment_wavefront_offset 1
		.amdhsa_system_sgpr_workgroup_id_x 1
		.amdhsa_system_sgpr_workgroup_id_y 1
		.amdhsa_system_sgpr_workgroup_id_z 0
		.amdhsa_system_sgpr_workgroup_info 0
		.amdhsa_system_vgpr_workitem_id 2
		.amdhsa_next_free_vgpr 180
		.amdhsa_next_free_sgpr 80
		.amdhsa_accum_offset 180
		.amdhsa_reserve_vcc 1
		.amdhsa_reserve_flat_scratch 1
		.amdhsa_float_round_mode_32 0
		.amdhsa_float_round_mode_16_64 0
		.amdhsa_float_denorm_mode_32 3
		.amdhsa_float_denorm_mode_16_64 3
		.amdhsa_dx10_clamp 1
		.amdhsa_ieee_mode 1
		.amdhsa_fp16_overflow 0
		.amdhsa_tg_split 0
		.amdhsa_exception_fp_ieee_invalid_op 0
		.amdhsa_exception_fp_denorm_src 0
		.amdhsa_exception_fp_ieee_div_zero 0
		.amdhsa_exception_fp_ieee_overflow 0
		.amdhsa_exception_fp_ieee_underflow 0
		.amdhsa_exception_fp_ieee_inexact 0
		.amdhsa_exception_int_div_zero 0
	.end_amdhsa_kernel
	.section	.text._ZN7rocprim17ROCPRIM_400000_NS6detail17trampoline_kernelINS0_14default_configENS1_36segmented_radix_sort_config_selectorIhlEEZNS1_25segmented_radix_sort_implIS3_Lb0EPKhPhPKlPlN2at6native12_GLOBAL__N_18offset_tEEE10hipError_tPvRmT1_PNSt15iterator_traitsISK_E10value_typeET2_T3_PNSL_ISQ_E10value_typeET4_jRbjT5_SW_jjP12ihipStream_tbEUlT_E_NS1_11comp_targetILNS1_3genE4ELNS1_11target_archE910ELNS1_3gpuE8ELNS1_3repE0EEENS1_30default_config_static_selectorELNS0_4arch9wavefront6targetE1EEEvSK_,"axG",@progbits,_ZN7rocprim17ROCPRIM_400000_NS6detail17trampoline_kernelINS0_14default_configENS1_36segmented_radix_sort_config_selectorIhlEEZNS1_25segmented_radix_sort_implIS3_Lb0EPKhPhPKlPlN2at6native12_GLOBAL__N_18offset_tEEE10hipError_tPvRmT1_PNSt15iterator_traitsISK_E10value_typeET2_T3_PNSL_ISQ_E10value_typeET4_jRbjT5_SW_jjP12ihipStream_tbEUlT_E_NS1_11comp_targetILNS1_3genE4ELNS1_11target_archE910ELNS1_3gpuE8ELNS1_3repE0EEENS1_30default_config_static_selectorELNS0_4arch9wavefront6targetE1EEEvSK_,comdat
.Lfunc_end189:
	.size	_ZN7rocprim17ROCPRIM_400000_NS6detail17trampoline_kernelINS0_14default_configENS1_36segmented_radix_sort_config_selectorIhlEEZNS1_25segmented_radix_sort_implIS3_Lb0EPKhPhPKlPlN2at6native12_GLOBAL__N_18offset_tEEE10hipError_tPvRmT1_PNSt15iterator_traitsISK_E10value_typeET2_T3_PNSL_ISQ_E10value_typeET4_jRbjT5_SW_jjP12ihipStream_tbEUlT_E_NS1_11comp_targetILNS1_3genE4ELNS1_11target_archE910ELNS1_3gpuE8ELNS1_3repE0EEENS1_30default_config_static_selectorELNS0_4arch9wavefront6targetE1EEEvSK_, .Lfunc_end189-_ZN7rocprim17ROCPRIM_400000_NS6detail17trampoline_kernelINS0_14default_configENS1_36segmented_radix_sort_config_selectorIhlEEZNS1_25segmented_radix_sort_implIS3_Lb0EPKhPhPKlPlN2at6native12_GLOBAL__N_18offset_tEEE10hipError_tPvRmT1_PNSt15iterator_traitsISK_E10value_typeET2_T3_PNSL_ISQ_E10value_typeET4_jRbjT5_SW_jjP12ihipStream_tbEUlT_E_NS1_11comp_targetILNS1_3genE4ELNS1_11target_archE910ELNS1_3gpuE8ELNS1_3repE0EEENS1_30default_config_static_selectorELNS0_4arch9wavefront6targetE1EEEvSK_
                                        ; -- End function
	.section	.AMDGPU.csdata,"",@progbits
; Kernel info:
; codeLenInByte = 34732
; NumSgprs: 86
; NumVgprs: 180
; NumAgprs: 0
; TotalNumVgprs: 180
; ScratchSize: 8
; MemoryBound: 0
; FloatMode: 240
; IeeeMode: 1
; LDSByteSize: 17424 bytes/workgroup (compile time only)
; SGPRBlocks: 10
; VGPRBlocks: 22
; NumSGPRsForWavesPerEU: 86
; NumVGPRsForWavesPerEU: 180
; AccumOffset: 180
; Occupancy: 2
; WaveLimiterHint : 1
; COMPUTE_PGM_RSRC2:SCRATCH_EN: 1
; COMPUTE_PGM_RSRC2:USER_SGPR: 8
; COMPUTE_PGM_RSRC2:TRAP_HANDLER: 0
; COMPUTE_PGM_RSRC2:TGID_X_EN: 1
; COMPUTE_PGM_RSRC2:TGID_Y_EN: 1
; COMPUTE_PGM_RSRC2:TGID_Z_EN: 0
; COMPUTE_PGM_RSRC2:TIDIG_COMP_CNT: 2
; COMPUTE_PGM_RSRC3_GFX90A:ACCUM_OFFSET: 44
; COMPUTE_PGM_RSRC3_GFX90A:TG_SPLIT: 0
	.section	.text._ZN7rocprim17ROCPRIM_400000_NS6detail17trampoline_kernelINS0_14default_configENS1_36segmented_radix_sort_config_selectorIhlEEZNS1_25segmented_radix_sort_implIS3_Lb0EPKhPhPKlPlN2at6native12_GLOBAL__N_18offset_tEEE10hipError_tPvRmT1_PNSt15iterator_traitsISK_E10value_typeET2_T3_PNSL_ISQ_E10value_typeET4_jRbjT5_SW_jjP12ihipStream_tbEUlT_E_NS1_11comp_targetILNS1_3genE3ELNS1_11target_archE908ELNS1_3gpuE7ELNS1_3repE0EEENS1_30default_config_static_selectorELNS0_4arch9wavefront6targetE1EEEvSK_,"axG",@progbits,_ZN7rocprim17ROCPRIM_400000_NS6detail17trampoline_kernelINS0_14default_configENS1_36segmented_radix_sort_config_selectorIhlEEZNS1_25segmented_radix_sort_implIS3_Lb0EPKhPhPKlPlN2at6native12_GLOBAL__N_18offset_tEEE10hipError_tPvRmT1_PNSt15iterator_traitsISK_E10value_typeET2_T3_PNSL_ISQ_E10value_typeET4_jRbjT5_SW_jjP12ihipStream_tbEUlT_E_NS1_11comp_targetILNS1_3genE3ELNS1_11target_archE908ELNS1_3gpuE7ELNS1_3repE0EEENS1_30default_config_static_selectorELNS0_4arch9wavefront6targetE1EEEvSK_,comdat
	.globl	_ZN7rocprim17ROCPRIM_400000_NS6detail17trampoline_kernelINS0_14default_configENS1_36segmented_radix_sort_config_selectorIhlEEZNS1_25segmented_radix_sort_implIS3_Lb0EPKhPhPKlPlN2at6native12_GLOBAL__N_18offset_tEEE10hipError_tPvRmT1_PNSt15iterator_traitsISK_E10value_typeET2_T3_PNSL_ISQ_E10value_typeET4_jRbjT5_SW_jjP12ihipStream_tbEUlT_E_NS1_11comp_targetILNS1_3genE3ELNS1_11target_archE908ELNS1_3gpuE7ELNS1_3repE0EEENS1_30default_config_static_selectorELNS0_4arch9wavefront6targetE1EEEvSK_ ; -- Begin function _ZN7rocprim17ROCPRIM_400000_NS6detail17trampoline_kernelINS0_14default_configENS1_36segmented_radix_sort_config_selectorIhlEEZNS1_25segmented_radix_sort_implIS3_Lb0EPKhPhPKlPlN2at6native12_GLOBAL__N_18offset_tEEE10hipError_tPvRmT1_PNSt15iterator_traitsISK_E10value_typeET2_T3_PNSL_ISQ_E10value_typeET4_jRbjT5_SW_jjP12ihipStream_tbEUlT_E_NS1_11comp_targetILNS1_3genE3ELNS1_11target_archE908ELNS1_3gpuE7ELNS1_3repE0EEENS1_30default_config_static_selectorELNS0_4arch9wavefront6targetE1EEEvSK_
	.p2align	8
	.type	_ZN7rocprim17ROCPRIM_400000_NS6detail17trampoline_kernelINS0_14default_configENS1_36segmented_radix_sort_config_selectorIhlEEZNS1_25segmented_radix_sort_implIS3_Lb0EPKhPhPKlPlN2at6native12_GLOBAL__N_18offset_tEEE10hipError_tPvRmT1_PNSt15iterator_traitsISK_E10value_typeET2_T3_PNSL_ISQ_E10value_typeET4_jRbjT5_SW_jjP12ihipStream_tbEUlT_E_NS1_11comp_targetILNS1_3genE3ELNS1_11target_archE908ELNS1_3gpuE7ELNS1_3repE0EEENS1_30default_config_static_selectorELNS0_4arch9wavefront6targetE1EEEvSK_,@function
_ZN7rocprim17ROCPRIM_400000_NS6detail17trampoline_kernelINS0_14default_configENS1_36segmented_radix_sort_config_selectorIhlEEZNS1_25segmented_radix_sort_implIS3_Lb0EPKhPhPKlPlN2at6native12_GLOBAL__N_18offset_tEEE10hipError_tPvRmT1_PNSt15iterator_traitsISK_E10value_typeET2_T3_PNSL_ISQ_E10value_typeET4_jRbjT5_SW_jjP12ihipStream_tbEUlT_E_NS1_11comp_targetILNS1_3genE3ELNS1_11target_archE908ELNS1_3gpuE7ELNS1_3repE0EEENS1_30default_config_static_selectorELNS0_4arch9wavefront6targetE1EEEvSK_: ; @_ZN7rocprim17ROCPRIM_400000_NS6detail17trampoline_kernelINS0_14default_configENS1_36segmented_radix_sort_config_selectorIhlEEZNS1_25segmented_radix_sort_implIS3_Lb0EPKhPhPKlPlN2at6native12_GLOBAL__N_18offset_tEEE10hipError_tPvRmT1_PNSt15iterator_traitsISK_E10value_typeET2_T3_PNSL_ISQ_E10value_typeET4_jRbjT5_SW_jjP12ihipStream_tbEUlT_E_NS1_11comp_targetILNS1_3genE3ELNS1_11target_archE908ELNS1_3gpuE7ELNS1_3repE0EEENS1_30default_config_static_selectorELNS0_4arch9wavefront6targetE1EEEvSK_
; %bb.0:
	.section	.rodata,"a",@progbits
	.p2align	6, 0x0
	.amdhsa_kernel _ZN7rocprim17ROCPRIM_400000_NS6detail17trampoline_kernelINS0_14default_configENS1_36segmented_radix_sort_config_selectorIhlEEZNS1_25segmented_radix_sort_implIS3_Lb0EPKhPhPKlPlN2at6native12_GLOBAL__N_18offset_tEEE10hipError_tPvRmT1_PNSt15iterator_traitsISK_E10value_typeET2_T3_PNSL_ISQ_E10value_typeET4_jRbjT5_SW_jjP12ihipStream_tbEUlT_E_NS1_11comp_targetILNS1_3genE3ELNS1_11target_archE908ELNS1_3gpuE7ELNS1_3repE0EEENS1_30default_config_static_selectorELNS0_4arch9wavefront6targetE1EEEvSK_
		.amdhsa_group_segment_fixed_size 0
		.amdhsa_private_segment_fixed_size 0
		.amdhsa_kernarg_size 96
		.amdhsa_user_sgpr_count 6
		.amdhsa_user_sgpr_private_segment_buffer 1
		.amdhsa_user_sgpr_dispatch_ptr 0
		.amdhsa_user_sgpr_queue_ptr 0
		.amdhsa_user_sgpr_kernarg_segment_ptr 1
		.amdhsa_user_sgpr_dispatch_id 0
		.amdhsa_user_sgpr_flat_scratch_init 0
		.amdhsa_user_sgpr_kernarg_preload_length 0
		.amdhsa_user_sgpr_kernarg_preload_offset 0
		.amdhsa_user_sgpr_private_segment_size 0
		.amdhsa_uses_dynamic_stack 0
		.amdhsa_system_sgpr_private_segment_wavefront_offset 0
		.amdhsa_system_sgpr_workgroup_id_x 1
		.amdhsa_system_sgpr_workgroup_id_y 0
		.amdhsa_system_sgpr_workgroup_id_z 0
		.amdhsa_system_sgpr_workgroup_info 0
		.amdhsa_system_vgpr_workitem_id 0
		.amdhsa_next_free_vgpr 1
		.amdhsa_next_free_sgpr 0
		.amdhsa_accum_offset 4
		.amdhsa_reserve_vcc 0
		.amdhsa_reserve_flat_scratch 0
		.amdhsa_float_round_mode_32 0
		.amdhsa_float_round_mode_16_64 0
		.amdhsa_float_denorm_mode_32 3
		.amdhsa_float_denorm_mode_16_64 3
		.amdhsa_dx10_clamp 1
		.amdhsa_ieee_mode 1
		.amdhsa_fp16_overflow 0
		.amdhsa_tg_split 0
		.amdhsa_exception_fp_ieee_invalid_op 0
		.amdhsa_exception_fp_denorm_src 0
		.amdhsa_exception_fp_ieee_div_zero 0
		.amdhsa_exception_fp_ieee_overflow 0
		.amdhsa_exception_fp_ieee_underflow 0
		.amdhsa_exception_fp_ieee_inexact 0
		.amdhsa_exception_int_div_zero 0
	.end_amdhsa_kernel
	.section	.text._ZN7rocprim17ROCPRIM_400000_NS6detail17trampoline_kernelINS0_14default_configENS1_36segmented_radix_sort_config_selectorIhlEEZNS1_25segmented_radix_sort_implIS3_Lb0EPKhPhPKlPlN2at6native12_GLOBAL__N_18offset_tEEE10hipError_tPvRmT1_PNSt15iterator_traitsISK_E10value_typeET2_T3_PNSL_ISQ_E10value_typeET4_jRbjT5_SW_jjP12ihipStream_tbEUlT_E_NS1_11comp_targetILNS1_3genE3ELNS1_11target_archE908ELNS1_3gpuE7ELNS1_3repE0EEENS1_30default_config_static_selectorELNS0_4arch9wavefront6targetE1EEEvSK_,"axG",@progbits,_ZN7rocprim17ROCPRIM_400000_NS6detail17trampoline_kernelINS0_14default_configENS1_36segmented_radix_sort_config_selectorIhlEEZNS1_25segmented_radix_sort_implIS3_Lb0EPKhPhPKlPlN2at6native12_GLOBAL__N_18offset_tEEE10hipError_tPvRmT1_PNSt15iterator_traitsISK_E10value_typeET2_T3_PNSL_ISQ_E10value_typeET4_jRbjT5_SW_jjP12ihipStream_tbEUlT_E_NS1_11comp_targetILNS1_3genE3ELNS1_11target_archE908ELNS1_3gpuE7ELNS1_3repE0EEENS1_30default_config_static_selectorELNS0_4arch9wavefront6targetE1EEEvSK_,comdat
.Lfunc_end190:
	.size	_ZN7rocprim17ROCPRIM_400000_NS6detail17trampoline_kernelINS0_14default_configENS1_36segmented_radix_sort_config_selectorIhlEEZNS1_25segmented_radix_sort_implIS3_Lb0EPKhPhPKlPlN2at6native12_GLOBAL__N_18offset_tEEE10hipError_tPvRmT1_PNSt15iterator_traitsISK_E10value_typeET2_T3_PNSL_ISQ_E10value_typeET4_jRbjT5_SW_jjP12ihipStream_tbEUlT_E_NS1_11comp_targetILNS1_3genE3ELNS1_11target_archE908ELNS1_3gpuE7ELNS1_3repE0EEENS1_30default_config_static_selectorELNS0_4arch9wavefront6targetE1EEEvSK_, .Lfunc_end190-_ZN7rocprim17ROCPRIM_400000_NS6detail17trampoline_kernelINS0_14default_configENS1_36segmented_radix_sort_config_selectorIhlEEZNS1_25segmented_radix_sort_implIS3_Lb0EPKhPhPKlPlN2at6native12_GLOBAL__N_18offset_tEEE10hipError_tPvRmT1_PNSt15iterator_traitsISK_E10value_typeET2_T3_PNSL_ISQ_E10value_typeET4_jRbjT5_SW_jjP12ihipStream_tbEUlT_E_NS1_11comp_targetILNS1_3genE3ELNS1_11target_archE908ELNS1_3gpuE7ELNS1_3repE0EEENS1_30default_config_static_selectorELNS0_4arch9wavefront6targetE1EEEvSK_
                                        ; -- End function
	.section	.AMDGPU.csdata,"",@progbits
; Kernel info:
; codeLenInByte = 0
; NumSgprs: 4
; NumVgprs: 0
; NumAgprs: 0
; TotalNumVgprs: 0
; ScratchSize: 0
; MemoryBound: 0
; FloatMode: 240
; IeeeMode: 1
; LDSByteSize: 0 bytes/workgroup (compile time only)
; SGPRBlocks: 0
; VGPRBlocks: 0
; NumSGPRsForWavesPerEU: 4
; NumVGPRsForWavesPerEU: 1
; AccumOffset: 4
; Occupancy: 8
; WaveLimiterHint : 0
; COMPUTE_PGM_RSRC2:SCRATCH_EN: 0
; COMPUTE_PGM_RSRC2:USER_SGPR: 6
; COMPUTE_PGM_RSRC2:TRAP_HANDLER: 0
; COMPUTE_PGM_RSRC2:TGID_X_EN: 1
; COMPUTE_PGM_RSRC2:TGID_Y_EN: 0
; COMPUTE_PGM_RSRC2:TGID_Z_EN: 0
; COMPUTE_PGM_RSRC2:TIDIG_COMP_CNT: 0
; COMPUTE_PGM_RSRC3_GFX90A:ACCUM_OFFSET: 0
; COMPUTE_PGM_RSRC3_GFX90A:TG_SPLIT: 0
	.section	.text._ZN7rocprim17ROCPRIM_400000_NS6detail17trampoline_kernelINS0_14default_configENS1_36segmented_radix_sort_config_selectorIhlEEZNS1_25segmented_radix_sort_implIS3_Lb0EPKhPhPKlPlN2at6native12_GLOBAL__N_18offset_tEEE10hipError_tPvRmT1_PNSt15iterator_traitsISK_E10value_typeET2_T3_PNSL_ISQ_E10value_typeET4_jRbjT5_SW_jjP12ihipStream_tbEUlT_E_NS1_11comp_targetILNS1_3genE2ELNS1_11target_archE906ELNS1_3gpuE6ELNS1_3repE0EEENS1_30default_config_static_selectorELNS0_4arch9wavefront6targetE1EEEvSK_,"axG",@progbits,_ZN7rocprim17ROCPRIM_400000_NS6detail17trampoline_kernelINS0_14default_configENS1_36segmented_radix_sort_config_selectorIhlEEZNS1_25segmented_radix_sort_implIS3_Lb0EPKhPhPKlPlN2at6native12_GLOBAL__N_18offset_tEEE10hipError_tPvRmT1_PNSt15iterator_traitsISK_E10value_typeET2_T3_PNSL_ISQ_E10value_typeET4_jRbjT5_SW_jjP12ihipStream_tbEUlT_E_NS1_11comp_targetILNS1_3genE2ELNS1_11target_archE906ELNS1_3gpuE6ELNS1_3repE0EEENS1_30default_config_static_selectorELNS0_4arch9wavefront6targetE1EEEvSK_,comdat
	.globl	_ZN7rocprim17ROCPRIM_400000_NS6detail17trampoline_kernelINS0_14default_configENS1_36segmented_radix_sort_config_selectorIhlEEZNS1_25segmented_radix_sort_implIS3_Lb0EPKhPhPKlPlN2at6native12_GLOBAL__N_18offset_tEEE10hipError_tPvRmT1_PNSt15iterator_traitsISK_E10value_typeET2_T3_PNSL_ISQ_E10value_typeET4_jRbjT5_SW_jjP12ihipStream_tbEUlT_E_NS1_11comp_targetILNS1_3genE2ELNS1_11target_archE906ELNS1_3gpuE6ELNS1_3repE0EEENS1_30default_config_static_selectorELNS0_4arch9wavefront6targetE1EEEvSK_ ; -- Begin function _ZN7rocprim17ROCPRIM_400000_NS6detail17trampoline_kernelINS0_14default_configENS1_36segmented_radix_sort_config_selectorIhlEEZNS1_25segmented_radix_sort_implIS3_Lb0EPKhPhPKlPlN2at6native12_GLOBAL__N_18offset_tEEE10hipError_tPvRmT1_PNSt15iterator_traitsISK_E10value_typeET2_T3_PNSL_ISQ_E10value_typeET4_jRbjT5_SW_jjP12ihipStream_tbEUlT_E_NS1_11comp_targetILNS1_3genE2ELNS1_11target_archE906ELNS1_3gpuE6ELNS1_3repE0EEENS1_30default_config_static_selectorELNS0_4arch9wavefront6targetE1EEEvSK_
	.p2align	8
	.type	_ZN7rocprim17ROCPRIM_400000_NS6detail17trampoline_kernelINS0_14default_configENS1_36segmented_radix_sort_config_selectorIhlEEZNS1_25segmented_radix_sort_implIS3_Lb0EPKhPhPKlPlN2at6native12_GLOBAL__N_18offset_tEEE10hipError_tPvRmT1_PNSt15iterator_traitsISK_E10value_typeET2_T3_PNSL_ISQ_E10value_typeET4_jRbjT5_SW_jjP12ihipStream_tbEUlT_E_NS1_11comp_targetILNS1_3genE2ELNS1_11target_archE906ELNS1_3gpuE6ELNS1_3repE0EEENS1_30default_config_static_selectorELNS0_4arch9wavefront6targetE1EEEvSK_,@function
_ZN7rocprim17ROCPRIM_400000_NS6detail17trampoline_kernelINS0_14default_configENS1_36segmented_radix_sort_config_selectorIhlEEZNS1_25segmented_radix_sort_implIS3_Lb0EPKhPhPKlPlN2at6native12_GLOBAL__N_18offset_tEEE10hipError_tPvRmT1_PNSt15iterator_traitsISK_E10value_typeET2_T3_PNSL_ISQ_E10value_typeET4_jRbjT5_SW_jjP12ihipStream_tbEUlT_E_NS1_11comp_targetILNS1_3genE2ELNS1_11target_archE906ELNS1_3gpuE6ELNS1_3repE0EEENS1_30default_config_static_selectorELNS0_4arch9wavefront6targetE1EEEvSK_: ; @_ZN7rocprim17ROCPRIM_400000_NS6detail17trampoline_kernelINS0_14default_configENS1_36segmented_radix_sort_config_selectorIhlEEZNS1_25segmented_radix_sort_implIS3_Lb0EPKhPhPKlPlN2at6native12_GLOBAL__N_18offset_tEEE10hipError_tPvRmT1_PNSt15iterator_traitsISK_E10value_typeET2_T3_PNSL_ISQ_E10value_typeET4_jRbjT5_SW_jjP12ihipStream_tbEUlT_E_NS1_11comp_targetILNS1_3genE2ELNS1_11target_archE906ELNS1_3gpuE6ELNS1_3repE0EEENS1_30default_config_static_selectorELNS0_4arch9wavefront6targetE1EEEvSK_
; %bb.0:
	.section	.rodata,"a",@progbits
	.p2align	6, 0x0
	.amdhsa_kernel _ZN7rocprim17ROCPRIM_400000_NS6detail17trampoline_kernelINS0_14default_configENS1_36segmented_radix_sort_config_selectorIhlEEZNS1_25segmented_radix_sort_implIS3_Lb0EPKhPhPKlPlN2at6native12_GLOBAL__N_18offset_tEEE10hipError_tPvRmT1_PNSt15iterator_traitsISK_E10value_typeET2_T3_PNSL_ISQ_E10value_typeET4_jRbjT5_SW_jjP12ihipStream_tbEUlT_E_NS1_11comp_targetILNS1_3genE2ELNS1_11target_archE906ELNS1_3gpuE6ELNS1_3repE0EEENS1_30default_config_static_selectorELNS0_4arch9wavefront6targetE1EEEvSK_
		.amdhsa_group_segment_fixed_size 0
		.amdhsa_private_segment_fixed_size 0
		.amdhsa_kernarg_size 96
		.amdhsa_user_sgpr_count 6
		.amdhsa_user_sgpr_private_segment_buffer 1
		.amdhsa_user_sgpr_dispatch_ptr 0
		.amdhsa_user_sgpr_queue_ptr 0
		.amdhsa_user_sgpr_kernarg_segment_ptr 1
		.amdhsa_user_sgpr_dispatch_id 0
		.amdhsa_user_sgpr_flat_scratch_init 0
		.amdhsa_user_sgpr_kernarg_preload_length 0
		.amdhsa_user_sgpr_kernarg_preload_offset 0
		.amdhsa_user_sgpr_private_segment_size 0
		.amdhsa_uses_dynamic_stack 0
		.amdhsa_system_sgpr_private_segment_wavefront_offset 0
		.amdhsa_system_sgpr_workgroup_id_x 1
		.amdhsa_system_sgpr_workgroup_id_y 0
		.amdhsa_system_sgpr_workgroup_id_z 0
		.amdhsa_system_sgpr_workgroup_info 0
		.amdhsa_system_vgpr_workitem_id 0
		.amdhsa_next_free_vgpr 1
		.amdhsa_next_free_sgpr 0
		.amdhsa_accum_offset 4
		.amdhsa_reserve_vcc 0
		.amdhsa_reserve_flat_scratch 0
		.amdhsa_float_round_mode_32 0
		.amdhsa_float_round_mode_16_64 0
		.amdhsa_float_denorm_mode_32 3
		.amdhsa_float_denorm_mode_16_64 3
		.amdhsa_dx10_clamp 1
		.amdhsa_ieee_mode 1
		.amdhsa_fp16_overflow 0
		.amdhsa_tg_split 0
		.amdhsa_exception_fp_ieee_invalid_op 0
		.amdhsa_exception_fp_denorm_src 0
		.amdhsa_exception_fp_ieee_div_zero 0
		.amdhsa_exception_fp_ieee_overflow 0
		.amdhsa_exception_fp_ieee_underflow 0
		.amdhsa_exception_fp_ieee_inexact 0
		.amdhsa_exception_int_div_zero 0
	.end_amdhsa_kernel
	.section	.text._ZN7rocprim17ROCPRIM_400000_NS6detail17trampoline_kernelINS0_14default_configENS1_36segmented_radix_sort_config_selectorIhlEEZNS1_25segmented_radix_sort_implIS3_Lb0EPKhPhPKlPlN2at6native12_GLOBAL__N_18offset_tEEE10hipError_tPvRmT1_PNSt15iterator_traitsISK_E10value_typeET2_T3_PNSL_ISQ_E10value_typeET4_jRbjT5_SW_jjP12ihipStream_tbEUlT_E_NS1_11comp_targetILNS1_3genE2ELNS1_11target_archE906ELNS1_3gpuE6ELNS1_3repE0EEENS1_30default_config_static_selectorELNS0_4arch9wavefront6targetE1EEEvSK_,"axG",@progbits,_ZN7rocprim17ROCPRIM_400000_NS6detail17trampoline_kernelINS0_14default_configENS1_36segmented_radix_sort_config_selectorIhlEEZNS1_25segmented_radix_sort_implIS3_Lb0EPKhPhPKlPlN2at6native12_GLOBAL__N_18offset_tEEE10hipError_tPvRmT1_PNSt15iterator_traitsISK_E10value_typeET2_T3_PNSL_ISQ_E10value_typeET4_jRbjT5_SW_jjP12ihipStream_tbEUlT_E_NS1_11comp_targetILNS1_3genE2ELNS1_11target_archE906ELNS1_3gpuE6ELNS1_3repE0EEENS1_30default_config_static_selectorELNS0_4arch9wavefront6targetE1EEEvSK_,comdat
.Lfunc_end191:
	.size	_ZN7rocprim17ROCPRIM_400000_NS6detail17trampoline_kernelINS0_14default_configENS1_36segmented_radix_sort_config_selectorIhlEEZNS1_25segmented_radix_sort_implIS3_Lb0EPKhPhPKlPlN2at6native12_GLOBAL__N_18offset_tEEE10hipError_tPvRmT1_PNSt15iterator_traitsISK_E10value_typeET2_T3_PNSL_ISQ_E10value_typeET4_jRbjT5_SW_jjP12ihipStream_tbEUlT_E_NS1_11comp_targetILNS1_3genE2ELNS1_11target_archE906ELNS1_3gpuE6ELNS1_3repE0EEENS1_30default_config_static_selectorELNS0_4arch9wavefront6targetE1EEEvSK_, .Lfunc_end191-_ZN7rocprim17ROCPRIM_400000_NS6detail17trampoline_kernelINS0_14default_configENS1_36segmented_radix_sort_config_selectorIhlEEZNS1_25segmented_radix_sort_implIS3_Lb0EPKhPhPKlPlN2at6native12_GLOBAL__N_18offset_tEEE10hipError_tPvRmT1_PNSt15iterator_traitsISK_E10value_typeET2_T3_PNSL_ISQ_E10value_typeET4_jRbjT5_SW_jjP12ihipStream_tbEUlT_E_NS1_11comp_targetILNS1_3genE2ELNS1_11target_archE906ELNS1_3gpuE6ELNS1_3repE0EEENS1_30default_config_static_selectorELNS0_4arch9wavefront6targetE1EEEvSK_
                                        ; -- End function
	.section	.AMDGPU.csdata,"",@progbits
; Kernel info:
; codeLenInByte = 0
; NumSgprs: 4
; NumVgprs: 0
; NumAgprs: 0
; TotalNumVgprs: 0
; ScratchSize: 0
; MemoryBound: 0
; FloatMode: 240
; IeeeMode: 1
; LDSByteSize: 0 bytes/workgroup (compile time only)
; SGPRBlocks: 0
; VGPRBlocks: 0
; NumSGPRsForWavesPerEU: 4
; NumVGPRsForWavesPerEU: 1
; AccumOffset: 4
; Occupancy: 8
; WaveLimiterHint : 0
; COMPUTE_PGM_RSRC2:SCRATCH_EN: 0
; COMPUTE_PGM_RSRC2:USER_SGPR: 6
; COMPUTE_PGM_RSRC2:TRAP_HANDLER: 0
; COMPUTE_PGM_RSRC2:TGID_X_EN: 1
; COMPUTE_PGM_RSRC2:TGID_Y_EN: 0
; COMPUTE_PGM_RSRC2:TGID_Z_EN: 0
; COMPUTE_PGM_RSRC2:TIDIG_COMP_CNT: 0
; COMPUTE_PGM_RSRC3_GFX90A:ACCUM_OFFSET: 0
; COMPUTE_PGM_RSRC3_GFX90A:TG_SPLIT: 0
	.section	.text._ZN7rocprim17ROCPRIM_400000_NS6detail17trampoline_kernelINS0_14default_configENS1_36segmented_radix_sort_config_selectorIhlEEZNS1_25segmented_radix_sort_implIS3_Lb0EPKhPhPKlPlN2at6native12_GLOBAL__N_18offset_tEEE10hipError_tPvRmT1_PNSt15iterator_traitsISK_E10value_typeET2_T3_PNSL_ISQ_E10value_typeET4_jRbjT5_SW_jjP12ihipStream_tbEUlT_E_NS1_11comp_targetILNS1_3genE10ELNS1_11target_archE1201ELNS1_3gpuE5ELNS1_3repE0EEENS1_30default_config_static_selectorELNS0_4arch9wavefront6targetE1EEEvSK_,"axG",@progbits,_ZN7rocprim17ROCPRIM_400000_NS6detail17trampoline_kernelINS0_14default_configENS1_36segmented_radix_sort_config_selectorIhlEEZNS1_25segmented_radix_sort_implIS3_Lb0EPKhPhPKlPlN2at6native12_GLOBAL__N_18offset_tEEE10hipError_tPvRmT1_PNSt15iterator_traitsISK_E10value_typeET2_T3_PNSL_ISQ_E10value_typeET4_jRbjT5_SW_jjP12ihipStream_tbEUlT_E_NS1_11comp_targetILNS1_3genE10ELNS1_11target_archE1201ELNS1_3gpuE5ELNS1_3repE0EEENS1_30default_config_static_selectorELNS0_4arch9wavefront6targetE1EEEvSK_,comdat
	.globl	_ZN7rocprim17ROCPRIM_400000_NS6detail17trampoline_kernelINS0_14default_configENS1_36segmented_radix_sort_config_selectorIhlEEZNS1_25segmented_radix_sort_implIS3_Lb0EPKhPhPKlPlN2at6native12_GLOBAL__N_18offset_tEEE10hipError_tPvRmT1_PNSt15iterator_traitsISK_E10value_typeET2_T3_PNSL_ISQ_E10value_typeET4_jRbjT5_SW_jjP12ihipStream_tbEUlT_E_NS1_11comp_targetILNS1_3genE10ELNS1_11target_archE1201ELNS1_3gpuE5ELNS1_3repE0EEENS1_30default_config_static_selectorELNS0_4arch9wavefront6targetE1EEEvSK_ ; -- Begin function _ZN7rocprim17ROCPRIM_400000_NS6detail17trampoline_kernelINS0_14default_configENS1_36segmented_radix_sort_config_selectorIhlEEZNS1_25segmented_radix_sort_implIS3_Lb0EPKhPhPKlPlN2at6native12_GLOBAL__N_18offset_tEEE10hipError_tPvRmT1_PNSt15iterator_traitsISK_E10value_typeET2_T3_PNSL_ISQ_E10value_typeET4_jRbjT5_SW_jjP12ihipStream_tbEUlT_E_NS1_11comp_targetILNS1_3genE10ELNS1_11target_archE1201ELNS1_3gpuE5ELNS1_3repE0EEENS1_30default_config_static_selectorELNS0_4arch9wavefront6targetE1EEEvSK_
	.p2align	8
	.type	_ZN7rocprim17ROCPRIM_400000_NS6detail17trampoline_kernelINS0_14default_configENS1_36segmented_radix_sort_config_selectorIhlEEZNS1_25segmented_radix_sort_implIS3_Lb0EPKhPhPKlPlN2at6native12_GLOBAL__N_18offset_tEEE10hipError_tPvRmT1_PNSt15iterator_traitsISK_E10value_typeET2_T3_PNSL_ISQ_E10value_typeET4_jRbjT5_SW_jjP12ihipStream_tbEUlT_E_NS1_11comp_targetILNS1_3genE10ELNS1_11target_archE1201ELNS1_3gpuE5ELNS1_3repE0EEENS1_30default_config_static_selectorELNS0_4arch9wavefront6targetE1EEEvSK_,@function
_ZN7rocprim17ROCPRIM_400000_NS6detail17trampoline_kernelINS0_14default_configENS1_36segmented_radix_sort_config_selectorIhlEEZNS1_25segmented_radix_sort_implIS3_Lb0EPKhPhPKlPlN2at6native12_GLOBAL__N_18offset_tEEE10hipError_tPvRmT1_PNSt15iterator_traitsISK_E10value_typeET2_T3_PNSL_ISQ_E10value_typeET4_jRbjT5_SW_jjP12ihipStream_tbEUlT_E_NS1_11comp_targetILNS1_3genE10ELNS1_11target_archE1201ELNS1_3gpuE5ELNS1_3repE0EEENS1_30default_config_static_selectorELNS0_4arch9wavefront6targetE1EEEvSK_: ; @_ZN7rocprim17ROCPRIM_400000_NS6detail17trampoline_kernelINS0_14default_configENS1_36segmented_radix_sort_config_selectorIhlEEZNS1_25segmented_radix_sort_implIS3_Lb0EPKhPhPKlPlN2at6native12_GLOBAL__N_18offset_tEEE10hipError_tPvRmT1_PNSt15iterator_traitsISK_E10value_typeET2_T3_PNSL_ISQ_E10value_typeET4_jRbjT5_SW_jjP12ihipStream_tbEUlT_E_NS1_11comp_targetILNS1_3genE10ELNS1_11target_archE1201ELNS1_3gpuE5ELNS1_3repE0EEENS1_30default_config_static_selectorELNS0_4arch9wavefront6targetE1EEEvSK_
; %bb.0:
	.section	.rodata,"a",@progbits
	.p2align	6, 0x0
	.amdhsa_kernel _ZN7rocprim17ROCPRIM_400000_NS6detail17trampoline_kernelINS0_14default_configENS1_36segmented_radix_sort_config_selectorIhlEEZNS1_25segmented_radix_sort_implIS3_Lb0EPKhPhPKlPlN2at6native12_GLOBAL__N_18offset_tEEE10hipError_tPvRmT1_PNSt15iterator_traitsISK_E10value_typeET2_T3_PNSL_ISQ_E10value_typeET4_jRbjT5_SW_jjP12ihipStream_tbEUlT_E_NS1_11comp_targetILNS1_3genE10ELNS1_11target_archE1201ELNS1_3gpuE5ELNS1_3repE0EEENS1_30default_config_static_selectorELNS0_4arch9wavefront6targetE1EEEvSK_
		.amdhsa_group_segment_fixed_size 0
		.amdhsa_private_segment_fixed_size 0
		.amdhsa_kernarg_size 96
		.amdhsa_user_sgpr_count 6
		.amdhsa_user_sgpr_private_segment_buffer 1
		.amdhsa_user_sgpr_dispatch_ptr 0
		.amdhsa_user_sgpr_queue_ptr 0
		.amdhsa_user_sgpr_kernarg_segment_ptr 1
		.amdhsa_user_sgpr_dispatch_id 0
		.amdhsa_user_sgpr_flat_scratch_init 0
		.amdhsa_user_sgpr_kernarg_preload_length 0
		.amdhsa_user_sgpr_kernarg_preload_offset 0
		.amdhsa_user_sgpr_private_segment_size 0
		.amdhsa_uses_dynamic_stack 0
		.amdhsa_system_sgpr_private_segment_wavefront_offset 0
		.amdhsa_system_sgpr_workgroup_id_x 1
		.amdhsa_system_sgpr_workgroup_id_y 0
		.amdhsa_system_sgpr_workgroup_id_z 0
		.amdhsa_system_sgpr_workgroup_info 0
		.amdhsa_system_vgpr_workitem_id 0
		.amdhsa_next_free_vgpr 1
		.amdhsa_next_free_sgpr 0
		.amdhsa_accum_offset 4
		.amdhsa_reserve_vcc 0
		.amdhsa_reserve_flat_scratch 0
		.amdhsa_float_round_mode_32 0
		.amdhsa_float_round_mode_16_64 0
		.amdhsa_float_denorm_mode_32 3
		.amdhsa_float_denorm_mode_16_64 3
		.amdhsa_dx10_clamp 1
		.amdhsa_ieee_mode 1
		.amdhsa_fp16_overflow 0
		.amdhsa_tg_split 0
		.amdhsa_exception_fp_ieee_invalid_op 0
		.amdhsa_exception_fp_denorm_src 0
		.amdhsa_exception_fp_ieee_div_zero 0
		.amdhsa_exception_fp_ieee_overflow 0
		.amdhsa_exception_fp_ieee_underflow 0
		.amdhsa_exception_fp_ieee_inexact 0
		.amdhsa_exception_int_div_zero 0
	.end_amdhsa_kernel
	.section	.text._ZN7rocprim17ROCPRIM_400000_NS6detail17trampoline_kernelINS0_14default_configENS1_36segmented_radix_sort_config_selectorIhlEEZNS1_25segmented_radix_sort_implIS3_Lb0EPKhPhPKlPlN2at6native12_GLOBAL__N_18offset_tEEE10hipError_tPvRmT1_PNSt15iterator_traitsISK_E10value_typeET2_T3_PNSL_ISQ_E10value_typeET4_jRbjT5_SW_jjP12ihipStream_tbEUlT_E_NS1_11comp_targetILNS1_3genE10ELNS1_11target_archE1201ELNS1_3gpuE5ELNS1_3repE0EEENS1_30default_config_static_selectorELNS0_4arch9wavefront6targetE1EEEvSK_,"axG",@progbits,_ZN7rocprim17ROCPRIM_400000_NS6detail17trampoline_kernelINS0_14default_configENS1_36segmented_radix_sort_config_selectorIhlEEZNS1_25segmented_radix_sort_implIS3_Lb0EPKhPhPKlPlN2at6native12_GLOBAL__N_18offset_tEEE10hipError_tPvRmT1_PNSt15iterator_traitsISK_E10value_typeET2_T3_PNSL_ISQ_E10value_typeET4_jRbjT5_SW_jjP12ihipStream_tbEUlT_E_NS1_11comp_targetILNS1_3genE10ELNS1_11target_archE1201ELNS1_3gpuE5ELNS1_3repE0EEENS1_30default_config_static_selectorELNS0_4arch9wavefront6targetE1EEEvSK_,comdat
.Lfunc_end192:
	.size	_ZN7rocprim17ROCPRIM_400000_NS6detail17trampoline_kernelINS0_14default_configENS1_36segmented_radix_sort_config_selectorIhlEEZNS1_25segmented_radix_sort_implIS3_Lb0EPKhPhPKlPlN2at6native12_GLOBAL__N_18offset_tEEE10hipError_tPvRmT1_PNSt15iterator_traitsISK_E10value_typeET2_T3_PNSL_ISQ_E10value_typeET4_jRbjT5_SW_jjP12ihipStream_tbEUlT_E_NS1_11comp_targetILNS1_3genE10ELNS1_11target_archE1201ELNS1_3gpuE5ELNS1_3repE0EEENS1_30default_config_static_selectorELNS0_4arch9wavefront6targetE1EEEvSK_, .Lfunc_end192-_ZN7rocprim17ROCPRIM_400000_NS6detail17trampoline_kernelINS0_14default_configENS1_36segmented_radix_sort_config_selectorIhlEEZNS1_25segmented_radix_sort_implIS3_Lb0EPKhPhPKlPlN2at6native12_GLOBAL__N_18offset_tEEE10hipError_tPvRmT1_PNSt15iterator_traitsISK_E10value_typeET2_T3_PNSL_ISQ_E10value_typeET4_jRbjT5_SW_jjP12ihipStream_tbEUlT_E_NS1_11comp_targetILNS1_3genE10ELNS1_11target_archE1201ELNS1_3gpuE5ELNS1_3repE0EEENS1_30default_config_static_selectorELNS0_4arch9wavefront6targetE1EEEvSK_
                                        ; -- End function
	.section	.AMDGPU.csdata,"",@progbits
; Kernel info:
; codeLenInByte = 0
; NumSgprs: 4
; NumVgprs: 0
; NumAgprs: 0
; TotalNumVgprs: 0
; ScratchSize: 0
; MemoryBound: 0
; FloatMode: 240
; IeeeMode: 1
; LDSByteSize: 0 bytes/workgroup (compile time only)
; SGPRBlocks: 0
; VGPRBlocks: 0
; NumSGPRsForWavesPerEU: 4
; NumVGPRsForWavesPerEU: 1
; AccumOffset: 4
; Occupancy: 8
; WaveLimiterHint : 0
; COMPUTE_PGM_RSRC2:SCRATCH_EN: 0
; COMPUTE_PGM_RSRC2:USER_SGPR: 6
; COMPUTE_PGM_RSRC2:TRAP_HANDLER: 0
; COMPUTE_PGM_RSRC2:TGID_X_EN: 1
; COMPUTE_PGM_RSRC2:TGID_Y_EN: 0
; COMPUTE_PGM_RSRC2:TGID_Z_EN: 0
; COMPUTE_PGM_RSRC2:TIDIG_COMP_CNT: 0
; COMPUTE_PGM_RSRC3_GFX90A:ACCUM_OFFSET: 0
; COMPUTE_PGM_RSRC3_GFX90A:TG_SPLIT: 0
	.section	.text._ZN7rocprim17ROCPRIM_400000_NS6detail17trampoline_kernelINS0_14default_configENS1_36segmented_radix_sort_config_selectorIhlEEZNS1_25segmented_radix_sort_implIS3_Lb0EPKhPhPKlPlN2at6native12_GLOBAL__N_18offset_tEEE10hipError_tPvRmT1_PNSt15iterator_traitsISK_E10value_typeET2_T3_PNSL_ISQ_E10value_typeET4_jRbjT5_SW_jjP12ihipStream_tbEUlT_E_NS1_11comp_targetILNS1_3genE10ELNS1_11target_archE1200ELNS1_3gpuE4ELNS1_3repE0EEENS1_30default_config_static_selectorELNS0_4arch9wavefront6targetE1EEEvSK_,"axG",@progbits,_ZN7rocprim17ROCPRIM_400000_NS6detail17trampoline_kernelINS0_14default_configENS1_36segmented_radix_sort_config_selectorIhlEEZNS1_25segmented_radix_sort_implIS3_Lb0EPKhPhPKlPlN2at6native12_GLOBAL__N_18offset_tEEE10hipError_tPvRmT1_PNSt15iterator_traitsISK_E10value_typeET2_T3_PNSL_ISQ_E10value_typeET4_jRbjT5_SW_jjP12ihipStream_tbEUlT_E_NS1_11comp_targetILNS1_3genE10ELNS1_11target_archE1200ELNS1_3gpuE4ELNS1_3repE0EEENS1_30default_config_static_selectorELNS0_4arch9wavefront6targetE1EEEvSK_,comdat
	.globl	_ZN7rocprim17ROCPRIM_400000_NS6detail17trampoline_kernelINS0_14default_configENS1_36segmented_radix_sort_config_selectorIhlEEZNS1_25segmented_radix_sort_implIS3_Lb0EPKhPhPKlPlN2at6native12_GLOBAL__N_18offset_tEEE10hipError_tPvRmT1_PNSt15iterator_traitsISK_E10value_typeET2_T3_PNSL_ISQ_E10value_typeET4_jRbjT5_SW_jjP12ihipStream_tbEUlT_E_NS1_11comp_targetILNS1_3genE10ELNS1_11target_archE1200ELNS1_3gpuE4ELNS1_3repE0EEENS1_30default_config_static_selectorELNS0_4arch9wavefront6targetE1EEEvSK_ ; -- Begin function _ZN7rocprim17ROCPRIM_400000_NS6detail17trampoline_kernelINS0_14default_configENS1_36segmented_radix_sort_config_selectorIhlEEZNS1_25segmented_radix_sort_implIS3_Lb0EPKhPhPKlPlN2at6native12_GLOBAL__N_18offset_tEEE10hipError_tPvRmT1_PNSt15iterator_traitsISK_E10value_typeET2_T3_PNSL_ISQ_E10value_typeET4_jRbjT5_SW_jjP12ihipStream_tbEUlT_E_NS1_11comp_targetILNS1_3genE10ELNS1_11target_archE1200ELNS1_3gpuE4ELNS1_3repE0EEENS1_30default_config_static_selectorELNS0_4arch9wavefront6targetE1EEEvSK_
	.p2align	8
	.type	_ZN7rocprim17ROCPRIM_400000_NS6detail17trampoline_kernelINS0_14default_configENS1_36segmented_radix_sort_config_selectorIhlEEZNS1_25segmented_radix_sort_implIS3_Lb0EPKhPhPKlPlN2at6native12_GLOBAL__N_18offset_tEEE10hipError_tPvRmT1_PNSt15iterator_traitsISK_E10value_typeET2_T3_PNSL_ISQ_E10value_typeET4_jRbjT5_SW_jjP12ihipStream_tbEUlT_E_NS1_11comp_targetILNS1_3genE10ELNS1_11target_archE1200ELNS1_3gpuE4ELNS1_3repE0EEENS1_30default_config_static_selectorELNS0_4arch9wavefront6targetE1EEEvSK_,@function
_ZN7rocprim17ROCPRIM_400000_NS6detail17trampoline_kernelINS0_14default_configENS1_36segmented_radix_sort_config_selectorIhlEEZNS1_25segmented_radix_sort_implIS3_Lb0EPKhPhPKlPlN2at6native12_GLOBAL__N_18offset_tEEE10hipError_tPvRmT1_PNSt15iterator_traitsISK_E10value_typeET2_T3_PNSL_ISQ_E10value_typeET4_jRbjT5_SW_jjP12ihipStream_tbEUlT_E_NS1_11comp_targetILNS1_3genE10ELNS1_11target_archE1200ELNS1_3gpuE4ELNS1_3repE0EEENS1_30default_config_static_selectorELNS0_4arch9wavefront6targetE1EEEvSK_: ; @_ZN7rocprim17ROCPRIM_400000_NS6detail17trampoline_kernelINS0_14default_configENS1_36segmented_radix_sort_config_selectorIhlEEZNS1_25segmented_radix_sort_implIS3_Lb0EPKhPhPKlPlN2at6native12_GLOBAL__N_18offset_tEEE10hipError_tPvRmT1_PNSt15iterator_traitsISK_E10value_typeET2_T3_PNSL_ISQ_E10value_typeET4_jRbjT5_SW_jjP12ihipStream_tbEUlT_E_NS1_11comp_targetILNS1_3genE10ELNS1_11target_archE1200ELNS1_3gpuE4ELNS1_3repE0EEENS1_30default_config_static_selectorELNS0_4arch9wavefront6targetE1EEEvSK_
; %bb.0:
	.section	.rodata,"a",@progbits
	.p2align	6, 0x0
	.amdhsa_kernel _ZN7rocprim17ROCPRIM_400000_NS6detail17trampoline_kernelINS0_14default_configENS1_36segmented_radix_sort_config_selectorIhlEEZNS1_25segmented_radix_sort_implIS3_Lb0EPKhPhPKlPlN2at6native12_GLOBAL__N_18offset_tEEE10hipError_tPvRmT1_PNSt15iterator_traitsISK_E10value_typeET2_T3_PNSL_ISQ_E10value_typeET4_jRbjT5_SW_jjP12ihipStream_tbEUlT_E_NS1_11comp_targetILNS1_3genE10ELNS1_11target_archE1200ELNS1_3gpuE4ELNS1_3repE0EEENS1_30default_config_static_selectorELNS0_4arch9wavefront6targetE1EEEvSK_
		.amdhsa_group_segment_fixed_size 0
		.amdhsa_private_segment_fixed_size 0
		.amdhsa_kernarg_size 96
		.amdhsa_user_sgpr_count 6
		.amdhsa_user_sgpr_private_segment_buffer 1
		.amdhsa_user_sgpr_dispatch_ptr 0
		.amdhsa_user_sgpr_queue_ptr 0
		.amdhsa_user_sgpr_kernarg_segment_ptr 1
		.amdhsa_user_sgpr_dispatch_id 0
		.amdhsa_user_sgpr_flat_scratch_init 0
		.amdhsa_user_sgpr_kernarg_preload_length 0
		.amdhsa_user_sgpr_kernarg_preload_offset 0
		.amdhsa_user_sgpr_private_segment_size 0
		.amdhsa_uses_dynamic_stack 0
		.amdhsa_system_sgpr_private_segment_wavefront_offset 0
		.amdhsa_system_sgpr_workgroup_id_x 1
		.amdhsa_system_sgpr_workgroup_id_y 0
		.amdhsa_system_sgpr_workgroup_id_z 0
		.amdhsa_system_sgpr_workgroup_info 0
		.amdhsa_system_vgpr_workitem_id 0
		.amdhsa_next_free_vgpr 1
		.amdhsa_next_free_sgpr 0
		.amdhsa_accum_offset 4
		.amdhsa_reserve_vcc 0
		.amdhsa_reserve_flat_scratch 0
		.amdhsa_float_round_mode_32 0
		.amdhsa_float_round_mode_16_64 0
		.amdhsa_float_denorm_mode_32 3
		.amdhsa_float_denorm_mode_16_64 3
		.amdhsa_dx10_clamp 1
		.amdhsa_ieee_mode 1
		.amdhsa_fp16_overflow 0
		.amdhsa_tg_split 0
		.amdhsa_exception_fp_ieee_invalid_op 0
		.amdhsa_exception_fp_denorm_src 0
		.amdhsa_exception_fp_ieee_div_zero 0
		.amdhsa_exception_fp_ieee_overflow 0
		.amdhsa_exception_fp_ieee_underflow 0
		.amdhsa_exception_fp_ieee_inexact 0
		.amdhsa_exception_int_div_zero 0
	.end_amdhsa_kernel
	.section	.text._ZN7rocprim17ROCPRIM_400000_NS6detail17trampoline_kernelINS0_14default_configENS1_36segmented_radix_sort_config_selectorIhlEEZNS1_25segmented_radix_sort_implIS3_Lb0EPKhPhPKlPlN2at6native12_GLOBAL__N_18offset_tEEE10hipError_tPvRmT1_PNSt15iterator_traitsISK_E10value_typeET2_T3_PNSL_ISQ_E10value_typeET4_jRbjT5_SW_jjP12ihipStream_tbEUlT_E_NS1_11comp_targetILNS1_3genE10ELNS1_11target_archE1200ELNS1_3gpuE4ELNS1_3repE0EEENS1_30default_config_static_selectorELNS0_4arch9wavefront6targetE1EEEvSK_,"axG",@progbits,_ZN7rocprim17ROCPRIM_400000_NS6detail17trampoline_kernelINS0_14default_configENS1_36segmented_radix_sort_config_selectorIhlEEZNS1_25segmented_radix_sort_implIS3_Lb0EPKhPhPKlPlN2at6native12_GLOBAL__N_18offset_tEEE10hipError_tPvRmT1_PNSt15iterator_traitsISK_E10value_typeET2_T3_PNSL_ISQ_E10value_typeET4_jRbjT5_SW_jjP12ihipStream_tbEUlT_E_NS1_11comp_targetILNS1_3genE10ELNS1_11target_archE1200ELNS1_3gpuE4ELNS1_3repE0EEENS1_30default_config_static_selectorELNS0_4arch9wavefront6targetE1EEEvSK_,comdat
.Lfunc_end193:
	.size	_ZN7rocprim17ROCPRIM_400000_NS6detail17trampoline_kernelINS0_14default_configENS1_36segmented_radix_sort_config_selectorIhlEEZNS1_25segmented_radix_sort_implIS3_Lb0EPKhPhPKlPlN2at6native12_GLOBAL__N_18offset_tEEE10hipError_tPvRmT1_PNSt15iterator_traitsISK_E10value_typeET2_T3_PNSL_ISQ_E10value_typeET4_jRbjT5_SW_jjP12ihipStream_tbEUlT_E_NS1_11comp_targetILNS1_3genE10ELNS1_11target_archE1200ELNS1_3gpuE4ELNS1_3repE0EEENS1_30default_config_static_selectorELNS0_4arch9wavefront6targetE1EEEvSK_, .Lfunc_end193-_ZN7rocprim17ROCPRIM_400000_NS6detail17trampoline_kernelINS0_14default_configENS1_36segmented_radix_sort_config_selectorIhlEEZNS1_25segmented_radix_sort_implIS3_Lb0EPKhPhPKlPlN2at6native12_GLOBAL__N_18offset_tEEE10hipError_tPvRmT1_PNSt15iterator_traitsISK_E10value_typeET2_T3_PNSL_ISQ_E10value_typeET4_jRbjT5_SW_jjP12ihipStream_tbEUlT_E_NS1_11comp_targetILNS1_3genE10ELNS1_11target_archE1200ELNS1_3gpuE4ELNS1_3repE0EEENS1_30default_config_static_selectorELNS0_4arch9wavefront6targetE1EEEvSK_
                                        ; -- End function
	.section	.AMDGPU.csdata,"",@progbits
; Kernel info:
; codeLenInByte = 0
; NumSgprs: 4
; NumVgprs: 0
; NumAgprs: 0
; TotalNumVgprs: 0
; ScratchSize: 0
; MemoryBound: 0
; FloatMode: 240
; IeeeMode: 1
; LDSByteSize: 0 bytes/workgroup (compile time only)
; SGPRBlocks: 0
; VGPRBlocks: 0
; NumSGPRsForWavesPerEU: 4
; NumVGPRsForWavesPerEU: 1
; AccumOffset: 4
; Occupancy: 8
; WaveLimiterHint : 0
; COMPUTE_PGM_RSRC2:SCRATCH_EN: 0
; COMPUTE_PGM_RSRC2:USER_SGPR: 6
; COMPUTE_PGM_RSRC2:TRAP_HANDLER: 0
; COMPUTE_PGM_RSRC2:TGID_X_EN: 1
; COMPUTE_PGM_RSRC2:TGID_Y_EN: 0
; COMPUTE_PGM_RSRC2:TGID_Z_EN: 0
; COMPUTE_PGM_RSRC2:TIDIG_COMP_CNT: 0
; COMPUTE_PGM_RSRC3_GFX90A:ACCUM_OFFSET: 0
; COMPUTE_PGM_RSRC3_GFX90A:TG_SPLIT: 0
	.section	.text._ZN7rocprim17ROCPRIM_400000_NS6detail17trampoline_kernelINS0_14default_configENS1_36segmented_radix_sort_config_selectorIhlEEZNS1_25segmented_radix_sort_implIS3_Lb0EPKhPhPKlPlN2at6native12_GLOBAL__N_18offset_tEEE10hipError_tPvRmT1_PNSt15iterator_traitsISK_E10value_typeET2_T3_PNSL_ISQ_E10value_typeET4_jRbjT5_SW_jjP12ihipStream_tbEUlT_E_NS1_11comp_targetILNS1_3genE9ELNS1_11target_archE1100ELNS1_3gpuE3ELNS1_3repE0EEENS1_30default_config_static_selectorELNS0_4arch9wavefront6targetE1EEEvSK_,"axG",@progbits,_ZN7rocprim17ROCPRIM_400000_NS6detail17trampoline_kernelINS0_14default_configENS1_36segmented_radix_sort_config_selectorIhlEEZNS1_25segmented_radix_sort_implIS3_Lb0EPKhPhPKlPlN2at6native12_GLOBAL__N_18offset_tEEE10hipError_tPvRmT1_PNSt15iterator_traitsISK_E10value_typeET2_T3_PNSL_ISQ_E10value_typeET4_jRbjT5_SW_jjP12ihipStream_tbEUlT_E_NS1_11comp_targetILNS1_3genE9ELNS1_11target_archE1100ELNS1_3gpuE3ELNS1_3repE0EEENS1_30default_config_static_selectorELNS0_4arch9wavefront6targetE1EEEvSK_,comdat
	.globl	_ZN7rocprim17ROCPRIM_400000_NS6detail17trampoline_kernelINS0_14default_configENS1_36segmented_radix_sort_config_selectorIhlEEZNS1_25segmented_radix_sort_implIS3_Lb0EPKhPhPKlPlN2at6native12_GLOBAL__N_18offset_tEEE10hipError_tPvRmT1_PNSt15iterator_traitsISK_E10value_typeET2_T3_PNSL_ISQ_E10value_typeET4_jRbjT5_SW_jjP12ihipStream_tbEUlT_E_NS1_11comp_targetILNS1_3genE9ELNS1_11target_archE1100ELNS1_3gpuE3ELNS1_3repE0EEENS1_30default_config_static_selectorELNS0_4arch9wavefront6targetE1EEEvSK_ ; -- Begin function _ZN7rocprim17ROCPRIM_400000_NS6detail17trampoline_kernelINS0_14default_configENS1_36segmented_radix_sort_config_selectorIhlEEZNS1_25segmented_radix_sort_implIS3_Lb0EPKhPhPKlPlN2at6native12_GLOBAL__N_18offset_tEEE10hipError_tPvRmT1_PNSt15iterator_traitsISK_E10value_typeET2_T3_PNSL_ISQ_E10value_typeET4_jRbjT5_SW_jjP12ihipStream_tbEUlT_E_NS1_11comp_targetILNS1_3genE9ELNS1_11target_archE1100ELNS1_3gpuE3ELNS1_3repE0EEENS1_30default_config_static_selectorELNS0_4arch9wavefront6targetE1EEEvSK_
	.p2align	8
	.type	_ZN7rocprim17ROCPRIM_400000_NS6detail17trampoline_kernelINS0_14default_configENS1_36segmented_radix_sort_config_selectorIhlEEZNS1_25segmented_radix_sort_implIS3_Lb0EPKhPhPKlPlN2at6native12_GLOBAL__N_18offset_tEEE10hipError_tPvRmT1_PNSt15iterator_traitsISK_E10value_typeET2_T3_PNSL_ISQ_E10value_typeET4_jRbjT5_SW_jjP12ihipStream_tbEUlT_E_NS1_11comp_targetILNS1_3genE9ELNS1_11target_archE1100ELNS1_3gpuE3ELNS1_3repE0EEENS1_30default_config_static_selectorELNS0_4arch9wavefront6targetE1EEEvSK_,@function
_ZN7rocprim17ROCPRIM_400000_NS6detail17trampoline_kernelINS0_14default_configENS1_36segmented_radix_sort_config_selectorIhlEEZNS1_25segmented_radix_sort_implIS3_Lb0EPKhPhPKlPlN2at6native12_GLOBAL__N_18offset_tEEE10hipError_tPvRmT1_PNSt15iterator_traitsISK_E10value_typeET2_T3_PNSL_ISQ_E10value_typeET4_jRbjT5_SW_jjP12ihipStream_tbEUlT_E_NS1_11comp_targetILNS1_3genE9ELNS1_11target_archE1100ELNS1_3gpuE3ELNS1_3repE0EEENS1_30default_config_static_selectorELNS0_4arch9wavefront6targetE1EEEvSK_: ; @_ZN7rocprim17ROCPRIM_400000_NS6detail17trampoline_kernelINS0_14default_configENS1_36segmented_radix_sort_config_selectorIhlEEZNS1_25segmented_radix_sort_implIS3_Lb0EPKhPhPKlPlN2at6native12_GLOBAL__N_18offset_tEEE10hipError_tPvRmT1_PNSt15iterator_traitsISK_E10value_typeET2_T3_PNSL_ISQ_E10value_typeET4_jRbjT5_SW_jjP12ihipStream_tbEUlT_E_NS1_11comp_targetILNS1_3genE9ELNS1_11target_archE1100ELNS1_3gpuE3ELNS1_3repE0EEENS1_30default_config_static_selectorELNS0_4arch9wavefront6targetE1EEEvSK_
; %bb.0:
	.section	.rodata,"a",@progbits
	.p2align	6, 0x0
	.amdhsa_kernel _ZN7rocprim17ROCPRIM_400000_NS6detail17trampoline_kernelINS0_14default_configENS1_36segmented_radix_sort_config_selectorIhlEEZNS1_25segmented_radix_sort_implIS3_Lb0EPKhPhPKlPlN2at6native12_GLOBAL__N_18offset_tEEE10hipError_tPvRmT1_PNSt15iterator_traitsISK_E10value_typeET2_T3_PNSL_ISQ_E10value_typeET4_jRbjT5_SW_jjP12ihipStream_tbEUlT_E_NS1_11comp_targetILNS1_3genE9ELNS1_11target_archE1100ELNS1_3gpuE3ELNS1_3repE0EEENS1_30default_config_static_selectorELNS0_4arch9wavefront6targetE1EEEvSK_
		.amdhsa_group_segment_fixed_size 0
		.amdhsa_private_segment_fixed_size 0
		.amdhsa_kernarg_size 96
		.amdhsa_user_sgpr_count 6
		.amdhsa_user_sgpr_private_segment_buffer 1
		.amdhsa_user_sgpr_dispatch_ptr 0
		.amdhsa_user_sgpr_queue_ptr 0
		.amdhsa_user_sgpr_kernarg_segment_ptr 1
		.amdhsa_user_sgpr_dispatch_id 0
		.amdhsa_user_sgpr_flat_scratch_init 0
		.amdhsa_user_sgpr_kernarg_preload_length 0
		.amdhsa_user_sgpr_kernarg_preload_offset 0
		.amdhsa_user_sgpr_private_segment_size 0
		.amdhsa_uses_dynamic_stack 0
		.amdhsa_system_sgpr_private_segment_wavefront_offset 0
		.amdhsa_system_sgpr_workgroup_id_x 1
		.amdhsa_system_sgpr_workgroup_id_y 0
		.amdhsa_system_sgpr_workgroup_id_z 0
		.amdhsa_system_sgpr_workgroup_info 0
		.amdhsa_system_vgpr_workitem_id 0
		.amdhsa_next_free_vgpr 1
		.amdhsa_next_free_sgpr 0
		.amdhsa_accum_offset 4
		.amdhsa_reserve_vcc 0
		.amdhsa_reserve_flat_scratch 0
		.amdhsa_float_round_mode_32 0
		.amdhsa_float_round_mode_16_64 0
		.amdhsa_float_denorm_mode_32 3
		.amdhsa_float_denorm_mode_16_64 3
		.amdhsa_dx10_clamp 1
		.amdhsa_ieee_mode 1
		.amdhsa_fp16_overflow 0
		.amdhsa_tg_split 0
		.amdhsa_exception_fp_ieee_invalid_op 0
		.amdhsa_exception_fp_denorm_src 0
		.amdhsa_exception_fp_ieee_div_zero 0
		.amdhsa_exception_fp_ieee_overflow 0
		.amdhsa_exception_fp_ieee_underflow 0
		.amdhsa_exception_fp_ieee_inexact 0
		.amdhsa_exception_int_div_zero 0
	.end_amdhsa_kernel
	.section	.text._ZN7rocprim17ROCPRIM_400000_NS6detail17trampoline_kernelINS0_14default_configENS1_36segmented_radix_sort_config_selectorIhlEEZNS1_25segmented_radix_sort_implIS3_Lb0EPKhPhPKlPlN2at6native12_GLOBAL__N_18offset_tEEE10hipError_tPvRmT1_PNSt15iterator_traitsISK_E10value_typeET2_T3_PNSL_ISQ_E10value_typeET4_jRbjT5_SW_jjP12ihipStream_tbEUlT_E_NS1_11comp_targetILNS1_3genE9ELNS1_11target_archE1100ELNS1_3gpuE3ELNS1_3repE0EEENS1_30default_config_static_selectorELNS0_4arch9wavefront6targetE1EEEvSK_,"axG",@progbits,_ZN7rocprim17ROCPRIM_400000_NS6detail17trampoline_kernelINS0_14default_configENS1_36segmented_radix_sort_config_selectorIhlEEZNS1_25segmented_radix_sort_implIS3_Lb0EPKhPhPKlPlN2at6native12_GLOBAL__N_18offset_tEEE10hipError_tPvRmT1_PNSt15iterator_traitsISK_E10value_typeET2_T3_PNSL_ISQ_E10value_typeET4_jRbjT5_SW_jjP12ihipStream_tbEUlT_E_NS1_11comp_targetILNS1_3genE9ELNS1_11target_archE1100ELNS1_3gpuE3ELNS1_3repE0EEENS1_30default_config_static_selectorELNS0_4arch9wavefront6targetE1EEEvSK_,comdat
.Lfunc_end194:
	.size	_ZN7rocprim17ROCPRIM_400000_NS6detail17trampoline_kernelINS0_14default_configENS1_36segmented_radix_sort_config_selectorIhlEEZNS1_25segmented_radix_sort_implIS3_Lb0EPKhPhPKlPlN2at6native12_GLOBAL__N_18offset_tEEE10hipError_tPvRmT1_PNSt15iterator_traitsISK_E10value_typeET2_T3_PNSL_ISQ_E10value_typeET4_jRbjT5_SW_jjP12ihipStream_tbEUlT_E_NS1_11comp_targetILNS1_3genE9ELNS1_11target_archE1100ELNS1_3gpuE3ELNS1_3repE0EEENS1_30default_config_static_selectorELNS0_4arch9wavefront6targetE1EEEvSK_, .Lfunc_end194-_ZN7rocprim17ROCPRIM_400000_NS6detail17trampoline_kernelINS0_14default_configENS1_36segmented_radix_sort_config_selectorIhlEEZNS1_25segmented_radix_sort_implIS3_Lb0EPKhPhPKlPlN2at6native12_GLOBAL__N_18offset_tEEE10hipError_tPvRmT1_PNSt15iterator_traitsISK_E10value_typeET2_T3_PNSL_ISQ_E10value_typeET4_jRbjT5_SW_jjP12ihipStream_tbEUlT_E_NS1_11comp_targetILNS1_3genE9ELNS1_11target_archE1100ELNS1_3gpuE3ELNS1_3repE0EEENS1_30default_config_static_selectorELNS0_4arch9wavefront6targetE1EEEvSK_
                                        ; -- End function
	.section	.AMDGPU.csdata,"",@progbits
; Kernel info:
; codeLenInByte = 0
; NumSgprs: 4
; NumVgprs: 0
; NumAgprs: 0
; TotalNumVgprs: 0
; ScratchSize: 0
; MemoryBound: 0
; FloatMode: 240
; IeeeMode: 1
; LDSByteSize: 0 bytes/workgroup (compile time only)
; SGPRBlocks: 0
; VGPRBlocks: 0
; NumSGPRsForWavesPerEU: 4
; NumVGPRsForWavesPerEU: 1
; AccumOffset: 4
; Occupancy: 8
; WaveLimiterHint : 0
; COMPUTE_PGM_RSRC2:SCRATCH_EN: 0
; COMPUTE_PGM_RSRC2:USER_SGPR: 6
; COMPUTE_PGM_RSRC2:TRAP_HANDLER: 0
; COMPUTE_PGM_RSRC2:TGID_X_EN: 1
; COMPUTE_PGM_RSRC2:TGID_Y_EN: 0
; COMPUTE_PGM_RSRC2:TGID_Z_EN: 0
; COMPUTE_PGM_RSRC2:TIDIG_COMP_CNT: 0
; COMPUTE_PGM_RSRC3_GFX90A:ACCUM_OFFSET: 0
; COMPUTE_PGM_RSRC3_GFX90A:TG_SPLIT: 0
	.section	.text._ZN7rocprim17ROCPRIM_400000_NS6detail17trampoline_kernelINS0_14default_configENS1_36segmented_radix_sort_config_selectorIhlEEZNS1_25segmented_radix_sort_implIS3_Lb0EPKhPhPKlPlN2at6native12_GLOBAL__N_18offset_tEEE10hipError_tPvRmT1_PNSt15iterator_traitsISK_E10value_typeET2_T3_PNSL_ISQ_E10value_typeET4_jRbjT5_SW_jjP12ihipStream_tbEUlT_E_NS1_11comp_targetILNS1_3genE8ELNS1_11target_archE1030ELNS1_3gpuE2ELNS1_3repE0EEENS1_30default_config_static_selectorELNS0_4arch9wavefront6targetE1EEEvSK_,"axG",@progbits,_ZN7rocprim17ROCPRIM_400000_NS6detail17trampoline_kernelINS0_14default_configENS1_36segmented_radix_sort_config_selectorIhlEEZNS1_25segmented_radix_sort_implIS3_Lb0EPKhPhPKlPlN2at6native12_GLOBAL__N_18offset_tEEE10hipError_tPvRmT1_PNSt15iterator_traitsISK_E10value_typeET2_T3_PNSL_ISQ_E10value_typeET4_jRbjT5_SW_jjP12ihipStream_tbEUlT_E_NS1_11comp_targetILNS1_3genE8ELNS1_11target_archE1030ELNS1_3gpuE2ELNS1_3repE0EEENS1_30default_config_static_selectorELNS0_4arch9wavefront6targetE1EEEvSK_,comdat
	.globl	_ZN7rocprim17ROCPRIM_400000_NS6detail17trampoline_kernelINS0_14default_configENS1_36segmented_radix_sort_config_selectorIhlEEZNS1_25segmented_radix_sort_implIS3_Lb0EPKhPhPKlPlN2at6native12_GLOBAL__N_18offset_tEEE10hipError_tPvRmT1_PNSt15iterator_traitsISK_E10value_typeET2_T3_PNSL_ISQ_E10value_typeET4_jRbjT5_SW_jjP12ihipStream_tbEUlT_E_NS1_11comp_targetILNS1_3genE8ELNS1_11target_archE1030ELNS1_3gpuE2ELNS1_3repE0EEENS1_30default_config_static_selectorELNS0_4arch9wavefront6targetE1EEEvSK_ ; -- Begin function _ZN7rocprim17ROCPRIM_400000_NS6detail17trampoline_kernelINS0_14default_configENS1_36segmented_radix_sort_config_selectorIhlEEZNS1_25segmented_radix_sort_implIS3_Lb0EPKhPhPKlPlN2at6native12_GLOBAL__N_18offset_tEEE10hipError_tPvRmT1_PNSt15iterator_traitsISK_E10value_typeET2_T3_PNSL_ISQ_E10value_typeET4_jRbjT5_SW_jjP12ihipStream_tbEUlT_E_NS1_11comp_targetILNS1_3genE8ELNS1_11target_archE1030ELNS1_3gpuE2ELNS1_3repE0EEENS1_30default_config_static_selectorELNS0_4arch9wavefront6targetE1EEEvSK_
	.p2align	8
	.type	_ZN7rocprim17ROCPRIM_400000_NS6detail17trampoline_kernelINS0_14default_configENS1_36segmented_radix_sort_config_selectorIhlEEZNS1_25segmented_radix_sort_implIS3_Lb0EPKhPhPKlPlN2at6native12_GLOBAL__N_18offset_tEEE10hipError_tPvRmT1_PNSt15iterator_traitsISK_E10value_typeET2_T3_PNSL_ISQ_E10value_typeET4_jRbjT5_SW_jjP12ihipStream_tbEUlT_E_NS1_11comp_targetILNS1_3genE8ELNS1_11target_archE1030ELNS1_3gpuE2ELNS1_3repE0EEENS1_30default_config_static_selectorELNS0_4arch9wavefront6targetE1EEEvSK_,@function
_ZN7rocprim17ROCPRIM_400000_NS6detail17trampoline_kernelINS0_14default_configENS1_36segmented_radix_sort_config_selectorIhlEEZNS1_25segmented_radix_sort_implIS3_Lb0EPKhPhPKlPlN2at6native12_GLOBAL__N_18offset_tEEE10hipError_tPvRmT1_PNSt15iterator_traitsISK_E10value_typeET2_T3_PNSL_ISQ_E10value_typeET4_jRbjT5_SW_jjP12ihipStream_tbEUlT_E_NS1_11comp_targetILNS1_3genE8ELNS1_11target_archE1030ELNS1_3gpuE2ELNS1_3repE0EEENS1_30default_config_static_selectorELNS0_4arch9wavefront6targetE1EEEvSK_: ; @_ZN7rocprim17ROCPRIM_400000_NS6detail17trampoline_kernelINS0_14default_configENS1_36segmented_radix_sort_config_selectorIhlEEZNS1_25segmented_radix_sort_implIS3_Lb0EPKhPhPKlPlN2at6native12_GLOBAL__N_18offset_tEEE10hipError_tPvRmT1_PNSt15iterator_traitsISK_E10value_typeET2_T3_PNSL_ISQ_E10value_typeET4_jRbjT5_SW_jjP12ihipStream_tbEUlT_E_NS1_11comp_targetILNS1_3genE8ELNS1_11target_archE1030ELNS1_3gpuE2ELNS1_3repE0EEENS1_30default_config_static_selectorELNS0_4arch9wavefront6targetE1EEEvSK_
; %bb.0:
	.section	.rodata,"a",@progbits
	.p2align	6, 0x0
	.amdhsa_kernel _ZN7rocprim17ROCPRIM_400000_NS6detail17trampoline_kernelINS0_14default_configENS1_36segmented_radix_sort_config_selectorIhlEEZNS1_25segmented_radix_sort_implIS3_Lb0EPKhPhPKlPlN2at6native12_GLOBAL__N_18offset_tEEE10hipError_tPvRmT1_PNSt15iterator_traitsISK_E10value_typeET2_T3_PNSL_ISQ_E10value_typeET4_jRbjT5_SW_jjP12ihipStream_tbEUlT_E_NS1_11comp_targetILNS1_3genE8ELNS1_11target_archE1030ELNS1_3gpuE2ELNS1_3repE0EEENS1_30default_config_static_selectorELNS0_4arch9wavefront6targetE1EEEvSK_
		.amdhsa_group_segment_fixed_size 0
		.amdhsa_private_segment_fixed_size 0
		.amdhsa_kernarg_size 96
		.amdhsa_user_sgpr_count 6
		.amdhsa_user_sgpr_private_segment_buffer 1
		.amdhsa_user_sgpr_dispatch_ptr 0
		.amdhsa_user_sgpr_queue_ptr 0
		.amdhsa_user_sgpr_kernarg_segment_ptr 1
		.amdhsa_user_sgpr_dispatch_id 0
		.amdhsa_user_sgpr_flat_scratch_init 0
		.amdhsa_user_sgpr_kernarg_preload_length 0
		.amdhsa_user_sgpr_kernarg_preload_offset 0
		.amdhsa_user_sgpr_private_segment_size 0
		.amdhsa_uses_dynamic_stack 0
		.amdhsa_system_sgpr_private_segment_wavefront_offset 0
		.amdhsa_system_sgpr_workgroup_id_x 1
		.amdhsa_system_sgpr_workgroup_id_y 0
		.amdhsa_system_sgpr_workgroup_id_z 0
		.amdhsa_system_sgpr_workgroup_info 0
		.amdhsa_system_vgpr_workitem_id 0
		.amdhsa_next_free_vgpr 1
		.amdhsa_next_free_sgpr 0
		.amdhsa_accum_offset 4
		.amdhsa_reserve_vcc 0
		.amdhsa_reserve_flat_scratch 0
		.amdhsa_float_round_mode_32 0
		.amdhsa_float_round_mode_16_64 0
		.amdhsa_float_denorm_mode_32 3
		.amdhsa_float_denorm_mode_16_64 3
		.amdhsa_dx10_clamp 1
		.amdhsa_ieee_mode 1
		.amdhsa_fp16_overflow 0
		.amdhsa_tg_split 0
		.amdhsa_exception_fp_ieee_invalid_op 0
		.amdhsa_exception_fp_denorm_src 0
		.amdhsa_exception_fp_ieee_div_zero 0
		.amdhsa_exception_fp_ieee_overflow 0
		.amdhsa_exception_fp_ieee_underflow 0
		.amdhsa_exception_fp_ieee_inexact 0
		.amdhsa_exception_int_div_zero 0
	.end_amdhsa_kernel
	.section	.text._ZN7rocprim17ROCPRIM_400000_NS6detail17trampoline_kernelINS0_14default_configENS1_36segmented_radix_sort_config_selectorIhlEEZNS1_25segmented_radix_sort_implIS3_Lb0EPKhPhPKlPlN2at6native12_GLOBAL__N_18offset_tEEE10hipError_tPvRmT1_PNSt15iterator_traitsISK_E10value_typeET2_T3_PNSL_ISQ_E10value_typeET4_jRbjT5_SW_jjP12ihipStream_tbEUlT_E_NS1_11comp_targetILNS1_3genE8ELNS1_11target_archE1030ELNS1_3gpuE2ELNS1_3repE0EEENS1_30default_config_static_selectorELNS0_4arch9wavefront6targetE1EEEvSK_,"axG",@progbits,_ZN7rocprim17ROCPRIM_400000_NS6detail17trampoline_kernelINS0_14default_configENS1_36segmented_radix_sort_config_selectorIhlEEZNS1_25segmented_radix_sort_implIS3_Lb0EPKhPhPKlPlN2at6native12_GLOBAL__N_18offset_tEEE10hipError_tPvRmT1_PNSt15iterator_traitsISK_E10value_typeET2_T3_PNSL_ISQ_E10value_typeET4_jRbjT5_SW_jjP12ihipStream_tbEUlT_E_NS1_11comp_targetILNS1_3genE8ELNS1_11target_archE1030ELNS1_3gpuE2ELNS1_3repE0EEENS1_30default_config_static_selectorELNS0_4arch9wavefront6targetE1EEEvSK_,comdat
.Lfunc_end195:
	.size	_ZN7rocprim17ROCPRIM_400000_NS6detail17trampoline_kernelINS0_14default_configENS1_36segmented_radix_sort_config_selectorIhlEEZNS1_25segmented_radix_sort_implIS3_Lb0EPKhPhPKlPlN2at6native12_GLOBAL__N_18offset_tEEE10hipError_tPvRmT1_PNSt15iterator_traitsISK_E10value_typeET2_T3_PNSL_ISQ_E10value_typeET4_jRbjT5_SW_jjP12ihipStream_tbEUlT_E_NS1_11comp_targetILNS1_3genE8ELNS1_11target_archE1030ELNS1_3gpuE2ELNS1_3repE0EEENS1_30default_config_static_selectorELNS0_4arch9wavefront6targetE1EEEvSK_, .Lfunc_end195-_ZN7rocprim17ROCPRIM_400000_NS6detail17trampoline_kernelINS0_14default_configENS1_36segmented_radix_sort_config_selectorIhlEEZNS1_25segmented_radix_sort_implIS3_Lb0EPKhPhPKlPlN2at6native12_GLOBAL__N_18offset_tEEE10hipError_tPvRmT1_PNSt15iterator_traitsISK_E10value_typeET2_T3_PNSL_ISQ_E10value_typeET4_jRbjT5_SW_jjP12ihipStream_tbEUlT_E_NS1_11comp_targetILNS1_3genE8ELNS1_11target_archE1030ELNS1_3gpuE2ELNS1_3repE0EEENS1_30default_config_static_selectorELNS0_4arch9wavefront6targetE1EEEvSK_
                                        ; -- End function
	.section	.AMDGPU.csdata,"",@progbits
; Kernel info:
; codeLenInByte = 0
; NumSgprs: 4
; NumVgprs: 0
; NumAgprs: 0
; TotalNumVgprs: 0
; ScratchSize: 0
; MemoryBound: 0
; FloatMode: 240
; IeeeMode: 1
; LDSByteSize: 0 bytes/workgroup (compile time only)
; SGPRBlocks: 0
; VGPRBlocks: 0
; NumSGPRsForWavesPerEU: 4
; NumVGPRsForWavesPerEU: 1
; AccumOffset: 4
; Occupancy: 8
; WaveLimiterHint : 0
; COMPUTE_PGM_RSRC2:SCRATCH_EN: 0
; COMPUTE_PGM_RSRC2:USER_SGPR: 6
; COMPUTE_PGM_RSRC2:TRAP_HANDLER: 0
; COMPUTE_PGM_RSRC2:TGID_X_EN: 1
; COMPUTE_PGM_RSRC2:TGID_Y_EN: 0
; COMPUTE_PGM_RSRC2:TGID_Z_EN: 0
; COMPUTE_PGM_RSRC2:TIDIG_COMP_CNT: 0
; COMPUTE_PGM_RSRC3_GFX90A:ACCUM_OFFSET: 0
; COMPUTE_PGM_RSRC3_GFX90A:TG_SPLIT: 0
	.section	.text._ZN7rocprim17ROCPRIM_400000_NS6detail17trampoline_kernelINS0_14default_configENS1_36segmented_radix_sort_config_selectorIhlEEZNS1_25segmented_radix_sort_implIS3_Lb0EPKhPhPKlPlN2at6native12_GLOBAL__N_18offset_tEEE10hipError_tPvRmT1_PNSt15iterator_traitsISK_E10value_typeET2_T3_PNSL_ISQ_E10value_typeET4_jRbjT5_SW_jjP12ihipStream_tbEUlT_E0_NS1_11comp_targetILNS1_3genE0ELNS1_11target_archE4294967295ELNS1_3gpuE0ELNS1_3repE0EEENS1_60segmented_radix_sort_warp_sort_medium_config_static_selectorELNS0_4arch9wavefront6targetE1EEEvSK_,"axG",@progbits,_ZN7rocprim17ROCPRIM_400000_NS6detail17trampoline_kernelINS0_14default_configENS1_36segmented_radix_sort_config_selectorIhlEEZNS1_25segmented_radix_sort_implIS3_Lb0EPKhPhPKlPlN2at6native12_GLOBAL__N_18offset_tEEE10hipError_tPvRmT1_PNSt15iterator_traitsISK_E10value_typeET2_T3_PNSL_ISQ_E10value_typeET4_jRbjT5_SW_jjP12ihipStream_tbEUlT_E0_NS1_11comp_targetILNS1_3genE0ELNS1_11target_archE4294967295ELNS1_3gpuE0ELNS1_3repE0EEENS1_60segmented_radix_sort_warp_sort_medium_config_static_selectorELNS0_4arch9wavefront6targetE1EEEvSK_,comdat
	.globl	_ZN7rocprim17ROCPRIM_400000_NS6detail17trampoline_kernelINS0_14default_configENS1_36segmented_radix_sort_config_selectorIhlEEZNS1_25segmented_radix_sort_implIS3_Lb0EPKhPhPKlPlN2at6native12_GLOBAL__N_18offset_tEEE10hipError_tPvRmT1_PNSt15iterator_traitsISK_E10value_typeET2_T3_PNSL_ISQ_E10value_typeET4_jRbjT5_SW_jjP12ihipStream_tbEUlT_E0_NS1_11comp_targetILNS1_3genE0ELNS1_11target_archE4294967295ELNS1_3gpuE0ELNS1_3repE0EEENS1_60segmented_radix_sort_warp_sort_medium_config_static_selectorELNS0_4arch9wavefront6targetE1EEEvSK_ ; -- Begin function _ZN7rocprim17ROCPRIM_400000_NS6detail17trampoline_kernelINS0_14default_configENS1_36segmented_radix_sort_config_selectorIhlEEZNS1_25segmented_radix_sort_implIS3_Lb0EPKhPhPKlPlN2at6native12_GLOBAL__N_18offset_tEEE10hipError_tPvRmT1_PNSt15iterator_traitsISK_E10value_typeET2_T3_PNSL_ISQ_E10value_typeET4_jRbjT5_SW_jjP12ihipStream_tbEUlT_E0_NS1_11comp_targetILNS1_3genE0ELNS1_11target_archE4294967295ELNS1_3gpuE0ELNS1_3repE0EEENS1_60segmented_radix_sort_warp_sort_medium_config_static_selectorELNS0_4arch9wavefront6targetE1EEEvSK_
	.p2align	8
	.type	_ZN7rocprim17ROCPRIM_400000_NS6detail17trampoline_kernelINS0_14default_configENS1_36segmented_radix_sort_config_selectorIhlEEZNS1_25segmented_radix_sort_implIS3_Lb0EPKhPhPKlPlN2at6native12_GLOBAL__N_18offset_tEEE10hipError_tPvRmT1_PNSt15iterator_traitsISK_E10value_typeET2_T3_PNSL_ISQ_E10value_typeET4_jRbjT5_SW_jjP12ihipStream_tbEUlT_E0_NS1_11comp_targetILNS1_3genE0ELNS1_11target_archE4294967295ELNS1_3gpuE0ELNS1_3repE0EEENS1_60segmented_radix_sort_warp_sort_medium_config_static_selectorELNS0_4arch9wavefront6targetE1EEEvSK_,@function
_ZN7rocprim17ROCPRIM_400000_NS6detail17trampoline_kernelINS0_14default_configENS1_36segmented_radix_sort_config_selectorIhlEEZNS1_25segmented_radix_sort_implIS3_Lb0EPKhPhPKlPlN2at6native12_GLOBAL__N_18offset_tEEE10hipError_tPvRmT1_PNSt15iterator_traitsISK_E10value_typeET2_T3_PNSL_ISQ_E10value_typeET4_jRbjT5_SW_jjP12ihipStream_tbEUlT_E0_NS1_11comp_targetILNS1_3genE0ELNS1_11target_archE4294967295ELNS1_3gpuE0ELNS1_3repE0EEENS1_60segmented_radix_sort_warp_sort_medium_config_static_selectorELNS0_4arch9wavefront6targetE1EEEvSK_: ; @_ZN7rocprim17ROCPRIM_400000_NS6detail17trampoline_kernelINS0_14default_configENS1_36segmented_radix_sort_config_selectorIhlEEZNS1_25segmented_radix_sort_implIS3_Lb0EPKhPhPKlPlN2at6native12_GLOBAL__N_18offset_tEEE10hipError_tPvRmT1_PNSt15iterator_traitsISK_E10value_typeET2_T3_PNSL_ISQ_E10value_typeET4_jRbjT5_SW_jjP12ihipStream_tbEUlT_E0_NS1_11comp_targetILNS1_3genE0ELNS1_11target_archE4294967295ELNS1_3gpuE0ELNS1_3repE0EEENS1_60segmented_radix_sort_warp_sort_medium_config_static_selectorELNS0_4arch9wavefront6targetE1EEEvSK_
; %bb.0:
	.section	.rodata,"a",@progbits
	.p2align	6, 0x0
	.amdhsa_kernel _ZN7rocprim17ROCPRIM_400000_NS6detail17trampoline_kernelINS0_14default_configENS1_36segmented_radix_sort_config_selectorIhlEEZNS1_25segmented_radix_sort_implIS3_Lb0EPKhPhPKlPlN2at6native12_GLOBAL__N_18offset_tEEE10hipError_tPvRmT1_PNSt15iterator_traitsISK_E10value_typeET2_T3_PNSL_ISQ_E10value_typeET4_jRbjT5_SW_jjP12ihipStream_tbEUlT_E0_NS1_11comp_targetILNS1_3genE0ELNS1_11target_archE4294967295ELNS1_3gpuE0ELNS1_3repE0EEENS1_60segmented_radix_sort_warp_sort_medium_config_static_selectorELNS0_4arch9wavefront6targetE1EEEvSK_
		.amdhsa_group_segment_fixed_size 0
		.amdhsa_private_segment_fixed_size 0
		.amdhsa_kernarg_size 88
		.amdhsa_user_sgpr_count 6
		.amdhsa_user_sgpr_private_segment_buffer 1
		.amdhsa_user_sgpr_dispatch_ptr 0
		.amdhsa_user_sgpr_queue_ptr 0
		.amdhsa_user_sgpr_kernarg_segment_ptr 1
		.amdhsa_user_sgpr_dispatch_id 0
		.amdhsa_user_sgpr_flat_scratch_init 0
		.amdhsa_user_sgpr_kernarg_preload_length 0
		.amdhsa_user_sgpr_kernarg_preload_offset 0
		.amdhsa_user_sgpr_private_segment_size 0
		.amdhsa_uses_dynamic_stack 0
		.amdhsa_system_sgpr_private_segment_wavefront_offset 0
		.amdhsa_system_sgpr_workgroup_id_x 1
		.amdhsa_system_sgpr_workgroup_id_y 0
		.amdhsa_system_sgpr_workgroup_id_z 0
		.amdhsa_system_sgpr_workgroup_info 0
		.amdhsa_system_vgpr_workitem_id 0
		.amdhsa_next_free_vgpr 1
		.amdhsa_next_free_sgpr 0
		.amdhsa_accum_offset 4
		.amdhsa_reserve_vcc 0
		.amdhsa_reserve_flat_scratch 0
		.amdhsa_float_round_mode_32 0
		.amdhsa_float_round_mode_16_64 0
		.amdhsa_float_denorm_mode_32 3
		.amdhsa_float_denorm_mode_16_64 3
		.amdhsa_dx10_clamp 1
		.amdhsa_ieee_mode 1
		.amdhsa_fp16_overflow 0
		.amdhsa_tg_split 0
		.amdhsa_exception_fp_ieee_invalid_op 0
		.amdhsa_exception_fp_denorm_src 0
		.amdhsa_exception_fp_ieee_div_zero 0
		.amdhsa_exception_fp_ieee_overflow 0
		.amdhsa_exception_fp_ieee_underflow 0
		.amdhsa_exception_fp_ieee_inexact 0
		.amdhsa_exception_int_div_zero 0
	.end_amdhsa_kernel
	.section	.text._ZN7rocprim17ROCPRIM_400000_NS6detail17trampoline_kernelINS0_14default_configENS1_36segmented_radix_sort_config_selectorIhlEEZNS1_25segmented_radix_sort_implIS3_Lb0EPKhPhPKlPlN2at6native12_GLOBAL__N_18offset_tEEE10hipError_tPvRmT1_PNSt15iterator_traitsISK_E10value_typeET2_T3_PNSL_ISQ_E10value_typeET4_jRbjT5_SW_jjP12ihipStream_tbEUlT_E0_NS1_11comp_targetILNS1_3genE0ELNS1_11target_archE4294967295ELNS1_3gpuE0ELNS1_3repE0EEENS1_60segmented_radix_sort_warp_sort_medium_config_static_selectorELNS0_4arch9wavefront6targetE1EEEvSK_,"axG",@progbits,_ZN7rocprim17ROCPRIM_400000_NS6detail17trampoline_kernelINS0_14default_configENS1_36segmented_radix_sort_config_selectorIhlEEZNS1_25segmented_radix_sort_implIS3_Lb0EPKhPhPKlPlN2at6native12_GLOBAL__N_18offset_tEEE10hipError_tPvRmT1_PNSt15iterator_traitsISK_E10value_typeET2_T3_PNSL_ISQ_E10value_typeET4_jRbjT5_SW_jjP12ihipStream_tbEUlT_E0_NS1_11comp_targetILNS1_3genE0ELNS1_11target_archE4294967295ELNS1_3gpuE0ELNS1_3repE0EEENS1_60segmented_radix_sort_warp_sort_medium_config_static_selectorELNS0_4arch9wavefront6targetE1EEEvSK_,comdat
.Lfunc_end196:
	.size	_ZN7rocprim17ROCPRIM_400000_NS6detail17trampoline_kernelINS0_14default_configENS1_36segmented_radix_sort_config_selectorIhlEEZNS1_25segmented_radix_sort_implIS3_Lb0EPKhPhPKlPlN2at6native12_GLOBAL__N_18offset_tEEE10hipError_tPvRmT1_PNSt15iterator_traitsISK_E10value_typeET2_T3_PNSL_ISQ_E10value_typeET4_jRbjT5_SW_jjP12ihipStream_tbEUlT_E0_NS1_11comp_targetILNS1_3genE0ELNS1_11target_archE4294967295ELNS1_3gpuE0ELNS1_3repE0EEENS1_60segmented_radix_sort_warp_sort_medium_config_static_selectorELNS0_4arch9wavefront6targetE1EEEvSK_, .Lfunc_end196-_ZN7rocprim17ROCPRIM_400000_NS6detail17trampoline_kernelINS0_14default_configENS1_36segmented_radix_sort_config_selectorIhlEEZNS1_25segmented_radix_sort_implIS3_Lb0EPKhPhPKlPlN2at6native12_GLOBAL__N_18offset_tEEE10hipError_tPvRmT1_PNSt15iterator_traitsISK_E10value_typeET2_T3_PNSL_ISQ_E10value_typeET4_jRbjT5_SW_jjP12ihipStream_tbEUlT_E0_NS1_11comp_targetILNS1_3genE0ELNS1_11target_archE4294967295ELNS1_3gpuE0ELNS1_3repE0EEENS1_60segmented_radix_sort_warp_sort_medium_config_static_selectorELNS0_4arch9wavefront6targetE1EEEvSK_
                                        ; -- End function
	.section	.AMDGPU.csdata,"",@progbits
; Kernel info:
; codeLenInByte = 0
; NumSgprs: 4
; NumVgprs: 0
; NumAgprs: 0
; TotalNumVgprs: 0
; ScratchSize: 0
; MemoryBound: 0
; FloatMode: 240
; IeeeMode: 1
; LDSByteSize: 0 bytes/workgroup (compile time only)
; SGPRBlocks: 0
; VGPRBlocks: 0
; NumSGPRsForWavesPerEU: 4
; NumVGPRsForWavesPerEU: 1
; AccumOffset: 4
; Occupancy: 8
; WaveLimiterHint : 0
; COMPUTE_PGM_RSRC2:SCRATCH_EN: 0
; COMPUTE_PGM_RSRC2:USER_SGPR: 6
; COMPUTE_PGM_RSRC2:TRAP_HANDLER: 0
; COMPUTE_PGM_RSRC2:TGID_X_EN: 1
; COMPUTE_PGM_RSRC2:TGID_Y_EN: 0
; COMPUTE_PGM_RSRC2:TGID_Z_EN: 0
; COMPUTE_PGM_RSRC2:TIDIG_COMP_CNT: 0
; COMPUTE_PGM_RSRC3_GFX90A:ACCUM_OFFSET: 0
; COMPUTE_PGM_RSRC3_GFX90A:TG_SPLIT: 0
	.section	.text._ZN7rocprim17ROCPRIM_400000_NS6detail17trampoline_kernelINS0_14default_configENS1_36segmented_radix_sort_config_selectorIhlEEZNS1_25segmented_radix_sort_implIS3_Lb0EPKhPhPKlPlN2at6native12_GLOBAL__N_18offset_tEEE10hipError_tPvRmT1_PNSt15iterator_traitsISK_E10value_typeET2_T3_PNSL_ISQ_E10value_typeET4_jRbjT5_SW_jjP12ihipStream_tbEUlT_E0_NS1_11comp_targetILNS1_3genE5ELNS1_11target_archE942ELNS1_3gpuE9ELNS1_3repE0EEENS1_60segmented_radix_sort_warp_sort_medium_config_static_selectorELNS0_4arch9wavefront6targetE1EEEvSK_,"axG",@progbits,_ZN7rocprim17ROCPRIM_400000_NS6detail17trampoline_kernelINS0_14default_configENS1_36segmented_radix_sort_config_selectorIhlEEZNS1_25segmented_radix_sort_implIS3_Lb0EPKhPhPKlPlN2at6native12_GLOBAL__N_18offset_tEEE10hipError_tPvRmT1_PNSt15iterator_traitsISK_E10value_typeET2_T3_PNSL_ISQ_E10value_typeET4_jRbjT5_SW_jjP12ihipStream_tbEUlT_E0_NS1_11comp_targetILNS1_3genE5ELNS1_11target_archE942ELNS1_3gpuE9ELNS1_3repE0EEENS1_60segmented_radix_sort_warp_sort_medium_config_static_selectorELNS0_4arch9wavefront6targetE1EEEvSK_,comdat
	.globl	_ZN7rocprim17ROCPRIM_400000_NS6detail17trampoline_kernelINS0_14default_configENS1_36segmented_radix_sort_config_selectorIhlEEZNS1_25segmented_radix_sort_implIS3_Lb0EPKhPhPKlPlN2at6native12_GLOBAL__N_18offset_tEEE10hipError_tPvRmT1_PNSt15iterator_traitsISK_E10value_typeET2_T3_PNSL_ISQ_E10value_typeET4_jRbjT5_SW_jjP12ihipStream_tbEUlT_E0_NS1_11comp_targetILNS1_3genE5ELNS1_11target_archE942ELNS1_3gpuE9ELNS1_3repE0EEENS1_60segmented_radix_sort_warp_sort_medium_config_static_selectorELNS0_4arch9wavefront6targetE1EEEvSK_ ; -- Begin function _ZN7rocprim17ROCPRIM_400000_NS6detail17trampoline_kernelINS0_14default_configENS1_36segmented_radix_sort_config_selectorIhlEEZNS1_25segmented_radix_sort_implIS3_Lb0EPKhPhPKlPlN2at6native12_GLOBAL__N_18offset_tEEE10hipError_tPvRmT1_PNSt15iterator_traitsISK_E10value_typeET2_T3_PNSL_ISQ_E10value_typeET4_jRbjT5_SW_jjP12ihipStream_tbEUlT_E0_NS1_11comp_targetILNS1_3genE5ELNS1_11target_archE942ELNS1_3gpuE9ELNS1_3repE0EEENS1_60segmented_radix_sort_warp_sort_medium_config_static_selectorELNS0_4arch9wavefront6targetE1EEEvSK_
	.p2align	8
	.type	_ZN7rocprim17ROCPRIM_400000_NS6detail17trampoline_kernelINS0_14default_configENS1_36segmented_radix_sort_config_selectorIhlEEZNS1_25segmented_radix_sort_implIS3_Lb0EPKhPhPKlPlN2at6native12_GLOBAL__N_18offset_tEEE10hipError_tPvRmT1_PNSt15iterator_traitsISK_E10value_typeET2_T3_PNSL_ISQ_E10value_typeET4_jRbjT5_SW_jjP12ihipStream_tbEUlT_E0_NS1_11comp_targetILNS1_3genE5ELNS1_11target_archE942ELNS1_3gpuE9ELNS1_3repE0EEENS1_60segmented_radix_sort_warp_sort_medium_config_static_selectorELNS0_4arch9wavefront6targetE1EEEvSK_,@function
_ZN7rocprim17ROCPRIM_400000_NS6detail17trampoline_kernelINS0_14default_configENS1_36segmented_radix_sort_config_selectorIhlEEZNS1_25segmented_radix_sort_implIS3_Lb0EPKhPhPKlPlN2at6native12_GLOBAL__N_18offset_tEEE10hipError_tPvRmT1_PNSt15iterator_traitsISK_E10value_typeET2_T3_PNSL_ISQ_E10value_typeET4_jRbjT5_SW_jjP12ihipStream_tbEUlT_E0_NS1_11comp_targetILNS1_3genE5ELNS1_11target_archE942ELNS1_3gpuE9ELNS1_3repE0EEENS1_60segmented_radix_sort_warp_sort_medium_config_static_selectorELNS0_4arch9wavefront6targetE1EEEvSK_: ; @_ZN7rocprim17ROCPRIM_400000_NS6detail17trampoline_kernelINS0_14default_configENS1_36segmented_radix_sort_config_selectorIhlEEZNS1_25segmented_radix_sort_implIS3_Lb0EPKhPhPKlPlN2at6native12_GLOBAL__N_18offset_tEEE10hipError_tPvRmT1_PNSt15iterator_traitsISK_E10value_typeET2_T3_PNSL_ISQ_E10value_typeET4_jRbjT5_SW_jjP12ihipStream_tbEUlT_E0_NS1_11comp_targetILNS1_3genE5ELNS1_11target_archE942ELNS1_3gpuE9ELNS1_3repE0EEENS1_60segmented_radix_sort_warp_sort_medium_config_static_selectorELNS0_4arch9wavefront6targetE1EEEvSK_
; %bb.0:
	.section	.rodata,"a",@progbits
	.p2align	6, 0x0
	.amdhsa_kernel _ZN7rocprim17ROCPRIM_400000_NS6detail17trampoline_kernelINS0_14default_configENS1_36segmented_radix_sort_config_selectorIhlEEZNS1_25segmented_radix_sort_implIS3_Lb0EPKhPhPKlPlN2at6native12_GLOBAL__N_18offset_tEEE10hipError_tPvRmT1_PNSt15iterator_traitsISK_E10value_typeET2_T3_PNSL_ISQ_E10value_typeET4_jRbjT5_SW_jjP12ihipStream_tbEUlT_E0_NS1_11comp_targetILNS1_3genE5ELNS1_11target_archE942ELNS1_3gpuE9ELNS1_3repE0EEENS1_60segmented_radix_sort_warp_sort_medium_config_static_selectorELNS0_4arch9wavefront6targetE1EEEvSK_
		.amdhsa_group_segment_fixed_size 0
		.amdhsa_private_segment_fixed_size 0
		.amdhsa_kernarg_size 88
		.amdhsa_user_sgpr_count 6
		.amdhsa_user_sgpr_private_segment_buffer 1
		.amdhsa_user_sgpr_dispatch_ptr 0
		.amdhsa_user_sgpr_queue_ptr 0
		.amdhsa_user_sgpr_kernarg_segment_ptr 1
		.amdhsa_user_sgpr_dispatch_id 0
		.amdhsa_user_sgpr_flat_scratch_init 0
		.amdhsa_user_sgpr_kernarg_preload_length 0
		.amdhsa_user_sgpr_kernarg_preload_offset 0
		.amdhsa_user_sgpr_private_segment_size 0
		.amdhsa_uses_dynamic_stack 0
		.amdhsa_system_sgpr_private_segment_wavefront_offset 0
		.amdhsa_system_sgpr_workgroup_id_x 1
		.amdhsa_system_sgpr_workgroup_id_y 0
		.amdhsa_system_sgpr_workgroup_id_z 0
		.amdhsa_system_sgpr_workgroup_info 0
		.amdhsa_system_vgpr_workitem_id 0
		.amdhsa_next_free_vgpr 1
		.amdhsa_next_free_sgpr 0
		.amdhsa_accum_offset 4
		.amdhsa_reserve_vcc 0
		.amdhsa_reserve_flat_scratch 0
		.amdhsa_float_round_mode_32 0
		.amdhsa_float_round_mode_16_64 0
		.amdhsa_float_denorm_mode_32 3
		.amdhsa_float_denorm_mode_16_64 3
		.amdhsa_dx10_clamp 1
		.amdhsa_ieee_mode 1
		.amdhsa_fp16_overflow 0
		.amdhsa_tg_split 0
		.amdhsa_exception_fp_ieee_invalid_op 0
		.amdhsa_exception_fp_denorm_src 0
		.amdhsa_exception_fp_ieee_div_zero 0
		.amdhsa_exception_fp_ieee_overflow 0
		.amdhsa_exception_fp_ieee_underflow 0
		.amdhsa_exception_fp_ieee_inexact 0
		.amdhsa_exception_int_div_zero 0
	.end_amdhsa_kernel
	.section	.text._ZN7rocprim17ROCPRIM_400000_NS6detail17trampoline_kernelINS0_14default_configENS1_36segmented_radix_sort_config_selectorIhlEEZNS1_25segmented_radix_sort_implIS3_Lb0EPKhPhPKlPlN2at6native12_GLOBAL__N_18offset_tEEE10hipError_tPvRmT1_PNSt15iterator_traitsISK_E10value_typeET2_T3_PNSL_ISQ_E10value_typeET4_jRbjT5_SW_jjP12ihipStream_tbEUlT_E0_NS1_11comp_targetILNS1_3genE5ELNS1_11target_archE942ELNS1_3gpuE9ELNS1_3repE0EEENS1_60segmented_radix_sort_warp_sort_medium_config_static_selectorELNS0_4arch9wavefront6targetE1EEEvSK_,"axG",@progbits,_ZN7rocprim17ROCPRIM_400000_NS6detail17trampoline_kernelINS0_14default_configENS1_36segmented_radix_sort_config_selectorIhlEEZNS1_25segmented_radix_sort_implIS3_Lb0EPKhPhPKlPlN2at6native12_GLOBAL__N_18offset_tEEE10hipError_tPvRmT1_PNSt15iterator_traitsISK_E10value_typeET2_T3_PNSL_ISQ_E10value_typeET4_jRbjT5_SW_jjP12ihipStream_tbEUlT_E0_NS1_11comp_targetILNS1_3genE5ELNS1_11target_archE942ELNS1_3gpuE9ELNS1_3repE0EEENS1_60segmented_radix_sort_warp_sort_medium_config_static_selectorELNS0_4arch9wavefront6targetE1EEEvSK_,comdat
.Lfunc_end197:
	.size	_ZN7rocprim17ROCPRIM_400000_NS6detail17trampoline_kernelINS0_14default_configENS1_36segmented_radix_sort_config_selectorIhlEEZNS1_25segmented_radix_sort_implIS3_Lb0EPKhPhPKlPlN2at6native12_GLOBAL__N_18offset_tEEE10hipError_tPvRmT1_PNSt15iterator_traitsISK_E10value_typeET2_T3_PNSL_ISQ_E10value_typeET4_jRbjT5_SW_jjP12ihipStream_tbEUlT_E0_NS1_11comp_targetILNS1_3genE5ELNS1_11target_archE942ELNS1_3gpuE9ELNS1_3repE0EEENS1_60segmented_radix_sort_warp_sort_medium_config_static_selectorELNS0_4arch9wavefront6targetE1EEEvSK_, .Lfunc_end197-_ZN7rocprim17ROCPRIM_400000_NS6detail17trampoline_kernelINS0_14default_configENS1_36segmented_radix_sort_config_selectorIhlEEZNS1_25segmented_radix_sort_implIS3_Lb0EPKhPhPKlPlN2at6native12_GLOBAL__N_18offset_tEEE10hipError_tPvRmT1_PNSt15iterator_traitsISK_E10value_typeET2_T3_PNSL_ISQ_E10value_typeET4_jRbjT5_SW_jjP12ihipStream_tbEUlT_E0_NS1_11comp_targetILNS1_3genE5ELNS1_11target_archE942ELNS1_3gpuE9ELNS1_3repE0EEENS1_60segmented_radix_sort_warp_sort_medium_config_static_selectorELNS0_4arch9wavefront6targetE1EEEvSK_
                                        ; -- End function
	.section	.AMDGPU.csdata,"",@progbits
; Kernel info:
; codeLenInByte = 0
; NumSgprs: 4
; NumVgprs: 0
; NumAgprs: 0
; TotalNumVgprs: 0
; ScratchSize: 0
; MemoryBound: 0
; FloatMode: 240
; IeeeMode: 1
; LDSByteSize: 0 bytes/workgroup (compile time only)
; SGPRBlocks: 0
; VGPRBlocks: 0
; NumSGPRsForWavesPerEU: 4
; NumVGPRsForWavesPerEU: 1
; AccumOffset: 4
; Occupancy: 8
; WaveLimiterHint : 0
; COMPUTE_PGM_RSRC2:SCRATCH_EN: 0
; COMPUTE_PGM_RSRC2:USER_SGPR: 6
; COMPUTE_PGM_RSRC2:TRAP_HANDLER: 0
; COMPUTE_PGM_RSRC2:TGID_X_EN: 1
; COMPUTE_PGM_RSRC2:TGID_Y_EN: 0
; COMPUTE_PGM_RSRC2:TGID_Z_EN: 0
; COMPUTE_PGM_RSRC2:TIDIG_COMP_CNT: 0
; COMPUTE_PGM_RSRC3_GFX90A:ACCUM_OFFSET: 0
; COMPUTE_PGM_RSRC3_GFX90A:TG_SPLIT: 0
	.text
	.p2align	2                               ; -- Begin function _ZN7rocprim17ROCPRIM_400000_NS6detail26segmented_warp_sort_helperINS1_20WarpSortHelperConfigILj16ELj8ELj256EEEhlLi256ELb0EvE4sortIPKhPhPKlPlEEvT_T0_T1_T2_jjjjRNS5_12storage_typeE
	.type	_ZN7rocprim17ROCPRIM_400000_NS6detail26segmented_warp_sort_helperINS1_20WarpSortHelperConfigILj16ELj8ELj256EEEhlLi256ELb0EvE4sortIPKhPhPKlPlEEvT_T0_T1_T2_jjjjRNS5_12storage_typeE,@function
_ZN7rocprim17ROCPRIM_400000_NS6detail26segmented_warp_sort_helperINS1_20WarpSortHelperConfigILj16ELj8ELj256EEEhlLi256ELb0EvE4sortIPKhPhPKlPlEEvT_T0_T1_T2_jjjjRNS5_12storage_typeE: ; @_ZN7rocprim17ROCPRIM_400000_NS6detail26segmented_warp_sort_helperINS1_20WarpSortHelperConfigILj16ELj8ELj256EEEhlLi256ELb0EvE4sortIPKhPhPKlPlEEvT_T0_T1_T2_jjjjRNS5_12storage_typeE
; %bb.0:
	s_waitcnt vmcnt(0) expcnt(0) lgkmcnt(0)
	s_or_saveexec_b64 s[4:5], -1
	buffer_store_dword v40, off, s[0:3], s32 ; 4-byte Folded Spill
	s_mov_b64 exec, s[4:5]
	v_writelane_b32 v40, s34, 0
	v_writelane_b32 v40, s35, 1
	;; [unrolled: 1-line block ×14, first 2 shown]
	v_add_co_u32_e32 v12, vcc, v0, v8
	v_mbcnt_lo_u32_b32 v0, -1, 0
	v_mbcnt_hi_u32_b32 v0, -1, v0
	v_addc_co_u32_e32 v13, vcc, 0, v1, vcc
	v_lshlrev_b32_e32 v1, 3, v0
	v_and_b32_e32 v0, 0x78, v1
	v_add_co_u32_e32 v12, vcc, v12, v0
	v_sub_u32_e32 v14, v9, v8
	v_addc_co_u32_e32 v13, vcc, 0, v13, vcc
	v_mov_b32_e32 v22, 0xff
	v_mov_b32_e32 v9, 0
	v_cmp_lt_u32_e32 vcc, v0, v14
	v_mov_b32_e32 v36, 0xff
	v_mov_b32_e32 v30, 0xff
	;; [unrolled: 1-line block ×7, first 2 shown]
	s_and_saveexec_b64 s[4:5], vcc
	s_cbranch_execz .LBB198_2
; %bb.1:
	flat_load_ubyte v22, v[12:13]
	v_mov_b32_e32 v30, 0xff
	v_mov_b32_e32 v27, 0xff
	;; [unrolled: 1-line block ×7, first 2 shown]
.LBB198_2:
	s_or_b64 exec, exec, s[4:5]
	v_or_b32_e32 v15, 1, v0
	v_cmp_lt_u32_e64 s[4:5], v15, v14
	s_and_saveexec_b64 s[6:7], s[4:5]
	s_cbranch_execz .LBB198_4
; %bb.3:
	flat_load_ubyte v30, v[12:13] offset:1
.LBB198_4:
	s_or_b64 exec, exec, s[6:7]
	v_or_b32_e32 v15, 2, v0
	v_cmp_lt_u32_e64 s[6:7], v15, v14
	s_and_saveexec_b64 s[10:11], s[6:7]
	s_cbranch_execz .LBB198_6
; %bb.5:
	flat_load_ubyte v27, v[12:13] offset:2
.LBB198_6:
	;; [unrolled: 8-line block ×7, first 2 shown]
	s_or_b64 exec, exec, s[20:21]
	v_lshlrev_b64 v[12:13], 3, v[8:9]
	v_add_co_u32_e64 v4, s[20:21], v4, v12
	v_addc_co_u32_e64 v5, s[20:21], v5, v13, s[20:21]
	v_lshlrev_b32_e32 v9, 3, v0
	v_add_co_u32_e64 v34, s[20:21], v4, v9
	v_addc_co_u32_e64 v35, s[20:21], 0, v5, s[20:21]
	; wave barrier
                                        ; implicit-def: $vgpr4_vgpr5
	s_and_saveexec_b64 s[20:21], vcc
	s_cbranch_execnz .LBB198_136
; %bb.17:
	s_or_b64 exec, exec, s[20:21]
                                        ; implicit-def: $vgpr14_vgpr15
	s_and_saveexec_b64 s[20:21], s[4:5]
	s_cbranch_execnz .LBB198_137
.LBB198_18:
	s_or_b64 exec, exec, s[20:21]
                                        ; implicit-def: $vgpr16_vgpr17
	s_and_saveexec_b64 s[20:21], s[6:7]
	s_cbranch_execnz .LBB198_138
.LBB198_19:
	s_or_b64 exec, exec, s[20:21]
                                        ; implicit-def: $vgpr18_vgpr19
	s_and_saveexec_b64 s[20:21], s[18:19]
	s_cbranch_execnz .LBB198_139
.LBB198_20:
	s_or_b64 exec, exec, s[20:21]
                                        ; implicit-def: $vgpr24_vgpr25
	s_and_saveexec_b64 s[20:21], s[10:11]
	s_cbranch_execnz .LBB198_140
.LBB198_21:
	s_or_b64 exec, exec, s[20:21]
                                        ; implicit-def: $vgpr20_vgpr21
	s_and_saveexec_b64 s[20:21], s[26:27]
	s_cbranch_execnz .LBB198_141
.LBB198_22:
	s_or_b64 exec, exec, s[20:21]
                                        ; implicit-def: $vgpr28_vgpr29
	s_and_saveexec_b64 s[20:21], s[14:15]
	s_cbranch_execnz .LBB198_142
.LBB198_23:
	s_or_b64 exec, exec, s[20:21]
                                        ; implicit-def: $vgpr32_vgpr33
	s_and_saveexec_b64 s[20:21], s[16:17]
	s_cbranch_execz .LBB198_25
.LBB198_24:
	flat_load_dwordx2 v[32:33], v[34:35] offset:56
.LBB198_25:
	s_or_b64 exec, exec, s[20:21]
	v_cmp_ne_u32_e64 s[20:21], 0, v10
	v_cmp_ne_u32_e64 s[22:23], 8, v11
	s_or_b64 s[20:21], s[20:21], s[22:23]
	v_bfe_u32 v34, v31, 10, 10
	v_bfe_u32 v35, v31, 20, 10
	; wave barrier
	s_and_saveexec_b64 s[22:23], s[20:21]
	s_xor_b64 s[40:41], exec, s[22:23]
	s_cbranch_execz .LBB198_71
; %bb.26:
	s_load_dwordx2 s[20:21], s[8:9], 0x0
	v_mov_b32_e32 v39, 0
	v_lshlrev_b32_e64 v11, v11, -1
	v_lshlrev_b32_e64 v10, v10, -1
	s_movk_i32 s24, 0x800
	s_waitcnt lgkmcnt(0)
	s_cmp_lt_u32 s12, s20
	s_cselect_b32 s22, 12, 18
	s_cmp_lt_u32 s13, s21
	s_cselect_b32 s20, 14, 20
	s_add_u32 s20, s8, s20
	s_addc_u32 s21, s9, 0
	s_add_u32 s22, s8, s22
	s_addc_u32 s23, s9, 0
	global_load_ushort v48, v39, s[20:21]
	global_load_ushort v49, v39, s[22:23]
	v_and_b32_e32 v39, 0x3ff, v31
	v_xor_b32_e32 v31, v11, v10
	s_waitcnt vmcnt(0)
	v_mad_u32_u24 v10, v35, v48, v34
	v_mul_lo_u32 v10, v10, v49
	v_add_lshl_u32 v34, v10, v39, 3
	v_cmp_gt_u32_e64 s[20:21], s24, v34
	s_and_saveexec_b64 s[22:23], s[20:21]
	s_cbranch_execz .LBB198_30
; %bb.27:
	v_lshlrev_b16_e32 v10, 8, v38
	v_or_b32_sdwa v10, v23, v10 dst_sel:DWORD dst_unused:UNUSED_PAD src0_sel:BYTE_0 src1_sel:DWORD
	v_lshlrev_b16_e32 v23, 8, v30
	v_lshlrev_b16_e32 v11, 8, v36
	v_or_b32_sdwa v23, v22, v23 dst_sel:DWORD dst_unused:UNUSED_PAD src0_sel:BYTE_0 src1_sel:DWORD
	v_and_b32_sdwa v36, v22, v31 dst_sel:DWORD dst_unused:UNUSED_PAD src0_sel:BYTE_0 src1_sel:DWORD
	v_lshlrev_b16_e32 v22, 8, v22
	v_lshlrev_b16_e32 v26, 8, v26
	v_and_b32_sdwa v35, v30, v31 dst_sel:DWORD dst_unused:UNUSED_PAD src0_sel:BYTE_0 src1_sel:DWORD
	v_or_b32_sdwa v22, v30, v22 dst_sel:DWORD dst_unused:UNUSED_PAD src0_sel:BYTE_0 src1_sel:DWORD
	v_or_b32_sdwa v26, v27, v26 dst_sel:WORD_1 dst_unused:UNUSED_PAD src0_sel:BYTE_0 src1_sel:DWORD
	v_or_b32_sdwa v22, v22, v26 dst_sel:DWORD dst_unused:UNUSED_PAD src0_sel:WORD_0 src1_sel:DWORD
	v_or_b32_sdwa v23, v23, v26 dst_sel:DWORD dst_unused:UNUSED_PAD src0_sel:WORD_0 src1_sel:DWORD
	v_cmp_gt_u16_e64 s[20:21], v36, v35
	v_cndmask_b32_e64 v26, v14, v4, s[20:21]
	v_cndmask_b32_e64 v4, v4, v14, s[20:21]
	;; [unrolled: 1-line block ×5, first 2 shown]
	v_lshrrev_b32_e32 v15, 16, v14
	s_mov_b32 s30, 0xc0c0001
	v_or_b32_sdwa v11, v37, v11 dst_sel:WORD_1 dst_unused:UNUSED_PAD src0_sel:BYTE_0 src1_sel:DWORD
	v_perm_b32 v22, 0, v15, s30
	v_and_b32_sdwa v23, v14, v31 dst_sel:DWORD dst_unused:UNUSED_PAD src0_sel:BYTE_3 src1_sel:DWORD
	v_and_b32_e32 v15, v15, v31
	v_or_b32_sdwa v11, v10, v11 dst_sel:DWORD dst_unused:UNUSED_PAD src0_sel:WORD_0 src1_sel:DWORD
	v_cmp_gt_u16_sdwa s[20:21], v15, v23 src0_sel:BYTE_0 src1_sel:DWORD
	s_mov_b32 s25, 0xffff
	v_lshlrev_b32_e32 v22, 16, v22
	v_cndmask_b32_e64 v23, v19, v17, s[20:21]
	v_cndmask_b32_e64 v17, v17, v19, s[20:21]
	v_lshrrev_b32_e32 v19, 8, v11
	v_and_or_b32 v22, v14, s25, v22
	s_mov_b32 s35, 0x7060405
	v_and_b32_e32 v19, v19, v31
	v_and_b32_e32 v10, v10, v31
	v_cndmask_b32_e64 v15, v18, v16, s[20:21]
	v_cndmask_b32_e64 v16, v16, v18, s[20:21]
	;; [unrolled: 1-line block ×3, first 2 shown]
	v_perm_b32 v18, v11, v11, s35
	v_cmp_gt_u16_sdwa s[20:21], v10, v19 src0_sel:BYTE_0 src1_sel:BYTE_0
	v_cndmask_b32_e64 v11, v11, v18, s[20:21]
	v_and_b32_sdwa v18, v11, v31 dst_sel:DWORD dst_unused:UNUSED_PAD src0_sel:BYTE_3 src1_sel:DWORD
	v_and_b32_sdwa v22, v11, v31 dst_sel:DWORD dst_unused:UNUSED_PAD src0_sel:WORD_1 src1_sel:DWORD
	s_mov_b32 s31, 0x6070504
	v_cndmask_b32_e64 v10, v24, v20, s[20:21]
	v_cndmask_b32_e64 v19, v25, v21, s[20:21]
	;; [unrolled: 1-line block ×4, first 2 shown]
	v_perm_b32 v24, v11, v11, s31
	v_cmp_gt_u16_sdwa s[20:21], v22, v18 src0_sel:BYTE_0 src1_sel:DWORD
	v_cndmask_b32_e64 v11, v11, v24, s[20:21]
	v_lshrrev_b32_e32 v24, 8, v14
	v_cndmask_b32_e64 v22, v29, v33, s[20:21]
	v_cndmask_b32_e64 v25, v33, v29, s[20:21]
	v_and_b32_sdwa v29, v14, v31 dst_sel:DWORD dst_unused:UNUSED_PAD src0_sel:WORD_1 src1_sel:DWORD
	v_and_b32_e32 v24, v24, v31
	s_mov_b32 s29, 0x7050604
	v_cndmask_b32_e64 v18, v28, v32, s[20:21]
	v_cndmask_b32_e64 v28, v32, v28, s[20:21]
	v_perm_b32 v30, v14, v14, s29
	v_cmp_gt_u16_sdwa s[20:21], v24, v29 src0_sel:BYTE_0 src1_sel:BYTE_0
	s_movk_i32 s28, 0xff
	v_cndmask_b32_e64 v14, v14, v30, s[20:21]
	v_cndmask_b32_e64 v24, v17, v27, s[20:21]
	;; [unrolled: 1-line block ×3, first 2 shown]
	v_and_b32_sdwa v27, v14, s28 dst_sel:DWORD dst_unused:UNUSED_PAD src0_sel:WORD_1 src1_sel:DWORD
	v_lshlrev_b16_e32 v30, 8, v11
	s_mov_b32 s34, 0x3020107
	v_or_b32_sdwa v27, v27, v30 dst_sel:WORD_1 dst_unused:UNUSED_PAD src0_sel:DWORD src1_sel:DWORD
	v_and_b32_e32 v30, v11, v31
	v_and_b32_sdwa v32, v14, v31 dst_sel:DWORD dst_unused:UNUSED_PAD src0_sel:BYTE_3 src1_sel:DWORD
	v_cndmask_b32_e64 v29, v16, v26, s[20:21]
	v_cndmask_b32_e64 v16, v26, v16, s[20:21]
	v_perm_b32 v26, v14, v11, s34
	v_cmp_gt_u16_sdwa s[20:21], v32, v30 src0_sel:DWORD src1_sel:BYTE_0
	v_cndmask_b32_e64 v11, v11, v26, s[20:21]
	v_cndmask_b32_e64 v32, v15, v10, s[20:21]
	;; [unrolled: 1-line block ×3, first 2 shown]
	v_lshrrev_b32_e32 v15, 8, v11
	v_and_or_b32 v27, v14, s25, v27
	v_cndmask_b32_e64 v30, v23, v19, s[20:21]
	v_cndmask_b32_e64 v19, v19, v23, s[20:21]
	v_and_b32_sdwa v23, v11, v31 dst_sel:DWORD dst_unused:UNUSED_PAD src0_sel:WORD_1 src1_sel:DWORD
	v_and_b32_e32 v15, v15, v31
	v_cndmask_b32_e64 v14, v14, v27, s[20:21]
	v_cmp_gt_u16_sdwa s[20:21], v15, v23 src0_sel:BYTE_0 src1_sel:BYTE_0
	v_perm_b32 v26, v11, v11, s29
	v_cndmask_b32_e64 v15, v21, v22, s[20:21]
	v_cndmask_b32_e64 v21, v22, v21, s[20:21]
	v_lshrrev_b32_e32 v22, 8, v14
	v_cndmask_b32_e64 v23, v20, v18, s[20:21]
	v_cndmask_b32_e64 v18, v18, v20, s[20:21]
	;; [unrolled: 1-line block ×3, first 2 shown]
	v_perm_b32 v20, 0, v14, s30
	s_mov_b32 s36, 0xffff0000
	v_and_b32_e32 v22, v22, v31
	v_and_b32_e32 v26, v14, v31
	v_and_or_b32 v20, v14, s36, v20
	v_cmp_gt_u16_sdwa s[20:21], v26, v22 src0_sel:BYTE_0 src1_sel:BYTE_0
	v_cndmask_b32_e64 v14, v14, v20, s[20:21]
	v_cndmask_b32_e64 v22, v16, v4, s[20:21]
	;; [unrolled: 1-line block ×3, first 2 shown]
	v_lshrrev_b32_e32 v16, 16, v14
	v_cndmask_b32_e64 v26, v17, v5, s[20:21]
	v_cndmask_b32_e64 v5, v5, v17, s[20:21]
	v_perm_b32 v17, 0, v16, s30
	v_and_b32_sdwa v20, v14, v31 dst_sel:DWORD dst_unused:UNUSED_PAD src0_sel:BYTE_3 src1_sel:DWORD
	v_and_b32_e32 v16, v16, v31
	v_cmp_gt_u16_sdwa s[20:21], v16, v20 src0_sel:BYTE_0 src1_sel:DWORD
	v_lshlrev_b32_e32 v17, 16, v17
	v_cndmask_b32_e64 v16, v32, v29, s[20:21]
	v_cndmask_b32_e64 v27, v29, v32, s[20:21]
	v_lshrrev_b32_e32 v29, 8, v11
	v_and_or_b32 v17, v14, s25, v17
	v_cndmask_b32_e64 v20, v30, v24, s[20:21]
	v_cndmask_b32_e64 v24, v24, v30, s[20:21]
	v_and_b32_e32 v29, v29, v31
	v_and_b32_e32 v30, v11, v31
	v_cndmask_b32_e64 v14, v14, v17, s[20:21]
	v_perm_b32 v17, v11, v11, s35
	v_cmp_gt_u16_sdwa s[20:21], v30, v29 src0_sel:BYTE_0 src1_sel:BYTE_0
	v_cndmask_b32_e64 v11, v11, v17, s[20:21]
	v_cndmask_b32_e64 v30, v19, v15, s[20:21]
	;; [unrolled: 1-line block ×3, first 2 shown]
	v_and_b32_sdwa v17, v11, v31 dst_sel:DWORD dst_unused:UNUSED_PAD src0_sel:BYTE_3 src1_sel:DWORD
	v_and_b32_sdwa v19, v11, v31 dst_sel:DWORD dst_unused:UNUSED_PAD src0_sel:WORD_1 src1_sel:DWORD
	v_cndmask_b32_e64 v29, v10, v23, s[20:21]
	v_cndmask_b32_e64 v10, v23, v10, s[20:21]
	v_perm_b32 v23, v11, v11, s31
	v_cmp_gt_u16_sdwa s[20:21], v19, v17 src0_sel:BYTE_0 src1_sel:DWORD
	v_cndmask_b32_e64 v11, v11, v23, s[20:21]
	v_lshrrev_b32_e32 v23, 8, v14
	v_cndmask_b32_e64 v19, v21, v25, s[20:21]
	v_cndmask_b32_e64 v21, v25, v21, s[20:21]
	v_and_b32_sdwa v25, v14, v31 dst_sel:DWORD dst_unused:UNUSED_PAD src0_sel:WORD_1 src1_sel:DWORD
	v_and_b32_e32 v23, v23, v31
	v_cndmask_b32_e64 v17, v18, v28, s[20:21]
	v_cndmask_b32_e64 v18, v28, v18, s[20:21]
	v_perm_b32 v28, v14, v14, s29
	v_cmp_gt_u16_sdwa s[20:21], v23, v25 src0_sel:BYTE_0 src1_sel:BYTE_0
	v_cndmask_b32_e64 v14, v14, v28, s[20:21]
	v_cndmask_b32_e64 v25, v27, v22, s[20:21]
	;; [unrolled: 1-line block ×3, first 2 shown]
	v_and_b32_sdwa v27, v14, s28 dst_sel:DWORD dst_unused:UNUSED_PAD src0_sel:WORD_1 src1_sel:DWORD
	v_lshlrev_b16_e32 v28, 8, v11
	v_or_b32_sdwa v27, v27, v28 dst_sel:WORD_1 dst_unused:UNUSED_PAD src0_sel:DWORD src1_sel:DWORD
	v_and_b32_e32 v28, v11, v31
	v_and_b32_sdwa v32, v14, v31 dst_sel:DWORD dst_unused:UNUSED_PAD src0_sel:BYTE_3 src1_sel:DWORD
	v_cndmask_b32_e64 v23, v24, v26, s[20:21]
	v_cndmask_b32_e64 v24, v26, v24, s[20:21]
	v_perm_b32 v26, v14, v11, s34
	v_cmp_gt_u16_sdwa s[20:21], v32, v28 src0_sel:DWORD src1_sel:BYTE_0
	v_cndmask_b32_e64 v11, v11, v26, s[20:21]
	v_and_or_b32 v27, v14, s25, v27
	v_lshrrev_b32_e32 v26, 8, v11
	v_cndmask_b32_e64 v14, v14, v27, s[20:21]
	v_and_b32_sdwa v27, v11, v31 dst_sel:DWORD dst_unused:UNUSED_PAD src0_sel:WORD_1 src1_sel:DWORD
	v_and_b32_e32 v26, v26, v31
	v_cndmask_b32_e64 v28, v20, v30, s[20:21]
	v_cndmask_b32_e64 v32, v16, v29, s[20:21]
	;; [unrolled: 1-line block ×4, first 2 shown]
	v_cmp_gt_u16_sdwa s[20:21], v26, v27 src0_sel:BYTE_0 src1_sel:BYTE_0
	v_perm_b32 v29, v11, v11, s29
	v_cndmask_b32_e64 v26, v15, v19, s[20:21]
	v_cndmask_b32_e64 v15, v19, v15, s[20:21]
	v_lshrrev_b32_e32 v19, 8, v14
	v_cndmask_b32_e64 v27, v10, v17, s[20:21]
	v_cndmask_b32_e64 v10, v17, v10, s[20:21]
	;; [unrolled: 1-line block ×3, first 2 shown]
	v_perm_b32 v17, 0, v14, s30
	v_and_b32_e32 v19, v19, v31
	v_and_b32_e32 v29, v14, v31
	v_and_or_b32 v17, v14, s36, v17
	v_cmp_gt_u16_sdwa s[20:21], v29, v19 src0_sel:BYTE_0 src1_sel:BYTE_0
	v_cndmask_b32_e64 v14, v14, v17, s[20:21]
	v_lshrrev_b32_e32 v17, 16, v14
	v_cndmask_b32_e64 v19, v22, v4, s[20:21]
	v_cndmask_b32_e64 v29, v24, v5, s[20:21]
	;; [unrolled: 1-line block ×4, first 2 shown]
	v_perm_b32 v22, 0, v17, s30
	v_and_b32_sdwa v24, v14, v31 dst_sel:DWORD dst_unused:UNUSED_PAD src0_sel:BYTE_3 src1_sel:DWORD
	v_and_b32_e32 v17, v17, v31
	v_cmp_gt_u16_sdwa s[20:21], v17, v24 src0_sel:BYTE_0 src1_sel:DWORD
	v_lshlrev_b32_e32 v22, 16, v22
	v_cndmask_b32_e64 v24, v28, v23, s[20:21]
	v_cndmask_b32_e64 v23, v23, v28, s[20:21]
	v_lshrrev_b32_e32 v28, 8, v11
	v_and_or_b32 v22, v14, s25, v22
	v_and_b32_e32 v28, v28, v31
	v_and_b32_e32 v30, v11, v31
	v_cndmask_b32_e64 v17, v32, v25, s[20:21]
	v_cndmask_b32_e64 v25, v25, v32, s[20:21]
	;; [unrolled: 1-line block ×3, first 2 shown]
	v_perm_b32 v22, v11, v11, s35
	v_cmp_gt_u16_sdwa s[20:21], v30, v28 src0_sel:BYTE_0 src1_sel:BYTE_0
	v_cndmask_b32_e64 v11, v11, v22, s[20:21]
	v_cndmask_b32_e64 v30, v20, v26, s[20:21]
	;; [unrolled: 1-line block ×3, first 2 shown]
	v_and_b32_sdwa v22, v11, v31 dst_sel:DWORD dst_unused:UNUSED_PAD src0_sel:BYTE_3 src1_sel:DWORD
	v_and_b32_sdwa v26, v11, v31 dst_sel:DWORD dst_unused:UNUSED_PAD src0_sel:WORD_1 src1_sel:DWORD
	v_cndmask_b32_e64 v28, v16, v27, s[20:21]
	v_cndmask_b32_e64 v16, v27, v16, s[20:21]
	v_perm_b32 v27, v11, v11, s31
	v_cmp_gt_u16_sdwa s[20:21], v26, v22 src0_sel:BYTE_0 src1_sel:DWORD
	v_cndmask_b32_e64 v22, v10, v18, s[20:21]
	v_cndmask_b32_e64 v18, v18, v10, s[20:21]
	;; [unrolled: 1-line block ×3, first 2 shown]
	v_lshrrev_b32_e32 v11, 8, v14
	v_cndmask_b32_e64 v26, v15, v21, s[20:21]
	v_cndmask_b32_e64 v15, v21, v15, s[20:21]
	v_and_b32_sdwa v21, v14, v31 dst_sel:DWORD dst_unused:UNUSED_PAD src0_sel:WORD_1 src1_sel:DWORD
	v_and_b32_e32 v11, v11, v31
	v_perm_b32 v27, v14, v14, s29
	v_cmp_gt_u16_sdwa s[20:21], v11, v21 src0_sel:BYTE_0 src1_sel:BYTE_0
	v_cndmask_b32_e64 v14, v14, v27, s[20:21]
	v_cndmask_b32_e64 v11, v23, v29, s[20:21]
	;; [unrolled: 1-line block ×3, first 2 shown]
	v_and_b32_sdwa v27, v14, s28 dst_sel:DWORD dst_unused:UNUSED_PAD src0_sel:WORD_1 src1_sel:DWORD
	v_lshlrev_b16_e32 v29, 8, v10
	v_or_b32_sdwa v27, v27, v29 dst_sel:WORD_1 dst_unused:UNUSED_PAD src0_sel:DWORD src1_sel:DWORD
	v_and_b32_e32 v29, v10, v31
	v_and_b32_sdwa v32, v14, v31 dst_sel:DWORD dst_unused:UNUSED_PAD src0_sel:BYTE_3 src1_sel:DWORD
	v_cndmask_b32_e64 v21, v25, v19, s[20:21]
	v_cndmask_b32_e64 v19, v19, v25, s[20:21]
	v_perm_b32 v25, v14, v10, s34
	v_cmp_gt_u16_sdwa s[20:21], v32, v29 src0_sel:DWORD src1_sel:BYTE_0
	v_cndmask_b32_e64 v10, v10, v25, s[20:21]
	v_and_or_b32 v27, v14, s25, v27
	v_lshrrev_b32_e32 v25, 8, v10
	v_cndmask_b32_e64 v14, v14, v27, s[20:21]
	v_and_b32_sdwa v27, v10, v31 dst_sel:DWORD dst_unused:UNUSED_PAD src0_sel:WORD_1 src1_sel:DWORD
	v_and_b32_e32 v25, v25, v31
	v_cndmask_b32_e64 v29, v24, v30, s[20:21]
	v_cndmask_b32_e64 v32, v17, v28, s[20:21]
	;; [unrolled: 1-line block ×4, first 2 shown]
	v_cmp_gt_u16_sdwa s[20:21], v25, v27 src0_sel:BYTE_0 src1_sel:BYTE_0
	v_perm_b32 v28, v10, v10, s29
	v_cndmask_b32_e64 v25, v20, v26, s[20:21]
	v_cndmask_b32_e64 v27, v16, v22, s[20:21]
	;; [unrolled: 1-line block ×4, first 2 shown]
	v_lshrrev_b32_e32 v26, 8, v14
	v_cndmask_b32_e64 v10, v10, v28, s[20:21]
	v_perm_b32 v20, 0, v14, s30
	v_and_b32_e32 v26, v26, v31
	v_and_b32_e32 v28, v14, v31
	v_and_or_b32 v20, v14, s36, v20
	v_cmp_gt_u16_sdwa s[20:21], v28, v26 src0_sel:BYTE_0 src1_sel:BYTE_0
	v_cndmask_b32_e64 v14, v14, v20, s[20:21]
	v_cndmask_b32_e64 v26, v19, v4, s[20:21]
	;; [unrolled: 1-line block ×3, first 2 shown]
	v_lshrrev_b32_e32 v19, 16, v14
	v_perm_b32 v20, 0, v19, s30
	v_cndmask_b32_e64 v28, v23, v5, s[20:21]
	v_cndmask_b32_e64 v5, v5, v23, s[20:21]
	v_and_b32_sdwa v23, v14, v31 dst_sel:DWORD dst_unused:UNUSED_PAD src0_sel:BYTE_3 src1_sel:DWORD
	v_and_b32_e32 v19, v19, v31
	v_lshlrev_b32_e32 v20, 16, v20
	v_and_or_b32 v20, v14, s25, v20
	v_cmp_gt_u16_sdwa s[20:21], v19, v23 src0_sel:BYTE_0 src1_sel:DWORD
	v_cndmask_b32_e64 v35, v14, v20, s[20:21]
	v_lshrrev_b32_e32 v14, 8, v10
	v_and_b32_e32 v14, v14, v31
	v_and_b32_e32 v20, v10, v31
	v_cndmask_b32_e64 v23, v32, v21, s[20:21]
	v_cndmask_b32_e64 v30, v29, v11, s[20:21]
	;; [unrolled: 1-line block ×4, first 2 shown]
	v_perm_b32 v11, v10, v10, s35
	v_cmp_gt_u16_sdwa s[20:21], v20, v14 src0_sel:BYTE_0 src1_sel:BYTE_0
	v_cndmask_b32_e64 v14, v10, v11, s[20:21]
	v_and_b32_sdwa v10, v14, v31 dst_sel:DWORD dst_unused:UNUSED_PAD src0_sel:BYTE_3 src1_sel:DWORD
	v_and_b32_sdwa v11, v14, v31 dst_sel:DWORD dst_unused:UNUSED_PAD src0_sel:WORD_1 src1_sel:DWORD
	v_cndmask_b32_e64 v36, v17, v27, s[20:21]
	v_cndmask_b32_e64 v37, v24, v25, s[20:21]
	;; [unrolled: 1-line block ×4, first 2 shown]
	v_perm_b32 v17, v14, v14, s31
	v_cmp_gt_u16_sdwa s[20:21], v11, v10 src0_sel:BYTE_0 src1_sel:DWORD
	v_cndmask_b32_e64 v11, v22, v15, s[20:21]
	v_cndmask_b32_e64 v33, v15, v22, s[20:21]
	;; [unrolled: 1-line block ×3, first 2 shown]
	v_lshrrev_b32_e32 v14, 8, v35
	v_and_b32_sdwa v15, v35, v31 dst_sel:DWORD dst_unused:UNUSED_PAD src0_sel:WORD_1 src1_sel:DWORD
	v_and_b32_e32 v14, v14, v31
	v_cndmask_b32_e64 v10, v16, v18, s[20:21]
	v_cndmask_b32_e64 v32, v18, v16, s[20:21]
	v_perm_b32 v18, v35, v35, s29
	v_cmp_gt_u16_sdwa s[20:21], v14, v15 src0_sel:BYTE_0 src1_sel:BYTE_0
	v_cndmask_b32_e64 v16, v19, v26, s[20:21]
	v_cndmask_b32_e64 v14, v26, v19, s[20:21]
	;; [unrolled: 1-line block ×3, first 2 shown]
	v_and_b32_sdwa v18, v26, s28 dst_sel:DWORD dst_unused:UNUSED_PAD src0_sel:WORD_1 src1_sel:DWORD
	v_lshlrev_b16_e32 v19, 8, v22
	v_or_b32_sdwa v18, v18, v19 dst_sel:WORD_1 dst_unused:UNUSED_PAD src0_sel:DWORD src1_sel:DWORD
	v_and_b32_e32 v19, v22, v31
	v_and_b32_sdwa v24, v26, v31 dst_sel:DWORD dst_unused:UNUSED_PAD src0_sel:BYTE_3 src1_sel:DWORD
	v_cndmask_b32_e64 v17, v29, v28, s[20:21]
	v_cndmask_b32_e64 v15, v28, v29, s[20:21]
	v_perm_b32 v27, v26, v22, s34
	v_cmp_gt_u16_sdwa s[20:21], v24, v19 src0_sel:DWORD src1_sel:BYTE_0
	v_and_or_b32 v28, v26, s25, v18
	v_cndmask_b32_e64 v18, v23, v36, s[20:21]
	v_cndmask_b32_e64 v24, v36, v23, s[20:21]
	;; [unrolled: 1-line block ×6, first 2 shown]
	v_lshrrev_b32_e32 v38, 8, v23
	v_lshrrev_b32_e32 v37, 16, v23
	v_lshrrev_b64 v[26:27], 24, v[22:23]
	v_and_b32_e32 v28, v37, v31
	v_and_b32_e32 v29, v38, v31
	v_lshrrev_b32_e32 v36, 24, v23
	v_lshrrev_b32_e32 v27, 16, v22
	;; [unrolled: 1-line block ×3, first 2 shown]
	v_cmp_gt_u16_sdwa s[28:29], v29, v28 src0_sel:BYTE_0 src1_sel:BYTE_0
	v_pk_mov_b32 v[28:29], v[10:11], v[10:11] op_sel:[0,1]
	s_and_saveexec_b64 s[20:21], s[28:29]
; %bb.28:
	v_lshrrev_b32_e32 v36, 24, v23
	v_lshrrev_b32_e32 v37, 8, v23
	;; [unrolled: 1-line block ×5, first 2 shown]
	v_pk_mov_b32 v[28:29], v[20:21], v[20:21] op_sel:[0,1]
	v_pk_mov_b32 v[20:21], v[10:11], v[10:11] op_sel:[0,1]
; %bb.29:
	s_or_b64 exec, exec, s[20:21]
.LBB198_30:
	s_or_b64 exec, exec, s[22:23]
	v_and_b32_e32 v11, 0xfffffe00, v34
	v_sub_u32_e64 v34, s24, v11 clamp
	v_or_b32_e32 v48, 8, v1
	v_min_u32_e32 v49, v34, v48
	v_add_u32_e32 v48, 8, v49
	v_and_b32_e32 v51, 0x3f0, v1
	v_min_u32_e32 v50, v34, v48
	v_and_b32_e32 v48, 8, v1
	v_min_u32_e32 v52, v34, v48
	v_sub_u32_e32 v48, v49, v51
	v_sub_u32_e32 v53, v50, v49
	v_lshlrev_b32_e32 v10, 3, v11
	v_sub_u32_e64 v53, v52, v53 clamp
	v_min_u32_e32 v48, v52, v48
	v_add_u32_e32 v35, v11, v1
	v_lshl_add_u32 v39, v1, 3, v10
	v_cmp_lt_u32_e64 s[20:21], v53, v48
	ds_write_b8 v35, v22
	ds_write_b64 v39, v[4:5] offset:2048
	ds_write_b8 v35, v30 offset:1
	ds_write_b64 v39, v[14:15] offset:2056
	ds_write_b8 v35, v27 offset:2
	ds_write_b64 v39, v[16:17] offset:2064
	ds_write_b8 v35, v26 offset:3
	ds_write_b64 v39, v[18:19] offset:2072
	ds_write_b8 v35, v23 offset:4
	ds_write_b64 v39, v[24:25] offset:2080
	ds_write_b8 v35, v38 offset:5
	ds_write_b64 v39, v[20:21] offset:2088
	ds_write_b8 v35, v37 offset:6
	ds_write_b64 v39, v[28:29] offset:2096
	ds_write_b8 v35, v36 offset:7
	ds_write_b64 v39, v[32:33] offset:2104
	; wave barrier
	s_and_saveexec_b64 s[22:23], s[20:21]
	s_cbranch_execz .LBB198_34
; %bb.31:
	v_add_u32_e32 v54, v11, v51
	v_add3_u32 v55, v11, v49, v52
	s_mov_b64 s[24:25], 0
.LBB198_32:                             ; =>This Inner Loop Header: Depth=1
	v_add_u32_e32 v64, v48, v53
	v_lshrrev_b32_e32 v64, 1, v64
	v_add_u32_e32 v65, v54, v64
	v_xad_u32 v66, v64, -1, v55
	ds_read_u8 v66, v66
	ds_read_u8 v65, v65
	v_add_u32_e32 v67, 1, v64
	s_waitcnt lgkmcnt(1)
	v_and_b32_e32 v66, v66, v31
	s_waitcnt lgkmcnt(0)
	v_and_b32_e32 v65, v65, v31
	v_cmp_gt_u16_sdwa s[20:21], v65, v66 src0_sel:BYTE_0 src1_sel:BYTE_0
	v_cndmask_b32_e64 v48, v48, v64, s[20:21]
	v_cndmask_b32_e64 v53, v67, v53, s[20:21]
	v_cmp_ge_u32_e64 s[20:21], v53, v48
	s_or_b64 s[24:25], s[20:21], s[24:25]
	s_andn2_b64 exec, exec, s[24:25]
	s_cbranch_execnz .LBB198_32
; %bb.33:
	s_or_b64 exec, exec, s[24:25]
.LBB198_34:
	s_or_b64 exec, exec, s[22:23]
	v_add_u32_e32 v52, v49, v52
	v_add_u32_e32 v51, v53, v51
	v_sub_u32_e32 v52, v52, v53
	v_cmp_le_u32_e64 s[20:21], v51, v49
	v_cmp_le_u32_e64 s[22:23], v52, v50
	v_add_u32_e32 v48, 0x800, v39
	s_or_b64 s[20:21], s[20:21], s[22:23]
	s_and_saveexec_b64 s[42:43], s[20:21]
	s_cbranch_execz .LBB198_40
; %bb.35:
	v_cmp_lt_u32_e64 s[20:21], v51, v49
                                        ; implicit-def: $vgpr22
	s_and_saveexec_b64 s[22:23], s[20:21]
	s_cbranch_execz .LBB198_37
; %bb.36:
	v_add_u32_e32 v4, v11, v51
	ds_read_u8 v22, v4
.LBB198_37:
	s_or_b64 exec, exec, s[22:23]
	v_cmp_ge_u32_e64 s[22:23], v52, v50
	v_cmp_lt_u32_e64 s[24:25], v52, v50
                                        ; implicit-def: $vgpr23
	s_and_saveexec_b64 s[28:29], s[24:25]
	s_cbranch_execz .LBB198_39
; %bb.38:
	v_add_u32_e32 v4, v11, v52
	ds_read_u8 v23, v4
.LBB198_39:
	s_or_b64 exec, exec, s[28:29]
	s_waitcnt lgkmcnt(0)
	v_and_b32_e32 v4, v23, v31
	v_and_b32_e32 v5, v22, v31
	v_cmp_le_u16_sdwa s[24:25], v5, v4 src0_sel:BYTE_0 src1_sel:BYTE_0
	s_and_b64 s[20:21], s[20:21], s[24:25]
	s_or_b64 s[20:21], s[22:23], s[20:21]
	v_cndmask_b32_e64 v4, v52, v51, s[20:21]
	v_cndmask_b32_e64 v5, v50, v49, s[20:21]
	v_add_u32_e32 v14, 1, v4
	v_add_u32_e32 v5, -1, v5
	v_min_u32_e32 v5, v14, v5
	v_add_u32_e32 v5, v11, v5
	ds_read_u8 v5, v5
	v_lshl_add_u32 v4, v4, 3, v10
	s_waitcnt lgkmcnt(0)
	v_cndmask_b32_e64 v26, v5, v23, s[20:21]
	v_cndmask_b32_e64 v27, v22, v5, s[20:21]
	;; [unrolled: 1-line block ×4, first 2 shown]
	v_and_b32_e32 v15, v26, v31
	v_and_b32_e32 v16, v27, v31
	v_cmp_lt_u32_e64 s[24:25], v14, v49
	v_cmp_le_u16_sdwa s[28:29], v16, v15 src0_sel:BYTE_0 src1_sel:BYTE_0
	v_cmp_ge_u32_e64 s[22:23], v5, v50
	s_and_b64 s[24:25], s[24:25], s[28:29]
	s_or_b64 s[22:23], s[22:23], s[24:25]
	v_cndmask_b32_e64 v15, v5, v14, s[22:23]
	v_cndmask_b32_e64 v16, v50, v49, s[22:23]
	v_add_u32_e32 v17, 1, v15
	v_add_u32_e32 v16, -1, v16
	v_min_u32_e32 v16, v17, v16
	v_add_u32_e32 v16, v11, v16
	ds_read_u8 v16, v16
	v_cndmask_b32_e64 v5, v17, v5, s[22:23]
	v_cndmask_b32_e64 v14, v14, v17, s[22:23]
	v_cmp_lt_u32_e64 s[28:29], v14, v49
	v_cmp_ge_u32_e64 s[24:25], v5, v50
	s_waitcnt lgkmcnt(0)
	v_cndmask_b32_e64 v32, v16, v26, s[22:23]
	v_cndmask_b32_e64 v33, v27, v16, s[22:23]
	v_and_b32_e32 v16, v32, v31
	v_and_b32_e32 v17, v33, v31
	v_cmp_le_u16_sdwa s[30:31], v17, v16 src0_sel:BYTE_0 src1_sel:BYTE_0
	s_and_b64 s[28:29], s[28:29], s[30:31]
	s_or_b64 s[24:25], s[24:25], s[28:29]
	v_cndmask_b32_e64 v16, v5, v14, s[24:25]
	v_cndmask_b32_e64 v17, v50, v49, s[24:25]
	v_add_u32_e32 v18, 1, v16
	v_add_u32_e32 v17, -1, v17
	v_min_u32_e32 v17, v18, v17
	v_add_u32_e32 v17, v11, v17
	ds_read_u8 v17, v17
	v_lshl_add_u32 v16, v16, 3, v10
	v_cndmask_b32_e64 v22, v23, v22, s[20:21]
	s_waitcnt lgkmcnt(0)
	v_cndmask_b32_e64 v36, v17, v32, s[24:25]
	v_cndmask_b32_e64 v37, v33, v17, s[24:25]
	;; [unrolled: 1-line block ×4, first 2 shown]
	v_and_b32_e32 v5, v36, v31
	v_and_b32_e32 v14, v37, v31
	v_cmp_lt_u32_e64 s[30:31], v18, v49
	v_cmp_le_u16_sdwa s[34:35], v14, v5 src0_sel:BYTE_0 src1_sel:BYTE_0
	v_cmp_ge_u32_e64 s[28:29], v17, v50
	s_and_b64 s[30:31], s[30:31], s[34:35]
	s_or_b64 s[28:29], s[28:29], s[30:31]
	v_cndmask_b32_e64 v19, v17, v18, s[28:29]
	v_cndmask_b32_e64 v5, v50, v49, s[28:29]
	v_add_u32_e32 v20, 1, v19
	v_add_u32_e32 v5, -1, v5
	v_min_u32_e32 v5, v20, v5
	v_add_u32_e32 v5, v11, v5
	ds_read_u8 v21, v5
	v_lshl_add_u32 v14, v15, 3, v10
	ds_read_b64 v[4:5], v4 offset:2048
	ds_read_b64 v[14:15], v14 offset:2048
	s_waitcnt lgkmcnt(2)
	v_cndmask_b32_e64 v38, v21, v36, s[28:29]
	v_cndmask_b32_e64 v51, v37, v21, s[28:29]
	v_cndmask_b32_e64 v21, v20, v17, s[28:29]
	v_cndmask_b32_e64 v20, v18, v20, s[28:29]
	v_and_b32_e32 v17, v38, v31
	v_and_b32_e32 v18, v51, v31
	v_cmp_lt_u32_e64 s[34:35], v20, v49
	v_cmp_le_u16_sdwa s[36:37], v18, v17 src0_sel:BYTE_0 src1_sel:BYTE_0
	v_cmp_ge_u32_e64 s[30:31], v21, v50
	s_and_b64 s[34:35], s[34:35], s[36:37]
	s_or_b64 s[30:31], s[30:31], s[34:35]
	v_cndmask_b32_e64 v24, v21, v20, s[30:31]
	v_cndmask_b32_e64 v17, v50, v49, s[30:31]
	v_add_u32_e32 v25, 1, v24
	v_add_u32_e32 v17, -1, v17
	v_min_u32_e32 v17, v25, v17
	v_add_u32_e32 v17, v11, v17
	ds_read_u8 v28, v17
	ds_read_b64 v[16:17], v16 offset:2048
	v_cndmask_b32_e64 v29, v20, v25, s[30:31]
	v_cmp_lt_u32_e64 s[36:37], v29, v49
	v_lshl_add_u32 v18, v19, 3, v10
	ds_read_b64 v[18:19], v18 offset:2048
	s_waitcnt lgkmcnt(2)
	v_cndmask_b32_e64 v52, v28, v38, s[30:31]
	v_cndmask_b32_e64 v53, v51, v28, s[30:31]
	v_cndmask_b32_e64 v28, v25, v21, s[30:31]
	v_and_b32_e32 v20, v52, v31
	v_and_b32_e32 v21, v53, v31
	v_cmp_le_u16_sdwa s[38:39], v21, v20 src0_sel:BYTE_0 src1_sel:BYTE_0
	v_cmp_ge_u32_e64 s[34:35], v28, v50
	s_and_b64 s[36:37], s[36:37], s[38:39]
	s_or_b64 s[34:35], s[34:35], s[36:37]
	v_cndmask_b32_e64 v20, v28, v29, s[34:35]
	v_cndmask_b32_e64 v21, v50, v49, s[34:35]
	v_add_u32_e32 v30, 1, v20
	v_add_u32_e32 v21, -1, v21
	v_min_u32_e32 v21, v30, v21
	v_add_u32_e32 v21, v11, v21
	ds_read_u8 v54, v21
	v_cndmask_b32_e64 v64, v30, v28, s[34:35]
	v_cndmask_b32_e64 v65, v29, v30, s[34:35]
	v_cmp_lt_u32_e64 s[38:39], v65, v49
	v_cmp_ge_u32_e64 s[36:37], v64, v50
	s_waitcnt lgkmcnt(0)
	v_cndmask_b32_e64 v55, v54, v52, s[34:35]
	v_cndmask_b32_e64 v54, v53, v54, s[34:35]
	v_and_b32_e32 v28, v55, v31
	v_and_b32_e32 v29, v54, v31
	v_cmp_le_u16_sdwa s[44:45], v29, v28 src0_sel:BYTE_0 src1_sel:BYTE_0
	s_and_b64 s[38:39], s[38:39], s[44:45]
	s_or_b64 s[36:37], s[36:37], s[38:39]
	v_cndmask_b32_e64 v28, v64, v65, s[36:37]
	v_cndmask_b32_e64 v29, v50, v49, s[36:37]
	v_lshl_add_u32 v30, v28, 3, v10
	v_add_u32_e32 v66, 1, v28
	v_add_u32_e32 v28, -1, v29
	v_min_u32_e32 v28, v66, v28
	v_lshl_add_u32 v21, v24, 3, v10
	v_lshl_add_u32 v20, v20, 3, v10
	v_add_u32_e32 v67, v11, v28
	ds_read_b64 v[24:25], v21 offset:2048
	ds_read_b64 v[20:21], v20 offset:2048
	;; [unrolled: 1-line block ×3, first 2 shown]
	ds_read_u8 v67, v67
	v_cndmask_b32_e64 v30, v26, v27, s[22:23]
	v_cndmask_b32_e64 v26, v36, v37, s[28:29]
	;; [unrolled: 1-line block ×4, first 2 shown]
	s_waitcnt lgkmcnt(0)
	v_cndmask_b32_e64 v36, v67, v55, s[36:37]
	v_cndmask_b32_e64 v67, v54, v67, s[36:37]
	v_and_b32_e32 v33, v36, v31
	v_and_b32_e32 v37, v67, v31
	v_cndmask_b32_e64 v23, v66, v64, s[36:37]
	v_cmp_lt_u32_e64 s[22:23], v32, v49
	v_cmp_le_u16_sdwa s[24:25], v37, v33 src0_sel:BYTE_0 src1_sel:BYTE_0
	v_cmp_ge_u32_e64 s[20:21], v23, v50
	s_and_b64 s[22:23], s[22:23], s[24:25]
	s_or_b64 s[20:21], s[20:21], s[22:23]
	v_cndmask_b32_e64 v23, v23, v32, s[20:21]
	v_lshl_add_u32 v23, v23, 3, v10
	ds_read_b64 v[32:33], v23 offset:2048
	v_cndmask_b32_e64 v23, v38, v51, s[30:31]
	v_cndmask_b32_e64 v38, v52, v53, s[34:35]
	;; [unrolled: 1-line block ×4, first 2 shown]
.LBB198_40:
	s_or_b64 exec, exec, s[42:43]
	v_and_b32_e32 v51, 0x3e0, v1
	v_or_b32_e32 v49, 16, v51
	v_min_u32_e32 v49, v34, v49
	v_add_u32_e32 v50, 16, v49
	v_min_u32_e32 v50, v34, v50
	v_and_b32_e32 v52, 24, v1
	v_min_u32_e32 v52, v34, v52
	v_sub_u32_e32 v54, v49, v51
	v_sub_u32_e32 v53, v50, v49
	v_sub_u32_e64 v53, v52, v53 clamp
	v_min_u32_e32 v54, v52, v54
	v_cmp_lt_u32_e64 s[20:21], v53, v54
	; wave barrier
	ds_write_b8 v35, v22
	ds_write_b64 v39, v[4:5] offset:2048
	ds_write_b8 v35, v30 offset:1
	ds_write_b64 v48, v[14:15] offset:8
	ds_write_b8 v35, v27 offset:2
	;; [unrolled: 2-line block ×7, first 2 shown]
	s_waitcnt lgkmcnt(14)
	ds_write_b64 v48, v[32:33] offset:56
	; wave barrier
	s_and_saveexec_b64 s[22:23], s[20:21]
	s_cbranch_execz .LBB198_44
; %bb.41:
	v_add_u32_e32 v55, v11, v51
	v_add3_u32 v64, v11, v49, v52
	s_mov_b64 s[24:25], 0
.LBB198_42:                             ; =>This Inner Loop Header: Depth=1
	v_add_u32_e32 v65, v54, v53
	v_lshrrev_b32_e32 v65, 1, v65
	v_add_u32_e32 v66, v55, v65
	v_xad_u32 v67, v65, -1, v64
	ds_read_u8 v67, v67
	ds_read_u8 v66, v66
	v_add_u32_e32 v68, 1, v65
	s_waitcnt lgkmcnt(1)
	v_and_b32_e32 v67, v67, v31
	s_waitcnt lgkmcnt(0)
	v_and_b32_e32 v66, v66, v31
	v_cmp_gt_u16_sdwa s[20:21], v66, v67 src0_sel:BYTE_0 src1_sel:BYTE_0
	v_cndmask_b32_e64 v54, v54, v65, s[20:21]
	v_cndmask_b32_e64 v53, v68, v53, s[20:21]
	v_cmp_ge_u32_e64 s[20:21], v53, v54
	s_or_b64 s[24:25], s[20:21], s[24:25]
	s_andn2_b64 exec, exec, s[24:25]
	s_cbranch_execnz .LBB198_42
; %bb.43:
	s_or_b64 exec, exec, s[24:25]
.LBB198_44:
	s_or_b64 exec, exec, s[22:23]
	v_add_u32_e32 v52, v49, v52
	v_add_u32_e32 v51, v53, v51
	v_sub_u32_e32 v52, v52, v53
	v_cmp_le_u32_e64 s[20:21], v51, v49
	v_cmp_le_u32_e64 s[22:23], v52, v50
	s_or_b64 s[20:21], s[20:21], s[22:23]
	s_and_saveexec_b64 s[42:43], s[20:21]
	s_cbranch_execz .LBB198_50
; %bb.45:
	v_cmp_lt_u32_e64 s[20:21], v51, v49
                                        ; implicit-def: $vgpr22
	s_and_saveexec_b64 s[22:23], s[20:21]
	s_cbranch_execz .LBB198_47
; %bb.46:
	v_add_u32_e32 v4, v11, v51
	ds_read_u8 v22, v4
.LBB198_47:
	s_or_b64 exec, exec, s[22:23]
	v_cmp_ge_u32_e64 s[22:23], v52, v50
	v_cmp_lt_u32_e64 s[24:25], v52, v50
                                        ; implicit-def: $vgpr23
	s_and_saveexec_b64 s[28:29], s[24:25]
	s_cbranch_execz .LBB198_49
; %bb.48:
	v_add_u32_e32 v4, v11, v52
	ds_read_u8 v23, v4
.LBB198_49:
	s_or_b64 exec, exec, s[28:29]
	s_waitcnt lgkmcnt(0)
	v_and_b32_e32 v4, v23, v31
	v_and_b32_e32 v5, v22, v31
	v_cmp_le_u16_sdwa s[24:25], v5, v4 src0_sel:BYTE_0 src1_sel:BYTE_0
	s_and_b64 s[20:21], s[20:21], s[24:25]
	s_or_b64 s[20:21], s[22:23], s[20:21]
	v_cndmask_b32_e64 v4, v52, v51, s[20:21]
	v_cndmask_b32_e64 v5, v50, v49, s[20:21]
	v_add_u32_e32 v14, 1, v4
	v_add_u32_e32 v5, -1, v5
	v_min_u32_e32 v5, v14, v5
	v_add_u32_e32 v5, v11, v5
	ds_read_u8 v5, v5
	v_lshl_add_u32 v4, v4, 3, v10
	s_waitcnt lgkmcnt(0)
	v_cndmask_b32_e64 v26, v5, v23, s[20:21]
	v_cndmask_b32_e64 v27, v22, v5, s[20:21]
	;; [unrolled: 1-line block ×4, first 2 shown]
	v_and_b32_e32 v15, v26, v31
	v_and_b32_e32 v16, v27, v31
	v_cmp_lt_u32_e64 s[24:25], v14, v49
	v_cmp_le_u16_sdwa s[28:29], v16, v15 src0_sel:BYTE_0 src1_sel:BYTE_0
	v_cmp_ge_u32_e64 s[22:23], v5, v50
	s_and_b64 s[24:25], s[24:25], s[28:29]
	s_or_b64 s[22:23], s[22:23], s[24:25]
	v_cndmask_b32_e64 v15, v5, v14, s[22:23]
	v_cndmask_b32_e64 v16, v50, v49, s[22:23]
	v_add_u32_e32 v17, 1, v15
	v_add_u32_e32 v16, -1, v16
	v_min_u32_e32 v16, v17, v16
	v_add_u32_e32 v16, v11, v16
	ds_read_u8 v16, v16
	v_cndmask_b32_e64 v5, v17, v5, s[22:23]
	v_cndmask_b32_e64 v14, v14, v17, s[22:23]
	v_cmp_lt_u32_e64 s[28:29], v14, v49
	v_cmp_ge_u32_e64 s[24:25], v5, v50
	s_waitcnt lgkmcnt(0)
	v_cndmask_b32_e64 v32, v16, v26, s[22:23]
	v_cndmask_b32_e64 v33, v27, v16, s[22:23]
	v_and_b32_e32 v16, v32, v31
	v_and_b32_e32 v17, v33, v31
	v_cmp_le_u16_sdwa s[30:31], v17, v16 src0_sel:BYTE_0 src1_sel:BYTE_0
	s_and_b64 s[28:29], s[28:29], s[30:31]
	s_or_b64 s[24:25], s[24:25], s[28:29]
	v_cndmask_b32_e64 v16, v5, v14, s[24:25]
	v_cndmask_b32_e64 v17, v50, v49, s[24:25]
	v_add_u32_e32 v18, 1, v16
	v_add_u32_e32 v17, -1, v17
	v_min_u32_e32 v17, v18, v17
	v_add_u32_e32 v17, v11, v17
	ds_read_u8 v17, v17
	v_lshl_add_u32 v16, v16, 3, v10
	v_cndmask_b32_e64 v22, v23, v22, s[20:21]
	s_waitcnt lgkmcnt(0)
	v_cndmask_b32_e64 v36, v17, v32, s[24:25]
	v_cndmask_b32_e64 v37, v33, v17, s[24:25]
	;; [unrolled: 1-line block ×4, first 2 shown]
	v_and_b32_e32 v5, v36, v31
	v_and_b32_e32 v14, v37, v31
	v_cmp_lt_u32_e64 s[30:31], v18, v49
	v_cmp_le_u16_sdwa s[34:35], v14, v5 src0_sel:BYTE_0 src1_sel:BYTE_0
	v_cmp_ge_u32_e64 s[28:29], v17, v50
	s_and_b64 s[30:31], s[30:31], s[34:35]
	s_or_b64 s[28:29], s[28:29], s[30:31]
	v_cndmask_b32_e64 v19, v17, v18, s[28:29]
	v_cndmask_b32_e64 v5, v50, v49, s[28:29]
	v_add_u32_e32 v20, 1, v19
	v_add_u32_e32 v5, -1, v5
	v_min_u32_e32 v5, v20, v5
	v_add_u32_e32 v5, v11, v5
	ds_read_u8 v21, v5
	v_lshl_add_u32 v14, v15, 3, v10
	ds_read_b64 v[4:5], v4 offset:2048
	ds_read_b64 v[14:15], v14 offset:2048
	s_waitcnt lgkmcnt(2)
	v_cndmask_b32_e64 v38, v21, v36, s[28:29]
	v_cndmask_b32_e64 v51, v37, v21, s[28:29]
	;; [unrolled: 1-line block ×4, first 2 shown]
	v_and_b32_e32 v17, v38, v31
	v_and_b32_e32 v18, v51, v31
	v_cmp_lt_u32_e64 s[34:35], v20, v49
	v_cmp_le_u16_sdwa s[36:37], v18, v17 src0_sel:BYTE_0 src1_sel:BYTE_0
	v_cmp_ge_u32_e64 s[30:31], v21, v50
	s_and_b64 s[34:35], s[34:35], s[36:37]
	s_or_b64 s[30:31], s[30:31], s[34:35]
	v_cndmask_b32_e64 v24, v21, v20, s[30:31]
	v_cndmask_b32_e64 v17, v50, v49, s[30:31]
	v_add_u32_e32 v25, 1, v24
	v_add_u32_e32 v17, -1, v17
	v_min_u32_e32 v17, v25, v17
	v_add_u32_e32 v17, v11, v17
	ds_read_u8 v28, v17
	ds_read_b64 v[16:17], v16 offset:2048
	v_cndmask_b32_e64 v29, v20, v25, s[30:31]
	v_cmp_lt_u32_e64 s[36:37], v29, v49
	v_lshl_add_u32 v18, v19, 3, v10
	ds_read_b64 v[18:19], v18 offset:2048
	s_waitcnt lgkmcnt(2)
	v_cndmask_b32_e64 v52, v28, v38, s[30:31]
	v_cndmask_b32_e64 v53, v51, v28, s[30:31]
	;; [unrolled: 1-line block ×3, first 2 shown]
	v_and_b32_e32 v20, v52, v31
	v_and_b32_e32 v21, v53, v31
	v_cmp_le_u16_sdwa s[38:39], v21, v20 src0_sel:BYTE_0 src1_sel:BYTE_0
	v_cmp_ge_u32_e64 s[34:35], v28, v50
	s_and_b64 s[36:37], s[36:37], s[38:39]
	s_or_b64 s[34:35], s[34:35], s[36:37]
	v_cndmask_b32_e64 v20, v28, v29, s[34:35]
	v_cndmask_b32_e64 v21, v50, v49, s[34:35]
	v_add_u32_e32 v30, 1, v20
	v_add_u32_e32 v21, -1, v21
	v_min_u32_e32 v21, v30, v21
	v_add_u32_e32 v21, v11, v21
	ds_read_u8 v54, v21
	v_cndmask_b32_e64 v64, v30, v28, s[34:35]
	v_cndmask_b32_e64 v65, v29, v30, s[34:35]
	v_cmp_lt_u32_e64 s[38:39], v65, v49
	v_cmp_ge_u32_e64 s[36:37], v64, v50
	s_waitcnt lgkmcnt(0)
	v_cndmask_b32_e64 v55, v54, v52, s[34:35]
	v_cndmask_b32_e64 v54, v53, v54, s[34:35]
	v_and_b32_e32 v28, v55, v31
	v_and_b32_e32 v29, v54, v31
	v_cmp_le_u16_sdwa s[44:45], v29, v28 src0_sel:BYTE_0 src1_sel:BYTE_0
	s_and_b64 s[38:39], s[38:39], s[44:45]
	s_or_b64 s[36:37], s[36:37], s[38:39]
	v_cndmask_b32_e64 v28, v64, v65, s[36:37]
	v_cndmask_b32_e64 v29, v50, v49, s[36:37]
	v_lshl_add_u32 v30, v28, 3, v10
	v_add_u32_e32 v66, 1, v28
	v_add_u32_e32 v28, -1, v29
	v_min_u32_e32 v28, v66, v28
	v_lshl_add_u32 v21, v24, 3, v10
	v_lshl_add_u32 v20, v20, 3, v10
	v_add_u32_e32 v67, v11, v28
	ds_read_b64 v[24:25], v21 offset:2048
	ds_read_b64 v[20:21], v20 offset:2048
	;; [unrolled: 1-line block ×3, first 2 shown]
	ds_read_u8 v67, v67
	v_cndmask_b32_e64 v30, v26, v27, s[22:23]
	v_cndmask_b32_e64 v26, v36, v37, s[28:29]
	;; [unrolled: 1-line block ×4, first 2 shown]
	s_waitcnt lgkmcnt(0)
	v_cndmask_b32_e64 v36, v67, v55, s[36:37]
	v_cndmask_b32_e64 v67, v54, v67, s[36:37]
	v_and_b32_e32 v33, v36, v31
	v_and_b32_e32 v37, v67, v31
	v_cndmask_b32_e64 v23, v66, v64, s[36:37]
	v_cmp_lt_u32_e64 s[22:23], v32, v49
	v_cmp_le_u16_sdwa s[24:25], v37, v33 src0_sel:BYTE_0 src1_sel:BYTE_0
	v_cmp_ge_u32_e64 s[20:21], v23, v50
	s_and_b64 s[22:23], s[22:23], s[24:25]
	s_or_b64 s[20:21], s[20:21], s[22:23]
	v_cndmask_b32_e64 v23, v23, v32, s[20:21]
	v_lshl_add_u32 v23, v23, 3, v10
	ds_read_b64 v[32:33], v23 offset:2048
	v_cndmask_b32_e64 v23, v38, v51, s[30:31]
	v_cndmask_b32_e64 v38, v52, v53, s[34:35]
	;; [unrolled: 1-line block ×4, first 2 shown]
.LBB198_50:
	s_or_b64 exec, exec, s[42:43]
	v_and_b32_e32 v51, 0x3c0, v1
	v_or_b32_e32 v49, 32, v51
	v_min_u32_e32 v49, v34, v49
	v_add_u32_e32 v50, 32, v49
	v_min_u32_e32 v50, v34, v50
	v_and_b32_e32 v52, 56, v1
	v_min_u32_e32 v52, v34, v52
	v_sub_u32_e32 v54, v49, v51
	v_sub_u32_e32 v53, v50, v49
	v_sub_u32_e64 v53, v52, v53 clamp
	v_min_u32_e32 v54, v52, v54
	v_cmp_lt_u32_e64 s[20:21], v53, v54
	; wave barrier
	ds_write_b8 v35, v22
	ds_write_b64 v39, v[4:5] offset:2048
	ds_write_b8 v35, v30 offset:1
	ds_write_b64 v48, v[14:15] offset:8
	ds_write_b8 v35, v27 offset:2
	;; [unrolled: 2-line block ×7, first 2 shown]
	s_waitcnt lgkmcnt(14)
	ds_write_b64 v48, v[32:33] offset:56
	; wave barrier
	s_and_saveexec_b64 s[22:23], s[20:21]
	s_cbranch_execz .LBB198_54
; %bb.51:
	v_add_u32_e32 v55, v11, v51
	v_add3_u32 v64, v11, v49, v52
	s_mov_b64 s[24:25], 0
.LBB198_52:                             ; =>This Inner Loop Header: Depth=1
	v_add_u32_e32 v65, v54, v53
	v_lshrrev_b32_e32 v65, 1, v65
	v_add_u32_e32 v66, v55, v65
	v_xad_u32 v67, v65, -1, v64
	ds_read_u8 v67, v67
	ds_read_u8 v66, v66
	v_add_u32_e32 v68, 1, v65
	s_waitcnt lgkmcnt(1)
	v_and_b32_e32 v67, v67, v31
	s_waitcnt lgkmcnt(0)
	v_and_b32_e32 v66, v66, v31
	v_cmp_gt_u16_sdwa s[20:21], v66, v67 src0_sel:BYTE_0 src1_sel:BYTE_0
	v_cndmask_b32_e64 v54, v54, v65, s[20:21]
	v_cndmask_b32_e64 v53, v68, v53, s[20:21]
	v_cmp_ge_u32_e64 s[20:21], v53, v54
	s_or_b64 s[24:25], s[20:21], s[24:25]
	s_andn2_b64 exec, exec, s[24:25]
	s_cbranch_execnz .LBB198_52
; %bb.53:
	s_or_b64 exec, exec, s[24:25]
.LBB198_54:
	s_or_b64 exec, exec, s[22:23]
	v_add_u32_e32 v52, v49, v52
	v_add_u32_e32 v51, v53, v51
	v_sub_u32_e32 v52, v52, v53
	v_cmp_le_u32_e64 s[20:21], v51, v49
	v_cmp_le_u32_e64 s[22:23], v52, v50
	s_or_b64 s[20:21], s[20:21], s[22:23]
	s_and_saveexec_b64 s[42:43], s[20:21]
	s_cbranch_execz .LBB198_60
; %bb.55:
	v_cmp_lt_u32_e64 s[20:21], v51, v49
                                        ; implicit-def: $vgpr22
	s_and_saveexec_b64 s[22:23], s[20:21]
	s_cbranch_execz .LBB198_57
; %bb.56:
	v_add_u32_e32 v4, v11, v51
	ds_read_u8 v22, v4
.LBB198_57:
	s_or_b64 exec, exec, s[22:23]
	v_cmp_ge_u32_e64 s[22:23], v52, v50
	v_cmp_lt_u32_e64 s[24:25], v52, v50
                                        ; implicit-def: $vgpr23
	s_and_saveexec_b64 s[28:29], s[24:25]
	s_cbranch_execz .LBB198_59
; %bb.58:
	v_add_u32_e32 v4, v11, v52
	ds_read_u8 v23, v4
.LBB198_59:
	s_or_b64 exec, exec, s[28:29]
	s_waitcnt lgkmcnt(0)
	v_and_b32_e32 v4, v23, v31
	v_and_b32_e32 v5, v22, v31
	v_cmp_le_u16_sdwa s[24:25], v5, v4 src0_sel:BYTE_0 src1_sel:BYTE_0
	s_and_b64 s[20:21], s[20:21], s[24:25]
	s_or_b64 s[20:21], s[22:23], s[20:21]
	v_cndmask_b32_e64 v4, v52, v51, s[20:21]
	v_cndmask_b32_e64 v5, v50, v49, s[20:21]
	v_add_u32_e32 v14, 1, v4
	v_add_u32_e32 v5, -1, v5
	v_min_u32_e32 v5, v14, v5
	v_add_u32_e32 v5, v11, v5
	ds_read_u8 v5, v5
	v_lshl_add_u32 v4, v4, 3, v10
	s_waitcnt lgkmcnt(0)
	v_cndmask_b32_e64 v26, v5, v23, s[20:21]
	v_cndmask_b32_e64 v27, v22, v5, s[20:21]
	;; [unrolled: 1-line block ×4, first 2 shown]
	v_and_b32_e32 v15, v26, v31
	v_and_b32_e32 v16, v27, v31
	v_cmp_lt_u32_e64 s[24:25], v14, v49
	v_cmp_le_u16_sdwa s[28:29], v16, v15 src0_sel:BYTE_0 src1_sel:BYTE_0
	v_cmp_ge_u32_e64 s[22:23], v5, v50
	s_and_b64 s[24:25], s[24:25], s[28:29]
	s_or_b64 s[22:23], s[22:23], s[24:25]
	v_cndmask_b32_e64 v15, v5, v14, s[22:23]
	v_cndmask_b32_e64 v16, v50, v49, s[22:23]
	v_add_u32_e32 v17, 1, v15
	v_add_u32_e32 v16, -1, v16
	v_min_u32_e32 v16, v17, v16
	v_add_u32_e32 v16, v11, v16
	ds_read_u8 v16, v16
	v_cndmask_b32_e64 v5, v17, v5, s[22:23]
	v_cndmask_b32_e64 v14, v14, v17, s[22:23]
	v_cmp_lt_u32_e64 s[28:29], v14, v49
	v_cmp_ge_u32_e64 s[24:25], v5, v50
	s_waitcnt lgkmcnt(0)
	v_cndmask_b32_e64 v32, v16, v26, s[22:23]
	v_cndmask_b32_e64 v33, v27, v16, s[22:23]
	v_and_b32_e32 v16, v32, v31
	v_and_b32_e32 v17, v33, v31
	v_cmp_le_u16_sdwa s[30:31], v17, v16 src0_sel:BYTE_0 src1_sel:BYTE_0
	s_and_b64 s[28:29], s[28:29], s[30:31]
	s_or_b64 s[24:25], s[24:25], s[28:29]
	v_cndmask_b32_e64 v16, v5, v14, s[24:25]
	v_cndmask_b32_e64 v17, v50, v49, s[24:25]
	v_add_u32_e32 v18, 1, v16
	v_add_u32_e32 v17, -1, v17
	v_min_u32_e32 v17, v18, v17
	v_add_u32_e32 v17, v11, v17
	ds_read_u8 v17, v17
	v_lshl_add_u32 v16, v16, 3, v10
	v_cndmask_b32_e64 v22, v23, v22, s[20:21]
	s_waitcnt lgkmcnt(0)
	v_cndmask_b32_e64 v36, v17, v32, s[24:25]
	v_cndmask_b32_e64 v37, v33, v17, s[24:25]
	;; [unrolled: 1-line block ×4, first 2 shown]
	v_and_b32_e32 v5, v36, v31
	v_and_b32_e32 v14, v37, v31
	v_cmp_lt_u32_e64 s[30:31], v18, v49
	v_cmp_le_u16_sdwa s[34:35], v14, v5 src0_sel:BYTE_0 src1_sel:BYTE_0
	v_cmp_ge_u32_e64 s[28:29], v17, v50
	s_and_b64 s[30:31], s[30:31], s[34:35]
	s_or_b64 s[28:29], s[28:29], s[30:31]
	v_cndmask_b32_e64 v19, v17, v18, s[28:29]
	v_cndmask_b32_e64 v5, v50, v49, s[28:29]
	v_add_u32_e32 v20, 1, v19
	v_add_u32_e32 v5, -1, v5
	v_min_u32_e32 v5, v20, v5
	v_add_u32_e32 v5, v11, v5
	ds_read_u8 v21, v5
	v_lshl_add_u32 v14, v15, 3, v10
	ds_read_b64 v[4:5], v4 offset:2048
	ds_read_b64 v[14:15], v14 offset:2048
	s_waitcnt lgkmcnt(2)
	v_cndmask_b32_e64 v38, v21, v36, s[28:29]
	v_cndmask_b32_e64 v51, v37, v21, s[28:29]
	;; [unrolled: 1-line block ×4, first 2 shown]
	v_and_b32_e32 v17, v38, v31
	v_and_b32_e32 v18, v51, v31
	v_cmp_lt_u32_e64 s[34:35], v20, v49
	v_cmp_le_u16_sdwa s[36:37], v18, v17 src0_sel:BYTE_0 src1_sel:BYTE_0
	v_cmp_ge_u32_e64 s[30:31], v21, v50
	s_and_b64 s[34:35], s[34:35], s[36:37]
	s_or_b64 s[30:31], s[30:31], s[34:35]
	v_cndmask_b32_e64 v24, v21, v20, s[30:31]
	v_cndmask_b32_e64 v17, v50, v49, s[30:31]
	v_add_u32_e32 v25, 1, v24
	v_add_u32_e32 v17, -1, v17
	v_min_u32_e32 v17, v25, v17
	v_add_u32_e32 v17, v11, v17
	ds_read_u8 v28, v17
	ds_read_b64 v[16:17], v16 offset:2048
	v_cndmask_b32_e64 v29, v20, v25, s[30:31]
	v_cmp_lt_u32_e64 s[36:37], v29, v49
	v_lshl_add_u32 v18, v19, 3, v10
	ds_read_b64 v[18:19], v18 offset:2048
	s_waitcnt lgkmcnt(2)
	v_cndmask_b32_e64 v52, v28, v38, s[30:31]
	v_cndmask_b32_e64 v53, v51, v28, s[30:31]
	;; [unrolled: 1-line block ×3, first 2 shown]
	v_and_b32_e32 v20, v52, v31
	v_and_b32_e32 v21, v53, v31
	v_cmp_le_u16_sdwa s[38:39], v21, v20 src0_sel:BYTE_0 src1_sel:BYTE_0
	v_cmp_ge_u32_e64 s[34:35], v28, v50
	s_and_b64 s[36:37], s[36:37], s[38:39]
	s_or_b64 s[34:35], s[34:35], s[36:37]
	v_cndmask_b32_e64 v20, v28, v29, s[34:35]
	v_cndmask_b32_e64 v21, v50, v49, s[34:35]
	v_add_u32_e32 v30, 1, v20
	v_add_u32_e32 v21, -1, v21
	v_min_u32_e32 v21, v30, v21
	v_add_u32_e32 v21, v11, v21
	ds_read_u8 v54, v21
	v_cndmask_b32_e64 v64, v30, v28, s[34:35]
	v_cndmask_b32_e64 v65, v29, v30, s[34:35]
	v_cmp_lt_u32_e64 s[38:39], v65, v49
	v_cmp_ge_u32_e64 s[36:37], v64, v50
	s_waitcnt lgkmcnt(0)
	v_cndmask_b32_e64 v55, v54, v52, s[34:35]
	v_cndmask_b32_e64 v54, v53, v54, s[34:35]
	v_and_b32_e32 v28, v55, v31
	v_and_b32_e32 v29, v54, v31
	v_cmp_le_u16_sdwa s[44:45], v29, v28 src0_sel:BYTE_0 src1_sel:BYTE_0
	s_and_b64 s[38:39], s[38:39], s[44:45]
	s_or_b64 s[36:37], s[36:37], s[38:39]
	v_cndmask_b32_e64 v28, v64, v65, s[36:37]
	v_cndmask_b32_e64 v29, v50, v49, s[36:37]
	v_lshl_add_u32 v30, v28, 3, v10
	v_add_u32_e32 v66, 1, v28
	v_add_u32_e32 v28, -1, v29
	v_min_u32_e32 v28, v66, v28
	v_lshl_add_u32 v21, v24, 3, v10
	v_lshl_add_u32 v20, v20, 3, v10
	v_add_u32_e32 v67, v11, v28
	ds_read_b64 v[24:25], v21 offset:2048
	ds_read_b64 v[20:21], v20 offset:2048
	;; [unrolled: 1-line block ×3, first 2 shown]
	ds_read_u8 v67, v67
	v_cndmask_b32_e64 v30, v26, v27, s[22:23]
	v_cndmask_b32_e64 v26, v36, v37, s[28:29]
	;; [unrolled: 1-line block ×4, first 2 shown]
	s_waitcnt lgkmcnt(0)
	v_cndmask_b32_e64 v36, v67, v55, s[36:37]
	v_cndmask_b32_e64 v67, v54, v67, s[36:37]
	v_and_b32_e32 v33, v36, v31
	v_and_b32_e32 v37, v67, v31
	v_cndmask_b32_e64 v23, v66, v64, s[36:37]
	v_cmp_lt_u32_e64 s[22:23], v32, v49
	v_cmp_le_u16_sdwa s[24:25], v37, v33 src0_sel:BYTE_0 src1_sel:BYTE_0
	v_cmp_ge_u32_e64 s[20:21], v23, v50
	s_and_b64 s[22:23], s[22:23], s[24:25]
	s_or_b64 s[20:21], s[20:21], s[22:23]
	v_cndmask_b32_e64 v23, v23, v32, s[20:21]
	v_lshl_add_u32 v23, v23, 3, v10
	ds_read_b64 v[32:33], v23 offset:2048
	v_cndmask_b32_e64 v23, v38, v51, s[30:31]
	v_cndmask_b32_e64 v38, v52, v53, s[34:35]
	;; [unrolled: 1-line block ×4, first 2 shown]
.LBB198_60:
	s_or_b64 exec, exec, s[42:43]
	; wave barrier
	ds_write_b8 v35, v22
	ds_write_b64 v39, v[4:5] offset:2048
	ds_write_b8 v35, v30 offset:1
	ds_write_b64 v48, v[14:15] offset:8
	ds_write_b8 v35, v27 offset:2
	;; [unrolled: 2-line block ×7, first 2 shown]
	s_waitcnt lgkmcnt(14)
	ds_write_b64 v48, v[32:33] offset:56
	v_and_b32_e32 v39, 0x380, v1
	v_or_b32_e32 v1, 64, v39
	v_min_u32_e32 v1, v34, v1
	v_add_u32_e32 v35, 64, v1
	v_min_u32_e32 v35, v34, v35
	v_min_u32_e32 v48, v34, v0
	v_sub_u32_e32 v34, v1, v39
	v_sub_u32_e32 v49, v35, v1
	v_sub_u32_e64 v49, v48, v49 clamp
	v_min_u32_e32 v34, v48, v34
	v_cmp_lt_u32_e64 s[20:21], v49, v34
	; wave barrier
	s_and_saveexec_b64 s[22:23], s[20:21]
	s_cbranch_execz .LBB198_64
; %bb.61:
	v_add_u32_e32 v50, v11, v39
	v_add3_u32 v51, v11, v1, v48
	s_mov_b64 s[24:25], 0
.LBB198_62:                             ; =>This Inner Loop Header: Depth=1
	v_add_u32_e32 v52, v34, v49
	v_lshrrev_b32_e32 v52, 1, v52
	v_add_u32_e32 v53, v50, v52
	v_xad_u32 v54, v52, -1, v51
	ds_read_u8 v54, v54
	ds_read_u8 v53, v53
	v_add_u32_e32 v55, 1, v52
	s_waitcnt lgkmcnt(1)
	v_and_b32_e32 v54, v54, v31
	s_waitcnt lgkmcnt(0)
	v_and_b32_e32 v53, v53, v31
	v_cmp_gt_u16_sdwa s[20:21], v53, v54 src0_sel:BYTE_0 src1_sel:BYTE_0
	v_cndmask_b32_e64 v34, v34, v52, s[20:21]
	v_cndmask_b32_e64 v49, v55, v49, s[20:21]
	v_cmp_ge_u32_e64 s[20:21], v49, v34
	s_or_b64 s[24:25], s[20:21], s[24:25]
	s_andn2_b64 exec, exec, s[24:25]
	s_cbranch_execnz .LBB198_62
; %bb.63:
	s_or_b64 exec, exec, s[24:25]
.LBB198_64:
	s_or_b64 exec, exec, s[22:23]
	v_add_u32_e32 v34, v49, v39
	v_add_u32_e32 v39, v1, v48
	v_sub_u32_e32 v39, v39, v49
	v_cmp_le_u32_e64 s[20:21], v34, v1
	v_cmp_le_u32_e64 s[22:23], v39, v35
	s_or_b64 s[20:21], s[20:21], s[22:23]
	s_and_saveexec_b64 s[42:43], s[20:21]
	s_cbranch_execz .LBB198_70
; %bb.65:
	v_cmp_lt_u32_e64 s[20:21], v34, v1
                                        ; implicit-def: $vgpr22
	s_and_saveexec_b64 s[22:23], s[20:21]
	s_cbranch_execz .LBB198_67
; %bb.66:
	v_add_u32_e32 v4, v11, v34
	ds_read_u8 v22, v4
.LBB198_67:
	s_or_b64 exec, exec, s[22:23]
	v_cmp_ge_u32_e64 s[22:23], v39, v35
	v_cmp_lt_u32_e64 s[24:25], v39, v35
                                        ; implicit-def: $vgpr23
	s_and_saveexec_b64 s[28:29], s[24:25]
	s_cbranch_execz .LBB198_69
; %bb.68:
	v_add_u32_e32 v4, v11, v39
	ds_read_u8 v23, v4
.LBB198_69:
	s_or_b64 exec, exec, s[28:29]
	s_waitcnt lgkmcnt(0)
	v_and_b32_e32 v4, v23, v31
	v_and_b32_e32 v5, v22, v31
	v_cmp_le_u16_sdwa s[24:25], v5, v4 src0_sel:BYTE_0 src1_sel:BYTE_0
	s_and_b64 s[20:21], s[20:21], s[24:25]
	s_or_b64 s[20:21], s[22:23], s[20:21]
	v_cndmask_b32_e64 v4, v39, v34, s[20:21]
	v_cndmask_b32_e64 v5, v35, v1, s[20:21]
	v_add_u32_e32 v14, 1, v4
	v_add_u32_e32 v5, -1, v5
	v_min_u32_e32 v5, v14, v5
	v_add_u32_e32 v5, v11, v5
	ds_read_u8 v5, v5
	v_lshl_add_u32 v4, v4, 3, v10
	s_waitcnt lgkmcnt(0)
	v_cndmask_b32_e64 v26, v5, v23, s[20:21]
	v_cndmask_b32_e64 v27, v22, v5, s[20:21]
	;; [unrolled: 1-line block ×4, first 2 shown]
	v_and_b32_e32 v15, v26, v31
	v_and_b32_e32 v16, v27, v31
	v_cmp_lt_u32_e64 s[24:25], v14, v1
	v_cmp_le_u16_sdwa s[28:29], v16, v15 src0_sel:BYTE_0 src1_sel:BYTE_0
	v_cmp_ge_u32_e64 s[22:23], v5, v35
	s_and_b64 s[24:25], s[24:25], s[28:29]
	s_or_b64 s[22:23], s[22:23], s[24:25]
	v_cndmask_b32_e64 v15, v5, v14, s[22:23]
	v_cndmask_b32_e64 v16, v35, v1, s[22:23]
	v_add_u32_e32 v17, 1, v15
	v_add_u32_e32 v16, -1, v16
	v_min_u32_e32 v16, v17, v16
	v_add_u32_e32 v16, v11, v16
	ds_read_u8 v16, v16
	v_cndmask_b32_e64 v5, v17, v5, s[22:23]
	v_cndmask_b32_e64 v14, v14, v17, s[22:23]
	v_cmp_lt_u32_e64 s[28:29], v14, v1
	v_cmp_ge_u32_e64 s[24:25], v5, v35
	s_waitcnt lgkmcnt(0)
	v_cndmask_b32_e64 v32, v16, v26, s[22:23]
	v_cndmask_b32_e64 v33, v27, v16, s[22:23]
	v_and_b32_e32 v16, v32, v31
	v_and_b32_e32 v17, v33, v31
	v_cmp_le_u16_sdwa s[30:31], v17, v16 src0_sel:BYTE_0 src1_sel:BYTE_0
	s_and_b64 s[28:29], s[28:29], s[30:31]
	s_or_b64 s[24:25], s[24:25], s[28:29]
	v_cndmask_b32_e64 v16, v5, v14, s[24:25]
	v_cndmask_b32_e64 v17, v35, v1, s[24:25]
	v_add_u32_e32 v18, 1, v16
	v_add_u32_e32 v17, -1, v17
	v_min_u32_e32 v17, v18, v17
	v_add_u32_e32 v17, v11, v17
	ds_read_u8 v17, v17
	v_lshl_add_u32 v16, v16, 3, v10
	v_cndmask_b32_e64 v22, v23, v22, s[20:21]
	s_waitcnt lgkmcnt(0)
	v_cndmask_b32_e64 v34, v17, v32, s[24:25]
	v_cndmask_b32_e64 v36, v33, v17, s[24:25]
	;; [unrolled: 1-line block ×4, first 2 shown]
	v_and_b32_e32 v5, v34, v31
	v_and_b32_e32 v14, v36, v31
	v_cmp_lt_u32_e64 s[30:31], v18, v1
	v_cmp_le_u16_sdwa s[34:35], v14, v5 src0_sel:BYTE_0 src1_sel:BYTE_0
	v_cmp_ge_u32_e64 s[28:29], v17, v35
	s_and_b64 s[30:31], s[30:31], s[34:35]
	s_or_b64 s[28:29], s[28:29], s[30:31]
	v_cndmask_b32_e64 v19, v17, v18, s[28:29]
	v_cndmask_b32_e64 v5, v35, v1, s[28:29]
	v_add_u32_e32 v20, 1, v19
	v_add_u32_e32 v5, -1, v5
	v_min_u32_e32 v5, v20, v5
	v_add_u32_e32 v5, v11, v5
	ds_read_u8 v21, v5
	v_lshl_add_u32 v14, v15, 3, v10
	ds_read_b64 v[4:5], v4 offset:2048
	ds_read_b64 v[14:15], v14 offset:2048
	s_waitcnt lgkmcnt(2)
	v_cndmask_b32_e64 v37, v21, v34, s[28:29]
	v_cndmask_b32_e64 v38, v36, v21, s[28:29]
	;; [unrolled: 1-line block ×4, first 2 shown]
	v_and_b32_e32 v17, v37, v31
	v_and_b32_e32 v18, v38, v31
	v_cmp_lt_u32_e64 s[34:35], v20, v1
	v_cmp_le_u16_sdwa s[36:37], v18, v17 src0_sel:BYTE_0 src1_sel:BYTE_0
	v_cmp_ge_u32_e64 s[30:31], v21, v35
	s_and_b64 s[34:35], s[34:35], s[36:37]
	s_or_b64 s[30:31], s[30:31], s[34:35]
	v_cndmask_b32_e64 v24, v21, v20, s[30:31]
	v_cndmask_b32_e64 v17, v35, v1, s[30:31]
	v_add_u32_e32 v25, 1, v24
	v_add_u32_e32 v17, -1, v17
	v_min_u32_e32 v17, v25, v17
	v_add_u32_e32 v17, v11, v17
	ds_read_u8 v28, v17
	ds_read_b64 v[16:17], v16 offset:2048
	v_cndmask_b32_e64 v29, v20, v25, s[30:31]
	v_cmp_lt_u32_e64 s[36:37], v29, v1
	v_lshl_add_u32 v18, v19, 3, v10
	ds_read_b64 v[18:19], v18 offset:2048
	s_waitcnt lgkmcnt(2)
	v_cndmask_b32_e64 v39, v28, v37, s[30:31]
	v_cndmask_b32_e64 v48, v38, v28, s[30:31]
	;; [unrolled: 1-line block ×3, first 2 shown]
	v_and_b32_e32 v20, v39, v31
	v_and_b32_e32 v21, v48, v31
	v_cmp_le_u16_sdwa s[38:39], v21, v20 src0_sel:BYTE_0 src1_sel:BYTE_0
	v_cmp_ge_u32_e64 s[34:35], v28, v35
	s_and_b64 s[36:37], s[36:37], s[38:39]
	s_or_b64 s[34:35], s[34:35], s[36:37]
	v_cndmask_b32_e64 v20, v28, v29, s[34:35]
	v_cndmask_b32_e64 v21, v35, v1, s[34:35]
	v_add_u32_e32 v30, 1, v20
	v_add_u32_e32 v21, -1, v21
	v_min_u32_e32 v21, v30, v21
	v_add_u32_e32 v21, v11, v21
	ds_read_u8 v49, v21
	v_cndmask_b32_e64 v51, v30, v28, s[34:35]
	v_cndmask_b32_e64 v52, v29, v30, s[34:35]
	v_cmp_lt_u32_e64 s[38:39], v52, v1
	v_cmp_ge_u32_e64 s[36:37], v51, v35
	s_waitcnt lgkmcnt(0)
	v_cndmask_b32_e64 v50, v49, v39, s[34:35]
	v_cndmask_b32_e64 v49, v48, v49, s[34:35]
	v_and_b32_e32 v28, v50, v31
	v_and_b32_e32 v29, v49, v31
	v_cmp_le_u16_sdwa s[44:45], v29, v28 src0_sel:BYTE_0 src1_sel:BYTE_0
	s_and_b64 s[38:39], s[38:39], s[44:45]
	s_or_b64 s[36:37], s[36:37], s[38:39]
	v_cndmask_b32_e64 v28, v51, v52, s[36:37]
	v_cndmask_b32_e64 v29, v35, v1, s[36:37]
	v_lshl_add_u32 v30, v28, 3, v10
	v_add_u32_e32 v53, 1, v28
	v_add_u32_e32 v28, -1, v29
	v_min_u32_e32 v28, v53, v28
	v_lshl_add_u32 v21, v24, 3, v10
	v_lshl_add_u32 v20, v20, 3, v10
	v_add_u32_e32 v11, v11, v28
	ds_read_b64 v[24:25], v21 offset:2048
	ds_read_b64 v[20:21], v20 offset:2048
	;; [unrolled: 1-line block ×3, first 2 shown]
	ds_read_u8 v11, v11
	v_cndmask_b32_e64 v30, v26, v27, s[22:23]
	v_cndmask_b32_e64 v27, v32, v33, s[24:25]
	;; [unrolled: 1-line block ×4, first 2 shown]
	s_waitcnt lgkmcnt(0)
	v_cndmask_b32_e64 v34, v11, v50, s[36:37]
	v_cndmask_b32_e64 v11, v49, v11, s[36:37]
	v_cmp_lt_u32_e64 s[22:23], v32, v1
	v_and_b32_e32 v1, v34, v31
	v_and_b32_e32 v31, v11, v31
	v_cndmask_b32_e64 v23, v53, v51, s[36:37]
	v_cmp_le_u16_sdwa s[24:25], v31, v1 src0_sel:BYTE_0 src1_sel:BYTE_0
	v_cmp_ge_u32_e64 s[20:21], v23, v35
	s_and_b64 s[22:23], s[22:23], s[24:25]
	s_or_b64 s[20:21], s[20:21], s[22:23]
	v_cndmask_b32_e64 v1, v23, v32, s[20:21]
	v_lshl_add_u32 v1, v1, 3, v10
	ds_read_b64 v[32:33], v1 offset:2048
	v_cndmask_b32_e64 v23, v37, v38, s[30:31]
	v_cndmask_b32_e64 v38, v39, v48, s[34:35]
	;; [unrolled: 1-line block ×4, first 2 shown]
.LBB198_70:
	s_or_b64 exec, exec, s[42:43]
	; wave barrier
	s_waitcnt lgkmcnt(0)
	s_barrier
                                        ; implicit-def: $vgpr1
                                        ; implicit-def: $vgpr31
                                        ; implicit-def: $vgpr34
                                        ; implicit-def: $vgpr35
.LBB198_71:
	s_andn2_saveexec_b64 s[36:37], s[40:41]
	s_cbranch_execz .LBB198_117
; %bb.72:
	s_load_dwordx2 s[20:21], s[8:9], 0x0
	v_mov_b32_e32 v10, 0
	s_waitcnt lgkmcnt(0)
	s_cmp_lt_u32 s12, s20
	s_cselect_b32 s20, 12, 18
	s_cmp_lt_u32 s13, s21
	s_cselect_b32 s12, 14, 20
	s_add_u32 s12, s8, s12
	s_addc_u32 s13, s9, 0
	s_add_u32 s8, s8, s20
	s_addc_u32 s9, s9, 0
	global_load_ushort v11, v10, s[12:13]
	global_load_ushort v39, v10, s[8:9]
	v_and_b32_e32 v10, 0x3ff, v31
	s_movk_i32 s20, 0x800
	s_waitcnt vmcnt(0)
	v_mad_u32_u24 v11, v35, v11, v34
	v_mul_lo_u32 v11, v11, v39
	v_add_lshl_u32 v31, v11, v10, 3
	v_cmp_gt_u32_e64 s[8:9], s20, v31
	s_and_saveexec_b64 s[12:13], s[8:9]
	s_cbranch_execz .LBB198_76
; %bb.73:
	v_lshlrev_b16_e32 v10, 8, v38
	v_or_b32_sdwa v10, v23, v10 dst_sel:DWORD dst_unused:UNUSED_PAD src0_sel:BYTE_0 src1_sel:DWORD
	v_lshlrev_b16_e32 v23, 8, v30
	v_lshlrev_b16_e32 v34, 8, v22
	;; [unrolled: 1-line block ×3, first 2 shown]
	v_or_b32_sdwa v23, v22, v23 dst_sel:DWORD dst_unused:UNUSED_PAD src0_sel:BYTE_0 src1_sel:DWORD
	v_or_b32_sdwa v34, v30, v34 dst_sel:DWORD dst_unused:UNUSED_PAD src0_sel:BYTE_0 src1_sel:DWORD
	v_or_b32_sdwa v26, v27, v26 dst_sel:WORD_1 dst_unused:UNUSED_PAD src0_sel:BYTE_0 src1_sel:DWORD
	v_or_b32_sdwa v27, v34, v26 dst_sel:DWORD dst_unused:UNUSED_PAD src0_sel:WORD_0 src1_sel:DWORD
	v_or_b32_sdwa v23, v23, v26 dst_sel:DWORD dst_unused:UNUSED_PAD src0_sel:WORD_0 src1_sel:DWORD
	v_cmp_gt_u16_sdwa s[8:9], v22, v30 src0_sel:BYTE_0 src1_sel:BYTE_0
	v_cndmask_b32_e64 v22, v14, v4, s[8:9]
	v_cndmask_b32_e64 v4, v4, v14, s[8:9]
	;; [unrolled: 1-line block ×5, first 2 shown]
	v_lshrrev_b32_e32 v15, 16, v14
	s_mov_b32 s23, 0xc0c0001
	v_lshlrev_b16_e32 v11, 8, v36
	v_perm_b32 v23, 0, v15, s23
	v_cmp_gt_u16_sdwa s[8:9], v15, v14 src0_sel:BYTE_0 src1_sel:BYTE_3
	s_mov_b32 s21, 0xffff
	v_or_b32_sdwa v11, v37, v11 dst_sel:WORD_1 dst_unused:UNUSED_PAD src0_sel:BYTE_0 src1_sel:DWORD
	v_lshlrev_b32_e32 v23, 16, v23
	v_cndmask_b32_e64 v27, v19, v17, s[8:9]
	v_cndmask_b32_e64 v17, v17, v19, s[8:9]
	v_mov_b32_e32 v19, 8
	v_or_b32_sdwa v11, v10, v11 dst_sel:DWORD dst_unused:UNUSED_PAD src0_sel:WORD_0 src1_sel:DWORD
	v_and_or_b32 v23, v14, s21, v23
	s_mov_b32 s25, 0x7060405
	v_lshrrev_b32_sdwa v19, v19, v10 dst_sel:DWORD dst_unused:UNUSED_PAD src0_sel:DWORD src1_sel:WORD_0
	v_cndmask_b32_e64 v15, v18, v16, s[8:9]
	v_cndmask_b32_e64 v16, v16, v18, s[8:9]
	;; [unrolled: 1-line block ×3, first 2 shown]
	v_perm_b32 v18, v11, v11, s25
	v_cmp_gt_u16_sdwa s[8:9], v10, v19 src0_sel:BYTE_0 src1_sel:DWORD
	s_movk_i32 s22, 0xff
	v_cndmask_b32_e64 v11, v11, v18, s[8:9]
	v_and_b32_sdwa v18, v11, s22 dst_sel:DWORD dst_unused:UNUSED_PAD src0_sel:WORD_1 src1_sel:DWORD
	s_mov_b32 s28, 0x6070504
	v_cndmask_b32_e64 v10, v24, v20, s[8:9]
	v_cndmask_b32_e64 v19, v25, v21, s[8:9]
	;; [unrolled: 1-line block ×4, first 2 shown]
	v_perm_b32 v23, v11, v11, s28
	v_cmp_gt_u16_sdwa s[8:9], v18, v11 src0_sel:DWORD src1_sel:BYTE_3
	v_cndmask_b32_e64 v24, v29, v33, s[8:9]
	v_cndmask_b32_e64 v25, v33, v29, s[8:9]
	;; [unrolled: 1-line block ×3, first 2 shown]
	v_and_b32_sdwa v23, v14, s22 dst_sel:DWORD dst_unused:UNUSED_PAD src0_sel:WORD_1 src1_sel:DWORD
	v_lshrrev_b32_e32 v29, 8, v14
	s_mov_b32 s24, 0x7050604
	v_cndmask_b32_e64 v18, v28, v32, s[8:9]
	v_cndmask_b32_e64 v28, v32, v28, s[8:9]
	v_perm_b32 v30, v14, v14, s24
	v_cmp_gt_u16_sdwa s[8:9], v29, v23 src0_sel:BYTE_0 src1_sel:DWORD
	v_cndmask_b32_e64 v14, v14, v30, s[8:9]
	s_mov_b32 s29, 0x3020107
	v_cndmask_b32_e64 v23, v17, v26, s[8:9]
	v_cndmask_b32_e64 v29, v16, v22, s[8:9]
	;; [unrolled: 1-line block ×4, first 2 shown]
	v_perm_b32 v22, v14, v11, s29
	v_and_b32_sdwa v26, v14, s22 dst_sel:DWORD dst_unused:UNUSED_PAD src0_sel:WORD_1 src1_sel:DWORD
	v_lshlrev_b16_e32 v30, 8, v11
	v_cmp_gt_u16_sdwa s[8:9], v14, v11 src0_sel:BYTE_3 src1_sel:BYTE_0
	v_or_b32_sdwa v26, v26, v30 dst_sel:WORD_1 dst_unused:UNUSED_PAD src0_sel:DWORD src1_sel:DWORD
	v_cndmask_b32_e64 v11, v11, v22, s[8:9]
	v_and_or_b32 v26, v14, s21, v26
	v_cndmask_b32_e64 v32, v15, v10, s[8:9]
	v_cndmask_b32_e64 v10, v10, v15, s[8:9]
	v_and_b32_sdwa v15, v11, s22 dst_sel:DWORD dst_unused:UNUSED_PAD src0_sel:WORD_1 src1_sel:DWORD
	v_lshrrev_b32_e32 v22, 8, v11
	v_cndmask_b32_e64 v30, v27, v19, s[8:9]
	v_cndmask_b32_e64 v19, v19, v27, s[8:9]
	;; [unrolled: 1-line block ×3, first 2 shown]
	v_cmp_gt_u16_sdwa s[8:9], v22, v15 src0_sel:BYTE_0 src1_sel:DWORD
	v_perm_b32 v26, v11, v11, s24
	v_cndmask_b32_e64 v15, v21, v24, s[8:9]
	v_cndmask_b32_e64 v22, v20, v18, s[8:9]
	;; [unrolled: 1-line block ×4, first 2 shown]
	v_perm_b32 v20, 0, v14, s23
	s_mov_b32 s30, 0xffff0000
	v_lshrrev_b32_e32 v24, 8, v14
	v_cndmask_b32_e64 v11, v11, v26, s[8:9]
	v_and_or_b32 v20, v14, s30, v20
	v_cmp_gt_u16_sdwa s[8:9], v14, v24 src0_sel:BYTE_0 src1_sel:BYTE_0
	v_cndmask_b32_e64 v14, v14, v20, s[8:9]
	v_cndmask_b32_e64 v24, v16, v4, s[8:9]
	;; [unrolled: 1-line block ×3, first 2 shown]
	v_lshrrev_b32_e32 v16, 16, v14
	v_cndmask_b32_e64 v26, v17, v5, s[8:9]
	v_cndmask_b32_e64 v5, v5, v17, s[8:9]
	v_perm_b32 v17, 0, v16, s23
	v_lshlrev_b32_e32 v17, 16, v17
	v_cmp_gt_u16_sdwa s[8:9], v16, v14 src0_sel:BYTE_0 src1_sel:BYTE_3
	v_and_or_b32 v17, v14, s21, v17
	v_cndmask_b32_e64 v16, v32, v29, s[8:9]
	v_cndmask_b32_e64 v27, v29, v32, s[8:9]
	v_lshrrev_b32_e32 v29, 8, v11
	v_cndmask_b32_e64 v20, v30, v23, s[8:9]
	v_cndmask_b32_e64 v23, v23, v30, s[8:9]
	;; [unrolled: 1-line block ×3, first 2 shown]
	v_perm_b32 v17, v11, v11, s25
	v_cmp_gt_u16_sdwa s[8:9], v11, v29 src0_sel:BYTE_0 src1_sel:BYTE_0
	v_cndmask_b32_e64 v11, v11, v17, s[8:9]
	v_and_b32_sdwa v17, v11, s22 dst_sel:DWORD dst_unused:UNUSED_PAD src0_sel:WORD_1 src1_sel:DWORD
	v_cndmask_b32_e64 v29, v10, v22, s[8:9]
	v_cndmask_b32_e64 v30, v19, v15, s[8:9]
	;; [unrolled: 1-line block ×4, first 2 shown]
	v_perm_b32 v19, v11, v11, s28
	v_cmp_gt_u16_sdwa s[8:9], v17, v11 src0_sel:DWORD src1_sel:BYTE_3
	v_cndmask_b32_e64 v22, v21, v25, s[8:9]
	v_cndmask_b32_e64 v21, v25, v21, s[8:9]
	v_cndmask_b32_e64 v11, v11, v19, s[8:9]
	v_and_b32_sdwa v19, v14, s22 dst_sel:DWORD dst_unused:UNUSED_PAD src0_sel:WORD_1 src1_sel:DWORD
	v_lshrrev_b32_e32 v25, 8, v14
	v_cndmask_b32_e64 v17, v18, v28, s[8:9]
	v_cndmask_b32_e64 v18, v28, v18, s[8:9]
	v_perm_b32 v28, v14, v14, s24
	v_cmp_gt_u16_sdwa s[8:9], v25, v19 src0_sel:BYTE_0 src1_sel:DWORD
	v_cndmask_b32_e64 v14, v14, v28, s[8:9]
	v_cndmask_b32_e64 v25, v27, v24, s[8:9]
	;; [unrolled: 1-line block ×3, first 2 shown]
	v_and_b32_sdwa v27, v14, s22 dst_sel:DWORD dst_unused:UNUSED_PAD src0_sel:WORD_1 src1_sel:DWORD
	v_lshlrev_b16_e32 v28, 8, v11
	v_cndmask_b32_e64 v19, v23, v26, s[8:9]
	v_cndmask_b32_e64 v23, v26, v23, s[8:9]
	v_perm_b32 v26, v14, v11, s29
	v_or_b32_sdwa v27, v27, v28 dst_sel:WORD_1 dst_unused:UNUSED_PAD src0_sel:DWORD src1_sel:DWORD
	v_cmp_gt_u16_sdwa s[8:9], v14, v11 src0_sel:BYTE_3 src1_sel:BYTE_0
	v_and_or_b32 v27, v14, s21, v27
	v_cndmask_b32_e64 v11, v11, v26, s[8:9]
	v_cndmask_b32_e64 v14, v14, v27, s[8:9]
	v_and_b32_sdwa v26, v11, s22 dst_sel:DWORD dst_unused:UNUSED_PAD src0_sel:WORD_1 src1_sel:DWORD
	v_lshrrev_b32_e32 v27, 8, v11
	v_cndmask_b32_e64 v28, v20, v30, s[8:9]
	v_cndmask_b32_e64 v32, v16, v29, s[8:9]
	;; [unrolled: 1-line block ×4, first 2 shown]
	v_cmp_gt_u16_sdwa s[8:9], v27, v26 src0_sel:BYTE_0 src1_sel:DWORD
	v_perm_b32 v29, v11, v11, s24
	v_cndmask_b32_e64 v26, v15, v22, s[8:9]
	v_cndmask_b32_e64 v27, v10, v17, s[8:9]
	;; [unrolled: 1-line block ×4, first 2 shown]
	v_perm_b32 v17, 0, v14, s23
	v_lshrrev_b32_e32 v22, 8, v14
	v_cndmask_b32_e64 v11, v11, v29, s[8:9]
	v_and_or_b32 v17, v14, s30, v17
	v_cmp_gt_u16_sdwa s[8:9], v14, v22 src0_sel:BYTE_0 src1_sel:BYTE_0
	v_cndmask_b32_e64 v14, v14, v17, s[8:9]
	v_lshrrev_b32_e32 v17, 16, v14
	v_cndmask_b32_e64 v29, v23, v5, s[8:9]
	v_cndmask_b32_e64 v5, v5, v23, s[8:9]
	v_perm_b32 v23, 0, v17, s23
	v_cndmask_b32_e64 v22, v24, v4, s[8:9]
	v_cndmask_b32_e64 v4, v4, v24, s[8:9]
	v_lshlrev_b32_e32 v23, 16, v23
	v_cmp_gt_u16_sdwa s[8:9], v17, v14 src0_sel:BYTE_0 src1_sel:BYTE_3
	v_and_or_b32 v23, v14, s21, v23
	v_cndmask_b32_e64 v24, v28, v19, s[8:9]
	v_cndmask_b32_e64 v19, v19, v28, s[8:9]
	v_lshrrev_b32_e32 v28, 8, v11
	v_cndmask_b32_e64 v17, v32, v25, s[8:9]
	v_cndmask_b32_e64 v25, v25, v32, s[8:9]
	v_cndmask_b32_e64 v14, v14, v23, s[8:9]
	v_perm_b32 v23, v11, v11, s25
	v_cmp_gt_u16_sdwa s[8:9], v11, v28 src0_sel:BYTE_0 src1_sel:BYTE_0
	v_cndmask_b32_e64 v11, v11, v23, s[8:9]
	v_and_b32_sdwa v23, v11, s22 dst_sel:DWORD dst_unused:UNUSED_PAD src0_sel:WORD_1 src1_sel:DWORD
	v_cndmask_b32_e64 v28, v16, v27, s[8:9]
	v_cndmask_b32_e64 v30, v20, v26, s[8:9]
	;; [unrolled: 1-line block ×4, first 2 shown]
	v_perm_b32 v26, v11, v11, s28
	v_cmp_gt_u16_sdwa s[8:9], v23, v11 src0_sel:DWORD src1_sel:BYTE_3
	v_cndmask_b32_e64 v23, v10, v18, s[8:9]
	v_cndmask_b32_e64 v27, v15, v21, s[8:9]
	;; [unrolled: 1-line block ×5, first 2 shown]
	v_and_b32_sdwa v11, v14, s22 dst_sel:DWORD dst_unused:UNUSED_PAD src0_sel:WORD_1 src1_sel:DWORD
	v_lshrrev_b32_e32 v21, 8, v14
	v_perm_b32 v26, v14, v14, s24
	v_cmp_gt_u16_sdwa s[8:9], v21, v11 src0_sel:BYTE_0 src1_sel:DWORD
	v_cndmask_b32_e64 v14, v14, v26, s[8:9]
	v_cndmask_b32_e64 v11, v19, v29, s[8:9]
	;; [unrolled: 1-line block ×3, first 2 shown]
	v_and_b32_sdwa v26, v14, s22 dst_sel:DWORD dst_unused:UNUSED_PAD src0_sel:WORD_1 src1_sel:DWORD
	v_lshlrev_b16_e32 v29, 8, v10
	v_cndmask_b32_e64 v21, v25, v22, s[8:9]
	v_cndmask_b32_e64 v22, v22, v25, s[8:9]
	v_perm_b32 v25, v14, v10, s29
	v_or_b32_sdwa v26, v26, v29 dst_sel:WORD_1 dst_unused:UNUSED_PAD src0_sel:DWORD src1_sel:DWORD
	v_cmp_gt_u16_sdwa s[8:9], v14, v10 src0_sel:BYTE_3 src1_sel:BYTE_0
	v_and_or_b32 v26, v14, s21, v26
	v_cndmask_b32_e64 v10, v10, v25, s[8:9]
	v_cndmask_b32_e64 v14, v14, v26, s[8:9]
	v_and_b32_sdwa v25, v10, s22 dst_sel:DWORD dst_unused:UNUSED_PAD src0_sel:WORD_1 src1_sel:DWORD
	v_lshrrev_b32_e32 v26, 8, v10
	v_cndmask_b32_e64 v29, v24, v30, s[8:9]
	v_cndmask_b32_e64 v32, v17, v28, s[8:9]
	;; [unrolled: 1-line block ×4, first 2 shown]
	v_cmp_gt_u16_sdwa s[8:9], v26, v25 src0_sel:BYTE_0 src1_sel:DWORD
	v_perm_b32 v28, v10, v10, s24
	v_cndmask_b32_e64 v25, v20, v27, s[8:9]
	v_cndmask_b32_e64 v26, v16, v23, s[8:9]
	;; [unrolled: 1-line block ×4, first 2 shown]
	v_perm_b32 v20, 0, v14, s23
	v_lshrrev_b32_e32 v27, 8, v14
	v_cndmask_b32_e64 v10, v10, v28, s[8:9]
	v_and_or_b32 v20, v14, s30, v20
	v_cmp_gt_u16_sdwa s[8:9], v14, v27 src0_sel:BYTE_0 src1_sel:BYTE_0
	v_cndmask_b32_e64 v14, v14, v20, s[8:9]
	v_cndmask_b32_e64 v28, v19, v5, s[8:9]
	;; [unrolled: 1-line block ×3, first 2 shown]
	v_lshrrev_b32_e32 v19, 16, v14
	v_perm_b32 v20, 0, v19, s23
	v_lshlrev_b32_e32 v20, 16, v20
	v_cndmask_b32_e64 v27, v22, v4, s[8:9]
	v_cndmask_b32_e64 v4, v4, v22, s[8:9]
	v_and_or_b32 v20, v14, s21, v20
	v_cmp_gt_u16_sdwa s[8:9], v19, v14 src0_sel:BYTE_0 src1_sel:BYTE_3
	v_cndmask_b32_e64 v34, v14, v20, s[8:9]
	v_lshrrev_b32_e32 v14, 8, v10
	v_cndmask_b32_e64 v22, v32, v21, s[8:9]
	v_cndmask_b32_e64 v30, v29, v11, s[8:9]
	;; [unrolled: 1-line block ×4, first 2 shown]
	v_perm_b32 v11, v10, v10, s25
	v_cmp_gt_u16_sdwa s[8:9], v10, v14 src0_sel:BYTE_0 src1_sel:BYTE_0
	v_cndmask_b32_e64 v14, v10, v11, s[8:9]
	v_and_b32_sdwa v10, v14, s22 dst_sel:DWORD dst_unused:UNUSED_PAD src0_sel:WORD_1 src1_sel:DWORD
	v_cndmask_b32_e64 v35, v17, v26, s[8:9]
	v_cndmask_b32_e64 v36, v24, v25, s[8:9]
	;; [unrolled: 1-line block ×4, first 2 shown]
	v_perm_b32 v17, v14, v14, s28
	v_cmp_gt_u16_sdwa s[8:9], v10, v14 src0_sel:DWORD src1_sel:BYTE_3
	v_cndmask_b32_e64 v11, v23, v15, s[8:9]
	v_cndmask_b32_e64 v33, v15, v23, s[8:9]
	;; [unrolled: 1-line block ×3, first 2 shown]
	v_and_b32_sdwa v14, v34, s22 dst_sel:DWORD dst_unused:UNUSED_PAD src0_sel:WORD_1 src1_sel:DWORD
	v_lshrrev_b32_e32 v15, 8, v34
	v_cndmask_b32_e64 v10, v16, v18, s[8:9]
	v_cndmask_b32_e64 v32, v18, v16, s[8:9]
	v_perm_b32 v18, v34, v34, s24
	v_cmp_gt_u16_sdwa s[8:9], v15, v14 src0_sel:BYTE_0 src1_sel:DWORD
	v_cndmask_b32_e64 v26, v34, v18, s[8:9]
	v_cndmask_b32_e64 v16, v19, v27, s[8:9]
	;; [unrolled: 1-line block ×3, first 2 shown]
	v_and_b32_sdwa v18, v26, s22 dst_sel:DWORD dst_unused:UNUSED_PAD src0_sel:WORD_1 src1_sel:DWORD
	v_lshlrev_b16_e32 v19, 8, v23
	v_or_b32_sdwa v18, v18, v19 dst_sel:WORD_1 dst_unused:UNUSED_PAD src0_sel:DWORD src1_sel:DWORD
	v_cndmask_b32_e64 v17, v29, v28, s[8:9]
	v_cndmask_b32_e64 v15, v28, v29, s[8:9]
	v_perm_b32 v27, v26, v23, s29
	v_and_or_b32 v28, v26, s21, v18
	v_cmp_gt_u16_sdwa s[8:9], v26, v23 src0_sel:BYTE_3 src1_sel:BYTE_0
	v_cndmask_b32_e64 v18, v22, v35, s[8:9]
	v_cndmask_b32_e64 v24, v35, v22, s[8:9]
	;; [unrolled: 1-line block ×4, first 2 shown]
	v_lshrrev_b64 v[26:27], 24, v[22:23]
	v_lshrrev_b32_e32 v37, 16, v23
	v_lshrrev_b32_e32 v38, 8, v23
	v_cndmask_b32_e64 v19, v30, v36, s[8:9]
	v_cndmask_b32_e64 v25, v36, v30, s[8:9]
	v_lshrrev_b32_e32 v36, 24, v23
	v_lshrrev_b32_e32 v27, 16, v22
	;; [unrolled: 1-line block ×3, first 2 shown]
	v_cmp_gt_u16_sdwa s[22:23], v38, v37 src0_sel:BYTE_0 src1_sel:BYTE_0
	v_pk_mov_b32 v[28:29], v[10:11], v[10:11] op_sel:[0,1]
	s_and_saveexec_b64 s[8:9], s[22:23]
; %bb.74:
	v_lshrrev_b32_e32 v36, 24, v23
	v_lshrrev_b32_e32 v37, 8, v23
	;; [unrolled: 1-line block ×5, first 2 shown]
	v_pk_mov_b32 v[28:29], v[20:21], v[20:21] op_sel:[0,1]
	v_pk_mov_b32 v[20:21], v[10:11], v[10:11] op_sel:[0,1]
; %bb.75:
	s_or_b64 exec, exec, s[8:9]
.LBB198_76:
	s_or_b64 exec, exec, s[12:13]
	v_and_b32_e32 v11, 0xfffffe00, v31
	v_sub_u32_e64 v31, s20, v11 clamp
	v_or_b32_e32 v39, 8, v1
	v_min_u32_e32 v48, v31, v39
	v_add_u32_e32 v39, 8, v48
	v_and_b32_e32 v50, 0x3f0, v1
	v_min_u32_e32 v49, v31, v39
	v_and_b32_e32 v39, 8, v1
	v_min_u32_e32 v51, v31, v39
	v_sub_u32_e32 v39, v48, v50
	v_sub_u32_e32 v52, v49, v48
	v_lshlrev_b32_e32 v10, 3, v11
	v_sub_u32_e64 v52, v51, v52 clamp
	v_min_u32_e32 v39, v51, v39
	v_add_u32_e32 v34, v11, v1
	v_lshl_add_u32 v35, v1, 3, v10
	v_cmp_lt_u32_e64 s[8:9], v52, v39
	ds_write_b8 v34, v22
	ds_write_b64 v35, v[4:5] offset:2048
	ds_write_b8 v34, v30 offset:1
	ds_write_b64 v35, v[14:15] offset:2056
	ds_write_b8 v34, v27 offset:2
	;; [unrolled: 2-line block ×7, first 2 shown]
	ds_write_b64 v35, v[32:33] offset:2104
	; wave barrier
	s_and_saveexec_b64 s[12:13], s[8:9]
	s_cbranch_execz .LBB198_80
; %bb.77:
	v_add_u32_e32 v53, v11, v50
	v_add3_u32 v54, v11, v48, v51
	s_mov_b64 s[20:21], 0
.LBB198_78:                             ; =>This Inner Loop Header: Depth=1
	v_add_u32_e32 v55, v39, v52
	v_lshrrev_b32_e32 v55, 1, v55
	v_add_u32_e32 v64, v53, v55
	v_xad_u32 v65, v55, -1, v54
	ds_read_u8 v64, v64
	ds_read_u8 v65, v65
	v_add_u32_e32 v66, 1, v55
	s_waitcnt lgkmcnt(0)
	v_cmp_gt_u16_e64 s[8:9], v64, v65
	v_cndmask_b32_e64 v39, v39, v55, s[8:9]
	v_cndmask_b32_e64 v52, v66, v52, s[8:9]
	v_cmp_ge_u32_e64 s[8:9], v52, v39
	s_or_b64 s[20:21], s[8:9], s[20:21]
	s_andn2_b64 exec, exec, s[20:21]
	s_cbranch_execnz .LBB198_78
; %bb.79:
	s_or_b64 exec, exec, s[20:21]
.LBB198_80:
	s_or_b64 exec, exec, s[12:13]
	v_add_u32_e32 v51, v48, v51
	v_add_u32_e32 v50, v52, v50
	v_sub_u32_e32 v51, v51, v52
	v_cmp_le_u32_e64 s[8:9], v50, v48
	v_cmp_le_u32_e64 s[12:13], v51, v49
	v_add_u32_e32 v39, 0x800, v35
	s_or_b64 s[8:9], s[8:9], s[12:13]
	s_and_saveexec_b64 s[38:39], s[8:9]
	s_cbranch_execz .LBB198_86
; %bb.81:
	v_cmp_lt_u32_e64 s[8:9], v50, v48
                                        ; implicit-def: $vgpr22
	s_and_saveexec_b64 s[12:13], s[8:9]
	s_cbranch_execz .LBB198_83
; %bb.82:
	v_add_u32_e32 v4, v11, v50
	ds_read_u8 v22, v4
.LBB198_83:
	s_or_b64 exec, exec, s[12:13]
	v_cmp_ge_u32_e64 s[20:21], v51, v49
	v_cmp_lt_u32_e64 s[12:13], v51, v49
                                        ; implicit-def: $vgpr23
	s_and_saveexec_b64 s[22:23], s[12:13]
	s_cbranch_execz .LBB198_85
; %bb.84:
	v_add_u32_e32 v4, v11, v51
	ds_read_u8 v23, v4
.LBB198_85:
	s_or_b64 exec, exec, s[22:23]
	s_waitcnt lgkmcnt(0)
	v_cmp_le_u16_sdwa s[12:13], v22, v23 src0_sel:BYTE_0 src1_sel:BYTE_0
	s_and_b64 s[8:9], s[8:9], s[12:13]
	s_or_b64 s[8:9], s[20:21], s[8:9]
	v_cndmask_b32_e64 v4, v51, v50, s[8:9]
	v_cndmask_b32_e64 v5, v49, v48, s[8:9]
	v_add_u32_e32 v14, 1, v4
	v_add_u32_e32 v5, -1, v5
	v_min_u32_e32 v5, v14, v5
	v_add_u32_e32 v5, v11, v5
	ds_read_u8 v5, v5
	v_cndmask_b32_e64 v15, v14, v51, s[8:9]
	v_cmp_ge_u32_e64 s[12:13], v15, v49
	v_lshl_add_u32 v4, v4, 3, v10
	s_waitcnt lgkmcnt(0)
	v_cndmask_b32_e64 v26, v5, v23, s[8:9]
	v_cndmask_b32_e64 v27, v22, v5, s[8:9]
	;; [unrolled: 1-line block ×3, first 2 shown]
	v_cmp_lt_u32_e64 s[20:21], v5, v48
	v_cmp_le_u16_sdwa s[22:23], v27, v26 src0_sel:BYTE_0 src1_sel:BYTE_0
	s_and_b64 s[20:21], s[20:21], s[22:23]
	s_or_b64 s[20:21], s[12:13], s[20:21]
	v_cndmask_b32_e64 v14, v15, v5, s[20:21]
	v_cndmask_b32_e64 v16, v49, v48, s[20:21]
	v_add_u32_e32 v17, 1, v14
	v_add_u32_e32 v16, -1, v16
	v_min_u32_e32 v16, v17, v16
	v_add_u32_e32 v16, v11, v16
	ds_read_u8 v16, v16
	v_cndmask_b32_e64 v5, v5, v17, s[20:21]
	v_cndmask_b32_e64 v15, v17, v15, s[20:21]
	v_cmp_lt_u32_e64 s[22:23], v5, v48
	v_cmp_ge_u32_e64 s[12:13], v15, v49
	s_waitcnt lgkmcnt(0)
	v_cndmask_b32_e64 v32, v16, v26, s[20:21]
	v_cndmask_b32_e64 v33, v27, v16, s[20:21]
	v_cmp_le_u16_sdwa s[24:25], v33, v32 src0_sel:BYTE_0 src1_sel:BYTE_0
	s_and_b64 s[22:23], s[22:23], s[24:25]
	s_or_b64 s[22:23], s[12:13], s[22:23]
	v_cndmask_b32_e64 v16, v15, v5, s[22:23]
	v_cndmask_b32_e64 v17, v49, v48, s[22:23]
	v_add_u32_e32 v18, 1, v16
	v_add_u32_e32 v17, -1, v17
	v_min_u32_e32 v17, v18, v17
	v_add_u32_e32 v17, v11, v17
	ds_read_u8 v17, v17
	v_lshl_add_u32 v14, v14, 3, v10
	v_lshl_add_u32 v16, v16, 3, v10
	v_cndmask_b32_e64 v22, v23, v22, s[8:9]
	s_waitcnt lgkmcnt(0)
	v_cndmask_b32_e64 v36, v17, v32, s[22:23]
	v_cndmask_b32_e64 v37, v33, v17, s[22:23]
	;; [unrolled: 1-line block ×4, first 2 shown]
	v_cmp_lt_u32_e64 s[24:25], v18, v48
	v_cmp_le_u16_sdwa s[28:29], v37, v36 src0_sel:BYTE_0 src1_sel:BYTE_0
	v_cmp_ge_u32_e64 s[12:13], v17, v49
	s_and_b64 s[24:25], s[24:25], s[28:29]
	s_or_b64 s[12:13], s[12:13], s[24:25]
	v_cndmask_b32_e64 v19, v17, v18, s[12:13]
	v_cndmask_b32_e64 v5, v49, v48, s[12:13]
	v_add_u32_e32 v20, 1, v19
	v_add_u32_e32 v5, -1, v5
	v_min_u32_e32 v5, v20, v5
	v_add_u32_e32 v5, v11, v5
	ds_read_u8 v21, v5
	ds_read_b64 v[4:5], v4 offset:2048
	ds_read_b64 v[14:15], v14 offset:2048
	s_waitcnt lgkmcnt(2)
	v_cndmask_b32_e64 v38, v21, v36, s[12:13]
	v_cndmask_b32_e64 v50, v37, v21, s[12:13]
	;; [unrolled: 1-line block ×4, first 2 shown]
	v_cmp_lt_u32_e64 s[28:29], v20, v48
	v_cmp_le_u16_sdwa s[30:31], v50, v38 src0_sel:BYTE_0 src1_sel:BYTE_0
	v_cmp_ge_u32_e64 s[24:25], v21, v49
	s_and_b64 s[28:29], s[28:29], s[30:31]
	s_or_b64 s[24:25], s[24:25], s[28:29]
	v_cndmask_b32_e64 v24, v21, v20, s[24:25]
	v_cndmask_b32_e64 v17, v49, v48, s[24:25]
	v_add_u32_e32 v25, 1, v24
	v_add_u32_e32 v17, -1, v17
	v_min_u32_e32 v17, v25, v17
	v_add_u32_e32 v17, v11, v17
	ds_read_u8 v28, v17
	ds_read_b64 v[16:17], v16 offset:2048
	v_cndmask_b32_e64 v29, v20, v25, s[24:25]
	v_cmp_lt_u32_e64 s[30:31], v29, v48
	v_lshl_add_u32 v18, v19, 3, v10
	ds_read_b64 v[18:19], v18 offset:2048
	s_waitcnt lgkmcnt(2)
	v_cndmask_b32_e64 v51, v28, v38, s[24:25]
	v_cndmask_b32_e64 v52, v50, v28, s[24:25]
	;; [unrolled: 1-line block ×3, first 2 shown]
	v_cmp_le_u16_sdwa s[34:35], v52, v51 src0_sel:BYTE_0 src1_sel:BYTE_0
	v_cmp_ge_u32_e64 s[28:29], v28, v49
	s_and_b64 s[30:31], s[30:31], s[34:35]
	s_or_b64 s[28:29], s[28:29], s[30:31]
	v_cndmask_b32_e64 v20, v28, v29, s[28:29]
	v_cndmask_b32_e64 v21, v49, v48, s[28:29]
	v_add_u32_e32 v30, 1, v20
	v_add_u32_e32 v21, -1, v21
	v_min_u32_e32 v21, v30, v21
	v_add_u32_e32 v21, v11, v21
	ds_read_u8 v53, v21
	v_cndmask_b32_e64 v64, v29, v30, s[28:29]
	v_cndmask_b32_e64 v55, v30, v28, s[28:29]
	v_cmp_lt_u32_e64 s[34:35], v64, v48
	v_cmp_ge_u32_e64 s[30:31], v55, v49
	s_waitcnt lgkmcnt(0)
	v_cndmask_b32_e64 v54, v53, v51, s[28:29]
	v_cndmask_b32_e64 v53, v52, v53, s[28:29]
	v_cmp_le_u16_sdwa s[40:41], v53, v54 src0_sel:BYTE_0 src1_sel:BYTE_0
	s_and_b64 s[34:35], s[34:35], s[40:41]
	s_or_b64 s[30:31], s[30:31], s[34:35]
	v_cndmask_b32_e64 v28, v55, v64, s[30:31]
	v_cndmask_b32_e64 v29, v49, v48, s[30:31]
	v_lshl_add_u32 v30, v28, 3, v10
	v_add_u32_e32 v65, 1, v28
	v_add_u32_e32 v28, -1, v29
	v_min_u32_e32 v28, v65, v28
	v_lshl_add_u32 v21, v24, 3, v10
	v_lshl_add_u32 v20, v20, 3, v10
	v_add_u32_e32 v66, v11, v28
	ds_read_b64 v[24:25], v21 offset:2048
	ds_read_b64 v[20:21], v20 offset:2048
	;; [unrolled: 1-line block ×3, first 2 shown]
	ds_read_u8 v66, v66
	v_cndmask_b32_e64 v30, v26, v27, s[20:21]
	v_cndmask_b32_e64 v27, v32, v33, s[22:23]
	v_cndmask_b32_e64 v26, v36, v37, s[12:13]
	v_cndmask_b32_e64 v32, v64, v65, s[30:31]
	s_waitcnt lgkmcnt(0)
	v_cndmask_b32_e64 v36, v66, v54, s[30:31]
	v_cndmask_b32_e64 v66, v53, v66, s[30:31]
	v_cndmask_b32_e64 v23, v65, v55, s[30:31]
	v_cmp_lt_u32_e64 s[12:13], v32, v48
	v_cmp_le_u16_sdwa s[20:21], v66, v36 src0_sel:BYTE_0 src1_sel:BYTE_0
	v_cmp_ge_u32_e64 s[8:9], v23, v49
	s_and_b64 s[12:13], s[12:13], s[20:21]
	s_or_b64 s[8:9], s[8:9], s[12:13]
	v_cndmask_b32_e64 v23, v23, v32, s[8:9]
	v_lshl_add_u32 v23, v23, 3, v10
	ds_read_b64 v[32:33], v23 offset:2048
	v_cndmask_b32_e64 v23, v38, v50, s[24:25]
	v_cndmask_b32_e64 v38, v51, v52, s[28:29]
	;; [unrolled: 1-line block ×4, first 2 shown]
.LBB198_86:
	s_or_b64 exec, exec, s[38:39]
	v_and_b32_e32 v50, 0x3e0, v1
	v_or_b32_e32 v48, 16, v50
	v_min_u32_e32 v48, v31, v48
	v_add_u32_e32 v49, 16, v48
	v_min_u32_e32 v49, v31, v49
	v_and_b32_e32 v51, 24, v1
	v_min_u32_e32 v51, v31, v51
	v_sub_u32_e32 v53, v48, v50
	v_sub_u32_e32 v52, v49, v48
	v_sub_u32_e64 v52, v51, v52 clamp
	v_min_u32_e32 v53, v51, v53
	v_cmp_lt_u32_e64 s[8:9], v52, v53
	; wave barrier
	ds_write_b8 v34, v22
	ds_write_b64 v35, v[4:5] offset:2048
	ds_write_b8 v34, v30 offset:1
	ds_write_b64 v39, v[14:15] offset:8
	ds_write_b8 v34, v27 offset:2
	;; [unrolled: 2-line block ×7, first 2 shown]
	s_waitcnt lgkmcnt(14)
	ds_write_b64 v39, v[32:33] offset:56
	; wave barrier
	s_and_saveexec_b64 s[12:13], s[8:9]
	s_cbranch_execz .LBB198_90
; %bb.87:
	v_add_u32_e32 v54, v11, v50
	v_add3_u32 v55, v11, v48, v51
	s_mov_b64 s[20:21], 0
.LBB198_88:                             ; =>This Inner Loop Header: Depth=1
	v_add_u32_e32 v64, v53, v52
	v_lshrrev_b32_e32 v64, 1, v64
	v_add_u32_e32 v65, v54, v64
	v_xad_u32 v66, v64, -1, v55
	ds_read_u8 v65, v65
	ds_read_u8 v66, v66
	v_add_u32_e32 v67, 1, v64
	s_waitcnt lgkmcnt(0)
	v_cmp_gt_u16_e64 s[8:9], v65, v66
	v_cndmask_b32_e64 v53, v53, v64, s[8:9]
	v_cndmask_b32_e64 v52, v67, v52, s[8:9]
	v_cmp_ge_u32_e64 s[8:9], v52, v53
	s_or_b64 s[20:21], s[8:9], s[20:21]
	s_andn2_b64 exec, exec, s[20:21]
	s_cbranch_execnz .LBB198_88
; %bb.89:
	s_or_b64 exec, exec, s[20:21]
.LBB198_90:
	s_or_b64 exec, exec, s[12:13]
	v_add_u32_e32 v51, v48, v51
	v_add_u32_e32 v50, v52, v50
	v_sub_u32_e32 v51, v51, v52
	v_cmp_le_u32_e64 s[8:9], v50, v48
	v_cmp_le_u32_e64 s[12:13], v51, v49
	s_or_b64 s[8:9], s[8:9], s[12:13]
	s_and_saveexec_b64 s[38:39], s[8:9]
	s_cbranch_execz .LBB198_96
; %bb.91:
	v_cmp_lt_u32_e64 s[8:9], v50, v48
                                        ; implicit-def: $vgpr22
	s_and_saveexec_b64 s[12:13], s[8:9]
	s_cbranch_execz .LBB198_93
; %bb.92:
	v_add_u32_e32 v4, v11, v50
	ds_read_u8 v22, v4
.LBB198_93:
	s_or_b64 exec, exec, s[12:13]
	v_cmp_ge_u32_e64 s[20:21], v51, v49
	v_cmp_lt_u32_e64 s[12:13], v51, v49
                                        ; implicit-def: $vgpr23
	s_and_saveexec_b64 s[22:23], s[12:13]
	s_cbranch_execz .LBB198_95
; %bb.94:
	v_add_u32_e32 v4, v11, v51
	ds_read_u8 v23, v4
.LBB198_95:
	s_or_b64 exec, exec, s[22:23]
	s_waitcnt lgkmcnt(0)
	v_cmp_le_u16_sdwa s[12:13], v22, v23 src0_sel:BYTE_0 src1_sel:BYTE_0
	s_and_b64 s[8:9], s[8:9], s[12:13]
	s_or_b64 s[8:9], s[20:21], s[8:9]
	v_cndmask_b32_e64 v4, v51, v50, s[8:9]
	v_cndmask_b32_e64 v5, v49, v48, s[8:9]
	v_add_u32_e32 v14, 1, v4
	v_add_u32_e32 v5, -1, v5
	v_min_u32_e32 v5, v14, v5
	v_add_u32_e32 v5, v11, v5
	ds_read_u8 v5, v5
	v_cndmask_b32_e64 v15, v14, v51, s[8:9]
	v_cmp_ge_u32_e64 s[12:13], v15, v49
	v_lshl_add_u32 v4, v4, 3, v10
	s_waitcnt lgkmcnt(0)
	v_cndmask_b32_e64 v26, v5, v23, s[8:9]
	v_cndmask_b32_e64 v27, v22, v5, s[8:9]
	v_cndmask_b32_e64 v5, v50, v14, s[8:9]
	v_cmp_lt_u32_e64 s[20:21], v5, v48
	v_cmp_le_u16_sdwa s[22:23], v27, v26 src0_sel:BYTE_0 src1_sel:BYTE_0
	s_and_b64 s[20:21], s[20:21], s[22:23]
	s_or_b64 s[20:21], s[12:13], s[20:21]
	v_cndmask_b32_e64 v14, v15, v5, s[20:21]
	v_cndmask_b32_e64 v16, v49, v48, s[20:21]
	v_add_u32_e32 v17, 1, v14
	v_add_u32_e32 v16, -1, v16
	v_min_u32_e32 v16, v17, v16
	v_add_u32_e32 v16, v11, v16
	ds_read_u8 v16, v16
	v_cndmask_b32_e64 v5, v5, v17, s[20:21]
	v_cndmask_b32_e64 v15, v17, v15, s[20:21]
	v_cmp_lt_u32_e64 s[22:23], v5, v48
	v_cmp_ge_u32_e64 s[12:13], v15, v49
	s_waitcnt lgkmcnt(0)
	v_cndmask_b32_e64 v32, v16, v26, s[20:21]
	v_cndmask_b32_e64 v33, v27, v16, s[20:21]
	v_cmp_le_u16_sdwa s[24:25], v33, v32 src0_sel:BYTE_0 src1_sel:BYTE_0
	s_and_b64 s[22:23], s[22:23], s[24:25]
	s_or_b64 s[22:23], s[12:13], s[22:23]
	v_cndmask_b32_e64 v16, v15, v5, s[22:23]
	v_cndmask_b32_e64 v17, v49, v48, s[22:23]
	v_add_u32_e32 v18, 1, v16
	v_add_u32_e32 v17, -1, v17
	v_min_u32_e32 v17, v18, v17
	v_add_u32_e32 v17, v11, v17
	ds_read_u8 v17, v17
	v_lshl_add_u32 v14, v14, 3, v10
	v_lshl_add_u32 v16, v16, 3, v10
	v_cndmask_b32_e64 v22, v23, v22, s[8:9]
	s_waitcnt lgkmcnt(0)
	v_cndmask_b32_e64 v36, v17, v32, s[22:23]
	v_cndmask_b32_e64 v37, v33, v17, s[22:23]
	;; [unrolled: 1-line block ×4, first 2 shown]
	v_cmp_lt_u32_e64 s[24:25], v18, v48
	v_cmp_le_u16_sdwa s[28:29], v37, v36 src0_sel:BYTE_0 src1_sel:BYTE_0
	v_cmp_ge_u32_e64 s[12:13], v17, v49
	s_and_b64 s[24:25], s[24:25], s[28:29]
	s_or_b64 s[12:13], s[12:13], s[24:25]
	v_cndmask_b32_e64 v19, v17, v18, s[12:13]
	v_cndmask_b32_e64 v5, v49, v48, s[12:13]
	v_add_u32_e32 v20, 1, v19
	v_add_u32_e32 v5, -1, v5
	v_min_u32_e32 v5, v20, v5
	v_add_u32_e32 v5, v11, v5
	ds_read_u8 v21, v5
	ds_read_b64 v[4:5], v4 offset:2048
	ds_read_b64 v[14:15], v14 offset:2048
	s_waitcnt lgkmcnt(2)
	v_cndmask_b32_e64 v38, v21, v36, s[12:13]
	v_cndmask_b32_e64 v50, v37, v21, s[12:13]
	;; [unrolled: 1-line block ×4, first 2 shown]
	v_cmp_lt_u32_e64 s[28:29], v20, v48
	v_cmp_le_u16_sdwa s[30:31], v50, v38 src0_sel:BYTE_0 src1_sel:BYTE_0
	v_cmp_ge_u32_e64 s[24:25], v21, v49
	s_and_b64 s[28:29], s[28:29], s[30:31]
	s_or_b64 s[24:25], s[24:25], s[28:29]
	v_cndmask_b32_e64 v24, v21, v20, s[24:25]
	v_cndmask_b32_e64 v17, v49, v48, s[24:25]
	v_add_u32_e32 v25, 1, v24
	v_add_u32_e32 v17, -1, v17
	v_min_u32_e32 v17, v25, v17
	v_add_u32_e32 v17, v11, v17
	ds_read_u8 v28, v17
	ds_read_b64 v[16:17], v16 offset:2048
	v_cndmask_b32_e64 v29, v20, v25, s[24:25]
	v_cmp_lt_u32_e64 s[30:31], v29, v48
	v_lshl_add_u32 v18, v19, 3, v10
	ds_read_b64 v[18:19], v18 offset:2048
	s_waitcnt lgkmcnt(2)
	v_cndmask_b32_e64 v51, v28, v38, s[24:25]
	v_cndmask_b32_e64 v52, v50, v28, s[24:25]
	;; [unrolled: 1-line block ×3, first 2 shown]
	v_cmp_le_u16_sdwa s[34:35], v52, v51 src0_sel:BYTE_0 src1_sel:BYTE_0
	v_cmp_ge_u32_e64 s[28:29], v28, v49
	s_and_b64 s[30:31], s[30:31], s[34:35]
	s_or_b64 s[28:29], s[28:29], s[30:31]
	v_cndmask_b32_e64 v20, v28, v29, s[28:29]
	v_cndmask_b32_e64 v21, v49, v48, s[28:29]
	v_add_u32_e32 v30, 1, v20
	v_add_u32_e32 v21, -1, v21
	v_min_u32_e32 v21, v30, v21
	v_add_u32_e32 v21, v11, v21
	ds_read_u8 v53, v21
	v_cndmask_b32_e64 v64, v29, v30, s[28:29]
	v_cndmask_b32_e64 v55, v30, v28, s[28:29]
	v_cmp_lt_u32_e64 s[34:35], v64, v48
	v_cmp_ge_u32_e64 s[30:31], v55, v49
	s_waitcnt lgkmcnt(0)
	v_cndmask_b32_e64 v54, v53, v51, s[28:29]
	v_cndmask_b32_e64 v53, v52, v53, s[28:29]
	v_cmp_le_u16_sdwa s[40:41], v53, v54 src0_sel:BYTE_0 src1_sel:BYTE_0
	s_and_b64 s[34:35], s[34:35], s[40:41]
	s_or_b64 s[30:31], s[30:31], s[34:35]
	v_cndmask_b32_e64 v28, v55, v64, s[30:31]
	v_cndmask_b32_e64 v29, v49, v48, s[30:31]
	v_lshl_add_u32 v30, v28, 3, v10
	v_add_u32_e32 v65, 1, v28
	v_add_u32_e32 v28, -1, v29
	v_min_u32_e32 v28, v65, v28
	v_lshl_add_u32 v21, v24, 3, v10
	v_lshl_add_u32 v20, v20, 3, v10
	v_add_u32_e32 v66, v11, v28
	ds_read_b64 v[24:25], v21 offset:2048
	ds_read_b64 v[20:21], v20 offset:2048
	ds_read_b64 v[28:29], v30 offset:2048
	ds_read_u8 v66, v66
	v_cndmask_b32_e64 v30, v26, v27, s[20:21]
	v_cndmask_b32_e64 v27, v32, v33, s[22:23]
	;; [unrolled: 1-line block ×4, first 2 shown]
	s_waitcnt lgkmcnt(0)
	v_cndmask_b32_e64 v36, v66, v54, s[30:31]
	v_cndmask_b32_e64 v66, v53, v66, s[30:31]
	v_cndmask_b32_e64 v23, v65, v55, s[30:31]
	v_cmp_lt_u32_e64 s[12:13], v32, v48
	v_cmp_le_u16_sdwa s[20:21], v66, v36 src0_sel:BYTE_0 src1_sel:BYTE_0
	v_cmp_ge_u32_e64 s[8:9], v23, v49
	s_and_b64 s[12:13], s[12:13], s[20:21]
	s_or_b64 s[8:9], s[8:9], s[12:13]
	v_cndmask_b32_e64 v23, v23, v32, s[8:9]
	v_lshl_add_u32 v23, v23, 3, v10
	ds_read_b64 v[32:33], v23 offset:2048
	v_cndmask_b32_e64 v23, v38, v50, s[24:25]
	v_cndmask_b32_e64 v38, v51, v52, s[28:29]
	;; [unrolled: 1-line block ×4, first 2 shown]
.LBB198_96:
	s_or_b64 exec, exec, s[38:39]
	v_and_b32_e32 v50, 0x3c0, v1
	v_or_b32_e32 v48, 32, v50
	v_min_u32_e32 v48, v31, v48
	v_add_u32_e32 v49, 32, v48
	v_min_u32_e32 v49, v31, v49
	v_and_b32_e32 v51, 56, v1
	v_min_u32_e32 v51, v31, v51
	v_sub_u32_e32 v53, v48, v50
	v_sub_u32_e32 v52, v49, v48
	v_sub_u32_e64 v52, v51, v52 clamp
	v_min_u32_e32 v53, v51, v53
	v_cmp_lt_u32_e64 s[8:9], v52, v53
	; wave barrier
	ds_write_b8 v34, v22
	ds_write_b64 v35, v[4:5] offset:2048
	ds_write_b8 v34, v30 offset:1
	ds_write_b64 v39, v[14:15] offset:8
	ds_write_b8 v34, v27 offset:2
	;; [unrolled: 2-line block ×7, first 2 shown]
	s_waitcnt lgkmcnt(14)
	ds_write_b64 v39, v[32:33] offset:56
	; wave barrier
	s_and_saveexec_b64 s[12:13], s[8:9]
	s_cbranch_execz .LBB198_100
; %bb.97:
	v_add_u32_e32 v54, v11, v50
	v_add3_u32 v55, v11, v48, v51
	s_mov_b64 s[20:21], 0
.LBB198_98:                             ; =>This Inner Loop Header: Depth=1
	v_add_u32_e32 v64, v53, v52
	v_lshrrev_b32_e32 v64, 1, v64
	v_add_u32_e32 v65, v54, v64
	v_xad_u32 v66, v64, -1, v55
	ds_read_u8 v65, v65
	ds_read_u8 v66, v66
	v_add_u32_e32 v67, 1, v64
	s_waitcnt lgkmcnt(0)
	v_cmp_gt_u16_e64 s[8:9], v65, v66
	v_cndmask_b32_e64 v53, v53, v64, s[8:9]
	v_cndmask_b32_e64 v52, v67, v52, s[8:9]
	v_cmp_ge_u32_e64 s[8:9], v52, v53
	s_or_b64 s[20:21], s[8:9], s[20:21]
	s_andn2_b64 exec, exec, s[20:21]
	s_cbranch_execnz .LBB198_98
; %bb.99:
	s_or_b64 exec, exec, s[20:21]
.LBB198_100:
	s_or_b64 exec, exec, s[12:13]
	v_add_u32_e32 v51, v48, v51
	v_add_u32_e32 v50, v52, v50
	v_sub_u32_e32 v51, v51, v52
	v_cmp_le_u32_e64 s[8:9], v50, v48
	v_cmp_le_u32_e64 s[12:13], v51, v49
	s_or_b64 s[8:9], s[8:9], s[12:13]
	s_and_saveexec_b64 s[38:39], s[8:9]
	s_cbranch_execz .LBB198_106
; %bb.101:
	v_cmp_lt_u32_e64 s[8:9], v50, v48
                                        ; implicit-def: $vgpr22
	s_and_saveexec_b64 s[12:13], s[8:9]
	s_cbranch_execz .LBB198_103
; %bb.102:
	v_add_u32_e32 v4, v11, v50
	ds_read_u8 v22, v4
.LBB198_103:
	s_or_b64 exec, exec, s[12:13]
	v_cmp_ge_u32_e64 s[20:21], v51, v49
	v_cmp_lt_u32_e64 s[12:13], v51, v49
                                        ; implicit-def: $vgpr23
	s_and_saveexec_b64 s[22:23], s[12:13]
	s_cbranch_execz .LBB198_105
; %bb.104:
	v_add_u32_e32 v4, v11, v51
	ds_read_u8 v23, v4
.LBB198_105:
	s_or_b64 exec, exec, s[22:23]
	s_waitcnt lgkmcnt(0)
	v_cmp_le_u16_sdwa s[12:13], v22, v23 src0_sel:BYTE_0 src1_sel:BYTE_0
	s_and_b64 s[8:9], s[8:9], s[12:13]
	s_or_b64 s[8:9], s[20:21], s[8:9]
	v_cndmask_b32_e64 v4, v51, v50, s[8:9]
	v_cndmask_b32_e64 v5, v49, v48, s[8:9]
	v_add_u32_e32 v14, 1, v4
	v_add_u32_e32 v5, -1, v5
	v_min_u32_e32 v5, v14, v5
	v_add_u32_e32 v5, v11, v5
	ds_read_u8 v5, v5
	v_cndmask_b32_e64 v15, v14, v51, s[8:9]
	v_cmp_ge_u32_e64 s[12:13], v15, v49
	v_lshl_add_u32 v4, v4, 3, v10
	s_waitcnt lgkmcnt(0)
	v_cndmask_b32_e64 v26, v5, v23, s[8:9]
	v_cndmask_b32_e64 v27, v22, v5, s[8:9]
	v_cndmask_b32_e64 v5, v50, v14, s[8:9]
	v_cmp_lt_u32_e64 s[20:21], v5, v48
	v_cmp_le_u16_sdwa s[22:23], v27, v26 src0_sel:BYTE_0 src1_sel:BYTE_0
	s_and_b64 s[20:21], s[20:21], s[22:23]
	s_or_b64 s[20:21], s[12:13], s[20:21]
	v_cndmask_b32_e64 v14, v15, v5, s[20:21]
	v_cndmask_b32_e64 v16, v49, v48, s[20:21]
	v_add_u32_e32 v17, 1, v14
	v_add_u32_e32 v16, -1, v16
	v_min_u32_e32 v16, v17, v16
	v_add_u32_e32 v16, v11, v16
	ds_read_u8 v16, v16
	v_cndmask_b32_e64 v5, v5, v17, s[20:21]
	v_cndmask_b32_e64 v15, v17, v15, s[20:21]
	v_cmp_lt_u32_e64 s[22:23], v5, v48
	v_cmp_ge_u32_e64 s[12:13], v15, v49
	s_waitcnt lgkmcnt(0)
	v_cndmask_b32_e64 v32, v16, v26, s[20:21]
	v_cndmask_b32_e64 v33, v27, v16, s[20:21]
	v_cmp_le_u16_sdwa s[24:25], v33, v32 src0_sel:BYTE_0 src1_sel:BYTE_0
	s_and_b64 s[22:23], s[22:23], s[24:25]
	s_or_b64 s[22:23], s[12:13], s[22:23]
	v_cndmask_b32_e64 v16, v15, v5, s[22:23]
	v_cndmask_b32_e64 v17, v49, v48, s[22:23]
	v_add_u32_e32 v18, 1, v16
	v_add_u32_e32 v17, -1, v17
	v_min_u32_e32 v17, v18, v17
	v_add_u32_e32 v17, v11, v17
	ds_read_u8 v17, v17
	v_lshl_add_u32 v14, v14, 3, v10
	v_lshl_add_u32 v16, v16, 3, v10
	v_cndmask_b32_e64 v22, v23, v22, s[8:9]
	s_waitcnt lgkmcnt(0)
	v_cndmask_b32_e64 v36, v17, v32, s[22:23]
	v_cndmask_b32_e64 v37, v33, v17, s[22:23]
	;; [unrolled: 1-line block ×4, first 2 shown]
	v_cmp_lt_u32_e64 s[24:25], v18, v48
	v_cmp_le_u16_sdwa s[28:29], v37, v36 src0_sel:BYTE_0 src1_sel:BYTE_0
	v_cmp_ge_u32_e64 s[12:13], v17, v49
	s_and_b64 s[24:25], s[24:25], s[28:29]
	s_or_b64 s[12:13], s[12:13], s[24:25]
	v_cndmask_b32_e64 v19, v17, v18, s[12:13]
	v_cndmask_b32_e64 v5, v49, v48, s[12:13]
	v_add_u32_e32 v20, 1, v19
	v_add_u32_e32 v5, -1, v5
	v_min_u32_e32 v5, v20, v5
	v_add_u32_e32 v5, v11, v5
	ds_read_u8 v21, v5
	ds_read_b64 v[4:5], v4 offset:2048
	ds_read_b64 v[14:15], v14 offset:2048
	s_waitcnt lgkmcnt(2)
	v_cndmask_b32_e64 v38, v21, v36, s[12:13]
	v_cndmask_b32_e64 v50, v37, v21, s[12:13]
	v_cndmask_b32_e64 v21, v20, v17, s[12:13]
	v_cndmask_b32_e64 v20, v18, v20, s[12:13]
	v_cmp_lt_u32_e64 s[28:29], v20, v48
	v_cmp_le_u16_sdwa s[30:31], v50, v38 src0_sel:BYTE_0 src1_sel:BYTE_0
	v_cmp_ge_u32_e64 s[24:25], v21, v49
	s_and_b64 s[28:29], s[28:29], s[30:31]
	s_or_b64 s[24:25], s[24:25], s[28:29]
	v_cndmask_b32_e64 v24, v21, v20, s[24:25]
	v_cndmask_b32_e64 v17, v49, v48, s[24:25]
	v_add_u32_e32 v25, 1, v24
	v_add_u32_e32 v17, -1, v17
	v_min_u32_e32 v17, v25, v17
	v_add_u32_e32 v17, v11, v17
	ds_read_u8 v28, v17
	ds_read_b64 v[16:17], v16 offset:2048
	v_cndmask_b32_e64 v29, v20, v25, s[24:25]
	v_cmp_lt_u32_e64 s[30:31], v29, v48
	v_lshl_add_u32 v18, v19, 3, v10
	ds_read_b64 v[18:19], v18 offset:2048
	s_waitcnt lgkmcnt(2)
	v_cndmask_b32_e64 v51, v28, v38, s[24:25]
	v_cndmask_b32_e64 v52, v50, v28, s[24:25]
	;; [unrolled: 1-line block ×3, first 2 shown]
	v_cmp_le_u16_sdwa s[34:35], v52, v51 src0_sel:BYTE_0 src1_sel:BYTE_0
	v_cmp_ge_u32_e64 s[28:29], v28, v49
	s_and_b64 s[30:31], s[30:31], s[34:35]
	s_or_b64 s[28:29], s[28:29], s[30:31]
	v_cndmask_b32_e64 v20, v28, v29, s[28:29]
	v_cndmask_b32_e64 v21, v49, v48, s[28:29]
	v_add_u32_e32 v30, 1, v20
	v_add_u32_e32 v21, -1, v21
	v_min_u32_e32 v21, v30, v21
	v_add_u32_e32 v21, v11, v21
	ds_read_u8 v53, v21
	v_cndmask_b32_e64 v64, v29, v30, s[28:29]
	v_cndmask_b32_e64 v55, v30, v28, s[28:29]
	v_cmp_lt_u32_e64 s[34:35], v64, v48
	v_cmp_ge_u32_e64 s[30:31], v55, v49
	s_waitcnt lgkmcnt(0)
	v_cndmask_b32_e64 v54, v53, v51, s[28:29]
	v_cndmask_b32_e64 v53, v52, v53, s[28:29]
	v_cmp_le_u16_sdwa s[40:41], v53, v54 src0_sel:BYTE_0 src1_sel:BYTE_0
	s_and_b64 s[34:35], s[34:35], s[40:41]
	s_or_b64 s[30:31], s[30:31], s[34:35]
	v_cndmask_b32_e64 v28, v55, v64, s[30:31]
	v_cndmask_b32_e64 v29, v49, v48, s[30:31]
	v_lshl_add_u32 v30, v28, 3, v10
	v_add_u32_e32 v65, 1, v28
	v_add_u32_e32 v28, -1, v29
	v_min_u32_e32 v28, v65, v28
	v_lshl_add_u32 v21, v24, 3, v10
	v_lshl_add_u32 v20, v20, 3, v10
	v_add_u32_e32 v66, v11, v28
	ds_read_b64 v[24:25], v21 offset:2048
	ds_read_b64 v[20:21], v20 offset:2048
	;; [unrolled: 1-line block ×3, first 2 shown]
	ds_read_u8 v66, v66
	v_cndmask_b32_e64 v30, v26, v27, s[20:21]
	v_cndmask_b32_e64 v27, v32, v33, s[22:23]
	;; [unrolled: 1-line block ×4, first 2 shown]
	s_waitcnt lgkmcnt(0)
	v_cndmask_b32_e64 v36, v66, v54, s[30:31]
	v_cndmask_b32_e64 v66, v53, v66, s[30:31]
	;; [unrolled: 1-line block ×3, first 2 shown]
	v_cmp_lt_u32_e64 s[12:13], v32, v48
	v_cmp_le_u16_sdwa s[20:21], v66, v36 src0_sel:BYTE_0 src1_sel:BYTE_0
	v_cmp_ge_u32_e64 s[8:9], v23, v49
	s_and_b64 s[12:13], s[12:13], s[20:21]
	s_or_b64 s[8:9], s[8:9], s[12:13]
	v_cndmask_b32_e64 v23, v23, v32, s[8:9]
	v_lshl_add_u32 v23, v23, 3, v10
	ds_read_b64 v[32:33], v23 offset:2048
	v_cndmask_b32_e64 v23, v38, v50, s[24:25]
	v_cndmask_b32_e64 v38, v51, v52, s[28:29]
	;; [unrolled: 1-line block ×4, first 2 shown]
.LBB198_106:
	s_or_b64 exec, exec, s[38:39]
	; wave barrier
	ds_write_b8 v34, v22
	ds_write_b64 v35, v[4:5] offset:2048
	ds_write_b8 v34, v30 offset:1
	ds_write_b64 v39, v[14:15] offset:8
	ds_write_b8 v34, v27 offset:2
	;; [unrolled: 2-line block ×7, first 2 shown]
	s_waitcnt lgkmcnt(14)
	ds_write_b64 v39, v[32:33] offset:56
	v_and_b32_e32 v35, 0x380, v1
	v_or_b32_e32 v1, 64, v35
	v_min_u32_e32 v1, v31, v1
	v_add_u32_e32 v34, 64, v1
	v_min_u32_e32 v34, v31, v34
	v_min_u32_e32 v39, v31, v0
	v_sub_u32_e32 v31, v1, v35
	v_sub_u32_e32 v48, v34, v1
	v_sub_u32_e64 v48, v39, v48 clamp
	v_min_u32_e32 v31, v39, v31
	v_cmp_lt_u32_e64 s[8:9], v48, v31
	; wave barrier
	s_and_saveexec_b64 s[12:13], s[8:9]
	s_cbranch_execz .LBB198_110
; %bb.107:
	v_add_u32_e32 v49, v11, v35
	v_add3_u32 v50, v11, v1, v39
	s_mov_b64 s[20:21], 0
.LBB198_108:                            ; =>This Inner Loop Header: Depth=1
	v_add_u32_e32 v51, v31, v48
	v_lshrrev_b32_e32 v51, 1, v51
	v_add_u32_e32 v52, v49, v51
	v_xad_u32 v53, v51, -1, v50
	ds_read_u8 v52, v52
	ds_read_u8 v53, v53
	v_add_u32_e32 v54, 1, v51
	s_waitcnt lgkmcnt(0)
	v_cmp_gt_u16_e64 s[8:9], v52, v53
	v_cndmask_b32_e64 v31, v31, v51, s[8:9]
	v_cndmask_b32_e64 v48, v54, v48, s[8:9]
	v_cmp_ge_u32_e64 s[8:9], v48, v31
	s_or_b64 s[20:21], s[8:9], s[20:21]
	s_andn2_b64 exec, exec, s[20:21]
	s_cbranch_execnz .LBB198_108
; %bb.109:
	s_or_b64 exec, exec, s[20:21]
.LBB198_110:
	s_or_b64 exec, exec, s[12:13]
	v_add_u32_e32 v31, v48, v35
	v_add_u32_e32 v35, v1, v39
	v_sub_u32_e32 v35, v35, v48
	v_cmp_le_u32_e64 s[8:9], v31, v1
	v_cmp_le_u32_e64 s[12:13], v35, v34
	s_or_b64 s[8:9], s[8:9], s[12:13]
	s_and_saveexec_b64 s[38:39], s[8:9]
	s_cbranch_execz .LBB198_116
; %bb.111:
	v_cmp_lt_u32_e64 s[8:9], v31, v1
                                        ; implicit-def: $vgpr22
	s_and_saveexec_b64 s[12:13], s[8:9]
	s_cbranch_execz .LBB198_113
; %bb.112:
	v_add_u32_e32 v4, v11, v31
	ds_read_u8 v22, v4
.LBB198_113:
	s_or_b64 exec, exec, s[12:13]
	v_cmp_ge_u32_e64 s[20:21], v35, v34
	v_cmp_lt_u32_e64 s[12:13], v35, v34
                                        ; implicit-def: $vgpr23
	s_and_saveexec_b64 s[22:23], s[12:13]
	s_cbranch_execz .LBB198_115
; %bb.114:
	v_add_u32_e32 v4, v11, v35
	ds_read_u8 v23, v4
.LBB198_115:
	s_or_b64 exec, exec, s[22:23]
	s_waitcnt lgkmcnt(0)
	v_cmp_le_u16_sdwa s[12:13], v22, v23 src0_sel:BYTE_0 src1_sel:BYTE_0
	s_and_b64 s[8:9], s[8:9], s[12:13]
	s_or_b64 s[8:9], s[20:21], s[8:9]
	v_cndmask_b32_e64 v4, v35, v31, s[8:9]
	v_cndmask_b32_e64 v5, v34, v1, s[8:9]
	v_add_u32_e32 v14, 1, v4
	v_add_u32_e32 v5, -1, v5
	v_min_u32_e32 v5, v14, v5
	v_add_u32_e32 v5, v11, v5
	ds_read_u8 v5, v5
	v_cndmask_b32_e64 v15, v14, v35, s[8:9]
	v_cmp_ge_u32_e64 s[12:13], v15, v34
	v_lshl_add_u32 v4, v4, 3, v10
	s_waitcnt lgkmcnt(0)
	v_cndmask_b32_e64 v26, v5, v23, s[8:9]
	v_cndmask_b32_e64 v27, v22, v5, s[8:9]
	;; [unrolled: 1-line block ×3, first 2 shown]
	v_cmp_lt_u32_e64 s[20:21], v5, v1
	v_cmp_le_u16_sdwa s[22:23], v27, v26 src0_sel:BYTE_0 src1_sel:BYTE_0
	s_and_b64 s[20:21], s[20:21], s[22:23]
	s_or_b64 s[20:21], s[12:13], s[20:21]
	v_cndmask_b32_e64 v14, v15, v5, s[20:21]
	v_cndmask_b32_e64 v16, v34, v1, s[20:21]
	v_add_u32_e32 v17, 1, v14
	v_add_u32_e32 v16, -1, v16
	v_min_u32_e32 v16, v17, v16
	v_add_u32_e32 v16, v11, v16
	ds_read_u8 v16, v16
	v_cndmask_b32_e64 v5, v5, v17, s[20:21]
	v_cndmask_b32_e64 v15, v17, v15, s[20:21]
	v_cmp_lt_u32_e64 s[22:23], v5, v1
	v_cmp_ge_u32_e64 s[12:13], v15, v34
	s_waitcnt lgkmcnt(0)
	v_cndmask_b32_e64 v31, v16, v26, s[20:21]
	v_cndmask_b32_e64 v32, v27, v16, s[20:21]
	v_cmp_le_u16_sdwa s[24:25], v32, v31 src0_sel:BYTE_0 src1_sel:BYTE_0
	s_and_b64 s[22:23], s[22:23], s[24:25]
	s_or_b64 s[22:23], s[12:13], s[22:23]
	v_cndmask_b32_e64 v16, v15, v5, s[22:23]
	v_cndmask_b32_e64 v17, v34, v1, s[22:23]
	v_add_u32_e32 v18, 1, v16
	v_add_u32_e32 v17, -1, v17
	v_min_u32_e32 v17, v18, v17
	v_add_u32_e32 v17, v11, v17
	ds_read_u8 v17, v17
	v_lshl_add_u32 v14, v14, 3, v10
	v_lshl_add_u32 v16, v16, 3, v10
	v_cndmask_b32_e64 v22, v23, v22, s[8:9]
	s_waitcnt lgkmcnt(0)
	v_cndmask_b32_e64 v33, v17, v31, s[22:23]
	v_cndmask_b32_e64 v35, v32, v17, s[22:23]
	;; [unrolled: 1-line block ×4, first 2 shown]
	v_cmp_lt_u32_e64 s[24:25], v18, v1
	v_cmp_le_u16_sdwa s[28:29], v35, v33 src0_sel:BYTE_0 src1_sel:BYTE_0
	v_cmp_ge_u32_e64 s[12:13], v17, v34
	s_and_b64 s[24:25], s[24:25], s[28:29]
	s_or_b64 s[12:13], s[12:13], s[24:25]
	v_cndmask_b32_e64 v19, v17, v18, s[12:13]
	v_cndmask_b32_e64 v5, v34, v1, s[12:13]
	v_add_u32_e32 v20, 1, v19
	v_add_u32_e32 v5, -1, v5
	v_min_u32_e32 v5, v20, v5
	v_add_u32_e32 v5, v11, v5
	ds_read_u8 v21, v5
	ds_read_b64 v[4:5], v4 offset:2048
	ds_read_b64 v[14:15], v14 offset:2048
	s_waitcnt lgkmcnt(2)
	v_cndmask_b32_e64 v36, v21, v33, s[12:13]
	v_cndmask_b32_e64 v37, v35, v21, s[12:13]
	;; [unrolled: 1-line block ×4, first 2 shown]
	v_cmp_lt_u32_e64 s[28:29], v20, v1
	v_cmp_le_u16_sdwa s[30:31], v37, v36 src0_sel:BYTE_0 src1_sel:BYTE_0
	v_cmp_ge_u32_e64 s[24:25], v21, v34
	s_and_b64 s[28:29], s[28:29], s[30:31]
	s_or_b64 s[24:25], s[24:25], s[28:29]
	v_cndmask_b32_e64 v24, v21, v20, s[24:25]
	v_cndmask_b32_e64 v17, v34, v1, s[24:25]
	v_add_u32_e32 v25, 1, v24
	v_add_u32_e32 v17, -1, v17
	v_min_u32_e32 v17, v25, v17
	v_add_u32_e32 v17, v11, v17
	ds_read_u8 v28, v17
	ds_read_b64 v[16:17], v16 offset:2048
	v_cndmask_b32_e64 v29, v20, v25, s[24:25]
	v_cmp_lt_u32_e64 s[30:31], v29, v1
	v_lshl_add_u32 v18, v19, 3, v10
	ds_read_b64 v[18:19], v18 offset:2048
	s_waitcnt lgkmcnt(2)
	v_cndmask_b32_e64 v38, v28, v36, s[24:25]
	v_cndmask_b32_e64 v39, v37, v28, s[24:25]
	;; [unrolled: 1-line block ×3, first 2 shown]
	v_cmp_le_u16_sdwa s[34:35], v39, v38 src0_sel:BYTE_0 src1_sel:BYTE_0
	v_cmp_ge_u32_e64 s[28:29], v28, v34
	s_and_b64 s[30:31], s[30:31], s[34:35]
	s_or_b64 s[28:29], s[28:29], s[30:31]
	v_cndmask_b32_e64 v20, v28, v29, s[28:29]
	v_cndmask_b32_e64 v21, v34, v1, s[28:29]
	v_add_u32_e32 v30, 1, v20
	v_add_u32_e32 v21, -1, v21
	v_min_u32_e32 v21, v30, v21
	v_add_u32_e32 v21, v11, v21
	ds_read_u8 v48, v21
	v_cndmask_b32_e64 v51, v29, v30, s[28:29]
	v_cndmask_b32_e64 v50, v30, v28, s[28:29]
	v_cmp_lt_u32_e64 s[34:35], v51, v1
	v_cmp_ge_u32_e64 s[30:31], v50, v34
	s_waitcnt lgkmcnt(0)
	v_cndmask_b32_e64 v49, v48, v38, s[28:29]
	v_cndmask_b32_e64 v48, v39, v48, s[28:29]
	v_cmp_le_u16_sdwa s[40:41], v48, v49 src0_sel:BYTE_0 src1_sel:BYTE_0
	s_and_b64 s[34:35], s[34:35], s[40:41]
	s_or_b64 s[30:31], s[30:31], s[34:35]
	v_cndmask_b32_e64 v28, v50, v51, s[30:31]
	v_cndmask_b32_e64 v29, v34, v1, s[30:31]
	v_lshl_add_u32 v30, v28, 3, v10
	v_add_u32_e32 v52, 1, v28
	v_add_u32_e32 v28, -1, v29
	v_min_u32_e32 v28, v52, v28
	v_lshl_add_u32 v21, v24, 3, v10
	v_lshl_add_u32 v20, v20, 3, v10
	v_add_u32_e32 v11, v11, v28
	ds_read_b64 v[24:25], v21 offset:2048
	ds_read_b64 v[20:21], v20 offset:2048
	;; [unrolled: 1-line block ×3, first 2 shown]
	ds_read_u8 v11, v11
	v_cndmask_b32_e64 v30, v26, v27, s[20:21]
	v_cndmask_b32_e64 v27, v31, v32, s[22:23]
	;; [unrolled: 1-line block ×4, first 2 shown]
	s_waitcnt lgkmcnt(0)
	v_cndmask_b32_e64 v31, v11, v49, s[30:31]
	v_cndmask_b32_e64 v11, v48, v11, s[30:31]
	;; [unrolled: 1-line block ×3, first 2 shown]
	v_cmp_lt_u32_e64 s[12:13], v32, v1
	v_cmp_le_u16_sdwa s[20:21], v11, v31 src0_sel:BYTE_0 src1_sel:BYTE_0
	v_cmp_ge_u32_e64 s[8:9], v23, v34
	s_and_b64 s[12:13], s[12:13], s[20:21]
	s_or_b64 s[8:9], s[8:9], s[12:13]
	v_cndmask_b32_e64 v1, v23, v32, s[8:9]
	v_lshl_add_u32 v1, v1, 3, v10
	ds_read_b64 v[32:33], v1 offset:2048
	v_cndmask_b32_e64 v23, v36, v37, s[24:25]
	v_cndmask_b32_e64 v38, v38, v39, s[28:29]
	;; [unrolled: 1-line block ×4, first 2 shown]
.LBB198_116:
	s_or_b64 exec, exec, s[38:39]
	; wave barrier
	s_waitcnt lgkmcnt(0)
	s_barrier
.LBB198_117:
	s_or_b64 exec, exec, s[36:37]
	v_add_co_u32_e64 v1, s[8:9], v2, v8
	v_addc_co_u32_e64 v2, s[8:9], 0, v3, s[8:9]
	v_add_co_u32_e64 v0, s[8:9], v1, v0
	v_addc_co_u32_e64 v1, s[8:9], 0, v2, s[8:9]
	s_waitcnt lgkmcnt(0)
	; wave barrier
	s_and_saveexec_b64 s[8:9], vcc
	s_cbranch_execnz .LBB198_143
; %bb.118:
	s_or_b64 exec, exec, s[8:9]
	s_and_saveexec_b64 s[8:9], s[4:5]
	s_cbranch_execnz .LBB198_144
.LBB198_119:
	s_or_b64 exec, exec, s[8:9]
	s_and_saveexec_b64 s[8:9], s[6:7]
	s_cbranch_execnz .LBB198_145
.LBB198_120:
	s_or_b64 exec, exec, s[8:9]
	s_and_saveexec_b64 s[8:9], s[18:19]
	s_cbranch_execnz .LBB198_146
.LBB198_121:
	s_or_b64 exec, exec, s[8:9]
	s_and_saveexec_b64 s[8:9], s[10:11]
	s_cbranch_execnz .LBB198_147
.LBB198_122:
	s_or_b64 exec, exec, s[8:9]
	s_and_saveexec_b64 s[8:9], s[26:27]
	s_cbranch_execnz .LBB198_148
.LBB198_123:
	s_or_b64 exec, exec, s[8:9]
	s_and_saveexec_b64 s[8:9], s[14:15]
	s_cbranch_execnz .LBB198_149
.LBB198_124:
	s_or_b64 exec, exec, s[8:9]
	s_and_saveexec_b64 s[8:9], s[16:17]
	s_cbranch_execz .LBB198_126
.LBB198_125:
	s_waitcnt vmcnt(0) lgkmcnt(0)
	flat_store_byte v[0:1], v36 offset:7
.LBB198_126:
	s_or_b64 exec, exec, s[8:9]
	v_add_co_u32_e64 v0, s[8:9], v6, v12
	v_addc_co_u32_e64 v1, s[8:9], v7, v13, s[8:9]
	v_add_co_u32_e64 v0, s[8:9], v0, v9
	v_addc_co_u32_e64 v1, s[8:9], 0, v1, s[8:9]
	; wave barrier
	s_and_saveexec_b64 s[8:9], vcc
	s_cbranch_execnz .LBB198_150
; %bb.127:
	s_or_b64 exec, exec, s[8:9]
	s_and_saveexec_b64 s[8:9], s[4:5]
	s_cbranch_execnz .LBB198_151
.LBB198_128:
	s_or_b64 exec, exec, s[8:9]
	s_and_saveexec_b64 s[4:5], s[6:7]
	s_cbranch_execnz .LBB198_152
.LBB198_129:
	s_or_b64 exec, exec, s[4:5]
	s_and_saveexec_b64 s[4:5], s[18:19]
	s_cbranch_execnz .LBB198_153
.LBB198_130:
	s_or_b64 exec, exec, s[4:5]
	s_and_saveexec_b64 s[4:5], s[10:11]
	s_cbranch_execnz .LBB198_154
.LBB198_131:
	s_or_b64 exec, exec, s[4:5]
	s_and_saveexec_b64 s[4:5], s[26:27]
	s_cbranch_execnz .LBB198_155
.LBB198_132:
	s_or_b64 exec, exec, s[4:5]
	s_and_saveexec_b64 s[4:5], s[14:15]
	s_cbranch_execnz .LBB198_156
.LBB198_133:
	s_or_b64 exec, exec, s[4:5]
	s_and_saveexec_b64 s[4:5], s[16:17]
	s_cbranch_execz .LBB198_135
.LBB198_134:
	s_waitcnt vmcnt(0) lgkmcnt(0)
	flat_store_dwordx2 v[0:1], v[32:33] offset:56
.LBB198_135:
	s_or_b64 exec, exec, s[4:5]
	v_readlane_b32 s30, v40, 12
	v_readlane_b32 s31, v40, 13
	;; [unrolled: 1-line block ×14, first 2 shown]
	s_or_saveexec_b64 s[4:5], -1
	buffer_load_dword v40, off, s[0:3], s32 ; 4-byte Folded Reload
	s_mov_b64 exec, s[4:5]
	s_waitcnt vmcnt(0) lgkmcnt(0)
	s_setpc_b64 s[30:31]
.LBB198_136:
	flat_load_dwordx2 v[4:5], v[34:35]
	s_or_b64 exec, exec, s[20:21]
                                        ; implicit-def: $vgpr14_vgpr15
	s_and_saveexec_b64 s[20:21], s[4:5]
	s_cbranch_execz .LBB198_18
.LBB198_137:
	flat_load_dwordx2 v[14:15], v[34:35] offset:8
	s_or_b64 exec, exec, s[20:21]
                                        ; implicit-def: $vgpr16_vgpr17
	s_and_saveexec_b64 s[20:21], s[6:7]
	s_cbranch_execz .LBB198_19
.LBB198_138:
	flat_load_dwordx2 v[16:17], v[34:35] offset:16
	s_or_b64 exec, exec, s[20:21]
                                        ; implicit-def: $vgpr18_vgpr19
	s_and_saveexec_b64 s[20:21], s[18:19]
	s_cbranch_execz .LBB198_20
.LBB198_139:
	flat_load_dwordx2 v[18:19], v[34:35] offset:24
	s_or_b64 exec, exec, s[20:21]
                                        ; implicit-def: $vgpr24_vgpr25
	s_and_saveexec_b64 s[20:21], s[10:11]
	s_cbranch_execz .LBB198_21
.LBB198_140:
	flat_load_dwordx2 v[24:25], v[34:35] offset:32
	s_or_b64 exec, exec, s[20:21]
                                        ; implicit-def: $vgpr20_vgpr21
	s_and_saveexec_b64 s[20:21], s[26:27]
	s_cbranch_execz .LBB198_22
.LBB198_141:
	flat_load_dwordx2 v[20:21], v[34:35] offset:40
	s_or_b64 exec, exec, s[20:21]
                                        ; implicit-def: $vgpr28_vgpr29
	s_and_saveexec_b64 s[20:21], s[14:15]
	s_cbranch_execz .LBB198_23
.LBB198_142:
	flat_load_dwordx2 v[28:29], v[34:35] offset:48
	s_or_b64 exec, exec, s[20:21]
                                        ; implicit-def: $vgpr32_vgpr33
	s_and_saveexec_b64 s[20:21], s[16:17]
	s_cbranch_execnz .LBB198_24
	s_branch .LBB198_25
.LBB198_143:
	s_waitcnt vmcnt(0) lgkmcnt(0)
	flat_store_byte v[0:1], v22
	s_or_b64 exec, exec, s[8:9]
	s_and_saveexec_b64 s[8:9], s[4:5]
	s_cbranch_execz .LBB198_119
.LBB198_144:
	s_waitcnt vmcnt(0) lgkmcnt(0)
	flat_store_byte v[0:1], v30 offset:1
	s_or_b64 exec, exec, s[8:9]
	s_and_saveexec_b64 s[8:9], s[6:7]
	s_cbranch_execz .LBB198_120
.LBB198_145:
	s_waitcnt vmcnt(0) lgkmcnt(0)
	flat_store_byte v[0:1], v27 offset:2
	s_or_b64 exec, exec, s[8:9]
	s_and_saveexec_b64 s[8:9], s[18:19]
	s_cbranch_execz .LBB198_121
.LBB198_146:
	s_waitcnt vmcnt(0) lgkmcnt(0)
	flat_store_byte v[0:1], v26 offset:3
	s_or_b64 exec, exec, s[8:9]
	s_and_saveexec_b64 s[8:9], s[10:11]
	s_cbranch_execz .LBB198_122
.LBB198_147:
	s_waitcnt vmcnt(0) lgkmcnt(0)
	flat_store_byte v[0:1], v23 offset:4
	s_or_b64 exec, exec, s[8:9]
	s_and_saveexec_b64 s[8:9], s[26:27]
	s_cbranch_execz .LBB198_123
.LBB198_148:
	s_waitcnt vmcnt(0) lgkmcnt(0)
	flat_store_byte v[0:1], v38 offset:5
	s_or_b64 exec, exec, s[8:9]
	s_and_saveexec_b64 s[8:9], s[14:15]
	s_cbranch_execz .LBB198_124
.LBB198_149:
	s_waitcnt vmcnt(0) lgkmcnt(0)
	flat_store_byte v[0:1], v37 offset:6
	s_or_b64 exec, exec, s[8:9]
	s_and_saveexec_b64 s[8:9], s[16:17]
	s_cbranch_execnz .LBB198_125
	s_branch .LBB198_126
.LBB198_150:
	s_waitcnt vmcnt(0) lgkmcnt(0)
	flat_store_dwordx2 v[0:1], v[4:5]
	s_or_b64 exec, exec, s[8:9]
	s_and_saveexec_b64 s[8:9], s[4:5]
	s_cbranch_execz .LBB198_128
.LBB198_151:
	s_waitcnt vmcnt(0) lgkmcnt(0)
	flat_store_dwordx2 v[0:1], v[14:15] offset:8
	s_or_b64 exec, exec, s[8:9]
	s_and_saveexec_b64 s[4:5], s[6:7]
	s_cbranch_execz .LBB198_129
.LBB198_152:
	s_waitcnt vmcnt(0) lgkmcnt(0)
	flat_store_dwordx2 v[0:1], v[16:17] offset:16
	s_or_b64 exec, exec, s[4:5]
	s_and_saveexec_b64 s[4:5], s[18:19]
	s_cbranch_execz .LBB198_130
.LBB198_153:
	s_waitcnt vmcnt(0) lgkmcnt(0)
	flat_store_dwordx2 v[0:1], v[18:19] offset:24
	s_or_b64 exec, exec, s[4:5]
	s_and_saveexec_b64 s[4:5], s[10:11]
	s_cbranch_execz .LBB198_131
.LBB198_154:
	s_waitcnt vmcnt(0) lgkmcnt(0)
	flat_store_dwordx2 v[0:1], v[24:25] offset:32
	s_or_b64 exec, exec, s[4:5]
	s_and_saveexec_b64 s[4:5], s[26:27]
	s_cbranch_execz .LBB198_132
.LBB198_155:
	s_waitcnt vmcnt(0) lgkmcnt(0)
	flat_store_dwordx2 v[0:1], v[20:21] offset:40
	s_or_b64 exec, exec, s[4:5]
	s_and_saveexec_b64 s[4:5], s[14:15]
	s_cbranch_execz .LBB198_133
.LBB198_156:
	s_waitcnt vmcnt(0) lgkmcnt(0)
	flat_store_dwordx2 v[0:1], v[28:29] offset:48
	s_or_b64 exec, exec, s[4:5]
	s_and_saveexec_b64 s[4:5], s[16:17]
	s_cbranch_execnz .LBB198_134
	s_branch .LBB198_135
.Lfunc_end198:
	.size	_ZN7rocprim17ROCPRIM_400000_NS6detail26segmented_warp_sort_helperINS1_20WarpSortHelperConfigILj16ELj8ELj256EEEhlLi256ELb0EvE4sortIPKhPhPKlPlEEvT_T0_T1_T2_jjjjRNS5_12storage_typeE, .Lfunc_end198-_ZN7rocprim17ROCPRIM_400000_NS6detail26segmented_warp_sort_helperINS1_20WarpSortHelperConfigILj16ELj8ELj256EEEhlLi256ELb0EvE4sortIPKhPhPKlPlEEvT_T0_T1_T2_jjjjRNS5_12storage_typeE
                                        ; -- End function
	.section	.AMDGPU.csdata,"",@progbits
; Function info:
; codeLenInByte = 18004
; NumSgprs: 50
; NumVgprs: 69
; NumAgprs: 0
; TotalNumVgprs: 69
; ScratchSize: 8
; MemoryBound: 0
	.section	.text._ZN7rocprim17ROCPRIM_400000_NS6detail17trampoline_kernelINS0_14default_configENS1_36segmented_radix_sort_config_selectorIhlEEZNS1_25segmented_radix_sort_implIS3_Lb0EPKhPhPKlPlN2at6native12_GLOBAL__N_18offset_tEEE10hipError_tPvRmT1_PNSt15iterator_traitsISK_E10value_typeET2_T3_PNSL_ISQ_E10value_typeET4_jRbjT5_SW_jjP12ihipStream_tbEUlT_E0_NS1_11comp_targetILNS1_3genE4ELNS1_11target_archE910ELNS1_3gpuE8ELNS1_3repE0EEENS1_60segmented_radix_sort_warp_sort_medium_config_static_selectorELNS0_4arch9wavefront6targetE1EEEvSK_,"axG",@progbits,_ZN7rocprim17ROCPRIM_400000_NS6detail17trampoline_kernelINS0_14default_configENS1_36segmented_radix_sort_config_selectorIhlEEZNS1_25segmented_radix_sort_implIS3_Lb0EPKhPhPKlPlN2at6native12_GLOBAL__N_18offset_tEEE10hipError_tPvRmT1_PNSt15iterator_traitsISK_E10value_typeET2_T3_PNSL_ISQ_E10value_typeET4_jRbjT5_SW_jjP12ihipStream_tbEUlT_E0_NS1_11comp_targetILNS1_3genE4ELNS1_11target_archE910ELNS1_3gpuE8ELNS1_3repE0EEENS1_60segmented_radix_sort_warp_sort_medium_config_static_selectorELNS0_4arch9wavefront6targetE1EEEvSK_,comdat
	.globl	_ZN7rocprim17ROCPRIM_400000_NS6detail17trampoline_kernelINS0_14default_configENS1_36segmented_radix_sort_config_selectorIhlEEZNS1_25segmented_radix_sort_implIS3_Lb0EPKhPhPKlPlN2at6native12_GLOBAL__N_18offset_tEEE10hipError_tPvRmT1_PNSt15iterator_traitsISK_E10value_typeET2_T3_PNSL_ISQ_E10value_typeET4_jRbjT5_SW_jjP12ihipStream_tbEUlT_E0_NS1_11comp_targetILNS1_3genE4ELNS1_11target_archE910ELNS1_3gpuE8ELNS1_3repE0EEENS1_60segmented_radix_sort_warp_sort_medium_config_static_selectorELNS0_4arch9wavefront6targetE1EEEvSK_ ; -- Begin function _ZN7rocprim17ROCPRIM_400000_NS6detail17trampoline_kernelINS0_14default_configENS1_36segmented_radix_sort_config_selectorIhlEEZNS1_25segmented_radix_sort_implIS3_Lb0EPKhPhPKlPlN2at6native12_GLOBAL__N_18offset_tEEE10hipError_tPvRmT1_PNSt15iterator_traitsISK_E10value_typeET2_T3_PNSL_ISQ_E10value_typeET4_jRbjT5_SW_jjP12ihipStream_tbEUlT_E0_NS1_11comp_targetILNS1_3genE4ELNS1_11target_archE910ELNS1_3gpuE8ELNS1_3repE0EEENS1_60segmented_radix_sort_warp_sort_medium_config_static_selectorELNS0_4arch9wavefront6targetE1EEEvSK_
	.p2align	8
	.type	_ZN7rocprim17ROCPRIM_400000_NS6detail17trampoline_kernelINS0_14default_configENS1_36segmented_radix_sort_config_selectorIhlEEZNS1_25segmented_radix_sort_implIS3_Lb0EPKhPhPKlPlN2at6native12_GLOBAL__N_18offset_tEEE10hipError_tPvRmT1_PNSt15iterator_traitsISK_E10value_typeET2_T3_PNSL_ISQ_E10value_typeET4_jRbjT5_SW_jjP12ihipStream_tbEUlT_E0_NS1_11comp_targetILNS1_3genE4ELNS1_11target_archE910ELNS1_3gpuE8ELNS1_3repE0EEENS1_60segmented_radix_sort_warp_sort_medium_config_static_selectorELNS0_4arch9wavefront6targetE1EEEvSK_,@function
_ZN7rocprim17ROCPRIM_400000_NS6detail17trampoline_kernelINS0_14default_configENS1_36segmented_radix_sort_config_selectorIhlEEZNS1_25segmented_radix_sort_implIS3_Lb0EPKhPhPKlPlN2at6native12_GLOBAL__N_18offset_tEEE10hipError_tPvRmT1_PNSt15iterator_traitsISK_E10value_typeET2_T3_PNSL_ISQ_E10value_typeET4_jRbjT5_SW_jjP12ihipStream_tbEUlT_E0_NS1_11comp_targetILNS1_3genE4ELNS1_11target_archE910ELNS1_3gpuE8ELNS1_3repE0EEENS1_60segmented_radix_sort_warp_sort_medium_config_static_selectorELNS0_4arch9wavefront6targetE1EEEvSK_: ; @_ZN7rocprim17ROCPRIM_400000_NS6detail17trampoline_kernelINS0_14default_configENS1_36segmented_radix_sort_config_selectorIhlEEZNS1_25segmented_radix_sort_implIS3_Lb0EPKhPhPKlPlN2at6native12_GLOBAL__N_18offset_tEEE10hipError_tPvRmT1_PNSt15iterator_traitsISK_E10value_typeET2_T3_PNSL_ISQ_E10value_typeET4_jRbjT5_SW_jjP12ihipStream_tbEUlT_E0_NS1_11comp_targetILNS1_3genE4ELNS1_11target_archE910ELNS1_3gpuE8ELNS1_3repE0EEENS1_60segmented_radix_sort_warp_sort_medium_config_static_selectorELNS0_4arch9wavefront6targetE1EEEvSK_
; %bb.0:
	s_add_u32 flat_scratch_lo, s6, s10
	s_addc_u32 flat_scratch_hi, s7, 0
	s_add_u32 s0, s0, s10
	s_load_dword s6, s[4:5], 0x64
	s_load_dword s10, s[4:5], 0x34
	s_addc_u32 s1, s1, 0
	v_bfe_u32 v1, v0, 10, 10
	v_bfe_u32 v2, v0, 20, 10
	s_waitcnt lgkmcnt(0)
	s_lshr_b32 s7, s6, 16
	s_and_b32 s6, s6, 0xffff
	v_mad_u32_u24 v1, v2, s7, v1
	v_and_b32_e32 v2, 0x3ff, v0
	v_mad_u64_u32 v[2:3], s[6:7], v1, s6, v[2:3]
	v_lshrrev_b32_e32 v1, 4, v2
	v_lshl_add_u32 v2, s8, 4, v1
	v_cmp_gt_u32_e32 vcc, s10, v2
	s_mov_b32 s32, 0
	s_and_saveexec_b64 s[6:7], vcc
	s_cbranch_execz .LBB199_6
; %bb.1:
	s_load_dwordx2 s[6:7], s[4:5], 0x38
	s_load_dwordx4 s[12:15], s[4:5], 0x40
	v_mov_b32_e32 v3, 0
	v_lshlrev_b64 v[2:3], 2, v[2:3]
	s_waitcnt lgkmcnt(0)
	v_mov_b32_e32 v1, s7
	v_add_co_u32_e32 v2, vcc, s6, v2
	v_addc_co_u32_e32 v3, vcc, v1, v3, vcc
	global_load_dword v1, v[2:3], off
	s_waitcnt vmcnt(0)
	v_add_u32_e32 v2, s13, v1
	v_add_u32_e32 v1, s15, v1
	v_mul_lo_u32 v8, v2, s12
	v_mul_lo_u32 v41, v1, s14
	v_cmp_gt_u32_e32 vcc, v41, v8
	s_and_b64 exec, exec, vcc
	s_cbranch_execz .LBB199_6
; %bb.2:
	s_load_dwordx4 s[56:59], s[4:5], 0x20
	s_load_dword s6, s[4:5], 0x30
	s_load_dwordx8 s[48:55], s[4:5], 0x0
	s_load_dwordx2 s[60:61], s[4:5], 0x50
	s_mov_b32 s46, s8
	s_mov_b32 s33, s9
	s_waitcnt lgkmcnt(0)
	s_bitcmp0_b32 s6, 0
	s_mov_b64 s[6:7], -1
	s_cbranch_scc0 .LBB199_4
; %bb.3:
	s_add_u32 s8, s4, 0x58
	s_addc_u32 s9, s5, 0
	s_mov_b32 s12, s46
	s_mov_b32 s13, s33
	v_mov_b32_e32 v31, v0
	v_mov_b32_e32 v42, v0
	;; [unrolled: 1-line block ×13, first 2 shown]
	s_getpc_b64 s[6:7]
	s_add_u32 s6, s6, _ZN7rocprim17ROCPRIM_400000_NS6detail26segmented_warp_sort_helperINS1_20WarpSortHelperConfigILj16ELj8ELj256EEEhlLi256ELb0EvE4sortIPKhPhPKlPlEEvT_T0_T1_T2_jjjjRNS5_12storage_typeE@rel32@lo+4
	s_addc_u32 s7, s7, _ZN7rocprim17ROCPRIM_400000_NS6detail26segmented_warp_sort_helperINS1_20WarpSortHelperConfigILj16ELj8ELj256EEEhlLi256ELb0EvE4sortIPKhPhPKlPlEEvT_T0_T1_T2_jjjjRNS5_12storage_typeE@rel32@hi+12
	s_mov_b64 s[50:51], s[4:5]
	s_swappc_b64 s[30:31], s[6:7]
	v_mov_b32_e32 v0, v42
	s_mov_b64 s[4:5], s[50:51]
	s_mov_b64 s[6:7], 0
.LBB199_4:
	s_andn2_b64 vcc, exec, s[6:7]
	s_cbranch_vccnz .LBB199_6
; %bb.5:
	s_add_u32 s8, s4, 0x58
	s_addc_u32 s9, s5, 0
	s_mov_b32 s12, s46
	s_mov_b32 s13, s33
	v_mov_b32_e32 v31, v0
	v_mov_b32_e32 v0, s48
	;; [unrolled: 1-line block ×12, first 2 shown]
	s_getpc_b64 s[4:5]
	s_add_u32 s4, s4, _ZN7rocprim17ROCPRIM_400000_NS6detail26segmented_warp_sort_helperINS1_20WarpSortHelperConfigILj16ELj8ELj256EEEhlLi256ELb0EvE4sortIPKhPhPKlPlEEvT_T0_T1_T2_jjjjRNS5_12storage_typeE@rel32@lo+4
	s_addc_u32 s5, s5, _ZN7rocprim17ROCPRIM_400000_NS6detail26segmented_warp_sort_helperINS1_20WarpSortHelperConfigILj16ELj8ELj256EEEhlLi256ELb0EvE4sortIPKhPhPKlPlEEvT_T0_T1_T2_jjjjRNS5_12storage_typeE@rel32@hi+12
	s_swappc_b64 s[30:31], s[4:5]
.LBB199_6:
	s_endpgm
	.section	.rodata,"a",@progbits
	.p2align	6, 0x0
	.amdhsa_kernel _ZN7rocprim17ROCPRIM_400000_NS6detail17trampoline_kernelINS0_14default_configENS1_36segmented_radix_sort_config_selectorIhlEEZNS1_25segmented_radix_sort_implIS3_Lb0EPKhPhPKlPlN2at6native12_GLOBAL__N_18offset_tEEE10hipError_tPvRmT1_PNSt15iterator_traitsISK_E10value_typeET2_T3_PNSL_ISQ_E10value_typeET4_jRbjT5_SW_jjP12ihipStream_tbEUlT_E0_NS1_11comp_targetILNS1_3genE4ELNS1_11target_archE910ELNS1_3gpuE8ELNS1_3repE0EEENS1_60segmented_radix_sort_warp_sort_medium_config_static_selectorELNS0_4arch9wavefront6targetE1EEEvSK_
		.amdhsa_group_segment_fixed_size 18432
		.amdhsa_private_segment_fixed_size 8
		.amdhsa_kernarg_size 344
		.amdhsa_user_sgpr_count 8
		.amdhsa_user_sgpr_private_segment_buffer 1
		.amdhsa_user_sgpr_dispatch_ptr 0
		.amdhsa_user_sgpr_queue_ptr 0
		.amdhsa_user_sgpr_kernarg_segment_ptr 1
		.amdhsa_user_sgpr_dispatch_id 0
		.amdhsa_user_sgpr_flat_scratch_init 1
		.amdhsa_user_sgpr_kernarg_preload_length 0
		.amdhsa_user_sgpr_kernarg_preload_offset 0
		.amdhsa_user_sgpr_private_segment_size 0
		.amdhsa_uses_dynamic_stack 0
		.amdhsa_system_sgpr_private_segment_wavefront_offset 1
		.amdhsa_system_sgpr_workgroup_id_x 1
		.amdhsa_system_sgpr_workgroup_id_y 1
		.amdhsa_system_sgpr_workgroup_id_z 0
		.amdhsa_system_sgpr_workgroup_info 0
		.amdhsa_system_vgpr_workitem_id 2
		.amdhsa_next_free_vgpr 69
		.amdhsa_next_free_sgpr 62
		.amdhsa_accum_offset 72
		.amdhsa_reserve_vcc 1
		.amdhsa_reserve_flat_scratch 1
		.amdhsa_float_round_mode_32 0
		.amdhsa_float_round_mode_16_64 0
		.amdhsa_float_denorm_mode_32 3
		.amdhsa_float_denorm_mode_16_64 3
		.amdhsa_dx10_clamp 1
		.amdhsa_ieee_mode 1
		.amdhsa_fp16_overflow 0
		.amdhsa_tg_split 0
		.amdhsa_exception_fp_ieee_invalid_op 0
		.amdhsa_exception_fp_denorm_src 0
		.amdhsa_exception_fp_ieee_div_zero 0
		.amdhsa_exception_fp_ieee_overflow 0
		.amdhsa_exception_fp_ieee_underflow 0
		.amdhsa_exception_fp_ieee_inexact 0
		.amdhsa_exception_int_div_zero 0
	.end_amdhsa_kernel
	.section	.text._ZN7rocprim17ROCPRIM_400000_NS6detail17trampoline_kernelINS0_14default_configENS1_36segmented_radix_sort_config_selectorIhlEEZNS1_25segmented_radix_sort_implIS3_Lb0EPKhPhPKlPlN2at6native12_GLOBAL__N_18offset_tEEE10hipError_tPvRmT1_PNSt15iterator_traitsISK_E10value_typeET2_T3_PNSL_ISQ_E10value_typeET4_jRbjT5_SW_jjP12ihipStream_tbEUlT_E0_NS1_11comp_targetILNS1_3genE4ELNS1_11target_archE910ELNS1_3gpuE8ELNS1_3repE0EEENS1_60segmented_radix_sort_warp_sort_medium_config_static_selectorELNS0_4arch9wavefront6targetE1EEEvSK_,"axG",@progbits,_ZN7rocprim17ROCPRIM_400000_NS6detail17trampoline_kernelINS0_14default_configENS1_36segmented_radix_sort_config_selectorIhlEEZNS1_25segmented_radix_sort_implIS3_Lb0EPKhPhPKlPlN2at6native12_GLOBAL__N_18offset_tEEE10hipError_tPvRmT1_PNSt15iterator_traitsISK_E10value_typeET2_T3_PNSL_ISQ_E10value_typeET4_jRbjT5_SW_jjP12ihipStream_tbEUlT_E0_NS1_11comp_targetILNS1_3genE4ELNS1_11target_archE910ELNS1_3gpuE8ELNS1_3repE0EEENS1_60segmented_radix_sort_warp_sort_medium_config_static_selectorELNS0_4arch9wavefront6targetE1EEEvSK_,comdat
.Lfunc_end199:
	.size	_ZN7rocprim17ROCPRIM_400000_NS6detail17trampoline_kernelINS0_14default_configENS1_36segmented_radix_sort_config_selectorIhlEEZNS1_25segmented_radix_sort_implIS3_Lb0EPKhPhPKlPlN2at6native12_GLOBAL__N_18offset_tEEE10hipError_tPvRmT1_PNSt15iterator_traitsISK_E10value_typeET2_T3_PNSL_ISQ_E10value_typeET4_jRbjT5_SW_jjP12ihipStream_tbEUlT_E0_NS1_11comp_targetILNS1_3genE4ELNS1_11target_archE910ELNS1_3gpuE8ELNS1_3repE0EEENS1_60segmented_radix_sort_warp_sort_medium_config_static_selectorELNS0_4arch9wavefront6targetE1EEEvSK_, .Lfunc_end199-_ZN7rocprim17ROCPRIM_400000_NS6detail17trampoline_kernelINS0_14default_configENS1_36segmented_radix_sort_config_selectorIhlEEZNS1_25segmented_radix_sort_implIS3_Lb0EPKhPhPKlPlN2at6native12_GLOBAL__N_18offset_tEEE10hipError_tPvRmT1_PNSt15iterator_traitsISK_E10value_typeET2_T3_PNSL_ISQ_E10value_typeET4_jRbjT5_SW_jjP12ihipStream_tbEUlT_E0_NS1_11comp_targetILNS1_3genE4ELNS1_11target_archE910ELNS1_3gpuE8ELNS1_3repE0EEENS1_60segmented_radix_sort_warp_sort_medium_config_static_selectorELNS0_4arch9wavefront6targetE1EEEvSK_
                                        ; -- End function
	.section	.AMDGPU.csdata,"",@progbits
; Kernel info:
; codeLenInByte = 480
; NumSgprs: 68
; NumVgprs: 69
; NumAgprs: 0
; TotalNumVgprs: 69
; ScratchSize: 8
; MemoryBound: 0
; FloatMode: 240
; IeeeMode: 1
; LDSByteSize: 18432 bytes/workgroup (compile time only)
; SGPRBlocks: 8
; VGPRBlocks: 8
; NumSGPRsForWavesPerEU: 68
; NumVGPRsForWavesPerEU: 69
; AccumOffset: 72
; Occupancy: 3
; WaveLimiterHint : 0
; COMPUTE_PGM_RSRC2:SCRATCH_EN: 1
; COMPUTE_PGM_RSRC2:USER_SGPR: 8
; COMPUTE_PGM_RSRC2:TRAP_HANDLER: 0
; COMPUTE_PGM_RSRC2:TGID_X_EN: 1
; COMPUTE_PGM_RSRC2:TGID_Y_EN: 1
; COMPUTE_PGM_RSRC2:TGID_Z_EN: 0
; COMPUTE_PGM_RSRC2:TIDIG_COMP_CNT: 2
; COMPUTE_PGM_RSRC3_GFX90A:ACCUM_OFFSET: 17
; COMPUTE_PGM_RSRC3_GFX90A:TG_SPLIT: 0
	.section	.text._ZN7rocprim17ROCPRIM_400000_NS6detail17trampoline_kernelINS0_14default_configENS1_36segmented_radix_sort_config_selectorIhlEEZNS1_25segmented_radix_sort_implIS3_Lb0EPKhPhPKlPlN2at6native12_GLOBAL__N_18offset_tEEE10hipError_tPvRmT1_PNSt15iterator_traitsISK_E10value_typeET2_T3_PNSL_ISQ_E10value_typeET4_jRbjT5_SW_jjP12ihipStream_tbEUlT_E0_NS1_11comp_targetILNS1_3genE3ELNS1_11target_archE908ELNS1_3gpuE7ELNS1_3repE0EEENS1_60segmented_radix_sort_warp_sort_medium_config_static_selectorELNS0_4arch9wavefront6targetE1EEEvSK_,"axG",@progbits,_ZN7rocprim17ROCPRIM_400000_NS6detail17trampoline_kernelINS0_14default_configENS1_36segmented_radix_sort_config_selectorIhlEEZNS1_25segmented_radix_sort_implIS3_Lb0EPKhPhPKlPlN2at6native12_GLOBAL__N_18offset_tEEE10hipError_tPvRmT1_PNSt15iterator_traitsISK_E10value_typeET2_T3_PNSL_ISQ_E10value_typeET4_jRbjT5_SW_jjP12ihipStream_tbEUlT_E0_NS1_11comp_targetILNS1_3genE3ELNS1_11target_archE908ELNS1_3gpuE7ELNS1_3repE0EEENS1_60segmented_radix_sort_warp_sort_medium_config_static_selectorELNS0_4arch9wavefront6targetE1EEEvSK_,comdat
	.globl	_ZN7rocprim17ROCPRIM_400000_NS6detail17trampoline_kernelINS0_14default_configENS1_36segmented_radix_sort_config_selectorIhlEEZNS1_25segmented_radix_sort_implIS3_Lb0EPKhPhPKlPlN2at6native12_GLOBAL__N_18offset_tEEE10hipError_tPvRmT1_PNSt15iterator_traitsISK_E10value_typeET2_T3_PNSL_ISQ_E10value_typeET4_jRbjT5_SW_jjP12ihipStream_tbEUlT_E0_NS1_11comp_targetILNS1_3genE3ELNS1_11target_archE908ELNS1_3gpuE7ELNS1_3repE0EEENS1_60segmented_radix_sort_warp_sort_medium_config_static_selectorELNS0_4arch9wavefront6targetE1EEEvSK_ ; -- Begin function _ZN7rocprim17ROCPRIM_400000_NS6detail17trampoline_kernelINS0_14default_configENS1_36segmented_radix_sort_config_selectorIhlEEZNS1_25segmented_radix_sort_implIS3_Lb0EPKhPhPKlPlN2at6native12_GLOBAL__N_18offset_tEEE10hipError_tPvRmT1_PNSt15iterator_traitsISK_E10value_typeET2_T3_PNSL_ISQ_E10value_typeET4_jRbjT5_SW_jjP12ihipStream_tbEUlT_E0_NS1_11comp_targetILNS1_3genE3ELNS1_11target_archE908ELNS1_3gpuE7ELNS1_3repE0EEENS1_60segmented_radix_sort_warp_sort_medium_config_static_selectorELNS0_4arch9wavefront6targetE1EEEvSK_
	.p2align	8
	.type	_ZN7rocprim17ROCPRIM_400000_NS6detail17trampoline_kernelINS0_14default_configENS1_36segmented_radix_sort_config_selectorIhlEEZNS1_25segmented_radix_sort_implIS3_Lb0EPKhPhPKlPlN2at6native12_GLOBAL__N_18offset_tEEE10hipError_tPvRmT1_PNSt15iterator_traitsISK_E10value_typeET2_T3_PNSL_ISQ_E10value_typeET4_jRbjT5_SW_jjP12ihipStream_tbEUlT_E0_NS1_11comp_targetILNS1_3genE3ELNS1_11target_archE908ELNS1_3gpuE7ELNS1_3repE0EEENS1_60segmented_radix_sort_warp_sort_medium_config_static_selectorELNS0_4arch9wavefront6targetE1EEEvSK_,@function
_ZN7rocprim17ROCPRIM_400000_NS6detail17trampoline_kernelINS0_14default_configENS1_36segmented_radix_sort_config_selectorIhlEEZNS1_25segmented_radix_sort_implIS3_Lb0EPKhPhPKlPlN2at6native12_GLOBAL__N_18offset_tEEE10hipError_tPvRmT1_PNSt15iterator_traitsISK_E10value_typeET2_T3_PNSL_ISQ_E10value_typeET4_jRbjT5_SW_jjP12ihipStream_tbEUlT_E0_NS1_11comp_targetILNS1_3genE3ELNS1_11target_archE908ELNS1_3gpuE7ELNS1_3repE0EEENS1_60segmented_radix_sort_warp_sort_medium_config_static_selectorELNS0_4arch9wavefront6targetE1EEEvSK_: ; @_ZN7rocprim17ROCPRIM_400000_NS6detail17trampoline_kernelINS0_14default_configENS1_36segmented_radix_sort_config_selectorIhlEEZNS1_25segmented_radix_sort_implIS3_Lb0EPKhPhPKlPlN2at6native12_GLOBAL__N_18offset_tEEE10hipError_tPvRmT1_PNSt15iterator_traitsISK_E10value_typeET2_T3_PNSL_ISQ_E10value_typeET4_jRbjT5_SW_jjP12ihipStream_tbEUlT_E0_NS1_11comp_targetILNS1_3genE3ELNS1_11target_archE908ELNS1_3gpuE7ELNS1_3repE0EEENS1_60segmented_radix_sort_warp_sort_medium_config_static_selectorELNS0_4arch9wavefront6targetE1EEEvSK_
; %bb.0:
	.section	.rodata,"a",@progbits
	.p2align	6, 0x0
	.amdhsa_kernel _ZN7rocprim17ROCPRIM_400000_NS6detail17trampoline_kernelINS0_14default_configENS1_36segmented_radix_sort_config_selectorIhlEEZNS1_25segmented_radix_sort_implIS3_Lb0EPKhPhPKlPlN2at6native12_GLOBAL__N_18offset_tEEE10hipError_tPvRmT1_PNSt15iterator_traitsISK_E10value_typeET2_T3_PNSL_ISQ_E10value_typeET4_jRbjT5_SW_jjP12ihipStream_tbEUlT_E0_NS1_11comp_targetILNS1_3genE3ELNS1_11target_archE908ELNS1_3gpuE7ELNS1_3repE0EEENS1_60segmented_radix_sort_warp_sort_medium_config_static_selectorELNS0_4arch9wavefront6targetE1EEEvSK_
		.amdhsa_group_segment_fixed_size 0
		.amdhsa_private_segment_fixed_size 0
		.amdhsa_kernarg_size 88
		.amdhsa_user_sgpr_count 6
		.amdhsa_user_sgpr_private_segment_buffer 1
		.amdhsa_user_sgpr_dispatch_ptr 0
		.amdhsa_user_sgpr_queue_ptr 0
		.amdhsa_user_sgpr_kernarg_segment_ptr 1
		.amdhsa_user_sgpr_dispatch_id 0
		.amdhsa_user_sgpr_flat_scratch_init 0
		.amdhsa_user_sgpr_kernarg_preload_length 0
		.amdhsa_user_sgpr_kernarg_preload_offset 0
		.amdhsa_user_sgpr_private_segment_size 0
		.amdhsa_uses_dynamic_stack 0
		.amdhsa_system_sgpr_private_segment_wavefront_offset 0
		.amdhsa_system_sgpr_workgroup_id_x 1
		.amdhsa_system_sgpr_workgroup_id_y 0
		.amdhsa_system_sgpr_workgroup_id_z 0
		.amdhsa_system_sgpr_workgroup_info 0
		.amdhsa_system_vgpr_workitem_id 0
		.amdhsa_next_free_vgpr 1
		.amdhsa_next_free_sgpr 0
		.amdhsa_accum_offset 4
		.amdhsa_reserve_vcc 0
		.amdhsa_reserve_flat_scratch 0
		.amdhsa_float_round_mode_32 0
		.amdhsa_float_round_mode_16_64 0
		.amdhsa_float_denorm_mode_32 3
		.amdhsa_float_denorm_mode_16_64 3
		.amdhsa_dx10_clamp 1
		.amdhsa_ieee_mode 1
		.amdhsa_fp16_overflow 0
		.amdhsa_tg_split 0
		.amdhsa_exception_fp_ieee_invalid_op 0
		.amdhsa_exception_fp_denorm_src 0
		.amdhsa_exception_fp_ieee_div_zero 0
		.amdhsa_exception_fp_ieee_overflow 0
		.amdhsa_exception_fp_ieee_underflow 0
		.amdhsa_exception_fp_ieee_inexact 0
		.amdhsa_exception_int_div_zero 0
	.end_amdhsa_kernel
	.section	.text._ZN7rocprim17ROCPRIM_400000_NS6detail17trampoline_kernelINS0_14default_configENS1_36segmented_radix_sort_config_selectorIhlEEZNS1_25segmented_radix_sort_implIS3_Lb0EPKhPhPKlPlN2at6native12_GLOBAL__N_18offset_tEEE10hipError_tPvRmT1_PNSt15iterator_traitsISK_E10value_typeET2_T3_PNSL_ISQ_E10value_typeET4_jRbjT5_SW_jjP12ihipStream_tbEUlT_E0_NS1_11comp_targetILNS1_3genE3ELNS1_11target_archE908ELNS1_3gpuE7ELNS1_3repE0EEENS1_60segmented_radix_sort_warp_sort_medium_config_static_selectorELNS0_4arch9wavefront6targetE1EEEvSK_,"axG",@progbits,_ZN7rocprim17ROCPRIM_400000_NS6detail17trampoline_kernelINS0_14default_configENS1_36segmented_radix_sort_config_selectorIhlEEZNS1_25segmented_radix_sort_implIS3_Lb0EPKhPhPKlPlN2at6native12_GLOBAL__N_18offset_tEEE10hipError_tPvRmT1_PNSt15iterator_traitsISK_E10value_typeET2_T3_PNSL_ISQ_E10value_typeET4_jRbjT5_SW_jjP12ihipStream_tbEUlT_E0_NS1_11comp_targetILNS1_3genE3ELNS1_11target_archE908ELNS1_3gpuE7ELNS1_3repE0EEENS1_60segmented_radix_sort_warp_sort_medium_config_static_selectorELNS0_4arch9wavefront6targetE1EEEvSK_,comdat
.Lfunc_end200:
	.size	_ZN7rocprim17ROCPRIM_400000_NS6detail17trampoline_kernelINS0_14default_configENS1_36segmented_radix_sort_config_selectorIhlEEZNS1_25segmented_radix_sort_implIS3_Lb0EPKhPhPKlPlN2at6native12_GLOBAL__N_18offset_tEEE10hipError_tPvRmT1_PNSt15iterator_traitsISK_E10value_typeET2_T3_PNSL_ISQ_E10value_typeET4_jRbjT5_SW_jjP12ihipStream_tbEUlT_E0_NS1_11comp_targetILNS1_3genE3ELNS1_11target_archE908ELNS1_3gpuE7ELNS1_3repE0EEENS1_60segmented_radix_sort_warp_sort_medium_config_static_selectorELNS0_4arch9wavefront6targetE1EEEvSK_, .Lfunc_end200-_ZN7rocprim17ROCPRIM_400000_NS6detail17trampoline_kernelINS0_14default_configENS1_36segmented_radix_sort_config_selectorIhlEEZNS1_25segmented_radix_sort_implIS3_Lb0EPKhPhPKlPlN2at6native12_GLOBAL__N_18offset_tEEE10hipError_tPvRmT1_PNSt15iterator_traitsISK_E10value_typeET2_T3_PNSL_ISQ_E10value_typeET4_jRbjT5_SW_jjP12ihipStream_tbEUlT_E0_NS1_11comp_targetILNS1_3genE3ELNS1_11target_archE908ELNS1_3gpuE7ELNS1_3repE0EEENS1_60segmented_radix_sort_warp_sort_medium_config_static_selectorELNS0_4arch9wavefront6targetE1EEEvSK_
                                        ; -- End function
	.section	.AMDGPU.csdata,"",@progbits
; Kernel info:
; codeLenInByte = 0
; NumSgprs: 4
; NumVgprs: 0
; NumAgprs: 0
; TotalNumVgprs: 0
; ScratchSize: 0
; MemoryBound: 0
; FloatMode: 240
; IeeeMode: 1
; LDSByteSize: 0 bytes/workgroup (compile time only)
; SGPRBlocks: 0
; VGPRBlocks: 0
; NumSGPRsForWavesPerEU: 4
; NumVGPRsForWavesPerEU: 1
; AccumOffset: 4
; Occupancy: 8
; WaveLimiterHint : 0
; COMPUTE_PGM_RSRC2:SCRATCH_EN: 0
; COMPUTE_PGM_RSRC2:USER_SGPR: 6
; COMPUTE_PGM_RSRC2:TRAP_HANDLER: 0
; COMPUTE_PGM_RSRC2:TGID_X_EN: 1
; COMPUTE_PGM_RSRC2:TGID_Y_EN: 0
; COMPUTE_PGM_RSRC2:TGID_Z_EN: 0
; COMPUTE_PGM_RSRC2:TIDIG_COMP_CNT: 0
; COMPUTE_PGM_RSRC3_GFX90A:ACCUM_OFFSET: 0
; COMPUTE_PGM_RSRC3_GFX90A:TG_SPLIT: 0
	.section	.text._ZN7rocprim17ROCPRIM_400000_NS6detail17trampoline_kernelINS0_14default_configENS1_36segmented_radix_sort_config_selectorIhlEEZNS1_25segmented_radix_sort_implIS3_Lb0EPKhPhPKlPlN2at6native12_GLOBAL__N_18offset_tEEE10hipError_tPvRmT1_PNSt15iterator_traitsISK_E10value_typeET2_T3_PNSL_ISQ_E10value_typeET4_jRbjT5_SW_jjP12ihipStream_tbEUlT_E0_NS1_11comp_targetILNS1_3genE2ELNS1_11target_archE906ELNS1_3gpuE6ELNS1_3repE0EEENS1_60segmented_radix_sort_warp_sort_medium_config_static_selectorELNS0_4arch9wavefront6targetE1EEEvSK_,"axG",@progbits,_ZN7rocprim17ROCPRIM_400000_NS6detail17trampoline_kernelINS0_14default_configENS1_36segmented_radix_sort_config_selectorIhlEEZNS1_25segmented_radix_sort_implIS3_Lb0EPKhPhPKlPlN2at6native12_GLOBAL__N_18offset_tEEE10hipError_tPvRmT1_PNSt15iterator_traitsISK_E10value_typeET2_T3_PNSL_ISQ_E10value_typeET4_jRbjT5_SW_jjP12ihipStream_tbEUlT_E0_NS1_11comp_targetILNS1_3genE2ELNS1_11target_archE906ELNS1_3gpuE6ELNS1_3repE0EEENS1_60segmented_radix_sort_warp_sort_medium_config_static_selectorELNS0_4arch9wavefront6targetE1EEEvSK_,comdat
	.globl	_ZN7rocprim17ROCPRIM_400000_NS6detail17trampoline_kernelINS0_14default_configENS1_36segmented_radix_sort_config_selectorIhlEEZNS1_25segmented_radix_sort_implIS3_Lb0EPKhPhPKlPlN2at6native12_GLOBAL__N_18offset_tEEE10hipError_tPvRmT1_PNSt15iterator_traitsISK_E10value_typeET2_T3_PNSL_ISQ_E10value_typeET4_jRbjT5_SW_jjP12ihipStream_tbEUlT_E0_NS1_11comp_targetILNS1_3genE2ELNS1_11target_archE906ELNS1_3gpuE6ELNS1_3repE0EEENS1_60segmented_radix_sort_warp_sort_medium_config_static_selectorELNS0_4arch9wavefront6targetE1EEEvSK_ ; -- Begin function _ZN7rocprim17ROCPRIM_400000_NS6detail17trampoline_kernelINS0_14default_configENS1_36segmented_radix_sort_config_selectorIhlEEZNS1_25segmented_radix_sort_implIS3_Lb0EPKhPhPKlPlN2at6native12_GLOBAL__N_18offset_tEEE10hipError_tPvRmT1_PNSt15iterator_traitsISK_E10value_typeET2_T3_PNSL_ISQ_E10value_typeET4_jRbjT5_SW_jjP12ihipStream_tbEUlT_E0_NS1_11comp_targetILNS1_3genE2ELNS1_11target_archE906ELNS1_3gpuE6ELNS1_3repE0EEENS1_60segmented_radix_sort_warp_sort_medium_config_static_selectorELNS0_4arch9wavefront6targetE1EEEvSK_
	.p2align	8
	.type	_ZN7rocprim17ROCPRIM_400000_NS6detail17trampoline_kernelINS0_14default_configENS1_36segmented_radix_sort_config_selectorIhlEEZNS1_25segmented_radix_sort_implIS3_Lb0EPKhPhPKlPlN2at6native12_GLOBAL__N_18offset_tEEE10hipError_tPvRmT1_PNSt15iterator_traitsISK_E10value_typeET2_T3_PNSL_ISQ_E10value_typeET4_jRbjT5_SW_jjP12ihipStream_tbEUlT_E0_NS1_11comp_targetILNS1_3genE2ELNS1_11target_archE906ELNS1_3gpuE6ELNS1_3repE0EEENS1_60segmented_radix_sort_warp_sort_medium_config_static_selectorELNS0_4arch9wavefront6targetE1EEEvSK_,@function
_ZN7rocprim17ROCPRIM_400000_NS6detail17trampoline_kernelINS0_14default_configENS1_36segmented_radix_sort_config_selectorIhlEEZNS1_25segmented_radix_sort_implIS3_Lb0EPKhPhPKlPlN2at6native12_GLOBAL__N_18offset_tEEE10hipError_tPvRmT1_PNSt15iterator_traitsISK_E10value_typeET2_T3_PNSL_ISQ_E10value_typeET4_jRbjT5_SW_jjP12ihipStream_tbEUlT_E0_NS1_11comp_targetILNS1_3genE2ELNS1_11target_archE906ELNS1_3gpuE6ELNS1_3repE0EEENS1_60segmented_radix_sort_warp_sort_medium_config_static_selectorELNS0_4arch9wavefront6targetE1EEEvSK_: ; @_ZN7rocprim17ROCPRIM_400000_NS6detail17trampoline_kernelINS0_14default_configENS1_36segmented_radix_sort_config_selectorIhlEEZNS1_25segmented_radix_sort_implIS3_Lb0EPKhPhPKlPlN2at6native12_GLOBAL__N_18offset_tEEE10hipError_tPvRmT1_PNSt15iterator_traitsISK_E10value_typeET2_T3_PNSL_ISQ_E10value_typeET4_jRbjT5_SW_jjP12ihipStream_tbEUlT_E0_NS1_11comp_targetILNS1_3genE2ELNS1_11target_archE906ELNS1_3gpuE6ELNS1_3repE0EEENS1_60segmented_radix_sort_warp_sort_medium_config_static_selectorELNS0_4arch9wavefront6targetE1EEEvSK_
; %bb.0:
	.section	.rodata,"a",@progbits
	.p2align	6, 0x0
	.amdhsa_kernel _ZN7rocprim17ROCPRIM_400000_NS6detail17trampoline_kernelINS0_14default_configENS1_36segmented_radix_sort_config_selectorIhlEEZNS1_25segmented_radix_sort_implIS3_Lb0EPKhPhPKlPlN2at6native12_GLOBAL__N_18offset_tEEE10hipError_tPvRmT1_PNSt15iterator_traitsISK_E10value_typeET2_T3_PNSL_ISQ_E10value_typeET4_jRbjT5_SW_jjP12ihipStream_tbEUlT_E0_NS1_11comp_targetILNS1_3genE2ELNS1_11target_archE906ELNS1_3gpuE6ELNS1_3repE0EEENS1_60segmented_radix_sort_warp_sort_medium_config_static_selectorELNS0_4arch9wavefront6targetE1EEEvSK_
		.amdhsa_group_segment_fixed_size 0
		.amdhsa_private_segment_fixed_size 0
		.amdhsa_kernarg_size 88
		.amdhsa_user_sgpr_count 6
		.amdhsa_user_sgpr_private_segment_buffer 1
		.amdhsa_user_sgpr_dispatch_ptr 0
		.amdhsa_user_sgpr_queue_ptr 0
		.amdhsa_user_sgpr_kernarg_segment_ptr 1
		.amdhsa_user_sgpr_dispatch_id 0
		.amdhsa_user_sgpr_flat_scratch_init 0
		.amdhsa_user_sgpr_kernarg_preload_length 0
		.amdhsa_user_sgpr_kernarg_preload_offset 0
		.amdhsa_user_sgpr_private_segment_size 0
		.amdhsa_uses_dynamic_stack 0
		.amdhsa_system_sgpr_private_segment_wavefront_offset 0
		.amdhsa_system_sgpr_workgroup_id_x 1
		.amdhsa_system_sgpr_workgroup_id_y 0
		.amdhsa_system_sgpr_workgroup_id_z 0
		.amdhsa_system_sgpr_workgroup_info 0
		.amdhsa_system_vgpr_workitem_id 0
		.amdhsa_next_free_vgpr 1
		.amdhsa_next_free_sgpr 0
		.amdhsa_accum_offset 4
		.amdhsa_reserve_vcc 0
		.amdhsa_reserve_flat_scratch 0
		.amdhsa_float_round_mode_32 0
		.amdhsa_float_round_mode_16_64 0
		.amdhsa_float_denorm_mode_32 3
		.amdhsa_float_denorm_mode_16_64 3
		.amdhsa_dx10_clamp 1
		.amdhsa_ieee_mode 1
		.amdhsa_fp16_overflow 0
		.amdhsa_tg_split 0
		.amdhsa_exception_fp_ieee_invalid_op 0
		.amdhsa_exception_fp_denorm_src 0
		.amdhsa_exception_fp_ieee_div_zero 0
		.amdhsa_exception_fp_ieee_overflow 0
		.amdhsa_exception_fp_ieee_underflow 0
		.amdhsa_exception_fp_ieee_inexact 0
		.amdhsa_exception_int_div_zero 0
	.end_amdhsa_kernel
	.section	.text._ZN7rocprim17ROCPRIM_400000_NS6detail17trampoline_kernelINS0_14default_configENS1_36segmented_radix_sort_config_selectorIhlEEZNS1_25segmented_radix_sort_implIS3_Lb0EPKhPhPKlPlN2at6native12_GLOBAL__N_18offset_tEEE10hipError_tPvRmT1_PNSt15iterator_traitsISK_E10value_typeET2_T3_PNSL_ISQ_E10value_typeET4_jRbjT5_SW_jjP12ihipStream_tbEUlT_E0_NS1_11comp_targetILNS1_3genE2ELNS1_11target_archE906ELNS1_3gpuE6ELNS1_3repE0EEENS1_60segmented_radix_sort_warp_sort_medium_config_static_selectorELNS0_4arch9wavefront6targetE1EEEvSK_,"axG",@progbits,_ZN7rocprim17ROCPRIM_400000_NS6detail17trampoline_kernelINS0_14default_configENS1_36segmented_radix_sort_config_selectorIhlEEZNS1_25segmented_radix_sort_implIS3_Lb0EPKhPhPKlPlN2at6native12_GLOBAL__N_18offset_tEEE10hipError_tPvRmT1_PNSt15iterator_traitsISK_E10value_typeET2_T3_PNSL_ISQ_E10value_typeET4_jRbjT5_SW_jjP12ihipStream_tbEUlT_E0_NS1_11comp_targetILNS1_3genE2ELNS1_11target_archE906ELNS1_3gpuE6ELNS1_3repE0EEENS1_60segmented_radix_sort_warp_sort_medium_config_static_selectorELNS0_4arch9wavefront6targetE1EEEvSK_,comdat
.Lfunc_end201:
	.size	_ZN7rocprim17ROCPRIM_400000_NS6detail17trampoline_kernelINS0_14default_configENS1_36segmented_radix_sort_config_selectorIhlEEZNS1_25segmented_radix_sort_implIS3_Lb0EPKhPhPKlPlN2at6native12_GLOBAL__N_18offset_tEEE10hipError_tPvRmT1_PNSt15iterator_traitsISK_E10value_typeET2_T3_PNSL_ISQ_E10value_typeET4_jRbjT5_SW_jjP12ihipStream_tbEUlT_E0_NS1_11comp_targetILNS1_3genE2ELNS1_11target_archE906ELNS1_3gpuE6ELNS1_3repE0EEENS1_60segmented_radix_sort_warp_sort_medium_config_static_selectorELNS0_4arch9wavefront6targetE1EEEvSK_, .Lfunc_end201-_ZN7rocprim17ROCPRIM_400000_NS6detail17trampoline_kernelINS0_14default_configENS1_36segmented_radix_sort_config_selectorIhlEEZNS1_25segmented_radix_sort_implIS3_Lb0EPKhPhPKlPlN2at6native12_GLOBAL__N_18offset_tEEE10hipError_tPvRmT1_PNSt15iterator_traitsISK_E10value_typeET2_T3_PNSL_ISQ_E10value_typeET4_jRbjT5_SW_jjP12ihipStream_tbEUlT_E0_NS1_11comp_targetILNS1_3genE2ELNS1_11target_archE906ELNS1_3gpuE6ELNS1_3repE0EEENS1_60segmented_radix_sort_warp_sort_medium_config_static_selectorELNS0_4arch9wavefront6targetE1EEEvSK_
                                        ; -- End function
	.section	.AMDGPU.csdata,"",@progbits
; Kernel info:
; codeLenInByte = 0
; NumSgprs: 4
; NumVgprs: 0
; NumAgprs: 0
; TotalNumVgprs: 0
; ScratchSize: 0
; MemoryBound: 0
; FloatMode: 240
; IeeeMode: 1
; LDSByteSize: 0 bytes/workgroup (compile time only)
; SGPRBlocks: 0
; VGPRBlocks: 0
; NumSGPRsForWavesPerEU: 4
; NumVGPRsForWavesPerEU: 1
; AccumOffset: 4
; Occupancy: 8
; WaveLimiterHint : 0
; COMPUTE_PGM_RSRC2:SCRATCH_EN: 0
; COMPUTE_PGM_RSRC2:USER_SGPR: 6
; COMPUTE_PGM_RSRC2:TRAP_HANDLER: 0
; COMPUTE_PGM_RSRC2:TGID_X_EN: 1
; COMPUTE_PGM_RSRC2:TGID_Y_EN: 0
; COMPUTE_PGM_RSRC2:TGID_Z_EN: 0
; COMPUTE_PGM_RSRC2:TIDIG_COMP_CNT: 0
; COMPUTE_PGM_RSRC3_GFX90A:ACCUM_OFFSET: 0
; COMPUTE_PGM_RSRC3_GFX90A:TG_SPLIT: 0
	.section	.text._ZN7rocprim17ROCPRIM_400000_NS6detail17trampoline_kernelINS0_14default_configENS1_36segmented_radix_sort_config_selectorIhlEEZNS1_25segmented_radix_sort_implIS3_Lb0EPKhPhPKlPlN2at6native12_GLOBAL__N_18offset_tEEE10hipError_tPvRmT1_PNSt15iterator_traitsISK_E10value_typeET2_T3_PNSL_ISQ_E10value_typeET4_jRbjT5_SW_jjP12ihipStream_tbEUlT_E0_NS1_11comp_targetILNS1_3genE10ELNS1_11target_archE1201ELNS1_3gpuE5ELNS1_3repE0EEENS1_60segmented_radix_sort_warp_sort_medium_config_static_selectorELNS0_4arch9wavefront6targetE1EEEvSK_,"axG",@progbits,_ZN7rocprim17ROCPRIM_400000_NS6detail17trampoline_kernelINS0_14default_configENS1_36segmented_radix_sort_config_selectorIhlEEZNS1_25segmented_radix_sort_implIS3_Lb0EPKhPhPKlPlN2at6native12_GLOBAL__N_18offset_tEEE10hipError_tPvRmT1_PNSt15iterator_traitsISK_E10value_typeET2_T3_PNSL_ISQ_E10value_typeET4_jRbjT5_SW_jjP12ihipStream_tbEUlT_E0_NS1_11comp_targetILNS1_3genE10ELNS1_11target_archE1201ELNS1_3gpuE5ELNS1_3repE0EEENS1_60segmented_radix_sort_warp_sort_medium_config_static_selectorELNS0_4arch9wavefront6targetE1EEEvSK_,comdat
	.globl	_ZN7rocprim17ROCPRIM_400000_NS6detail17trampoline_kernelINS0_14default_configENS1_36segmented_radix_sort_config_selectorIhlEEZNS1_25segmented_radix_sort_implIS3_Lb0EPKhPhPKlPlN2at6native12_GLOBAL__N_18offset_tEEE10hipError_tPvRmT1_PNSt15iterator_traitsISK_E10value_typeET2_T3_PNSL_ISQ_E10value_typeET4_jRbjT5_SW_jjP12ihipStream_tbEUlT_E0_NS1_11comp_targetILNS1_3genE10ELNS1_11target_archE1201ELNS1_3gpuE5ELNS1_3repE0EEENS1_60segmented_radix_sort_warp_sort_medium_config_static_selectorELNS0_4arch9wavefront6targetE1EEEvSK_ ; -- Begin function _ZN7rocprim17ROCPRIM_400000_NS6detail17trampoline_kernelINS0_14default_configENS1_36segmented_radix_sort_config_selectorIhlEEZNS1_25segmented_radix_sort_implIS3_Lb0EPKhPhPKlPlN2at6native12_GLOBAL__N_18offset_tEEE10hipError_tPvRmT1_PNSt15iterator_traitsISK_E10value_typeET2_T3_PNSL_ISQ_E10value_typeET4_jRbjT5_SW_jjP12ihipStream_tbEUlT_E0_NS1_11comp_targetILNS1_3genE10ELNS1_11target_archE1201ELNS1_3gpuE5ELNS1_3repE0EEENS1_60segmented_radix_sort_warp_sort_medium_config_static_selectorELNS0_4arch9wavefront6targetE1EEEvSK_
	.p2align	8
	.type	_ZN7rocprim17ROCPRIM_400000_NS6detail17trampoline_kernelINS0_14default_configENS1_36segmented_radix_sort_config_selectorIhlEEZNS1_25segmented_radix_sort_implIS3_Lb0EPKhPhPKlPlN2at6native12_GLOBAL__N_18offset_tEEE10hipError_tPvRmT1_PNSt15iterator_traitsISK_E10value_typeET2_T3_PNSL_ISQ_E10value_typeET4_jRbjT5_SW_jjP12ihipStream_tbEUlT_E0_NS1_11comp_targetILNS1_3genE10ELNS1_11target_archE1201ELNS1_3gpuE5ELNS1_3repE0EEENS1_60segmented_radix_sort_warp_sort_medium_config_static_selectorELNS0_4arch9wavefront6targetE1EEEvSK_,@function
_ZN7rocprim17ROCPRIM_400000_NS6detail17trampoline_kernelINS0_14default_configENS1_36segmented_radix_sort_config_selectorIhlEEZNS1_25segmented_radix_sort_implIS3_Lb0EPKhPhPKlPlN2at6native12_GLOBAL__N_18offset_tEEE10hipError_tPvRmT1_PNSt15iterator_traitsISK_E10value_typeET2_T3_PNSL_ISQ_E10value_typeET4_jRbjT5_SW_jjP12ihipStream_tbEUlT_E0_NS1_11comp_targetILNS1_3genE10ELNS1_11target_archE1201ELNS1_3gpuE5ELNS1_3repE0EEENS1_60segmented_radix_sort_warp_sort_medium_config_static_selectorELNS0_4arch9wavefront6targetE1EEEvSK_: ; @_ZN7rocprim17ROCPRIM_400000_NS6detail17trampoline_kernelINS0_14default_configENS1_36segmented_radix_sort_config_selectorIhlEEZNS1_25segmented_radix_sort_implIS3_Lb0EPKhPhPKlPlN2at6native12_GLOBAL__N_18offset_tEEE10hipError_tPvRmT1_PNSt15iterator_traitsISK_E10value_typeET2_T3_PNSL_ISQ_E10value_typeET4_jRbjT5_SW_jjP12ihipStream_tbEUlT_E0_NS1_11comp_targetILNS1_3genE10ELNS1_11target_archE1201ELNS1_3gpuE5ELNS1_3repE0EEENS1_60segmented_radix_sort_warp_sort_medium_config_static_selectorELNS0_4arch9wavefront6targetE1EEEvSK_
; %bb.0:
	.section	.rodata,"a",@progbits
	.p2align	6, 0x0
	.amdhsa_kernel _ZN7rocprim17ROCPRIM_400000_NS6detail17trampoline_kernelINS0_14default_configENS1_36segmented_radix_sort_config_selectorIhlEEZNS1_25segmented_radix_sort_implIS3_Lb0EPKhPhPKlPlN2at6native12_GLOBAL__N_18offset_tEEE10hipError_tPvRmT1_PNSt15iterator_traitsISK_E10value_typeET2_T3_PNSL_ISQ_E10value_typeET4_jRbjT5_SW_jjP12ihipStream_tbEUlT_E0_NS1_11comp_targetILNS1_3genE10ELNS1_11target_archE1201ELNS1_3gpuE5ELNS1_3repE0EEENS1_60segmented_radix_sort_warp_sort_medium_config_static_selectorELNS0_4arch9wavefront6targetE1EEEvSK_
		.amdhsa_group_segment_fixed_size 0
		.amdhsa_private_segment_fixed_size 0
		.amdhsa_kernarg_size 88
		.amdhsa_user_sgpr_count 6
		.amdhsa_user_sgpr_private_segment_buffer 1
		.amdhsa_user_sgpr_dispatch_ptr 0
		.amdhsa_user_sgpr_queue_ptr 0
		.amdhsa_user_sgpr_kernarg_segment_ptr 1
		.amdhsa_user_sgpr_dispatch_id 0
		.amdhsa_user_sgpr_flat_scratch_init 0
		.amdhsa_user_sgpr_kernarg_preload_length 0
		.amdhsa_user_sgpr_kernarg_preload_offset 0
		.amdhsa_user_sgpr_private_segment_size 0
		.amdhsa_uses_dynamic_stack 0
		.amdhsa_system_sgpr_private_segment_wavefront_offset 0
		.amdhsa_system_sgpr_workgroup_id_x 1
		.amdhsa_system_sgpr_workgroup_id_y 0
		.amdhsa_system_sgpr_workgroup_id_z 0
		.amdhsa_system_sgpr_workgroup_info 0
		.amdhsa_system_vgpr_workitem_id 0
		.amdhsa_next_free_vgpr 1
		.amdhsa_next_free_sgpr 0
		.amdhsa_accum_offset 4
		.amdhsa_reserve_vcc 0
		.amdhsa_reserve_flat_scratch 0
		.amdhsa_float_round_mode_32 0
		.amdhsa_float_round_mode_16_64 0
		.amdhsa_float_denorm_mode_32 3
		.amdhsa_float_denorm_mode_16_64 3
		.amdhsa_dx10_clamp 1
		.amdhsa_ieee_mode 1
		.amdhsa_fp16_overflow 0
		.amdhsa_tg_split 0
		.amdhsa_exception_fp_ieee_invalid_op 0
		.amdhsa_exception_fp_denorm_src 0
		.amdhsa_exception_fp_ieee_div_zero 0
		.amdhsa_exception_fp_ieee_overflow 0
		.amdhsa_exception_fp_ieee_underflow 0
		.amdhsa_exception_fp_ieee_inexact 0
		.amdhsa_exception_int_div_zero 0
	.end_amdhsa_kernel
	.section	.text._ZN7rocprim17ROCPRIM_400000_NS6detail17trampoline_kernelINS0_14default_configENS1_36segmented_radix_sort_config_selectorIhlEEZNS1_25segmented_radix_sort_implIS3_Lb0EPKhPhPKlPlN2at6native12_GLOBAL__N_18offset_tEEE10hipError_tPvRmT1_PNSt15iterator_traitsISK_E10value_typeET2_T3_PNSL_ISQ_E10value_typeET4_jRbjT5_SW_jjP12ihipStream_tbEUlT_E0_NS1_11comp_targetILNS1_3genE10ELNS1_11target_archE1201ELNS1_3gpuE5ELNS1_3repE0EEENS1_60segmented_radix_sort_warp_sort_medium_config_static_selectorELNS0_4arch9wavefront6targetE1EEEvSK_,"axG",@progbits,_ZN7rocprim17ROCPRIM_400000_NS6detail17trampoline_kernelINS0_14default_configENS1_36segmented_radix_sort_config_selectorIhlEEZNS1_25segmented_radix_sort_implIS3_Lb0EPKhPhPKlPlN2at6native12_GLOBAL__N_18offset_tEEE10hipError_tPvRmT1_PNSt15iterator_traitsISK_E10value_typeET2_T3_PNSL_ISQ_E10value_typeET4_jRbjT5_SW_jjP12ihipStream_tbEUlT_E0_NS1_11comp_targetILNS1_3genE10ELNS1_11target_archE1201ELNS1_3gpuE5ELNS1_3repE0EEENS1_60segmented_radix_sort_warp_sort_medium_config_static_selectorELNS0_4arch9wavefront6targetE1EEEvSK_,comdat
.Lfunc_end202:
	.size	_ZN7rocprim17ROCPRIM_400000_NS6detail17trampoline_kernelINS0_14default_configENS1_36segmented_radix_sort_config_selectorIhlEEZNS1_25segmented_radix_sort_implIS3_Lb0EPKhPhPKlPlN2at6native12_GLOBAL__N_18offset_tEEE10hipError_tPvRmT1_PNSt15iterator_traitsISK_E10value_typeET2_T3_PNSL_ISQ_E10value_typeET4_jRbjT5_SW_jjP12ihipStream_tbEUlT_E0_NS1_11comp_targetILNS1_3genE10ELNS1_11target_archE1201ELNS1_3gpuE5ELNS1_3repE0EEENS1_60segmented_radix_sort_warp_sort_medium_config_static_selectorELNS0_4arch9wavefront6targetE1EEEvSK_, .Lfunc_end202-_ZN7rocprim17ROCPRIM_400000_NS6detail17trampoline_kernelINS0_14default_configENS1_36segmented_radix_sort_config_selectorIhlEEZNS1_25segmented_radix_sort_implIS3_Lb0EPKhPhPKlPlN2at6native12_GLOBAL__N_18offset_tEEE10hipError_tPvRmT1_PNSt15iterator_traitsISK_E10value_typeET2_T3_PNSL_ISQ_E10value_typeET4_jRbjT5_SW_jjP12ihipStream_tbEUlT_E0_NS1_11comp_targetILNS1_3genE10ELNS1_11target_archE1201ELNS1_3gpuE5ELNS1_3repE0EEENS1_60segmented_radix_sort_warp_sort_medium_config_static_selectorELNS0_4arch9wavefront6targetE1EEEvSK_
                                        ; -- End function
	.section	.AMDGPU.csdata,"",@progbits
; Kernel info:
; codeLenInByte = 0
; NumSgprs: 4
; NumVgprs: 0
; NumAgprs: 0
; TotalNumVgprs: 0
; ScratchSize: 0
; MemoryBound: 0
; FloatMode: 240
; IeeeMode: 1
; LDSByteSize: 0 bytes/workgroup (compile time only)
; SGPRBlocks: 0
; VGPRBlocks: 0
; NumSGPRsForWavesPerEU: 4
; NumVGPRsForWavesPerEU: 1
; AccumOffset: 4
; Occupancy: 8
; WaveLimiterHint : 0
; COMPUTE_PGM_RSRC2:SCRATCH_EN: 0
; COMPUTE_PGM_RSRC2:USER_SGPR: 6
; COMPUTE_PGM_RSRC2:TRAP_HANDLER: 0
; COMPUTE_PGM_RSRC2:TGID_X_EN: 1
; COMPUTE_PGM_RSRC2:TGID_Y_EN: 0
; COMPUTE_PGM_RSRC2:TGID_Z_EN: 0
; COMPUTE_PGM_RSRC2:TIDIG_COMP_CNT: 0
; COMPUTE_PGM_RSRC3_GFX90A:ACCUM_OFFSET: 0
; COMPUTE_PGM_RSRC3_GFX90A:TG_SPLIT: 0
	.section	.text._ZN7rocprim17ROCPRIM_400000_NS6detail17trampoline_kernelINS0_14default_configENS1_36segmented_radix_sort_config_selectorIhlEEZNS1_25segmented_radix_sort_implIS3_Lb0EPKhPhPKlPlN2at6native12_GLOBAL__N_18offset_tEEE10hipError_tPvRmT1_PNSt15iterator_traitsISK_E10value_typeET2_T3_PNSL_ISQ_E10value_typeET4_jRbjT5_SW_jjP12ihipStream_tbEUlT_E0_NS1_11comp_targetILNS1_3genE10ELNS1_11target_archE1200ELNS1_3gpuE4ELNS1_3repE0EEENS1_60segmented_radix_sort_warp_sort_medium_config_static_selectorELNS0_4arch9wavefront6targetE1EEEvSK_,"axG",@progbits,_ZN7rocprim17ROCPRIM_400000_NS6detail17trampoline_kernelINS0_14default_configENS1_36segmented_radix_sort_config_selectorIhlEEZNS1_25segmented_radix_sort_implIS3_Lb0EPKhPhPKlPlN2at6native12_GLOBAL__N_18offset_tEEE10hipError_tPvRmT1_PNSt15iterator_traitsISK_E10value_typeET2_T3_PNSL_ISQ_E10value_typeET4_jRbjT5_SW_jjP12ihipStream_tbEUlT_E0_NS1_11comp_targetILNS1_3genE10ELNS1_11target_archE1200ELNS1_3gpuE4ELNS1_3repE0EEENS1_60segmented_radix_sort_warp_sort_medium_config_static_selectorELNS0_4arch9wavefront6targetE1EEEvSK_,comdat
	.globl	_ZN7rocprim17ROCPRIM_400000_NS6detail17trampoline_kernelINS0_14default_configENS1_36segmented_radix_sort_config_selectorIhlEEZNS1_25segmented_radix_sort_implIS3_Lb0EPKhPhPKlPlN2at6native12_GLOBAL__N_18offset_tEEE10hipError_tPvRmT1_PNSt15iterator_traitsISK_E10value_typeET2_T3_PNSL_ISQ_E10value_typeET4_jRbjT5_SW_jjP12ihipStream_tbEUlT_E0_NS1_11comp_targetILNS1_3genE10ELNS1_11target_archE1200ELNS1_3gpuE4ELNS1_3repE0EEENS1_60segmented_radix_sort_warp_sort_medium_config_static_selectorELNS0_4arch9wavefront6targetE1EEEvSK_ ; -- Begin function _ZN7rocprim17ROCPRIM_400000_NS6detail17trampoline_kernelINS0_14default_configENS1_36segmented_radix_sort_config_selectorIhlEEZNS1_25segmented_radix_sort_implIS3_Lb0EPKhPhPKlPlN2at6native12_GLOBAL__N_18offset_tEEE10hipError_tPvRmT1_PNSt15iterator_traitsISK_E10value_typeET2_T3_PNSL_ISQ_E10value_typeET4_jRbjT5_SW_jjP12ihipStream_tbEUlT_E0_NS1_11comp_targetILNS1_3genE10ELNS1_11target_archE1200ELNS1_3gpuE4ELNS1_3repE0EEENS1_60segmented_radix_sort_warp_sort_medium_config_static_selectorELNS0_4arch9wavefront6targetE1EEEvSK_
	.p2align	8
	.type	_ZN7rocprim17ROCPRIM_400000_NS6detail17trampoline_kernelINS0_14default_configENS1_36segmented_radix_sort_config_selectorIhlEEZNS1_25segmented_radix_sort_implIS3_Lb0EPKhPhPKlPlN2at6native12_GLOBAL__N_18offset_tEEE10hipError_tPvRmT1_PNSt15iterator_traitsISK_E10value_typeET2_T3_PNSL_ISQ_E10value_typeET4_jRbjT5_SW_jjP12ihipStream_tbEUlT_E0_NS1_11comp_targetILNS1_3genE10ELNS1_11target_archE1200ELNS1_3gpuE4ELNS1_3repE0EEENS1_60segmented_radix_sort_warp_sort_medium_config_static_selectorELNS0_4arch9wavefront6targetE1EEEvSK_,@function
_ZN7rocprim17ROCPRIM_400000_NS6detail17trampoline_kernelINS0_14default_configENS1_36segmented_radix_sort_config_selectorIhlEEZNS1_25segmented_radix_sort_implIS3_Lb0EPKhPhPKlPlN2at6native12_GLOBAL__N_18offset_tEEE10hipError_tPvRmT1_PNSt15iterator_traitsISK_E10value_typeET2_T3_PNSL_ISQ_E10value_typeET4_jRbjT5_SW_jjP12ihipStream_tbEUlT_E0_NS1_11comp_targetILNS1_3genE10ELNS1_11target_archE1200ELNS1_3gpuE4ELNS1_3repE0EEENS1_60segmented_radix_sort_warp_sort_medium_config_static_selectorELNS0_4arch9wavefront6targetE1EEEvSK_: ; @_ZN7rocprim17ROCPRIM_400000_NS6detail17trampoline_kernelINS0_14default_configENS1_36segmented_radix_sort_config_selectorIhlEEZNS1_25segmented_radix_sort_implIS3_Lb0EPKhPhPKlPlN2at6native12_GLOBAL__N_18offset_tEEE10hipError_tPvRmT1_PNSt15iterator_traitsISK_E10value_typeET2_T3_PNSL_ISQ_E10value_typeET4_jRbjT5_SW_jjP12ihipStream_tbEUlT_E0_NS1_11comp_targetILNS1_3genE10ELNS1_11target_archE1200ELNS1_3gpuE4ELNS1_3repE0EEENS1_60segmented_radix_sort_warp_sort_medium_config_static_selectorELNS0_4arch9wavefront6targetE1EEEvSK_
; %bb.0:
	.section	.rodata,"a",@progbits
	.p2align	6, 0x0
	.amdhsa_kernel _ZN7rocprim17ROCPRIM_400000_NS6detail17trampoline_kernelINS0_14default_configENS1_36segmented_radix_sort_config_selectorIhlEEZNS1_25segmented_radix_sort_implIS3_Lb0EPKhPhPKlPlN2at6native12_GLOBAL__N_18offset_tEEE10hipError_tPvRmT1_PNSt15iterator_traitsISK_E10value_typeET2_T3_PNSL_ISQ_E10value_typeET4_jRbjT5_SW_jjP12ihipStream_tbEUlT_E0_NS1_11comp_targetILNS1_3genE10ELNS1_11target_archE1200ELNS1_3gpuE4ELNS1_3repE0EEENS1_60segmented_radix_sort_warp_sort_medium_config_static_selectorELNS0_4arch9wavefront6targetE1EEEvSK_
		.amdhsa_group_segment_fixed_size 0
		.amdhsa_private_segment_fixed_size 0
		.amdhsa_kernarg_size 88
		.amdhsa_user_sgpr_count 6
		.amdhsa_user_sgpr_private_segment_buffer 1
		.amdhsa_user_sgpr_dispatch_ptr 0
		.amdhsa_user_sgpr_queue_ptr 0
		.amdhsa_user_sgpr_kernarg_segment_ptr 1
		.amdhsa_user_sgpr_dispatch_id 0
		.amdhsa_user_sgpr_flat_scratch_init 0
		.amdhsa_user_sgpr_kernarg_preload_length 0
		.amdhsa_user_sgpr_kernarg_preload_offset 0
		.amdhsa_user_sgpr_private_segment_size 0
		.amdhsa_uses_dynamic_stack 0
		.amdhsa_system_sgpr_private_segment_wavefront_offset 0
		.amdhsa_system_sgpr_workgroup_id_x 1
		.amdhsa_system_sgpr_workgroup_id_y 0
		.amdhsa_system_sgpr_workgroup_id_z 0
		.amdhsa_system_sgpr_workgroup_info 0
		.amdhsa_system_vgpr_workitem_id 0
		.amdhsa_next_free_vgpr 1
		.amdhsa_next_free_sgpr 0
		.amdhsa_accum_offset 4
		.amdhsa_reserve_vcc 0
		.amdhsa_reserve_flat_scratch 0
		.amdhsa_float_round_mode_32 0
		.amdhsa_float_round_mode_16_64 0
		.amdhsa_float_denorm_mode_32 3
		.amdhsa_float_denorm_mode_16_64 3
		.amdhsa_dx10_clamp 1
		.amdhsa_ieee_mode 1
		.amdhsa_fp16_overflow 0
		.amdhsa_tg_split 0
		.amdhsa_exception_fp_ieee_invalid_op 0
		.amdhsa_exception_fp_denorm_src 0
		.amdhsa_exception_fp_ieee_div_zero 0
		.amdhsa_exception_fp_ieee_overflow 0
		.amdhsa_exception_fp_ieee_underflow 0
		.amdhsa_exception_fp_ieee_inexact 0
		.amdhsa_exception_int_div_zero 0
	.end_amdhsa_kernel
	.section	.text._ZN7rocprim17ROCPRIM_400000_NS6detail17trampoline_kernelINS0_14default_configENS1_36segmented_radix_sort_config_selectorIhlEEZNS1_25segmented_radix_sort_implIS3_Lb0EPKhPhPKlPlN2at6native12_GLOBAL__N_18offset_tEEE10hipError_tPvRmT1_PNSt15iterator_traitsISK_E10value_typeET2_T3_PNSL_ISQ_E10value_typeET4_jRbjT5_SW_jjP12ihipStream_tbEUlT_E0_NS1_11comp_targetILNS1_3genE10ELNS1_11target_archE1200ELNS1_3gpuE4ELNS1_3repE0EEENS1_60segmented_radix_sort_warp_sort_medium_config_static_selectorELNS0_4arch9wavefront6targetE1EEEvSK_,"axG",@progbits,_ZN7rocprim17ROCPRIM_400000_NS6detail17trampoline_kernelINS0_14default_configENS1_36segmented_radix_sort_config_selectorIhlEEZNS1_25segmented_radix_sort_implIS3_Lb0EPKhPhPKlPlN2at6native12_GLOBAL__N_18offset_tEEE10hipError_tPvRmT1_PNSt15iterator_traitsISK_E10value_typeET2_T3_PNSL_ISQ_E10value_typeET4_jRbjT5_SW_jjP12ihipStream_tbEUlT_E0_NS1_11comp_targetILNS1_3genE10ELNS1_11target_archE1200ELNS1_3gpuE4ELNS1_3repE0EEENS1_60segmented_radix_sort_warp_sort_medium_config_static_selectorELNS0_4arch9wavefront6targetE1EEEvSK_,comdat
.Lfunc_end203:
	.size	_ZN7rocprim17ROCPRIM_400000_NS6detail17trampoline_kernelINS0_14default_configENS1_36segmented_radix_sort_config_selectorIhlEEZNS1_25segmented_radix_sort_implIS3_Lb0EPKhPhPKlPlN2at6native12_GLOBAL__N_18offset_tEEE10hipError_tPvRmT1_PNSt15iterator_traitsISK_E10value_typeET2_T3_PNSL_ISQ_E10value_typeET4_jRbjT5_SW_jjP12ihipStream_tbEUlT_E0_NS1_11comp_targetILNS1_3genE10ELNS1_11target_archE1200ELNS1_3gpuE4ELNS1_3repE0EEENS1_60segmented_radix_sort_warp_sort_medium_config_static_selectorELNS0_4arch9wavefront6targetE1EEEvSK_, .Lfunc_end203-_ZN7rocprim17ROCPRIM_400000_NS6detail17trampoline_kernelINS0_14default_configENS1_36segmented_radix_sort_config_selectorIhlEEZNS1_25segmented_radix_sort_implIS3_Lb0EPKhPhPKlPlN2at6native12_GLOBAL__N_18offset_tEEE10hipError_tPvRmT1_PNSt15iterator_traitsISK_E10value_typeET2_T3_PNSL_ISQ_E10value_typeET4_jRbjT5_SW_jjP12ihipStream_tbEUlT_E0_NS1_11comp_targetILNS1_3genE10ELNS1_11target_archE1200ELNS1_3gpuE4ELNS1_3repE0EEENS1_60segmented_radix_sort_warp_sort_medium_config_static_selectorELNS0_4arch9wavefront6targetE1EEEvSK_
                                        ; -- End function
	.section	.AMDGPU.csdata,"",@progbits
; Kernel info:
; codeLenInByte = 0
; NumSgprs: 4
; NumVgprs: 0
; NumAgprs: 0
; TotalNumVgprs: 0
; ScratchSize: 0
; MemoryBound: 0
; FloatMode: 240
; IeeeMode: 1
; LDSByteSize: 0 bytes/workgroup (compile time only)
; SGPRBlocks: 0
; VGPRBlocks: 0
; NumSGPRsForWavesPerEU: 4
; NumVGPRsForWavesPerEU: 1
; AccumOffset: 4
; Occupancy: 8
; WaveLimiterHint : 0
; COMPUTE_PGM_RSRC2:SCRATCH_EN: 0
; COMPUTE_PGM_RSRC2:USER_SGPR: 6
; COMPUTE_PGM_RSRC2:TRAP_HANDLER: 0
; COMPUTE_PGM_RSRC2:TGID_X_EN: 1
; COMPUTE_PGM_RSRC2:TGID_Y_EN: 0
; COMPUTE_PGM_RSRC2:TGID_Z_EN: 0
; COMPUTE_PGM_RSRC2:TIDIG_COMP_CNT: 0
; COMPUTE_PGM_RSRC3_GFX90A:ACCUM_OFFSET: 0
; COMPUTE_PGM_RSRC3_GFX90A:TG_SPLIT: 0
	.section	.text._ZN7rocprim17ROCPRIM_400000_NS6detail17trampoline_kernelINS0_14default_configENS1_36segmented_radix_sort_config_selectorIhlEEZNS1_25segmented_radix_sort_implIS3_Lb0EPKhPhPKlPlN2at6native12_GLOBAL__N_18offset_tEEE10hipError_tPvRmT1_PNSt15iterator_traitsISK_E10value_typeET2_T3_PNSL_ISQ_E10value_typeET4_jRbjT5_SW_jjP12ihipStream_tbEUlT_E0_NS1_11comp_targetILNS1_3genE9ELNS1_11target_archE1100ELNS1_3gpuE3ELNS1_3repE0EEENS1_60segmented_radix_sort_warp_sort_medium_config_static_selectorELNS0_4arch9wavefront6targetE1EEEvSK_,"axG",@progbits,_ZN7rocprim17ROCPRIM_400000_NS6detail17trampoline_kernelINS0_14default_configENS1_36segmented_radix_sort_config_selectorIhlEEZNS1_25segmented_radix_sort_implIS3_Lb0EPKhPhPKlPlN2at6native12_GLOBAL__N_18offset_tEEE10hipError_tPvRmT1_PNSt15iterator_traitsISK_E10value_typeET2_T3_PNSL_ISQ_E10value_typeET4_jRbjT5_SW_jjP12ihipStream_tbEUlT_E0_NS1_11comp_targetILNS1_3genE9ELNS1_11target_archE1100ELNS1_3gpuE3ELNS1_3repE0EEENS1_60segmented_radix_sort_warp_sort_medium_config_static_selectorELNS0_4arch9wavefront6targetE1EEEvSK_,comdat
	.globl	_ZN7rocprim17ROCPRIM_400000_NS6detail17trampoline_kernelINS0_14default_configENS1_36segmented_radix_sort_config_selectorIhlEEZNS1_25segmented_radix_sort_implIS3_Lb0EPKhPhPKlPlN2at6native12_GLOBAL__N_18offset_tEEE10hipError_tPvRmT1_PNSt15iterator_traitsISK_E10value_typeET2_T3_PNSL_ISQ_E10value_typeET4_jRbjT5_SW_jjP12ihipStream_tbEUlT_E0_NS1_11comp_targetILNS1_3genE9ELNS1_11target_archE1100ELNS1_3gpuE3ELNS1_3repE0EEENS1_60segmented_radix_sort_warp_sort_medium_config_static_selectorELNS0_4arch9wavefront6targetE1EEEvSK_ ; -- Begin function _ZN7rocprim17ROCPRIM_400000_NS6detail17trampoline_kernelINS0_14default_configENS1_36segmented_radix_sort_config_selectorIhlEEZNS1_25segmented_radix_sort_implIS3_Lb0EPKhPhPKlPlN2at6native12_GLOBAL__N_18offset_tEEE10hipError_tPvRmT1_PNSt15iterator_traitsISK_E10value_typeET2_T3_PNSL_ISQ_E10value_typeET4_jRbjT5_SW_jjP12ihipStream_tbEUlT_E0_NS1_11comp_targetILNS1_3genE9ELNS1_11target_archE1100ELNS1_3gpuE3ELNS1_3repE0EEENS1_60segmented_radix_sort_warp_sort_medium_config_static_selectorELNS0_4arch9wavefront6targetE1EEEvSK_
	.p2align	8
	.type	_ZN7rocprim17ROCPRIM_400000_NS6detail17trampoline_kernelINS0_14default_configENS1_36segmented_radix_sort_config_selectorIhlEEZNS1_25segmented_radix_sort_implIS3_Lb0EPKhPhPKlPlN2at6native12_GLOBAL__N_18offset_tEEE10hipError_tPvRmT1_PNSt15iterator_traitsISK_E10value_typeET2_T3_PNSL_ISQ_E10value_typeET4_jRbjT5_SW_jjP12ihipStream_tbEUlT_E0_NS1_11comp_targetILNS1_3genE9ELNS1_11target_archE1100ELNS1_3gpuE3ELNS1_3repE0EEENS1_60segmented_radix_sort_warp_sort_medium_config_static_selectorELNS0_4arch9wavefront6targetE1EEEvSK_,@function
_ZN7rocprim17ROCPRIM_400000_NS6detail17trampoline_kernelINS0_14default_configENS1_36segmented_radix_sort_config_selectorIhlEEZNS1_25segmented_radix_sort_implIS3_Lb0EPKhPhPKlPlN2at6native12_GLOBAL__N_18offset_tEEE10hipError_tPvRmT1_PNSt15iterator_traitsISK_E10value_typeET2_T3_PNSL_ISQ_E10value_typeET4_jRbjT5_SW_jjP12ihipStream_tbEUlT_E0_NS1_11comp_targetILNS1_3genE9ELNS1_11target_archE1100ELNS1_3gpuE3ELNS1_3repE0EEENS1_60segmented_radix_sort_warp_sort_medium_config_static_selectorELNS0_4arch9wavefront6targetE1EEEvSK_: ; @_ZN7rocprim17ROCPRIM_400000_NS6detail17trampoline_kernelINS0_14default_configENS1_36segmented_radix_sort_config_selectorIhlEEZNS1_25segmented_radix_sort_implIS3_Lb0EPKhPhPKlPlN2at6native12_GLOBAL__N_18offset_tEEE10hipError_tPvRmT1_PNSt15iterator_traitsISK_E10value_typeET2_T3_PNSL_ISQ_E10value_typeET4_jRbjT5_SW_jjP12ihipStream_tbEUlT_E0_NS1_11comp_targetILNS1_3genE9ELNS1_11target_archE1100ELNS1_3gpuE3ELNS1_3repE0EEENS1_60segmented_radix_sort_warp_sort_medium_config_static_selectorELNS0_4arch9wavefront6targetE1EEEvSK_
; %bb.0:
	.section	.rodata,"a",@progbits
	.p2align	6, 0x0
	.amdhsa_kernel _ZN7rocprim17ROCPRIM_400000_NS6detail17trampoline_kernelINS0_14default_configENS1_36segmented_radix_sort_config_selectorIhlEEZNS1_25segmented_radix_sort_implIS3_Lb0EPKhPhPKlPlN2at6native12_GLOBAL__N_18offset_tEEE10hipError_tPvRmT1_PNSt15iterator_traitsISK_E10value_typeET2_T3_PNSL_ISQ_E10value_typeET4_jRbjT5_SW_jjP12ihipStream_tbEUlT_E0_NS1_11comp_targetILNS1_3genE9ELNS1_11target_archE1100ELNS1_3gpuE3ELNS1_3repE0EEENS1_60segmented_radix_sort_warp_sort_medium_config_static_selectorELNS0_4arch9wavefront6targetE1EEEvSK_
		.amdhsa_group_segment_fixed_size 0
		.amdhsa_private_segment_fixed_size 0
		.amdhsa_kernarg_size 88
		.amdhsa_user_sgpr_count 6
		.amdhsa_user_sgpr_private_segment_buffer 1
		.amdhsa_user_sgpr_dispatch_ptr 0
		.amdhsa_user_sgpr_queue_ptr 0
		.amdhsa_user_sgpr_kernarg_segment_ptr 1
		.amdhsa_user_sgpr_dispatch_id 0
		.amdhsa_user_sgpr_flat_scratch_init 0
		.amdhsa_user_sgpr_kernarg_preload_length 0
		.amdhsa_user_sgpr_kernarg_preload_offset 0
		.amdhsa_user_sgpr_private_segment_size 0
		.amdhsa_uses_dynamic_stack 0
		.amdhsa_system_sgpr_private_segment_wavefront_offset 0
		.amdhsa_system_sgpr_workgroup_id_x 1
		.amdhsa_system_sgpr_workgroup_id_y 0
		.amdhsa_system_sgpr_workgroup_id_z 0
		.amdhsa_system_sgpr_workgroup_info 0
		.amdhsa_system_vgpr_workitem_id 0
		.amdhsa_next_free_vgpr 1
		.amdhsa_next_free_sgpr 0
		.amdhsa_accum_offset 4
		.amdhsa_reserve_vcc 0
		.amdhsa_reserve_flat_scratch 0
		.amdhsa_float_round_mode_32 0
		.amdhsa_float_round_mode_16_64 0
		.amdhsa_float_denorm_mode_32 3
		.amdhsa_float_denorm_mode_16_64 3
		.amdhsa_dx10_clamp 1
		.amdhsa_ieee_mode 1
		.amdhsa_fp16_overflow 0
		.amdhsa_tg_split 0
		.amdhsa_exception_fp_ieee_invalid_op 0
		.amdhsa_exception_fp_denorm_src 0
		.amdhsa_exception_fp_ieee_div_zero 0
		.amdhsa_exception_fp_ieee_overflow 0
		.amdhsa_exception_fp_ieee_underflow 0
		.amdhsa_exception_fp_ieee_inexact 0
		.amdhsa_exception_int_div_zero 0
	.end_amdhsa_kernel
	.section	.text._ZN7rocprim17ROCPRIM_400000_NS6detail17trampoline_kernelINS0_14default_configENS1_36segmented_radix_sort_config_selectorIhlEEZNS1_25segmented_radix_sort_implIS3_Lb0EPKhPhPKlPlN2at6native12_GLOBAL__N_18offset_tEEE10hipError_tPvRmT1_PNSt15iterator_traitsISK_E10value_typeET2_T3_PNSL_ISQ_E10value_typeET4_jRbjT5_SW_jjP12ihipStream_tbEUlT_E0_NS1_11comp_targetILNS1_3genE9ELNS1_11target_archE1100ELNS1_3gpuE3ELNS1_3repE0EEENS1_60segmented_radix_sort_warp_sort_medium_config_static_selectorELNS0_4arch9wavefront6targetE1EEEvSK_,"axG",@progbits,_ZN7rocprim17ROCPRIM_400000_NS6detail17trampoline_kernelINS0_14default_configENS1_36segmented_radix_sort_config_selectorIhlEEZNS1_25segmented_radix_sort_implIS3_Lb0EPKhPhPKlPlN2at6native12_GLOBAL__N_18offset_tEEE10hipError_tPvRmT1_PNSt15iterator_traitsISK_E10value_typeET2_T3_PNSL_ISQ_E10value_typeET4_jRbjT5_SW_jjP12ihipStream_tbEUlT_E0_NS1_11comp_targetILNS1_3genE9ELNS1_11target_archE1100ELNS1_3gpuE3ELNS1_3repE0EEENS1_60segmented_radix_sort_warp_sort_medium_config_static_selectorELNS0_4arch9wavefront6targetE1EEEvSK_,comdat
.Lfunc_end204:
	.size	_ZN7rocprim17ROCPRIM_400000_NS6detail17trampoline_kernelINS0_14default_configENS1_36segmented_radix_sort_config_selectorIhlEEZNS1_25segmented_radix_sort_implIS3_Lb0EPKhPhPKlPlN2at6native12_GLOBAL__N_18offset_tEEE10hipError_tPvRmT1_PNSt15iterator_traitsISK_E10value_typeET2_T3_PNSL_ISQ_E10value_typeET4_jRbjT5_SW_jjP12ihipStream_tbEUlT_E0_NS1_11comp_targetILNS1_3genE9ELNS1_11target_archE1100ELNS1_3gpuE3ELNS1_3repE0EEENS1_60segmented_radix_sort_warp_sort_medium_config_static_selectorELNS0_4arch9wavefront6targetE1EEEvSK_, .Lfunc_end204-_ZN7rocprim17ROCPRIM_400000_NS6detail17trampoline_kernelINS0_14default_configENS1_36segmented_radix_sort_config_selectorIhlEEZNS1_25segmented_radix_sort_implIS3_Lb0EPKhPhPKlPlN2at6native12_GLOBAL__N_18offset_tEEE10hipError_tPvRmT1_PNSt15iterator_traitsISK_E10value_typeET2_T3_PNSL_ISQ_E10value_typeET4_jRbjT5_SW_jjP12ihipStream_tbEUlT_E0_NS1_11comp_targetILNS1_3genE9ELNS1_11target_archE1100ELNS1_3gpuE3ELNS1_3repE0EEENS1_60segmented_radix_sort_warp_sort_medium_config_static_selectorELNS0_4arch9wavefront6targetE1EEEvSK_
                                        ; -- End function
	.section	.AMDGPU.csdata,"",@progbits
; Kernel info:
; codeLenInByte = 0
; NumSgprs: 4
; NumVgprs: 0
; NumAgprs: 0
; TotalNumVgprs: 0
; ScratchSize: 0
; MemoryBound: 0
; FloatMode: 240
; IeeeMode: 1
; LDSByteSize: 0 bytes/workgroup (compile time only)
; SGPRBlocks: 0
; VGPRBlocks: 0
; NumSGPRsForWavesPerEU: 4
; NumVGPRsForWavesPerEU: 1
; AccumOffset: 4
; Occupancy: 8
; WaveLimiterHint : 0
; COMPUTE_PGM_RSRC2:SCRATCH_EN: 0
; COMPUTE_PGM_RSRC2:USER_SGPR: 6
; COMPUTE_PGM_RSRC2:TRAP_HANDLER: 0
; COMPUTE_PGM_RSRC2:TGID_X_EN: 1
; COMPUTE_PGM_RSRC2:TGID_Y_EN: 0
; COMPUTE_PGM_RSRC2:TGID_Z_EN: 0
; COMPUTE_PGM_RSRC2:TIDIG_COMP_CNT: 0
; COMPUTE_PGM_RSRC3_GFX90A:ACCUM_OFFSET: 0
; COMPUTE_PGM_RSRC3_GFX90A:TG_SPLIT: 0
	.section	.text._ZN7rocprim17ROCPRIM_400000_NS6detail17trampoline_kernelINS0_14default_configENS1_36segmented_radix_sort_config_selectorIhlEEZNS1_25segmented_radix_sort_implIS3_Lb0EPKhPhPKlPlN2at6native12_GLOBAL__N_18offset_tEEE10hipError_tPvRmT1_PNSt15iterator_traitsISK_E10value_typeET2_T3_PNSL_ISQ_E10value_typeET4_jRbjT5_SW_jjP12ihipStream_tbEUlT_E0_NS1_11comp_targetILNS1_3genE8ELNS1_11target_archE1030ELNS1_3gpuE2ELNS1_3repE0EEENS1_60segmented_radix_sort_warp_sort_medium_config_static_selectorELNS0_4arch9wavefront6targetE1EEEvSK_,"axG",@progbits,_ZN7rocprim17ROCPRIM_400000_NS6detail17trampoline_kernelINS0_14default_configENS1_36segmented_radix_sort_config_selectorIhlEEZNS1_25segmented_radix_sort_implIS3_Lb0EPKhPhPKlPlN2at6native12_GLOBAL__N_18offset_tEEE10hipError_tPvRmT1_PNSt15iterator_traitsISK_E10value_typeET2_T3_PNSL_ISQ_E10value_typeET4_jRbjT5_SW_jjP12ihipStream_tbEUlT_E0_NS1_11comp_targetILNS1_3genE8ELNS1_11target_archE1030ELNS1_3gpuE2ELNS1_3repE0EEENS1_60segmented_radix_sort_warp_sort_medium_config_static_selectorELNS0_4arch9wavefront6targetE1EEEvSK_,comdat
	.globl	_ZN7rocprim17ROCPRIM_400000_NS6detail17trampoline_kernelINS0_14default_configENS1_36segmented_radix_sort_config_selectorIhlEEZNS1_25segmented_radix_sort_implIS3_Lb0EPKhPhPKlPlN2at6native12_GLOBAL__N_18offset_tEEE10hipError_tPvRmT1_PNSt15iterator_traitsISK_E10value_typeET2_T3_PNSL_ISQ_E10value_typeET4_jRbjT5_SW_jjP12ihipStream_tbEUlT_E0_NS1_11comp_targetILNS1_3genE8ELNS1_11target_archE1030ELNS1_3gpuE2ELNS1_3repE0EEENS1_60segmented_radix_sort_warp_sort_medium_config_static_selectorELNS0_4arch9wavefront6targetE1EEEvSK_ ; -- Begin function _ZN7rocprim17ROCPRIM_400000_NS6detail17trampoline_kernelINS0_14default_configENS1_36segmented_radix_sort_config_selectorIhlEEZNS1_25segmented_radix_sort_implIS3_Lb0EPKhPhPKlPlN2at6native12_GLOBAL__N_18offset_tEEE10hipError_tPvRmT1_PNSt15iterator_traitsISK_E10value_typeET2_T3_PNSL_ISQ_E10value_typeET4_jRbjT5_SW_jjP12ihipStream_tbEUlT_E0_NS1_11comp_targetILNS1_3genE8ELNS1_11target_archE1030ELNS1_3gpuE2ELNS1_3repE0EEENS1_60segmented_radix_sort_warp_sort_medium_config_static_selectorELNS0_4arch9wavefront6targetE1EEEvSK_
	.p2align	8
	.type	_ZN7rocprim17ROCPRIM_400000_NS6detail17trampoline_kernelINS0_14default_configENS1_36segmented_radix_sort_config_selectorIhlEEZNS1_25segmented_radix_sort_implIS3_Lb0EPKhPhPKlPlN2at6native12_GLOBAL__N_18offset_tEEE10hipError_tPvRmT1_PNSt15iterator_traitsISK_E10value_typeET2_T3_PNSL_ISQ_E10value_typeET4_jRbjT5_SW_jjP12ihipStream_tbEUlT_E0_NS1_11comp_targetILNS1_3genE8ELNS1_11target_archE1030ELNS1_3gpuE2ELNS1_3repE0EEENS1_60segmented_radix_sort_warp_sort_medium_config_static_selectorELNS0_4arch9wavefront6targetE1EEEvSK_,@function
_ZN7rocprim17ROCPRIM_400000_NS6detail17trampoline_kernelINS0_14default_configENS1_36segmented_radix_sort_config_selectorIhlEEZNS1_25segmented_radix_sort_implIS3_Lb0EPKhPhPKlPlN2at6native12_GLOBAL__N_18offset_tEEE10hipError_tPvRmT1_PNSt15iterator_traitsISK_E10value_typeET2_T3_PNSL_ISQ_E10value_typeET4_jRbjT5_SW_jjP12ihipStream_tbEUlT_E0_NS1_11comp_targetILNS1_3genE8ELNS1_11target_archE1030ELNS1_3gpuE2ELNS1_3repE0EEENS1_60segmented_radix_sort_warp_sort_medium_config_static_selectorELNS0_4arch9wavefront6targetE1EEEvSK_: ; @_ZN7rocprim17ROCPRIM_400000_NS6detail17trampoline_kernelINS0_14default_configENS1_36segmented_radix_sort_config_selectorIhlEEZNS1_25segmented_radix_sort_implIS3_Lb0EPKhPhPKlPlN2at6native12_GLOBAL__N_18offset_tEEE10hipError_tPvRmT1_PNSt15iterator_traitsISK_E10value_typeET2_T3_PNSL_ISQ_E10value_typeET4_jRbjT5_SW_jjP12ihipStream_tbEUlT_E0_NS1_11comp_targetILNS1_3genE8ELNS1_11target_archE1030ELNS1_3gpuE2ELNS1_3repE0EEENS1_60segmented_radix_sort_warp_sort_medium_config_static_selectorELNS0_4arch9wavefront6targetE1EEEvSK_
; %bb.0:
	.section	.rodata,"a",@progbits
	.p2align	6, 0x0
	.amdhsa_kernel _ZN7rocprim17ROCPRIM_400000_NS6detail17trampoline_kernelINS0_14default_configENS1_36segmented_radix_sort_config_selectorIhlEEZNS1_25segmented_radix_sort_implIS3_Lb0EPKhPhPKlPlN2at6native12_GLOBAL__N_18offset_tEEE10hipError_tPvRmT1_PNSt15iterator_traitsISK_E10value_typeET2_T3_PNSL_ISQ_E10value_typeET4_jRbjT5_SW_jjP12ihipStream_tbEUlT_E0_NS1_11comp_targetILNS1_3genE8ELNS1_11target_archE1030ELNS1_3gpuE2ELNS1_3repE0EEENS1_60segmented_radix_sort_warp_sort_medium_config_static_selectorELNS0_4arch9wavefront6targetE1EEEvSK_
		.amdhsa_group_segment_fixed_size 0
		.amdhsa_private_segment_fixed_size 0
		.amdhsa_kernarg_size 88
		.amdhsa_user_sgpr_count 6
		.amdhsa_user_sgpr_private_segment_buffer 1
		.amdhsa_user_sgpr_dispatch_ptr 0
		.amdhsa_user_sgpr_queue_ptr 0
		.amdhsa_user_sgpr_kernarg_segment_ptr 1
		.amdhsa_user_sgpr_dispatch_id 0
		.amdhsa_user_sgpr_flat_scratch_init 0
		.amdhsa_user_sgpr_kernarg_preload_length 0
		.amdhsa_user_sgpr_kernarg_preload_offset 0
		.amdhsa_user_sgpr_private_segment_size 0
		.amdhsa_uses_dynamic_stack 0
		.amdhsa_system_sgpr_private_segment_wavefront_offset 0
		.amdhsa_system_sgpr_workgroup_id_x 1
		.amdhsa_system_sgpr_workgroup_id_y 0
		.amdhsa_system_sgpr_workgroup_id_z 0
		.amdhsa_system_sgpr_workgroup_info 0
		.amdhsa_system_vgpr_workitem_id 0
		.amdhsa_next_free_vgpr 1
		.amdhsa_next_free_sgpr 0
		.amdhsa_accum_offset 4
		.amdhsa_reserve_vcc 0
		.amdhsa_reserve_flat_scratch 0
		.amdhsa_float_round_mode_32 0
		.amdhsa_float_round_mode_16_64 0
		.amdhsa_float_denorm_mode_32 3
		.amdhsa_float_denorm_mode_16_64 3
		.amdhsa_dx10_clamp 1
		.amdhsa_ieee_mode 1
		.amdhsa_fp16_overflow 0
		.amdhsa_tg_split 0
		.amdhsa_exception_fp_ieee_invalid_op 0
		.amdhsa_exception_fp_denorm_src 0
		.amdhsa_exception_fp_ieee_div_zero 0
		.amdhsa_exception_fp_ieee_overflow 0
		.amdhsa_exception_fp_ieee_underflow 0
		.amdhsa_exception_fp_ieee_inexact 0
		.amdhsa_exception_int_div_zero 0
	.end_amdhsa_kernel
	.section	.text._ZN7rocprim17ROCPRIM_400000_NS6detail17trampoline_kernelINS0_14default_configENS1_36segmented_radix_sort_config_selectorIhlEEZNS1_25segmented_radix_sort_implIS3_Lb0EPKhPhPKlPlN2at6native12_GLOBAL__N_18offset_tEEE10hipError_tPvRmT1_PNSt15iterator_traitsISK_E10value_typeET2_T3_PNSL_ISQ_E10value_typeET4_jRbjT5_SW_jjP12ihipStream_tbEUlT_E0_NS1_11comp_targetILNS1_3genE8ELNS1_11target_archE1030ELNS1_3gpuE2ELNS1_3repE0EEENS1_60segmented_radix_sort_warp_sort_medium_config_static_selectorELNS0_4arch9wavefront6targetE1EEEvSK_,"axG",@progbits,_ZN7rocprim17ROCPRIM_400000_NS6detail17trampoline_kernelINS0_14default_configENS1_36segmented_radix_sort_config_selectorIhlEEZNS1_25segmented_radix_sort_implIS3_Lb0EPKhPhPKlPlN2at6native12_GLOBAL__N_18offset_tEEE10hipError_tPvRmT1_PNSt15iterator_traitsISK_E10value_typeET2_T3_PNSL_ISQ_E10value_typeET4_jRbjT5_SW_jjP12ihipStream_tbEUlT_E0_NS1_11comp_targetILNS1_3genE8ELNS1_11target_archE1030ELNS1_3gpuE2ELNS1_3repE0EEENS1_60segmented_radix_sort_warp_sort_medium_config_static_selectorELNS0_4arch9wavefront6targetE1EEEvSK_,comdat
.Lfunc_end205:
	.size	_ZN7rocprim17ROCPRIM_400000_NS6detail17trampoline_kernelINS0_14default_configENS1_36segmented_radix_sort_config_selectorIhlEEZNS1_25segmented_radix_sort_implIS3_Lb0EPKhPhPKlPlN2at6native12_GLOBAL__N_18offset_tEEE10hipError_tPvRmT1_PNSt15iterator_traitsISK_E10value_typeET2_T3_PNSL_ISQ_E10value_typeET4_jRbjT5_SW_jjP12ihipStream_tbEUlT_E0_NS1_11comp_targetILNS1_3genE8ELNS1_11target_archE1030ELNS1_3gpuE2ELNS1_3repE0EEENS1_60segmented_radix_sort_warp_sort_medium_config_static_selectorELNS0_4arch9wavefront6targetE1EEEvSK_, .Lfunc_end205-_ZN7rocprim17ROCPRIM_400000_NS6detail17trampoline_kernelINS0_14default_configENS1_36segmented_radix_sort_config_selectorIhlEEZNS1_25segmented_radix_sort_implIS3_Lb0EPKhPhPKlPlN2at6native12_GLOBAL__N_18offset_tEEE10hipError_tPvRmT1_PNSt15iterator_traitsISK_E10value_typeET2_T3_PNSL_ISQ_E10value_typeET4_jRbjT5_SW_jjP12ihipStream_tbEUlT_E0_NS1_11comp_targetILNS1_3genE8ELNS1_11target_archE1030ELNS1_3gpuE2ELNS1_3repE0EEENS1_60segmented_radix_sort_warp_sort_medium_config_static_selectorELNS0_4arch9wavefront6targetE1EEEvSK_
                                        ; -- End function
	.section	.AMDGPU.csdata,"",@progbits
; Kernel info:
; codeLenInByte = 0
; NumSgprs: 4
; NumVgprs: 0
; NumAgprs: 0
; TotalNumVgprs: 0
; ScratchSize: 0
; MemoryBound: 0
; FloatMode: 240
; IeeeMode: 1
; LDSByteSize: 0 bytes/workgroup (compile time only)
; SGPRBlocks: 0
; VGPRBlocks: 0
; NumSGPRsForWavesPerEU: 4
; NumVGPRsForWavesPerEU: 1
; AccumOffset: 4
; Occupancy: 8
; WaveLimiterHint : 0
; COMPUTE_PGM_RSRC2:SCRATCH_EN: 0
; COMPUTE_PGM_RSRC2:USER_SGPR: 6
; COMPUTE_PGM_RSRC2:TRAP_HANDLER: 0
; COMPUTE_PGM_RSRC2:TGID_X_EN: 1
; COMPUTE_PGM_RSRC2:TGID_Y_EN: 0
; COMPUTE_PGM_RSRC2:TGID_Z_EN: 0
; COMPUTE_PGM_RSRC2:TIDIG_COMP_CNT: 0
; COMPUTE_PGM_RSRC3_GFX90A:ACCUM_OFFSET: 0
; COMPUTE_PGM_RSRC3_GFX90A:TG_SPLIT: 0
	.section	.text._ZN7rocprim17ROCPRIM_400000_NS6detail17trampoline_kernelINS0_14default_configENS1_36segmented_radix_sort_config_selectorIhlEEZNS1_25segmented_radix_sort_implIS3_Lb0EPKhPhPKlPlN2at6native12_GLOBAL__N_18offset_tEEE10hipError_tPvRmT1_PNSt15iterator_traitsISK_E10value_typeET2_T3_PNSL_ISQ_E10value_typeET4_jRbjT5_SW_jjP12ihipStream_tbEUlT_E1_NS1_11comp_targetILNS1_3genE0ELNS1_11target_archE4294967295ELNS1_3gpuE0ELNS1_3repE0EEENS1_59segmented_radix_sort_warp_sort_small_config_static_selectorELNS0_4arch9wavefront6targetE1EEEvSK_,"axG",@progbits,_ZN7rocprim17ROCPRIM_400000_NS6detail17trampoline_kernelINS0_14default_configENS1_36segmented_radix_sort_config_selectorIhlEEZNS1_25segmented_radix_sort_implIS3_Lb0EPKhPhPKlPlN2at6native12_GLOBAL__N_18offset_tEEE10hipError_tPvRmT1_PNSt15iterator_traitsISK_E10value_typeET2_T3_PNSL_ISQ_E10value_typeET4_jRbjT5_SW_jjP12ihipStream_tbEUlT_E1_NS1_11comp_targetILNS1_3genE0ELNS1_11target_archE4294967295ELNS1_3gpuE0ELNS1_3repE0EEENS1_59segmented_radix_sort_warp_sort_small_config_static_selectorELNS0_4arch9wavefront6targetE1EEEvSK_,comdat
	.globl	_ZN7rocprim17ROCPRIM_400000_NS6detail17trampoline_kernelINS0_14default_configENS1_36segmented_radix_sort_config_selectorIhlEEZNS1_25segmented_radix_sort_implIS3_Lb0EPKhPhPKlPlN2at6native12_GLOBAL__N_18offset_tEEE10hipError_tPvRmT1_PNSt15iterator_traitsISK_E10value_typeET2_T3_PNSL_ISQ_E10value_typeET4_jRbjT5_SW_jjP12ihipStream_tbEUlT_E1_NS1_11comp_targetILNS1_3genE0ELNS1_11target_archE4294967295ELNS1_3gpuE0ELNS1_3repE0EEENS1_59segmented_radix_sort_warp_sort_small_config_static_selectorELNS0_4arch9wavefront6targetE1EEEvSK_ ; -- Begin function _ZN7rocprim17ROCPRIM_400000_NS6detail17trampoline_kernelINS0_14default_configENS1_36segmented_radix_sort_config_selectorIhlEEZNS1_25segmented_radix_sort_implIS3_Lb0EPKhPhPKlPlN2at6native12_GLOBAL__N_18offset_tEEE10hipError_tPvRmT1_PNSt15iterator_traitsISK_E10value_typeET2_T3_PNSL_ISQ_E10value_typeET4_jRbjT5_SW_jjP12ihipStream_tbEUlT_E1_NS1_11comp_targetILNS1_3genE0ELNS1_11target_archE4294967295ELNS1_3gpuE0ELNS1_3repE0EEENS1_59segmented_radix_sort_warp_sort_small_config_static_selectorELNS0_4arch9wavefront6targetE1EEEvSK_
	.p2align	8
	.type	_ZN7rocprim17ROCPRIM_400000_NS6detail17trampoline_kernelINS0_14default_configENS1_36segmented_radix_sort_config_selectorIhlEEZNS1_25segmented_radix_sort_implIS3_Lb0EPKhPhPKlPlN2at6native12_GLOBAL__N_18offset_tEEE10hipError_tPvRmT1_PNSt15iterator_traitsISK_E10value_typeET2_T3_PNSL_ISQ_E10value_typeET4_jRbjT5_SW_jjP12ihipStream_tbEUlT_E1_NS1_11comp_targetILNS1_3genE0ELNS1_11target_archE4294967295ELNS1_3gpuE0ELNS1_3repE0EEENS1_59segmented_radix_sort_warp_sort_small_config_static_selectorELNS0_4arch9wavefront6targetE1EEEvSK_,@function
_ZN7rocprim17ROCPRIM_400000_NS6detail17trampoline_kernelINS0_14default_configENS1_36segmented_radix_sort_config_selectorIhlEEZNS1_25segmented_radix_sort_implIS3_Lb0EPKhPhPKlPlN2at6native12_GLOBAL__N_18offset_tEEE10hipError_tPvRmT1_PNSt15iterator_traitsISK_E10value_typeET2_T3_PNSL_ISQ_E10value_typeET4_jRbjT5_SW_jjP12ihipStream_tbEUlT_E1_NS1_11comp_targetILNS1_3genE0ELNS1_11target_archE4294967295ELNS1_3gpuE0ELNS1_3repE0EEENS1_59segmented_radix_sort_warp_sort_small_config_static_selectorELNS0_4arch9wavefront6targetE1EEEvSK_: ; @_ZN7rocprim17ROCPRIM_400000_NS6detail17trampoline_kernelINS0_14default_configENS1_36segmented_radix_sort_config_selectorIhlEEZNS1_25segmented_radix_sort_implIS3_Lb0EPKhPhPKlPlN2at6native12_GLOBAL__N_18offset_tEEE10hipError_tPvRmT1_PNSt15iterator_traitsISK_E10value_typeET2_T3_PNSL_ISQ_E10value_typeET4_jRbjT5_SW_jjP12ihipStream_tbEUlT_E1_NS1_11comp_targetILNS1_3genE0ELNS1_11target_archE4294967295ELNS1_3gpuE0ELNS1_3repE0EEENS1_59segmented_radix_sort_warp_sort_small_config_static_selectorELNS0_4arch9wavefront6targetE1EEEvSK_
; %bb.0:
	.section	.rodata,"a",@progbits
	.p2align	6, 0x0
	.amdhsa_kernel _ZN7rocprim17ROCPRIM_400000_NS6detail17trampoline_kernelINS0_14default_configENS1_36segmented_radix_sort_config_selectorIhlEEZNS1_25segmented_radix_sort_implIS3_Lb0EPKhPhPKlPlN2at6native12_GLOBAL__N_18offset_tEEE10hipError_tPvRmT1_PNSt15iterator_traitsISK_E10value_typeET2_T3_PNSL_ISQ_E10value_typeET4_jRbjT5_SW_jjP12ihipStream_tbEUlT_E1_NS1_11comp_targetILNS1_3genE0ELNS1_11target_archE4294967295ELNS1_3gpuE0ELNS1_3repE0EEENS1_59segmented_radix_sort_warp_sort_small_config_static_selectorELNS0_4arch9wavefront6targetE1EEEvSK_
		.amdhsa_group_segment_fixed_size 0
		.amdhsa_private_segment_fixed_size 0
		.amdhsa_kernarg_size 88
		.amdhsa_user_sgpr_count 6
		.amdhsa_user_sgpr_private_segment_buffer 1
		.amdhsa_user_sgpr_dispatch_ptr 0
		.amdhsa_user_sgpr_queue_ptr 0
		.amdhsa_user_sgpr_kernarg_segment_ptr 1
		.amdhsa_user_sgpr_dispatch_id 0
		.amdhsa_user_sgpr_flat_scratch_init 0
		.amdhsa_user_sgpr_kernarg_preload_length 0
		.amdhsa_user_sgpr_kernarg_preload_offset 0
		.amdhsa_user_sgpr_private_segment_size 0
		.amdhsa_uses_dynamic_stack 0
		.amdhsa_system_sgpr_private_segment_wavefront_offset 0
		.amdhsa_system_sgpr_workgroup_id_x 1
		.amdhsa_system_sgpr_workgroup_id_y 0
		.amdhsa_system_sgpr_workgroup_id_z 0
		.amdhsa_system_sgpr_workgroup_info 0
		.amdhsa_system_vgpr_workitem_id 0
		.amdhsa_next_free_vgpr 1
		.amdhsa_next_free_sgpr 0
		.amdhsa_accum_offset 4
		.amdhsa_reserve_vcc 0
		.amdhsa_reserve_flat_scratch 0
		.amdhsa_float_round_mode_32 0
		.amdhsa_float_round_mode_16_64 0
		.amdhsa_float_denorm_mode_32 3
		.amdhsa_float_denorm_mode_16_64 3
		.amdhsa_dx10_clamp 1
		.amdhsa_ieee_mode 1
		.amdhsa_fp16_overflow 0
		.amdhsa_tg_split 0
		.amdhsa_exception_fp_ieee_invalid_op 0
		.amdhsa_exception_fp_denorm_src 0
		.amdhsa_exception_fp_ieee_div_zero 0
		.amdhsa_exception_fp_ieee_overflow 0
		.amdhsa_exception_fp_ieee_underflow 0
		.amdhsa_exception_fp_ieee_inexact 0
		.amdhsa_exception_int_div_zero 0
	.end_amdhsa_kernel
	.section	.text._ZN7rocprim17ROCPRIM_400000_NS6detail17trampoline_kernelINS0_14default_configENS1_36segmented_radix_sort_config_selectorIhlEEZNS1_25segmented_radix_sort_implIS3_Lb0EPKhPhPKlPlN2at6native12_GLOBAL__N_18offset_tEEE10hipError_tPvRmT1_PNSt15iterator_traitsISK_E10value_typeET2_T3_PNSL_ISQ_E10value_typeET4_jRbjT5_SW_jjP12ihipStream_tbEUlT_E1_NS1_11comp_targetILNS1_3genE0ELNS1_11target_archE4294967295ELNS1_3gpuE0ELNS1_3repE0EEENS1_59segmented_radix_sort_warp_sort_small_config_static_selectorELNS0_4arch9wavefront6targetE1EEEvSK_,"axG",@progbits,_ZN7rocprim17ROCPRIM_400000_NS6detail17trampoline_kernelINS0_14default_configENS1_36segmented_radix_sort_config_selectorIhlEEZNS1_25segmented_radix_sort_implIS3_Lb0EPKhPhPKlPlN2at6native12_GLOBAL__N_18offset_tEEE10hipError_tPvRmT1_PNSt15iterator_traitsISK_E10value_typeET2_T3_PNSL_ISQ_E10value_typeET4_jRbjT5_SW_jjP12ihipStream_tbEUlT_E1_NS1_11comp_targetILNS1_3genE0ELNS1_11target_archE4294967295ELNS1_3gpuE0ELNS1_3repE0EEENS1_59segmented_radix_sort_warp_sort_small_config_static_selectorELNS0_4arch9wavefront6targetE1EEEvSK_,comdat
.Lfunc_end206:
	.size	_ZN7rocprim17ROCPRIM_400000_NS6detail17trampoline_kernelINS0_14default_configENS1_36segmented_radix_sort_config_selectorIhlEEZNS1_25segmented_radix_sort_implIS3_Lb0EPKhPhPKlPlN2at6native12_GLOBAL__N_18offset_tEEE10hipError_tPvRmT1_PNSt15iterator_traitsISK_E10value_typeET2_T3_PNSL_ISQ_E10value_typeET4_jRbjT5_SW_jjP12ihipStream_tbEUlT_E1_NS1_11comp_targetILNS1_3genE0ELNS1_11target_archE4294967295ELNS1_3gpuE0ELNS1_3repE0EEENS1_59segmented_radix_sort_warp_sort_small_config_static_selectorELNS0_4arch9wavefront6targetE1EEEvSK_, .Lfunc_end206-_ZN7rocprim17ROCPRIM_400000_NS6detail17trampoline_kernelINS0_14default_configENS1_36segmented_radix_sort_config_selectorIhlEEZNS1_25segmented_radix_sort_implIS3_Lb0EPKhPhPKlPlN2at6native12_GLOBAL__N_18offset_tEEE10hipError_tPvRmT1_PNSt15iterator_traitsISK_E10value_typeET2_T3_PNSL_ISQ_E10value_typeET4_jRbjT5_SW_jjP12ihipStream_tbEUlT_E1_NS1_11comp_targetILNS1_3genE0ELNS1_11target_archE4294967295ELNS1_3gpuE0ELNS1_3repE0EEENS1_59segmented_radix_sort_warp_sort_small_config_static_selectorELNS0_4arch9wavefront6targetE1EEEvSK_
                                        ; -- End function
	.section	.AMDGPU.csdata,"",@progbits
; Kernel info:
; codeLenInByte = 0
; NumSgprs: 4
; NumVgprs: 0
; NumAgprs: 0
; TotalNumVgprs: 0
; ScratchSize: 0
; MemoryBound: 0
; FloatMode: 240
; IeeeMode: 1
; LDSByteSize: 0 bytes/workgroup (compile time only)
; SGPRBlocks: 0
; VGPRBlocks: 0
; NumSGPRsForWavesPerEU: 4
; NumVGPRsForWavesPerEU: 1
; AccumOffset: 4
; Occupancy: 8
; WaveLimiterHint : 0
; COMPUTE_PGM_RSRC2:SCRATCH_EN: 0
; COMPUTE_PGM_RSRC2:USER_SGPR: 6
; COMPUTE_PGM_RSRC2:TRAP_HANDLER: 0
; COMPUTE_PGM_RSRC2:TGID_X_EN: 1
; COMPUTE_PGM_RSRC2:TGID_Y_EN: 0
; COMPUTE_PGM_RSRC2:TGID_Z_EN: 0
; COMPUTE_PGM_RSRC2:TIDIG_COMP_CNT: 0
; COMPUTE_PGM_RSRC3_GFX90A:ACCUM_OFFSET: 0
; COMPUTE_PGM_RSRC3_GFX90A:TG_SPLIT: 0
	.section	.text._ZN7rocprim17ROCPRIM_400000_NS6detail17trampoline_kernelINS0_14default_configENS1_36segmented_radix_sort_config_selectorIhlEEZNS1_25segmented_radix_sort_implIS3_Lb0EPKhPhPKlPlN2at6native12_GLOBAL__N_18offset_tEEE10hipError_tPvRmT1_PNSt15iterator_traitsISK_E10value_typeET2_T3_PNSL_ISQ_E10value_typeET4_jRbjT5_SW_jjP12ihipStream_tbEUlT_E1_NS1_11comp_targetILNS1_3genE5ELNS1_11target_archE942ELNS1_3gpuE9ELNS1_3repE0EEENS1_59segmented_radix_sort_warp_sort_small_config_static_selectorELNS0_4arch9wavefront6targetE1EEEvSK_,"axG",@progbits,_ZN7rocprim17ROCPRIM_400000_NS6detail17trampoline_kernelINS0_14default_configENS1_36segmented_radix_sort_config_selectorIhlEEZNS1_25segmented_radix_sort_implIS3_Lb0EPKhPhPKlPlN2at6native12_GLOBAL__N_18offset_tEEE10hipError_tPvRmT1_PNSt15iterator_traitsISK_E10value_typeET2_T3_PNSL_ISQ_E10value_typeET4_jRbjT5_SW_jjP12ihipStream_tbEUlT_E1_NS1_11comp_targetILNS1_3genE5ELNS1_11target_archE942ELNS1_3gpuE9ELNS1_3repE0EEENS1_59segmented_radix_sort_warp_sort_small_config_static_selectorELNS0_4arch9wavefront6targetE1EEEvSK_,comdat
	.globl	_ZN7rocprim17ROCPRIM_400000_NS6detail17trampoline_kernelINS0_14default_configENS1_36segmented_radix_sort_config_selectorIhlEEZNS1_25segmented_radix_sort_implIS3_Lb0EPKhPhPKlPlN2at6native12_GLOBAL__N_18offset_tEEE10hipError_tPvRmT1_PNSt15iterator_traitsISK_E10value_typeET2_T3_PNSL_ISQ_E10value_typeET4_jRbjT5_SW_jjP12ihipStream_tbEUlT_E1_NS1_11comp_targetILNS1_3genE5ELNS1_11target_archE942ELNS1_3gpuE9ELNS1_3repE0EEENS1_59segmented_radix_sort_warp_sort_small_config_static_selectorELNS0_4arch9wavefront6targetE1EEEvSK_ ; -- Begin function _ZN7rocprim17ROCPRIM_400000_NS6detail17trampoline_kernelINS0_14default_configENS1_36segmented_radix_sort_config_selectorIhlEEZNS1_25segmented_radix_sort_implIS3_Lb0EPKhPhPKlPlN2at6native12_GLOBAL__N_18offset_tEEE10hipError_tPvRmT1_PNSt15iterator_traitsISK_E10value_typeET2_T3_PNSL_ISQ_E10value_typeET4_jRbjT5_SW_jjP12ihipStream_tbEUlT_E1_NS1_11comp_targetILNS1_3genE5ELNS1_11target_archE942ELNS1_3gpuE9ELNS1_3repE0EEENS1_59segmented_radix_sort_warp_sort_small_config_static_selectorELNS0_4arch9wavefront6targetE1EEEvSK_
	.p2align	8
	.type	_ZN7rocprim17ROCPRIM_400000_NS6detail17trampoline_kernelINS0_14default_configENS1_36segmented_radix_sort_config_selectorIhlEEZNS1_25segmented_radix_sort_implIS3_Lb0EPKhPhPKlPlN2at6native12_GLOBAL__N_18offset_tEEE10hipError_tPvRmT1_PNSt15iterator_traitsISK_E10value_typeET2_T3_PNSL_ISQ_E10value_typeET4_jRbjT5_SW_jjP12ihipStream_tbEUlT_E1_NS1_11comp_targetILNS1_3genE5ELNS1_11target_archE942ELNS1_3gpuE9ELNS1_3repE0EEENS1_59segmented_radix_sort_warp_sort_small_config_static_selectorELNS0_4arch9wavefront6targetE1EEEvSK_,@function
_ZN7rocprim17ROCPRIM_400000_NS6detail17trampoline_kernelINS0_14default_configENS1_36segmented_radix_sort_config_selectorIhlEEZNS1_25segmented_radix_sort_implIS3_Lb0EPKhPhPKlPlN2at6native12_GLOBAL__N_18offset_tEEE10hipError_tPvRmT1_PNSt15iterator_traitsISK_E10value_typeET2_T3_PNSL_ISQ_E10value_typeET4_jRbjT5_SW_jjP12ihipStream_tbEUlT_E1_NS1_11comp_targetILNS1_3genE5ELNS1_11target_archE942ELNS1_3gpuE9ELNS1_3repE0EEENS1_59segmented_radix_sort_warp_sort_small_config_static_selectorELNS0_4arch9wavefront6targetE1EEEvSK_: ; @_ZN7rocprim17ROCPRIM_400000_NS6detail17trampoline_kernelINS0_14default_configENS1_36segmented_radix_sort_config_selectorIhlEEZNS1_25segmented_radix_sort_implIS3_Lb0EPKhPhPKlPlN2at6native12_GLOBAL__N_18offset_tEEE10hipError_tPvRmT1_PNSt15iterator_traitsISK_E10value_typeET2_T3_PNSL_ISQ_E10value_typeET4_jRbjT5_SW_jjP12ihipStream_tbEUlT_E1_NS1_11comp_targetILNS1_3genE5ELNS1_11target_archE942ELNS1_3gpuE9ELNS1_3repE0EEENS1_59segmented_radix_sort_warp_sort_small_config_static_selectorELNS0_4arch9wavefront6targetE1EEEvSK_
; %bb.0:
	.section	.rodata,"a",@progbits
	.p2align	6, 0x0
	.amdhsa_kernel _ZN7rocprim17ROCPRIM_400000_NS6detail17trampoline_kernelINS0_14default_configENS1_36segmented_radix_sort_config_selectorIhlEEZNS1_25segmented_radix_sort_implIS3_Lb0EPKhPhPKlPlN2at6native12_GLOBAL__N_18offset_tEEE10hipError_tPvRmT1_PNSt15iterator_traitsISK_E10value_typeET2_T3_PNSL_ISQ_E10value_typeET4_jRbjT5_SW_jjP12ihipStream_tbEUlT_E1_NS1_11comp_targetILNS1_3genE5ELNS1_11target_archE942ELNS1_3gpuE9ELNS1_3repE0EEENS1_59segmented_radix_sort_warp_sort_small_config_static_selectorELNS0_4arch9wavefront6targetE1EEEvSK_
		.amdhsa_group_segment_fixed_size 0
		.amdhsa_private_segment_fixed_size 0
		.amdhsa_kernarg_size 88
		.amdhsa_user_sgpr_count 6
		.amdhsa_user_sgpr_private_segment_buffer 1
		.amdhsa_user_sgpr_dispatch_ptr 0
		.amdhsa_user_sgpr_queue_ptr 0
		.amdhsa_user_sgpr_kernarg_segment_ptr 1
		.amdhsa_user_sgpr_dispatch_id 0
		.amdhsa_user_sgpr_flat_scratch_init 0
		.amdhsa_user_sgpr_kernarg_preload_length 0
		.amdhsa_user_sgpr_kernarg_preload_offset 0
		.amdhsa_user_sgpr_private_segment_size 0
		.amdhsa_uses_dynamic_stack 0
		.amdhsa_system_sgpr_private_segment_wavefront_offset 0
		.amdhsa_system_sgpr_workgroup_id_x 1
		.amdhsa_system_sgpr_workgroup_id_y 0
		.amdhsa_system_sgpr_workgroup_id_z 0
		.amdhsa_system_sgpr_workgroup_info 0
		.amdhsa_system_vgpr_workitem_id 0
		.amdhsa_next_free_vgpr 1
		.amdhsa_next_free_sgpr 0
		.amdhsa_accum_offset 4
		.amdhsa_reserve_vcc 0
		.amdhsa_reserve_flat_scratch 0
		.amdhsa_float_round_mode_32 0
		.amdhsa_float_round_mode_16_64 0
		.amdhsa_float_denorm_mode_32 3
		.amdhsa_float_denorm_mode_16_64 3
		.amdhsa_dx10_clamp 1
		.amdhsa_ieee_mode 1
		.amdhsa_fp16_overflow 0
		.amdhsa_tg_split 0
		.amdhsa_exception_fp_ieee_invalid_op 0
		.amdhsa_exception_fp_denorm_src 0
		.amdhsa_exception_fp_ieee_div_zero 0
		.amdhsa_exception_fp_ieee_overflow 0
		.amdhsa_exception_fp_ieee_underflow 0
		.amdhsa_exception_fp_ieee_inexact 0
		.amdhsa_exception_int_div_zero 0
	.end_amdhsa_kernel
	.section	.text._ZN7rocprim17ROCPRIM_400000_NS6detail17trampoline_kernelINS0_14default_configENS1_36segmented_radix_sort_config_selectorIhlEEZNS1_25segmented_radix_sort_implIS3_Lb0EPKhPhPKlPlN2at6native12_GLOBAL__N_18offset_tEEE10hipError_tPvRmT1_PNSt15iterator_traitsISK_E10value_typeET2_T3_PNSL_ISQ_E10value_typeET4_jRbjT5_SW_jjP12ihipStream_tbEUlT_E1_NS1_11comp_targetILNS1_3genE5ELNS1_11target_archE942ELNS1_3gpuE9ELNS1_3repE0EEENS1_59segmented_radix_sort_warp_sort_small_config_static_selectorELNS0_4arch9wavefront6targetE1EEEvSK_,"axG",@progbits,_ZN7rocprim17ROCPRIM_400000_NS6detail17trampoline_kernelINS0_14default_configENS1_36segmented_radix_sort_config_selectorIhlEEZNS1_25segmented_radix_sort_implIS3_Lb0EPKhPhPKlPlN2at6native12_GLOBAL__N_18offset_tEEE10hipError_tPvRmT1_PNSt15iterator_traitsISK_E10value_typeET2_T3_PNSL_ISQ_E10value_typeET4_jRbjT5_SW_jjP12ihipStream_tbEUlT_E1_NS1_11comp_targetILNS1_3genE5ELNS1_11target_archE942ELNS1_3gpuE9ELNS1_3repE0EEENS1_59segmented_radix_sort_warp_sort_small_config_static_selectorELNS0_4arch9wavefront6targetE1EEEvSK_,comdat
.Lfunc_end207:
	.size	_ZN7rocprim17ROCPRIM_400000_NS6detail17trampoline_kernelINS0_14default_configENS1_36segmented_radix_sort_config_selectorIhlEEZNS1_25segmented_radix_sort_implIS3_Lb0EPKhPhPKlPlN2at6native12_GLOBAL__N_18offset_tEEE10hipError_tPvRmT1_PNSt15iterator_traitsISK_E10value_typeET2_T3_PNSL_ISQ_E10value_typeET4_jRbjT5_SW_jjP12ihipStream_tbEUlT_E1_NS1_11comp_targetILNS1_3genE5ELNS1_11target_archE942ELNS1_3gpuE9ELNS1_3repE0EEENS1_59segmented_radix_sort_warp_sort_small_config_static_selectorELNS0_4arch9wavefront6targetE1EEEvSK_, .Lfunc_end207-_ZN7rocprim17ROCPRIM_400000_NS6detail17trampoline_kernelINS0_14default_configENS1_36segmented_radix_sort_config_selectorIhlEEZNS1_25segmented_radix_sort_implIS3_Lb0EPKhPhPKlPlN2at6native12_GLOBAL__N_18offset_tEEE10hipError_tPvRmT1_PNSt15iterator_traitsISK_E10value_typeET2_T3_PNSL_ISQ_E10value_typeET4_jRbjT5_SW_jjP12ihipStream_tbEUlT_E1_NS1_11comp_targetILNS1_3genE5ELNS1_11target_archE942ELNS1_3gpuE9ELNS1_3repE0EEENS1_59segmented_radix_sort_warp_sort_small_config_static_selectorELNS0_4arch9wavefront6targetE1EEEvSK_
                                        ; -- End function
	.section	.AMDGPU.csdata,"",@progbits
; Kernel info:
; codeLenInByte = 0
; NumSgprs: 4
; NumVgprs: 0
; NumAgprs: 0
; TotalNumVgprs: 0
; ScratchSize: 0
; MemoryBound: 0
; FloatMode: 240
; IeeeMode: 1
; LDSByteSize: 0 bytes/workgroup (compile time only)
; SGPRBlocks: 0
; VGPRBlocks: 0
; NumSGPRsForWavesPerEU: 4
; NumVGPRsForWavesPerEU: 1
; AccumOffset: 4
; Occupancy: 8
; WaveLimiterHint : 0
; COMPUTE_PGM_RSRC2:SCRATCH_EN: 0
; COMPUTE_PGM_RSRC2:USER_SGPR: 6
; COMPUTE_PGM_RSRC2:TRAP_HANDLER: 0
; COMPUTE_PGM_RSRC2:TGID_X_EN: 1
; COMPUTE_PGM_RSRC2:TGID_Y_EN: 0
; COMPUTE_PGM_RSRC2:TGID_Z_EN: 0
; COMPUTE_PGM_RSRC2:TIDIG_COMP_CNT: 0
; COMPUTE_PGM_RSRC3_GFX90A:ACCUM_OFFSET: 0
; COMPUTE_PGM_RSRC3_GFX90A:TG_SPLIT: 0
	.text
	.p2align	2                               ; -- Begin function _ZN7rocprim17ROCPRIM_400000_NS6detail26segmented_warp_sort_helperINS1_20WarpSortHelperConfigILj8ELj4ELj256EEEhlLi256ELb0EvE4sortIPKhPhPKlPlEEvT_T0_T1_T2_jjjjRNS5_12storage_typeE
	.type	_ZN7rocprim17ROCPRIM_400000_NS6detail26segmented_warp_sort_helperINS1_20WarpSortHelperConfigILj8ELj4ELj256EEEhlLi256ELb0EvE4sortIPKhPhPKlPlEEvT_T0_T1_T2_jjjjRNS5_12storage_typeE,@function
_ZN7rocprim17ROCPRIM_400000_NS6detail26segmented_warp_sort_helperINS1_20WarpSortHelperConfigILj8ELj4ELj256EEEhlLi256ELb0EvE4sortIPKhPhPKlPlEEvT_T0_T1_T2_jjjjRNS5_12storage_typeE: ; @_ZN7rocprim17ROCPRIM_400000_NS6detail26segmented_warp_sort_helperINS1_20WarpSortHelperConfigILj8ELj4ELj256EEEhlLi256ELb0EvE4sortIPKhPhPKlPlEEvT_T0_T1_T2_jjjjRNS5_12storage_typeE
; %bb.0:
	s_waitcnt vmcnt(0) expcnt(0) lgkmcnt(0)
	v_add_co_u32_e32 v14, vcc, v0, v8
	v_mbcnt_lo_u32_b32 v0, -1, 0
	v_mbcnt_hi_u32_b32 v0, -1, v0
	v_addc_co_u32_e32 v15, vcc, 0, v1, vcc
	v_lshlrev_b32_e32 v1, 2, v0
	v_and_b32_e32 v0, 28, v1
	v_sub_u32_e32 v16, v9, v8
	v_add_co_u32_e32 v14, vcc, v14, v0
	v_mov_b32_e32 v9, 0
	v_addc_co_u32_e32 v15, vcc, 0, v15, vcc
	v_cmp_lt_u32_e64 s[4:5], v0, v16
	v_mov_b32_e32 v28, 0xff
	v_mov_b32_e32 v32, 0xff
	;; [unrolled: 1-line block ×4, first 2 shown]
	s_and_saveexec_b64 s[6:7], s[4:5]
	s_cbranch_execz .LBB208_2
; %bb.1:
	flat_load_ubyte v28, v[14:15]
	v_mov_b32_e32 v29, 0xff
	v_mov_b32_e32 v30, 0xff
	;; [unrolled: 1-line block ×3, first 2 shown]
.LBB208_2:
	s_or_b64 exec, exec, s[6:7]
	v_or_b32_e32 v17, 1, v0
	v_cmp_lt_u32_e64 s[6:7], v17, v16
	s_and_saveexec_b64 s[10:11], s[6:7]
	s_cbranch_execz .LBB208_4
; %bb.3:
	flat_load_ubyte v29, v[14:15] offset:1
.LBB208_4:
	s_or_b64 exec, exec, s[10:11]
	v_or_b32_e32 v17, 2, v0
	v_cmp_lt_u32_e64 s[16:17], v17, v16
	s_and_saveexec_b64 s[10:11], s[16:17]
	s_cbranch_execz .LBB208_6
; %bb.5:
	flat_load_ubyte v30, v[14:15] offset:2
.LBB208_6:
	;; [unrolled: 8-line block ×3, first 2 shown]
	s_or_b64 exec, exec, s[14:15]
	v_lshlrev_b64 v[22:23], 3, v[8:9]
	v_add_co_u32_e32 v4, vcc, v4, v22
	v_addc_co_u32_e32 v5, vcc, v5, v23, vcc
	v_lshlrev_b32_e32 v9, 3, v0
	v_add_co_u32_e32 v4, vcc, v4, v9
	v_addc_co_u32_e32 v5, vcc, 0, v5, vcc
	; wave barrier
                                        ; implicit-def: $vgpr14_vgpr15
	s_and_saveexec_b64 s[14:15], s[4:5]
	s_cbranch_execnz .LBB208_107
; %bb.9:
	s_or_b64 exec, exec, s[14:15]
	s_and_saveexec_b64 s[14:15], s[6:7]
	s_cbranch_execnz .LBB208_108
.LBB208_10:
	s_or_b64 exec, exec, s[14:15]
                                        ; implicit-def: $vgpr18_vgpr19
	s_and_saveexec_b64 s[14:15], s[16:17]
	s_cbranch_execnz .LBB208_109
.LBB208_11:
	s_or_b64 exec, exec, s[14:15]
	s_and_saveexec_b64 s[14:15], s[10:11]
	s_cbranch_execz .LBB208_13
.LBB208_12:
	flat_load_dwordx2 v[20:21], v[4:5] offset:24
.LBB208_13:
	s_or_b64 exec, exec, s[14:15]
	v_cmp_ne_u32_e32 vcc, 0, v10
	v_cmp_ne_u32_e64 s[14:15], 8, v11
	s_or_b64 s[14:15], vcc, s[14:15]
	v_bfe_u32 v4, v31, 10, 10
	v_bfe_u32 v5, v31, 20, 10
	; wave barrier
	s_and_saveexec_b64 s[18:19], s[14:15]
	s_xor_b64 s[24:25], exec, s[18:19]
	s_cbranch_execz .LBB208_55
; %bb.14:
	s_load_dwordx2 s[14:15], s[8:9], 0x0
	v_mov_b32_e32 v24, 0
	v_lshlrev_b32_e64 v11, v11, -1
	v_lshlrev_b32_e64 v10, v10, -1
	s_waitcnt lgkmcnt(0)
	s_cmp_lt_u32 s12, s14
	s_cselect_b32 s18, 12, 18
	s_cmp_lt_u32 s13, s15
	s_cselect_b32 s14, 14, 20
	s_add_u32 s14, s8, s14
	s_addc_u32 s15, s9, 0
	s_add_u32 s18, s8, s18
	s_addc_u32 s19, s9, 0
	global_load_ushort v25, v24, s[14:15]
	global_load_ushort v26, v24, s[18:19]
	v_and_b32_e32 v24, 0x3ff, v31
	s_movk_i32 s14, 0x400
	v_xor_b32_e32 v31, v11, v10
	s_waitcnt vmcnt(0)
	v_mad_u32_u24 v4, v5, v25, v4
	v_mul_lo_u32 v4, v4, v26
	v_add_lshl_u32 v26, v4, v24, 2
	v_cmp_gt_u32_e32 vcc, s14, v26
	s_and_saveexec_b64 s[18:19], vcc
	s_cbranch_execz .LBB208_24
; %bb.15:
	v_lshlrev_b16_e32 v4, 8, v32
	v_lshlrev_b16_e32 v5, 8, v28
	;; [unrolled: 1-line block ×3, first 2 shown]
	v_or_b32_sdwa v4, v30, v4 dst_sel:WORD_1 dst_unused:UNUSED_PAD src0_sel:BYTE_0 src1_sel:DWORD
	v_or_b32_sdwa v5, v29, v5 dst_sel:DWORD dst_unused:UNUSED_PAD src0_sel:BYTE_0 src1_sel:DWORD
	v_or_b32_sdwa v10, v28, v10 dst_sel:DWORD dst_unused:UNUSED_PAD src0_sel:BYTE_0 src1_sel:DWORD
	v_or_b32_sdwa v5, v5, v4 dst_sel:DWORD dst_unused:UNUSED_PAD src0_sel:WORD_0 src1_sel:DWORD
	v_or_b32_sdwa v4, v10, v4 dst_sel:DWORD dst_unused:UNUSED_PAD src0_sel:WORD_0 src1_sel:DWORD
	v_and_b32_sdwa v10, v29, v31 dst_sel:DWORD dst_unused:UNUSED_PAD src0_sel:BYTE_0 src1_sel:DWORD
	v_and_b32_sdwa v11, v28, v31 dst_sel:DWORD dst_unused:UNUSED_PAD src0_sel:BYTE_0 src1_sel:DWORD
	v_cmp_gt_u16_e32 vcc, v11, v10
	v_cndmask_b32_e32 v24, v4, v5, vcc
	v_lshrrev_b32_e32 v25, 16, v24
	v_lshrrev_b32_e32 v11, 24, v24
	v_and_b32_e32 v27, v11, v31
	v_and_b32_e32 v10, v25, v31
	v_cmp_gt_u16_sdwa s[20:21], v10, v27 src0_sel:BYTE_0 src1_sel:DWORD
	v_pk_mov_b32 v[4:5], v[18:19], v[18:19] op_sel:[0,1]
	s_and_saveexec_b64 s[14:15], s[20:21]
; %bb.16:
	s_mov_b32 s20, 0x6070504
	v_perm_b32 v24, v24, v24, s20
	v_pk_mov_b32 v[4:5], v[20:21], v[20:21] op_sel:[0,1]
	v_pk_mov_b32 v[20:21], v[18:19], v[18:19] op_sel:[0,1]
	v_mov_b32_e32 v10, v27
	v_mov_b32_e32 v25, v11
; %bb.17:
	s_or_b64 exec, exec, s[14:15]
	v_lshrrev_b32_e32 v28, 8, v24
	v_cndmask_b32_e32 v19, v17, v15, vcc
	v_cndmask_b32_e32 v18, v16, v14, vcc
	v_and_b32_e32 v27, v28, v31
	v_cmp_gt_u16_sdwa s[14:15], v27, v10 src0_sel:BYTE_0 src1_sel:BYTE_0
	v_pk_mov_b32 v[10:11], v[18:19], v[18:19] op_sel:[0,1]
	s_and_saveexec_b64 s[20:21], s[14:15]
	s_xor_b64 s[14:15], exec, s[20:21]
; %bb.18:
	s_mov_b32 s20, 0x7050004
	v_and_b32_e32 v27, v25, v31
	v_perm_b32 v24, v24, v25, s20
	v_pk_mov_b32 v[10:11], v[4:5], v[4:5] op_sel:[0,1]
	v_pk_mov_b32 v[4:5], v[18:19], v[18:19] op_sel:[0,1]
	v_mov_b32_e32 v28, v25
; %bb.19:
	s_or_b64 exec, exec, s[14:15]
	s_mov_b32 s14, 0x3020004
	v_and_b32_e32 v19, v24, v31
	v_perm_b32 v18, v28, v24, s14
	v_cmp_gt_u16_sdwa s[14:15], v19, v27 src0_sel:BYTE_0 src1_sel:BYTE_0
	v_cndmask_b32_e64 v28, v24, v18, s[14:15]
	v_lshrrev_b32_e32 v30, 16, v28
	v_lshrrev_b32_e32 v19, 24, v28
	v_and_b32_e32 v27, v19, v31
	v_and_b32_e32 v18, v30, v31
	v_lshrrev_b32_e32 v29, 8, v28
	v_cmp_gt_u16_sdwa s[22:23], v18, v27 src0_sel:BYTE_0 src1_sel:DWORD
	v_pk_mov_b32 v[24:25], v[4:5], v[4:5] op_sel:[0,1]
	v_mov_b32_e32 v32, v19
	s_and_saveexec_b64 s[20:21], s[22:23]
; %bb.20:
	v_mov_b32_e32 v32, v30
	v_pk_mov_b32 v[24:25], v[20:21], v[20:21] op_sel:[0,1]
	v_pk_mov_b32 v[20:21], v[4:5], v[4:5] op_sel:[0,1]
	v_mov_b32_e32 v30, v19
	v_mov_b32_e32 v18, v27
; %bb.21:
	s_or_b64 exec, exec, s[20:21]
	v_cndmask_b32_e32 v4, v14, v16, vcc
	v_cndmask_b32_e32 v5, v15, v17, vcc
	v_cndmask_b32_e64 v14, v4, v10, s[14:15]
	v_cndmask_b32_e64 v16, v10, v4, s[14:15]
	v_and_b32_e32 v4, v29, v31
	v_cndmask_b32_e64 v15, v5, v11, s[14:15]
	v_cndmask_b32_e64 v17, v11, v5, s[14:15]
	v_cmp_gt_u16_sdwa s[20:21], v4, v18 src0_sel:BYTE_0 src1_sel:BYTE_0
	v_pk_mov_b32 v[18:19], v[24:25], v[24:25] op_sel:[0,1]
	s_and_saveexec_b64 s[14:15], s[20:21]
; %bb.22:
	v_mov_b32_e32 v4, v29
	v_swap_b32 v29, v30
	v_pk_mov_b32 v[18:19], v[16:17], v[16:17] op_sel:[0,1]
	v_pk_mov_b32 v[16:17], v[24:25], v[24:25] op_sel:[0,1]
; %bb.23:
	s_or_b64 exec, exec, s[14:15]
.LBB208_24:
	s_or_b64 exec, exec, s[18:19]
	v_and_b32_e32 v4, 0xffffff00, v26
	v_add_co_u32_e32 v10, vcc, v12, v4
	v_addc_co_u32_e32 v11, vcc, 0, v13, vcc
	s_movk_i32 s18, 0x400
	v_add_co_u32_e32 v12, vcc, v10, v1
	v_sub_u32_e64 v33, s18, v4 clamp
	v_mad_u64_u32 v[4:5], s[14:15], v4, 7, v[10:11]
	v_addc_co_u32_e32 v13, vcc, 0, v11, vcc
	v_lshlrev_b32_e32 v24, 3, v1
	v_lshlrev_b16_e32 v34, 8, v29
	v_lshlrev_b16_e32 v35, 8, v32
	v_add_co_u32_e32 v26, vcc, v4, v24
	v_or_b32_sdwa v34, v28, v34 dst_sel:DWORD dst_unused:UNUSED_PAD src0_sel:BYTE_0 src1_sel:DWORD
	v_or_b32_sdwa v35, v30, v35 dst_sel:WORD_1 dst_unused:UNUSED_PAD src0_sel:BYTE_0 src1_sel:DWORD
	v_addc_co_u32_e32 v27, vcc, 0, v5, vcc
	v_or_b32_sdwa v34, v34, v35 dst_sel:DWORD dst_unused:UNUSED_PAD src0_sel:WORD_0 src1_sel:DWORD
	flat_store_dwordx4 v[26:27], v[14:17] offset:1024
	flat_store_dword v[12:13], v34
	flat_store_dwordx4 v[26:27], v[18:21] offset:1040
	v_or_b32_e32 v34, 4, v1
	v_min_u32_e32 v34, v33, v34
	v_add_u32_e32 v35, 4, v34
	v_and_b32_e32 v36, 0x1f8, v1
	v_min_u32_e32 v35, v33, v35
	v_and_b32_e32 v37, 4, v1
	v_add_co_u32_e32 v24, vcc, s18, v26
	v_min_u32_e32 v37, v33, v37
	v_sub_u32_e32 v39, v34, v36
	v_sub_u32_e32 v38, v35, v34
	v_addc_co_u32_e32 v25, vcc, 0, v27, vcc
	v_sub_u32_e64 v38, v37, v38 clamp
	v_min_u32_e32 v39, v37, v39
	v_cmp_lt_u32_e32 vcc, v38, v39
	; wave barrier
	s_and_saveexec_b64 s[14:15], vcc
	s_cbranch_execz .LBB208_28
; %bb.25:
	v_add_co_u32_e32 v48, vcc, v10, v36
	v_addc_co_u32_e32 v49, vcc, 0, v11, vcc
	v_add_co_u32_e32 v50, vcc, v10, v34
	v_addc_co_u32_e32 v51, vcc, 0, v11, vcc
	s_mov_b64 s[18:19], 0
.LBB208_26:                             ; =>This Inner Loop Header: Depth=1
	v_add_u32_e32 v52, v39, v38
	v_lshrrev_b32_e32 v64, 1, v52
	v_add_co_u32_e32 v52, vcc, v48, v64
	v_xad_u32 v54, v64, -1, v37
	v_addc_co_u32_e32 v53, vcc, 0, v49, vcc
	v_add_co_u32_e32 v54, vcc, v50, v54
	v_addc_co_u32_e32 v55, vcc, 0, v51, vcc
	flat_load_ubyte v65, v[52:53]
	flat_load_ubyte v66, v[54:55]
	v_add_u32_e32 v52, 1, v64
	s_waitcnt vmcnt(0) lgkmcnt(0)
	v_and_b32_e32 v53, v65, v31
	v_and_b32_e32 v54, v66, v31
	v_cmp_gt_u16_sdwa vcc, v53, v54 src0_sel:BYTE_0 src1_sel:BYTE_0
	v_cndmask_b32_e32 v39, v39, v64, vcc
	v_cndmask_b32_e32 v38, v52, v38, vcc
	v_cmp_ge_u32_e32 vcc, v38, v39
	s_or_b64 s[18:19], vcc, s[18:19]
	s_andn2_b64 exec, exec, s[18:19]
	s_cbranch_execnz .LBB208_26
; %bb.27:
	s_or_b64 exec, exec, s[18:19]
.LBB208_28:
	s_or_b64 exec, exec, s[14:15]
	v_add_u32_e32 v37, v34, v37
	v_add_u32_e32 v36, v38, v36
	v_sub_u32_e32 v37, v37, v38
	v_cmp_le_u32_e32 vcc, v36, v34
	v_cmp_le_u32_e64 s[14:15], v37, v35
	s_or_b64 s[14:15], vcc, s[14:15]
	s_and_saveexec_b64 s[26:27], s[14:15]
	s_cbranch_execz .LBB208_34
; %bb.29:
	v_cmp_lt_u32_e32 vcc, v36, v34
                                        ; implicit-def: $vgpr28
	s_and_saveexec_b64 s[18:19], vcc
	s_cbranch_execz .LBB208_31
; %bb.30:
	v_add_co_u32_e64 v14, s[14:15], v10, v36
	v_addc_co_u32_e64 v15, s[14:15], 0, v11, s[14:15]
	flat_load_ubyte v28, v[14:15]
.LBB208_31:
	s_or_b64 exec, exec, s[18:19]
	v_cmp_ge_u32_e64 s[14:15], v37, v35
	v_cmp_lt_u32_e64 s[18:19], v37, v35
                                        ; implicit-def: $vgpr29
	s_and_saveexec_b64 s[20:21], s[18:19]
	s_cbranch_execz .LBB208_33
; %bb.32:
	v_add_co_u32_e64 v14, s[18:19], v10, v37
	v_addc_co_u32_e64 v15, s[18:19], 0, v11, s[18:19]
	flat_load_ubyte v29, v[14:15]
.LBB208_33:
	s_or_b64 exec, exec, s[20:21]
	s_waitcnt vmcnt(0) lgkmcnt(0)
	v_and_b32_e32 v14, v29, v31
	v_and_b32_e32 v15, v28, v31
	v_cmp_le_u16_sdwa s[18:19], v15, v14 src0_sel:BYTE_0 src1_sel:BYTE_0
	s_and_b64 s[18:19], vcc, s[18:19]
	s_or_b64 vcc, s[14:15], s[18:19]
	v_cndmask_b32_e32 v20, v37, v36, vcc
	v_cndmask_b32_e32 v14, v35, v34, vcc
	v_add_u32_e32 v16, 1, v20
	v_add_u32_e32 v14, -1, v14
	v_min_u32_e32 v14, v16, v14
	v_add_co_u32_e64 v14, s[14:15], v10, v14
	v_addc_co_u32_e64 v15, s[14:15], 0, v11, s[14:15]
	flat_load_ubyte v17, v[14:15]
	v_cndmask_b32_e32 v18, v16, v37, vcc
	v_cndmask_b32_e32 v19, v36, v16, vcc
	v_cmp_lt_u32_e64 s[18:19], v19, v34
	v_cmp_ge_u32_e64 s[14:15], v18, v35
	v_mov_b32_e32 v21, 0
	v_lshlrev_b64 v[14:15], 3, v[20:21]
	s_waitcnt vmcnt(0) lgkmcnt(0)
	v_cndmask_b32_e32 v30, v17, v29, vcc
	v_cndmask_b32_e32 v32, v28, v17, vcc
	v_and_b32_e32 v16, v30, v31
	v_and_b32_e32 v17, v32, v31
	v_cmp_le_u16_sdwa s[20:21], v17, v16 src0_sel:BYTE_0 src1_sel:BYTE_0
	s_and_b64 s[18:19], s[18:19], s[20:21]
	s_or_b64 s[14:15], s[14:15], s[18:19]
	v_cndmask_b32_e64 v20, v18, v19, s[14:15]
	v_cndmask_b32_e64 v16, v35, v34, s[14:15]
	v_add_u32_e32 v36, 1, v20
	v_add_u32_e32 v16, -1, v16
	v_min_u32_e32 v16, v36, v16
	v_add_co_u32_e64 v16, s[18:19], v10, v16
	v_addc_co_u32_e64 v17, s[18:19], 0, v11, s[18:19]
	flat_load_ubyte v37, v[16:17]
	v_cndmask_b32_e64 v38, v36, v18, s[14:15]
	v_cndmask_b32_e64 v36, v19, v36, s[14:15]
	v_cmp_lt_u32_e64 s[20:21], v36, v34
	v_cmp_ge_u32_e64 s[18:19], v38, v35
	v_lshlrev_b64 v[16:17], 3, v[20:21]
	v_cndmask_b32_e32 v28, v29, v28, vcc
	v_cndmask_b32_e64 v29, v30, v32, s[14:15]
	s_waitcnt vmcnt(0) lgkmcnt(0)
	v_cndmask_b32_e64 v39, v37, v30, s[14:15]
	v_cndmask_b32_e64 v37, v32, v37, s[14:15]
	v_and_b32_e32 v18, v39, v31
	v_and_b32_e32 v19, v37, v31
	v_cmp_le_u16_sdwa s[22:23], v19, v18 src0_sel:BYTE_0 src1_sel:BYTE_0
	s_and_b64 s[20:21], s[20:21], s[22:23]
	s_or_b64 s[18:19], s[18:19], s[20:21]
	v_cndmask_b32_e64 v20, v38, v36, s[18:19]
	v_cndmask_b32_e64 v18, v35, v34, s[18:19]
	v_add_u32_e32 v48, 1, v20
	v_add_u32_e32 v18, -1, v18
	v_min_u32_e32 v18, v48, v18
	v_add_co_u32_e64 v18, s[20:21], v10, v18
	v_addc_co_u32_e64 v19, s[20:21], 0, v11, s[20:21]
	flat_load_ubyte v49, v[18:19]
	v_add_co_u32_e64 v14, s[20:21], v4, v14
	v_addc_co_u32_e64 v15, s[20:21], v5, v15, s[20:21]
	v_add_co_u32_e64 v16, s[20:21], v4, v16
	v_addc_co_u32_e64 v17, s[20:21], v5, v17, s[20:21]
	flat_load_dwordx2 v[16:17], v[16:17] offset:1024
	v_lshlrev_b64 v[18:19], 3, v[20:21]
	flat_load_dwordx2 v[14:15], v[14:15] offset:1024
	v_add_co_u32_e64 v18, s[20:21], v4, v18
	v_addc_co_u32_e64 v19, s[20:21], v5, v19, s[20:21]
	v_cndmask_b32_e64 v20, v48, v38, s[18:19]
	v_cndmask_b32_e64 v36, v36, v48, s[18:19]
	v_cmp_ge_u32_e64 s[20:21], v20, v35
	v_cmp_lt_u32_e64 s[22:23], v36, v34
	flat_load_dwordx2 v[18:19], v[18:19] offset:1024
	v_cndmask_b32_e64 v30, v39, v37, s[18:19]
	s_waitcnt vmcnt(0) lgkmcnt(0)
	v_cndmask_b32_e64 v34, v49, v39, s[18:19]
	v_cndmask_b32_e64 v35, v37, v49, s[18:19]
	v_and_b32_e32 v38, v34, v31
	v_and_b32_e32 v48, v35, v31
	v_cmp_le_u16_sdwa s[28:29], v48, v38 src0_sel:BYTE_0 src1_sel:BYTE_0
	s_and_b64 s[22:23], s[22:23], s[28:29]
	s_or_b64 s[20:21], s[20:21], s[22:23]
	v_cndmask_b32_e64 v20, v20, v36, s[20:21]
	v_lshlrev_b64 v[20:21], 3, v[20:21]
	v_add_co_u32_e64 v20, s[22:23], v4, v20
	v_addc_co_u32_e64 v21, s[22:23], v5, v21, s[22:23]
	flat_load_dwordx2 v[20:21], v[20:21] offset:1024
	v_cndmask_b32_e64 v32, v34, v35, s[20:21]
.LBB208_34:
	s_or_b64 exec, exec, s[26:27]
	v_lshlrev_b16_e32 v34, 8, v29
	v_lshlrev_b16_e32 v35, 8, v32
	v_or_b32_sdwa v34, v28, v34 dst_sel:DWORD dst_unused:UNUSED_PAD src0_sel:BYTE_0 src1_sel:DWORD
	v_or_b32_sdwa v35, v30, v35 dst_sel:WORD_1 dst_unused:UNUSED_PAD src0_sel:BYTE_0 src1_sel:DWORD
	v_or_b32_sdwa v34, v34, v35 dst_sel:DWORD dst_unused:UNUSED_PAD src0_sel:WORD_0 src1_sel:DWORD
	v_and_b32_e32 v36, 0x1f0, v1
	; wave barrier
	flat_store_dwordx4 v[26:27], v[14:17] offset:1024
	flat_store_dword v[12:13], v34
	s_waitcnt vmcnt(0) lgkmcnt(0)
	flat_store_dwordx4 v[24:25], v[18:21] offset:16
	v_or_b32_e32 v34, 8, v36
	v_min_u32_e32 v34, v33, v34
	v_add_u32_e32 v35, 8, v34
	v_min_u32_e32 v35, v33, v35
	v_and_b32_e32 v37, 12, v1
	v_min_u32_e32 v37, v33, v37
	v_sub_u32_e32 v39, v34, v36
	v_sub_u32_e32 v38, v35, v34
	v_sub_u32_e64 v38, v37, v38 clamp
	v_min_u32_e32 v39, v37, v39
	v_cmp_lt_u32_e32 vcc, v38, v39
	; wave barrier
	s_and_saveexec_b64 s[14:15], vcc
	s_cbranch_execz .LBB208_38
; %bb.35:
	v_add_co_u32_e32 v48, vcc, v10, v36
	v_addc_co_u32_e32 v49, vcc, 0, v11, vcc
	v_add_co_u32_e32 v50, vcc, v10, v34
	v_addc_co_u32_e32 v51, vcc, 0, v11, vcc
	s_mov_b64 s[18:19], 0
.LBB208_36:                             ; =>This Inner Loop Header: Depth=1
	v_add_u32_e32 v52, v39, v38
	v_lshrrev_b32_e32 v64, 1, v52
	v_add_co_u32_e32 v52, vcc, v48, v64
	v_xad_u32 v54, v64, -1, v37
	v_addc_co_u32_e32 v53, vcc, 0, v49, vcc
	v_add_co_u32_e32 v54, vcc, v50, v54
	v_addc_co_u32_e32 v55, vcc, 0, v51, vcc
	flat_load_ubyte v65, v[52:53]
	flat_load_ubyte v66, v[54:55]
	v_add_u32_e32 v52, 1, v64
	s_waitcnt vmcnt(0) lgkmcnt(0)
	v_and_b32_e32 v53, v65, v31
	v_and_b32_e32 v54, v66, v31
	v_cmp_gt_u16_sdwa vcc, v53, v54 src0_sel:BYTE_0 src1_sel:BYTE_0
	v_cndmask_b32_e32 v39, v39, v64, vcc
	v_cndmask_b32_e32 v38, v52, v38, vcc
	v_cmp_ge_u32_e32 vcc, v38, v39
	s_or_b64 s[18:19], vcc, s[18:19]
	s_andn2_b64 exec, exec, s[18:19]
	s_cbranch_execnz .LBB208_36
; %bb.37:
	s_or_b64 exec, exec, s[18:19]
.LBB208_38:
	s_or_b64 exec, exec, s[14:15]
	v_add_u32_e32 v37, v34, v37
	v_add_u32_e32 v36, v38, v36
	v_sub_u32_e32 v37, v37, v38
	v_cmp_le_u32_e32 vcc, v36, v34
	v_cmp_le_u32_e64 s[14:15], v37, v35
	s_or_b64 s[14:15], vcc, s[14:15]
	s_and_saveexec_b64 s[26:27], s[14:15]
	s_cbranch_execz .LBB208_44
; %bb.39:
	v_cmp_lt_u32_e32 vcc, v36, v34
                                        ; implicit-def: $vgpr28
	s_and_saveexec_b64 s[18:19], vcc
	s_cbranch_execz .LBB208_41
; %bb.40:
	v_add_co_u32_e64 v14, s[14:15], v10, v36
	v_addc_co_u32_e64 v15, s[14:15], 0, v11, s[14:15]
	flat_load_ubyte v28, v[14:15]
.LBB208_41:
	s_or_b64 exec, exec, s[18:19]
	v_cmp_ge_u32_e64 s[14:15], v37, v35
	v_cmp_lt_u32_e64 s[18:19], v37, v35
                                        ; implicit-def: $vgpr29
	s_and_saveexec_b64 s[20:21], s[18:19]
	s_cbranch_execz .LBB208_43
; %bb.42:
	v_add_co_u32_e64 v14, s[18:19], v10, v37
	v_addc_co_u32_e64 v15, s[18:19], 0, v11, s[18:19]
	flat_load_ubyte v29, v[14:15]
.LBB208_43:
	s_or_b64 exec, exec, s[20:21]
	s_waitcnt vmcnt(0) lgkmcnt(0)
	v_and_b32_e32 v14, v29, v31
	v_and_b32_e32 v15, v28, v31
	v_cmp_le_u16_sdwa s[18:19], v15, v14 src0_sel:BYTE_0 src1_sel:BYTE_0
	s_and_b64 s[18:19], vcc, s[18:19]
	s_or_b64 vcc, s[14:15], s[18:19]
	v_cndmask_b32_e32 v20, v37, v36, vcc
	v_cndmask_b32_e32 v14, v35, v34, vcc
	v_add_u32_e32 v16, 1, v20
	v_add_u32_e32 v14, -1, v14
	v_min_u32_e32 v14, v16, v14
	v_add_co_u32_e64 v14, s[14:15], v10, v14
	v_addc_co_u32_e64 v15, s[14:15], 0, v11, s[14:15]
	flat_load_ubyte v17, v[14:15]
	v_cndmask_b32_e32 v18, v16, v37, vcc
	v_cndmask_b32_e32 v19, v36, v16, vcc
	v_cmp_lt_u32_e64 s[18:19], v19, v34
	v_cmp_ge_u32_e64 s[14:15], v18, v35
	v_mov_b32_e32 v21, 0
	v_lshlrev_b64 v[14:15], 3, v[20:21]
	s_waitcnt vmcnt(0) lgkmcnt(0)
	v_cndmask_b32_e32 v30, v17, v29, vcc
	v_cndmask_b32_e32 v32, v28, v17, vcc
	v_and_b32_e32 v16, v30, v31
	v_and_b32_e32 v17, v32, v31
	v_cmp_le_u16_sdwa s[20:21], v17, v16 src0_sel:BYTE_0 src1_sel:BYTE_0
	s_and_b64 s[18:19], s[18:19], s[20:21]
	s_or_b64 s[14:15], s[14:15], s[18:19]
	v_cndmask_b32_e64 v20, v18, v19, s[14:15]
	v_cndmask_b32_e64 v16, v35, v34, s[14:15]
	v_add_u32_e32 v36, 1, v20
	v_add_u32_e32 v16, -1, v16
	v_min_u32_e32 v16, v36, v16
	v_add_co_u32_e64 v16, s[18:19], v10, v16
	v_addc_co_u32_e64 v17, s[18:19], 0, v11, s[18:19]
	flat_load_ubyte v37, v[16:17]
	v_cndmask_b32_e64 v38, v36, v18, s[14:15]
	v_cndmask_b32_e64 v36, v19, v36, s[14:15]
	v_cmp_lt_u32_e64 s[20:21], v36, v34
	v_cmp_ge_u32_e64 s[18:19], v38, v35
	v_lshlrev_b64 v[16:17], 3, v[20:21]
	v_cndmask_b32_e32 v28, v29, v28, vcc
	v_cndmask_b32_e64 v29, v30, v32, s[14:15]
	s_waitcnt vmcnt(0) lgkmcnt(0)
	v_cndmask_b32_e64 v39, v37, v30, s[14:15]
	v_cndmask_b32_e64 v37, v32, v37, s[14:15]
	v_and_b32_e32 v18, v39, v31
	v_and_b32_e32 v19, v37, v31
	v_cmp_le_u16_sdwa s[22:23], v19, v18 src0_sel:BYTE_0 src1_sel:BYTE_0
	s_and_b64 s[20:21], s[20:21], s[22:23]
	s_or_b64 s[18:19], s[18:19], s[20:21]
	v_cndmask_b32_e64 v20, v38, v36, s[18:19]
	v_cndmask_b32_e64 v18, v35, v34, s[18:19]
	v_add_u32_e32 v48, 1, v20
	v_add_u32_e32 v18, -1, v18
	v_min_u32_e32 v18, v48, v18
	v_add_co_u32_e64 v18, s[20:21], v10, v18
	v_addc_co_u32_e64 v19, s[20:21], 0, v11, s[20:21]
	flat_load_ubyte v49, v[18:19]
	v_add_co_u32_e64 v14, s[20:21], v4, v14
	v_addc_co_u32_e64 v15, s[20:21], v5, v15, s[20:21]
	v_add_co_u32_e64 v16, s[20:21], v4, v16
	v_addc_co_u32_e64 v17, s[20:21], v5, v17, s[20:21]
	flat_load_dwordx2 v[16:17], v[16:17] offset:1024
	v_lshlrev_b64 v[18:19], 3, v[20:21]
	flat_load_dwordx2 v[14:15], v[14:15] offset:1024
	v_add_co_u32_e64 v18, s[20:21], v4, v18
	v_addc_co_u32_e64 v19, s[20:21], v5, v19, s[20:21]
	v_cndmask_b32_e64 v20, v48, v38, s[18:19]
	v_cndmask_b32_e64 v36, v36, v48, s[18:19]
	v_cmp_ge_u32_e64 s[20:21], v20, v35
	v_cmp_lt_u32_e64 s[22:23], v36, v34
	flat_load_dwordx2 v[18:19], v[18:19] offset:1024
	v_cndmask_b32_e64 v30, v39, v37, s[18:19]
	s_waitcnt vmcnt(0) lgkmcnt(0)
	v_cndmask_b32_e64 v34, v49, v39, s[18:19]
	v_cndmask_b32_e64 v35, v37, v49, s[18:19]
	v_and_b32_e32 v38, v34, v31
	v_and_b32_e32 v48, v35, v31
	v_cmp_le_u16_sdwa s[28:29], v48, v38 src0_sel:BYTE_0 src1_sel:BYTE_0
	s_and_b64 s[22:23], s[22:23], s[28:29]
	s_or_b64 s[20:21], s[20:21], s[22:23]
	v_cndmask_b32_e64 v20, v20, v36, s[20:21]
	v_lshlrev_b64 v[20:21], 3, v[20:21]
	v_add_co_u32_e64 v20, s[22:23], v4, v20
	v_addc_co_u32_e64 v21, s[22:23], v5, v21, s[22:23]
	flat_load_dwordx2 v[20:21], v[20:21] offset:1024
	v_cndmask_b32_e64 v32, v34, v35, s[20:21]
.LBB208_44:
	s_or_b64 exec, exec, s[26:27]
	; wave barrier
	flat_store_dwordx4 v[26:27], v[14:17] offset:1024
	v_lshlrev_b16_e32 v26, 8, v29
	v_lshlrev_b16_e32 v27, 8, v32
	v_or_b32_sdwa v26, v28, v26 dst_sel:DWORD dst_unused:UNUSED_PAD src0_sel:BYTE_0 src1_sel:DWORD
	v_or_b32_sdwa v27, v30, v27 dst_sel:WORD_1 dst_unused:UNUSED_PAD src0_sel:BYTE_0 src1_sel:DWORD
	v_or_b32_sdwa v26, v26, v27 dst_sel:DWORD dst_unused:UNUSED_PAD src0_sel:WORD_0 src1_sel:DWORD
	flat_store_dword v[12:13], v26
	s_waitcnt vmcnt(0) lgkmcnt(0)
	flat_store_dwordx4 v[24:25], v[18:21] offset:16
	v_and_b32_e32 v13, 0x1e0, v1
	v_or_b32_e32 v1, 16, v13
	v_min_u32_e32 v1, v33, v1
	v_add_u32_e32 v12, 16, v1
	v_min_u32_e32 v12, v33, v12
	v_min_u32_e32 v24, v33, v0
	v_sub_u32_e32 v25, v1, v13
	v_sub_u32_e32 v26, v12, v1
	v_sub_u32_e64 v26, v24, v26 clamp
	v_min_u32_e32 v25, v24, v25
	v_cmp_lt_u32_e32 vcc, v26, v25
	; wave barrier
	s_and_saveexec_b64 s[14:15], vcc
	s_cbranch_execz .LBB208_48
; %bb.45:
	v_add_co_u32_e32 v27, vcc, v10, v13
	v_addc_co_u32_e32 v33, vcc, 0, v11, vcc
	v_add_co_u32_e32 v34, vcc, v10, v1
	v_addc_co_u32_e32 v35, vcc, 0, v11, vcc
	s_mov_b64 s[18:19], 0
.LBB208_46:                             ; =>This Inner Loop Header: Depth=1
	v_add_u32_e32 v36, v25, v26
	v_lshrrev_b32_e32 v48, 1, v36
	v_add_co_u32_e32 v36, vcc, v27, v48
	v_xad_u32 v38, v48, -1, v24
	v_addc_co_u32_e32 v37, vcc, 0, v33, vcc
	v_add_co_u32_e32 v38, vcc, v34, v38
	v_addc_co_u32_e32 v39, vcc, 0, v35, vcc
	flat_load_ubyte v49, v[36:37]
	flat_load_ubyte v50, v[38:39]
	v_add_u32_e32 v36, 1, v48
	s_waitcnt vmcnt(0) lgkmcnt(0)
	v_and_b32_e32 v37, v49, v31
	v_and_b32_e32 v38, v50, v31
	v_cmp_gt_u16_sdwa vcc, v37, v38 src0_sel:BYTE_0 src1_sel:BYTE_0
	v_cndmask_b32_e32 v25, v25, v48, vcc
	v_cndmask_b32_e32 v26, v36, v26, vcc
	v_cmp_ge_u32_e32 vcc, v26, v25
	s_or_b64 s[18:19], vcc, s[18:19]
	s_andn2_b64 exec, exec, s[18:19]
	s_cbranch_execnz .LBB208_46
; %bb.47:
	s_or_b64 exec, exec, s[18:19]
.LBB208_48:
	s_or_b64 exec, exec, s[14:15]
	v_add_u32_e32 v25, v26, v13
	v_add_u32_e32 v13, v1, v24
	v_sub_u32_e32 v26, v13, v26
	v_cmp_le_u32_e32 vcc, v25, v1
	v_cmp_le_u32_e64 s[14:15], v26, v12
	s_or_b64 s[14:15], vcc, s[14:15]
	s_and_saveexec_b64 s[26:27], s[14:15]
	s_cbranch_execz .LBB208_54
; %bb.49:
	v_cmp_lt_u32_e32 vcc, v25, v1
                                        ; implicit-def: $vgpr13
	s_and_saveexec_b64 s[18:19], vcc
	s_cbranch_execz .LBB208_51
; %bb.50:
	v_add_co_u32_e64 v14, s[14:15], v10, v25
	v_addc_co_u32_e64 v15, s[14:15], 0, v11, s[14:15]
	flat_load_ubyte v13, v[14:15]
.LBB208_51:
	s_or_b64 exec, exec, s[18:19]
	v_cmp_ge_u32_e64 s[14:15], v26, v12
	v_cmp_lt_u32_e64 s[18:19], v26, v12
                                        ; implicit-def: $vgpr24
	s_and_saveexec_b64 s[20:21], s[18:19]
	s_cbranch_execz .LBB208_53
; %bb.52:
	v_add_co_u32_e64 v14, s[18:19], v10, v26
	v_addc_co_u32_e64 v15, s[18:19], 0, v11, s[18:19]
	flat_load_ubyte v24, v[14:15]
.LBB208_53:
	s_or_b64 exec, exec, s[20:21]
	s_waitcnt vmcnt(0) lgkmcnt(0)
	v_and_b32_e32 v14, v24, v31
	v_and_b32_e32 v15, v13, v31
	v_cmp_le_u16_sdwa s[18:19], v15, v14 src0_sel:BYTE_0 src1_sel:BYTE_0
	s_and_b64 s[18:19], vcc, s[18:19]
	s_or_b64 vcc, s[14:15], s[18:19]
	v_cndmask_b32_e32 v20, v26, v25, vcc
	v_cndmask_b32_e32 v14, v12, v1, vcc
	v_add_u32_e32 v16, 1, v20
	v_add_u32_e32 v14, -1, v14
	v_min_u32_e32 v14, v16, v14
	v_add_co_u32_e64 v14, s[14:15], v10, v14
	v_addc_co_u32_e64 v15, s[14:15], 0, v11, s[14:15]
	flat_load_ubyte v17, v[14:15]
	v_cndmask_b32_e32 v18, v16, v26, vcc
	v_cndmask_b32_e32 v19, v25, v16, vcc
	v_cmp_lt_u32_e64 s[18:19], v19, v1
	v_cmp_ge_u32_e64 s[14:15], v18, v12
	v_mov_b32_e32 v21, 0
	v_lshlrev_b64 v[14:15], 3, v[20:21]
	s_waitcnt vmcnt(0) lgkmcnt(0)
	v_cndmask_b32_e32 v25, v17, v24, vcc
	v_cndmask_b32_e32 v26, v13, v17, vcc
	v_and_b32_e32 v16, v25, v31
	v_and_b32_e32 v17, v26, v31
	v_cmp_le_u16_sdwa s[20:21], v17, v16 src0_sel:BYTE_0 src1_sel:BYTE_0
	s_and_b64 s[18:19], s[18:19], s[20:21]
	s_or_b64 s[14:15], s[14:15], s[18:19]
	v_cndmask_b32_e64 v20, v18, v19, s[14:15]
	v_cndmask_b32_e64 v16, v12, v1, s[14:15]
	v_add_u32_e32 v27, 1, v20
	v_add_u32_e32 v16, -1, v16
	v_min_u32_e32 v16, v27, v16
	v_add_co_u32_e64 v16, s[18:19], v10, v16
	v_addc_co_u32_e64 v17, s[18:19], 0, v11, s[18:19]
	flat_load_ubyte v28, v[16:17]
	v_cndmask_b32_e64 v29, v27, v18, s[14:15]
	v_cndmask_b32_e64 v27, v19, v27, s[14:15]
	v_cmp_lt_u32_e64 s[20:21], v27, v1
	v_cmp_ge_u32_e64 s[18:19], v29, v12
	v_lshlrev_b64 v[16:17], 3, v[20:21]
	s_waitcnt vmcnt(0) lgkmcnt(0)
	v_cndmask_b32_e64 v30, v28, v25, s[14:15]
	v_cndmask_b32_e64 v32, v26, v28, s[14:15]
	v_and_b32_e32 v18, v30, v31
	v_and_b32_e32 v19, v32, v31
	v_cmp_le_u16_sdwa s[22:23], v19, v18 src0_sel:BYTE_0 src1_sel:BYTE_0
	s_and_b64 s[20:21], s[20:21], s[22:23]
	s_or_b64 s[18:19], s[18:19], s[20:21]
	v_cndmask_b32_e64 v20, v29, v27, s[18:19]
	v_cndmask_b32_e64 v18, v12, v1, s[18:19]
	v_add_u32_e32 v28, 1, v20
	v_add_u32_e32 v18, -1, v18
	v_min_u32_e32 v18, v28, v18
	v_add_co_u32_e64 v10, s[20:21], v10, v18
	v_addc_co_u32_e64 v11, s[20:21], 0, v11, s[20:21]
	flat_load_ubyte v33, v[10:11]
	v_add_co_u32_e64 v10, s[20:21], v4, v14
	v_addc_co_u32_e64 v11, s[20:21], v5, v15, s[20:21]
	flat_load_dwordx2 v[14:15], v[10:11] offset:1024
	v_add_co_u32_e64 v10, s[20:21], v4, v16
	v_addc_co_u32_e64 v11, s[20:21], v5, v17, s[20:21]
	flat_load_dwordx2 v[16:17], v[10:11] offset:1024
	v_lshlrev_b64 v[10:11], 3, v[20:21]
	v_add_co_u32_e64 v10, s[20:21], v4, v10
	v_addc_co_u32_e64 v11, s[20:21], v5, v11, s[20:21]
	flat_load_dwordx2 v[18:19], v[10:11] offset:1024
	v_cndmask_b32_e64 v10, v28, v29, s[18:19]
	v_cndmask_b32_e64 v11, v27, v28, s[18:19]
	v_cmp_ge_u32_e64 s[20:21], v10, v12
	v_cmp_lt_u32_e64 s[22:23], v11, v1
	v_cndmask_b32_e32 v28, v24, v13, vcc
	v_cndmask_b32_e64 v29, v25, v26, s[14:15]
	s_waitcnt vmcnt(0) lgkmcnt(0)
	v_cndmask_b32_e64 v1, v33, v30, s[18:19]
	v_cndmask_b32_e64 v12, v32, v33, s[18:19]
	v_and_b32_e32 v20, v1, v31
	v_and_b32_e32 v27, v12, v31
	v_cmp_le_u16_sdwa s[28:29], v27, v20 src0_sel:BYTE_0 src1_sel:BYTE_0
	s_and_b64 s[22:23], s[22:23], s[28:29]
	s_or_b64 s[20:21], s[20:21], s[22:23]
	v_cndmask_b32_e64 v20, v10, v11, s[20:21]
	v_lshlrev_b64 v[10:11], 3, v[20:21]
	v_add_co_u32_e64 v4, s[22:23], v4, v10
	v_addc_co_u32_e64 v5, s[22:23], v5, v11, s[22:23]
	flat_load_dwordx2 v[20:21], v[4:5] offset:1024
	v_cndmask_b32_e64 v30, v30, v32, s[18:19]
	v_cndmask_b32_e64 v32, v1, v12, s[20:21]
.LBB208_54:
	s_or_b64 exec, exec, s[26:27]
	; wave barrier
	s_waitcnt lgkmcnt(0)
	s_barrier
                                        ; implicit-def: $vgpr1
                                        ; implicit-def: $vgpr12
                                        ; implicit-def: $vgpr13
                                        ; implicit-def: $vgpr31
                                        ; implicit-def: $vgpr4
                                        ; implicit-def: $vgpr5
.LBB208_55:
	s_andn2_saveexec_b64 s[20:21], s[24:25]
	s_cbranch_execz .LBB208_97
; %bb.56:
	s_load_dwordx2 s[14:15], s[8:9], 0x0
	v_mov_b32_e32 v10, 0
	s_waitcnt lgkmcnt(0)
	s_cmp_lt_u32 s12, s14
	s_cselect_b32 s14, 12, 18
	s_cmp_lt_u32 s13, s15
	s_cselect_b32 s12, 14, 20
	s_add_u32 s12, s8, s12
	s_addc_u32 s13, s9, 0
	s_add_u32 s8, s8, s14
	s_addc_u32 s9, s9, 0
	global_load_ushort v11, v10, s[12:13]
	global_load_ushort v24, v10, s[8:9]
	v_and_b32_e32 v10, 0x3ff, v31
	s_movk_i32 s8, 0x400
	s_waitcnt vmcnt(0)
	v_mad_u32_u24 v4, v5, v11, v4
	v_mul_lo_u32 v4, v4, v24
	v_add_lshl_u32 v26, v4, v10, 2
	v_cmp_gt_u32_e32 vcc, s8, v26
	s_and_saveexec_b64 s[12:13], vcc
	s_cbranch_execz .LBB208_66
; %bb.57:
	v_lshlrev_b16_e32 v4, 8, v32
	v_lshlrev_b16_e32 v5, 8, v28
	;; [unrolled: 1-line block ×3, first 2 shown]
	v_or_b32_sdwa v4, v30, v4 dst_sel:WORD_1 dst_unused:UNUSED_PAD src0_sel:BYTE_0 src1_sel:DWORD
	v_or_b32_sdwa v5, v29, v5 dst_sel:DWORD dst_unused:UNUSED_PAD src0_sel:BYTE_0 src1_sel:DWORD
	v_or_b32_sdwa v10, v28, v10 dst_sel:DWORD dst_unused:UNUSED_PAD src0_sel:BYTE_0 src1_sel:DWORD
	v_or_b32_sdwa v5, v5, v4 dst_sel:DWORD dst_unused:UNUSED_PAD src0_sel:WORD_0 src1_sel:DWORD
	v_or_b32_sdwa v4, v10, v4 dst_sel:DWORD dst_unused:UNUSED_PAD src0_sel:WORD_0 src1_sel:DWORD
	v_cmp_gt_u16_sdwa vcc, v28, v29 src0_sel:BYTE_0 src1_sel:BYTE_0
	v_cndmask_b32_e32 v24, v4, v5, vcc
	v_lshrrev_b32_e32 v25, 16, v24
	v_lshrrev_b32_e32 v10, 24, v24
	v_cmp_gt_u16_sdwa s[14:15], v25, v10 src0_sel:BYTE_0 src1_sel:DWORD
	v_pk_mov_b32 v[4:5], v[18:19], v[18:19] op_sel:[0,1]
	s_and_saveexec_b64 s[8:9], s[14:15]
; %bb.58:
	s_mov_b32 s14, 0x6070504
	v_perm_b32 v24, v24, v24, s14
	v_pk_mov_b32 v[4:5], v[20:21], v[20:21] op_sel:[0,1]
	v_pk_mov_b32 v[20:21], v[18:19], v[18:19] op_sel:[0,1]
	v_mov_b32_e32 v25, v10
; %bb.59:
	s_or_b64 exec, exec, s[8:9]
	v_cndmask_b32_e32 v19, v17, v15, vcc
	v_cndmask_b32_e32 v18, v16, v14, vcc
	v_lshrrev_b32_e32 v27, 8, v24
	v_cmp_gt_u16_sdwa s[8:9], v27, v25 src0_sel:BYTE_0 src1_sel:BYTE_0
	v_pk_mov_b32 v[10:11], v[18:19], v[18:19] op_sel:[0,1]
	s_and_saveexec_b64 s[14:15], s[8:9]
	s_xor_b64 s[8:9], exec, s[14:15]
; %bb.60:
	s_mov_b32 s14, 0x7050004
	v_perm_b32 v24, v24, v25, s14
	v_pk_mov_b32 v[10:11], v[4:5], v[4:5] op_sel:[0,1]
	v_pk_mov_b32 v[4:5], v[18:19], v[18:19] op_sel:[0,1]
	v_mov_b32_e32 v27, v25
; %bb.61:
	s_or_b64 exec, exec, s[8:9]
	s_mov_b32 s8, 0x3020004
	v_perm_b32 v18, v27, v24, s8
	v_cmp_gt_u16_sdwa s[8:9], v24, v27 src0_sel:BYTE_0 src1_sel:BYTE_0
	v_cndmask_b32_e64 v28, v24, v18, s[8:9]
	v_lshrrev_b32_e32 v30, 16, v28
	v_lshrrev_b32_e32 v18, 24, v28
	;; [unrolled: 1-line block ×3, first 2 shown]
	v_cmp_gt_u16_sdwa s[18:19], v30, v18 src0_sel:BYTE_0 src1_sel:DWORD
	v_pk_mov_b32 v[24:25], v[4:5], v[4:5] op_sel:[0,1]
	v_mov_b32_e32 v32, v18
	s_and_saveexec_b64 s[14:15], s[18:19]
; %bb.62:
	v_mov_b32_e32 v32, v30
	v_pk_mov_b32 v[24:25], v[20:21], v[20:21] op_sel:[0,1]
	v_pk_mov_b32 v[20:21], v[4:5], v[4:5] op_sel:[0,1]
	v_mov_b32_e32 v30, v18
; %bb.63:
	s_or_b64 exec, exec, s[14:15]
	v_cndmask_b32_e32 v4, v14, v16, vcc
	v_cndmask_b32_e32 v5, v15, v17, vcc
	v_cndmask_b32_e64 v15, v5, v11, s[8:9]
	v_cndmask_b32_e64 v14, v4, v10, s[8:9]
	;; [unrolled: 1-line block ×4, first 2 shown]
	v_cmp_gt_u16_sdwa s[14:15], v29, v30 src0_sel:BYTE_0 src1_sel:BYTE_0
	v_pk_mov_b32 v[18:19], v[24:25], v[24:25] op_sel:[0,1]
	s_and_saveexec_b64 s[8:9], s[14:15]
; %bb.64:
	v_mov_b32_e32 v4, v29
	v_swap_b32 v29, v30
	v_pk_mov_b32 v[18:19], v[16:17], v[16:17] op_sel:[0,1]
	v_pk_mov_b32 v[16:17], v[24:25], v[24:25] op_sel:[0,1]
; %bb.65:
	s_or_b64 exec, exec, s[8:9]
.LBB208_66:
	s_or_b64 exec, exec, s[12:13]
	v_and_b32_e32 v4, 0xffffff00, v26
	v_add_co_u32_e32 v10, vcc, v12, v4
	v_addc_co_u32_e32 v11, vcc, 0, v13, vcc
	s_movk_i32 s12, 0x400
	v_add_co_u32_e32 v12, vcc, v10, v1
	v_sub_u32_e64 v31, s12, v4 clamp
	v_mad_u64_u32 v[4:5], s[8:9], v4, 7, v[10:11]
	v_addc_co_u32_e32 v13, vcc, 0, v11, vcc
	v_lshlrev_b32_e32 v24, 3, v1
	v_lshlrev_b16_e32 v33, 8, v29
	v_lshlrev_b16_e32 v34, 8, v32
	v_add_co_u32_e32 v26, vcc, v4, v24
	v_or_b32_sdwa v33, v28, v33 dst_sel:DWORD dst_unused:UNUSED_PAD src0_sel:BYTE_0 src1_sel:DWORD
	v_or_b32_sdwa v34, v30, v34 dst_sel:WORD_1 dst_unused:UNUSED_PAD src0_sel:BYTE_0 src1_sel:DWORD
	v_addc_co_u32_e32 v27, vcc, 0, v5, vcc
	v_or_b32_sdwa v33, v33, v34 dst_sel:DWORD dst_unused:UNUSED_PAD src0_sel:WORD_0 src1_sel:DWORD
	flat_store_dwordx4 v[26:27], v[14:17] offset:1024
	flat_store_dword v[12:13], v33
	flat_store_dwordx4 v[26:27], v[18:21] offset:1040
	v_or_b32_e32 v33, 4, v1
	v_min_u32_e32 v33, v31, v33
	v_add_u32_e32 v34, 4, v33
	v_and_b32_e32 v35, 0x1f8, v1
	v_min_u32_e32 v34, v31, v34
	v_and_b32_e32 v36, 4, v1
	v_add_co_u32_e32 v24, vcc, s12, v26
	v_min_u32_e32 v36, v31, v36
	v_sub_u32_e32 v38, v33, v35
	v_sub_u32_e32 v37, v34, v33
	v_addc_co_u32_e32 v25, vcc, 0, v27, vcc
	v_sub_u32_e64 v37, v36, v37 clamp
	v_min_u32_e32 v38, v36, v38
	v_cmp_lt_u32_e32 vcc, v37, v38
	; wave barrier
	s_and_saveexec_b64 s[8:9], vcc
	s_cbranch_execz .LBB208_70
; %bb.67:
	v_add_co_u32_e32 v39, vcc, v10, v35
	v_addc_co_u32_e32 v48, vcc, 0, v11, vcc
	v_add_co_u32_e32 v49, vcc, v10, v33
	v_addc_co_u32_e32 v50, vcc, 0, v11, vcc
	s_mov_b64 s[12:13], 0
.LBB208_68:                             ; =>This Inner Loop Header: Depth=1
	v_add_u32_e32 v51, v38, v37
	v_lshrrev_b32_e32 v51, 1, v51
	v_add_co_u32_e32 v52, vcc, v39, v51
	v_xad_u32 v54, v51, -1, v36
	v_addc_co_u32_e32 v53, vcc, 0, v48, vcc
	v_add_co_u32_e32 v54, vcc, v49, v54
	v_addc_co_u32_e32 v55, vcc, 0, v50, vcc
	flat_load_ubyte v64, v[52:53]
	flat_load_ubyte v65, v[54:55]
	v_add_u32_e32 v52, 1, v51
	s_waitcnt vmcnt(0) lgkmcnt(0)
	v_cmp_gt_u16_e32 vcc, v64, v65
	v_cndmask_b32_e32 v38, v38, v51, vcc
	v_cndmask_b32_e32 v37, v52, v37, vcc
	v_cmp_ge_u32_e32 vcc, v37, v38
	s_or_b64 s[12:13], vcc, s[12:13]
	s_andn2_b64 exec, exec, s[12:13]
	s_cbranch_execnz .LBB208_68
; %bb.69:
	s_or_b64 exec, exec, s[12:13]
.LBB208_70:
	s_or_b64 exec, exec, s[8:9]
	v_add_u32_e32 v36, v33, v36
	v_add_u32_e32 v35, v37, v35
	v_sub_u32_e32 v36, v36, v37
	v_cmp_le_u32_e32 vcc, v35, v33
	v_cmp_le_u32_e64 s[8:9], v36, v34
	s_or_b64 s[8:9], vcc, s[8:9]
	s_and_saveexec_b64 s[22:23], s[8:9]
	s_cbranch_execz .LBB208_76
; %bb.71:
	v_cmp_lt_u32_e32 vcc, v35, v33
                                        ; implicit-def: $vgpr28
	s_and_saveexec_b64 s[12:13], vcc
	s_cbranch_execz .LBB208_73
; %bb.72:
	v_add_co_u32_e64 v14, s[8:9], v10, v35
	v_addc_co_u32_e64 v15, s[8:9], 0, v11, s[8:9]
	flat_load_ubyte v28, v[14:15]
.LBB208_73:
	s_or_b64 exec, exec, s[12:13]
	v_cmp_ge_u32_e64 s[8:9], v36, v34
	v_cmp_lt_u32_e64 s[12:13], v36, v34
                                        ; implicit-def: $vgpr29
	s_and_saveexec_b64 s[14:15], s[12:13]
	s_cbranch_execz .LBB208_75
; %bb.74:
	v_add_co_u32_e64 v14, s[12:13], v10, v36
	v_addc_co_u32_e64 v15, s[12:13], 0, v11, s[12:13]
	flat_load_ubyte v29, v[14:15]
.LBB208_75:
	s_or_b64 exec, exec, s[14:15]
	s_waitcnt vmcnt(0) lgkmcnt(0)
	v_cmp_le_u16_sdwa s[12:13], v28, v29 src0_sel:BYTE_0 src1_sel:BYTE_0
	s_and_b64 s[12:13], vcc, s[12:13]
	s_or_b64 vcc, s[8:9], s[12:13]
	v_cndmask_b32_e32 v20, v36, v35, vcc
	v_cndmask_b32_e32 v14, v34, v33, vcc
	v_add_u32_e32 v16, 1, v20
	v_add_u32_e32 v14, -1, v14
	v_min_u32_e32 v14, v16, v14
	v_add_co_u32_e64 v14, s[8:9], v10, v14
	v_addc_co_u32_e64 v15, s[8:9], 0, v11, s[8:9]
	flat_load_ubyte v17, v[14:15]
	v_cndmask_b32_e32 v19, v35, v16, vcc
	v_cndmask_b32_e32 v18, v16, v36, vcc
	v_cmp_lt_u32_e64 s[12:13], v19, v33
	v_cmp_ge_u32_e64 s[8:9], v18, v34
	v_mov_b32_e32 v21, 0
	v_lshlrev_b64 v[14:15], 3, v[20:21]
	s_waitcnt vmcnt(0) lgkmcnt(0)
	v_cndmask_b32_e32 v30, v17, v29, vcc
	v_cndmask_b32_e32 v32, v28, v17, vcc
	v_cmp_le_u16_sdwa s[14:15], v32, v30 src0_sel:BYTE_0 src1_sel:BYTE_0
	s_and_b64 s[12:13], s[12:13], s[14:15]
	s_or_b64 s[8:9], s[8:9], s[12:13]
	v_cndmask_b32_e64 v20, v18, v19, s[8:9]
	v_cndmask_b32_e64 v16, v34, v33, s[8:9]
	v_add_u32_e32 v35, 1, v20
	v_add_u32_e32 v16, -1, v16
	v_min_u32_e32 v16, v35, v16
	v_add_co_u32_e64 v16, s[12:13], v10, v16
	v_addc_co_u32_e64 v17, s[12:13], 0, v11, s[12:13]
	flat_load_ubyte v36, v[16:17]
	v_cndmask_b32_e64 v37, v35, v18, s[8:9]
	v_cndmask_b32_e64 v35, v19, v35, s[8:9]
	v_cmp_lt_u32_e64 s[14:15], v35, v33
	v_cmp_ge_u32_e64 s[12:13], v37, v34
	v_lshlrev_b64 v[16:17], 3, v[20:21]
	v_cndmask_b32_e32 v28, v29, v28, vcc
	v_cndmask_b32_e64 v29, v30, v32, s[8:9]
	s_waitcnt vmcnt(0) lgkmcnt(0)
	v_cndmask_b32_e64 v38, v36, v30, s[8:9]
	v_cndmask_b32_e64 v36, v32, v36, s[8:9]
	v_cmp_le_u16_sdwa s[18:19], v36, v38 src0_sel:BYTE_0 src1_sel:BYTE_0
	s_and_b64 s[14:15], s[14:15], s[18:19]
	s_or_b64 s[12:13], s[12:13], s[14:15]
	v_cndmask_b32_e64 v20, v37, v35, s[12:13]
	v_cndmask_b32_e64 v18, v34, v33, s[12:13]
	v_add_u32_e32 v39, 1, v20
	v_add_u32_e32 v18, -1, v18
	v_min_u32_e32 v18, v39, v18
	v_add_co_u32_e64 v18, s[14:15], v10, v18
	v_addc_co_u32_e64 v19, s[14:15], 0, v11, s[14:15]
	flat_load_ubyte v48, v[18:19]
	v_add_co_u32_e64 v14, s[14:15], v4, v14
	v_addc_co_u32_e64 v15, s[14:15], v5, v15, s[14:15]
	v_add_co_u32_e64 v16, s[14:15], v4, v16
	v_addc_co_u32_e64 v17, s[14:15], v5, v17, s[14:15]
	flat_load_dwordx2 v[16:17], v[16:17] offset:1024
	v_lshlrev_b64 v[18:19], 3, v[20:21]
	flat_load_dwordx2 v[14:15], v[14:15] offset:1024
	v_add_co_u32_e64 v18, s[14:15], v4, v18
	v_addc_co_u32_e64 v19, s[14:15], v5, v19, s[14:15]
	v_cndmask_b32_e64 v20, v39, v37, s[12:13]
	v_cndmask_b32_e64 v35, v35, v39, s[12:13]
	v_cmp_ge_u32_e64 s[14:15], v20, v34
	v_cmp_lt_u32_e64 s[18:19], v35, v33
	flat_load_dwordx2 v[18:19], v[18:19] offset:1024
	v_cndmask_b32_e64 v30, v38, v36, s[12:13]
	s_waitcnt vmcnt(0) lgkmcnt(0)
	v_cndmask_b32_e64 v33, v48, v38, s[12:13]
	v_cndmask_b32_e64 v34, v36, v48, s[12:13]
	v_cmp_le_u16_sdwa s[24:25], v34, v33 src0_sel:BYTE_0 src1_sel:BYTE_0
	s_and_b64 s[18:19], s[18:19], s[24:25]
	s_or_b64 s[14:15], s[14:15], s[18:19]
	v_cndmask_b32_e64 v20, v20, v35, s[14:15]
	v_lshlrev_b64 v[20:21], 3, v[20:21]
	v_add_co_u32_e64 v20, s[18:19], v4, v20
	v_addc_co_u32_e64 v21, s[18:19], v5, v21, s[18:19]
	flat_load_dwordx2 v[20:21], v[20:21] offset:1024
	v_cndmask_b32_e64 v32, v33, v34, s[14:15]
.LBB208_76:
	s_or_b64 exec, exec, s[22:23]
	v_lshlrev_b16_e32 v33, 8, v29
	v_lshlrev_b16_e32 v34, 8, v32
	v_or_b32_sdwa v33, v28, v33 dst_sel:DWORD dst_unused:UNUSED_PAD src0_sel:BYTE_0 src1_sel:DWORD
	v_or_b32_sdwa v34, v30, v34 dst_sel:WORD_1 dst_unused:UNUSED_PAD src0_sel:BYTE_0 src1_sel:DWORD
	v_or_b32_sdwa v33, v33, v34 dst_sel:DWORD dst_unused:UNUSED_PAD src0_sel:WORD_0 src1_sel:DWORD
	v_and_b32_e32 v35, 0x1f0, v1
	; wave barrier
	flat_store_dwordx4 v[26:27], v[14:17] offset:1024
	flat_store_dword v[12:13], v33
	s_waitcnt vmcnt(0) lgkmcnt(0)
	flat_store_dwordx4 v[24:25], v[18:21] offset:16
	v_or_b32_e32 v33, 8, v35
	v_min_u32_e32 v33, v31, v33
	v_add_u32_e32 v34, 8, v33
	v_min_u32_e32 v34, v31, v34
	v_and_b32_e32 v36, 12, v1
	v_min_u32_e32 v36, v31, v36
	v_sub_u32_e32 v38, v33, v35
	v_sub_u32_e32 v37, v34, v33
	v_sub_u32_e64 v37, v36, v37 clamp
	v_min_u32_e32 v38, v36, v38
	v_cmp_lt_u32_e32 vcc, v37, v38
	; wave barrier
	s_and_saveexec_b64 s[8:9], vcc
	s_cbranch_execz .LBB208_80
; %bb.77:
	v_add_co_u32_e32 v39, vcc, v10, v35
	v_addc_co_u32_e32 v48, vcc, 0, v11, vcc
	v_add_co_u32_e32 v49, vcc, v10, v33
	v_addc_co_u32_e32 v50, vcc, 0, v11, vcc
	s_mov_b64 s[12:13], 0
.LBB208_78:                             ; =>This Inner Loop Header: Depth=1
	v_add_u32_e32 v51, v38, v37
	v_lshrrev_b32_e32 v51, 1, v51
	v_add_co_u32_e32 v52, vcc, v39, v51
	v_xad_u32 v54, v51, -1, v36
	v_addc_co_u32_e32 v53, vcc, 0, v48, vcc
	v_add_co_u32_e32 v54, vcc, v49, v54
	v_addc_co_u32_e32 v55, vcc, 0, v50, vcc
	flat_load_ubyte v64, v[52:53]
	flat_load_ubyte v65, v[54:55]
	v_add_u32_e32 v52, 1, v51
	s_waitcnt vmcnt(0) lgkmcnt(0)
	v_cmp_gt_u16_e32 vcc, v64, v65
	v_cndmask_b32_e32 v38, v38, v51, vcc
	v_cndmask_b32_e32 v37, v52, v37, vcc
	v_cmp_ge_u32_e32 vcc, v37, v38
	s_or_b64 s[12:13], vcc, s[12:13]
	s_andn2_b64 exec, exec, s[12:13]
	s_cbranch_execnz .LBB208_78
; %bb.79:
	s_or_b64 exec, exec, s[12:13]
.LBB208_80:
	s_or_b64 exec, exec, s[8:9]
	v_add_u32_e32 v36, v33, v36
	v_add_u32_e32 v35, v37, v35
	v_sub_u32_e32 v36, v36, v37
	v_cmp_le_u32_e32 vcc, v35, v33
	v_cmp_le_u32_e64 s[8:9], v36, v34
	s_or_b64 s[8:9], vcc, s[8:9]
	s_and_saveexec_b64 s[22:23], s[8:9]
	s_cbranch_execz .LBB208_86
; %bb.81:
	v_cmp_lt_u32_e32 vcc, v35, v33
                                        ; implicit-def: $vgpr28
	s_and_saveexec_b64 s[12:13], vcc
	s_cbranch_execz .LBB208_83
; %bb.82:
	v_add_co_u32_e64 v14, s[8:9], v10, v35
	v_addc_co_u32_e64 v15, s[8:9], 0, v11, s[8:9]
	flat_load_ubyte v28, v[14:15]
.LBB208_83:
	s_or_b64 exec, exec, s[12:13]
	v_cmp_ge_u32_e64 s[8:9], v36, v34
	v_cmp_lt_u32_e64 s[12:13], v36, v34
                                        ; implicit-def: $vgpr29
	s_and_saveexec_b64 s[14:15], s[12:13]
	s_cbranch_execz .LBB208_85
; %bb.84:
	v_add_co_u32_e64 v14, s[12:13], v10, v36
	v_addc_co_u32_e64 v15, s[12:13], 0, v11, s[12:13]
	flat_load_ubyte v29, v[14:15]
.LBB208_85:
	s_or_b64 exec, exec, s[14:15]
	s_waitcnt vmcnt(0) lgkmcnt(0)
	v_cmp_le_u16_sdwa s[12:13], v28, v29 src0_sel:BYTE_0 src1_sel:BYTE_0
	s_and_b64 s[12:13], vcc, s[12:13]
	s_or_b64 vcc, s[8:9], s[12:13]
	v_cndmask_b32_e32 v20, v36, v35, vcc
	v_cndmask_b32_e32 v14, v34, v33, vcc
	v_add_u32_e32 v16, 1, v20
	v_add_u32_e32 v14, -1, v14
	v_min_u32_e32 v14, v16, v14
	v_add_co_u32_e64 v14, s[8:9], v10, v14
	v_addc_co_u32_e64 v15, s[8:9], 0, v11, s[8:9]
	flat_load_ubyte v17, v[14:15]
	v_cndmask_b32_e32 v19, v35, v16, vcc
	v_cndmask_b32_e32 v18, v16, v36, vcc
	v_cmp_lt_u32_e64 s[12:13], v19, v33
	v_cmp_ge_u32_e64 s[8:9], v18, v34
	v_mov_b32_e32 v21, 0
	v_lshlrev_b64 v[14:15], 3, v[20:21]
	s_waitcnt vmcnt(0) lgkmcnt(0)
	v_cndmask_b32_e32 v30, v17, v29, vcc
	v_cndmask_b32_e32 v32, v28, v17, vcc
	v_cmp_le_u16_sdwa s[14:15], v32, v30 src0_sel:BYTE_0 src1_sel:BYTE_0
	s_and_b64 s[12:13], s[12:13], s[14:15]
	s_or_b64 s[8:9], s[8:9], s[12:13]
	v_cndmask_b32_e64 v20, v18, v19, s[8:9]
	v_cndmask_b32_e64 v16, v34, v33, s[8:9]
	v_add_u32_e32 v35, 1, v20
	v_add_u32_e32 v16, -1, v16
	v_min_u32_e32 v16, v35, v16
	v_add_co_u32_e64 v16, s[12:13], v10, v16
	v_addc_co_u32_e64 v17, s[12:13], 0, v11, s[12:13]
	flat_load_ubyte v36, v[16:17]
	v_cndmask_b32_e64 v37, v35, v18, s[8:9]
	v_cndmask_b32_e64 v35, v19, v35, s[8:9]
	v_cmp_lt_u32_e64 s[14:15], v35, v33
	v_cmp_ge_u32_e64 s[12:13], v37, v34
	v_lshlrev_b64 v[16:17], 3, v[20:21]
	v_cndmask_b32_e32 v28, v29, v28, vcc
	v_cndmask_b32_e64 v29, v30, v32, s[8:9]
	s_waitcnt vmcnt(0) lgkmcnt(0)
	v_cndmask_b32_e64 v38, v36, v30, s[8:9]
	v_cndmask_b32_e64 v36, v32, v36, s[8:9]
	v_cmp_le_u16_sdwa s[18:19], v36, v38 src0_sel:BYTE_0 src1_sel:BYTE_0
	s_and_b64 s[14:15], s[14:15], s[18:19]
	s_or_b64 s[12:13], s[12:13], s[14:15]
	v_cndmask_b32_e64 v20, v37, v35, s[12:13]
	v_cndmask_b32_e64 v18, v34, v33, s[12:13]
	v_add_u32_e32 v39, 1, v20
	v_add_u32_e32 v18, -1, v18
	v_min_u32_e32 v18, v39, v18
	v_add_co_u32_e64 v18, s[14:15], v10, v18
	v_addc_co_u32_e64 v19, s[14:15], 0, v11, s[14:15]
	flat_load_ubyte v48, v[18:19]
	v_add_co_u32_e64 v14, s[14:15], v4, v14
	v_addc_co_u32_e64 v15, s[14:15], v5, v15, s[14:15]
	v_add_co_u32_e64 v16, s[14:15], v4, v16
	v_addc_co_u32_e64 v17, s[14:15], v5, v17, s[14:15]
	flat_load_dwordx2 v[16:17], v[16:17] offset:1024
	v_lshlrev_b64 v[18:19], 3, v[20:21]
	flat_load_dwordx2 v[14:15], v[14:15] offset:1024
	v_add_co_u32_e64 v18, s[14:15], v4, v18
	v_addc_co_u32_e64 v19, s[14:15], v5, v19, s[14:15]
	v_cndmask_b32_e64 v20, v39, v37, s[12:13]
	v_cndmask_b32_e64 v35, v35, v39, s[12:13]
	v_cmp_ge_u32_e64 s[14:15], v20, v34
	v_cmp_lt_u32_e64 s[18:19], v35, v33
	flat_load_dwordx2 v[18:19], v[18:19] offset:1024
	v_cndmask_b32_e64 v30, v38, v36, s[12:13]
	s_waitcnt vmcnt(0) lgkmcnt(0)
	v_cndmask_b32_e64 v33, v48, v38, s[12:13]
	v_cndmask_b32_e64 v34, v36, v48, s[12:13]
	v_cmp_le_u16_sdwa s[24:25], v34, v33 src0_sel:BYTE_0 src1_sel:BYTE_0
	s_and_b64 s[18:19], s[18:19], s[24:25]
	s_or_b64 s[14:15], s[14:15], s[18:19]
	v_cndmask_b32_e64 v20, v20, v35, s[14:15]
	v_lshlrev_b64 v[20:21], 3, v[20:21]
	v_add_co_u32_e64 v20, s[18:19], v4, v20
	v_addc_co_u32_e64 v21, s[18:19], v5, v21, s[18:19]
	flat_load_dwordx2 v[20:21], v[20:21] offset:1024
	v_cndmask_b32_e64 v32, v33, v34, s[14:15]
.LBB208_86:
	s_or_b64 exec, exec, s[22:23]
	; wave barrier
	flat_store_dwordx4 v[26:27], v[14:17] offset:1024
	v_lshlrev_b16_e32 v26, 8, v29
	v_lshlrev_b16_e32 v27, 8, v32
	v_or_b32_sdwa v26, v28, v26 dst_sel:DWORD dst_unused:UNUSED_PAD src0_sel:BYTE_0 src1_sel:DWORD
	v_or_b32_sdwa v27, v30, v27 dst_sel:WORD_1 dst_unused:UNUSED_PAD src0_sel:BYTE_0 src1_sel:DWORD
	v_or_b32_sdwa v26, v26, v27 dst_sel:DWORD dst_unused:UNUSED_PAD src0_sel:WORD_0 src1_sel:DWORD
	flat_store_dword v[12:13], v26
	s_waitcnt vmcnt(0) lgkmcnt(0)
	flat_store_dwordx4 v[24:25], v[18:21] offset:16
	v_and_b32_e32 v13, 0x1e0, v1
	v_or_b32_e32 v1, 16, v13
	v_min_u32_e32 v1, v31, v1
	v_add_u32_e32 v12, 16, v1
	v_min_u32_e32 v12, v31, v12
	v_min_u32_e32 v24, v31, v0
	v_sub_u32_e32 v25, v1, v13
	v_sub_u32_e32 v26, v12, v1
	v_sub_u32_e64 v26, v24, v26 clamp
	v_min_u32_e32 v25, v24, v25
	v_cmp_lt_u32_e32 vcc, v26, v25
	; wave barrier
	s_and_saveexec_b64 s[8:9], vcc
	s_cbranch_execz .LBB208_90
; %bb.87:
	v_add_co_u32_e32 v27, vcc, v10, v13
	v_addc_co_u32_e32 v31, vcc, 0, v11, vcc
	v_add_co_u32_e32 v33, vcc, v10, v1
	v_addc_co_u32_e32 v34, vcc, 0, v11, vcc
	s_mov_b64 s[12:13], 0
.LBB208_88:                             ; =>This Inner Loop Header: Depth=1
	v_add_u32_e32 v35, v25, v26
	v_lshrrev_b32_e32 v35, 1, v35
	v_add_co_u32_e32 v36, vcc, v27, v35
	v_xad_u32 v38, v35, -1, v24
	v_addc_co_u32_e32 v37, vcc, 0, v31, vcc
	v_add_co_u32_e32 v38, vcc, v33, v38
	v_addc_co_u32_e32 v39, vcc, 0, v34, vcc
	flat_load_ubyte v48, v[36:37]
	flat_load_ubyte v49, v[38:39]
	v_add_u32_e32 v36, 1, v35
	s_waitcnt vmcnt(0) lgkmcnt(0)
	v_cmp_gt_u16_e32 vcc, v48, v49
	v_cndmask_b32_e32 v25, v25, v35, vcc
	v_cndmask_b32_e32 v26, v36, v26, vcc
	v_cmp_ge_u32_e32 vcc, v26, v25
	s_or_b64 s[12:13], vcc, s[12:13]
	s_andn2_b64 exec, exec, s[12:13]
	s_cbranch_execnz .LBB208_88
; %bb.89:
	s_or_b64 exec, exec, s[12:13]
.LBB208_90:
	s_or_b64 exec, exec, s[8:9]
	v_add_u32_e32 v25, v26, v13
	v_add_u32_e32 v13, v1, v24
	v_sub_u32_e32 v26, v13, v26
	v_cmp_le_u32_e32 vcc, v25, v1
	v_cmp_le_u32_e64 s[8:9], v26, v12
	s_or_b64 s[8:9], vcc, s[8:9]
	s_and_saveexec_b64 s[22:23], s[8:9]
	s_cbranch_execz .LBB208_96
; %bb.91:
	v_cmp_lt_u32_e32 vcc, v25, v1
                                        ; implicit-def: $vgpr13
	s_and_saveexec_b64 s[12:13], vcc
	s_cbranch_execz .LBB208_93
; %bb.92:
	v_add_co_u32_e64 v14, s[8:9], v10, v25
	v_addc_co_u32_e64 v15, s[8:9], 0, v11, s[8:9]
	flat_load_ubyte v13, v[14:15]
.LBB208_93:
	s_or_b64 exec, exec, s[12:13]
	v_cmp_ge_u32_e64 s[8:9], v26, v12
	v_cmp_lt_u32_e64 s[12:13], v26, v12
                                        ; implicit-def: $vgpr24
	s_and_saveexec_b64 s[14:15], s[12:13]
	s_cbranch_execz .LBB208_95
; %bb.94:
	v_add_co_u32_e64 v14, s[12:13], v10, v26
	v_addc_co_u32_e64 v15, s[12:13], 0, v11, s[12:13]
	flat_load_ubyte v24, v[14:15]
.LBB208_95:
	s_or_b64 exec, exec, s[14:15]
	s_waitcnt vmcnt(0) lgkmcnt(0)
	v_cmp_le_u16_sdwa s[12:13], v13, v24 src0_sel:BYTE_0 src1_sel:BYTE_0
	s_and_b64 s[12:13], vcc, s[12:13]
	s_or_b64 vcc, s[8:9], s[12:13]
	v_cndmask_b32_e32 v20, v26, v25, vcc
	v_cndmask_b32_e32 v14, v12, v1, vcc
	v_add_u32_e32 v16, 1, v20
	v_add_u32_e32 v14, -1, v14
	v_min_u32_e32 v14, v16, v14
	v_add_co_u32_e64 v14, s[8:9], v10, v14
	v_addc_co_u32_e64 v15, s[8:9], 0, v11, s[8:9]
	flat_load_ubyte v17, v[14:15]
	v_cndmask_b32_e32 v18, v16, v26, vcc
	v_cndmask_b32_e32 v19, v25, v16, vcc
	v_cmp_lt_u32_e64 s[12:13], v19, v1
	v_cmp_ge_u32_e64 s[8:9], v18, v12
	v_mov_b32_e32 v21, 0
	v_lshlrev_b64 v[14:15], 3, v[20:21]
	s_waitcnt vmcnt(0) lgkmcnt(0)
	v_cndmask_b32_e32 v25, v17, v24, vcc
	v_cndmask_b32_e32 v26, v13, v17, vcc
	v_cmp_le_u16_sdwa s[14:15], v26, v25 src0_sel:BYTE_0 src1_sel:BYTE_0
	s_and_b64 s[12:13], s[12:13], s[14:15]
	s_or_b64 s[8:9], s[8:9], s[12:13]
	v_cndmask_b32_e64 v20, v18, v19, s[8:9]
	v_cndmask_b32_e64 v16, v12, v1, s[8:9]
	v_add_u32_e32 v27, 1, v20
	v_add_u32_e32 v16, -1, v16
	v_min_u32_e32 v16, v27, v16
	v_add_co_u32_e64 v16, s[12:13], v10, v16
	v_addc_co_u32_e64 v17, s[12:13], 0, v11, s[12:13]
	flat_load_ubyte v28, v[16:17]
	v_cndmask_b32_e64 v29, v27, v18, s[8:9]
	v_cndmask_b32_e64 v27, v19, v27, s[8:9]
	v_cmp_lt_u32_e64 s[14:15], v27, v1
	v_cmp_ge_u32_e64 s[12:13], v29, v12
	v_lshlrev_b64 v[16:17], 3, v[20:21]
	s_waitcnt vmcnt(0) lgkmcnt(0)
	v_cndmask_b32_e64 v30, v28, v25, s[8:9]
	v_cndmask_b32_e64 v31, v26, v28, s[8:9]
	v_cmp_le_u16_sdwa s[18:19], v31, v30 src0_sel:BYTE_0 src1_sel:BYTE_0
	s_and_b64 s[14:15], s[14:15], s[18:19]
	s_or_b64 s[12:13], s[12:13], s[14:15]
	v_cndmask_b32_e64 v20, v29, v27, s[12:13]
	v_cndmask_b32_e64 v18, v12, v1, s[12:13]
	v_add_u32_e32 v28, 1, v20
	v_add_u32_e32 v18, -1, v18
	v_min_u32_e32 v18, v28, v18
	v_add_co_u32_e64 v10, s[14:15], v10, v18
	v_addc_co_u32_e64 v11, s[14:15], 0, v11, s[14:15]
	flat_load_ubyte v32, v[10:11]
	v_add_co_u32_e64 v10, s[14:15], v4, v14
	v_addc_co_u32_e64 v11, s[14:15], v5, v15, s[14:15]
	flat_load_dwordx2 v[14:15], v[10:11] offset:1024
	v_add_co_u32_e64 v10, s[14:15], v4, v16
	v_addc_co_u32_e64 v11, s[14:15], v5, v17, s[14:15]
	flat_load_dwordx2 v[16:17], v[10:11] offset:1024
	v_lshlrev_b64 v[10:11], 3, v[20:21]
	v_add_co_u32_e64 v10, s[14:15], v4, v10
	v_addc_co_u32_e64 v11, s[14:15], v5, v11, s[14:15]
	flat_load_dwordx2 v[18:19], v[10:11] offset:1024
	v_cndmask_b32_e64 v10, v28, v29, s[12:13]
	v_cndmask_b32_e64 v11, v27, v28, s[12:13]
	v_cmp_ge_u32_e64 s[14:15], v10, v12
	v_cmp_lt_u32_e64 s[18:19], v11, v1
	v_cndmask_b32_e32 v28, v24, v13, vcc
	v_cndmask_b32_e64 v29, v25, v26, s[8:9]
	s_waitcnt vmcnt(0) lgkmcnt(0)
	v_cndmask_b32_e64 v1, v32, v30, s[12:13]
	v_cndmask_b32_e64 v12, v31, v32, s[12:13]
	v_cmp_le_u16_sdwa s[24:25], v12, v1 src0_sel:BYTE_0 src1_sel:BYTE_0
	s_and_b64 s[18:19], s[18:19], s[24:25]
	s_or_b64 s[14:15], s[14:15], s[18:19]
	v_cndmask_b32_e64 v20, v10, v11, s[14:15]
	v_lshlrev_b64 v[10:11], 3, v[20:21]
	v_add_co_u32_e64 v4, s[18:19], v4, v10
	v_addc_co_u32_e64 v5, s[18:19], v5, v11, s[18:19]
	flat_load_dwordx2 v[20:21], v[4:5] offset:1024
	v_cndmask_b32_e64 v30, v30, v31, s[12:13]
	v_cndmask_b32_e64 v32, v1, v12, s[14:15]
.LBB208_96:
	s_or_b64 exec, exec, s[22:23]
	; wave barrier
	s_waitcnt lgkmcnt(0)
	s_barrier
.LBB208_97:
	s_or_b64 exec, exec, s[20:21]
	v_add_co_u32_e32 v1, vcc, v2, v8
	v_addc_co_u32_e32 v2, vcc, 0, v3, vcc
	v_add_co_u32_e32 v0, vcc, v1, v0
	v_addc_co_u32_e32 v1, vcc, 0, v2, vcc
	s_waitcnt lgkmcnt(0)
	; wave barrier
	s_and_saveexec_b64 s[8:9], s[4:5]
	s_cbranch_execnz .LBB208_110
; %bb.98:
	s_or_b64 exec, exec, s[8:9]
	s_and_saveexec_b64 s[8:9], s[6:7]
	s_cbranch_execnz .LBB208_111
.LBB208_99:
	s_or_b64 exec, exec, s[8:9]
	s_and_saveexec_b64 s[8:9], s[16:17]
	s_cbranch_execnz .LBB208_112
.LBB208_100:
	s_or_b64 exec, exec, s[8:9]
	s_and_saveexec_b64 s[8:9], s[10:11]
	s_cbranch_execz .LBB208_102
.LBB208_101:
	s_waitcnt vmcnt(0) lgkmcnt(0)
	flat_store_byte v[0:1], v32 offset:3
.LBB208_102:
	s_or_b64 exec, exec, s[8:9]
	v_add_co_u32_e32 v0, vcc, v6, v22
	v_addc_co_u32_e32 v1, vcc, v7, v23, vcc
	v_add_co_u32_e32 v0, vcc, v0, v9
	v_addc_co_u32_e32 v1, vcc, 0, v1, vcc
	; wave barrier
	s_and_saveexec_b64 s[8:9], s[4:5]
	s_cbranch_execnz .LBB208_113
; %bb.103:
	s_or_b64 exec, exec, s[8:9]
	s_and_saveexec_b64 s[4:5], s[6:7]
	s_cbranch_execnz .LBB208_114
.LBB208_104:
	s_or_b64 exec, exec, s[4:5]
	s_and_saveexec_b64 s[4:5], s[16:17]
	s_cbranch_execnz .LBB208_115
.LBB208_105:
	s_or_b64 exec, exec, s[4:5]
	s_and_saveexec_b64 s[4:5], s[10:11]
	s_cbranch_execnz .LBB208_116
.LBB208_106:
	s_or_b64 exec, exec, s[4:5]
	s_waitcnt vmcnt(0) lgkmcnt(0)
	s_setpc_b64 s[30:31]
.LBB208_107:
	flat_load_dwordx2 v[14:15], v[4:5]
	s_or_b64 exec, exec, s[14:15]
	s_and_saveexec_b64 s[14:15], s[6:7]
	s_cbranch_execz .LBB208_10
.LBB208_108:
	flat_load_dwordx2 v[16:17], v[4:5] offset:8
	s_or_b64 exec, exec, s[14:15]
                                        ; implicit-def: $vgpr18_vgpr19
	s_and_saveexec_b64 s[14:15], s[16:17]
	s_cbranch_execz .LBB208_11
.LBB208_109:
	flat_load_dwordx2 v[18:19], v[4:5] offset:16
	s_or_b64 exec, exec, s[14:15]
	s_and_saveexec_b64 s[14:15], s[10:11]
	s_cbranch_execnz .LBB208_12
	s_branch .LBB208_13
.LBB208_110:
	s_waitcnt vmcnt(0) lgkmcnt(0)
	flat_store_byte v[0:1], v28
	s_or_b64 exec, exec, s[8:9]
	s_and_saveexec_b64 s[8:9], s[6:7]
	s_cbranch_execz .LBB208_99
.LBB208_111:
	s_waitcnt vmcnt(0) lgkmcnt(0)
	flat_store_byte v[0:1], v29 offset:1
	s_or_b64 exec, exec, s[8:9]
	s_and_saveexec_b64 s[8:9], s[16:17]
	s_cbranch_execz .LBB208_100
.LBB208_112:
	s_waitcnt vmcnt(0) lgkmcnt(0)
	flat_store_byte v[0:1], v30 offset:2
	s_or_b64 exec, exec, s[8:9]
	s_and_saveexec_b64 s[8:9], s[10:11]
	s_cbranch_execnz .LBB208_101
	s_branch .LBB208_102
.LBB208_113:
	s_waitcnt vmcnt(0) lgkmcnt(0)
	flat_store_dwordx2 v[0:1], v[14:15]
	s_or_b64 exec, exec, s[8:9]
	s_and_saveexec_b64 s[4:5], s[6:7]
	s_cbranch_execz .LBB208_104
.LBB208_114:
	s_waitcnt vmcnt(0) lgkmcnt(0)
	flat_store_dwordx2 v[0:1], v[16:17] offset:8
	s_or_b64 exec, exec, s[4:5]
	s_and_saveexec_b64 s[4:5], s[16:17]
	s_cbranch_execz .LBB208_105
.LBB208_115:
	s_waitcnt vmcnt(0) lgkmcnt(0)
	flat_store_dwordx2 v[0:1], v[18:19] offset:16
	s_or_b64 exec, exec, s[4:5]
	s_and_saveexec_b64 s[4:5], s[10:11]
	s_cbranch_execz .LBB208_106
.LBB208_116:
	s_waitcnt vmcnt(0) lgkmcnt(0)
	flat_store_dwordx2 v[0:1], v[20:21] offset:24
	s_or_b64 exec, exec, s[4:5]
	s_waitcnt vmcnt(0) lgkmcnt(0)
	s_setpc_b64 s[30:31]
.Lfunc_end208:
	.size	_ZN7rocprim17ROCPRIM_400000_NS6detail26segmented_warp_sort_helperINS1_20WarpSortHelperConfigILj8ELj4ELj256EEEhlLi256ELb0EvE4sortIPKhPhPKlPlEEvT_T0_T1_T2_jjjjRNS5_12storage_typeE, .Lfunc_end208-_ZN7rocprim17ROCPRIM_400000_NS6detail26segmented_warp_sort_helperINS1_20WarpSortHelperConfigILj8ELj4ELj256EEEhlLi256ELb0EvE4sortIPKhPhPKlPlEEvT_T0_T1_T2_jjjjRNS5_12storage_typeE
                                        ; -- End function
	.section	.AMDGPU.csdata,"",@progbits
; Function info:
; codeLenInByte = 7468
; NumSgprs: 36
; NumVgprs: 67
; NumAgprs: 0
; TotalNumVgprs: 67
; ScratchSize: 0
; MemoryBound: 0
	.section	.text._ZN7rocprim17ROCPRIM_400000_NS6detail17trampoline_kernelINS0_14default_configENS1_36segmented_radix_sort_config_selectorIhlEEZNS1_25segmented_radix_sort_implIS3_Lb0EPKhPhPKlPlN2at6native12_GLOBAL__N_18offset_tEEE10hipError_tPvRmT1_PNSt15iterator_traitsISK_E10value_typeET2_T3_PNSL_ISQ_E10value_typeET4_jRbjT5_SW_jjP12ihipStream_tbEUlT_E1_NS1_11comp_targetILNS1_3genE4ELNS1_11target_archE910ELNS1_3gpuE8ELNS1_3repE0EEENS1_59segmented_radix_sort_warp_sort_small_config_static_selectorELNS0_4arch9wavefront6targetE1EEEvSK_,"axG",@progbits,_ZN7rocprim17ROCPRIM_400000_NS6detail17trampoline_kernelINS0_14default_configENS1_36segmented_radix_sort_config_selectorIhlEEZNS1_25segmented_radix_sort_implIS3_Lb0EPKhPhPKlPlN2at6native12_GLOBAL__N_18offset_tEEE10hipError_tPvRmT1_PNSt15iterator_traitsISK_E10value_typeET2_T3_PNSL_ISQ_E10value_typeET4_jRbjT5_SW_jjP12ihipStream_tbEUlT_E1_NS1_11comp_targetILNS1_3genE4ELNS1_11target_archE910ELNS1_3gpuE8ELNS1_3repE0EEENS1_59segmented_radix_sort_warp_sort_small_config_static_selectorELNS0_4arch9wavefront6targetE1EEEvSK_,comdat
	.globl	_ZN7rocprim17ROCPRIM_400000_NS6detail17trampoline_kernelINS0_14default_configENS1_36segmented_radix_sort_config_selectorIhlEEZNS1_25segmented_radix_sort_implIS3_Lb0EPKhPhPKlPlN2at6native12_GLOBAL__N_18offset_tEEE10hipError_tPvRmT1_PNSt15iterator_traitsISK_E10value_typeET2_T3_PNSL_ISQ_E10value_typeET4_jRbjT5_SW_jjP12ihipStream_tbEUlT_E1_NS1_11comp_targetILNS1_3genE4ELNS1_11target_archE910ELNS1_3gpuE8ELNS1_3repE0EEENS1_59segmented_radix_sort_warp_sort_small_config_static_selectorELNS0_4arch9wavefront6targetE1EEEvSK_ ; -- Begin function _ZN7rocprim17ROCPRIM_400000_NS6detail17trampoline_kernelINS0_14default_configENS1_36segmented_radix_sort_config_selectorIhlEEZNS1_25segmented_radix_sort_implIS3_Lb0EPKhPhPKlPlN2at6native12_GLOBAL__N_18offset_tEEE10hipError_tPvRmT1_PNSt15iterator_traitsISK_E10value_typeET2_T3_PNSL_ISQ_E10value_typeET4_jRbjT5_SW_jjP12ihipStream_tbEUlT_E1_NS1_11comp_targetILNS1_3genE4ELNS1_11target_archE910ELNS1_3gpuE8ELNS1_3repE0EEENS1_59segmented_radix_sort_warp_sort_small_config_static_selectorELNS0_4arch9wavefront6targetE1EEEvSK_
	.p2align	8
	.type	_ZN7rocprim17ROCPRIM_400000_NS6detail17trampoline_kernelINS0_14default_configENS1_36segmented_radix_sort_config_selectorIhlEEZNS1_25segmented_radix_sort_implIS3_Lb0EPKhPhPKlPlN2at6native12_GLOBAL__N_18offset_tEEE10hipError_tPvRmT1_PNSt15iterator_traitsISK_E10value_typeET2_T3_PNSL_ISQ_E10value_typeET4_jRbjT5_SW_jjP12ihipStream_tbEUlT_E1_NS1_11comp_targetILNS1_3genE4ELNS1_11target_archE910ELNS1_3gpuE8ELNS1_3repE0EEENS1_59segmented_radix_sort_warp_sort_small_config_static_selectorELNS0_4arch9wavefront6targetE1EEEvSK_,@function
_ZN7rocprim17ROCPRIM_400000_NS6detail17trampoline_kernelINS0_14default_configENS1_36segmented_radix_sort_config_selectorIhlEEZNS1_25segmented_radix_sort_implIS3_Lb0EPKhPhPKlPlN2at6native12_GLOBAL__N_18offset_tEEE10hipError_tPvRmT1_PNSt15iterator_traitsISK_E10value_typeET2_T3_PNSL_ISQ_E10value_typeET4_jRbjT5_SW_jjP12ihipStream_tbEUlT_E1_NS1_11comp_targetILNS1_3genE4ELNS1_11target_archE910ELNS1_3gpuE8ELNS1_3repE0EEENS1_59segmented_radix_sort_warp_sort_small_config_static_selectorELNS0_4arch9wavefront6targetE1EEEvSK_: ; @_ZN7rocprim17ROCPRIM_400000_NS6detail17trampoline_kernelINS0_14default_configENS1_36segmented_radix_sort_config_selectorIhlEEZNS1_25segmented_radix_sort_implIS3_Lb0EPKhPhPKlPlN2at6native12_GLOBAL__N_18offset_tEEE10hipError_tPvRmT1_PNSt15iterator_traitsISK_E10value_typeET2_T3_PNSL_ISQ_E10value_typeET4_jRbjT5_SW_jjP12ihipStream_tbEUlT_E1_NS1_11comp_targetILNS1_3genE4ELNS1_11target_archE910ELNS1_3gpuE8ELNS1_3repE0EEENS1_59segmented_radix_sort_warp_sort_small_config_static_selectorELNS0_4arch9wavefront6targetE1EEEvSK_
; %bb.0:
	s_add_u32 flat_scratch_lo, s6, s10
	s_addc_u32 flat_scratch_hi, s7, 0
	s_add_u32 s0, s0, s10
	s_load_dword s6, s[4:5], 0x64
	s_load_dword s10, s[4:5], 0x34
	s_addc_u32 s1, s1, 0
	v_bfe_u32 v1, v0, 10, 10
	v_bfe_u32 v2, v0, 20, 10
	s_waitcnt lgkmcnt(0)
	s_lshr_b32 s7, s6, 16
	s_and_b32 s6, s6, 0xffff
	v_mad_u32_u24 v1, v2, s7, v1
	v_and_b32_e32 v2, 0x3ff, v0
	v_mad_u64_u32 v[2:3], s[6:7], v1, s6, v[2:3]
	v_lshrrev_b32_e32 v1, 3, v2
	v_lshl_add_u32 v2, s8, 5, v1
	v_cmp_gt_u32_e32 vcc, s10, v2
	s_mov_b32 s32, 0
	s_and_saveexec_b64 s[6:7], vcc
	s_cbranch_execz .LBB209_6
; %bb.1:
	s_load_dwordx2 s[6:7], s[4:5], 0x38
	s_load_dwordx4 s[12:15], s[4:5], 0x40
	v_mov_b32_e32 v3, 0
	v_lshlrev_b64 v[2:3], 2, v[2:3]
	s_waitcnt lgkmcnt(0)
	v_mov_b32_e32 v1, s7
	v_sub_co_u32_e32 v2, vcc, s6, v2
	v_subb_co_u32_e32 v3, vcc, v1, v3, vcc
	global_load_dword v1, v[2:3], off offset:-4
	s_waitcnt vmcnt(0)
	v_add_u32_e32 v2, s13, v1
	v_add_u32_e32 v1, s15, v1
	v_mul_lo_u32 v8, v2, s12
	v_mul_lo_u32 v40, v1, s14
	v_cmp_gt_u32_e32 vcc, v40, v8
	s_and_b64 exec, exec, vcc
	s_cbranch_execz .LBB209_6
; %bb.2:
	s_load_dwordx4 s[44:47], s[4:5], 0x20
	s_load_dword s6, s[4:5], 0x30
	s_load_dwordx8 s[36:43], s[4:5], 0x0
	s_load_dwordx2 s[48:49], s[4:5], 0x50
	s_mov_b32 s34, s8
	s_mov_b32 s33, s9
	s_waitcnt lgkmcnt(0)
	s_bitcmp0_b32 s6, 0
	s_mov_b64 s[6:7], -1
	s_cbranch_scc0 .LBB209_4
; %bb.3:
	s_add_u32 s8, s4, 0x58
	s_mov_b64 s[6:7], src_shared_base
	s_addc_u32 s9, s5, 0
	s_mov_b32 s12, s34
	s_mov_b32 s13, s33
	v_mov_b32_e32 v31, v0
	v_mov_b32_e32 v41, v0
	v_mov_b32_e32 v0, s36
	v_mov_b32_e32 v1, s37
	v_mov_b32_e32 v2, s38
	v_mov_b32_e32 v3, s39
	v_mov_b32_e32 v4, s42
	v_mov_b32_e32 v5, s43
	v_mov_b32_e32 v6, s44
	v_mov_b32_e32 v7, s45
	v_mov_b32_e32 v9, v40
	v_mov_b32_e32 v10, s48
	v_mov_b32_e32 v11, s49
	v_mov_b32_e32 v12, 0
	v_mov_b32_e32 v13, s7
	s_getpc_b64 s[10:11]
	s_add_u32 s10, s10, _ZN7rocprim17ROCPRIM_400000_NS6detail26segmented_warp_sort_helperINS1_20WarpSortHelperConfigILj8ELj4ELj256EEEhlLi256ELb0EvE4sortIPKhPhPKlPlEEvT_T0_T1_T2_jjjjRNS5_12storage_typeE@rel32@lo+4
	s_addc_u32 s11, s11, _ZN7rocprim17ROCPRIM_400000_NS6detail26segmented_warp_sort_helperINS1_20WarpSortHelperConfigILj8ELj4ELj256EEEhlLi256ELb0EvE4sortIPKhPhPKlPlEEvT_T0_T1_T2_jjjjRNS5_12storage_typeE@rel32@hi+12
	s_mov_b64 s[38:39], s[4:5]
	s_swappc_b64 s[30:31], s[10:11]
	v_mov_b32_e32 v0, v41
	s_mov_b64 s[4:5], s[38:39]
	s_mov_b64 s[6:7], 0
.LBB209_4:
	s_andn2_b64 vcc, exec, s[6:7]
	s_cbranch_vccnz .LBB209_6
; %bb.5:
	s_add_u32 s8, s4, 0x58
	s_addc_u32 s9, s5, 0
	s_mov_b64 s[4:5], src_shared_base
	s_mov_b32 s12, s34
	s_mov_b32 s13, s33
	v_mov_b32_e32 v31, v0
	v_mov_b32_e32 v0, s36
	;; [unrolled: 1-line block ×14, first 2 shown]
	s_getpc_b64 s[6:7]
	s_add_u32 s6, s6, _ZN7rocprim17ROCPRIM_400000_NS6detail26segmented_warp_sort_helperINS1_20WarpSortHelperConfigILj8ELj4ELj256EEEhlLi256ELb0EvE4sortIPKhPhPKlPlEEvT_T0_T1_T2_jjjjRNS5_12storage_typeE@rel32@lo+4
	s_addc_u32 s7, s7, _ZN7rocprim17ROCPRIM_400000_NS6detail26segmented_warp_sort_helperINS1_20WarpSortHelperConfigILj8ELj4ELj256EEEhlLi256ELb0EvE4sortIPKhPhPKlPlEEvT_T0_T1_T2_jjjjRNS5_12storage_typeE@rel32@hi+12
	s_swappc_b64 s[30:31], s[6:7]
.LBB209_6:
	s_endpgm
	.section	.rodata,"a",@progbits
	.p2align	6, 0x0
	.amdhsa_kernel _ZN7rocprim17ROCPRIM_400000_NS6detail17trampoline_kernelINS0_14default_configENS1_36segmented_radix_sort_config_selectorIhlEEZNS1_25segmented_radix_sort_implIS3_Lb0EPKhPhPKlPlN2at6native12_GLOBAL__N_18offset_tEEE10hipError_tPvRmT1_PNSt15iterator_traitsISK_E10value_typeET2_T3_PNSL_ISQ_E10value_typeET4_jRbjT5_SW_jjP12ihipStream_tbEUlT_E1_NS1_11comp_targetILNS1_3genE4ELNS1_11target_archE910ELNS1_3gpuE8ELNS1_3repE0EEENS1_59segmented_radix_sort_warp_sort_small_config_static_selectorELNS0_4arch9wavefront6targetE1EEEvSK_
		.amdhsa_group_segment_fixed_size 9216
		.amdhsa_private_segment_fixed_size 0
		.amdhsa_kernarg_size 344
		.amdhsa_user_sgpr_count 8
		.amdhsa_user_sgpr_private_segment_buffer 1
		.amdhsa_user_sgpr_dispatch_ptr 0
		.amdhsa_user_sgpr_queue_ptr 0
		.amdhsa_user_sgpr_kernarg_segment_ptr 1
		.amdhsa_user_sgpr_dispatch_id 0
		.amdhsa_user_sgpr_flat_scratch_init 1
		.amdhsa_user_sgpr_kernarg_preload_length 0
		.amdhsa_user_sgpr_kernarg_preload_offset 0
		.amdhsa_user_sgpr_private_segment_size 0
		.amdhsa_uses_dynamic_stack 0
		.amdhsa_system_sgpr_private_segment_wavefront_offset 0
		.amdhsa_system_sgpr_workgroup_id_x 1
		.amdhsa_system_sgpr_workgroup_id_y 1
		.amdhsa_system_sgpr_workgroup_id_z 0
		.amdhsa_system_sgpr_workgroup_info 0
		.amdhsa_system_vgpr_workitem_id 2
		.amdhsa_next_free_vgpr 67
		.amdhsa_next_free_sgpr 50
		.amdhsa_accum_offset 68
		.amdhsa_reserve_vcc 1
		.amdhsa_reserve_flat_scratch 1
		.amdhsa_float_round_mode_32 0
		.amdhsa_float_round_mode_16_64 0
		.amdhsa_float_denorm_mode_32 3
		.amdhsa_float_denorm_mode_16_64 3
		.amdhsa_dx10_clamp 1
		.amdhsa_ieee_mode 1
		.amdhsa_fp16_overflow 0
		.amdhsa_tg_split 0
		.amdhsa_exception_fp_ieee_invalid_op 0
		.amdhsa_exception_fp_denorm_src 0
		.amdhsa_exception_fp_ieee_div_zero 0
		.amdhsa_exception_fp_ieee_overflow 0
		.amdhsa_exception_fp_ieee_underflow 0
		.amdhsa_exception_fp_ieee_inexact 0
		.amdhsa_exception_int_div_zero 0
	.end_amdhsa_kernel
	.section	.text._ZN7rocprim17ROCPRIM_400000_NS6detail17trampoline_kernelINS0_14default_configENS1_36segmented_radix_sort_config_selectorIhlEEZNS1_25segmented_radix_sort_implIS3_Lb0EPKhPhPKlPlN2at6native12_GLOBAL__N_18offset_tEEE10hipError_tPvRmT1_PNSt15iterator_traitsISK_E10value_typeET2_T3_PNSL_ISQ_E10value_typeET4_jRbjT5_SW_jjP12ihipStream_tbEUlT_E1_NS1_11comp_targetILNS1_3genE4ELNS1_11target_archE910ELNS1_3gpuE8ELNS1_3repE0EEENS1_59segmented_radix_sort_warp_sort_small_config_static_selectorELNS0_4arch9wavefront6targetE1EEEvSK_,"axG",@progbits,_ZN7rocprim17ROCPRIM_400000_NS6detail17trampoline_kernelINS0_14default_configENS1_36segmented_radix_sort_config_selectorIhlEEZNS1_25segmented_radix_sort_implIS3_Lb0EPKhPhPKlPlN2at6native12_GLOBAL__N_18offset_tEEE10hipError_tPvRmT1_PNSt15iterator_traitsISK_E10value_typeET2_T3_PNSL_ISQ_E10value_typeET4_jRbjT5_SW_jjP12ihipStream_tbEUlT_E1_NS1_11comp_targetILNS1_3genE4ELNS1_11target_archE910ELNS1_3gpuE8ELNS1_3repE0EEENS1_59segmented_radix_sort_warp_sort_small_config_static_selectorELNS0_4arch9wavefront6targetE1EEEvSK_,comdat
.Lfunc_end209:
	.size	_ZN7rocprim17ROCPRIM_400000_NS6detail17trampoline_kernelINS0_14default_configENS1_36segmented_radix_sort_config_selectorIhlEEZNS1_25segmented_radix_sort_implIS3_Lb0EPKhPhPKlPlN2at6native12_GLOBAL__N_18offset_tEEE10hipError_tPvRmT1_PNSt15iterator_traitsISK_E10value_typeET2_T3_PNSL_ISQ_E10value_typeET4_jRbjT5_SW_jjP12ihipStream_tbEUlT_E1_NS1_11comp_targetILNS1_3genE4ELNS1_11target_archE910ELNS1_3gpuE8ELNS1_3repE0EEENS1_59segmented_radix_sort_warp_sort_small_config_static_selectorELNS0_4arch9wavefront6targetE1EEEvSK_, .Lfunc_end209-_ZN7rocprim17ROCPRIM_400000_NS6detail17trampoline_kernelINS0_14default_configENS1_36segmented_radix_sort_config_selectorIhlEEZNS1_25segmented_radix_sort_implIS3_Lb0EPKhPhPKlPlN2at6native12_GLOBAL__N_18offset_tEEE10hipError_tPvRmT1_PNSt15iterator_traitsISK_E10value_typeET2_T3_PNSL_ISQ_E10value_typeET4_jRbjT5_SW_jjP12ihipStream_tbEUlT_E1_NS1_11comp_targetILNS1_3genE4ELNS1_11target_archE910ELNS1_3gpuE8ELNS1_3repE0EEENS1_59segmented_radix_sort_warp_sort_small_config_static_selectorELNS0_4arch9wavefront6targetE1EEEvSK_
                                        ; -- End function
	.section	.AMDGPU.csdata,"",@progbits
; Kernel info:
; codeLenInByte = 504
; NumSgprs: 56
; NumVgprs: 67
; NumAgprs: 0
; TotalNumVgprs: 67
; ScratchSize: 0
; MemoryBound: 0
; FloatMode: 240
; IeeeMode: 1
; LDSByteSize: 9216 bytes/workgroup (compile time only)
; SGPRBlocks: 6
; VGPRBlocks: 8
; NumSGPRsForWavesPerEU: 56
; NumVGPRsForWavesPerEU: 67
; AccumOffset: 68
; Occupancy: 7
; WaveLimiterHint : 0
; COMPUTE_PGM_RSRC2:SCRATCH_EN: 0
; COMPUTE_PGM_RSRC2:USER_SGPR: 8
; COMPUTE_PGM_RSRC2:TRAP_HANDLER: 0
; COMPUTE_PGM_RSRC2:TGID_X_EN: 1
; COMPUTE_PGM_RSRC2:TGID_Y_EN: 1
; COMPUTE_PGM_RSRC2:TGID_Z_EN: 0
; COMPUTE_PGM_RSRC2:TIDIG_COMP_CNT: 2
; COMPUTE_PGM_RSRC3_GFX90A:ACCUM_OFFSET: 16
; COMPUTE_PGM_RSRC3_GFX90A:TG_SPLIT: 0
	.section	.text._ZN7rocprim17ROCPRIM_400000_NS6detail17trampoline_kernelINS0_14default_configENS1_36segmented_radix_sort_config_selectorIhlEEZNS1_25segmented_radix_sort_implIS3_Lb0EPKhPhPKlPlN2at6native12_GLOBAL__N_18offset_tEEE10hipError_tPvRmT1_PNSt15iterator_traitsISK_E10value_typeET2_T3_PNSL_ISQ_E10value_typeET4_jRbjT5_SW_jjP12ihipStream_tbEUlT_E1_NS1_11comp_targetILNS1_3genE3ELNS1_11target_archE908ELNS1_3gpuE7ELNS1_3repE0EEENS1_59segmented_radix_sort_warp_sort_small_config_static_selectorELNS0_4arch9wavefront6targetE1EEEvSK_,"axG",@progbits,_ZN7rocprim17ROCPRIM_400000_NS6detail17trampoline_kernelINS0_14default_configENS1_36segmented_radix_sort_config_selectorIhlEEZNS1_25segmented_radix_sort_implIS3_Lb0EPKhPhPKlPlN2at6native12_GLOBAL__N_18offset_tEEE10hipError_tPvRmT1_PNSt15iterator_traitsISK_E10value_typeET2_T3_PNSL_ISQ_E10value_typeET4_jRbjT5_SW_jjP12ihipStream_tbEUlT_E1_NS1_11comp_targetILNS1_3genE3ELNS1_11target_archE908ELNS1_3gpuE7ELNS1_3repE0EEENS1_59segmented_radix_sort_warp_sort_small_config_static_selectorELNS0_4arch9wavefront6targetE1EEEvSK_,comdat
	.globl	_ZN7rocprim17ROCPRIM_400000_NS6detail17trampoline_kernelINS0_14default_configENS1_36segmented_radix_sort_config_selectorIhlEEZNS1_25segmented_radix_sort_implIS3_Lb0EPKhPhPKlPlN2at6native12_GLOBAL__N_18offset_tEEE10hipError_tPvRmT1_PNSt15iterator_traitsISK_E10value_typeET2_T3_PNSL_ISQ_E10value_typeET4_jRbjT5_SW_jjP12ihipStream_tbEUlT_E1_NS1_11comp_targetILNS1_3genE3ELNS1_11target_archE908ELNS1_3gpuE7ELNS1_3repE0EEENS1_59segmented_radix_sort_warp_sort_small_config_static_selectorELNS0_4arch9wavefront6targetE1EEEvSK_ ; -- Begin function _ZN7rocprim17ROCPRIM_400000_NS6detail17trampoline_kernelINS0_14default_configENS1_36segmented_radix_sort_config_selectorIhlEEZNS1_25segmented_radix_sort_implIS3_Lb0EPKhPhPKlPlN2at6native12_GLOBAL__N_18offset_tEEE10hipError_tPvRmT1_PNSt15iterator_traitsISK_E10value_typeET2_T3_PNSL_ISQ_E10value_typeET4_jRbjT5_SW_jjP12ihipStream_tbEUlT_E1_NS1_11comp_targetILNS1_3genE3ELNS1_11target_archE908ELNS1_3gpuE7ELNS1_3repE0EEENS1_59segmented_radix_sort_warp_sort_small_config_static_selectorELNS0_4arch9wavefront6targetE1EEEvSK_
	.p2align	8
	.type	_ZN7rocprim17ROCPRIM_400000_NS6detail17trampoline_kernelINS0_14default_configENS1_36segmented_radix_sort_config_selectorIhlEEZNS1_25segmented_radix_sort_implIS3_Lb0EPKhPhPKlPlN2at6native12_GLOBAL__N_18offset_tEEE10hipError_tPvRmT1_PNSt15iterator_traitsISK_E10value_typeET2_T3_PNSL_ISQ_E10value_typeET4_jRbjT5_SW_jjP12ihipStream_tbEUlT_E1_NS1_11comp_targetILNS1_3genE3ELNS1_11target_archE908ELNS1_3gpuE7ELNS1_3repE0EEENS1_59segmented_radix_sort_warp_sort_small_config_static_selectorELNS0_4arch9wavefront6targetE1EEEvSK_,@function
_ZN7rocprim17ROCPRIM_400000_NS6detail17trampoline_kernelINS0_14default_configENS1_36segmented_radix_sort_config_selectorIhlEEZNS1_25segmented_radix_sort_implIS3_Lb0EPKhPhPKlPlN2at6native12_GLOBAL__N_18offset_tEEE10hipError_tPvRmT1_PNSt15iterator_traitsISK_E10value_typeET2_T3_PNSL_ISQ_E10value_typeET4_jRbjT5_SW_jjP12ihipStream_tbEUlT_E1_NS1_11comp_targetILNS1_3genE3ELNS1_11target_archE908ELNS1_3gpuE7ELNS1_3repE0EEENS1_59segmented_radix_sort_warp_sort_small_config_static_selectorELNS0_4arch9wavefront6targetE1EEEvSK_: ; @_ZN7rocprim17ROCPRIM_400000_NS6detail17trampoline_kernelINS0_14default_configENS1_36segmented_radix_sort_config_selectorIhlEEZNS1_25segmented_radix_sort_implIS3_Lb0EPKhPhPKlPlN2at6native12_GLOBAL__N_18offset_tEEE10hipError_tPvRmT1_PNSt15iterator_traitsISK_E10value_typeET2_T3_PNSL_ISQ_E10value_typeET4_jRbjT5_SW_jjP12ihipStream_tbEUlT_E1_NS1_11comp_targetILNS1_3genE3ELNS1_11target_archE908ELNS1_3gpuE7ELNS1_3repE0EEENS1_59segmented_radix_sort_warp_sort_small_config_static_selectorELNS0_4arch9wavefront6targetE1EEEvSK_
; %bb.0:
	.section	.rodata,"a",@progbits
	.p2align	6, 0x0
	.amdhsa_kernel _ZN7rocprim17ROCPRIM_400000_NS6detail17trampoline_kernelINS0_14default_configENS1_36segmented_radix_sort_config_selectorIhlEEZNS1_25segmented_radix_sort_implIS3_Lb0EPKhPhPKlPlN2at6native12_GLOBAL__N_18offset_tEEE10hipError_tPvRmT1_PNSt15iterator_traitsISK_E10value_typeET2_T3_PNSL_ISQ_E10value_typeET4_jRbjT5_SW_jjP12ihipStream_tbEUlT_E1_NS1_11comp_targetILNS1_3genE3ELNS1_11target_archE908ELNS1_3gpuE7ELNS1_3repE0EEENS1_59segmented_radix_sort_warp_sort_small_config_static_selectorELNS0_4arch9wavefront6targetE1EEEvSK_
		.amdhsa_group_segment_fixed_size 0
		.amdhsa_private_segment_fixed_size 0
		.amdhsa_kernarg_size 88
		.amdhsa_user_sgpr_count 6
		.amdhsa_user_sgpr_private_segment_buffer 1
		.amdhsa_user_sgpr_dispatch_ptr 0
		.amdhsa_user_sgpr_queue_ptr 0
		.amdhsa_user_sgpr_kernarg_segment_ptr 1
		.amdhsa_user_sgpr_dispatch_id 0
		.amdhsa_user_sgpr_flat_scratch_init 0
		.amdhsa_user_sgpr_kernarg_preload_length 0
		.amdhsa_user_sgpr_kernarg_preload_offset 0
		.amdhsa_user_sgpr_private_segment_size 0
		.amdhsa_uses_dynamic_stack 0
		.amdhsa_system_sgpr_private_segment_wavefront_offset 0
		.amdhsa_system_sgpr_workgroup_id_x 1
		.amdhsa_system_sgpr_workgroup_id_y 0
		.amdhsa_system_sgpr_workgroup_id_z 0
		.amdhsa_system_sgpr_workgroup_info 0
		.amdhsa_system_vgpr_workitem_id 0
		.amdhsa_next_free_vgpr 1
		.amdhsa_next_free_sgpr 0
		.amdhsa_accum_offset 4
		.amdhsa_reserve_vcc 0
		.amdhsa_reserve_flat_scratch 0
		.amdhsa_float_round_mode_32 0
		.amdhsa_float_round_mode_16_64 0
		.amdhsa_float_denorm_mode_32 3
		.amdhsa_float_denorm_mode_16_64 3
		.amdhsa_dx10_clamp 1
		.amdhsa_ieee_mode 1
		.amdhsa_fp16_overflow 0
		.amdhsa_tg_split 0
		.amdhsa_exception_fp_ieee_invalid_op 0
		.amdhsa_exception_fp_denorm_src 0
		.amdhsa_exception_fp_ieee_div_zero 0
		.amdhsa_exception_fp_ieee_overflow 0
		.amdhsa_exception_fp_ieee_underflow 0
		.amdhsa_exception_fp_ieee_inexact 0
		.amdhsa_exception_int_div_zero 0
	.end_amdhsa_kernel
	.section	.text._ZN7rocprim17ROCPRIM_400000_NS6detail17trampoline_kernelINS0_14default_configENS1_36segmented_radix_sort_config_selectorIhlEEZNS1_25segmented_radix_sort_implIS3_Lb0EPKhPhPKlPlN2at6native12_GLOBAL__N_18offset_tEEE10hipError_tPvRmT1_PNSt15iterator_traitsISK_E10value_typeET2_T3_PNSL_ISQ_E10value_typeET4_jRbjT5_SW_jjP12ihipStream_tbEUlT_E1_NS1_11comp_targetILNS1_3genE3ELNS1_11target_archE908ELNS1_3gpuE7ELNS1_3repE0EEENS1_59segmented_radix_sort_warp_sort_small_config_static_selectorELNS0_4arch9wavefront6targetE1EEEvSK_,"axG",@progbits,_ZN7rocprim17ROCPRIM_400000_NS6detail17trampoline_kernelINS0_14default_configENS1_36segmented_radix_sort_config_selectorIhlEEZNS1_25segmented_radix_sort_implIS3_Lb0EPKhPhPKlPlN2at6native12_GLOBAL__N_18offset_tEEE10hipError_tPvRmT1_PNSt15iterator_traitsISK_E10value_typeET2_T3_PNSL_ISQ_E10value_typeET4_jRbjT5_SW_jjP12ihipStream_tbEUlT_E1_NS1_11comp_targetILNS1_3genE3ELNS1_11target_archE908ELNS1_3gpuE7ELNS1_3repE0EEENS1_59segmented_radix_sort_warp_sort_small_config_static_selectorELNS0_4arch9wavefront6targetE1EEEvSK_,comdat
.Lfunc_end210:
	.size	_ZN7rocprim17ROCPRIM_400000_NS6detail17trampoline_kernelINS0_14default_configENS1_36segmented_radix_sort_config_selectorIhlEEZNS1_25segmented_radix_sort_implIS3_Lb0EPKhPhPKlPlN2at6native12_GLOBAL__N_18offset_tEEE10hipError_tPvRmT1_PNSt15iterator_traitsISK_E10value_typeET2_T3_PNSL_ISQ_E10value_typeET4_jRbjT5_SW_jjP12ihipStream_tbEUlT_E1_NS1_11comp_targetILNS1_3genE3ELNS1_11target_archE908ELNS1_3gpuE7ELNS1_3repE0EEENS1_59segmented_radix_sort_warp_sort_small_config_static_selectorELNS0_4arch9wavefront6targetE1EEEvSK_, .Lfunc_end210-_ZN7rocprim17ROCPRIM_400000_NS6detail17trampoline_kernelINS0_14default_configENS1_36segmented_radix_sort_config_selectorIhlEEZNS1_25segmented_radix_sort_implIS3_Lb0EPKhPhPKlPlN2at6native12_GLOBAL__N_18offset_tEEE10hipError_tPvRmT1_PNSt15iterator_traitsISK_E10value_typeET2_T3_PNSL_ISQ_E10value_typeET4_jRbjT5_SW_jjP12ihipStream_tbEUlT_E1_NS1_11comp_targetILNS1_3genE3ELNS1_11target_archE908ELNS1_3gpuE7ELNS1_3repE0EEENS1_59segmented_radix_sort_warp_sort_small_config_static_selectorELNS0_4arch9wavefront6targetE1EEEvSK_
                                        ; -- End function
	.section	.AMDGPU.csdata,"",@progbits
; Kernel info:
; codeLenInByte = 0
; NumSgprs: 4
; NumVgprs: 0
; NumAgprs: 0
; TotalNumVgprs: 0
; ScratchSize: 0
; MemoryBound: 0
; FloatMode: 240
; IeeeMode: 1
; LDSByteSize: 0 bytes/workgroup (compile time only)
; SGPRBlocks: 0
; VGPRBlocks: 0
; NumSGPRsForWavesPerEU: 4
; NumVGPRsForWavesPerEU: 1
; AccumOffset: 4
; Occupancy: 8
; WaveLimiterHint : 0
; COMPUTE_PGM_RSRC2:SCRATCH_EN: 0
; COMPUTE_PGM_RSRC2:USER_SGPR: 6
; COMPUTE_PGM_RSRC2:TRAP_HANDLER: 0
; COMPUTE_PGM_RSRC2:TGID_X_EN: 1
; COMPUTE_PGM_RSRC2:TGID_Y_EN: 0
; COMPUTE_PGM_RSRC2:TGID_Z_EN: 0
; COMPUTE_PGM_RSRC2:TIDIG_COMP_CNT: 0
; COMPUTE_PGM_RSRC3_GFX90A:ACCUM_OFFSET: 0
; COMPUTE_PGM_RSRC3_GFX90A:TG_SPLIT: 0
	.section	.text._ZN7rocprim17ROCPRIM_400000_NS6detail17trampoline_kernelINS0_14default_configENS1_36segmented_radix_sort_config_selectorIhlEEZNS1_25segmented_radix_sort_implIS3_Lb0EPKhPhPKlPlN2at6native12_GLOBAL__N_18offset_tEEE10hipError_tPvRmT1_PNSt15iterator_traitsISK_E10value_typeET2_T3_PNSL_ISQ_E10value_typeET4_jRbjT5_SW_jjP12ihipStream_tbEUlT_E1_NS1_11comp_targetILNS1_3genE2ELNS1_11target_archE906ELNS1_3gpuE6ELNS1_3repE0EEENS1_59segmented_radix_sort_warp_sort_small_config_static_selectorELNS0_4arch9wavefront6targetE1EEEvSK_,"axG",@progbits,_ZN7rocprim17ROCPRIM_400000_NS6detail17trampoline_kernelINS0_14default_configENS1_36segmented_radix_sort_config_selectorIhlEEZNS1_25segmented_radix_sort_implIS3_Lb0EPKhPhPKlPlN2at6native12_GLOBAL__N_18offset_tEEE10hipError_tPvRmT1_PNSt15iterator_traitsISK_E10value_typeET2_T3_PNSL_ISQ_E10value_typeET4_jRbjT5_SW_jjP12ihipStream_tbEUlT_E1_NS1_11comp_targetILNS1_3genE2ELNS1_11target_archE906ELNS1_3gpuE6ELNS1_3repE0EEENS1_59segmented_radix_sort_warp_sort_small_config_static_selectorELNS0_4arch9wavefront6targetE1EEEvSK_,comdat
	.globl	_ZN7rocprim17ROCPRIM_400000_NS6detail17trampoline_kernelINS0_14default_configENS1_36segmented_radix_sort_config_selectorIhlEEZNS1_25segmented_radix_sort_implIS3_Lb0EPKhPhPKlPlN2at6native12_GLOBAL__N_18offset_tEEE10hipError_tPvRmT1_PNSt15iterator_traitsISK_E10value_typeET2_T3_PNSL_ISQ_E10value_typeET4_jRbjT5_SW_jjP12ihipStream_tbEUlT_E1_NS1_11comp_targetILNS1_3genE2ELNS1_11target_archE906ELNS1_3gpuE6ELNS1_3repE0EEENS1_59segmented_radix_sort_warp_sort_small_config_static_selectorELNS0_4arch9wavefront6targetE1EEEvSK_ ; -- Begin function _ZN7rocprim17ROCPRIM_400000_NS6detail17trampoline_kernelINS0_14default_configENS1_36segmented_radix_sort_config_selectorIhlEEZNS1_25segmented_radix_sort_implIS3_Lb0EPKhPhPKlPlN2at6native12_GLOBAL__N_18offset_tEEE10hipError_tPvRmT1_PNSt15iterator_traitsISK_E10value_typeET2_T3_PNSL_ISQ_E10value_typeET4_jRbjT5_SW_jjP12ihipStream_tbEUlT_E1_NS1_11comp_targetILNS1_3genE2ELNS1_11target_archE906ELNS1_3gpuE6ELNS1_3repE0EEENS1_59segmented_radix_sort_warp_sort_small_config_static_selectorELNS0_4arch9wavefront6targetE1EEEvSK_
	.p2align	8
	.type	_ZN7rocprim17ROCPRIM_400000_NS6detail17trampoline_kernelINS0_14default_configENS1_36segmented_radix_sort_config_selectorIhlEEZNS1_25segmented_radix_sort_implIS3_Lb0EPKhPhPKlPlN2at6native12_GLOBAL__N_18offset_tEEE10hipError_tPvRmT1_PNSt15iterator_traitsISK_E10value_typeET2_T3_PNSL_ISQ_E10value_typeET4_jRbjT5_SW_jjP12ihipStream_tbEUlT_E1_NS1_11comp_targetILNS1_3genE2ELNS1_11target_archE906ELNS1_3gpuE6ELNS1_3repE0EEENS1_59segmented_radix_sort_warp_sort_small_config_static_selectorELNS0_4arch9wavefront6targetE1EEEvSK_,@function
_ZN7rocprim17ROCPRIM_400000_NS6detail17trampoline_kernelINS0_14default_configENS1_36segmented_radix_sort_config_selectorIhlEEZNS1_25segmented_radix_sort_implIS3_Lb0EPKhPhPKlPlN2at6native12_GLOBAL__N_18offset_tEEE10hipError_tPvRmT1_PNSt15iterator_traitsISK_E10value_typeET2_T3_PNSL_ISQ_E10value_typeET4_jRbjT5_SW_jjP12ihipStream_tbEUlT_E1_NS1_11comp_targetILNS1_3genE2ELNS1_11target_archE906ELNS1_3gpuE6ELNS1_3repE0EEENS1_59segmented_radix_sort_warp_sort_small_config_static_selectorELNS0_4arch9wavefront6targetE1EEEvSK_: ; @_ZN7rocprim17ROCPRIM_400000_NS6detail17trampoline_kernelINS0_14default_configENS1_36segmented_radix_sort_config_selectorIhlEEZNS1_25segmented_radix_sort_implIS3_Lb0EPKhPhPKlPlN2at6native12_GLOBAL__N_18offset_tEEE10hipError_tPvRmT1_PNSt15iterator_traitsISK_E10value_typeET2_T3_PNSL_ISQ_E10value_typeET4_jRbjT5_SW_jjP12ihipStream_tbEUlT_E1_NS1_11comp_targetILNS1_3genE2ELNS1_11target_archE906ELNS1_3gpuE6ELNS1_3repE0EEENS1_59segmented_radix_sort_warp_sort_small_config_static_selectorELNS0_4arch9wavefront6targetE1EEEvSK_
; %bb.0:
	.section	.rodata,"a",@progbits
	.p2align	6, 0x0
	.amdhsa_kernel _ZN7rocprim17ROCPRIM_400000_NS6detail17trampoline_kernelINS0_14default_configENS1_36segmented_radix_sort_config_selectorIhlEEZNS1_25segmented_radix_sort_implIS3_Lb0EPKhPhPKlPlN2at6native12_GLOBAL__N_18offset_tEEE10hipError_tPvRmT1_PNSt15iterator_traitsISK_E10value_typeET2_T3_PNSL_ISQ_E10value_typeET4_jRbjT5_SW_jjP12ihipStream_tbEUlT_E1_NS1_11comp_targetILNS1_3genE2ELNS1_11target_archE906ELNS1_3gpuE6ELNS1_3repE0EEENS1_59segmented_radix_sort_warp_sort_small_config_static_selectorELNS0_4arch9wavefront6targetE1EEEvSK_
		.amdhsa_group_segment_fixed_size 0
		.amdhsa_private_segment_fixed_size 0
		.amdhsa_kernarg_size 88
		.amdhsa_user_sgpr_count 6
		.amdhsa_user_sgpr_private_segment_buffer 1
		.amdhsa_user_sgpr_dispatch_ptr 0
		.amdhsa_user_sgpr_queue_ptr 0
		.amdhsa_user_sgpr_kernarg_segment_ptr 1
		.amdhsa_user_sgpr_dispatch_id 0
		.amdhsa_user_sgpr_flat_scratch_init 0
		.amdhsa_user_sgpr_kernarg_preload_length 0
		.amdhsa_user_sgpr_kernarg_preload_offset 0
		.amdhsa_user_sgpr_private_segment_size 0
		.amdhsa_uses_dynamic_stack 0
		.amdhsa_system_sgpr_private_segment_wavefront_offset 0
		.amdhsa_system_sgpr_workgroup_id_x 1
		.amdhsa_system_sgpr_workgroup_id_y 0
		.amdhsa_system_sgpr_workgroup_id_z 0
		.amdhsa_system_sgpr_workgroup_info 0
		.amdhsa_system_vgpr_workitem_id 0
		.amdhsa_next_free_vgpr 1
		.amdhsa_next_free_sgpr 0
		.amdhsa_accum_offset 4
		.amdhsa_reserve_vcc 0
		.amdhsa_reserve_flat_scratch 0
		.amdhsa_float_round_mode_32 0
		.amdhsa_float_round_mode_16_64 0
		.amdhsa_float_denorm_mode_32 3
		.amdhsa_float_denorm_mode_16_64 3
		.amdhsa_dx10_clamp 1
		.amdhsa_ieee_mode 1
		.amdhsa_fp16_overflow 0
		.amdhsa_tg_split 0
		.amdhsa_exception_fp_ieee_invalid_op 0
		.amdhsa_exception_fp_denorm_src 0
		.amdhsa_exception_fp_ieee_div_zero 0
		.amdhsa_exception_fp_ieee_overflow 0
		.amdhsa_exception_fp_ieee_underflow 0
		.amdhsa_exception_fp_ieee_inexact 0
		.amdhsa_exception_int_div_zero 0
	.end_amdhsa_kernel
	.section	.text._ZN7rocprim17ROCPRIM_400000_NS6detail17trampoline_kernelINS0_14default_configENS1_36segmented_radix_sort_config_selectorIhlEEZNS1_25segmented_radix_sort_implIS3_Lb0EPKhPhPKlPlN2at6native12_GLOBAL__N_18offset_tEEE10hipError_tPvRmT1_PNSt15iterator_traitsISK_E10value_typeET2_T3_PNSL_ISQ_E10value_typeET4_jRbjT5_SW_jjP12ihipStream_tbEUlT_E1_NS1_11comp_targetILNS1_3genE2ELNS1_11target_archE906ELNS1_3gpuE6ELNS1_3repE0EEENS1_59segmented_radix_sort_warp_sort_small_config_static_selectorELNS0_4arch9wavefront6targetE1EEEvSK_,"axG",@progbits,_ZN7rocprim17ROCPRIM_400000_NS6detail17trampoline_kernelINS0_14default_configENS1_36segmented_radix_sort_config_selectorIhlEEZNS1_25segmented_radix_sort_implIS3_Lb0EPKhPhPKlPlN2at6native12_GLOBAL__N_18offset_tEEE10hipError_tPvRmT1_PNSt15iterator_traitsISK_E10value_typeET2_T3_PNSL_ISQ_E10value_typeET4_jRbjT5_SW_jjP12ihipStream_tbEUlT_E1_NS1_11comp_targetILNS1_3genE2ELNS1_11target_archE906ELNS1_3gpuE6ELNS1_3repE0EEENS1_59segmented_radix_sort_warp_sort_small_config_static_selectorELNS0_4arch9wavefront6targetE1EEEvSK_,comdat
.Lfunc_end211:
	.size	_ZN7rocprim17ROCPRIM_400000_NS6detail17trampoline_kernelINS0_14default_configENS1_36segmented_radix_sort_config_selectorIhlEEZNS1_25segmented_radix_sort_implIS3_Lb0EPKhPhPKlPlN2at6native12_GLOBAL__N_18offset_tEEE10hipError_tPvRmT1_PNSt15iterator_traitsISK_E10value_typeET2_T3_PNSL_ISQ_E10value_typeET4_jRbjT5_SW_jjP12ihipStream_tbEUlT_E1_NS1_11comp_targetILNS1_3genE2ELNS1_11target_archE906ELNS1_3gpuE6ELNS1_3repE0EEENS1_59segmented_radix_sort_warp_sort_small_config_static_selectorELNS0_4arch9wavefront6targetE1EEEvSK_, .Lfunc_end211-_ZN7rocprim17ROCPRIM_400000_NS6detail17trampoline_kernelINS0_14default_configENS1_36segmented_radix_sort_config_selectorIhlEEZNS1_25segmented_radix_sort_implIS3_Lb0EPKhPhPKlPlN2at6native12_GLOBAL__N_18offset_tEEE10hipError_tPvRmT1_PNSt15iterator_traitsISK_E10value_typeET2_T3_PNSL_ISQ_E10value_typeET4_jRbjT5_SW_jjP12ihipStream_tbEUlT_E1_NS1_11comp_targetILNS1_3genE2ELNS1_11target_archE906ELNS1_3gpuE6ELNS1_3repE0EEENS1_59segmented_radix_sort_warp_sort_small_config_static_selectorELNS0_4arch9wavefront6targetE1EEEvSK_
                                        ; -- End function
	.section	.AMDGPU.csdata,"",@progbits
; Kernel info:
; codeLenInByte = 0
; NumSgprs: 4
; NumVgprs: 0
; NumAgprs: 0
; TotalNumVgprs: 0
; ScratchSize: 0
; MemoryBound: 0
; FloatMode: 240
; IeeeMode: 1
; LDSByteSize: 0 bytes/workgroup (compile time only)
; SGPRBlocks: 0
; VGPRBlocks: 0
; NumSGPRsForWavesPerEU: 4
; NumVGPRsForWavesPerEU: 1
; AccumOffset: 4
; Occupancy: 8
; WaveLimiterHint : 0
; COMPUTE_PGM_RSRC2:SCRATCH_EN: 0
; COMPUTE_PGM_RSRC2:USER_SGPR: 6
; COMPUTE_PGM_RSRC2:TRAP_HANDLER: 0
; COMPUTE_PGM_RSRC2:TGID_X_EN: 1
; COMPUTE_PGM_RSRC2:TGID_Y_EN: 0
; COMPUTE_PGM_RSRC2:TGID_Z_EN: 0
; COMPUTE_PGM_RSRC2:TIDIG_COMP_CNT: 0
; COMPUTE_PGM_RSRC3_GFX90A:ACCUM_OFFSET: 0
; COMPUTE_PGM_RSRC3_GFX90A:TG_SPLIT: 0
	.section	.text._ZN7rocprim17ROCPRIM_400000_NS6detail17trampoline_kernelINS0_14default_configENS1_36segmented_radix_sort_config_selectorIhlEEZNS1_25segmented_radix_sort_implIS3_Lb0EPKhPhPKlPlN2at6native12_GLOBAL__N_18offset_tEEE10hipError_tPvRmT1_PNSt15iterator_traitsISK_E10value_typeET2_T3_PNSL_ISQ_E10value_typeET4_jRbjT5_SW_jjP12ihipStream_tbEUlT_E1_NS1_11comp_targetILNS1_3genE10ELNS1_11target_archE1201ELNS1_3gpuE5ELNS1_3repE0EEENS1_59segmented_radix_sort_warp_sort_small_config_static_selectorELNS0_4arch9wavefront6targetE1EEEvSK_,"axG",@progbits,_ZN7rocprim17ROCPRIM_400000_NS6detail17trampoline_kernelINS0_14default_configENS1_36segmented_radix_sort_config_selectorIhlEEZNS1_25segmented_radix_sort_implIS3_Lb0EPKhPhPKlPlN2at6native12_GLOBAL__N_18offset_tEEE10hipError_tPvRmT1_PNSt15iterator_traitsISK_E10value_typeET2_T3_PNSL_ISQ_E10value_typeET4_jRbjT5_SW_jjP12ihipStream_tbEUlT_E1_NS1_11comp_targetILNS1_3genE10ELNS1_11target_archE1201ELNS1_3gpuE5ELNS1_3repE0EEENS1_59segmented_radix_sort_warp_sort_small_config_static_selectorELNS0_4arch9wavefront6targetE1EEEvSK_,comdat
	.globl	_ZN7rocprim17ROCPRIM_400000_NS6detail17trampoline_kernelINS0_14default_configENS1_36segmented_radix_sort_config_selectorIhlEEZNS1_25segmented_radix_sort_implIS3_Lb0EPKhPhPKlPlN2at6native12_GLOBAL__N_18offset_tEEE10hipError_tPvRmT1_PNSt15iterator_traitsISK_E10value_typeET2_T3_PNSL_ISQ_E10value_typeET4_jRbjT5_SW_jjP12ihipStream_tbEUlT_E1_NS1_11comp_targetILNS1_3genE10ELNS1_11target_archE1201ELNS1_3gpuE5ELNS1_3repE0EEENS1_59segmented_radix_sort_warp_sort_small_config_static_selectorELNS0_4arch9wavefront6targetE1EEEvSK_ ; -- Begin function _ZN7rocprim17ROCPRIM_400000_NS6detail17trampoline_kernelINS0_14default_configENS1_36segmented_radix_sort_config_selectorIhlEEZNS1_25segmented_radix_sort_implIS3_Lb0EPKhPhPKlPlN2at6native12_GLOBAL__N_18offset_tEEE10hipError_tPvRmT1_PNSt15iterator_traitsISK_E10value_typeET2_T3_PNSL_ISQ_E10value_typeET4_jRbjT5_SW_jjP12ihipStream_tbEUlT_E1_NS1_11comp_targetILNS1_3genE10ELNS1_11target_archE1201ELNS1_3gpuE5ELNS1_3repE0EEENS1_59segmented_radix_sort_warp_sort_small_config_static_selectorELNS0_4arch9wavefront6targetE1EEEvSK_
	.p2align	8
	.type	_ZN7rocprim17ROCPRIM_400000_NS6detail17trampoline_kernelINS0_14default_configENS1_36segmented_radix_sort_config_selectorIhlEEZNS1_25segmented_radix_sort_implIS3_Lb0EPKhPhPKlPlN2at6native12_GLOBAL__N_18offset_tEEE10hipError_tPvRmT1_PNSt15iterator_traitsISK_E10value_typeET2_T3_PNSL_ISQ_E10value_typeET4_jRbjT5_SW_jjP12ihipStream_tbEUlT_E1_NS1_11comp_targetILNS1_3genE10ELNS1_11target_archE1201ELNS1_3gpuE5ELNS1_3repE0EEENS1_59segmented_radix_sort_warp_sort_small_config_static_selectorELNS0_4arch9wavefront6targetE1EEEvSK_,@function
_ZN7rocprim17ROCPRIM_400000_NS6detail17trampoline_kernelINS0_14default_configENS1_36segmented_radix_sort_config_selectorIhlEEZNS1_25segmented_radix_sort_implIS3_Lb0EPKhPhPKlPlN2at6native12_GLOBAL__N_18offset_tEEE10hipError_tPvRmT1_PNSt15iterator_traitsISK_E10value_typeET2_T3_PNSL_ISQ_E10value_typeET4_jRbjT5_SW_jjP12ihipStream_tbEUlT_E1_NS1_11comp_targetILNS1_3genE10ELNS1_11target_archE1201ELNS1_3gpuE5ELNS1_3repE0EEENS1_59segmented_radix_sort_warp_sort_small_config_static_selectorELNS0_4arch9wavefront6targetE1EEEvSK_: ; @_ZN7rocprim17ROCPRIM_400000_NS6detail17trampoline_kernelINS0_14default_configENS1_36segmented_radix_sort_config_selectorIhlEEZNS1_25segmented_radix_sort_implIS3_Lb0EPKhPhPKlPlN2at6native12_GLOBAL__N_18offset_tEEE10hipError_tPvRmT1_PNSt15iterator_traitsISK_E10value_typeET2_T3_PNSL_ISQ_E10value_typeET4_jRbjT5_SW_jjP12ihipStream_tbEUlT_E1_NS1_11comp_targetILNS1_3genE10ELNS1_11target_archE1201ELNS1_3gpuE5ELNS1_3repE0EEENS1_59segmented_radix_sort_warp_sort_small_config_static_selectorELNS0_4arch9wavefront6targetE1EEEvSK_
; %bb.0:
	.section	.rodata,"a",@progbits
	.p2align	6, 0x0
	.amdhsa_kernel _ZN7rocprim17ROCPRIM_400000_NS6detail17trampoline_kernelINS0_14default_configENS1_36segmented_radix_sort_config_selectorIhlEEZNS1_25segmented_radix_sort_implIS3_Lb0EPKhPhPKlPlN2at6native12_GLOBAL__N_18offset_tEEE10hipError_tPvRmT1_PNSt15iterator_traitsISK_E10value_typeET2_T3_PNSL_ISQ_E10value_typeET4_jRbjT5_SW_jjP12ihipStream_tbEUlT_E1_NS1_11comp_targetILNS1_3genE10ELNS1_11target_archE1201ELNS1_3gpuE5ELNS1_3repE0EEENS1_59segmented_radix_sort_warp_sort_small_config_static_selectorELNS0_4arch9wavefront6targetE1EEEvSK_
		.amdhsa_group_segment_fixed_size 0
		.amdhsa_private_segment_fixed_size 0
		.amdhsa_kernarg_size 88
		.amdhsa_user_sgpr_count 6
		.amdhsa_user_sgpr_private_segment_buffer 1
		.amdhsa_user_sgpr_dispatch_ptr 0
		.amdhsa_user_sgpr_queue_ptr 0
		.amdhsa_user_sgpr_kernarg_segment_ptr 1
		.amdhsa_user_sgpr_dispatch_id 0
		.amdhsa_user_sgpr_flat_scratch_init 0
		.amdhsa_user_sgpr_kernarg_preload_length 0
		.amdhsa_user_sgpr_kernarg_preload_offset 0
		.amdhsa_user_sgpr_private_segment_size 0
		.amdhsa_uses_dynamic_stack 0
		.amdhsa_system_sgpr_private_segment_wavefront_offset 0
		.amdhsa_system_sgpr_workgroup_id_x 1
		.amdhsa_system_sgpr_workgroup_id_y 0
		.amdhsa_system_sgpr_workgroup_id_z 0
		.amdhsa_system_sgpr_workgroup_info 0
		.amdhsa_system_vgpr_workitem_id 0
		.amdhsa_next_free_vgpr 1
		.amdhsa_next_free_sgpr 0
		.amdhsa_accum_offset 4
		.amdhsa_reserve_vcc 0
		.amdhsa_reserve_flat_scratch 0
		.amdhsa_float_round_mode_32 0
		.amdhsa_float_round_mode_16_64 0
		.amdhsa_float_denorm_mode_32 3
		.amdhsa_float_denorm_mode_16_64 3
		.amdhsa_dx10_clamp 1
		.amdhsa_ieee_mode 1
		.amdhsa_fp16_overflow 0
		.amdhsa_tg_split 0
		.amdhsa_exception_fp_ieee_invalid_op 0
		.amdhsa_exception_fp_denorm_src 0
		.amdhsa_exception_fp_ieee_div_zero 0
		.amdhsa_exception_fp_ieee_overflow 0
		.amdhsa_exception_fp_ieee_underflow 0
		.amdhsa_exception_fp_ieee_inexact 0
		.amdhsa_exception_int_div_zero 0
	.end_amdhsa_kernel
	.section	.text._ZN7rocprim17ROCPRIM_400000_NS6detail17trampoline_kernelINS0_14default_configENS1_36segmented_radix_sort_config_selectorIhlEEZNS1_25segmented_radix_sort_implIS3_Lb0EPKhPhPKlPlN2at6native12_GLOBAL__N_18offset_tEEE10hipError_tPvRmT1_PNSt15iterator_traitsISK_E10value_typeET2_T3_PNSL_ISQ_E10value_typeET4_jRbjT5_SW_jjP12ihipStream_tbEUlT_E1_NS1_11comp_targetILNS1_3genE10ELNS1_11target_archE1201ELNS1_3gpuE5ELNS1_3repE0EEENS1_59segmented_radix_sort_warp_sort_small_config_static_selectorELNS0_4arch9wavefront6targetE1EEEvSK_,"axG",@progbits,_ZN7rocprim17ROCPRIM_400000_NS6detail17trampoline_kernelINS0_14default_configENS1_36segmented_radix_sort_config_selectorIhlEEZNS1_25segmented_radix_sort_implIS3_Lb0EPKhPhPKlPlN2at6native12_GLOBAL__N_18offset_tEEE10hipError_tPvRmT1_PNSt15iterator_traitsISK_E10value_typeET2_T3_PNSL_ISQ_E10value_typeET4_jRbjT5_SW_jjP12ihipStream_tbEUlT_E1_NS1_11comp_targetILNS1_3genE10ELNS1_11target_archE1201ELNS1_3gpuE5ELNS1_3repE0EEENS1_59segmented_radix_sort_warp_sort_small_config_static_selectorELNS0_4arch9wavefront6targetE1EEEvSK_,comdat
.Lfunc_end212:
	.size	_ZN7rocprim17ROCPRIM_400000_NS6detail17trampoline_kernelINS0_14default_configENS1_36segmented_radix_sort_config_selectorIhlEEZNS1_25segmented_radix_sort_implIS3_Lb0EPKhPhPKlPlN2at6native12_GLOBAL__N_18offset_tEEE10hipError_tPvRmT1_PNSt15iterator_traitsISK_E10value_typeET2_T3_PNSL_ISQ_E10value_typeET4_jRbjT5_SW_jjP12ihipStream_tbEUlT_E1_NS1_11comp_targetILNS1_3genE10ELNS1_11target_archE1201ELNS1_3gpuE5ELNS1_3repE0EEENS1_59segmented_radix_sort_warp_sort_small_config_static_selectorELNS0_4arch9wavefront6targetE1EEEvSK_, .Lfunc_end212-_ZN7rocprim17ROCPRIM_400000_NS6detail17trampoline_kernelINS0_14default_configENS1_36segmented_radix_sort_config_selectorIhlEEZNS1_25segmented_radix_sort_implIS3_Lb0EPKhPhPKlPlN2at6native12_GLOBAL__N_18offset_tEEE10hipError_tPvRmT1_PNSt15iterator_traitsISK_E10value_typeET2_T3_PNSL_ISQ_E10value_typeET4_jRbjT5_SW_jjP12ihipStream_tbEUlT_E1_NS1_11comp_targetILNS1_3genE10ELNS1_11target_archE1201ELNS1_3gpuE5ELNS1_3repE0EEENS1_59segmented_radix_sort_warp_sort_small_config_static_selectorELNS0_4arch9wavefront6targetE1EEEvSK_
                                        ; -- End function
	.section	.AMDGPU.csdata,"",@progbits
; Kernel info:
; codeLenInByte = 0
; NumSgprs: 4
; NumVgprs: 0
; NumAgprs: 0
; TotalNumVgprs: 0
; ScratchSize: 0
; MemoryBound: 0
; FloatMode: 240
; IeeeMode: 1
; LDSByteSize: 0 bytes/workgroup (compile time only)
; SGPRBlocks: 0
; VGPRBlocks: 0
; NumSGPRsForWavesPerEU: 4
; NumVGPRsForWavesPerEU: 1
; AccumOffset: 4
; Occupancy: 8
; WaveLimiterHint : 0
; COMPUTE_PGM_RSRC2:SCRATCH_EN: 0
; COMPUTE_PGM_RSRC2:USER_SGPR: 6
; COMPUTE_PGM_RSRC2:TRAP_HANDLER: 0
; COMPUTE_PGM_RSRC2:TGID_X_EN: 1
; COMPUTE_PGM_RSRC2:TGID_Y_EN: 0
; COMPUTE_PGM_RSRC2:TGID_Z_EN: 0
; COMPUTE_PGM_RSRC2:TIDIG_COMP_CNT: 0
; COMPUTE_PGM_RSRC3_GFX90A:ACCUM_OFFSET: 0
; COMPUTE_PGM_RSRC3_GFX90A:TG_SPLIT: 0
	.section	.text._ZN7rocprim17ROCPRIM_400000_NS6detail17trampoline_kernelINS0_14default_configENS1_36segmented_radix_sort_config_selectorIhlEEZNS1_25segmented_radix_sort_implIS3_Lb0EPKhPhPKlPlN2at6native12_GLOBAL__N_18offset_tEEE10hipError_tPvRmT1_PNSt15iterator_traitsISK_E10value_typeET2_T3_PNSL_ISQ_E10value_typeET4_jRbjT5_SW_jjP12ihipStream_tbEUlT_E1_NS1_11comp_targetILNS1_3genE10ELNS1_11target_archE1200ELNS1_3gpuE4ELNS1_3repE0EEENS1_59segmented_radix_sort_warp_sort_small_config_static_selectorELNS0_4arch9wavefront6targetE1EEEvSK_,"axG",@progbits,_ZN7rocprim17ROCPRIM_400000_NS6detail17trampoline_kernelINS0_14default_configENS1_36segmented_radix_sort_config_selectorIhlEEZNS1_25segmented_radix_sort_implIS3_Lb0EPKhPhPKlPlN2at6native12_GLOBAL__N_18offset_tEEE10hipError_tPvRmT1_PNSt15iterator_traitsISK_E10value_typeET2_T3_PNSL_ISQ_E10value_typeET4_jRbjT5_SW_jjP12ihipStream_tbEUlT_E1_NS1_11comp_targetILNS1_3genE10ELNS1_11target_archE1200ELNS1_3gpuE4ELNS1_3repE0EEENS1_59segmented_radix_sort_warp_sort_small_config_static_selectorELNS0_4arch9wavefront6targetE1EEEvSK_,comdat
	.globl	_ZN7rocprim17ROCPRIM_400000_NS6detail17trampoline_kernelINS0_14default_configENS1_36segmented_radix_sort_config_selectorIhlEEZNS1_25segmented_radix_sort_implIS3_Lb0EPKhPhPKlPlN2at6native12_GLOBAL__N_18offset_tEEE10hipError_tPvRmT1_PNSt15iterator_traitsISK_E10value_typeET2_T3_PNSL_ISQ_E10value_typeET4_jRbjT5_SW_jjP12ihipStream_tbEUlT_E1_NS1_11comp_targetILNS1_3genE10ELNS1_11target_archE1200ELNS1_3gpuE4ELNS1_3repE0EEENS1_59segmented_radix_sort_warp_sort_small_config_static_selectorELNS0_4arch9wavefront6targetE1EEEvSK_ ; -- Begin function _ZN7rocprim17ROCPRIM_400000_NS6detail17trampoline_kernelINS0_14default_configENS1_36segmented_radix_sort_config_selectorIhlEEZNS1_25segmented_radix_sort_implIS3_Lb0EPKhPhPKlPlN2at6native12_GLOBAL__N_18offset_tEEE10hipError_tPvRmT1_PNSt15iterator_traitsISK_E10value_typeET2_T3_PNSL_ISQ_E10value_typeET4_jRbjT5_SW_jjP12ihipStream_tbEUlT_E1_NS1_11comp_targetILNS1_3genE10ELNS1_11target_archE1200ELNS1_3gpuE4ELNS1_3repE0EEENS1_59segmented_radix_sort_warp_sort_small_config_static_selectorELNS0_4arch9wavefront6targetE1EEEvSK_
	.p2align	8
	.type	_ZN7rocprim17ROCPRIM_400000_NS6detail17trampoline_kernelINS0_14default_configENS1_36segmented_radix_sort_config_selectorIhlEEZNS1_25segmented_radix_sort_implIS3_Lb0EPKhPhPKlPlN2at6native12_GLOBAL__N_18offset_tEEE10hipError_tPvRmT1_PNSt15iterator_traitsISK_E10value_typeET2_T3_PNSL_ISQ_E10value_typeET4_jRbjT5_SW_jjP12ihipStream_tbEUlT_E1_NS1_11comp_targetILNS1_3genE10ELNS1_11target_archE1200ELNS1_3gpuE4ELNS1_3repE0EEENS1_59segmented_radix_sort_warp_sort_small_config_static_selectorELNS0_4arch9wavefront6targetE1EEEvSK_,@function
_ZN7rocprim17ROCPRIM_400000_NS6detail17trampoline_kernelINS0_14default_configENS1_36segmented_radix_sort_config_selectorIhlEEZNS1_25segmented_radix_sort_implIS3_Lb0EPKhPhPKlPlN2at6native12_GLOBAL__N_18offset_tEEE10hipError_tPvRmT1_PNSt15iterator_traitsISK_E10value_typeET2_T3_PNSL_ISQ_E10value_typeET4_jRbjT5_SW_jjP12ihipStream_tbEUlT_E1_NS1_11comp_targetILNS1_3genE10ELNS1_11target_archE1200ELNS1_3gpuE4ELNS1_3repE0EEENS1_59segmented_radix_sort_warp_sort_small_config_static_selectorELNS0_4arch9wavefront6targetE1EEEvSK_: ; @_ZN7rocprim17ROCPRIM_400000_NS6detail17trampoline_kernelINS0_14default_configENS1_36segmented_radix_sort_config_selectorIhlEEZNS1_25segmented_radix_sort_implIS3_Lb0EPKhPhPKlPlN2at6native12_GLOBAL__N_18offset_tEEE10hipError_tPvRmT1_PNSt15iterator_traitsISK_E10value_typeET2_T3_PNSL_ISQ_E10value_typeET4_jRbjT5_SW_jjP12ihipStream_tbEUlT_E1_NS1_11comp_targetILNS1_3genE10ELNS1_11target_archE1200ELNS1_3gpuE4ELNS1_3repE0EEENS1_59segmented_radix_sort_warp_sort_small_config_static_selectorELNS0_4arch9wavefront6targetE1EEEvSK_
; %bb.0:
	.section	.rodata,"a",@progbits
	.p2align	6, 0x0
	.amdhsa_kernel _ZN7rocprim17ROCPRIM_400000_NS6detail17trampoline_kernelINS0_14default_configENS1_36segmented_radix_sort_config_selectorIhlEEZNS1_25segmented_radix_sort_implIS3_Lb0EPKhPhPKlPlN2at6native12_GLOBAL__N_18offset_tEEE10hipError_tPvRmT1_PNSt15iterator_traitsISK_E10value_typeET2_T3_PNSL_ISQ_E10value_typeET4_jRbjT5_SW_jjP12ihipStream_tbEUlT_E1_NS1_11comp_targetILNS1_3genE10ELNS1_11target_archE1200ELNS1_3gpuE4ELNS1_3repE0EEENS1_59segmented_radix_sort_warp_sort_small_config_static_selectorELNS0_4arch9wavefront6targetE1EEEvSK_
		.amdhsa_group_segment_fixed_size 0
		.amdhsa_private_segment_fixed_size 0
		.amdhsa_kernarg_size 88
		.amdhsa_user_sgpr_count 6
		.amdhsa_user_sgpr_private_segment_buffer 1
		.amdhsa_user_sgpr_dispatch_ptr 0
		.amdhsa_user_sgpr_queue_ptr 0
		.amdhsa_user_sgpr_kernarg_segment_ptr 1
		.amdhsa_user_sgpr_dispatch_id 0
		.amdhsa_user_sgpr_flat_scratch_init 0
		.amdhsa_user_sgpr_kernarg_preload_length 0
		.amdhsa_user_sgpr_kernarg_preload_offset 0
		.amdhsa_user_sgpr_private_segment_size 0
		.amdhsa_uses_dynamic_stack 0
		.amdhsa_system_sgpr_private_segment_wavefront_offset 0
		.amdhsa_system_sgpr_workgroup_id_x 1
		.amdhsa_system_sgpr_workgroup_id_y 0
		.amdhsa_system_sgpr_workgroup_id_z 0
		.amdhsa_system_sgpr_workgroup_info 0
		.amdhsa_system_vgpr_workitem_id 0
		.amdhsa_next_free_vgpr 1
		.amdhsa_next_free_sgpr 0
		.amdhsa_accum_offset 4
		.amdhsa_reserve_vcc 0
		.amdhsa_reserve_flat_scratch 0
		.amdhsa_float_round_mode_32 0
		.amdhsa_float_round_mode_16_64 0
		.amdhsa_float_denorm_mode_32 3
		.amdhsa_float_denorm_mode_16_64 3
		.amdhsa_dx10_clamp 1
		.amdhsa_ieee_mode 1
		.amdhsa_fp16_overflow 0
		.amdhsa_tg_split 0
		.amdhsa_exception_fp_ieee_invalid_op 0
		.amdhsa_exception_fp_denorm_src 0
		.amdhsa_exception_fp_ieee_div_zero 0
		.amdhsa_exception_fp_ieee_overflow 0
		.amdhsa_exception_fp_ieee_underflow 0
		.amdhsa_exception_fp_ieee_inexact 0
		.amdhsa_exception_int_div_zero 0
	.end_amdhsa_kernel
	.section	.text._ZN7rocprim17ROCPRIM_400000_NS6detail17trampoline_kernelINS0_14default_configENS1_36segmented_radix_sort_config_selectorIhlEEZNS1_25segmented_radix_sort_implIS3_Lb0EPKhPhPKlPlN2at6native12_GLOBAL__N_18offset_tEEE10hipError_tPvRmT1_PNSt15iterator_traitsISK_E10value_typeET2_T3_PNSL_ISQ_E10value_typeET4_jRbjT5_SW_jjP12ihipStream_tbEUlT_E1_NS1_11comp_targetILNS1_3genE10ELNS1_11target_archE1200ELNS1_3gpuE4ELNS1_3repE0EEENS1_59segmented_radix_sort_warp_sort_small_config_static_selectorELNS0_4arch9wavefront6targetE1EEEvSK_,"axG",@progbits,_ZN7rocprim17ROCPRIM_400000_NS6detail17trampoline_kernelINS0_14default_configENS1_36segmented_radix_sort_config_selectorIhlEEZNS1_25segmented_radix_sort_implIS3_Lb0EPKhPhPKlPlN2at6native12_GLOBAL__N_18offset_tEEE10hipError_tPvRmT1_PNSt15iterator_traitsISK_E10value_typeET2_T3_PNSL_ISQ_E10value_typeET4_jRbjT5_SW_jjP12ihipStream_tbEUlT_E1_NS1_11comp_targetILNS1_3genE10ELNS1_11target_archE1200ELNS1_3gpuE4ELNS1_3repE0EEENS1_59segmented_radix_sort_warp_sort_small_config_static_selectorELNS0_4arch9wavefront6targetE1EEEvSK_,comdat
.Lfunc_end213:
	.size	_ZN7rocprim17ROCPRIM_400000_NS6detail17trampoline_kernelINS0_14default_configENS1_36segmented_radix_sort_config_selectorIhlEEZNS1_25segmented_radix_sort_implIS3_Lb0EPKhPhPKlPlN2at6native12_GLOBAL__N_18offset_tEEE10hipError_tPvRmT1_PNSt15iterator_traitsISK_E10value_typeET2_T3_PNSL_ISQ_E10value_typeET4_jRbjT5_SW_jjP12ihipStream_tbEUlT_E1_NS1_11comp_targetILNS1_3genE10ELNS1_11target_archE1200ELNS1_3gpuE4ELNS1_3repE0EEENS1_59segmented_radix_sort_warp_sort_small_config_static_selectorELNS0_4arch9wavefront6targetE1EEEvSK_, .Lfunc_end213-_ZN7rocprim17ROCPRIM_400000_NS6detail17trampoline_kernelINS0_14default_configENS1_36segmented_radix_sort_config_selectorIhlEEZNS1_25segmented_radix_sort_implIS3_Lb0EPKhPhPKlPlN2at6native12_GLOBAL__N_18offset_tEEE10hipError_tPvRmT1_PNSt15iterator_traitsISK_E10value_typeET2_T3_PNSL_ISQ_E10value_typeET4_jRbjT5_SW_jjP12ihipStream_tbEUlT_E1_NS1_11comp_targetILNS1_3genE10ELNS1_11target_archE1200ELNS1_3gpuE4ELNS1_3repE0EEENS1_59segmented_radix_sort_warp_sort_small_config_static_selectorELNS0_4arch9wavefront6targetE1EEEvSK_
                                        ; -- End function
	.section	.AMDGPU.csdata,"",@progbits
; Kernel info:
; codeLenInByte = 0
; NumSgprs: 4
; NumVgprs: 0
; NumAgprs: 0
; TotalNumVgprs: 0
; ScratchSize: 0
; MemoryBound: 0
; FloatMode: 240
; IeeeMode: 1
; LDSByteSize: 0 bytes/workgroup (compile time only)
; SGPRBlocks: 0
; VGPRBlocks: 0
; NumSGPRsForWavesPerEU: 4
; NumVGPRsForWavesPerEU: 1
; AccumOffset: 4
; Occupancy: 8
; WaveLimiterHint : 0
; COMPUTE_PGM_RSRC2:SCRATCH_EN: 0
; COMPUTE_PGM_RSRC2:USER_SGPR: 6
; COMPUTE_PGM_RSRC2:TRAP_HANDLER: 0
; COMPUTE_PGM_RSRC2:TGID_X_EN: 1
; COMPUTE_PGM_RSRC2:TGID_Y_EN: 0
; COMPUTE_PGM_RSRC2:TGID_Z_EN: 0
; COMPUTE_PGM_RSRC2:TIDIG_COMP_CNT: 0
; COMPUTE_PGM_RSRC3_GFX90A:ACCUM_OFFSET: 0
; COMPUTE_PGM_RSRC3_GFX90A:TG_SPLIT: 0
	.section	.text._ZN7rocprim17ROCPRIM_400000_NS6detail17trampoline_kernelINS0_14default_configENS1_36segmented_radix_sort_config_selectorIhlEEZNS1_25segmented_radix_sort_implIS3_Lb0EPKhPhPKlPlN2at6native12_GLOBAL__N_18offset_tEEE10hipError_tPvRmT1_PNSt15iterator_traitsISK_E10value_typeET2_T3_PNSL_ISQ_E10value_typeET4_jRbjT5_SW_jjP12ihipStream_tbEUlT_E1_NS1_11comp_targetILNS1_3genE9ELNS1_11target_archE1100ELNS1_3gpuE3ELNS1_3repE0EEENS1_59segmented_radix_sort_warp_sort_small_config_static_selectorELNS0_4arch9wavefront6targetE1EEEvSK_,"axG",@progbits,_ZN7rocprim17ROCPRIM_400000_NS6detail17trampoline_kernelINS0_14default_configENS1_36segmented_radix_sort_config_selectorIhlEEZNS1_25segmented_radix_sort_implIS3_Lb0EPKhPhPKlPlN2at6native12_GLOBAL__N_18offset_tEEE10hipError_tPvRmT1_PNSt15iterator_traitsISK_E10value_typeET2_T3_PNSL_ISQ_E10value_typeET4_jRbjT5_SW_jjP12ihipStream_tbEUlT_E1_NS1_11comp_targetILNS1_3genE9ELNS1_11target_archE1100ELNS1_3gpuE3ELNS1_3repE0EEENS1_59segmented_radix_sort_warp_sort_small_config_static_selectorELNS0_4arch9wavefront6targetE1EEEvSK_,comdat
	.globl	_ZN7rocprim17ROCPRIM_400000_NS6detail17trampoline_kernelINS0_14default_configENS1_36segmented_radix_sort_config_selectorIhlEEZNS1_25segmented_radix_sort_implIS3_Lb0EPKhPhPKlPlN2at6native12_GLOBAL__N_18offset_tEEE10hipError_tPvRmT1_PNSt15iterator_traitsISK_E10value_typeET2_T3_PNSL_ISQ_E10value_typeET4_jRbjT5_SW_jjP12ihipStream_tbEUlT_E1_NS1_11comp_targetILNS1_3genE9ELNS1_11target_archE1100ELNS1_3gpuE3ELNS1_3repE0EEENS1_59segmented_radix_sort_warp_sort_small_config_static_selectorELNS0_4arch9wavefront6targetE1EEEvSK_ ; -- Begin function _ZN7rocprim17ROCPRIM_400000_NS6detail17trampoline_kernelINS0_14default_configENS1_36segmented_radix_sort_config_selectorIhlEEZNS1_25segmented_radix_sort_implIS3_Lb0EPKhPhPKlPlN2at6native12_GLOBAL__N_18offset_tEEE10hipError_tPvRmT1_PNSt15iterator_traitsISK_E10value_typeET2_T3_PNSL_ISQ_E10value_typeET4_jRbjT5_SW_jjP12ihipStream_tbEUlT_E1_NS1_11comp_targetILNS1_3genE9ELNS1_11target_archE1100ELNS1_3gpuE3ELNS1_3repE0EEENS1_59segmented_radix_sort_warp_sort_small_config_static_selectorELNS0_4arch9wavefront6targetE1EEEvSK_
	.p2align	8
	.type	_ZN7rocprim17ROCPRIM_400000_NS6detail17trampoline_kernelINS0_14default_configENS1_36segmented_radix_sort_config_selectorIhlEEZNS1_25segmented_radix_sort_implIS3_Lb0EPKhPhPKlPlN2at6native12_GLOBAL__N_18offset_tEEE10hipError_tPvRmT1_PNSt15iterator_traitsISK_E10value_typeET2_T3_PNSL_ISQ_E10value_typeET4_jRbjT5_SW_jjP12ihipStream_tbEUlT_E1_NS1_11comp_targetILNS1_3genE9ELNS1_11target_archE1100ELNS1_3gpuE3ELNS1_3repE0EEENS1_59segmented_radix_sort_warp_sort_small_config_static_selectorELNS0_4arch9wavefront6targetE1EEEvSK_,@function
_ZN7rocprim17ROCPRIM_400000_NS6detail17trampoline_kernelINS0_14default_configENS1_36segmented_radix_sort_config_selectorIhlEEZNS1_25segmented_radix_sort_implIS3_Lb0EPKhPhPKlPlN2at6native12_GLOBAL__N_18offset_tEEE10hipError_tPvRmT1_PNSt15iterator_traitsISK_E10value_typeET2_T3_PNSL_ISQ_E10value_typeET4_jRbjT5_SW_jjP12ihipStream_tbEUlT_E1_NS1_11comp_targetILNS1_3genE9ELNS1_11target_archE1100ELNS1_3gpuE3ELNS1_3repE0EEENS1_59segmented_radix_sort_warp_sort_small_config_static_selectorELNS0_4arch9wavefront6targetE1EEEvSK_: ; @_ZN7rocprim17ROCPRIM_400000_NS6detail17trampoline_kernelINS0_14default_configENS1_36segmented_radix_sort_config_selectorIhlEEZNS1_25segmented_radix_sort_implIS3_Lb0EPKhPhPKlPlN2at6native12_GLOBAL__N_18offset_tEEE10hipError_tPvRmT1_PNSt15iterator_traitsISK_E10value_typeET2_T3_PNSL_ISQ_E10value_typeET4_jRbjT5_SW_jjP12ihipStream_tbEUlT_E1_NS1_11comp_targetILNS1_3genE9ELNS1_11target_archE1100ELNS1_3gpuE3ELNS1_3repE0EEENS1_59segmented_radix_sort_warp_sort_small_config_static_selectorELNS0_4arch9wavefront6targetE1EEEvSK_
; %bb.0:
	.section	.rodata,"a",@progbits
	.p2align	6, 0x0
	.amdhsa_kernel _ZN7rocprim17ROCPRIM_400000_NS6detail17trampoline_kernelINS0_14default_configENS1_36segmented_radix_sort_config_selectorIhlEEZNS1_25segmented_radix_sort_implIS3_Lb0EPKhPhPKlPlN2at6native12_GLOBAL__N_18offset_tEEE10hipError_tPvRmT1_PNSt15iterator_traitsISK_E10value_typeET2_T3_PNSL_ISQ_E10value_typeET4_jRbjT5_SW_jjP12ihipStream_tbEUlT_E1_NS1_11comp_targetILNS1_3genE9ELNS1_11target_archE1100ELNS1_3gpuE3ELNS1_3repE0EEENS1_59segmented_radix_sort_warp_sort_small_config_static_selectorELNS0_4arch9wavefront6targetE1EEEvSK_
		.amdhsa_group_segment_fixed_size 0
		.amdhsa_private_segment_fixed_size 0
		.amdhsa_kernarg_size 88
		.amdhsa_user_sgpr_count 6
		.amdhsa_user_sgpr_private_segment_buffer 1
		.amdhsa_user_sgpr_dispatch_ptr 0
		.amdhsa_user_sgpr_queue_ptr 0
		.amdhsa_user_sgpr_kernarg_segment_ptr 1
		.amdhsa_user_sgpr_dispatch_id 0
		.amdhsa_user_sgpr_flat_scratch_init 0
		.amdhsa_user_sgpr_kernarg_preload_length 0
		.amdhsa_user_sgpr_kernarg_preload_offset 0
		.amdhsa_user_sgpr_private_segment_size 0
		.amdhsa_uses_dynamic_stack 0
		.amdhsa_system_sgpr_private_segment_wavefront_offset 0
		.amdhsa_system_sgpr_workgroup_id_x 1
		.amdhsa_system_sgpr_workgroup_id_y 0
		.amdhsa_system_sgpr_workgroup_id_z 0
		.amdhsa_system_sgpr_workgroup_info 0
		.amdhsa_system_vgpr_workitem_id 0
		.amdhsa_next_free_vgpr 1
		.amdhsa_next_free_sgpr 0
		.amdhsa_accum_offset 4
		.amdhsa_reserve_vcc 0
		.amdhsa_reserve_flat_scratch 0
		.amdhsa_float_round_mode_32 0
		.amdhsa_float_round_mode_16_64 0
		.amdhsa_float_denorm_mode_32 3
		.amdhsa_float_denorm_mode_16_64 3
		.amdhsa_dx10_clamp 1
		.amdhsa_ieee_mode 1
		.amdhsa_fp16_overflow 0
		.amdhsa_tg_split 0
		.amdhsa_exception_fp_ieee_invalid_op 0
		.amdhsa_exception_fp_denorm_src 0
		.amdhsa_exception_fp_ieee_div_zero 0
		.amdhsa_exception_fp_ieee_overflow 0
		.amdhsa_exception_fp_ieee_underflow 0
		.amdhsa_exception_fp_ieee_inexact 0
		.amdhsa_exception_int_div_zero 0
	.end_amdhsa_kernel
	.section	.text._ZN7rocprim17ROCPRIM_400000_NS6detail17trampoline_kernelINS0_14default_configENS1_36segmented_radix_sort_config_selectorIhlEEZNS1_25segmented_radix_sort_implIS3_Lb0EPKhPhPKlPlN2at6native12_GLOBAL__N_18offset_tEEE10hipError_tPvRmT1_PNSt15iterator_traitsISK_E10value_typeET2_T3_PNSL_ISQ_E10value_typeET4_jRbjT5_SW_jjP12ihipStream_tbEUlT_E1_NS1_11comp_targetILNS1_3genE9ELNS1_11target_archE1100ELNS1_3gpuE3ELNS1_3repE0EEENS1_59segmented_radix_sort_warp_sort_small_config_static_selectorELNS0_4arch9wavefront6targetE1EEEvSK_,"axG",@progbits,_ZN7rocprim17ROCPRIM_400000_NS6detail17trampoline_kernelINS0_14default_configENS1_36segmented_radix_sort_config_selectorIhlEEZNS1_25segmented_radix_sort_implIS3_Lb0EPKhPhPKlPlN2at6native12_GLOBAL__N_18offset_tEEE10hipError_tPvRmT1_PNSt15iterator_traitsISK_E10value_typeET2_T3_PNSL_ISQ_E10value_typeET4_jRbjT5_SW_jjP12ihipStream_tbEUlT_E1_NS1_11comp_targetILNS1_3genE9ELNS1_11target_archE1100ELNS1_3gpuE3ELNS1_3repE0EEENS1_59segmented_radix_sort_warp_sort_small_config_static_selectorELNS0_4arch9wavefront6targetE1EEEvSK_,comdat
.Lfunc_end214:
	.size	_ZN7rocprim17ROCPRIM_400000_NS6detail17trampoline_kernelINS0_14default_configENS1_36segmented_radix_sort_config_selectorIhlEEZNS1_25segmented_radix_sort_implIS3_Lb0EPKhPhPKlPlN2at6native12_GLOBAL__N_18offset_tEEE10hipError_tPvRmT1_PNSt15iterator_traitsISK_E10value_typeET2_T3_PNSL_ISQ_E10value_typeET4_jRbjT5_SW_jjP12ihipStream_tbEUlT_E1_NS1_11comp_targetILNS1_3genE9ELNS1_11target_archE1100ELNS1_3gpuE3ELNS1_3repE0EEENS1_59segmented_radix_sort_warp_sort_small_config_static_selectorELNS0_4arch9wavefront6targetE1EEEvSK_, .Lfunc_end214-_ZN7rocprim17ROCPRIM_400000_NS6detail17trampoline_kernelINS0_14default_configENS1_36segmented_radix_sort_config_selectorIhlEEZNS1_25segmented_radix_sort_implIS3_Lb0EPKhPhPKlPlN2at6native12_GLOBAL__N_18offset_tEEE10hipError_tPvRmT1_PNSt15iterator_traitsISK_E10value_typeET2_T3_PNSL_ISQ_E10value_typeET4_jRbjT5_SW_jjP12ihipStream_tbEUlT_E1_NS1_11comp_targetILNS1_3genE9ELNS1_11target_archE1100ELNS1_3gpuE3ELNS1_3repE0EEENS1_59segmented_radix_sort_warp_sort_small_config_static_selectorELNS0_4arch9wavefront6targetE1EEEvSK_
                                        ; -- End function
	.section	.AMDGPU.csdata,"",@progbits
; Kernel info:
; codeLenInByte = 0
; NumSgprs: 4
; NumVgprs: 0
; NumAgprs: 0
; TotalNumVgprs: 0
; ScratchSize: 0
; MemoryBound: 0
; FloatMode: 240
; IeeeMode: 1
; LDSByteSize: 0 bytes/workgroup (compile time only)
; SGPRBlocks: 0
; VGPRBlocks: 0
; NumSGPRsForWavesPerEU: 4
; NumVGPRsForWavesPerEU: 1
; AccumOffset: 4
; Occupancy: 8
; WaveLimiterHint : 0
; COMPUTE_PGM_RSRC2:SCRATCH_EN: 0
; COMPUTE_PGM_RSRC2:USER_SGPR: 6
; COMPUTE_PGM_RSRC2:TRAP_HANDLER: 0
; COMPUTE_PGM_RSRC2:TGID_X_EN: 1
; COMPUTE_PGM_RSRC2:TGID_Y_EN: 0
; COMPUTE_PGM_RSRC2:TGID_Z_EN: 0
; COMPUTE_PGM_RSRC2:TIDIG_COMP_CNT: 0
; COMPUTE_PGM_RSRC3_GFX90A:ACCUM_OFFSET: 0
; COMPUTE_PGM_RSRC3_GFX90A:TG_SPLIT: 0
	.section	.text._ZN7rocprim17ROCPRIM_400000_NS6detail17trampoline_kernelINS0_14default_configENS1_36segmented_radix_sort_config_selectorIhlEEZNS1_25segmented_radix_sort_implIS3_Lb0EPKhPhPKlPlN2at6native12_GLOBAL__N_18offset_tEEE10hipError_tPvRmT1_PNSt15iterator_traitsISK_E10value_typeET2_T3_PNSL_ISQ_E10value_typeET4_jRbjT5_SW_jjP12ihipStream_tbEUlT_E1_NS1_11comp_targetILNS1_3genE8ELNS1_11target_archE1030ELNS1_3gpuE2ELNS1_3repE0EEENS1_59segmented_radix_sort_warp_sort_small_config_static_selectorELNS0_4arch9wavefront6targetE1EEEvSK_,"axG",@progbits,_ZN7rocprim17ROCPRIM_400000_NS6detail17trampoline_kernelINS0_14default_configENS1_36segmented_radix_sort_config_selectorIhlEEZNS1_25segmented_radix_sort_implIS3_Lb0EPKhPhPKlPlN2at6native12_GLOBAL__N_18offset_tEEE10hipError_tPvRmT1_PNSt15iterator_traitsISK_E10value_typeET2_T3_PNSL_ISQ_E10value_typeET4_jRbjT5_SW_jjP12ihipStream_tbEUlT_E1_NS1_11comp_targetILNS1_3genE8ELNS1_11target_archE1030ELNS1_3gpuE2ELNS1_3repE0EEENS1_59segmented_radix_sort_warp_sort_small_config_static_selectorELNS0_4arch9wavefront6targetE1EEEvSK_,comdat
	.globl	_ZN7rocprim17ROCPRIM_400000_NS6detail17trampoline_kernelINS0_14default_configENS1_36segmented_radix_sort_config_selectorIhlEEZNS1_25segmented_radix_sort_implIS3_Lb0EPKhPhPKlPlN2at6native12_GLOBAL__N_18offset_tEEE10hipError_tPvRmT1_PNSt15iterator_traitsISK_E10value_typeET2_T3_PNSL_ISQ_E10value_typeET4_jRbjT5_SW_jjP12ihipStream_tbEUlT_E1_NS1_11comp_targetILNS1_3genE8ELNS1_11target_archE1030ELNS1_3gpuE2ELNS1_3repE0EEENS1_59segmented_radix_sort_warp_sort_small_config_static_selectorELNS0_4arch9wavefront6targetE1EEEvSK_ ; -- Begin function _ZN7rocprim17ROCPRIM_400000_NS6detail17trampoline_kernelINS0_14default_configENS1_36segmented_radix_sort_config_selectorIhlEEZNS1_25segmented_radix_sort_implIS3_Lb0EPKhPhPKlPlN2at6native12_GLOBAL__N_18offset_tEEE10hipError_tPvRmT1_PNSt15iterator_traitsISK_E10value_typeET2_T3_PNSL_ISQ_E10value_typeET4_jRbjT5_SW_jjP12ihipStream_tbEUlT_E1_NS1_11comp_targetILNS1_3genE8ELNS1_11target_archE1030ELNS1_3gpuE2ELNS1_3repE0EEENS1_59segmented_radix_sort_warp_sort_small_config_static_selectorELNS0_4arch9wavefront6targetE1EEEvSK_
	.p2align	8
	.type	_ZN7rocprim17ROCPRIM_400000_NS6detail17trampoline_kernelINS0_14default_configENS1_36segmented_radix_sort_config_selectorIhlEEZNS1_25segmented_radix_sort_implIS3_Lb0EPKhPhPKlPlN2at6native12_GLOBAL__N_18offset_tEEE10hipError_tPvRmT1_PNSt15iterator_traitsISK_E10value_typeET2_T3_PNSL_ISQ_E10value_typeET4_jRbjT5_SW_jjP12ihipStream_tbEUlT_E1_NS1_11comp_targetILNS1_3genE8ELNS1_11target_archE1030ELNS1_3gpuE2ELNS1_3repE0EEENS1_59segmented_radix_sort_warp_sort_small_config_static_selectorELNS0_4arch9wavefront6targetE1EEEvSK_,@function
_ZN7rocprim17ROCPRIM_400000_NS6detail17trampoline_kernelINS0_14default_configENS1_36segmented_radix_sort_config_selectorIhlEEZNS1_25segmented_radix_sort_implIS3_Lb0EPKhPhPKlPlN2at6native12_GLOBAL__N_18offset_tEEE10hipError_tPvRmT1_PNSt15iterator_traitsISK_E10value_typeET2_T3_PNSL_ISQ_E10value_typeET4_jRbjT5_SW_jjP12ihipStream_tbEUlT_E1_NS1_11comp_targetILNS1_3genE8ELNS1_11target_archE1030ELNS1_3gpuE2ELNS1_3repE0EEENS1_59segmented_radix_sort_warp_sort_small_config_static_selectorELNS0_4arch9wavefront6targetE1EEEvSK_: ; @_ZN7rocprim17ROCPRIM_400000_NS6detail17trampoline_kernelINS0_14default_configENS1_36segmented_radix_sort_config_selectorIhlEEZNS1_25segmented_radix_sort_implIS3_Lb0EPKhPhPKlPlN2at6native12_GLOBAL__N_18offset_tEEE10hipError_tPvRmT1_PNSt15iterator_traitsISK_E10value_typeET2_T3_PNSL_ISQ_E10value_typeET4_jRbjT5_SW_jjP12ihipStream_tbEUlT_E1_NS1_11comp_targetILNS1_3genE8ELNS1_11target_archE1030ELNS1_3gpuE2ELNS1_3repE0EEENS1_59segmented_radix_sort_warp_sort_small_config_static_selectorELNS0_4arch9wavefront6targetE1EEEvSK_
; %bb.0:
	.section	.rodata,"a",@progbits
	.p2align	6, 0x0
	.amdhsa_kernel _ZN7rocprim17ROCPRIM_400000_NS6detail17trampoline_kernelINS0_14default_configENS1_36segmented_radix_sort_config_selectorIhlEEZNS1_25segmented_radix_sort_implIS3_Lb0EPKhPhPKlPlN2at6native12_GLOBAL__N_18offset_tEEE10hipError_tPvRmT1_PNSt15iterator_traitsISK_E10value_typeET2_T3_PNSL_ISQ_E10value_typeET4_jRbjT5_SW_jjP12ihipStream_tbEUlT_E1_NS1_11comp_targetILNS1_3genE8ELNS1_11target_archE1030ELNS1_3gpuE2ELNS1_3repE0EEENS1_59segmented_radix_sort_warp_sort_small_config_static_selectorELNS0_4arch9wavefront6targetE1EEEvSK_
		.amdhsa_group_segment_fixed_size 0
		.amdhsa_private_segment_fixed_size 0
		.amdhsa_kernarg_size 88
		.amdhsa_user_sgpr_count 6
		.amdhsa_user_sgpr_private_segment_buffer 1
		.amdhsa_user_sgpr_dispatch_ptr 0
		.amdhsa_user_sgpr_queue_ptr 0
		.amdhsa_user_sgpr_kernarg_segment_ptr 1
		.amdhsa_user_sgpr_dispatch_id 0
		.amdhsa_user_sgpr_flat_scratch_init 0
		.amdhsa_user_sgpr_kernarg_preload_length 0
		.amdhsa_user_sgpr_kernarg_preload_offset 0
		.amdhsa_user_sgpr_private_segment_size 0
		.amdhsa_uses_dynamic_stack 0
		.amdhsa_system_sgpr_private_segment_wavefront_offset 0
		.amdhsa_system_sgpr_workgroup_id_x 1
		.amdhsa_system_sgpr_workgroup_id_y 0
		.amdhsa_system_sgpr_workgroup_id_z 0
		.amdhsa_system_sgpr_workgroup_info 0
		.amdhsa_system_vgpr_workitem_id 0
		.amdhsa_next_free_vgpr 1
		.amdhsa_next_free_sgpr 0
		.amdhsa_accum_offset 4
		.amdhsa_reserve_vcc 0
		.amdhsa_reserve_flat_scratch 0
		.amdhsa_float_round_mode_32 0
		.amdhsa_float_round_mode_16_64 0
		.amdhsa_float_denorm_mode_32 3
		.amdhsa_float_denorm_mode_16_64 3
		.amdhsa_dx10_clamp 1
		.amdhsa_ieee_mode 1
		.amdhsa_fp16_overflow 0
		.amdhsa_tg_split 0
		.amdhsa_exception_fp_ieee_invalid_op 0
		.amdhsa_exception_fp_denorm_src 0
		.amdhsa_exception_fp_ieee_div_zero 0
		.amdhsa_exception_fp_ieee_overflow 0
		.amdhsa_exception_fp_ieee_underflow 0
		.amdhsa_exception_fp_ieee_inexact 0
		.amdhsa_exception_int_div_zero 0
	.end_amdhsa_kernel
	.section	.text._ZN7rocprim17ROCPRIM_400000_NS6detail17trampoline_kernelINS0_14default_configENS1_36segmented_radix_sort_config_selectorIhlEEZNS1_25segmented_radix_sort_implIS3_Lb0EPKhPhPKlPlN2at6native12_GLOBAL__N_18offset_tEEE10hipError_tPvRmT1_PNSt15iterator_traitsISK_E10value_typeET2_T3_PNSL_ISQ_E10value_typeET4_jRbjT5_SW_jjP12ihipStream_tbEUlT_E1_NS1_11comp_targetILNS1_3genE8ELNS1_11target_archE1030ELNS1_3gpuE2ELNS1_3repE0EEENS1_59segmented_radix_sort_warp_sort_small_config_static_selectorELNS0_4arch9wavefront6targetE1EEEvSK_,"axG",@progbits,_ZN7rocprim17ROCPRIM_400000_NS6detail17trampoline_kernelINS0_14default_configENS1_36segmented_radix_sort_config_selectorIhlEEZNS1_25segmented_radix_sort_implIS3_Lb0EPKhPhPKlPlN2at6native12_GLOBAL__N_18offset_tEEE10hipError_tPvRmT1_PNSt15iterator_traitsISK_E10value_typeET2_T3_PNSL_ISQ_E10value_typeET4_jRbjT5_SW_jjP12ihipStream_tbEUlT_E1_NS1_11comp_targetILNS1_3genE8ELNS1_11target_archE1030ELNS1_3gpuE2ELNS1_3repE0EEENS1_59segmented_radix_sort_warp_sort_small_config_static_selectorELNS0_4arch9wavefront6targetE1EEEvSK_,comdat
.Lfunc_end215:
	.size	_ZN7rocprim17ROCPRIM_400000_NS6detail17trampoline_kernelINS0_14default_configENS1_36segmented_radix_sort_config_selectorIhlEEZNS1_25segmented_radix_sort_implIS3_Lb0EPKhPhPKlPlN2at6native12_GLOBAL__N_18offset_tEEE10hipError_tPvRmT1_PNSt15iterator_traitsISK_E10value_typeET2_T3_PNSL_ISQ_E10value_typeET4_jRbjT5_SW_jjP12ihipStream_tbEUlT_E1_NS1_11comp_targetILNS1_3genE8ELNS1_11target_archE1030ELNS1_3gpuE2ELNS1_3repE0EEENS1_59segmented_radix_sort_warp_sort_small_config_static_selectorELNS0_4arch9wavefront6targetE1EEEvSK_, .Lfunc_end215-_ZN7rocprim17ROCPRIM_400000_NS6detail17trampoline_kernelINS0_14default_configENS1_36segmented_radix_sort_config_selectorIhlEEZNS1_25segmented_radix_sort_implIS3_Lb0EPKhPhPKlPlN2at6native12_GLOBAL__N_18offset_tEEE10hipError_tPvRmT1_PNSt15iterator_traitsISK_E10value_typeET2_T3_PNSL_ISQ_E10value_typeET4_jRbjT5_SW_jjP12ihipStream_tbEUlT_E1_NS1_11comp_targetILNS1_3genE8ELNS1_11target_archE1030ELNS1_3gpuE2ELNS1_3repE0EEENS1_59segmented_radix_sort_warp_sort_small_config_static_selectorELNS0_4arch9wavefront6targetE1EEEvSK_
                                        ; -- End function
	.section	.AMDGPU.csdata,"",@progbits
; Kernel info:
; codeLenInByte = 0
; NumSgprs: 4
; NumVgprs: 0
; NumAgprs: 0
; TotalNumVgprs: 0
; ScratchSize: 0
; MemoryBound: 0
; FloatMode: 240
; IeeeMode: 1
; LDSByteSize: 0 bytes/workgroup (compile time only)
; SGPRBlocks: 0
; VGPRBlocks: 0
; NumSGPRsForWavesPerEU: 4
; NumVGPRsForWavesPerEU: 1
; AccumOffset: 4
; Occupancy: 8
; WaveLimiterHint : 0
; COMPUTE_PGM_RSRC2:SCRATCH_EN: 0
; COMPUTE_PGM_RSRC2:USER_SGPR: 6
; COMPUTE_PGM_RSRC2:TRAP_HANDLER: 0
; COMPUTE_PGM_RSRC2:TGID_X_EN: 1
; COMPUTE_PGM_RSRC2:TGID_Y_EN: 0
; COMPUTE_PGM_RSRC2:TGID_Z_EN: 0
; COMPUTE_PGM_RSRC2:TIDIG_COMP_CNT: 0
; COMPUTE_PGM_RSRC3_GFX90A:ACCUM_OFFSET: 0
; COMPUTE_PGM_RSRC3_GFX90A:TG_SPLIT: 0
	.section	.text._ZN7rocprim17ROCPRIM_400000_NS6detail17trampoline_kernelINS0_14default_configENS1_36segmented_radix_sort_config_selectorIhlEEZNS1_25segmented_radix_sort_implIS3_Lb0EPKhPhPKlPlN2at6native12_GLOBAL__N_18offset_tEEE10hipError_tPvRmT1_PNSt15iterator_traitsISK_E10value_typeET2_T3_PNSL_ISQ_E10value_typeET4_jRbjT5_SW_jjP12ihipStream_tbEUlT_E2_NS1_11comp_targetILNS1_3genE0ELNS1_11target_archE4294967295ELNS1_3gpuE0ELNS1_3repE0EEENS1_30default_config_static_selectorELNS0_4arch9wavefront6targetE1EEEvSK_,"axG",@progbits,_ZN7rocprim17ROCPRIM_400000_NS6detail17trampoline_kernelINS0_14default_configENS1_36segmented_radix_sort_config_selectorIhlEEZNS1_25segmented_radix_sort_implIS3_Lb0EPKhPhPKlPlN2at6native12_GLOBAL__N_18offset_tEEE10hipError_tPvRmT1_PNSt15iterator_traitsISK_E10value_typeET2_T3_PNSL_ISQ_E10value_typeET4_jRbjT5_SW_jjP12ihipStream_tbEUlT_E2_NS1_11comp_targetILNS1_3genE0ELNS1_11target_archE4294967295ELNS1_3gpuE0ELNS1_3repE0EEENS1_30default_config_static_selectorELNS0_4arch9wavefront6targetE1EEEvSK_,comdat
	.globl	_ZN7rocprim17ROCPRIM_400000_NS6detail17trampoline_kernelINS0_14default_configENS1_36segmented_radix_sort_config_selectorIhlEEZNS1_25segmented_radix_sort_implIS3_Lb0EPKhPhPKlPlN2at6native12_GLOBAL__N_18offset_tEEE10hipError_tPvRmT1_PNSt15iterator_traitsISK_E10value_typeET2_T3_PNSL_ISQ_E10value_typeET4_jRbjT5_SW_jjP12ihipStream_tbEUlT_E2_NS1_11comp_targetILNS1_3genE0ELNS1_11target_archE4294967295ELNS1_3gpuE0ELNS1_3repE0EEENS1_30default_config_static_selectorELNS0_4arch9wavefront6targetE1EEEvSK_ ; -- Begin function _ZN7rocprim17ROCPRIM_400000_NS6detail17trampoline_kernelINS0_14default_configENS1_36segmented_radix_sort_config_selectorIhlEEZNS1_25segmented_radix_sort_implIS3_Lb0EPKhPhPKlPlN2at6native12_GLOBAL__N_18offset_tEEE10hipError_tPvRmT1_PNSt15iterator_traitsISK_E10value_typeET2_T3_PNSL_ISQ_E10value_typeET4_jRbjT5_SW_jjP12ihipStream_tbEUlT_E2_NS1_11comp_targetILNS1_3genE0ELNS1_11target_archE4294967295ELNS1_3gpuE0ELNS1_3repE0EEENS1_30default_config_static_selectorELNS0_4arch9wavefront6targetE1EEEvSK_
	.p2align	8
	.type	_ZN7rocprim17ROCPRIM_400000_NS6detail17trampoline_kernelINS0_14default_configENS1_36segmented_radix_sort_config_selectorIhlEEZNS1_25segmented_radix_sort_implIS3_Lb0EPKhPhPKlPlN2at6native12_GLOBAL__N_18offset_tEEE10hipError_tPvRmT1_PNSt15iterator_traitsISK_E10value_typeET2_T3_PNSL_ISQ_E10value_typeET4_jRbjT5_SW_jjP12ihipStream_tbEUlT_E2_NS1_11comp_targetILNS1_3genE0ELNS1_11target_archE4294967295ELNS1_3gpuE0ELNS1_3repE0EEENS1_30default_config_static_selectorELNS0_4arch9wavefront6targetE1EEEvSK_,@function
_ZN7rocprim17ROCPRIM_400000_NS6detail17trampoline_kernelINS0_14default_configENS1_36segmented_radix_sort_config_selectorIhlEEZNS1_25segmented_radix_sort_implIS3_Lb0EPKhPhPKlPlN2at6native12_GLOBAL__N_18offset_tEEE10hipError_tPvRmT1_PNSt15iterator_traitsISK_E10value_typeET2_T3_PNSL_ISQ_E10value_typeET4_jRbjT5_SW_jjP12ihipStream_tbEUlT_E2_NS1_11comp_targetILNS1_3genE0ELNS1_11target_archE4294967295ELNS1_3gpuE0ELNS1_3repE0EEENS1_30default_config_static_selectorELNS0_4arch9wavefront6targetE1EEEvSK_: ; @_ZN7rocprim17ROCPRIM_400000_NS6detail17trampoline_kernelINS0_14default_configENS1_36segmented_radix_sort_config_selectorIhlEEZNS1_25segmented_radix_sort_implIS3_Lb0EPKhPhPKlPlN2at6native12_GLOBAL__N_18offset_tEEE10hipError_tPvRmT1_PNSt15iterator_traitsISK_E10value_typeET2_T3_PNSL_ISQ_E10value_typeET4_jRbjT5_SW_jjP12ihipStream_tbEUlT_E2_NS1_11comp_targetILNS1_3genE0ELNS1_11target_archE4294967295ELNS1_3gpuE0ELNS1_3repE0EEENS1_30default_config_static_selectorELNS0_4arch9wavefront6targetE1EEEvSK_
; %bb.0:
	.section	.rodata,"a",@progbits
	.p2align	6, 0x0
	.amdhsa_kernel _ZN7rocprim17ROCPRIM_400000_NS6detail17trampoline_kernelINS0_14default_configENS1_36segmented_radix_sort_config_selectorIhlEEZNS1_25segmented_radix_sort_implIS3_Lb0EPKhPhPKlPlN2at6native12_GLOBAL__N_18offset_tEEE10hipError_tPvRmT1_PNSt15iterator_traitsISK_E10value_typeET2_T3_PNSL_ISQ_E10value_typeET4_jRbjT5_SW_jjP12ihipStream_tbEUlT_E2_NS1_11comp_targetILNS1_3genE0ELNS1_11target_archE4294967295ELNS1_3gpuE0ELNS1_3repE0EEENS1_30default_config_static_selectorELNS0_4arch9wavefront6targetE1EEEvSK_
		.amdhsa_group_segment_fixed_size 0
		.amdhsa_private_segment_fixed_size 0
		.amdhsa_kernarg_size 80
		.amdhsa_user_sgpr_count 6
		.amdhsa_user_sgpr_private_segment_buffer 1
		.amdhsa_user_sgpr_dispatch_ptr 0
		.amdhsa_user_sgpr_queue_ptr 0
		.amdhsa_user_sgpr_kernarg_segment_ptr 1
		.amdhsa_user_sgpr_dispatch_id 0
		.amdhsa_user_sgpr_flat_scratch_init 0
		.amdhsa_user_sgpr_kernarg_preload_length 0
		.amdhsa_user_sgpr_kernarg_preload_offset 0
		.amdhsa_user_sgpr_private_segment_size 0
		.amdhsa_uses_dynamic_stack 0
		.amdhsa_system_sgpr_private_segment_wavefront_offset 0
		.amdhsa_system_sgpr_workgroup_id_x 1
		.amdhsa_system_sgpr_workgroup_id_y 0
		.amdhsa_system_sgpr_workgroup_id_z 0
		.amdhsa_system_sgpr_workgroup_info 0
		.amdhsa_system_vgpr_workitem_id 0
		.amdhsa_next_free_vgpr 1
		.amdhsa_next_free_sgpr 0
		.amdhsa_accum_offset 4
		.amdhsa_reserve_vcc 0
		.amdhsa_reserve_flat_scratch 0
		.amdhsa_float_round_mode_32 0
		.amdhsa_float_round_mode_16_64 0
		.amdhsa_float_denorm_mode_32 3
		.amdhsa_float_denorm_mode_16_64 3
		.amdhsa_dx10_clamp 1
		.amdhsa_ieee_mode 1
		.amdhsa_fp16_overflow 0
		.amdhsa_tg_split 0
		.amdhsa_exception_fp_ieee_invalid_op 0
		.amdhsa_exception_fp_denorm_src 0
		.amdhsa_exception_fp_ieee_div_zero 0
		.amdhsa_exception_fp_ieee_overflow 0
		.amdhsa_exception_fp_ieee_underflow 0
		.amdhsa_exception_fp_ieee_inexact 0
		.amdhsa_exception_int_div_zero 0
	.end_amdhsa_kernel
	.section	.text._ZN7rocprim17ROCPRIM_400000_NS6detail17trampoline_kernelINS0_14default_configENS1_36segmented_radix_sort_config_selectorIhlEEZNS1_25segmented_radix_sort_implIS3_Lb0EPKhPhPKlPlN2at6native12_GLOBAL__N_18offset_tEEE10hipError_tPvRmT1_PNSt15iterator_traitsISK_E10value_typeET2_T3_PNSL_ISQ_E10value_typeET4_jRbjT5_SW_jjP12ihipStream_tbEUlT_E2_NS1_11comp_targetILNS1_3genE0ELNS1_11target_archE4294967295ELNS1_3gpuE0ELNS1_3repE0EEENS1_30default_config_static_selectorELNS0_4arch9wavefront6targetE1EEEvSK_,"axG",@progbits,_ZN7rocprim17ROCPRIM_400000_NS6detail17trampoline_kernelINS0_14default_configENS1_36segmented_radix_sort_config_selectorIhlEEZNS1_25segmented_radix_sort_implIS3_Lb0EPKhPhPKlPlN2at6native12_GLOBAL__N_18offset_tEEE10hipError_tPvRmT1_PNSt15iterator_traitsISK_E10value_typeET2_T3_PNSL_ISQ_E10value_typeET4_jRbjT5_SW_jjP12ihipStream_tbEUlT_E2_NS1_11comp_targetILNS1_3genE0ELNS1_11target_archE4294967295ELNS1_3gpuE0ELNS1_3repE0EEENS1_30default_config_static_selectorELNS0_4arch9wavefront6targetE1EEEvSK_,comdat
.Lfunc_end216:
	.size	_ZN7rocprim17ROCPRIM_400000_NS6detail17trampoline_kernelINS0_14default_configENS1_36segmented_radix_sort_config_selectorIhlEEZNS1_25segmented_radix_sort_implIS3_Lb0EPKhPhPKlPlN2at6native12_GLOBAL__N_18offset_tEEE10hipError_tPvRmT1_PNSt15iterator_traitsISK_E10value_typeET2_T3_PNSL_ISQ_E10value_typeET4_jRbjT5_SW_jjP12ihipStream_tbEUlT_E2_NS1_11comp_targetILNS1_3genE0ELNS1_11target_archE4294967295ELNS1_3gpuE0ELNS1_3repE0EEENS1_30default_config_static_selectorELNS0_4arch9wavefront6targetE1EEEvSK_, .Lfunc_end216-_ZN7rocprim17ROCPRIM_400000_NS6detail17trampoline_kernelINS0_14default_configENS1_36segmented_radix_sort_config_selectorIhlEEZNS1_25segmented_radix_sort_implIS3_Lb0EPKhPhPKlPlN2at6native12_GLOBAL__N_18offset_tEEE10hipError_tPvRmT1_PNSt15iterator_traitsISK_E10value_typeET2_T3_PNSL_ISQ_E10value_typeET4_jRbjT5_SW_jjP12ihipStream_tbEUlT_E2_NS1_11comp_targetILNS1_3genE0ELNS1_11target_archE4294967295ELNS1_3gpuE0ELNS1_3repE0EEENS1_30default_config_static_selectorELNS0_4arch9wavefront6targetE1EEEvSK_
                                        ; -- End function
	.section	.AMDGPU.csdata,"",@progbits
; Kernel info:
; codeLenInByte = 0
; NumSgprs: 4
; NumVgprs: 0
; NumAgprs: 0
; TotalNumVgprs: 0
; ScratchSize: 0
; MemoryBound: 0
; FloatMode: 240
; IeeeMode: 1
; LDSByteSize: 0 bytes/workgroup (compile time only)
; SGPRBlocks: 0
; VGPRBlocks: 0
; NumSGPRsForWavesPerEU: 4
; NumVGPRsForWavesPerEU: 1
; AccumOffset: 4
; Occupancy: 8
; WaveLimiterHint : 0
; COMPUTE_PGM_RSRC2:SCRATCH_EN: 0
; COMPUTE_PGM_RSRC2:USER_SGPR: 6
; COMPUTE_PGM_RSRC2:TRAP_HANDLER: 0
; COMPUTE_PGM_RSRC2:TGID_X_EN: 1
; COMPUTE_PGM_RSRC2:TGID_Y_EN: 0
; COMPUTE_PGM_RSRC2:TGID_Z_EN: 0
; COMPUTE_PGM_RSRC2:TIDIG_COMP_CNT: 0
; COMPUTE_PGM_RSRC3_GFX90A:ACCUM_OFFSET: 0
; COMPUTE_PGM_RSRC3_GFX90A:TG_SPLIT: 0
	.section	.text._ZN7rocprim17ROCPRIM_400000_NS6detail17trampoline_kernelINS0_14default_configENS1_36segmented_radix_sort_config_selectorIhlEEZNS1_25segmented_radix_sort_implIS3_Lb0EPKhPhPKlPlN2at6native12_GLOBAL__N_18offset_tEEE10hipError_tPvRmT1_PNSt15iterator_traitsISK_E10value_typeET2_T3_PNSL_ISQ_E10value_typeET4_jRbjT5_SW_jjP12ihipStream_tbEUlT_E2_NS1_11comp_targetILNS1_3genE5ELNS1_11target_archE942ELNS1_3gpuE9ELNS1_3repE0EEENS1_30default_config_static_selectorELNS0_4arch9wavefront6targetE1EEEvSK_,"axG",@progbits,_ZN7rocprim17ROCPRIM_400000_NS6detail17trampoline_kernelINS0_14default_configENS1_36segmented_radix_sort_config_selectorIhlEEZNS1_25segmented_radix_sort_implIS3_Lb0EPKhPhPKlPlN2at6native12_GLOBAL__N_18offset_tEEE10hipError_tPvRmT1_PNSt15iterator_traitsISK_E10value_typeET2_T3_PNSL_ISQ_E10value_typeET4_jRbjT5_SW_jjP12ihipStream_tbEUlT_E2_NS1_11comp_targetILNS1_3genE5ELNS1_11target_archE942ELNS1_3gpuE9ELNS1_3repE0EEENS1_30default_config_static_selectorELNS0_4arch9wavefront6targetE1EEEvSK_,comdat
	.globl	_ZN7rocprim17ROCPRIM_400000_NS6detail17trampoline_kernelINS0_14default_configENS1_36segmented_radix_sort_config_selectorIhlEEZNS1_25segmented_radix_sort_implIS3_Lb0EPKhPhPKlPlN2at6native12_GLOBAL__N_18offset_tEEE10hipError_tPvRmT1_PNSt15iterator_traitsISK_E10value_typeET2_T3_PNSL_ISQ_E10value_typeET4_jRbjT5_SW_jjP12ihipStream_tbEUlT_E2_NS1_11comp_targetILNS1_3genE5ELNS1_11target_archE942ELNS1_3gpuE9ELNS1_3repE0EEENS1_30default_config_static_selectorELNS0_4arch9wavefront6targetE1EEEvSK_ ; -- Begin function _ZN7rocprim17ROCPRIM_400000_NS6detail17trampoline_kernelINS0_14default_configENS1_36segmented_radix_sort_config_selectorIhlEEZNS1_25segmented_radix_sort_implIS3_Lb0EPKhPhPKlPlN2at6native12_GLOBAL__N_18offset_tEEE10hipError_tPvRmT1_PNSt15iterator_traitsISK_E10value_typeET2_T3_PNSL_ISQ_E10value_typeET4_jRbjT5_SW_jjP12ihipStream_tbEUlT_E2_NS1_11comp_targetILNS1_3genE5ELNS1_11target_archE942ELNS1_3gpuE9ELNS1_3repE0EEENS1_30default_config_static_selectorELNS0_4arch9wavefront6targetE1EEEvSK_
	.p2align	8
	.type	_ZN7rocprim17ROCPRIM_400000_NS6detail17trampoline_kernelINS0_14default_configENS1_36segmented_radix_sort_config_selectorIhlEEZNS1_25segmented_radix_sort_implIS3_Lb0EPKhPhPKlPlN2at6native12_GLOBAL__N_18offset_tEEE10hipError_tPvRmT1_PNSt15iterator_traitsISK_E10value_typeET2_T3_PNSL_ISQ_E10value_typeET4_jRbjT5_SW_jjP12ihipStream_tbEUlT_E2_NS1_11comp_targetILNS1_3genE5ELNS1_11target_archE942ELNS1_3gpuE9ELNS1_3repE0EEENS1_30default_config_static_selectorELNS0_4arch9wavefront6targetE1EEEvSK_,@function
_ZN7rocprim17ROCPRIM_400000_NS6detail17trampoline_kernelINS0_14default_configENS1_36segmented_radix_sort_config_selectorIhlEEZNS1_25segmented_radix_sort_implIS3_Lb0EPKhPhPKlPlN2at6native12_GLOBAL__N_18offset_tEEE10hipError_tPvRmT1_PNSt15iterator_traitsISK_E10value_typeET2_T3_PNSL_ISQ_E10value_typeET4_jRbjT5_SW_jjP12ihipStream_tbEUlT_E2_NS1_11comp_targetILNS1_3genE5ELNS1_11target_archE942ELNS1_3gpuE9ELNS1_3repE0EEENS1_30default_config_static_selectorELNS0_4arch9wavefront6targetE1EEEvSK_: ; @_ZN7rocprim17ROCPRIM_400000_NS6detail17trampoline_kernelINS0_14default_configENS1_36segmented_radix_sort_config_selectorIhlEEZNS1_25segmented_radix_sort_implIS3_Lb0EPKhPhPKlPlN2at6native12_GLOBAL__N_18offset_tEEE10hipError_tPvRmT1_PNSt15iterator_traitsISK_E10value_typeET2_T3_PNSL_ISQ_E10value_typeET4_jRbjT5_SW_jjP12ihipStream_tbEUlT_E2_NS1_11comp_targetILNS1_3genE5ELNS1_11target_archE942ELNS1_3gpuE9ELNS1_3repE0EEENS1_30default_config_static_selectorELNS0_4arch9wavefront6targetE1EEEvSK_
; %bb.0:
	.section	.rodata,"a",@progbits
	.p2align	6, 0x0
	.amdhsa_kernel _ZN7rocprim17ROCPRIM_400000_NS6detail17trampoline_kernelINS0_14default_configENS1_36segmented_radix_sort_config_selectorIhlEEZNS1_25segmented_radix_sort_implIS3_Lb0EPKhPhPKlPlN2at6native12_GLOBAL__N_18offset_tEEE10hipError_tPvRmT1_PNSt15iterator_traitsISK_E10value_typeET2_T3_PNSL_ISQ_E10value_typeET4_jRbjT5_SW_jjP12ihipStream_tbEUlT_E2_NS1_11comp_targetILNS1_3genE5ELNS1_11target_archE942ELNS1_3gpuE9ELNS1_3repE0EEENS1_30default_config_static_selectorELNS0_4arch9wavefront6targetE1EEEvSK_
		.amdhsa_group_segment_fixed_size 0
		.amdhsa_private_segment_fixed_size 0
		.amdhsa_kernarg_size 80
		.amdhsa_user_sgpr_count 6
		.amdhsa_user_sgpr_private_segment_buffer 1
		.amdhsa_user_sgpr_dispatch_ptr 0
		.amdhsa_user_sgpr_queue_ptr 0
		.amdhsa_user_sgpr_kernarg_segment_ptr 1
		.amdhsa_user_sgpr_dispatch_id 0
		.amdhsa_user_sgpr_flat_scratch_init 0
		.amdhsa_user_sgpr_kernarg_preload_length 0
		.amdhsa_user_sgpr_kernarg_preload_offset 0
		.amdhsa_user_sgpr_private_segment_size 0
		.amdhsa_uses_dynamic_stack 0
		.amdhsa_system_sgpr_private_segment_wavefront_offset 0
		.amdhsa_system_sgpr_workgroup_id_x 1
		.amdhsa_system_sgpr_workgroup_id_y 0
		.amdhsa_system_sgpr_workgroup_id_z 0
		.amdhsa_system_sgpr_workgroup_info 0
		.amdhsa_system_vgpr_workitem_id 0
		.amdhsa_next_free_vgpr 1
		.amdhsa_next_free_sgpr 0
		.amdhsa_accum_offset 4
		.amdhsa_reserve_vcc 0
		.amdhsa_reserve_flat_scratch 0
		.amdhsa_float_round_mode_32 0
		.amdhsa_float_round_mode_16_64 0
		.amdhsa_float_denorm_mode_32 3
		.amdhsa_float_denorm_mode_16_64 3
		.amdhsa_dx10_clamp 1
		.amdhsa_ieee_mode 1
		.amdhsa_fp16_overflow 0
		.amdhsa_tg_split 0
		.amdhsa_exception_fp_ieee_invalid_op 0
		.amdhsa_exception_fp_denorm_src 0
		.amdhsa_exception_fp_ieee_div_zero 0
		.amdhsa_exception_fp_ieee_overflow 0
		.amdhsa_exception_fp_ieee_underflow 0
		.amdhsa_exception_fp_ieee_inexact 0
		.amdhsa_exception_int_div_zero 0
	.end_amdhsa_kernel
	.section	.text._ZN7rocprim17ROCPRIM_400000_NS6detail17trampoline_kernelINS0_14default_configENS1_36segmented_radix_sort_config_selectorIhlEEZNS1_25segmented_radix_sort_implIS3_Lb0EPKhPhPKlPlN2at6native12_GLOBAL__N_18offset_tEEE10hipError_tPvRmT1_PNSt15iterator_traitsISK_E10value_typeET2_T3_PNSL_ISQ_E10value_typeET4_jRbjT5_SW_jjP12ihipStream_tbEUlT_E2_NS1_11comp_targetILNS1_3genE5ELNS1_11target_archE942ELNS1_3gpuE9ELNS1_3repE0EEENS1_30default_config_static_selectorELNS0_4arch9wavefront6targetE1EEEvSK_,"axG",@progbits,_ZN7rocprim17ROCPRIM_400000_NS6detail17trampoline_kernelINS0_14default_configENS1_36segmented_radix_sort_config_selectorIhlEEZNS1_25segmented_radix_sort_implIS3_Lb0EPKhPhPKlPlN2at6native12_GLOBAL__N_18offset_tEEE10hipError_tPvRmT1_PNSt15iterator_traitsISK_E10value_typeET2_T3_PNSL_ISQ_E10value_typeET4_jRbjT5_SW_jjP12ihipStream_tbEUlT_E2_NS1_11comp_targetILNS1_3genE5ELNS1_11target_archE942ELNS1_3gpuE9ELNS1_3repE0EEENS1_30default_config_static_selectorELNS0_4arch9wavefront6targetE1EEEvSK_,comdat
.Lfunc_end217:
	.size	_ZN7rocprim17ROCPRIM_400000_NS6detail17trampoline_kernelINS0_14default_configENS1_36segmented_radix_sort_config_selectorIhlEEZNS1_25segmented_radix_sort_implIS3_Lb0EPKhPhPKlPlN2at6native12_GLOBAL__N_18offset_tEEE10hipError_tPvRmT1_PNSt15iterator_traitsISK_E10value_typeET2_T3_PNSL_ISQ_E10value_typeET4_jRbjT5_SW_jjP12ihipStream_tbEUlT_E2_NS1_11comp_targetILNS1_3genE5ELNS1_11target_archE942ELNS1_3gpuE9ELNS1_3repE0EEENS1_30default_config_static_selectorELNS0_4arch9wavefront6targetE1EEEvSK_, .Lfunc_end217-_ZN7rocprim17ROCPRIM_400000_NS6detail17trampoline_kernelINS0_14default_configENS1_36segmented_radix_sort_config_selectorIhlEEZNS1_25segmented_radix_sort_implIS3_Lb0EPKhPhPKlPlN2at6native12_GLOBAL__N_18offset_tEEE10hipError_tPvRmT1_PNSt15iterator_traitsISK_E10value_typeET2_T3_PNSL_ISQ_E10value_typeET4_jRbjT5_SW_jjP12ihipStream_tbEUlT_E2_NS1_11comp_targetILNS1_3genE5ELNS1_11target_archE942ELNS1_3gpuE9ELNS1_3repE0EEENS1_30default_config_static_selectorELNS0_4arch9wavefront6targetE1EEEvSK_
                                        ; -- End function
	.section	.AMDGPU.csdata,"",@progbits
; Kernel info:
; codeLenInByte = 0
; NumSgprs: 4
; NumVgprs: 0
; NumAgprs: 0
; TotalNumVgprs: 0
; ScratchSize: 0
; MemoryBound: 0
; FloatMode: 240
; IeeeMode: 1
; LDSByteSize: 0 bytes/workgroup (compile time only)
; SGPRBlocks: 0
; VGPRBlocks: 0
; NumSGPRsForWavesPerEU: 4
; NumVGPRsForWavesPerEU: 1
; AccumOffset: 4
; Occupancy: 8
; WaveLimiterHint : 0
; COMPUTE_PGM_RSRC2:SCRATCH_EN: 0
; COMPUTE_PGM_RSRC2:USER_SGPR: 6
; COMPUTE_PGM_RSRC2:TRAP_HANDLER: 0
; COMPUTE_PGM_RSRC2:TGID_X_EN: 1
; COMPUTE_PGM_RSRC2:TGID_Y_EN: 0
; COMPUTE_PGM_RSRC2:TGID_Z_EN: 0
; COMPUTE_PGM_RSRC2:TIDIG_COMP_CNT: 0
; COMPUTE_PGM_RSRC3_GFX90A:ACCUM_OFFSET: 0
; COMPUTE_PGM_RSRC3_GFX90A:TG_SPLIT: 0
	.section	.text._ZN7rocprim17ROCPRIM_400000_NS6detail17trampoline_kernelINS0_14default_configENS1_36segmented_radix_sort_config_selectorIhlEEZNS1_25segmented_radix_sort_implIS3_Lb0EPKhPhPKlPlN2at6native12_GLOBAL__N_18offset_tEEE10hipError_tPvRmT1_PNSt15iterator_traitsISK_E10value_typeET2_T3_PNSL_ISQ_E10value_typeET4_jRbjT5_SW_jjP12ihipStream_tbEUlT_E2_NS1_11comp_targetILNS1_3genE4ELNS1_11target_archE910ELNS1_3gpuE8ELNS1_3repE0EEENS1_30default_config_static_selectorELNS0_4arch9wavefront6targetE1EEEvSK_,"axG",@progbits,_ZN7rocprim17ROCPRIM_400000_NS6detail17trampoline_kernelINS0_14default_configENS1_36segmented_radix_sort_config_selectorIhlEEZNS1_25segmented_radix_sort_implIS3_Lb0EPKhPhPKlPlN2at6native12_GLOBAL__N_18offset_tEEE10hipError_tPvRmT1_PNSt15iterator_traitsISK_E10value_typeET2_T3_PNSL_ISQ_E10value_typeET4_jRbjT5_SW_jjP12ihipStream_tbEUlT_E2_NS1_11comp_targetILNS1_3genE4ELNS1_11target_archE910ELNS1_3gpuE8ELNS1_3repE0EEENS1_30default_config_static_selectorELNS0_4arch9wavefront6targetE1EEEvSK_,comdat
	.globl	_ZN7rocprim17ROCPRIM_400000_NS6detail17trampoline_kernelINS0_14default_configENS1_36segmented_radix_sort_config_selectorIhlEEZNS1_25segmented_radix_sort_implIS3_Lb0EPKhPhPKlPlN2at6native12_GLOBAL__N_18offset_tEEE10hipError_tPvRmT1_PNSt15iterator_traitsISK_E10value_typeET2_T3_PNSL_ISQ_E10value_typeET4_jRbjT5_SW_jjP12ihipStream_tbEUlT_E2_NS1_11comp_targetILNS1_3genE4ELNS1_11target_archE910ELNS1_3gpuE8ELNS1_3repE0EEENS1_30default_config_static_selectorELNS0_4arch9wavefront6targetE1EEEvSK_ ; -- Begin function _ZN7rocprim17ROCPRIM_400000_NS6detail17trampoline_kernelINS0_14default_configENS1_36segmented_radix_sort_config_selectorIhlEEZNS1_25segmented_radix_sort_implIS3_Lb0EPKhPhPKlPlN2at6native12_GLOBAL__N_18offset_tEEE10hipError_tPvRmT1_PNSt15iterator_traitsISK_E10value_typeET2_T3_PNSL_ISQ_E10value_typeET4_jRbjT5_SW_jjP12ihipStream_tbEUlT_E2_NS1_11comp_targetILNS1_3genE4ELNS1_11target_archE910ELNS1_3gpuE8ELNS1_3repE0EEENS1_30default_config_static_selectorELNS0_4arch9wavefront6targetE1EEEvSK_
	.p2align	8
	.type	_ZN7rocprim17ROCPRIM_400000_NS6detail17trampoline_kernelINS0_14default_configENS1_36segmented_radix_sort_config_selectorIhlEEZNS1_25segmented_radix_sort_implIS3_Lb0EPKhPhPKlPlN2at6native12_GLOBAL__N_18offset_tEEE10hipError_tPvRmT1_PNSt15iterator_traitsISK_E10value_typeET2_T3_PNSL_ISQ_E10value_typeET4_jRbjT5_SW_jjP12ihipStream_tbEUlT_E2_NS1_11comp_targetILNS1_3genE4ELNS1_11target_archE910ELNS1_3gpuE8ELNS1_3repE0EEENS1_30default_config_static_selectorELNS0_4arch9wavefront6targetE1EEEvSK_,@function
_ZN7rocprim17ROCPRIM_400000_NS6detail17trampoline_kernelINS0_14default_configENS1_36segmented_radix_sort_config_selectorIhlEEZNS1_25segmented_radix_sort_implIS3_Lb0EPKhPhPKlPlN2at6native12_GLOBAL__N_18offset_tEEE10hipError_tPvRmT1_PNSt15iterator_traitsISK_E10value_typeET2_T3_PNSL_ISQ_E10value_typeET4_jRbjT5_SW_jjP12ihipStream_tbEUlT_E2_NS1_11comp_targetILNS1_3genE4ELNS1_11target_archE910ELNS1_3gpuE8ELNS1_3repE0EEENS1_30default_config_static_selectorELNS0_4arch9wavefront6targetE1EEEvSK_: ; @_ZN7rocprim17ROCPRIM_400000_NS6detail17trampoline_kernelINS0_14default_configENS1_36segmented_radix_sort_config_selectorIhlEEZNS1_25segmented_radix_sort_implIS3_Lb0EPKhPhPKlPlN2at6native12_GLOBAL__N_18offset_tEEE10hipError_tPvRmT1_PNSt15iterator_traitsISK_E10value_typeET2_T3_PNSL_ISQ_E10value_typeET4_jRbjT5_SW_jjP12ihipStream_tbEUlT_E2_NS1_11comp_targetILNS1_3genE4ELNS1_11target_archE910ELNS1_3gpuE8ELNS1_3repE0EEENS1_30default_config_static_selectorELNS0_4arch9wavefront6targetE1EEEvSK_
; %bb.0:
	s_add_u32 flat_scratch_lo, s6, s10
	s_addc_u32 flat_scratch_hi, s7, 0
	s_add_u32 s0, s0, s10
	s_mov_b32 s33, s9
	s_mov_b32 s50, s8
	s_load_dwordx4 s[8:11], s[4:5], 0x34
	s_addc_u32 s1, s1, 0
	s_mov_b32 s32, 0
	s_waitcnt lgkmcnt(0)
	s_add_i32 s51, s9, s50
	s_add_i32 s76, s11, s50
	s_mul_i32 s51, s51, s8
	s_mul_i32 s76, s76, s10
	s_cmp_le_u32 s76, s51
	s_cbranch_scc1 .LBB218_686
; %bb.1:
	s_load_dword s6, s[4:5], 0x30
	s_load_dwordx4 s[64:67], s[4:5], 0x20
	s_load_dwordx4 s[68:71], s[4:5], 0x44
	s_load_dwordx8 s[56:63], s[4:5], 0x0
	s_waitcnt lgkmcnt(0)
	s_bitcmp1_b32 s6, 0
	s_cselect_b64 s[54:55], -1, 0
	s_sub_i32 s71, s76, s51
	s_cmpk_lt_u32 s71, 0x801
	s_mov_b64 s[6:7], -1
	s_cbranch_scc0 .LBB218_15
; %bb.2:
	s_cmp_lt_u32 s71, 33
	s_cbranch_scc0 .LBB218_9
; %bb.3:
	s_load_dword s6, s[4:5], 0x5c
	v_bfe_u32 v1, v0, 10, 10
	v_bfe_u32 v3, v0, 20, 10
	v_and_b32_e32 v2, 0x3ff, v0
	s_waitcnt lgkmcnt(0)
	s_lshr_b32 s7, s6, 16
	s_and_b32 s6, s6, 0xffff
	v_mad_u32_u24 v1, v3, s7, v1
	v_mad_u64_u32 v[2:3], s[6:7], v1, s6, v[2:3]
	v_cmp_gt_u32_e32 vcc, 8, v2
	s_and_saveexec_b64 s[34:35], vcc
	s_cbranch_execz .LBB218_8
; %bb.4:
	s_and_b32 s6, s68, 1
	v_cndmask_b32_e64 v1, 0, 1, s[54:55]
	v_cmp_ne_u32_e32 vcc, s6, v1
	s_mov_b64 s[6:7], -1
	s_cbranch_vccnz .LBB218_6
; %bb.5:
	s_add_u32 s8, s4, 0x50
	s_mov_b64 s[6:7], src_shared_base
	s_addc_u32 s9, s5, 0
	s_mov_b32 s12, s50
	s_mov_b32 s13, s33
	v_mov_b32_e32 v31, v0
	v_mov_b32_e32 v40, v0
	;; [unrolled: 1-line block ×16, first 2 shown]
	s_getpc_b64 s[10:11]
	s_add_u32 s10, s10, _ZN7rocprim17ROCPRIM_400000_NS6detail26segmented_warp_sort_helperINS1_20WarpSortHelperConfigILj8ELj4ELj256EEEhlLi256ELb0EvE4sortIPKhPhPKlPlEEvT_T0_T1_T2_jjjjRNS5_12storage_typeE@rel32@lo+4
	s_addc_u32 s11, s11, _ZN7rocprim17ROCPRIM_400000_NS6detail26segmented_warp_sort_helperINS1_20WarpSortHelperConfigILj8ELj4ELj256EEEhlLi256ELb0EvE4sortIPKhPhPKlPlEEvT_T0_T1_T2_jjjjRNS5_12storage_typeE@rel32@hi+12
	s_mov_b64 s[36:37], s[4:5]
	s_swappc_b64 s[30:31], s[10:11]
	v_mov_b32_e32 v0, v40
	s_mov_b64 s[4:5], s[36:37]
	s_mov_b64 s[6:7], 0
.LBB218_6:
	s_andn2_b64 vcc, exec, s[6:7]
	s_cbranch_vccnz .LBB218_8
; %bb.7:
	s_add_u32 s8, s4, 0x50
	s_mov_b64 s[6:7], src_shared_base
	s_addc_u32 s9, s5, 0
	s_mov_b32 s12, s50
	s_mov_b32 s13, s33
	v_mov_b32_e32 v31, v0
	v_mov_b32_e32 v40, v0
	v_mov_b32_e32 v0, s56
	v_mov_b32_e32 v1, s57
	v_mov_b32_e32 v2, s58
	v_mov_b32_e32 v3, s59
	v_mov_b32_e32 v4, s62
	v_mov_b32_e32 v5, s63
	v_mov_b32_e32 v6, s64
	v_mov_b32_e32 v7, s65
	v_mov_b32_e32 v8, s51
	v_mov_b32_e32 v9, s76
	v_mov_b32_e32 v10, s69
	v_mov_b32_e32 v11, s70
	v_mov_b32_e32 v12, 0
	v_mov_b32_e32 v13, s7
	s_getpc_b64 s[10:11]
	s_add_u32 s10, s10, _ZN7rocprim17ROCPRIM_400000_NS6detail26segmented_warp_sort_helperINS1_20WarpSortHelperConfigILj8ELj4ELj256EEEhlLi256ELb0EvE4sortIPKhPhPKlPlEEvT_T0_T1_T2_jjjjRNS5_12storage_typeE@rel32@lo+4
	s_addc_u32 s11, s11, _ZN7rocprim17ROCPRIM_400000_NS6detail26segmented_warp_sort_helperINS1_20WarpSortHelperConfigILj8ELj4ELj256EEEhlLi256ELb0EvE4sortIPKhPhPKlPlEEvT_T0_T1_T2_jjjjRNS5_12storage_typeE@rel32@hi+12
	s_mov_b64 s[36:37], s[4:5]
	s_swappc_b64 s[30:31], s[10:11]
	v_mov_b32_e32 v0, v40
	s_mov_b64 s[4:5], s[36:37]
.LBB218_8:
	s_or_b64 exec, exec, s[34:35]
	s_mov_b64 s[6:7], 0
.LBB218_9:
	s_andn2_b64 vcc, exec, s[6:7]
	s_cbranch_vccnz .LBB218_14
; %bb.10:
	s_and_b32 s6, s68, 1
	v_cndmask_b32_e64 v1, 0, 1, s[54:55]
	v_cmp_ne_u32_e32 vcc, s6, v1
	s_mov_b64 s[6:7], -1
	s_cbranch_vccnz .LBB218_12
; %bb.11:
	s_add_u32 s8, s4, 0x50
	s_mov_b64 s[6:7], src_shared_base
	s_addc_u32 s9, s5, 0
	s_mov_b32 s12, s50
	s_mov_b32 s13, s33
	v_mov_b32_e32 v31, v0
	v_mov_b32_e32 v41, v0
	v_mov_b32_e32 v0, s56
	v_mov_b32_e32 v1, s57
	v_mov_b32_e32 v2, s60
	v_mov_b32_e32 v3, s61
	v_mov_b32_e32 v4, s62
	v_mov_b32_e32 v5, s63
	v_mov_b32_e32 v6, s66
	v_mov_b32_e32 v7, s67
	v_mov_b32_e32 v8, s51
	v_mov_b32_e32 v9, s76
	v_mov_b32_e32 v10, s69
	v_mov_b32_e32 v11, s70
	v_mov_b32_e32 v12, 0
	v_mov_b32_e32 v13, s7
	s_getpc_b64 s[10:11]
	s_add_u32 s10, s10, _ZN7rocprim17ROCPRIM_400000_NS6detail40segmented_radix_sort_single_block_helperIhlLj256ELj8ELb0EE4sortIPKhPhPKlPlEEbT_T0_T1_T2_jjjjRNS3_12storage_typeE@rel32@lo+4
	s_addc_u32 s11, s11, _ZN7rocprim17ROCPRIM_400000_NS6detail40segmented_radix_sort_single_block_helperIhlLj256ELj8ELb0EE4sortIPKhPhPKlPlEEbT_T0_T1_T2_jjjjRNS3_12storage_typeE@rel32@hi+12
	s_mov_b64 s[48:49], s[4:5]
	s_swappc_b64 s[30:31], s[10:11]
	v_mov_b32_e32 v0, v41
	s_mov_b64 s[4:5], s[48:49]
	s_mov_b64 s[6:7], 0
.LBB218_12:
	s_andn2_b64 vcc, exec, s[6:7]
	s_cbranch_vccnz .LBB218_14
; %bb.13:
	s_add_u32 s8, s4, 0x50
	s_mov_b64 s[6:7], src_shared_base
	s_addc_u32 s9, s5, 0
	s_mov_b32 s12, s50
	s_mov_b32 s13, s33
	v_mov_b32_e32 v31, v0
	v_mov_b32_e32 v41, v0
	;; [unrolled: 1-line block ×16, first 2 shown]
	s_getpc_b64 s[10:11]
	s_add_u32 s10, s10, _ZN7rocprim17ROCPRIM_400000_NS6detail40segmented_radix_sort_single_block_helperIhlLj256ELj8ELb0EE4sortIPKhPhPKlPlEEbT_T0_T1_T2_jjjjRNS3_12storage_typeE@rel32@lo+4
	s_addc_u32 s11, s11, _ZN7rocprim17ROCPRIM_400000_NS6detail40segmented_radix_sort_single_block_helperIhlLj256ELj8ELb0EE4sortIPKhPhPKlPlEEbT_T0_T1_T2_jjjjRNS3_12storage_typeE@rel32@hi+12
	s_mov_b64 s[48:49], s[4:5]
	s_swappc_b64 s[30:31], s[10:11]
	v_mov_b32_e32 v0, v41
	s_mov_b64 s[4:5], s[48:49]
.LBB218_14:
	s_mov_b64 s[6:7], 0
.LBB218_15:
	s_andn2_b64 vcc, exec, s[6:7]
	s_cbranch_vccnz .LBB218_686
; %bb.16:
	s_cmp_ge_u32 s69, s70
	s_cbranch_scc1 .LBB218_686
; %bb.17:
	v_and_b32_e32 v2, 0x3ff, v0
	v_mov_b32_e32 v1, s61
	v_add_co_u32_e32 v28, vcc, s60, v2
	s_movk_i32 s6, 0x100
	v_addc_co_u32_e32 v29, vcc, 0, v1, vcc
	v_or_b32_e32 v1, 63, v2
	s_mov_b64 s[12:13], s[4:5]
	v_cmp_gt_u32_e64 s[4:5], s6, v2
	v_cmp_eq_u32_e64 s[6:7], v1, v2
	v_lshrrev_b32_e32 v1, 4, v2
	v_and_b32_e32 v35, 12, v1
	v_lshlrev_b32_e32 v1, 3, v2
	v_bfe_u32 v40, v0, 20, 10
	v_bfe_u32 v41, v0, 10, 10
	v_mul_u32_u24_e32 v0, 5, v2
	v_mov_b32_e32 v43, 0x410
	v_and_b32_e32 v39, 0x600, v1
	v_lshl_add_u32 v44, v0, 2, v43
	v_lshlrev_b32_e32 v0, 4, v2
	v_sub_u32_e32 v45, 0, v0
	v_lshlrev_b32_e32 v0, 3, v39
	v_mov_b32_e32 v1, s67
	v_add_co_u32_e32 v46, vcc, s66, v0
	v_addc_co_u32_e32 v47, vcc, 0, v1, vcc
	v_mov_b32_e32 v1, s61
	v_add_co_u32_e32 v48, vcc, s60, v39
	v_addc_co_u32_e32 v49, vcc, 0, v1, vcc
	;; [unrolled: 3-line block ×7, first 2 shown]
	v_lshlrev_b32_e32 v3, 2, v2
	v_mov_b32_e32 v0, s57
	v_add_co_u32_e32 v61, vcc, s56, v39
	v_mad_u32_u24 v34, v2, 12, v3
	s_add_u32 s74, s12, 0x50
	s_movk_i32 s14, 0xff
	v_addc_co_u32_e32 v62, vcc, 0, v0, vcc
	v_mbcnt_lo_u32_b32 v0, -1, 0
	s_mov_b32 s73, 0
	v_mov_b32_e32 v4, 0
	v_or_b32_e32 v24, 0x100, v2
	v_or_b32_e32 v25, 0x200, v2
	;; [unrolled: 1-line block ×3, first 2 shown]
	v_and_b32_e32 v27, 3, v2
	v_or_b32_e32 v30, 0x400, v2
	v_or_b32_e32 v31, 0x500, v2
	;; [unrolled: 1-line block ×5, first 2 shown]
	v_cmp_gt_u32_e64 s[8:9], 4, v2
	v_add_u32_e32 v37, 0x4400, v3
	v_cmp_lt_u32_e64 s[10:11], 63, v2
	v_add_u32_e32 v38, 0x43fc, v35
	s_addc_u32 s75, s13, 0
	v_add_u32_e32 v42, v34, v3
	v_cmp_eq_u32_e64 s[12:13], 0, v2
	v_cmp_ne_u32_e64 s[14:15], s14, v2
	v_mul_u32_u24_e32 v50, 7, v2
	v_mov_b32_e32 v63, 1
	v_mbcnt_hi_u32_b32 v64, -1, v0
	s_mov_b32 s68, s69
	s_branch .LBB218_20
.LBB218_18:                             ;   in Loop: Header=BB218_20 Depth=1
	s_waitcnt lgkmcnt(0)
	s_barrier
.LBB218_19:                             ;   in Loop: Header=BB218_20 Depth=1
	s_add_i32 s68, s68, 8
	s_cmp_ge_u32 s68, s70
	s_cbranch_scc1 .LBB218_686
.LBB218_20:                             ; =>This Loop Header: Depth=1
                                        ;     Child Loop BB218_24 Depth 2
                                        ;     Child Loop BB218_74 Depth 2
                                        ;     Child Loop BB218_190 Depth 2
                                        ;     Child Loop BB218_240 Depth 2
                                        ;     Child Loop BB218_358 Depth 2
                                        ;     Child Loop BB218_408 Depth 2
                                        ;     Child Loop BB218_524 Depth 2
                                        ;     Child Loop BB218_574 Depth 2
	s_sub_i32 s16, s70, s68
	s_min_u32 s16, s16, 8
	s_lshl_b32 s16, -1, s16
	s_xor_b64 s[54:55], s[54:55], -1
	s_not_b32 s77, s16
	s_cmp_lg_u32 s68, s69
	s_mov_b64 s[16:17], -1
	ds_write2st64_b32 v3, v4, v4 offset1:4
	ds_write2st64_b32 v3, v4, v4 offset0:8 offset1:12
	s_waitcnt lgkmcnt(0)
	s_cbranch_scc0 .LBB218_354
; %bb.21:                               ;   in Loop: Header=BB218_20 Depth=1
	s_and_b64 vcc, exec, s[54:55]
	s_cbranch_vccz .LBB218_187
; %bb.22:                               ;   in Loop: Header=BB218_20 Depth=1
	s_mov_b32 s20, s71
	s_mov_b32 s22, s51
	s_barrier
	s_waitcnt lgkmcnt(0)
                                        ; implicit-def: $vgpr5
                                        ; implicit-def: $vgpr6
                                        ; implicit-def: $vgpr7
                                        ; implicit-def: $vgpr8
                                        ; implicit-def: $vgpr9
                                        ; implicit-def: $vgpr10
                                        ; implicit-def: $vgpr11
                                        ; implicit-def: $vgpr12
	s_branch .LBB218_24
.LBB218_23:                             ;   in Loop: Header=BB218_24 Depth=2
	s_or_b64 exec, exec, s[16:17]
	s_addk_i32 s20, 0xf800
	s_cmp_ge_u32 s21, s76
	s_mov_b32 s22, s21
	s_cbranch_scc1 .LBB218_62
.LBB218_24:                             ;   Parent Loop BB218_20 Depth=1
                                        ; =>  This Inner Loop Header: Depth=2
	s_add_i32 s21, s22, 0x800
	s_cmp_gt_u32 s21, s76
	s_cbranch_scc1 .LBB218_27
; %bb.25:                               ;   in Loop: Header=BB218_24 Depth=2
	v_add_co_u32_e32 v0, vcc, s22, v28
	v_addc_co_u32_e32 v1, vcc, 0, v29, vcc
	global_load_ubyte v20, v[0:1], off offset:1536
	global_load_ubyte v19, v[0:1], off offset:1280
	;; [unrolled: 1-line block ×6, first 2 shown]
	global_load_ubyte v14, v[0:1], off
	v_add_co_u32_e32 v0, vcc, 0x700, v0
	v_addc_co_u32_e32 v1, vcc, 0, v1, vcc
	s_mov_b64 s[16:17], -1
	s_movk_i32 s25, 0x800
	s_cbranch_execz .LBB218_28
; %bb.26:                               ;   in Loop: Header=BB218_24 Depth=2
                                        ; implicit-def: $vgpr5
                                        ; implicit-def: $vgpr6
                                        ; implicit-def: $vgpr7
                                        ; implicit-def: $vgpr8
                                        ; implicit-def: $vgpr9
                                        ; implicit-def: $vgpr10
                                        ; implicit-def: $vgpr11
                                        ; implicit-def: $vgpr12
	v_mov_b32_e32 v13, s20
	s_and_saveexec_b64 s[18:19], s[16:17]
	s_cbranch_execnz .LBB218_39
	s_branch .LBB218_40
.LBB218_27:                             ;   in Loop: Header=BB218_24 Depth=2
	s_mov_b64 s[16:17], 0
                                        ; implicit-def: $sgpr25
                                        ; implicit-def: $vgpr14
                                        ; implicit-def: $vgpr15
                                        ; implicit-def: $vgpr16
                                        ; implicit-def: $vgpr17
                                        ; implicit-def: $vgpr18
                                        ; implicit-def: $vgpr19
                                        ; implicit-def: $vgpr20
                                        ; implicit-def: $vgpr0_vgpr1
.LBB218_28:                             ;   in Loop: Header=BB218_24 Depth=2
	s_add_u32 s23, s60, s22
	s_addc_u32 s24, s61, 0
	v_cmp_gt_u32_e32 vcc, s20, v2
	s_and_saveexec_b64 s[18:19], vcc
	s_cbranch_execz .LBB218_56
; %bb.29:                               ;   in Loop: Header=BB218_24 Depth=2
	v_mov_b32_e32 v1, s24
	v_add_co_u32_e32 v0, vcc, s23, v2
	v_addc_co_u32_e32 v1, vcc, 0, v1, vcc
	global_load_ubyte v5, v[0:1], off
	s_or_b64 exec, exec, s[18:19]
	v_cmp_gt_u32_e32 vcc, s20, v24
	s_and_saveexec_b64 s[18:19], vcc
	s_cbranch_execnz .LBB218_57
.LBB218_30:                             ;   in Loop: Header=BB218_24 Depth=2
	s_or_b64 exec, exec, s[18:19]
	v_cmp_gt_u32_e32 vcc, s20, v25
	s_and_saveexec_b64 s[18:19], vcc
	s_cbranch_execz .LBB218_58
.LBB218_31:                             ;   in Loop: Header=BB218_24 Depth=2
	v_mov_b32_e32 v1, s24
	v_add_co_u32_e32 v0, vcc, s23, v2
	v_addc_co_u32_e32 v1, vcc, 0, v1, vcc
	global_load_ubyte v7, v[0:1], off offset:512
	s_or_b64 exec, exec, s[18:19]
	v_cmp_gt_u32_e32 vcc, s20, v26
	s_and_saveexec_b64 s[18:19], vcc
	s_cbranch_execnz .LBB218_59
.LBB218_32:                             ;   in Loop: Header=BB218_24 Depth=2
	s_or_b64 exec, exec, s[18:19]
	v_cmp_gt_u32_e32 vcc, s20, v30
	s_and_saveexec_b64 s[18:19], vcc
	s_cbranch_execz .LBB218_60
.LBB218_33:                             ;   in Loop: Header=BB218_24 Depth=2
	v_mov_b32_e32 v1, s24
	v_add_co_u32_e32 v0, vcc, s23, v2
	v_addc_co_u32_e32 v1, vcc, 0, v1, vcc
	global_load_ubyte v9, v[0:1], off offset:1024
	s_or_b64 exec, exec, s[18:19]
	v_cmp_gt_u32_e32 vcc, s20, v31
	s_and_saveexec_b64 s[18:19], vcc
	s_cbranch_execnz .LBB218_61
.LBB218_34:                             ;   in Loop: Header=BB218_24 Depth=2
	s_or_b64 exec, exec, s[18:19]
	v_cmp_gt_u32_e32 vcc, s20, v32
	s_and_saveexec_b64 s[18:19], vcc
	s_cbranch_execz .LBB218_36
.LBB218_35:                             ;   in Loop: Header=BB218_24 Depth=2
	v_mov_b32_e32 v1, s24
	v_add_co_u32_e32 v0, vcc, s23, v2
	v_addc_co_u32_e32 v1, vcc, 0, v1, vcc
	global_load_ubyte v11, v[0:1], off offset:1536
.LBB218_36:                             ;   in Loop: Header=BB218_24 Depth=2
	s_or_b64 exec, exec, s[18:19]
	v_cmp_gt_u32_e32 vcc, s20, v33
                                        ; implicit-def: $sgpr25
                                        ; implicit-def: $vgpr0_vgpr1
	s_and_saveexec_b64 s[18:19], vcc
	s_cbranch_execz .LBB218_38
; %bb.37:                               ;   in Loop: Header=BB218_24 Depth=2
	v_mov_b32_e32 v0, s24
	v_add_co_u32_e32 v1, vcc, s23, v2
	s_waitcnt vmcnt(0)
	v_addc_co_u32_e32 v12, vcc, 0, v0, vcc
	v_add_co_u32_e32 v0, vcc, 0x700, v1
	s_sub_i32 s25, s76, s22
	v_addc_co_u32_e32 v1, vcc, 0, v12, vcc
	s_or_b64 s[16:17], s[16:17], exec
                                        ; implicit-def: $vgpr12
.LBB218_38:                             ;   in Loop: Header=BB218_24 Depth=2
	s_or_b64 exec, exec, s[18:19]
	s_waitcnt vmcnt(0)
	v_mov_b32_e32 v14, v5
	v_mov_b32_e32 v15, v6
	;; [unrolled: 1-line block ×8, first 2 shown]
	s_and_saveexec_b64 s[18:19], s[16:17]
	s_cbranch_execz .LBB218_40
.LBB218_39:                             ;   in Loop: Header=BB218_24 Depth=2
	global_load_ubyte v12, v[0:1], off
	v_mov_b32_e32 v13, s25
	s_waitcnt vmcnt(1)
	v_mov_b32_e32 v5, v14
	v_mov_b32_e32 v6, v15
	;; [unrolled: 1-line block ×7, first 2 shown]
.LBB218_40:                             ;   in Loop: Header=BB218_24 Depth=2
	s_or_b64 exec, exec, s[18:19]
	v_cmp_lt_u32_e32 vcc, v2, v13
	s_and_saveexec_b64 s[16:17], vcc
	s_cbranch_execz .LBB218_48
; %bb.41:                               ;   in Loop: Header=BB218_24 Depth=2
	v_lshrrev_b32_sdwa v0, s68, v5 dst_sel:DWORD dst_unused:UNUSED_PAD src0_sel:DWORD src1_sel:BYTE_0
	v_and_b32_e32 v0, s77, v0
	v_lshlrev_b32_e32 v1, 2, v27
	v_lshl_or_b32 v0, v0, 4, v1
	ds_add_u32 v0, v63
	s_or_b64 exec, exec, s[16:17]
	v_cmp_lt_u32_e32 vcc, v24, v13
	s_and_saveexec_b64 s[16:17], vcc
	s_cbranch_execnz .LBB218_49
.LBB218_42:                             ;   in Loop: Header=BB218_24 Depth=2
	s_or_b64 exec, exec, s[16:17]
	v_cmp_lt_u32_e32 vcc, v25, v13
	s_and_saveexec_b64 s[16:17], vcc
	s_cbranch_execz .LBB218_50
.LBB218_43:                             ;   in Loop: Header=BB218_24 Depth=2
	v_lshrrev_b32_sdwa v0, s68, v7 dst_sel:DWORD dst_unused:UNUSED_PAD src0_sel:DWORD src1_sel:BYTE_0
	v_and_b32_e32 v0, s77, v0
	v_lshlrev_b32_e32 v1, 2, v27
	v_lshl_or_b32 v0, v0, 4, v1
	ds_add_u32 v0, v63
	s_or_b64 exec, exec, s[16:17]
	v_cmp_lt_u32_e32 vcc, v26, v13
	s_and_saveexec_b64 s[16:17], vcc
	s_cbranch_execnz .LBB218_51
.LBB218_44:                             ;   in Loop: Header=BB218_24 Depth=2
	s_or_b64 exec, exec, s[16:17]
	v_cmp_lt_u32_e32 vcc, v30, v13
	s_and_saveexec_b64 s[16:17], vcc
	s_cbranch_execz .LBB218_52
.LBB218_45:                             ;   in Loop: Header=BB218_24 Depth=2
	v_lshrrev_b32_sdwa v0, s68, v9 dst_sel:DWORD dst_unused:UNUSED_PAD src0_sel:DWORD src1_sel:BYTE_0
	v_and_b32_e32 v0, s77, v0
	v_lshlrev_b32_e32 v1, 2, v27
	v_lshl_or_b32 v0, v0, 4, v1
	ds_add_u32 v0, v63
	s_or_b64 exec, exec, s[16:17]
	v_cmp_lt_u32_e32 vcc, v31, v13
	s_and_saveexec_b64 s[16:17], vcc
	s_cbranch_execnz .LBB218_53
.LBB218_46:                             ;   in Loop: Header=BB218_24 Depth=2
	s_or_b64 exec, exec, s[16:17]
	v_cmp_lt_u32_e32 vcc, v32, v13
	s_and_saveexec_b64 s[16:17], vcc
	s_cbranch_execz .LBB218_54
.LBB218_47:                             ;   in Loop: Header=BB218_24 Depth=2
	v_lshrrev_b32_sdwa v0, s68, v11 dst_sel:DWORD dst_unused:UNUSED_PAD src0_sel:DWORD src1_sel:BYTE_0
	v_and_b32_e32 v0, s77, v0
	v_lshlrev_b32_e32 v1, 2, v27
	v_lshl_or_b32 v0, v0, 4, v1
	ds_add_u32 v0, v63
	s_or_b64 exec, exec, s[16:17]
	v_cmp_lt_u32_e32 vcc, v33, v13
	s_and_saveexec_b64 s[16:17], vcc
	s_cbranch_execz .LBB218_23
	s_branch .LBB218_55
.LBB218_48:                             ;   in Loop: Header=BB218_24 Depth=2
	s_or_b64 exec, exec, s[16:17]
	v_cmp_lt_u32_e32 vcc, v24, v13
	s_and_saveexec_b64 s[16:17], vcc
	s_cbranch_execz .LBB218_42
.LBB218_49:                             ;   in Loop: Header=BB218_24 Depth=2
	v_lshrrev_b32_sdwa v0, s68, v6 dst_sel:DWORD dst_unused:UNUSED_PAD src0_sel:DWORD src1_sel:BYTE_0
	v_and_b32_e32 v0, s77, v0
	v_lshlrev_b32_e32 v1, 2, v27
	v_lshl_or_b32 v0, v0, 4, v1
	ds_add_u32 v0, v63
	s_or_b64 exec, exec, s[16:17]
	v_cmp_lt_u32_e32 vcc, v25, v13
	s_and_saveexec_b64 s[16:17], vcc
	s_cbranch_execnz .LBB218_43
.LBB218_50:                             ;   in Loop: Header=BB218_24 Depth=2
	s_or_b64 exec, exec, s[16:17]
	v_cmp_lt_u32_e32 vcc, v26, v13
	s_and_saveexec_b64 s[16:17], vcc
	s_cbranch_execz .LBB218_44
.LBB218_51:                             ;   in Loop: Header=BB218_24 Depth=2
	v_lshrrev_b32_sdwa v0, s68, v8 dst_sel:DWORD dst_unused:UNUSED_PAD src0_sel:DWORD src1_sel:BYTE_0
	v_and_b32_e32 v0, s77, v0
	v_lshlrev_b32_e32 v1, 2, v27
	v_lshl_or_b32 v0, v0, 4, v1
	ds_add_u32 v0, v63
	s_or_b64 exec, exec, s[16:17]
	v_cmp_lt_u32_e32 vcc, v30, v13
	s_and_saveexec_b64 s[16:17], vcc
	s_cbranch_execnz .LBB218_45
.LBB218_52:                             ;   in Loop: Header=BB218_24 Depth=2
	s_or_b64 exec, exec, s[16:17]
	v_cmp_lt_u32_e32 vcc, v31, v13
	s_and_saveexec_b64 s[16:17], vcc
	s_cbranch_execz .LBB218_46
.LBB218_53:                             ;   in Loop: Header=BB218_24 Depth=2
	v_lshrrev_b32_sdwa v0, s68, v10 dst_sel:DWORD dst_unused:UNUSED_PAD src0_sel:DWORD src1_sel:BYTE_0
	v_and_b32_e32 v0, s77, v0
	v_lshlrev_b32_e32 v1, 2, v27
	v_lshl_or_b32 v0, v0, 4, v1
	ds_add_u32 v0, v63
	s_or_b64 exec, exec, s[16:17]
	v_cmp_lt_u32_e32 vcc, v32, v13
	s_and_saveexec_b64 s[16:17], vcc
	s_cbranch_execnz .LBB218_47
.LBB218_54:                             ;   in Loop: Header=BB218_24 Depth=2
	s_or_b64 exec, exec, s[16:17]
	v_cmp_lt_u32_e32 vcc, v33, v13
	s_and_saveexec_b64 s[16:17], vcc
	s_cbranch_execz .LBB218_23
.LBB218_55:                             ;   in Loop: Header=BB218_24 Depth=2
	s_waitcnt vmcnt(0)
	v_lshrrev_b32_sdwa v0, s68, v12 dst_sel:DWORD dst_unused:UNUSED_PAD src0_sel:DWORD src1_sel:BYTE_0
	v_and_b32_e32 v0, s77, v0
	v_lshlrev_b32_e32 v1, 2, v27
	v_lshl_or_b32 v0, v0, 4, v1
	ds_add_u32 v0, v63
	s_branch .LBB218_23
.LBB218_56:                             ;   in Loop: Header=BB218_24 Depth=2
	s_or_b64 exec, exec, s[18:19]
	v_cmp_gt_u32_e32 vcc, s20, v24
	s_and_saveexec_b64 s[18:19], vcc
	s_cbranch_execz .LBB218_30
.LBB218_57:                             ;   in Loop: Header=BB218_24 Depth=2
	v_mov_b32_e32 v1, s24
	v_add_co_u32_e32 v0, vcc, s23, v2
	v_addc_co_u32_e32 v1, vcc, 0, v1, vcc
	global_load_ubyte v6, v[0:1], off offset:256
	s_or_b64 exec, exec, s[18:19]
	v_cmp_gt_u32_e32 vcc, s20, v25
	s_and_saveexec_b64 s[18:19], vcc
	s_cbranch_execnz .LBB218_31
.LBB218_58:                             ;   in Loop: Header=BB218_24 Depth=2
	s_or_b64 exec, exec, s[18:19]
	v_cmp_gt_u32_e32 vcc, s20, v26
	s_and_saveexec_b64 s[18:19], vcc
	s_cbranch_execz .LBB218_32
.LBB218_59:                             ;   in Loop: Header=BB218_24 Depth=2
	v_mov_b32_e32 v1, s24
	v_add_co_u32_e32 v0, vcc, s23, v2
	v_addc_co_u32_e32 v1, vcc, 0, v1, vcc
	global_load_ubyte v8, v[0:1], off offset:768
	s_or_b64 exec, exec, s[18:19]
	v_cmp_gt_u32_e32 vcc, s20, v30
	s_and_saveexec_b64 s[18:19], vcc
	s_cbranch_execnz .LBB218_33
.LBB218_60:                             ;   in Loop: Header=BB218_24 Depth=2
	s_or_b64 exec, exec, s[18:19]
	v_cmp_gt_u32_e32 vcc, s20, v31
	s_and_saveexec_b64 s[18:19], vcc
	s_cbranch_execz .LBB218_34
.LBB218_61:                             ;   in Loop: Header=BB218_24 Depth=2
	v_mov_b32_e32 v1, s24
	v_add_co_u32_e32 v0, vcc, s23, v2
	v_addc_co_u32_e32 v1, vcc, 0, v1, vcc
	global_load_ubyte v10, v[0:1], off offset:1280
	s_or_b64 exec, exec, s[18:19]
	v_cmp_gt_u32_e32 vcc, s20, v32
	s_and_saveexec_b64 s[18:19], vcc
	s_cbranch_execz .LBB218_36
	s_branch .LBB218_35
.LBB218_62:                             ;   in Loop: Header=BB218_20 Depth=1
	v_mov_b32_e32 v0, 0
	s_waitcnt lgkmcnt(0)
	s_barrier
	s_and_saveexec_b64 s[16:17], s[4:5]
	s_cbranch_execz .LBB218_64
; %bb.63:                               ;   in Loop: Header=BB218_20 Depth=1
	ds_read2_b64 v[6:9], v34 offset1:1
	s_waitcnt lgkmcnt(0)
	v_add_u32_e32 v0, v7, v6
	v_add3_u32 v0, v0, v8, v9
.LBB218_64:                             ;   in Loop: Header=BB218_20 Depth=1
	s_or_b64 exec, exec, s[16:17]
	v_and_b32_e32 v1, 15, v64
	v_mov_b32_dpp v5, v0 row_shr:1 row_mask:0xf bank_mask:0xf
	v_cmp_eq_u32_e64 s[16:17], 0, v1
	v_cndmask_b32_e64 v5, v5, 0, s[16:17]
	v_add_u32_e32 v0, v5, v0
	v_cmp_lt_u32_e64 s[18:19], 1, v1
	v_cmp_lt_u32_e64 s[20:21], 3, v1
	v_mov_b32_dpp v5, v0 row_shr:2 row_mask:0xf bank_mask:0xf
	v_cndmask_b32_e64 v5, 0, v5, s[18:19]
	v_add_u32_e32 v0, v0, v5
	v_cmp_lt_u32_e64 s[22:23], 7, v1
	v_cmp_lt_u32_e64 s[26:27], 31, v64
	v_mov_b32_dpp v5, v0 row_shr:4 row_mask:0xf bank_mask:0xf
	v_cndmask_b32_e64 v5, 0, v5, s[20:21]
	v_add_u32_e32 v0, v0, v5
	v_and_b32_e32 v6, 16, v64
	v_cmp_eq_u32_e64 s[24:25], 0, v6
	v_mov_b32_dpp v5, v0 row_shr:8 row_mask:0xf bank_mask:0xf
	v_cndmask_b32_e64 v1, 0, v5, s[22:23]
	v_add_u32_e32 v0, v0, v1
	v_bfe_i32 v5, v64, 4, 1
	s_nop 0
	v_mov_b32_dpp v1, v0 row_bcast:15 row_mask:0xf bank_mask:0xf
	v_and_b32_e32 v1, v5, v1
	v_add_u32_e32 v0, v0, v1
	s_nop 1
	v_mov_b32_dpp v1, v0 row_bcast:31 row_mask:0xf bank_mask:0xf
	v_cndmask_b32_e64 v1, 0, v1, s[26:27]
	v_add_u32_e32 v1, v0, v1
	s_and_saveexec_b64 s[28:29], s[6:7]
	s_cbranch_execz .LBB218_66
; %bb.65:                               ;   in Loop: Header=BB218_20 Depth=1
	ds_write_b32 v36, v1
.LBB218_66:                             ;   in Loop: Header=BB218_20 Depth=1
	s_or_b64 exec, exec, s[28:29]
	v_and_b32_e32 v0, 3, v64
	s_waitcnt lgkmcnt(0)
	s_barrier
	s_and_saveexec_b64 s[28:29], s[8:9]
	s_cbranch_execz .LBB218_68
; %bb.67:                               ;   in Loop: Header=BB218_20 Depth=1
	ds_read_b32 v5, v37
	v_cmp_ne_u32_e32 vcc, 0, v0
	s_waitcnt lgkmcnt(0)
	v_mov_b32_dpp v6, v5 row_shr:1 row_mask:0xf bank_mask:0xf
	v_cndmask_b32_e32 v6, 0, v6, vcc
	v_add_u32_e32 v5, v6, v5
	v_cmp_lt_u32_e32 vcc, 1, v0
	s_nop 0
	v_mov_b32_dpp v6, v5 row_shr:2 row_mask:0xf bank_mask:0xf
	v_cndmask_b32_e32 v6, 0, v6, vcc
	v_add_u32_e32 v5, v5, v6
	ds_write_b32 v37, v5
.LBB218_68:                             ;   in Loop: Header=BB218_20 Depth=1
	s_or_b64 exec, exec, s[28:29]
	v_mov_b32_e32 v5, 0
	s_waitcnt lgkmcnt(0)
	s_barrier
	s_and_saveexec_b64 s[28:29], s[10:11]
	s_cbranch_execz .LBB218_70
; %bb.69:                               ;   in Loop: Header=BB218_20 Depth=1
	ds_read_b32 v5, v38
.LBB218_70:                             ;   in Loop: Header=BB218_20 Depth=1
	s_or_b64 exec, exec, s[28:29]
	v_add_u32_e32 v6, -1, v64
	v_and_b32_e32 v7, 64, v64
	v_cmp_lt_i32_e32 vcc, v6, v7
	v_cndmask_b32_e32 v6, v6, v64, vcc
	s_waitcnt lgkmcnt(0)
	v_add_u32_e32 v1, v5, v1
	v_lshlrev_b32_e32 v65, 2, v6
	ds_bpermute_b32 v1, v65, v1
	v_cmp_eq_u32_e64 s[28:29], 0, v64
	s_waitcnt lgkmcnt(0)
	s_barrier
	s_and_saveexec_b64 s[30:31], s[4:5]
	s_cbranch_execz .LBB218_72
; %bb.71:                               ;   in Loop: Header=BB218_20 Depth=1
	v_cndmask_b32_e64 v1, v1, v5, s[28:29]
	v_add_u32_e32 v1, s51, v1
	ds_write_b32 v3, v1
.LBB218_72:                             ;   in Loop: Header=BB218_20 Depth=1
	s_or_b64 exec, exec, s[30:31]
	s_load_dword s30, s[74:75], 0x4
	s_load_dword s36, s[74:75], 0xc
	s_waitcnt vmcnt(6)
	v_and_b32_e32 v20, 63, v64
	v_add_co_u32_e32 v74, vcc, v48, v20
	s_waitcnt lgkmcnt(0)
	s_cmp_lt_u32 s33, s30
	s_cselect_b32 s30, 14, 20
	s_add_u32 s30, s74, s30
	s_addc_u32 s31, s75, 0
	global_load_ushort v5, v4, s[30:31]
	v_lshlrev_b32_e32 v21, 3, v20
	v_addc_co_u32_e32 v76, vcc, 0, v49, vcc
	v_add_co_u32_e32 v77, vcc, v46, v21
	v_addc_co_u32_e32 v78, vcc, 0, v47, vcc
	s_and_b32 s36, s36, 0xffff
	v_or_b32_e32 v72, v20, v39
	v_add_co_u32_e32 v86, vcc, 0x1c0, v74
	v_cmp_eq_u32_e64 s[30:31], 0, v0
	v_cmp_lt_u32_e64 s[34:35], 1, v0
	s_mov_b32 s78, s71
	v_or_b32_e32 v79, 64, v72
	v_or_b32_e32 v80, 0x80, v72
	v_or_b32_e32 v81, 0xc0, v72
	v_or_b32_e32 v82, 0x100, v72
	v_or_b32_e32 v83, 0x140, v72
	v_or_b32_e32 v84, 0x180, v72
	v_or_b32_e32 v85, 0x1c0, v72
	v_addc_co_u32_e32 v87, vcc, 0, v76, vcc
	s_mov_b32 s72, s51
                                        ; implicit-def: $vgpr0_vgpr1
                                        ; implicit-def: $vgpr6_vgpr7
                                        ; implicit-def: $vgpr8_vgpr9
                                        ; implicit-def: $vgpr10_vgpr11
                                        ; implicit-def: $vgpr12_vgpr13
                                        ; implicit-def: $vgpr14_vgpr15
                                        ; implicit-def: $vgpr16_vgpr17
                                        ; implicit-def: $vgpr18_vgpr19
                                        ; implicit-def: $vgpr66
                                        ; implicit-def: $vgpr67
                                        ; implicit-def: $vgpr68
                                        ; implicit-def: $vgpr69
                                        ; implicit-def: $vgpr70
                                        ; implicit-def: $vgpr71
                                        ; implicit-def: $vgpr73
                                        ; implicit-def: $vgpr75
	s_waitcnt vmcnt(0)
	v_mad_u32_u24 v5, v40, v5, v41
	v_mad_u64_u32 v[20:21], s[36:37], v5, s36, v[2:3]
	v_lshrrev_b32_e32 v88, 6, v20
	s_branch .LBB218_74
.LBB218_73:                             ;   in Loop: Header=BB218_74 Depth=2
	s_or_b64 exec, exec, s[36:37]
	s_addk_i32 s78, 0xf800
	s_cmp_lt_u32 s79, s76
	s_mov_b32 s72, s79
	s_cbranch_scc0 .LBB218_186
.LBB218_74:                             ;   Parent Loop BB218_20 Depth=1
                                        ; =>  This Inner Loop Header: Depth=2
	s_add_i32 s79, s72, 0x800
	s_cmp_gt_u32 s79, s76
	s_cbranch_scc1 .LBB218_77
; %bb.75:                               ;   in Loop: Header=BB218_74 Depth=2
	v_add_co_u32_e32 v20, vcc, s72, v74
	v_addc_co_u32_e32 v21, vcc, 0, v76, vcc
	global_load_ubyte v90, v[20:21], off
	global_load_ubyte v91, v[20:21], off offset:64
	global_load_ubyte v92, v[20:21], off offset:128
	;; [unrolled: 1-line block ×6, first 2 shown]
	s_mov_b64 s[36:37], -1
	s_movk_i32 s40, 0x800
	s_cbranch_execz .LBB218_78
; %bb.76:                               ;   in Loop: Header=BB218_74 Depth=2
                                        ; implicit-def: $sgpr38
	v_mov_b32_e32 v97, s38
	v_mov_b32_e32 v89, s78
	s_and_saveexec_b64 s[38:39], s[36:37]
	s_cbranch_execnz .LBB218_93
	s_branch .LBB218_94
.LBB218_77:                             ;   in Loop: Header=BB218_74 Depth=2
	s_mov_b64 s[36:37], 0
                                        ; implicit-def: $sgpr40
                                        ; implicit-def: $vgpr90
                                        ; implicit-def: $vgpr91
                                        ; implicit-def: $vgpr92
                                        ; implicit-def: $vgpr93
                                        ; implicit-def: $vgpr94
                                        ; implicit-def: $vgpr95
                                        ; implicit-def: $vgpr96
.LBB218_78:                             ;   in Loop: Header=BB218_74 Depth=2
	v_add_co_u32_e32 v20, vcc, s72, v74
	v_addc_co_u32_e32 v21, vcc, 0, v76, vcc
	v_cmp_gt_u32_e32 vcc, s78, v72
	s_waitcnt vmcnt(5)
	v_mov_b32_e32 v91, 0xff
	v_mov_b32_e32 v90, 0xff
	s_and_saveexec_b64 s[36:37], vcc
	s_cbranch_execz .LBB218_80
; %bb.79:                               ;   in Loop: Header=BB218_74 Depth=2
	global_load_ubyte v90, v[20:21], off
.LBB218_80:                             ;   in Loop: Header=BB218_74 Depth=2
	s_or_b64 exec, exec, s[36:37]
	v_cmp_gt_u32_e32 vcc, s78, v79
	s_and_saveexec_b64 s[36:37], vcc
	s_cbranch_execz .LBB218_82
; %bb.81:                               ;   in Loop: Header=BB218_74 Depth=2
	global_load_ubyte v91, v[20:21], off offset:64
.LBB218_82:                             ;   in Loop: Header=BB218_74 Depth=2
	s_or_b64 exec, exec, s[36:37]
	v_cmp_gt_u32_e32 vcc, s78, v80
	s_waitcnt vmcnt(3)
	v_mov_b32_e32 v93, 0xff
	v_mov_b32_e32 v92, 0xff
	s_and_saveexec_b64 s[36:37], vcc
	s_cbranch_execz .LBB218_84
; %bb.83:                               ;   in Loop: Header=BB218_74 Depth=2
	global_load_ubyte v92, v[20:21], off offset:128
.LBB218_84:                             ;   in Loop: Header=BB218_74 Depth=2
	s_or_b64 exec, exec, s[36:37]
	v_cmp_gt_u32_e32 vcc, s78, v81
	s_and_saveexec_b64 s[36:37], vcc
	s_cbranch_execz .LBB218_86
; %bb.85:                               ;   in Loop: Header=BB218_74 Depth=2
	global_load_ubyte v93, v[20:21], off offset:192
.LBB218_86:                             ;   in Loop: Header=BB218_74 Depth=2
	s_or_b64 exec, exec, s[36:37]
	v_cmp_gt_u32_e32 vcc, s78, v82
	s_waitcnt vmcnt(1)
	v_mov_b32_e32 v95, 0xff
	v_mov_b32_e32 v94, 0xff
	s_and_saveexec_b64 s[36:37], vcc
	s_cbranch_execz .LBB218_88
; %bb.87:                               ;   in Loop: Header=BB218_74 Depth=2
	global_load_ubyte v94, v[20:21], off offset:256
.LBB218_88:                             ;   in Loop: Header=BB218_74 Depth=2
	s_or_b64 exec, exec, s[36:37]
	v_cmp_gt_u32_e32 vcc, s78, v83
	s_and_saveexec_b64 s[36:37], vcc
	s_cbranch_execz .LBB218_90
; %bb.89:                               ;   in Loop: Header=BB218_74 Depth=2
	global_load_ubyte v95, v[20:21], off offset:320
.LBB218_90:                             ;   in Loop: Header=BB218_74 Depth=2
	s_or_b64 exec, exec, s[36:37]
	v_cmp_gt_u32_e32 vcc, s78, v84
	s_waitcnt vmcnt(0)
	v_mov_b32_e32 v96, 0xff
	s_and_saveexec_b64 s[36:37], vcc
	s_cbranch_execz .LBB218_92
; %bb.91:                               ;   in Loop: Header=BB218_74 Depth=2
	global_load_ubyte v96, v[20:21], off offset:384
.LBB218_92:                             ;   in Loop: Header=BB218_74 Depth=2
	s_or_b64 exec, exec, s[36:37]
	s_sub_i32 s40, s76, s72
	v_cmp_gt_u32_e64 s[36:37], s78, v85
	s_movk_i32 s38, 0xff
	v_mov_b32_e32 v97, s38
	v_mov_b32_e32 v89, s78
	s_and_saveexec_b64 s[38:39], s[36:37]
	s_cbranch_execz .LBB218_94
.LBB218_93:                             ;   in Loop: Header=BB218_74 Depth=2
	v_mov_b32_e32 v5, s73
	v_add_co_u32_e32 v20, vcc, s72, v86
	v_addc_co_u32_e32 v21, vcc, v87, v5, vcc
	global_load_ubyte v97, v[20:21], off
	v_mov_b32_e32 v89, s40
.LBB218_94:                             ;   in Loop: Header=BB218_74 Depth=2
	s_or_b64 exec, exec, s[38:39]
	v_add_u32_e32 v5, 0x410, v42
	ds_write2_b32 v5, v4, v4 offset1:1
	ds_write2_b32 v44, v4, v4 offset0:2 offset1:3
	ds_write_b32 v44, v4 offset:16
	s_waitcnt vmcnt(6)
	v_lshrrev_b32_sdwa v5, s68, v90 dst_sel:DWORD dst_unused:UNUSED_PAD src0_sel:DWORD src1_sel:BYTE_0
	v_and_b32_e32 v20, s77, v5
	v_mad_u32_u24 v5, v20, 5, v88
	v_lshl_add_u32 v98, v5, 2, v43
	v_and_b32_e32 v5, 1, v20
	v_add_co_u32_e32 v21, vcc, -1, v5
	v_addc_co_u32_e64 v22, s[36:37], 0, -1, vcc
	v_cmp_ne_u32_e32 vcc, 0, v5
	v_xor_b32_e32 v5, vcc_hi, v22
	v_and_b32_e32 v22, exec_hi, v5
	v_lshlrev_b32_e32 v5, 30, v20
	v_xor_b32_e32 v21, vcc_lo, v21
	v_cmp_gt_i64_e32 vcc, 0, v[4:5]
	v_not_b32_e32 v5, v5
	v_ashrrev_i32_e32 v5, 31, v5
	v_and_b32_e32 v21, exec_lo, v21
	v_xor_b32_e32 v23, vcc_hi, v5
	v_xor_b32_e32 v5, vcc_lo, v5
	v_and_b32_e32 v21, v21, v5
	v_lshlrev_b32_e32 v5, 29, v20
	v_cmp_gt_i64_e32 vcc, 0, v[4:5]
	v_not_b32_e32 v5, v5
	v_ashrrev_i32_e32 v5, 31, v5
	v_and_b32_e32 v22, v22, v23
	v_xor_b32_e32 v23, vcc_hi, v5
	v_xor_b32_e32 v5, vcc_lo, v5
	v_and_b32_e32 v21, v21, v5
	v_lshlrev_b32_e32 v5, 28, v20
	v_cmp_gt_i64_e32 vcc, 0, v[4:5]
	v_not_b32_e32 v5, v5
	v_ashrrev_i32_e32 v5, 31, v5
	v_and_b32_e32 v22, v22, v23
	;; [unrolled: 8-line block ×5, first 2 shown]
	v_xor_b32_e32 v23, vcc_hi, v5
	v_xor_b32_e32 v5, vcc_lo, v5
	v_and_b32_e32 v22, v22, v23
	v_and_b32_e32 v23, v21, v5
	v_lshlrev_b32_e32 v5, 24, v20
	v_cmp_gt_i64_e32 vcc, 0, v[4:5]
	v_not_b32_e32 v5, v5
	v_ashrrev_i32_e32 v5, 31, v5
	v_xor_b32_e32 v20, vcc_hi, v5
	v_xor_b32_e32 v5, vcc_lo, v5
	v_and_b32_e32 v21, v22, v20
	v_and_b32_e32 v20, v23, v5
	v_mbcnt_lo_u32_b32 v5, v20, 0
	v_mbcnt_hi_u32_b32 v99, v21, v5
	v_cmp_eq_u32_e32 vcc, 0, v99
	v_cmp_ne_u64_e64 s[36:37], 0, v[20:21]
	s_and_b64 s[38:39], s[36:37], vcc
	s_waitcnt lgkmcnt(0)
	s_barrier
	s_waitcnt lgkmcnt(0)
	; wave barrier
	s_and_saveexec_b64 s[36:37], s[38:39]
	s_cbranch_execz .LBB218_96
; %bb.95:                               ;   in Loop: Header=BB218_74 Depth=2
	v_bcnt_u32_b32 v5, v20, 0
	v_bcnt_u32_b32 v5, v21, v5
	ds_write_b32 v98, v5
.LBB218_96:                             ;   in Loop: Header=BB218_74 Depth=2
	s_or_b64 exec, exec, s[36:37]
	s_waitcnt vmcnt(5)
	v_lshrrev_b32_sdwa v5, s68, v91 dst_sel:DWORD dst_unused:UNUSED_PAD src0_sel:DWORD src1_sel:BYTE_0
	v_and_b32_e32 v20, s77, v5
	v_mul_u32_u24_e32 v5, 5, v20
	v_add_lshl_u32 v5, v5, v88, 2
	; wave barrier
	v_add_u32_e32 v101, 0x410, v5
	ds_read_b32 v100, v5 offset:1040
	v_and_b32_e32 v5, 1, v20
	v_add_co_u32_e32 v21, vcc, -1, v5
	v_addc_co_u32_e64 v22, s[36:37], 0, -1, vcc
	v_cmp_ne_u32_e32 vcc, 0, v5
	v_xor_b32_e32 v5, vcc_hi, v22
	v_and_b32_e32 v22, exec_hi, v5
	v_lshlrev_b32_e32 v5, 30, v20
	v_xor_b32_e32 v21, vcc_lo, v21
	v_cmp_gt_i64_e32 vcc, 0, v[4:5]
	v_not_b32_e32 v5, v5
	v_ashrrev_i32_e32 v5, 31, v5
	v_and_b32_e32 v21, exec_lo, v21
	v_xor_b32_e32 v23, vcc_hi, v5
	v_xor_b32_e32 v5, vcc_lo, v5
	v_and_b32_e32 v21, v21, v5
	v_lshlrev_b32_e32 v5, 29, v20
	v_cmp_gt_i64_e32 vcc, 0, v[4:5]
	v_not_b32_e32 v5, v5
	v_ashrrev_i32_e32 v5, 31, v5
	v_and_b32_e32 v22, v22, v23
	v_xor_b32_e32 v23, vcc_hi, v5
	v_xor_b32_e32 v5, vcc_lo, v5
	v_and_b32_e32 v21, v21, v5
	v_lshlrev_b32_e32 v5, 28, v20
	v_cmp_gt_i64_e32 vcc, 0, v[4:5]
	v_not_b32_e32 v5, v5
	v_ashrrev_i32_e32 v5, 31, v5
	v_and_b32_e32 v22, v22, v23
	;; [unrolled: 8-line block ×5, first 2 shown]
	v_xor_b32_e32 v23, vcc_hi, v5
	v_xor_b32_e32 v5, vcc_lo, v5
	v_and_b32_e32 v22, v22, v23
	v_and_b32_e32 v23, v21, v5
	v_lshlrev_b32_e32 v5, 24, v20
	v_cmp_gt_i64_e32 vcc, 0, v[4:5]
	v_not_b32_e32 v5, v5
	v_ashrrev_i32_e32 v5, 31, v5
	v_xor_b32_e32 v20, vcc_hi, v5
	v_xor_b32_e32 v5, vcc_lo, v5
	v_and_b32_e32 v21, v22, v20
	v_and_b32_e32 v20, v23, v5
	v_mbcnt_lo_u32_b32 v5, v20, 0
	v_mbcnt_hi_u32_b32 v102, v21, v5
	v_cmp_eq_u32_e32 vcc, 0, v102
	v_cmp_ne_u64_e64 s[36:37], 0, v[20:21]
	s_and_b64 s[38:39], s[36:37], vcc
	; wave barrier
	s_and_saveexec_b64 s[36:37], s[38:39]
	s_cbranch_execz .LBB218_98
; %bb.97:                               ;   in Loop: Header=BB218_74 Depth=2
	v_bcnt_u32_b32 v5, v20, 0
	v_bcnt_u32_b32 v5, v21, v5
	s_waitcnt lgkmcnt(0)
	v_add_u32_e32 v5, v100, v5
	ds_write_b32 v101, v5
.LBB218_98:                             ;   in Loop: Header=BB218_74 Depth=2
	s_or_b64 exec, exec, s[36:37]
	s_waitcnt vmcnt(4)
	v_lshrrev_b32_sdwa v5, s68, v92 dst_sel:DWORD dst_unused:UNUSED_PAD src0_sel:DWORD src1_sel:BYTE_0
	v_and_b32_e32 v20, s77, v5
	v_mul_u32_u24_e32 v5, 5, v20
	v_add_lshl_u32 v5, v5, v88, 2
	; wave barrier
	v_add_u32_e32 v104, 0x410, v5
	ds_read_b32 v103, v5 offset:1040
	v_and_b32_e32 v5, 1, v20
	v_add_co_u32_e32 v21, vcc, -1, v5
	v_addc_co_u32_e64 v22, s[36:37], 0, -1, vcc
	v_cmp_ne_u32_e32 vcc, 0, v5
	v_xor_b32_e32 v5, vcc_hi, v22
	v_and_b32_e32 v22, exec_hi, v5
	v_lshlrev_b32_e32 v5, 30, v20
	v_xor_b32_e32 v21, vcc_lo, v21
	v_cmp_gt_i64_e32 vcc, 0, v[4:5]
	v_not_b32_e32 v5, v5
	v_ashrrev_i32_e32 v5, 31, v5
	v_and_b32_e32 v21, exec_lo, v21
	v_xor_b32_e32 v23, vcc_hi, v5
	v_xor_b32_e32 v5, vcc_lo, v5
	v_and_b32_e32 v21, v21, v5
	v_lshlrev_b32_e32 v5, 29, v20
	v_cmp_gt_i64_e32 vcc, 0, v[4:5]
	v_not_b32_e32 v5, v5
	v_ashrrev_i32_e32 v5, 31, v5
	v_and_b32_e32 v22, v22, v23
	v_xor_b32_e32 v23, vcc_hi, v5
	v_xor_b32_e32 v5, vcc_lo, v5
	v_and_b32_e32 v21, v21, v5
	v_lshlrev_b32_e32 v5, 28, v20
	v_cmp_gt_i64_e32 vcc, 0, v[4:5]
	v_not_b32_e32 v5, v5
	v_ashrrev_i32_e32 v5, 31, v5
	v_and_b32_e32 v22, v22, v23
	;; [unrolled: 8-line block ×5, first 2 shown]
	v_xor_b32_e32 v23, vcc_hi, v5
	v_xor_b32_e32 v5, vcc_lo, v5
	v_and_b32_e32 v22, v22, v23
	v_and_b32_e32 v23, v21, v5
	v_lshlrev_b32_e32 v5, 24, v20
	v_cmp_gt_i64_e32 vcc, 0, v[4:5]
	v_not_b32_e32 v5, v5
	v_ashrrev_i32_e32 v5, 31, v5
	v_xor_b32_e32 v20, vcc_hi, v5
	v_xor_b32_e32 v5, vcc_lo, v5
	v_and_b32_e32 v21, v22, v20
	v_and_b32_e32 v20, v23, v5
	v_mbcnt_lo_u32_b32 v5, v20, 0
	v_mbcnt_hi_u32_b32 v105, v21, v5
	v_cmp_eq_u32_e32 vcc, 0, v105
	v_cmp_ne_u64_e64 s[36:37], 0, v[20:21]
	s_and_b64 s[38:39], s[36:37], vcc
	; wave barrier
	s_and_saveexec_b64 s[36:37], s[38:39]
	s_cbranch_execz .LBB218_100
; %bb.99:                               ;   in Loop: Header=BB218_74 Depth=2
	v_bcnt_u32_b32 v5, v20, 0
	v_bcnt_u32_b32 v5, v21, v5
	s_waitcnt lgkmcnt(0)
	v_add_u32_e32 v5, v103, v5
	ds_write_b32 v104, v5
.LBB218_100:                            ;   in Loop: Header=BB218_74 Depth=2
	s_or_b64 exec, exec, s[36:37]
	s_waitcnt vmcnt(3)
	v_lshrrev_b32_sdwa v5, s68, v93 dst_sel:DWORD dst_unused:UNUSED_PAD src0_sel:DWORD src1_sel:BYTE_0
	v_and_b32_e32 v20, s77, v5
	v_mul_u32_u24_e32 v5, 5, v20
	v_add_lshl_u32 v5, v5, v88, 2
	; wave barrier
	v_add_u32_e32 v107, 0x410, v5
	ds_read_b32 v106, v5 offset:1040
	v_and_b32_e32 v5, 1, v20
	v_add_co_u32_e32 v21, vcc, -1, v5
	v_addc_co_u32_e64 v22, s[36:37], 0, -1, vcc
	v_cmp_ne_u32_e32 vcc, 0, v5
	v_xor_b32_e32 v5, vcc_hi, v22
	v_and_b32_e32 v22, exec_hi, v5
	v_lshlrev_b32_e32 v5, 30, v20
	v_xor_b32_e32 v21, vcc_lo, v21
	v_cmp_gt_i64_e32 vcc, 0, v[4:5]
	v_not_b32_e32 v5, v5
	v_ashrrev_i32_e32 v5, 31, v5
	v_and_b32_e32 v21, exec_lo, v21
	v_xor_b32_e32 v23, vcc_hi, v5
	v_xor_b32_e32 v5, vcc_lo, v5
	v_and_b32_e32 v21, v21, v5
	v_lshlrev_b32_e32 v5, 29, v20
	v_cmp_gt_i64_e32 vcc, 0, v[4:5]
	v_not_b32_e32 v5, v5
	v_ashrrev_i32_e32 v5, 31, v5
	v_and_b32_e32 v22, v22, v23
	v_xor_b32_e32 v23, vcc_hi, v5
	v_xor_b32_e32 v5, vcc_lo, v5
	v_and_b32_e32 v21, v21, v5
	v_lshlrev_b32_e32 v5, 28, v20
	v_cmp_gt_i64_e32 vcc, 0, v[4:5]
	v_not_b32_e32 v5, v5
	v_ashrrev_i32_e32 v5, 31, v5
	v_and_b32_e32 v22, v22, v23
	;; [unrolled: 8-line block ×5, first 2 shown]
	v_xor_b32_e32 v23, vcc_hi, v5
	v_xor_b32_e32 v5, vcc_lo, v5
	v_and_b32_e32 v22, v22, v23
	v_and_b32_e32 v23, v21, v5
	v_lshlrev_b32_e32 v5, 24, v20
	v_cmp_gt_i64_e32 vcc, 0, v[4:5]
	v_not_b32_e32 v5, v5
	v_ashrrev_i32_e32 v5, 31, v5
	v_xor_b32_e32 v20, vcc_hi, v5
	v_xor_b32_e32 v5, vcc_lo, v5
	v_and_b32_e32 v21, v22, v20
	v_and_b32_e32 v20, v23, v5
	v_mbcnt_lo_u32_b32 v5, v20, 0
	v_mbcnt_hi_u32_b32 v108, v21, v5
	v_cmp_eq_u32_e32 vcc, 0, v108
	v_cmp_ne_u64_e64 s[36:37], 0, v[20:21]
	s_and_b64 s[38:39], s[36:37], vcc
	; wave barrier
	s_and_saveexec_b64 s[36:37], s[38:39]
	s_cbranch_execz .LBB218_102
; %bb.101:                              ;   in Loop: Header=BB218_74 Depth=2
	v_bcnt_u32_b32 v5, v20, 0
	v_bcnt_u32_b32 v5, v21, v5
	s_waitcnt lgkmcnt(0)
	v_add_u32_e32 v5, v106, v5
	ds_write_b32 v107, v5
.LBB218_102:                            ;   in Loop: Header=BB218_74 Depth=2
	s_or_b64 exec, exec, s[36:37]
	s_waitcnt vmcnt(2)
	v_lshrrev_b32_sdwa v5, s68, v94 dst_sel:DWORD dst_unused:UNUSED_PAD src0_sel:DWORD src1_sel:BYTE_0
	v_and_b32_e32 v20, s77, v5
	v_mul_u32_u24_e32 v5, 5, v20
	v_add_lshl_u32 v5, v5, v88, 2
	; wave barrier
	v_add_u32_e32 v110, 0x410, v5
	ds_read_b32 v109, v5 offset:1040
	v_and_b32_e32 v5, 1, v20
	v_add_co_u32_e32 v21, vcc, -1, v5
	v_addc_co_u32_e64 v22, s[36:37], 0, -1, vcc
	v_cmp_ne_u32_e32 vcc, 0, v5
	v_xor_b32_e32 v5, vcc_hi, v22
	v_and_b32_e32 v22, exec_hi, v5
	v_lshlrev_b32_e32 v5, 30, v20
	v_xor_b32_e32 v21, vcc_lo, v21
	v_cmp_gt_i64_e32 vcc, 0, v[4:5]
	v_not_b32_e32 v5, v5
	v_ashrrev_i32_e32 v5, 31, v5
	v_and_b32_e32 v21, exec_lo, v21
	v_xor_b32_e32 v23, vcc_hi, v5
	v_xor_b32_e32 v5, vcc_lo, v5
	v_and_b32_e32 v21, v21, v5
	v_lshlrev_b32_e32 v5, 29, v20
	v_cmp_gt_i64_e32 vcc, 0, v[4:5]
	v_not_b32_e32 v5, v5
	v_ashrrev_i32_e32 v5, 31, v5
	v_and_b32_e32 v22, v22, v23
	v_xor_b32_e32 v23, vcc_hi, v5
	v_xor_b32_e32 v5, vcc_lo, v5
	v_and_b32_e32 v21, v21, v5
	v_lshlrev_b32_e32 v5, 28, v20
	v_cmp_gt_i64_e32 vcc, 0, v[4:5]
	v_not_b32_e32 v5, v5
	v_ashrrev_i32_e32 v5, 31, v5
	v_and_b32_e32 v22, v22, v23
	;; [unrolled: 8-line block ×5, first 2 shown]
	v_xor_b32_e32 v23, vcc_hi, v5
	v_xor_b32_e32 v5, vcc_lo, v5
	v_and_b32_e32 v22, v22, v23
	v_and_b32_e32 v23, v21, v5
	v_lshlrev_b32_e32 v5, 24, v20
	v_cmp_gt_i64_e32 vcc, 0, v[4:5]
	v_not_b32_e32 v5, v5
	v_ashrrev_i32_e32 v5, 31, v5
	v_xor_b32_e32 v20, vcc_hi, v5
	v_xor_b32_e32 v5, vcc_lo, v5
	v_and_b32_e32 v21, v22, v20
	v_and_b32_e32 v20, v23, v5
	v_mbcnt_lo_u32_b32 v5, v20, 0
	v_mbcnt_hi_u32_b32 v111, v21, v5
	v_cmp_eq_u32_e32 vcc, 0, v111
	v_cmp_ne_u64_e64 s[36:37], 0, v[20:21]
	s_and_b64 s[38:39], s[36:37], vcc
	; wave barrier
	s_and_saveexec_b64 s[36:37], s[38:39]
	s_cbranch_execz .LBB218_104
; %bb.103:                              ;   in Loop: Header=BB218_74 Depth=2
	v_bcnt_u32_b32 v5, v20, 0
	v_bcnt_u32_b32 v5, v21, v5
	s_waitcnt lgkmcnt(0)
	v_add_u32_e32 v5, v109, v5
	ds_write_b32 v110, v5
.LBB218_104:                            ;   in Loop: Header=BB218_74 Depth=2
	s_or_b64 exec, exec, s[36:37]
	s_waitcnt vmcnt(1)
	v_lshrrev_b32_sdwa v5, s68, v95 dst_sel:DWORD dst_unused:UNUSED_PAD src0_sel:DWORD src1_sel:BYTE_0
	v_and_b32_e32 v20, s77, v5
	v_mul_u32_u24_e32 v5, 5, v20
	v_add_lshl_u32 v5, v5, v88, 2
	; wave barrier
	v_add_u32_e32 v113, 0x410, v5
	ds_read_b32 v112, v5 offset:1040
	v_and_b32_e32 v5, 1, v20
	v_add_co_u32_e32 v21, vcc, -1, v5
	v_addc_co_u32_e64 v22, s[36:37], 0, -1, vcc
	v_cmp_ne_u32_e32 vcc, 0, v5
	v_xor_b32_e32 v5, vcc_hi, v22
	v_and_b32_e32 v22, exec_hi, v5
	v_lshlrev_b32_e32 v5, 30, v20
	v_xor_b32_e32 v21, vcc_lo, v21
	v_cmp_gt_i64_e32 vcc, 0, v[4:5]
	v_not_b32_e32 v5, v5
	v_ashrrev_i32_e32 v5, 31, v5
	v_and_b32_e32 v21, exec_lo, v21
	v_xor_b32_e32 v23, vcc_hi, v5
	v_xor_b32_e32 v5, vcc_lo, v5
	v_and_b32_e32 v21, v21, v5
	v_lshlrev_b32_e32 v5, 29, v20
	v_cmp_gt_i64_e32 vcc, 0, v[4:5]
	v_not_b32_e32 v5, v5
	v_ashrrev_i32_e32 v5, 31, v5
	v_and_b32_e32 v22, v22, v23
	v_xor_b32_e32 v23, vcc_hi, v5
	v_xor_b32_e32 v5, vcc_lo, v5
	v_and_b32_e32 v21, v21, v5
	v_lshlrev_b32_e32 v5, 28, v20
	v_cmp_gt_i64_e32 vcc, 0, v[4:5]
	v_not_b32_e32 v5, v5
	v_ashrrev_i32_e32 v5, 31, v5
	v_and_b32_e32 v22, v22, v23
	;; [unrolled: 8-line block ×5, first 2 shown]
	v_xor_b32_e32 v23, vcc_hi, v5
	v_xor_b32_e32 v5, vcc_lo, v5
	v_and_b32_e32 v22, v22, v23
	v_and_b32_e32 v23, v21, v5
	v_lshlrev_b32_e32 v5, 24, v20
	v_cmp_gt_i64_e32 vcc, 0, v[4:5]
	v_not_b32_e32 v5, v5
	v_ashrrev_i32_e32 v5, 31, v5
	v_xor_b32_e32 v20, vcc_hi, v5
	v_xor_b32_e32 v5, vcc_lo, v5
	v_and_b32_e32 v21, v22, v20
	v_and_b32_e32 v20, v23, v5
	v_mbcnt_lo_u32_b32 v5, v20, 0
	v_mbcnt_hi_u32_b32 v114, v21, v5
	v_cmp_eq_u32_e32 vcc, 0, v114
	v_cmp_ne_u64_e64 s[36:37], 0, v[20:21]
	s_and_b64 s[38:39], s[36:37], vcc
	; wave barrier
	s_and_saveexec_b64 s[36:37], s[38:39]
	s_cbranch_execz .LBB218_106
; %bb.105:                              ;   in Loop: Header=BB218_74 Depth=2
	v_bcnt_u32_b32 v5, v20, 0
	v_bcnt_u32_b32 v5, v21, v5
	s_waitcnt lgkmcnt(0)
	v_add_u32_e32 v5, v112, v5
	ds_write_b32 v113, v5
.LBB218_106:                            ;   in Loop: Header=BB218_74 Depth=2
	s_or_b64 exec, exec, s[36:37]
	s_waitcnt vmcnt(0)
	v_lshrrev_b32_sdwa v5, s68, v96 dst_sel:DWORD dst_unused:UNUSED_PAD src0_sel:DWORD src1_sel:BYTE_0
	v_and_b32_e32 v20, s77, v5
	v_mul_u32_u24_e32 v5, 5, v20
	v_add_lshl_u32 v5, v5, v88, 2
	; wave barrier
	v_add_u32_e32 v116, 0x410, v5
	ds_read_b32 v115, v5 offset:1040
	v_and_b32_e32 v5, 1, v20
	v_add_co_u32_e32 v21, vcc, -1, v5
	v_addc_co_u32_e64 v22, s[36:37], 0, -1, vcc
	v_cmp_ne_u32_e32 vcc, 0, v5
	v_xor_b32_e32 v5, vcc_hi, v22
	v_and_b32_e32 v22, exec_hi, v5
	v_lshlrev_b32_e32 v5, 30, v20
	v_xor_b32_e32 v21, vcc_lo, v21
	v_cmp_gt_i64_e32 vcc, 0, v[4:5]
	v_not_b32_e32 v5, v5
	v_ashrrev_i32_e32 v5, 31, v5
	v_and_b32_e32 v21, exec_lo, v21
	v_xor_b32_e32 v23, vcc_hi, v5
	v_xor_b32_e32 v5, vcc_lo, v5
	v_and_b32_e32 v21, v21, v5
	v_lshlrev_b32_e32 v5, 29, v20
	v_cmp_gt_i64_e32 vcc, 0, v[4:5]
	v_not_b32_e32 v5, v5
	v_ashrrev_i32_e32 v5, 31, v5
	v_and_b32_e32 v22, v22, v23
	v_xor_b32_e32 v23, vcc_hi, v5
	v_xor_b32_e32 v5, vcc_lo, v5
	v_and_b32_e32 v21, v21, v5
	v_lshlrev_b32_e32 v5, 28, v20
	v_cmp_gt_i64_e32 vcc, 0, v[4:5]
	v_not_b32_e32 v5, v5
	v_ashrrev_i32_e32 v5, 31, v5
	v_and_b32_e32 v22, v22, v23
	v_xor_b32_e32 v23, vcc_hi, v5
	v_xor_b32_e32 v5, vcc_lo, v5
	v_and_b32_e32 v21, v21, v5
	v_lshlrev_b32_e32 v5, 27, v20
	v_cmp_gt_i64_e32 vcc, 0, v[4:5]
	v_not_b32_e32 v5, v5
	v_ashrrev_i32_e32 v5, 31, v5
	v_and_b32_e32 v22, v22, v23
	v_xor_b32_e32 v23, vcc_hi, v5
	v_xor_b32_e32 v5, vcc_lo, v5
	v_and_b32_e32 v21, v21, v5
	v_lshlrev_b32_e32 v5, 26, v20
	v_cmp_gt_i64_e32 vcc, 0, v[4:5]
	v_not_b32_e32 v5, v5
	v_ashrrev_i32_e32 v5, 31, v5
	v_and_b32_e32 v22, v22, v23
	v_xor_b32_e32 v23, vcc_hi, v5
	v_xor_b32_e32 v5, vcc_lo, v5
	v_and_b32_e32 v21, v21, v5
	v_lshlrev_b32_e32 v5, 25, v20
	v_cmp_gt_i64_e32 vcc, 0, v[4:5]
	v_not_b32_e32 v5, v5
	v_ashrrev_i32_e32 v5, 31, v5
	v_and_b32_e32 v22, v22, v23
	v_xor_b32_e32 v23, vcc_hi, v5
	v_xor_b32_e32 v5, vcc_lo, v5
	v_and_b32_e32 v22, v22, v23
	v_and_b32_e32 v23, v21, v5
	v_lshlrev_b32_e32 v5, 24, v20
	v_cmp_gt_i64_e32 vcc, 0, v[4:5]
	v_not_b32_e32 v5, v5
	v_ashrrev_i32_e32 v5, 31, v5
	v_xor_b32_e32 v20, vcc_hi, v5
	v_xor_b32_e32 v5, vcc_lo, v5
	v_and_b32_e32 v21, v22, v20
	v_and_b32_e32 v20, v23, v5
	v_mbcnt_lo_u32_b32 v5, v20, 0
	v_mbcnt_hi_u32_b32 v117, v21, v5
	v_cmp_eq_u32_e32 vcc, 0, v117
	v_cmp_ne_u64_e64 s[36:37], 0, v[20:21]
	s_and_b64 s[38:39], s[36:37], vcc
	; wave barrier
	s_and_saveexec_b64 s[36:37], s[38:39]
	s_cbranch_execz .LBB218_108
; %bb.107:                              ;   in Loop: Header=BB218_74 Depth=2
	v_bcnt_u32_b32 v5, v20, 0
	v_bcnt_u32_b32 v5, v21, v5
	s_waitcnt lgkmcnt(0)
	v_add_u32_e32 v5, v115, v5
	ds_write_b32 v116, v5
.LBB218_108:                            ;   in Loop: Header=BB218_74 Depth=2
	s_or_b64 exec, exec, s[36:37]
	v_lshrrev_b32_sdwa v5, s68, v97 dst_sel:DWORD dst_unused:UNUSED_PAD src0_sel:DWORD src1_sel:BYTE_0
	v_and_b32_e32 v20, s77, v5
	v_mul_u32_u24_e32 v5, 5, v20
	v_add_lshl_u32 v5, v5, v88, 2
	; wave barrier
	v_add_u32_e32 v119, 0x410, v5
	ds_read_b32 v118, v5 offset:1040
	v_and_b32_e32 v5, 1, v20
	v_add_co_u32_e32 v21, vcc, -1, v5
	v_addc_co_u32_e64 v22, s[36:37], 0, -1, vcc
	v_cmp_ne_u32_e32 vcc, 0, v5
	v_xor_b32_e32 v5, vcc_hi, v22
	v_and_b32_e32 v22, exec_hi, v5
	v_lshlrev_b32_e32 v5, 30, v20
	v_xor_b32_e32 v21, vcc_lo, v21
	v_cmp_gt_i64_e32 vcc, 0, v[4:5]
	v_not_b32_e32 v5, v5
	v_ashrrev_i32_e32 v5, 31, v5
	v_and_b32_e32 v21, exec_lo, v21
	v_xor_b32_e32 v23, vcc_hi, v5
	v_xor_b32_e32 v5, vcc_lo, v5
	v_and_b32_e32 v21, v21, v5
	v_lshlrev_b32_e32 v5, 29, v20
	v_cmp_gt_i64_e32 vcc, 0, v[4:5]
	v_not_b32_e32 v5, v5
	v_ashrrev_i32_e32 v5, 31, v5
	v_and_b32_e32 v22, v22, v23
	v_xor_b32_e32 v23, vcc_hi, v5
	v_xor_b32_e32 v5, vcc_lo, v5
	v_and_b32_e32 v21, v21, v5
	v_lshlrev_b32_e32 v5, 28, v20
	v_cmp_gt_i64_e32 vcc, 0, v[4:5]
	v_not_b32_e32 v5, v5
	v_ashrrev_i32_e32 v5, 31, v5
	v_and_b32_e32 v22, v22, v23
	;; [unrolled: 8-line block ×5, first 2 shown]
	v_xor_b32_e32 v23, vcc_hi, v5
	v_xor_b32_e32 v5, vcc_lo, v5
	v_and_b32_e32 v22, v22, v23
	v_and_b32_e32 v23, v21, v5
	v_lshlrev_b32_e32 v5, 24, v20
	v_cmp_gt_i64_e32 vcc, 0, v[4:5]
	v_not_b32_e32 v5, v5
	v_ashrrev_i32_e32 v5, 31, v5
	v_xor_b32_e32 v20, vcc_hi, v5
	v_xor_b32_e32 v5, vcc_lo, v5
	v_and_b32_e32 v21, v22, v20
	v_and_b32_e32 v20, v23, v5
	v_mbcnt_lo_u32_b32 v5, v20, 0
	v_mbcnt_hi_u32_b32 v120, v21, v5
	v_cmp_eq_u32_e32 vcc, 0, v120
	v_cmp_ne_u64_e64 s[36:37], 0, v[20:21]
	s_and_b64 s[38:39], s[36:37], vcc
	; wave barrier
	s_and_saveexec_b64 s[36:37], s[38:39]
	s_cbranch_execz .LBB218_110
; %bb.109:                              ;   in Loop: Header=BB218_74 Depth=2
	v_bcnt_u32_b32 v5, v20, 0
	v_bcnt_u32_b32 v5, v21, v5
	s_waitcnt lgkmcnt(0)
	v_add_u32_e32 v5, v118, v5
	ds_write_b32 v119, v5
.LBB218_110:                            ;   in Loop: Header=BB218_74 Depth=2
	s_or_b64 exec, exec, s[36:37]
	; wave barrier
	s_waitcnt lgkmcnt(0)
	s_barrier
	ds_read_b32 v5, v42 offset:1040
	ds_read2_b32 v[22:23], v44 offset0:1 offset1:2
	ds_read2_b32 v[20:21], v44 offset0:3 offset1:4
	s_waitcnt lgkmcnt(1)
	v_add3_u32 v121, v22, v5, v23
	s_waitcnt lgkmcnt(0)
	v_add3_u32 v21, v121, v20, v21
	s_nop 1
	v_mov_b32_dpp v121, v21 row_shr:1 row_mask:0xf bank_mask:0xf
	v_cndmask_b32_e64 v121, v121, 0, s[16:17]
	v_add_u32_e32 v21, v121, v21
	s_nop 1
	v_mov_b32_dpp v121, v21 row_shr:2 row_mask:0xf bank_mask:0xf
	v_cndmask_b32_e64 v121, 0, v121, s[18:19]
	v_add_u32_e32 v21, v21, v121
	;; [unrolled: 4-line block ×4, first 2 shown]
	s_nop 1
	v_mov_b32_dpp v121, v21 row_bcast:15 row_mask:0xf bank_mask:0xf
	v_cndmask_b32_e64 v121, v121, 0, s[24:25]
	v_add_u32_e32 v21, v21, v121
	s_nop 1
	v_mov_b32_dpp v121, v21 row_bcast:31 row_mask:0xf bank_mask:0xf
	v_cndmask_b32_e64 v121, 0, v121, s[26:27]
	v_add_u32_e32 v21, v21, v121
	s_and_saveexec_b64 s[36:37], s[6:7]
	s_cbranch_execz .LBB218_112
; %bb.111:                              ;   in Loop: Header=BB218_74 Depth=2
	ds_write_b32 v35, v21 offset:1024
.LBB218_112:                            ;   in Loop: Header=BB218_74 Depth=2
	s_or_b64 exec, exec, s[36:37]
	s_waitcnt lgkmcnt(0)
	s_barrier
	s_and_saveexec_b64 s[36:37], s[8:9]
	s_cbranch_execz .LBB218_114
; %bb.113:                              ;   in Loop: Header=BB218_74 Depth=2
	v_add_u32_e32 v121, v42, v45
	ds_read_b32 v122, v121 offset:1024
	s_waitcnt lgkmcnt(0)
	s_nop 0
	v_mov_b32_dpp v123, v122 row_shr:1 row_mask:0xf bank_mask:0xf
	v_cndmask_b32_e64 v123, v123, 0, s[30:31]
	v_add_u32_e32 v122, v123, v122
	s_nop 1
	v_mov_b32_dpp v123, v122 row_shr:2 row_mask:0xf bank_mask:0xf
	v_cndmask_b32_e64 v123, 0, v123, s[34:35]
	v_add_u32_e32 v122, v122, v123
	ds_write_b32 v121, v122 offset:1024
.LBB218_114:                            ;   in Loop: Header=BB218_74 Depth=2
	s_or_b64 exec, exec, s[36:37]
	v_mov_b32_e32 v121, 0
	s_waitcnt lgkmcnt(0)
	s_barrier
	s_and_saveexec_b64 s[36:37], s[10:11]
	s_cbranch_execz .LBB218_116
; %bb.115:                              ;   in Loop: Header=BB218_74 Depth=2
	ds_read_b32 v121, v35 offset:1020
.LBB218_116:                            ;   in Loop: Header=BB218_74 Depth=2
	s_or_b64 exec, exec, s[36:37]
	s_waitcnt lgkmcnt(0)
	v_add_u32_e32 v21, v121, v21
	ds_bpermute_b32 v21, v65, v21
	s_waitcnt lgkmcnt(0)
	v_cndmask_b32_e64 v21, v21, v121, s[28:29]
	v_cndmask_b32_e64 v21, v21, 0, s[12:13]
	v_add_u32_e32 v5, v21, v5
	ds_write_b32 v42, v21 offset:1040
	v_add_u32_e32 v21, v5, v22
	v_add_u32_e32 v22, v21, v23
	ds_write2_b32 v44, v5, v21 offset0:1 offset1:2
	v_add_u32_e32 v5, v22, v20
	ds_write2_b32 v44, v22, v5 offset0:3 offset1:4
	s_waitcnt lgkmcnt(0)
	s_barrier
	ds_read_b32 v20, v101
	ds_read_b32 v21, v104
	;; [unrolled: 1-line block ×8, first 2 shown]
	ds_read_b32 v101, v42 offset:1040
	v_mov_b32_e32 v5, 0x800
	s_and_saveexec_b64 s[36:37], s[14:15]
	s_cbranch_execz .LBB218_118
; %bb.117:                              ;   in Loop: Header=BB218_74 Depth=2
	ds_read_b32 v5, v42 offset:1060
.LBB218_118:                            ;   in Loop: Header=BB218_74 Depth=2
	s_or_b64 exec, exec, s[36:37]
	s_waitcnt lgkmcnt(0)
	s_barrier
	s_and_saveexec_b64 s[36:37], s[4:5]
	s_cbranch_execz .LBB218_120
; %bb.119:                              ;   in Loop: Header=BB218_74 Depth=2
	ds_read_b32 v104, v3
	s_waitcnt lgkmcnt(0)
	v_sub_u32_e32 v101, v104, v101
	ds_write_b32 v3, v101
.LBB218_120:                            ;   in Loop: Header=BB218_74 Depth=2
	s_or_b64 exec, exec, s[36:37]
	v_add_u32_e32 v104, v98, v99
	v_add3_u32 v102, v102, v100, v20
	v_add3_u32 v101, v105, v103, v21
	;; [unrolled: 1-line block ×7, first 2 shown]
	v_cmp_lt_u32_e64 s[48:49], v2, v89
	ds_write_b8 v104, v90 offset:1024
	ds_write_b8 v102, v91 offset:1024
	;; [unrolled: 1-line block ×8, first 2 shown]
	s_waitcnt lgkmcnt(0)
	s_barrier
	s_and_saveexec_b64 s[36:37], s[48:49]
	s_cbranch_execz .LBB218_128
; %bb.121:                              ;   in Loop: Header=BB218_74 Depth=2
	ds_read_u8 v20, v2 offset:1024
	s_waitcnt lgkmcnt(0)
	v_lshrrev_b32_sdwa v21, s68, v20 dst_sel:DWORD dst_unused:UNUSED_PAD src0_sel:DWORD src1_sel:BYTE_0
	v_and_b32_e32 v21, s77, v21
	v_lshlrev_b32_e32 v21, 2, v21
	ds_read_b32 v21, v21
	s_waitcnt lgkmcnt(0)
	v_add_u32_e32 v21, v21, v2
	global_store_byte v21, v20, s[58:59]
	s_or_b64 exec, exec, s[36:37]
	v_cmp_lt_u32_e64 s[46:47], v24, v89
	s_and_saveexec_b64 s[36:37], s[46:47]
	s_cbranch_execnz .LBB218_129
.LBB218_122:                            ;   in Loop: Header=BB218_74 Depth=2
	s_or_b64 exec, exec, s[36:37]
	v_cmp_lt_u32_e64 s[44:45], v25, v89
	s_and_saveexec_b64 s[36:37], s[44:45]
	s_cbranch_execz .LBB218_130
.LBB218_123:                            ;   in Loop: Header=BB218_74 Depth=2
	ds_read_u8 v20, v30 offset:512
	s_waitcnt lgkmcnt(0)
	v_lshrrev_b32_sdwa v21, s68, v20 dst_sel:DWORD dst_unused:UNUSED_PAD src0_sel:DWORD src1_sel:BYTE_0
	v_and_b32_e32 v21, s77, v21
	v_lshlrev_b32_e32 v21, 2, v21
	ds_read_b32 v21, v21
	s_waitcnt lgkmcnt(0)
	v_add_u32_e32 v21, v21, v25
	global_store_byte v21, v20, s[58:59]
	s_or_b64 exec, exec, s[36:37]
	v_cmp_lt_u32_e64 s[42:43], v26, v89
	s_and_saveexec_b64 s[36:37], s[42:43]
	s_cbranch_execnz .LBB218_131
.LBB218_124:                            ;   in Loop: Header=BB218_74 Depth=2
	s_or_b64 exec, exec, s[36:37]
	v_cmp_lt_u32_e64 s[40:41], v30, v89
	s_and_saveexec_b64 s[36:37], s[40:41]
	s_cbranch_execz .LBB218_132
.LBB218_125:                            ;   in Loop: Header=BB218_74 Depth=2
	ds_read_u8 v20, v30 offset:1024
	s_waitcnt lgkmcnt(0)
	v_lshrrev_b32_sdwa v21, s68, v20 dst_sel:DWORD dst_unused:UNUSED_PAD src0_sel:DWORD src1_sel:BYTE_0
	v_and_b32_e32 v21, s77, v21
	v_lshlrev_b32_e32 v21, 2, v21
	ds_read_b32 v21, v21
	s_waitcnt lgkmcnt(0)
	v_add_u32_e32 v21, v21, v30
	global_store_byte v21, v20, s[58:59]
	s_or_b64 exec, exec, s[36:37]
	v_cmp_lt_u32_e64 s[38:39], v31, v89
	s_and_saveexec_b64 s[36:37], s[38:39]
	s_cbranch_execnz .LBB218_133
.LBB218_126:                            ;   in Loop: Header=BB218_74 Depth=2
	s_or_b64 exec, exec, s[36:37]
	v_cmp_lt_u32_e64 s[36:37], v32, v89
	s_and_saveexec_b64 s[52:53], s[36:37]
	s_cbranch_execz .LBB218_134
.LBB218_127:                            ;   in Loop: Header=BB218_74 Depth=2
	ds_read_u8 v20, v30 offset:1536
	s_waitcnt lgkmcnt(0)
	v_lshrrev_b32_sdwa v21, s68, v20 dst_sel:DWORD dst_unused:UNUSED_PAD src0_sel:DWORD src1_sel:BYTE_0
	v_and_b32_e32 v21, s77, v21
	v_lshlrev_b32_e32 v21, 2, v21
	ds_read_b32 v21, v21
	s_waitcnt lgkmcnt(0)
	v_add_u32_e32 v21, v21, v32
	global_store_byte v21, v20, s[58:59]
	s_or_b64 exec, exec, s[52:53]
	v_cmp_lt_u32_e32 vcc, v33, v89
	s_and_saveexec_b64 s[52:53], vcc
	s_cbranch_execnz .LBB218_135
	s_branch .LBB218_136
.LBB218_128:                            ;   in Loop: Header=BB218_74 Depth=2
	s_or_b64 exec, exec, s[36:37]
	v_cmp_lt_u32_e64 s[46:47], v24, v89
	s_and_saveexec_b64 s[36:37], s[46:47]
	s_cbranch_execz .LBB218_122
.LBB218_129:                            ;   in Loop: Header=BB218_74 Depth=2
	ds_read_u8 v20, v30 offset:256
	s_waitcnt lgkmcnt(0)
	v_lshrrev_b32_sdwa v21, s68, v20 dst_sel:DWORD dst_unused:UNUSED_PAD src0_sel:DWORD src1_sel:BYTE_0
	v_and_b32_e32 v21, s77, v21
	v_lshlrev_b32_e32 v21, 2, v21
	ds_read_b32 v21, v21
	s_waitcnt lgkmcnt(0)
	v_add_u32_e32 v21, v21, v24
	global_store_byte v21, v20, s[58:59]
	s_or_b64 exec, exec, s[36:37]
	v_cmp_lt_u32_e64 s[44:45], v25, v89
	s_and_saveexec_b64 s[36:37], s[44:45]
	s_cbranch_execnz .LBB218_123
.LBB218_130:                            ;   in Loop: Header=BB218_74 Depth=2
	s_or_b64 exec, exec, s[36:37]
	v_cmp_lt_u32_e64 s[42:43], v26, v89
	s_and_saveexec_b64 s[36:37], s[42:43]
	s_cbranch_execz .LBB218_124
.LBB218_131:                            ;   in Loop: Header=BB218_74 Depth=2
	ds_read_u8 v20, v30 offset:768
	s_waitcnt lgkmcnt(0)
	v_lshrrev_b32_sdwa v21, s68, v20 dst_sel:DWORD dst_unused:UNUSED_PAD src0_sel:DWORD src1_sel:BYTE_0
	v_and_b32_e32 v21, s77, v21
	v_lshlrev_b32_e32 v21, 2, v21
	ds_read_b32 v21, v21
	s_waitcnt lgkmcnt(0)
	v_add_u32_e32 v21, v21, v26
	global_store_byte v21, v20, s[58:59]
	s_or_b64 exec, exec, s[36:37]
	v_cmp_lt_u32_e64 s[40:41], v30, v89
	s_and_saveexec_b64 s[36:37], s[40:41]
	s_cbranch_execnz .LBB218_125
.LBB218_132:                            ;   in Loop: Header=BB218_74 Depth=2
	s_or_b64 exec, exec, s[36:37]
	v_cmp_lt_u32_e64 s[38:39], v31, v89
	s_and_saveexec_b64 s[36:37], s[38:39]
	s_cbranch_execz .LBB218_126
.LBB218_133:                            ;   in Loop: Header=BB218_74 Depth=2
	ds_read_u8 v20, v30 offset:1280
	s_waitcnt lgkmcnt(0)
	v_lshrrev_b32_sdwa v21, s68, v20 dst_sel:DWORD dst_unused:UNUSED_PAD src0_sel:DWORD src1_sel:BYTE_0
	v_and_b32_e32 v21, s77, v21
	v_lshlrev_b32_e32 v21, 2, v21
	ds_read_b32 v21, v21
	s_waitcnt lgkmcnt(0)
	v_add_u32_e32 v21, v21, v31
	global_store_byte v21, v20, s[58:59]
	s_or_b64 exec, exec, s[36:37]
	v_cmp_lt_u32_e64 s[36:37], v32, v89
	s_and_saveexec_b64 s[52:53], s[36:37]
	s_cbranch_execnz .LBB218_127
.LBB218_134:                            ;   in Loop: Header=BB218_74 Depth=2
	s_or_b64 exec, exec, s[52:53]
	v_cmp_lt_u32_e32 vcc, v33, v89
	s_and_saveexec_b64 s[52:53], vcc
	s_cbranch_execz .LBB218_136
.LBB218_135:                            ;   in Loop: Header=BB218_74 Depth=2
	ds_read_u8 v20, v30 offset:1792
	s_waitcnt lgkmcnt(0)
	v_lshrrev_b32_sdwa v21, s68, v20 dst_sel:DWORD dst_unused:UNUSED_PAD src0_sel:DWORD src1_sel:BYTE_0
	v_and_b32_e32 v21, s77, v21
	v_lshlrev_b32_e32 v21, 2, v21
	ds_read_b32 v21, v21
	s_waitcnt lgkmcnt(0)
	v_add_u32_e32 v21, v21, v33
	global_store_byte v21, v20, s[58:59]
.LBB218_136:                            ;   in Loop: Header=BB218_74 Depth=2
	s_or_b64 exec, exec, s[52:53]
	s_lshl_b64 s[52:53], s[72:73], 3
	v_mov_b32_e32 v21, s53
	v_add_co_u32_e64 v20, s[52:53], s52, v77
	v_addc_co_u32_e64 v21, s[52:53], v78, v21, s[52:53]
	v_cmp_lt_u32_e64 s[52:53], v72, v89
	s_and_saveexec_b64 s[62:63], s[52:53]
	s_xor_b64 s[52:53], exec, s[62:63]
	s_cbranch_execz .LBB218_152
; %bb.137:                              ;   in Loop: Header=BB218_74 Depth=2
	global_load_dwordx2 v[18:19], v[20:21], off
	s_or_b64 exec, exec, s[52:53]
	v_cmp_lt_u32_e64 s[52:53], v79, v89
	s_and_saveexec_b64 s[62:63], s[52:53]
	s_cbranch_execnz .LBB218_153
.LBB218_138:                            ;   in Loop: Header=BB218_74 Depth=2
	s_or_b64 exec, exec, s[62:63]
	v_cmp_lt_u32_e64 s[52:53], v80, v89
	s_and_saveexec_b64 s[62:63], s[52:53]
	s_cbranch_execz .LBB218_154
.LBB218_139:                            ;   in Loop: Header=BB218_74 Depth=2
	global_load_dwordx2 v[14:15], v[20:21], off offset:1024
	s_or_b64 exec, exec, s[62:63]
	v_cmp_lt_u32_e64 s[52:53], v81, v89
	s_and_saveexec_b64 s[62:63], s[52:53]
	s_cbranch_execnz .LBB218_155
.LBB218_140:                            ;   in Loop: Header=BB218_74 Depth=2
	s_or_b64 exec, exec, s[62:63]
	v_cmp_lt_u32_e64 s[52:53], v82, v89
	s_and_saveexec_b64 s[62:63], s[52:53]
	s_cbranch_execz .LBB218_156
.LBB218_141:                            ;   in Loop: Header=BB218_74 Depth=2
	global_load_dwordx2 v[10:11], v[20:21], off offset:2048
	s_or_b64 exec, exec, s[62:63]
	v_cmp_lt_u32_e64 s[52:53], v83, v89
	s_and_saveexec_b64 s[62:63], s[52:53]
	s_cbranch_execnz .LBB218_157
.LBB218_142:                            ;   in Loop: Header=BB218_74 Depth=2
	s_or_b64 exec, exec, s[62:63]
	v_cmp_lt_u32_e64 s[52:53], v84, v89
	s_and_saveexec_b64 s[62:63], s[52:53]
	s_cbranch_execz .LBB218_158
.LBB218_143:                            ;   in Loop: Header=BB218_74 Depth=2
	global_load_dwordx2 v[6:7], v[20:21], off offset:3072
	s_or_b64 exec, exec, s[62:63]
	v_cmp_lt_u32_e64 s[52:53], v85, v89
	s_and_saveexec_b64 s[62:63], s[52:53]
	s_cbranch_execnz .LBB218_159
.LBB218_144:                            ;   in Loop: Header=BB218_74 Depth=2
	s_or_b64 exec, exec, s[62:63]
	s_and_saveexec_b64 s[52:53], s[48:49]
	s_cbranch_execz .LBB218_160
.LBB218_145:                            ;   in Loop: Header=BB218_74 Depth=2
	ds_read_u8 v20, v2 offset:1024
	s_waitcnt lgkmcnt(0)
	v_lshrrev_b32_e32 v20, s68, v20
	v_and_b32_e32 v75, s77, v20
	s_or_b64 exec, exec, s[52:53]
	s_and_saveexec_b64 s[52:53], s[46:47]
	s_cbranch_execnz .LBB218_161
.LBB218_146:                            ;   in Loop: Header=BB218_74 Depth=2
	s_or_b64 exec, exec, s[52:53]
	s_and_saveexec_b64 s[52:53], s[44:45]
	s_cbranch_execz .LBB218_162
.LBB218_147:                            ;   in Loop: Header=BB218_74 Depth=2
	ds_read_u8 v20, v30 offset:512
	s_waitcnt lgkmcnt(0)
	v_lshrrev_b32_e32 v20, s68, v20
	v_and_b32_e32 v71, s77, v20
	s_or_b64 exec, exec, s[52:53]
	s_and_saveexec_b64 s[52:53], s[42:43]
	s_cbranch_execnz .LBB218_163
.LBB218_148:                            ;   in Loop: Header=BB218_74 Depth=2
	s_or_b64 exec, exec, s[52:53]
	s_and_saveexec_b64 s[52:53], s[40:41]
	s_cbranch_execz .LBB218_164
.LBB218_149:                            ;   in Loop: Header=BB218_74 Depth=2
	ds_read_u8 v20, v30 offset:1024
	s_waitcnt lgkmcnt(0)
	v_lshrrev_b32_e32 v20, s68, v20
	v_and_b32_e32 v69, s77, v20
	s_or_b64 exec, exec, s[52:53]
	s_and_saveexec_b64 s[52:53], s[38:39]
	s_cbranch_execnz .LBB218_165
.LBB218_150:                            ;   in Loop: Header=BB218_74 Depth=2
	s_or_b64 exec, exec, s[52:53]
	s_and_saveexec_b64 s[52:53], s[36:37]
	s_cbranch_execz .LBB218_166
.LBB218_151:                            ;   in Loop: Header=BB218_74 Depth=2
	ds_read_u8 v20, v30 offset:1536
	s_waitcnt lgkmcnt(0)
	v_lshrrev_b32_e32 v20, s68, v20
	v_and_b32_e32 v67, s77, v20
	s_or_b64 exec, exec, s[52:53]
	s_and_saveexec_b64 s[52:53], vcc
	s_cbranch_execnz .LBB218_167
	s_branch .LBB218_168
.LBB218_152:                            ;   in Loop: Header=BB218_74 Depth=2
	s_or_b64 exec, exec, s[52:53]
	v_cmp_lt_u32_e64 s[52:53], v79, v89
	s_and_saveexec_b64 s[62:63], s[52:53]
	s_cbranch_execz .LBB218_138
.LBB218_153:                            ;   in Loop: Header=BB218_74 Depth=2
	global_load_dwordx2 v[16:17], v[20:21], off offset:512
	s_or_b64 exec, exec, s[62:63]
	v_cmp_lt_u32_e64 s[52:53], v80, v89
	s_and_saveexec_b64 s[62:63], s[52:53]
	s_cbranch_execnz .LBB218_139
.LBB218_154:                            ;   in Loop: Header=BB218_74 Depth=2
	s_or_b64 exec, exec, s[62:63]
	v_cmp_lt_u32_e64 s[52:53], v81, v89
	s_and_saveexec_b64 s[62:63], s[52:53]
	s_cbranch_execz .LBB218_140
.LBB218_155:                            ;   in Loop: Header=BB218_74 Depth=2
	global_load_dwordx2 v[12:13], v[20:21], off offset:1536
	s_or_b64 exec, exec, s[62:63]
	v_cmp_lt_u32_e64 s[52:53], v82, v89
	s_and_saveexec_b64 s[62:63], s[52:53]
	s_cbranch_execnz .LBB218_141
.LBB218_156:                            ;   in Loop: Header=BB218_74 Depth=2
	s_or_b64 exec, exec, s[62:63]
	v_cmp_lt_u32_e64 s[52:53], v83, v89
	s_and_saveexec_b64 s[62:63], s[52:53]
	s_cbranch_execz .LBB218_142
.LBB218_157:                            ;   in Loop: Header=BB218_74 Depth=2
	global_load_dwordx2 v[8:9], v[20:21], off offset:2560
	s_or_b64 exec, exec, s[62:63]
	v_cmp_lt_u32_e64 s[52:53], v84, v89
	s_and_saveexec_b64 s[62:63], s[52:53]
	s_cbranch_execnz .LBB218_143
.LBB218_158:                            ;   in Loop: Header=BB218_74 Depth=2
	s_or_b64 exec, exec, s[62:63]
	v_cmp_lt_u32_e64 s[52:53], v85, v89
	s_and_saveexec_b64 s[62:63], s[52:53]
	s_cbranch_execz .LBB218_144
.LBB218_159:                            ;   in Loop: Header=BB218_74 Depth=2
	global_load_dwordx2 v[0:1], v[20:21], off offset:3584
	s_or_b64 exec, exec, s[62:63]
	s_and_saveexec_b64 s[52:53], s[48:49]
	s_cbranch_execnz .LBB218_145
.LBB218_160:                            ;   in Loop: Header=BB218_74 Depth=2
	s_or_b64 exec, exec, s[52:53]
	s_and_saveexec_b64 s[52:53], s[46:47]
	s_cbranch_execz .LBB218_146
.LBB218_161:                            ;   in Loop: Header=BB218_74 Depth=2
	ds_read_u8 v20, v30 offset:256
	s_waitcnt lgkmcnt(0)
	v_lshrrev_b32_e32 v20, s68, v20
	v_and_b32_e32 v73, s77, v20
	s_or_b64 exec, exec, s[52:53]
	s_and_saveexec_b64 s[52:53], s[44:45]
	s_cbranch_execnz .LBB218_147
.LBB218_162:                            ;   in Loop: Header=BB218_74 Depth=2
	s_or_b64 exec, exec, s[52:53]
	s_and_saveexec_b64 s[52:53], s[42:43]
	s_cbranch_execz .LBB218_148
.LBB218_163:                            ;   in Loop: Header=BB218_74 Depth=2
	ds_read_u8 v20, v30 offset:768
	s_waitcnt lgkmcnt(0)
	v_lshrrev_b32_e32 v20, s68, v20
	v_and_b32_e32 v70, s77, v20
	s_or_b64 exec, exec, s[52:53]
	s_and_saveexec_b64 s[52:53], s[40:41]
	s_cbranch_execnz .LBB218_149
.LBB218_164:                            ;   in Loop: Header=BB218_74 Depth=2
	s_or_b64 exec, exec, s[52:53]
	s_and_saveexec_b64 s[52:53], s[38:39]
	s_cbranch_execz .LBB218_150
.LBB218_165:                            ;   in Loop: Header=BB218_74 Depth=2
	ds_read_u8 v20, v30 offset:1280
	s_waitcnt lgkmcnt(0)
	v_lshrrev_b32_e32 v20, s68, v20
	v_and_b32_e32 v68, s77, v20
	s_or_b64 exec, exec, s[52:53]
	s_and_saveexec_b64 s[52:53], s[36:37]
	s_cbranch_execnz .LBB218_151
.LBB218_166:                            ;   in Loop: Header=BB218_74 Depth=2
	s_or_b64 exec, exec, s[52:53]
	s_and_saveexec_b64 s[52:53], vcc
	s_cbranch_execz .LBB218_168
.LBB218_167:                            ;   in Loop: Header=BB218_74 Depth=2
	ds_read_u8 v20, v30 offset:1792
	s_waitcnt lgkmcnt(0)
	v_lshrrev_b32_e32 v20, s68, v20
	v_and_b32_e32 v66, s77, v20
.LBB218_168:                            ;   in Loop: Header=BB218_74 Depth=2
	s_or_b64 exec, exec, s[52:53]
	v_lshlrev_b32_e32 v20, 3, v104
	s_barrier
	s_waitcnt vmcnt(0)
	ds_write_b64 v20, v[18:19] offset:1024
	v_lshlrev_b32_e32 v20, 3, v102
	ds_write_b64 v20, v[16:17] offset:1024
	v_lshlrev_b32_e32 v20, 3, v101
	;; [unrolled: 2-line block ×7, first 2 shown]
	ds_write_b64 v20, v[0:1] offset:1024
	s_waitcnt lgkmcnt(0)
	s_barrier
	s_and_saveexec_b64 s[52:53], s[48:49]
	s_cbranch_execz .LBB218_176
; %bb.169:                              ;   in Loop: Header=BB218_74 Depth=2
	v_lshlrev_b32_e32 v20, 2, v75
	ds_read_b32 v22, v20
	v_add_u32_e32 v20, v2, v50
	ds_read_b64 v[20:21], v20 offset:1024
	v_mov_b32_e32 v23, v4
	v_mov_b32_e32 v89, s65
	s_waitcnt lgkmcnt(1)
	v_add_u32_e32 v22, v22, v2
	v_lshlrev_b64 v[22:23], 3, v[22:23]
	v_add_co_u32_e64 v22, s[48:49], s64, v22
	v_addc_co_u32_e64 v23, s[48:49], v89, v23, s[48:49]
	s_waitcnt lgkmcnt(0)
	global_store_dwordx2 v[22:23], v[20:21], off
	s_or_b64 exec, exec, s[52:53]
	s_and_saveexec_b64 s[48:49], s[46:47]
	s_cbranch_execnz .LBB218_177
.LBB218_170:                            ;   in Loop: Header=BB218_74 Depth=2
	s_or_b64 exec, exec, s[48:49]
	s_and_saveexec_b64 s[46:47], s[44:45]
	s_cbranch_execz .LBB218_178
.LBB218_171:                            ;   in Loop: Header=BB218_74 Depth=2
	v_lshlrev_b32_e32 v20, 2, v71
	ds_read_b32 v22, v20
	v_add_u32_e32 v20, v30, v50
	ds_read_b64 v[20:21], v20 offset:4096
	v_mov_b32_e32 v23, v4
	v_mov_b32_e32 v89, s65
	s_waitcnt lgkmcnt(1)
	v_add_u32_e32 v22, v22, v25
	v_lshlrev_b64 v[22:23], 3, v[22:23]
	v_add_co_u32_e64 v22, s[44:45], s64, v22
	v_addc_co_u32_e64 v23, s[44:45], v89, v23, s[44:45]
	s_waitcnt lgkmcnt(0)
	global_store_dwordx2 v[22:23], v[20:21], off
	s_or_b64 exec, exec, s[46:47]
	s_and_saveexec_b64 s[44:45], s[42:43]
	s_cbranch_execnz .LBB218_179
.LBB218_172:                            ;   in Loop: Header=BB218_74 Depth=2
	s_or_b64 exec, exec, s[44:45]
	s_and_saveexec_b64 s[42:43], s[40:41]
	s_cbranch_execz .LBB218_180
.LBB218_173:                            ;   in Loop: Header=BB218_74 Depth=2
	v_lshlrev_b32_e32 v20, 2, v69
	ds_read_b32 v22, v20
	v_add_u32_e32 v20, v30, v50
	ds_read_b64 v[20:21], v20 offset:8192
	v_mov_b32_e32 v23, v4
	v_mov_b32_e32 v89, s65
	s_waitcnt lgkmcnt(1)
	v_add_u32_e32 v22, v22, v30
	v_lshlrev_b64 v[22:23], 3, v[22:23]
	v_add_co_u32_e64 v22, s[40:41], s64, v22
	v_addc_co_u32_e64 v23, s[40:41], v89, v23, s[40:41]
	s_waitcnt lgkmcnt(0)
	global_store_dwordx2 v[22:23], v[20:21], off
	s_or_b64 exec, exec, s[42:43]
	s_and_saveexec_b64 s[40:41], s[38:39]
	s_cbranch_execnz .LBB218_181
.LBB218_174:                            ;   in Loop: Header=BB218_74 Depth=2
	s_or_b64 exec, exec, s[40:41]
	s_and_saveexec_b64 s[38:39], s[36:37]
	s_cbranch_execz .LBB218_182
.LBB218_175:                            ;   in Loop: Header=BB218_74 Depth=2
	v_lshlrev_b32_e32 v20, 2, v67
	ds_read_b32 v22, v20
	v_add_u32_e32 v20, v30, v50
	ds_read_b64 v[20:21], v20 offset:12288
	v_mov_b32_e32 v23, v4
	v_mov_b32_e32 v89, s65
	s_waitcnt lgkmcnt(1)
	v_add_u32_e32 v22, v22, v32
	v_lshlrev_b64 v[22:23], 3, v[22:23]
	v_add_co_u32_e64 v22, s[36:37], s64, v22
	v_addc_co_u32_e64 v23, s[36:37], v89, v23, s[36:37]
	s_waitcnt lgkmcnt(0)
	global_store_dwordx2 v[22:23], v[20:21], off
	s_or_b64 exec, exec, s[38:39]
	s_and_saveexec_b64 s[36:37], vcc
	s_cbranch_execnz .LBB218_183
	s_branch .LBB218_184
.LBB218_176:                            ;   in Loop: Header=BB218_74 Depth=2
	s_or_b64 exec, exec, s[52:53]
	s_and_saveexec_b64 s[48:49], s[46:47]
	s_cbranch_execz .LBB218_170
.LBB218_177:                            ;   in Loop: Header=BB218_74 Depth=2
	v_lshlrev_b32_e32 v20, 2, v73
	ds_read_b32 v22, v20
	v_add_u32_e32 v20, v30, v50
	ds_read_b64 v[20:21], v20 offset:2048
	v_mov_b32_e32 v23, v4
	v_mov_b32_e32 v89, s65
	s_waitcnt lgkmcnt(1)
	v_add_u32_e32 v22, v22, v24
	v_lshlrev_b64 v[22:23], 3, v[22:23]
	v_add_co_u32_e64 v22, s[46:47], s64, v22
	v_addc_co_u32_e64 v23, s[46:47], v89, v23, s[46:47]
	s_waitcnt lgkmcnt(0)
	global_store_dwordx2 v[22:23], v[20:21], off
	s_or_b64 exec, exec, s[48:49]
	s_and_saveexec_b64 s[46:47], s[44:45]
	s_cbranch_execnz .LBB218_171
.LBB218_178:                            ;   in Loop: Header=BB218_74 Depth=2
	s_or_b64 exec, exec, s[46:47]
	s_and_saveexec_b64 s[44:45], s[42:43]
	s_cbranch_execz .LBB218_172
.LBB218_179:                            ;   in Loop: Header=BB218_74 Depth=2
	v_lshlrev_b32_e32 v20, 2, v70
	ds_read_b32 v22, v20
	v_add_u32_e32 v20, v30, v50
	ds_read_b64 v[20:21], v20 offset:6144
	v_mov_b32_e32 v23, v4
	v_mov_b32_e32 v89, s65
	s_waitcnt lgkmcnt(1)
	v_add_u32_e32 v22, v22, v26
	v_lshlrev_b64 v[22:23], 3, v[22:23]
	v_add_co_u32_e64 v22, s[42:43], s64, v22
	v_addc_co_u32_e64 v23, s[42:43], v89, v23, s[42:43]
	s_waitcnt lgkmcnt(0)
	global_store_dwordx2 v[22:23], v[20:21], off
	s_or_b64 exec, exec, s[44:45]
	s_and_saveexec_b64 s[42:43], s[40:41]
	s_cbranch_execnz .LBB218_173
.LBB218_180:                            ;   in Loop: Header=BB218_74 Depth=2
	s_or_b64 exec, exec, s[42:43]
	s_and_saveexec_b64 s[40:41], s[38:39]
	s_cbranch_execz .LBB218_174
.LBB218_181:                            ;   in Loop: Header=BB218_74 Depth=2
	v_lshlrev_b32_e32 v20, 2, v68
	ds_read_b32 v22, v20
	v_add_u32_e32 v20, v30, v50
	ds_read_b64 v[20:21], v20 offset:10240
	v_mov_b32_e32 v23, v4
	v_mov_b32_e32 v89, s65
	s_waitcnt lgkmcnt(1)
	v_add_u32_e32 v22, v22, v31
	v_lshlrev_b64 v[22:23], 3, v[22:23]
	v_add_co_u32_e64 v22, s[38:39], s64, v22
	v_addc_co_u32_e64 v23, s[38:39], v89, v23, s[38:39]
	s_waitcnt lgkmcnt(0)
	global_store_dwordx2 v[22:23], v[20:21], off
	s_or_b64 exec, exec, s[40:41]
	s_and_saveexec_b64 s[38:39], s[36:37]
	s_cbranch_execnz .LBB218_175
.LBB218_182:                            ;   in Loop: Header=BB218_74 Depth=2
	s_or_b64 exec, exec, s[38:39]
	s_and_saveexec_b64 s[36:37], vcc
	s_cbranch_execz .LBB218_184
.LBB218_183:                            ;   in Loop: Header=BB218_74 Depth=2
	v_lshlrev_b32_e32 v20, 2, v66
	ds_read_b32 v22, v20
	v_add_u32_e32 v20, v30, v50
	ds_read_b64 v[20:21], v20 offset:14336
	v_mov_b32_e32 v23, v4
	v_mov_b32_e32 v89, s65
	s_waitcnt lgkmcnt(1)
	v_add_u32_e32 v22, v22, v33
	v_lshlrev_b64 v[22:23], 3, v[22:23]
	v_add_co_u32_e32 v22, vcc, s64, v22
	v_addc_co_u32_e32 v23, vcc, v89, v23, vcc
	s_waitcnt lgkmcnt(0)
	global_store_dwordx2 v[22:23], v[20:21], off
.LBB218_184:                            ;   in Loop: Header=BB218_74 Depth=2
	s_or_b64 exec, exec, s[36:37]
	s_barrier
	s_and_saveexec_b64 s[36:37], s[4:5]
	s_cbranch_execz .LBB218_73
; %bb.185:                              ;   in Loop: Header=BB218_74 Depth=2
	ds_read_b32 v20, v3
	s_waitcnt lgkmcnt(0)
	v_add_u32_e32 v5, v20, v5
	ds_write_b32 v3, v5
	s_branch .LBB218_73
.LBB218_186:                            ;   in Loop: Header=BB218_20 Depth=1
	s_waitcnt lgkmcnt(0)
	s_barrier
	s_mov_b64 s[16:17], 0
.LBB218_187:                            ;   in Loop: Header=BB218_20 Depth=1
	s_and_b64 vcc, exec, s[16:17]
	s_cbranch_vccz .LBB218_353
; %bb.188:                              ;   in Loop: Header=BB218_20 Depth=1
	s_mov_b32 s20, s71
	s_mov_b32 s22, s51
	s_barrier
	s_waitcnt lgkmcnt(0)
                                        ; implicit-def: $vgpr5
                                        ; implicit-def: $vgpr6
                                        ; implicit-def: $vgpr7
                                        ; implicit-def: $vgpr8
                                        ; implicit-def: $vgpr9
                                        ; implicit-def: $vgpr10
                                        ; implicit-def: $vgpr11
                                        ; implicit-def: $vgpr12
	s_branch .LBB218_190
.LBB218_189:                            ;   in Loop: Header=BB218_190 Depth=2
	s_or_b64 exec, exec, s[16:17]
	s_addk_i32 s20, 0xf800
	s_cmp_ge_u32 s21, s76
	s_mov_b32 s22, s21
	s_cbranch_scc1 .LBB218_228
.LBB218_190:                            ;   Parent Loop BB218_20 Depth=1
                                        ; =>  This Inner Loop Header: Depth=2
	s_add_i32 s21, s22, 0x800
	s_cmp_gt_u32 s21, s76
	s_cbranch_scc1 .LBB218_193
; %bb.191:                              ;   in Loop: Header=BB218_190 Depth=2
	v_add_co_u32_e32 v0, vcc, s22, v51
	v_addc_co_u32_e32 v1, vcc, 0, v52, vcc
	global_load_ubyte v20, v[0:1], off offset:1536
	global_load_ubyte v19, v[0:1], off offset:1280
	;; [unrolled: 1-line block ×6, first 2 shown]
	global_load_ubyte v14, v[0:1], off
	v_add_co_u32_e32 v0, vcc, 0x700, v0
	v_addc_co_u32_e32 v1, vcc, 0, v1, vcc
	s_mov_b64 s[16:17], -1
	s_movk_i32 s25, 0x800
	s_cbranch_execz .LBB218_194
; %bb.192:                              ;   in Loop: Header=BB218_190 Depth=2
                                        ; implicit-def: $vgpr5
                                        ; implicit-def: $vgpr6
                                        ; implicit-def: $vgpr7
                                        ; implicit-def: $vgpr8
                                        ; implicit-def: $vgpr9
                                        ; implicit-def: $vgpr10
                                        ; implicit-def: $vgpr11
                                        ; implicit-def: $vgpr12
	v_mov_b32_e32 v13, s20
	s_and_saveexec_b64 s[18:19], s[16:17]
	s_cbranch_execnz .LBB218_205
	s_branch .LBB218_206
.LBB218_193:                            ;   in Loop: Header=BB218_190 Depth=2
	s_mov_b64 s[16:17], 0
                                        ; implicit-def: $sgpr25
                                        ; implicit-def: $vgpr14
                                        ; implicit-def: $vgpr15
                                        ; implicit-def: $vgpr16
                                        ; implicit-def: $vgpr17
                                        ; implicit-def: $vgpr18
                                        ; implicit-def: $vgpr19
                                        ; implicit-def: $vgpr20
                                        ; implicit-def: $vgpr0_vgpr1
.LBB218_194:                            ;   in Loop: Header=BB218_190 Depth=2
	s_add_u32 s23, s58, s22
	s_addc_u32 s24, s59, 0
	v_cmp_gt_u32_e32 vcc, s20, v2
	s_and_saveexec_b64 s[18:19], vcc
	s_cbranch_execz .LBB218_222
; %bb.195:                              ;   in Loop: Header=BB218_190 Depth=2
	v_mov_b32_e32 v1, s24
	v_add_co_u32_e32 v0, vcc, s23, v2
	v_addc_co_u32_e32 v1, vcc, 0, v1, vcc
	global_load_ubyte v5, v[0:1], off
	s_or_b64 exec, exec, s[18:19]
	v_cmp_gt_u32_e32 vcc, s20, v24
	s_and_saveexec_b64 s[18:19], vcc
	s_cbranch_execnz .LBB218_223
.LBB218_196:                            ;   in Loop: Header=BB218_190 Depth=2
	s_or_b64 exec, exec, s[18:19]
	v_cmp_gt_u32_e32 vcc, s20, v25
	s_and_saveexec_b64 s[18:19], vcc
	s_cbranch_execz .LBB218_224
.LBB218_197:                            ;   in Loop: Header=BB218_190 Depth=2
	v_mov_b32_e32 v1, s24
	v_add_co_u32_e32 v0, vcc, s23, v2
	v_addc_co_u32_e32 v1, vcc, 0, v1, vcc
	global_load_ubyte v7, v[0:1], off offset:512
	s_or_b64 exec, exec, s[18:19]
	v_cmp_gt_u32_e32 vcc, s20, v26
	s_and_saveexec_b64 s[18:19], vcc
	s_cbranch_execnz .LBB218_225
.LBB218_198:                            ;   in Loop: Header=BB218_190 Depth=2
	s_or_b64 exec, exec, s[18:19]
	v_cmp_gt_u32_e32 vcc, s20, v30
	s_and_saveexec_b64 s[18:19], vcc
	s_cbranch_execz .LBB218_226
.LBB218_199:                            ;   in Loop: Header=BB218_190 Depth=2
	v_mov_b32_e32 v1, s24
	v_add_co_u32_e32 v0, vcc, s23, v2
	v_addc_co_u32_e32 v1, vcc, 0, v1, vcc
	global_load_ubyte v9, v[0:1], off offset:1024
	s_or_b64 exec, exec, s[18:19]
	v_cmp_gt_u32_e32 vcc, s20, v31
	s_and_saveexec_b64 s[18:19], vcc
	s_cbranch_execnz .LBB218_227
.LBB218_200:                            ;   in Loop: Header=BB218_190 Depth=2
	s_or_b64 exec, exec, s[18:19]
	v_cmp_gt_u32_e32 vcc, s20, v32
	s_and_saveexec_b64 s[18:19], vcc
	s_cbranch_execz .LBB218_202
.LBB218_201:                            ;   in Loop: Header=BB218_190 Depth=2
	v_mov_b32_e32 v1, s24
	v_add_co_u32_e32 v0, vcc, s23, v2
	v_addc_co_u32_e32 v1, vcc, 0, v1, vcc
	global_load_ubyte v11, v[0:1], off offset:1536
.LBB218_202:                            ;   in Loop: Header=BB218_190 Depth=2
	s_or_b64 exec, exec, s[18:19]
	v_cmp_gt_u32_e32 vcc, s20, v33
                                        ; implicit-def: $sgpr25
                                        ; implicit-def: $vgpr0_vgpr1
	s_and_saveexec_b64 s[18:19], vcc
	s_cbranch_execz .LBB218_204
; %bb.203:                              ;   in Loop: Header=BB218_190 Depth=2
	v_mov_b32_e32 v0, s24
	v_add_co_u32_e32 v1, vcc, s23, v2
	s_waitcnt vmcnt(0)
	v_addc_co_u32_e32 v12, vcc, 0, v0, vcc
	v_add_co_u32_e32 v0, vcc, 0x700, v1
	s_sub_i32 s25, s76, s22
	v_addc_co_u32_e32 v1, vcc, 0, v12, vcc
	s_or_b64 s[16:17], s[16:17], exec
                                        ; implicit-def: $vgpr12
.LBB218_204:                            ;   in Loop: Header=BB218_190 Depth=2
	s_or_b64 exec, exec, s[18:19]
	s_waitcnt vmcnt(0)
	v_mov_b32_e32 v14, v5
	v_mov_b32_e32 v15, v6
	;; [unrolled: 1-line block ×8, first 2 shown]
	s_and_saveexec_b64 s[18:19], s[16:17]
	s_cbranch_execz .LBB218_206
.LBB218_205:                            ;   in Loop: Header=BB218_190 Depth=2
	global_load_ubyte v12, v[0:1], off
	v_mov_b32_e32 v13, s25
	s_waitcnt vmcnt(1)
	v_mov_b32_e32 v5, v14
	v_mov_b32_e32 v6, v15
	;; [unrolled: 1-line block ×7, first 2 shown]
.LBB218_206:                            ;   in Loop: Header=BB218_190 Depth=2
	s_or_b64 exec, exec, s[18:19]
	v_cmp_lt_u32_e32 vcc, v2, v13
	s_and_saveexec_b64 s[16:17], vcc
	s_cbranch_execz .LBB218_214
; %bb.207:                              ;   in Loop: Header=BB218_190 Depth=2
	v_lshrrev_b32_sdwa v0, s68, v5 dst_sel:DWORD dst_unused:UNUSED_PAD src0_sel:DWORD src1_sel:BYTE_0
	v_and_b32_e32 v0, s77, v0
	v_lshlrev_b32_e32 v1, 2, v27
	v_lshl_or_b32 v0, v0, 4, v1
	ds_add_u32 v0, v63
	s_or_b64 exec, exec, s[16:17]
	v_cmp_lt_u32_e32 vcc, v24, v13
	s_and_saveexec_b64 s[16:17], vcc
	s_cbranch_execnz .LBB218_215
.LBB218_208:                            ;   in Loop: Header=BB218_190 Depth=2
	s_or_b64 exec, exec, s[16:17]
	v_cmp_lt_u32_e32 vcc, v25, v13
	s_and_saveexec_b64 s[16:17], vcc
	s_cbranch_execz .LBB218_216
.LBB218_209:                            ;   in Loop: Header=BB218_190 Depth=2
	v_lshrrev_b32_sdwa v0, s68, v7 dst_sel:DWORD dst_unused:UNUSED_PAD src0_sel:DWORD src1_sel:BYTE_0
	v_and_b32_e32 v0, s77, v0
	v_lshlrev_b32_e32 v1, 2, v27
	v_lshl_or_b32 v0, v0, 4, v1
	ds_add_u32 v0, v63
	s_or_b64 exec, exec, s[16:17]
	v_cmp_lt_u32_e32 vcc, v26, v13
	s_and_saveexec_b64 s[16:17], vcc
	s_cbranch_execnz .LBB218_217
.LBB218_210:                            ;   in Loop: Header=BB218_190 Depth=2
	s_or_b64 exec, exec, s[16:17]
	v_cmp_lt_u32_e32 vcc, v30, v13
	s_and_saveexec_b64 s[16:17], vcc
	s_cbranch_execz .LBB218_218
.LBB218_211:                            ;   in Loop: Header=BB218_190 Depth=2
	v_lshrrev_b32_sdwa v0, s68, v9 dst_sel:DWORD dst_unused:UNUSED_PAD src0_sel:DWORD src1_sel:BYTE_0
	v_and_b32_e32 v0, s77, v0
	v_lshlrev_b32_e32 v1, 2, v27
	v_lshl_or_b32 v0, v0, 4, v1
	ds_add_u32 v0, v63
	s_or_b64 exec, exec, s[16:17]
	v_cmp_lt_u32_e32 vcc, v31, v13
	s_and_saveexec_b64 s[16:17], vcc
	s_cbranch_execnz .LBB218_219
.LBB218_212:                            ;   in Loop: Header=BB218_190 Depth=2
	s_or_b64 exec, exec, s[16:17]
	v_cmp_lt_u32_e32 vcc, v32, v13
	s_and_saveexec_b64 s[16:17], vcc
	s_cbranch_execz .LBB218_220
.LBB218_213:                            ;   in Loop: Header=BB218_190 Depth=2
	v_lshrrev_b32_sdwa v0, s68, v11 dst_sel:DWORD dst_unused:UNUSED_PAD src0_sel:DWORD src1_sel:BYTE_0
	v_and_b32_e32 v0, s77, v0
	v_lshlrev_b32_e32 v1, 2, v27
	v_lshl_or_b32 v0, v0, 4, v1
	ds_add_u32 v0, v63
	s_or_b64 exec, exec, s[16:17]
	v_cmp_lt_u32_e32 vcc, v33, v13
	s_and_saveexec_b64 s[16:17], vcc
	s_cbranch_execz .LBB218_189
	s_branch .LBB218_221
.LBB218_214:                            ;   in Loop: Header=BB218_190 Depth=2
	s_or_b64 exec, exec, s[16:17]
	v_cmp_lt_u32_e32 vcc, v24, v13
	s_and_saveexec_b64 s[16:17], vcc
	s_cbranch_execz .LBB218_208
.LBB218_215:                            ;   in Loop: Header=BB218_190 Depth=2
	v_lshrrev_b32_sdwa v0, s68, v6 dst_sel:DWORD dst_unused:UNUSED_PAD src0_sel:DWORD src1_sel:BYTE_0
	v_and_b32_e32 v0, s77, v0
	v_lshlrev_b32_e32 v1, 2, v27
	v_lshl_or_b32 v0, v0, 4, v1
	ds_add_u32 v0, v63
	s_or_b64 exec, exec, s[16:17]
	v_cmp_lt_u32_e32 vcc, v25, v13
	s_and_saveexec_b64 s[16:17], vcc
	s_cbranch_execnz .LBB218_209
.LBB218_216:                            ;   in Loop: Header=BB218_190 Depth=2
	s_or_b64 exec, exec, s[16:17]
	v_cmp_lt_u32_e32 vcc, v26, v13
	s_and_saveexec_b64 s[16:17], vcc
	s_cbranch_execz .LBB218_210
.LBB218_217:                            ;   in Loop: Header=BB218_190 Depth=2
	v_lshrrev_b32_sdwa v0, s68, v8 dst_sel:DWORD dst_unused:UNUSED_PAD src0_sel:DWORD src1_sel:BYTE_0
	v_and_b32_e32 v0, s77, v0
	v_lshlrev_b32_e32 v1, 2, v27
	v_lshl_or_b32 v0, v0, 4, v1
	ds_add_u32 v0, v63
	s_or_b64 exec, exec, s[16:17]
	v_cmp_lt_u32_e32 vcc, v30, v13
	s_and_saveexec_b64 s[16:17], vcc
	s_cbranch_execnz .LBB218_211
.LBB218_218:                            ;   in Loop: Header=BB218_190 Depth=2
	s_or_b64 exec, exec, s[16:17]
	v_cmp_lt_u32_e32 vcc, v31, v13
	s_and_saveexec_b64 s[16:17], vcc
	s_cbranch_execz .LBB218_212
.LBB218_219:                            ;   in Loop: Header=BB218_190 Depth=2
	v_lshrrev_b32_sdwa v0, s68, v10 dst_sel:DWORD dst_unused:UNUSED_PAD src0_sel:DWORD src1_sel:BYTE_0
	v_and_b32_e32 v0, s77, v0
	v_lshlrev_b32_e32 v1, 2, v27
	v_lshl_or_b32 v0, v0, 4, v1
	ds_add_u32 v0, v63
	s_or_b64 exec, exec, s[16:17]
	v_cmp_lt_u32_e32 vcc, v32, v13
	s_and_saveexec_b64 s[16:17], vcc
	s_cbranch_execnz .LBB218_213
.LBB218_220:                            ;   in Loop: Header=BB218_190 Depth=2
	s_or_b64 exec, exec, s[16:17]
	v_cmp_lt_u32_e32 vcc, v33, v13
	s_and_saveexec_b64 s[16:17], vcc
	s_cbranch_execz .LBB218_189
.LBB218_221:                            ;   in Loop: Header=BB218_190 Depth=2
	s_waitcnt vmcnt(0)
	v_lshrrev_b32_sdwa v0, s68, v12 dst_sel:DWORD dst_unused:UNUSED_PAD src0_sel:DWORD src1_sel:BYTE_0
	v_and_b32_e32 v0, s77, v0
	v_lshlrev_b32_e32 v1, 2, v27
	v_lshl_or_b32 v0, v0, 4, v1
	ds_add_u32 v0, v63
	s_branch .LBB218_189
.LBB218_222:                            ;   in Loop: Header=BB218_190 Depth=2
	s_or_b64 exec, exec, s[18:19]
	v_cmp_gt_u32_e32 vcc, s20, v24
	s_and_saveexec_b64 s[18:19], vcc
	s_cbranch_execz .LBB218_196
.LBB218_223:                            ;   in Loop: Header=BB218_190 Depth=2
	v_mov_b32_e32 v1, s24
	v_add_co_u32_e32 v0, vcc, s23, v2
	v_addc_co_u32_e32 v1, vcc, 0, v1, vcc
	global_load_ubyte v6, v[0:1], off offset:256
	s_or_b64 exec, exec, s[18:19]
	v_cmp_gt_u32_e32 vcc, s20, v25
	s_and_saveexec_b64 s[18:19], vcc
	s_cbranch_execnz .LBB218_197
.LBB218_224:                            ;   in Loop: Header=BB218_190 Depth=2
	s_or_b64 exec, exec, s[18:19]
	v_cmp_gt_u32_e32 vcc, s20, v26
	s_and_saveexec_b64 s[18:19], vcc
	s_cbranch_execz .LBB218_198
.LBB218_225:                            ;   in Loop: Header=BB218_190 Depth=2
	v_mov_b32_e32 v1, s24
	v_add_co_u32_e32 v0, vcc, s23, v2
	v_addc_co_u32_e32 v1, vcc, 0, v1, vcc
	global_load_ubyte v8, v[0:1], off offset:768
	s_or_b64 exec, exec, s[18:19]
	v_cmp_gt_u32_e32 vcc, s20, v30
	s_and_saveexec_b64 s[18:19], vcc
	s_cbranch_execnz .LBB218_199
.LBB218_226:                            ;   in Loop: Header=BB218_190 Depth=2
	s_or_b64 exec, exec, s[18:19]
	v_cmp_gt_u32_e32 vcc, s20, v31
	s_and_saveexec_b64 s[18:19], vcc
	s_cbranch_execz .LBB218_200
.LBB218_227:                            ;   in Loop: Header=BB218_190 Depth=2
	v_mov_b32_e32 v1, s24
	v_add_co_u32_e32 v0, vcc, s23, v2
	v_addc_co_u32_e32 v1, vcc, 0, v1, vcc
	global_load_ubyte v10, v[0:1], off offset:1280
	s_or_b64 exec, exec, s[18:19]
	v_cmp_gt_u32_e32 vcc, s20, v32
	s_and_saveexec_b64 s[18:19], vcc
	s_cbranch_execz .LBB218_202
	s_branch .LBB218_201
.LBB218_228:                            ;   in Loop: Header=BB218_20 Depth=1
	v_mov_b32_e32 v0, 0
	s_waitcnt lgkmcnt(0)
	s_barrier
	s_and_saveexec_b64 s[16:17], s[4:5]
	s_cbranch_execz .LBB218_230
; %bb.229:                              ;   in Loop: Header=BB218_20 Depth=1
	ds_read2_b64 v[6:9], v34 offset1:1
	s_waitcnt lgkmcnt(0)
	v_add_u32_e32 v0, v7, v6
	v_add3_u32 v0, v0, v8, v9
.LBB218_230:                            ;   in Loop: Header=BB218_20 Depth=1
	s_or_b64 exec, exec, s[16:17]
	v_and_b32_e32 v1, 15, v64
	v_mov_b32_dpp v5, v0 row_shr:1 row_mask:0xf bank_mask:0xf
	v_cmp_eq_u32_e64 s[16:17], 0, v1
	v_cndmask_b32_e64 v5, v5, 0, s[16:17]
	v_add_u32_e32 v0, v5, v0
	v_cmp_lt_u32_e64 s[18:19], 1, v1
	v_cmp_lt_u32_e64 s[20:21], 3, v1
	v_mov_b32_dpp v5, v0 row_shr:2 row_mask:0xf bank_mask:0xf
	v_cndmask_b32_e64 v5, 0, v5, s[18:19]
	v_add_u32_e32 v0, v0, v5
	v_cmp_lt_u32_e64 s[22:23], 7, v1
	v_cmp_lt_u32_e64 s[26:27], 31, v64
	v_mov_b32_dpp v5, v0 row_shr:4 row_mask:0xf bank_mask:0xf
	v_cndmask_b32_e64 v5, 0, v5, s[20:21]
	v_add_u32_e32 v0, v0, v5
	v_and_b32_e32 v6, 16, v64
	v_cmp_eq_u32_e64 s[24:25], 0, v6
	v_mov_b32_dpp v5, v0 row_shr:8 row_mask:0xf bank_mask:0xf
	v_cndmask_b32_e64 v1, 0, v5, s[22:23]
	v_add_u32_e32 v0, v0, v1
	v_bfe_i32 v5, v64, 4, 1
	s_nop 0
	v_mov_b32_dpp v1, v0 row_bcast:15 row_mask:0xf bank_mask:0xf
	v_and_b32_e32 v1, v5, v1
	v_add_u32_e32 v0, v0, v1
	s_nop 1
	v_mov_b32_dpp v1, v0 row_bcast:31 row_mask:0xf bank_mask:0xf
	v_cndmask_b32_e64 v1, 0, v1, s[26:27]
	v_add_u32_e32 v1, v0, v1
	s_and_saveexec_b64 s[28:29], s[6:7]
	s_cbranch_execz .LBB218_232
; %bb.231:                              ;   in Loop: Header=BB218_20 Depth=1
	ds_write_b32 v36, v1
.LBB218_232:                            ;   in Loop: Header=BB218_20 Depth=1
	s_or_b64 exec, exec, s[28:29]
	v_and_b32_e32 v0, 3, v64
	s_waitcnt lgkmcnt(0)
	s_barrier
	s_and_saveexec_b64 s[28:29], s[8:9]
	s_cbranch_execz .LBB218_234
; %bb.233:                              ;   in Loop: Header=BB218_20 Depth=1
	ds_read_b32 v5, v37
	v_cmp_ne_u32_e32 vcc, 0, v0
	s_waitcnt lgkmcnt(0)
	v_mov_b32_dpp v6, v5 row_shr:1 row_mask:0xf bank_mask:0xf
	v_cndmask_b32_e32 v6, 0, v6, vcc
	v_add_u32_e32 v5, v6, v5
	v_cmp_lt_u32_e32 vcc, 1, v0
	s_nop 0
	v_mov_b32_dpp v6, v5 row_shr:2 row_mask:0xf bank_mask:0xf
	v_cndmask_b32_e32 v6, 0, v6, vcc
	v_add_u32_e32 v5, v5, v6
	ds_write_b32 v37, v5
.LBB218_234:                            ;   in Loop: Header=BB218_20 Depth=1
	s_or_b64 exec, exec, s[28:29]
	v_mov_b32_e32 v5, 0
	s_waitcnt lgkmcnt(0)
	s_barrier
	s_and_saveexec_b64 s[28:29], s[10:11]
	s_cbranch_execz .LBB218_236
; %bb.235:                              ;   in Loop: Header=BB218_20 Depth=1
	ds_read_b32 v5, v38
.LBB218_236:                            ;   in Loop: Header=BB218_20 Depth=1
	s_or_b64 exec, exec, s[28:29]
	v_add_u32_e32 v6, -1, v64
	v_and_b32_e32 v7, 64, v64
	v_cmp_lt_i32_e32 vcc, v6, v7
	v_cndmask_b32_e32 v6, v6, v64, vcc
	s_waitcnt lgkmcnt(0)
	v_add_u32_e32 v1, v5, v1
	v_lshlrev_b32_e32 v65, 2, v6
	ds_bpermute_b32 v1, v65, v1
	v_cmp_eq_u32_e64 s[28:29], 0, v64
	s_waitcnt lgkmcnt(0)
	s_barrier
	s_and_saveexec_b64 s[30:31], s[4:5]
	s_cbranch_execz .LBB218_238
; %bb.237:                              ;   in Loop: Header=BB218_20 Depth=1
	v_cndmask_b32_e64 v1, v1, v5, s[28:29]
	v_add_u32_e32 v1, s51, v1
	ds_write_b32 v3, v1
.LBB218_238:                            ;   in Loop: Header=BB218_20 Depth=1
	s_or_b64 exec, exec, s[30:31]
	s_load_dwordx2 s[30:31], s[74:75], 0x0
	v_and_b32_e32 v21, 63, v64
	v_add_co_u32_e32 v74, vcc, v55, v21
	v_lshlrev_b32_e32 v22, 3, v21
	s_waitcnt lgkmcnt(0)
	s_cmp_lt_u32 s50, s30
	s_cselect_b32 s34, 12, 18
	s_cmp_lt_u32 s33, s31
	s_cselect_b32 s30, 14, 20
	s_add_u32 s30, s74, s30
	s_addc_u32 s31, s75, 0
	s_add_u32 s34, s74, s34
	global_load_ushort v5, v4, s[30:31]
	s_addc_u32 s35, s75, 0
	global_load_ushort v20, v4, s[34:35]
	v_addc_co_u32_e32 v76, vcc, 0, v56, vcc
	v_add_co_u32_e32 v77, vcc, v53, v22
	v_addc_co_u32_e32 v78, vcc, 0, v54, vcc
	v_or_b32_e32 v72, v21, v39
	v_add_co_u32_e32 v86, vcc, 0x1c0, v74
	v_cmp_eq_u32_e64 s[30:31], 0, v0
	v_cmp_lt_u32_e64 s[34:35], 1, v0
	s_mov_b32 s78, s71
	v_or_b32_e32 v79, 64, v72
	v_or_b32_e32 v80, 0x80, v72
	;; [unrolled: 1-line block ×7, first 2 shown]
	v_addc_co_u32_e32 v87, vcc, 0, v76, vcc
	s_mov_b32 s72, s51
                                        ; implicit-def: $vgpr0_vgpr1
                                        ; implicit-def: $vgpr6_vgpr7
                                        ; implicit-def: $vgpr8_vgpr9
                                        ; implicit-def: $vgpr10_vgpr11
                                        ; implicit-def: $vgpr12_vgpr13
                                        ; implicit-def: $vgpr14_vgpr15
                                        ; implicit-def: $vgpr16_vgpr17
                                        ; implicit-def: $vgpr18_vgpr19
                                        ; implicit-def: $vgpr66
                                        ; implicit-def: $vgpr67
                                        ; implicit-def: $vgpr68
                                        ; implicit-def: $vgpr69
                                        ; implicit-def: $vgpr70
                                        ; implicit-def: $vgpr71
                                        ; implicit-def: $vgpr73
                                        ; implicit-def: $vgpr75
	s_waitcnt vmcnt(1)
	v_mad_u32_u24 v5, v40, v5, v41
	s_waitcnt vmcnt(0)
	v_mad_u64_u32 v[20:21], s[36:37], v5, v20, v[2:3]
	v_lshrrev_b32_e32 v88, 6, v20
	s_branch .LBB218_240
.LBB218_239:                            ;   in Loop: Header=BB218_240 Depth=2
	s_or_b64 exec, exec, s[36:37]
	s_addk_i32 s78, 0xf800
	s_cmp_lt_u32 s79, s76
	s_mov_b32 s72, s79
	s_cbranch_scc0 .LBB218_352
.LBB218_240:                            ;   Parent Loop BB218_20 Depth=1
                                        ; =>  This Inner Loop Header: Depth=2
	s_add_i32 s79, s72, 0x800
	s_cmp_gt_u32 s79, s76
	s_cbranch_scc1 .LBB218_243
; %bb.241:                              ;   in Loop: Header=BB218_240 Depth=2
	v_add_co_u32_e32 v20, vcc, s72, v74
	v_addc_co_u32_e32 v21, vcc, 0, v76, vcc
	global_load_ubyte v90, v[20:21], off
	global_load_ubyte v91, v[20:21], off offset:64
	global_load_ubyte v92, v[20:21], off offset:128
	;; [unrolled: 1-line block ×6, first 2 shown]
	s_mov_b64 s[36:37], -1
	s_movk_i32 s40, 0x800
	s_cbranch_execz .LBB218_244
; %bb.242:                              ;   in Loop: Header=BB218_240 Depth=2
                                        ; implicit-def: $sgpr38
	v_mov_b32_e32 v97, s38
	v_mov_b32_e32 v89, s78
	s_and_saveexec_b64 s[38:39], s[36:37]
	s_cbranch_execnz .LBB218_259
	s_branch .LBB218_260
.LBB218_243:                            ;   in Loop: Header=BB218_240 Depth=2
	s_mov_b64 s[36:37], 0
                                        ; implicit-def: $sgpr40
                                        ; implicit-def: $vgpr90
                                        ; implicit-def: $vgpr91
                                        ; implicit-def: $vgpr92
                                        ; implicit-def: $vgpr93
                                        ; implicit-def: $vgpr94
                                        ; implicit-def: $vgpr95
                                        ; implicit-def: $vgpr96
.LBB218_244:                            ;   in Loop: Header=BB218_240 Depth=2
	v_add_co_u32_e32 v20, vcc, s72, v74
	v_addc_co_u32_e32 v21, vcc, 0, v76, vcc
	v_cmp_gt_u32_e32 vcc, s78, v72
	s_waitcnt vmcnt(5)
	v_mov_b32_e32 v91, 0xff
	v_mov_b32_e32 v90, 0xff
	s_and_saveexec_b64 s[36:37], vcc
	s_cbranch_execz .LBB218_246
; %bb.245:                              ;   in Loop: Header=BB218_240 Depth=2
	global_load_ubyte v90, v[20:21], off
.LBB218_246:                            ;   in Loop: Header=BB218_240 Depth=2
	s_or_b64 exec, exec, s[36:37]
	v_cmp_gt_u32_e32 vcc, s78, v79
	s_and_saveexec_b64 s[36:37], vcc
	s_cbranch_execz .LBB218_248
; %bb.247:                              ;   in Loop: Header=BB218_240 Depth=2
	global_load_ubyte v91, v[20:21], off offset:64
.LBB218_248:                            ;   in Loop: Header=BB218_240 Depth=2
	s_or_b64 exec, exec, s[36:37]
	v_cmp_gt_u32_e32 vcc, s78, v80
	s_waitcnt vmcnt(3)
	v_mov_b32_e32 v93, 0xff
	v_mov_b32_e32 v92, 0xff
	s_and_saveexec_b64 s[36:37], vcc
	s_cbranch_execz .LBB218_250
; %bb.249:                              ;   in Loop: Header=BB218_240 Depth=2
	global_load_ubyte v92, v[20:21], off offset:128
.LBB218_250:                            ;   in Loop: Header=BB218_240 Depth=2
	s_or_b64 exec, exec, s[36:37]
	v_cmp_gt_u32_e32 vcc, s78, v81
	s_and_saveexec_b64 s[36:37], vcc
	s_cbranch_execz .LBB218_252
; %bb.251:                              ;   in Loop: Header=BB218_240 Depth=2
	global_load_ubyte v93, v[20:21], off offset:192
.LBB218_252:                            ;   in Loop: Header=BB218_240 Depth=2
	s_or_b64 exec, exec, s[36:37]
	v_cmp_gt_u32_e32 vcc, s78, v82
	s_waitcnt vmcnt(1)
	v_mov_b32_e32 v95, 0xff
	v_mov_b32_e32 v94, 0xff
	s_and_saveexec_b64 s[36:37], vcc
	s_cbranch_execz .LBB218_254
; %bb.253:                              ;   in Loop: Header=BB218_240 Depth=2
	global_load_ubyte v94, v[20:21], off offset:256
.LBB218_254:                            ;   in Loop: Header=BB218_240 Depth=2
	s_or_b64 exec, exec, s[36:37]
	v_cmp_gt_u32_e32 vcc, s78, v83
	s_and_saveexec_b64 s[36:37], vcc
	s_cbranch_execz .LBB218_256
; %bb.255:                              ;   in Loop: Header=BB218_240 Depth=2
	global_load_ubyte v95, v[20:21], off offset:320
.LBB218_256:                            ;   in Loop: Header=BB218_240 Depth=2
	s_or_b64 exec, exec, s[36:37]
	v_cmp_gt_u32_e32 vcc, s78, v84
	s_waitcnt vmcnt(0)
	v_mov_b32_e32 v96, 0xff
	s_and_saveexec_b64 s[36:37], vcc
	s_cbranch_execz .LBB218_258
; %bb.257:                              ;   in Loop: Header=BB218_240 Depth=2
	global_load_ubyte v96, v[20:21], off offset:384
.LBB218_258:                            ;   in Loop: Header=BB218_240 Depth=2
	s_or_b64 exec, exec, s[36:37]
	s_sub_i32 s40, s76, s72
	v_cmp_gt_u32_e64 s[36:37], s78, v85
	s_movk_i32 s38, 0xff
	v_mov_b32_e32 v97, s38
	v_mov_b32_e32 v89, s78
	s_and_saveexec_b64 s[38:39], s[36:37]
	s_cbranch_execz .LBB218_260
.LBB218_259:                            ;   in Loop: Header=BB218_240 Depth=2
	v_mov_b32_e32 v5, s73
	v_add_co_u32_e32 v20, vcc, s72, v86
	v_addc_co_u32_e32 v21, vcc, v87, v5, vcc
	global_load_ubyte v97, v[20:21], off
	v_mov_b32_e32 v89, s40
.LBB218_260:                            ;   in Loop: Header=BB218_240 Depth=2
	s_or_b64 exec, exec, s[38:39]
	v_add_u32_e32 v5, 0x410, v42
	ds_write2_b32 v5, v4, v4 offset1:1
	ds_write2_b32 v44, v4, v4 offset0:2 offset1:3
	ds_write_b32 v44, v4 offset:16
	s_waitcnt vmcnt(6)
	v_lshrrev_b32_sdwa v5, s68, v90 dst_sel:DWORD dst_unused:UNUSED_PAD src0_sel:DWORD src1_sel:BYTE_0
	v_and_b32_e32 v20, s77, v5
	v_mad_u32_u24 v5, v20, 5, v88
	v_lshl_add_u32 v98, v5, 2, v43
	v_and_b32_e32 v5, 1, v20
	v_add_co_u32_e32 v21, vcc, -1, v5
	v_addc_co_u32_e64 v22, s[36:37], 0, -1, vcc
	v_cmp_ne_u32_e32 vcc, 0, v5
	v_xor_b32_e32 v5, vcc_hi, v22
	v_and_b32_e32 v22, exec_hi, v5
	v_lshlrev_b32_e32 v5, 30, v20
	v_xor_b32_e32 v21, vcc_lo, v21
	v_cmp_gt_i64_e32 vcc, 0, v[4:5]
	v_not_b32_e32 v5, v5
	v_ashrrev_i32_e32 v5, 31, v5
	v_and_b32_e32 v21, exec_lo, v21
	v_xor_b32_e32 v23, vcc_hi, v5
	v_xor_b32_e32 v5, vcc_lo, v5
	v_and_b32_e32 v21, v21, v5
	v_lshlrev_b32_e32 v5, 29, v20
	v_cmp_gt_i64_e32 vcc, 0, v[4:5]
	v_not_b32_e32 v5, v5
	v_ashrrev_i32_e32 v5, 31, v5
	v_and_b32_e32 v22, v22, v23
	v_xor_b32_e32 v23, vcc_hi, v5
	v_xor_b32_e32 v5, vcc_lo, v5
	v_and_b32_e32 v21, v21, v5
	v_lshlrev_b32_e32 v5, 28, v20
	v_cmp_gt_i64_e32 vcc, 0, v[4:5]
	v_not_b32_e32 v5, v5
	v_ashrrev_i32_e32 v5, 31, v5
	v_and_b32_e32 v22, v22, v23
	v_xor_b32_e32 v23, vcc_hi, v5
	v_xor_b32_e32 v5, vcc_lo, v5
	v_and_b32_e32 v21, v21, v5
	v_lshlrev_b32_e32 v5, 27, v20
	v_cmp_gt_i64_e32 vcc, 0, v[4:5]
	v_not_b32_e32 v5, v5
	v_ashrrev_i32_e32 v5, 31, v5
	v_and_b32_e32 v22, v22, v23
	v_xor_b32_e32 v23, vcc_hi, v5
	v_xor_b32_e32 v5, vcc_lo, v5
	v_and_b32_e32 v21, v21, v5
	v_lshlrev_b32_e32 v5, 26, v20
	v_cmp_gt_i64_e32 vcc, 0, v[4:5]
	v_not_b32_e32 v5, v5
	v_ashrrev_i32_e32 v5, 31, v5
	v_and_b32_e32 v22, v22, v23
	v_xor_b32_e32 v23, vcc_hi, v5
	v_xor_b32_e32 v5, vcc_lo, v5
	v_and_b32_e32 v21, v21, v5
	v_lshlrev_b32_e32 v5, 25, v20
	v_cmp_gt_i64_e32 vcc, 0, v[4:5]
	v_not_b32_e32 v5, v5
	v_ashrrev_i32_e32 v5, 31, v5
	v_and_b32_e32 v22, v22, v23
	v_xor_b32_e32 v23, vcc_hi, v5
	v_xor_b32_e32 v5, vcc_lo, v5
	v_and_b32_e32 v22, v22, v23
	v_and_b32_e32 v23, v21, v5
	v_lshlrev_b32_e32 v5, 24, v20
	v_cmp_gt_i64_e32 vcc, 0, v[4:5]
	v_not_b32_e32 v5, v5
	v_ashrrev_i32_e32 v5, 31, v5
	v_xor_b32_e32 v20, vcc_hi, v5
	v_xor_b32_e32 v5, vcc_lo, v5
	v_and_b32_e32 v21, v22, v20
	v_and_b32_e32 v20, v23, v5
	v_mbcnt_lo_u32_b32 v5, v20, 0
	v_mbcnt_hi_u32_b32 v99, v21, v5
	v_cmp_eq_u32_e32 vcc, 0, v99
	v_cmp_ne_u64_e64 s[36:37], 0, v[20:21]
	s_and_b64 s[38:39], s[36:37], vcc
	s_waitcnt lgkmcnt(0)
	s_barrier
	s_waitcnt lgkmcnt(0)
	; wave barrier
	s_and_saveexec_b64 s[36:37], s[38:39]
	s_cbranch_execz .LBB218_262
; %bb.261:                              ;   in Loop: Header=BB218_240 Depth=2
	v_bcnt_u32_b32 v5, v20, 0
	v_bcnt_u32_b32 v5, v21, v5
	ds_write_b32 v98, v5
.LBB218_262:                            ;   in Loop: Header=BB218_240 Depth=2
	s_or_b64 exec, exec, s[36:37]
	s_waitcnt vmcnt(5)
	v_lshrrev_b32_sdwa v5, s68, v91 dst_sel:DWORD dst_unused:UNUSED_PAD src0_sel:DWORD src1_sel:BYTE_0
	v_and_b32_e32 v20, s77, v5
	v_mul_u32_u24_e32 v5, 5, v20
	v_add_lshl_u32 v5, v5, v88, 2
	; wave barrier
	v_add_u32_e32 v101, 0x410, v5
	ds_read_b32 v100, v5 offset:1040
	v_and_b32_e32 v5, 1, v20
	v_add_co_u32_e32 v21, vcc, -1, v5
	v_addc_co_u32_e64 v22, s[36:37], 0, -1, vcc
	v_cmp_ne_u32_e32 vcc, 0, v5
	v_xor_b32_e32 v5, vcc_hi, v22
	v_and_b32_e32 v22, exec_hi, v5
	v_lshlrev_b32_e32 v5, 30, v20
	v_xor_b32_e32 v21, vcc_lo, v21
	v_cmp_gt_i64_e32 vcc, 0, v[4:5]
	v_not_b32_e32 v5, v5
	v_ashrrev_i32_e32 v5, 31, v5
	v_and_b32_e32 v21, exec_lo, v21
	v_xor_b32_e32 v23, vcc_hi, v5
	v_xor_b32_e32 v5, vcc_lo, v5
	v_and_b32_e32 v21, v21, v5
	v_lshlrev_b32_e32 v5, 29, v20
	v_cmp_gt_i64_e32 vcc, 0, v[4:5]
	v_not_b32_e32 v5, v5
	v_ashrrev_i32_e32 v5, 31, v5
	v_and_b32_e32 v22, v22, v23
	v_xor_b32_e32 v23, vcc_hi, v5
	v_xor_b32_e32 v5, vcc_lo, v5
	v_and_b32_e32 v21, v21, v5
	v_lshlrev_b32_e32 v5, 28, v20
	v_cmp_gt_i64_e32 vcc, 0, v[4:5]
	v_not_b32_e32 v5, v5
	v_ashrrev_i32_e32 v5, 31, v5
	v_and_b32_e32 v22, v22, v23
	;; [unrolled: 8-line block ×5, first 2 shown]
	v_xor_b32_e32 v23, vcc_hi, v5
	v_xor_b32_e32 v5, vcc_lo, v5
	v_and_b32_e32 v22, v22, v23
	v_and_b32_e32 v23, v21, v5
	v_lshlrev_b32_e32 v5, 24, v20
	v_cmp_gt_i64_e32 vcc, 0, v[4:5]
	v_not_b32_e32 v5, v5
	v_ashrrev_i32_e32 v5, 31, v5
	v_xor_b32_e32 v20, vcc_hi, v5
	v_xor_b32_e32 v5, vcc_lo, v5
	v_and_b32_e32 v21, v22, v20
	v_and_b32_e32 v20, v23, v5
	v_mbcnt_lo_u32_b32 v5, v20, 0
	v_mbcnt_hi_u32_b32 v102, v21, v5
	v_cmp_eq_u32_e32 vcc, 0, v102
	v_cmp_ne_u64_e64 s[36:37], 0, v[20:21]
	s_and_b64 s[38:39], s[36:37], vcc
	; wave barrier
	s_and_saveexec_b64 s[36:37], s[38:39]
	s_cbranch_execz .LBB218_264
; %bb.263:                              ;   in Loop: Header=BB218_240 Depth=2
	v_bcnt_u32_b32 v5, v20, 0
	v_bcnt_u32_b32 v5, v21, v5
	s_waitcnt lgkmcnt(0)
	v_add_u32_e32 v5, v100, v5
	ds_write_b32 v101, v5
.LBB218_264:                            ;   in Loop: Header=BB218_240 Depth=2
	s_or_b64 exec, exec, s[36:37]
	s_waitcnt vmcnt(4)
	v_lshrrev_b32_sdwa v5, s68, v92 dst_sel:DWORD dst_unused:UNUSED_PAD src0_sel:DWORD src1_sel:BYTE_0
	v_and_b32_e32 v20, s77, v5
	v_mul_u32_u24_e32 v5, 5, v20
	v_add_lshl_u32 v5, v5, v88, 2
	; wave barrier
	v_add_u32_e32 v104, 0x410, v5
	ds_read_b32 v103, v5 offset:1040
	v_and_b32_e32 v5, 1, v20
	v_add_co_u32_e32 v21, vcc, -1, v5
	v_addc_co_u32_e64 v22, s[36:37], 0, -1, vcc
	v_cmp_ne_u32_e32 vcc, 0, v5
	v_xor_b32_e32 v5, vcc_hi, v22
	v_and_b32_e32 v22, exec_hi, v5
	v_lshlrev_b32_e32 v5, 30, v20
	v_xor_b32_e32 v21, vcc_lo, v21
	v_cmp_gt_i64_e32 vcc, 0, v[4:5]
	v_not_b32_e32 v5, v5
	v_ashrrev_i32_e32 v5, 31, v5
	v_and_b32_e32 v21, exec_lo, v21
	v_xor_b32_e32 v23, vcc_hi, v5
	v_xor_b32_e32 v5, vcc_lo, v5
	v_and_b32_e32 v21, v21, v5
	v_lshlrev_b32_e32 v5, 29, v20
	v_cmp_gt_i64_e32 vcc, 0, v[4:5]
	v_not_b32_e32 v5, v5
	v_ashrrev_i32_e32 v5, 31, v5
	v_and_b32_e32 v22, v22, v23
	v_xor_b32_e32 v23, vcc_hi, v5
	v_xor_b32_e32 v5, vcc_lo, v5
	v_and_b32_e32 v21, v21, v5
	v_lshlrev_b32_e32 v5, 28, v20
	v_cmp_gt_i64_e32 vcc, 0, v[4:5]
	v_not_b32_e32 v5, v5
	v_ashrrev_i32_e32 v5, 31, v5
	v_and_b32_e32 v22, v22, v23
	;; [unrolled: 8-line block ×5, first 2 shown]
	v_xor_b32_e32 v23, vcc_hi, v5
	v_xor_b32_e32 v5, vcc_lo, v5
	v_and_b32_e32 v22, v22, v23
	v_and_b32_e32 v23, v21, v5
	v_lshlrev_b32_e32 v5, 24, v20
	v_cmp_gt_i64_e32 vcc, 0, v[4:5]
	v_not_b32_e32 v5, v5
	v_ashrrev_i32_e32 v5, 31, v5
	v_xor_b32_e32 v20, vcc_hi, v5
	v_xor_b32_e32 v5, vcc_lo, v5
	v_and_b32_e32 v21, v22, v20
	v_and_b32_e32 v20, v23, v5
	v_mbcnt_lo_u32_b32 v5, v20, 0
	v_mbcnt_hi_u32_b32 v105, v21, v5
	v_cmp_eq_u32_e32 vcc, 0, v105
	v_cmp_ne_u64_e64 s[36:37], 0, v[20:21]
	s_and_b64 s[38:39], s[36:37], vcc
	; wave barrier
	s_and_saveexec_b64 s[36:37], s[38:39]
	s_cbranch_execz .LBB218_266
; %bb.265:                              ;   in Loop: Header=BB218_240 Depth=2
	v_bcnt_u32_b32 v5, v20, 0
	v_bcnt_u32_b32 v5, v21, v5
	s_waitcnt lgkmcnt(0)
	v_add_u32_e32 v5, v103, v5
	ds_write_b32 v104, v5
.LBB218_266:                            ;   in Loop: Header=BB218_240 Depth=2
	s_or_b64 exec, exec, s[36:37]
	s_waitcnt vmcnt(3)
	v_lshrrev_b32_sdwa v5, s68, v93 dst_sel:DWORD dst_unused:UNUSED_PAD src0_sel:DWORD src1_sel:BYTE_0
	v_and_b32_e32 v20, s77, v5
	v_mul_u32_u24_e32 v5, 5, v20
	v_add_lshl_u32 v5, v5, v88, 2
	; wave barrier
	v_add_u32_e32 v107, 0x410, v5
	ds_read_b32 v106, v5 offset:1040
	v_and_b32_e32 v5, 1, v20
	v_add_co_u32_e32 v21, vcc, -1, v5
	v_addc_co_u32_e64 v22, s[36:37], 0, -1, vcc
	v_cmp_ne_u32_e32 vcc, 0, v5
	v_xor_b32_e32 v5, vcc_hi, v22
	v_and_b32_e32 v22, exec_hi, v5
	v_lshlrev_b32_e32 v5, 30, v20
	v_xor_b32_e32 v21, vcc_lo, v21
	v_cmp_gt_i64_e32 vcc, 0, v[4:5]
	v_not_b32_e32 v5, v5
	v_ashrrev_i32_e32 v5, 31, v5
	v_and_b32_e32 v21, exec_lo, v21
	v_xor_b32_e32 v23, vcc_hi, v5
	v_xor_b32_e32 v5, vcc_lo, v5
	v_and_b32_e32 v21, v21, v5
	v_lshlrev_b32_e32 v5, 29, v20
	v_cmp_gt_i64_e32 vcc, 0, v[4:5]
	v_not_b32_e32 v5, v5
	v_ashrrev_i32_e32 v5, 31, v5
	v_and_b32_e32 v22, v22, v23
	v_xor_b32_e32 v23, vcc_hi, v5
	v_xor_b32_e32 v5, vcc_lo, v5
	v_and_b32_e32 v21, v21, v5
	v_lshlrev_b32_e32 v5, 28, v20
	v_cmp_gt_i64_e32 vcc, 0, v[4:5]
	v_not_b32_e32 v5, v5
	v_ashrrev_i32_e32 v5, 31, v5
	v_and_b32_e32 v22, v22, v23
	;; [unrolled: 8-line block ×5, first 2 shown]
	v_xor_b32_e32 v23, vcc_hi, v5
	v_xor_b32_e32 v5, vcc_lo, v5
	v_and_b32_e32 v22, v22, v23
	v_and_b32_e32 v23, v21, v5
	v_lshlrev_b32_e32 v5, 24, v20
	v_cmp_gt_i64_e32 vcc, 0, v[4:5]
	v_not_b32_e32 v5, v5
	v_ashrrev_i32_e32 v5, 31, v5
	v_xor_b32_e32 v20, vcc_hi, v5
	v_xor_b32_e32 v5, vcc_lo, v5
	v_and_b32_e32 v21, v22, v20
	v_and_b32_e32 v20, v23, v5
	v_mbcnt_lo_u32_b32 v5, v20, 0
	v_mbcnt_hi_u32_b32 v108, v21, v5
	v_cmp_eq_u32_e32 vcc, 0, v108
	v_cmp_ne_u64_e64 s[36:37], 0, v[20:21]
	s_and_b64 s[38:39], s[36:37], vcc
	; wave barrier
	s_and_saveexec_b64 s[36:37], s[38:39]
	s_cbranch_execz .LBB218_268
; %bb.267:                              ;   in Loop: Header=BB218_240 Depth=2
	v_bcnt_u32_b32 v5, v20, 0
	v_bcnt_u32_b32 v5, v21, v5
	s_waitcnt lgkmcnt(0)
	v_add_u32_e32 v5, v106, v5
	ds_write_b32 v107, v5
.LBB218_268:                            ;   in Loop: Header=BB218_240 Depth=2
	s_or_b64 exec, exec, s[36:37]
	s_waitcnt vmcnt(2)
	v_lshrrev_b32_sdwa v5, s68, v94 dst_sel:DWORD dst_unused:UNUSED_PAD src0_sel:DWORD src1_sel:BYTE_0
	v_and_b32_e32 v20, s77, v5
	v_mul_u32_u24_e32 v5, 5, v20
	v_add_lshl_u32 v5, v5, v88, 2
	; wave barrier
	v_add_u32_e32 v110, 0x410, v5
	ds_read_b32 v109, v5 offset:1040
	v_and_b32_e32 v5, 1, v20
	v_add_co_u32_e32 v21, vcc, -1, v5
	v_addc_co_u32_e64 v22, s[36:37], 0, -1, vcc
	v_cmp_ne_u32_e32 vcc, 0, v5
	v_xor_b32_e32 v5, vcc_hi, v22
	v_and_b32_e32 v22, exec_hi, v5
	v_lshlrev_b32_e32 v5, 30, v20
	v_xor_b32_e32 v21, vcc_lo, v21
	v_cmp_gt_i64_e32 vcc, 0, v[4:5]
	v_not_b32_e32 v5, v5
	v_ashrrev_i32_e32 v5, 31, v5
	v_and_b32_e32 v21, exec_lo, v21
	v_xor_b32_e32 v23, vcc_hi, v5
	v_xor_b32_e32 v5, vcc_lo, v5
	v_and_b32_e32 v21, v21, v5
	v_lshlrev_b32_e32 v5, 29, v20
	v_cmp_gt_i64_e32 vcc, 0, v[4:5]
	v_not_b32_e32 v5, v5
	v_ashrrev_i32_e32 v5, 31, v5
	v_and_b32_e32 v22, v22, v23
	v_xor_b32_e32 v23, vcc_hi, v5
	v_xor_b32_e32 v5, vcc_lo, v5
	v_and_b32_e32 v21, v21, v5
	v_lshlrev_b32_e32 v5, 28, v20
	v_cmp_gt_i64_e32 vcc, 0, v[4:5]
	v_not_b32_e32 v5, v5
	v_ashrrev_i32_e32 v5, 31, v5
	v_and_b32_e32 v22, v22, v23
	v_xor_b32_e32 v23, vcc_hi, v5
	v_xor_b32_e32 v5, vcc_lo, v5
	v_and_b32_e32 v21, v21, v5
	v_lshlrev_b32_e32 v5, 27, v20
	v_cmp_gt_i64_e32 vcc, 0, v[4:5]
	v_not_b32_e32 v5, v5
	v_ashrrev_i32_e32 v5, 31, v5
	v_and_b32_e32 v22, v22, v23
	v_xor_b32_e32 v23, vcc_hi, v5
	v_xor_b32_e32 v5, vcc_lo, v5
	v_and_b32_e32 v21, v21, v5
	v_lshlrev_b32_e32 v5, 26, v20
	v_cmp_gt_i64_e32 vcc, 0, v[4:5]
	v_not_b32_e32 v5, v5
	v_ashrrev_i32_e32 v5, 31, v5
	v_and_b32_e32 v22, v22, v23
	v_xor_b32_e32 v23, vcc_hi, v5
	v_xor_b32_e32 v5, vcc_lo, v5
	v_and_b32_e32 v21, v21, v5
	v_lshlrev_b32_e32 v5, 25, v20
	v_cmp_gt_i64_e32 vcc, 0, v[4:5]
	v_not_b32_e32 v5, v5
	v_ashrrev_i32_e32 v5, 31, v5
	v_and_b32_e32 v22, v22, v23
	v_xor_b32_e32 v23, vcc_hi, v5
	v_xor_b32_e32 v5, vcc_lo, v5
	v_and_b32_e32 v22, v22, v23
	v_and_b32_e32 v23, v21, v5
	v_lshlrev_b32_e32 v5, 24, v20
	v_cmp_gt_i64_e32 vcc, 0, v[4:5]
	v_not_b32_e32 v5, v5
	v_ashrrev_i32_e32 v5, 31, v5
	v_xor_b32_e32 v20, vcc_hi, v5
	v_xor_b32_e32 v5, vcc_lo, v5
	v_and_b32_e32 v21, v22, v20
	v_and_b32_e32 v20, v23, v5
	v_mbcnt_lo_u32_b32 v5, v20, 0
	v_mbcnt_hi_u32_b32 v111, v21, v5
	v_cmp_eq_u32_e32 vcc, 0, v111
	v_cmp_ne_u64_e64 s[36:37], 0, v[20:21]
	s_and_b64 s[38:39], s[36:37], vcc
	; wave barrier
	s_and_saveexec_b64 s[36:37], s[38:39]
	s_cbranch_execz .LBB218_270
; %bb.269:                              ;   in Loop: Header=BB218_240 Depth=2
	v_bcnt_u32_b32 v5, v20, 0
	v_bcnt_u32_b32 v5, v21, v5
	s_waitcnt lgkmcnt(0)
	v_add_u32_e32 v5, v109, v5
	ds_write_b32 v110, v5
.LBB218_270:                            ;   in Loop: Header=BB218_240 Depth=2
	s_or_b64 exec, exec, s[36:37]
	s_waitcnt vmcnt(1)
	v_lshrrev_b32_sdwa v5, s68, v95 dst_sel:DWORD dst_unused:UNUSED_PAD src0_sel:DWORD src1_sel:BYTE_0
	v_and_b32_e32 v20, s77, v5
	v_mul_u32_u24_e32 v5, 5, v20
	v_add_lshl_u32 v5, v5, v88, 2
	; wave barrier
	v_add_u32_e32 v113, 0x410, v5
	ds_read_b32 v112, v5 offset:1040
	v_and_b32_e32 v5, 1, v20
	v_add_co_u32_e32 v21, vcc, -1, v5
	v_addc_co_u32_e64 v22, s[36:37], 0, -1, vcc
	v_cmp_ne_u32_e32 vcc, 0, v5
	v_xor_b32_e32 v5, vcc_hi, v22
	v_and_b32_e32 v22, exec_hi, v5
	v_lshlrev_b32_e32 v5, 30, v20
	v_xor_b32_e32 v21, vcc_lo, v21
	v_cmp_gt_i64_e32 vcc, 0, v[4:5]
	v_not_b32_e32 v5, v5
	v_ashrrev_i32_e32 v5, 31, v5
	v_and_b32_e32 v21, exec_lo, v21
	v_xor_b32_e32 v23, vcc_hi, v5
	v_xor_b32_e32 v5, vcc_lo, v5
	v_and_b32_e32 v21, v21, v5
	v_lshlrev_b32_e32 v5, 29, v20
	v_cmp_gt_i64_e32 vcc, 0, v[4:5]
	v_not_b32_e32 v5, v5
	v_ashrrev_i32_e32 v5, 31, v5
	v_and_b32_e32 v22, v22, v23
	v_xor_b32_e32 v23, vcc_hi, v5
	v_xor_b32_e32 v5, vcc_lo, v5
	v_and_b32_e32 v21, v21, v5
	v_lshlrev_b32_e32 v5, 28, v20
	v_cmp_gt_i64_e32 vcc, 0, v[4:5]
	v_not_b32_e32 v5, v5
	v_ashrrev_i32_e32 v5, 31, v5
	v_and_b32_e32 v22, v22, v23
	;; [unrolled: 8-line block ×5, first 2 shown]
	v_xor_b32_e32 v23, vcc_hi, v5
	v_xor_b32_e32 v5, vcc_lo, v5
	v_and_b32_e32 v22, v22, v23
	v_and_b32_e32 v23, v21, v5
	v_lshlrev_b32_e32 v5, 24, v20
	v_cmp_gt_i64_e32 vcc, 0, v[4:5]
	v_not_b32_e32 v5, v5
	v_ashrrev_i32_e32 v5, 31, v5
	v_xor_b32_e32 v20, vcc_hi, v5
	v_xor_b32_e32 v5, vcc_lo, v5
	v_and_b32_e32 v21, v22, v20
	v_and_b32_e32 v20, v23, v5
	v_mbcnt_lo_u32_b32 v5, v20, 0
	v_mbcnt_hi_u32_b32 v114, v21, v5
	v_cmp_eq_u32_e32 vcc, 0, v114
	v_cmp_ne_u64_e64 s[36:37], 0, v[20:21]
	s_and_b64 s[38:39], s[36:37], vcc
	; wave barrier
	s_and_saveexec_b64 s[36:37], s[38:39]
	s_cbranch_execz .LBB218_272
; %bb.271:                              ;   in Loop: Header=BB218_240 Depth=2
	v_bcnt_u32_b32 v5, v20, 0
	v_bcnt_u32_b32 v5, v21, v5
	s_waitcnt lgkmcnt(0)
	v_add_u32_e32 v5, v112, v5
	ds_write_b32 v113, v5
.LBB218_272:                            ;   in Loop: Header=BB218_240 Depth=2
	s_or_b64 exec, exec, s[36:37]
	s_waitcnt vmcnt(0)
	v_lshrrev_b32_sdwa v5, s68, v96 dst_sel:DWORD dst_unused:UNUSED_PAD src0_sel:DWORD src1_sel:BYTE_0
	v_and_b32_e32 v20, s77, v5
	v_mul_u32_u24_e32 v5, 5, v20
	v_add_lshl_u32 v5, v5, v88, 2
	; wave barrier
	v_add_u32_e32 v116, 0x410, v5
	ds_read_b32 v115, v5 offset:1040
	v_and_b32_e32 v5, 1, v20
	v_add_co_u32_e32 v21, vcc, -1, v5
	v_addc_co_u32_e64 v22, s[36:37], 0, -1, vcc
	v_cmp_ne_u32_e32 vcc, 0, v5
	v_xor_b32_e32 v5, vcc_hi, v22
	v_and_b32_e32 v22, exec_hi, v5
	v_lshlrev_b32_e32 v5, 30, v20
	v_xor_b32_e32 v21, vcc_lo, v21
	v_cmp_gt_i64_e32 vcc, 0, v[4:5]
	v_not_b32_e32 v5, v5
	v_ashrrev_i32_e32 v5, 31, v5
	v_and_b32_e32 v21, exec_lo, v21
	v_xor_b32_e32 v23, vcc_hi, v5
	v_xor_b32_e32 v5, vcc_lo, v5
	v_and_b32_e32 v21, v21, v5
	v_lshlrev_b32_e32 v5, 29, v20
	v_cmp_gt_i64_e32 vcc, 0, v[4:5]
	v_not_b32_e32 v5, v5
	v_ashrrev_i32_e32 v5, 31, v5
	v_and_b32_e32 v22, v22, v23
	v_xor_b32_e32 v23, vcc_hi, v5
	v_xor_b32_e32 v5, vcc_lo, v5
	v_and_b32_e32 v21, v21, v5
	v_lshlrev_b32_e32 v5, 28, v20
	v_cmp_gt_i64_e32 vcc, 0, v[4:5]
	v_not_b32_e32 v5, v5
	v_ashrrev_i32_e32 v5, 31, v5
	v_and_b32_e32 v22, v22, v23
	;; [unrolled: 8-line block ×5, first 2 shown]
	v_xor_b32_e32 v23, vcc_hi, v5
	v_xor_b32_e32 v5, vcc_lo, v5
	v_and_b32_e32 v22, v22, v23
	v_and_b32_e32 v23, v21, v5
	v_lshlrev_b32_e32 v5, 24, v20
	v_cmp_gt_i64_e32 vcc, 0, v[4:5]
	v_not_b32_e32 v5, v5
	v_ashrrev_i32_e32 v5, 31, v5
	v_xor_b32_e32 v20, vcc_hi, v5
	v_xor_b32_e32 v5, vcc_lo, v5
	v_and_b32_e32 v21, v22, v20
	v_and_b32_e32 v20, v23, v5
	v_mbcnt_lo_u32_b32 v5, v20, 0
	v_mbcnt_hi_u32_b32 v117, v21, v5
	v_cmp_eq_u32_e32 vcc, 0, v117
	v_cmp_ne_u64_e64 s[36:37], 0, v[20:21]
	s_and_b64 s[38:39], s[36:37], vcc
	; wave barrier
	s_and_saveexec_b64 s[36:37], s[38:39]
	s_cbranch_execz .LBB218_274
; %bb.273:                              ;   in Loop: Header=BB218_240 Depth=2
	v_bcnt_u32_b32 v5, v20, 0
	v_bcnt_u32_b32 v5, v21, v5
	s_waitcnt lgkmcnt(0)
	v_add_u32_e32 v5, v115, v5
	ds_write_b32 v116, v5
.LBB218_274:                            ;   in Loop: Header=BB218_240 Depth=2
	s_or_b64 exec, exec, s[36:37]
	v_lshrrev_b32_sdwa v5, s68, v97 dst_sel:DWORD dst_unused:UNUSED_PAD src0_sel:DWORD src1_sel:BYTE_0
	v_and_b32_e32 v20, s77, v5
	v_mul_u32_u24_e32 v5, 5, v20
	v_add_lshl_u32 v5, v5, v88, 2
	; wave barrier
	v_add_u32_e32 v119, 0x410, v5
	ds_read_b32 v118, v5 offset:1040
	v_and_b32_e32 v5, 1, v20
	v_add_co_u32_e32 v21, vcc, -1, v5
	v_addc_co_u32_e64 v22, s[36:37], 0, -1, vcc
	v_cmp_ne_u32_e32 vcc, 0, v5
	v_xor_b32_e32 v5, vcc_hi, v22
	v_and_b32_e32 v22, exec_hi, v5
	v_lshlrev_b32_e32 v5, 30, v20
	v_xor_b32_e32 v21, vcc_lo, v21
	v_cmp_gt_i64_e32 vcc, 0, v[4:5]
	v_not_b32_e32 v5, v5
	v_ashrrev_i32_e32 v5, 31, v5
	v_and_b32_e32 v21, exec_lo, v21
	v_xor_b32_e32 v23, vcc_hi, v5
	v_xor_b32_e32 v5, vcc_lo, v5
	v_and_b32_e32 v21, v21, v5
	v_lshlrev_b32_e32 v5, 29, v20
	v_cmp_gt_i64_e32 vcc, 0, v[4:5]
	v_not_b32_e32 v5, v5
	v_ashrrev_i32_e32 v5, 31, v5
	v_and_b32_e32 v22, v22, v23
	v_xor_b32_e32 v23, vcc_hi, v5
	v_xor_b32_e32 v5, vcc_lo, v5
	v_and_b32_e32 v21, v21, v5
	v_lshlrev_b32_e32 v5, 28, v20
	v_cmp_gt_i64_e32 vcc, 0, v[4:5]
	v_not_b32_e32 v5, v5
	v_ashrrev_i32_e32 v5, 31, v5
	v_and_b32_e32 v22, v22, v23
	;; [unrolled: 8-line block ×5, first 2 shown]
	v_xor_b32_e32 v23, vcc_hi, v5
	v_xor_b32_e32 v5, vcc_lo, v5
	v_and_b32_e32 v22, v22, v23
	v_and_b32_e32 v23, v21, v5
	v_lshlrev_b32_e32 v5, 24, v20
	v_cmp_gt_i64_e32 vcc, 0, v[4:5]
	v_not_b32_e32 v5, v5
	v_ashrrev_i32_e32 v5, 31, v5
	v_xor_b32_e32 v20, vcc_hi, v5
	v_xor_b32_e32 v5, vcc_lo, v5
	v_and_b32_e32 v21, v22, v20
	v_and_b32_e32 v20, v23, v5
	v_mbcnt_lo_u32_b32 v5, v20, 0
	v_mbcnt_hi_u32_b32 v120, v21, v5
	v_cmp_eq_u32_e32 vcc, 0, v120
	v_cmp_ne_u64_e64 s[36:37], 0, v[20:21]
	s_and_b64 s[38:39], s[36:37], vcc
	; wave barrier
	s_and_saveexec_b64 s[36:37], s[38:39]
	s_cbranch_execz .LBB218_276
; %bb.275:                              ;   in Loop: Header=BB218_240 Depth=2
	v_bcnt_u32_b32 v5, v20, 0
	v_bcnt_u32_b32 v5, v21, v5
	s_waitcnt lgkmcnt(0)
	v_add_u32_e32 v5, v118, v5
	ds_write_b32 v119, v5
.LBB218_276:                            ;   in Loop: Header=BB218_240 Depth=2
	s_or_b64 exec, exec, s[36:37]
	; wave barrier
	s_waitcnt lgkmcnt(0)
	s_barrier
	ds_read_b32 v5, v42 offset:1040
	ds_read2_b32 v[22:23], v44 offset0:1 offset1:2
	ds_read2_b32 v[20:21], v44 offset0:3 offset1:4
	s_waitcnt lgkmcnt(1)
	v_add3_u32 v121, v22, v5, v23
	s_waitcnt lgkmcnt(0)
	v_add3_u32 v21, v121, v20, v21
	s_nop 1
	v_mov_b32_dpp v121, v21 row_shr:1 row_mask:0xf bank_mask:0xf
	v_cndmask_b32_e64 v121, v121, 0, s[16:17]
	v_add_u32_e32 v21, v121, v21
	s_nop 1
	v_mov_b32_dpp v121, v21 row_shr:2 row_mask:0xf bank_mask:0xf
	v_cndmask_b32_e64 v121, 0, v121, s[18:19]
	v_add_u32_e32 v21, v21, v121
	;; [unrolled: 4-line block ×4, first 2 shown]
	s_nop 1
	v_mov_b32_dpp v121, v21 row_bcast:15 row_mask:0xf bank_mask:0xf
	v_cndmask_b32_e64 v121, v121, 0, s[24:25]
	v_add_u32_e32 v21, v21, v121
	s_nop 1
	v_mov_b32_dpp v121, v21 row_bcast:31 row_mask:0xf bank_mask:0xf
	v_cndmask_b32_e64 v121, 0, v121, s[26:27]
	v_add_u32_e32 v21, v21, v121
	s_and_saveexec_b64 s[36:37], s[6:7]
	s_cbranch_execz .LBB218_278
; %bb.277:                              ;   in Loop: Header=BB218_240 Depth=2
	ds_write_b32 v35, v21 offset:1024
.LBB218_278:                            ;   in Loop: Header=BB218_240 Depth=2
	s_or_b64 exec, exec, s[36:37]
	s_waitcnt lgkmcnt(0)
	s_barrier
	s_and_saveexec_b64 s[36:37], s[8:9]
	s_cbranch_execz .LBB218_280
; %bb.279:                              ;   in Loop: Header=BB218_240 Depth=2
	v_add_u32_e32 v121, v42, v45
	ds_read_b32 v122, v121 offset:1024
	s_waitcnt lgkmcnt(0)
	s_nop 0
	v_mov_b32_dpp v123, v122 row_shr:1 row_mask:0xf bank_mask:0xf
	v_cndmask_b32_e64 v123, v123, 0, s[30:31]
	v_add_u32_e32 v122, v123, v122
	s_nop 1
	v_mov_b32_dpp v123, v122 row_shr:2 row_mask:0xf bank_mask:0xf
	v_cndmask_b32_e64 v123, 0, v123, s[34:35]
	v_add_u32_e32 v122, v122, v123
	ds_write_b32 v121, v122 offset:1024
.LBB218_280:                            ;   in Loop: Header=BB218_240 Depth=2
	s_or_b64 exec, exec, s[36:37]
	v_mov_b32_e32 v121, 0
	s_waitcnt lgkmcnt(0)
	s_barrier
	s_and_saveexec_b64 s[36:37], s[10:11]
	s_cbranch_execz .LBB218_282
; %bb.281:                              ;   in Loop: Header=BB218_240 Depth=2
	ds_read_b32 v121, v35 offset:1020
.LBB218_282:                            ;   in Loop: Header=BB218_240 Depth=2
	s_or_b64 exec, exec, s[36:37]
	s_waitcnt lgkmcnt(0)
	v_add_u32_e32 v21, v121, v21
	ds_bpermute_b32 v21, v65, v21
	s_waitcnt lgkmcnt(0)
	v_cndmask_b32_e64 v21, v21, v121, s[28:29]
	v_cndmask_b32_e64 v21, v21, 0, s[12:13]
	v_add_u32_e32 v5, v21, v5
	ds_write_b32 v42, v21 offset:1040
	v_add_u32_e32 v21, v5, v22
	v_add_u32_e32 v22, v21, v23
	ds_write2_b32 v44, v5, v21 offset0:1 offset1:2
	v_add_u32_e32 v5, v22, v20
	ds_write2_b32 v44, v22, v5 offset0:3 offset1:4
	s_waitcnt lgkmcnt(0)
	s_barrier
	ds_read_b32 v20, v101
	ds_read_b32 v21, v104
	;; [unrolled: 1-line block ×8, first 2 shown]
	ds_read_b32 v101, v42 offset:1040
	v_mov_b32_e32 v5, 0x800
	s_and_saveexec_b64 s[36:37], s[14:15]
	s_cbranch_execz .LBB218_284
; %bb.283:                              ;   in Loop: Header=BB218_240 Depth=2
	ds_read_b32 v5, v42 offset:1060
.LBB218_284:                            ;   in Loop: Header=BB218_240 Depth=2
	s_or_b64 exec, exec, s[36:37]
	s_waitcnt lgkmcnt(0)
	s_barrier
	s_and_saveexec_b64 s[36:37], s[4:5]
	s_cbranch_execz .LBB218_286
; %bb.285:                              ;   in Loop: Header=BB218_240 Depth=2
	ds_read_b32 v104, v3
	s_waitcnt lgkmcnt(0)
	v_sub_u32_e32 v101, v104, v101
	ds_write_b32 v3, v101
.LBB218_286:                            ;   in Loop: Header=BB218_240 Depth=2
	s_or_b64 exec, exec, s[36:37]
	v_add_u32_e32 v104, v98, v99
	v_add3_u32 v102, v102, v100, v20
	v_add3_u32 v101, v105, v103, v21
	;; [unrolled: 1-line block ×7, first 2 shown]
	v_cmp_lt_u32_e64 s[48:49], v2, v89
	ds_write_b8 v104, v90 offset:1024
	ds_write_b8 v102, v91 offset:1024
	;; [unrolled: 1-line block ×8, first 2 shown]
	s_waitcnt lgkmcnt(0)
	s_barrier
	s_and_saveexec_b64 s[36:37], s[48:49]
	s_cbranch_execz .LBB218_294
; %bb.287:                              ;   in Loop: Header=BB218_240 Depth=2
	ds_read_u8 v20, v2 offset:1024
	s_waitcnt lgkmcnt(0)
	v_lshrrev_b32_sdwa v21, s68, v20 dst_sel:DWORD dst_unused:UNUSED_PAD src0_sel:DWORD src1_sel:BYTE_0
	v_and_b32_e32 v21, s77, v21
	v_lshlrev_b32_e32 v21, 2, v21
	ds_read_b32 v21, v21
	s_waitcnt lgkmcnt(0)
	v_add_u32_e32 v21, v21, v2
	global_store_byte v21, v20, s[60:61]
	s_or_b64 exec, exec, s[36:37]
	v_cmp_lt_u32_e64 s[46:47], v24, v89
	s_and_saveexec_b64 s[36:37], s[46:47]
	s_cbranch_execnz .LBB218_295
.LBB218_288:                            ;   in Loop: Header=BB218_240 Depth=2
	s_or_b64 exec, exec, s[36:37]
	v_cmp_lt_u32_e64 s[44:45], v25, v89
	s_and_saveexec_b64 s[36:37], s[44:45]
	s_cbranch_execz .LBB218_296
.LBB218_289:                            ;   in Loop: Header=BB218_240 Depth=2
	ds_read_u8 v20, v30 offset:512
	s_waitcnt lgkmcnt(0)
	v_lshrrev_b32_sdwa v21, s68, v20 dst_sel:DWORD dst_unused:UNUSED_PAD src0_sel:DWORD src1_sel:BYTE_0
	v_and_b32_e32 v21, s77, v21
	v_lshlrev_b32_e32 v21, 2, v21
	ds_read_b32 v21, v21
	s_waitcnt lgkmcnt(0)
	v_add_u32_e32 v21, v21, v25
	global_store_byte v21, v20, s[60:61]
	s_or_b64 exec, exec, s[36:37]
	v_cmp_lt_u32_e64 s[42:43], v26, v89
	s_and_saveexec_b64 s[36:37], s[42:43]
	s_cbranch_execnz .LBB218_297
.LBB218_290:                            ;   in Loop: Header=BB218_240 Depth=2
	s_or_b64 exec, exec, s[36:37]
	v_cmp_lt_u32_e64 s[40:41], v30, v89
	s_and_saveexec_b64 s[36:37], s[40:41]
	s_cbranch_execz .LBB218_298
.LBB218_291:                            ;   in Loop: Header=BB218_240 Depth=2
	ds_read_u8 v20, v30 offset:1024
	s_waitcnt lgkmcnt(0)
	v_lshrrev_b32_sdwa v21, s68, v20 dst_sel:DWORD dst_unused:UNUSED_PAD src0_sel:DWORD src1_sel:BYTE_0
	v_and_b32_e32 v21, s77, v21
	v_lshlrev_b32_e32 v21, 2, v21
	ds_read_b32 v21, v21
	s_waitcnt lgkmcnt(0)
	v_add_u32_e32 v21, v21, v30
	global_store_byte v21, v20, s[60:61]
	s_or_b64 exec, exec, s[36:37]
	v_cmp_lt_u32_e64 s[38:39], v31, v89
	s_and_saveexec_b64 s[36:37], s[38:39]
	s_cbranch_execnz .LBB218_299
.LBB218_292:                            ;   in Loop: Header=BB218_240 Depth=2
	s_or_b64 exec, exec, s[36:37]
	v_cmp_lt_u32_e64 s[36:37], v32, v89
	s_and_saveexec_b64 s[52:53], s[36:37]
	s_cbranch_execz .LBB218_300
.LBB218_293:                            ;   in Loop: Header=BB218_240 Depth=2
	ds_read_u8 v20, v30 offset:1536
	s_waitcnt lgkmcnt(0)
	v_lshrrev_b32_sdwa v21, s68, v20 dst_sel:DWORD dst_unused:UNUSED_PAD src0_sel:DWORD src1_sel:BYTE_0
	v_and_b32_e32 v21, s77, v21
	v_lshlrev_b32_e32 v21, 2, v21
	ds_read_b32 v21, v21
	s_waitcnt lgkmcnt(0)
	v_add_u32_e32 v21, v21, v32
	global_store_byte v21, v20, s[60:61]
	s_or_b64 exec, exec, s[52:53]
	v_cmp_lt_u32_e32 vcc, v33, v89
	s_and_saveexec_b64 s[52:53], vcc
	s_cbranch_execnz .LBB218_301
	s_branch .LBB218_302
.LBB218_294:                            ;   in Loop: Header=BB218_240 Depth=2
	s_or_b64 exec, exec, s[36:37]
	v_cmp_lt_u32_e64 s[46:47], v24, v89
	s_and_saveexec_b64 s[36:37], s[46:47]
	s_cbranch_execz .LBB218_288
.LBB218_295:                            ;   in Loop: Header=BB218_240 Depth=2
	ds_read_u8 v20, v30 offset:256
	s_waitcnt lgkmcnt(0)
	v_lshrrev_b32_sdwa v21, s68, v20 dst_sel:DWORD dst_unused:UNUSED_PAD src0_sel:DWORD src1_sel:BYTE_0
	v_and_b32_e32 v21, s77, v21
	v_lshlrev_b32_e32 v21, 2, v21
	ds_read_b32 v21, v21
	s_waitcnt lgkmcnt(0)
	v_add_u32_e32 v21, v21, v24
	global_store_byte v21, v20, s[60:61]
	s_or_b64 exec, exec, s[36:37]
	v_cmp_lt_u32_e64 s[44:45], v25, v89
	s_and_saveexec_b64 s[36:37], s[44:45]
	s_cbranch_execnz .LBB218_289
.LBB218_296:                            ;   in Loop: Header=BB218_240 Depth=2
	s_or_b64 exec, exec, s[36:37]
	v_cmp_lt_u32_e64 s[42:43], v26, v89
	s_and_saveexec_b64 s[36:37], s[42:43]
	s_cbranch_execz .LBB218_290
.LBB218_297:                            ;   in Loop: Header=BB218_240 Depth=2
	ds_read_u8 v20, v30 offset:768
	s_waitcnt lgkmcnt(0)
	v_lshrrev_b32_sdwa v21, s68, v20 dst_sel:DWORD dst_unused:UNUSED_PAD src0_sel:DWORD src1_sel:BYTE_0
	v_and_b32_e32 v21, s77, v21
	v_lshlrev_b32_e32 v21, 2, v21
	ds_read_b32 v21, v21
	s_waitcnt lgkmcnt(0)
	v_add_u32_e32 v21, v21, v26
	global_store_byte v21, v20, s[60:61]
	s_or_b64 exec, exec, s[36:37]
	v_cmp_lt_u32_e64 s[40:41], v30, v89
	s_and_saveexec_b64 s[36:37], s[40:41]
	s_cbranch_execnz .LBB218_291
.LBB218_298:                            ;   in Loop: Header=BB218_240 Depth=2
	s_or_b64 exec, exec, s[36:37]
	v_cmp_lt_u32_e64 s[38:39], v31, v89
	s_and_saveexec_b64 s[36:37], s[38:39]
	s_cbranch_execz .LBB218_292
.LBB218_299:                            ;   in Loop: Header=BB218_240 Depth=2
	ds_read_u8 v20, v30 offset:1280
	s_waitcnt lgkmcnt(0)
	v_lshrrev_b32_sdwa v21, s68, v20 dst_sel:DWORD dst_unused:UNUSED_PAD src0_sel:DWORD src1_sel:BYTE_0
	v_and_b32_e32 v21, s77, v21
	v_lshlrev_b32_e32 v21, 2, v21
	ds_read_b32 v21, v21
	s_waitcnt lgkmcnt(0)
	v_add_u32_e32 v21, v21, v31
	global_store_byte v21, v20, s[60:61]
	s_or_b64 exec, exec, s[36:37]
	v_cmp_lt_u32_e64 s[36:37], v32, v89
	s_and_saveexec_b64 s[52:53], s[36:37]
	s_cbranch_execnz .LBB218_293
.LBB218_300:                            ;   in Loop: Header=BB218_240 Depth=2
	s_or_b64 exec, exec, s[52:53]
	v_cmp_lt_u32_e32 vcc, v33, v89
	s_and_saveexec_b64 s[52:53], vcc
	s_cbranch_execz .LBB218_302
.LBB218_301:                            ;   in Loop: Header=BB218_240 Depth=2
	ds_read_u8 v20, v30 offset:1792
	s_waitcnt lgkmcnt(0)
	v_lshrrev_b32_sdwa v21, s68, v20 dst_sel:DWORD dst_unused:UNUSED_PAD src0_sel:DWORD src1_sel:BYTE_0
	v_and_b32_e32 v21, s77, v21
	v_lshlrev_b32_e32 v21, 2, v21
	ds_read_b32 v21, v21
	s_waitcnt lgkmcnt(0)
	v_add_u32_e32 v21, v21, v33
	global_store_byte v21, v20, s[60:61]
.LBB218_302:                            ;   in Loop: Header=BB218_240 Depth=2
	s_or_b64 exec, exec, s[52:53]
	s_lshl_b64 s[52:53], s[72:73], 3
	v_mov_b32_e32 v21, s53
	v_add_co_u32_e64 v20, s[52:53], s52, v77
	v_addc_co_u32_e64 v21, s[52:53], v78, v21, s[52:53]
	v_cmp_lt_u32_e64 s[52:53], v72, v89
	s_and_saveexec_b64 s[62:63], s[52:53]
	s_xor_b64 s[52:53], exec, s[62:63]
	s_cbranch_execz .LBB218_318
; %bb.303:                              ;   in Loop: Header=BB218_240 Depth=2
	global_load_dwordx2 v[18:19], v[20:21], off
	s_or_b64 exec, exec, s[52:53]
	v_cmp_lt_u32_e64 s[52:53], v79, v89
	s_and_saveexec_b64 s[62:63], s[52:53]
	s_cbranch_execnz .LBB218_319
.LBB218_304:                            ;   in Loop: Header=BB218_240 Depth=2
	s_or_b64 exec, exec, s[62:63]
	v_cmp_lt_u32_e64 s[52:53], v80, v89
	s_and_saveexec_b64 s[62:63], s[52:53]
	s_cbranch_execz .LBB218_320
.LBB218_305:                            ;   in Loop: Header=BB218_240 Depth=2
	global_load_dwordx2 v[14:15], v[20:21], off offset:1024
	s_or_b64 exec, exec, s[62:63]
	v_cmp_lt_u32_e64 s[52:53], v81, v89
	s_and_saveexec_b64 s[62:63], s[52:53]
	s_cbranch_execnz .LBB218_321
.LBB218_306:                            ;   in Loop: Header=BB218_240 Depth=2
	s_or_b64 exec, exec, s[62:63]
	v_cmp_lt_u32_e64 s[52:53], v82, v89
	s_and_saveexec_b64 s[62:63], s[52:53]
	s_cbranch_execz .LBB218_322
.LBB218_307:                            ;   in Loop: Header=BB218_240 Depth=2
	global_load_dwordx2 v[10:11], v[20:21], off offset:2048
	s_or_b64 exec, exec, s[62:63]
	v_cmp_lt_u32_e64 s[52:53], v83, v89
	s_and_saveexec_b64 s[62:63], s[52:53]
	s_cbranch_execnz .LBB218_323
.LBB218_308:                            ;   in Loop: Header=BB218_240 Depth=2
	s_or_b64 exec, exec, s[62:63]
	v_cmp_lt_u32_e64 s[52:53], v84, v89
	s_and_saveexec_b64 s[62:63], s[52:53]
	s_cbranch_execz .LBB218_324
.LBB218_309:                            ;   in Loop: Header=BB218_240 Depth=2
	global_load_dwordx2 v[6:7], v[20:21], off offset:3072
	s_or_b64 exec, exec, s[62:63]
	v_cmp_lt_u32_e64 s[52:53], v85, v89
	s_and_saveexec_b64 s[62:63], s[52:53]
	s_cbranch_execnz .LBB218_325
.LBB218_310:                            ;   in Loop: Header=BB218_240 Depth=2
	s_or_b64 exec, exec, s[62:63]
	s_and_saveexec_b64 s[52:53], s[48:49]
	s_cbranch_execz .LBB218_326
.LBB218_311:                            ;   in Loop: Header=BB218_240 Depth=2
	ds_read_u8 v20, v2 offset:1024
	s_waitcnt lgkmcnt(0)
	v_lshrrev_b32_e32 v20, s68, v20
	v_and_b32_e32 v75, s77, v20
	s_or_b64 exec, exec, s[52:53]
	s_and_saveexec_b64 s[52:53], s[46:47]
	s_cbranch_execnz .LBB218_327
.LBB218_312:                            ;   in Loop: Header=BB218_240 Depth=2
	s_or_b64 exec, exec, s[52:53]
	s_and_saveexec_b64 s[52:53], s[44:45]
	s_cbranch_execz .LBB218_328
.LBB218_313:                            ;   in Loop: Header=BB218_240 Depth=2
	ds_read_u8 v20, v30 offset:512
	s_waitcnt lgkmcnt(0)
	v_lshrrev_b32_e32 v20, s68, v20
	v_and_b32_e32 v71, s77, v20
	s_or_b64 exec, exec, s[52:53]
	s_and_saveexec_b64 s[52:53], s[42:43]
	s_cbranch_execnz .LBB218_329
.LBB218_314:                            ;   in Loop: Header=BB218_240 Depth=2
	s_or_b64 exec, exec, s[52:53]
	s_and_saveexec_b64 s[52:53], s[40:41]
	s_cbranch_execz .LBB218_330
.LBB218_315:                            ;   in Loop: Header=BB218_240 Depth=2
	ds_read_u8 v20, v30 offset:1024
	s_waitcnt lgkmcnt(0)
	v_lshrrev_b32_e32 v20, s68, v20
	v_and_b32_e32 v69, s77, v20
	s_or_b64 exec, exec, s[52:53]
	s_and_saveexec_b64 s[52:53], s[38:39]
	s_cbranch_execnz .LBB218_331
.LBB218_316:                            ;   in Loop: Header=BB218_240 Depth=2
	s_or_b64 exec, exec, s[52:53]
	s_and_saveexec_b64 s[52:53], s[36:37]
	s_cbranch_execz .LBB218_332
.LBB218_317:                            ;   in Loop: Header=BB218_240 Depth=2
	ds_read_u8 v20, v30 offset:1536
	s_waitcnt lgkmcnt(0)
	v_lshrrev_b32_e32 v20, s68, v20
	v_and_b32_e32 v67, s77, v20
	s_or_b64 exec, exec, s[52:53]
	s_and_saveexec_b64 s[52:53], vcc
	s_cbranch_execnz .LBB218_333
	s_branch .LBB218_334
.LBB218_318:                            ;   in Loop: Header=BB218_240 Depth=2
	s_or_b64 exec, exec, s[52:53]
	v_cmp_lt_u32_e64 s[52:53], v79, v89
	s_and_saveexec_b64 s[62:63], s[52:53]
	s_cbranch_execz .LBB218_304
.LBB218_319:                            ;   in Loop: Header=BB218_240 Depth=2
	global_load_dwordx2 v[16:17], v[20:21], off offset:512
	s_or_b64 exec, exec, s[62:63]
	v_cmp_lt_u32_e64 s[52:53], v80, v89
	s_and_saveexec_b64 s[62:63], s[52:53]
	s_cbranch_execnz .LBB218_305
.LBB218_320:                            ;   in Loop: Header=BB218_240 Depth=2
	s_or_b64 exec, exec, s[62:63]
	v_cmp_lt_u32_e64 s[52:53], v81, v89
	s_and_saveexec_b64 s[62:63], s[52:53]
	s_cbranch_execz .LBB218_306
.LBB218_321:                            ;   in Loop: Header=BB218_240 Depth=2
	global_load_dwordx2 v[12:13], v[20:21], off offset:1536
	s_or_b64 exec, exec, s[62:63]
	v_cmp_lt_u32_e64 s[52:53], v82, v89
	s_and_saveexec_b64 s[62:63], s[52:53]
	s_cbranch_execnz .LBB218_307
.LBB218_322:                            ;   in Loop: Header=BB218_240 Depth=2
	s_or_b64 exec, exec, s[62:63]
	v_cmp_lt_u32_e64 s[52:53], v83, v89
	s_and_saveexec_b64 s[62:63], s[52:53]
	s_cbranch_execz .LBB218_308
.LBB218_323:                            ;   in Loop: Header=BB218_240 Depth=2
	global_load_dwordx2 v[8:9], v[20:21], off offset:2560
	s_or_b64 exec, exec, s[62:63]
	v_cmp_lt_u32_e64 s[52:53], v84, v89
	s_and_saveexec_b64 s[62:63], s[52:53]
	s_cbranch_execnz .LBB218_309
.LBB218_324:                            ;   in Loop: Header=BB218_240 Depth=2
	s_or_b64 exec, exec, s[62:63]
	v_cmp_lt_u32_e64 s[52:53], v85, v89
	s_and_saveexec_b64 s[62:63], s[52:53]
	s_cbranch_execz .LBB218_310
.LBB218_325:                            ;   in Loop: Header=BB218_240 Depth=2
	global_load_dwordx2 v[0:1], v[20:21], off offset:3584
	s_or_b64 exec, exec, s[62:63]
	s_and_saveexec_b64 s[52:53], s[48:49]
	s_cbranch_execnz .LBB218_311
.LBB218_326:                            ;   in Loop: Header=BB218_240 Depth=2
	s_or_b64 exec, exec, s[52:53]
	s_and_saveexec_b64 s[52:53], s[46:47]
	s_cbranch_execz .LBB218_312
.LBB218_327:                            ;   in Loop: Header=BB218_240 Depth=2
	ds_read_u8 v20, v30 offset:256
	s_waitcnt lgkmcnt(0)
	v_lshrrev_b32_e32 v20, s68, v20
	v_and_b32_e32 v73, s77, v20
	s_or_b64 exec, exec, s[52:53]
	s_and_saveexec_b64 s[52:53], s[44:45]
	s_cbranch_execnz .LBB218_313
.LBB218_328:                            ;   in Loop: Header=BB218_240 Depth=2
	s_or_b64 exec, exec, s[52:53]
	s_and_saveexec_b64 s[52:53], s[42:43]
	s_cbranch_execz .LBB218_314
.LBB218_329:                            ;   in Loop: Header=BB218_240 Depth=2
	ds_read_u8 v20, v30 offset:768
	s_waitcnt lgkmcnt(0)
	v_lshrrev_b32_e32 v20, s68, v20
	v_and_b32_e32 v70, s77, v20
	s_or_b64 exec, exec, s[52:53]
	s_and_saveexec_b64 s[52:53], s[40:41]
	s_cbranch_execnz .LBB218_315
.LBB218_330:                            ;   in Loop: Header=BB218_240 Depth=2
	s_or_b64 exec, exec, s[52:53]
	s_and_saveexec_b64 s[52:53], s[38:39]
	s_cbranch_execz .LBB218_316
.LBB218_331:                            ;   in Loop: Header=BB218_240 Depth=2
	ds_read_u8 v20, v30 offset:1280
	s_waitcnt lgkmcnt(0)
	v_lshrrev_b32_e32 v20, s68, v20
	v_and_b32_e32 v68, s77, v20
	s_or_b64 exec, exec, s[52:53]
	s_and_saveexec_b64 s[52:53], s[36:37]
	s_cbranch_execnz .LBB218_317
.LBB218_332:                            ;   in Loop: Header=BB218_240 Depth=2
	s_or_b64 exec, exec, s[52:53]
	s_and_saveexec_b64 s[52:53], vcc
	s_cbranch_execz .LBB218_334
.LBB218_333:                            ;   in Loop: Header=BB218_240 Depth=2
	ds_read_u8 v20, v30 offset:1792
	s_waitcnt lgkmcnt(0)
	v_lshrrev_b32_e32 v20, s68, v20
	v_and_b32_e32 v66, s77, v20
.LBB218_334:                            ;   in Loop: Header=BB218_240 Depth=2
	s_or_b64 exec, exec, s[52:53]
	v_lshlrev_b32_e32 v20, 3, v104
	s_barrier
	s_waitcnt vmcnt(0)
	ds_write_b64 v20, v[18:19] offset:1024
	v_lshlrev_b32_e32 v20, 3, v102
	ds_write_b64 v20, v[16:17] offset:1024
	v_lshlrev_b32_e32 v20, 3, v101
	;; [unrolled: 2-line block ×7, first 2 shown]
	ds_write_b64 v20, v[0:1] offset:1024
	s_waitcnt lgkmcnt(0)
	s_barrier
	s_and_saveexec_b64 s[52:53], s[48:49]
	s_cbranch_execz .LBB218_342
; %bb.335:                              ;   in Loop: Header=BB218_240 Depth=2
	v_lshlrev_b32_e32 v20, 2, v75
	ds_read_b32 v22, v20
	v_add_u32_e32 v20, v2, v50
	ds_read_b64 v[20:21], v20 offset:1024
	v_mov_b32_e32 v23, v4
	v_mov_b32_e32 v89, s67
	s_waitcnt lgkmcnt(1)
	v_add_u32_e32 v22, v22, v2
	v_lshlrev_b64 v[22:23], 3, v[22:23]
	v_add_co_u32_e64 v22, s[48:49], s66, v22
	v_addc_co_u32_e64 v23, s[48:49], v89, v23, s[48:49]
	s_waitcnt lgkmcnt(0)
	global_store_dwordx2 v[22:23], v[20:21], off
	s_or_b64 exec, exec, s[52:53]
	s_and_saveexec_b64 s[48:49], s[46:47]
	s_cbranch_execnz .LBB218_343
.LBB218_336:                            ;   in Loop: Header=BB218_240 Depth=2
	s_or_b64 exec, exec, s[48:49]
	s_and_saveexec_b64 s[46:47], s[44:45]
	s_cbranch_execz .LBB218_344
.LBB218_337:                            ;   in Loop: Header=BB218_240 Depth=2
	v_lshlrev_b32_e32 v20, 2, v71
	ds_read_b32 v22, v20
	v_add_u32_e32 v20, v30, v50
	ds_read_b64 v[20:21], v20 offset:4096
	v_mov_b32_e32 v23, v4
	v_mov_b32_e32 v89, s67
	s_waitcnt lgkmcnt(1)
	v_add_u32_e32 v22, v22, v25
	v_lshlrev_b64 v[22:23], 3, v[22:23]
	v_add_co_u32_e64 v22, s[44:45], s66, v22
	v_addc_co_u32_e64 v23, s[44:45], v89, v23, s[44:45]
	s_waitcnt lgkmcnt(0)
	global_store_dwordx2 v[22:23], v[20:21], off
	s_or_b64 exec, exec, s[46:47]
	s_and_saveexec_b64 s[44:45], s[42:43]
	s_cbranch_execnz .LBB218_345
.LBB218_338:                            ;   in Loop: Header=BB218_240 Depth=2
	s_or_b64 exec, exec, s[44:45]
	s_and_saveexec_b64 s[42:43], s[40:41]
	s_cbranch_execz .LBB218_346
.LBB218_339:                            ;   in Loop: Header=BB218_240 Depth=2
	v_lshlrev_b32_e32 v20, 2, v69
	ds_read_b32 v22, v20
	v_add_u32_e32 v20, v30, v50
	ds_read_b64 v[20:21], v20 offset:8192
	v_mov_b32_e32 v23, v4
	v_mov_b32_e32 v89, s67
	s_waitcnt lgkmcnt(1)
	v_add_u32_e32 v22, v22, v30
	v_lshlrev_b64 v[22:23], 3, v[22:23]
	v_add_co_u32_e64 v22, s[40:41], s66, v22
	v_addc_co_u32_e64 v23, s[40:41], v89, v23, s[40:41]
	s_waitcnt lgkmcnt(0)
	global_store_dwordx2 v[22:23], v[20:21], off
	s_or_b64 exec, exec, s[42:43]
	s_and_saveexec_b64 s[40:41], s[38:39]
	s_cbranch_execnz .LBB218_347
.LBB218_340:                            ;   in Loop: Header=BB218_240 Depth=2
	s_or_b64 exec, exec, s[40:41]
	s_and_saveexec_b64 s[38:39], s[36:37]
	s_cbranch_execz .LBB218_348
.LBB218_341:                            ;   in Loop: Header=BB218_240 Depth=2
	v_lshlrev_b32_e32 v20, 2, v67
	ds_read_b32 v22, v20
	v_add_u32_e32 v20, v30, v50
	ds_read_b64 v[20:21], v20 offset:12288
	v_mov_b32_e32 v23, v4
	v_mov_b32_e32 v89, s67
	s_waitcnt lgkmcnt(1)
	v_add_u32_e32 v22, v22, v32
	v_lshlrev_b64 v[22:23], 3, v[22:23]
	v_add_co_u32_e64 v22, s[36:37], s66, v22
	v_addc_co_u32_e64 v23, s[36:37], v89, v23, s[36:37]
	s_waitcnt lgkmcnt(0)
	global_store_dwordx2 v[22:23], v[20:21], off
	s_or_b64 exec, exec, s[38:39]
	s_and_saveexec_b64 s[36:37], vcc
	s_cbranch_execnz .LBB218_349
	s_branch .LBB218_350
.LBB218_342:                            ;   in Loop: Header=BB218_240 Depth=2
	s_or_b64 exec, exec, s[52:53]
	s_and_saveexec_b64 s[48:49], s[46:47]
	s_cbranch_execz .LBB218_336
.LBB218_343:                            ;   in Loop: Header=BB218_240 Depth=2
	v_lshlrev_b32_e32 v20, 2, v73
	ds_read_b32 v22, v20
	v_add_u32_e32 v20, v30, v50
	ds_read_b64 v[20:21], v20 offset:2048
	v_mov_b32_e32 v23, v4
	v_mov_b32_e32 v89, s67
	s_waitcnt lgkmcnt(1)
	v_add_u32_e32 v22, v22, v24
	v_lshlrev_b64 v[22:23], 3, v[22:23]
	v_add_co_u32_e64 v22, s[46:47], s66, v22
	v_addc_co_u32_e64 v23, s[46:47], v89, v23, s[46:47]
	s_waitcnt lgkmcnt(0)
	global_store_dwordx2 v[22:23], v[20:21], off
	s_or_b64 exec, exec, s[48:49]
	s_and_saveexec_b64 s[46:47], s[44:45]
	s_cbranch_execnz .LBB218_337
.LBB218_344:                            ;   in Loop: Header=BB218_240 Depth=2
	s_or_b64 exec, exec, s[46:47]
	s_and_saveexec_b64 s[44:45], s[42:43]
	s_cbranch_execz .LBB218_338
.LBB218_345:                            ;   in Loop: Header=BB218_240 Depth=2
	v_lshlrev_b32_e32 v20, 2, v70
	ds_read_b32 v22, v20
	v_add_u32_e32 v20, v30, v50
	ds_read_b64 v[20:21], v20 offset:6144
	v_mov_b32_e32 v23, v4
	v_mov_b32_e32 v89, s67
	s_waitcnt lgkmcnt(1)
	v_add_u32_e32 v22, v22, v26
	v_lshlrev_b64 v[22:23], 3, v[22:23]
	v_add_co_u32_e64 v22, s[42:43], s66, v22
	v_addc_co_u32_e64 v23, s[42:43], v89, v23, s[42:43]
	s_waitcnt lgkmcnt(0)
	global_store_dwordx2 v[22:23], v[20:21], off
	s_or_b64 exec, exec, s[44:45]
	s_and_saveexec_b64 s[42:43], s[40:41]
	s_cbranch_execnz .LBB218_339
.LBB218_346:                            ;   in Loop: Header=BB218_240 Depth=2
	s_or_b64 exec, exec, s[42:43]
	s_and_saveexec_b64 s[40:41], s[38:39]
	s_cbranch_execz .LBB218_340
.LBB218_347:                            ;   in Loop: Header=BB218_240 Depth=2
	v_lshlrev_b32_e32 v20, 2, v68
	ds_read_b32 v22, v20
	v_add_u32_e32 v20, v30, v50
	ds_read_b64 v[20:21], v20 offset:10240
	v_mov_b32_e32 v23, v4
	v_mov_b32_e32 v89, s67
	s_waitcnt lgkmcnt(1)
	v_add_u32_e32 v22, v22, v31
	v_lshlrev_b64 v[22:23], 3, v[22:23]
	v_add_co_u32_e64 v22, s[38:39], s66, v22
	v_addc_co_u32_e64 v23, s[38:39], v89, v23, s[38:39]
	s_waitcnt lgkmcnt(0)
	global_store_dwordx2 v[22:23], v[20:21], off
	s_or_b64 exec, exec, s[40:41]
	s_and_saveexec_b64 s[38:39], s[36:37]
	s_cbranch_execnz .LBB218_341
.LBB218_348:                            ;   in Loop: Header=BB218_240 Depth=2
	s_or_b64 exec, exec, s[38:39]
	s_and_saveexec_b64 s[36:37], vcc
	s_cbranch_execz .LBB218_350
.LBB218_349:                            ;   in Loop: Header=BB218_240 Depth=2
	v_lshlrev_b32_e32 v20, 2, v66
	ds_read_b32 v22, v20
	v_add_u32_e32 v20, v30, v50
	ds_read_b64 v[20:21], v20 offset:14336
	v_mov_b32_e32 v23, v4
	v_mov_b32_e32 v89, s67
	s_waitcnt lgkmcnt(1)
	v_add_u32_e32 v22, v22, v33
	v_lshlrev_b64 v[22:23], 3, v[22:23]
	v_add_co_u32_e32 v22, vcc, s66, v22
	v_addc_co_u32_e32 v23, vcc, v89, v23, vcc
	s_waitcnt lgkmcnt(0)
	global_store_dwordx2 v[22:23], v[20:21], off
.LBB218_350:                            ;   in Loop: Header=BB218_240 Depth=2
	s_or_b64 exec, exec, s[36:37]
	s_barrier
	s_and_saveexec_b64 s[36:37], s[4:5]
	s_cbranch_execz .LBB218_239
; %bb.351:                              ;   in Loop: Header=BB218_240 Depth=2
	ds_read_b32 v20, v3
	s_waitcnt lgkmcnt(0)
	v_add_u32_e32 v5, v20, v5
	ds_write_b32 v3, v5
	s_branch .LBB218_239
.LBB218_352:                            ;   in Loop: Header=BB218_20 Depth=1
	s_waitcnt lgkmcnt(0)
	s_barrier
.LBB218_353:                            ;   in Loop: Header=BB218_20 Depth=1
	s_mov_b64 s[16:17], 0
.LBB218_354:                            ;   in Loop: Header=BB218_20 Depth=1
	s_andn2_b64 vcc, exec, s[16:17]
	s_cbranch_vccnz .LBB218_19
; %bb.355:                              ;   in Loop: Header=BB218_20 Depth=1
	s_mov_b64 s[16:17], -1
	s_and_b64 vcc, exec, s[54:55]
	s_cbranch_vccz .LBB218_521
; %bb.356:                              ;   in Loop: Header=BB218_20 Depth=1
	s_mov_b32 s20, s71
	s_mov_b32 s22, s51
	s_barrier
	s_waitcnt lgkmcnt(0)
                                        ; implicit-def: $vgpr5
                                        ; implicit-def: $vgpr6
                                        ; implicit-def: $vgpr7
                                        ; implicit-def: $vgpr8
                                        ; implicit-def: $vgpr9
                                        ; implicit-def: $vgpr10
                                        ; implicit-def: $vgpr11
                                        ; implicit-def: $vgpr12
	s_branch .LBB218_358
.LBB218_357:                            ;   in Loop: Header=BB218_358 Depth=2
	s_or_b64 exec, exec, s[16:17]
	s_addk_i32 s20, 0xf800
	s_cmp_ge_u32 s21, s76
	s_mov_b32 s22, s21
	s_cbranch_scc1 .LBB218_396
.LBB218_358:                            ;   Parent Loop BB218_20 Depth=1
                                        ; =>  This Inner Loop Header: Depth=2
	s_add_i32 s21, s22, 0x800
	s_cmp_gt_u32 s21, s76
	s_cbranch_scc1 .LBB218_361
; %bb.359:                              ;   in Loop: Header=BB218_358 Depth=2
	v_add_co_u32_e32 v0, vcc, s22, v57
	v_addc_co_u32_e32 v1, vcc, 0, v58, vcc
	global_load_ubyte v20, v[0:1], off offset:1536
	global_load_ubyte v19, v[0:1], off offset:1280
	global_load_ubyte v18, v[0:1], off offset:1024
	global_load_ubyte v17, v[0:1], off offset:768
	global_load_ubyte v16, v[0:1], off offset:512
	global_load_ubyte v15, v[0:1], off offset:256
	global_load_ubyte v14, v[0:1], off
	v_add_co_u32_e32 v0, vcc, 0x700, v0
	v_addc_co_u32_e32 v1, vcc, 0, v1, vcc
	s_mov_b64 s[16:17], -1
	s_movk_i32 s25, 0x800
	s_cbranch_execz .LBB218_362
; %bb.360:                              ;   in Loop: Header=BB218_358 Depth=2
                                        ; implicit-def: $vgpr5
                                        ; implicit-def: $vgpr6
                                        ; implicit-def: $vgpr7
                                        ; implicit-def: $vgpr8
                                        ; implicit-def: $vgpr9
                                        ; implicit-def: $vgpr10
                                        ; implicit-def: $vgpr11
                                        ; implicit-def: $vgpr12
	v_mov_b32_e32 v13, s20
	s_and_saveexec_b64 s[18:19], s[16:17]
	s_cbranch_execnz .LBB218_373
	s_branch .LBB218_374
.LBB218_361:                            ;   in Loop: Header=BB218_358 Depth=2
	s_mov_b64 s[16:17], 0
                                        ; implicit-def: $sgpr25
                                        ; implicit-def: $vgpr14
                                        ; implicit-def: $vgpr15
                                        ; implicit-def: $vgpr16
                                        ; implicit-def: $vgpr17
                                        ; implicit-def: $vgpr18
                                        ; implicit-def: $vgpr19
                                        ; implicit-def: $vgpr20
                                        ; implicit-def: $vgpr0_vgpr1
.LBB218_362:                            ;   in Loop: Header=BB218_358 Depth=2
	s_add_u32 s23, s56, s22
	s_addc_u32 s24, s57, 0
	v_cmp_gt_u32_e32 vcc, s20, v2
	s_and_saveexec_b64 s[18:19], vcc
	s_cbranch_execz .LBB218_390
; %bb.363:                              ;   in Loop: Header=BB218_358 Depth=2
	v_mov_b32_e32 v1, s24
	v_add_co_u32_e32 v0, vcc, s23, v2
	v_addc_co_u32_e32 v1, vcc, 0, v1, vcc
	global_load_ubyte v5, v[0:1], off
	s_or_b64 exec, exec, s[18:19]
	v_cmp_gt_u32_e32 vcc, s20, v24
	s_and_saveexec_b64 s[18:19], vcc
	s_cbranch_execnz .LBB218_391
.LBB218_364:                            ;   in Loop: Header=BB218_358 Depth=2
	s_or_b64 exec, exec, s[18:19]
	v_cmp_gt_u32_e32 vcc, s20, v25
	s_and_saveexec_b64 s[18:19], vcc
	s_cbranch_execz .LBB218_392
.LBB218_365:                            ;   in Loop: Header=BB218_358 Depth=2
	v_mov_b32_e32 v1, s24
	v_add_co_u32_e32 v0, vcc, s23, v2
	v_addc_co_u32_e32 v1, vcc, 0, v1, vcc
	global_load_ubyte v7, v[0:1], off offset:512
	s_or_b64 exec, exec, s[18:19]
	v_cmp_gt_u32_e32 vcc, s20, v26
	s_and_saveexec_b64 s[18:19], vcc
	s_cbranch_execnz .LBB218_393
.LBB218_366:                            ;   in Loop: Header=BB218_358 Depth=2
	s_or_b64 exec, exec, s[18:19]
	v_cmp_gt_u32_e32 vcc, s20, v30
	s_and_saveexec_b64 s[18:19], vcc
	s_cbranch_execz .LBB218_394
.LBB218_367:                            ;   in Loop: Header=BB218_358 Depth=2
	v_mov_b32_e32 v1, s24
	v_add_co_u32_e32 v0, vcc, s23, v2
	v_addc_co_u32_e32 v1, vcc, 0, v1, vcc
	global_load_ubyte v9, v[0:1], off offset:1024
	s_or_b64 exec, exec, s[18:19]
	v_cmp_gt_u32_e32 vcc, s20, v31
	s_and_saveexec_b64 s[18:19], vcc
	s_cbranch_execnz .LBB218_395
.LBB218_368:                            ;   in Loop: Header=BB218_358 Depth=2
	s_or_b64 exec, exec, s[18:19]
	v_cmp_gt_u32_e32 vcc, s20, v32
	s_and_saveexec_b64 s[18:19], vcc
	s_cbranch_execz .LBB218_370
.LBB218_369:                            ;   in Loop: Header=BB218_358 Depth=2
	v_mov_b32_e32 v1, s24
	v_add_co_u32_e32 v0, vcc, s23, v2
	v_addc_co_u32_e32 v1, vcc, 0, v1, vcc
	global_load_ubyte v11, v[0:1], off offset:1536
.LBB218_370:                            ;   in Loop: Header=BB218_358 Depth=2
	s_or_b64 exec, exec, s[18:19]
	v_cmp_gt_u32_e32 vcc, s20, v33
                                        ; implicit-def: $sgpr25
                                        ; implicit-def: $vgpr0_vgpr1
	s_and_saveexec_b64 s[18:19], vcc
	s_cbranch_execz .LBB218_372
; %bb.371:                              ;   in Loop: Header=BB218_358 Depth=2
	v_mov_b32_e32 v0, s24
	v_add_co_u32_e32 v1, vcc, s23, v2
	s_waitcnt vmcnt(0)
	v_addc_co_u32_e32 v12, vcc, 0, v0, vcc
	v_add_co_u32_e32 v0, vcc, 0x700, v1
	s_sub_i32 s25, s76, s22
	v_addc_co_u32_e32 v1, vcc, 0, v12, vcc
	s_or_b64 s[16:17], s[16:17], exec
                                        ; implicit-def: $vgpr12
.LBB218_372:                            ;   in Loop: Header=BB218_358 Depth=2
	s_or_b64 exec, exec, s[18:19]
	s_waitcnt vmcnt(0)
	v_mov_b32_e32 v14, v5
	v_mov_b32_e32 v15, v6
	;; [unrolled: 1-line block ×8, first 2 shown]
	s_and_saveexec_b64 s[18:19], s[16:17]
	s_cbranch_execz .LBB218_374
.LBB218_373:                            ;   in Loop: Header=BB218_358 Depth=2
	global_load_ubyte v12, v[0:1], off
	v_mov_b32_e32 v13, s25
	s_waitcnt vmcnt(1)
	v_mov_b32_e32 v5, v14
	v_mov_b32_e32 v6, v15
	;; [unrolled: 1-line block ×7, first 2 shown]
.LBB218_374:                            ;   in Loop: Header=BB218_358 Depth=2
	s_or_b64 exec, exec, s[18:19]
	v_cmp_lt_u32_e32 vcc, v2, v13
	s_and_saveexec_b64 s[16:17], vcc
	s_cbranch_execz .LBB218_382
; %bb.375:                              ;   in Loop: Header=BB218_358 Depth=2
	v_lshrrev_b32_sdwa v0, s69, v5 dst_sel:DWORD dst_unused:UNUSED_PAD src0_sel:DWORD src1_sel:BYTE_0
	v_and_b32_e32 v0, s77, v0
	v_lshlrev_b32_e32 v1, 2, v27
	v_lshl_or_b32 v0, v0, 4, v1
	ds_add_u32 v0, v63
	s_or_b64 exec, exec, s[16:17]
	v_cmp_lt_u32_e32 vcc, v24, v13
	s_and_saveexec_b64 s[16:17], vcc
	s_cbranch_execnz .LBB218_383
.LBB218_376:                            ;   in Loop: Header=BB218_358 Depth=2
	s_or_b64 exec, exec, s[16:17]
	v_cmp_lt_u32_e32 vcc, v25, v13
	s_and_saveexec_b64 s[16:17], vcc
	s_cbranch_execz .LBB218_384
.LBB218_377:                            ;   in Loop: Header=BB218_358 Depth=2
	v_lshrrev_b32_sdwa v0, s69, v7 dst_sel:DWORD dst_unused:UNUSED_PAD src0_sel:DWORD src1_sel:BYTE_0
	v_and_b32_e32 v0, s77, v0
	v_lshlrev_b32_e32 v1, 2, v27
	v_lshl_or_b32 v0, v0, 4, v1
	ds_add_u32 v0, v63
	s_or_b64 exec, exec, s[16:17]
	v_cmp_lt_u32_e32 vcc, v26, v13
	s_and_saveexec_b64 s[16:17], vcc
	s_cbranch_execnz .LBB218_385
.LBB218_378:                            ;   in Loop: Header=BB218_358 Depth=2
	s_or_b64 exec, exec, s[16:17]
	v_cmp_lt_u32_e32 vcc, v30, v13
	s_and_saveexec_b64 s[16:17], vcc
	s_cbranch_execz .LBB218_386
.LBB218_379:                            ;   in Loop: Header=BB218_358 Depth=2
	v_lshrrev_b32_sdwa v0, s69, v9 dst_sel:DWORD dst_unused:UNUSED_PAD src0_sel:DWORD src1_sel:BYTE_0
	v_and_b32_e32 v0, s77, v0
	v_lshlrev_b32_e32 v1, 2, v27
	v_lshl_or_b32 v0, v0, 4, v1
	ds_add_u32 v0, v63
	s_or_b64 exec, exec, s[16:17]
	v_cmp_lt_u32_e32 vcc, v31, v13
	s_and_saveexec_b64 s[16:17], vcc
	s_cbranch_execnz .LBB218_387
.LBB218_380:                            ;   in Loop: Header=BB218_358 Depth=2
	s_or_b64 exec, exec, s[16:17]
	v_cmp_lt_u32_e32 vcc, v32, v13
	s_and_saveexec_b64 s[16:17], vcc
	s_cbranch_execz .LBB218_388
.LBB218_381:                            ;   in Loop: Header=BB218_358 Depth=2
	v_lshrrev_b32_sdwa v0, s69, v11 dst_sel:DWORD dst_unused:UNUSED_PAD src0_sel:DWORD src1_sel:BYTE_0
	v_and_b32_e32 v0, s77, v0
	v_lshlrev_b32_e32 v1, 2, v27
	v_lshl_or_b32 v0, v0, 4, v1
	ds_add_u32 v0, v63
	s_or_b64 exec, exec, s[16:17]
	v_cmp_lt_u32_e32 vcc, v33, v13
	s_and_saveexec_b64 s[16:17], vcc
	s_cbranch_execz .LBB218_357
	s_branch .LBB218_389
.LBB218_382:                            ;   in Loop: Header=BB218_358 Depth=2
	s_or_b64 exec, exec, s[16:17]
	v_cmp_lt_u32_e32 vcc, v24, v13
	s_and_saveexec_b64 s[16:17], vcc
	s_cbranch_execz .LBB218_376
.LBB218_383:                            ;   in Loop: Header=BB218_358 Depth=2
	v_lshrrev_b32_sdwa v0, s69, v6 dst_sel:DWORD dst_unused:UNUSED_PAD src0_sel:DWORD src1_sel:BYTE_0
	v_and_b32_e32 v0, s77, v0
	v_lshlrev_b32_e32 v1, 2, v27
	v_lshl_or_b32 v0, v0, 4, v1
	ds_add_u32 v0, v63
	s_or_b64 exec, exec, s[16:17]
	v_cmp_lt_u32_e32 vcc, v25, v13
	s_and_saveexec_b64 s[16:17], vcc
	s_cbranch_execnz .LBB218_377
.LBB218_384:                            ;   in Loop: Header=BB218_358 Depth=2
	s_or_b64 exec, exec, s[16:17]
	v_cmp_lt_u32_e32 vcc, v26, v13
	s_and_saveexec_b64 s[16:17], vcc
	s_cbranch_execz .LBB218_378
.LBB218_385:                            ;   in Loop: Header=BB218_358 Depth=2
	v_lshrrev_b32_sdwa v0, s69, v8 dst_sel:DWORD dst_unused:UNUSED_PAD src0_sel:DWORD src1_sel:BYTE_0
	v_and_b32_e32 v0, s77, v0
	v_lshlrev_b32_e32 v1, 2, v27
	v_lshl_or_b32 v0, v0, 4, v1
	ds_add_u32 v0, v63
	s_or_b64 exec, exec, s[16:17]
	v_cmp_lt_u32_e32 vcc, v30, v13
	s_and_saveexec_b64 s[16:17], vcc
	s_cbranch_execnz .LBB218_379
.LBB218_386:                            ;   in Loop: Header=BB218_358 Depth=2
	s_or_b64 exec, exec, s[16:17]
	v_cmp_lt_u32_e32 vcc, v31, v13
	s_and_saveexec_b64 s[16:17], vcc
	s_cbranch_execz .LBB218_380
.LBB218_387:                            ;   in Loop: Header=BB218_358 Depth=2
	v_lshrrev_b32_sdwa v0, s69, v10 dst_sel:DWORD dst_unused:UNUSED_PAD src0_sel:DWORD src1_sel:BYTE_0
	v_and_b32_e32 v0, s77, v0
	v_lshlrev_b32_e32 v1, 2, v27
	v_lshl_or_b32 v0, v0, 4, v1
	ds_add_u32 v0, v63
	s_or_b64 exec, exec, s[16:17]
	v_cmp_lt_u32_e32 vcc, v32, v13
	s_and_saveexec_b64 s[16:17], vcc
	s_cbranch_execnz .LBB218_381
.LBB218_388:                            ;   in Loop: Header=BB218_358 Depth=2
	s_or_b64 exec, exec, s[16:17]
	v_cmp_lt_u32_e32 vcc, v33, v13
	s_and_saveexec_b64 s[16:17], vcc
	s_cbranch_execz .LBB218_357
.LBB218_389:                            ;   in Loop: Header=BB218_358 Depth=2
	s_waitcnt vmcnt(0)
	v_lshrrev_b32_sdwa v0, s69, v12 dst_sel:DWORD dst_unused:UNUSED_PAD src0_sel:DWORD src1_sel:BYTE_0
	v_and_b32_e32 v0, s77, v0
	v_lshlrev_b32_e32 v1, 2, v27
	v_lshl_or_b32 v0, v0, 4, v1
	ds_add_u32 v0, v63
	s_branch .LBB218_357
.LBB218_390:                            ;   in Loop: Header=BB218_358 Depth=2
	s_or_b64 exec, exec, s[18:19]
	v_cmp_gt_u32_e32 vcc, s20, v24
	s_and_saveexec_b64 s[18:19], vcc
	s_cbranch_execz .LBB218_364
.LBB218_391:                            ;   in Loop: Header=BB218_358 Depth=2
	v_mov_b32_e32 v1, s24
	v_add_co_u32_e32 v0, vcc, s23, v2
	v_addc_co_u32_e32 v1, vcc, 0, v1, vcc
	global_load_ubyte v6, v[0:1], off offset:256
	s_or_b64 exec, exec, s[18:19]
	v_cmp_gt_u32_e32 vcc, s20, v25
	s_and_saveexec_b64 s[18:19], vcc
	s_cbranch_execnz .LBB218_365
.LBB218_392:                            ;   in Loop: Header=BB218_358 Depth=2
	s_or_b64 exec, exec, s[18:19]
	v_cmp_gt_u32_e32 vcc, s20, v26
	s_and_saveexec_b64 s[18:19], vcc
	s_cbranch_execz .LBB218_366
.LBB218_393:                            ;   in Loop: Header=BB218_358 Depth=2
	v_mov_b32_e32 v1, s24
	v_add_co_u32_e32 v0, vcc, s23, v2
	v_addc_co_u32_e32 v1, vcc, 0, v1, vcc
	global_load_ubyte v8, v[0:1], off offset:768
	s_or_b64 exec, exec, s[18:19]
	v_cmp_gt_u32_e32 vcc, s20, v30
	s_and_saveexec_b64 s[18:19], vcc
	s_cbranch_execnz .LBB218_367
.LBB218_394:                            ;   in Loop: Header=BB218_358 Depth=2
	s_or_b64 exec, exec, s[18:19]
	v_cmp_gt_u32_e32 vcc, s20, v31
	s_and_saveexec_b64 s[18:19], vcc
	s_cbranch_execz .LBB218_368
.LBB218_395:                            ;   in Loop: Header=BB218_358 Depth=2
	v_mov_b32_e32 v1, s24
	v_add_co_u32_e32 v0, vcc, s23, v2
	v_addc_co_u32_e32 v1, vcc, 0, v1, vcc
	global_load_ubyte v10, v[0:1], off offset:1280
	s_or_b64 exec, exec, s[18:19]
	v_cmp_gt_u32_e32 vcc, s20, v32
	s_and_saveexec_b64 s[18:19], vcc
	s_cbranch_execz .LBB218_370
	s_branch .LBB218_369
.LBB218_396:                            ;   in Loop: Header=BB218_20 Depth=1
	v_mov_b32_e32 v0, 0
	s_waitcnt lgkmcnt(0)
	s_barrier
	s_and_saveexec_b64 s[16:17], s[4:5]
	s_cbranch_execz .LBB218_398
; %bb.397:                              ;   in Loop: Header=BB218_20 Depth=1
	ds_read2_b64 v[6:9], v34 offset1:1
	s_waitcnt lgkmcnt(0)
	v_add_u32_e32 v0, v7, v6
	v_add3_u32 v0, v0, v8, v9
.LBB218_398:                            ;   in Loop: Header=BB218_20 Depth=1
	s_or_b64 exec, exec, s[16:17]
	v_and_b32_e32 v1, 15, v64
	v_mov_b32_dpp v5, v0 row_shr:1 row_mask:0xf bank_mask:0xf
	v_cmp_eq_u32_e64 s[16:17], 0, v1
	v_cndmask_b32_e64 v5, v5, 0, s[16:17]
	v_add_u32_e32 v0, v5, v0
	v_cmp_lt_u32_e64 s[18:19], 1, v1
	v_cmp_lt_u32_e64 s[20:21], 3, v1
	v_mov_b32_dpp v5, v0 row_shr:2 row_mask:0xf bank_mask:0xf
	v_cndmask_b32_e64 v5, 0, v5, s[18:19]
	v_add_u32_e32 v0, v0, v5
	v_cmp_lt_u32_e64 s[22:23], 7, v1
	v_cmp_lt_u32_e64 s[26:27], 31, v64
	v_mov_b32_dpp v5, v0 row_shr:4 row_mask:0xf bank_mask:0xf
	v_cndmask_b32_e64 v5, 0, v5, s[20:21]
	v_add_u32_e32 v0, v0, v5
	v_and_b32_e32 v6, 16, v64
	v_cmp_eq_u32_e64 s[24:25], 0, v6
	v_mov_b32_dpp v5, v0 row_shr:8 row_mask:0xf bank_mask:0xf
	v_cndmask_b32_e64 v1, 0, v5, s[22:23]
	v_add_u32_e32 v0, v0, v1
	v_bfe_i32 v5, v64, 4, 1
	s_nop 0
	v_mov_b32_dpp v1, v0 row_bcast:15 row_mask:0xf bank_mask:0xf
	v_and_b32_e32 v1, v5, v1
	v_add_u32_e32 v0, v0, v1
	s_nop 1
	v_mov_b32_dpp v1, v0 row_bcast:31 row_mask:0xf bank_mask:0xf
	v_cndmask_b32_e64 v1, 0, v1, s[26:27]
	v_add_u32_e32 v1, v0, v1
	s_and_saveexec_b64 s[28:29], s[6:7]
	s_cbranch_execz .LBB218_400
; %bb.399:                              ;   in Loop: Header=BB218_20 Depth=1
	ds_write_b32 v36, v1
.LBB218_400:                            ;   in Loop: Header=BB218_20 Depth=1
	s_or_b64 exec, exec, s[28:29]
	v_and_b32_e32 v0, 3, v64
	s_waitcnt lgkmcnt(0)
	s_barrier
	s_and_saveexec_b64 s[28:29], s[8:9]
	s_cbranch_execz .LBB218_402
; %bb.401:                              ;   in Loop: Header=BB218_20 Depth=1
	ds_read_b32 v5, v37
	v_cmp_ne_u32_e32 vcc, 0, v0
	s_waitcnt lgkmcnt(0)
	v_mov_b32_dpp v6, v5 row_shr:1 row_mask:0xf bank_mask:0xf
	v_cndmask_b32_e32 v6, 0, v6, vcc
	v_add_u32_e32 v5, v6, v5
	v_cmp_lt_u32_e32 vcc, 1, v0
	s_nop 0
	v_mov_b32_dpp v6, v5 row_shr:2 row_mask:0xf bank_mask:0xf
	v_cndmask_b32_e32 v6, 0, v6, vcc
	v_add_u32_e32 v5, v5, v6
	ds_write_b32 v37, v5
.LBB218_402:                            ;   in Loop: Header=BB218_20 Depth=1
	s_or_b64 exec, exec, s[28:29]
	v_mov_b32_e32 v5, 0
	s_waitcnt lgkmcnt(0)
	s_barrier
	s_and_saveexec_b64 s[28:29], s[10:11]
	s_cbranch_execz .LBB218_404
; %bb.403:                              ;   in Loop: Header=BB218_20 Depth=1
	ds_read_b32 v5, v38
.LBB218_404:                            ;   in Loop: Header=BB218_20 Depth=1
	s_or_b64 exec, exec, s[28:29]
	v_add_u32_e32 v6, -1, v64
	v_and_b32_e32 v7, 64, v64
	v_cmp_lt_i32_e32 vcc, v6, v7
	v_cndmask_b32_e32 v6, v6, v64, vcc
	s_waitcnt lgkmcnt(0)
	v_add_u32_e32 v1, v5, v1
	v_lshlrev_b32_e32 v65, 2, v6
	ds_bpermute_b32 v1, v65, v1
	v_cmp_eq_u32_e64 s[28:29], 0, v64
	s_waitcnt lgkmcnt(0)
	s_barrier
	s_and_saveexec_b64 s[30:31], s[4:5]
	s_cbranch_execz .LBB218_406
; %bb.405:                              ;   in Loop: Header=BB218_20 Depth=1
	v_cndmask_b32_e64 v1, v1, v5, s[28:29]
	v_add_u32_e32 v1, s51, v1
	ds_write_b32 v3, v1
.LBB218_406:                            ;   in Loop: Header=BB218_20 Depth=1
	s_or_b64 exec, exec, s[30:31]
	s_load_dwordx2 s[30:31], s[74:75], 0x0
	v_and_b32_e32 v21, 63, v64
	v_add_co_u32_e32 v74, vcc, v61, v21
	v_lshlrev_b32_e32 v22, 3, v21
	s_waitcnt lgkmcnt(0)
	s_cmp_lt_u32 s50, s30
	s_cselect_b32 s34, 12, 18
	s_cmp_lt_u32 s33, s31
	s_cselect_b32 s30, 14, 20
	s_add_u32 s30, s74, s30
	s_addc_u32 s31, s75, 0
	s_add_u32 s34, s74, s34
	global_load_ushort v5, v4, s[30:31]
	s_addc_u32 s35, s75, 0
	global_load_ushort v20, v4, s[34:35]
	v_addc_co_u32_e32 v76, vcc, 0, v62, vcc
	v_add_co_u32_e32 v77, vcc, v59, v22
	v_addc_co_u32_e32 v78, vcc, 0, v60, vcc
	v_or_b32_e32 v72, v21, v39
	v_add_co_u32_e32 v86, vcc, 0x1c0, v74
	v_cmp_eq_u32_e64 s[30:31], 0, v0
	v_cmp_lt_u32_e64 s[34:35], 1, v0
	s_mov_b32 s78, s71
	v_or_b32_e32 v79, 64, v72
	v_or_b32_e32 v80, 0x80, v72
	;; [unrolled: 1-line block ×7, first 2 shown]
	v_addc_co_u32_e32 v87, vcc, 0, v76, vcc
	s_mov_b32 s72, s51
                                        ; implicit-def: $vgpr0_vgpr1
                                        ; implicit-def: $vgpr6_vgpr7
                                        ; implicit-def: $vgpr8_vgpr9
                                        ; implicit-def: $vgpr10_vgpr11
                                        ; implicit-def: $vgpr12_vgpr13
                                        ; implicit-def: $vgpr14_vgpr15
                                        ; implicit-def: $vgpr16_vgpr17
                                        ; implicit-def: $vgpr18_vgpr19
                                        ; implicit-def: $vgpr66
                                        ; implicit-def: $vgpr67
                                        ; implicit-def: $vgpr68
                                        ; implicit-def: $vgpr69
                                        ; implicit-def: $vgpr70
                                        ; implicit-def: $vgpr71
                                        ; implicit-def: $vgpr73
                                        ; implicit-def: $vgpr75
	s_waitcnt vmcnt(1)
	v_mad_u32_u24 v5, v40, v5, v41
	s_waitcnt vmcnt(0)
	v_mad_u64_u32 v[20:21], s[36:37], v5, v20, v[2:3]
	v_lshrrev_b32_e32 v88, 6, v20
	s_branch .LBB218_408
.LBB218_407:                            ;   in Loop: Header=BB218_408 Depth=2
	s_or_b64 exec, exec, s[36:37]
	s_addk_i32 s78, 0xf800
	s_cmp_lt_u32 s79, s76
	s_mov_b32 s72, s79
	s_cbranch_scc0 .LBB218_520
.LBB218_408:                            ;   Parent Loop BB218_20 Depth=1
                                        ; =>  This Inner Loop Header: Depth=2
	s_add_i32 s79, s72, 0x800
	s_cmp_gt_u32 s79, s76
	s_cbranch_scc1 .LBB218_411
; %bb.409:                              ;   in Loop: Header=BB218_408 Depth=2
	v_add_co_u32_e32 v20, vcc, s72, v74
	v_addc_co_u32_e32 v21, vcc, 0, v76, vcc
	global_load_ubyte v90, v[20:21], off
	global_load_ubyte v91, v[20:21], off offset:64
	global_load_ubyte v92, v[20:21], off offset:128
	;; [unrolled: 1-line block ×6, first 2 shown]
	s_mov_b64 s[36:37], -1
	s_movk_i32 s40, 0x800
	s_cbranch_execz .LBB218_412
; %bb.410:                              ;   in Loop: Header=BB218_408 Depth=2
                                        ; implicit-def: $sgpr38
	v_mov_b32_e32 v97, s38
	v_mov_b32_e32 v89, s78
	s_and_saveexec_b64 s[38:39], s[36:37]
	s_cbranch_execnz .LBB218_427
	s_branch .LBB218_428
.LBB218_411:                            ;   in Loop: Header=BB218_408 Depth=2
	s_mov_b64 s[36:37], 0
                                        ; implicit-def: $sgpr40
                                        ; implicit-def: $vgpr90
                                        ; implicit-def: $vgpr91
                                        ; implicit-def: $vgpr92
                                        ; implicit-def: $vgpr93
                                        ; implicit-def: $vgpr94
                                        ; implicit-def: $vgpr95
                                        ; implicit-def: $vgpr96
.LBB218_412:                            ;   in Loop: Header=BB218_408 Depth=2
	v_add_co_u32_e32 v20, vcc, s72, v74
	v_addc_co_u32_e32 v21, vcc, 0, v76, vcc
	v_cmp_gt_u32_e32 vcc, s78, v72
	s_waitcnt vmcnt(5)
	v_mov_b32_e32 v91, 0xff
	v_mov_b32_e32 v90, 0xff
	s_and_saveexec_b64 s[36:37], vcc
	s_cbranch_execz .LBB218_414
; %bb.413:                              ;   in Loop: Header=BB218_408 Depth=2
	global_load_ubyte v90, v[20:21], off
.LBB218_414:                            ;   in Loop: Header=BB218_408 Depth=2
	s_or_b64 exec, exec, s[36:37]
	v_cmp_gt_u32_e32 vcc, s78, v79
	s_and_saveexec_b64 s[36:37], vcc
	s_cbranch_execz .LBB218_416
; %bb.415:                              ;   in Loop: Header=BB218_408 Depth=2
	global_load_ubyte v91, v[20:21], off offset:64
.LBB218_416:                            ;   in Loop: Header=BB218_408 Depth=2
	s_or_b64 exec, exec, s[36:37]
	v_cmp_gt_u32_e32 vcc, s78, v80
	s_waitcnt vmcnt(3)
	v_mov_b32_e32 v93, 0xff
	v_mov_b32_e32 v92, 0xff
	s_and_saveexec_b64 s[36:37], vcc
	s_cbranch_execz .LBB218_418
; %bb.417:                              ;   in Loop: Header=BB218_408 Depth=2
	global_load_ubyte v92, v[20:21], off offset:128
.LBB218_418:                            ;   in Loop: Header=BB218_408 Depth=2
	s_or_b64 exec, exec, s[36:37]
	v_cmp_gt_u32_e32 vcc, s78, v81
	s_and_saveexec_b64 s[36:37], vcc
	s_cbranch_execz .LBB218_420
; %bb.419:                              ;   in Loop: Header=BB218_408 Depth=2
	global_load_ubyte v93, v[20:21], off offset:192
.LBB218_420:                            ;   in Loop: Header=BB218_408 Depth=2
	s_or_b64 exec, exec, s[36:37]
	v_cmp_gt_u32_e32 vcc, s78, v82
	s_waitcnt vmcnt(1)
	v_mov_b32_e32 v95, 0xff
	v_mov_b32_e32 v94, 0xff
	s_and_saveexec_b64 s[36:37], vcc
	s_cbranch_execz .LBB218_422
; %bb.421:                              ;   in Loop: Header=BB218_408 Depth=2
	global_load_ubyte v94, v[20:21], off offset:256
.LBB218_422:                            ;   in Loop: Header=BB218_408 Depth=2
	s_or_b64 exec, exec, s[36:37]
	v_cmp_gt_u32_e32 vcc, s78, v83
	s_and_saveexec_b64 s[36:37], vcc
	s_cbranch_execz .LBB218_424
; %bb.423:                              ;   in Loop: Header=BB218_408 Depth=2
	global_load_ubyte v95, v[20:21], off offset:320
.LBB218_424:                            ;   in Loop: Header=BB218_408 Depth=2
	s_or_b64 exec, exec, s[36:37]
	v_cmp_gt_u32_e32 vcc, s78, v84
	s_waitcnt vmcnt(0)
	v_mov_b32_e32 v96, 0xff
	s_and_saveexec_b64 s[36:37], vcc
	s_cbranch_execz .LBB218_426
; %bb.425:                              ;   in Loop: Header=BB218_408 Depth=2
	global_load_ubyte v96, v[20:21], off offset:384
.LBB218_426:                            ;   in Loop: Header=BB218_408 Depth=2
	s_or_b64 exec, exec, s[36:37]
	s_sub_i32 s40, s76, s72
	v_cmp_gt_u32_e64 s[36:37], s78, v85
	s_movk_i32 s38, 0xff
	v_mov_b32_e32 v97, s38
	v_mov_b32_e32 v89, s78
	s_and_saveexec_b64 s[38:39], s[36:37]
	s_cbranch_execz .LBB218_428
.LBB218_427:                            ;   in Loop: Header=BB218_408 Depth=2
	v_mov_b32_e32 v5, s73
	v_add_co_u32_e32 v20, vcc, s72, v86
	v_addc_co_u32_e32 v21, vcc, v87, v5, vcc
	global_load_ubyte v97, v[20:21], off
	v_mov_b32_e32 v89, s40
.LBB218_428:                            ;   in Loop: Header=BB218_408 Depth=2
	s_or_b64 exec, exec, s[38:39]
	v_add_u32_e32 v5, 0x410, v42
	ds_write2_b32 v5, v4, v4 offset1:1
	ds_write2_b32 v44, v4, v4 offset0:2 offset1:3
	ds_write_b32 v44, v4 offset:16
	s_waitcnt vmcnt(6)
	v_lshrrev_b32_sdwa v5, s69, v90 dst_sel:DWORD dst_unused:UNUSED_PAD src0_sel:DWORD src1_sel:BYTE_0
	v_and_b32_e32 v20, s77, v5
	v_mad_u32_u24 v5, v20, 5, v88
	v_lshl_add_u32 v98, v5, 2, v43
	v_and_b32_e32 v5, 1, v20
	v_add_co_u32_e32 v21, vcc, -1, v5
	v_addc_co_u32_e64 v22, s[36:37], 0, -1, vcc
	v_cmp_ne_u32_e32 vcc, 0, v5
	v_xor_b32_e32 v5, vcc_hi, v22
	v_and_b32_e32 v22, exec_hi, v5
	v_lshlrev_b32_e32 v5, 30, v20
	v_xor_b32_e32 v21, vcc_lo, v21
	v_cmp_gt_i64_e32 vcc, 0, v[4:5]
	v_not_b32_e32 v5, v5
	v_ashrrev_i32_e32 v5, 31, v5
	v_and_b32_e32 v21, exec_lo, v21
	v_xor_b32_e32 v23, vcc_hi, v5
	v_xor_b32_e32 v5, vcc_lo, v5
	v_and_b32_e32 v21, v21, v5
	v_lshlrev_b32_e32 v5, 29, v20
	v_cmp_gt_i64_e32 vcc, 0, v[4:5]
	v_not_b32_e32 v5, v5
	v_ashrrev_i32_e32 v5, 31, v5
	v_and_b32_e32 v22, v22, v23
	v_xor_b32_e32 v23, vcc_hi, v5
	v_xor_b32_e32 v5, vcc_lo, v5
	v_and_b32_e32 v21, v21, v5
	v_lshlrev_b32_e32 v5, 28, v20
	v_cmp_gt_i64_e32 vcc, 0, v[4:5]
	v_not_b32_e32 v5, v5
	v_ashrrev_i32_e32 v5, 31, v5
	v_and_b32_e32 v22, v22, v23
	;; [unrolled: 8-line block ×5, first 2 shown]
	v_xor_b32_e32 v23, vcc_hi, v5
	v_xor_b32_e32 v5, vcc_lo, v5
	v_and_b32_e32 v22, v22, v23
	v_and_b32_e32 v23, v21, v5
	v_lshlrev_b32_e32 v5, 24, v20
	v_cmp_gt_i64_e32 vcc, 0, v[4:5]
	v_not_b32_e32 v5, v5
	v_ashrrev_i32_e32 v5, 31, v5
	v_xor_b32_e32 v20, vcc_hi, v5
	v_xor_b32_e32 v5, vcc_lo, v5
	v_and_b32_e32 v21, v22, v20
	v_and_b32_e32 v20, v23, v5
	v_mbcnt_lo_u32_b32 v5, v20, 0
	v_mbcnt_hi_u32_b32 v99, v21, v5
	v_cmp_eq_u32_e32 vcc, 0, v99
	v_cmp_ne_u64_e64 s[36:37], 0, v[20:21]
	s_and_b64 s[38:39], s[36:37], vcc
	s_waitcnt lgkmcnt(0)
	s_barrier
	s_waitcnt lgkmcnt(0)
	; wave barrier
	s_and_saveexec_b64 s[36:37], s[38:39]
	s_cbranch_execz .LBB218_430
; %bb.429:                              ;   in Loop: Header=BB218_408 Depth=2
	v_bcnt_u32_b32 v5, v20, 0
	v_bcnt_u32_b32 v5, v21, v5
	ds_write_b32 v98, v5
.LBB218_430:                            ;   in Loop: Header=BB218_408 Depth=2
	s_or_b64 exec, exec, s[36:37]
	s_waitcnt vmcnt(5)
	v_lshrrev_b32_sdwa v5, s69, v91 dst_sel:DWORD dst_unused:UNUSED_PAD src0_sel:DWORD src1_sel:BYTE_0
	v_and_b32_e32 v20, s77, v5
	v_mul_u32_u24_e32 v5, 5, v20
	v_add_lshl_u32 v5, v5, v88, 2
	; wave barrier
	v_add_u32_e32 v101, 0x410, v5
	ds_read_b32 v100, v5 offset:1040
	v_and_b32_e32 v5, 1, v20
	v_add_co_u32_e32 v21, vcc, -1, v5
	v_addc_co_u32_e64 v22, s[36:37], 0, -1, vcc
	v_cmp_ne_u32_e32 vcc, 0, v5
	v_xor_b32_e32 v5, vcc_hi, v22
	v_and_b32_e32 v22, exec_hi, v5
	v_lshlrev_b32_e32 v5, 30, v20
	v_xor_b32_e32 v21, vcc_lo, v21
	v_cmp_gt_i64_e32 vcc, 0, v[4:5]
	v_not_b32_e32 v5, v5
	v_ashrrev_i32_e32 v5, 31, v5
	v_and_b32_e32 v21, exec_lo, v21
	v_xor_b32_e32 v23, vcc_hi, v5
	v_xor_b32_e32 v5, vcc_lo, v5
	v_and_b32_e32 v21, v21, v5
	v_lshlrev_b32_e32 v5, 29, v20
	v_cmp_gt_i64_e32 vcc, 0, v[4:5]
	v_not_b32_e32 v5, v5
	v_ashrrev_i32_e32 v5, 31, v5
	v_and_b32_e32 v22, v22, v23
	v_xor_b32_e32 v23, vcc_hi, v5
	v_xor_b32_e32 v5, vcc_lo, v5
	v_and_b32_e32 v21, v21, v5
	v_lshlrev_b32_e32 v5, 28, v20
	v_cmp_gt_i64_e32 vcc, 0, v[4:5]
	v_not_b32_e32 v5, v5
	v_ashrrev_i32_e32 v5, 31, v5
	v_and_b32_e32 v22, v22, v23
	;; [unrolled: 8-line block ×5, first 2 shown]
	v_xor_b32_e32 v23, vcc_hi, v5
	v_xor_b32_e32 v5, vcc_lo, v5
	v_and_b32_e32 v22, v22, v23
	v_and_b32_e32 v23, v21, v5
	v_lshlrev_b32_e32 v5, 24, v20
	v_cmp_gt_i64_e32 vcc, 0, v[4:5]
	v_not_b32_e32 v5, v5
	v_ashrrev_i32_e32 v5, 31, v5
	v_xor_b32_e32 v20, vcc_hi, v5
	v_xor_b32_e32 v5, vcc_lo, v5
	v_and_b32_e32 v21, v22, v20
	v_and_b32_e32 v20, v23, v5
	v_mbcnt_lo_u32_b32 v5, v20, 0
	v_mbcnt_hi_u32_b32 v102, v21, v5
	v_cmp_eq_u32_e32 vcc, 0, v102
	v_cmp_ne_u64_e64 s[36:37], 0, v[20:21]
	s_and_b64 s[38:39], s[36:37], vcc
	; wave barrier
	s_and_saveexec_b64 s[36:37], s[38:39]
	s_cbranch_execz .LBB218_432
; %bb.431:                              ;   in Loop: Header=BB218_408 Depth=2
	v_bcnt_u32_b32 v5, v20, 0
	v_bcnt_u32_b32 v5, v21, v5
	s_waitcnt lgkmcnt(0)
	v_add_u32_e32 v5, v100, v5
	ds_write_b32 v101, v5
.LBB218_432:                            ;   in Loop: Header=BB218_408 Depth=2
	s_or_b64 exec, exec, s[36:37]
	s_waitcnt vmcnt(4)
	v_lshrrev_b32_sdwa v5, s69, v92 dst_sel:DWORD dst_unused:UNUSED_PAD src0_sel:DWORD src1_sel:BYTE_0
	v_and_b32_e32 v20, s77, v5
	v_mul_u32_u24_e32 v5, 5, v20
	v_add_lshl_u32 v5, v5, v88, 2
	; wave barrier
	v_add_u32_e32 v104, 0x410, v5
	ds_read_b32 v103, v5 offset:1040
	v_and_b32_e32 v5, 1, v20
	v_add_co_u32_e32 v21, vcc, -1, v5
	v_addc_co_u32_e64 v22, s[36:37], 0, -1, vcc
	v_cmp_ne_u32_e32 vcc, 0, v5
	v_xor_b32_e32 v5, vcc_hi, v22
	v_and_b32_e32 v22, exec_hi, v5
	v_lshlrev_b32_e32 v5, 30, v20
	v_xor_b32_e32 v21, vcc_lo, v21
	v_cmp_gt_i64_e32 vcc, 0, v[4:5]
	v_not_b32_e32 v5, v5
	v_ashrrev_i32_e32 v5, 31, v5
	v_and_b32_e32 v21, exec_lo, v21
	v_xor_b32_e32 v23, vcc_hi, v5
	v_xor_b32_e32 v5, vcc_lo, v5
	v_and_b32_e32 v21, v21, v5
	v_lshlrev_b32_e32 v5, 29, v20
	v_cmp_gt_i64_e32 vcc, 0, v[4:5]
	v_not_b32_e32 v5, v5
	v_ashrrev_i32_e32 v5, 31, v5
	v_and_b32_e32 v22, v22, v23
	v_xor_b32_e32 v23, vcc_hi, v5
	v_xor_b32_e32 v5, vcc_lo, v5
	v_and_b32_e32 v21, v21, v5
	v_lshlrev_b32_e32 v5, 28, v20
	v_cmp_gt_i64_e32 vcc, 0, v[4:5]
	v_not_b32_e32 v5, v5
	v_ashrrev_i32_e32 v5, 31, v5
	v_and_b32_e32 v22, v22, v23
	;; [unrolled: 8-line block ×5, first 2 shown]
	v_xor_b32_e32 v23, vcc_hi, v5
	v_xor_b32_e32 v5, vcc_lo, v5
	v_and_b32_e32 v22, v22, v23
	v_and_b32_e32 v23, v21, v5
	v_lshlrev_b32_e32 v5, 24, v20
	v_cmp_gt_i64_e32 vcc, 0, v[4:5]
	v_not_b32_e32 v5, v5
	v_ashrrev_i32_e32 v5, 31, v5
	v_xor_b32_e32 v20, vcc_hi, v5
	v_xor_b32_e32 v5, vcc_lo, v5
	v_and_b32_e32 v21, v22, v20
	v_and_b32_e32 v20, v23, v5
	v_mbcnt_lo_u32_b32 v5, v20, 0
	v_mbcnt_hi_u32_b32 v105, v21, v5
	v_cmp_eq_u32_e32 vcc, 0, v105
	v_cmp_ne_u64_e64 s[36:37], 0, v[20:21]
	s_and_b64 s[38:39], s[36:37], vcc
	; wave barrier
	s_and_saveexec_b64 s[36:37], s[38:39]
	s_cbranch_execz .LBB218_434
; %bb.433:                              ;   in Loop: Header=BB218_408 Depth=2
	v_bcnt_u32_b32 v5, v20, 0
	v_bcnt_u32_b32 v5, v21, v5
	s_waitcnt lgkmcnt(0)
	v_add_u32_e32 v5, v103, v5
	ds_write_b32 v104, v5
.LBB218_434:                            ;   in Loop: Header=BB218_408 Depth=2
	s_or_b64 exec, exec, s[36:37]
	s_waitcnt vmcnt(3)
	v_lshrrev_b32_sdwa v5, s69, v93 dst_sel:DWORD dst_unused:UNUSED_PAD src0_sel:DWORD src1_sel:BYTE_0
	v_and_b32_e32 v20, s77, v5
	v_mul_u32_u24_e32 v5, 5, v20
	v_add_lshl_u32 v5, v5, v88, 2
	; wave barrier
	v_add_u32_e32 v107, 0x410, v5
	ds_read_b32 v106, v5 offset:1040
	v_and_b32_e32 v5, 1, v20
	v_add_co_u32_e32 v21, vcc, -1, v5
	v_addc_co_u32_e64 v22, s[36:37], 0, -1, vcc
	v_cmp_ne_u32_e32 vcc, 0, v5
	v_xor_b32_e32 v5, vcc_hi, v22
	v_and_b32_e32 v22, exec_hi, v5
	v_lshlrev_b32_e32 v5, 30, v20
	v_xor_b32_e32 v21, vcc_lo, v21
	v_cmp_gt_i64_e32 vcc, 0, v[4:5]
	v_not_b32_e32 v5, v5
	v_ashrrev_i32_e32 v5, 31, v5
	v_and_b32_e32 v21, exec_lo, v21
	v_xor_b32_e32 v23, vcc_hi, v5
	v_xor_b32_e32 v5, vcc_lo, v5
	v_and_b32_e32 v21, v21, v5
	v_lshlrev_b32_e32 v5, 29, v20
	v_cmp_gt_i64_e32 vcc, 0, v[4:5]
	v_not_b32_e32 v5, v5
	v_ashrrev_i32_e32 v5, 31, v5
	v_and_b32_e32 v22, v22, v23
	v_xor_b32_e32 v23, vcc_hi, v5
	v_xor_b32_e32 v5, vcc_lo, v5
	v_and_b32_e32 v21, v21, v5
	v_lshlrev_b32_e32 v5, 28, v20
	v_cmp_gt_i64_e32 vcc, 0, v[4:5]
	v_not_b32_e32 v5, v5
	v_ashrrev_i32_e32 v5, 31, v5
	v_and_b32_e32 v22, v22, v23
	;; [unrolled: 8-line block ×5, first 2 shown]
	v_xor_b32_e32 v23, vcc_hi, v5
	v_xor_b32_e32 v5, vcc_lo, v5
	v_and_b32_e32 v22, v22, v23
	v_and_b32_e32 v23, v21, v5
	v_lshlrev_b32_e32 v5, 24, v20
	v_cmp_gt_i64_e32 vcc, 0, v[4:5]
	v_not_b32_e32 v5, v5
	v_ashrrev_i32_e32 v5, 31, v5
	v_xor_b32_e32 v20, vcc_hi, v5
	v_xor_b32_e32 v5, vcc_lo, v5
	v_and_b32_e32 v21, v22, v20
	v_and_b32_e32 v20, v23, v5
	v_mbcnt_lo_u32_b32 v5, v20, 0
	v_mbcnt_hi_u32_b32 v108, v21, v5
	v_cmp_eq_u32_e32 vcc, 0, v108
	v_cmp_ne_u64_e64 s[36:37], 0, v[20:21]
	s_and_b64 s[38:39], s[36:37], vcc
	; wave barrier
	s_and_saveexec_b64 s[36:37], s[38:39]
	s_cbranch_execz .LBB218_436
; %bb.435:                              ;   in Loop: Header=BB218_408 Depth=2
	v_bcnt_u32_b32 v5, v20, 0
	v_bcnt_u32_b32 v5, v21, v5
	s_waitcnt lgkmcnt(0)
	v_add_u32_e32 v5, v106, v5
	ds_write_b32 v107, v5
.LBB218_436:                            ;   in Loop: Header=BB218_408 Depth=2
	s_or_b64 exec, exec, s[36:37]
	s_waitcnt vmcnt(2)
	v_lshrrev_b32_sdwa v5, s69, v94 dst_sel:DWORD dst_unused:UNUSED_PAD src0_sel:DWORD src1_sel:BYTE_0
	v_and_b32_e32 v20, s77, v5
	v_mul_u32_u24_e32 v5, 5, v20
	v_add_lshl_u32 v5, v5, v88, 2
	; wave barrier
	v_add_u32_e32 v110, 0x410, v5
	ds_read_b32 v109, v5 offset:1040
	v_and_b32_e32 v5, 1, v20
	v_add_co_u32_e32 v21, vcc, -1, v5
	v_addc_co_u32_e64 v22, s[36:37], 0, -1, vcc
	v_cmp_ne_u32_e32 vcc, 0, v5
	v_xor_b32_e32 v5, vcc_hi, v22
	v_and_b32_e32 v22, exec_hi, v5
	v_lshlrev_b32_e32 v5, 30, v20
	v_xor_b32_e32 v21, vcc_lo, v21
	v_cmp_gt_i64_e32 vcc, 0, v[4:5]
	v_not_b32_e32 v5, v5
	v_ashrrev_i32_e32 v5, 31, v5
	v_and_b32_e32 v21, exec_lo, v21
	v_xor_b32_e32 v23, vcc_hi, v5
	v_xor_b32_e32 v5, vcc_lo, v5
	v_and_b32_e32 v21, v21, v5
	v_lshlrev_b32_e32 v5, 29, v20
	v_cmp_gt_i64_e32 vcc, 0, v[4:5]
	v_not_b32_e32 v5, v5
	v_ashrrev_i32_e32 v5, 31, v5
	v_and_b32_e32 v22, v22, v23
	v_xor_b32_e32 v23, vcc_hi, v5
	v_xor_b32_e32 v5, vcc_lo, v5
	v_and_b32_e32 v21, v21, v5
	v_lshlrev_b32_e32 v5, 28, v20
	v_cmp_gt_i64_e32 vcc, 0, v[4:5]
	v_not_b32_e32 v5, v5
	v_ashrrev_i32_e32 v5, 31, v5
	v_and_b32_e32 v22, v22, v23
	;; [unrolled: 8-line block ×5, first 2 shown]
	v_xor_b32_e32 v23, vcc_hi, v5
	v_xor_b32_e32 v5, vcc_lo, v5
	v_and_b32_e32 v22, v22, v23
	v_and_b32_e32 v23, v21, v5
	v_lshlrev_b32_e32 v5, 24, v20
	v_cmp_gt_i64_e32 vcc, 0, v[4:5]
	v_not_b32_e32 v5, v5
	v_ashrrev_i32_e32 v5, 31, v5
	v_xor_b32_e32 v20, vcc_hi, v5
	v_xor_b32_e32 v5, vcc_lo, v5
	v_and_b32_e32 v21, v22, v20
	v_and_b32_e32 v20, v23, v5
	v_mbcnt_lo_u32_b32 v5, v20, 0
	v_mbcnt_hi_u32_b32 v111, v21, v5
	v_cmp_eq_u32_e32 vcc, 0, v111
	v_cmp_ne_u64_e64 s[36:37], 0, v[20:21]
	s_and_b64 s[38:39], s[36:37], vcc
	; wave barrier
	s_and_saveexec_b64 s[36:37], s[38:39]
	s_cbranch_execz .LBB218_438
; %bb.437:                              ;   in Loop: Header=BB218_408 Depth=2
	v_bcnt_u32_b32 v5, v20, 0
	v_bcnt_u32_b32 v5, v21, v5
	s_waitcnt lgkmcnt(0)
	v_add_u32_e32 v5, v109, v5
	ds_write_b32 v110, v5
.LBB218_438:                            ;   in Loop: Header=BB218_408 Depth=2
	s_or_b64 exec, exec, s[36:37]
	s_waitcnt vmcnt(1)
	v_lshrrev_b32_sdwa v5, s69, v95 dst_sel:DWORD dst_unused:UNUSED_PAD src0_sel:DWORD src1_sel:BYTE_0
	v_and_b32_e32 v20, s77, v5
	v_mul_u32_u24_e32 v5, 5, v20
	v_add_lshl_u32 v5, v5, v88, 2
	; wave barrier
	v_add_u32_e32 v113, 0x410, v5
	ds_read_b32 v112, v5 offset:1040
	v_and_b32_e32 v5, 1, v20
	v_add_co_u32_e32 v21, vcc, -1, v5
	v_addc_co_u32_e64 v22, s[36:37], 0, -1, vcc
	v_cmp_ne_u32_e32 vcc, 0, v5
	v_xor_b32_e32 v5, vcc_hi, v22
	v_and_b32_e32 v22, exec_hi, v5
	v_lshlrev_b32_e32 v5, 30, v20
	v_xor_b32_e32 v21, vcc_lo, v21
	v_cmp_gt_i64_e32 vcc, 0, v[4:5]
	v_not_b32_e32 v5, v5
	v_ashrrev_i32_e32 v5, 31, v5
	v_and_b32_e32 v21, exec_lo, v21
	v_xor_b32_e32 v23, vcc_hi, v5
	v_xor_b32_e32 v5, vcc_lo, v5
	v_and_b32_e32 v21, v21, v5
	v_lshlrev_b32_e32 v5, 29, v20
	v_cmp_gt_i64_e32 vcc, 0, v[4:5]
	v_not_b32_e32 v5, v5
	v_ashrrev_i32_e32 v5, 31, v5
	v_and_b32_e32 v22, v22, v23
	v_xor_b32_e32 v23, vcc_hi, v5
	v_xor_b32_e32 v5, vcc_lo, v5
	v_and_b32_e32 v21, v21, v5
	v_lshlrev_b32_e32 v5, 28, v20
	v_cmp_gt_i64_e32 vcc, 0, v[4:5]
	v_not_b32_e32 v5, v5
	v_ashrrev_i32_e32 v5, 31, v5
	v_and_b32_e32 v22, v22, v23
	v_xor_b32_e32 v23, vcc_hi, v5
	v_xor_b32_e32 v5, vcc_lo, v5
	v_and_b32_e32 v21, v21, v5
	v_lshlrev_b32_e32 v5, 27, v20
	v_cmp_gt_i64_e32 vcc, 0, v[4:5]
	v_not_b32_e32 v5, v5
	v_ashrrev_i32_e32 v5, 31, v5
	v_and_b32_e32 v22, v22, v23
	v_xor_b32_e32 v23, vcc_hi, v5
	v_xor_b32_e32 v5, vcc_lo, v5
	v_and_b32_e32 v21, v21, v5
	v_lshlrev_b32_e32 v5, 26, v20
	v_cmp_gt_i64_e32 vcc, 0, v[4:5]
	v_not_b32_e32 v5, v5
	v_ashrrev_i32_e32 v5, 31, v5
	v_and_b32_e32 v22, v22, v23
	v_xor_b32_e32 v23, vcc_hi, v5
	v_xor_b32_e32 v5, vcc_lo, v5
	v_and_b32_e32 v21, v21, v5
	v_lshlrev_b32_e32 v5, 25, v20
	v_cmp_gt_i64_e32 vcc, 0, v[4:5]
	v_not_b32_e32 v5, v5
	v_ashrrev_i32_e32 v5, 31, v5
	v_and_b32_e32 v22, v22, v23
	v_xor_b32_e32 v23, vcc_hi, v5
	v_xor_b32_e32 v5, vcc_lo, v5
	v_and_b32_e32 v22, v22, v23
	v_and_b32_e32 v23, v21, v5
	v_lshlrev_b32_e32 v5, 24, v20
	v_cmp_gt_i64_e32 vcc, 0, v[4:5]
	v_not_b32_e32 v5, v5
	v_ashrrev_i32_e32 v5, 31, v5
	v_xor_b32_e32 v20, vcc_hi, v5
	v_xor_b32_e32 v5, vcc_lo, v5
	v_and_b32_e32 v21, v22, v20
	v_and_b32_e32 v20, v23, v5
	v_mbcnt_lo_u32_b32 v5, v20, 0
	v_mbcnt_hi_u32_b32 v114, v21, v5
	v_cmp_eq_u32_e32 vcc, 0, v114
	v_cmp_ne_u64_e64 s[36:37], 0, v[20:21]
	s_and_b64 s[38:39], s[36:37], vcc
	; wave barrier
	s_and_saveexec_b64 s[36:37], s[38:39]
	s_cbranch_execz .LBB218_440
; %bb.439:                              ;   in Loop: Header=BB218_408 Depth=2
	v_bcnt_u32_b32 v5, v20, 0
	v_bcnt_u32_b32 v5, v21, v5
	s_waitcnt lgkmcnt(0)
	v_add_u32_e32 v5, v112, v5
	ds_write_b32 v113, v5
.LBB218_440:                            ;   in Loop: Header=BB218_408 Depth=2
	s_or_b64 exec, exec, s[36:37]
	s_waitcnt vmcnt(0)
	v_lshrrev_b32_sdwa v5, s69, v96 dst_sel:DWORD dst_unused:UNUSED_PAD src0_sel:DWORD src1_sel:BYTE_0
	v_and_b32_e32 v20, s77, v5
	v_mul_u32_u24_e32 v5, 5, v20
	v_add_lshl_u32 v5, v5, v88, 2
	; wave barrier
	v_add_u32_e32 v116, 0x410, v5
	ds_read_b32 v115, v5 offset:1040
	v_and_b32_e32 v5, 1, v20
	v_add_co_u32_e32 v21, vcc, -1, v5
	v_addc_co_u32_e64 v22, s[36:37], 0, -1, vcc
	v_cmp_ne_u32_e32 vcc, 0, v5
	v_xor_b32_e32 v5, vcc_hi, v22
	v_and_b32_e32 v22, exec_hi, v5
	v_lshlrev_b32_e32 v5, 30, v20
	v_xor_b32_e32 v21, vcc_lo, v21
	v_cmp_gt_i64_e32 vcc, 0, v[4:5]
	v_not_b32_e32 v5, v5
	v_ashrrev_i32_e32 v5, 31, v5
	v_and_b32_e32 v21, exec_lo, v21
	v_xor_b32_e32 v23, vcc_hi, v5
	v_xor_b32_e32 v5, vcc_lo, v5
	v_and_b32_e32 v21, v21, v5
	v_lshlrev_b32_e32 v5, 29, v20
	v_cmp_gt_i64_e32 vcc, 0, v[4:5]
	v_not_b32_e32 v5, v5
	v_ashrrev_i32_e32 v5, 31, v5
	v_and_b32_e32 v22, v22, v23
	v_xor_b32_e32 v23, vcc_hi, v5
	v_xor_b32_e32 v5, vcc_lo, v5
	v_and_b32_e32 v21, v21, v5
	v_lshlrev_b32_e32 v5, 28, v20
	v_cmp_gt_i64_e32 vcc, 0, v[4:5]
	v_not_b32_e32 v5, v5
	v_ashrrev_i32_e32 v5, 31, v5
	v_and_b32_e32 v22, v22, v23
	;; [unrolled: 8-line block ×5, first 2 shown]
	v_xor_b32_e32 v23, vcc_hi, v5
	v_xor_b32_e32 v5, vcc_lo, v5
	v_and_b32_e32 v22, v22, v23
	v_and_b32_e32 v23, v21, v5
	v_lshlrev_b32_e32 v5, 24, v20
	v_cmp_gt_i64_e32 vcc, 0, v[4:5]
	v_not_b32_e32 v5, v5
	v_ashrrev_i32_e32 v5, 31, v5
	v_xor_b32_e32 v20, vcc_hi, v5
	v_xor_b32_e32 v5, vcc_lo, v5
	v_and_b32_e32 v21, v22, v20
	v_and_b32_e32 v20, v23, v5
	v_mbcnt_lo_u32_b32 v5, v20, 0
	v_mbcnt_hi_u32_b32 v117, v21, v5
	v_cmp_eq_u32_e32 vcc, 0, v117
	v_cmp_ne_u64_e64 s[36:37], 0, v[20:21]
	s_and_b64 s[38:39], s[36:37], vcc
	; wave barrier
	s_and_saveexec_b64 s[36:37], s[38:39]
	s_cbranch_execz .LBB218_442
; %bb.441:                              ;   in Loop: Header=BB218_408 Depth=2
	v_bcnt_u32_b32 v5, v20, 0
	v_bcnt_u32_b32 v5, v21, v5
	s_waitcnt lgkmcnt(0)
	v_add_u32_e32 v5, v115, v5
	ds_write_b32 v116, v5
.LBB218_442:                            ;   in Loop: Header=BB218_408 Depth=2
	s_or_b64 exec, exec, s[36:37]
	v_lshrrev_b32_sdwa v5, s69, v97 dst_sel:DWORD dst_unused:UNUSED_PAD src0_sel:DWORD src1_sel:BYTE_0
	v_and_b32_e32 v20, s77, v5
	v_mul_u32_u24_e32 v5, 5, v20
	v_add_lshl_u32 v5, v5, v88, 2
	; wave barrier
	v_add_u32_e32 v119, 0x410, v5
	ds_read_b32 v118, v5 offset:1040
	v_and_b32_e32 v5, 1, v20
	v_add_co_u32_e32 v21, vcc, -1, v5
	v_addc_co_u32_e64 v22, s[36:37], 0, -1, vcc
	v_cmp_ne_u32_e32 vcc, 0, v5
	v_xor_b32_e32 v5, vcc_hi, v22
	v_and_b32_e32 v22, exec_hi, v5
	v_lshlrev_b32_e32 v5, 30, v20
	v_xor_b32_e32 v21, vcc_lo, v21
	v_cmp_gt_i64_e32 vcc, 0, v[4:5]
	v_not_b32_e32 v5, v5
	v_ashrrev_i32_e32 v5, 31, v5
	v_and_b32_e32 v21, exec_lo, v21
	v_xor_b32_e32 v23, vcc_hi, v5
	v_xor_b32_e32 v5, vcc_lo, v5
	v_and_b32_e32 v21, v21, v5
	v_lshlrev_b32_e32 v5, 29, v20
	v_cmp_gt_i64_e32 vcc, 0, v[4:5]
	v_not_b32_e32 v5, v5
	v_ashrrev_i32_e32 v5, 31, v5
	v_and_b32_e32 v22, v22, v23
	v_xor_b32_e32 v23, vcc_hi, v5
	v_xor_b32_e32 v5, vcc_lo, v5
	v_and_b32_e32 v21, v21, v5
	v_lshlrev_b32_e32 v5, 28, v20
	v_cmp_gt_i64_e32 vcc, 0, v[4:5]
	v_not_b32_e32 v5, v5
	v_ashrrev_i32_e32 v5, 31, v5
	v_and_b32_e32 v22, v22, v23
	;; [unrolled: 8-line block ×5, first 2 shown]
	v_xor_b32_e32 v23, vcc_hi, v5
	v_xor_b32_e32 v5, vcc_lo, v5
	v_and_b32_e32 v22, v22, v23
	v_and_b32_e32 v23, v21, v5
	v_lshlrev_b32_e32 v5, 24, v20
	v_cmp_gt_i64_e32 vcc, 0, v[4:5]
	v_not_b32_e32 v5, v5
	v_ashrrev_i32_e32 v5, 31, v5
	v_xor_b32_e32 v20, vcc_hi, v5
	v_xor_b32_e32 v5, vcc_lo, v5
	v_and_b32_e32 v21, v22, v20
	v_and_b32_e32 v20, v23, v5
	v_mbcnt_lo_u32_b32 v5, v20, 0
	v_mbcnt_hi_u32_b32 v120, v21, v5
	v_cmp_eq_u32_e32 vcc, 0, v120
	v_cmp_ne_u64_e64 s[36:37], 0, v[20:21]
	s_and_b64 s[38:39], s[36:37], vcc
	; wave barrier
	s_and_saveexec_b64 s[36:37], s[38:39]
	s_cbranch_execz .LBB218_444
; %bb.443:                              ;   in Loop: Header=BB218_408 Depth=2
	v_bcnt_u32_b32 v5, v20, 0
	v_bcnt_u32_b32 v5, v21, v5
	s_waitcnt lgkmcnt(0)
	v_add_u32_e32 v5, v118, v5
	ds_write_b32 v119, v5
.LBB218_444:                            ;   in Loop: Header=BB218_408 Depth=2
	s_or_b64 exec, exec, s[36:37]
	; wave barrier
	s_waitcnt lgkmcnt(0)
	s_barrier
	ds_read_b32 v5, v42 offset:1040
	ds_read2_b32 v[22:23], v44 offset0:1 offset1:2
	ds_read2_b32 v[20:21], v44 offset0:3 offset1:4
	s_waitcnt lgkmcnt(1)
	v_add3_u32 v121, v22, v5, v23
	s_waitcnt lgkmcnt(0)
	v_add3_u32 v21, v121, v20, v21
	s_nop 1
	v_mov_b32_dpp v121, v21 row_shr:1 row_mask:0xf bank_mask:0xf
	v_cndmask_b32_e64 v121, v121, 0, s[16:17]
	v_add_u32_e32 v21, v121, v21
	s_nop 1
	v_mov_b32_dpp v121, v21 row_shr:2 row_mask:0xf bank_mask:0xf
	v_cndmask_b32_e64 v121, 0, v121, s[18:19]
	v_add_u32_e32 v21, v21, v121
	;; [unrolled: 4-line block ×4, first 2 shown]
	s_nop 1
	v_mov_b32_dpp v121, v21 row_bcast:15 row_mask:0xf bank_mask:0xf
	v_cndmask_b32_e64 v121, v121, 0, s[24:25]
	v_add_u32_e32 v21, v21, v121
	s_nop 1
	v_mov_b32_dpp v121, v21 row_bcast:31 row_mask:0xf bank_mask:0xf
	v_cndmask_b32_e64 v121, 0, v121, s[26:27]
	v_add_u32_e32 v21, v21, v121
	s_and_saveexec_b64 s[36:37], s[6:7]
	s_cbranch_execz .LBB218_446
; %bb.445:                              ;   in Loop: Header=BB218_408 Depth=2
	ds_write_b32 v35, v21 offset:1024
.LBB218_446:                            ;   in Loop: Header=BB218_408 Depth=2
	s_or_b64 exec, exec, s[36:37]
	s_waitcnt lgkmcnt(0)
	s_barrier
	s_and_saveexec_b64 s[36:37], s[8:9]
	s_cbranch_execz .LBB218_448
; %bb.447:                              ;   in Loop: Header=BB218_408 Depth=2
	v_add_u32_e32 v121, v42, v45
	ds_read_b32 v122, v121 offset:1024
	s_waitcnt lgkmcnt(0)
	s_nop 0
	v_mov_b32_dpp v123, v122 row_shr:1 row_mask:0xf bank_mask:0xf
	v_cndmask_b32_e64 v123, v123, 0, s[30:31]
	v_add_u32_e32 v122, v123, v122
	s_nop 1
	v_mov_b32_dpp v123, v122 row_shr:2 row_mask:0xf bank_mask:0xf
	v_cndmask_b32_e64 v123, 0, v123, s[34:35]
	v_add_u32_e32 v122, v122, v123
	ds_write_b32 v121, v122 offset:1024
.LBB218_448:                            ;   in Loop: Header=BB218_408 Depth=2
	s_or_b64 exec, exec, s[36:37]
	v_mov_b32_e32 v121, 0
	s_waitcnt lgkmcnt(0)
	s_barrier
	s_and_saveexec_b64 s[36:37], s[10:11]
	s_cbranch_execz .LBB218_450
; %bb.449:                              ;   in Loop: Header=BB218_408 Depth=2
	ds_read_b32 v121, v35 offset:1020
.LBB218_450:                            ;   in Loop: Header=BB218_408 Depth=2
	s_or_b64 exec, exec, s[36:37]
	s_waitcnt lgkmcnt(0)
	v_add_u32_e32 v21, v121, v21
	ds_bpermute_b32 v21, v65, v21
	s_waitcnt lgkmcnt(0)
	v_cndmask_b32_e64 v21, v21, v121, s[28:29]
	v_cndmask_b32_e64 v21, v21, 0, s[12:13]
	v_add_u32_e32 v5, v21, v5
	ds_write_b32 v42, v21 offset:1040
	v_add_u32_e32 v21, v5, v22
	v_add_u32_e32 v22, v21, v23
	ds_write2_b32 v44, v5, v21 offset0:1 offset1:2
	v_add_u32_e32 v5, v22, v20
	ds_write2_b32 v44, v22, v5 offset0:3 offset1:4
	s_waitcnt lgkmcnt(0)
	s_barrier
	ds_read_b32 v20, v101
	ds_read_b32 v21, v104
	;; [unrolled: 1-line block ×8, first 2 shown]
	ds_read_b32 v101, v42 offset:1040
	v_mov_b32_e32 v5, 0x800
	s_and_saveexec_b64 s[36:37], s[14:15]
	s_cbranch_execz .LBB218_452
; %bb.451:                              ;   in Loop: Header=BB218_408 Depth=2
	ds_read_b32 v5, v42 offset:1060
.LBB218_452:                            ;   in Loop: Header=BB218_408 Depth=2
	s_or_b64 exec, exec, s[36:37]
	s_waitcnt lgkmcnt(0)
	s_barrier
	s_and_saveexec_b64 s[36:37], s[4:5]
	s_cbranch_execz .LBB218_454
; %bb.453:                              ;   in Loop: Header=BB218_408 Depth=2
	ds_read_b32 v104, v3
	s_waitcnt lgkmcnt(0)
	v_sub_u32_e32 v101, v104, v101
	ds_write_b32 v3, v101
.LBB218_454:                            ;   in Loop: Header=BB218_408 Depth=2
	s_or_b64 exec, exec, s[36:37]
	v_add_u32_e32 v104, v98, v99
	v_add3_u32 v102, v102, v100, v20
	v_add3_u32 v101, v105, v103, v21
	;; [unrolled: 1-line block ×7, first 2 shown]
	v_cmp_lt_u32_e64 s[48:49], v2, v89
	ds_write_b8 v104, v90 offset:1024
	ds_write_b8 v102, v91 offset:1024
	;; [unrolled: 1-line block ×8, first 2 shown]
	s_waitcnt lgkmcnt(0)
	s_barrier
	s_and_saveexec_b64 s[36:37], s[48:49]
	s_cbranch_execz .LBB218_462
; %bb.455:                              ;   in Loop: Header=BB218_408 Depth=2
	ds_read_u8 v20, v2 offset:1024
	s_waitcnt lgkmcnt(0)
	v_lshrrev_b32_sdwa v21, s69, v20 dst_sel:DWORD dst_unused:UNUSED_PAD src0_sel:DWORD src1_sel:BYTE_0
	v_and_b32_e32 v21, s77, v21
	v_lshlrev_b32_e32 v21, 2, v21
	ds_read_b32 v21, v21
	s_waitcnt lgkmcnt(0)
	v_add_u32_e32 v21, v21, v2
	global_store_byte v21, v20, s[58:59]
	s_or_b64 exec, exec, s[36:37]
	v_cmp_lt_u32_e64 s[46:47], v24, v89
	s_and_saveexec_b64 s[36:37], s[46:47]
	s_cbranch_execnz .LBB218_463
.LBB218_456:                            ;   in Loop: Header=BB218_408 Depth=2
	s_or_b64 exec, exec, s[36:37]
	v_cmp_lt_u32_e64 s[44:45], v25, v89
	s_and_saveexec_b64 s[36:37], s[44:45]
	s_cbranch_execz .LBB218_464
.LBB218_457:                            ;   in Loop: Header=BB218_408 Depth=2
	ds_read_u8 v20, v30 offset:512
	s_waitcnt lgkmcnt(0)
	v_lshrrev_b32_sdwa v21, s69, v20 dst_sel:DWORD dst_unused:UNUSED_PAD src0_sel:DWORD src1_sel:BYTE_0
	v_and_b32_e32 v21, s77, v21
	v_lshlrev_b32_e32 v21, 2, v21
	ds_read_b32 v21, v21
	s_waitcnt lgkmcnt(0)
	v_add_u32_e32 v21, v21, v25
	global_store_byte v21, v20, s[58:59]
	s_or_b64 exec, exec, s[36:37]
	v_cmp_lt_u32_e64 s[42:43], v26, v89
	s_and_saveexec_b64 s[36:37], s[42:43]
	s_cbranch_execnz .LBB218_465
.LBB218_458:                            ;   in Loop: Header=BB218_408 Depth=2
	s_or_b64 exec, exec, s[36:37]
	v_cmp_lt_u32_e64 s[40:41], v30, v89
	s_and_saveexec_b64 s[36:37], s[40:41]
	s_cbranch_execz .LBB218_466
.LBB218_459:                            ;   in Loop: Header=BB218_408 Depth=2
	ds_read_u8 v20, v30 offset:1024
	s_waitcnt lgkmcnt(0)
	v_lshrrev_b32_sdwa v21, s69, v20 dst_sel:DWORD dst_unused:UNUSED_PAD src0_sel:DWORD src1_sel:BYTE_0
	v_and_b32_e32 v21, s77, v21
	v_lshlrev_b32_e32 v21, 2, v21
	ds_read_b32 v21, v21
	s_waitcnt lgkmcnt(0)
	v_add_u32_e32 v21, v21, v30
	global_store_byte v21, v20, s[58:59]
	s_or_b64 exec, exec, s[36:37]
	v_cmp_lt_u32_e64 s[38:39], v31, v89
	s_and_saveexec_b64 s[36:37], s[38:39]
	s_cbranch_execnz .LBB218_467
.LBB218_460:                            ;   in Loop: Header=BB218_408 Depth=2
	s_or_b64 exec, exec, s[36:37]
	v_cmp_lt_u32_e64 s[36:37], v32, v89
	s_and_saveexec_b64 s[52:53], s[36:37]
	s_cbranch_execz .LBB218_468
.LBB218_461:                            ;   in Loop: Header=BB218_408 Depth=2
	ds_read_u8 v20, v30 offset:1536
	s_waitcnt lgkmcnt(0)
	v_lshrrev_b32_sdwa v21, s69, v20 dst_sel:DWORD dst_unused:UNUSED_PAD src0_sel:DWORD src1_sel:BYTE_0
	v_and_b32_e32 v21, s77, v21
	v_lshlrev_b32_e32 v21, 2, v21
	ds_read_b32 v21, v21
	s_waitcnt lgkmcnt(0)
	v_add_u32_e32 v21, v21, v32
	global_store_byte v21, v20, s[58:59]
	s_or_b64 exec, exec, s[52:53]
	v_cmp_lt_u32_e32 vcc, v33, v89
	s_and_saveexec_b64 s[52:53], vcc
	s_cbranch_execnz .LBB218_469
	s_branch .LBB218_470
.LBB218_462:                            ;   in Loop: Header=BB218_408 Depth=2
	s_or_b64 exec, exec, s[36:37]
	v_cmp_lt_u32_e64 s[46:47], v24, v89
	s_and_saveexec_b64 s[36:37], s[46:47]
	s_cbranch_execz .LBB218_456
.LBB218_463:                            ;   in Loop: Header=BB218_408 Depth=2
	ds_read_u8 v20, v30 offset:256
	s_waitcnt lgkmcnt(0)
	v_lshrrev_b32_sdwa v21, s69, v20 dst_sel:DWORD dst_unused:UNUSED_PAD src0_sel:DWORD src1_sel:BYTE_0
	v_and_b32_e32 v21, s77, v21
	v_lshlrev_b32_e32 v21, 2, v21
	ds_read_b32 v21, v21
	s_waitcnt lgkmcnt(0)
	v_add_u32_e32 v21, v21, v24
	global_store_byte v21, v20, s[58:59]
	s_or_b64 exec, exec, s[36:37]
	v_cmp_lt_u32_e64 s[44:45], v25, v89
	s_and_saveexec_b64 s[36:37], s[44:45]
	s_cbranch_execnz .LBB218_457
.LBB218_464:                            ;   in Loop: Header=BB218_408 Depth=2
	s_or_b64 exec, exec, s[36:37]
	v_cmp_lt_u32_e64 s[42:43], v26, v89
	s_and_saveexec_b64 s[36:37], s[42:43]
	s_cbranch_execz .LBB218_458
.LBB218_465:                            ;   in Loop: Header=BB218_408 Depth=2
	ds_read_u8 v20, v30 offset:768
	s_waitcnt lgkmcnt(0)
	v_lshrrev_b32_sdwa v21, s69, v20 dst_sel:DWORD dst_unused:UNUSED_PAD src0_sel:DWORD src1_sel:BYTE_0
	v_and_b32_e32 v21, s77, v21
	v_lshlrev_b32_e32 v21, 2, v21
	ds_read_b32 v21, v21
	s_waitcnt lgkmcnt(0)
	v_add_u32_e32 v21, v21, v26
	global_store_byte v21, v20, s[58:59]
	s_or_b64 exec, exec, s[36:37]
	v_cmp_lt_u32_e64 s[40:41], v30, v89
	s_and_saveexec_b64 s[36:37], s[40:41]
	s_cbranch_execnz .LBB218_459
.LBB218_466:                            ;   in Loop: Header=BB218_408 Depth=2
	s_or_b64 exec, exec, s[36:37]
	v_cmp_lt_u32_e64 s[38:39], v31, v89
	s_and_saveexec_b64 s[36:37], s[38:39]
	s_cbranch_execz .LBB218_460
.LBB218_467:                            ;   in Loop: Header=BB218_408 Depth=2
	ds_read_u8 v20, v30 offset:1280
	s_waitcnt lgkmcnt(0)
	v_lshrrev_b32_sdwa v21, s69, v20 dst_sel:DWORD dst_unused:UNUSED_PAD src0_sel:DWORD src1_sel:BYTE_0
	v_and_b32_e32 v21, s77, v21
	v_lshlrev_b32_e32 v21, 2, v21
	ds_read_b32 v21, v21
	s_waitcnt lgkmcnt(0)
	v_add_u32_e32 v21, v21, v31
	global_store_byte v21, v20, s[58:59]
	s_or_b64 exec, exec, s[36:37]
	v_cmp_lt_u32_e64 s[36:37], v32, v89
	s_and_saveexec_b64 s[52:53], s[36:37]
	s_cbranch_execnz .LBB218_461
.LBB218_468:                            ;   in Loop: Header=BB218_408 Depth=2
	s_or_b64 exec, exec, s[52:53]
	v_cmp_lt_u32_e32 vcc, v33, v89
	s_and_saveexec_b64 s[52:53], vcc
	s_cbranch_execz .LBB218_470
.LBB218_469:                            ;   in Loop: Header=BB218_408 Depth=2
	ds_read_u8 v20, v30 offset:1792
	s_waitcnt lgkmcnt(0)
	v_lshrrev_b32_sdwa v21, s69, v20 dst_sel:DWORD dst_unused:UNUSED_PAD src0_sel:DWORD src1_sel:BYTE_0
	v_and_b32_e32 v21, s77, v21
	v_lshlrev_b32_e32 v21, 2, v21
	ds_read_b32 v21, v21
	s_waitcnt lgkmcnt(0)
	v_add_u32_e32 v21, v21, v33
	global_store_byte v21, v20, s[58:59]
.LBB218_470:                            ;   in Loop: Header=BB218_408 Depth=2
	s_or_b64 exec, exec, s[52:53]
	s_lshl_b64 s[52:53], s[72:73], 3
	v_mov_b32_e32 v21, s53
	v_add_co_u32_e64 v20, s[52:53], s52, v77
	v_addc_co_u32_e64 v21, s[52:53], v78, v21, s[52:53]
	v_cmp_lt_u32_e64 s[52:53], v72, v89
	s_and_saveexec_b64 s[62:63], s[52:53]
	s_xor_b64 s[52:53], exec, s[62:63]
	s_cbranch_execz .LBB218_486
; %bb.471:                              ;   in Loop: Header=BB218_408 Depth=2
	global_load_dwordx2 v[18:19], v[20:21], off
	s_or_b64 exec, exec, s[52:53]
	v_cmp_lt_u32_e64 s[52:53], v79, v89
	s_and_saveexec_b64 s[62:63], s[52:53]
	s_cbranch_execnz .LBB218_487
.LBB218_472:                            ;   in Loop: Header=BB218_408 Depth=2
	s_or_b64 exec, exec, s[62:63]
	v_cmp_lt_u32_e64 s[52:53], v80, v89
	s_and_saveexec_b64 s[62:63], s[52:53]
	s_cbranch_execz .LBB218_488
.LBB218_473:                            ;   in Loop: Header=BB218_408 Depth=2
	global_load_dwordx2 v[14:15], v[20:21], off offset:1024
	s_or_b64 exec, exec, s[62:63]
	v_cmp_lt_u32_e64 s[52:53], v81, v89
	s_and_saveexec_b64 s[62:63], s[52:53]
	s_cbranch_execnz .LBB218_489
.LBB218_474:                            ;   in Loop: Header=BB218_408 Depth=2
	s_or_b64 exec, exec, s[62:63]
	v_cmp_lt_u32_e64 s[52:53], v82, v89
	s_and_saveexec_b64 s[62:63], s[52:53]
	s_cbranch_execz .LBB218_490
.LBB218_475:                            ;   in Loop: Header=BB218_408 Depth=2
	global_load_dwordx2 v[10:11], v[20:21], off offset:2048
	s_or_b64 exec, exec, s[62:63]
	v_cmp_lt_u32_e64 s[52:53], v83, v89
	s_and_saveexec_b64 s[62:63], s[52:53]
	s_cbranch_execnz .LBB218_491
.LBB218_476:                            ;   in Loop: Header=BB218_408 Depth=2
	s_or_b64 exec, exec, s[62:63]
	v_cmp_lt_u32_e64 s[52:53], v84, v89
	s_and_saveexec_b64 s[62:63], s[52:53]
	s_cbranch_execz .LBB218_492
.LBB218_477:                            ;   in Loop: Header=BB218_408 Depth=2
	global_load_dwordx2 v[6:7], v[20:21], off offset:3072
	s_or_b64 exec, exec, s[62:63]
	v_cmp_lt_u32_e64 s[52:53], v85, v89
	s_and_saveexec_b64 s[62:63], s[52:53]
	s_cbranch_execnz .LBB218_493
.LBB218_478:                            ;   in Loop: Header=BB218_408 Depth=2
	s_or_b64 exec, exec, s[62:63]
	s_and_saveexec_b64 s[52:53], s[48:49]
	s_cbranch_execz .LBB218_494
.LBB218_479:                            ;   in Loop: Header=BB218_408 Depth=2
	ds_read_u8 v20, v2 offset:1024
	s_waitcnt lgkmcnt(0)
	v_lshrrev_b32_e32 v20, s69, v20
	v_and_b32_e32 v75, s77, v20
	s_or_b64 exec, exec, s[52:53]
	s_and_saveexec_b64 s[52:53], s[46:47]
	s_cbranch_execnz .LBB218_495
.LBB218_480:                            ;   in Loop: Header=BB218_408 Depth=2
	s_or_b64 exec, exec, s[52:53]
	s_and_saveexec_b64 s[52:53], s[44:45]
	s_cbranch_execz .LBB218_496
.LBB218_481:                            ;   in Loop: Header=BB218_408 Depth=2
	ds_read_u8 v20, v30 offset:512
	s_waitcnt lgkmcnt(0)
	v_lshrrev_b32_e32 v20, s69, v20
	v_and_b32_e32 v71, s77, v20
	s_or_b64 exec, exec, s[52:53]
	s_and_saveexec_b64 s[52:53], s[42:43]
	s_cbranch_execnz .LBB218_497
.LBB218_482:                            ;   in Loop: Header=BB218_408 Depth=2
	s_or_b64 exec, exec, s[52:53]
	s_and_saveexec_b64 s[52:53], s[40:41]
	s_cbranch_execz .LBB218_498
.LBB218_483:                            ;   in Loop: Header=BB218_408 Depth=2
	ds_read_u8 v20, v30 offset:1024
	s_waitcnt lgkmcnt(0)
	v_lshrrev_b32_e32 v20, s69, v20
	v_and_b32_e32 v69, s77, v20
	s_or_b64 exec, exec, s[52:53]
	s_and_saveexec_b64 s[52:53], s[38:39]
	s_cbranch_execnz .LBB218_499
.LBB218_484:                            ;   in Loop: Header=BB218_408 Depth=2
	s_or_b64 exec, exec, s[52:53]
	s_and_saveexec_b64 s[52:53], s[36:37]
	s_cbranch_execz .LBB218_500
.LBB218_485:                            ;   in Loop: Header=BB218_408 Depth=2
	ds_read_u8 v20, v30 offset:1536
	s_waitcnt lgkmcnt(0)
	v_lshrrev_b32_e32 v20, s69, v20
	v_and_b32_e32 v67, s77, v20
	s_or_b64 exec, exec, s[52:53]
	s_and_saveexec_b64 s[52:53], vcc
	s_cbranch_execnz .LBB218_501
	s_branch .LBB218_502
.LBB218_486:                            ;   in Loop: Header=BB218_408 Depth=2
	s_or_b64 exec, exec, s[52:53]
	v_cmp_lt_u32_e64 s[52:53], v79, v89
	s_and_saveexec_b64 s[62:63], s[52:53]
	s_cbranch_execz .LBB218_472
.LBB218_487:                            ;   in Loop: Header=BB218_408 Depth=2
	global_load_dwordx2 v[16:17], v[20:21], off offset:512
	s_or_b64 exec, exec, s[62:63]
	v_cmp_lt_u32_e64 s[52:53], v80, v89
	s_and_saveexec_b64 s[62:63], s[52:53]
	s_cbranch_execnz .LBB218_473
.LBB218_488:                            ;   in Loop: Header=BB218_408 Depth=2
	s_or_b64 exec, exec, s[62:63]
	v_cmp_lt_u32_e64 s[52:53], v81, v89
	s_and_saveexec_b64 s[62:63], s[52:53]
	s_cbranch_execz .LBB218_474
.LBB218_489:                            ;   in Loop: Header=BB218_408 Depth=2
	global_load_dwordx2 v[12:13], v[20:21], off offset:1536
	s_or_b64 exec, exec, s[62:63]
	v_cmp_lt_u32_e64 s[52:53], v82, v89
	s_and_saveexec_b64 s[62:63], s[52:53]
	s_cbranch_execnz .LBB218_475
.LBB218_490:                            ;   in Loop: Header=BB218_408 Depth=2
	s_or_b64 exec, exec, s[62:63]
	v_cmp_lt_u32_e64 s[52:53], v83, v89
	s_and_saveexec_b64 s[62:63], s[52:53]
	s_cbranch_execz .LBB218_476
.LBB218_491:                            ;   in Loop: Header=BB218_408 Depth=2
	global_load_dwordx2 v[8:9], v[20:21], off offset:2560
	s_or_b64 exec, exec, s[62:63]
	v_cmp_lt_u32_e64 s[52:53], v84, v89
	s_and_saveexec_b64 s[62:63], s[52:53]
	s_cbranch_execnz .LBB218_477
.LBB218_492:                            ;   in Loop: Header=BB218_408 Depth=2
	s_or_b64 exec, exec, s[62:63]
	v_cmp_lt_u32_e64 s[52:53], v85, v89
	s_and_saveexec_b64 s[62:63], s[52:53]
	s_cbranch_execz .LBB218_478
.LBB218_493:                            ;   in Loop: Header=BB218_408 Depth=2
	global_load_dwordx2 v[0:1], v[20:21], off offset:3584
	s_or_b64 exec, exec, s[62:63]
	s_and_saveexec_b64 s[52:53], s[48:49]
	s_cbranch_execnz .LBB218_479
.LBB218_494:                            ;   in Loop: Header=BB218_408 Depth=2
	s_or_b64 exec, exec, s[52:53]
	s_and_saveexec_b64 s[52:53], s[46:47]
	s_cbranch_execz .LBB218_480
.LBB218_495:                            ;   in Loop: Header=BB218_408 Depth=2
	ds_read_u8 v20, v30 offset:256
	s_waitcnt lgkmcnt(0)
	v_lshrrev_b32_e32 v20, s69, v20
	v_and_b32_e32 v73, s77, v20
	s_or_b64 exec, exec, s[52:53]
	s_and_saveexec_b64 s[52:53], s[44:45]
	s_cbranch_execnz .LBB218_481
.LBB218_496:                            ;   in Loop: Header=BB218_408 Depth=2
	s_or_b64 exec, exec, s[52:53]
	s_and_saveexec_b64 s[52:53], s[42:43]
	s_cbranch_execz .LBB218_482
.LBB218_497:                            ;   in Loop: Header=BB218_408 Depth=2
	ds_read_u8 v20, v30 offset:768
	s_waitcnt lgkmcnt(0)
	v_lshrrev_b32_e32 v20, s69, v20
	v_and_b32_e32 v70, s77, v20
	s_or_b64 exec, exec, s[52:53]
	s_and_saveexec_b64 s[52:53], s[40:41]
	s_cbranch_execnz .LBB218_483
.LBB218_498:                            ;   in Loop: Header=BB218_408 Depth=2
	s_or_b64 exec, exec, s[52:53]
	s_and_saveexec_b64 s[52:53], s[38:39]
	s_cbranch_execz .LBB218_484
.LBB218_499:                            ;   in Loop: Header=BB218_408 Depth=2
	ds_read_u8 v20, v30 offset:1280
	s_waitcnt lgkmcnt(0)
	v_lshrrev_b32_e32 v20, s69, v20
	v_and_b32_e32 v68, s77, v20
	s_or_b64 exec, exec, s[52:53]
	s_and_saveexec_b64 s[52:53], s[36:37]
	s_cbranch_execnz .LBB218_485
.LBB218_500:                            ;   in Loop: Header=BB218_408 Depth=2
	s_or_b64 exec, exec, s[52:53]
	s_and_saveexec_b64 s[52:53], vcc
	s_cbranch_execz .LBB218_502
.LBB218_501:                            ;   in Loop: Header=BB218_408 Depth=2
	ds_read_u8 v20, v30 offset:1792
	s_waitcnt lgkmcnt(0)
	v_lshrrev_b32_e32 v20, s69, v20
	v_and_b32_e32 v66, s77, v20
.LBB218_502:                            ;   in Loop: Header=BB218_408 Depth=2
	s_or_b64 exec, exec, s[52:53]
	v_lshlrev_b32_e32 v20, 3, v104
	s_barrier
	s_waitcnt vmcnt(0)
	ds_write_b64 v20, v[18:19] offset:1024
	v_lshlrev_b32_e32 v20, 3, v102
	ds_write_b64 v20, v[16:17] offset:1024
	v_lshlrev_b32_e32 v20, 3, v101
	;; [unrolled: 2-line block ×7, first 2 shown]
	ds_write_b64 v20, v[0:1] offset:1024
	s_waitcnt lgkmcnt(0)
	s_barrier
	s_and_saveexec_b64 s[52:53], s[48:49]
	s_cbranch_execz .LBB218_510
; %bb.503:                              ;   in Loop: Header=BB218_408 Depth=2
	v_lshlrev_b32_e32 v20, 2, v75
	ds_read_b32 v22, v20
	v_add_u32_e32 v20, v2, v50
	ds_read_b64 v[20:21], v20 offset:1024
	v_mov_b32_e32 v23, v4
	v_mov_b32_e32 v89, s65
	s_waitcnt lgkmcnt(1)
	v_add_u32_e32 v22, v22, v2
	v_lshlrev_b64 v[22:23], 3, v[22:23]
	v_add_co_u32_e64 v22, s[48:49], s64, v22
	v_addc_co_u32_e64 v23, s[48:49], v89, v23, s[48:49]
	s_waitcnt lgkmcnt(0)
	global_store_dwordx2 v[22:23], v[20:21], off
	s_or_b64 exec, exec, s[52:53]
	s_and_saveexec_b64 s[48:49], s[46:47]
	s_cbranch_execnz .LBB218_511
.LBB218_504:                            ;   in Loop: Header=BB218_408 Depth=2
	s_or_b64 exec, exec, s[48:49]
	s_and_saveexec_b64 s[46:47], s[44:45]
	s_cbranch_execz .LBB218_512
.LBB218_505:                            ;   in Loop: Header=BB218_408 Depth=2
	v_lshlrev_b32_e32 v20, 2, v71
	ds_read_b32 v22, v20
	v_add_u32_e32 v20, v30, v50
	ds_read_b64 v[20:21], v20 offset:4096
	v_mov_b32_e32 v23, v4
	v_mov_b32_e32 v89, s65
	s_waitcnt lgkmcnt(1)
	v_add_u32_e32 v22, v22, v25
	v_lshlrev_b64 v[22:23], 3, v[22:23]
	v_add_co_u32_e64 v22, s[44:45], s64, v22
	v_addc_co_u32_e64 v23, s[44:45], v89, v23, s[44:45]
	s_waitcnt lgkmcnt(0)
	global_store_dwordx2 v[22:23], v[20:21], off
	s_or_b64 exec, exec, s[46:47]
	s_and_saveexec_b64 s[44:45], s[42:43]
	s_cbranch_execnz .LBB218_513
.LBB218_506:                            ;   in Loop: Header=BB218_408 Depth=2
	s_or_b64 exec, exec, s[44:45]
	s_and_saveexec_b64 s[42:43], s[40:41]
	s_cbranch_execz .LBB218_514
.LBB218_507:                            ;   in Loop: Header=BB218_408 Depth=2
	v_lshlrev_b32_e32 v20, 2, v69
	ds_read_b32 v22, v20
	v_add_u32_e32 v20, v30, v50
	ds_read_b64 v[20:21], v20 offset:8192
	v_mov_b32_e32 v23, v4
	v_mov_b32_e32 v89, s65
	s_waitcnt lgkmcnt(1)
	v_add_u32_e32 v22, v22, v30
	v_lshlrev_b64 v[22:23], 3, v[22:23]
	v_add_co_u32_e64 v22, s[40:41], s64, v22
	v_addc_co_u32_e64 v23, s[40:41], v89, v23, s[40:41]
	s_waitcnt lgkmcnt(0)
	global_store_dwordx2 v[22:23], v[20:21], off
	s_or_b64 exec, exec, s[42:43]
	s_and_saveexec_b64 s[40:41], s[38:39]
	s_cbranch_execnz .LBB218_515
.LBB218_508:                            ;   in Loop: Header=BB218_408 Depth=2
	s_or_b64 exec, exec, s[40:41]
	s_and_saveexec_b64 s[38:39], s[36:37]
	s_cbranch_execz .LBB218_516
.LBB218_509:                            ;   in Loop: Header=BB218_408 Depth=2
	v_lshlrev_b32_e32 v20, 2, v67
	ds_read_b32 v22, v20
	v_add_u32_e32 v20, v30, v50
	ds_read_b64 v[20:21], v20 offset:12288
	v_mov_b32_e32 v23, v4
	v_mov_b32_e32 v89, s65
	s_waitcnt lgkmcnt(1)
	v_add_u32_e32 v22, v22, v32
	v_lshlrev_b64 v[22:23], 3, v[22:23]
	v_add_co_u32_e64 v22, s[36:37], s64, v22
	v_addc_co_u32_e64 v23, s[36:37], v89, v23, s[36:37]
	s_waitcnt lgkmcnt(0)
	global_store_dwordx2 v[22:23], v[20:21], off
	s_or_b64 exec, exec, s[38:39]
	s_and_saveexec_b64 s[36:37], vcc
	s_cbranch_execnz .LBB218_517
	s_branch .LBB218_518
.LBB218_510:                            ;   in Loop: Header=BB218_408 Depth=2
	s_or_b64 exec, exec, s[52:53]
	s_and_saveexec_b64 s[48:49], s[46:47]
	s_cbranch_execz .LBB218_504
.LBB218_511:                            ;   in Loop: Header=BB218_408 Depth=2
	v_lshlrev_b32_e32 v20, 2, v73
	ds_read_b32 v22, v20
	v_add_u32_e32 v20, v30, v50
	ds_read_b64 v[20:21], v20 offset:2048
	v_mov_b32_e32 v23, v4
	v_mov_b32_e32 v89, s65
	s_waitcnt lgkmcnt(1)
	v_add_u32_e32 v22, v22, v24
	v_lshlrev_b64 v[22:23], 3, v[22:23]
	v_add_co_u32_e64 v22, s[46:47], s64, v22
	v_addc_co_u32_e64 v23, s[46:47], v89, v23, s[46:47]
	s_waitcnt lgkmcnt(0)
	global_store_dwordx2 v[22:23], v[20:21], off
	s_or_b64 exec, exec, s[48:49]
	s_and_saveexec_b64 s[46:47], s[44:45]
	s_cbranch_execnz .LBB218_505
.LBB218_512:                            ;   in Loop: Header=BB218_408 Depth=2
	s_or_b64 exec, exec, s[46:47]
	s_and_saveexec_b64 s[44:45], s[42:43]
	s_cbranch_execz .LBB218_506
.LBB218_513:                            ;   in Loop: Header=BB218_408 Depth=2
	v_lshlrev_b32_e32 v20, 2, v70
	ds_read_b32 v22, v20
	v_add_u32_e32 v20, v30, v50
	ds_read_b64 v[20:21], v20 offset:6144
	v_mov_b32_e32 v23, v4
	v_mov_b32_e32 v89, s65
	s_waitcnt lgkmcnt(1)
	v_add_u32_e32 v22, v22, v26
	v_lshlrev_b64 v[22:23], 3, v[22:23]
	v_add_co_u32_e64 v22, s[42:43], s64, v22
	v_addc_co_u32_e64 v23, s[42:43], v89, v23, s[42:43]
	s_waitcnt lgkmcnt(0)
	global_store_dwordx2 v[22:23], v[20:21], off
	s_or_b64 exec, exec, s[44:45]
	s_and_saveexec_b64 s[42:43], s[40:41]
	s_cbranch_execnz .LBB218_507
.LBB218_514:                            ;   in Loop: Header=BB218_408 Depth=2
	s_or_b64 exec, exec, s[42:43]
	s_and_saveexec_b64 s[40:41], s[38:39]
	s_cbranch_execz .LBB218_508
.LBB218_515:                            ;   in Loop: Header=BB218_408 Depth=2
	v_lshlrev_b32_e32 v20, 2, v68
	ds_read_b32 v22, v20
	v_add_u32_e32 v20, v30, v50
	ds_read_b64 v[20:21], v20 offset:10240
	v_mov_b32_e32 v23, v4
	v_mov_b32_e32 v89, s65
	s_waitcnt lgkmcnt(1)
	v_add_u32_e32 v22, v22, v31
	v_lshlrev_b64 v[22:23], 3, v[22:23]
	v_add_co_u32_e64 v22, s[38:39], s64, v22
	v_addc_co_u32_e64 v23, s[38:39], v89, v23, s[38:39]
	s_waitcnt lgkmcnt(0)
	global_store_dwordx2 v[22:23], v[20:21], off
	s_or_b64 exec, exec, s[40:41]
	s_and_saveexec_b64 s[38:39], s[36:37]
	s_cbranch_execnz .LBB218_509
.LBB218_516:                            ;   in Loop: Header=BB218_408 Depth=2
	s_or_b64 exec, exec, s[38:39]
	s_and_saveexec_b64 s[36:37], vcc
	s_cbranch_execz .LBB218_518
.LBB218_517:                            ;   in Loop: Header=BB218_408 Depth=2
	v_lshlrev_b32_e32 v20, 2, v66
	ds_read_b32 v22, v20
	v_add_u32_e32 v20, v30, v50
	ds_read_b64 v[20:21], v20 offset:14336
	v_mov_b32_e32 v23, v4
	v_mov_b32_e32 v89, s65
	s_waitcnt lgkmcnt(1)
	v_add_u32_e32 v22, v22, v33
	v_lshlrev_b64 v[22:23], 3, v[22:23]
	v_add_co_u32_e32 v22, vcc, s64, v22
	v_addc_co_u32_e32 v23, vcc, v89, v23, vcc
	s_waitcnt lgkmcnt(0)
	global_store_dwordx2 v[22:23], v[20:21], off
.LBB218_518:                            ;   in Loop: Header=BB218_408 Depth=2
	s_or_b64 exec, exec, s[36:37]
	s_barrier
	s_and_saveexec_b64 s[36:37], s[4:5]
	s_cbranch_execz .LBB218_407
; %bb.519:                              ;   in Loop: Header=BB218_408 Depth=2
	ds_read_b32 v20, v3
	s_waitcnt lgkmcnt(0)
	v_add_u32_e32 v5, v20, v5
	ds_write_b32 v3, v5
	s_branch .LBB218_407
.LBB218_520:                            ;   in Loop: Header=BB218_20 Depth=1
	s_waitcnt lgkmcnt(0)
	s_barrier
	s_mov_b64 s[16:17], 0
.LBB218_521:                            ;   in Loop: Header=BB218_20 Depth=1
	s_and_b64 vcc, exec, s[16:17]
	s_cbranch_vccz .LBB218_19
; %bb.522:                              ;   in Loop: Header=BB218_20 Depth=1
	s_mov_b32 s20, s71
	s_mov_b32 s22, s51
	s_barrier
	s_waitcnt lgkmcnt(0)
                                        ; implicit-def: $vgpr5
                                        ; implicit-def: $vgpr6
                                        ; implicit-def: $vgpr7
                                        ; implicit-def: $vgpr8
                                        ; implicit-def: $vgpr9
                                        ; implicit-def: $vgpr10
                                        ; implicit-def: $vgpr11
                                        ; implicit-def: $vgpr12
	s_branch .LBB218_524
.LBB218_523:                            ;   in Loop: Header=BB218_524 Depth=2
	s_or_b64 exec, exec, s[16:17]
	s_addk_i32 s20, 0xf800
	s_cmp_ge_u32 s21, s76
	s_mov_b32 s22, s21
	s_cbranch_scc1 .LBB218_562
.LBB218_524:                            ;   Parent Loop BB218_20 Depth=1
                                        ; =>  This Inner Loop Header: Depth=2
	s_add_i32 s21, s22, 0x800
	s_cmp_gt_u32 s21, s76
	s_cbranch_scc1 .LBB218_527
; %bb.525:                              ;   in Loop: Header=BB218_524 Depth=2
	v_add_co_u32_e32 v0, vcc, s22, v57
	v_addc_co_u32_e32 v1, vcc, 0, v58, vcc
	global_load_ubyte v19, v[0:1], off offset:1536
	global_load_ubyte v18, v[0:1], off offset:1280
	;; [unrolled: 1-line block ×6, first 2 shown]
	global_load_ubyte v13, v[0:1], off
	v_add_co_u32_e32 v0, vcc, 0x700, v0
	v_addc_co_u32_e32 v1, vcc, 0, v1, vcc
	s_mov_b64 s[16:17], -1
	s_movk_i32 s25, 0x800
	s_cbranch_execz .LBB218_528
; %bb.526:                              ;   in Loop: Header=BB218_524 Depth=2
                                        ; implicit-def: $vgpr5
                                        ; implicit-def: $vgpr6
                                        ; implicit-def: $vgpr7
                                        ; implicit-def: $vgpr8
                                        ; implicit-def: $vgpr9
                                        ; implicit-def: $vgpr10
                                        ; implicit-def: $vgpr11
                                        ; implicit-def: $vgpr12
	v_mov_b32_e32 v20, s20
	s_and_saveexec_b64 s[18:19], s[16:17]
	s_cbranch_execnz .LBB218_539
	s_branch .LBB218_540
.LBB218_527:                            ;   in Loop: Header=BB218_524 Depth=2
	s_mov_b64 s[16:17], 0
                                        ; implicit-def: $sgpr25
                                        ; implicit-def: $vgpr13
                                        ; implicit-def: $vgpr14
                                        ; implicit-def: $vgpr15
                                        ; implicit-def: $vgpr16
                                        ; implicit-def: $vgpr17
                                        ; implicit-def: $vgpr18
                                        ; implicit-def: $vgpr19
                                        ; implicit-def: $vgpr0_vgpr1
.LBB218_528:                            ;   in Loop: Header=BB218_524 Depth=2
	s_add_u32 s23, s56, s22
	s_addc_u32 s24, s57, 0
	v_cmp_gt_u32_e32 vcc, s20, v2
	s_and_saveexec_b64 s[18:19], vcc
	s_cbranch_execz .LBB218_556
; %bb.529:                              ;   in Loop: Header=BB218_524 Depth=2
	v_mov_b32_e32 v1, s24
	v_add_co_u32_e32 v0, vcc, s23, v2
	v_addc_co_u32_e32 v1, vcc, 0, v1, vcc
	global_load_ubyte v5, v[0:1], off
	s_or_b64 exec, exec, s[18:19]
	v_cmp_gt_u32_e32 vcc, s20, v24
	s_and_saveexec_b64 s[18:19], vcc
	s_cbranch_execnz .LBB218_557
.LBB218_530:                            ;   in Loop: Header=BB218_524 Depth=2
	s_or_b64 exec, exec, s[18:19]
	v_cmp_gt_u32_e32 vcc, s20, v25
	s_and_saveexec_b64 s[18:19], vcc
	s_cbranch_execz .LBB218_558
.LBB218_531:                            ;   in Loop: Header=BB218_524 Depth=2
	v_mov_b32_e32 v1, s24
	v_add_co_u32_e32 v0, vcc, s23, v2
	v_addc_co_u32_e32 v1, vcc, 0, v1, vcc
	global_load_ubyte v7, v[0:1], off offset:512
	s_or_b64 exec, exec, s[18:19]
	v_cmp_gt_u32_e32 vcc, s20, v26
	s_and_saveexec_b64 s[18:19], vcc
	s_cbranch_execnz .LBB218_559
.LBB218_532:                            ;   in Loop: Header=BB218_524 Depth=2
	s_or_b64 exec, exec, s[18:19]
	v_cmp_gt_u32_e32 vcc, s20, v30
	s_and_saveexec_b64 s[18:19], vcc
	s_cbranch_execz .LBB218_560
.LBB218_533:                            ;   in Loop: Header=BB218_524 Depth=2
	v_mov_b32_e32 v1, s24
	v_add_co_u32_e32 v0, vcc, s23, v2
	v_addc_co_u32_e32 v1, vcc, 0, v1, vcc
	global_load_ubyte v9, v[0:1], off offset:1024
	s_or_b64 exec, exec, s[18:19]
	v_cmp_gt_u32_e32 vcc, s20, v31
	s_and_saveexec_b64 s[18:19], vcc
	s_cbranch_execnz .LBB218_561
.LBB218_534:                            ;   in Loop: Header=BB218_524 Depth=2
	s_or_b64 exec, exec, s[18:19]
	v_cmp_gt_u32_e32 vcc, s20, v32
	s_and_saveexec_b64 s[18:19], vcc
	s_cbranch_execz .LBB218_536
.LBB218_535:                            ;   in Loop: Header=BB218_524 Depth=2
	v_mov_b32_e32 v1, s24
	v_add_co_u32_e32 v0, vcc, s23, v2
	v_addc_co_u32_e32 v1, vcc, 0, v1, vcc
	global_load_ubyte v11, v[0:1], off offset:1536
.LBB218_536:                            ;   in Loop: Header=BB218_524 Depth=2
	s_or_b64 exec, exec, s[18:19]
	v_cmp_gt_u32_e32 vcc, s20, v33
                                        ; implicit-def: $sgpr25
                                        ; implicit-def: $vgpr0_vgpr1
	s_and_saveexec_b64 s[18:19], vcc
	s_cbranch_execz .LBB218_538
; %bb.537:                              ;   in Loop: Header=BB218_524 Depth=2
	v_mov_b32_e32 v0, s24
	v_add_co_u32_e32 v1, vcc, s23, v2
	s_waitcnt vmcnt(0)
	v_addc_co_u32_e32 v12, vcc, 0, v0, vcc
	v_add_co_u32_e32 v0, vcc, 0x700, v1
	s_sub_i32 s25, s76, s22
	v_addc_co_u32_e32 v1, vcc, 0, v12, vcc
	s_or_b64 s[16:17], s[16:17], exec
                                        ; implicit-def: $vgpr12
.LBB218_538:                            ;   in Loop: Header=BB218_524 Depth=2
	s_or_b64 exec, exec, s[18:19]
	s_waitcnt vmcnt(0)
	v_mov_b32_e32 v13, v5
	v_mov_b32_e32 v14, v6
	;; [unrolled: 1-line block ×8, first 2 shown]
	s_and_saveexec_b64 s[18:19], s[16:17]
	s_cbranch_execz .LBB218_540
.LBB218_539:                            ;   in Loop: Header=BB218_524 Depth=2
	global_load_ubyte v12, v[0:1], off
	v_mov_b32_e32 v20, s25
	s_waitcnt vmcnt(1)
	v_mov_b32_e32 v5, v13
	v_mov_b32_e32 v6, v14
	;; [unrolled: 1-line block ×7, first 2 shown]
.LBB218_540:                            ;   in Loop: Header=BB218_524 Depth=2
	s_or_b64 exec, exec, s[18:19]
	v_cmp_lt_u32_e32 vcc, v2, v20
	v_lshlrev_b32_e32 v0, 2, v27
	s_and_saveexec_b64 s[16:17], vcc
	s_cbranch_execz .LBB218_548
; %bb.541:                              ;   in Loop: Header=BB218_524 Depth=2
	v_lshrrev_b32_sdwa v1, s69, v5 dst_sel:DWORD dst_unused:UNUSED_PAD src0_sel:DWORD src1_sel:BYTE_0
	v_and_b32_e32 v1, s77, v1
	v_lshl_or_b32 v1, v1, 4, v0
	ds_add_u32 v1, v63
	s_or_b64 exec, exec, s[16:17]
	v_cmp_lt_u32_e32 vcc, v24, v20
	s_and_saveexec_b64 s[16:17], vcc
	s_cbranch_execnz .LBB218_549
.LBB218_542:                            ;   in Loop: Header=BB218_524 Depth=2
	s_or_b64 exec, exec, s[16:17]
	v_cmp_lt_u32_e32 vcc, v25, v20
	s_and_saveexec_b64 s[16:17], vcc
	s_cbranch_execz .LBB218_550
.LBB218_543:                            ;   in Loop: Header=BB218_524 Depth=2
	v_lshrrev_b32_sdwa v1, s69, v7 dst_sel:DWORD dst_unused:UNUSED_PAD src0_sel:DWORD src1_sel:BYTE_0
	v_and_b32_e32 v1, s77, v1
	v_lshl_or_b32 v1, v1, 4, v0
	ds_add_u32 v1, v63
	s_or_b64 exec, exec, s[16:17]
	v_cmp_lt_u32_e32 vcc, v26, v20
	s_and_saveexec_b64 s[16:17], vcc
	s_cbranch_execnz .LBB218_551
.LBB218_544:                            ;   in Loop: Header=BB218_524 Depth=2
	s_or_b64 exec, exec, s[16:17]
	v_cmp_lt_u32_e32 vcc, v30, v20
	s_and_saveexec_b64 s[16:17], vcc
	s_cbranch_execz .LBB218_552
.LBB218_545:                            ;   in Loop: Header=BB218_524 Depth=2
	v_lshrrev_b32_sdwa v1, s69, v9 dst_sel:DWORD dst_unused:UNUSED_PAD src0_sel:DWORD src1_sel:BYTE_0
	v_and_b32_e32 v1, s77, v1
	v_lshl_or_b32 v1, v1, 4, v0
	ds_add_u32 v1, v63
	s_or_b64 exec, exec, s[16:17]
	v_cmp_lt_u32_e32 vcc, v31, v20
	s_and_saveexec_b64 s[16:17], vcc
	s_cbranch_execnz .LBB218_553
.LBB218_546:                            ;   in Loop: Header=BB218_524 Depth=2
	s_or_b64 exec, exec, s[16:17]
	v_cmp_lt_u32_e32 vcc, v32, v20
	s_and_saveexec_b64 s[16:17], vcc
	s_cbranch_execz .LBB218_554
.LBB218_547:                            ;   in Loop: Header=BB218_524 Depth=2
	v_lshrrev_b32_sdwa v1, s69, v11 dst_sel:DWORD dst_unused:UNUSED_PAD src0_sel:DWORD src1_sel:BYTE_0
	v_and_b32_e32 v1, s77, v1
	v_lshl_or_b32 v1, v1, 4, v0
	ds_add_u32 v1, v63
	s_or_b64 exec, exec, s[16:17]
	v_cmp_lt_u32_e32 vcc, v33, v20
	s_and_saveexec_b64 s[16:17], vcc
	s_cbranch_execz .LBB218_523
	s_branch .LBB218_555
.LBB218_548:                            ;   in Loop: Header=BB218_524 Depth=2
	s_or_b64 exec, exec, s[16:17]
	v_cmp_lt_u32_e32 vcc, v24, v20
	s_and_saveexec_b64 s[16:17], vcc
	s_cbranch_execz .LBB218_542
.LBB218_549:                            ;   in Loop: Header=BB218_524 Depth=2
	v_lshrrev_b32_sdwa v1, s69, v6 dst_sel:DWORD dst_unused:UNUSED_PAD src0_sel:DWORD src1_sel:BYTE_0
	v_and_b32_e32 v1, s77, v1
	v_lshl_or_b32 v1, v1, 4, v0
	ds_add_u32 v1, v63
	s_or_b64 exec, exec, s[16:17]
	v_cmp_lt_u32_e32 vcc, v25, v20
	s_and_saveexec_b64 s[16:17], vcc
	s_cbranch_execnz .LBB218_543
.LBB218_550:                            ;   in Loop: Header=BB218_524 Depth=2
	s_or_b64 exec, exec, s[16:17]
	v_cmp_lt_u32_e32 vcc, v26, v20
	s_and_saveexec_b64 s[16:17], vcc
	s_cbranch_execz .LBB218_544
.LBB218_551:                            ;   in Loop: Header=BB218_524 Depth=2
	v_lshrrev_b32_sdwa v1, s69, v8 dst_sel:DWORD dst_unused:UNUSED_PAD src0_sel:DWORD src1_sel:BYTE_0
	v_and_b32_e32 v1, s77, v1
	v_lshl_or_b32 v1, v1, 4, v0
	ds_add_u32 v1, v63
	s_or_b64 exec, exec, s[16:17]
	v_cmp_lt_u32_e32 vcc, v30, v20
	s_and_saveexec_b64 s[16:17], vcc
	s_cbranch_execnz .LBB218_545
.LBB218_552:                            ;   in Loop: Header=BB218_524 Depth=2
	s_or_b64 exec, exec, s[16:17]
	v_cmp_lt_u32_e32 vcc, v31, v20
	s_and_saveexec_b64 s[16:17], vcc
	s_cbranch_execz .LBB218_546
.LBB218_553:                            ;   in Loop: Header=BB218_524 Depth=2
	v_lshrrev_b32_sdwa v1, s69, v10 dst_sel:DWORD dst_unused:UNUSED_PAD src0_sel:DWORD src1_sel:BYTE_0
	v_and_b32_e32 v1, s77, v1
	v_lshl_or_b32 v1, v1, 4, v0
	ds_add_u32 v1, v63
	s_or_b64 exec, exec, s[16:17]
	v_cmp_lt_u32_e32 vcc, v32, v20
	s_and_saveexec_b64 s[16:17], vcc
	s_cbranch_execnz .LBB218_547
.LBB218_554:                            ;   in Loop: Header=BB218_524 Depth=2
	s_or_b64 exec, exec, s[16:17]
	v_cmp_lt_u32_e32 vcc, v33, v20
	s_and_saveexec_b64 s[16:17], vcc
	s_cbranch_execz .LBB218_523
.LBB218_555:                            ;   in Loop: Header=BB218_524 Depth=2
	s_waitcnt vmcnt(0)
	v_lshrrev_b32_sdwa v1, s69, v12 dst_sel:DWORD dst_unused:UNUSED_PAD src0_sel:DWORD src1_sel:BYTE_0
	v_and_b32_e32 v1, s77, v1
	v_lshl_or_b32 v0, v1, 4, v0
	ds_add_u32 v0, v63
	s_branch .LBB218_523
.LBB218_556:                            ;   in Loop: Header=BB218_524 Depth=2
	s_or_b64 exec, exec, s[18:19]
	v_cmp_gt_u32_e32 vcc, s20, v24
	s_and_saveexec_b64 s[18:19], vcc
	s_cbranch_execz .LBB218_530
.LBB218_557:                            ;   in Loop: Header=BB218_524 Depth=2
	v_mov_b32_e32 v1, s24
	v_add_co_u32_e32 v0, vcc, s23, v2
	v_addc_co_u32_e32 v1, vcc, 0, v1, vcc
	global_load_ubyte v6, v[0:1], off offset:256
	s_or_b64 exec, exec, s[18:19]
	v_cmp_gt_u32_e32 vcc, s20, v25
	s_and_saveexec_b64 s[18:19], vcc
	s_cbranch_execnz .LBB218_531
.LBB218_558:                            ;   in Loop: Header=BB218_524 Depth=2
	s_or_b64 exec, exec, s[18:19]
	v_cmp_gt_u32_e32 vcc, s20, v26
	s_and_saveexec_b64 s[18:19], vcc
	s_cbranch_execz .LBB218_532
.LBB218_559:                            ;   in Loop: Header=BB218_524 Depth=2
	v_mov_b32_e32 v1, s24
	v_add_co_u32_e32 v0, vcc, s23, v2
	v_addc_co_u32_e32 v1, vcc, 0, v1, vcc
	global_load_ubyte v8, v[0:1], off offset:768
	s_or_b64 exec, exec, s[18:19]
	v_cmp_gt_u32_e32 vcc, s20, v30
	s_and_saveexec_b64 s[18:19], vcc
	s_cbranch_execnz .LBB218_533
.LBB218_560:                            ;   in Loop: Header=BB218_524 Depth=2
	s_or_b64 exec, exec, s[18:19]
	v_cmp_gt_u32_e32 vcc, s20, v31
	s_and_saveexec_b64 s[18:19], vcc
	s_cbranch_execz .LBB218_534
.LBB218_561:                            ;   in Loop: Header=BB218_524 Depth=2
	v_mov_b32_e32 v1, s24
	v_add_co_u32_e32 v0, vcc, s23, v2
	v_addc_co_u32_e32 v1, vcc, 0, v1, vcc
	global_load_ubyte v10, v[0:1], off offset:1280
	s_or_b64 exec, exec, s[18:19]
	v_cmp_gt_u32_e32 vcc, s20, v32
	s_and_saveexec_b64 s[18:19], vcc
	s_cbranch_execz .LBB218_536
	s_branch .LBB218_535
.LBB218_562:                            ;   in Loop: Header=BB218_20 Depth=1
	v_mov_b32_e32 v0, 0
	s_waitcnt lgkmcnt(0)
	s_barrier
	s_and_saveexec_b64 s[16:17], s[4:5]
	s_cbranch_execz .LBB218_564
; %bb.563:                              ;   in Loop: Header=BB218_20 Depth=1
	ds_read2_b64 v[6:9], v34 offset1:1
	s_waitcnt lgkmcnt(0)
	v_add_u32_e32 v0, v7, v6
	v_add3_u32 v0, v0, v8, v9
.LBB218_564:                            ;   in Loop: Header=BB218_20 Depth=1
	s_or_b64 exec, exec, s[16:17]
	v_and_b32_e32 v1, 15, v64
	v_mov_b32_dpp v5, v0 row_shr:1 row_mask:0xf bank_mask:0xf
	v_cmp_eq_u32_e64 s[16:17], 0, v1
	v_cndmask_b32_e64 v5, v5, 0, s[16:17]
	v_add_u32_e32 v0, v5, v0
	v_cmp_lt_u32_e64 s[18:19], 1, v1
	v_cmp_lt_u32_e64 s[20:21], 3, v1
	v_mov_b32_dpp v5, v0 row_shr:2 row_mask:0xf bank_mask:0xf
	v_cndmask_b32_e64 v5, 0, v5, s[18:19]
	v_add_u32_e32 v0, v0, v5
	v_cmp_lt_u32_e64 s[22:23], 7, v1
	v_cmp_lt_u32_e64 s[26:27], 31, v64
	v_mov_b32_dpp v5, v0 row_shr:4 row_mask:0xf bank_mask:0xf
	v_cndmask_b32_e64 v5, 0, v5, s[20:21]
	v_add_u32_e32 v0, v0, v5
	v_and_b32_e32 v6, 16, v64
	v_cmp_eq_u32_e64 s[24:25], 0, v6
	v_mov_b32_dpp v5, v0 row_shr:8 row_mask:0xf bank_mask:0xf
	v_cndmask_b32_e64 v1, 0, v5, s[22:23]
	v_add_u32_e32 v0, v0, v1
	v_bfe_i32 v5, v64, 4, 1
	s_nop 0
	v_mov_b32_dpp v1, v0 row_bcast:15 row_mask:0xf bank_mask:0xf
	v_and_b32_e32 v1, v5, v1
	v_add_u32_e32 v0, v0, v1
	s_nop 1
	v_mov_b32_dpp v1, v0 row_bcast:31 row_mask:0xf bank_mask:0xf
	v_cndmask_b32_e64 v1, 0, v1, s[26:27]
	v_add_u32_e32 v1, v0, v1
	s_and_saveexec_b64 s[28:29], s[6:7]
	s_cbranch_execz .LBB218_566
; %bb.565:                              ;   in Loop: Header=BB218_20 Depth=1
	ds_write_b32 v36, v1
.LBB218_566:                            ;   in Loop: Header=BB218_20 Depth=1
	s_or_b64 exec, exec, s[28:29]
	v_and_b32_e32 v0, 3, v64
	s_waitcnt lgkmcnt(0)
	s_barrier
	s_and_saveexec_b64 s[28:29], s[8:9]
	s_cbranch_execz .LBB218_568
; %bb.567:                              ;   in Loop: Header=BB218_20 Depth=1
	ds_read_b32 v5, v37
	v_cmp_ne_u32_e32 vcc, 0, v0
	s_waitcnt lgkmcnt(0)
	v_mov_b32_dpp v6, v5 row_shr:1 row_mask:0xf bank_mask:0xf
	v_cndmask_b32_e32 v6, 0, v6, vcc
	v_add_u32_e32 v5, v6, v5
	v_cmp_lt_u32_e32 vcc, 1, v0
	s_nop 0
	v_mov_b32_dpp v6, v5 row_shr:2 row_mask:0xf bank_mask:0xf
	v_cndmask_b32_e32 v6, 0, v6, vcc
	v_add_u32_e32 v5, v5, v6
	ds_write_b32 v37, v5
.LBB218_568:                            ;   in Loop: Header=BB218_20 Depth=1
	s_or_b64 exec, exec, s[28:29]
	v_mov_b32_e32 v5, 0
	s_waitcnt lgkmcnt(0)
	s_barrier
	s_and_saveexec_b64 s[28:29], s[10:11]
	s_cbranch_execz .LBB218_570
; %bb.569:                              ;   in Loop: Header=BB218_20 Depth=1
	ds_read_b32 v5, v38
.LBB218_570:                            ;   in Loop: Header=BB218_20 Depth=1
	s_or_b64 exec, exec, s[28:29]
	v_add_u32_e32 v6, -1, v64
	v_and_b32_e32 v7, 64, v64
	v_cmp_lt_i32_e32 vcc, v6, v7
	v_cndmask_b32_e32 v6, v6, v64, vcc
	s_waitcnt lgkmcnt(0)
	v_add_u32_e32 v1, v5, v1
	v_lshlrev_b32_e32 v65, 2, v6
	ds_bpermute_b32 v1, v65, v1
	v_cmp_eq_u32_e64 s[28:29], 0, v64
	s_waitcnt lgkmcnt(0)
	s_barrier
	s_and_saveexec_b64 s[30:31], s[4:5]
	s_cbranch_execz .LBB218_572
; %bb.571:                              ;   in Loop: Header=BB218_20 Depth=1
	v_cndmask_b32_e64 v1, v1, v5, s[28:29]
	v_add_u32_e32 v1, s51, v1
	ds_write_b32 v3, v1
.LBB218_572:                            ;   in Loop: Header=BB218_20 Depth=1
	s_or_b64 exec, exec, s[30:31]
	s_load_dwordx2 s[30:31], s[74:75], 0x0
	v_and_b32_e32 v21, 63, v64
	v_add_co_u32_e32 v74, vcc, v61, v21
	v_lshlrev_b32_e32 v22, 3, v21
	s_waitcnt lgkmcnt(0)
	s_cmp_lt_u32 s50, s30
	s_cselect_b32 s34, 12, 18
	s_cmp_lt_u32 s33, s31
	s_cselect_b32 s30, 14, 20
	s_add_u32 s30, s74, s30
	s_addc_u32 s31, s75, 0
	s_add_u32 s34, s74, s34
	global_load_ushort v5, v4, s[30:31]
	s_addc_u32 s35, s75, 0
	global_load_ushort v20, v4, s[34:35]
	v_addc_co_u32_e32 v76, vcc, 0, v62, vcc
	v_add_co_u32_e32 v77, vcc, v59, v22
	v_addc_co_u32_e32 v78, vcc, 0, v60, vcc
	v_or_b32_e32 v72, v21, v39
	v_add_co_u32_e32 v86, vcc, 0x1c0, v74
	v_cmp_eq_u32_e64 s[30:31], 0, v0
	v_cmp_lt_u32_e64 s[34:35], 1, v0
	s_mov_b32 s78, s71
	v_or_b32_e32 v79, 64, v72
	v_or_b32_e32 v80, 0x80, v72
	;; [unrolled: 1-line block ×7, first 2 shown]
	v_addc_co_u32_e32 v87, vcc, 0, v76, vcc
	s_mov_b32 s72, s51
                                        ; implicit-def: $vgpr0_vgpr1
                                        ; implicit-def: $vgpr6_vgpr7
                                        ; implicit-def: $vgpr8_vgpr9
                                        ; implicit-def: $vgpr10_vgpr11
                                        ; implicit-def: $vgpr12_vgpr13
                                        ; implicit-def: $vgpr14_vgpr15
                                        ; implicit-def: $vgpr16_vgpr17
                                        ; implicit-def: $vgpr18_vgpr19
                                        ; implicit-def: $vgpr66
                                        ; implicit-def: $vgpr67
                                        ; implicit-def: $vgpr68
                                        ; implicit-def: $vgpr69
                                        ; implicit-def: $vgpr70
                                        ; implicit-def: $vgpr71
                                        ; implicit-def: $vgpr73
                                        ; implicit-def: $vgpr75
	s_waitcnt vmcnt(1)
	v_mad_u32_u24 v5, v40, v5, v41
	s_waitcnt vmcnt(0)
	v_mad_u64_u32 v[20:21], s[36:37], v5, v20, v[2:3]
	v_lshrrev_b32_e32 v88, 6, v20
	s_branch .LBB218_574
.LBB218_573:                            ;   in Loop: Header=BB218_574 Depth=2
	s_or_b64 exec, exec, s[36:37]
	s_addk_i32 s78, 0xf800
	s_cmp_lt_u32 s79, s76
	s_mov_b32 s72, s79
	s_cbranch_scc0 .LBB218_18
.LBB218_574:                            ;   Parent Loop BB218_20 Depth=1
                                        ; =>  This Inner Loop Header: Depth=2
	s_add_i32 s79, s72, 0x800
	s_cmp_gt_u32 s79, s76
	s_cbranch_scc1 .LBB218_577
; %bb.575:                              ;   in Loop: Header=BB218_574 Depth=2
	v_add_co_u32_e32 v20, vcc, s72, v74
	v_addc_co_u32_e32 v21, vcc, 0, v76, vcc
	global_load_ubyte v90, v[20:21], off
	global_load_ubyte v91, v[20:21], off offset:64
	global_load_ubyte v92, v[20:21], off offset:128
	;; [unrolled: 1-line block ×6, first 2 shown]
	s_mov_b64 s[36:37], -1
	s_movk_i32 s40, 0x800
	s_cbranch_execz .LBB218_578
; %bb.576:                              ;   in Loop: Header=BB218_574 Depth=2
                                        ; implicit-def: $sgpr38
	v_mov_b32_e32 v97, s38
	v_mov_b32_e32 v89, s78
	s_and_saveexec_b64 s[38:39], s[36:37]
	s_cbranch_execnz .LBB218_593
	s_branch .LBB218_594
.LBB218_577:                            ;   in Loop: Header=BB218_574 Depth=2
	s_mov_b64 s[36:37], 0
                                        ; implicit-def: $sgpr40
                                        ; implicit-def: $vgpr90
                                        ; implicit-def: $vgpr91
                                        ; implicit-def: $vgpr92
                                        ; implicit-def: $vgpr93
                                        ; implicit-def: $vgpr94
                                        ; implicit-def: $vgpr95
                                        ; implicit-def: $vgpr96
.LBB218_578:                            ;   in Loop: Header=BB218_574 Depth=2
	v_add_co_u32_e32 v20, vcc, s72, v74
	v_addc_co_u32_e32 v21, vcc, 0, v76, vcc
	v_cmp_gt_u32_e32 vcc, s78, v72
	s_waitcnt vmcnt(5)
	v_mov_b32_e32 v91, 0xff
	v_mov_b32_e32 v90, 0xff
	s_and_saveexec_b64 s[36:37], vcc
	s_cbranch_execz .LBB218_580
; %bb.579:                              ;   in Loop: Header=BB218_574 Depth=2
	global_load_ubyte v90, v[20:21], off
.LBB218_580:                            ;   in Loop: Header=BB218_574 Depth=2
	s_or_b64 exec, exec, s[36:37]
	v_cmp_gt_u32_e32 vcc, s78, v79
	s_and_saveexec_b64 s[36:37], vcc
	s_cbranch_execz .LBB218_582
; %bb.581:                              ;   in Loop: Header=BB218_574 Depth=2
	global_load_ubyte v91, v[20:21], off offset:64
.LBB218_582:                            ;   in Loop: Header=BB218_574 Depth=2
	s_or_b64 exec, exec, s[36:37]
	v_cmp_gt_u32_e32 vcc, s78, v80
	s_waitcnt vmcnt(3)
	v_mov_b32_e32 v93, 0xff
	v_mov_b32_e32 v92, 0xff
	s_and_saveexec_b64 s[36:37], vcc
	s_cbranch_execz .LBB218_584
; %bb.583:                              ;   in Loop: Header=BB218_574 Depth=2
	global_load_ubyte v92, v[20:21], off offset:128
.LBB218_584:                            ;   in Loop: Header=BB218_574 Depth=2
	s_or_b64 exec, exec, s[36:37]
	v_cmp_gt_u32_e32 vcc, s78, v81
	s_and_saveexec_b64 s[36:37], vcc
	s_cbranch_execz .LBB218_586
; %bb.585:                              ;   in Loop: Header=BB218_574 Depth=2
	global_load_ubyte v93, v[20:21], off offset:192
.LBB218_586:                            ;   in Loop: Header=BB218_574 Depth=2
	s_or_b64 exec, exec, s[36:37]
	v_cmp_gt_u32_e32 vcc, s78, v82
	s_waitcnt vmcnt(1)
	v_mov_b32_e32 v95, 0xff
	v_mov_b32_e32 v94, 0xff
	s_and_saveexec_b64 s[36:37], vcc
	s_cbranch_execz .LBB218_588
; %bb.587:                              ;   in Loop: Header=BB218_574 Depth=2
	global_load_ubyte v94, v[20:21], off offset:256
.LBB218_588:                            ;   in Loop: Header=BB218_574 Depth=2
	s_or_b64 exec, exec, s[36:37]
	v_cmp_gt_u32_e32 vcc, s78, v83
	s_and_saveexec_b64 s[36:37], vcc
	s_cbranch_execz .LBB218_590
; %bb.589:                              ;   in Loop: Header=BB218_574 Depth=2
	global_load_ubyte v95, v[20:21], off offset:320
.LBB218_590:                            ;   in Loop: Header=BB218_574 Depth=2
	s_or_b64 exec, exec, s[36:37]
	v_cmp_gt_u32_e32 vcc, s78, v84
	s_waitcnt vmcnt(0)
	v_mov_b32_e32 v96, 0xff
	s_and_saveexec_b64 s[36:37], vcc
	s_cbranch_execz .LBB218_592
; %bb.591:                              ;   in Loop: Header=BB218_574 Depth=2
	global_load_ubyte v96, v[20:21], off offset:384
.LBB218_592:                            ;   in Loop: Header=BB218_574 Depth=2
	s_or_b64 exec, exec, s[36:37]
	s_sub_i32 s40, s76, s72
	v_cmp_gt_u32_e64 s[36:37], s78, v85
	s_movk_i32 s38, 0xff
	v_mov_b32_e32 v97, s38
	v_mov_b32_e32 v89, s78
	s_and_saveexec_b64 s[38:39], s[36:37]
	s_cbranch_execz .LBB218_594
.LBB218_593:                            ;   in Loop: Header=BB218_574 Depth=2
	v_mov_b32_e32 v5, s73
	v_add_co_u32_e32 v20, vcc, s72, v86
	v_addc_co_u32_e32 v21, vcc, v87, v5, vcc
	global_load_ubyte v97, v[20:21], off
	v_mov_b32_e32 v89, s40
.LBB218_594:                            ;   in Loop: Header=BB218_574 Depth=2
	s_or_b64 exec, exec, s[38:39]
	v_add_u32_e32 v5, 0x410, v42
	ds_write2_b32 v5, v4, v4 offset1:1
	ds_write2_b32 v44, v4, v4 offset0:2 offset1:3
	ds_write_b32 v44, v4 offset:16
	s_waitcnt vmcnt(6)
	v_lshrrev_b32_sdwa v5, s69, v90 dst_sel:DWORD dst_unused:UNUSED_PAD src0_sel:DWORD src1_sel:BYTE_0
	v_and_b32_e32 v20, s77, v5
	v_mad_u32_u24 v5, v20, 5, v88
	v_lshl_add_u32 v98, v5, 2, v43
	v_and_b32_e32 v5, 1, v20
	v_add_co_u32_e32 v21, vcc, -1, v5
	v_addc_co_u32_e64 v22, s[36:37], 0, -1, vcc
	v_cmp_ne_u32_e32 vcc, 0, v5
	v_xor_b32_e32 v5, vcc_hi, v22
	v_and_b32_e32 v22, exec_hi, v5
	v_lshlrev_b32_e32 v5, 30, v20
	v_xor_b32_e32 v21, vcc_lo, v21
	v_cmp_gt_i64_e32 vcc, 0, v[4:5]
	v_not_b32_e32 v5, v5
	v_ashrrev_i32_e32 v5, 31, v5
	v_and_b32_e32 v21, exec_lo, v21
	v_xor_b32_e32 v23, vcc_hi, v5
	v_xor_b32_e32 v5, vcc_lo, v5
	v_and_b32_e32 v21, v21, v5
	v_lshlrev_b32_e32 v5, 29, v20
	v_cmp_gt_i64_e32 vcc, 0, v[4:5]
	v_not_b32_e32 v5, v5
	v_ashrrev_i32_e32 v5, 31, v5
	v_and_b32_e32 v22, v22, v23
	v_xor_b32_e32 v23, vcc_hi, v5
	v_xor_b32_e32 v5, vcc_lo, v5
	v_and_b32_e32 v21, v21, v5
	v_lshlrev_b32_e32 v5, 28, v20
	v_cmp_gt_i64_e32 vcc, 0, v[4:5]
	v_not_b32_e32 v5, v5
	v_ashrrev_i32_e32 v5, 31, v5
	v_and_b32_e32 v22, v22, v23
	;; [unrolled: 8-line block ×5, first 2 shown]
	v_xor_b32_e32 v23, vcc_hi, v5
	v_xor_b32_e32 v5, vcc_lo, v5
	v_and_b32_e32 v22, v22, v23
	v_and_b32_e32 v23, v21, v5
	v_lshlrev_b32_e32 v5, 24, v20
	v_cmp_gt_i64_e32 vcc, 0, v[4:5]
	v_not_b32_e32 v5, v5
	v_ashrrev_i32_e32 v5, 31, v5
	v_xor_b32_e32 v20, vcc_hi, v5
	v_xor_b32_e32 v5, vcc_lo, v5
	v_and_b32_e32 v21, v22, v20
	v_and_b32_e32 v20, v23, v5
	v_mbcnt_lo_u32_b32 v5, v20, 0
	v_mbcnt_hi_u32_b32 v99, v21, v5
	v_cmp_eq_u32_e32 vcc, 0, v99
	v_cmp_ne_u64_e64 s[36:37], 0, v[20:21]
	s_and_b64 s[38:39], s[36:37], vcc
	s_waitcnt lgkmcnt(0)
	s_barrier
	s_waitcnt lgkmcnt(0)
	; wave barrier
	s_and_saveexec_b64 s[36:37], s[38:39]
	s_cbranch_execz .LBB218_596
; %bb.595:                              ;   in Loop: Header=BB218_574 Depth=2
	v_bcnt_u32_b32 v5, v20, 0
	v_bcnt_u32_b32 v5, v21, v5
	ds_write_b32 v98, v5
.LBB218_596:                            ;   in Loop: Header=BB218_574 Depth=2
	s_or_b64 exec, exec, s[36:37]
	s_waitcnt vmcnt(5)
	v_lshrrev_b32_sdwa v5, s69, v91 dst_sel:DWORD dst_unused:UNUSED_PAD src0_sel:DWORD src1_sel:BYTE_0
	v_and_b32_e32 v20, s77, v5
	v_mul_u32_u24_e32 v5, 5, v20
	v_add_lshl_u32 v5, v5, v88, 2
	; wave barrier
	v_add_u32_e32 v101, 0x410, v5
	ds_read_b32 v100, v5 offset:1040
	v_and_b32_e32 v5, 1, v20
	v_add_co_u32_e32 v21, vcc, -1, v5
	v_addc_co_u32_e64 v22, s[36:37], 0, -1, vcc
	v_cmp_ne_u32_e32 vcc, 0, v5
	v_xor_b32_e32 v5, vcc_hi, v22
	v_and_b32_e32 v22, exec_hi, v5
	v_lshlrev_b32_e32 v5, 30, v20
	v_xor_b32_e32 v21, vcc_lo, v21
	v_cmp_gt_i64_e32 vcc, 0, v[4:5]
	v_not_b32_e32 v5, v5
	v_ashrrev_i32_e32 v5, 31, v5
	v_and_b32_e32 v21, exec_lo, v21
	v_xor_b32_e32 v23, vcc_hi, v5
	v_xor_b32_e32 v5, vcc_lo, v5
	v_and_b32_e32 v21, v21, v5
	v_lshlrev_b32_e32 v5, 29, v20
	v_cmp_gt_i64_e32 vcc, 0, v[4:5]
	v_not_b32_e32 v5, v5
	v_ashrrev_i32_e32 v5, 31, v5
	v_and_b32_e32 v22, v22, v23
	v_xor_b32_e32 v23, vcc_hi, v5
	v_xor_b32_e32 v5, vcc_lo, v5
	v_and_b32_e32 v21, v21, v5
	v_lshlrev_b32_e32 v5, 28, v20
	v_cmp_gt_i64_e32 vcc, 0, v[4:5]
	v_not_b32_e32 v5, v5
	v_ashrrev_i32_e32 v5, 31, v5
	v_and_b32_e32 v22, v22, v23
	;; [unrolled: 8-line block ×5, first 2 shown]
	v_xor_b32_e32 v23, vcc_hi, v5
	v_xor_b32_e32 v5, vcc_lo, v5
	v_and_b32_e32 v22, v22, v23
	v_and_b32_e32 v23, v21, v5
	v_lshlrev_b32_e32 v5, 24, v20
	v_cmp_gt_i64_e32 vcc, 0, v[4:5]
	v_not_b32_e32 v5, v5
	v_ashrrev_i32_e32 v5, 31, v5
	v_xor_b32_e32 v20, vcc_hi, v5
	v_xor_b32_e32 v5, vcc_lo, v5
	v_and_b32_e32 v21, v22, v20
	v_and_b32_e32 v20, v23, v5
	v_mbcnt_lo_u32_b32 v5, v20, 0
	v_mbcnt_hi_u32_b32 v102, v21, v5
	v_cmp_eq_u32_e32 vcc, 0, v102
	v_cmp_ne_u64_e64 s[36:37], 0, v[20:21]
	s_and_b64 s[38:39], s[36:37], vcc
	; wave barrier
	s_and_saveexec_b64 s[36:37], s[38:39]
	s_cbranch_execz .LBB218_598
; %bb.597:                              ;   in Loop: Header=BB218_574 Depth=2
	v_bcnt_u32_b32 v5, v20, 0
	v_bcnt_u32_b32 v5, v21, v5
	s_waitcnt lgkmcnt(0)
	v_add_u32_e32 v5, v100, v5
	ds_write_b32 v101, v5
.LBB218_598:                            ;   in Loop: Header=BB218_574 Depth=2
	s_or_b64 exec, exec, s[36:37]
	s_waitcnt vmcnt(4)
	v_lshrrev_b32_sdwa v5, s69, v92 dst_sel:DWORD dst_unused:UNUSED_PAD src0_sel:DWORD src1_sel:BYTE_0
	v_and_b32_e32 v20, s77, v5
	v_mul_u32_u24_e32 v5, 5, v20
	v_add_lshl_u32 v5, v5, v88, 2
	; wave barrier
	v_add_u32_e32 v104, 0x410, v5
	ds_read_b32 v103, v5 offset:1040
	v_and_b32_e32 v5, 1, v20
	v_add_co_u32_e32 v21, vcc, -1, v5
	v_addc_co_u32_e64 v22, s[36:37], 0, -1, vcc
	v_cmp_ne_u32_e32 vcc, 0, v5
	v_xor_b32_e32 v5, vcc_hi, v22
	v_and_b32_e32 v22, exec_hi, v5
	v_lshlrev_b32_e32 v5, 30, v20
	v_xor_b32_e32 v21, vcc_lo, v21
	v_cmp_gt_i64_e32 vcc, 0, v[4:5]
	v_not_b32_e32 v5, v5
	v_ashrrev_i32_e32 v5, 31, v5
	v_and_b32_e32 v21, exec_lo, v21
	v_xor_b32_e32 v23, vcc_hi, v5
	v_xor_b32_e32 v5, vcc_lo, v5
	v_and_b32_e32 v21, v21, v5
	v_lshlrev_b32_e32 v5, 29, v20
	v_cmp_gt_i64_e32 vcc, 0, v[4:5]
	v_not_b32_e32 v5, v5
	v_ashrrev_i32_e32 v5, 31, v5
	v_and_b32_e32 v22, v22, v23
	v_xor_b32_e32 v23, vcc_hi, v5
	v_xor_b32_e32 v5, vcc_lo, v5
	v_and_b32_e32 v21, v21, v5
	v_lshlrev_b32_e32 v5, 28, v20
	v_cmp_gt_i64_e32 vcc, 0, v[4:5]
	v_not_b32_e32 v5, v5
	v_ashrrev_i32_e32 v5, 31, v5
	v_and_b32_e32 v22, v22, v23
	;; [unrolled: 8-line block ×5, first 2 shown]
	v_xor_b32_e32 v23, vcc_hi, v5
	v_xor_b32_e32 v5, vcc_lo, v5
	v_and_b32_e32 v22, v22, v23
	v_and_b32_e32 v23, v21, v5
	v_lshlrev_b32_e32 v5, 24, v20
	v_cmp_gt_i64_e32 vcc, 0, v[4:5]
	v_not_b32_e32 v5, v5
	v_ashrrev_i32_e32 v5, 31, v5
	v_xor_b32_e32 v20, vcc_hi, v5
	v_xor_b32_e32 v5, vcc_lo, v5
	v_and_b32_e32 v21, v22, v20
	v_and_b32_e32 v20, v23, v5
	v_mbcnt_lo_u32_b32 v5, v20, 0
	v_mbcnt_hi_u32_b32 v105, v21, v5
	v_cmp_eq_u32_e32 vcc, 0, v105
	v_cmp_ne_u64_e64 s[36:37], 0, v[20:21]
	s_and_b64 s[38:39], s[36:37], vcc
	; wave barrier
	s_and_saveexec_b64 s[36:37], s[38:39]
	s_cbranch_execz .LBB218_600
; %bb.599:                              ;   in Loop: Header=BB218_574 Depth=2
	v_bcnt_u32_b32 v5, v20, 0
	v_bcnt_u32_b32 v5, v21, v5
	s_waitcnt lgkmcnt(0)
	v_add_u32_e32 v5, v103, v5
	ds_write_b32 v104, v5
.LBB218_600:                            ;   in Loop: Header=BB218_574 Depth=2
	s_or_b64 exec, exec, s[36:37]
	s_waitcnt vmcnt(3)
	v_lshrrev_b32_sdwa v5, s69, v93 dst_sel:DWORD dst_unused:UNUSED_PAD src0_sel:DWORD src1_sel:BYTE_0
	v_and_b32_e32 v20, s77, v5
	v_mul_u32_u24_e32 v5, 5, v20
	v_add_lshl_u32 v5, v5, v88, 2
	; wave barrier
	v_add_u32_e32 v107, 0x410, v5
	ds_read_b32 v106, v5 offset:1040
	v_and_b32_e32 v5, 1, v20
	v_add_co_u32_e32 v21, vcc, -1, v5
	v_addc_co_u32_e64 v22, s[36:37], 0, -1, vcc
	v_cmp_ne_u32_e32 vcc, 0, v5
	v_xor_b32_e32 v5, vcc_hi, v22
	v_and_b32_e32 v22, exec_hi, v5
	v_lshlrev_b32_e32 v5, 30, v20
	v_xor_b32_e32 v21, vcc_lo, v21
	v_cmp_gt_i64_e32 vcc, 0, v[4:5]
	v_not_b32_e32 v5, v5
	v_ashrrev_i32_e32 v5, 31, v5
	v_and_b32_e32 v21, exec_lo, v21
	v_xor_b32_e32 v23, vcc_hi, v5
	v_xor_b32_e32 v5, vcc_lo, v5
	v_and_b32_e32 v21, v21, v5
	v_lshlrev_b32_e32 v5, 29, v20
	v_cmp_gt_i64_e32 vcc, 0, v[4:5]
	v_not_b32_e32 v5, v5
	v_ashrrev_i32_e32 v5, 31, v5
	v_and_b32_e32 v22, v22, v23
	v_xor_b32_e32 v23, vcc_hi, v5
	v_xor_b32_e32 v5, vcc_lo, v5
	v_and_b32_e32 v21, v21, v5
	v_lshlrev_b32_e32 v5, 28, v20
	v_cmp_gt_i64_e32 vcc, 0, v[4:5]
	v_not_b32_e32 v5, v5
	v_ashrrev_i32_e32 v5, 31, v5
	v_and_b32_e32 v22, v22, v23
	;; [unrolled: 8-line block ×5, first 2 shown]
	v_xor_b32_e32 v23, vcc_hi, v5
	v_xor_b32_e32 v5, vcc_lo, v5
	v_and_b32_e32 v22, v22, v23
	v_and_b32_e32 v23, v21, v5
	v_lshlrev_b32_e32 v5, 24, v20
	v_cmp_gt_i64_e32 vcc, 0, v[4:5]
	v_not_b32_e32 v5, v5
	v_ashrrev_i32_e32 v5, 31, v5
	v_xor_b32_e32 v20, vcc_hi, v5
	v_xor_b32_e32 v5, vcc_lo, v5
	v_and_b32_e32 v21, v22, v20
	v_and_b32_e32 v20, v23, v5
	v_mbcnt_lo_u32_b32 v5, v20, 0
	v_mbcnt_hi_u32_b32 v108, v21, v5
	v_cmp_eq_u32_e32 vcc, 0, v108
	v_cmp_ne_u64_e64 s[36:37], 0, v[20:21]
	s_and_b64 s[38:39], s[36:37], vcc
	; wave barrier
	s_and_saveexec_b64 s[36:37], s[38:39]
	s_cbranch_execz .LBB218_602
; %bb.601:                              ;   in Loop: Header=BB218_574 Depth=2
	v_bcnt_u32_b32 v5, v20, 0
	v_bcnt_u32_b32 v5, v21, v5
	s_waitcnt lgkmcnt(0)
	v_add_u32_e32 v5, v106, v5
	ds_write_b32 v107, v5
.LBB218_602:                            ;   in Loop: Header=BB218_574 Depth=2
	s_or_b64 exec, exec, s[36:37]
	s_waitcnt vmcnt(2)
	v_lshrrev_b32_sdwa v5, s69, v94 dst_sel:DWORD dst_unused:UNUSED_PAD src0_sel:DWORD src1_sel:BYTE_0
	v_and_b32_e32 v20, s77, v5
	v_mul_u32_u24_e32 v5, 5, v20
	v_add_lshl_u32 v5, v5, v88, 2
	; wave barrier
	v_add_u32_e32 v110, 0x410, v5
	ds_read_b32 v109, v5 offset:1040
	v_and_b32_e32 v5, 1, v20
	v_add_co_u32_e32 v21, vcc, -1, v5
	v_addc_co_u32_e64 v22, s[36:37], 0, -1, vcc
	v_cmp_ne_u32_e32 vcc, 0, v5
	v_xor_b32_e32 v5, vcc_hi, v22
	v_and_b32_e32 v22, exec_hi, v5
	v_lshlrev_b32_e32 v5, 30, v20
	v_xor_b32_e32 v21, vcc_lo, v21
	v_cmp_gt_i64_e32 vcc, 0, v[4:5]
	v_not_b32_e32 v5, v5
	v_ashrrev_i32_e32 v5, 31, v5
	v_and_b32_e32 v21, exec_lo, v21
	v_xor_b32_e32 v23, vcc_hi, v5
	v_xor_b32_e32 v5, vcc_lo, v5
	v_and_b32_e32 v21, v21, v5
	v_lshlrev_b32_e32 v5, 29, v20
	v_cmp_gt_i64_e32 vcc, 0, v[4:5]
	v_not_b32_e32 v5, v5
	v_ashrrev_i32_e32 v5, 31, v5
	v_and_b32_e32 v22, v22, v23
	v_xor_b32_e32 v23, vcc_hi, v5
	v_xor_b32_e32 v5, vcc_lo, v5
	v_and_b32_e32 v21, v21, v5
	v_lshlrev_b32_e32 v5, 28, v20
	v_cmp_gt_i64_e32 vcc, 0, v[4:5]
	v_not_b32_e32 v5, v5
	v_ashrrev_i32_e32 v5, 31, v5
	v_and_b32_e32 v22, v22, v23
	;; [unrolled: 8-line block ×5, first 2 shown]
	v_xor_b32_e32 v23, vcc_hi, v5
	v_xor_b32_e32 v5, vcc_lo, v5
	v_and_b32_e32 v22, v22, v23
	v_and_b32_e32 v23, v21, v5
	v_lshlrev_b32_e32 v5, 24, v20
	v_cmp_gt_i64_e32 vcc, 0, v[4:5]
	v_not_b32_e32 v5, v5
	v_ashrrev_i32_e32 v5, 31, v5
	v_xor_b32_e32 v20, vcc_hi, v5
	v_xor_b32_e32 v5, vcc_lo, v5
	v_and_b32_e32 v21, v22, v20
	v_and_b32_e32 v20, v23, v5
	v_mbcnt_lo_u32_b32 v5, v20, 0
	v_mbcnt_hi_u32_b32 v111, v21, v5
	v_cmp_eq_u32_e32 vcc, 0, v111
	v_cmp_ne_u64_e64 s[36:37], 0, v[20:21]
	s_and_b64 s[38:39], s[36:37], vcc
	; wave barrier
	s_and_saveexec_b64 s[36:37], s[38:39]
	s_cbranch_execz .LBB218_604
; %bb.603:                              ;   in Loop: Header=BB218_574 Depth=2
	v_bcnt_u32_b32 v5, v20, 0
	v_bcnt_u32_b32 v5, v21, v5
	s_waitcnt lgkmcnt(0)
	v_add_u32_e32 v5, v109, v5
	ds_write_b32 v110, v5
.LBB218_604:                            ;   in Loop: Header=BB218_574 Depth=2
	s_or_b64 exec, exec, s[36:37]
	s_waitcnt vmcnt(1)
	v_lshrrev_b32_sdwa v5, s69, v95 dst_sel:DWORD dst_unused:UNUSED_PAD src0_sel:DWORD src1_sel:BYTE_0
	v_and_b32_e32 v20, s77, v5
	v_mul_u32_u24_e32 v5, 5, v20
	v_add_lshl_u32 v5, v5, v88, 2
	; wave barrier
	v_add_u32_e32 v113, 0x410, v5
	ds_read_b32 v112, v5 offset:1040
	v_and_b32_e32 v5, 1, v20
	v_add_co_u32_e32 v21, vcc, -1, v5
	v_addc_co_u32_e64 v22, s[36:37], 0, -1, vcc
	v_cmp_ne_u32_e32 vcc, 0, v5
	v_xor_b32_e32 v5, vcc_hi, v22
	v_and_b32_e32 v22, exec_hi, v5
	v_lshlrev_b32_e32 v5, 30, v20
	v_xor_b32_e32 v21, vcc_lo, v21
	v_cmp_gt_i64_e32 vcc, 0, v[4:5]
	v_not_b32_e32 v5, v5
	v_ashrrev_i32_e32 v5, 31, v5
	v_and_b32_e32 v21, exec_lo, v21
	v_xor_b32_e32 v23, vcc_hi, v5
	v_xor_b32_e32 v5, vcc_lo, v5
	v_and_b32_e32 v21, v21, v5
	v_lshlrev_b32_e32 v5, 29, v20
	v_cmp_gt_i64_e32 vcc, 0, v[4:5]
	v_not_b32_e32 v5, v5
	v_ashrrev_i32_e32 v5, 31, v5
	v_and_b32_e32 v22, v22, v23
	v_xor_b32_e32 v23, vcc_hi, v5
	v_xor_b32_e32 v5, vcc_lo, v5
	v_and_b32_e32 v21, v21, v5
	v_lshlrev_b32_e32 v5, 28, v20
	v_cmp_gt_i64_e32 vcc, 0, v[4:5]
	v_not_b32_e32 v5, v5
	v_ashrrev_i32_e32 v5, 31, v5
	v_and_b32_e32 v22, v22, v23
	;; [unrolled: 8-line block ×5, first 2 shown]
	v_xor_b32_e32 v23, vcc_hi, v5
	v_xor_b32_e32 v5, vcc_lo, v5
	v_and_b32_e32 v22, v22, v23
	v_and_b32_e32 v23, v21, v5
	v_lshlrev_b32_e32 v5, 24, v20
	v_cmp_gt_i64_e32 vcc, 0, v[4:5]
	v_not_b32_e32 v5, v5
	v_ashrrev_i32_e32 v5, 31, v5
	v_xor_b32_e32 v20, vcc_hi, v5
	v_xor_b32_e32 v5, vcc_lo, v5
	v_and_b32_e32 v21, v22, v20
	v_and_b32_e32 v20, v23, v5
	v_mbcnt_lo_u32_b32 v5, v20, 0
	v_mbcnt_hi_u32_b32 v114, v21, v5
	v_cmp_eq_u32_e32 vcc, 0, v114
	v_cmp_ne_u64_e64 s[36:37], 0, v[20:21]
	s_and_b64 s[38:39], s[36:37], vcc
	; wave barrier
	s_and_saveexec_b64 s[36:37], s[38:39]
	s_cbranch_execz .LBB218_606
; %bb.605:                              ;   in Loop: Header=BB218_574 Depth=2
	v_bcnt_u32_b32 v5, v20, 0
	v_bcnt_u32_b32 v5, v21, v5
	s_waitcnt lgkmcnt(0)
	v_add_u32_e32 v5, v112, v5
	ds_write_b32 v113, v5
.LBB218_606:                            ;   in Loop: Header=BB218_574 Depth=2
	s_or_b64 exec, exec, s[36:37]
	s_waitcnt vmcnt(0)
	v_lshrrev_b32_sdwa v5, s69, v96 dst_sel:DWORD dst_unused:UNUSED_PAD src0_sel:DWORD src1_sel:BYTE_0
	v_and_b32_e32 v20, s77, v5
	v_mul_u32_u24_e32 v5, 5, v20
	v_add_lshl_u32 v5, v5, v88, 2
	; wave barrier
	v_add_u32_e32 v116, 0x410, v5
	ds_read_b32 v115, v5 offset:1040
	v_and_b32_e32 v5, 1, v20
	v_add_co_u32_e32 v21, vcc, -1, v5
	v_addc_co_u32_e64 v22, s[36:37], 0, -1, vcc
	v_cmp_ne_u32_e32 vcc, 0, v5
	v_xor_b32_e32 v5, vcc_hi, v22
	v_and_b32_e32 v22, exec_hi, v5
	v_lshlrev_b32_e32 v5, 30, v20
	v_xor_b32_e32 v21, vcc_lo, v21
	v_cmp_gt_i64_e32 vcc, 0, v[4:5]
	v_not_b32_e32 v5, v5
	v_ashrrev_i32_e32 v5, 31, v5
	v_and_b32_e32 v21, exec_lo, v21
	v_xor_b32_e32 v23, vcc_hi, v5
	v_xor_b32_e32 v5, vcc_lo, v5
	v_and_b32_e32 v21, v21, v5
	v_lshlrev_b32_e32 v5, 29, v20
	v_cmp_gt_i64_e32 vcc, 0, v[4:5]
	v_not_b32_e32 v5, v5
	v_ashrrev_i32_e32 v5, 31, v5
	v_and_b32_e32 v22, v22, v23
	v_xor_b32_e32 v23, vcc_hi, v5
	v_xor_b32_e32 v5, vcc_lo, v5
	v_and_b32_e32 v21, v21, v5
	v_lshlrev_b32_e32 v5, 28, v20
	v_cmp_gt_i64_e32 vcc, 0, v[4:5]
	v_not_b32_e32 v5, v5
	v_ashrrev_i32_e32 v5, 31, v5
	v_and_b32_e32 v22, v22, v23
	;; [unrolled: 8-line block ×5, first 2 shown]
	v_xor_b32_e32 v23, vcc_hi, v5
	v_xor_b32_e32 v5, vcc_lo, v5
	v_and_b32_e32 v22, v22, v23
	v_and_b32_e32 v23, v21, v5
	v_lshlrev_b32_e32 v5, 24, v20
	v_cmp_gt_i64_e32 vcc, 0, v[4:5]
	v_not_b32_e32 v5, v5
	v_ashrrev_i32_e32 v5, 31, v5
	v_xor_b32_e32 v20, vcc_hi, v5
	v_xor_b32_e32 v5, vcc_lo, v5
	v_and_b32_e32 v21, v22, v20
	v_and_b32_e32 v20, v23, v5
	v_mbcnt_lo_u32_b32 v5, v20, 0
	v_mbcnt_hi_u32_b32 v117, v21, v5
	v_cmp_eq_u32_e32 vcc, 0, v117
	v_cmp_ne_u64_e64 s[36:37], 0, v[20:21]
	s_and_b64 s[38:39], s[36:37], vcc
	; wave barrier
	s_and_saveexec_b64 s[36:37], s[38:39]
	s_cbranch_execz .LBB218_608
; %bb.607:                              ;   in Loop: Header=BB218_574 Depth=2
	v_bcnt_u32_b32 v5, v20, 0
	v_bcnt_u32_b32 v5, v21, v5
	s_waitcnt lgkmcnt(0)
	v_add_u32_e32 v5, v115, v5
	ds_write_b32 v116, v5
.LBB218_608:                            ;   in Loop: Header=BB218_574 Depth=2
	s_or_b64 exec, exec, s[36:37]
	v_lshrrev_b32_sdwa v5, s69, v97 dst_sel:DWORD dst_unused:UNUSED_PAD src0_sel:DWORD src1_sel:BYTE_0
	v_and_b32_e32 v20, s77, v5
	v_mul_u32_u24_e32 v5, 5, v20
	v_add_lshl_u32 v5, v5, v88, 2
	; wave barrier
	v_add_u32_e32 v119, 0x410, v5
	ds_read_b32 v118, v5 offset:1040
	v_and_b32_e32 v5, 1, v20
	v_add_co_u32_e32 v21, vcc, -1, v5
	v_addc_co_u32_e64 v22, s[36:37], 0, -1, vcc
	v_cmp_ne_u32_e32 vcc, 0, v5
	v_xor_b32_e32 v5, vcc_hi, v22
	v_and_b32_e32 v22, exec_hi, v5
	v_lshlrev_b32_e32 v5, 30, v20
	v_xor_b32_e32 v21, vcc_lo, v21
	v_cmp_gt_i64_e32 vcc, 0, v[4:5]
	v_not_b32_e32 v5, v5
	v_ashrrev_i32_e32 v5, 31, v5
	v_and_b32_e32 v21, exec_lo, v21
	v_xor_b32_e32 v23, vcc_hi, v5
	v_xor_b32_e32 v5, vcc_lo, v5
	v_and_b32_e32 v21, v21, v5
	v_lshlrev_b32_e32 v5, 29, v20
	v_cmp_gt_i64_e32 vcc, 0, v[4:5]
	v_not_b32_e32 v5, v5
	v_ashrrev_i32_e32 v5, 31, v5
	v_and_b32_e32 v22, v22, v23
	v_xor_b32_e32 v23, vcc_hi, v5
	v_xor_b32_e32 v5, vcc_lo, v5
	v_and_b32_e32 v21, v21, v5
	v_lshlrev_b32_e32 v5, 28, v20
	v_cmp_gt_i64_e32 vcc, 0, v[4:5]
	v_not_b32_e32 v5, v5
	v_ashrrev_i32_e32 v5, 31, v5
	v_and_b32_e32 v22, v22, v23
	;; [unrolled: 8-line block ×5, first 2 shown]
	v_xor_b32_e32 v23, vcc_hi, v5
	v_xor_b32_e32 v5, vcc_lo, v5
	v_and_b32_e32 v22, v22, v23
	v_and_b32_e32 v23, v21, v5
	v_lshlrev_b32_e32 v5, 24, v20
	v_cmp_gt_i64_e32 vcc, 0, v[4:5]
	v_not_b32_e32 v5, v5
	v_ashrrev_i32_e32 v5, 31, v5
	v_xor_b32_e32 v20, vcc_hi, v5
	v_xor_b32_e32 v5, vcc_lo, v5
	v_and_b32_e32 v21, v22, v20
	v_and_b32_e32 v20, v23, v5
	v_mbcnt_lo_u32_b32 v5, v20, 0
	v_mbcnt_hi_u32_b32 v120, v21, v5
	v_cmp_eq_u32_e32 vcc, 0, v120
	v_cmp_ne_u64_e64 s[36:37], 0, v[20:21]
	s_and_b64 s[38:39], s[36:37], vcc
	; wave barrier
	s_and_saveexec_b64 s[36:37], s[38:39]
	s_cbranch_execz .LBB218_610
; %bb.609:                              ;   in Loop: Header=BB218_574 Depth=2
	v_bcnt_u32_b32 v5, v20, 0
	v_bcnt_u32_b32 v5, v21, v5
	s_waitcnt lgkmcnt(0)
	v_add_u32_e32 v5, v118, v5
	ds_write_b32 v119, v5
.LBB218_610:                            ;   in Loop: Header=BB218_574 Depth=2
	s_or_b64 exec, exec, s[36:37]
	; wave barrier
	s_waitcnt lgkmcnt(0)
	s_barrier
	ds_read_b32 v5, v42 offset:1040
	ds_read2_b32 v[22:23], v44 offset0:1 offset1:2
	ds_read2_b32 v[20:21], v44 offset0:3 offset1:4
	s_waitcnt lgkmcnt(1)
	v_add3_u32 v121, v22, v5, v23
	s_waitcnt lgkmcnt(0)
	v_add3_u32 v21, v121, v20, v21
	s_nop 1
	v_mov_b32_dpp v121, v21 row_shr:1 row_mask:0xf bank_mask:0xf
	v_cndmask_b32_e64 v121, v121, 0, s[16:17]
	v_add_u32_e32 v21, v121, v21
	s_nop 1
	v_mov_b32_dpp v121, v21 row_shr:2 row_mask:0xf bank_mask:0xf
	v_cndmask_b32_e64 v121, 0, v121, s[18:19]
	v_add_u32_e32 v21, v21, v121
	;; [unrolled: 4-line block ×4, first 2 shown]
	s_nop 1
	v_mov_b32_dpp v121, v21 row_bcast:15 row_mask:0xf bank_mask:0xf
	v_cndmask_b32_e64 v121, v121, 0, s[24:25]
	v_add_u32_e32 v21, v21, v121
	s_nop 1
	v_mov_b32_dpp v121, v21 row_bcast:31 row_mask:0xf bank_mask:0xf
	v_cndmask_b32_e64 v121, 0, v121, s[26:27]
	v_add_u32_e32 v21, v21, v121
	s_and_saveexec_b64 s[36:37], s[6:7]
	s_cbranch_execz .LBB218_612
; %bb.611:                              ;   in Loop: Header=BB218_574 Depth=2
	ds_write_b32 v35, v21 offset:1024
.LBB218_612:                            ;   in Loop: Header=BB218_574 Depth=2
	s_or_b64 exec, exec, s[36:37]
	s_waitcnt lgkmcnt(0)
	s_barrier
	s_and_saveexec_b64 s[36:37], s[8:9]
	s_cbranch_execz .LBB218_614
; %bb.613:                              ;   in Loop: Header=BB218_574 Depth=2
	v_add_u32_e32 v121, v42, v45
	ds_read_b32 v122, v121 offset:1024
	s_waitcnt lgkmcnt(0)
	s_nop 0
	v_mov_b32_dpp v123, v122 row_shr:1 row_mask:0xf bank_mask:0xf
	v_cndmask_b32_e64 v123, v123, 0, s[30:31]
	v_add_u32_e32 v122, v123, v122
	s_nop 1
	v_mov_b32_dpp v123, v122 row_shr:2 row_mask:0xf bank_mask:0xf
	v_cndmask_b32_e64 v123, 0, v123, s[34:35]
	v_add_u32_e32 v122, v122, v123
	ds_write_b32 v121, v122 offset:1024
.LBB218_614:                            ;   in Loop: Header=BB218_574 Depth=2
	s_or_b64 exec, exec, s[36:37]
	v_mov_b32_e32 v121, 0
	s_waitcnt lgkmcnt(0)
	s_barrier
	s_and_saveexec_b64 s[36:37], s[10:11]
	s_cbranch_execz .LBB218_616
; %bb.615:                              ;   in Loop: Header=BB218_574 Depth=2
	ds_read_b32 v121, v35 offset:1020
.LBB218_616:                            ;   in Loop: Header=BB218_574 Depth=2
	s_or_b64 exec, exec, s[36:37]
	s_waitcnt lgkmcnt(0)
	v_add_u32_e32 v21, v121, v21
	ds_bpermute_b32 v21, v65, v21
	s_waitcnt lgkmcnt(0)
	v_cndmask_b32_e64 v21, v21, v121, s[28:29]
	v_cndmask_b32_e64 v21, v21, 0, s[12:13]
	v_add_u32_e32 v5, v21, v5
	ds_write_b32 v42, v21 offset:1040
	v_add_u32_e32 v21, v5, v22
	v_add_u32_e32 v22, v21, v23
	ds_write2_b32 v44, v5, v21 offset0:1 offset1:2
	v_add_u32_e32 v5, v22, v20
	ds_write2_b32 v44, v22, v5 offset0:3 offset1:4
	s_waitcnt lgkmcnt(0)
	s_barrier
	ds_read_b32 v20, v101
	ds_read_b32 v21, v104
	;; [unrolled: 1-line block ×8, first 2 shown]
	ds_read_b32 v101, v42 offset:1040
	v_mov_b32_e32 v5, 0x800
	s_and_saveexec_b64 s[36:37], s[14:15]
	s_cbranch_execz .LBB218_618
; %bb.617:                              ;   in Loop: Header=BB218_574 Depth=2
	ds_read_b32 v5, v42 offset:1060
.LBB218_618:                            ;   in Loop: Header=BB218_574 Depth=2
	s_or_b64 exec, exec, s[36:37]
	s_waitcnt lgkmcnt(0)
	s_barrier
	s_and_saveexec_b64 s[36:37], s[4:5]
	s_cbranch_execz .LBB218_620
; %bb.619:                              ;   in Loop: Header=BB218_574 Depth=2
	ds_read_b32 v104, v3
	s_waitcnt lgkmcnt(0)
	v_sub_u32_e32 v101, v104, v101
	ds_write_b32 v3, v101
.LBB218_620:                            ;   in Loop: Header=BB218_574 Depth=2
	s_or_b64 exec, exec, s[36:37]
	v_add_u32_e32 v104, v98, v99
	v_add3_u32 v102, v102, v100, v20
	v_add3_u32 v101, v105, v103, v21
	;; [unrolled: 1-line block ×7, first 2 shown]
	v_cmp_lt_u32_e64 s[48:49], v2, v89
	ds_write_b8 v104, v90 offset:1024
	ds_write_b8 v102, v91 offset:1024
	;; [unrolled: 1-line block ×8, first 2 shown]
	s_waitcnt lgkmcnt(0)
	s_barrier
	s_and_saveexec_b64 s[36:37], s[48:49]
	s_cbranch_execz .LBB218_628
; %bb.621:                              ;   in Loop: Header=BB218_574 Depth=2
	ds_read_u8 v20, v2 offset:1024
	s_waitcnt lgkmcnt(0)
	v_lshrrev_b32_sdwa v21, s69, v20 dst_sel:DWORD dst_unused:UNUSED_PAD src0_sel:DWORD src1_sel:BYTE_0
	v_and_b32_e32 v21, s77, v21
	v_lshlrev_b32_e32 v21, 2, v21
	ds_read_b32 v21, v21
	s_waitcnt lgkmcnt(0)
	v_add_u32_e32 v21, v21, v2
	global_store_byte v21, v20, s[60:61]
	s_or_b64 exec, exec, s[36:37]
	v_cmp_lt_u32_e64 s[46:47], v24, v89
	s_and_saveexec_b64 s[36:37], s[46:47]
	s_cbranch_execnz .LBB218_629
.LBB218_622:                            ;   in Loop: Header=BB218_574 Depth=2
	s_or_b64 exec, exec, s[36:37]
	v_cmp_lt_u32_e64 s[44:45], v25, v89
	s_and_saveexec_b64 s[36:37], s[44:45]
	s_cbranch_execz .LBB218_630
.LBB218_623:                            ;   in Loop: Header=BB218_574 Depth=2
	ds_read_u8 v20, v30 offset:512
	s_waitcnt lgkmcnt(0)
	v_lshrrev_b32_sdwa v21, s69, v20 dst_sel:DWORD dst_unused:UNUSED_PAD src0_sel:DWORD src1_sel:BYTE_0
	v_and_b32_e32 v21, s77, v21
	v_lshlrev_b32_e32 v21, 2, v21
	ds_read_b32 v21, v21
	s_waitcnt lgkmcnt(0)
	v_add_u32_e32 v21, v21, v25
	global_store_byte v21, v20, s[60:61]
	s_or_b64 exec, exec, s[36:37]
	v_cmp_lt_u32_e64 s[42:43], v26, v89
	s_and_saveexec_b64 s[36:37], s[42:43]
	s_cbranch_execnz .LBB218_631
.LBB218_624:                            ;   in Loop: Header=BB218_574 Depth=2
	s_or_b64 exec, exec, s[36:37]
	v_cmp_lt_u32_e64 s[40:41], v30, v89
	s_and_saveexec_b64 s[36:37], s[40:41]
	s_cbranch_execz .LBB218_632
.LBB218_625:                            ;   in Loop: Header=BB218_574 Depth=2
	ds_read_u8 v20, v30 offset:1024
	s_waitcnt lgkmcnt(0)
	v_lshrrev_b32_sdwa v21, s69, v20 dst_sel:DWORD dst_unused:UNUSED_PAD src0_sel:DWORD src1_sel:BYTE_0
	v_and_b32_e32 v21, s77, v21
	v_lshlrev_b32_e32 v21, 2, v21
	ds_read_b32 v21, v21
	s_waitcnt lgkmcnt(0)
	v_add_u32_e32 v21, v21, v30
	global_store_byte v21, v20, s[60:61]
	s_or_b64 exec, exec, s[36:37]
	v_cmp_lt_u32_e64 s[38:39], v31, v89
	s_and_saveexec_b64 s[36:37], s[38:39]
	s_cbranch_execnz .LBB218_633
.LBB218_626:                            ;   in Loop: Header=BB218_574 Depth=2
	s_or_b64 exec, exec, s[36:37]
	v_cmp_lt_u32_e64 s[36:37], v32, v89
	s_and_saveexec_b64 s[52:53], s[36:37]
	s_cbranch_execz .LBB218_634
.LBB218_627:                            ;   in Loop: Header=BB218_574 Depth=2
	ds_read_u8 v20, v30 offset:1536
	s_waitcnt lgkmcnt(0)
	v_lshrrev_b32_sdwa v21, s69, v20 dst_sel:DWORD dst_unused:UNUSED_PAD src0_sel:DWORD src1_sel:BYTE_0
	v_and_b32_e32 v21, s77, v21
	v_lshlrev_b32_e32 v21, 2, v21
	ds_read_b32 v21, v21
	s_waitcnt lgkmcnt(0)
	v_add_u32_e32 v21, v21, v32
	global_store_byte v21, v20, s[60:61]
	s_or_b64 exec, exec, s[52:53]
	v_cmp_lt_u32_e32 vcc, v33, v89
	s_and_saveexec_b64 s[52:53], vcc
	s_cbranch_execnz .LBB218_635
	s_branch .LBB218_636
.LBB218_628:                            ;   in Loop: Header=BB218_574 Depth=2
	s_or_b64 exec, exec, s[36:37]
	v_cmp_lt_u32_e64 s[46:47], v24, v89
	s_and_saveexec_b64 s[36:37], s[46:47]
	s_cbranch_execz .LBB218_622
.LBB218_629:                            ;   in Loop: Header=BB218_574 Depth=2
	ds_read_u8 v20, v30 offset:256
	s_waitcnt lgkmcnt(0)
	v_lshrrev_b32_sdwa v21, s69, v20 dst_sel:DWORD dst_unused:UNUSED_PAD src0_sel:DWORD src1_sel:BYTE_0
	v_and_b32_e32 v21, s77, v21
	v_lshlrev_b32_e32 v21, 2, v21
	ds_read_b32 v21, v21
	s_waitcnt lgkmcnt(0)
	v_add_u32_e32 v21, v21, v24
	global_store_byte v21, v20, s[60:61]
	s_or_b64 exec, exec, s[36:37]
	v_cmp_lt_u32_e64 s[44:45], v25, v89
	s_and_saveexec_b64 s[36:37], s[44:45]
	s_cbranch_execnz .LBB218_623
.LBB218_630:                            ;   in Loop: Header=BB218_574 Depth=2
	s_or_b64 exec, exec, s[36:37]
	v_cmp_lt_u32_e64 s[42:43], v26, v89
	s_and_saveexec_b64 s[36:37], s[42:43]
	s_cbranch_execz .LBB218_624
.LBB218_631:                            ;   in Loop: Header=BB218_574 Depth=2
	ds_read_u8 v20, v30 offset:768
	s_waitcnt lgkmcnt(0)
	v_lshrrev_b32_sdwa v21, s69, v20 dst_sel:DWORD dst_unused:UNUSED_PAD src0_sel:DWORD src1_sel:BYTE_0
	v_and_b32_e32 v21, s77, v21
	v_lshlrev_b32_e32 v21, 2, v21
	ds_read_b32 v21, v21
	s_waitcnt lgkmcnt(0)
	v_add_u32_e32 v21, v21, v26
	global_store_byte v21, v20, s[60:61]
	s_or_b64 exec, exec, s[36:37]
	v_cmp_lt_u32_e64 s[40:41], v30, v89
	s_and_saveexec_b64 s[36:37], s[40:41]
	s_cbranch_execnz .LBB218_625
.LBB218_632:                            ;   in Loop: Header=BB218_574 Depth=2
	s_or_b64 exec, exec, s[36:37]
	v_cmp_lt_u32_e64 s[38:39], v31, v89
	s_and_saveexec_b64 s[36:37], s[38:39]
	s_cbranch_execz .LBB218_626
.LBB218_633:                            ;   in Loop: Header=BB218_574 Depth=2
	ds_read_u8 v20, v30 offset:1280
	s_waitcnt lgkmcnt(0)
	v_lshrrev_b32_sdwa v21, s69, v20 dst_sel:DWORD dst_unused:UNUSED_PAD src0_sel:DWORD src1_sel:BYTE_0
	v_and_b32_e32 v21, s77, v21
	v_lshlrev_b32_e32 v21, 2, v21
	ds_read_b32 v21, v21
	s_waitcnt lgkmcnt(0)
	v_add_u32_e32 v21, v21, v31
	global_store_byte v21, v20, s[60:61]
	s_or_b64 exec, exec, s[36:37]
	v_cmp_lt_u32_e64 s[36:37], v32, v89
	s_and_saveexec_b64 s[52:53], s[36:37]
	s_cbranch_execnz .LBB218_627
.LBB218_634:                            ;   in Loop: Header=BB218_574 Depth=2
	s_or_b64 exec, exec, s[52:53]
	v_cmp_lt_u32_e32 vcc, v33, v89
	s_and_saveexec_b64 s[52:53], vcc
	s_cbranch_execz .LBB218_636
.LBB218_635:                            ;   in Loop: Header=BB218_574 Depth=2
	ds_read_u8 v20, v30 offset:1792
	s_waitcnt lgkmcnt(0)
	v_lshrrev_b32_sdwa v21, s69, v20 dst_sel:DWORD dst_unused:UNUSED_PAD src0_sel:DWORD src1_sel:BYTE_0
	v_and_b32_e32 v21, s77, v21
	v_lshlrev_b32_e32 v21, 2, v21
	ds_read_b32 v21, v21
	s_waitcnt lgkmcnt(0)
	v_add_u32_e32 v21, v21, v33
	global_store_byte v21, v20, s[60:61]
.LBB218_636:                            ;   in Loop: Header=BB218_574 Depth=2
	s_or_b64 exec, exec, s[52:53]
	s_lshl_b64 s[52:53], s[72:73], 3
	v_mov_b32_e32 v21, s53
	v_add_co_u32_e64 v20, s[52:53], s52, v77
	v_addc_co_u32_e64 v21, s[52:53], v78, v21, s[52:53]
	v_cmp_lt_u32_e64 s[52:53], v72, v89
	s_and_saveexec_b64 s[62:63], s[52:53]
	s_xor_b64 s[52:53], exec, s[62:63]
	s_cbranch_execz .LBB218_652
; %bb.637:                              ;   in Loop: Header=BB218_574 Depth=2
	global_load_dwordx2 v[18:19], v[20:21], off
	s_or_b64 exec, exec, s[52:53]
	v_cmp_lt_u32_e64 s[52:53], v79, v89
	s_and_saveexec_b64 s[62:63], s[52:53]
	s_cbranch_execnz .LBB218_653
.LBB218_638:                            ;   in Loop: Header=BB218_574 Depth=2
	s_or_b64 exec, exec, s[62:63]
	v_cmp_lt_u32_e64 s[52:53], v80, v89
	s_and_saveexec_b64 s[62:63], s[52:53]
	s_cbranch_execz .LBB218_654
.LBB218_639:                            ;   in Loop: Header=BB218_574 Depth=2
	global_load_dwordx2 v[14:15], v[20:21], off offset:1024
	s_or_b64 exec, exec, s[62:63]
	v_cmp_lt_u32_e64 s[52:53], v81, v89
	s_and_saveexec_b64 s[62:63], s[52:53]
	s_cbranch_execnz .LBB218_655
.LBB218_640:                            ;   in Loop: Header=BB218_574 Depth=2
	s_or_b64 exec, exec, s[62:63]
	v_cmp_lt_u32_e64 s[52:53], v82, v89
	s_and_saveexec_b64 s[62:63], s[52:53]
	s_cbranch_execz .LBB218_656
.LBB218_641:                            ;   in Loop: Header=BB218_574 Depth=2
	global_load_dwordx2 v[10:11], v[20:21], off offset:2048
	s_or_b64 exec, exec, s[62:63]
	v_cmp_lt_u32_e64 s[52:53], v83, v89
	s_and_saveexec_b64 s[62:63], s[52:53]
	s_cbranch_execnz .LBB218_657
.LBB218_642:                            ;   in Loop: Header=BB218_574 Depth=2
	s_or_b64 exec, exec, s[62:63]
	v_cmp_lt_u32_e64 s[52:53], v84, v89
	s_and_saveexec_b64 s[62:63], s[52:53]
	s_cbranch_execz .LBB218_658
.LBB218_643:                            ;   in Loop: Header=BB218_574 Depth=2
	global_load_dwordx2 v[6:7], v[20:21], off offset:3072
	s_or_b64 exec, exec, s[62:63]
	v_cmp_lt_u32_e64 s[52:53], v85, v89
	s_and_saveexec_b64 s[62:63], s[52:53]
	s_cbranch_execnz .LBB218_659
.LBB218_644:                            ;   in Loop: Header=BB218_574 Depth=2
	s_or_b64 exec, exec, s[62:63]
	s_and_saveexec_b64 s[52:53], s[48:49]
	s_cbranch_execz .LBB218_660
.LBB218_645:                            ;   in Loop: Header=BB218_574 Depth=2
	ds_read_u8 v20, v2 offset:1024
	s_waitcnt lgkmcnt(0)
	v_lshrrev_b32_e32 v20, s69, v20
	v_and_b32_e32 v75, s77, v20
	s_or_b64 exec, exec, s[52:53]
	s_and_saveexec_b64 s[52:53], s[46:47]
	s_cbranch_execnz .LBB218_661
.LBB218_646:                            ;   in Loop: Header=BB218_574 Depth=2
	s_or_b64 exec, exec, s[52:53]
	s_and_saveexec_b64 s[52:53], s[44:45]
	s_cbranch_execz .LBB218_662
.LBB218_647:                            ;   in Loop: Header=BB218_574 Depth=2
	ds_read_u8 v20, v30 offset:512
	s_waitcnt lgkmcnt(0)
	v_lshrrev_b32_e32 v20, s69, v20
	v_and_b32_e32 v71, s77, v20
	s_or_b64 exec, exec, s[52:53]
	s_and_saveexec_b64 s[52:53], s[42:43]
	s_cbranch_execnz .LBB218_663
.LBB218_648:                            ;   in Loop: Header=BB218_574 Depth=2
	s_or_b64 exec, exec, s[52:53]
	s_and_saveexec_b64 s[52:53], s[40:41]
	s_cbranch_execz .LBB218_664
.LBB218_649:                            ;   in Loop: Header=BB218_574 Depth=2
	ds_read_u8 v20, v30 offset:1024
	s_waitcnt lgkmcnt(0)
	v_lshrrev_b32_e32 v20, s69, v20
	v_and_b32_e32 v69, s77, v20
	s_or_b64 exec, exec, s[52:53]
	s_and_saveexec_b64 s[52:53], s[38:39]
	s_cbranch_execnz .LBB218_665
.LBB218_650:                            ;   in Loop: Header=BB218_574 Depth=2
	s_or_b64 exec, exec, s[52:53]
	s_and_saveexec_b64 s[52:53], s[36:37]
	s_cbranch_execz .LBB218_666
.LBB218_651:                            ;   in Loop: Header=BB218_574 Depth=2
	ds_read_u8 v20, v30 offset:1536
	s_waitcnt lgkmcnt(0)
	v_lshrrev_b32_e32 v20, s69, v20
	v_and_b32_e32 v67, s77, v20
	s_or_b64 exec, exec, s[52:53]
	s_and_saveexec_b64 s[52:53], vcc
	s_cbranch_execnz .LBB218_667
	s_branch .LBB218_668
.LBB218_652:                            ;   in Loop: Header=BB218_574 Depth=2
	s_or_b64 exec, exec, s[52:53]
	v_cmp_lt_u32_e64 s[52:53], v79, v89
	s_and_saveexec_b64 s[62:63], s[52:53]
	s_cbranch_execz .LBB218_638
.LBB218_653:                            ;   in Loop: Header=BB218_574 Depth=2
	global_load_dwordx2 v[16:17], v[20:21], off offset:512
	s_or_b64 exec, exec, s[62:63]
	v_cmp_lt_u32_e64 s[52:53], v80, v89
	s_and_saveexec_b64 s[62:63], s[52:53]
	s_cbranch_execnz .LBB218_639
.LBB218_654:                            ;   in Loop: Header=BB218_574 Depth=2
	s_or_b64 exec, exec, s[62:63]
	v_cmp_lt_u32_e64 s[52:53], v81, v89
	s_and_saveexec_b64 s[62:63], s[52:53]
	s_cbranch_execz .LBB218_640
.LBB218_655:                            ;   in Loop: Header=BB218_574 Depth=2
	global_load_dwordx2 v[12:13], v[20:21], off offset:1536
	s_or_b64 exec, exec, s[62:63]
	v_cmp_lt_u32_e64 s[52:53], v82, v89
	s_and_saveexec_b64 s[62:63], s[52:53]
	s_cbranch_execnz .LBB218_641
.LBB218_656:                            ;   in Loop: Header=BB218_574 Depth=2
	s_or_b64 exec, exec, s[62:63]
	v_cmp_lt_u32_e64 s[52:53], v83, v89
	s_and_saveexec_b64 s[62:63], s[52:53]
	s_cbranch_execz .LBB218_642
.LBB218_657:                            ;   in Loop: Header=BB218_574 Depth=2
	global_load_dwordx2 v[8:9], v[20:21], off offset:2560
	s_or_b64 exec, exec, s[62:63]
	v_cmp_lt_u32_e64 s[52:53], v84, v89
	s_and_saveexec_b64 s[62:63], s[52:53]
	s_cbranch_execnz .LBB218_643
.LBB218_658:                            ;   in Loop: Header=BB218_574 Depth=2
	s_or_b64 exec, exec, s[62:63]
	v_cmp_lt_u32_e64 s[52:53], v85, v89
	s_and_saveexec_b64 s[62:63], s[52:53]
	s_cbranch_execz .LBB218_644
.LBB218_659:                            ;   in Loop: Header=BB218_574 Depth=2
	global_load_dwordx2 v[0:1], v[20:21], off offset:3584
	s_or_b64 exec, exec, s[62:63]
	s_and_saveexec_b64 s[52:53], s[48:49]
	s_cbranch_execnz .LBB218_645
.LBB218_660:                            ;   in Loop: Header=BB218_574 Depth=2
	s_or_b64 exec, exec, s[52:53]
	s_and_saveexec_b64 s[52:53], s[46:47]
	s_cbranch_execz .LBB218_646
.LBB218_661:                            ;   in Loop: Header=BB218_574 Depth=2
	ds_read_u8 v20, v30 offset:256
	s_waitcnt lgkmcnt(0)
	v_lshrrev_b32_e32 v20, s69, v20
	v_and_b32_e32 v73, s77, v20
	s_or_b64 exec, exec, s[52:53]
	s_and_saveexec_b64 s[52:53], s[44:45]
	s_cbranch_execnz .LBB218_647
.LBB218_662:                            ;   in Loop: Header=BB218_574 Depth=2
	s_or_b64 exec, exec, s[52:53]
	s_and_saveexec_b64 s[52:53], s[42:43]
	s_cbranch_execz .LBB218_648
.LBB218_663:                            ;   in Loop: Header=BB218_574 Depth=2
	ds_read_u8 v20, v30 offset:768
	s_waitcnt lgkmcnt(0)
	v_lshrrev_b32_e32 v20, s69, v20
	v_and_b32_e32 v70, s77, v20
	s_or_b64 exec, exec, s[52:53]
	s_and_saveexec_b64 s[52:53], s[40:41]
	s_cbranch_execnz .LBB218_649
.LBB218_664:                            ;   in Loop: Header=BB218_574 Depth=2
	s_or_b64 exec, exec, s[52:53]
	s_and_saveexec_b64 s[52:53], s[38:39]
	s_cbranch_execz .LBB218_650
.LBB218_665:                            ;   in Loop: Header=BB218_574 Depth=2
	ds_read_u8 v20, v30 offset:1280
	s_waitcnt lgkmcnt(0)
	v_lshrrev_b32_e32 v20, s69, v20
	v_and_b32_e32 v68, s77, v20
	s_or_b64 exec, exec, s[52:53]
	s_and_saveexec_b64 s[52:53], s[36:37]
	s_cbranch_execnz .LBB218_651
.LBB218_666:                            ;   in Loop: Header=BB218_574 Depth=2
	s_or_b64 exec, exec, s[52:53]
	s_and_saveexec_b64 s[52:53], vcc
	s_cbranch_execz .LBB218_668
.LBB218_667:                            ;   in Loop: Header=BB218_574 Depth=2
	ds_read_u8 v20, v30 offset:1792
	s_waitcnt lgkmcnt(0)
	v_lshrrev_b32_e32 v20, s69, v20
	v_and_b32_e32 v66, s77, v20
.LBB218_668:                            ;   in Loop: Header=BB218_574 Depth=2
	s_or_b64 exec, exec, s[52:53]
	v_lshlrev_b32_e32 v20, 3, v104
	s_barrier
	s_waitcnt vmcnt(0)
	ds_write_b64 v20, v[18:19] offset:1024
	v_lshlrev_b32_e32 v20, 3, v102
	ds_write_b64 v20, v[16:17] offset:1024
	v_lshlrev_b32_e32 v20, 3, v101
	;; [unrolled: 2-line block ×7, first 2 shown]
	ds_write_b64 v20, v[0:1] offset:1024
	s_waitcnt lgkmcnt(0)
	s_barrier
	s_and_saveexec_b64 s[52:53], s[48:49]
	s_cbranch_execz .LBB218_676
; %bb.669:                              ;   in Loop: Header=BB218_574 Depth=2
	v_lshlrev_b32_e32 v20, 2, v75
	ds_read_b32 v22, v20
	v_add_u32_e32 v20, v2, v50
	ds_read_b64 v[20:21], v20 offset:1024
	v_mov_b32_e32 v23, v4
	v_mov_b32_e32 v89, s67
	s_waitcnt lgkmcnt(1)
	v_add_u32_e32 v22, v22, v2
	v_lshlrev_b64 v[22:23], 3, v[22:23]
	v_add_co_u32_e64 v22, s[48:49], s66, v22
	v_addc_co_u32_e64 v23, s[48:49], v89, v23, s[48:49]
	s_waitcnt lgkmcnt(0)
	global_store_dwordx2 v[22:23], v[20:21], off
	s_or_b64 exec, exec, s[52:53]
	v_add_u32_e32 v20, v30, v50
	s_and_saveexec_b64 s[48:49], s[46:47]
	s_cbranch_execnz .LBB218_677
.LBB218_670:                            ;   in Loop: Header=BB218_574 Depth=2
	s_or_b64 exec, exec, s[48:49]
	s_and_saveexec_b64 s[46:47], s[44:45]
	s_cbranch_execz .LBB218_678
.LBB218_671:                            ;   in Loop: Header=BB218_574 Depth=2
	v_lshlrev_b32_e32 v21, 2, v71
	ds_read_b32 v21, v21
	ds_read_b64 v[22:23], v20 offset:4096
	v_mov_b32_e32 v91, v4
	v_mov_b32_e32 v89, s67
	s_waitcnt lgkmcnt(1)
	v_add_u32_e32 v90, v21, v25
	v_lshlrev_b64 v[90:91], 3, v[90:91]
	v_add_co_u32_e64 v90, s[44:45], s66, v90
	v_addc_co_u32_e64 v91, s[44:45], v89, v91, s[44:45]
	s_waitcnt lgkmcnt(0)
	global_store_dwordx2 v[90:91], v[22:23], off
	s_or_b64 exec, exec, s[46:47]
	s_and_saveexec_b64 s[44:45], s[42:43]
	s_cbranch_execnz .LBB218_679
.LBB218_672:                            ;   in Loop: Header=BB218_574 Depth=2
	s_or_b64 exec, exec, s[44:45]
	s_and_saveexec_b64 s[42:43], s[40:41]
	s_cbranch_execz .LBB218_680
.LBB218_673:                            ;   in Loop: Header=BB218_574 Depth=2
	v_lshlrev_b32_e32 v21, 2, v69
	ds_read_b32 v21, v21
	ds_read_b64 v[22:23], v20 offset:8192
	v_mov_b32_e32 v91, v4
	v_mov_b32_e32 v89, s67
	s_waitcnt lgkmcnt(1)
	v_add_u32_e32 v90, v21, v30
	v_lshlrev_b64 v[90:91], 3, v[90:91]
	v_add_co_u32_e64 v90, s[40:41], s66, v90
	v_addc_co_u32_e64 v91, s[40:41], v89, v91, s[40:41]
	s_waitcnt lgkmcnt(0)
	global_store_dwordx2 v[90:91], v[22:23], off
	s_or_b64 exec, exec, s[42:43]
	s_and_saveexec_b64 s[40:41], s[38:39]
	s_cbranch_execnz .LBB218_681
.LBB218_674:                            ;   in Loop: Header=BB218_574 Depth=2
	s_or_b64 exec, exec, s[40:41]
	s_and_saveexec_b64 s[38:39], s[36:37]
	s_cbranch_execz .LBB218_682
.LBB218_675:                            ;   in Loop: Header=BB218_574 Depth=2
	v_lshlrev_b32_e32 v21, 2, v67
	ds_read_b32 v21, v21
	ds_read_b64 v[22:23], v20 offset:12288
	v_mov_b32_e32 v91, v4
	v_mov_b32_e32 v89, s67
	s_waitcnt lgkmcnt(1)
	v_add_u32_e32 v90, v21, v32
	v_lshlrev_b64 v[90:91], 3, v[90:91]
	v_add_co_u32_e64 v90, s[36:37], s66, v90
	v_addc_co_u32_e64 v91, s[36:37], v89, v91, s[36:37]
	s_waitcnt lgkmcnt(0)
	global_store_dwordx2 v[90:91], v[22:23], off
	s_or_b64 exec, exec, s[38:39]
	s_and_saveexec_b64 s[36:37], vcc
	s_cbranch_execnz .LBB218_683
	s_branch .LBB218_684
.LBB218_676:                            ;   in Loop: Header=BB218_574 Depth=2
	s_or_b64 exec, exec, s[52:53]
	v_add_u32_e32 v20, v30, v50
	s_and_saveexec_b64 s[48:49], s[46:47]
	s_cbranch_execz .LBB218_670
.LBB218_677:                            ;   in Loop: Header=BB218_574 Depth=2
	v_lshlrev_b32_e32 v21, 2, v73
	ds_read_b32 v21, v21
	ds_read_b64 v[22:23], v20 offset:2048
	v_mov_b32_e32 v91, v4
	v_mov_b32_e32 v89, s67
	s_waitcnt lgkmcnt(1)
	v_add_u32_e32 v90, v21, v24
	v_lshlrev_b64 v[90:91], 3, v[90:91]
	v_add_co_u32_e64 v90, s[46:47], s66, v90
	v_addc_co_u32_e64 v91, s[46:47], v89, v91, s[46:47]
	s_waitcnt lgkmcnt(0)
	global_store_dwordx2 v[90:91], v[22:23], off
	s_or_b64 exec, exec, s[48:49]
	s_and_saveexec_b64 s[46:47], s[44:45]
	s_cbranch_execnz .LBB218_671
.LBB218_678:                            ;   in Loop: Header=BB218_574 Depth=2
	s_or_b64 exec, exec, s[46:47]
	s_and_saveexec_b64 s[44:45], s[42:43]
	s_cbranch_execz .LBB218_672
.LBB218_679:                            ;   in Loop: Header=BB218_574 Depth=2
	v_lshlrev_b32_e32 v21, 2, v70
	ds_read_b32 v21, v21
	ds_read_b64 v[22:23], v20 offset:6144
	v_mov_b32_e32 v91, v4
	v_mov_b32_e32 v89, s67
	s_waitcnt lgkmcnt(1)
	v_add_u32_e32 v90, v21, v26
	v_lshlrev_b64 v[90:91], 3, v[90:91]
	v_add_co_u32_e64 v90, s[42:43], s66, v90
	v_addc_co_u32_e64 v91, s[42:43], v89, v91, s[42:43]
	s_waitcnt lgkmcnt(0)
	global_store_dwordx2 v[90:91], v[22:23], off
	s_or_b64 exec, exec, s[44:45]
	s_and_saveexec_b64 s[42:43], s[40:41]
	s_cbranch_execnz .LBB218_673
.LBB218_680:                            ;   in Loop: Header=BB218_574 Depth=2
	s_or_b64 exec, exec, s[42:43]
	s_and_saveexec_b64 s[40:41], s[38:39]
	s_cbranch_execz .LBB218_674
.LBB218_681:                            ;   in Loop: Header=BB218_574 Depth=2
	v_lshlrev_b32_e32 v21, 2, v68
	ds_read_b32 v21, v21
	ds_read_b64 v[22:23], v20 offset:10240
	v_mov_b32_e32 v91, v4
	v_mov_b32_e32 v89, s67
	s_waitcnt lgkmcnt(1)
	v_add_u32_e32 v90, v21, v31
	v_lshlrev_b64 v[90:91], 3, v[90:91]
	v_add_co_u32_e64 v90, s[38:39], s66, v90
	v_addc_co_u32_e64 v91, s[38:39], v89, v91, s[38:39]
	s_waitcnt lgkmcnt(0)
	global_store_dwordx2 v[90:91], v[22:23], off
	s_or_b64 exec, exec, s[40:41]
	s_and_saveexec_b64 s[38:39], s[36:37]
	s_cbranch_execnz .LBB218_675
.LBB218_682:                            ;   in Loop: Header=BB218_574 Depth=2
	s_or_b64 exec, exec, s[38:39]
	s_and_saveexec_b64 s[36:37], vcc
	s_cbranch_execz .LBB218_684
.LBB218_683:                            ;   in Loop: Header=BB218_574 Depth=2
	v_lshlrev_b32_e32 v21, 2, v66
	ds_read_b32 v22, v21
	ds_read_b64 v[20:21], v20 offset:14336
	v_mov_b32_e32 v23, v4
	v_mov_b32_e32 v89, s67
	s_waitcnt lgkmcnt(1)
	v_add_u32_e32 v22, v22, v33
	v_lshlrev_b64 v[22:23], 3, v[22:23]
	v_add_co_u32_e32 v22, vcc, s66, v22
	v_addc_co_u32_e32 v23, vcc, v89, v23, vcc
	s_waitcnt lgkmcnt(0)
	global_store_dwordx2 v[22:23], v[20:21], off
.LBB218_684:                            ;   in Loop: Header=BB218_574 Depth=2
	s_or_b64 exec, exec, s[36:37]
	s_barrier
	s_and_saveexec_b64 s[36:37], s[4:5]
	s_cbranch_execz .LBB218_573
; %bb.685:                              ;   in Loop: Header=BB218_574 Depth=2
	ds_read_b32 v20, v3
	s_waitcnt lgkmcnt(0)
	v_add_u32_e32 v5, v20, v5
	ds_write_b32 v3, v5
	s_branch .LBB218_573
.LBB218_686:
	s_endpgm
	.section	.rodata,"a",@progbits
	.p2align	6, 0x0
	.amdhsa_kernel _ZN7rocprim17ROCPRIM_400000_NS6detail17trampoline_kernelINS0_14default_configENS1_36segmented_radix_sort_config_selectorIhlEEZNS1_25segmented_radix_sort_implIS3_Lb0EPKhPhPKlPlN2at6native12_GLOBAL__N_18offset_tEEE10hipError_tPvRmT1_PNSt15iterator_traitsISK_E10value_typeET2_T3_PNSL_ISQ_E10value_typeET4_jRbjT5_SW_jjP12ihipStream_tbEUlT_E2_NS1_11comp_targetILNS1_3genE4ELNS1_11target_archE910ELNS1_3gpuE8ELNS1_3repE0EEENS1_30default_config_static_selectorELNS0_4arch9wavefront6targetE1EEEvSK_
		.amdhsa_group_segment_fixed_size 17424
		.amdhsa_private_segment_fixed_size 8
		.amdhsa_kernarg_size 336
		.amdhsa_user_sgpr_count 8
		.amdhsa_user_sgpr_private_segment_buffer 1
		.amdhsa_user_sgpr_dispatch_ptr 0
		.amdhsa_user_sgpr_queue_ptr 0
		.amdhsa_user_sgpr_kernarg_segment_ptr 1
		.amdhsa_user_sgpr_dispatch_id 0
		.amdhsa_user_sgpr_flat_scratch_init 1
		.amdhsa_user_sgpr_kernarg_preload_length 0
		.amdhsa_user_sgpr_kernarg_preload_offset 0
		.amdhsa_user_sgpr_private_segment_size 0
		.amdhsa_uses_dynamic_stack 0
		.amdhsa_system_sgpr_private_segment_wavefront_offset 1
		.amdhsa_system_sgpr_workgroup_id_x 1
		.amdhsa_system_sgpr_workgroup_id_y 1
		.amdhsa_system_sgpr_workgroup_id_z 0
		.amdhsa_system_sgpr_workgroup_info 0
		.amdhsa_system_vgpr_workitem_id 2
		.amdhsa_next_free_vgpr 180
		.amdhsa_next_free_sgpr 80
		.amdhsa_accum_offset 180
		.amdhsa_reserve_vcc 1
		.amdhsa_reserve_flat_scratch 1
		.amdhsa_float_round_mode_32 0
		.amdhsa_float_round_mode_16_64 0
		.amdhsa_float_denorm_mode_32 3
		.amdhsa_float_denorm_mode_16_64 3
		.amdhsa_dx10_clamp 1
		.amdhsa_ieee_mode 1
		.amdhsa_fp16_overflow 0
		.amdhsa_tg_split 0
		.amdhsa_exception_fp_ieee_invalid_op 0
		.amdhsa_exception_fp_denorm_src 0
		.amdhsa_exception_fp_ieee_div_zero 0
		.amdhsa_exception_fp_ieee_overflow 0
		.amdhsa_exception_fp_ieee_underflow 0
		.amdhsa_exception_fp_ieee_inexact 0
		.amdhsa_exception_int_div_zero 0
	.end_amdhsa_kernel
	.section	.text._ZN7rocprim17ROCPRIM_400000_NS6detail17trampoline_kernelINS0_14default_configENS1_36segmented_radix_sort_config_selectorIhlEEZNS1_25segmented_radix_sort_implIS3_Lb0EPKhPhPKlPlN2at6native12_GLOBAL__N_18offset_tEEE10hipError_tPvRmT1_PNSt15iterator_traitsISK_E10value_typeET2_T3_PNSL_ISQ_E10value_typeET4_jRbjT5_SW_jjP12ihipStream_tbEUlT_E2_NS1_11comp_targetILNS1_3genE4ELNS1_11target_archE910ELNS1_3gpuE8ELNS1_3repE0EEENS1_30default_config_static_selectorELNS0_4arch9wavefront6targetE1EEEvSK_,"axG",@progbits,_ZN7rocprim17ROCPRIM_400000_NS6detail17trampoline_kernelINS0_14default_configENS1_36segmented_radix_sort_config_selectorIhlEEZNS1_25segmented_radix_sort_implIS3_Lb0EPKhPhPKlPlN2at6native12_GLOBAL__N_18offset_tEEE10hipError_tPvRmT1_PNSt15iterator_traitsISK_E10value_typeET2_T3_PNSL_ISQ_E10value_typeET4_jRbjT5_SW_jjP12ihipStream_tbEUlT_E2_NS1_11comp_targetILNS1_3genE4ELNS1_11target_archE910ELNS1_3gpuE8ELNS1_3repE0EEENS1_30default_config_static_selectorELNS0_4arch9wavefront6targetE1EEEvSK_,comdat
.Lfunc_end218:
	.size	_ZN7rocprim17ROCPRIM_400000_NS6detail17trampoline_kernelINS0_14default_configENS1_36segmented_radix_sort_config_selectorIhlEEZNS1_25segmented_radix_sort_implIS3_Lb0EPKhPhPKlPlN2at6native12_GLOBAL__N_18offset_tEEE10hipError_tPvRmT1_PNSt15iterator_traitsISK_E10value_typeET2_T3_PNSL_ISQ_E10value_typeET4_jRbjT5_SW_jjP12ihipStream_tbEUlT_E2_NS1_11comp_targetILNS1_3genE4ELNS1_11target_archE910ELNS1_3gpuE8ELNS1_3repE0EEENS1_30default_config_static_selectorELNS0_4arch9wavefront6targetE1EEEvSK_, .Lfunc_end218-_ZN7rocprim17ROCPRIM_400000_NS6detail17trampoline_kernelINS0_14default_configENS1_36segmented_radix_sort_config_selectorIhlEEZNS1_25segmented_radix_sort_implIS3_Lb0EPKhPhPKlPlN2at6native12_GLOBAL__N_18offset_tEEE10hipError_tPvRmT1_PNSt15iterator_traitsISK_E10value_typeET2_T3_PNSL_ISQ_E10value_typeET4_jRbjT5_SW_jjP12ihipStream_tbEUlT_E2_NS1_11comp_targetILNS1_3genE4ELNS1_11target_archE910ELNS1_3gpuE8ELNS1_3repE0EEENS1_30default_config_static_selectorELNS0_4arch9wavefront6targetE1EEEvSK_
                                        ; -- End function
	.section	.AMDGPU.csdata,"",@progbits
; Kernel info:
; codeLenInByte = 35088
; NumSgprs: 86
; NumVgprs: 180
; NumAgprs: 0
; TotalNumVgprs: 180
; ScratchSize: 8
; MemoryBound: 0
; FloatMode: 240
; IeeeMode: 1
; LDSByteSize: 17424 bytes/workgroup (compile time only)
; SGPRBlocks: 10
; VGPRBlocks: 22
; NumSGPRsForWavesPerEU: 86
; NumVGPRsForWavesPerEU: 180
; AccumOffset: 180
; Occupancy: 2
; WaveLimiterHint : 1
; COMPUTE_PGM_RSRC2:SCRATCH_EN: 1
; COMPUTE_PGM_RSRC2:USER_SGPR: 8
; COMPUTE_PGM_RSRC2:TRAP_HANDLER: 0
; COMPUTE_PGM_RSRC2:TGID_X_EN: 1
; COMPUTE_PGM_RSRC2:TGID_Y_EN: 1
; COMPUTE_PGM_RSRC2:TGID_Z_EN: 0
; COMPUTE_PGM_RSRC2:TIDIG_COMP_CNT: 2
; COMPUTE_PGM_RSRC3_GFX90A:ACCUM_OFFSET: 44
; COMPUTE_PGM_RSRC3_GFX90A:TG_SPLIT: 0
	.section	.text._ZN7rocprim17ROCPRIM_400000_NS6detail17trampoline_kernelINS0_14default_configENS1_36segmented_radix_sort_config_selectorIhlEEZNS1_25segmented_radix_sort_implIS3_Lb0EPKhPhPKlPlN2at6native12_GLOBAL__N_18offset_tEEE10hipError_tPvRmT1_PNSt15iterator_traitsISK_E10value_typeET2_T3_PNSL_ISQ_E10value_typeET4_jRbjT5_SW_jjP12ihipStream_tbEUlT_E2_NS1_11comp_targetILNS1_3genE3ELNS1_11target_archE908ELNS1_3gpuE7ELNS1_3repE0EEENS1_30default_config_static_selectorELNS0_4arch9wavefront6targetE1EEEvSK_,"axG",@progbits,_ZN7rocprim17ROCPRIM_400000_NS6detail17trampoline_kernelINS0_14default_configENS1_36segmented_radix_sort_config_selectorIhlEEZNS1_25segmented_radix_sort_implIS3_Lb0EPKhPhPKlPlN2at6native12_GLOBAL__N_18offset_tEEE10hipError_tPvRmT1_PNSt15iterator_traitsISK_E10value_typeET2_T3_PNSL_ISQ_E10value_typeET4_jRbjT5_SW_jjP12ihipStream_tbEUlT_E2_NS1_11comp_targetILNS1_3genE3ELNS1_11target_archE908ELNS1_3gpuE7ELNS1_3repE0EEENS1_30default_config_static_selectorELNS0_4arch9wavefront6targetE1EEEvSK_,comdat
	.globl	_ZN7rocprim17ROCPRIM_400000_NS6detail17trampoline_kernelINS0_14default_configENS1_36segmented_radix_sort_config_selectorIhlEEZNS1_25segmented_radix_sort_implIS3_Lb0EPKhPhPKlPlN2at6native12_GLOBAL__N_18offset_tEEE10hipError_tPvRmT1_PNSt15iterator_traitsISK_E10value_typeET2_T3_PNSL_ISQ_E10value_typeET4_jRbjT5_SW_jjP12ihipStream_tbEUlT_E2_NS1_11comp_targetILNS1_3genE3ELNS1_11target_archE908ELNS1_3gpuE7ELNS1_3repE0EEENS1_30default_config_static_selectorELNS0_4arch9wavefront6targetE1EEEvSK_ ; -- Begin function _ZN7rocprim17ROCPRIM_400000_NS6detail17trampoline_kernelINS0_14default_configENS1_36segmented_radix_sort_config_selectorIhlEEZNS1_25segmented_radix_sort_implIS3_Lb0EPKhPhPKlPlN2at6native12_GLOBAL__N_18offset_tEEE10hipError_tPvRmT1_PNSt15iterator_traitsISK_E10value_typeET2_T3_PNSL_ISQ_E10value_typeET4_jRbjT5_SW_jjP12ihipStream_tbEUlT_E2_NS1_11comp_targetILNS1_3genE3ELNS1_11target_archE908ELNS1_3gpuE7ELNS1_3repE0EEENS1_30default_config_static_selectorELNS0_4arch9wavefront6targetE1EEEvSK_
	.p2align	8
	.type	_ZN7rocprim17ROCPRIM_400000_NS6detail17trampoline_kernelINS0_14default_configENS1_36segmented_radix_sort_config_selectorIhlEEZNS1_25segmented_radix_sort_implIS3_Lb0EPKhPhPKlPlN2at6native12_GLOBAL__N_18offset_tEEE10hipError_tPvRmT1_PNSt15iterator_traitsISK_E10value_typeET2_T3_PNSL_ISQ_E10value_typeET4_jRbjT5_SW_jjP12ihipStream_tbEUlT_E2_NS1_11comp_targetILNS1_3genE3ELNS1_11target_archE908ELNS1_3gpuE7ELNS1_3repE0EEENS1_30default_config_static_selectorELNS0_4arch9wavefront6targetE1EEEvSK_,@function
_ZN7rocprim17ROCPRIM_400000_NS6detail17trampoline_kernelINS0_14default_configENS1_36segmented_radix_sort_config_selectorIhlEEZNS1_25segmented_radix_sort_implIS3_Lb0EPKhPhPKlPlN2at6native12_GLOBAL__N_18offset_tEEE10hipError_tPvRmT1_PNSt15iterator_traitsISK_E10value_typeET2_T3_PNSL_ISQ_E10value_typeET4_jRbjT5_SW_jjP12ihipStream_tbEUlT_E2_NS1_11comp_targetILNS1_3genE3ELNS1_11target_archE908ELNS1_3gpuE7ELNS1_3repE0EEENS1_30default_config_static_selectorELNS0_4arch9wavefront6targetE1EEEvSK_: ; @_ZN7rocprim17ROCPRIM_400000_NS6detail17trampoline_kernelINS0_14default_configENS1_36segmented_radix_sort_config_selectorIhlEEZNS1_25segmented_radix_sort_implIS3_Lb0EPKhPhPKlPlN2at6native12_GLOBAL__N_18offset_tEEE10hipError_tPvRmT1_PNSt15iterator_traitsISK_E10value_typeET2_T3_PNSL_ISQ_E10value_typeET4_jRbjT5_SW_jjP12ihipStream_tbEUlT_E2_NS1_11comp_targetILNS1_3genE3ELNS1_11target_archE908ELNS1_3gpuE7ELNS1_3repE0EEENS1_30default_config_static_selectorELNS0_4arch9wavefront6targetE1EEEvSK_
; %bb.0:
	.section	.rodata,"a",@progbits
	.p2align	6, 0x0
	.amdhsa_kernel _ZN7rocprim17ROCPRIM_400000_NS6detail17trampoline_kernelINS0_14default_configENS1_36segmented_radix_sort_config_selectorIhlEEZNS1_25segmented_radix_sort_implIS3_Lb0EPKhPhPKlPlN2at6native12_GLOBAL__N_18offset_tEEE10hipError_tPvRmT1_PNSt15iterator_traitsISK_E10value_typeET2_T3_PNSL_ISQ_E10value_typeET4_jRbjT5_SW_jjP12ihipStream_tbEUlT_E2_NS1_11comp_targetILNS1_3genE3ELNS1_11target_archE908ELNS1_3gpuE7ELNS1_3repE0EEENS1_30default_config_static_selectorELNS0_4arch9wavefront6targetE1EEEvSK_
		.amdhsa_group_segment_fixed_size 0
		.amdhsa_private_segment_fixed_size 0
		.amdhsa_kernarg_size 80
		.amdhsa_user_sgpr_count 6
		.amdhsa_user_sgpr_private_segment_buffer 1
		.amdhsa_user_sgpr_dispatch_ptr 0
		.amdhsa_user_sgpr_queue_ptr 0
		.amdhsa_user_sgpr_kernarg_segment_ptr 1
		.amdhsa_user_sgpr_dispatch_id 0
		.amdhsa_user_sgpr_flat_scratch_init 0
		.amdhsa_user_sgpr_kernarg_preload_length 0
		.amdhsa_user_sgpr_kernarg_preload_offset 0
		.amdhsa_user_sgpr_private_segment_size 0
		.amdhsa_uses_dynamic_stack 0
		.amdhsa_system_sgpr_private_segment_wavefront_offset 0
		.amdhsa_system_sgpr_workgroup_id_x 1
		.amdhsa_system_sgpr_workgroup_id_y 0
		.amdhsa_system_sgpr_workgroup_id_z 0
		.amdhsa_system_sgpr_workgroup_info 0
		.amdhsa_system_vgpr_workitem_id 0
		.amdhsa_next_free_vgpr 1
		.amdhsa_next_free_sgpr 0
		.amdhsa_accum_offset 4
		.amdhsa_reserve_vcc 0
		.amdhsa_reserve_flat_scratch 0
		.amdhsa_float_round_mode_32 0
		.amdhsa_float_round_mode_16_64 0
		.amdhsa_float_denorm_mode_32 3
		.amdhsa_float_denorm_mode_16_64 3
		.amdhsa_dx10_clamp 1
		.amdhsa_ieee_mode 1
		.amdhsa_fp16_overflow 0
		.amdhsa_tg_split 0
		.amdhsa_exception_fp_ieee_invalid_op 0
		.amdhsa_exception_fp_denorm_src 0
		.amdhsa_exception_fp_ieee_div_zero 0
		.amdhsa_exception_fp_ieee_overflow 0
		.amdhsa_exception_fp_ieee_underflow 0
		.amdhsa_exception_fp_ieee_inexact 0
		.amdhsa_exception_int_div_zero 0
	.end_amdhsa_kernel
	.section	.text._ZN7rocprim17ROCPRIM_400000_NS6detail17trampoline_kernelINS0_14default_configENS1_36segmented_radix_sort_config_selectorIhlEEZNS1_25segmented_radix_sort_implIS3_Lb0EPKhPhPKlPlN2at6native12_GLOBAL__N_18offset_tEEE10hipError_tPvRmT1_PNSt15iterator_traitsISK_E10value_typeET2_T3_PNSL_ISQ_E10value_typeET4_jRbjT5_SW_jjP12ihipStream_tbEUlT_E2_NS1_11comp_targetILNS1_3genE3ELNS1_11target_archE908ELNS1_3gpuE7ELNS1_3repE0EEENS1_30default_config_static_selectorELNS0_4arch9wavefront6targetE1EEEvSK_,"axG",@progbits,_ZN7rocprim17ROCPRIM_400000_NS6detail17trampoline_kernelINS0_14default_configENS1_36segmented_radix_sort_config_selectorIhlEEZNS1_25segmented_radix_sort_implIS3_Lb0EPKhPhPKlPlN2at6native12_GLOBAL__N_18offset_tEEE10hipError_tPvRmT1_PNSt15iterator_traitsISK_E10value_typeET2_T3_PNSL_ISQ_E10value_typeET4_jRbjT5_SW_jjP12ihipStream_tbEUlT_E2_NS1_11comp_targetILNS1_3genE3ELNS1_11target_archE908ELNS1_3gpuE7ELNS1_3repE0EEENS1_30default_config_static_selectorELNS0_4arch9wavefront6targetE1EEEvSK_,comdat
.Lfunc_end219:
	.size	_ZN7rocprim17ROCPRIM_400000_NS6detail17trampoline_kernelINS0_14default_configENS1_36segmented_radix_sort_config_selectorIhlEEZNS1_25segmented_radix_sort_implIS3_Lb0EPKhPhPKlPlN2at6native12_GLOBAL__N_18offset_tEEE10hipError_tPvRmT1_PNSt15iterator_traitsISK_E10value_typeET2_T3_PNSL_ISQ_E10value_typeET4_jRbjT5_SW_jjP12ihipStream_tbEUlT_E2_NS1_11comp_targetILNS1_3genE3ELNS1_11target_archE908ELNS1_3gpuE7ELNS1_3repE0EEENS1_30default_config_static_selectorELNS0_4arch9wavefront6targetE1EEEvSK_, .Lfunc_end219-_ZN7rocprim17ROCPRIM_400000_NS6detail17trampoline_kernelINS0_14default_configENS1_36segmented_radix_sort_config_selectorIhlEEZNS1_25segmented_radix_sort_implIS3_Lb0EPKhPhPKlPlN2at6native12_GLOBAL__N_18offset_tEEE10hipError_tPvRmT1_PNSt15iterator_traitsISK_E10value_typeET2_T3_PNSL_ISQ_E10value_typeET4_jRbjT5_SW_jjP12ihipStream_tbEUlT_E2_NS1_11comp_targetILNS1_3genE3ELNS1_11target_archE908ELNS1_3gpuE7ELNS1_3repE0EEENS1_30default_config_static_selectorELNS0_4arch9wavefront6targetE1EEEvSK_
                                        ; -- End function
	.section	.AMDGPU.csdata,"",@progbits
; Kernel info:
; codeLenInByte = 0
; NumSgprs: 4
; NumVgprs: 0
; NumAgprs: 0
; TotalNumVgprs: 0
; ScratchSize: 0
; MemoryBound: 0
; FloatMode: 240
; IeeeMode: 1
; LDSByteSize: 0 bytes/workgroup (compile time only)
; SGPRBlocks: 0
; VGPRBlocks: 0
; NumSGPRsForWavesPerEU: 4
; NumVGPRsForWavesPerEU: 1
; AccumOffset: 4
; Occupancy: 8
; WaveLimiterHint : 0
; COMPUTE_PGM_RSRC2:SCRATCH_EN: 0
; COMPUTE_PGM_RSRC2:USER_SGPR: 6
; COMPUTE_PGM_RSRC2:TRAP_HANDLER: 0
; COMPUTE_PGM_RSRC2:TGID_X_EN: 1
; COMPUTE_PGM_RSRC2:TGID_Y_EN: 0
; COMPUTE_PGM_RSRC2:TGID_Z_EN: 0
; COMPUTE_PGM_RSRC2:TIDIG_COMP_CNT: 0
; COMPUTE_PGM_RSRC3_GFX90A:ACCUM_OFFSET: 0
; COMPUTE_PGM_RSRC3_GFX90A:TG_SPLIT: 0
	.section	.text._ZN7rocprim17ROCPRIM_400000_NS6detail17trampoline_kernelINS0_14default_configENS1_36segmented_radix_sort_config_selectorIhlEEZNS1_25segmented_radix_sort_implIS3_Lb0EPKhPhPKlPlN2at6native12_GLOBAL__N_18offset_tEEE10hipError_tPvRmT1_PNSt15iterator_traitsISK_E10value_typeET2_T3_PNSL_ISQ_E10value_typeET4_jRbjT5_SW_jjP12ihipStream_tbEUlT_E2_NS1_11comp_targetILNS1_3genE2ELNS1_11target_archE906ELNS1_3gpuE6ELNS1_3repE0EEENS1_30default_config_static_selectorELNS0_4arch9wavefront6targetE1EEEvSK_,"axG",@progbits,_ZN7rocprim17ROCPRIM_400000_NS6detail17trampoline_kernelINS0_14default_configENS1_36segmented_radix_sort_config_selectorIhlEEZNS1_25segmented_radix_sort_implIS3_Lb0EPKhPhPKlPlN2at6native12_GLOBAL__N_18offset_tEEE10hipError_tPvRmT1_PNSt15iterator_traitsISK_E10value_typeET2_T3_PNSL_ISQ_E10value_typeET4_jRbjT5_SW_jjP12ihipStream_tbEUlT_E2_NS1_11comp_targetILNS1_3genE2ELNS1_11target_archE906ELNS1_3gpuE6ELNS1_3repE0EEENS1_30default_config_static_selectorELNS0_4arch9wavefront6targetE1EEEvSK_,comdat
	.globl	_ZN7rocprim17ROCPRIM_400000_NS6detail17trampoline_kernelINS0_14default_configENS1_36segmented_radix_sort_config_selectorIhlEEZNS1_25segmented_radix_sort_implIS3_Lb0EPKhPhPKlPlN2at6native12_GLOBAL__N_18offset_tEEE10hipError_tPvRmT1_PNSt15iterator_traitsISK_E10value_typeET2_T3_PNSL_ISQ_E10value_typeET4_jRbjT5_SW_jjP12ihipStream_tbEUlT_E2_NS1_11comp_targetILNS1_3genE2ELNS1_11target_archE906ELNS1_3gpuE6ELNS1_3repE0EEENS1_30default_config_static_selectorELNS0_4arch9wavefront6targetE1EEEvSK_ ; -- Begin function _ZN7rocprim17ROCPRIM_400000_NS6detail17trampoline_kernelINS0_14default_configENS1_36segmented_radix_sort_config_selectorIhlEEZNS1_25segmented_radix_sort_implIS3_Lb0EPKhPhPKlPlN2at6native12_GLOBAL__N_18offset_tEEE10hipError_tPvRmT1_PNSt15iterator_traitsISK_E10value_typeET2_T3_PNSL_ISQ_E10value_typeET4_jRbjT5_SW_jjP12ihipStream_tbEUlT_E2_NS1_11comp_targetILNS1_3genE2ELNS1_11target_archE906ELNS1_3gpuE6ELNS1_3repE0EEENS1_30default_config_static_selectorELNS0_4arch9wavefront6targetE1EEEvSK_
	.p2align	8
	.type	_ZN7rocprim17ROCPRIM_400000_NS6detail17trampoline_kernelINS0_14default_configENS1_36segmented_radix_sort_config_selectorIhlEEZNS1_25segmented_radix_sort_implIS3_Lb0EPKhPhPKlPlN2at6native12_GLOBAL__N_18offset_tEEE10hipError_tPvRmT1_PNSt15iterator_traitsISK_E10value_typeET2_T3_PNSL_ISQ_E10value_typeET4_jRbjT5_SW_jjP12ihipStream_tbEUlT_E2_NS1_11comp_targetILNS1_3genE2ELNS1_11target_archE906ELNS1_3gpuE6ELNS1_3repE0EEENS1_30default_config_static_selectorELNS0_4arch9wavefront6targetE1EEEvSK_,@function
_ZN7rocprim17ROCPRIM_400000_NS6detail17trampoline_kernelINS0_14default_configENS1_36segmented_radix_sort_config_selectorIhlEEZNS1_25segmented_radix_sort_implIS3_Lb0EPKhPhPKlPlN2at6native12_GLOBAL__N_18offset_tEEE10hipError_tPvRmT1_PNSt15iterator_traitsISK_E10value_typeET2_T3_PNSL_ISQ_E10value_typeET4_jRbjT5_SW_jjP12ihipStream_tbEUlT_E2_NS1_11comp_targetILNS1_3genE2ELNS1_11target_archE906ELNS1_3gpuE6ELNS1_3repE0EEENS1_30default_config_static_selectorELNS0_4arch9wavefront6targetE1EEEvSK_: ; @_ZN7rocprim17ROCPRIM_400000_NS6detail17trampoline_kernelINS0_14default_configENS1_36segmented_radix_sort_config_selectorIhlEEZNS1_25segmented_radix_sort_implIS3_Lb0EPKhPhPKlPlN2at6native12_GLOBAL__N_18offset_tEEE10hipError_tPvRmT1_PNSt15iterator_traitsISK_E10value_typeET2_T3_PNSL_ISQ_E10value_typeET4_jRbjT5_SW_jjP12ihipStream_tbEUlT_E2_NS1_11comp_targetILNS1_3genE2ELNS1_11target_archE906ELNS1_3gpuE6ELNS1_3repE0EEENS1_30default_config_static_selectorELNS0_4arch9wavefront6targetE1EEEvSK_
; %bb.0:
	.section	.rodata,"a",@progbits
	.p2align	6, 0x0
	.amdhsa_kernel _ZN7rocprim17ROCPRIM_400000_NS6detail17trampoline_kernelINS0_14default_configENS1_36segmented_radix_sort_config_selectorIhlEEZNS1_25segmented_radix_sort_implIS3_Lb0EPKhPhPKlPlN2at6native12_GLOBAL__N_18offset_tEEE10hipError_tPvRmT1_PNSt15iterator_traitsISK_E10value_typeET2_T3_PNSL_ISQ_E10value_typeET4_jRbjT5_SW_jjP12ihipStream_tbEUlT_E2_NS1_11comp_targetILNS1_3genE2ELNS1_11target_archE906ELNS1_3gpuE6ELNS1_3repE0EEENS1_30default_config_static_selectorELNS0_4arch9wavefront6targetE1EEEvSK_
		.amdhsa_group_segment_fixed_size 0
		.amdhsa_private_segment_fixed_size 0
		.amdhsa_kernarg_size 80
		.amdhsa_user_sgpr_count 6
		.amdhsa_user_sgpr_private_segment_buffer 1
		.amdhsa_user_sgpr_dispatch_ptr 0
		.amdhsa_user_sgpr_queue_ptr 0
		.amdhsa_user_sgpr_kernarg_segment_ptr 1
		.amdhsa_user_sgpr_dispatch_id 0
		.amdhsa_user_sgpr_flat_scratch_init 0
		.amdhsa_user_sgpr_kernarg_preload_length 0
		.amdhsa_user_sgpr_kernarg_preload_offset 0
		.amdhsa_user_sgpr_private_segment_size 0
		.amdhsa_uses_dynamic_stack 0
		.amdhsa_system_sgpr_private_segment_wavefront_offset 0
		.amdhsa_system_sgpr_workgroup_id_x 1
		.amdhsa_system_sgpr_workgroup_id_y 0
		.amdhsa_system_sgpr_workgroup_id_z 0
		.amdhsa_system_sgpr_workgroup_info 0
		.amdhsa_system_vgpr_workitem_id 0
		.amdhsa_next_free_vgpr 1
		.amdhsa_next_free_sgpr 0
		.amdhsa_accum_offset 4
		.amdhsa_reserve_vcc 0
		.amdhsa_reserve_flat_scratch 0
		.amdhsa_float_round_mode_32 0
		.amdhsa_float_round_mode_16_64 0
		.amdhsa_float_denorm_mode_32 3
		.amdhsa_float_denorm_mode_16_64 3
		.amdhsa_dx10_clamp 1
		.amdhsa_ieee_mode 1
		.amdhsa_fp16_overflow 0
		.amdhsa_tg_split 0
		.amdhsa_exception_fp_ieee_invalid_op 0
		.amdhsa_exception_fp_denorm_src 0
		.amdhsa_exception_fp_ieee_div_zero 0
		.amdhsa_exception_fp_ieee_overflow 0
		.amdhsa_exception_fp_ieee_underflow 0
		.amdhsa_exception_fp_ieee_inexact 0
		.amdhsa_exception_int_div_zero 0
	.end_amdhsa_kernel
	.section	.text._ZN7rocprim17ROCPRIM_400000_NS6detail17trampoline_kernelINS0_14default_configENS1_36segmented_radix_sort_config_selectorIhlEEZNS1_25segmented_radix_sort_implIS3_Lb0EPKhPhPKlPlN2at6native12_GLOBAL__N_18offset_tEEE10hipError_tPvRmT1_PNSt15iterator_traitsISK_E10value_typeET2_T3_PNSL_ISQ_E10value_typeET4_jRbjT5_SW_jjP12ihipStream_tbEUlT_E2_NS1_11comp_targetILNS1_3genE2ELNS1_11target_archE906ELNS1_3gpuE6ELNS1_3repE0EEENS1_30default_config_static_selectorELNS0_4arch9wavefront6targetE1EEEvSK_,"axG",@progbits,_ZN7rocprim17ROCPRIM_400000_NS6detail17trampoline_kernelINS0_14default_configENS1_36segmented_radix_sort_config_selectorIhlEEZNS1_25segmented_radix_sort_implIS3_Lb0EPKhPhPKlPlN2at6native12_GLOBAL__N_18offset_tEEE10hipError_tPvRmT1_PNSt15iterator_traitsISK_E10value_typeET2_T3_PNSL_ISQ_E10value_typeET4_jRbjT5_SW_jjP12ihipStream_tbEUlT_E2_NS1_11comp_targetILNS1_3genE2ELNS1_11target_archE906ELNS1_3gpuE6ELNS1_3repE0EEENS1_30default_config_static_selectorELNS0_4arch9wavefront6targetE1EEEvSK_,comdat
.Lfunc_end220:
	.size	_ZN7rocprim17ROCPRIM_400000_NS6detail17trampoline_kernelINS0_14default_configENS1_36segmented_radix_sort_config_selectorIhlEEZNS1_25segmented_radix_sort_implIS3_Lb0EPKhPhPKlPlN2at6native12_GLOBAL__N_18offset_tEEE10hipError_tPvRmT1_PNSt15iterator_traitsISK_E10value_typeET2_T3_PNSL_ISQ_E10value_typeET4_jRbjT5_SW_jjP12ihipStream_tbEUlT_E2_NS1_11comp_targetILNS1_3genE2ELNS1_11target_archE906ELNS1_3gpuE6ELNS1_3repE0EEENS1_30default_config_static_selectorELNS0_4arch9wavefront6targetE1EEEvSK_, .Lfunc_end220-_ZN7rocprim17ROCPRIM_400000_NS6detail17trampoline_kernelINS0_14default_configENS1_36segmented_radix_sort_config_selectorIhlEEZNS1_25segmented_radix_sort_implIS3_Lb0EPKhPhPKlPlN2at6native12_GLOBAL__N_18offset_tEEE10hipError_tPvRmT1_PNSt15iterator_traitsISK_E10value_typeET2_T3_PNSL_ISQ_E10value_typeET4_jRbjT5_SW_jjP12ihipStream_tbEUlT_E2_NS1_11comp_targetILNS1_3genE2ELNS1_11target_archE906ELNS1_3gpuE6ELNS1_3repE0EEENS1_30default_config_static_selectorELNS0_4arch9wavefront6targetE1EEEvSK_
                                        ; -- End function
	.section	.AMDGPU.csdata,"",@progbits
; Kernel info:
; codeLenInByte = 0
; NumSgprs: 4
; NumVgprs: 0
; NumAgprs: 0
; TotalNumVgprs: 0
; ScratchSize: 0
; MemoryBound: 0
; FloatMode: 240
; IeeeMode: 1
; LDSByteSize: 0 bytes/workgroup (compile time only)
; SGPRBlocks: 0
; VGPRBlocks: 0
; NumSGPRsForWavesPerEU: 4
; NumVGPRsForWavesPerEU: 1
; AccumOffset: 4
; Occupancy: 8
; WaveLimiterHint : 0
; COMPUTE_PGM_RSRC2:SCRATCH_EN: 0
; COMPUTE_PGM_RSRC2:USER_SGPR: 6
; COMPUTE_PGM_RSRC2:TRAP_HANDLER: 0
; COMPUTE_PGM_RSRC2:TGID_X_EN: 1
; COMPUTE_PGM_RSRC2:TGID_Y_EN: 0
; COMPUTE_PGM_RSRC2:TGID_Z_EN: 0
; COMPUTE_PGM_RSRC2:TIDIG_COMP_CNT: 0
; COMPUTE_PGM_RSRC3_GFX90A:ACCUM_OFFSET: 0
; COMPUTE_PGM_RSRC3_GFX90A:TG_SPLIT: 0
	.section	.text._ZN7rocprim17ROCPRIM_400000_NS6detail17trampoline_kernelINS0_14default_configENS1_36segmented_radix_sort_config_selectorIhlEEZNS1_25segmented_radix_sort_implIS3_Lb0EPKhPhPKlPlN2at6native12_GLOBAL__N_18offset_tEEE10hipError_tPvRmT1_PNSt15iterator_traitsISK_E10value_typeET2_T3_PNSL_ISQ_E10value_typeET4_jRbjT5_SW_jjP12ihipStream_tbEUlT_E2_NS1_11comp_targetILNS1_3genE10ELNS1_11target_archE1201ELNS1_3gpuE5ELNS1_3repE0EEENS1_30default_config_static_selectorELNS0_4arch9wavefront6targetE1EEEvSK_,"axG",@progbits,_ZN7rocprim17ROCPRIM_400000_NS6detail17trampoline_kernelINS0_14default_configENS1_36segmented_radix_sort_config_selectorIhlEEZNS1_25segmented_radix_sort_implIS3_Lb0EPKhPhPKlPlN2at6native12_GLOBAL__N_18offset_tEEE10hipError_tPvRmT1_PNSt15iterator_traitsISK_E10value_typeET2_T3_PNSL_ISQ_E10value_typeET4_jRbjT5_SW_jjP12ihipStream_tbEUlT_E2_NS1_11comp_targetILNS1_3genE10ELNS1_11target_archE1201ELNS1_3gpuE5ELNS1_3repE0EEENS1_30default_config_static_selectorELNS0_4arch9wavefront6targetE1EEEvSK_,comdat
	.globl	_ZN7rocprim17ROCPRIM_400000_NS6detail17trampoline_kernelINS0_14default_configENS1_36segmented_radix_sort_config_selectorIhlEEZNS1_25segmented_radix_sort_implIS3_Lb0EPKhPhPKlPlN2at6native12_GLOBAL__N_18offset_tEEE10hipError_tPvRmT1_PNSt15iterator_traitsISK_E10value_typeET2_T3_PNSL_ISQ_E10value_typeET4_jRbjT5_SW_jjP12ihipStream_tbEUlT_E2_NS1_11comp_targetILNS1_3genE10ELNS1_11target_archE1201ELNS1_3gpuE5ELNS1_3repE0EEENS1_30default_config_static_selectorELNS0_4arch9wavefront6targetE1EEEvSK_ ; -- Begin function _ZN7rocprim17ROCPRIM_400000_NS6detail17trampoline_kernelINS0_14default_configENS1_36segmented_radix_sort_config_selectorIhlEEZNS1_25segmented_radix_sort_implIS3_Lb0EPKhPhPKlPlN2at6native12_GLOBAL__N_18offset_tEEE10hipError_tPvRmT1_PNSt15iterator_traitsISK_E10value_typeET2_T3_PNSL_ISQ_E10value_typeET4_jRbjT5_SW_jjP12ihipStream_tbEUlT_E2_NS1_11comp_targetILNS1_3genE10ELNS1_11target_archE1201ELNS1_3gpuE5ELNS1_3repE0EEENS1_30default_config_static_selectorELNS0_4arch9wavefront6targetE1EEEvSK_
	.p2align	8
	.type	_ZN7rocprim17ROCPRIM_400000_NS6detail17trampoline_kernelINS0_14default_configENS1_36segmented_radix_sort_config_selectorIhlEEZNS1_25segmented_radix_sort_implIS3_Lb0EPKhPhPKlPlN2at6native12_GLOBAL__N_18offset_tEEE10hipError_tPvRmT1_PNSt15iterator_traitsISK_E10value_typeET2_T3_PNSL_ISQ_E10value_typeET4_jRbjT5_SW_jjP12ihipStream_tbEUlT_E2_NS1_11comp_targetILNS1_3genE10ELNS1_11target_archE1201ELNS1_3gpuE5ELNS1_3repE0EEENS1_30default_config_static_selectorELNS0_4arch9wavefront6targetE1EEEvSK_,@function
_ZN7rocprim17ROCPRIM_400000_NS6detail17trampoline_kernelINS0_14default_configENS1_36segmented_radix_sort_config_selectorIhlEEZNS1_25segmented_radix_sort_implIS3_Lb0EPKhPhPKlPlN2at6native12_GLOBAL__N_18offset_tEEE10hipError_tPvRmT1_PNSt15iterator_traitsISK_E10value_typeET2_T3_PNSL_ISQ_E10value_typeET4_jRbjT5_SW_jjP12ihipStream_tbEUlT_E2_NS1_11comp_targetILNS1_3genE10ELNS1_11target_archE1201ELNS1_3gpuE5ELNS1_3repE0EEENS1_30default_config_static_selectorELNS0_4arch9wavefront6targetE1EEEvSK_: ; @_ZN7rocprim17ROCPRIM_400000_NS6detail17trampoline_kernelINS0_14default_configENS1_36segmented_radix_sort_config_selectorIhlEEZNS1_25segmented_radix_sort_implIS3_Lb0EPKhPhPKlPlN2at6native12_GLOBAL__N_18offset_tEEE10hipError_tPvRmT1_PNSt15iterator_traitsISK_E10value_typeET2_T3_PNSL_ISQ_E10value_typeET4_jRbjT5_SW_jjP12ihipStream_tbEUlT_E2_NS1_11comp_targetILNS1_3genE10ELNS1_11target_archE1201ELNS1_3gpuE5ELNS1_3repE0EEENS1_30default_config_static_selectorELNS0_4arch9wavefront6targetE1EEEvSK_
; %bb.0:
	.section	.rodata,"a",@progbits
	.p2align	6, 0x0
	.amdhsa_kernel _ZN7rocprim17ROCPRIM_400000_NS6detail17trampoline_kernelINS0_14default_configENS1_36segmented_radix_sort_config_selectorIhlEEZNS1_25segmented_radix_sort_implIS3_Lb0EPKhPhPKlPlN2at6native12_GLOBAL__N_18offset_tEEE10hipError_tPvRmT1_PNSt15iterator_traitsISK_E10value_typeET2_T3_PNSL_ISQ_E10value_typeET4_jRbjT5_SW_jjP12ihipStream_tbEUlT_E2_NS1_11comp_targetILNS1_3genE10ELNS1_11target_archE1201ELNS1_3gpuE5ELNS1_3repE0EEENS1_30default_config_static_selectorELNS0_4arch9wavefront6targetE1EEEvSK_
		.amdhsa_group_segment_fixed_size 0
		.amdhsa_private_segment_fixed_size 0
		.amdhsa_kernarg_size 80
		.amdhsa_user_sgpr_count 6
		.amdhsa_user_sgpr_private_segment_buffer 1
		.amdhsa_user_sgpr_dispatch_ptr 0
		.amdhsa_user_sgpr_queue_ptr 0
		.amdhsa_user_sgpr_kernarg_segment_ptr 1
		.amdhsa_user_sgpr_dispatch_id 0
		.amdhsa_user_sgpr_flat_scratch_init 0
		.amdhsa_user_sgpr_kernarg_preload_length 0
		.amdhsa_user_sgpr_kernarg_preload_offset 0
		.amdhsa_user_sgpr_private_segment_size 0
		.amdhsa_uses_dynamic_stack 0
		.amdhsa_system_sgpr_private_segment_wavefront_offset 0
		.amdhsa_system_sgpr_workgroup_id_x 1
		.amdhsa_system_sgpr_workgroup_id_y 0
		.amdhsa_system_sgpr_workgroup_id_z 0
		.amdhsa_system_sgpr_workgroup_info 0
		.amdhsa_system_vgpr_workitem_id 0
		.amdhsa_next_free_vgpr 1
		.amdhsa_next_free_sgpr 0
		.amdhsa_accum_offset 4
		.amdhsa_reserve_vcc 0
		.amdhsa_reserve_flat_scratch 0
		.amdhsa_float_round_mode_32 0
		.amdhsa_float_round_mode_16_64 0
		.amdhsa_float_denorm_mode_32 3
		.amdhsa_float_denorm_mode_16_64 3
		.amdhsa_dx10_clamp 1
		.amdhsa_ieee_mode 1
		.amdhsa_fp16_overflow 0
		.amdhsa_tg_split 0
		.amdhsa_exception_fp_ieee_invalid_op 0
		.amdhsa_exception_fp_denorm_src 0
		.amdhsa_exception_fp_ieee_div_zero 0
		.amdhsa_exception_fp_ieee_overflow 0
		.amdhsa_exception_fp_ieee_underflow 0
		.amdhsa_exception_fp_ieee_inexact 0
		.amdhsa_exception_int_div_zero 0
	.end_amdhsa_kernel
	.section	.text._ZN7rocprim17ROCPRIM_400000_NS6detail17trampoline_kernelINS0_14default_configENS1_36segmented_radix_sort_config_selectorIhlEEZNS1_25segmented_radix_sort_implIS3_Lb0EPKhPhPKlPlN2at6native12_GLOBAL__N_18offset_tEEE10hipError_tPvRmT1_PNSt15iterator_traitsISK_E10value_typeET2_T3_PNSL_ISQ_E10value_typeET4_jRbjT5_SW_jjP12ihipStream_tbEUlT_E2_NS1_11comp_targetILNS1_3genE10ELNS1_11target_archE1201ELNS1_3gpuE5ELNS1_3repE0EEENS1_30default_config_static_selectorELNS0_4arch9wavefront6targetE1EEEvSK_,"axG",@progbits,_ZN7rocprim17ROCPRIM_400000_NS6detail17trampoline_kernelINS0_14default_configENS1_36segmented_radix_sort_config_selectorIhlEEZNS1_25segmented_radix_sort_implIS3_Lb0EPKhPhPKlPlN2at6native12_GLOBAL__N_18offset_tEEE10hipError_tPvRmT1_PNSt15iterator_traitsISK_E10value_typeET2_T3_PNSL_ISQ_E10value_typeET4_jRbjT5_SW_jjP12ihipStream_tbEUlT_E2_NS1_11comp_targetILNS1_3genE10ELNS1_11target_archE1201ELNS1_3gpuE5ELNS1_3repE0EEENS1_30default_config_static_selectorELNS0_4arch9wavefront6targetE1EEEvSK_,comdat
.Lfunc_end221:
	.size	_ZN7rocprim17ROCPRIM_400000_NS6detail17trampoline_kernelINS0_14default_configENS1_36segmented_radix_sort_config_selectorIhlEEZNS1_25segmented_radix_sort_implIS3_Lb0EPKhPhPKlPlN2at6native12_GLOBAL__N_18offset_tEEE10hipError_tPvRmT1_PNSt15iterator_traitsISK_E10value_typeET2_T3_PNSL_ISQ_E10value_typeET4_jRbjT5_SW_jjP12ihipStream_tbEUlT_E2_NS1_11comp_targetILNS1_3genE10ELNS1_11target_archE1201ELNS1_3gpuE5ELNS1_3repE0EEENS1_30default_config_static_selectorELNS0_4arch9wavefront6targetE1EEEvSK_, .Lfunc_end221-_ZN7rocprim17ROCPRIM_400000_NS6detail17trampoline_kernelINS0_14default_configENS1_36segmented_radix_sort_config_selectorIhlEEZNS1_25segmented_radix_sort_implIS3_Lb0EPKhPhPKlPlN2at6native12_GLOBAL__N_18offset_tEEE10hipError_tPvRmT1_PNSt15iterator_traitsISK_E10value_typeET2_T3_PNSL_ISQ_E10value_typeET4_jRbjT5_SW_jjP12ihipStream_tbEUlT_E2_NS1_11comp_targetILNS1_3genE10ELNS1_11target_archE1201ELNS1_3gpuE5ELNS1_3repE0EEENS1_30default_config_static_selectorELNS0_4arch9wavefront6targetE1EEEvSK_
                                        ; -- End function
	.section	.AMDGPU.csdata,"",@progbits
; Kernel info:
; codeLenInByte = 0
; NumSgprs: 4
; NumVgprs: 0
; NumAgprs: 0
; TotalNumVgprs: 0
; ScratchSize: 0
; MemoryBound: 0
; FloatMode: 240
; IeeeMode: 1
; LDSByteSize: 0 bytes/workgroup (compile time only)
; SGPRBlocks: 0
; VGPRBlocks: 0
; NumSGPRsForWavesPerEU: 4
; NumVGPRsForWavesPerEU: 1
; AccumOffset: 4
; Occupancy: 8
; WaveLimiterHint : 0
; COMPUTE_PGM_RSRC2:SCRATCH_EN: 0
; COMPUTE_PGM_RSRC2:USER_SGPR: 6
; COMPUTE_PGM_RSRC2:TRAP_HANDLER: 0
; COMPUTE_PGM_RSRC2:TGID_X_EN: 1
; COMPUTE_PGM_RSRC2:TGID_Y_EN: 0
; COMPUTE_PGM_RSRC2:TGID_Z_EN: 0
; COMPUTE_PGM_RSRC2:TIDIG_COMP_CNT: 0
; COMPUTE_PGM_RSRC3_GFX90A:ACCUM_OFFSET: 0
; COMPUTE_PGM_RSRC3_GFX90A:TG_SPLIT: 0
	.section	.text._ZN7rocprim17ROCPRIM_400000_NS6detail17trampoline_kernelINS0_14default_configENS1_36segmented_radix_sort_config_selectorIhlEEZNS1_25segmented_radix_sort_implIS3_Lb0EPKhPhPKlPlN2at6native12_GLOBAL__N_18offset_tEEE10hipError_tPvRmT1_PNSt15iterator_traitsISK_E10value_typeET2_T3_PNSL_ISQ_E10value_typeET4_jRbjT5_SW_jjP12ihipStream_tbEUlT_E2_NS1_11comp_targetILNS1_3genE10ELNS1_11target_archE1200ELNS1_3gpuE4ELNS1_3repE0EEENS1_30default_config_static_selectorELNS0_4arch9wavefront6targetE1EEEvSK_,"axG",@progbits,_ZN7rocprim17ROCPRIM_400000_NS6detail17trampoline_kernelINS0_14default_configENS1_36segmented_radix_sort_config_selectorIhlEEZNS1_25segmented_radix_sort_implIS3_Lb0EPKhPhPKlPlN2at6native12_GLOBAL__N_18offset_tEEE10hipError_tPvRmT1_PNSt15iterator_traitsISK_E10value_typeET2_T3_PNSL_ISQ_E10value_typeET4_jRbjT5_SW_jjP12ihipStream_tbEUlT_E2_NS1_11comp_targetILNS1_3genE10ELNS1_11target_archE1200ELNS1_3gpuE4ELNS1_3repE0EEENS1_30default_config_static_selectorELNS0_4arch9wavefront6targetE1EEEvSK_,comdat
	.globl	_ZN7rocprim17ROCPRIM_400000_NS6detail17trampoline_kernelINS0_14default_configENS1_36segmented_radix_sort_config_selectorIhlEEZNS1_25segmented_radix_sort_implIS3_Lb0EPKhPhPKlPlN2at6native12_GLOBAL__N_18offset_tEEE10hipError_tPvRmT1_PNSt15iterator_traitsISK_E10value_typeET2_T3_PNSL_ISQ_E10value_typeET4_jRbjT5_SW_jjP12ihipStream_tbEUlT_E2_NS1_11comp_targetILNS1_3genE10ELNS1_11target_archE1200ELNS1_3gpuE4ELNS1_3repE0EEENS1_30default_config_static_selectorELNS0_4arch9wavefront6targetE1EEEvSK_ ; -- Begin function _ZN7rocprim17ROCPRIM_400000_NS6detail17trampoline_kernelINS0_14default_configENS1_36segmented_radix_sort_config_selectorIhlEEZNS1_25segmented_radix_sort_implIS3_Lb0EPKhPhPKlPlN2at6native12_GLOBAL__N_18offset_tEEE10hipError_tPvRmT1_PNSt15iterator_traitsISK_E10value_typeET2_T3_PNSL_ISQ_E10value_typeET4_jRbjT5_SW_jjP12ihipStream_tbEUlT_E2_NS1_11comp_targetILNS1_3genE10ELNS1_11target_archE1200ELNS1_3gpuE4ELNS1_3repE0EEENS1_30default_config_static_selectorELNS0_4arch9wavefront6targetE1EEEvSK_
	.p2align	8
	.type	_ZN7rocprim17ROCPRIM_400000_NS6detail17trampoline_kernelINS0_14default_configENS1_36segmented_radix_sort_config_selectorIhlEEZNS1_25segmented_radix_sort_implIS3_Lb0EPKhPhPKlPlN2at6native12_GLOBAL__N_18offset_tEEE10hipError_tPvRmT1_PNSt15iterator_traitsISK_E10value_typeET2_T3_PNSL_ISQ_E10value_typeET4_jRbjT5_SW_jjP12ihipStream_tbEUlT_E2_NS1_11comp_targetILNS1_3genE10ELNS1_11target_archE1200ELNS1_3gpuE4ELNS1_3repE0EEENS1_30default_config_static_selectorELNS0_4arch9wavefront6targetE1EEEvSK_,@function
_ZN7rocprim17ROCPRIM_400000_NS6detail17trampoline_kernelINS0_14default_configENS1_36segmented_radix_sort_config_selectorIhlEEZNS1_25segmented_radix_sort_implIS3_Lb0EPKhPhPKlPlN2at6native12_GLOBAL__N_18offset_tEEE10hipError_tPvRmT1_PNSt15iterator_traitsISK_E10value_typeET2_T3_PNSL_ISQ_E10value_typeET4_jRbjT5_SW_jjP12ihipStream_tbEUlT_E2_NS1_11comp_targetILNS1_3genE10ELNS1_11target_archE1200ELNS1_3gpuE4ELNS1_3repE0EEENS1_30default_config_static_selectorELNS0_4arch9wavefront6targetE1EEEvSK_: ; @_ZN7rocprim17ROCPRIM_400000_NS6detail17trampoline_kernelINS0_14default_configENS1_36segmented_radix_sort_config_selectorIhlEEZNS1_25segmented_radix_sort_implIS3_Lb0EPKhPhPKlPlN2at6native12_GLOBAL__N_18offset_tEEE10hipError_tPvRmT1_PNSt15iterator_traitsISK_E10value_typeET2_T3_PNSL_ISQ_E10value_typeET4_jRbjT5_SW_jjP12ihipStream_tbEUlT_E2_NS1_11comp_targetILNS1_3genE10ELNS1_11target_archE1200ELNS1_3gpuE4ELNS1_3repE0EEENS1_30default_config_static_selectorELNS0_4arch9wavefront6targetE1EEEvSK_
; %bb.0:
	.section	.rodata,"a",@progbits
	.p2align	6, 0x0
	.amdhsa_kernel _ZN7rocprim17ROCPRIM_400000_NS6detail17trampoline_kernelINS0_14default_configENS1_36segmented_radix_sort_config_selectorIhlEEZNS1_25segmented_radix_sort_implIS3_Lb0EPKhPhPKlPlN2at6native12_GLOBAL__N_18offset_tEEE10hipError_tPvRmT1_PNSt15iterator_traitsISK_E10value_typeET2_T3_PNSL_ISQ_E10value_typeET4_jRbjT5_SW_jjP12ihipStream_tbEUlT_E2_NS1_11comp_targetILNS1_3genE10ELNS1_11target_archE1200ELNS1_3gpuE4ELNS1_3repE0EEENS1_30default_config_static_selectorELNS0_4arch9wavefront6targetE1EEEvSK_
		.amdhsa_group_segment_fixed_size 0
		.amdhsa_private_segment_fixed_size 0
		.amdhsa_kernarg_size 80
		.amdhsa_user_sgpr_count 6
		.amdhsa_user_sgpr_private_segment_buffer 1
		.amdhsa_user_sgpr_dispatch_ptr 0
		.amdhsa_user_sgpr_queue_ptr 0
		.amdhsa_user_sgpr_kernarg_segment_ptr 1
		.amdhsa_user_sgpr_dispatch_id 0
		.amdhsa_user_sgpr_flat_scratch_init 0
		.amdhsa_user_sgpr_kernarg_preload_length 0
		.amdhsa_user_sgpr_kernarg_preload_offset 0
		.amdhsa_user_sgpr_private_segment_size 0
		.amdhsa_uses_dynamic_stack 0
		.amdhsa_system_sgpr_private_segment_wavefront_offset 0
		.amdhsa_system_sgpr_workgroup_id_x 1
		.amdhsa_system_sgpr_workgroup_id_y 0
		.amdhsa_system_sgpr_workgroup_id_z 0
		.amdhsa_system_sgpr_workgroup_info 0
		.amdhsa_system_vgpr_workitem_id 0
		.amdhsa_next_free_vgpr 1
		.amdhsa_next_free_sgpr 0
		.amdhsa_accum_offset 4
		.amdhsa_reserve_vcc 0
		.amdhsa_reserve_flat_scratch 0
		.amdhsa_float_round_mode_32 0
		.amdhsa_float_round_mode_16_64 0
		.amdhsa_float_denorm_mode_32 3
		.amdhsa_float_denorm_mode_16_64 3
		.amdhsa_dx10_clamp 1
		.amdhsa_ieee_mode 1
		.amdhsa_fp16_overflow 0
		.amdhsa_tg_split 0
		.amdhsa_exception_fp_ieee_invalid_op 0
		.amdhsa_exception_fp_denorm_src 0
		.amdhsa_exception_fp_ieee_div_zero 0
		.amdhsa_exception_fp_ieee_overflow 0
		.amdhsa_exception_fp_ieee_underflow 0
		.amdhsa_exception_fp_ieee_inexact 0
		.amdhsa_exception_int_div_zero 0
	.end_amdhsa_kernel
	.section	.text._ZN7rocprim17ROCPRIM_400000_NS6detail17trampoline_kernelINS0_14default_configENS1_36segmented_radix_sort_config_selectorIhlEEZNS1_25segmented_radix_sort_implIS3_Lb0EPKhPhPKlPlN2at6native12_GLOBAL__N_18offset_tEEE10hipError_tPvRmT1_PNSt15iterator_traitsISK_E10value_typeET2_T3_PNSL_ISQ_E10value_typeET4_jRbjT5_SW_jjP12ihipStream_tbEUlT_E2_NS1_11comp_targetILNS1_3genE10ELNS1_11target_archE1200ELNS1_3gpuE4ELNS1_3repE0EEENS1_30default_config_static_selectorELNS0_4arch9wavefront6targetE1EEEvSK_,"axG",@progbits,_ZN7rocprim17ROCPRIM_400000_NS6detail17trampoline_kernelINS0_14default_configENS1_36segmented_radix_sort_config_selectorIhlEEZNS1_25segmented_radix_sort_implIS3_Lb0EPKhPhPKlPlN2at6native12_GLOBAL__N_18offset_tEEE10hipError_tPvRmT1_PNSt15iterator_traitsISK_E10value_typeET2_T3_PNSL_ISQ_E10value_typeET4_jRbjT5_SW_jjP12ihipStream_tbEUlT_E2_NS1_11comp_targetILNS1_3genE10ELNS1_11target_archE1200ELNS1_3gpuE4ELNS1_3repE0EEENS1_30default_config_static_selectorELNS0_4arch9wavefront6targetE1EEEvSK_,comdat
.Lfunc_end222:
	.size	_ZN7rocprim17ROCPRIM_400000_NS6detail17trampoline_kernelINS0_14default_configENS1_36segmented_radix_sort_config_selectorIhlEEZNS1_25segmented_radix_sort_implIS3_Lb0EPKhPhPKlPlN2at6native12_GLOBAL__N_18offset_tEEE10hipError_tPvRmT1_PNSt15iterator_traitsISK_E10value_typeET2_T3_PNSL_ISQ_E10value_typeET4_jRbjT5_SW_jjP12ihipStream_tbEUlT_E2_NS1_11comp_targetILNS1_3genE10ELNS1_11target_archE1200ELNS1_3gpuE4ELNS1_3repE0EEENS1_30default_config_static_selectorELNS0_4arch9wavefront6targetE1EEEvSK_, .Lfunc_end222-_ZN7rocprim17ROCPRIM_400000_NS6detail17trampoline_kernelINS0_14default_configENS1_36segmented_radix_sort_config_selectorIhlEEZNS1_25segmented_radix_sort_implIS3_Lb0EPKhPhPKlPlN2at6native12_GLOBAL__N_18offset_tEEE10hipError_tPvRmT1_PNSt15iterator_traitsISK_E10value_typeET2_T3_PNSL_ISQ_E10value_typeET4_jRbjT5_SW_jjP12ihipStream_tbEUlT_E2_NS1_11comp_targetILNS1_3genE10ELNS1_11target_archE1200ELNS1_3gpuE4ELNS1_3repE0EEENS1_30default_config_static_selectorELNS0_4arch9wavefront6targetE1EEEvSK_
                                        ; -- End function
	.section	.AMDGPU.csdata,"",@progbits
; Kernel info:
; codeLenInByte = 0
; NumSgprs: 4
; NumVgprs: 0
; NumAgprs: 0
; TotalNumVgprs: 0
; ScratchSize: 0
; MemoryBound: 0
; FloatMode: 240
; IeeeMode: 1
; LDSByteSize: 0 bytes/workgroup (compile time only)
; SGPRBlocks: 0
; VGPRBlocks: 0
; NumSGPRsForWavesPerEU: 4
; NumVGPRsForWavesPerEU: 1
; AccumOffset: 4
; Occupancy: 8
; WaveLimiterHint : 0
; COMPUTE_PGM_RSRC2:SCRATCH_EN: 0
; COMPUTE_PGM_RSRC2:USER_SGPR: 6
; COMPUTE_PGM_RSRC2:TRAP_HANDLER: 0
; COMPUTE_PGM_RSRC2:TGID_X_EN: 1
; COMPUTE_PGM_RSRC2:TGID_Y_EN: 0
; COMPUTE_PGM_RSRC2:TGID_Z_EN: 0
; COMPUTE_PGM_RSRC2:TIDIG_COMP_CNT: 0
; COMPUTE_PGM_RSRC3_GFX90A:ACCUM_OFFSET: 0
; COMPUTE_PGM_RSRC3_GFX90A:TG_SPLIT: 0
	.section	.text._ZN7rocprim17ROCPRIM_400000_NS6detail17trampoline_kernelINS0_14default_configENS1_36segmented_radix_sort_config_selectorIhlEEZNS1_25segmented_radix_sort_implIS3_Lb0EPKhPhPKlPlN2at6native12_GLOBAL__N_18offset_tEEE10hipError_tPvRmT1_PNSt15iterator_traitsISK_E10value_typeET2_T3_PNSL_ISQ_E10value_typeET4_jRbjT5_SW_jjP12ihipStream_tbEUlT_E2_NS1_11comp_targetILNS1_3genE9ELNS1_11target_archE1100ELNS1_3gpuE3ELNS1_3repE0EEENS1_30default_config_static_selectorELNS0_4arch9wavefront6targetE1EEEvSK_,"axG",@progbits,_ZN7rocprim17ROCPRIM_400000_NS6detail17trampoline_kernelINS0_14default_configENS1_36segmented_radix_sort_config_selectorIhlEEZNS1_25segmented_radix_sort_implIS3_Lb0EPKhPhPKlPlN2at6native12_GLOBAL__N_18offset_tEEE10hipError_tPvRmT1_PNSt15iterator_traitsISK_E10value_typeET2_T3_PNSL_ISQ_E10value_typeET4_jRbjT5_SW_jjP12ihipStream_tbEUlT_E2_NS1_11comp_targetILNS1_3genE9ELNS1_11target_archE1100ELNS1_3gpuE3ELNS1_3repE0EEENS1_30default_config_static_selectorELNS0_4arch9wavefront6targetE1EEEvSK_,comdat
	.globl	_ZN7rocprim17ROCPRIM_400000_NS6detail17trampoline_kernelINS0_14default_configENS1_36segmented_radix_sort_config_selectorIhlEEZNS1_25segmented_radix_sort_implIS3_Lb0EPKhPhPKlPlN2at6native12_GLOBAL__N_18offset_tEEE10hipError_tPvRmT1_PNSt15iterator_traitsISK_E10value_typeET2_T3_PNSL_ISQ_E10value_typeET4_jRbjT5_SW_jjP12ihipStream_tbEUlT_E2_NS1_11comp_targetILNS1_3genE9ELNS1_11target_archE1100ELNS1_3gpuE3ELNS1_3repE0EEENS1_30default_config_static_selectorELNS0_4arch9wavefront6targetE1EEEvSK_ ; -- Begin function _ZN7rocprim17ROCPRIM_400000_NS6detail17trampoline_kernelINS0_14default_configENS1_36segmented_radix_sort_config_selectorIhlEEZNS1_25segmented_radix_sort_implIS3_Lb0EPKhPhPKlPlN2at6native12_GLOBAL__N_18offset_tEEE10hipError_tPvRmT1_PNSt15iterator_traitsISK_E10value_typeET2_T3_PNSL_ISQ_E10value_typeET4_jRbjT5_SW_jjP12ihipStream_tbEUlT_E2_NS1_11comp_targetILNS1_3genE9ELNS1_11target_archE1100ELNS1_3gpuE3ELNS1_3repE0EEENS1_30default_config_static_selectorELNS0_4arch9wavefront6targetE1EEEvSK_
	.p2align	8
	.type	_ZN7rocprim17ROCPRIM_400000_NS6detail17trampoline_kernelINS0_14default_configENS1_36segmented_radix_sort_config_selectorIhlEEZNS1_25segmented_radix_sort_implIS3_Lb0EPKhPhPKlPlN2at6native12_GLOBAL__N_18offset_tEEE10hipError_tPvRmT1_PNSt15iterator_traitsISK_E10value_typeET2_T3_PNSL_ISQ_E10value_typeET4_jRbjT5_SW_jjP12ihipStream_tbEUlT_E2_NS1_11comp_targetILNS1_3genE9ELNS1_11target_archE1100ELNS1_3gpuE3ELNS1_3repE0EEENS1_30default_config_static_selectorELNS0_4arch9wavefront6targetE1EEEvSK_,@function
_ZN7rocprim17ROCPRIM_400000_NS6detail17trampoline_kernelINS0_14default_configENS1_36segmented_radix_sort_config_selectorIhlEEZNS1_25segmented_radix_sort_implIS3_Lb0EPKhPhPKlPlN2at6native12_GLOBAL__N_18offset_tEEE10hipError_tPvRmT1_PNSt15iterator_traitsISK_E10value_typeET2_T3_PNSL_ISQ_E10value_typeET4_jRbjT5_SW_jjP12ihipStream_tbEUlT_E2_NS1_11comp_targetILNS1_3genE9ELNS1_11target_archE1100ELNS1_3gpuE3ELNS1_3repE0EEENS1_30default_config_static_selectorELNS0_4arch9wavefront6targetE1EEEvSK_: ; @_ZN7rocprim17ROCPRIM_400000_NS6detail17trampoline_kernelINS0_14default_configENS1_36segmented_radix_sort_config_selectorIhlEEZNS1_25segmented_radix_sort_implIS3_Lb0EPKhPhPKlPlN2at6native12_GLOBAL__N_18offset_tEEE10hipError_tPvRmT1_PNSt15iterator_traitsISK_E10value_typeET2_T3_PNSL_ISQ_E10value_typeET4_jRbjT5_SW_jjP12ihipStream_tbEUlT_E2_NS1_11comp_targetILNS1_3genE9ELNS1_11target_archE1100ELNS1_3gpuE3ELNS1_3repE0EEENS1_30default_config_static_selectorELNS0_4arch9wavefront6targetE1EEEvSK_
; %bb.0:
	.section	.rodata,"a",@progbits
	.p2align	6, 0x0
	.amdhsa_kernel _ZN7rocprim17ROCPRIM_400000_NS6detail17trampoline_kernelINS0_14default_configENS1_36segmented_radix_sort_config_selectorIhlEEZNS1_25segmented_radix_sort_implIS3_Lb0EPKhPhPKlPlN2at6native12_GLOBAL__N_18offset_tEEE10hipError_tPvRmT1_PNSt15iterator_traitsISK_E10value_typeET2_T3_PNSL_ISQ_E10value_typeET4_jRbjT5_SW_jjP12ihipStream_tbEUlT_E2_NS1_11comp_targetILNS1_3genE9ELNS1_11target_archE1100ELNS1_3gpuE3ELNS1_3repE0EEENS1_30default_config_static_selectorELNS0_4arch9wavefront6targetE1EEEvSK_
		.amdhsa_group_segment_fixed_size 0
		.amdhsa_private_segment_fixed_size 0
		.amdhsa_kernarg_size 80
		.amdhsa_user_sgpr_count 6
		.amdhsa_user_sgpr_private_segment_buffer 1
		.amdhsa_user_sgpr_dispatch_ptr 0
		.amdhsa_user_sgpr_queue_ptr 0
		.amdhsa_user_sgpr_kernarg_segment_ptr 1
		.amdhsa_user_sgpr_dispatch_id 0
		.amdhsa_user_sgpr_flat_scratch_init 0
		.amdhsa_user_sgpr_kernarg_preload_length 0
		.amdhsa_user_sgpr_kernarg_preload_offset 0
		.amdhsa_user_sgpr_private_segment_size 0
		.amdhsa_uses_dynamic_stack 0
		.amdhsa_system_sgpr_private_segment_wavefront_offset 0
		.amdhsa_system_sgpr_workgroup_id_x 1
		.amdhsa_system_sgpr_workgroup_id_y 0
		.amdhsa_system_sgpr_workgroup_id_z 0
		.amdhsa_system_sgpr_workgroup_info 0
		.amdhsa_system_vgpr_workitem_id 0
		.amdhsa_next_free_vgpr 1
		.amdhsa_next_free_sgpr 0
		.amdhsa_accum_offset 4
		.amdhsa_reserve_vcc 0
		.amdhsa_reserve_flat_scratch 0
		.amdhsa_float_round_mode_32 0
		.amdhsa_float_round_mode_16_64 0
		.amdhsa_float_denorm_mode_32 3
		.amdhsa_float_denorm_mode_16_64 3
		.amdhsa_dx10_clamp 1
		.amdhsa_ieee_mode 1
		.amdhsa_fp16_overflow 0
		.amdhsa_tg_split 0
		.amdhsa_exception_fp_ieee_invalid_op 0
		.amdhsa_exception_fp_denorm_src 0
		.amdhsa_exception_fp_ieee_div_zero 0
		.amdhsa_exception_fp_ieee_overflow 0
		.amdhsa_exception_fp_ieee_underflow 0
		.amdhsa_exception_fp_ieee_inexact 0
		.amdhsa_exception_int_div_zero 0
	.end_amdhsa_kernel
	.section	.text._ZN7rocprim17ROCPRIM_400000_NS6detail17trampoline_kernelINS0_14default_configENS1_36segmented_radix_sort_config_selectorIhlEEZNS1_25segmented_radix_sort_implIS3_Lb0EPKhPhPKlPlN2at6native12_GLOBAL__N_18offset_tEEE10hipError_tPvRmT1_PNSt15iterator_traitsISK_E10value_typeET2_T3_PNSL_ISQ_E10value_typeET4_jRbjT5_SW_jjP12ihipStream_tbEUlT_E2_NS1_11comp_targetILNS1_3genE9ELNS1_11target_archE1100ELNS1_3gpuE3ELNS1_3repE0EEENS1_30default_config_static_selectorELNS0_4arch9wavefront6targetE1EEEvSK_,"axG",@progbits,_ZN7rocprim17ROCPRIM_400000_NS6detail17trampoline_kernelINS0_14default_configENS1_36segmented_radix_sort_config_selectorIhlEEZNS1_25segmented_radix_sort_implIS3_Lb0EPKhPhPKlPlN2at6native12_GLOBAL__N_18offset_tEEE10hipError_tPvRmT1_PNSt15iterator_traitsISK_E10value_typeET2_T3_PNSL_ISQ_E10value_typeET4_jRbjT5_SW_jjP12ihipStream_tbEUlT_E2_NS1_11comp_targetILNS1_3genE9ELNS1_11target_archE1100ELNS1_3gpuE3ELNS1_3repE0EEENS1_30default_config_static_selectorELNS0_4arch9wavefront6targetE1EEEvSK_,comdat
.Lfunc_end223:
	.size	_ZN7rocprim17ROCPRIM_400000_NS6detail17trampoline_kernelINS0_14default_configENS1_36segmented_radix_sort_config_selectorIhlEEZNS1_25segmented_radix_sort_implIS3_Lb0EPKhPhPKlPlN2at6native12_GLOBAL__N_18offset_tEEE10hipError_tPvRmT1_PNSt15iterator_traitsISK_E10value_typeET2_T3_PNSL_ISQ_E10value_typeET4_jRbjT5_SW_jjP12ihipStream_tbEUlT_E2_NS1_11comp_targetILNS1_3genE9ELNS1_11target_archE1100ELNS1_3gpuE3ELNS1_3repE0EEENS1_30default_config_static_selectorELNS0_4arch9wavefront6targetE1EEEvSK_, .Lfunc_end223-_ZN7rocprim17ROCPRIM_400000_NS6detail17trampoline_kernelINS0_14default_configENS1_36segmented_radix_sort_config_selectorIhlEEZNS1_25segmented_radix_sort_implIS3_Lb0EPKhPhPKlPlN2at6native12_GLOBAL__N_18offset_tEEE10hipError_tPvRmT1_PNSt15iterator_traitsISK_E10value_typeET2_T3_PNSL_ISQ_E10value_typeET4_jRbjT5_SW_jjP12ihipStream_tbEUlT_E2_NS1_11comp_targetILNS1_3genE9ELNS1_11target_archE1100ELNS1_3gpuE3ELNS1_3repE0EEENS1_30default_config_static_selectorELNS0_4arch9wavefront6targetE1EEEvSK_
                                        ; -- End function
	.section	.AMDGPU.csdata,"",@progbits
; Kernel info:
; codeLenInByte = 0
; NumSgprs: 4
; NumVgprs: 0
; NumAgprs: 0
; TotalNumVgprs: 0
; ScratchSize: 0
; MemoryBound: 0
; FloatMode: 240
; IeeeMode: 1
; LDSByteSize: 0 bytes/workgroup (compile time only)
; SGPRBlocks: 0
; VGPRBlocks: 0
; NumSGPRsForWavesPerEU: 4
; NumVGPRsForWavesPerEU: 1
; AccumOffset: 4
; Occupancy: 8
; WaveLimiterHint : 0
; COMPUTE_PGM_RSRC2:SCRATCH_EN: 0
; COMPUTE_PGM_RSRC2:USER_SGPR: 6
; COMPUTE_PGM_RSRC2:TRAP_HANDLER: 0
; COMPUTE_PGM_RSRC2:TGID_X_EN: 1
; COMPUTE_PGM_RSRC2:TGID_Y_EN: 0
; COMPUTE_PGM_RSRC2:TGID_Z_EN: 0
; COMPUTE_PGM_RSRC2:TIDIG_COMP_CNT: 0
; COMPUTE_PGM_RSRC3_GFX90A:ACCUM_OFFSET: 0
; COMPUTE_PGM_RSRC3_GFX90A:TG_SPLIT: 0
	.section	.text._ZN7rocprim17ROCPRIM_400000_NS6detail17trampoline_kernelINS0_14default_configENS1_36segmented_radix_sort_config_selectorIhlEEZNS1_25segmented_radix_sort_implIS3_Lb0EPKhPhPKlPlN2at6native12_GLOBAL__N_18offset_tEEE10hipError_tPvRmT1_PNSt15iterator_traitsISK_E10value_typeET2_T3_PNSL_ISQ_E10value_typeET4_jRbjT5_SW_jjP12ihipStream_tbEUlT_E2_NS1_11comp_targetILNS1_3genE8ELNS1_11target_archE1030ELNS1_3gpuE2ELNS1_3repE0EEENS1_30default_config_static_selectorELNS0_4arch9wavefront6targetE1EEEvSK_,"axG",@progbits,_ZN7rocprim17ROCPRIM_400000_NS6detail17trampoline_kernelINS0_14default_configENS1_36segmented_radix_sort_config_selectorIhlEEZNS1_25segmented_radix_sort_implIS3_Lb0EPKhPhPKlPlN2at6native12_GLOBAL__N_18offset_tEEE10hipError_tPvRmT1_PNSt15iterator_traitsISK_E10value_typeET2_T3_PNSL_ISQ_E10value_typeET4_jRbjT5_SW_jjP12ihipStream_tbEUlT_E2_NS1_11comp_targetILNS1_3genE8ELNS1_11target_archE1030ELNS1_3gpuE2ELNS1_3repE0EEENS1_30default_config_static_selectorELNS0_4arch9wavefront6targetE1EEEvSK_,comdat
	.globl	_ZN7rocprim17ROCPRIM_400000_NS6detail17trampoline_kernelINS0_14default_configENS1_36segmented_radix_sort_config_selectorIhlEEZNS1_25segmented_radix_sort_implIS3_Lb0EPKhPhPKlPlN2at6native12_GLOBAL__N_18offset_tEEE10hipError_tPvRmT1_PNSt15iterator_traitsISK_E10value_typeET2_T3_PNSL_ISQ_E10value_typeET4_jRbjT5_SW_jjP12ihipStream_tbEUlT_E2_NS1_11comp_targetILNS1_3genE8ELNS1_11target_archE1030ELNS1_3gpuE2ELNS1_3repE0EEENS1_30default_config_static_selectorELNS0_4arch9wavefront6targetE1EEEvSK_ ; -- Begin function _ZN7rocprim17ROCPRIM_400000_NS6detail17trampoline_kernelINS0_14default_configENS1_36segmented_radix_sort_config_selectorIhlEEZNS1_25segmented_radix_sort_implIS3_Lb0EPKhPhPKlPlN2at6native12_GLOBAL__N_18offset_tEEE10hipError_tPvRmT1_PNSt15iterator_traitsISK_E10value_typeET2_T3_PNSL_ISQ_E10value_typeET4_jRbjT5_SW_jjP12ihipStream_tbEUlT_E2_NS1_11comp_targetILNS1_3genE8ELNS1_11target_archE1030ELNS1_3gpuE2ELNS1_3repE0EEENS1_30default_config_static_selectorELNS0_4arch9wavefront6targetE1EEEvSK_
	.p2align	8
	.type	_ZN7rocprim17ROCPRIM_400000_NS6detail17trampoline_kernelINS0_14default_configENS1_36segmented_radix_sort_config_selectorIhlEEZNS1_25segmented_radix_sort_implIS3_Lb0EPKhPhPKlPlN2at6native12_GLOBAL__N_18offset_tEEE10hipError_tPvRmT1_PNSt15iterator_traitsISK_E10value_typeET2_T3_PNSL_ISQ_E10value_typeET4_jRbjT5_SW_jjP12ihipStream_tbEUlT_E2_NS1_11comp_targetILNS1_3genE8ELNS1_11target_archE1030ELNS1_3gpuE2ELNS1_3repE0EEENS1_30default_config_static_selectorELNS0_4arch9wavefront6targetE1EEEvSK_,@function
_ZN7rocprim17ROCPRIM_400000_NS6detail17trampoline_kernelINS0_14default_configENS1_36segmented_radix_sort_config_selectorIhlEEZNS1_25segmented_radix_sort_implIS3_Lb0EPKhPhPKlPlN2at6native12_GLOBAL__N_18offset_tEEE10hipError_tPvRmT1_PNSt15iterator_traitsISK_E10value_typeET2_T3_PNSL_ISQ_E10value_typeET4_jRbjT5_SW_jjP12ihipStream_tbEUlT_E2_NS1_11comp_targetILNS1_3genE8ELNS1_11target_archE1030ELNS1_3gpuE2ELNS1_3repE0EEENS1_30default_config_static_selectorELNS0_4arch9wavefront6targetE1EEEvSK_: ; @_ZN7rocprim17ROCPRIM_400000_NS6detail17trampoline_kernelINS0_14default_configENS1_36segmented_radix_sort_config_selectorIhlEEZNS1_25segmented_radix_sort_implIS3_Lb0EPKhPhPKlPlN2at6native12_GLOBAL__N_18offset_tEEE10hipError_tPvRmT1_PNSt15iterator_traitsISK_E10value_typeET2_T3_PNSL_ISQ_E10value_typeET4_jRbjT5_SW_jjP12ihipStream_tbEUlT_E2_NS1_11comp_targetILNS1_3genE8ELNS1_11target_archE1030ELNS1_3gpuE2ELNS1_3repE0EEENS1_30default_config_static_selectorELNS0_4arch9wavefront6targetE1EEEvSK_
; %bb.0:
	.section	.rodata,"a",@progbits
	.p2align	6, 0x0
	.amdhsa_kernel _ZN7rocprim17ROCPRIM_400000_NS6detail17trampoline_kernelINS0_14default_configENS1_36segmented_radix_sort_config_selectorIhlEEZNS1_25segmented_radix_sort_implIS3_Lb0EPKhPhPKlPlN2at6native12_GLOBAL__N_18offset_tEEE10hipError_tPvRmT1_PNSt15iterator_traitsISK_E10value_typeET2_T3_PNSL_ISQ_E10value_typeET4_jRbjT5_SW_jjP12ihipStream_tbEUlT_E2_NS1_11comp_targetILNS1_3genE8ELNS1_11target_archE1030ELNS1_3gpuE2ELNS1_3repE0EEENS1_30default_config_static_selectorELNS0_4arch9wavefront6targetE1EEEvSK_
		.amdhsa_group_segment_fixed_size 0
		.amdhsa_private_segment_fixed_size 0
		.amdhsa_kernarg_size 80
		.amdhsa_user_sgpr_count 6
		.amdhsa_user_sgpr_private_segment_buffer 1
		.amdhsa_user_sgpr_dispatch_ptr 0
		.amdhsa_user_sgpr_queue_ptr 0
		.amdhsa_user_sgpr_kernarg_segment_ptr 1
		.amdhsa_user_sgpr_dispatch_id 0
		.amdhsa_user_sgpr_flat_scratch_init 0
		.amdhsa_user_sgpr_kernarg_preload_length 0
		.amdhsa_user_sgpr_kernarg_preload_offset 0
		.amdhsa_user_sgpr_private_segment_size 0
		.amdhsa_uses_dynamic_stack 0
		.amdhsa_system_sgpr_private_segment_wavefront_offset 0
		.amdhsa_system_sgpr_workgroup_id_x 1
		.amdhsa_system_sgpr_workgroup_id_y 0
		.amdhsa_system_sgpr_workgroup_id_z 0
		.amdhsa_system_sgpr_workgroup_info 0
		.amdhsa_system_vgpr_workitem_id 0
		.amdhsa_next_free_vgpr 1
		.amdhsa_next_free_sgpr 0
		.amdhsa_accum_offset 4
		.amdhsa_reserve_vcc 0
		.amdhsa_reserve_flat_scratch 0
		.amdhsa_float_round_mode_32 0
		.amdhsa_float_round_mode_16_64 0
		.amdhsa_float_denorm_mode_32 3
		.amdhsa_float_denorm_mode_16_64 3
		.amdhsa_dx10_clamp 1
		.amdhsa_ieee_mode 1
		.amdhsa_fp16_overflow 0
		.amdhsa_tg_split 0
		.amdhsa_exception_fp_ieee_invalid_op 0
		.amdhsa_exception_fp_denorm_src 0
		.amdhsa_exception_fp_ieee_div_zero 0
		.amdhsa_exception_fp_ieee_overflow 0
		.amdhsa_exception_fp_ieee_underflow 0
		.amdhsa_exception_fp_ieee_inexact 0
		.amdhsa_exception_int_div_zero 0
	.end_amdhsa_kernel
	.section	.text._ZN7rocprim17ROCPRIM_400000_NS6detail17trampoline_kernelINS0_14default_configENS1_36segmented_radix_sort_config_selectorIhlEEZNS1_25segmented_radix_sort_implIS3_Lb0EPKhPhPKlPlN2at6native12_GLOBAL__N_18offset_tEEE10hipError_tPvRmT1_PNSt15iterator_traitsISK_E10value_typeET2_T3_PNSL_ISQ_E10value_typeET4_jRbjT5_SW_jjP12ihipStream_tbEUlT_E2_NS1_11comp_targetILNS1_3genE8ELNS1_11target_archE1030ELNS1_3gpuE2ELNS1_3repE0EEENS1_30default_config_static_selectorELNS0_4arch9wavefront6targetE1EEEvSK_,"axG",@progbits,_ZN7rocprim17ROCPRIM_400000_NS6detail17trampoline_kernelINS0_14default_configENS1_36segmented_radix_sort_config_selectorIhlEEZNS1_25segmented_radix_sort_implIS3_Lb0EPKhPhPKlPlN2at6native12_GLOBAL__N_18offset_tEEE10hipError_tPvRmT1_PNSt15iterator_traitsISK_E10value_typeET2_T3_PNSL_ISQ_E10value_typeET4_jRbjT5_SW_jjP12ihipStream_tbEUlT_E2_NS1_11comp_targetILNS1_3genE8ELNS1_11target_archE1030ELNS1_3gpuE2ELNS1_3repE0EEENS1_30default_config_static_selectorELNS0_4arch9wavefront6targetE1EEEvSK_,comdat
.Lfunc_end224:
	.size	_ZN7rocprim17ROCPRIM_400000_NS6detail17trampoline_kernelINS0_14default_configENS1_36segmented_radix_sort_config_selectorIhlEEZNS1_25segmented_radix_sort_implIS3_Lb0EPKhPhPKlPlN2at6native12_GLOBAL__N_18offset_tEEE10hipError_tPvRmT1_PNSt15iterator_traitsISK_E10value_typeET2_T3_PNSL_ISQ_E10value_typeET4_jRbjT5_SW_jjP12ihipStream_tbEUlT_E2_NS1_11comp_targetILNS1_3genE8ELNS1_11target_archE1030ELNS1_3gpuE2ELNS1_3repE0EEENS1_30default_config_static_selectorELNS0_4arch9wavefront6targetE1EEEvSK_, .Lfunc_end224-_ZN7rocprim17ROCPRIM_400000_NS6detail17trampoline_kernelINS0_14default_configENS1_36segmented_radix_sort_config_selectorIhlEEZNS1_25segmented_radix_sort_implIS3_Lb0EPKhPhPKlPlN2at6native12_GLOBAL__N_18offset_tEEE10hipError_tPvRmT1_PNSt15iterator_traitsISK_E10value_typeET2_T3_PNSL_ISQ_E10value_typeET4_jRbjT5_SW_jjP12ihipStream_tbEUlT_E2_NS1_11comp_targetILNS1_3genE8ELNS1_11target_archE1030ELNS1_3gpuE2ELNS1_3repE0EEENS1_30default_config_static_selectorELNS0_4arch9wavefront6targetE1EEEvSK_
                                        ; -- End function
	.section	.AMDGPU.csdata,"",@progbits
; Kernel info:
; codeLenInByte = 0
; NumSgprs: 4
; NumVgprs: 0
; NumAgprs: 0
; TotalNumVgprs: 0
; ScratchSize: 0
; MemoryBound: 0
; FloatMode: 240
; IeeeMode: 1
; LDSByteSize: 0 bytes/workgroup (compile time only)
; SGPRBlocks: 0
; VGPRBlocks: 0
; NumSGPRsForWavesPerEU: 4
; NumVGPRsForWavesPerEU: 1
; AccumOffset: 4
; Occupancy: 8
; WaveLimiterHint : 0
; COMPUTE_PGM_RSRC2:SCRATCH_EN: 0
; COMPUTE_PGM_RSRC2:USER_SGPR: 6
; COMPUTE_PGM_RSRC2:TRAP_HANDLER: 0
; COMPUTE_PGM_RSRC2:TGID_X_EN: 1
; COMPUTE_PGM_RSRC2:TGID_Y_EN: 0
; COMPUTE_PGM_RSRC2:TGID_Z_EN: 0
; COMPUTE_PGM_RSRC2:TIDIG_COMP_CNT: 0
; COMPUTE_PGM_RSRC3_GFX90A:ACCUM_OFFSET: 0
; COMPUTE_PGM_RSRC3_GFX90A:TG_SPLIT: 0
	.section	.text._ZN2at6native12_GLOBAL__N_123sort_postprocess_kernelIaEEvPKT_PS3_PlPK15HIP_vector_typeIiLj2EEii,"axG",@progbits,_ZN2at6native12_GLOBAL__N_123sort_postprocess_kernelIaEEvPKT_PS3_PlPK15HIP_vector_typeIiLj2EEii,comdat
	.globl	_ZN2at6native12_GLOBAL__N_123sort_postprocess_kernelIaEEvPKT_PS3_PlPK15HIP_vector_typeIiLj2EEii ; -- Begin function _ZN2at6native12_GLOBAL__N_123sort_postprocess_kernelIaEEvPKT_PS3_PlPK15HIP_vector_typeIiLj2EEii
	.p2align	8
	.type	_ZN2at6native12_GLOBAL__N_123sort_postprocess_kernelIaEEvPKT_PS3_PlPK15HIP_vector_typeIiLj2EEii,@function
_ZN2at6native12_GLOBAL__N_123sort_postprocess_kernelIaEEvPKT_PS3_PlPK15HIP_vector_typeIiLj2EEii: ; @_ZN2at6native12_GLOBAL__N_123sort_postprocess_kernelIaEEvPKT_PS3_PlPK15HIP_vector_typeIiLj2EEii
; %bb.0:
	s_load_dword s0, s[4:5], 0x34
	s_load_dwordx2 s[8:9], s[4:5], 0x20
	s_add_u32 s2, s4, 40
	s_addc_u32 s3, s5, 0
	v_mov_b32_e32 v1, 0
	s_waitcnt lgkmcnt(0)
	s_and_b32 s7, s0, 0xffff
	v_mov_b32_e32 v2, s6
	v_mad_u64_u32 v[0:1], s[0:1], s7, v2, v[0:1]
	s_mul_i32 s0, s9, s8
	s_ashr_i32 s1, s0, 31
	v_cmp_gt_i64_e32 vcc, s[0:1], v[0:1]
	s_and_saveexec_b64 s[10:11], vcc
	s_cbranch_execz .LBB225_3
; %bb.1:
	s_abs_i32 s6, s9
	v_cvt_f32_u32_e32 v2, s6
	s_load_dwordx8 s[8:15], s[4:5], 0x0
	s_load_dword s16, s[2:3], 0x0
	s_sub_i32 s17, 0, s6
	s_mov_b32 s5, 0
	v_rcp_iflag_f32_e32 v2, v2
	s_mov_b64 s[2:3], 0
	s_waitcnt lgkmcnt(0)
	s_mul_i32 s4, s16, s7
	v_mov_b32_e32 v3, s11
	v_mul_f32_e32 v2, 0x4f7ffffe, v2
	v_cvt_u32_f32_e32 v5, v2
	v_mov_b32_e32 v2, s9
	v_mov_b32_e32 v4, s13
	;; [unrolled: 1-line block ×3, first 2 shown]
	v_mul_lo_u32 v6, s17, v5
	v_mul_hi_u32 v6, v5, v6
	v_add_u32_e32 v5, v5, v6
	v_mov_b32_e32 v6, s15
.LBB225_2:                              ; =>This Inner Loop Header: Depth=1
	v_sub_u32_e32 v9, 0, v0
	v_max_i32_e32 v9, v0, v9
	v_mul_hi_u32 v11, v9, v5
	v_mul_lo_u32 v11, v11, s6
	v_sub_u32_e32 v9, v9, v11
	v_subrev_u32_e32 v11, s6, v9
	v_cmp_le_u32_e32 vcc, s6, v9
	v_cndmask_b32_e32 v9, v9, v11, vcc
	v_subrev_u32_e32 v11, s6, v9
	v_cmp_le_u32_e32 vcc, s6, v9
	v_ashrrev_i32_e32 v8, 31, v0
	v_cndmask_b32_e32 v9, v9, v11, vcc
	v_add_u32_e32 v10, v0, v8
	v_xor_b32_e32 v9, v9, v8
	v_sub_u32_e32 v10, v10, v9
	v_ashrrev_i32_e32 v11, 31, v10
	v_sub_u32_e32 v8, v9, v8
	v_lshlrev_b64 v[12:13], 3, v[10:11]
	v_ashrrev_i32_e32 v9, 31, v8
	v_add_co_u32_e32 v16, vcc, s14, v12
	v_lshlrev_b64 v[14:15], 3, v[8:9]
	v_addc_co_u32_e32 v17, vcc, v6, v13, vcc
	v_add_co_u32_e32 v16, vcc, v16, v14
	v_addc_co_u32_e32 v17, vcc, v17, v15, vcc
	global_load_dword v16, v[16:17], off offset:4
	v_add_co_u32_e32 v18, vcc, s8, v10
	v_addc_co_u32_e32 v19, vcc, v2, v11, vcc
	v_add_co_u32_e32 v12, vcc, s12, v12
	v_addc_co_u32_e32 v13, vcc, v4, v13, vcc
	;; [unrolled: 2-line block ×3, first 2 shown]
	s_waitcnt vmcnt(0)
	v_ashrrev_i32_e32 v17, 31, v16
	v_add_co_u32_e32 v14, vcc, v18, v16
	global_store_dwordx2 v[12:13], v[16:17], off
	v_addc_co_u32_e32 v15, vcc, v19, v17, vcc
	global_load_ubyte v12, v[14:15], off
	v_add_co_u32_e32 v0, vcc, s4, v0
	v_addc_co_u32_e32 v1, vcc, v1, v7, vcc
	v_cmp_le_i64_e32 vcc, s[0:1], v[0:1]
	s_or_b64 s[2:3], vcc, s[2:3]
	v_add_co_u32_e32 v10, vcc, s10, v10
	v_addc_co_u32_e32 v11, vcc, v3, v11, vcc
	v_add_co_u32_e32 v8, vcc, v10, v8
	v_addc_co_u32_e32 v9, vcc, v11, v9, vcc
	s_waitcnt vmcnt(0)
	global_store_byte v[8:9], v12, off
	s_andn2_b64 exec, exec, s[2:3]
	s_cbranch_execnz .LBB225_2
.LBB225_3:
	s_endpgm
	.section	.rodata,"a",@progbits
	.p2align	6, 0x0
	.amdhsa_kernel _ZN2at6native12_GLOBAL__N_123sort_postprocess_kernelIaEEvPKT_PS3_PlPK15HIP_vector_typeIiLj2EEii
		.amdhsa_group_segment_fixed_size 0
		.amdhsa_private_segment_fixed_size 0
		.amdhsa_kernarg_size 296
		.amdhsa_user_sgpr_count 6
		.amdhsa_user_sgpr_private_segment_buffer 1
		.amdhsa_user_sgpr_dispatch_ptr 0
		.amdhsa_user_sgpr_queue_ptr 0
		.amdhsa_user_sgpr_kernarg_segment_ptr 1
		.amdhsa_user_sgpr_dispatch_id 0
		.amdhsa_user_sgpr_flat_scratch_init 0
		.amdhsa_user_sgpr_kernarg_preload_length 0
		.amdhsa_user_sgpr_kernarg_preload_offset 0
		.amdhsa_user_sgpr_private_segment_size 0
		.amdhsa_uses_dynamic_stack 0
		.amdhsa_system_sgpr_private_segment_wavefront_offset 0
		.amdhsa_system_sgpr_workgroup_id_x 1
		.amdhsa_system_sgpr_workgroup_id_y 0
		.amdhsa_system_sgpr_workgroup_id_z 0
		.amdhsa_system_sgpr_workgroup_info 0
		.amdhsa_system_vgpr_workitem_id 0
		.amdhsa_next_free_vgpr 20
		.amdhsa_next_free_sgpr 18
		.amdhsa_accum_offset 20
		.amdhsa_reserve_vcc 1
		.amdhsa_reserve_flat_scratch 0
		.amdhsa_float_round_mode_32 0
		.amdhsa_float_round_mode_16_64 0
		.amdhsa_float_denorm_mode_32 3
		.amdhsa_float_denorm_mode_16_64 3
		.amdhsa_dx10_clamp 1
		.amdhsa_ieee_mode 1
		.amdhsa_fp16_overflow 0
		.amdhsa_tg_split 0
		.amdhsa_exception_fp_ieee_invalid_op 0
		.amdhsa_exception_fp_denorm_src 0
		.amdhsa_exception_fp_ieee_div_zero 0
		.amdhsa_exception_fp_ieee_overflow 0
		.amdhsa_exception_fp_ieee_underflow 0
		.amdhsa_exception_fp_ieee_inexact 0
		.amdhsa_exception_int_div_zero 0
	.end_amdhsa_kernel
	.section	.text._ZN2at6native12_GLOBAL__N_123sort_postprocess_kernelIaEEvPKT_PS3_PlPK15HIP_vector_typeIiLj2EEii,"axG",@progbits,_ZN2at6native12_GLOBAL__N_123sort_postprocess_kernelIaEEvPKT_PS3_PlPK15HIP_vector_typeIiLj2EEii,comdat
.Lfunc_end225:
	.size	_ZN2at6native12_GLOBAL__N_123sort_postprocess_kernelIaEEvPKT_PS3_PlPK15HIP_vector_typeIiLj2EEii, .Lfunc_end225-_ZN2at6native12_GLOBAL__N_123sort_postprocess_kernelIaEEvPKT_PS3_PlPK15HIP_vector_typeIiLj2EEii
                                        ; -- End function
	.section	.AMDGPU.csdata,"",@progbits
; Kernel info:
; codeLenInByte = 404
; NumSgprs: 22
; NumVgprs: 20
; NumAgprs: 0
; TotalNumVgprs: 20
; ScratchSize: 0
; MemoryBound: 0
; FloatMode: 240
; IeeeMode: 1
; LDSByteSize: 0 bytes/workgroup (compile time only)
; SGPRBlocks: 2
; VGPRBlocks: 2
; NumSGPRsForWavesPerEU: 22
; NumVGPRsForWavesPerEU: 20
; AccumOffset: 20
; Occupancy: 8
; WaveLimiterHint : 1
; COMPUTE_PGM_RSRC2:SCRATCH_EN: 0
; COMPUTE_PGM_RSRC2:USER_SGPR: 6
; COMPUTE_PGM_RSRC2:TRAP_HANDLER: 0
; COMPUTE_PGM_RSRC2:TGID_X_EN: 1
; COMPUTE_PGM_RSRC2:TGID_Y_EN: 0
; COMPUTE_PGM_RSRC2:TGID_Z_EN: 0
; COMPUTE_PGM_RSRC2:TIDIG_COMP_CNT: 0
; COMPUTE_PGM_RSRC3_GFX90A:ACCUM_OFFSET: 4
; COMPUTE_PGM_RSRC3_GFX90A:TG_SPLIT: 0
	.section	.text._ZN7rocprim17ROCPRIM_400000_NS6detail17trampoline_kernelINS0_13select_configILj256ELj13ELNS0_17block_load_methodE3ELS4_3ELS4_3ELNS0_20block_scan_algorithmE0ELj4294967295EEENS1_25partition_config_selectorILNS1_17partition_subalgoE4EjNS0_10empty_typeEbEEZZNS1_14partition_implILS8_4ELb0ES6_15HIP_vector_typeIjLj2EENS0_17counting_iteratorIjlEEPS9_SG_NS0_5tupleIJPjSI_NS0_16reverse_iteratorISI_EEEEENSH_IJSG_SG_SG_EEES9_SI_JZNS1_25segmented_radix_sort_implINS0_14default_configELb1EPKaPaPKlPlN2at6native12_GLOBAL__N_18offset_tEEE10hipError_tPvRmT1_PNSt15iterator_traitsIS12_E10value_typeET2_T3_PNS13_IS18_E10value_typeET4_jRbjT5_S1E_jjP12ihipStream_tbEUljE_ZNSN_ISO_Lb1ESQ_SR_ST_SU_SY_EESZ_S10_S11_S12_S16_S17_S18_S1B_S1C_jS1D_jS1E_S1E_jjS1G_bEUljE0_EEESZ_S10_S11_S18_S1C_S1E_T6_T7_T9_mT8_S1G_bDpT10_ENKUlT_T0_E_clISt17integral_constantIbLb0EES1U_EEDaS1P_S1Q_EUlS1P_E_NS1_11comp_targetILNS1_3genE0ELNS1_11target_archE4294967295ELNS1_3gpuE0ELNS1_3repE0EEENS1_30default_config_static_selectorELNS0_4arch9wavefront6targetE1EEEvS12_,"axG",@progbits,_ZN7rocprim17ROCPRIM_400000_NS6detail17trampoline_kernelINS0_13select_configILj256ELj13ELNS0_17block_load_methodE3ELS4_3ELS4_3ELNS0_20block_scan_algorithmE0ELj4294967295EEENS1_25partition_config_selectorILNS1_17partition_subalgoE4EjNS0_10empty_typeEbEEZZNS1_14partition_implILS8_4ELb0ES6_15HIP_vector_typeIjLj2EENS0_17counting_iteratorIjlEEPS9_SG_NS0_5tupleIJPjSI_NS0_16reverse_iteratorISI_EEEEENSH_IJSG_SG_SG_EEES9_SI_JZNS1_25segmented_radix_sort_implINS0_14default_configELb1EPKaPaPKlPlN2at6native12_GLOBAL__N_18offset_tEEE10hipError_tPvRmT1_PNSt15iterator_traitsIS12_E10value_typeET2_T3_PNS13_IS18_E10value_typeET4_jRbjT5_S1E_jjP12ihipStream_tbEUljE_ZNSN_ISO_Lb1ESQ_SR_ST_SU_SY_EESZ_S10_S11_S12_S16_S17_S18_S1B_S1C_jS1D_jS1E_S1E_jjS1G_bEUljE0_EEESZ_S10_S11_S18_S1C_S1E_T6_T7_T9_mT8_S1G_bDpT10_ENKUlT_T0_E_clISt17integral_constantIbLb0EES1U_EEDaS1P_S1Q_EUlS1P_E_NS1_11comp_targetILNS1_3genE0ELNS1_11target_archE4294967295ELNS1_3gpuE0ELNS1_3repE0EEENS1_30default_config_static_selectorELNS0_4arch9wavefront6targetE1EEEvS12_,comdat
	.globl	_ZN7rocprim17ROCPRIM_400000_NS6detail17trampoline_kernelINS0_13select_configILj256ELj13ELNS0_17block_load_methodE3ELS4_3ELS4_3ELNS0_20block_scan_algorithmE0ELj4294967295EEENS1_25partition_config_selectorILNS1_17partition_subalgoE4EjNS0_10empty_typeEbEEZZNS1_14partition_implILS8_4ELb0ES6_15HIP_vector_typeIjLj2EENS0_17counting_iteratorIjlEEPS9_SG_NS0_5tupleIJPjSI_NS0_16reverse_iteratorISI_EEEEENSH_IJSG_SG_SG_EEES9_SI_JZNS1_25segmented_radix_sort_implINS0_14default_configELb1EPKaPaPKlPlN2at6native12_GLOBAL__N_18offset_tEEE10hipError_tPvRmT1_PNSt15iterator_traitsIS12_E10value_typeET2_T3_PNS13_IS18_E10value_typeET4_jRbjT5_S1E_jjP12ihipStream_tbEUljE_ZNSN_ISO_Lb1ESQ_SR_ST_SU_SY_EESZ_S10_S11_S12_S16_S17_S18_S1B_S1C_jS1D_jS1E_S1E_jjS1G_bEUljE0_EEESZ_S10_S11_S18_S1C_S1E_T6_T7_T9_mT8_S1G_bDpT10_ENKUlT_T0_E_clISt17integral_constantIbLb0EES1U_EEDaS1P_S1Q_EUlS1P_E_NS1_11comp_targetILNS1_3genE0ELNS1_11target_archE4294967295ELNS1_3gpuE0ELNS1_3repE0EEENS1_30default_config_static_selectorELNS0_4arch9wavefront6targetE1EEEvS12_ ; -- Begin function _ZN7rocprim17ROCPRIM_400000_NS6detail17trampoline_kernelINS0_13select_configILj256ELj13ELNS0_17block_load_methodE3ELS4_3ELS4_3ELNS0_20block_scan_algorithmE0ELj4294967295EEENS1_25partition_config_selectorILNS1_17partition_subalgoE4EjNS0_10empty_typeEbEEZZNS1_14partition_implILS8_4ELb0ES6_15HIP_vector_typeIjLj2EENS0_17counting_iteratorIjlEEPS9_SG_NS0_5tupleIJPjSI_NS0_16reverse_iteratorISI_EEEEENSH_IJSG_SG_SG_EEES9_SI_JZNS1_25segmented_radix_sort_implINS0_14default_configELb1EPKaPaPKlPlN2at6native12_GLOBAL__N_18offset_tEEE10hipError_tPvRmT1_PNSt15iterator_traitsIS12_E10value_typeET2_T3_PNS13_IS18_E10value_typeET4_jRbjT5_S1E_jjP12ihipStream_tbEUljE_ZNSN_ISO_Lb1ESQ_SR_ST_SU_SY_EESZ_S10_S11_S12_S16_S17_S18_S1B_S1C_jS1D_jS1E_S1E_jjS1G_bEUljE0_EEESZ_S10_S11_S18_S1C_S1E_T6_T7_T9_mT8_S1G_bDpT10_ENKUlT_T0_E_clISt17integral_constantIbLb0EES1U_EEDaS1P_S1Q_EUlS1P_E_NS1_11comp_targetILNS1_3genE0ELNS1_11target_archE4294967295ELNS1_3gpuE0ELNS1_3repE0EEENS1_30default_config_static_selectorELNS0_4arch9wavefront6targetE1EEEvS12_
	.p2align	8
	.type	_ZN7rocprim17ROCPRIM_400000_NS6detail17trampoline_kernelINS0_13select_configILj256ELj13ELNS0_17block_load_methodE3ELS4_3ELS4_3ELNS0_20block_scan_algorithmE0ELj4294967295EEENS1_25partition_config_selectorILNS1_17partition_subalgoE4EjNS0_10empty_typeEbEEZZNS1_14partition_implILS8_4ELb0ES6_15HIP_vector_typeIjLj2EENS0_17counting_iteratorIjlEEPS9_SG_NS0_5tupleIJPjSI_NS0_16reverse_iteratorISI_EEEEENSH_IJSG_SG_SG_EEES9_SI_JZNS1_25segmented_radix_sort_implINS0_14default_configELb1EPKaPaPKlPlN2at6native12_GLOBAL__N_18offset_tEEE10hipError_tPvRmT1_PNSt15iterator_traitsIS12_E10value_typeET2_T3_PNS13_IS18_E10value_typeET4_jRbjT5_S1E_jjP12ihipStream_tbEUljE_ZNSN_ISO_Lb1ESQ_SR_ST_SU_SY_EESZ_S10_S11_S12_S16_S17_S18_S1B_S1C_jS1D_jS1E_S1E_jjS1G_bEUljE0_EEESZ_S10_S11_S18_S1C_S1E_T6_T7_T9_mT8_S1G_bDpT10_ENKUlT_T0_E_clISt17integral_constantIbLb0EES1U_EEDaS1P_S1Q_EUlS1P_E_NS1_11comp_targetILNS1_3genE0ELNS1_11target_archE4294967295ELNS1_3gpuE0ELNS1_3repE0EEENS1_30default_config_static_selectorELNS0_4arch9wavefront6targetE1EEEvS12_,@function
_ZN7rocprim17ROCPRIM_400000_NS6detail17trampoline_kernelINS0_13select_configILj256ELj13ELNS0_17block_load_methodE3ELS4_3ELS4_3ELNS0_20block_scan_algorithmE0ELj4294967295EEENS1_25partition_config_selectorILNS1_17partition_subalgoE4EjNS0_10empty_typeEbEEZZNS1_14partition_implILS8_4ELb0ES6_15HIP_vector_typeIjLj2EENS0_17counting_iteratorIjlEEPS9_SG_NS0_5tupleIJPjSI_NS0_16reverse_iteratorISI_EEEEENSH_IJSG_SG_SG_EEES9_SI_JZNS1_25segmented_radix_sort_implINS0_14default_configELb1EPKaPaPKlPlN2at6native12_GLOBAL__N_18offset_tEEE10hipError_tPvRmT1_PNSt15iterator_traitsIS12_E10value_typeET2_T3_PNS13_IS18_E10value_typeET4_jRbjT5_S1E_jjP12ihipStream_tbEUljE_ZNSN_ISO_Lb1ESQ_SR_ST_SU_SY_EESZ_S10_S11_S12_S16_S17_S18_S1B_S1C_jS1D_jS1E_S1E_jjS1G_bEUljE0_EEESZ_S10_S11_S18_S1C_S1E_T6_T7_T9_mT8_S1G_bDpT10_ENKUlT_T0_E_clISt17integral_constantIbLb0EES1U_EEDaS1P_S1Q_EUlS1P_E_NS1_11comp_targetILNS1_3genE0ELNS1_11target_archE4294967295ELNS1_3gpuE0ELNS1_3repE0EEENS1_30default_config_static_selectorELNS0_4arch9wavefront6targetE1EEEvS12_: ; @_ZN7rocprim17ROCPRIM_400000_NS6detail17trampoline_kernelINS0_13select_configILj256ELj13ELNS0_17block_load_methodE3ELS4_3ELS4_3ELNS0_20block_scan_algorithmE0ELj4294967295EEENS1_25partition_config_selectorILNS1_17partition_subalgoE4EjNS0_10empty_typeEbEEZZNS1_14partition_implILS8_4ELb0ES6_15HIP_vector_typeIjLj2EENS0_17counting_iteratorIjlEEPS9_SG_NS0_5tupleIJPjSI_NS0_16reverse_iteratorISI_EEEEENSH_IJSG_SG_SG_EEES9_SI_JZNS1_25segmented_radix_sort_implINS0_14default_configELb1EPKaPaPKlPlN2at6native12_GLOBAL__N_18offset_tEEE10hipError_tPvRmT1_PNSt15iterator_traitsIS12_E10value_typeET2_T3_PNS13_IS18_E10value_typeET4_jRbjT5_S1E_jjP12ihipStream_tbEUljE_ZNSN_ISO_Lb1ESQ_SR_ST_SU_SY_EESZ_S10_S11_S12_S16_S17_S18_S1B_S1C_jS1D_jS1E_S1E_jjS1G_bEUljE0_EEESZ_S10_S11_S18_S1C_S1E_T6_T7_T9_mT8_S1G_bDpT10_ENKUlT_T0_E_clISt17integral_constantIbLb0EES1U_EEDaS1P_S1Q_EUlS1P_E_NS1_11comp_targetILNS1_3genE0ELNS1_11target_archE4294967295ELNS1_3gpuE0ELNS1_3repE0EEENS1_30default_config_static_selectorELNS0_4arch9wavefront6targetE1EEEvS12_
; %bb.0:
	.section	.rodata,"a",@progbits
	.p2align	6, 0x0
	.amdhsa_kernel _ZN7rocprim17ROCPRIM_400000_NS6detail17trampoline_kernelINS0_13select_configILj256ELj13ELNS0_17block_load_methodE3ELS4_3ELS4_3ELNS0_20block_scan_algorithmE0ELj4294967295EEENS1_25partition_config_selectorILNS1_17partition_subalgoE4EjNS0_10empty_typeEbEEZZNS1_14partition_implILS8_4ELb0ES6_15HIP_vector_typeIjLj2EENS0_17counting_iteratorIjlEEPS9_SG_NS0_5tupleIJPjSI_NS0_16reverse_iteratorISI_EEEEENSH_IJSG_SG_SG_EEES9_SI_JZNS1_25segmented_radix_sort_implINS0_14default_configELb1EPKaPaPKlPlN2at6native12_GLOBAL__N_18offset_tEEE10hipError_tPvRmT1_PNSt15iterator_traitsIS12_E10value_typeET2_T3_PNS13_IS18_E10value_typeET4_jRbjT5_S1E_jjP12ihipStream_tbEUljE_ZNSN_ISO_Lb1ESQ_SR_ST_SU_SY_EESZ_S10_S11_S12_S16_S17_S18_S1B_S1C_jS1D_jS1E_S1E_jjS1G_bEUljE0_EEESZ_S10_S11_S18_S1C_S1E_T6_T7_T9_mT8_S1G_bDpT10_ENKUlT_T0_E_clISt17integral_constantIbLb0EES1U_EEDaS1P_S1Q_EUlS1P_E_NS1_11comp_targetILNS1_3genE0ELNS1_11target_archE4294967295ELNS1_3gpuE0ELNS1_3repE0EEENS1_30default_config_static_selectorELNS0_4arch9wavefront6targetE1EEEvS12_
		.amdhsa_group_segment_fixed_size 0
		.amdhsa_private_segment_fixed_size 0
		.amdhsa_kernarg_size 176
		.amdhsa_user_sgpr_count 6
		.amdhsa_user_sgpr_private_segment_buffer 1
		.amdhsa_user_sgpr_dispatch_ptr 0
		.amdhsa_user_sgpr_queue_ptr 0
		.amdhsa_user_sgpr_kernarg_segment_ptr 1
		.amdhsa_user_sgpr_dispatch_id 0
		.amdhsa_user_sgpr_flat_scratch_init 0
		.amdhsa_user_sgpr_kernarg_preload_length 0
		.amdhsa_user_sgpr_kernarg_preload_offset 0
		.amdhsa_user_sgpr_private_segment_size 0
		.amdhsa_uses_dynamic_stack 0
		.amdhsa_system_sgpr_private_segment_wavefront_offset 0
		.amdhsa_system_sgpr_workgroup_id_x 1
		.amdhsa_system_sgpr_workgroup_id_y 0
		.amdhsa_system_sgpr_workgroup_id_z 0
		.amdhsa_system_sgpr_workgroup_info 0
		.amdhsa_system_vgpr_workitem_id 0
		.amdhsa_next_free_vgpr 1
		.amdhsa_next_free_sgpr 0
		.amdhsa_accum_offset 4
		.amdhsa_reserve_vcc 0
		.amdhsa_reserve_flat_scratch 0
		.amdhsa_float_round_mode_32 0
		.amdhsa_float_round_mode_16_64 0
		.amdhsa_float_denorm_mode_32 3
		.amdhsa_float_denorm_mode_16_64 3
		.amdhsa_dx10_clamp 1
		.amdhsa_ieee_mode 1
		.amdhsa_fp16_overflow 0
		.amdhsa_tg_split 0
		.amdhsa_exception_fp_ieee_invalid_op 0
		.amdhsa_exception_fp_denorm_src 0
		.amdhsa_exception_fp_ieee_div_zero 0
		.amdhsa_exception_fp_ieee_overflow 0
		.amdhsa_exception_fp_ieee_underflow 0
		.amdhsa_exception_fp_ieee_inexact 0
		.amdhsa_exception_int_div_zero 0
	.end_amdhsa_kernel
	.section	.text._ZN7rocprim17ROCPRIM_400000_NS6detail17trampoline_kernelINS0_13select_configILj256ELj13ELNS0_17block_load_methodE3ELS4_3ELS4_3ELNS0_20block_scan_algorithmE0ELj4294967295EEENS1_25partition_config_selectorILNS1_17partition_subalgoE4EjNS0_10empty_typeEbEEZZNS1_14partition_implILS8_4ELb0ES6_15HIP_vector_typeIjLj2EENS0_17counting_iteratorIjlEEPS9_SG_NS0_5tupleIJPjSI_NS0_16reverse_iteratorISI_EEEEENSH_IJSG_SG_SG_EEES9_SI_JZNS1_25segmented_radix_sort_implINS0_14default_configELb1EPKaPaPKlPlN2at6native12_GLOBAL__N_18offset_tEEE10hipError_tPvRmT1_PNSt15iterator_traitsIS12_E10value_typeET2_T3_PNS13_IS18_E10value_typeET4_jRbjT5_S1E_jjP12ihipStream_tbEUljE_ZNSN_ISO_Lb1ESQ_SR_ST_SU_SY_EESZ_S10_S11_S12_S16_S17_S18_S1B_S1C_jS1D_jS1E_S1E_jjS1G_bEUljE0_EEESZ_S10_S11_S18_S1C_S1E_T6_T7_T9_mT8_S1G_bDpT10_ENKUlT_T0_E_clISt17integral_constantIbLb0EES1U_EEDaS1P_S1Q_EUlS1P_E_NS1_11comp_targetILNS1_3genE0ELNS1_11target_archE4294967295ELNS1_3gpuE0ELNS1_3repE0EEENS1_30default_config_static_selectorELNS0_4arch9wavefront6targetE1EEEvS12_,"axG",@progbits,_ZN7rocprim17ROCPRIM_400000_NS6detail17trampoline_kernelINS0_13select_configILj256ELj13ELNS0_17block_load_methodE3ELS4_3ELS4_3ELNS0_20block_scan_algorithmE0ELj4294967295EEENS1_25partition_config_selectorILNS1_17partition_subalgoE4EjNS0_10empty_typeEbEEZZNS1_14partition_implILS8_4ELb0ES6_15HIP_vector_typeIjLj2EENS0_17counting_iteratorIjlEEPS9_SG_NS0_5tupleIJPjSI_NS0_16reverse_iteratorISI_EEEEENSH_IJSG_SG_SG_EEES9_SI_JZNS1_25segmented_radix_sort_implINS0_14default_configELb1EPKaPaPKlPlN2at6native12_GLOBAL__N_18offset_tEEE10hipError_tPvRmT1_PNSt15iterator_traitsIS12_E10value_typeET2_T3_PNS13_IS18_E10value_typeET4_jRbjT5_S1E_jjP12ihipStream_tbEUljE_ZNSN_ISO_Lb1ESQ_SR_ST_SU_SY_EESZ_S10_S11_S12_S16_S17_S18_S1B_S1C_jS1D_jS1E_S1E_jjS1G_bEUljE0_EEESZ_S10_S11_S18_S1C_S1E_T6_T7_T9_mT8_S1G_bDpT10_ENKUlT_T0_E_clISt17integral_constantIbLb0EES1U_EEDaS1P_S1Q_EUlS1P_E_NS1_11comp_targetILNS1_3genE0ELNS1_11target_archE4294967295ELNS1_3gpuE0ELNS1_3repE0EEENS1_30default_config_static_selectorELNS0_4arch9wavefront6targetE1EEEvS12_,comdat
.Lfunc_end226:
	.size	_ZN7rocprim17ROCPRIM_400000_NS6detail17trampoline_kernelINS0_13select_configILj256ELj13ELNS0_17block_load_methodE3ELS4_3ELS4_3ELNS0_20block_scan_algorithmE0ELj4294967295EEENS1_25partition_config_selectorILNS1_17partition_subalgoE4EjNS0_10empty_typeEbEEZZNS1_14partition_implILS8_4ELb0ES6_15HIP_vector_typeIjLj2EENS0_17counting_iteratorIjlEEPS9_SG_NS0_5tupleIJPjSI_NS0_16reverse_iteratorISI_EEEEENSH_IJSG_SG_SG_EEES9_SI_JZNS1_25segmented_radix_sort_implINS0_14default_configELb1EPKaPaPKlPlN2at6native12_GLOBAL__N_18offset_tEEE10hipError_tPvRmT1_PNSt15iterator_traitsIS12_E10value_typeET2_T3_PNS13_IS18_E10value_typeET4_jRbjT5_S1E_jjP12ihipStream_tbEUljE_ZNSN_ISO_Lb1ESQ_SR_ST_SU_SY_EESZ_S10_S11_S12_S16_S17_S18_S1B_S1C_jS1D_jS1E_S1E_jjS1G_bEUljE0_EEESZ_S10_S11_S18_S1C_S1E_T6_T7_T9_mT8_S1G_bDpT10_ENKUlT_T0_E_clISt17integral_constantIbLb0EES1U_EEDaS1P_S1Q_EUlS1P_E_NS1_11comp_targetILNS1_3genE0ELNS1_11target_archE4294967295ELNS1_3gpuE0ELNS1_3repE0EEENS1_30default_config_static_selectorELNS0_4arch9wavefront6targetE1EEEvS12_, .Lfunc_end226-_ZN7rocprim17ROCPRIM_400000_NS6detail17trampoline_kernelINS0_13select_configILj256ELj13ELNS0_17block_load_methodE3ELS4_3ELS4_3ELNS0_20block_scan_algorithmE0ELj4294967295EEENS1_25partition_config_selectorILNS1_17partition_subalgoE4EjNS0_10empty_typeEbEEZZNS1_14partition_implILS8_4ELb0ES6_15HIP_vector_typeIjLj2EENS0_17counting_iteratorIjlEEPS9_SG_NS0_5tupleIJPjSI_NS0_16reverse_iteratorISI_EEEEENSH_IJSG_SG_SG_EEES9_SI_JZNS1_25segmented_radix_sort_implINS0_14default_configELb1EPKaPaPKlPlN2at6native12_GLOBAL__N_18offset_tEEE10hipError_tPvRmT1_PNSt15iterator_traitsIS12_E10value_typeET2_T3_PNS13_IS18_E10value_typeET4_jRbjT5_S1E_jjP12ihipStream_tbEUljE_ZNSN_ISO_Lb1ESQ_SR_ST_SU_SY_EESZ_S10_S11_S12_S16_S17_S18_S1B_S1C_jS1D_jS1E_S1E_jjS1G_bEUljE0_EEESZ_S10_S11_S18_S1C_S1E_T6_T7_T9_mT8_S1G_bDpT10_ENKUlT_T0_E_clISt17integral_constantIbLb0EES1U_EEDaS1P_S1Q_EUlS1P_E_NS1_11comp_targetILNS1_3genE0ELNS1_11target_archE4294967295ELNS1_3gpuE0ELNS1_3repE0EEENS1_30default_config_static_selectorELNS0_4arch9wavefront6targetE1EEEvS12_
                                        ; -- End function
	.section	.AMDGPU.csdata,"",@progbits
; Kernel info:
; codeLenInByte = 0
; NumSgprs: 4
; NumVgprs: 0
; NumAgprs: 0
; TotalNumVgprs: 0
; ScratchSize: 0
; MemoryBound: 0
; FloatMode: 240
; IeeeMode: 1
; LDSByteSize: 0 bytes/workgroup (compile time only)
; SGPRBlocks: 0
; VGPRBlocks: 0
; NumSGPRsForWavesPerEU: 4
; NumVGPRsForWavesPerEU: 1
; AccumOffset: 4
; Occupancy: 8
; WaveLimiterHint : 0
; COMPUTE_PGM_RSRC2:SCRATCH_EN: 0
; COMPUTE_PGM_RSRC2:USER_SGPR: 6
; COMPUTE_PGM_RSRC2:TRAP_HANDLER: 0
; COMPUTE_PGM_RSRC2:TGID_X_EN: 1
; COMPUTE_PGM_RSRC2:TGID_Y_EN: 0
; COMPUTE_PGM_RSRC2:TGID_Z_EN: 0
; COMPUTE_PGM_RSRC2:TIDIG_COMP_CNT: 0
; COMPUTE_PGM_RSRC3_GFX90A:ACCUM_OFFSET: 0
; COMPUTE_PGM_RSRC3_GFX90A:TG_SPLIT: 0
	.section	.text._ZN7rocprim17ROCPRIM_400000_NS6detail17trampoline_kernelINS0_13select_configILj256ELj13ELNS0_17block_load_methodE3ELS4_3ELS4_3ELNS0_20block_scan_algorithmE0ELj4294967295EEENS1_25partition_config_selectorILNS1_17partition_subalgoE4EjNS0_10empty_typeEbEEZZNS1_14partition_implILS8_4ELb0ES6_15HIP_vector_typeIjLj2EENS0_17counting_iteratorIjlEEPS9_SG_NS0_5tupleIJPjSI_NS0_16reverse_iteratorISI_EEEEENSH_IJSG_SG_SG_EEES9_SI_JZNS1_25segmented_radix_sort_implINS0_14default_configELb1EPKaPaPKlPlN2at6native12_GLOBAL__N_18offset_tEEE10hipError_tPvRmT1_PNSt15iterator_traitsIS12_E10value_typeET2_T3_PNS13_IS18_E10value_typeET4_jRbjT5_S1E_jjP12ihipStream_tbEUljE_ZNSN_ISO_Lb1ESQ_SR_ST_SU_SY_EESZ_S10_S11_S12_S16_S17_S18_S1B_S1C_jS1D_jS1E_S1E_jjS1G_bEUljE0_EEESZ_S10_S11_S18_S1C_S1E_T6_T7_T9_mT8_S1G_bDpT10_ENKUlT_T0_E_clISt17integral_constantIbLb0EES1U_EEDaS1P_S1Q_EUlS1P_E_NS1_11comp_targetILNS1_3genE5ELNS1_11target_archE942ELNS1_3gpuE9ELNS1_3repE0EEENS1_30default_config_static_selectorELNS0_4arch9wavefront6targetE1EEEvS12_,"axG",@progbits,_ZN7rocprim17ROCPRIM_400000_NS6detail17trampoline_kernelINS0_13select_configILj256ELj13ELNS0_17block_load_methodE3ELS4_3ELS4_3ELNS0_20block_scan_algorithmE0ELj4294967295EEENS1_25partition_config_selectorILNS1_17partition_subalgoE4EjNS0_10empty_typeEbEEZZNS1_14partition_implILS8_4ELb0ES6_15HIP_vector_typeIjLj2EENS0_17counting_iteratorIjlEEPS9_SG_NS0_5tupleIJPjSI_NS0_16reverse_iteratorISI_EEEEENSH_IJSG_SG_SG_EEES9_SI_JZNS1_25segmented_radix_sort_implINS0_14default_configELb1EPKaPaPKlPlN2at6native12_GLOBAL__N_18offset_tEEE10hipError_tPvRmT1_PNSt15iterator_traitsIS12_E10value_typeET2_T3_PNS13_IS18_E10value_typeET4_jRbjT5_S1E_jjP12ihipStream_tbEUljE_ZNSN_ISO_Lb1ESQ_SR_ST_SU_SY_EESZ_S10_S11_S12_S16_S17_S18_S1B_S1C_jS1D_jS1E_S1E_jjS1G_bEUljE0_EEESZ_S10_S11_S18_S1C_S1E_T6_T7_T9_mT8_S1G_bDpT10_ENKUlT_T0_E_clISt17integral_constantIbLb0EES1U_EEDaS1P_S1Q_EUlS1P_E_NS1_11comp_targetILNS1_3genE5ELNS1_11target_archE942ELNS1_3gpuE9ELNS1_3repE0EEENS1_30default_config_static_selectorELNS0_4arch9wavefront6targetE1EEEvS12_,comdat
	.globl	_ZN7rocprim17ROCPRIM_400000_NS6detail17trampoline_kernelINS0_13select_configILj256ELj13ELNS0_17block_load_methodE3ELS4_3ELS4_3ELNS0_20block_scan_algorithmE0ELj4294967295EEENS1_25partition_config_selectorILNS1_17partition_subalgoE4EjNS0_10empty_typeEbEEZZNS1_14partition_implILS8_4ELb0ES6_15HIP_vector_typeIjLj2EENS0_17counting_iteratorIjlEEPS9_SG_NS0_5tupleIJPjSI_NS0_16reverse_iteratorISI_EEEEENSH_IJSG_SG_SG_EEES9_SI_JZNS1_25segmented_radix_sort_implINS0_14default_configELb1EPKaPaPKlPlN2at6native12_GLOBAL__N_18offset_tEEE10hipError_tPvRmT1_PNSt15iterator_traitsIS12_E10value_typeET2_T3_PNS13_IS18_E10value_typeET4_jRbjT5_S1E_jjP12ihipStream_tbEUljE_ZNSN_ISO_Lb1ESQ_SR_ST_SU_SY_EESZ_S10_S11_S12_S16_S17_S18_S1B_S1C_jS1D_jS1E_S1E_jjS1G_bEUljE0_EEESZ_S10_S11_S18_S1C_S1E_T6_T7_T9_mT8_S1G_bDpT10_ENKUlT_T0_E_clISt17integral_constantIbLb0EES1U_EEDaS1P_S1Q_EUlS1P_E_NS1_11comp_targetILNS1_3genE5ELNS1_11target_archE942ELNS1_3gpuE9ELNS1_3repE0EEENS1_30default_config_static_selectorELNS0_4arch9wavefront6targetE1EEEvS12_ ; -- Begin function _ZN7rocprim17ROCPRIM_400000_NS6detail17trampoline_kernelINS0_13select_configILj256ELj13ELNS0_17block_load_methodE3ELS4_3ELS4_3ELNS0_20block_scan_algorithmE0ELj4294967295EEENS1_25partition_config_selectorILNS1_17partition_subalgoE4EjNS0_10empty_typeEbEEZZNS1_14partition_implILS8_4ELb0ES6_15HIP_vector_typeIjLj2EENS0_17counting_iteratorIjlEEPS9_SG_NS0_5tupleIJPjSI_NS0_16reverse_iteratorISI_EEEEENSH_IJSG_SG_SG_EEES9_SI_JZNS1_25segmented_radix_sort_implINS0_14default_configELb1EPKaPaPKlPlN2at6native12_GLOBAL__N_18offset_tEEE10hipError_tPvRmT1_PNSt15iterator_traitsIS12_E10value_typeET2_T3_PNS13_IS18_E10value_typeET4_jRbjT5_S1E_jjP12ihipStream_tbEUljE_ZNSN_ISO_Lb1ESQ_SR_ST_SU_SY_EESZ_S10_S11_S12_S16_S17_S18_S1B_S1C_jS1D_jS1E_S1E_jjS1G_bEUljE0_EEESZ_S10_S11_S18_S1C_S1E_T6_T7_T9_mT8_S1G_bDpT10_ENKUlT_T0_E_clISt17integral_constantIbLb0EES1U_EEDaS1P_S1Q_EUlS1P_E_NS1_11comp_targetILNS1_3genE5ELNS1_11target_archE942ELNS1_3gpuE9ELNS1_3repE0EEENS1_30default_config_static_selectorELNS0_4arch9wavefront6targetE1EEEvS12_
	.p2align	8
	.type	_ZN7rocprim17ROCPRIM_400000_NS6detail17trampoline_kernelINS0_13select_configILj256ELj13ELNS0_17block_load_methodE3ELS4_3ELS4_3ELNS0_20block_scan_algorithmE0ELj4294967295EEENS1_25partition_config_selectorILNS1_17partition_subalgoE4EjNS0_10empty_typeEbEEZZNS1_14partition_implILS8_4ELb0ES6_15HIP_vector_typeIjLj2EENS0_17counting_iteratorIjlEEPS9_SG_NS0_5tupleIJPjSI_NS0_16reverse_iteratorISI_EEEEENSH_IJSG_SG_SG_EEES9_SI_JZNS1_25segmented_radix_sort_implINS0_14default_configELb1EPKaPaPKlPlN2at6native12_GLOBAL__N_18offset_tEEE10hipError_tPvRmT1_PNSt15iterator_traitsIS12_E10value_typeET2_T3_PNS13_IS18_E10value_typeET4_jRbjT5_S1E_jjP12ihipStream_tbEUljE_ZNSN_ISO_Lb1ESQ_SR_ST_SU_SY_EESZ_S10_S11_S12_S16_S17_S18_S1B_S1C_jS1D_jS1E_S1E_jjS1G_bEUljE0_EEESZ_S10_S11_S18_S1C_S1E_T6_T7_T9_mT8_S1G_bDpT10_ENKUlT_T0_E_clISt17integral_constantIbLb0EES1U_EEDaS1P_S1Q_EUlS1P_E_NS1_11comp_targetILNS1_3genE5ELNS1_11target_archE942ELNS1_3gpuE9ELNS1_3repE0EEENS1_30default_config_static_selectorELNS0_4arch9wavefront6targetE1EEEvS12_,@function
_ZN7rocprim17ROCPRIM_400000_NS6detail17trampoline_kernelINS0_13select_configILj256ELj13ELNS0_17block_load_methodE3ELS4_3ELS4_3ELNS0_20block_scan_algorithmE0ELj4294967295EEENS1_25partition_config_selectorILNS1_17partition_subalgoE4EjNS0_10empty_typeEbEEZZNS1_14partition_implILS8_4ELb0ES6_15HIP_vector_typeIjLj2EENS0_17counting_iteratorIjlEEPS9_SG_NS0_5tupleIJPjSI_NS0_16reverse_iteratorISI_EEEEENSH_IJSG_SG_SG_EEES9_SI_JZNS1_25segmented_radix_sort_implINS0_14default_configELb1EPKaPaPKlPlN2at6native12_GLOBAL__N_18offset_tEEE10hipError_tPvRmT1_PNSt15iterator_traitsIS12_E10value_typeET2_T3_PNS13_IS18_E10value_typeET4_jRbjT5_S1E_jjP12ihipStream_tbEUljE_ZNSN_ISO_Lb1ESQ_SR_ST_SU_SY_EESZ_S10_S11_S12_S16_S17_S18_S1B_S1C_jS1D_jS1E_S1E_jjS1G_bEUljE0_EEESZ_S10_S11_S18_S1C_S1E_T6_T7_T9_mT8_S1G_bDpT10_ENKUlT_T0_E_clISt17integral_constantIbLb0EES1U_EEDaS1P_S1Q_EUlS1P_E_NS1_11comp_targetILNS1_3genE5ELNS1_11target_archE942ELNS1_3gpuE9ELNS1_3repE0EEENS1_30default_config_static_selectorELNS0_4arch9wavefront6targetE1EEEvS12_: ; @_ZN7rocprim17ROCPRIM_400000_NS6detail17trampoline_kernelINS0_13select_configILj256ELj13ELNS0_17block_load_methodE3ELS4_3ELS4_3ELNS0_20block_scan_algorithmE0ELj4294967295EEENS1_25partition_config_selectorILNS1_17partition_subalgoE4EjNS0_10empty_typeEbEEZZNS1_14partition_implILS8_4ELb0ES6_15HIP_vector_typeIjLj2EENS0_17counting_iteratorIjlEEPS9_SG_NS0_5tupleIJPjSI_NS0_16reverse_iteratorISI_EEEEENSH_IJSG_SG_SG_EEES9_SI_JZNS1_25segmented_radix_sort_implINS0_14default_configELb1EPKaPaPKlPlN2at6native12_GLOBAL__N_18offset_tEEE10hipError_tPvRmT1_PNSt15iterator_traitsIS12_E10value_typeET2_T3_PNS13_IS18_E10value_typeET4_jRbjT5_S1E_jjP12ihipStream_tbEUljE_ZNSN_ISO_Lb1ESQ_SR_ST_SU_SY_EESZ_S10_S11_S12_S16_S17_S18_S1B_S1C_jS1D_jS1E_S1E_jjS1G_bEUljE0_EEESZ_S10_S11_S18_S1C_S1E_T6_T7_T9_mT8_S1G_bDpT10_ENKUlT_T0_E_clISt17integral_constantIbLb0EES1U_EEDaS1P_S1Q_EUlS1P_E_NS1_11comp_targetILNS1_3genE5ELNS1_11target_archE942ELNS1_3gpuE9ELNS1_3repE0EEENS1_30default_config_static_selectorELNS0_4arch9wavefront6targetE1EEEvS12_
; %bb.0:
	.section	.rodata,"a",@progbits
	.p2align	6, 0x0
	.amdhsa_kernel _ZN7rocprim17ROCPRIM_400000_NS6detail17trampoline_kernelINS0_13select_configILj256ELj13ELNS0_17block_load_methodE3ELS4_3ELS4_3ELNS0_20block_scan_algorithmE0ELj4294967295EEENS1_25partition_config_selectorILNS1_17partition_subalgoE4EjNS0_10empty_typeEbEEZZNS1_14partition_implILS8_4ELb0ES6_15HIP_vector_typeIjLj2EENS0_17counting_iteratorIjlEEPS9_SG_NS0_5tupleIJPjSI_NS0_16reverse_iteratorISI_EEEEENSH_IJSG_SG_SG_EEES9_SI_JZNS1_25segmented_radix_sort_implINS0_14default_configELb1EPKaPaPKlPlN2at6native12_GLOBAL__N_18offset_tEEE10hipError_tPvRmT1_PNSt15iterator_traitsIS12_E10value_typeET2_T3_PNS13_IS18_E10value_typeET4_jRbjT5_S1E_jjP12ihipStream_tbEUljE_ZNSN_ISO_Lb1ESQ_SR_ST_SU_SY_EESZ_S10_S11_S12_S16_S17_S18_S1B_S1C_jS1D_jS1E_S1E_jjS1G_bEUljE0_EEESZ_S10_S11_S18_S1C_S1E_T6_T7_T9_mT8_S1G_bDpT10_ENKUlT_T0_E_clISt17integral_constantIbLb0EES1U_EEDaS1P_S1Q_EUlS1P_E_NS1_11comp_targetILNS1_3genE5ELNS1_11target_archE942ELNS1_3gpuE9ELNS1_3repE0EEENS1_30default_config_static_selectorELNS0_4arch9wavefront6targetE1EEEvS12_
		.amdhsa_group_segment_fixed_size 0
		.amdhsa_private_segment_fixed_size 0
		.amdhsa_kernarg_size 176
		.amdhsa_user_sgpr_count 6
		.amdhsa_user_sgpr_private_segment_buffer 1
		.amdhsa_user_sgpr_dispatch_ptr 0
		.amdhsa_user_sgpr_queue_ptr 0
		.amdhsa_user_sgpr_kernarg_segment_ptr 1
		.amdhsa_user_sgpr_dispatch_id 0
		.amdhsa_user_sgpr_flat_scratch_init 0
		.amdhsa_user_sgpr_kernarg_preload_length 0
		.amdhsa_user_sgpr_kernarg_preload_offset 0
		.amdhsa_user_sgpr_private_segment_size 0
		.amdhsa_uses_dynamic_stack 0
		.amdhsa_system_sgpr_private_segment_wavefront_offset 0
		.amdhsa_system_sgpr_workgroup_id_x 1
		.amdhsa_system_sgpr_workgroup_id_y 0
		.amdhsa_system_sgpr_workgroup_id_z 0
		.amdhsa_system_sgpr_workgroup_info 0
		.amdhsa_system_vgpr_workitem_id 0
		.amdhsa_next_free_vgpr 1
		.amdhsa_next_free_sgpr 0
		.amdhsa_accum_offset 4
		.amdhsa_reserve_vcc 0
		.amdhsa_reserve_flat_scratch 0
		.amdhsa_float_round_mode_32 0
		.amdhsa_float_round_mode_16_64 0
		.amdhsa_float_denorm_mode_32 3
		.amdhsa_float_denorm_mode_16_64 3
		.amdhsa_dx10_clamp 1
		.amdhsa_ieee_mode 1
		.amdhsa_fp16_overflow 0
		.amdhsa_tg_split 0
		.amdhsa_exception_fp_ieee_invalid_op 0
		.amdhsa_exception_fp_denorm_src 0
		.amdhsa_exception_fp_ieee_div_zero 0
		.amdhsa_exception_fp_ieee_overflow 0
		.amdhsa_exception_fp_ieee_underflow 0
		.amdhsa_exception_fp_ieee_inexact 0
		.amdhsa_exception_int_div_zero 0
	.end_amdhsa_kernel
	.section	.text._ZN7rocprim17ROCPRIM_400000_NS6detail17trampoline_kernelINS0_13select_configILj256ELj13ELNS0_17block_load_methodE3ELS4_3ELS4_3ELNS0_20block_scan_algorithmE0ELj4294967295EEENS1_25partition_config_selectorILNS1_17partition_subalgoE4EjNS0_10empty_typeEbEEZZNS1_14partition_implILS8_4ELb0ES6_15HIP_vector_typeIjLj2EENS0_17counting_iteratorIjlEEPS9_SG_NS0_5tupleIJPjSI_NS0_16reverse_iteratorISI_EEEEENSH_IJSG_SG_SG_EEES9_SI_JZNS1_25segmented_radix_sort_implINS0_14default_configELb1EPKaPaPKlPlN2at6native12_GLOBAL__N_18offset_tEEE10hipError_tPvRmT1_PNSt15iterator_traitsIS12_E10value_typeET2_T3_PNS13_IS18_E10value_typeET4_jRbjT5_S1E_jjP12ihipStream_tbEUljE_ZNSN_ISO_Lb1ESQ_SR_ST_SU_SY_EESZ_S10_S11_S12_S16_S17_S18_S1B_S1C_jS1D_jS1E_S1E_jjS1G_bEUljE0_EEESZ_S10_S11_S18_S1C_S1E_T6_T7_T9_mT8_S1G_bDpT10_ENKUlT_T0_E_clISt17integral_constantIbLb0EES1U_EEDaS1P_S1Q_EUlS1P_E_NS1_11comp_targetILNS1_3genE5ELNS1_11target_archE942ELNS1_3gpuE9ELNS1_3repE0EEENS1_30default_config_static_selectorELNS0_4arch9wavefront6targetE1EEEvS12_,"axG",@progbits,_ZN7rocprim17ROCPRIM_400000_NS6detail17trampoline_kernelINS0_13select_configILj256ELj13ELNS0_17block_load_methodE3ELS4_3ELS4_3ELNS0_20block_scan_algorithmE0ELj4294967295EEENS1_25partition_config_selectorILNS1_17partition_subalgoE4EjNS0_10empty_typeEbEEZZNS1_14partition_implILS8_4ELb0ES6_15HIP_vector_typeIjLj2EENS0_17counting_iteratorIjlEEPS9_SG_NS0_5tupleIJPjSI_NS0_16reverse_iteratorISI_EEEEENSH_IJSG_SG_SG_EEES9_SI_JZNS1_25segmented_radix_sort_implINS0_14default_configELb1EPKaPaPKlPlN2at6native12_GLOBAL__N_18offset_tEEE10hipError_tPvRmT1_PNSt15iterator_traitsIS12_E10value_typeET2_T3_PNS13_IS18_E10value_typeET4_jRbjT5_S1E_jjP12ihipStream_tbEUljE_ZNSN_ISO_Lb1ESQ_SR_ST_SU_SY_EESZ_S10_S11_S12_S16_S17_S18_S1B_S1C_jS1D_jS1E_S1E_jjS1G_bEUljE0_EEESZ_S10_S11_S18_S1C_S1E_T6_T7_T9_mT8_S1G_bDpT10_ENKUlT_T0_E_clISt17integral_constantIbLb0EES1U_EEDaS1P_S1Q_EUlS1P_E_NS1_11comp_targetILNS1_3genE5ELNS1_11target_archE942ELNS1_3gpuE9ELNS1_3repE0EEENS1_30default_config_static_selectorELNS0_4arch9wavefront6targetE1EEEvS12_,comdat
.Lfunc_end227:
	.size	_ZN7rocprim17ROCPRIM_400000_NS6detail17trampoline_kernelINS0_13select_configILj256ELj13ELNS0_17block_load_methodE3ELS4_3ELS4_3ELNS0_20block_scan_algorithmE0ELj4294967295EEENS1_25partition_config_selectorILNS1_17partition_subalgoE4EjNS0_10empty_typeEbEEZZNS1_14partition_implILS8_4ELb0ES6_15HIP_vector_typeIjLj2EENS0_17counting_iteratorIjlEEPS9_SG_NS0_5tupleIJPjSI_NS0_16reverse_iteratorISI_EEEEENSH_IJSG_SG_SG_EEES9_SI_JZNS1_25segmented_radix_sort_implINS0_14default_configELb1EPKaPaPKlPlN2at6native12_GLOBAL__N_18offset_tEEE10hipError_tPvRmT1_PNSt15iterator_traitsIS12_E10value_typeET2_T3_PNS13_IS18_E10value_typeET4_jRbjT5_S1E_jjP12ihipStream_tbEUljE_ZNSN_ISO_Lb1ESQ_SR_ST_SU_SY_EESZ_S10_S11_S12_S16_S17_S18_S1B_S1C_jS1D_jS1E_S1E_jjS1G_bEUljE0_EEESZ_S10_S11_S18_S1C_S1E_T6_T7_T9_mT8_S1G_bDpT10_ENKUlT_T0_E_clISt17integral_constantIbLb0EES1U_EEDaS1P_S1Q_EUlS1P_E_NS1_11comp_targetILNS1_3genE5ELNS1_11target_archE942ELNS1_3gpuE9ELNS1_3repE0EEENS1_30default_config_static_selectorELNS0_4arch9wavefront6targetE1EEEvS12_, .Lfunc_end227-_ZN7rocprim17ROCPRIM_400000_NS6detail17trampoline_kernelINS0_13select_configILj256ELj13ELNS0_17block_load_methodE3ELS4_3ELS4_3ELNS0_20block_scan_algorithmE0ELj4294967295EEENS1_25partition_config_selectorILNS1_17partition_subalgoE4EjNS0_10empty_typeEbEEZZNS1_14partition_implILS8_4ELb0ES6_15HIP_vector_typeIjLj2EENS0_17counting_iteratorIjlEEPS9_SG_NS0_5tupleIJPjSI_NS0_16reverse_iteratorISI_EEEEENSH_IJSG_SG_SG_EEES9_SI_JZNS1_25segmented_radix_sort_implINS0_14default_configELb1EPKaPaPKlPlN2at6native12_GLOBAL__N_18offset_tEEE10hipError_tPvRmT1_PNSt15iterator_traitsIS12_E10value_typeET2_T3_PNS13_IS18_E10value_typeET4_jRbjT5_S1E_jjP12ihipStream_tbEUljE_ZNSN_ISO_Lb1ESQ_SR_ST_SU_SY_EESZ_S10_S11_S12_S16_S17_S18_S1B_S1C_jS1D_jS1E_S1E_jjS1G_bEUljE0_EEESZ_S10_S11_S18_S1C_S1E_T6_T7_T9_mT8_S1G_bDpT10_ENKUlT_T0_E_clISt17integral_constantIbLb0EES1U_EEDaS1P_S1Q_EUlS1P_E_NS1_11comp_targetILNS1_3genE5ELNS1_11target_archE942ELNS1_3gpuE9ELNS1_3repE0EEENS1_30default_config_static_selectorELNS0_4arch9wavefront6targetE1EEEvS12_
                                        ; -- End function
	.section	.AMDGPU.csdata,"",@progbits
; Kernel info:
; codeLenInByte = 0
; NumSgprs: 4
; NumVgprs: 0
; NumAgprs: 0
; TotalNumVgprs: 0
; ScratchSize: 0
; MemoryBound: 0
; FloatMode: 240
; IeeeMode: 1
; LDSByteSize: 0 bytes/workgroup (compile time only)
; SGPRBlocks: 0
; VGPRBlocks: 0
; NumSGPRsForWavesPerEU: 4
; NumVGPRsForWavesPerEU: 1
; AccumOffset: 4
; Occupancy: 8
; WaveLimiterHint : 0
; COMPUTE_PGM_RSRC2:SCRATCH_EN: 0
; COMPUTE_PGM_RSRC2:USER_SGPR: 6
; COMPUTE_PGM_RSRC2:TRAP_HANDLER: 0
; COMPUTE_PGM_RSRC2:TGID_X_EN: 1
; COMPUTE_PGM_RSRC2:TGID_Y_EN: 0
; COMPUTE_PGM_RSRC2:TGID_Z_EN: 0
; COMPUTE_PGM_RSRC2:TIDIG_COMP_CNT: 0
; COMPUTE_PGM_RSRC3_GFX90A:ACCUM_OFFSET: 0
; COMPUTE_PGM_RSRC3_GFX90A:TG_SPLIT: 0
	.section	.text._ZN7rocprim17ROCPRIM_400000_NS6detail17trampoline_kernelINS0_13select_configILj256ELj13ELNS0_17block_load_methodE3ELS4_3ELS4_3ELNS0_20block_scan_algorithmE0ELj4294967295EEENS1_25partition_config_selectorILNS1_17partition_subalgoE4EjNS0_10empty_typeEbEEZZNS1_14partition_implILS8_4ELb0ES6_15HIP_vector_typeIjLj2EENS0_17counting_iteratorIjlEEPS9_SG_NS0_5tupleIJPjSI_NS0_16reverse_iteratorISI_EEEEENSH_IJSG_SG_SG_EEES9_SI_JZNS1_25segmented_radix_sort_implINS0_14default_configELb1EPKaPaPKlPlN2at6native12_GLOBAL__N_18offset_tEEE10hipError_tPvRmT1_PNSt15iterator_traitsIS12_E10value_typeET2_T3_PNS13_IS18_E10value_typeET4_jRbjT5_S1E_jjP12ihipStream_tbEUljE_ZNSN_ISO_Lb1ESQ_SR_ST_SU_SY_EESZ_S10_S11_S12_S16_S17_S18_S1B_S1C_jS1D_jS1E_S1E_jjS1G_bEUljE0_EEESZ_S10_S11_S18_S1C_S1E_T6_T7_T9_mT8_S1G_bDpT10_ENKUlT_T0_E_clISt17integral_constantIbLb0EES1U_EEDaS1P_S1Q_EUlS1P_E_NS1_11comp_targetILNS1_3genE4ELNS1_11target_archE910ELNS1_3gpuE8ELNS1_3repE0EEENS1_30default_config_static_selectorELNS0_4arch9wavefront6targetE1EEEvS12_,"axG",@progbits,_ZN7rocprim17ROCPRIM_400000_NS6detail17trampoline_kernelINS0_13select_configILj256ELj13ELNS0_17block_load_methodE3ELS4_3ELS4_3ELNS0_20block_scan_algorithmE0ELj4294967295EEENS1_25partition_config_selectorILNS1_17partition_subalgoE4EjNS0_10empty_typeEbEEZZNS1_14partition_implILS8_4ELb0ES6_15HIP_vector_typeIjLj2EENS0_17counting_iteratorIjlEEPS9_SG_NS0_5tupleIJPjSI_NS0_16reverse_iteratorISI_EEEEENSH_IJSG_SG_SG_EEES9_SI_JZNS1_25segmented_radix_sort_implINS0_14default_configELb1EPKaPaPKlPlN2at6native12_GLOBAL__N_18offset_tEEE10hipError_tPvRmT1_PNSt15iterator_traitsIS12_E10value_typeET2_T3_PNS13_IS18_E10value_typeET4_jRbjT5_S1E_jjP12ihipStream_tbEUljE_ZNSN_ISO_Lb1ESQ_SR_ST_SU_SY_EESZ_S10_S11_S12_S16_S17_S18_S1B_S1C_jS1D_jS1E_S1E_jjS1G_bEUljE0_EEESZ_S10_S11_S18_S1C_S1E_T6_T7_T9_mT8_S1G_bDpT10_ENKUlT_T0_E_clISt17integral_constantIbLb0EES1U_EEDaS1P_S1Q_EUlS1P_E_NS1_11comp_targetILNS1_3genE4ELNS1_11target_archE910ELNS1_3gpuE8ELNS1_3repE0EEENS1_30default_config_static_selectorELNS0_4arch9wavefront6targetE1EEEvS12_,comdat
	.globl	_ZN7rocprim17ROCPRIM_400000_NS6detail17trampoline_kernelINS0_13select_configILj256ELj13ELNS0_17block_load_methodE3ELS4_3ELS4_3ELNS0_20block_scan_algorithmE0ELj4294967295EEENS1_25partition_config_selectorILNS1_17partition_subalgoE4EjNS0_10empty_typeEbEEZZNS1_14partition_implILS8_4ELb0ES6_15HIP_vector_typeIjLj2EENS0_17counting_iteratorIjlEEPS9_SG_NS0_5tupleIJPjSI_NS0_16reverse_iteratorISI_EEEEENSH_IJSG_SG_SG_EEES9_SI_JZNS1_25segmented_radix_sort_implINS0_14default_configELb1EPKaPaPKlPlN2at6native12_GLOBAL__N_18offset_tEEE10hipError_tPvRmT1_PNSt15iterator_traitsIS12_E10value_typeET2_T3_PNS13_IS18_E10value_typeET4_jRbjT5_S1E_jjP12ihipStream_tbEUljE_ZNSN_ISO_Lb1ESQ_SR_ST_SU_SY_EESZ_S10_S11_S12_S16_S17_S18_S1B_S1C_jS1D_jS1E_S1E_jjS1G_bEUljE0_EEESZ_S10_S11_S18_S1C_S1E_T6_T7_T9_mT8_S1G_bDpT10_ENKUlT_T0_E_clISt17integral_constantIbLb0EES1U_EEDaS1P_S1Q_EUlS1P_E_NS1_11comp_targetILNS1_3genE4ELNS1_11target_archE910ELNS1_3gpuE8ELNS1_3repE0EEENS1_30default_config_static_selectorELNS0_4arch9wavefront6targetE1EEEvS12_ ; -- Begin function _ZN7rocprim17ROCPRIM_400000_NS6detail17trampoline_kernelINS0_13select_configILj256ELj13ELNS0_17block_load_methodE3ELS4_3ELS4_3ELNS0_20block_scan_algorithmE0ELj4294967295EEENS1_25partition_config_selectorILNS1_17partition_subalgoE4EjNS0_10empty_typeEbEEZZNS1_14partition_implILS8_4ELb0ES6_15HIP_vector_typeIjLj2EENS0_17counting_iteratorIjlEEPS9_SG_NS0_5tupleIJPjSI_NS0_16reverse_iteratorISI_EEEEENSH_IJSG_SG_SG_EEES9_SI_JZNS1_25segmented_radix_sort_implINS0_14default_configELb1EPKaPaPKlPlN2at6native12_GLOBAL__N_18offset_tEEE10hipError_tPvRmT1_PNSt15iterator_traitsIS12_E10value_typeET2_T3_PNS13_IS18_E10value_typeET4_jRbjT5_S1E_jjP12ihipStream_tbEUljE_ZNSN_ISO_Lb1ESQ_SR_ST_SU_SY_EESZ_S10_S11_S12_S16_S17_S18_S1B_S1C_jS1D_jS1E_S1E_jjS1G_bEUljE0_EEESZ_S10_S11_S18_S1C_S1E_T6_T7_T9_mT8_S1G_bDpT10_ENKUlT_T0_E_clISt17integral_constantIbLb0EES1U_EEDaS1P_S1Q_EUlS1P_E_NS1_11comp_targetILNS1_3genE4ELNS1_11target_archE910ELNS1_3gpuE8ELNS1_3repE0EEENS1_30default_config_static_selectorELNS0_4arch9wavefront6targetE1EEEvS12_
	.p2align	8
	.type	_ZN7rocprim17ROCPRIM_400000_NS6detail17trampoline_kernelINS0_13select_configILj256ELj13ELNS0_17block_load_methodE3ELS4_3ELS4_3ELNS0_20block_scan_algorithmE0ELj4294967295EEENS1_25partition_config_selectorILNS1_17partition_subalgoE4EjNS0_10empty_typeEbEEZZNS1_14partition_implILS8_4ELb0ES6_15HIP_vector_typeIjLj2EENS0_17counting_iteratorIjlEEPS9_SG_NS0_5tupleIJPjSI_NS0_16reverse_iteratorISI_EEEEENSH_IJSG_SG_SG_EEES9_SI_JZNS1_25segmented_radix_sort_implINS0_14default_configELb1EPKaPaPKlPlN2at6native12_GLOBAL__N_18offset_tEEE10hipError_tPvRmT1_PNSt15iterator_traitsIS12_E10value_typeET2_T3_PNS13_IS18_E10value_typeET4_jRbjT5_S1E_jjP12ihipStream_tbEUljE_ZNSN_ISO_Lb1ESQ_SR_ST_SU_SY_EESZ_S10_S11_S12_S16_S17_S18_S1B_S1C_jS1D_jS1E_S1E_jjS1G_bEUljE0_EEESZ_S10_S11_S18_S1C_S1E_T6_T7_T9_mT8_S1G_bDpT10_ENKUlT_T0_E_clISt17integral_constantIbLb0EES1U_EEDaS1P_S1Q_EUlS1P_E_NS1_11comp_targetILNS1_3genE4ELNS1_11target_archE910ELNS1_3gpuE8ELNS1_3repE0EEENS1_30default_config_static_selectorELNS0_4arch9wavefront6targetE1EEEvS12_,@function
_ZN7rocprim17ROCPRIM_400000_NS6detail17trampoline_kernelINS0_13select_configILj256ELj13ELNS0_17block_load_methodE3ELS4_3ELS4_3ELNS0_20block_scan_algorithmE0ELj4294967295EEENS1_25partition_config_selectorILNS1_17partition_subalgoE4EjNS0_10empty_typeEbEEZZNS1_14partition_implILS8_4ELb0ES6_15HIP_vector_typeIjLj2EENS0_17counting_iteratorIjlEEPS9_SG_NS0_5tupleIJPjSI_NS0_16reverse_iteratorISI_EEEEENSH_IJSG_SG_SG_EEES9_SI_JZNS1_25segmented_radix_sort_implINS0_14default_configELb1EPKaPaPKlPlN2at6native12_GLOBAL__N_18offset_tEEE10hipError_tPvRmT1_PNSt15iterator_traitsIS12_E10value_typeET2_T3_PNS13_IS18_E10value_typeET4_jRbjT5_S1E_jjP12ihipStream_tbEUljE_ZNSN_ISO_Lb1ESQ_SR_ST_SU_SY_EESZ_S10_S11_S12_S16_S17_S18_S1B_S1C_jS1D_jS1E_S1E_jjS1G_bEUljE0_EEESZ_S10_S11_S18_S1C_S1E_T6_T7_T9_mT8_S1G_bDpT10_ENKUlT_T0_E_clISt17integral_constantIbLb0EES1U_EEDaS1P_S1Q_EUlS1P_E_NS1_11comp_targetILNS1_3genE4ELNS1_11target_archE910ELNS1_3gpuE8ELNS1_3repE0EEENS1_30default_config_static_selectorELNS0_4arch9wavefront6targetE1EEEvS12_: ; @_ZN7rocprim17ROCPRIM_400000_NS6detail17trampoline_kernelINS0_13select_configILj256ELj13ELNS0_17block_load_methodE3ELS4_3ELS4_3ELNS0_20block_scan_algorithmE0ELj4294967295EEENS1_25partition_config_selectorILNS1_17partition_subalgoE4EjNS0_10empty_typeEbEEZZNS1_14partition_implILS8_4ELb0ES6_15HIP_vector_typeIjLj2EENS0_17counting_iteratorIjlEEPS9_SG_NS0_5tupleIJPjSI_NS0_16reverse_iteratorISI_EEEEENSH_IJSG_SG_SG_EEES9_SI_JZNS1_25segmented_radix_sort_implINS0_14default_configELb1EPKaPaPKlPlN2at6native12_GLOBAL__N_18offset_tEEE10hipError_tPvRmT1_PNSt15iterator_traitsIS12_E10value_typeET2_T3_PNS13_IS18_E10value_typeET4_jRbjT5_S1E_jjP12ihipStream_tbEUljE_ZNSN_ISO_Lb1ESQ_SR_ST_SU_SY_EESZ_S10_S11_S12_S16_S17_S18_S1B_S1C_jS1D_jS1E_S1E_jjS1G_bEUljE0_EEESZ_S10_S11_S18_S1C_S1E_T6_T7_T9_mT8_S1G_bDpT10_ENKUlT_T0_E_clISt17integral_constantIbLb0EES1U_EEDaS1P_S1Q_EUlS1P_E_NS1_11comp_targetILNS1_3genE4ELNS1_11target_archE910ELNS1_3gpuE8ELNS1_3repE0EEENS1_30default_config_static_selectorELNS0_4arch9wavefront6targetE1EEEvS12_
; %bb.0:
	s_load_dwordx2 s[0:1], s[4:5], 0x68
	s_load_dword s7, s[4:5], 0x8
	s_load_dwordx2 s[56:57], s[4:5], 0x10
	s_load_dwordx4 s[44:47], s[4:5], 0x58
	s_mul_i32 s33, s6, 0xd00
	s_waitcnt lgkmcnt(0)
	v_mov_b32_e32 v3, s1
	v_mov_b32_e32 v2, s0
	s_load_dword s1, s[4:5], 0x80
	s_load_dwordx2 s[60:61], s[4:5], 0xa8
	s_load_dwordx8 s[36:43], s[4:5], 0x88
	s_load_dwordx4 s[48:51], s[46:47], 0x0
	s_waitcnt lgkmcnt(0)
	s_add_i32 s8, s1, -1
	s_mulk_i32 s1, 0xd00
	s_add_u32 s2, s56, s1
	s_addc_u32 s3, s57, 0
	s_cmp_eq_u32 s6, s8
	s_cselect_b64 s[30:31], -1, 0
	s_cmp_lg_u32 s6, s8
	v_cmp_lt_u64_e32 vcc, s[2:3], v[2:3]
	s_cselect_b64 s[2:3], -1, 0
	s_add_i32 s7, s7, s33
	s_or_b64 s[2:3], s[2:3], vcc
	s_add_i32 s7, s7, s56
	v_add_u32_e32 v1, s7, v0
	s_mov_b64 s[8:9], -1
	s_and_b64 vcc, exec, s[2:3]
	s_cbranch_vccz .LBB228_2
; %bb.1:
	v_add_u32_e32 v2, 0x100, v1
	v_lshlrev_b32_e32 v14, 2, v0
	v_add_u32_e32 v3, 0x200, v1
	v_add_u32_e32 v4, 0x300, v1
	;; [unrolled: 1-line block ×11, first 2 shown]
	ds_write2st64_b32 v14, v1, v2 offset1:4
	ds_write2st64_b32 v14, v3, v4 offset0:8 offset1:12
	ds_write2st64_b32 v14, v5, v6 offset0:16 offset1:20
	;; [unrolled: 1-line block ×5, first 2 shown]
	ds_write_b32 v14, v13 offset:12288
	s_waitcnt lgkmcnt(0)
	s_barrier
	s_mov_b64 s[8:9], 0
.LBB228_2:
	s_andn2_b64 vcc, exec, s[8:9]
	s_add_i32 s1, s1, s56
	s_cbranch_vccnz .LBB228_4
; %bb.3:
	v_add_u32_e32 v2, 0x100, v1
	v_lshlrev_b32_e32 v14, 2, v0
	v_add_u32_e32 v3, 0x200, v1
	v_add_u32_e32 v4, 0x300, v1
	;; [unrolled: 1-line block ×11, first 2 shown]
	ds_write2st64_b32 v14, v1, v2 offset1:4
	ds_write2st64_b32 v14, v3, v4 offset0:8 offset1:12
	ds_write2st64_b32 v14, v5, v6 offset0:16 offset1:20
	;; [unrolled: 1-line block ×5, first 2 shown]
	ds_write_b32 v14, v13 offset:12288
	s_waitcnt lgkmcnt(0)
	s_barrier
.LBB228_4:
	v_mul_u32_u24_e32 v31, 13, v0
	v_lshlrev_b32_e32 v1, 2, v31
	s_load_dwordx4 s[52:55], s[4:5], 0x28
	s_load_dwordx2 s[34:35], s[4:5], 0x38
	s_waitcnt lgkmcnt(0)
	ds_read2_b32 v[18:19], v1 offset1:1
	ds_read2_b32 v[16:17], v1 offset0:2 offset1:3
	ds_read2_b32 v[14:15], v1 offset0:4 offset1:5
	;; [unrolled: 1-line block ×5, first 2 shown]
	ds_read_b32 v30, v1 offset:48
	v_cndmask_b32_e64 v1, 0, 1, s[2:3]
	s_sub_i32 s7, s0, s1
	v_cmp_ne_u32_e64 s[0:1], 1, v1
	s_andn2_b64 vcc, exec, s[2:3]
	s_waitcnt lgkmcnt(0)
	s_barrier
	s_cbranch_vccnz .LBB228_32
; %bb.5:
	v_add_u32_e32 v1, s37, v18
	v_add_u32_e32 v2, s39, v18
	v_mul_lo_u32 v1, v1, s36
	v_mul_lo_u32 v2, v2, s38
	v_sub_u32_e32 v1, v1, v2
	v_cmp_lt_u32_e32 vcc, s40, v1
	v_cmp_ge_u32_e64 s[2:3], s40, v1
	s_mov_b64 s[64:65], 0
	s_mov_b64 s[62:63], 0
	s_and_saveexec_b64 s[8:9], s[2:3]
; %bb.6:
	v_add_u32_e32 v1, s42, v18
	v_add_u32_e32 v2, s60, v18
	v_mul_lo_u32 v1, v1, s41
	v_mul_lo_u32 v2, v2, s43
	v_sub_u32_e32 v1, v1, v2
	v_cmp_lt_u32_e64 s[2:3], s61, v1
	s_and_b64 s[62:63], s[2:3], exec
; %bb.7:
	s_or_b64 exec, exec, s[8:9]
	v_add_u32_e32 v1, s37, v19
	v_add_u32_e32 v2, s39, v19
	v_mul_lo_u32 v1, v1, s36
	v_mul_lo_u32 v2, v2, s38
	v_sub_u32_e32 v1, v1, v2
	v_cmp_lt_u32_e64 s[2:3], s40, v1
	v_cmp_ge_u32_e64 s[8:9], s40, v1
	s_and_saveexec_b64 s[10:11], s[8:9]
; %bb.8:
	v_add_u32_e32 v1, s42, v19
	v_add_u32_e32 v2, s60, v19
	v_mul_lo_u32 v1, v1, s41
	v_mul_lo_u32 v2, v2, s43
	v_sub_u32_e32 v1, v1, v2
	v_cmp_lt_u32_e64 s[8:9], s61, v1
	s_and_b64 s[64:65], s[8:9], exec
; %bb.9:
	s_or_b64 exec, exec, s[10:11]
	v_add_u32_e32 v1, s37, v16
	v_add_u32_e32 v2, s39, v16
	v_mul_lo_u32 v1, v1, s36
	v_mul_lo_u32 v2, v2, s38
	v_sub_u32_e32 v1, v1, v2
	v_cmp_lt_u32_e64 s[26:27], s40, v1
	v_cmp_ge_u32_e64 s[8:9], s40, v1
	s_mov_b64 s[68:69], 0
	s_mov_b64 s[66:67], 0
	s_and_saveexec_b64 s[10:11], s[8:9]
; %bb.10:
	v_add_u32_e32 v1, s42, v16
	v_add_u32_e32 v2, s60, v16
	v_mul_lo_u32 v1, v1, s41
	v_mul_lo_u32 v2, v2, s43
	v_sub_u32_e32 v1, v1, v2
	v_cmp_lt_u32_e64 s[8:9], s61, v1
	s_and_b64 s[66:67], s[8:9], exec
; %bb.11:
	s_or_b64 exec, exec, s[10:11]
	v_add_u32_e32 v1, s37, v17
	v_add_u32_e32 v2, s39, v17
	v_mul_lo_u32 v1, v1, s36
	v_mul_lo_u32 v2, v2, s38
	v_sub_u32_e32 v1, v1, v2
	v_cmp_lt_u32_e64 s[8:9], s40, v1
	v_cmp_ge_u32_e64 s[10:11], s40, v1
	s_and_saveexec_b64 s[12:13], s[10:11]
; %bb.12:
	v_add_u32_e32 v1, s42, v17
	v_add_u32_e32 v2, s60, v17
	v_mul_lo_u32 v1, v1, s41
	v_mul_lo_u32 v2, v2, s43
	v_sub_u32_e32 v1, v1, v2
	v_cmp_lt_u32_e64 s[10:11], s61, v1
	s_and_b64 s[68:69], s[10:11], exec
; %bb.13:
	s_or_b64 exec, exec, s[12:13]
	v_add_u32_e32 v1, s37, v14
	v_add_u32_e32 v2, s39, v14
	v_mul_lo_u32 v1, v1, s36
	v_mul_lo_u32 v2, v2, s38
	v_sub_u32_e32 v1, v1, v2
	v_cmp_lt_u32_e64 s[10:11], s40, v1
	;; [unrolled: 38-line block ×5, first 2 shown]
	v_cmp_ge_u32_e64 s[24:25], s40, v1
	s_mov_b64 s[84:85], 0
	s_mov_b64 s[86:87], 0
	s_and_saveexec_b64 s[28:29], s[24:25]
; %bb.26:
	v_add_u32_e32 v1, s42, v8
	v_add_u32_e32 v2, s60, v8
	v_mul_lo_u32 v1, v1, s41
	v_mul_lo_u32 v2, v2, s43
	v_sub_u32_e32 v1, v1, v2
	v_cmp_lt_u32_e64 s[24:25], s61, v1
	s_and_b64 s[86:87], s[24:25], exec
; %bb.27:
	s_or_b64 exec, exec, s[28:29]
	v_add_u32_e32 v1, s37, v9
	v_add_u32_e32 v2, s39, v9
	v_mul_lo_u32 v1, v1, s36
	v_mul_lo_u32 v2, v2, s38
	v_sub_u32_e32 v1, v1, v2
	v_cmp_lt_u32_e64 s[24:25], s40, v1
	v_cmp_ge_u32_e64 s[28:29], s40, v1
	s_and_saveexec_b64 s[46:47], s[28:29]
; %bb.28:
	v_add_u32_e32 v1, s42, v9
	v_add_u32_e32 v2, s60, v9
	v_mul_lo_u32 v1, v1, s41
	v_mul_lo_u32 v2, v2, s43
	v_sub_u32_e32 v1, v1, v2
	v_cmp_lt_u32_e64 s[28:29], s61, v1
	s_and_b64 s[84:85], s[28:29], exec
; %bb.29:
	s_or_b64 exec, exec, s[46:47]
	v_add_u32_e32 v1, s37, v30
	v_add_u32_e32 v2, s39, v30
	v_mul_lo_u32 v1, v1, s36
	v_mul_lo_u32 v2, v2, s38
	v_sub_u32_e32 v1, v1, v2
	v_cmp_ge_u32_e64 s[28:29], s40, v1
	s_mov_b64 s[46:47], -1
	s_mov_b64 s[78:79], 0
	s_mov_b64 s[58:59], 0
	s_and_saveexec_b64 s[88:89], s[28:29]
; %bb.30:
	v_add_u32_e32 v1, s42, v30
	v_add_u32_e32 v2, s60, v30
	v_mul_lo_u32 v1, v1, s41
	v_mul_lo_u32 v2, v2, s43
	v_sub_u32_e32 v1, v1, v2
	v_cmp_lt_u32_e64 s[28:29], s61, v1
	s_and_b64 s[58:59], s[28:29], exec
	s_xor_b64 s[46:47], exec, -1
; %bb.31:
	s_or_b64 exec, exec, s[88:89]
	v_cndmask_b32_e64 v52, 0, 1, s[86:87]
	v_cndmask_b32_e64 v55, 0, 1, s[24:25]
	;; [unrolled: 1-line block ×22, first 2 shown]
	v_cndmask_b32_e64 v32, 0, 1, vcc
	v_cndmask_b32_e64 v54, 0, 1, s[84:85]
	s_load_dwordx2 s[12:13], s[4:5], 0x78
	s_add_i32 s18, s7, 0xd00
	s_and_b64 vcc, exec, s[78:79]
	s_cbranch_vccnz .LBB228_33
	s_branch .LBB228_86
.LBB228_32:
                                        ; implicit-def: $sgpr46_sgpr47
                                        ; implicit-def: $sgpr58_sgpr59
                                        ; implicit-def: $vgpr54
                                        ; implicit-def: $vgpr52
                                        ; implicit-def: $vgpr50
                                        ; implicit-def: $vgpr48
                                        ; implicit-def: $vgpr46
                                        ; implicit-def: $vgpr44
                                        ; implicit-def: $vgpr42
                                        ; implicit-def: $vgpr40
                                        ; implicit-def: $vgpr38
                                        ; implicit-def: $vgpr32
                                        ; implicit-def: $vgpr34
                                        ; implicit-def: $vgpr36
                                        ; implicit-def: $vgpr39
                                        ; implicit-def: $vgpr41
                                        ; implicit-def: $vgpr43
                                        ; implicit-def: $vgpr45
                                        ; implicit-def: $vgpr47
                                        ; implicit-def: $vgpr49
                                        ; implicit-def: $vgpr51
                                        ; implicit-def: $vgpr53
                                        ; implicit-def: $vgpr55
                                        ; implicit-def: $vgpr33
                                        ; implicit-def: $vgpr35
                                        ; implicit-def: $vgpr37
	s_load_dwordx2 s[12:13], s[4:5], 0x78
	s_add_i32 s18, s7, 0xd00
	s_cbranch_execz .LBB228_86
.LBB228_33:
	v_cmp_gt_u32_e32 vcc, s18, v31
	v_mov_b32_e32 v33, 0
	v_mov_b32_e32 v32, 0
	s_and_saveexec_b64 s[4:5], vcc
	s_cbranch_execz .LBB228_37
; %bb.34:
	v_add_u32_e32 v1, s37, v18
	v_add_u32_e32 v2, s39, v18
	v_mul_lo_u32 v1, v1, s36
	v_mul_lo_u32 v2, v2, s38
	v_sub_u32_e32 v1, v1, v2
	v_cmp_lt_u32_e32 vcc, s40, v1
	v_cmp_ge_u32_e64 s[2:3], s40, v1
	s_mov_b64 s[10:11], 0
	s_and_saveexec_b64 s[8:9], s[2:3]
; %bb.35:
	v_add_u32_e32 v1, s42, v18
	v_add_u32_e32 v2, s60, v18
	v_mul_lo_u32 v1, v1, s41
	v_mul_lo_u32 v2, v2, s43
	v_sub_u32_e32 v1, v1, v2
	v_cmp_lt_u32_e64 s[2:3], s61, v1
	s_and_b64 s[10:11], s[2:3], exec
; %bb.36:
	s_or_b64 exec, exec, s[8:9]
	v_cndmask_b32_e64 v32, 0, 1, vcc
	v_cndmask_b32_e64 v33, 0, 1, s[10:11]
.LBB228_37:
	s_or_b64 exec, exec, s[4:5]
	v_add_u32_e32 v1, 1, v31
	v_cmp_gt_u32_e32 vcc, s18, v1
	v_mov_b32_e32 v34, 0
	v_mov_b32_e32 v35, 0
	s_and_saveexec_b64 s[4:5], vcc
	s_cbranch_execz .LBB228_41
; %bb.38:
	v_add_u32_e32 v1, s37, v19
	v_add_u32_e32 v2, s39, v19
	v_mul_lo_u32 v1, v1, s36
	v_mul_lo_u32 v2, v2, s38
	v_sub_u32_e32 v1, v1, v2
	v_cmp_lt_u32_e32 vcc, s40, v1
	v_cmp_ge_u32_e64 s[2:3], s40, v1
	s_mov_b64 s[10:11], 0
	s_and_saveexec_b64 s[8:9], s[2:3]
; %bb.39:
	v_add_u32_e32 v1, s42, v19
	v_add_u32_e32 v2, s60, v19
	v_mul_lo_u32 v1, v1, s41
	v_mul_lo_u32 v2, v2, s43
	v_sub_u32_e32 v1, v1, v2
	v_cmp_lt_u32_e64 s[2:3], s61, v1
	s_and_b64 s[10:11], s[2:3], exec
; %bb.40:
	s_or_b64 exec, exec, s[8:9]
	v_cndmask_b32_e64 v34, 0, 1, vcc
	v_cndmask_b32_e64 v35, 0, 1, s[10:11]
.LBB228_41:
	s_or_b64 exec, exec, s[4:5]
	v_add_u32_e32 v1, 2, v31
	;; [unrolled: 30-line block ×12, first 2 shown]
	v_cmp_gt_u32_e32 vcc, s18, v1
	s_mov_b64 s[46:47], 0
	s_mov_b64 s[58:59], 0
	s_and_saveexec_b64 s[2:3], vcc
	s_cbranch_execz .LBB228_85
; %bb.82:
	v_add_u32_e32 v1, s37, v30
	v_add_u32_e32 v2, s39, v30
	v_mul_lo_u32 v1, v1, s36
	v_mul_lo_u32 v2, v2, s38
	v_sub_u32_e32 v1, v1, v2
	v_cmp_ge_u32_e32 vcc, s40, v1
	s_mov_b64 s[8:9], -1
	s_mov_b64 s[10:11], 0
	s_and_saveexec_b64 s[4:5], vcc
; %bb.83:
	v_add_u32_e32 v1, s42, v30
	v_add_u32_e32 v2, s60, v30
	v_mul_lo_u32 v1, v1, s41
	v_mul_lo_u32 v2, v2, s43
	v_sub_u32_e32 v1, v1, v2
	v_cmp_lt_u32_e32 vcc, s61, v1
	s_and_b64 s[10:11], vcc, exec
	s_xor_b64 s[8:9], exec, -1
; %bb.84:
	s_or_b64 exec, exec, s[4:5]
	s_and_b64 s[58:59], s[10:11], exec
	s_and_b64 s[46:47], s[8:9], exec
.LBB228_85:
	s_or_b64 exec, exec, s[2:3]
.LBB228_86:
	v_and_b32_e32 v63, 0xff, v33
	v_and_b32_e32 v74, 0xff, v35
	;; [unrolled: 1-line block ×5, first 2 shown]
	v_add3_u32 v2, v74, v65, v63
	v_and_b32_e32 v76, 0xff, v42
	v_and_b32_e32 v69, 0xff, v44
	v_add3_u32 v2, v2, v75, v67
	v_and_b32_e32 v62, 0xff, v32
	v_and_b32_e32 v56, 0xff, v34
	;; [unrolled: 1-line block ×5, first 2 shown]
	v_add3_u32 v2, v2, v76, v69
	v_and_b32_e32 v57, 0xff, v39
	v_and_b32_e32 v66, 0xff, v41
	;; [unrolled: 1-line block ×4, first 2 shown]
	v_add3_u32 v3, v56, v64, v62
	v_add3_u32 v2, v2, v77, v71
	v_and_b32_e32 v58, 0xff, v43
	v_and_b32_e32 v68, 0xff, v45
	;; [unrolled: 1-line block ×3, first 2 shown]
	v_cndmask_b32_e64 v1, 0, 1, s[58:59]
	v_add3_u32 v3, v3, v57, v66
	v_add3_u32 v2, v2, v78, v73
	v_and_b32_e32 v59, 0xff, v47
	v_and_b32_e32 v70, 0xff, v49
	v_add3_u32 v3, v3, v58, v68
	v_add3_u32 v86, v2, v79, v1
	v_mbcnt_lo_u32_b32 v1, -1, 0
	v_and_b32_e32 v60, 0xff, v51
	v_and_b32_e32 v72, 0xff, v53
	v_add3_u32 v3, v3, v59, v70
	v_mbcnt_hi_u32_b32 v80, -1, v1
	v_and_b32_e32 v61, 0xff, v55
	v_add3_u32 v3, v3, v60, v72
	v_cndmask_b32_e64 v4, 0, 1, s[46:47]
	v_and_b32_e32 v84, 15, v80
	s_cmp_lg_u32 s6, 0
	v_add3_u32 v85, v3, v61, v4
	v_cmp_eq_u32_e64 s[4:5], 0, v84
	v_cmp_lt_u32_e64 s[2:3], 1, v84
	v_cmp_lt_u32_e64 s[8:9], 3, v84
	v_cmp_lt_u32_e64 s[10:11], 7, v84
	v_and_b32_e32 v83, 16, v80
	v_cmp_lt_u32_e32 vcc, 31, v80
	v_lshrrev_b32_e32 v81, 6, v0
	v_or_b32_e32 v82, 63, v0
	s_cbranch_scc0 .LBB228_115
; %bb.87:
	v_mov_b32_dpp v1, v85 row_shr:1 row_mask:0xf bank_mask:0xf
	v_mov_b32_dpp v2, v86 row_shr:1 row_mask:0xf bank_mask:0xf
	v_add_u32_e32 v1, v1, v85
	v_add_u32_e32 v2, v2, v86
	v_cndmask_b32_e64 v2, v2, v86, s[4:5]
	v_cndmask_b32_e64 v1, v1, v85, s[4:5]
	s_nop 0
	v_mov_b32_dpp v4, v2 row_shr:2 row_mask:0xf bank_mask:0xf
	v_mov_b32_dpp v3, v1 row_shr:2 row_mask:0xf bank_mask:0xf
	v_add_u32_e32 v3, v1, v3
	v_add_u32_e32 v4, v2, v4
	v_cndmask_b32_e64 v2, v2, v4, s[2:3]
	v_cndmask_b32_e64 v1, v1, v3, s[2:3]
	s_nop 0
	v_mov_b32_dpp v4, v2 row_shr:4 row_mask:0xf bank_mask:0xf
	v_mov_b32_dpp v3, v1 row_shr:4 row_mask:0xf bank_mask:0xf
	v_add_u32_e32 v3, v1, v3
	v_add_u32_e32 v4, v2, v4
	v_cndmask_b32_e64 v2, v2, v4, s[8:9]
	v_cndmask_b32_e64 v1, v1, v3, s[8:9]
	v_cmp_eq_u32_e64 s[8:9], 0, v83
	v_mov_b32_dpp v4, v2 row_shr:8 row_mask:0xf bank_mask:0xf
	v_mov_b32_dpp v3, v1 row_shr:8 row_mask:0xf bank_mask:0xf
	v_add_u32_e32 v3, v1, v3
	v_add_u32_e32 v4, v2, v4
	v_cndmask_b32_e64 v2, v2, v4, s[10:11]
	v_cndmask_b32_e64 v1, v1, v3, s[10:11]
	s_nop 0
	v_mov_b32_dpp v4, v2 row_bcast:15 row_mask:0xf bank_mask:0xf
	v_mov_b32_dpp v3, v1 row_bcast:15 row_mask:0xf bank_mask:0xf
	v_add_u32_e32 v3, v1, v3
	v_add_u32_e32 v4, v2, v4
	v_cndmask_b32_e64 v2, v4, v2, s[8:9]
	v_cndmask_b32_e64 v1, v3, v1, s[8:9]
	s_nop 0
	v_mov_b32_dpp v4, v2 row_bcast:31 row_mask:0xf bank_mask:0xf
	v_mov_b32_dpp v3, v1 row_bcast:31 row_mask:0xf bank_mask:0xf
	v_add_u32_e32 v4, v2, v4
	v_add_u32_e32 v5, v1, v3
	v_cndmask_b32_e32 v3, v2, v4, vcc
	v_cndmask_b32_e32 v2, v1, v5, vcc
	v_cmp_eq_u32_e32 vcc, v82, v0
	s_and_saveexec_b64 s[8:9], vcc
	s_cbranch_execz .LBB228_89
; %bb.88:
	v_lshlrev_b32_e32 v1, 3, v81
	ds_write_b64 v1, v[2:3]
.LBB228_89:
	s_or_b64 exec, exec, s[8:9]
	v_cmp_gt_u32_e32 vcc, 4, v0
	s_waitcnt lgkmcnt(0)
	s_barrier
	s_and_saveexec_b64 s[8:9], vcc
	s_cbranch_execz .LBB228_91
; %bb.90:
	v_lshlrev_b32_e32 v1, 3, v0
	ds_read_b64 v[4:5], v1
	v_and_b32_e32 v6, 3, v80
	v_cmp_eq_u32_e32 vcc, 0, v6
	s_waitcnt lgkmcnt(0)
	v_mov_b32_dpp v7, v4 row_shr:1 row_mask:0xf bank_mask:0xf
	v_mov_b32_dpp v20, v5 row_shr:1 row_mask:0xf bank_mask:0xf
	v_add_u32_e32 v7, v7, v4
	v_add_u32_e32 v20, v20, v5
	v_cndmask_b32_e32 v5, v20, v5, vcc
	v_cndmask_b32_e32 v4, v7, v4, vcc
	v_cmp_lt_u32_e32 vcc, 1, v6
	v_mov_b32_dpp v20, v5 row_shr:2 row_mask:0xf bank_mask:0xf
	v_mov_b32_dpp v7, v4 row_shr:2 row_mask:0xf bank_mask:0xf
	v_cndmask_b32_e32 v6, 0, v7, vcc
	v_cndmask_b32_e32 v7, 0, v20, vcc
	v_add_u32_e32 v5, v7, v5
	v_add_u32_e32 v4, v6, v4
	ds_write_b64 v1, v[4:5]
.LBB228_91:
	s_or_b64 exec, exec, s[8:9]
	v_cmp_gt_u32_e32 vcc, 64, v0
	v_cmp_lt_u32_e64 s[8:9], 63, v0
	s_waitcnt lgkmcnt(0)
	s_barrier
	s_waitcnt lgkmcnt(0)
                                        ; implicit-def: $vgpr21
	s_and_saveexec_b64 s[10:11], s[8:9]
	s_xor_b64 s[8:9], exec, s[10:11]
	s_cbranch_execz .LBB228_93
; %bb.92:
	v_lshl_add_u32 v1, v81, 3, -8
	ds_read_b64 v[20:21], v1
	s_waitcnt lgkmcnt(0)
	v_add_u32_e32 v3, v21, v3
	v_add_u32_e32 v2, v20, v2
.LBB228_93:
	s_andn2_saveexec_b64 s[8:9], s[8:9]
; %bb.94:
                                        ; implicit-def: $vgpr20
; %bb.95:
	s_or_b64 exec, exec, s[8:9]
	v_add_u32_e32 v1, -1, v80
	v_and_b32_e32 v4, 64, v80
	v_cmp_lt_i32_e64 s[8:9], v1, v4
	v_cndmask_b32_e64 v1, v1, v80, s[8:9]
	v_lshlrev_b32_e32 v4, 2, v1
	ds_bpermute_b32 v1, v4, v2
	ds_bpermute_b32 v87, v4, v3
	v_cmp_eq_u32_e64 s[8:9], 0, v80
	s_and_saveexec_b64 s[10:11], vcc
	s_cbranch_execz .LBB228_114
; %bb.96:
	v_mov_b32_e32 v7, 0
	ds_read_b64 v[22:23], v7 offset:24
	s_and_saveexec_b64 s[14:15], s[8:9]
	s_cbranch_execz .LBB228_98
; %bb.97:
	s_add_i32 s16, s6, 64
	s_mov_b32 s17, 0
	s_lshl_b64 s[16:17], s[16:17], 4
	s_waitcnt lgkmcnt(0)
	v_and_b32_e32 v2, 0xff000000, v23
	v_and_b32_e32 v3, 0xff0000, v23
	s_add_u32 s16, s12, s16
	v_or_b32_e32 v2, v3, v2
	v_and_b32_e32 v3, 0xff00, v23
	s_addc_u32 s17, s13, s17
	v_or_b32_e32 v2, v2, v3
	v_or_b32_sdwa v5, v2, v23 dst_sel:DWORD dst_unused:UNUSED_PAD src0_sel:DWORD src1_sel:BYTE_0
	v_mov_b32_e32 v6, 1
	v_mov_b32_e32 v4, v22
	v_pk_mov_b32 v[2:3], s[16:17], s[16:17] op_sel:[0,1]
	;;#ASMSTART
	global_store_dwordx4 v[2:3], v[4:7] off	
s_waitcnt vmcnt(0)
	;;#ASMEND
.LBB228_98:
	s_or_b64 exec, exec, s[14:15]
	v_xad_u32 v24, v80, -1, s6
	v_add_u32_e32 v6, 64, v24
	v_lshlrev_b64 v[2:3], 4, v[6:7]
	v_mov_b32_e32 v4, s13
	v_add_co_u32_e32 v26, vcc, s12, v2
	v_addc_co_u32_e32 v27, vcc, v4, v3, vcc
	;;#ASMSTART
	global_load_dwordx4 v[2:5], v[26:27] off glc	
s_waitcnt vmcnt(0)
	;;#ASMEND
	v_and_b32_e32 v5, 0xff, v3
	v_and_b32_e32 v6, 0xff00, v3
	v_or3_b32 v5, 0, v5, v6
	v_or3_b32 v2, v2, 0, 0
	v_and_b32_e32 v6, 0xff000000, v3
	v_and_b32_e32 v3, 0xff0000, v3
	v_or3_b32 v3, v5, v3, v6
	v_or3_b32 v2, v2, 0, 0
	v_cmp_eq_u16_sdwa s[16:17], v4, v7 src0_sel:BYTE_0 src1_sel:DWORD
	s_and_saveexec_b64 s[14:15], s[16:17]
	s_cbranch_execz .LBB228_102
; %bb.99:
	s_mov_b64 s[16:17], 0
	v_mov_b32_e32 v6, 0
.LBB228_100:                            ; =>This Inner Loop Header: Depth=1
	;;#ASMSTART
	global_load_dwordx4 v[2:5], v[26:27] off glc	
s_waitcnt vmcnt(0)
	;;#ASMEND
	v_cmp_ne_u16_sdwa s[20:21], v4, v6 src0_sel:BYTE_0 src1_sel:DWORD
	s_or_b64 s[16:17], s[20:21], s[16:17]
	s_andn2_b64 exec, exec, s[16:17]
	s_cbranch_execnz .LBB228_100
; %bb.101:
	s_or_b64 exec, exec, s[16:17]
.LBB228_102:
	s_or_b64 exec, exec, s[14:15]
	v_and_b32_e32 v89, 63, v80
	v_cmp_ne_u32_e32 vcc, 63, v89
	v_mov_b32_e32 v88, 2
	v_addc_co_u32_e32 v26, vcc, 0, v80, vcc
	v_cmp_eq_u16_sdwa s[14:15], v4, v88 src0_sel:BYTE_0 src1_sel:DWORD
	v_lshlrev_b64 v[6:7], v80, -1
	v_lshlrev_b32_e32 v90, 2, v26
	v_and_b32_e32 v5, s15, v7
	ds_bpermute_b32 v26, v90, v2
	ds_bpermute_b32 v27, v90, v3
	v_or_b32_e32 v5, 0x80000000, v5
	v_and_b32_e32 v25, s14, v6
	v_ffbl_b32_e32 v5, v5
	v_add_u32_e32 v5, 32, v5
	v_ffbl_b32_e32 v25, v25
	v_min_u32_e32 v5, v25, v5
	s_waitcnt lgkmcnt(1)
	v_add_u32_e32 v25, v26, v2
	s_waitcnt lgkmcnt(0)
	v_add_u32_e32 v26, v27, v3
	v_cmp_lt_u32_e32 vcc, v89, v5
	v_cndmask_b32_e32 v3, v3, v26, vcc
	v_cndmask_b32_e32 v2, v2, v25, vcc
	v_cmp_gt_u32_e32 vcc, 62, v89
	v_cndmask_b32_e64 v25, 0, 1, vcc
	v_lshlrev_b32_e32 v25, 1, v25
	v_add_lshl_u32 v91, v25, v80, 2
	ds_bpermute_b32 v25, v91, v2
	ds_bpermute_b32 v26, v91, v3
	v_add_u32_e32 v92, 2, v89
	v_cmp_gt_u32_e32 vcc, v92, v5
	v_add_u32_e32 v94, 4, v89
	s_waitcnt lgkmcnt(1)
	v_add_u32_e32 v25, v2, v25
	s_waitcnt lgkmcnt(0)
	v_add_u32_e32 v26, v3, v26
	v_cndmask_b32_e32 v3, v26, v3, vcc
	v_cndmask_b32_e32 v2, v25, v2, vcc
	v_cmp_gt_u32_e32 vcc, 60, v89
	v_cndmask_b32_e64 v25, 0, 1, vcc
	v_lshlrev_b32_e32 v25, 2, v25
	v_add_lshl_u32 v93, v25, v80, 2
	ds_bpermute_b32 v25, v93, v2
	ds_bpermute_b32 v26, v93, v3
	v_cmp_gt_u32_e32 vcc, v94, v5
	v_add_u32_e32 v96, 8, v89
	v_add_u32_e32 v98, 16, v89
	s_waitcnt lgkmcnt(1)
	v_add_u32_e32 v25, v2, v25
	s_waitcnt lgkmcnt(0)
	v_add_u32_e32 v26, v3, v26
	v_cndmask_b32_e32 v3, v26, v3, vcc
	v_cndmask_b32_e32 v2, v25, v2, vcc
	v_cmp_gt_u32_e32 vcc, 56, v89
	v_cndmask_b32_e64 v25, 0, 1, vcc
	v_lshlrev_b32_e32 v25, 3, v25
	v_add_lshl_u32 v95, v25, v80, 2
	ds_bpermute_b32 v25, v95, v2
	ds_bpermute_b32 v26, v95, v3
	v_cmp_gt_u32_e32 vcc, v96, v5
	v_add_u32_e32 v100, 32, v89
	s_waitcnt lgkmcnt(1)
	v_add_u32_e32 v25, v2, v25
	s_waitcnt lgkmcnt(0)
	v_add_u32_e32 v26, v3, v26
	v_cndmask_b32_e32 v3, v26, v3, vcc
	v_cndmask_b32_e32 v2, v25, v2, vcc
	v_cmp_gt_u32_e32 vcc, 48, v89
	v_cndmask_b32_e64 v25, 0, 1, vcc
	v_lshlrev_b32_e32 v25, 4, v25
	v_add_lshl_u32 v97, v25, v80, 2
	ds_bpermute_b32 v25, v97, v2
	ds_bpermute_b32 v26, v97, v3
	v_cmp_gt_u32_e32 vcc, v98, v5
	s_waitcnt lgkmcnt(1)
	v_add_u32_e32 v25, v2, v25
	s_waitcnt lgkmcnt(0)
	v_add_u32_e32 v26, v3, v26
	v_cndmask_b32_e32 v3, v26, v3, vcc
	v_cndmask_b32_e32 v2, v25, v2, vcc
	v_cmp_gt_u32_e32 vcc, 32, v89
	v_cndmask_b32_e64 v25, 0, 1, vcc
	v_lshlrev_b32_e32 v25, 5, v25
	v_add_lshl_u32 v99, v25, v80, 2
	ds_bpermute_b32 v25, v99, v2
	ds_bpermute_b32 v26, v99, v3
	v_cmp_le_u32_e32 vcc, v100, v5
	s_waitcnt lgkmcnt(1)
	v_cndmask_b32_e32 v5, 0, v25, vcc
	s_waitcnt lgkmcnt(0)
	v_cndmask_b32_e32 v25, 0, v26, vcc
	v_add_u32_e32 v3, v3, v25
	v_add_u32_e32 v2, v2, v5
	v_mov_b32_e32 v25, 0
	s_branch .LBB228_104
.LBB228_103:                            ;   in Loop: Header=BB228_104 Depth=1
	s_or_b64 exec, exec, s[14:15]
	v_cmp_eq_u16_sdwa s[14:15], v4, v88 src0_sel:BYTE_0 src1_sel:DWORD
	v_and_b32_e32 v5, s15, v7
	ds_bpermute_b32 v29, v90, v2
	ds_bpermute_b32 v101, v90, v3
	v_or_b32_e32 v5, 0x80000000, v5
	v_and_b32_e32 v28, s14, v6
	v_ffbl_b32_e32 v5, v5
	v_add_u32_e32 v5, 32, v5
	v_ffbl_b32_e32 v28, v28
	v_min_u32_e32 v5, v28, v5
	s_waitcnt lgkmcnt(1)
	v_add_u32_e32 v28, v29, v2
	s_waitcnt lgkmcnt(0)
	v_add_u32_e32 v29, v101, v3
	v_cmp_lt_u32_e32 vcc, v89, v5
	v_cndmask_b32_e32 v3, v3, v29, vcc
	v_cndmask_b32_e32 v2, v2, v28, vcc
	ds_bpermute_b32 v28, v91, v2
	ds_bpermute_b32 v29, v91, v3
	v_cmp_gt_u32_e32 vcc, v92, v5
	v_subrev_u32_e32 v24, 64, v24
	s_waitcnt lgkmcnt(1)
	v_add_u32_e32 v28, v2, v28
	s_waitcnt lgkmcnt(0)
	v_add_u32_e32 v29, v3, v29
	v_cndmask_b32_e32 v3, v29, v3, vcc
	v_cndmask_b32_e32 v2, v28, v2, vcc
	ds_bpermute_b32 v28, v93, v2
	ds_bpermute_b32 v29, v93, v3
	v_cmp_gt_u32_e32 vcc, v94, v5
	s_waitcnt lgkmcnt(1)
	v_add_u32_e32 v28, v2, v28
	s_waitcnt lgkmcnt(0)
	v_add_u32_e32 v29, v3, v29
	v_cndmask_b32_e32 v3, v29, v3, vcc
	v_cndmask_b32_e32 v2, v28, v2, vcc
	ds_bpermute_b32 v28, v95, v2
	ds_bpermute_b32 v29, v95, v3
	v_cmp_gt_u32_e32 vcc, v96, v5
	;; [unrolled: 9-line block ×3, first 2 shown]
	s_waitcnt lgkmcnt(1)
	v_add_u32_e32 v28, v2, v28
	s_waitcnt lgkmcnt(0)
	v_add_u32_e32 v29, v3, v29
	v_cndmask_b32_e32 v3, v29, v3, vcc
	v_cndmask_b32_e32 v2, v28, v2, vcc
	ds_bpermute_b32 v28, v99, v2
	ds_bpermute_b32 v29, v99, v3
	v_cmp_le_u32_e32 vcc, v100, v5
	s_waitcnt lgkmcnt(1)
	v_cndmask_b32_e32 v5, 0, v28, vcc
	s_waitcnt lgkmcnt(0)
	v_cndmask_b32_e32 v28, 0, v29, vcc
	v_add3_u32 v3, v28, v27, v3
	v_add3_u32 v2, v5, v26, v2
.LBB228_104:                            ; =>This Loop Header: Depth=1
                                        ;     Child Loop BB228_107 Depth 2
	v_cmp_ne_u16_sdwa s[14:15], v4, v88 src0_sel:BYTE_0 src1_sel:DWORD
	v_cndmask_b32_e64 v4, 0, 1, s[14:15]
	;;#ASMSTART
	;;#ASMEND
	v_cmp_ne_u32_e32 vcc, 0, v4
	s_cmp_lg_u64 vcc, exec
	v_pk_mov_b32 v[26:27], v[2:3], v[2:3] op_sel:[0,1]
	s_cbranch_scc1 .LBB228_109
; %bb.105:                              ;   in Loop: Header=BB228_104 Depth=1
	v_lshlrev_b64 v[2:3], 4, v[24:25]
	v_mov_b32_e32 v4, s13
	v_add_co_u32_e32 v28, vcc, s12, v2
	v_addc_co_u32_e32 v29, vcc, v4, v3, vcc
	;;#ASMSTART
	global_load_dwordx4 v[2:5], v[28:29] off glc	
s_waitcnt vmcnt(0)
	;;#ASMEND
	v_and_b32_e32 v5, 0xff, v3
	v_and_b32_e32 v101, 0xff00, v3
	v_or3_b32 v5, 0, v5, v101
	v_or3_b32 v2, v2, 0, 0
	v_and_b32_e32 v101, 0xff000000, v3
	v_and_b32_e32 v3, 0xff0000, v3
	v_or3_b32 v3, v5, v3, v101
	v_or3_b32 v2, v2, 0, 0
	v_cmp_eq_u16_sdwa s[16:17], v4, v25 src0_sel:BYTE_0 src1_sel:DWORD
	s_and_saveexec_b64 s[14:15], s[16:17]
	s_cbranch_execz .LBB228_103
; %bb.106:                              ;   in Loop: Header=BB228_104 Depth=1
	s_mov_b64 s[16:17], 0
.LBB228_107:                            ;   Parent Loop BB228_104 Depth=1
                                        ; =>  This Inner Loop Header: Depth=2
	;;#ASMSTART
	global_load_dwordx4 v[2:5], v[28:29] off glc	
s_waitcnt vmcnt(0)
	;;#ASMEND
	v_cmp_ne_u16_sdwa s[20:21], v4, v25 src0_sel:BYTE_0 src1_sel:DWORD
	s_or_b64 s[16:17], s[20:21], s[16:17]
	s_andn2_b64 exec, exec, s[16:17]
	s_cbranch_execnz .LBB228_107
; %bb.108:                              ;   in Loop: Header=BB228_104 Depth=1
	s_or_b64 exec, exec, s[16:17]
	s_branch .LBB228_103
.LBB228_109:                            ;   in Loop: Header=BB228_104 Depth=1
                                        ; implicit-def: $vgpr4
                                        ; implicit-def: $vgpr2_vgpr3
	s_cbranch_execz .LBB228_104
; %bb.110:
	s_and_saveexec_b64 s[14:15], s[8:9]
	s_cbranch_execz .LBB228_112
; %bb.111:
	s_add_i32 s6, s6, 64
	s_mov_b32 s7, 0
	v_add_u32_e32 v3, v27, v23
	s_lshl_b64 s[6:7], s[6:7], 4
	s_add_u32 s6, s12, s6
	v_and_b32_e32 v4, 0xff000000, v3
	v_and_b32_e32 v6, 0xff0000, v3
	s_addc_u32 s7, s13, s7
	v_or_b32_e32 v4, v6, v4
	v_and_b32_e32 v6, 0xff00, v3
	v_and_b32_e32 v3, 0xff, v3
	v_add_u32_e32 v2, v26, v22
	v_mov_b32_e32 v5, 0
	v_or3_b32 v3, v4, v6, v3
	v_mov_b32_e32 v4, 2
	v_pk_mov_b32 v[6:7], s[6:7], s[6:7] op_sel:[0,1]
	;;#ASMSTART
	global_store_dwordx4 v[6:7], v[2:5] off	
s_waitcnt vmcnt(0)
	;;#ASMEND
	s_movk_i32 s6, 0x3400
	v_add_u32_e64 v2, s6, 0
	ds_write2_b32 v2, v22, v23 offset1:2
	ds_write2_b32 v2, v26, v27 offset0:4 offset1:6
.LBB228_112:
	s_or_b64 exec, exec, s[14:15]
	v_cmp_eq_u32_e32 vcc, 0, v0
	s_and_b64 exec, exec, vcc
	s_cbranch_execz .LBB228_114
; %bb.113:
	v_mov_b32_e32 v2, 0
	ds_write_b64 v2, v[26:27] offset:24
.LBB228_114:
	s_or_b64 exec, exec, s[10:11]
	v_mov_b32_e32 v2, 0
	s_waitcnt lgkmcnt(0)
	s_barrier
	ds_read_b64 v[6:7], v2 offset:24
	s_movk_i32 s6, 0x3400
	v_cndmask_b32_e64 v2, v87, v21, s[8:9]
	v_cndmask_b32_e64 v1, v1, v20, s[8:9]
	v_add_u32_e64 v4, s6, 0
	s_waitcnt lgkmcnt(0)
	v_add_u32_e32 v20, v6, v1
	v_add_u32_e32 v1, v7, v2
	s_barrier
	ds_read2_b32 v[2:3], v4 offset1:2
	ds_read2_b32 v[4:5], v4 offset0:4 offset1:6
	v_cmp_eq_u32_e32 vcc, 0, v0
	v_cndmask_b32_e32 v1, v1, v7, vcc
	v_cndmask_b32_e32 v20, v20, v6, vcc
	s_branch .LBB228_125
.LBB228_115:
                                        ; implicit-def: $vgpr1
                                        ; implicit-def: $vgpr4
                                        ; implicit-def: $vgpr2
                                        ; implicit-def: $vgpr20_vgpr21
	s_cbranch_execz .LBB228_125
; %bb.116:
	s_nop 0
	v_mov_b32_dpp v1, v85 row_shr:1 row_mask:0xf bank_mask:0xf
	s_waitcnt lgkmcnt(0)
	v_mov_b32_dpp v2, v86 row_shr:1 row_mask:0xf bank_mask:0xf
	v_add_u32_e32 v1, v1, v85
	v_add_u32_e32 v2, v2, v86
	v_cndmask_b32_e64 v2, v2, v86, s[4:5]
	v_cndmask_b32_e64 v1, v1, v85, s[4:5]
	v_cmp_lt_u32_e32 vcc, 3, v84
	v_mov_b32_dpp v4, v2 row_shr:2 row_mask:0xf bank_mask:0xf
	v_mov_b32_dpp v3, v1 row_shr:2 row_mask:0xf bank_mask:0xf
	v_add_u32_e32 v3, v1, v3
	v_add_u32_e32 v4, v2, v4
	v_cndmask_b32_e64 v2, v2, v4, s[2:3]
	v_cndmask_b32_e64 v1, v1, v3, s[2:3]
	s_nop 0
	v_mov_b32_dpp v4, v2 row_shr:4 row_mask:0xf bank_mask:0xf
	v_mov_b32_dpp v3, v1 row_shr:4 row_mask:0xf bank_mask:0xf
	v_add_u32_e32 v3, v1, v3
	v_add_u32_e32 v4, v2, v4
	v_cndmask_b32_e32 v2, v2, v4, vcc
	v_cndmask_b32_e32 v1, v1, v3, vcc
	v_cmp_lt_u32_e32 vcc, 7, v84
	v_mov_b32_dpp v4, v2 row_shr:8 row_mask:0xf bank_mask:0xf
	v_mov_b32_dpp v3, v1 row_shr:8 row_mask:0xf bank_mask:0xf
	v_add_u32_e32 v3, v1, v3
	v_add_u32_e32 v4, v2, v4
	v_cndmask_b32_e32 v2, v2, v4, vcc
	v_cndmask_b32_e32 v1, v1, v3, vcc
	v_cmp_eq_u32_e32 vcc, 0, v83
	v_mov_b32_dpp v4, v2 row_bcast:15 row_mask:0xf bank_mask:0xf
	v_mov_b32_dpp v3, v1 row_bcast:15 row_mask:0xf bank_mask:0xf
	v_add_u32_e32 v3, v1, v3
	v_add_u32_e32 v4, v2, v4
	v_cndmask_b32_e32 v2, v4, v2, vcc
	v_cndmask_b32_e32 v1, v3, v1, vcc
	v_cmp_lt_u32_e32 vcc, 31, v80
	v_mov_b32_dpp v4, v2 row_bcast:31 row_mask:0xf bank_mask:0xf
	v_mov_b32_dpp v3, v1 row_bcast:31 row_mask:0xf bank_mask:0xf
	v_add_u32_e32 v4, v2, v4
	v_add_u32_e32 v5, v1, v3
	v_cndmask_b32_e32 v3, v2, v4, vcc
	v_cndmask_b32_e32 v2, v1, v5, vcc
	v_cmp_eq_u32_e32 vcc, v82, v0
	s_and_saveexec_b64 s[2:3], vcc
	s_cbranch_execz .LBB228_118
; %bb.117:
	v_lshlrev_b32_e32 v1, 3, v81
	ds_write_b64 v1, v[2:3]
.LBB228_118:
	s_or_b64 exec, exec, s[2:3]
	v_cmp_gt_u32_e32 vcc, 4, v0
	s_waitcnt lgkmcnt(0)
	s_barrier
	s_and_saveexec_b64 s[2:3], vcc
	s_cbranch_execz .LBB228_120
; %bb.119:
	v_lshlrev_b32_e32 v1, 3, v0
	ds_read_b64 v[4:5], v1
	v_and_b32_e32 v6, 3, v80
	v_cmp_eq_u32_e32 vcc, 0, v6
	s_waitcnt lgkmcnt(0)
	v_mov_b32_dpp v7, v4 row_shr:1 row_mask:0xf bank_mask:0xf
	v_mov_b32_dpp v20, v5 row_shr:1 row_mask:0xf bank_mask:0xf
	v_add_u32_e32 v7, v7, v4
	v_add_u32_e32 v20, v20, v5
	v_cndmask_b32_e32 v5, v20, v5, vcc
	v_cndmask_b32_e32 v4, v7, v4, vcc
	v_cmp_lt_u32_e32 vcc, 1, v6
	v_mov_b32_dpp v20, v5 row_shr:2 row_mask:0xf bank_mask:0xf
	v_mov_b32_dpp v7, v4 row_shr:2 row_mask:0xf bank_mask:0xf
	v_cndmask_b32_e32 v6, 0, v7, vcc
	v_cndmask_b32_e32 v7, 0, v20, vcc
	v_add_u32_e32 v5, v7, v5
	v_add_u32_e32 v4, v6, v4
	ds_write_b64 v1, v[4:5]
.LBB228_120:
	s_or_b64 exec, exec, s[2:3]
	v_cmp_lt_u32_e32 vcc, 63, v0
	v_mov_b32_e32 v4, 0
	v_mov_b32_e32 v6, 0
	;; [unrolled: 1-line block ×3, first 2 shown]
	s_waitcnt lgkmcnt(0)
	s_barrier
	s_and_saveexec_b64 s[2:3], vcc
	s_cbranch_execz .LBB228_122
; %bb.121:
	v_lshl_add_u32 v1, v81, 3, -8
	ds_read_b64 v[6:7], v1
.LBB228_122:
	s_or_b64 exec, exec, s[2:3]
	s_waitcnt lgkmcnt(0)
	v_add_u32_e32 v5, v7, v3
	v_add_u32_e32 v1, v6, v2
	v_add_u32_e32 v2, -1, v80
	v_and_b32_e32 v3, 64, v80
	v_cmp_lt_i32_e32 vcc, v2, v3
	v_cndmask_b32_e32 v2, v2, v80, vcc
	v_lshlrev_b32_e32 v20, 2, v2
	ds_read_b64 v[2:3], v4 offset:24
	ds_bpermute_b32 v1, v20, v1
	ds_bpermute_b32 v20, v20, v5
	v_cmp_eq_u32_e32 vcc, 0, v0
	s_waitcnt lgkmcnt(2)
	v_readfirstlane_b32 s4, v3
	s_and_saveexec_b64 s[2:3], vcc
	s_cbranch_execz .LBB228_124
; %bb.123:
	s_add_u32 s6, s12, 0x400
	s_mov_b32 s8, 0
	s_addc_u32 s7, s13, 0
	s_and_b32 s9, s4, 0xff000000
	s_and_b32 s11, s4, 0xff0000
	s_mov_b32 s10, s8
	s_or_b64 s[10:11], s[10:11], s[8:9]
	s_and_b32 s9, s4, 0xff00
	s_or_b64 s[10:11], s[10:11], s[8:9]
	s_and_b32 s9, s4, 0xff
	s_or_b64 s[8:9], s[10:11], s[8:9]
	v_mov_b32_e32 v3, s9
	v_mov_b32_e32 v4, 2
	v_mov_b32_e32 v5, 0
	v_pk_mov_b32 v[22:23], s[6:7], s[6:7] op_sel:[0,1]
	;;#ASMSTART
	global_store_dwordx4 v[22:23], v[2:5] off	
s_waitcnt vmcnt(0)
	;;#ASMEND
.LBB228_124:
	s_or_b64 exec, exec, s[2:3]
	v_cmp_eq_u32_e64 s[2:3], 0, v80
	s_waitcnt lgkmcnt(1)
	v_cndmask_b32_e64 v3, v1, v6, s[2:3]
	s_waitcnt lgkmcnt(0)
	v_cndmask_b32_e64 v1, v20, v7, s[2:3]
	v_mov_b32_e32 v4, 0
	v_cndmask_b32_e64 v1, v1, 0, vcc
	v_cndmask_b32_e64 v20, v3, 0, vcc
	s_barrier
	v_mov_b32_e32 v3, s4
	v_mov_b32_e32 v5, 0
.LBB228_125:
	v_add_u32_e32 v24, v1, v63
	v_add_u32_e32 v25, v24, v74
	v_add_u32_e32 v21, v20, v62
	v_add_u32_e32 v28, v25, v65
	v_add_u32_e32 v26, v21, v56
	v_add_u32_e32 v29, v28, v75
	v_add_u32_e32 v27, v26, v64
	v_add_u32_e32 v62, v29, v67
	v_add_u32_e32 v56, v27, v57
	v_add_u32_e32 v63, v62, v76
	v_add_u32_e32 v57, v56, v66
	v_add_u32_e32 v65, v63, v69
	v_add_u32_e32 v58, v57, v58
	v_add_u32_e32 v66, v65, v77
	v_mov_b32_e32 v7, s49
	s_waitcnt lgkmcnt(0)
	v_add_co_u32_e32 v6, vcc, s48, v4
	v_add_u32_e32 v64, v58, v68
	v_add_u32_e32 v68, v66, v71
	v_addc_co_u32_e32 v7, vcc, 0, v7, vcc
	v_add_u32_e32 v69, v68, v78
	v_mov_b32_e32 v22, s51
	v_sub_co_u32_e32 v23, vcc, s50, v2
	v_add_u32_e32 v71, v69, v73
	v_subbrev_co_u32_e32 v73, vcc, 0, v22, vcc
	v_add_co_u32_e32 v22, vcc, v23, v5
	v_addc_co_u32_e32 v23, vcc, 0, v73, vcc
	v_lshlrev_b32_e32 v73, 1, v2
	v_sub_u32_e32 v1, v1, v5
	v_add_u32_e32 v74, v73, v3
	v_sub_u32_e32 v20, v20, v4
	v_add_u32_e32 v1, v1, v2
	v_add_u32_e32 v31, v74, v31
	v_and_b32_e32 v33, 1, v33
	v_add_u32_e32 v74, v20, v1
	v_and_b32_e32 v32, 1, v32
	v_sub_u32_e32 v74, v31, v74
	v_cmp_eq_u32_e32 vcc, 1, v33
	v_cndmask_b32_e32 v1, v74, v1, vcc
	v_cmp_eq_u32_e32 vcc, 1, v32
	v_cndmask_b32_e32 v1, v1, v20, vcc
	v_lshlrev_b32_e32 v1, 2, v1
	v_sub_u32_e32 v20, v24, v5
	ds_write_b32 v1, v18
	v_sub_u32_e32 v1, v21, v4
	v_add_u32_e32 v20, v20, v2
	v_add_u32_e32 v24, v20, v1
	v_and_b32_e32 v21, 1, v35
	v_sub_u32_e32 v24, v31, v24
	v_and_b32_e32 v18, 1, v34
	v_add_u32_e32 v24, 1, v24
	v_cmp_eq_u32_e32 vcc, 1, v21
	v_cndmask_b32_e32 v20, v24, v20, vcc
	v_cmp_eq_u32_e32 vcc, 1, v18
	v_cndmask_b32_e32 v1, v20, v1, vcc
	v_lshlrev_b32_e32 v1, 2, v1
	ds_write_b32 v1, v19
	v_sub_u32_e32 v19, v25, v5
	v_sub_u32_e32 v1, v26, v4
	v_add_u32_e32 v19, v19, v2
	v_add_u32_e32 v21, v19, v1
	v_and_b32_e32 v20, 1, v37
	v_sub_u32_e32 v21, v31, v21
	v_and_b32_e32 v18, 1, v36
	v_add_u32_e32 v21, 2, v21
	v_cmp_eq_u32_e32 vcc, 1, v20
	v_cndmask_b32_e32 v19, v21, v19, vcc
	v_cmp_eq_u32_e32 vcc, 1, v18
	v_cndmask_b32_e32 v1, v19, v1, vcc
	v_lshlrev_b32_e32 v1, 2, v1
	v_sub_u32_e32 v18, v28, v5
	ds_write_b32 v1, v16
	v_sub_u32_e32 v1, v27, v4
	v_add_u32_e32 v18, v18, v2
	v_add_u32_e32 v20, v1, v18
	v_and_b32_e32 v19, 1, v38
	v_sub_u32_e32 v20, v31, v20
	v_and_b32_e32 v16, 1, v39
	v_add_u32_e32 v20, 3, v20
	v_cmp_eq_u32_e32 vcc, 1, v19
	v_cndmask_b32_e32 v18, v20, v18, vcc
	v_cmp_eq_u32_e32 vcc, 1, v16
	v_cndmask_b32_e32 v1, v18, v1, vcc
	v_lshlrev_b32_e32 v1, 2, v1
	ds_write_b32 v1, v17
	v_sub_u32_e32 v17, v29, v5
	v_sub_u32_e32 v1, v56, v4
	v_add_u32_e32 v17, v17, v2
	v_add_u32_e32 v19, v1, v17
	v_and_b32_e32 v18, 1, v40
	v_sub_u32_e32 v19, v31, v19
	v_and_b32_e32 v16, 1, v41
	v_add_u32_e32 v19, 4, v19
	;; [unrolled: 28-line block ×3, first 2 shown]
	v_cmp_eq_u32_e32 vcc, 1, v16
	v_cndmask_b32_e32 v15, v17, v15, vcc
	v_cmp_eq_u32_e32 vcc, 1, v14
	v_cndmask_b32_e32 v1, v15, v1, vcc
	v_lshlrev_b32_e32 v1, 2, v1
	v_sub_u32_e32 v14, v65, v5
	ds_write_b32 v1, v12
	v_sub_u32_e32 v1, v64, v4
	v_add_u32_e32 v14, v14, v2
	v_add_u32_e32 v16, v1, v14
	v_and_b32_e32 v15, 1, v46
	v_sub_u32_e32 v16, v31, v16
	v_and_b32_e32 v12, 1, v47
	v_add_u32_e32 v16, 7, v16
	v_cmp_eq_u32_e32 vcc, 1, v15
	v_cndmask_b32_e32 v14, v16, v14, vcc
	v_cmp_eq_u32_e32 vcc, 1, v12
	v_cndmask_b32_e32 v1, v14, v1, vcc
	v_lshlrev_b32_e32 v1, 2, v1
	v_add_u32_e32 v59, v64, v59
	ds_write_b32 v1, v13
	v_sub_u32_e32 v13, v66, v5
	v_sub_u32_e32 v1, v59, v4
	v_add_u32_e32 v13, v13, v2
	v_add_u32_e32 v15, v1, v13
	v_and_b32_e32 v14, 1, v48
	v_sub_u32_e32 v15, v31, v15
	v_and_b32_e32 v12, 1, v49
	v_add_u32_e32 v15, 8, v15
	v_cmp_eq_u32_e32 vcc, 1, v14
	v_cndmask_b32_e32 v13, v15, v13, vcc
	v_cmp_eq_u32_e32 vcc, 1, v12
	v_cndmask_b32_e32 v1, v13, v1, vcc
	v_add_u32_e32 v67, v59, v70
	v_lshlrev_b32_e32 v1, 2, v1
	v_sub_u32_e32 v12, v68, v5
	ds_write_b32 v1, v10
	v_sub_u32_e32 v1, v67, v4
	v_add_u32_e32 v12, v12, v2
	v_add_u32_e32 v14, v1, v12
	v_and_b32_e32 v13, 1, v50
	v_sub_u32_e32 v14, v31, v14
	v_and_b32_e32 v10, 1, v51
	v_add_u32_e32 v14, 9, v14
	v_cmp_eq_u32_e32 vcc, 1, v13
	v_cndmask_b32_e32 v12, v14, v12, vcc
	v_cmp_eq_u32_e32 vcc, 1, v10
	v_cndmask_b32_e32 v1, v12, v1, vcc
	v_lshlrev_b32_e32 v1, 2, v1
	v_add_u32_e32 v60, v67, v60
	ds_write_b32 v1, v11
	v_sub_u32_e32 v11, v69, v5
	v_sub_u32_e32 v1, v60, v4
	v_add_u32_e32 v11, v11, v2
	v_add_u32_e32 v13, v1, v11
	v_and_b32_e32 v12, 1, v52
	v_sub_u32_e32 v13, v31, v13
	v_and_b32_e32 v10, 1, v53
	v_add_u32_e32 v13, 10, v13
	v_cmp_eq_u32_e32 vcc, 1, v12
	v_cndmask_b32_e32 v11, v13, v11, vcc
	v_cmp_eq_u32_e32 vcc, 1, v10
	v_cndmask_b32_e32 v1, v11, v1, vcc
	v_add_u32_e32 v70, v60, v72
	v_lshlrev_b32_e32 v1, 2, v1
	v_sub_u32_e32 v10, v71, v5
	ds_write_b32 v1, v8
	v_sub_u32_e32 v1, v70, v4
	v_add_u32_e32 v10, v10, v2
	v_add_u32_e32 v12, v1, v10
	v_and_b32_e32 v11, 1, v54
	v_sub_u32_e32 v12, v31, v12
	v_and_b32_e32 v8, 1, v55
	v_add_u32_e32 v12, 11, v12
	v_cmp_eq_u32_e32 vcc, 1, v11
	v_cndmask_b32_e32 v10, v12, v10, vcc
	v_cmp_eq_u32_e32 vcc, 1, v8
	v_cndmask_b32_e32 v1, v10, v1, vcc
	v_add_u32_e32 v72, v71, v79
	v_add_u32_e32 v61, v70, v61
	v_lshlrev_b32_e32 v1, 2, v1
	ds_write_b32 v1, v9
	v_sub_u32_e32 v1, v61, v4
	v_sub_u32_e32 v4, v72, v5
	v_add_u32_e32 v4, v4, v2
	v_add_u32_e32 v8, v1, v4
	v_sub_u32_e32 v8, v31, v8
	v_add_u32_e32 v8, 12, v8
	v_cndmask_b32_e64 v4, v8, v4, s[58:59]
	v_cndmask_b32_e64 v1, v4, v1, s[46:47]
	v_lshlrev_b32_e32 v1, 2, v1
	ds_write_b32 v1, v30
	v_add_co_u32_e32 v1, vcc, v3, v73
	v_addc_co_u32_e64 v4, s[2:3], 0, 0, vcc
	v_add_co_u32_e32 v1, vcc, v1, v22
	v_addc_co_u32_e32 v4, vcc, v4, v23, vcc
	s_add_u32 s4, s56, s33
	v_add_co_u32_e32 v1, vcc, v1, v6
	s_addc_u32 s5, s57, 0
	v_addc_co_u32_e32 v4, vcc, v4, v7, vcc
	v_mov_b32_e32 v8, s5
	v_sub_co_u32_e32 v1, vcc, s4, v1
	v_subb_co_u32_e32 v4, vcc, v8, v4, vcc
	v_lshlrev_b64 v[8:9], 2, v[22:23]
	v_mov_b32_e32 v10, s55
	v_add_co_u32_e32 v8, vcc, s54, v8
	v_addc_co_u32_e32 v9, vcc, v10, v9, vcc
	v_lshlrev_b64 v[10:11], 2, v[6:7]
	v_mov_b32_e32 v13, s53
	v_add_co_u32_e32 v10, vcc, s52, v10
	s_add_u32 s6, s34, -4
	v_addc_co_u32_e32 v11, vcc, v13, v11, vcc
	s_addc_u32 s7, s35, -1
	v_add_u32_e32 v12, v2, v3
	s_and_b64 vcc, exec, s[0:1]
	s_mov_b64 s[0:1], -1
	s_waitcnt lgkmcnt(0)
	s_barrier
	s_cbranch_vccz .LBB228_129
; %bb.126:
	s_and_b64 vcc, exec, s[0:1]
	s_cbranch_vccnz .LBB228_234
.LBB228_127:
	v_cmp_eq_u32_e32 vcc, 0, v0
	s_and_b64 s[0:1], vcc, s[30:31]
	s_and_saveexec_b64 s[2:3], s[0:1]
	s_cbranch_execnz .LBB228_352
.LBB228_128:
	s_endpgm
.LBB228_129:
	v_cmp_le_u32_e32 vcc, v2, v0
	s_and_saveexec_b64 s[0:1], vcc
	s_xor_b64 s[0:1], exec, s[0:1]
	s_cbranch_execz .LBB228_135
; %bb.130:
	v_cmp_le_u32_e32 vcc, v12, v0
	s_and_saveexec_b64 s[2:3], vcc
	s_xor_b64 s[2:3], exec, s[2:3]
	s_cbranch_execz .LBB228_132
; %bb.131:
	v_lshlrev_b32_e32 v13, 2, v0
	v_add_co_u32_e32 v14, vcc, v1, v0
	ds_read_b32 v13, v13
	v_addc_co_u32_e32 v15, vcc, 0, v4, vcc
	v_lshlrev_b64 v[14:15], 2, v[14:15]
	v_mov_b32_e32 v16, s35
	v_sub_co_u32_e32 v14, vcc, s34, v14
	v_subb_co_u32_e32 v15, vcc, v16, v15, vcc
	s_waitcnt lgkmcnt(0)
	global_store_dword v[14:15], v13, off offset:-4
.LBB228_132:
	s_andn2_saveexec_b64 s[2:3], s[2:3]
	s_cbranch_execz .LBB228_134
; %bb.133:
	v_lshlrev_b32_e32 v13, 2, v0
	ds_read_b32 v14, v13
	v_readfirstlane_b32 s4, v8
	v_readfirstlane_b32 s5, v9
	s_waitcnt lgkmcnt(0)
	s_nop 3
	global_store_dword v13, v14, s[4:5]
.LBB228_134:
	s_or_b64 exec, exec, s[2:3]
.LBB228_135:
	s_andn2_saveexec_b64 s[0:1], s[0:1]
	s_cbranch_execz .LBB228_137
; %bb.136:
	v_lshlrev_b32_e32 v13, 2, v0
	ds_read_b32 v14, v13
	v_readfirstlane_b32 s2, v10
	v_readfirstlane_b32 s3, v11
	s_waitcnt lgkmcnt(0)
	s_nop 3
	global_store_dword v13, v14, s[2:3]
.LBB228_137:
	s_or_b64 exec, exec, s[0:1]
	v_or_b32_e32 v13, 0x100, v0
	v_cmp_le_u32_e32 vcc, v2, v13
	s_and_saveexec_b64 s[0:1], vcc
	s_xor_b64 s[0:1], exec, s[0:1]
	s_cbranch_execz .LBB228_143
; %bb.138:
	v_cmp_le_u32_e32 vcc, v12, v13
	s_and_saveexec_b64 s[2:3], vcc
	s_xor_b64 s[2:3], exec, s[2:3]
	s_cbranch_execz .LBB228_140
; %bb.139:
	v_lshlrev_b32_e32 v13, 2, v0
	ds_read_b32 v13, v13 offset:1024
	v_add_co_u32_e32 v14, vcc, v1, v0
	v_addc_co_u32_e32 v15, vcc, 0, v4, vcc
	v_lshlrev_b64 v[14:15], 2, v[14:15]
	v_mov_b32_e32 v16, s7
	v_sub_co_u32_e32 v14, vcc, s6, v14
	v_subb_co_u32_e32 v15, vcc, v16, v15, vcc
	s_waitcnt lgkmcnt(0)
	global_store_dword v[14:15], v13, off offset:-1024
.LBB228_140:
	s_andn2_saveexec_b64 s[2:3], s[2:3]
	s_cbranch_execz .LBB228_142
; %bb.141:
	v_lshlrev_b32_e32 v13, 2, v0
	ds_read_b32 v14, v13 offset:1024
	v_readfirstlane_b32 s4, v8
	v_readfirstlane_b32 s5, v9
	s_waitcnt lgkmcnt(0)
	s_nop 3
	global_store_dword v13, v14, s[4:5] offset:1024
.LBB228_142:
	s_or_b64 exec, exec, s[2:3]
.LBB228_143:
	s_andn2_saveexec_b64 s[0:1], s[0:1]
	s_cbranch_execz .LBB228_145
; %bb.144:
	v_lshlrev_b32_e32 v13, 2, v0
	ds_read_b32 v14, v13 offset:1024
	v_readfirstlane_b32 s2, v10
	v_readfirstlane_b32 s3, v11
	s_waitcnt lgkmcnt(0)
	s_nop 3
	global_store_dword v13, v14, s[2:3] offset:1024
.LBB228_145:
	s_or_b64 exec, exec, s[0:1]
	v_or_b32_e32 v13, 0x200, v0
	v_cmp_le_u32_e32 vcc, v2, v13
	s_and_saveexec_b64 s[0:1], vcc
	s_xor_b64 s[0:1], exec, s[0:1]
	s_cbranch_execz .LBB228_151
; %bb.146:
	v_cmp_le_u32_e32 vcc, v12, v13
	s_and_saveexec_b64 s[2:3], vcc
	s_xor_b64 s[2:3], exec, s[2:3]
	s_cbranch_execz .LBB228_148
; %bb.147:
	v_lshlrev_b32_e32 v13, 2, v0
	ds_read_b32 v13, v13 offset:2048
	v_add_co_u32_e32 v14, vcc, v1, v0
	v_addc_co_u32_e32 v15, vcc, 0, v4, vcc
	v_lshlrev_b64 v[14:15], 2, v[14:15]
	v_mov_b32_e32 v16, s7
	v_sub_co_u32_e32 v14, vcc, s6, v14
	v_subb_co_u32_e32 v15, vcc, v16, v15, vcc
	s_waitcnt lgkmcnt(0)
	global_store_dword v[14:15], v13, off offset:-2048
.LBB228_148:
	s_andn2_saveexec_b64 s[2:3], s[2:3]
	s_cbranch_execz .LBB228_150
; %bb.149:
	v_lshlrev_b32_e32 v13, 2, v0
	ds_read_b32 v14, v13 offset:2048
	v_readfirstlane_b32 s4, v8
	v_readfirstlane_b32 s5, v9
	s_waitcnt lgkmcnt(0)
	s_nop 3
	global_store_dword v13, v14, s[4:5] offset:2048
.LBB228_150:
	s_or_b64 exec, exec, s[2:3]
.LBB228_151:
	s_andn2_saveexec_b64 s[0:1], s[0:1]
	s_cbranch_execz .LBB228_153
; %bb.152:
	v_lshlrev_b32_e32 v13, 2, v0
	ds_read_b32 v14, v13 offset:2048
	v_readfirstlane_b32 s2, v10
	v_readfirstlane_b32 s3, v11
	s_waitcnt lgkmcnt(0)
	s_nop 3
	global_store_dword v13, v14, s[2:3] offset:2048
.LBB228_153:
	;; [unrolled: 47-line block ×3, first 2 shown]
	s_or_b64 exec, exec, s[0:1]
	v_or_b32_e32 v13, 0x400, v0
	v_cmp_le_u32_e32 vcc, v2, v13
	s_and_saveexec_b64 s[0:1], vcc
	s_xor_b64 s[0:1], exec, s[0:1]
	s_cbranch_execz .LBB228_167
; %bb.162:
	v_cmp_le_u32_e32 vcc, v12, v13
	s_and_saveexec_b64 s[2:3], vcc
	s_xor_b64 s[2:3], exec, s[2:3]
	s_cbranch_execz .LBB228_164
; %bb.163:
	v_lshlrev_b32_e32 v13, 2, v0
	ds_read_b32 v13, v13 offset:4096
	v_add_co_u32_e32 v14, vcc, v1, v0
	v_addc_co_u32_e32 v15, vcc, 0, v4, vcc
	v_lshlrev_b64 v[14:15], 2, v[14:15]
	v_mov_b32_e32 v16, s7
	v_sub_co_u32_e32 v14, vcc, s6, v14
	v_subb_co_u32_e32 v15, vcc, v16, v15, vcc
	s_waitcnt lgkmcnt(0)
	global_store_dword v[14:15], v13, off offset:-4096
                                        ; implicit-def: $vgpr13
.LBB228_164:
	s_andn2_saveexec_b64 s[2:3], s[2:3]
	s_cbranch_execz .LBB228_166
; %bb.165:
	v_lshlrev_b32_e32 v14, 2, v0
	ds_read_b32 v14, v14 offset:4096
	v_lshlrev_b32_e32 v13, 2, v13
	v_readfirstlane_b32 s4, v8
	v_readfirstlane_b32 s5, v9
	s_waitcnt lgkmcnt(0)
	s_nop 3
	global_store_dword v13, v14, s[4:5]
.LBB228_166:
	s_or_b64 exec, exec, s[2:3]
                                        ; implicit-def: $vgpr13
.LBB228_167:
	s_andn2_saveexec_b64 s[0:1], s[0:1]
	s_cbranch_execz .LBB228_169
; %bb.168:
	v_lshlrev_b32_e32 v14, 2, v0
	ds_read_b32 v14, v14 offset:4096
	v_lshlrev_b32_e32 v13, 2, v13
	v_readfirstlane_b32 s2, v10
	v_readfirstlane_b32 s3, v11
	s_waitcnt lgkmcnt(0)
	s_nop 3
	global_store_dword v13, v14, s[2:3]
.LBB228_169:
	s_or_b64 exec, exec, s[0:1]
	v_or_b32_e32 v13, 0x500, v0
	v_cmp_le_u32_e32 vcc, v2, v13
	s_and_saveexec_b64 s[0:1], vcc
	s_xor_b64 s[0:1], exec, s[0:1]
	s_cbranch_execz .LBB228_175
; %bb.170:
	v_cmp_le_u32_e32 vcc, v12, v13
	s_and_saveexec_b64 s[2:3], vcc
	s_xor_b64 s[2:3], exec, s[2:3]
	s_cbranch_execz .LBB228_172
; %bb.171:
	v_add_co_u32_e32 v14, vcc, v1, v13
	v_lshlrev_b32_e32 v13, 2, v0
	ds_read_b32 v13, v13 offset:5120
	v_addc_co_u32_e32 v15, vcc, 0, v4, vcc
	v_lshlrev_b64 v[14:15], 2, v[14:15]
	v_mov_b32_e32 v16, s7
	v_sub_co_u32_e32 v14, vcc, s6, v14
	v_subb_co_u32_e32 v15, vcc, v16, v15, vcc
	s_waitcnt lgkmcnt(0)
	global_store_dword v[14:15], v13, off
                                        ; implicit-def: $vgpr13
.LBB228_172:
	s_andn2_saveexec_b64 s[2:3], s[2:3]
	s_cbranch_execz .LBB228_174
; %bb.173:
	v_lshlrev_b32_e32 v14, 2, v0
	ds_read_b32 v14, v14 offset:5120
	v_lshlrev_b32_e32 v13, 2, v13
	v_readfirstlane_b32 s4, v8
	v_readfirstlane_b32 s5, v9
	s_waitcnt lgkmcnt(0)
	s_nop 3
	global_store_dword v13, v14, s[4:5]
.LBB228_174:
	s_or_b64 exec, exec, s[2:3]
                                        ; implicit-def: $vgpr13
.LBB228_175:
	s_andn2_saveexec_b64 s[0:1], s[0:1]
	s_cbranch_execz .LBB228_177
; %bb.176:
	v_lshlrev_b32_e32 v14, 2, v0
	ds_read_b32 v14, v14 offset:5120
	v_lshlrev_b32_e32 v13, 2, v13
	v_readfirstlane_b32 s2, v10
	v_readfirstlane_b32 s3, v11
	s_waitcnt lgkmcnt(0)
	s_nop 3
	global_store_dword v13, v14, s[2:3]
.LBB228_177:
	s_or_b64 exec, exec, s[0:1]
	v_or_b32_e32 v13, 0x600, v0
	v_cmp_le_u32_e32 vcc, v2, v13
	s_and_saveexec_b64 s[0:1], vcc
	s_xor_b64 s[0:1], exec, s[0:1]
	s_cbranch_execz .LBB228_183
; %bb.178:
	v_cmp_le_u32_e32 vcc, v12, v13
	s_and_saveexec_b64 s[2:3], vcc
	s_xor_b64 s[2:3], exec, s[2:3]
	s_cbranch_execz .LBB228_180
; %bb.179:
	v_add_co_u32_e32 v14, vcc, v1, v13
	v_lshlrev_b32_e32 v13, 2, v0
	ds_read_b32 v13, v13 offset:6144
	v_addc_co_u32_e32 v15, vcc, 0, v4, vcc
	v_lshlrev_b64 v[14:15], 2, v[14:15]
	v_mov_b32_e32 v16, s7
	v_sub_co_u32_e32 v14, vcc, s6, v14
	v_subb_co_u32_e32 v15, vcc, v16, v15, vcc
	s_waitcnt lgkmcnt(0)
	global_store_dword v[14:15], v13, off
                                        ; implicit-def: $vgpr13
.LBB228_180:
	s_andn2_saveexec_b64 s[2:3], s[2:3]
	s_cbranch_execz .LBB228_182
; %bb.181:
	v_lshlrev_b32_e32 v14, 2, v0
	ds_read_b32 v14, v14 offset:6144
	v_lshlrev_b32_e32 v13, 2, v13
	v_readfirstlane_b32 s4, v8
	v_readfirstlane_b32 s5, v9
	s_waitcnt lgkmcnt(0)
	s_nop 3
	global_store_dword v13, v14, s[4:5]
.LBB228_182:
	s_or_b64 exec, exec, s[2:3]
                                        ; implicit-def: $vgpr13
.LBB228_183:
	;; [unrolled: 51-line block ×8, first 2 shown]
	s_andn2_saveexec_b64 s[0:1], s[0:1]
	s_cbranch_execz .LBB228_233
; %bb.232:
	v_lshlrev_b32_e32 v14, 2, v0
	ds_read_b32 v14, v14 offset:12288
	v_lshlrev_b32_e32 v13, 2, v13
	v_readfirstlane_b32 s2, v10
	v_readfirstlane_b32 s3, v11
	s_waitcnt lgkmcnt(0)
	s_nop 3
	global_store_dword v13, v14, s[2:3]
.LBB228_233:
	s_or_b64 exec, exec, s[0:1]
	s_branch .LBB228_127
.LBB228_234:
	v_cmp_gt_u32_e32 vcc, s18, v0
	s_and_saveexec_b64 s[0:1], vcc
	s_cbranch_execz .LBB228_243
; %bb.235:
	v_cmp_le_u32_e32 vcc, v2, v0
	s_and_saveexec_b64 s[2:3], vcc
	s_xor_b64 s[2:3], exec, s[2:3]
	s_cbranch_execz .LBB228_241
; %bb.236:
	v_cmp_le_u32_e32 vcc, v12, v0
	s_and_saveexec_b64 s[4:5], vcc
	s_xor_b64 s[4:5], exec, s[4:5]
	s_cbranch_execz .LBB228_238
; %bb.237:
	v_lshlrev_b32_e32 v13, 2, v0
	v_add_co_u32_e32 v14, vcc, v1, v0
	ds_read_b32 v13, v13
	v_addc_co_u32_e32 v15, vcc, 0, v4, vcc
	v_lshlrev_b64 v[14:15], 2, v[14:15]
	v_mov_b32_e32 v16, s35
	v_sub_co_u32_e32 v14, vcc, s34, v14
	v_subb_co_u32_e32 v15, vcc, v16, v15, vcc
	s_waitcnt lgkmcnt(0)
	global_store_dword v[14:15], v13, off offset:-4
.LBB228_238:
	s_andn2_saveexec_b64 s[4:5], s[4:5]
	s_cbranch_execz .LBB228_240
; %bb.239:
	v_lshlrev_b32_e32 v13, 2, v0
	ds_read_b32 v14, v13
	v_readfirstlane_b32 s8, v8
	v_readfirstlane_b32 s9, v9
	s_waitcnt lgkmcnt(0)
	s_nop 3
	global_store_dword v13, v14, s[8:9]
.LBB228_240:
	s_or_b64 exec, exec, s[4:5]
.LBB228_241:
	s_andn2_saveexec_b64 s[2:3], s[2:3]
	s_cbranch_execz .LBB228_243
; %bb.242:
	v_lshlrev_b32_e32 v13, 2, v0
	ds_read_b32 v14, v13
	v_readfirstlane_b32 s2, v10
	v_readfirstlane_b32 s3, v11
	s_waitcnt lgkmcnt(0)
	s_nop 3
	global_store_dword v13, v14, s[2:3]
.LBB228_243:
	s_or_b64 exec, exec, s[0:1]
	v_or_b32_e32 v13, 0x100, v0
	v_cmp_gt_u32_e32 vcc, s18, v13
	s_and_saveexec_b64 s[0:1], vcc
	s_cbranch_execz .LBB228_252
; %bb.244:
	v_cmp_le_u32_e32 vcc, v2, v13
	s_and_saveexec_b64 s[2:3], vcc
	s_xor_b64 s[2:3], exec, s[2:3]
	s_cbranch_execz .LBB228_250
; %bb.245:
	v_cmp_le_u32_e32 vcc, v12, v13
	s_and_saveexec_b64 s[4:5], vcc
	s_xor_b64 s[4:5], exec, s[4:5]
	s_cbranch_execz .LBB228_247
; %bb.246:
	v_lshlrev_b32_e32 v13, 2, v0
	ds_read_b32 v13, v13 offset:1024
	v_add_co_u32_e32 v14, vcc, v1, v0
	v_addc_co_u32_e32 v15, vcc, 0, v4, vcc
	v_lshlrev_b64 v[14:15], 2, v[14:15]
	v_mov_b32_e32 v16, s7
	v_sub_co_u32_e32 v14, vcc, s6, v14
	v_subb_co_u32_e32 v15, vcc, v16, v15, vcc
	s_waitcnt lgkmcnt(0)
	global_store_dword v[14:15], v13, off offset:-1024
.LBB228_247:
	s_andn2_saveexec_b64 s[4:5], s[4:5]
	s_cbranch_execz .LBB228_249
; %bb.248:
	v_lshlrev_b32_e32 v13, 2, v0
	ds_read_b32 v14, v13 offset:1024
	v_readfirstlane_b32 s8, v8
	v_readfirstlane_b32 s9, v9
	s_waitcnt lgkmcnt(0)
	s_nop 3
	global_store_dword v13, v14, s[8:9] offset:1024
.LBB228_249:
	s_or_b64 exec, exec, s[4:5]
.LBB228_250:
	s_andn2_saveexec_b64 s[2:3], s[2:3]
	s_cbranch_execz .LBB228_252
; %bb.251:
	v_lshlrev_b32_e32 v13, 2, v0
	ds_read_b32 v14, v13 offset:1024
	v_readfirstlane_b32 s2, v10
	v_readfirstlane_b32 s3, v11
	s_waitcnt lgkmcnt(0)
	s_nop 3
	global_store_dword v13, v14, s[2:3] offset:1024
.LBB228_252:
	s_or_b64 exec, exec, s[0:1]
	v_or_b32_e32 v13, 0x200, v0
	v_cmp_gt_u32_e32 vcc, s18, v13
	s_and_saveexec_b64 s[0:1], vcc
	s_cbranch_execz .LBB228_261
; %bb.253:
	v_cmp_le_u32_e32 vcc, v2, v13
	s_and_saveexec_b64 s[2:3], vcc
	s_xor_b64 s[2:3], exec, s[2:3]
	s_cbranch_execz .LBB228_259
; %bb.254:
	v_cmp_le_u32_e32 vcc, v12, v13
	s_and_saveexec_b64 s[4:5], vcc
	s_xor_b64 s[4:5], exec, s[4:5]
	s_cbranch_execz .LBB228_256
; %bb.255:
	v_lshlrev_b32_e32 v13, 2, v0
	ds_read_b32 v13, v13 offset:2048
	v_add_co_u32_e32 v14, vcc, v1, v0
	v_addc_co_u32_e32 v15, vcc, 0, v4, vcc
	v_lshlrev_b64 v[14:15], 2, v[14:15]
	v_mov_b32_e32 v16, s7
	v_sub_co_u32_e32 v14, vcc, s6, v14
	v_subb_co_u32_e32 v15, vcc, v16, v15, vcc
	s_waitcnt lgkmcnt(0)
	global_store_dword v[14:15], v13, off offset:-2048
.LBB228_256:
	s_andn2_saveexec_b64 s[4:5], s[4:5]
	s_cbranch_execz .LBB228_258
; %bb.257:
	v_lshlrev_b32_e32 v13, 2, v0
	ds_read_b32 v14, v13 offset:2048
	v_readfirstlane_b32 s8, v8
	v_readfirstlane_b32 s9, v9
	s_waitcnt lgkmcnt(0)
	s_nop 3
	global_store_dword v13, v14, s[8:9] offset:2048
.LBB228_258:
	s_or_b64 exec, exec, s[4:5]
.LBB228_259:
	s_andn2_saveexec_b64 s[2:3], s[2:3]
	s_cbranch_execz .LBB228_261
; %bb.260:
	v_lshlrev_b32_e32 v13, 2, v0
	ds_read_b32 v14, v13 offset:2048
	v_readfirstlane_b32 s2, v10
	v_readfirstlane_b32 s3, v11
	s_waitcnt lgkmcnt(0)
	s_nop 3
	global_store_dword v13, v14, s[2:3] offset:2048
.LBB228_261:
	;; [unrolled: 51-line block ×3, first 2 shown]
	s_or_b64 exec, exec, s[0:1]
	v_or_b32_e32 v13, 0x400, v0
	v_cmp_gt_u32_e32 vcc, s18, v13
	s_and_saveexec_b64 s[0:1], vcc
	s_cbranch_execz .LBB228_279
; %bb.271:
	v_cmp_le_u32_e32 vcc, v2, v13
	s_and_saveexec_b64 s[2:3], vcc
	s_xor_b64 s[2:3], exec, s[2:3]
	s_cbranch_execz .LBB228_277
; %bb.272:
	v_cmp_le_u32_e32 vcc, v12, v13
	s_and_saveexec_b64 s[4:5], vcc
	s_xor_b64 s[4:5], exec, s[4:5]
	s_cbranch_execz .LBB228_274
; %bb.273:
	v_lshlrev_b32_e32 v13, 2, v0
	ds_read_b32 v13, v13 offset:4096
	v_add_co_u32_e32 v14, vcc, v1, v0
	v_addc_co_u32_e32 v15, vcc, 0, v4, vcc
	v_lshlrev_b64 v[14:15], 2, v[14:15]
	v_mov_b32_e32 v16, s7
	v_sub_co_u32_e32 v14, vcc, s6, v14
	v_subb_co_u32_e32 v15, vcc, v16, v15, vcc
	s_waitcnt lgkmcnt(0)
	global_store_dword v[14:15], v13, off offset:-4096
                                        ; implicit-def: $vgpr13
.LBB228_274:
	s_andn2_saveexec_b64 s[4:5], s[4:5]
	s_cbranch_execz .LBB228_276
; %bb.275:
	v_lshlrev_b32_e32 v14, 2, v0
	ds_read_b32 v14, v14 offset:4096
	v_lshlrev_b32_e32 v13, 2, v13
	v_readfirstlane_b32 s8, v8
	v_readfirstlane_b32 s9, v9
	s_waitcnt lgkmcnt(0)
	s_nop 3
	global_store_dword v13, v14, s[8:9]
.LBB228_276:
	s_or_b64 exec, exec, s[4:5]
                                        ; implicit-def: $vgpr13
.LBB228_277:
	s_andn2_saveexec_b64 s[2:3], s[2:3]
	s_cbranch_execz .LBB228_279
; %bb.278:
	v_lshlrev_b32_e32 v14, 2, v0
	ds_read_b32 v14, v14 offset:4096
	v_lshlrev_b32_e32 v13, 2, v13
	v_readfirstlane_b32 s2, v10
	v_readfirstlane_b32 s3, v11
	s_waitcnt lgkmcnt(0)
	s_nop 3
	global_store_dword v13, v14, s[2:3]
.LBB228_279:
	s_or_b64 exec, exec, s[0:1]
	v_or_b32_e32 v13, 0x500, v0
	v_cmp_gt_u32_e32 vcc, s18, v13
	s_and_saveexec_b64 s[0:1], vcc
	s_cbranch_execz .LBB228_288
; %bb.280:
	v_cmp_le_u32_e32 vcc, v2, v13
	s_and_saveexec_b64 s[2:3], vcc
	s_xor_b64 s[2:3], exec, s[2:3]
	s_cbranch_execz .LBB228_286
; %bb.281:
	v_cmp_le_u32_e32 vcc, v12, v13
	s_and_saveexec_b64 s[4:5], vcc
	s_xor_b64 s[4:5], exec, s[4:5]
	s_cbranch_execz .LBB228_283
; %bb.282:
	v_add_co_u32_e32 v14, vcc, v1, v13
	v_lshlrev_b32_e32 v13, 2, v0
	ds_read_b32 v13, v13 offset:5120
	v_addc_co_u32_e32 v15, vcc, 0, v4, vcc
	v_lshlrev_b64 v[14:15], 2, v[14:15]
	v_mov_b32_e32 v16, s7
	v_sub_co_u32_e32 v14, vcc, s6, v14
	v_subb_co_u32_e32 v15, vcc, v16, v15, vcc
	s_waitcnt lgkmcnt(0)
	global_store_dword v[14:15], v13, off
                                        ; implicit-def: $vgpr13
.LBB228_283:
	s_andn2_saveexec_b64 s[4:5], s[4:5]
	s_cbranch_execz .LBB228_285
; %bb.284:
	v_lshlrev_b32_e32 v14, 2, v0
	ds_read_b32 v14, v14 offset:5120
	v_lshlrev_b32_e32 v13, 2, v13
	v_readfirstlane_b32 s8, v8
	v_readfirstlane_b32 s9, v9
	s_waitcnt lgkmcnt(0)
	s_nop 3
	global_store_dword v13, v14, s[8:9]
.LBB228_285:
	s_or_b64 exec, exec, s[4:5]
                                        ; implicit-def: $vgpr13
.LBB228_286:
	s_andn2_saveexec_b64 s[2:3], s[2:3]
	s_cbranch_execz .LBB228_288
; %bb.287:
	v_lshlrev_b32_e32 v14, 2, v0
	ds_read_b32 v14, v14 offset:5120
	v_lshlrev_b32_e32 v13, 2, v13
	v_readfirstlane_b32 s2, v10
	v_readfirstlane_b32 s3, v11
	s_waitcnt lgkmcnt(0)
	s_nop 3
	global_store_dword v13, v14, s[2:3]
.LBB228_288:
	s_or_b64 exec, exec, s[0:1]
	v_or_b32_e32 v13, 0x600, v0
	v_cmp_gt_u32_e32 vcc, s18, v13
	s_and_saveexec_b64 s[0:1], vcc
	s_cbranch_execz .LBB228_297
; %bb.289:
	v_cmp_le_u32_e32 vcc, v2, v13
	s_and_saveexec_b64 s[2:3], vcc
	s_xor_b64 s[2:3], exec, s[2:3]
	s_cbranch_execz .LBB228_295
; %bb.290:
	v_cmp_le_u32_e32 vcc, v12, v13
	s_and_saveexec_b64 s[4:5], vcc
	s_xor_b64 s[4:5], exec, s[4:5]
	s_cbranch_execz .LBB228_292
; %bb.291:
	v_add_co_u32_e32 v14, vcc, v1, v13
	v_lshlrev_b32_e32 v13, 2, v0
	ds_read_b32 v13, v13 offset:6144
	v_addc_co_u32_e32 v15, vcc, 0, v4, vcc
	v_lshlrev_b64 v[14:15], 2, v[14:15]
	v_mov_b32_e32 v16, s7
	v_sub_co_u32_e32 v14, vcc, s6, v14
	v_subb_co_u32_e32 v15, vcc, v16, v15, vcc
	s_waitcnt lgkmcnt(0)
	global_store_dword v[14:15], v13, off
                                        ; implicit-def: $vgpr13
.LBB228_292:
	s_andn2_saveexec_b64 s[4:5], s[4:5]
	s_cbranch_execz .LBB228_294
; %bb.293:
	v_lshlrev_b32_e32 v14, 2, v0
	ds_read_b32 v14, v14 offset:6144
	v_lshlrev_b32_e32 v13, 2, v13
	v_readfirstlane_b32 s8, v8
	v_readfirstlane_b32 s9, v9
	s_waitcnt lgkmcnt(0)
	s_nop 3
	global_store_dword v13, v14, s[8:9]
.LBB228_294:
	s_or_b64 exec, exec, s[4:5]
                                        ; implicit-def: $vgpr13
.LBB228_295:
	s_andn2_saveexec_b64 s[2:3], s[2:3]
	s_cbranch_execz .LBB228_297
; %bb.296:
	v_lshlrev_b32_e32 v14, 2, v0
	ds_read_b32 v14, v14 offset:6144
	v_lshlrev_b32_e32 v13, 2, v13
	v_readfirstlane_b32 s2, v10
	v_readfirstlane_b32 s3, v11
	s_waitcnt lgkmcnt(0)
	s_nop 3
	global_store_dword v13, v14, s[2:3]
.LBB228_297:
	;; [unrolled: 55-line block ×7, first 2 shown]
	s_or_b64 exec, exec, s[0:1]
	v_or_b32_e32 v13, 0xc00, v0
	v_cmp_gt_u32_e32 vcc, s18, v13
	s_and_saveexec_b64 s[0:1], vcc
	s_cbranch_execz .LBB228_351
; %bb.343:
	v_cmp_le_u32_e32 vcc, v2, v13
	s_and_saveexec_b64 s[2:3], vcc
	s_xor_b64 s[2:3], exec, s[2:3]
	s_cbranch_execz .LBB228_349
; %bb.344:
	v_cmp_le_u32_e32 vcc, v12, v13
	s_and_saveexec_b64 s[4:5], vcc
	s_xor_b64 s[4:5], exec, s[4:5]
	s_cbranch_execz .LBB228_346
; %bb.345:
	v_add_co_u32_e32 v8, vcc, v1, v13
	v_lshlrev_b32_e32 v1, 2, v0
	ds_read_b32 v1, v1 offset:12288
	v_addc_co_u32_e32 v9, vcc, 0, v4, vcc
	v_lshlrev_b64 v[8:9], 2, v[8:9]
	v_mov_b32_e32 v4, s7
	v_sub_co_u32_e32 v8, vcc, s6, v8
	v_subb_co_u32_e32 v9, vcc, v4, v9, vcc
	s_waitcnt lgkmcnt(0)
	global_store_dword v[8:9], v1, off
                                        ; implicit-def: $vgpr13
                                        ; implicit-def: $vgpr8_vgpr9
.LBB228_346:
	s_andn2_saveexec_b64 s[4:5], s[4:5]
	s_cbranch_execz .LBB228_348
; %bb.347:
	v_lshlrev_b32_e32 v1, 2, v0
	ds_read_b32 v1, v1 offset:12288
	v_lshlrev_b32_e32 v4, 2, v13
	v_readfirstlane_b32 s6, v8
	v_readfirstlane_b32 s7, v9
	s_waitcnt lgkmcnt(0)
	s_nop 3
	global_store_dword v4, v1, s[6:7]
.LBB228_348:
	s_or_b64 exec, exec, s[4:5]
                                        ; implicit-def: $vgpr13
                                        ; implicit-def: $vgpr10_vgpr11
.LBB228_349:
	s_andn2_saveexec_b64 s[2:3], s[2:3]
	s_cbranch_execz .LBB228_351
; %bb.350:
	v_lshlrev_b32_e32 v1, 2, v0
	ds_read_b32 v1, v1 offset:12288
	v_lshlrev_b32_e32 v4, 2, v13
	v_readfirstlane_b32 s2, v10
	v_readfirstlane_b32 s3, v11
	s_waitcnt lgkmcnt(0)
	s_nop 3
	global_store_dword v4, v1, s[2:3]
.LBB228_351:
	s_or_b64 exec, exec, s[0:1]
	v_cmp_eq_u32_e32 vcc, 0, v0
	s_and_b64 s[0:1], vcc, s[30:31]
	s_and_saveexec_b64 s[2:3], s[0:1]
	s_cbranch_execz .LBB228_128
.LBB228_352:
	v_add_co_u32_e32 v0, vcc, v6, v2
	v_addc_co_u32_e32 v1, vcc, 0, v7, vcc
	v_mov_b32_e32 v2, s51
	v_add_co_u32_e32 v3, vcc, s50, v3
	v_addc_co_u32_e32 v6, vcc, 0, v2, vcc
	v_add_co_u32_e32 v2, vcc, v3, v5
	v_mov_b32_e32 v4, 0
	v_addc_co_u32_e32 v3, vcc, 0, v6, vcc
	global_store_dwordx4 v4, v[0:3], s[44:45]
	s_endpgm
	.section	.rodata,"a",@progbits
	.p2align	6, 0x0
	.amdhsa_kernel _ZN7rocprim17ROCPRIM_400000_NS6detail17trampoline_kernelINS0_13select_configILj256ELj13ELNS0_17block_load_methodE3ELS4_3ELS4_3ELNS0_20block_scan_algorithmE0ELj4294967295EEENS1_25partition_config_selectorILNS1_17partition_subalgoE4EjNS0_10empty_typeEbEEZZNS1_14partition_implILS8_4ELb0ES6_15HIP_vector_typeIjLj2EENS0_17counting_iteratorIjlEEPS9_SG_NS0_5tupleIJPjSI_NS0_16reverse_iteratorISI_EEEEENSH_IJSG_SG_SG_EEES9_SI_JZNS1_25segmented_radix_sort_implINS0_14default_configELb1EPKaPaPKlPlN2at6native12_GLOBAL__N_18offset_tEEE10hipError_tPvRmT1_PNSt15iterator_traitsIS12_E10value_typeET2_T3_PNS13_IS18_E10value_typeET4_jRbjT5_S1E_jjP12ihipStream_tbEUljE_ZNSN_ISO_Lb1ESQ_SR_ST_SU_SY_EESZ_S10_S11_S12_S16_S17_S18_S1B_S1C_jS1D_jS1E_S1E_jjS1G_bEUljE0_EEESZ_S10_S11_S18_S1C_S1E_T6_T7_T9_mT8_S1G_bDpT10_ENKUlT_T0_E_clISt17integral_constantIbLb0EES1U_EEDaS1P_S1Q_EUlS1P_E_NS1_11comp_targetILNS1_3genE4ELNS1_11target_archE910ELNS1_3gpuE8ELNS1_3repE0EEENS1_30default_config_static_selectorELNS0_4arch9wavefront6targetE1EEEvS12_
		.amdhsa_group_segment_fixed_size 13340
		.amdhsa_private_segment_fixed_size 0
		.amdhsa_kernarg_size 176
		.amdhsa_user_sgpr_count 6
		.amdhsa_user_sgpr_private_segment_buffer 1
		.amdhsa_user_sgpr_dispatch_ptr 0
		.amdhsa_user_sgpr_queue_ptr 0
		.amdhsa_user_sgpr_kernarg_segment_ptr 1
		.amdhsa_user_sgpr_dispatch_id 0
		.amdhsa_user_sgpr_flat_scratch_init 0
		.amdhsa_user_sgpr_kernarg_preload_length 0
		.amdhsa_user_sgpr_kernarg_preload_offset 0
		.amdhsa_user_sgpr_private_segment_size 0
		.amdhsa_uses_dynamic_stack 0
		.amdhsa_system_sgpr_private_segment_wavefront_offset 0
		.amdhsa_system_sgpr_workgroup_id_x 1
		.amdhsa_system_sgpr_workgroup_id_y 0
		.amdhsa_system_sgpr_workgroup_id_z 0
		.amdhsa_system_sgpr_workgroup_info 0
		.amdhsa_system_vgpr_workitem_id 0
		.amdhsa_next_free_vgpr 102
		.amdhsa_next_free_sgpr 90
		.amdhsa_accum_offset 104
		.amdhsa_reserve_vcc 1
		.amdhsa_reserve_flat_scratch 0
		.amdhsa_float_round_mode_32 0
		.amdhsa_float_round_mode_16_64 0
		.amdhsa_float_denorm_mode_32 3
		.amdhsa_float_denorm_mode_16_64 3
		.amdhsa_dx10_clamp 1
		.amdhsa_ieee_mode 1
		.amdhsa_fp16_overflow 0
		.amdhsa_tg_split 0
		.amdhsa_exception_fp_ieee_invalid_op 0
		.amdhsa_exception_fp_denorm_src 0
		.amdhsa_exception_fp_ieee_div_zero 0
		.amdhsa_exception_fp_ieee_overflow 0
		.amdhsa_exception_fp_ieee_underflow 0
		.amdhsa_exception_fp_ieee_inexact 0
		.amdhsa_exception_int_div_zero 0
	.end_amdhsa_kernel
	.section	.text._ZN7rocprim17ROCPRIM_400000_NS6detail17trampoline_kernelINS0_13select_configILj256ELj13ELNS0_17block_load_methodE3ELS4_3ELS4_3ELNS0_20block_scan_algorithmE0ELj4294967295EEENS1_25partition_config_selectorILNS1_17partition_subalgoE4EjNS0_10empty_typeEbEEZZNS1_14partition_implILS8_4ELb0ES6_15HIP_vector_typeIjLj2EENS0_17counting_iteratorIjlEEPS9_SG_NS0_5tupleIJPjSI_NS0_16reverse_iteratorISI_EEEEENSH_IJSG_SG_SG_EEES9_SI_JZNS1_25segmented_radix_sort_implINS0_14default_configELb1EPKaPaPKlPlN2at6native12_GLOBAL__N_18offset_tEEE10hipError_tPvRmT1_PNSt15iterator_traitsIS12_E10value_typeET2_T3_PNS13_IS18_E10value_typeET4_jRbjT5_S1E_jjP12ihipStream_tbEUljE_ZNSN_ISO_Lb1ESQ_SR_ST_SU_SY_EESZ_S10_S11_S12_S16_S17_S18_S1B_S1C_jS1D_jS1E_S1E_jjS1G_bEUljE0_EEESZ_S10_S11_S18_S1C_S1E_T6_T7_T9_mT8_S1G_bDpT10_ENKUlT_T0_E_clISt17integral_constantIbLb0EES1U_EEDaS1P_S1Q_EUlS1P_E_NS1_11comp_targetILNS1_3genE4ELNS1_11target_archE910ELNS1_3gpuE8ELNS1_3repE0EEENS1_30default_config_static_selectorELNS0_4arch9wavefront6targetE1EEEvS12_,"axG",@progbits,_ZN7rocprim17ROCPRIM_400000_NS6detail17trampoline_kernelINS0_13select_configILj256ELj13ELNS0_17block_load_methodE3ELS4_3ELS4_3ELNS0_20block_scan_algorithmE0ELj4294967295EEENS1_25partition_config_selectorILNS1_17partition_subalgoE4EjNS0_10empty_typeEbEEZZNS1_14partition_implILS8_4ELb0ES6_15HIP_vector_typeIjLj2EENS0_17counting_iteratorIjlEEPS9_SG_NS0_5tupleIJPjSI_NS0_16reverse_iteratorISI_EEEEENSH_IJSG_SG_SG_EEES9_SI_JZNS1_25segmented_radix_sort_implINS0_14default_configELb1EPKaPaPKlPlN2at6native12_GLOBAL__N_18offset_tEEE10hipError_tPvRmT1_PNSt15iterator_traitsIS12_E10value_typeET2_T3_PNS13_IS18_E10value_typeET4_jRbjT5_S1E_jjP12ihipStream_tbEUljE_ZNSN_ISO_Lb1ESQ_SR_ST_SU_SY_EESZ_S10_S11_S12_S16_S17_S18_S1B_S1C_jS1D_jS1E_S1E_jjS1G_bEUljE0_EEESZ_S10_S11_S18_S1C_S1E_T6_T7_T9_mT8_S1G_bDpT10_ENKUlT_T0_E_clISt17integral_constantIbLb0EES1U_EEDaS1P_S1Q_EUlS1P_E_NS1_11comp_targetILNS1_3genE4ELNS1_11target_archE910ELNS1_3gpuE8ELNS1_3repE0EEENS1_30default_config_static_selectorELNS0_4arch9wavefront6targetE1EEEvS12_,comdat
.Lfunc_end228:
	.size	_ZN7rocprim17ROCPRIM_400000_NS6detail17trampoline_kernelINS0_13select_configILj256ELj13ELNS0_17block_load_methodE3ELS4_3ELS4_3ELNS0_20block_scan_algorithmE0ELj4294967295EEENS1_25partition_config_selectorILNS1_17partition_subalgoE4EjNS0_10empty_typeEbEEZZNS1_14partition_implILS8_4ELb0ES6_15HIP_vector_typeIjLj2EENS0_17counting_iteratorIjlEEPS9_SG_NS0_5tupleIJPjSI_NS0_16reverse_iteratorISI_EEEEENSH_IJSG_SG_SG_EEES9_SI_JZNS1_25segmented_radix_sort_implINS0_14default_configELb1EPKaPaPKlPlN2at6native12_GLOBAL__N_18offset_tEEE10hipError_tPvRmT1_PNSt15iterator_traitsIS12_E10value_typeET2_T3_PNS13_IS18_E10value_typeET4_jRbjT5_S1E_jjP12ihipStream_tbEUljE_ZNSN_ISO_Lb1ESQ_SR_ST_SU_SY_EESZ_S10_S11_S12_S16_S17_S18_S1B_S1C_jS1D_jS1E_S1E_jjS1G_bEUljE0_EEESZ_S10_S11_S18_S1C_S1E_T6_T7_T9_mT8_S1G_bDpT10_ENKUlT_T0_E_clISt17integral_constantIbLb0EES1U_EEDaS1P_S1Q_EUlS1P_E_NS1_11comp_targetILNS1_3genE4ELNS1_11target_archE910ELNS1_3gpuE8ELNS1_3repE0EEENS1_30default_config_static_selectorELNS0_4arch9wavefront6targetE1EEEvS12_, .Lfunc_end228-_ZN7rocprim17ROCPRIM_400000_NS6detail17trampoline_kernelINS0_13select_configILj256ELj13ELNS0_17block_load_methodE3ELS4_3ELS4_3ELNS0_20block_scan_algorithmE0ELj4294967295EEENS1_25partition_config_selectorILNS1_17partition_subalgoE4EjNS0_10empty_typeEbEEZZNS1_14partition_implILS8_4ELb0ES6_15HIP_vector_typeIjLj2EENS0_17counting_iteratorIjlEEPS9_SG_NS0_5tupleIJPjSI_NS0_16reverse_iteratorISI_EEEEENSH_IJSG_SG_SG_EEES9_SI_JZNS1_25segmented_radix_sort_implINS0_14default_configELb1EPKaPaPKlPlN2at6native12_GLOBAL__N_18offset_tEEE10hipError_tPvRmT1_PNSt15iterator_traitsIS12_E10value_typeET2_T3_PNS13_IS18_E10value_typeET4_jRbjT5_S1E_jjP12ihipStream_tbEUljE_ZNSN_ISO_Lb1ESQ_SR_ST_SU_SY_EESZ_S10_S11_S12_S16_S17_S18_S1B_S1C_jS1D_jS1E_S1E_jjS1G_bEUljE0_EEESZ_S10_S11_S18_S1C_S1E_T6_T7_T9_mT8_S1G_bDpT10_ENKUlT_T0_E_clISt17integral_constantIbLb0EES1U_EEDaS1P_S1Q_EUlS1P_E_NS1_11comp_targetILNS1_3genE4ELNS1_11target_archE910ELNS1_3gpuE8ELNS1_3repE0EEENS1_30default_config_static_selectorELNS0_4arch9wavefront6targetE1EEEvS12_
                                        ; -- End function
	.section	.AMDGPU.csdata,"",@progbits
; Kernel info:
; codeLenInByte = 13332
; NumSgprs: 94
; NumVgprs: 102
; NumAgprs: 0
; TotalNumVgprs: 102
; ScratchSize: 0
; MemoryBound: 0
; FloatMode: 240
; IeeeMode: 1
; LDSByteSize: 13340 bytes/workgroup (compile time only)
; SGPRBlocks: 11
; VGPRBlocks: 12
; NumSGPRsForWavesPerEU: 94
; NumVGPRsForWavesPerEU: 102
; AccumOffset: 104
; Occupancy: 4
; WaveLimiterHint : 1
; COMPUTE_PGM_RSRC2:SCRATCH_EN: 0
; COMPUTE_PGM_RSRC2:USER_SGPR: 6
; COMPUTE_PGM_RSRC2:TRAP_HANDLER: 0
; COMPUTE_PGM_RSRC2:TGID_X_EN: 1
; COMPUTE_PGM_RSRC2:TGID_Y_EN: 0
; COMPUTE_PGM_RSRC2:TGID_Z_EN: 0
; COMPUTE_PGM_RSRC2:TIDIG_COMP_CNT: 0
; COMPUTE_PGM_RSRC3_GFX90A:ACCUM_OFFSET: 25
; COMPUTE_PGM_RSRC3_GFX90A:TG_SPLIT: 0
	.section	.text._ZN7rocprim17ROCPRIM_400000_NS6detail17trampoline_kernelINS0_13select_configILj256ELj13ELNS0_17block_load_methodE3ELS4_3ELS4_3ELNS0_20block_scan_algorithmE0ELj4294967295EEENS1_25partition_config_selectorILNS1_17partition_subalgoE4EjNS0_10empty_typeEbEEZZNS1_14partition_implILS8_4ELb0ES6_15HIP_vector_typeIjLj2EENS0_17counting_iteratorIjlEEPS9_SG_NS0_5tupleIJPjSI_NS0_16reverse_iteratorISI_EEEEENSH_IJSG_SG_SG_EEES9_SI_JZNS1_25segmented_radix_sort_implINS0_14default_configELb1EPKaPaPKlPlN2at6native12_GLOBAL__N_18offset_tEEE10hipError_tPvRmT1_PNSt15iterator_traitsIS12_E10value_typeET2_T3_PNS13_IS18_E10value_typeET4_jRbjT5_S1E_jjP12ihipStream_tbEUljE_ZNSN_ISO_Lb1ESQ_SR_ST_SU_SY_EESZ_S10_S11_S12_S16_S17_S18_S1B_S1C_jS1D_jS1E_S1E_jjS1G_bEUljE0_EEESZ_S10_S11_S18_S1C_S1E_T6_T7_T9_mT8_S1G_bDpT10_ENKUlT_T0_E_clISt17integral_constantIbLb0EES1U_EEDaS1P_S1Q_EUlS1P_E_NS1_11comp_targetILNS1_3genE3ELNS1_11target_archE908ELNS1_3gpuE7ELNS1_3repE0EEENS1_30default_config_static_selectorELNS0_4arch9wavefront6targetE1EEEvS12_,"axG",@progbits,_ZN7rocprim17ROCPRIM_400000_NS6detail17trampoline_kernelINS0_13select_configILj256ELj13ELNS0_17block_load_methodE3ELS4_3ELS4_3ELNS0_20block_scan_algorithmE0ELj4294967295EEENS1_25partition_config_selectorILNS1_17partition_subalgoE4EjNS0_10empty_typeEbEEZZNS1_14partition_implILS8_4ELb0ES6_15HIP_vector_typeIjLj2EENS0_17counting_iteratorIjlEEPS9_SG_NS0_5tupleIJPjSI_NS0_16reverse_iteratorISI_EEEEENSH_IJSG_SG_SG_EEES9_SI_JZNS1_25segmented_radix_sort_implINS0_14default_configELb1EPKaPaPKlPlN2at6native12_GLOBAL__N_18offset_tEEE10hipError_tPvRmT1_PNSt15iterator_traitsIS12_E10value_typeET2_T3_PNS13_IS18_E10value_typeET4_jRbjT5_S1E_jjP12ihipStream_tbEUljE_ZNSN_ISO_Lb1ESQ_SR_ST_SU_SY_EESZ_S10_S11_S12_S16_S17_S18_S1B_S1C_jS1D_jS1E_S1E_jjS1G_bEUljE0_EEESZ_S10_S11_S18_S1C_S1E_T6_T7_T9_mT8_S1G_bDpT10_ENKUlT_T0_E_clISt17integral_constantIbLb0EES1U_EEDaS1P_S1Q_EUlS1P_E_NS1_11comp_targetILNS1_3genE3ELNS1_11target_archE908ELNS1_3gpuE7ELNS1_3repE0EEENS1_30default_config_static_selectorELNS0_4arch9wavefront6targetE1EEEvS12_,comdat
	.globl	_ZN7rocprim17ROCPRIM_400000_NS6detail17trampoline_kernelINS0_13select_configILj256ELj13ELNS0_17block_load_methodE3ELS4_3ELS4_3ELNS0_20block_scan_algorithmE0ELj4294967295EEENS1_25partition_config_selectorILNS1_17partition_subalgoE4EjNS0_10empty_typeEbEEZZNS1_14partition_implILS8_4ELb0ES6_15HIP_vector_typeIjLj2EENS0_17counting_iteratorIjlEEPS9_SG_NS0_5tupleIJPjSI_NS0_16reverse_iteratorISI_EEEEENSH_IJSG_SG_SG_EEES9_SI_JZNS1_25segmented_radix_sort_implINS0_14default_configELb1EPKaPaPKlPlN2at6native12_GLOBAL__N_18offset_tEEE10hipError_tPvRmT1_PNSt15iterator_traitsIS12_E10value_typeET2_T3_PNS13_IS18_E10value_typeET4_jRbjT5_S1E_jjP12ihipStream_tbEUljE_ZNSN_ISO_Lb1ESQ_SR_ST_SU_SY_EESZ_S10_S11_S12_S16_S17_S18_S1B_S1C_jS1D_jS1E_S1E_jjS1G_bEUljE0_EEESZ_S10_S11_S18_S1C_S1E_T6_T7_T9_mT8_S1G_bDpT10_ENKUlT_T0_E_clISt17integral_constantIbLb0EES1U_EEDaS1P_S1Q_EUlS1P_E_NS1_11comp_targetILNS1_3genE3ELNS1_11target_archE908ELNS1_3gpuE7ELNS1_3repE0EEENS1_30default_config_static_selectorELNS0_4arch9wavefront6targetE1EEEvS12_ ; -- Begin function _ZN7rocprim17ROCPRIM_400000_NS6detail17trampoline_kernelINS0_13select_configILj256ELj13ELNS0_17block_load_methodE3ELS4_3ELS4_3ELNS0_20block_scan_algorithmE0ELj4294967295EEENS1_25partition_config_selectorILNS1_17partition_subalgoE4EjNS0_10empty_typeEbEEZZNS1_14partition_implILS8_4ELb0ES6_15HIP_vector_typeIjLj2EENS0_17counting_iteratorIjlEEPS9_SG_NS0_5tupleIJPjSI_NS0_16reverse_iteratorISI_EEEEENSH_IJSG_SG_SG_EEES9_SI_JZNS1_25segmented_radix_sort_implINS0_14default_configELb1EPKaPaPKlPlN2at6native12_GLOBAL__N_18offset_tEEE10hipError_tPvRmT1_PNSt15iterator_traitsIS12_E10value_typeET2_T3_PNS13_IS18_E10value_typeET4_jRbjT5_S1E_jjP12ihipStream_tbEUljE_ZNSN_ISO_Lb1ESQ_SR_ST_SU_SY_EESZ_S10_S11_S12_S16_S17_S18_S1B_S1C_jS1D_jS1E_S1E_jjS1G_bEUljE0_EEESZ_S10_S11_S18_S1C_S1E_T6_T7_T9_mT8_S1G_bDpT10_ENKUlT_T0_E_clISt17integral_constantIbLb0EES1U_EEDaS1P_S1Q_EUlS1P_E_NS1_11comp_targetILNS1_3genE3ELNS1_11target_archE908ELNS1_3gpuE7ELNS1_3repE0EEENS1_30default_config_static_selectorELNS0_4arch9wavefront6targetE1EEEvS12_
	.p2align	8
	.type	_ZN7rocprim17ROCPRIM_400000_NS6detail17trampoline_kernelINS0_13select_configILj256ELj13ELNS0_17block_load_methodE3ELS4_3ELS4_3ELNS0_20block_scan_algorithmE0ELj4294967295EEENS1_25partition_config_selectorILNS1_17partition_subalgoE4EjNS0_10empty_typeEbEEZZNS1_14partition_implILS8_4ELb0ES6_15HIP_vector_typeIjLj2EENS0_17counting_iteratorIjlEEPS9_SG_NS0_5tupleIJPjSI_NS0_16reverse_iteratorISI_EEEEENSH_IJSG_SG_SG_EEES9_SI_JZNS1_25segmented_radix_sort_implINS0_14default_configELb1EPKaPaPKlPlN2at6native12_GLOBAL__N_18offset_tEEE10hipError_tPvRmT1_PNSt15iterator_traitsIS12_E10value_typeET2_T3_PNS13_IS18_E10value_typeET4_jRbjT5_S1E_jjP12ihipStream_tbEUljE_ZNSN_ISO_Lb1ESQ_SR_ST_SU_SY_EESZ_S10_S11_S12_S16_S17_S18_S1B_S1C_jS1D_jS1E_S1E_jjS1G_bEUljE0_EEESZ_S10_S11_S18_S1C_S1E_T6_T7_T9_mT8_S1G_bDpT10_ENKUlT_T0_E_clISt17integral_constantIbLb0EES1U_EEDaS1P_S1Q_EUlS1P_E_NS1_11comp_targetILNS1_3genE3ELNS1_11target_archE908ELNS1_3gpuE7ELNS1_3repE0EEENS1_30default_config_static_selectorELNS0_4arch9wavefront6targetE1EEEvS12_,@function
_ZN7rocprim17ROCPRIM_400000_NS6detail17trampoline_kernelINS0_13select_configILj256ELj13ELNS0_17block_load_methodE3ELS4_3ELS4_3ELNS0_20block_scan_algorithmE0ELj4294967295EEENS1_25partition_config_selectorILNS1_17partition_subalgoE4EjNS0_10empty_typeEbEEZZNS1_14partition_implILS8_4ELb0ES6_15HIP_vector_typeIjLj2EENS0_17counting_iteratorIjlEEPS9_SG_NS0_5tupleIJPjSI_NS0_16reverse_iteratorISI_EEEEENSH_IJSG_SG_SG_EEES9_SI_JZNS1_25segmented_radix_sort_implINS0_14default_configELb1EPKaPaPKlPlN2at6native12_GLOBAL__N_18offset_tEEE10hipError_tPvRmT1_PNSt15iterator_traitsIS12_E10value_typeET2_T3_PNS13_IS18_E10value_typeET4_jRbjT5_S1E_jjP12ihipStream_tbEUljE_ZNSN_ISO_Lb1ESQ_SR_ST_SU_SY_EESZ_S10_S11_S12_S16_S17_S18_S1B_S1C_jS1D_jS1E_S1E_jjS1G_bEUljE0_EEESZ_S10_S11_S18_S1C_S1E_T6_T7_T9_mT8_S1G_bDpT10_ENKUlT_T0_E_clISt17integral_constantIbLb0EES1U_EEDaS1P_S1Q_EUlS1P_E_NS1_11comp_targetILNS1_3genE3ELNS1_11target_archE908ELNS1_3gpuE7ELNS1_3repE0EEENS1_30default_config_static_selectorELNS0_4arch9wavefront6targetE1EEEvS12_: ; @_ZN7rocprim17ROCPRIM_400000_NS6detail17trampoline_kernelINS0_13select_configILj256ELj13ELNS0_17block_load_methodE3ELS4_3ELS4_3ELNS0_20block_scan_algorithmE0ELj4294967295EEENS1_25partition_config_selectorILNS1_17partition_subalgoE4EjNS0_10empty_typeEbEEZZNS1_14partition_implILS8_4ELb0ES6_15HIP_vector_typeIjLj2EENS0_17counting_iteratorIjlEEPS9_SG_NS0_5tupleIJPjSI_NS0_16reverse_iteratorISI_EEEEENSH_IJSG_SG_SG_EEES9_SI_JZNS1_25segmented_radix_sort_implINS0_14default_configELb1EPKaPaPKlPlN2at6native12_GLOBAL__N_18offset_tEEE10hipError_tPvRmT1_PNSt15iterator_traitsIS12_E10value_typeET2_T3_PNS13_IS18_E10value_typeET4_jRbjT5_S1E_jjP12ihipStream_tbEUljE_ZNSN_ISO_Lb1ESQ_SR_ST_SU_SY_EESZ_S10_S11_S12_S16_S17_S18_S1B_S1C_jS1D_jS1E_S1E_jjS1G_bEUljE0_EEESZ_S10_S11_S18_S1C_S1E_T6_T7_T9_mT8_S1G_bDpT10_ENKUlT_T0_E_clISt17integral_constantIbLb0EES1U_EEDaS1P_S1Q_EUlS1P_E_NS1_11comp_targetILNS1_3genE3ELNS1_11target_archE908ELNS1_3gpuE7ELNS1_3repE0EEENS1_30default_config_static_selectorELNS0_4arch9wavefront6targetE1EEEvS12_
; %bb.0:
	.section	.rodata,"a",@progbits
	.p2align	6, 0x0
	.amdhsa_kernel _ZN7rocprim17ROCPRIM_400000_NS6detail17trampoline_kernelINS0_13select_configILj256ELj13ELNS0_17block_load_methodE3ELS4_3ELS4_3ELNS0_20block_scan_algorithmE0ELj4294967295EEENS1_25partition_config_selectorILNS1_17partition_subalgoE4EjNS0_10empty_typeEbEEZZNS1_14partition_implILS8_4ELb0ES6_15HIP_vector_typeIjLj2EENS0_17counting_iteratorIjlEEPS9_SG_NS0_5tupleIJPjSI_NS0_16reverse_iteratorISI_EEEEENSH_IJSG_SG_SG_EEES9_SI_JZNS1_25segmented_radix_sort_implINS0_14default_configELb1EPKaPaPKlPlN2at6native12_GLOBAL__N_18offset_tEEE10hipError_tPvRmT1_PNSt15iterator_traitsIS12_E10value_typeET2_T3_PNS13_IS18_E10value_typeET4_jRbjT5_S1E_jjP12ihipStream_tbEUljE_ZNSN_ISO_Lb1ESQ_SR_ST_SU_SY_EESZ_S10_S11_S12_S16_S17_S18_S1B_S1C_jS1D_jS1E_S1E_jjS1G_bEUljE0_EEESZ_S10_S11_S18_S1C_S1E_T6_T7_T9_mT8_S1G_bDpT10_ENKUlT_T0_E_clISt17integral_constantIbLb0EES1U_EEDaS1P_S1Q_EUlS1P_E_NS1_11comp_targetILNS1_3genE3ELNS1_11target_archE908ELNS1_3gpuE7ELNS1_3repE0EEENS1_30default_config_static_selectorELNS0_4arch9wavefront6targetE1EEEvS12_
		.amdhsa_group_segment_fixed_size 0
		.amdhsa_private_segment_fixed_size 0
		.amdhsa_kernarg_size 176
		.amdhsa_user_sgpr_count 6
		.amdhsa_user_sgpr_private_segment_buffer 1
		.amdhsa_user_sgpr_dispatch_ptr 0
		.amdhsa_user_sgpr_queue_ptr 0
		.amdhsa_user_sgpr_kernarg_segment_ptr 1
		.amdhsa_user_sgpr_dispatch_id 0
		.amdhsa_user_sgpr_flat_scratch_init 0
		.amdhsa_user_sgpr_kernarg_preload_length 0
		.amdhsa_user_sgpr_kernarg_preload_offset 0
		.amdhsa_user_sgpr_private_segment_size 0
		.amdhsa_uses_dynamic_stack 0
		.amdhsa_system_sgpr_private_segment_wavefront_offset 0
		.amdhsa_system_sgpr_workgroup_id_x 1
		.amdhsa_system_sgpr_workgroup_id_y 0
		.amdhsa_system_sgpr_workgroup_id_z 0
		.amdhsa_system_sgpr_workgroup_info 0
		.amdhsa_system_vgpr_workitem_id 0
		.amdhsa_next_free_vgpr 1
		.amdhsa_next_free_sgpr 0
		.amdhsa_accum_offset 4
		.amdhsa_reserve_vcc 0
		.amdhsa_reserve_flat_scratch 0
		.amdhsa_float_round_mode_32 0
		.amdhsa_float_round_mode_16_64 0
		.amdhsa_float_denorm_mode_32 3
		.amdhsa_float_denorm_mode_16_64 3
		.amdhsa_dx10_clamp 1
		.amdhsa_ieee_mode 1
		.amdhsa_fp16_overflow 0
		.amdhsa_tg_split 0
		.amdhsa_exception_fp_ieee_invalid_op 0
		.amdhsa_exception_fp_denorm_src 0
		.amdhsa_exception_fp_ieee_div_zero 0
		.amdhsa_exception_fp_ieee_overflow 0
		.amdhsa_exception_fp_ieee_underflow 0
		.amdhsa_exception_fp_ieee_inexact 0
		.amdhsa_exception_int_div_zero 0
	.end_amdhsa_kernel
	.section	.text._ZN7rocprim17ROCPRIM_400000_NS6detail17trampoline_kernelINS0_13select_configILj256ELj13ELNS0_17block_load_methodE3ELS4_3ELS4_3ELNS0_20block_scan_algorithmE0ELj4294967295EEENS1_25partition_config_selectorILNS1_17partition_subalgoE4EjNS0_10empty_typeEbEEZZNS1_14partition_implILS8_4ELb0ES6_15HIP_vector_typeIjLj2EENS0_17counting_iteratorIjlEEPS9_SG_NS0_5tupleIJPjSI_NS0_16reverse_iteratorISI_EEEEENSH_IJSG_SG_SG_EEES9_SI_JZNS1_25segmented_radix_sort_implINS0_14default_configELb1EPKaPaPKlPlN2at6native12_GLOBAL__N_18offset_tEEE10hipError_tPvRmT1_PNSt15iterator_traitsIS12_E10value_typeET2_T3_PNS13_IS18_E10value_typeET4_jRbjT5_S1E_jjP12ihipStream_tbEUljE_ZNSN_ISO_Lb1ESQ_SR_ST_SU_SY_EESZ_S10_S11_S12_S16_S17_S18_S1B_S1C_jS1D_jS1E_S1E_jjS1G_bEUljE0_EEESZ_S10_S11_S18_S1C_S1E_T6_T7_T9_mT8_S1G_bDpT10_ENKUlT_T0_E_clISt17integral_constantIbLb0EES1U_EEDaS1P_S1Q_EUlS1P_E_NS1_11comp_targetILNS1_3genE3ELNS1_11target_archE908ELNS1_3gpuE7ELNS1_3repE0EEENS1_30default_config_static_selectorELNS0_4arch9wavefront6targetE1EEEvS12_,"axG",@progbits,_ZN7rocprim17ROCPRIM_400000_NS6detail17trampoline_kernelINS0_13select_configILj256ELj13ELNS0_17block_load_methodE3ELS4_3ELS4_3ELNS0_20block_scan_algorithmE0ELj4294967295EEENS1_25partition_config_selectorILNS1_17partition_subalgoE4EjNS0_10empty_typeEbEEZZNS1_14partition_implILS8_4ELb0ES6_15HIP_vector_typeIjLj2EENS0_17counting_iteratorIjlEEPS9_SG_NS0_5tupleIJPjSI_NS0_16reverse_iteratorISI_EEEEENSH_IJSG_SG_SG_EEES9_SI_JZNS1_25segmented_radix_sort_implINS0_14default_configELb1EPKaPaPKlPlN2at6native12_GLOBAL__N_18offset_tEEE10hipError_tPvRmT1_PNSt15iterator_traitsIS12_E10value_typeET2_T3_PNS13_IS18_E10value_typeET4_jRbjT5_S1E_jjP12ihipStream_tbEUljE_ZNSN_ISO_Lb1ESQ_SR_ST_SU_SY_EESZ_S10_S11_S12_S16_S17_S18_S1B_S1C_jS1D_jS1E_S1E_jjS1G_bEUljE0_EEESZ_S10_S11_S18_S1C_S1E_T6_T7_T9_mT8_S1G_bDpT10_ENKUlT_T0_E_clISt17integral_constantIbLb0EES1U_EEDaS1P_S1Q_EUlS1P_E_NS1_11comp_targetILNS1_3genE3ELNS1_11target_archE908ELNS1_3gpuE7ELNS1_3repE0EEENS1_30default_config_static_selectorELNS0_4arch9wavefront6targetE1EEEvS12_,comdat
.Lfunc_end229:
	.size	_ZN7rocprim17ROCPRIM_400000_NS6detail17trampoline_kernelINS0_13select_configILj256ELj13ELNS0_17block_load_methodE3ELS4_3ELS4_3ELNS0_20block_scan_algorithmE0ELj4294967295EEENS1_25partition_config_selectorILNS1_17partition_subalgoE4EjNS0_10empty_typeEbEEZZNS1_14partition_implILS8_4ELb0ES6_15HIP_vector_typeIjLj2EENS0_17counting_iteratorIjlEEPS9_SG_NS0_5tupleIJPjSI_NS0_16reverse_iteratorISI_EEEEENSH_IJSG_SG_SG_EEES9_SI_JZNS1_25segmented_radix_sort_implINS0_14default_configELb1EPKaPaPKlPlN2at6native12_GLOBAL__N_18offset_tEEE10hipError_tPvRmT1_PNSt15iterator_traitsIS12_E10value_typeET2_T3_PNS13_IS18_E10value_typeET4_jRbjT5_S1E_jjP12ihipStream_tbEUljE_ZNSN_ISO_Lb1ESQ_SR_ST_SU_SY_EESZ_S10_S11_S12_S16_S17_S18_S1B_S1C_jS1D_jS1E_S1E_jjS1G_bEUljE0_EEESZ_S10_S11_S18_S1C_S1E_T6_T7_T9_mT8_S1G_bDpT10_ENKUlT_T0_E_clISt17integral_constantIbLb0EES1U_EEDaS1P_S1Q_EUlS1P_E_NS1_11comp_targetILNS1_3genE3ELNS1_11target_archE908ELNS1_3gpuE7ELNS1_3repE0EEENS1_30default_config_static_selectorELNS0_4arch9wavefront6targetE1EEEvS12_, .Lfunc_end229-_ZN7rocprim17ROCPRIM_400000_NS6detail17trampoline_kernelINS0_13select_configILj256ELj13ELNS0_17block_load_methodE3ELS4_3ELS4_3ELNS0_20block_scan_algorithmE0ELj4294967295EEENS1_25partition_config_selectorILNS1_17partition_subalgoE4EjNS0_10empty_typeEbEEZZNS1_14partition_implILS8_4ELb0ES6_15HIP_vector_typeIjLj2EENS0_17counting_iteratorIjlEEPS9_SG_NS0_5tupleIJPjSI_NS0_16reverse_iteratorISI_EEEEENSH_IJSG_SG_SG_EEES9_SI_JZNS1_25segmented_radix_sort_implINS0_14default_configELb1EPKaPaPKlPlN2at6native12_GLOBAL__N_18offset_tEEE10hipError_tPvRmT1_PNSt15iterator_traitsIS12_E10value_typeET2_T3_PNS13_IS18_E10value_typeET4_jRbjT5_S1E_jjP12ihipStream_tbEUljE_ZNSN_ISO_Lb1ESQ_SR_ST_SU_SY_EESZ_S10_S11_S12_S16_S17_S18_S1B_S1C_jS1D_jS1E_S1E_jjS1G_bEUljE0_EEESZ_S10_S11_S18_S1C_S1E_T6_T7_T9_mT8_S1G_bDpT10_ENKUlT_T0_E_clISt17integral_constantIbLb0EES1U_EEDaS1P_S1Q_EUlS1P_E_NS1_11comp_targetILNS1_3genE3ELNS1_11target_archE908ELNS1_3gpuE7ELNS1_3repE0EEENS1_30default_config_static_selectorELNS0_4arch9wavefront6targetE1EEEvS12_
                                        ; -- End function
	.section	.AMDGPU.csdata,"",@progbits
; Kernel info:
; codeLenInByte = 0
; NumSgprs: 4
; NumVgprs: 0
; NumAgprs: 0
; TotalNumVgprs: 0
; ScratchSize: 0
; MemoryBound: 0
; FloatMode: 240
; IeeeMode: 1
; LDSByteSize: 0 bytes/workgroup (compile time only)
; SGPRBlocks: 0
; VGPRBlocks: 0
; NumSGPRsForWavesPerEU: 4
; NumVGPRsForWavesPerEU: 1
; AccumOffset: 4
; Occupancy: 8
; WaveLimiterHint : 0
; COMPUTE_PGM_RSRC2:SCRATCH_EN: 0
; COMPUTE_PGM_RSRC2:USER_SGPR: 6
; COMPUTE_PGM_RSRC2:TRAP_HANDLER: 0
; COMPUTE_PGM_RSRC2:TGID_X_EN: 1
; COMPUTE_PGM_RSRC2:TGID_Y_EN: 0
; COMPUTE_PGM_RSRC2:TGID_Z_EN: 0
; COMPUTE_PGM_RSRC2:TIDIG_COMP_CNT: 0
; COMPUTE_PGM_RSRC3_GFX90A:ACCUM_OFFSET: 0
; COMPUTE_PGM_RSRC3_GFX90A:TG_SPLIT: 0
	.section	.text._ZN7rocprim17ROCPRIM_400000_NS6detail17trampoline_kernelINS0_13select_configILj256ELj13ELNS0_17block_load_methodE3ELS4_3ELS4_3ELNS0_20block_scan_algorithmE0ELj4294967295EEENS1_25partition_config_selectorILNS1_17partition_subalgoE4EjNS0_10empty_typeEbEEZZNS1_14partition_implILS8_4ELb0ES6_15HIP_vector_typeIjLj2EENS0_17counting_iteratorIjlEEPS9_SG_NS0_5tupleIJPjSI_NS0_16reverse_iteratorISI_EEEEENSH_IJSG_SG_SG_EEES9_SI_JZNS1_25segmented_radix_sort_implINS0_14default_configELb1EPKaPaPKlPlN2at6native12_GLOBAL__N_18offset_tEEE10hipError_tPvRmT1_PNSt15iterator_traitsIS12_E10value_typeET2_T3_PNS13_IS18_E10value_typeET4_jRbjT5_S1E_jjP12ihipStream_tbEUljE_ZNSN_ISO_Lb1ESQ_SR_ST_SU_SY_EESZ_S10_S11_S12_S16_S17_S18_S1B_S1C_jS1D_jS1E_S1E_jjS1G_bEUljE0_EEESZ_S10_S11_S18_S1C_S1E_T6_T7_T9_mT8_S1G_bDpT10_ENKUlT_T0_E_clISt17integral_constantIbLb0EES1U_EEDaS1P_S1Q_EUlS1P_E_NS1_11comp_targetILNS1_3genE2ELNS1_11target_archE906ELNS1_3gpuE6ELNS1_3repE0EEENS1_30default_config_static_selectorELNS0_4arch9wavefront6targetE1EEEvS12_,"axG",@progbits,_ZN7rocprim17ROCPRIM_400000_NS6detail17trampoline_kernelINS0_13select_configILj256ELj13ELNS0_17block_load_methodE3ELS4_3ELS4_3ELNS0_20block_scan_algorithmE0ELj4294967295EEENS1_25partition_config_selectorILNS1_17partition_subalgoE4EjNS0_10empty_typeEbEEZZNS1_14partition_implILS8_4ELb0ES6_15HIP_vector_typeIjLj2EENS0_17counting_iteratorIjlEEPS9_SG_NS0_5tupleIJPjSI_NS0_16reverse_iteratorISI_EEEEENSH_IJSG_SG_SG_EEES9_SI_JZNS1_25segmented_radix_sort_implINS0_14default_configELb1EPKaPaPKlPlN2at6native12_GLOBAL__N_18offset_tEEE10hipError_tPvRmT1_PNSt15iterator_traitsIS12_E10value_typeET2_T3_PNS13_IS18_E10value_typeET4_jRbjT5_S1E_jjP12ihipStream_tbEUljE_ZNSN_ISO_Lb1ESQ_SR_ST_SU_SY_EESZ_S10_S11_S12_S16_S17_S18_S1B_S1C_jS1D_jS1E_S1E_jjS1G_bEUljE0_EEESZ_S10_S11_S18_S1C_S1E_T6_T7_T9_mT8_S1G_bDpT10_ENKUlT_T0_E_clISt17integral_constantIbLb0EES1U_EEDaS1P_S1Q_EUlS1P_E_NS1_11comp_targetILNS1_3genE2ELNS1_11target_archE906ELNS1_3gpuE6ELNS1_3repE0EEENS1_30default_config_static_selectorELNS0_4arch9wavefront6targetE1EEEvS12_,comdat
	.globl	_ZN7rocprim17ROCPRIM_400000_NS6detail17trampoline_kernelINS0_13select_configILj256ELj13ELNS0_17block_load_methodE3ELS4_3ELS4_3ELNS0_20block_scan_algorithmE0ELj4294967295EEENS1_25partition_config_selectorILNS1_17partition_subalgoE4EjNS0_10empty_typeEbEEZZNS1_14partition_implILS8_4ELb0ES6_15HIP_vector_typeIjLj2EENS0_17counting_iteratorIjlEEPS9_SG_NS0_5tupleIJPjSI_NS0_16reverse_iteratorISI_EEEEENSH_IJSG_SG_SG_EEES9_SI_JZNS1_25segmented_radix_sort_implINS0_14default_configELb1EPKaPaPKlPlN2at6native12_GLOBAL__N_18offset_tEEE10hipError_tPvRmT1_PNSt15iterator_traitsIS12_E10value_typeET2_T3_PNS13_IS18_E10value_typeET4_jRbjT5_S1E_jjP12ihipStream_tbEUljE_ZNSN_ISO_Lb1ESQ_SR_ST_SU_SY_EESZ_S10_S11_S12_S16_S17_S18_S1B_S1C_jS1D_jS1E_S1E_jjS1G_bEUljE0_EEESZ_S10_S11_S18_S1C_S1E_T6_T7_T9_mT8_S1G_bDpT10_ENKUlT_T0_E_clISt17integral_constantIbLb0EES1U_EEDaS1P_S1Q_EUlS1P_E_NS1_11comp_targetILNS1_3genE2ELNS1_11target_archE906ELNS1_3gpuE6ELNS1_3repE0EEENS1_30default_config_static_selectorELNS0_4arch9wavefront6targetE1EEEvS12_ ; -- Begin function _ZN7rocprim17ROCPRIM_400000_NS6detail17trampoline_kernelINS0_13select_configILj256ELj13ELNS0_17block_load_methodE3ELS4_3ELS4_3ELNS0_20block_scan_algorithmE0ELj4294967295EEENS1_25partition_config_selectorILNS1_17partition_subalgoE4EjNS0_10empty_typeEbEEZZNS1_14partition_implILS8_4ELb0ES6_15HIP_vector_typeIjLj2EENS0_17counting_iteratorIjlEEPS9_SG_NS0_5tupleIJPjSI_NS0_16reverse_iteratorISI_EEEEENSH_IJSG_SG_SG_EEES9_SI_JZNS1_25segmented_radix_sort_implINS0_14default_configELb1EPKaPaPKlPlN2at6native12_GLOBAL__N_18offset_tEEE10hipError_tPvRmT1_PNSt15iterator_traitsIS12_E10value_typeET2_T3_PNS13_IS18_E10value_typeET4_jRbjT5_S1E_jjP12ihipStream_tbEUljE_ZNSN_ISO_Lb1ESQ_SR_ST_SU_SY_EESZ_S10_S11_S12_S16_S17_S18_S1B_S1C_jS1D_jS1E_S1E_jjS1G_bEUljE0_EEESZ_S10_S11_S18_S1C_S1E_T6_T7_T9_mT8_S1G_bDpT10_ENKUlT_T0_E_clISt17integral_constantIbLb0EES1U_EEDaS1P_S1Q_EUlS1P_E_NS1_11comp_targetILNS1_3genE2ELNS1_11target_archE906ELNS1_3gpuE6ELNS1_3repE0EEENS1_30default_config_static_selectorELNS0_4arch9wavefront6targetE1EEEvS12_
	.p2align	8
	.type	_ZN7rocprim17ROCPRIM_400000_NS6detail17trampoline_kernelINS0_13select_configILj256ELj13ELNS0_17block_load_methodE3ELS4_3ELS4_3ELNS0_20block_scan_algorithmE0ELj4294967295EEENS1_25partition_config_selectorILNS1_17partition_subalgoE4EjNS0_10empty_typeEbEEZZNS1_14partition_implILS8_4ELb0ES6_15HIP_vector_typeIjLj2EENS0_17counting_iteratorIjlEEPS9_SG_NS0_5tupleIJPjSI_NS0_16reverse_iteratorISI_EEEEENSH_IJSG_SG_SG_EEES9_SI_JZNS1_25segmented_radix_sort_implINS0_14default_configELb1EPKaPaPKlPlN2at6native12_GLOBAL__N_18offset_tEEE10hipError_tPvRmT1_PNSt15iterator_traitsIS12_E10value_typeET2_T3_PNS13_IS18_E10value_typeET4_jRbjT5_S1E_jjP12ihipStream_tbEUljE_ZNSN_ISO_Lb1ESQ_SR_ST_SU_SY_EESZ_S10_S11_S12_S16_S17_S18_S1B_S1C_jS1D_jS1E_S1E_jjS1G_bEUljE0_EEESZ_S10_S11_S18_S1C_S1E_T6_T7_T9_mT8_S1G_bDpT10_ENKUlT_T0_E_clISt17integral_constantIbLb0EES1U_EEDaS1P_S1Q_EUlS1P_E_NS1_11comp_targetILNS1_3genE2ELNS1_11target_archE906ELNS1_3gpuE6ELNS1_3repE0EEENS1_30default_config_static_selectorELNS0_4arch9wavefront6targetE1EEEvS12_,@function
_ZN7rocprim17ROCPRIM_400000_NS6detail17trampoline_kernelINS0_13select_configILj256ELj13ELNS0_17block_load_methodE3ELS4_3ELS4_3ELNS0_20block_scan_algorithmE0ELj4294967295EEENS1_25partition_config_selectorILNS1_17partition_subalgoE4EjNS0_10empty_typeEbEEZZNS1_14partition_implILS8_4ELb0ES6_15HIP_vector_typeIjLj2EENS0_17counting_iteratorIjlEEPS9_SG_NS0_5tupleIJPjSI_NS0_16reverse_iteratorISI_EEEEENSH_IJSG_SG_SG_EEES9_SI_JZNS1_25segmented_radix_sort_implINS0_14default_configELb1EPKaPaPKlPlN2at6native12_GLOBAL__N_18offset_tEEE10hipError_tPvRmT1_PNSt15iterator_traitsIS12_E10value_typeET2_T3_PNS13_IS18_E10value_typeET4_jRbjT5_S1E_jjP12ihipStream_tbEUljE_ZNSN_ISO_Lb1ESQ_SR_ST_SU_SY_EESZ_S10_S11_S12_S16_S17_S18_S1B_S1C_jS1D_jS1E_S1E_jjS1G_bEUljE0_EEESZ_S10_S11_S18_S1C_S1E_T6_T7_T9_mT8_S1G_bDpT10_ENKUlT_T0_E_clISt17integral_constantIbLb0EES1U_EEDaS1P_S1Q_EUlS1P_E_NS1_11comp_targetILNS1_3genE2ELNS1_11target_archE906ELNS1_3gpuE6ELNS1_3repE0EEENS1_30default_config_static_selectorELNS0_4arch9wavefront6targetE1EEEvS12_: ; @_ZN7rocprim17ROCPRIM_400000_NS6detail17trampoline_kernelINS0_13select_configILj256ELj13ELNS0_17block_load_methodE3ELS4_3ELS4_3ELNS0_20block_scan_algorithmE0ELj4294967295EEENS1_25partition_config_selectorILNS1_17partition_subalgoE4EjNS0_10empty_typeEbEEZZNS1_14partition_implILS8_4ELb0ES6_15HIP_vector_typeIjLj2EENS0_17counting_iteratorIjlEEPS9_SG_NS0_5tupleIJPjSI_NS0_16reverse_iteratorISI_EEEEENSH_IJSG_SG_SG_EEES9_SI_JZNS1_25segmented_radix_sort_implINS0_14default_configELb1EPKaPaPKlPlN2at6native12_GLOBAL__N_18offset_tEEE10hipError_tPvRmT1_PNSt15iterator_traitsIS12_E10value_typeET2_T3_PNS13_IS18_E10value_typeET4_jRbjT5_S1E_jjP12ihipStream_tbEUljE_ZNSN_ISO_Lb1ESQ_SR_ST_SU_SY_EESZ_S10_S11_S12_S16_S17_S18_S1B_S1C_jS1D_jS1E_S1E_jjS1G_bEUljE0_EEESZ_S10_S11_S18_S1C_S1E_T6_T7_T9_mT8_S1G_bDpT10_ENKUlT_T0_E_clISt17integral_constantIbLb0EES1U_EEDaS1P_S1Q_EUlS1P_E_NS1_11comp_targetILNS1_3genE2ELNS1_11target_archE906ELNS1_3gpuE6ELNS1_3repE0EEENS1_30default_config_static_selectorELNS0_4arch9wavefront6targetE1EEEvS12_
; %bb.0:
	.section	.rodata,"a",@progbits
	.p2align	6, 0x0
	.amdhsa_kernel _ZN7rocprim17ROCPRIM_400000_NS6detail17trampoline_kernelINS0_13select_configILj256ELj13ELNS0_17block_load_methodE3ELS4_3ELS4_3ELNS0_20block_scan_algorithmE0ELj4294967295EEENS1_25partition_config_selectorILNS1_17partition_subalgoE4EjNS0_10empty_typeEbEEZZNS1_14partition_implILS8_4ELb0ES6_15HIP_vector_typeIjLj2EENS0_17counting_iteratorIjlEEPS9_SG_NS0_5tupleIJPjSI_NS0_16reverse_iteratorISI_EEEEENSH_IJSG_SG_SG_EEES9_SI_JZNS1_25segmented_radix_sort_implINS0_14default_configELb1EPKaPaPKlPlN2at6native12_GLOBAL__N_18offset_tEEE10hipError_tPvRmT1_PNSt15iterator_traitsIS12_E10value_typeET2_T3_PNS13_IS18_E10value_typeET4_jRbjT5_S1E_jjP12ihipStream_tbEUljE_ZNSN_ISO_Lb1ESQ_SR_ST_SU_SY_EESZ_S10_S11_S12_S16_S17_S18_S1B_S1C_jS1D_jS1E_S1E_jjS1G_bEUljE0_EEESZ_S10_S11_S18_S1C_S1E_T6_T7_T9_mT8_S1G_bDpT10_ENKUlT_T0_E_clISt17integral_constantIbLb0EES1U_EEDaS1P_S1Q_EUlS1P_E_NS1_11comp_targetILNS1_3genE2ELNS1_11target_archE906ELNS1_3gpuE6ELNS1_3repE0EEENS1_30default_config_static_selectorELNS0_4arch9wavefront6targetE1EEEvS12_
		.amdhsa_group_segment_fixed_size 0
		.amdhsa_private_segment_fixed_size 0
		.amdhsa_kernarg_size 176
		.amdhsa_user_sgpr_count 6
		.amdhsa_user_sgpr_private_segment_buffer 1
		.amdhsa_user_sgpr_dispatch_ptr 0
		.amdhsa_user_sgpr_queue_ptr 0
		.amdhsa_user_sgpr_kernarg_segment_ptr 1
		.amdhsa_user_sgpr_dispatch_id 0
		.amdhsa_user_sgpr_flat_scratch_init 0
		.amdhsa_user_sgpr_kernarg_preload_length 0
		.amdhsa_user_sgpr_kernarg_preload_offset 0
		.amdhsa_user_sgpr_private_segment_size 0
		.amdhsa_uses_dynamic_stack 0
		.amdhsa_system_sgpr_private_segment_wavefront_offset 0
		.amdhsa_system_sgpr_workgroup_id_x 1
		.amdhsa_system_sgpr_workgroup_id_y 0
		.amdhsa_system_sgpr_workgroup_id_z 0
		.amdhsa_system_sgpr_workgroup_info 0
		.amdhsa_system_vgpr_workitem_id 0
		.amdhsa_next_free_vgpr 1
		.amdhsa_next_free_sgpr 0
		.amdhsa_accum_offset 4
		.amdhsa_reserve_vcc 0
		.amdhsa_reserve_flat_scratch 0
		.amdhsa_float_round_mode_32 0
		.amdhsa_float_round_mode_16_64 0
		.amdhsa_float_denorm_mode_32 3
		.amdhsa_float_denorm_mode_16_64 3
		.amdhsa_dx10_clamp 1
		.amdhsa_ieee_mode 1
		.amdhsa_fp16_overflow 0
		.amdhsa_tg_split 0
		.amdhsa_exception_fp_ieee_invalid_op 0
		.amdhsa_exception_fp_denorm_src 0
		.amdhsa_exception_fp_ieee_div_zero 0
		.amdhsa_exception_fp_ieee_overflow 0
		.amdhsa_exception_fp_ieee_underflow 0
		.amdhsa_exception_fp_ieee_inexact 0
		.amdhsa_exception_int_div_zero 0
	.end_amdhsa_kernel
	.section	.text._ZN7rocprim17ROCPRIM_400000_NS6detail17trampoline_kernelINS0_13select_configILj256ELj13ELNS0_17block_load_methodE3ELS4_3ELS4_3ELNS0_20block_scan_algorithmE0ELj4294967295EEENS1_25partition_config_selectorILNS1_17partition_subalgoE4EjNS0_10empty_typeEbEEZZNS1_14partition_implILS8_4ELb0ES6_15HIP_vector_typeIjLj2EENS0_17counting_iteratorIjlEEPS9_SG_NS0_5tupleIJPjSI_NS0_16reverse_iteratorISI_EEEEENSH_IJSG_SG_SG_EEES9_SI_JZNS1_25segmented_radix_sort_implINS0_14default_configELb1EPKaPaPKlPlN2at6native12_GLOBAL__N_18offset_tEEE10hipError_tPvRmT1_PNSt15iterator_traitsIS12_E10value_typeET2_T3_PNS13_IS18_E10value_typeET4_jRbjT5_S1E_jjP12ihipStream_tbEUljE_ZNSN_ISO_Lb1ESQ_SR_ST_SU_SY_EESZ_S10_S11_S12_S16_S17_S18_S1B_S1C_jS1D_jS1E_S1E_jjS1G_bEUljE0_EEESZ_S10_S11_S18_S1C_S1E_T6_T7_T9_mT8_S1G_bDpT10_ENKUlT_T0_E_clISt17integral_constantIbLb0EES1U_EEDaS1P_S1Q_EUlS1P_E_NS1_11comp_targetILNS1_3genE2ELNS1_11target_archE906ELNS1_3gpuE6ELNS1_3repE0EEENS1_30default_config_static_selectorELNS0_4arch9wavefront6targetE1EEEvS12_,"axG",@progbits,_ZN7rocprim17ROCPRIM_400000_NS6detail17trampoline_kernelINS0_13select_configILj256ELj13ELNS0_17block_load_methodE3ELS4_3ELS4_3ELNS0_20block_scan_algorithmE0ELj4294967295EEENS1_25partition_config_selectorILNS1_17partition_subalgoE4EjNS0_10empty_typeEbEEZZNS1_14partition_implILS8_4ELb0ES6_15HIP_vector_typeIjLj2EENS0_17counting_iteratorIjlEEPS9_SG_NS0_5tupleIJPjSI_NS0_16reverse_iteratorISI_EEEEENSH_IJSG_SG_SG_EEES9_SI_JZNS1_25segmented_radix_sort_implINS0_14default_configELb1EPKaPaPKlPlN2at6native12_GLOBAL__N_18offset_tEEE10hipError_tPvRmT1_PNSt15iterator_traitsIS12_E10value_typeET2_T3_PNS13_IS18_E10value_typeET4_jRbjT5_S1E_jjP12ihipStream_tbEUljE_ZNSN_ISO_Lb1ESQ_SR_ST_SU_SY_EESZ_S10_S11_S12_S16_S17_S18_S1B_S1C_jS1D_jS1E_S1E_jjS1G_bEUljE0_EEESZ_S10_S11_S18_S1C_S1E_T6_T7_T9_mT8_S1G_bDpT10_ENKUlT_T0_E_clISt17integral_constantIbLb0EES1U_EEDaS1P_S1Q_EUlS1P_E_NS1_11comp_targetILNS1_3genE2ELNS1_11target_archE906ELNS1_3gpuE6ELNS1_3repE0EEENS1_30default_config_static_selectorELNS0_4arch9wavefront6targetE1EEEvS12_,comdat
.Lfunc_end230:
	.size	_ZN7rocprim17ROCPRIM_400000_NS6detail17trampoline_kernelINS0_13select_configILj256ELj13ELNS0_17block_load_methodE3ELS4_3ELS4_3ELNS0_20block_scan_algorithmE0ELj4294967295EEENS1_25partition_config_selectorILNS1_17partition_subalgoE4EjNS0_10empty_typeEbEEZZNS1_14partition_implILS8_4ELb0ES6_15HIP_vector_typeIjLj2EENS0_17counting_iteratorIjlEEPS9_SG_NS0_5tupleIJPjSI_NS0_16reverse_iteratorISI_EEEEENSH_IJSG_SG_SG_EEES9_SI_JZNS1_25segmented_radix_sort_implINS0_14default_configELb1EPKaPaPKlPlN2at6native12_GLOBAL__N_18offset_tEEE10hipError_tPvRmT1_PNSt15iterator_traitsIS12_E10value_typeET2_T3_PNS13_IS18_E10value_typeET4_jRbjT5_S1E_jjP12ihipStream_tbEUljE_ZNSN_ISO_Lb1ESQ_SR_ST_SU_SY_EESZ_S10_S11_S12_S16_S17_S18_S1B_S1C_jS1D_jS1E_S1E_jjS1G_bEUljE0_EEESZ_S10_S11_S18_S1C_S1E_T6_T7_T9_mT8_S1G_bDpT10_ENKUlT_T0_E_clISt17integral_constantIbLb0EES1U_EEDaS1P_S1Q_EUlS1P_E_NS1_11comp_targetILNS1_3genE2ELNS1_11target_archE906ELNS1_3gpuE6ELNS1_3repE0EEENS1_30default_config_static_selectorELNS0_4arch9wavefront6targetE1EEEvS12_, .Lfunc_end230-_ZN7rocprim17ROCPRIM_400000_NS6detail17trampoline_kernelINS0_13select_configILj256ELj13ELNS0_17block_load_methodE3ELS4_3ELS4_3ELNS0_20block_scan_algorithmE0ELj4294967295EEENS1_25partition_config_selectorILNS1_17partition_subalgoE4EjNS0_10empty_typeEbEEZZNS1_14partition_implILS8_4ELb0ES6_15HIP_vector_typeIjLj2EENS0_17counting_iteratorIjlEEPS9_SG_NS0_5tupleIJPjSI_NS0_16reverse_iteratorISI_EEEEENSH_IJSG_SG_SG_EEES9_SI_JZNS1_25segmented_radix_sort_implINS0_14default_configELb1EPKaPaPKlPlN2at6native12_GLOBAL__N_18offset_tEEE10hipError_tPvRmT1_PNSt15iterator_traitsIS12_E10value_typeET2_T3_PNS13_IS18_E10value_typeET4_jRbjT5_S1E_jjP12ihipStream_tbEUljE_ZNSN_ISO_Lb1ESQ_SR_ST_SU_SY_EESZ_S10_S11_S12_S16_S17_S18_S1B_S1C_jS1D_jS1E_S1E_jjS1G_bEUljE0_EEESZ_S10_S11_S18_S1C_S1E_T6_T7_T9_mT8_S1G_bDpT10_ENKUlT_T0_E_clISt17integral_constantIbLb0EES1U_EEDaS1P_S1Q_EUlS1P_E_NS1_11comp_targetILNS1_3genE2ELNS1_11target_archE906ELNS1_3gpuE6ELNS1_3repE0EEENS1_30default_config_static_selectorELNS0_4arch9wavefront6targetE1EEEvS12_
                                        ; -- End function
	.section	.AMDGPU.csdata,"",@progbits
; Kernel info:
; codeLenInByte = 0
; NumSgprs: 4
; NumVgprs: 0
; NumAgprs: 0
; TotalNumVgprs: 0
; ScratchSize: 0
; MemoryBound: 0
; FloatMode: 240
; IeeeMode: 1
; LDSByteSize: 0 bytes/workgroup (compile time only)
; SGPRBlocks: 0
; VGPRBlocks: 0
; NumSGPRsForWavesPerEU: 4
; NumVGPRsForWavesPerEU: 1
; AccumOffset: 4
; Occupancy: 8
; WaveLimiterHint : 0
; COMPUTE_PGM_RSRC2:SCRATCH_EN: 0
; COMPUTE_PGM_RSRC2:USER_SGPR: 6
; COMPUTE_PGM_RSRC2:TRAP_HANDLER: 0
; COMPUTE_PGM_RSRC2:TGID_X_EN: 1
; COMPUTE_PGM_RSRC2:TGID_Y_EN: 0
; COMPUTE_PGM_RSRC2:TGID_Z_EN: 0
; COMPUTE_PGM_RSRC2:TIDIG_COMP_CNT: 0
; COMPUTE_PGM_RSRC3_GFX90A:ACCUM_OFFSET: 0
; COMPUTE_PGM_RSRC3_GFX90A:TG_SPLIT: 0
	.section	.text._ZN7rocprim17ROCPRIM_400000_NS6detail17trampoline_kernelINS0_13select_configILj256ELj13ELNS0_17block_load_methodE3ELS4_3ELS4_3ELNS0_20block_scan_algorithmE0ELj4294967295EEENS1_25partition_config_selectorILNS1_17partition_subalgoE4EjNS0_10empty_typeEbEEZZNS1_14partition_implILS8_4ELb0ES6_15HIP_vector_typeIjLj2EENS0_17counting_iteratorIjlEEPS9_SG_NS0_5tupleIJPjSI_NS0_16reverse_iteratorISI_EEEEENSH_IJSG_SG_SG_EEES9_SI_JZNS1_25segmented_radix_sort_implINS0_14default_configELb1EPKaPaPKlPlN2at6native12_GLOBAL__N_18offset_tEEE10hipError_tPvRmT1_PNSt15iterator_traitsIS12_E10value_typeET2_T3_PNS13_IS18_E10value_typeET4_jRbjT5_S1E_jjP12ihipStream_tbEUljE_ZNSN_ISO_Lb1ESQ_SR_ST_SU_SY_EESZ_S10_S11_S12_S16_S17_S18_S1B_S1C_jS1D_jS1E_S1E_jjS1G_bEUljE0_EEESZ_S10_S11_S18_S1C_S1E_T6_T7_T9_mT8_S1G_bDpT10_ENKUlT_T0_E_clISt17integral_constantIbLb0EES1U_EEDaS1P_S1Q_EUlS1P_E_NS1_11comp_targetILNS1_3genE10ELNS1_11target_archE1200ELNS1_3gpuE4ELNS1_3repE0EEENS1_30default_config_static_selectorELNS0_4arch9wavefront6targetE1EEEvS12_,"axG",@progbits,_ZN7rocprim17ROCPRIM_400000_NS6detail17trampoline_kernelINS0_13select_configILj256ELj13ELNS0_17block_load_methodE3ELS4_3ELS4_3ELNS0_20block_scan_algorithmE0ELj4294967295EEENS1_25partition_config_selectorILNS1_17partition_subalgoE4EjNS0_10empty_typeEbEEZZNS1_14partition_implILS8_4ELb0ES6_15HIP_vector_typeIjLj2EENS0_17counting_iteratorIjlEEPS9_SG_NS0_5tupleIJPjSI_NS0_16reverse_iteratorISI_EEEEENSH_IJSG_SG_SG_EEES9_SI_JZNS1_25segmented_radix_sort_implINS0_14default_configELb1EPKaPaPKlPlN2at6native12_GLOBAL__N_18offset_tEEE10hipError_tPvRmT1_PNSt15iterator_traitsIS12_E10value_typeET2_T3_PNS13_IS18_E10value_typeET4_jRbjT5_S1E_jjP12ihipStream_tbEUljE_ZNSN_ISO_Lb1ESQ_SR_ST_SU_SY_EESZ_S10_S11_S12_S16_S17_S18_S1B_S1C_jS1D_jS1E_S1E_jjS1G_bEUljE0_EEESZ_S10_S11_S18_S1C_S1E_T6_T7_T9_mT8_S1G_bDpT10_ENKUlT_T0_E_clISt17integral_constantIbLb0EES1U_EEDaS1P_S1Q_EUlS1P_E_NS1_11comp_targetILNS1_3genE10ELNS1_11target_archE1200ELNS1_3gpuE4ELNS1_3repE0EEENS1_30default_config_static_selectorELNS0_4arch9wavefront6targetE1EEEvS12_,comdat
	.globl	_ZN7rocprim17ROCPRIM_400000_NS6detail17trampoline_kernelINS0_13select_configILj256ELj13ELNS0_17block_load_methodE3ELS4_3ELS4_3ELNS0_20block_scan_algorithmE0ELj4294967295EEENS1_25partition_config_selectorILNS1_17partition_subalgoE4EjNS0_10empty_typeEbEEZZNS1_14partition_implILS8_4ELb0ES6_15HIP_vector_typeIjLj2EENS0_17counting_iteratorIjlEEPS9_SG_NS0_5tupleIJPjSI_NS0_16reverse_iteratorISI_EEEEENSH_IJSG_SG_SG_EEES9_SI_JZNS1_25segmented_radix_sort_implINS0_14default_configELb1EPKaPaPKlPlN2at6native12_GLOBAL__N_18offset_tEEE10hipError_tPvRmT1_PNSt15iterator_traitsIS12_E10value_typeET2_T3_PNS13_IS18_E10value_typeET4_jRbjT5_S1E_jjP12ihipStream_tbEUljE_ZNSN_ISO_Lb1ESQ_SR_ST_SU_SY_EESZ_S10_S11_S12_S16_S17_S18_S1B_S1C_jS1D_jS1E_S1E_jjS1G_bEUljE0_EEESZ_S10_S11_S18_S1C_S1E_T6_T7_T9_mT8_S1G_bDpT10_ENKUlT_T0_E_clISt17integral_constantIbLb0EES1U_EEDaS1P_S1Q_EUlS1P_E_NS1_11comp_targetILNS1_3genE10ELNS1_11target_archE1200ELNS1_3gpuE4ELNS1_3repE0EEENS1_30default_config_static_selectorELNS0_4arch9wavefront6targetE1EEEvS12_ ; -- Begin function _ZN7rocprim17ROCPRIM_400000_NS6detail17trampoline_kernelINS0_13select_configILj256ELj13ELNS0_17block_load_methodE3ELS4_3ELS4_3ELNS0_20block_scan_algorithmE0ELj4294967295EEENS1_25partition_config_selectorILNS1_17partition_subalgoE4EjNS0_10empty_typeEbEEZZNS1_14partition_implILS8_4ELb0ES6_15HIP_vector_typeIjLj2EENS0_17counting_iteratorIjlEEPS9_SG_NS0_5tupleIJPjSI_NS0_16reverse_iteratorISI_EEEEENSH_IJSG_SG_SG_EEES9_SI_JZNS1_25segmented_radix_sort_implINS0_14default_configELb1EPKaPaPKlPlN2at6native12_GLOBAL__N_18offset_tEEE10hipError_tPvRmT1_PNSt15iterator_traitsIS12_E10value_typeET2_T3_PNS13_IS18_E10value_typeET4_jRbjT5_S1E_jjP12ihipStream_tbEUljE_ZNSN_ISO_Lb1ESQ_SR_ST_SU_SY_EESZ_S10_S11_S12_S16_S17_S18_S1B_S1C_jS1D_jS1E_S1E_jjS1G_bEUljE0_EEESZ_S10_S11_S18_S1C_S1E_T6_T7_T9_mT8_S1G_bDpT10_ENKUlT_T0_E_clISt17integral_constantIbLb0EES1U_EEDaS1P_S1Q_EUlS1P_E_NS1_11comp_targetILNS1_3genE10ELNS1_11target_archE1200ELNS1_3gpuE4ELNS1_3repE0EEENS1_30default_config_static_selectorELNS0_4arch9wavefront6targetE1EEEvS12_
	.p2align	8
	.type	_ZN7rocprim17ROCPRIM_400000_NS6detail17trampoline_kernelINS0_13select_configILj256ELj13ELNS0_17block_load_methodE3ELS4_3ELS4_3ELNS0_20block_scan_algorithmE0ELj4294967295EEENS1_25partition_config_selectorILNS1_17partition_subalgoE4EjNS0_10empty_typeEbEEZZNS1_14partition_implILS8_4ELb0ES6_15HIP_vector_typeIjLj2EENS0_17counting_iteratorIjlEEPS9_SG_NS0_5tupleIJPjSI_NS0_16reverse_iteratorISI_EEEEENSH_IJSG_SG_SG_EEES9_SI_JZNS1_25segmented_radix_sort_implINS0_14default_configELb1EPKaPaPKlPlN2at6native12_GLOBAL__N_18offset_tEEE10hipError_tPvRmT1_PNSt15iterator_traitsIS12_E10value_typeET2_T3_PNS13_IS18_E10value_typeET4_jRbjT5_S1E_jjP12ihipStream_tbEUljE_ZNSN_ISO_Lb1ESQ_SR_ST_SU_SY_EESZ_S10_S11_S12_S16_S17_S18_S1B_S1C_jS1D_jS1E_S1E_jjS1G_bEUljE0_EEESZ_S10_S11_S18_S1C_S1E_T6_T7_T9_mT8_S1G_bDpT10_ENKUlT_T0_E_clISt17integral_constantIbLb0EES1U_EEDaS1P_S1Q_EUlS1P_E_NS1_11comp_targetILNS1_3genE10ELNS1_11target_archE1200ELNS1_3gpuE4ELNS1_3repE0EEENS1_30default_config_static_selectorELNS0_4arch9wavefront6targetE1EEEvS12_,@function
_ZN7rocprim17ROCPRIM_400000_NS6detail17trampoline_kernelINS0_13select_configILj256ELj13ELNS0_17block_load_methodE3ELS4_3ELS4_3ELNS0_20block_scan_algorithmE0ELj4294967295EEENS1_25partition_config_selectorILNS1_17partition_subalgoE4EjNS0_10empty_typeEbEEZZNS1_14partition_implILS8_4ELb0ES6_15HIP_vector_typeIjLj2EENS0_17counting_iteratorIjlEEPS9_SG_NS0_5tupleIJPjSI_NS0_16reverse_iteratorISI_EEEEENSH_IJSG_SG_SG_EEES9_SI_JZNS1_25segmented_radix_sort_implINS0_14default_configELb1EPKaPaPKlPlN2at6native12_GLOBAL__N_18offset_tEEE10hipError_tPvRmT1_PNSt15iterator_traitsIS12_E10value_typeET2_T3_PNS13_IS18_E10value_typeET4_jRbjT5_S1E_jjP12ihipStream_tbEUljE_ZNSN_ISO_Lb1ESQ_SR_ST_SU_SY_EESZ_S10_S11_S12_S16_S17_S18_S1B_S1C_jS1D_jS1E_S1E_jjS1G_bEUljE0_EEESZ_S10_S11_S18_S1C_S1E_T6_T7_T9_mT8_S1G_bDpT10_ENKUlT_T0_E_clISt17integral_constantIbLb0EES1U_EEDaS1P_S1Q_EUlS1P_E_NS1_11comp_targetILNS1_3genE10ELNS1_11target_archE1200ELNS1_3gpuE4ELNS1_3repE0EEENS1_30default_config_static_selectorELNS0_4arch9wavefront6targetE1EEEvS12_: ; @_ZN7rocprim17ROCPRIM_400000_NS6detail17trampoline_kernelINS0_13select_configILj256ELj13ELNS0_17block_load_methodE3ELS4_3ELS4_3ELNS0_20block_scan_algorithmE0ELj4294967295EEENS1_25partition_config_selectorILNS1_17partition_subalgoE4EjNS0_10empty_typeEbEEZZNS1_14partition_implILS8_4ELb0ES6_15HIP_vector_typeIjLj2EENS0_17counting_iteratorIjlEEPS9_SG_NS0_5tupleIJPjSI_NS0_16reverse_iteratorISI_EEEEENSH_IJSG_SG_SG_EEES9_SI_JZNS1_25segmented_radix_sort_implINS0_14default_configELb1EPKaPaPKlPlN2at6native12_GLOBAL__N_18offset_tEEE10hipError_tPvRmT1_PNSt15iterator_traitsIS12_E10value_typeET2_T3_PNS13_IS18_E10value_typeET4_jRbjT5_S1E_jjP12ihipStream_tbEUljE_ZNSN_ISO_Lb1ESQ_SR_ST_SU_SY_EESZ_S10_S11_S12_S16_S17_S18_S1B_S1C_jS1D_jS1E_S1E_jjS1G_bEUljE0_EEESZ_S10_S11_S18_S1C_S1E_T6_T7_T9_mT8_S1G_bDpT10_ENKUlT_T0_E_clISt17integral_constantIbLb0EES1U_EEDaS1P_S1Q_EUlS1P_E_NS1_11comp_targetILNS1_3genE10ELNS1_11target_archE1200ELNS1_3gpuE4ELNS1_3repE0EEENS1_30default_config_static_selectorELNS0_4arch9wavefront6targetE1EEEvS12_
; %bb.0:
	.section	.rodata,"a",@progbits
	.p2align	6, 0x0
	.amdhsa_kernel _ZN7rocprim17ROCPRIM_400000_NS6detail17trampoline_kernelINS0_13select_configILj256ELj13ELNS0_17block_load_methodE3ELS4_3ELS4_3ELNS0_20block_scan_algorithmE0ELj4294967295EEENS1_25partition_config_selectorILNS1_17partition_subalgoE4EjNS0_10empty_typeEbEEZZNS1_14partition_implILS8_4ELb0ES6_15HIP_vector_typeIjLj2EENS0_17counting_iteratorIjlEEPS9_SG_NS0_5tupleIJPjSI_NS0_16reverse_iteratorISI_EEEEENSH_IJSG_SG_SG_EEES9_SI_JZNS1_25segmented_radix_sort_implINS0_14default_configELb1EPKaPaPKlPlN2at6native12_GLOBAL__N_18offset_tEEE10hipError_tPvRmT1_PNSt15iterator_traitsIS12_E10value_typeET2_T3_PNS13_IS18_E10value_typeET4_jRbjT5_S1E_jjP12ihipStream_tbEUljE_ZNSN_ISO_Lb1ESQ_SR_ST_SU_SY_EESZ_S10_S11_S12_S16_S17_S18_S1B_S1C_jS1D_jS1E_S1E_jjS1G_bEUljE0_EEESZ_S10_S11_S18_S1C_S1E_T6_T7_T9_mT8_S1G_bDpT10_ENKUlT_T0_E_clISt17integral_constantIbLb0EES1U_EEDaS1P_S1Q_EUlS1P_E_NS1_11comp_targetILNS1_3genE10ELNS1_11target_archE1200ELNS1_3gpuE4ELNS1_3repE0EEENS1_30default_config_static_selectorELNS0_4arch9wavefront6targetE1EEEvS12_
		.amdhsa_group_segment_fixed_size 0
		.amdhsa_private_segment_fixed_size 0
		.amdhsa_kernarg_size 176
		.amdhsa_user_sgpr_count 6
		.amdhsa_user_sgpr_private_segment_buffer 1
		.amdhsa_user_sgpr_dispatch_ptr 0
		.amdhsa_user_sgpr_queue_ptr 0
		.amdhsa_user_sgpr_kernarg_segment_ptr 1
		.amdhsa_user_sgpr_dispatch_id 0
		.amdhsa_user_sgpr_flat_scratch_init 0
		.amdhsa_user_sgpr_kernarg_preload_length 0
		.amdhsa_user_sgpr_kernarg_preload_offset 0
		.amdhsa_user_sgpr_private_segment_size 0
		.amdhsa_uses_dynamic_stack 0
		.amdhsa_system_sgpr_private_segment_wavefront_offset 0
		.amdhsa_system_sgpr_workgroup_id_x 1
		.amdhsa_system_sgpr_workgroup_id_y 0
		.amdhsa_system_sgpr_workgroup_id_z 0
		.amdhsa_system_sgpr_workgroup_info 0
		.amdhsa_system_vgpr_workitem_id 0
		.amdhsa_next_free_vgpr 1
		.amdhsa_next_free_sgpr 0
		.amdhsa_accum_offset 4
		.amdhsa_reserve_vcc 0
		.amdhsa_reserve_flat_scratch 0
		.amdhsa_float_round_mode_32 0
		.amdhsa_float_round_mode_16_64 0
		.amdhsa_float_denorm_mode_32 3
		.amdhsa_float_denorm_mode_16_64 3
		.amdhsa_dx10_clamp 1
		.amdhsa_ieee_mode 1
		.amdhsa_fp16_overflow 0
		.amdhsa_tg_split 0
		.amdhsa_exception_fp_ieee_invalid_op 0
		.amdhsa_exception_fp_denorm_src 0
		.amdhsa_exception_fp_ieee_div_zero 0
		.amdhsa_exception_fp_ieee_overflow 0
		.amdhsa_exception_fp_ieee_underflow 0
		.amdhsa_exception_fp_ieee_inexact 0
		.amdhsa_exception_int_div_zero 0
	.end_amdhsa_kernel
	.section	.text._ZN7rocprim17ROCPRIM_400000_NS6detail17trampoline_kernelINS0_13select_configILj256ELj13ELNS0_17block_load_methodE3ELS4_3ELS4_3ELNS0_20block_scan_algorithmE0ELj4294967295EEENS1_25partition_config_selectorILNS1_17partition_subalgoE4EjNS0_10empty_typeEbEEZZNS1_14partition_implILS8_4ELb0ES6_15HIP_vector_typeIjLj2EENS0_17counting_iteratorIjlEEPS9_SG_NS0_5tupleIJPjSI_NS0_16reverse_iteratorISI_EEEEENSH_IJSG_SG_SG_EEES9_SI_JZNS1_25segmented_radix_sort_implINS0_14default_configELb1EPKaPaPKlPlN2at6native12_GLOBAL__N_18offset_tEEE10hipError_tPvRmT1_PNSt15iterator_traitsIS12_E10value_typeET2_T3_PNS13_IS18_E10value_typeET4_jRbjT5_S1E_jjP12ihipStream_tbEUljE_ZNSN_ISO_Lb1ESQ_SR_ST_SU_SY_EESZ_S10_S11_S12_S16_S17_S18_S1B_S1C_jS1D_jS1E_S1E_jjS1G_bEUljE0_EEESZ_S10_S11_S18_S1C_S1E_T6_T7_T9_mT8_S1G_bDpT10_ENKUlT_T0_E_clISt17integral_constantIbLb0EES1U_EEDaS1P_S1Q_EUlS1P_E_NS1_11comp_targetILNS1_3genE10ELNS1_11target_archE1200ELNS1_3gpuE4ELNS1_3repE0EEENS1_30default_config_static_selectorELNS0_4arch9wavefront6targetE1EEEvS12_,"axG",@progbits,_ZN7rocprim17ROCPRIM_400000_NS6detail17trampoline_kernelINS0_13select_configILj256ELj13ELNS0_17block_load_methodE3ELS4_3ELS4_3ELNS0_20block_scan_algorithmE0ELj4294967295EEENS1_25partition_config_selectorILNS1_17partition_subalgoE4EjNS0_10empty_typeEbEEZZNS1_14partition_implILS8_4ELb0ES6_15HIP_vector_typeIjLj2EENS0_17counting_iteratorIjlEEPS9_SG_NS0_5tupleIJPjSI_NS0_16reverse_iteratorISI_EEEEENSH_IJSG_SG_SG_EEES9_SI_JZNS1_25segmented_radix_sort_implINS0_14default_configELb1EPKaPaPKlPlN2at6native12_GLOBAL__N_18offset_tEEE10hipError_tPvRmT1_PNSt15iterator_traitsIS12_E10value_typeET2_T3_PNS13_IS18_E10value_typeET4_jRbjT5_S1E_jjP12ihipStream_tbEUljE_ZNSN_ISO_Lb1ESQ_SR_ST_SU_SY_EESZ_S10_S11_S12_S16_S17_S18_S1B_S1C_jS1D_jS1E_S1E_jjS1G_bEUljE0_EEESZ_S10_S11_S18_S1C_S1E_T6_T7_T9_mT8_S1G_bDpT10_ENKUlT_T0_E_clISt17integral_constantIbLb0EES1U_EEDaS1P_S1Q_EUlS1P_E_NS1_11comp_targetILNS1_3genE10ELNS1_11target_archE1200ELNS1_3gpuE4ELNS1_3repE0EEENS1_30default_config_static_selectorELNS0_4arch9wavefront6targetE1EEEvS12_,comdat
.Lfunc_end231:
	.size	_ZN7rocprim17ROCPRIM_400000_NS6detail17trampoline_kernelINS0_13select_configILj256ELj13ELNS0_17block_load_methodE3ELS4_3ELS4_3ELNS0_20block_scan_algorithmE0ELj4294967295EEENS1_25partition_config_selectorILNS1_17partition_subalgoE4EjNS0_10empty_typeEbEEZZNS1_14partition_implILS8_4ELb0ES6_15HIP_vector_typeIjLj2EENS0_17counting_iteratorIjlEEPS9_SG_NS0_5tupleIJPjSI_NS0_16reverse_iteratorISI_EEEEENSH_IJSG_SG_SG_EEES9_SI_JZNS1_25segmented_radix_sort_implINS0_14default_configELb1EPKaPaPKlPlN2at6native12_GLOBAL__N_18offset_tEEE10hipError_tPvRmT1_PNSt15iterator_traitsIS12_E10value_typeET2_T3_PNS13_IS18_E10value_typeET4_jRbjT5_S1E_jjP12ihipStream_tbEUljE_ZNSN_ISO_Lb1ESQ_SR_ST_SU_SY_EESZ_S10_S11_S12_S16_S17_S18_S1B_S1C_jS1D_jS1E_S1E_jjS1G_bEUljE0_EEESZ_S10_S11_S18_S1C_S1E_T6_T7_T9_mT8_S1G_bDpT10_ENKUlT_T0_E_clISt17integral_constantIbLb0EES1U_EEDaS1P_S1Q_EUlS1P_E_NS1_11comp_targetILNS1_3genE10ELNS1_11target_archE1200ELNS1_3gpuE4ELNS1_3repE0EEENS1_30default_config_static_selectorELNS0_4arch9wavefront6targetE1EEEvS12_, .Lfunc_end231-_ZN7rocprim17ROCPRIM_400000_NS6detail17trampoline_kernelINS0_13select_configILj256ELj13ELNS0_17block_load_methodE3ELS4_3ELS4_3ELNS0_20block_scan_algorithmE0ELj4294967295EEENS1_25partition_config_selectorILNS1_17partition_subalgoE4EjNS0_10empty_typeEbEEZZNS1_14partition_implILS8_4ELb0ES6_15HIP_vector_typeIjLj2EENS0_17counting_iteratorIjlEEPS9_SG_NS0_5tupleIJPjSI_NS0_16reverse_iteratorISI_EEEEENSH_IJSG_SG_SG_EEES9_SI_JZNS1_25segmented_radix_sort_implINS0_14default_configELb1EPKaPaPKlPlN2at6native12_GLOBAL__N_18offset_tEEE10hipError_tPvRmT1_PNSt15iterator_traitsIS12_E10value_typeET2_T3_PNS13_IS18_E10value_typeET4_jRbjT5_S1E_jjP12ihipStream_tbEUljE_ZNSN_ISO_Lb1ESQ_SR_ST_SU_SY_EESZ_S10_S11_S12_S16_S17_S18_S1B_S1C_jS1D_jS1E_S1E_jjS1G_bEUljE0_EEESZ_S10_S11_S18_S1C_S1E_T6_T7_T9_mT8_S1G_bDpT10_ENKUlT_T0_E_clISt17integral_constantIbLb0EES1U_EEDaS1P_S1Q_EUlS1P_E_NS1_11comp_targetILNS1_3genE10ELNS1_11target_archE1200ELNS1_3gpuE4ELNS1_3repE0EEENS1_30default_config_static_selectorELNS0_4arch9wavefront6targetE1EEEvS12_
                                        ; -- End function
	.section	.AMDGPU.csdata,"",@progbits
; Kernel info:
; codeLenInByte = 0
; NumSgprs: 4
; NumVgprs: 0
; NumAgprs: 0
; TotalNumVgprs: 0
; ScratchSize: 0
; MemoryBound: 0
; FloatMode: 240
; IeeeMode: 1
; LDSByteSize: 0 bytes/workgroup (compile time only)
; SGPRBlocks: 0
; VGPRBlocks: 0
; NumSGPRsForWavesPerEU: 4
; NumVGPRsForWavesPerEU: 1
; AccumOffset: 4
; Occupancy: 8
; WaveLimiterHint : 0
; COMPUTE_PGM_RSRC2:SCRATCH_EN: 0
; COMPUTE_PGM_RSRC2:USER_SGPR: 6
; COMPUTE_PGM_RSRC2:TRAP_HANDLER: 0
; COMPUTE_PGM_RSRC2:TGID_X_EN: 1
; COMPUTE_PGM_RSRC2:TGID_Y_EN: 0
; COMPUTE_PGM_RSRC2:TGID_Z_EN: 0
; COMPUTE_PGM_RSRC2:TIDIG_COMP_CNT: 0
; COMPUTE_PGM_RSRC3_GFX90A:ACCUM_OFFSET: 0
; COMPUTE_PGM_RSRC3_GFX90A:TG_SPLIT: 0
	.section	.text._ZN7rocprim17ROCPRIM_400000_NS6detail17trampoline_kernelINS0_13select_configILj256ELj13ELNS0_17block_load_methodE3ELS4_3ELS4_3ELNS0_20block_scan_algorithmE0ELj4294967295EEENS1_25partition_config_selectorILNS1_17partition_subalgoE4EjNS0_10empty_typeEbEEZZNS1_14partition_implILS8_4ELb0ES6_15HIP_vector_typeIjLj2EENS0_17counting_iteratorIjlEEPS9_SG_NS0_5tupleIJPjSI_NS0_16reverse_iteratorISI_EEEEENSH_IJSG_SG_SG_EEES9_SI_JZNS1_25segmented_radix_sort_implINS0_14default_configELb1EPKaPaPKlPlN2at6native12_GLOBAL__N_18offset_tEEE10hipError_tPvRmT1_PNSt15iterator_traitsIS12_E10value_typeET2_T3_PNS13_IS18_E10value_typeET4_jRbjT5_S1E_jjP12ihipStream_tbEUljE_ZNSN_ISO_Lb1ESQ_SR_ST_SU_SY_EESZ_S10_S11_S12_S16_S17_S18_S1B_S1C_jS1D_jS1E_S1E_jjS1G_bEUljE0_EEESZ_S10_S11_S18_S1C_S1E_T6_T7_T9_mT8_S1G_bDpT10_ENKUlT_T0_E_clISt17integral_constantIbLb0EES1U_EEDaS1P_S1Q_EUlS1P_E_NS1_11comp_targetILNS1_3genE9ELNS1_11target_archE1100ELNS1_3gpuE3ELNS1_3repE0EEENS1_30default_config_static_selectorELNS0_4arch9wavefront6targetE1EEEvS12_,"axG",@progbits,_ZN7rocprim17ROCPRIM_400000_NS6detail17trampoline_kernelINS0_13select_configILj256ELj13ELNS0_17block_load_methodE3ELS4_3ELS4_3ELNS0_20block_scan_algorithmE0ELj4294967295EEENS1_25partition_config_selectorILNS1_17partition_subalgoE4EjNS0_10empty_typeEbEEZZNS1_14partition_implILS8_4ELb0ES6_15HIP_vector_typeIjLj2EENS0_17counting_iteratorIjlEEPS9_SG_NS0_5tupleIJPjSI_NS0_16reverse_iteratorISI_EEEEENSH_IJSG_SG_SG_EEES9_SI_JZNS1_25segmented_radix_sort_implINS0_14default_configELb1EPKaPaPKlPlN2at6native12_GLOBAL__N_18offset_tEEE10hipError_tPvRmT1_PNSt15iterator_traitsIS12_E10value_typeET2_T3_PNS13_IS18_E10value_typeET4_jRbjT5_S1E_jjP12ihipStream_tbEUljE_ZNSN_ISO_Lb1ESQ_SR_ST_SU_SY_EESZ_S10_S11_S12_S16_S17_S18_S1B_S1C_jS1D_jS1E_S1E_jjS1G_bEUljE0_EEESZ_S10_S11_S18_S1C_S1E_T6_T7_T9_mT8_S1G_bDpT10_ENKUlT_T0_E_clISt17integral_constantIbLb0EES1U_EEDaS1P_S1Q_EUlS1P_E_NS1_11comp_targetILNS1_3genE9ELNS1_11target_archE1100ELNS1_3gpuE3ELNS1_3repE0EEENS1_30default_config_static_selectorELNS0_4arch9wavefront6targetE1EEEvS12_,comdat
	.globl	_ZN7rocprim17ROCPRIM_400000_NS6detail17trampoline_kernelINS0_13select_configILj256ELj13ELNS0_17block_load_methodE3ELS4_3ELS4_3ELNS0_20block_scan_algorithmE0ELj4294967295EEENS1_25partition_config_selectorILNS1_17partition_subalgoE4EjNS0_10empty_typeEbEEZZNS1_14partition_implILS8_4ELb0ES6_15HIP_vector_typeIjLj2EENS0_17counting_iteratorIjlEEPS9_SG_NS0_5tupleIJPjSI_NS0_16reverse_iteratorISI_EEEEENSH_IJSG_SG_SG_EEES9_SI_JZNS1_25segmented_radix_sort_implINS0_14default_configELb1EPKaPaPKlPlN2at6native12_GLOBAL__N_18offset_tEEE10hipError_tPvRmT1_PNSt15iterator_traitsIS12_E10value_typeET2_T3_PNS13_IS18_E10value_typeET4_jRbjT5_S1E_jjP12ihipStream_tbEUljE_ZNSN_ISO_Lb1ESQ_SR_ST_SU_SY_EESZ_S10_S11_S12_S16_S17_S18_S1B_S1C_jS1D_jS1E_S1E_jjS1G_bEUljE0_EEESZ_S10_S11_S18_S1C_S1E_T6_T7_T9_mT8_S1G_bDpT10_ENKUlT_T0_E_clISt17integral_constantIbLb0EES1U_EEDaS1P_S1Q_EUlS1P_E_NS1_11comp_targetILNS1_3genE9ELNS1_11target_archE1100ELNS1_3gpuE3ELNS1_3repE0EEENS1_30default_config_static_selectorELNS0_4arch9wavefront6targetE1EEEvS12_ ; -- Begin function _ZN7rocprim17ROCPRIM_400000_NS6detail17trampoline_kernelINS0_13select_configILj256ELj13ELNS0_17block_load_methodE3ELS4_3ELS4_3ELNS0_20block_scan_algorithmE0ELj4294967295EEENS1_25partition_config_selectorILNS1_17partition_subalgoE4EjNS0_10empty_typeEbEEZZNS1_14partition_implILS8_4ELb0ES6_15HIP_vector_typeIjLj2EENS0_17counting_iteratorIjlEEPS9_SG_NS0_5tupleIJPjSI_NS0_16reverse_iteratorISI_EEEEENSH_IJSG_SG_SG_EEES9_SI_JZNS1_25segmented_radix_sort_implINS0_14default_configELb1EPKaPaPKlPlN2at6native12_GLOBAL__N_18offset_tEEE10hipError_tPvRmT1_PNSt15iterator_traitsIS12_E10value_typeET2_T3_PNS13_IS18_E10value_typeET4_jRbjT5_S1E_jjP12ihipStream_tbEUljE_ZNSN_ISO_Lb1ESQ_SR_ST_SU_SY_EESZ_S10_S11_S12_S16_S17_S18_S1B_S1C_jS1D_jS1E_S1E_jjS1G_bEUljE0_EEESZ_S10_S11_S18_S1C_S1E_T6_T7_T9_mT8_S1G_bDpT10_ENKUlT_T0_E_clISt17integral_constantIbLb0EES1U_EEDaS1P_S1Q_EUlS1P_E_NS1_11comp_targetILNS1_3genE9ELNS1_11target_archE1100ELNS1_3gpuE3ELNS1_3repE0EEENS1_30default_config_static_selectorELNS0_4arch9wavefront6targetE1EEEvS12_
	.p2align	8
	.type	_ZN7rocprim17ROCPRIM_400000_NS6detail17trampoline_kernelINS0_13select_configILj256ELj13ELNS0_17block_load_methodE3ELS4_3ELS4_3ELNS0_20block_scan_algorithmE0ELj4294967295EEENS1_25partition_config_selectorILNS1_17partition_subalgoE4EjNS0_10empty_typeEbEEZZNS1_14partition_implILS8_4ELb0ES6_15HIP_vector_typeIjLj2EENS0_17counting_iteratorIjlEEPS9_SG_NS0_5tupleIJPjSI_NS0_16reverse_iteratorISI_EEEEENSH_IJSG_SG_SG_EEES9_SI_JZNS1_25segmented_radix_sort_implINS0_14default_configELb1EPKaPaPKlPlN2at6native12_GLOBAL__N_18offset_tEEE10hipError_tPvRmT1_PNSt15iterator_traitsIS12_E10value_typeET2_T3_PNS13_IS18_E10value_typeET4_jRbjT5_S1E_jjP12ihipStream_tbEUljE_ZNSN_ISO_Lb1ESQ_SR_ST_SU_SY_EESZ_S10_S11_S12_S16_S17_S18_S1B_S1C_jS1D_jS1E_S1E_jjS1G_bEUljE0_EEESZ_S10_S11_S18_S1C_S1E_T6_T7_T9_mT8_S1G_bDpT10_ENKUlT_T0_E_clISt17integral_constantIbLb0EES1U_EEDaS1P_S1Q_EUlS1P_E_NS1_11comp_targetILNS1_3genE9ELNS1_11target_archE1100ELNS1_3gpuE3ELNS1_3repE0EEENS1_30default_config_static_selectorELNS0_4arch9wavefront6targetE1EEEvS12_,@function
_ZN7rocprim17ROCPRIM_400000_NS6detail17trampoline_kernelINS0_13select_configILj256ELj13ELNS0_17block_load_methodE3ELS4_3ELS4_3ELNS0_20block_scan_algorithmE0ELj4294967295EEENS1_25partition_config_selectorILNS1_17partition_subalgoE4EjNS0_10empty_typeEbEEZZNS1_14partition_implILS8_4ELb0ES6_15HIP_vector_typeIjLj2EENS0_17counting_iteratorIjlEEPS9_SG_NS0_5tupleIJPjSI_NS0_16reverse_iteratorISI_EEEEENSH_IJSG_SG_SG_EEES9_SI_JZNS1_25segmented_radix_sort_implINS0_14default_configELb1EPKaPaPKlPlN2at6native12_GLOBAL__N_18offset_tEEE10hipError_tPvRmT1_PNSt15iterator_traitsIS12_E10value_typeET2_T3_PNS13_IS18_E10value_typeET4_jRbjT5_S1E_jjP12ihipStream_tbEUljE_ZNSN_ISO_Lb1ESQ_SR_ST_SU_SY_EESZ_S10_S11_S12_S16_S17_S18_S1B_S1C_jS1D_jS1E_S1E_jjS1G_bEUljE0_EEESZ_S10_S11_S18_S1C_S1E_T6_T7_T9_mT8_S1G_bDpT10_ENKUlT_T0_E_clISt17integral_constantIbLb0EES1U_EEDaS1P_S1Q_EUlS1P_E_NS1_11comp_targetILNS1_3genE9ELNS1_11target_archE1100ELNS1_3gpuE3ELNS1_3repE0EEENS1_30default_config_static_selectorELNS0_4arch9wavefront6targetE1EEEvS12_: ; @_ZN7rocprim17ROCPRIM_400000_NS6detail17trampoline_kernelINS0_13select_configILj256ELj13ELNS0_17block_load_methodE3ELS4_3ELS4_3ELNS0_20block_scan_algorithmE0ELj4294967295EEENS1_25partition_config_selectorILNS1_17partition_subalgoE4EjNS0_10empty_typeEbEEZZNS1_14partition_implILS8_4ELb0ES6_15HIP_vector_typeIjLj2EENS0_17counting_iteratorIjlEEPS9_SG_NS0_5tupleIJPjSI_NS0_16reverse_iteratorISI_EEEEENSH_IJSG_SG_SG_EEES9_SI_JZNS1_25segmented_radix_sort_implINS0_14default_configELb1EPKaPaPKlPlN2at6native12_GLOBAL__N_18offset_tEEE10hipError_tPvRmT1_PNSt15iterator_traitsIS12_E10value_typeET2_T3_PNS13_IS18_E10value_typeET4_jRbjT5_S1E_jjP12ihipStream_tbEUljE_ZNSN_ISO_Lb1ESQ_SR_ST_SU_SY_EESZ_S10_S11_S12_S16_S17_S18_S1B_S1C_jS1D_jS1E_S1E_jjS1G_bEUljE0_EEESZ_S10_S11_S18_S1C_S1E_T6_T7_T9_mT8_S1G_bDpT10_ENKUlT_T0_E_clISt17integral_constantIbLb0EES1U_EEDaS1P_S1Q_EUlS1P_E_NS1_11comp_targetILNS1_3genE9ELNS1_11target_archE1100ELNS1_3gpuE3ELNS1_3repE0EEENS1_30default_config_static_selectorELNS0_4arch9wavefront6targetE1EEEvS12_
; %bb.0:
	.section	.rodata,"a",@progbits
	.p2align	6, 0x0
	.amdhsa_kernel _ZN7rocprim17ROCPRIM_400000_NS6detail17trampoline_kernelINS0_13select_configILj256ELj13ELNS0_17block_load_methodE3ELS4_3ELS4_3ELNS0_20block_scan_algorithmE0ELj4294967295EEENS1_25partition_config_selectorILNS1_17partition_subalgoE4EjNS0_10empty_typeEbEEZZNS1_14partition_implILS8_4ELb0ES6_15HIP_vector_typeIjLj2EENS0_17counting_iteratorIjlEEPS9_SG_NS0_5tupleIJPjSI_NS0_16reverse_iteratorISI_EEEEENSH_IJSG_SG_SG_EEES9_SI_JZNS1_25segmented_radix_sort_implINS0_14default_configELb1EPKaPaPKlPlN2at6native12_GLOBAL__N_18offset_tEEE10hipError_tPvRmT1_PNSt15iterator_traitsIS12_E10value_typeET2_T3_PNS13_IS18_E10value_typeET4_jRbjT5_S1E_jjP12ihipStream_tbEUljE_ZNSN_ISO_Lb1ESQ_SR_ST_SU_SY_EESZ_S10_S11_S12_S16_S17_S18_S1B_S1C_jS1D_jS1E_S1E_jjS1G_bEUljE0_EEESZ_S10_S11_S18_S1C_S1E_T6_T7_T9_mT8_S1G_bDpT10_ENKUlT_T0_E_clISt17integral_constantIbLb0EES1U_EEDaS1P_S1Q_EUlS1P_E_NS1_11comp_targetILNS1_3genE9ELNS1_11target_archE1100ELNS1_3gpuE3ELNS1_3repE0EEENS1_30default_config_static_selectorELNS0_4arch9wavefront6targetE1EEEvS12_
		.amdhsa_group_segment_fixed_size 0
		.amdhsa_private_segment_fixed_size 0
		.amdhsa_kernarg_size 176
		.amdhsa_user_sgpr_count 6
		.amdhsa_user_sgpr_private_segment_buffer 1
		.amdhsa_user_sgpr_dispatch_ptr 0
		.amdhsa_user_sgpr_queue_ptr 0
		.amdhsa_user_sgpr_kernarg_segment_ptr 1
		.amdhsa_user_sgpr_dispatch_id 0
		.amdhsa_user_sgpr_flat_scratch_init 0
		.amdhsa_user_sgpr_kernarg_preload_length 0
		.amdhsa_user_sgpr_kernarg_preload_offset 0
		.amdhsa_user_sgpr_private_segment_size 0
		.amdhsa_uses_dynamic_stack 0
		.amdhsa_system_sgpr_private_segment_wavefront_offset 0
		.amdhsa_system_sgpr_workgroup_id_x 1
		.amdhsa_system_sgpr_workgroup_id_y 0
		.amdhsa_system_sgpr_workgroup_id_z 0
		.amdhsa_system_sgpr_workgroup_info 0
		.amdhsa_system_vgpr_workitem_id 0
		.amdhsa_next_free_vgpr 1
		.amdhsa_next_free_sgpr 0
		.amdhsa_accum_offset 4
		.amdhsa_reserve_vcc 0
		.amdhsa_reserve_flat_scratch 0
		.amdhsa_float_round_mode_32 0
		.amdhsa_float_round_mode_16_64 0
		.amdhsa_float_denorm_mode_32 3
		.amdhsa_float_denorm_mode_16_64 3
		.amdhsa_dx10_clamp 1
		.amdhsa_ieee_mode 1
		.amdhsa_fp16_overflow 0
		.amdhsa_tg_split 0
		.amdhsa_exception_fp_ieee_invalid_op 0
		.amdhsa_exception_fp_denorm_src 0
		.amdhsa_exception_fp_ieee_div_zero 0
		.amdhsa_exception_fp_ieee_overflow 0
		.amdhsa_exception_fp_ieee_underflow 0
		.amdhsa_exception_fp_ieee_inexact 0
		.amdhsa_exception_int_div_zero 0
	.end_amdhsa_kernel
	.section	.text._ZN7rocprim17ROCPRIM_400000_NS6detail17trampoline_kernelINS0_13select_configILj256ELj13ELNS0_17block_load_methodE3ELS4_3ELS4_3ELNS0_20block_scan_algorithmE0ELj4294967295EEENS1_25partition_config_selectorILNS1_17partition_subalgoE4EjNS0_10empty_typeEbEEZZNS1_14partition_implILS8_4ELb0ES6_15HIP_vector_typeIjLj2EENS0_17counting_iteratorIjlEEPS9_SG_NS0_5tupleIJPjSI_NS0_16reverse_iteratorISI_EEEEENSH_IJSG_SG_SG_EEES9_SI_JZNS1_25segmented_radix_sort_implINS0_14default_configELb1EPKaPaPKlPlN2at6native12_GLOBAL__N_18offset_tEEE10hipError_tPvRmT1_PNSt15iterator_traitsIS12_E10value_typeET2_T3_PNS13_IS18_E10value_typeET4_jRbjT5_S1E_jjP12ihipStream_tbEUljE_ZNSN_ISO_Lb1ESQ_SR_ST_SU_SY_EESZ_S10_S11_S12_S16_S17_S18_S1B_S1C_jS1D_jS1E_S1E_jjS1G_bEUljE0_EEESZ_S10_S11_S18_S1C_S1E_T6_T7_T9_mT8_S1G_bDpT10_ENKUlT_T0_E_clISt17integral_constantIbLb0EES1U_EEDaS1P_S1Q_EUlS1P_E_NS1_11comp_targetILNS1_3genE9ELNS1_11target_archE1100ELNS1_3gpuE3ELNS1_3repE0EEENS1_30default_config_static_selectorELNS0_4arch9wavefront6targetE1EEEvS12_,"axG",@progbits,_ZN7rocprim17ROCPRIM_400000_NS6detail17trampoline_kernelINS0_13select_configILj256ELj13ELNS0_17block_load_methodE3ELS4_3ELS4_3ELNS0_20block_scan_algorithmE0ELj4294967295EEENS1_25partition_config_selectorILNS1_17partition_subalgoE4EjNS0_10empty_typeEbEEZZNS1_14partition_implILS8_4ELb0ES6_15HIP_vector_typeIjLj2EENS0_17counting_iteratorIjlEEPS9_SG_NS0_5tupleIJPjSI_NS0_16reverse_iteratorISI_EEEEENSH_IJSG_SG_SG_EEES9_SI_JZNS1_25segmented_radix_sort_implINS0_14default_configELb1EPKaPaPKlPlN2at6native12_GLOBAL__N_18offset_tEEE10hipError_tPvRmT1_PNSt15iterator_traitsIS12_E10value_typeET2_T3_PNS13_IS18_E10value_typeET4_jRbjT5_S1E_jjP12ihipStream_tbEUljE_ZNSN_ISO_Lb1ESQ_SR_ST_SU_SY_EESZ_S10_S11_S12_S16_S17_S18_S1B_S1C_jS1D_jS1E_S1E_jjS1G_bEUljE0_EEESZ_S10_S11_S18_S1C_S1E_T6_T7_T9_mT8_S1G_bDpT10_ENKUlT_T0_E_clISt17integral_constantIbLb0EES1U_EEDaS1P_S1Q_EUlS1P_E_NS1_11comp_targetILNS1_3genE9ELNS1_11target_archE1100ELNS1_3gpuE3ELNS1_3repE0EEENS1_30default_config_static_selectorELNS0_4arch9wavefront6targetE1EEEvS12_,comdat
.Lfunc_end232:
	.size	_ZN7rocprim17ROCPRIM_400000_NS6detail17trampoline_kernelINS0_13select_configILj256ELj13ELNS0_17block_load_methodE3ELS4_3ELS4_3ELNS0_20block_scan_algorithmE0ELj4294967295EEENS1_25partition_config_selectorILNS1_17partition_subalgoE4EjNS0_10empty_typeEbEEZZNS1_14partition_implILS8_4ELb0ES6_15HIP_vector_typeIjLj2EENS0_17counting_iteratorIjlEEPS9_SG_NS0_5tupleIJPjSI_NS0_16reverse_iteratorISI_EEEEENSH_IJSG_SG_SG_EEES9_SI_JZNS1_25segmented_radix_sort_implINS0_14default_configELb1EPKaPaPKlPlN2at6native12_GLOBAL__N_18offset_tEEE10hipError_tPvRmT1_PNSt15iterator_traitsIS12_E10value_typeET2_T3_PNS13_IS18_E10value_typeET4_jRbjT5_S1E_jjP12ihipStream_tbEUljE_ZNSN_ISO_Lb1ESQ_SR_ST_SU_SY_EESZ_S10_S11_S12_S16_S17_S18_S1B_S1C_jS1D_jS1E_S1E_jjS1G_bEUljE0_EEESZ_S10_S11_S18_S1C_S1E_T6_T7_T9_mT8_S1G_bDpT10_ENKUlT_T0_E_clISt17integral_constantIbLb0EES1U_EEDaS1P_S1Q_EUlS1P_E_NS1_11comp_targetILNS1_3genE9ELNS1_11target_archE1100ELNS1_3gpuE3ELNS1_3repE0EEENS1_30default_config_static_selectorELNS0_4arch9wavefront6targetE1EEEvS12_, .Lfunc_end232-_ZN7rocprim17ROCPRIM_400000_NS6detail17trampoline_kernelINS0_13select_configILj256ELj13ELNS0_17block_load_methodE3ELS4_3ELS4_3ELNS0_20block_scan_algorithmE0ELj4294967295EEENS1_25partition_config_selectorILNS1_17partition_subalgoE4EjNS0_10empty_typeEbEEZZNS1_14partition_implILS8_4ELb0ES6_15HIP_vector_typeIjLj2EENS0_17counting_iteratorIjlEEPS9_SG_NS0_5tupleIJPjSI_NS0_16reverse_iteratorISI_EEEEENSH_IJSG_SG_SG_EEES9_SI_JZNS1_25segmented_radix_sort_implINS0_14default_configELb1EPKaPaPKlPlN2at6native12_GLOBAL__N_18offset_tEEE10hipError_tPvRmT1_PNSt15iterator_traitsIS12_E10value_typeET2_T3_PNS13_IS18_E10value_typeET4_jRbjT5_S1E_jjP12ihipStream_tbEUljE_ZNSN_ISO_Lb1ESQ_SR_ST_SU_SY_EESZ_S10_S11_S12_S16_S17_S18_S1B_S1C_jS1D_jS1E_S1E_jjS1G_bEUljE0_EEESZ_S10_S11_S18_S1C_S1E_T6_T7_T9_mT8_S1G_bDpT10_ENKUlT_T0_E_clISt17integral_constantIbLb0EES1U_EEDaS1P_S1Q_EUlS1P_E_NS1_11comp_targetILNS1_3genE9ELNS1_11target_archE1100ELNS1_3gpuE3ELNS1_3repE0EEENS1_30default_config_static_selectorELNS0_4arch9wavefront6targetE1EEEvS12_
                                        ; -- End function
	.section	.AMDGPU.csdata,"",@progbits
; Kernel info:
; codeLenInByte = 0
; NumSgprs: 4
; NumVgprs: 0
; NumAgprs: 0
; TotalNumVgprs: 0
; ScratchSize: 0
; MemoryBound: 0
; FloatMode: 240
; IeeeMode: 1
; LDSByteSize: 0 bytes/workgroup (compile time only)
; SGPRBlocks: 0
; VGPRBlocks: 0
; NumSGPRsForWavesPerEU: 4
; NumVGPRsForWavesPerEU: 1
; AccumOffset: 4
; Occupancy: 8
; WaveLimiterHint : 0
; COMPUTE_PGM_RSRC2:SCRATCH_EN: 0
; COMPUTE_PGM_RSRC2:USER_SGPR: 6
; COMPUTE_PGM_RSRC2:TRAP_HANDLER: 0
; COMPUTE_PGM_RSRC2:TGID_X_EN: 1
; COMPUTE_PGM_RSRC2:TGID_Y_EN: 0
; COMPUTE_PGM_RSRC2:TGID_Z_EN: 0
; COMPUTE_PGM_RSRC2:TIDIG_COMP_CNT: 0
; COMPUTE_PGM_RSRC3_GFX90A:ACCUM_OFFSET: 0
; COMPUTE_PGM_RSRC3_GFX90A:TG_SPLIT: 0
	.section	.text._ZN7rocprim17ROCPRIM_400000_NS6detail17trampoline_kernelINS0_13select_configILj256ELj13ELNS0_17block_load_methodE3ELS4_3ELS4_3ELNS0_20block_scan_algorithmE0ELj4294967295EEENS1_25partition_config_selectorILNS1_17partition_subalgoE4EjNS0_10empty_typeEbEEZZNS1_14partition_implILS8_4ELb0ES6_15HIP_vector_typeIjLj2EENS0_17counting_iteratorIjlEEPS9_SG_NS0_5tupleIJPjSI_NS0_16reverse_iteratorISI_EEEEENSH_IJSG_SG_SG_EEES9_SI_JZNS1_25segmented_radix_sort_implINS0_14default_configELb1EPKaPaPKlPlN2at6native12_GLOBAL__N_18offset_tEEE10hipError_tPvRmT1_PNSt15iterator_traitsIS12_E10value_typeET2_T3_PNS13_IS18_E10value_typeET4_jRbjT5_S1E_jjP12ihipStream_tbEUljE_ZNSN_ISO_Lb1ESQ_SR_ST_SU_SY_EESZ_S10_S11_S12_S16_S17_S18_S1B_S1C_jS1D_jS1E_S1E_jjS1G_bEUljE0_EEESZ_S10_S11_S18_S1C_S1E_T6_T7_T9_mT8_S1G_bDpT10_ENKUlT_T0_E_clISt17integral_constantIbLb0EES1U_EEDaS1P_S1Q_EUlS1P_E_NS1_11comp_targetILNS1_3genE8ELNS1_11target_archE1030ELNS1_3gpuE2ELNS1_3repE0EEENS1_30default_config_static_selectorELNS0_4arch9wavefront6targetE1EEEvS12_,"axG",@progbits,_ZN7rocprim17ROCPRIM_400000_NS6detail17trampoline_kernelINS0_13select_configILj256ELj13ELNS0_17block_load_methodE3ELS4_3ELS4_3ELNS0_20block_scan_algorithmE0ELj4294967295EEENS1_25partition_config_selectorILNS1_17partition_subalgoE4EjNS0_10empty_typeEbEEZZNS1_14partition_implILS8_4ELb0ES6_15HIP_vector_typeIjLj2EENS0_17counting_iteratorIjlEEPS9_SG_NS0_5tupleIJPjSI_NS0_16reverse_iteratorISI_EEEEENSH_IJSG_SG_SG_EEES9_SI_JZNS1_25segmented_radix_sort_implINS0_14default_configELb1EPKaPaPKlPlN2at6native12_GLOBAL__N_18offset_tEEE10hipError_tPvRmT1_PNSt15iterator_traitsIS12_E10value_typeET2_T3_PNS13_IS18_E10value_typeET4_jRbjT5_S1E_jjP12ihipStream_tbEUljE_ZNSN_ISO_Lb1ESQ_SR_ST_SU_SY_EESZ_S10_S11_S12_S16_S17_S18_S1B_S1C_jS1D_jS1E_S1E_jjS1G_bEUljE0_EEESZ_S10_S11_S18_S1C_S1E_T6_T7_T9_mT8_S1G_bDpT10_ENKUlT_T0_E_clISt17integral_constantIbLb0EES1U_EEDaS1P_S1Q_EUlS1P_E_NS1_11comp_targetILNS1_3genE8ELNS1_11target_archE1030ELNS1_3gpuE2ELNS1_3repE0EEENS1_30default_config_static_selectorELNS0_4arch9wavefront6targetE1EEEvS12_,comdat
	.globl	_ZN7rocprim17ROCPRIM_400000_NS6detail17trampoline_kernelINS0_13select_configILj256ELj13ELNS0_17block_load_methodE3ELS4_3ELS4_3ELNS0_20block_scan_algorithmE0ELj4294967295EEENS1_25partition_config_selectorILNS1_17partition_subalgoE4EjNS0_10empty_typeEbEEZZNS1_14partition_implILS8_4ELb0ES6_15HIP_vector_typeIjLj2EENS0_17counting_iteratorIjlEEPS9_SG_NS0_5tupleIJPjSI_NS0_16reverse_iteratorISI_EEEEENSH_IJSG_SG_SG_EEES9_SI_JZNS1_25segmented_radix_sort_implINS0_14default_configELb1EPKaPaPKlPlN2at6native12_GLOBAL__N_18offset_tEEE10hipError_tPvRmT1_PNSt15iterator_traitsIS12_E10value_typeET2_T3_PNS13_IS18_E10value_typeET4_jRbjT5_S1E_jjP12ihipStream_tbEUljE_ZNSN_ISO_Lb1ESQ_SR_ST_SU_SY_EESZ_S10_S11_S12_S16_S17_S18_S1B_S1C_jS1D_jS1E_S1E_jjS1G_bEUljE0_EEESZ_S10_S11_S18_S1C_S1E_T6_T7_T9_mT8_S1G_bDpT10_ENKUlT_T0_E_clISt17integral_constantIbLb0EES1U_EEDaS1P_S1Q_EUlS1P_E_NS1_11comp_targetILNS1_3genE8ELNS1_11target_archE1030ELNS1_3gpuE2ELNS1_3repE0EEENS1_30default_config_static_selectorELNS0_4arch9wavefront6targetE1EEEvS12_ ; -- Begin function _ZN7rocprim17ROCPRIM_400000_NS6detail17trampoline_kernelINS0_13select_configILj256ELj13ELNS0_17block_load_methodE3ELS4_3ELS4_3ELNS0_20block_scan_algorithmE0ELj4294967295EEENS1_25partition_config_selectorILNS1_17partition_subalgoE4EjNS0_10empty_typeEbEEZZNS1_14partition_implILS8_4ELb0ES6_15HIP_vector_typeIjLj2EENS0_17counting_iteratorIjlEEPS9_SG_NS0_5tupleIJPjSI_NS0_16reverse_iteratorISI_EEEEENSH_IJSG_SG_SG_EEES9_SI_JZNS1_25segmented_radix_sort_implINS0_14default_configELb1EPKaPaPKlPlN2at6native12_GLOBAL__N_18offset_tEEE10hipError_tPvRmT1_PNSt15iterator_traitsIS12_E10value_typeET2_T3_PNS13_IS18_E10value_typeET4_jRbjT5_S1E_jjP12ihipStream_tbEUljE_ZNSN_ISO_Lb1ESQ_SR_ST_SU_SY_EESZ_S10_S11_S12_S16_S17_S18_S1B_S1C_jS1D_jS1E_S1E_jjS1G_bEUljE0_EEESZ_S10_S11_S18_S1C_S1E_T6_T7_T9_mT8_S1G_bDpT10_ENKUlT_T0_E_clISt17integral_constantIbLb0EES1U_EEDaS1P_S1Q_EUlS1P_E_NS1_11comp_targetILNS1_3genE8ELNS1_11target_archE1030ELNS1_3gpuE2ELNS1_3repE0EEENS1_30default_config_static_selectorELNS0_4arch9wavefront6targetE1EEEvS12_
	.p2align	8
	.type	_ZN7rocprim17ROCPRIM_400000_NS6detail17trampoline_kernelINS0_13select_configILj256ELj13ELNS0_17block_load_methodE3ELS4_3ELS4_3ELNS0_20block_scan_algorithmE0ELj4294967295EEENS1_25partition_config_selectorILNS1_17partition_subalgoE4EjNS0_10empty_typeEbEEZZNS1_14partition_implILS8_4ELb0ES6_15HIP_vector_typeIjLj2EENS0_17counting_iteratorIjlEEPS9_SG_NS0_5tupleIJPjSI_NS0_16reverse_iteratorISI_EEEEENSH_IJSG_SG_SG_EEES9_SI_JZNS1_25segmented_radix_sort_implINS0_14default_configELb1EPKaPaPKlPlN2at6native12_GLOBAL__N_18offset_tEEE10hipError_tPvRmT1_PNSt15iterator_traitsIS12_E10value_typeET2_T3_PNS13_IS18_E10value_typeET4_jRbjT5_S1E_jjP12ihipStream_tbEUljE_ZNSN_ISO_Lb1ESQ_SR_ST_SU_SY_EESZ_S10_S11_S12_S16_S17_S18_S1B_S1C_jS1D_jS1E_S1E_jjS1G_bEUljE0_EEESZ_S10_S11_S18_S1C_S1E_T6_T7_T9_mT8_S1G_bDpT10_ENKUlT_T0_E_clISt17integral_constantIbLb0EES1U_EEDaS1P_S1Q_EUlS1P_E_NS1_11comp_targetILNS1_3genE8ELNS1_11target_archE1030ELNS1_3gpuE2ELNS1_3repE0EEENS1_30default_config_static_selectorELNS0_4arch9wavefront6targetE1EEEvS12_,@function
_ZN7rocprim17ROCPRIM_400000_NS6detail17trampoline_kernelINS0_13select_configILj256ELj13ELNS0_17block_load_methodE3ELS4_3ELS4_3ELNS0_20block_scan_algorithmE0ELj4294967295EEENS1_25partition_config_selectorILNS1_17partition_subalgoE4EjNS0_10empty_typeEbEEZZNS1_14partition_implILS8_4ELb0ES6_15HIP_vector_typeIjLj2EENS0_17counting_iteratorIjlEEPS9_SG_NS0_5tupleIJPjSI_NS0_16reverse_iteratorISI_EEEEENSH_IJSG_SG_SG_EEES9_SI_JZNS1_25segmented_radix_sort_implINS0_14default_configELb1EPKaPaPKlPlN2at6native12_GLOBAL__N_18offset_tEEE10hipError_tPvRmT1_PNSt15iterator_traitsIS12_E10value_typeET2_T3_PNS13_IS18_E10value_typeET4_jRbjT5_S1E_jjP12ihipStream_tbEUljE_ZNSN_ISO_Lb1ESQ_SR_ST_SU_SY_EESZ_S10_S11_S12_S16_S17_S18_S1B_S1C_jS1D_jS1E_S1E_jjS1G_bEUljE0_EEESZ_S10_S11_S18_S1C_S1E_T6_T7_T9_mT8_S1G_bDpT10_ENKUlT_T0_E_clISt17integral_constantIbLb0EES1U_EEDaS1P_S1Q_EUlS1P_E_NS1_11comp_targetILNS1_3genE8ELNS1_11target_archE1030ELNS1_3gpuE2ELNS1_3repE0EEENS1_30default_config_static_selectorELNS0_4arch9wavefront6targetE1EEEvS12_: ; @_ZN7rocprim17ROCPRIM_400000_NS6detail17trampoline_kernelINS0_13select_configILj256ELj13ELNS0_17block_load_methodE3ELS4_3ELS4_3ELNS0_20block_scan_algorithmE0ELj4294967295EEENS1_25partition_config_selectorILNS1_17partition_subalgoE4EjNS0_10empty_typeEbEEZZNS1_14partition_implILS8_4ELb0ES6_15HIP_vector_typeIjLj2EENS0_17counting_iteratorIjlEEPS9_SG_NS0_5tupleIJPjSI_NS0_16reverse_iteratorISI_EEEEENSH_IJSG_SG_SG_EEES9_SI_JZNS1_25segmented_radix_sort_implINS0_14default_configELb1EPKaPaPKlPlN2at6native12_GLOBAL__N_18offset_tEEE10hipError_tPvRmT1_PNSt15iterator_traitsIS12_E10value_typeET2_T3_PNS13_IS18_E10value_typeET4_jRbjT5_S1E_jjP12ihipStream_tbEUljE_ZNSN_ISO_Lb1ESQ_SR_ST_SU_SY_EESZ_S10_S11_S12_S16_S17_S18_S1B_S1C_jS1D_jS1E_S1E_jjS1G_bEUljE0_EEESZ_S10_S11_S18_S1C_S1E_T6_T7_T9_mT8_S1G_bDpT10_ENKUlT_T0_E_clISt17integral_constantIbLb0EES1U_EEDaS1P_S1Q_EUlS1P_E_NS1_11comp_targetILNS1_3genE8ELNS1_11target_archE1030ELNS1_3gpuE2ELNS1_3repE0EEENS1_30default_config_static_selectorELNS0_4arch9wavefront6targetE1EEEvS12_
; %bb.0:
	.section	.rodata,"a",@progbits
	.p2align	6, 0x0
	.amdhsa_kernel _ZN7rocprim17ROCPRIM_400000_NS6detail17trampoline_kernelINS0_13select_configILj256ELj13ELNS0_17block_load_methodE3ELS4_3ELS4_3ELNS0_20block_scan_algorithmE0ELj4294967295EEENS1_25partition_config_selectorILNS1_17partition_subalgoE4EjNS0_10empty_typeEbEEZZNS1_14partition_implILS8_4ELb0ES6_15HIP_vector_typeIjLj2EENS0_17counting_iteratorIjlEEPS9_SG_NS0_5tupleIJPjSI_NS0_16reverse_iteratorISI_EEEEENSH_IJSG_SG_SG_EEES9_SI_JZNS1_25segmented_radix_sort_implINS0_14default_configELb1EPKaPaPKlPlN2at6native12_GLOBAL__N_18offset_tEEE10hipError_tPvRmT1_PNSt15iterator_traitsIS12_E10value_typeET2_T3_PNS13_IS18_E10value_typeET4_jRbjT5_S1E_jjP12ihipStream_tbEUljE_ZNSN_ISO_Lb1ESQ_SR_ST_SU_SY_EESZ_S10_S11_S12_S16_S17_S18_S1B_S1C_jS1D_jS1E_S1E_jjS1G_bEUljE0_EEESZ_S10_S11_S18_S1C_S1E_T6_T7_T9_mT8_S1G_bDpT10_ENKUlT_T0_E_clISt17integral_constantIbLb0EES1U_EEDaS1P_S1Q_EUlS1P_E_NS1_11comp_targetILNS1_3genE8ELNS1_11target_archE1030ELNS1_3gpuE2ELNS1_3repE0EEENS1_30default_config_static_selectorELNS0_4arch9wavefront6targetE1EEEvS12_
		.amdhsa_group_segment_fixed_size 0
		.amdhsa_private_segment_fixed_size 0
		.amdhsa_kernarg_size 176
		.amdhsa_user_sgpr_count 6
		.amdhsa_user_sgpr_private_segment_buffer 1
		.amdhsa_user_sgpr_dispatch_ptr 0
		.amdhsa_user_sgpr_queue_ptr 0
		.amdhsa_user_sgpr_kernarg_segment_ptr 1
		.amdhsa_user_sgpr_dispatch_id 0
		.amdhsa_user_sgpr_flat_scratch_init 0
		.amdhsa_user_sgpr_kernarg_preload_length 0
		.amdhsa_user_sgpr_kernarg_preload_offset 0
		.amdhsa_user_sgpr_private_segment_size 0
		.amdhsa_uses_dynamic_stack 0
		.amdhsa_system_sgpr_private_segment_wavefront_offset 0
		.amdhsa_system_sgpr_workgroup_id_x 1
		.amdhsa_system_sgpr_workgroup_id_y 0
		.amdhsa_system_sgpr_workgroup_id_z 0
		.amdhsa_system_sgpr_workgroup_info 0
		.amdhsa_system_vgpr_workitem_id 0
		.amdhsa_next_free_vgpr 1
		.amdhsa_next_free_sgpr 0
		.amdhsa_accum_offset 4
		.amdhsa_reserve_vcc 0
		.amdhsa_reserve_flat_scratch 0
		.amdhsa_float_round_mode_32 0
		.amdhsa_float_round_mode_16_64 0
		.amdhsa_float_denorm_mode_32 3
		.amdhsa_float_denorm_mode_16_64 3
		.amdhsa_dx10_clamp 1
		.amdhsa_ieee_mode 1
		.amdhsa_fp16_overflow 0
		.amdhsa_tg_split 0
		.amdhsa_exception_fp_ieee_invalid_op 0
		.amdhsa_exception_fp_denorm_src 0
		.amdhsa_exception_fp_ieee_div_zero 0
		.amdhsa_exception_fp_ieee_overflow 0
		.amdhsa_exception_fp_ieee_underflow 0
		.amdhsa_exception_fp_ieee_inexact 0
		.amdhsa_exception_int_div_zero 0
	.end_amdhsa_kernel
	.section	.text._ZN7rocprim17ROCPRIM_400000_NS6detail17trampoline_kernelINS0_13select_configILj256ELj13ELNS0_17block_load_methodE3ELS4_3ELS4_3ELNS0_20block_scan_algorithmE0ELj4294967295EEENS1_25partition_config_selectorILNS1_17partition_subalgoE4EjNS0_10empty_typeEbEEZZNS1_14partition_implILS8_4ELb0ES6_15HIP_vector_typeIjLj2EENS0_17counting_iteratorIjlEEPS9_SG_NS0_5tupleIJPjSI_NS0_16reverse_iteratorISI_EEEEENSH_IJSG_SG_SG_EEES9_SI_JZNS1_25segmented_radix_sort_implINS0_14default_configELb1EPKaPaPKlPlN2at6native12_GLOBAL__N_18offset_tEEE10hipError_tPvRmT1_PNSt15iterator_traitsIS12_E10value_typeET2_T3_PNS13_IS18_E10value_typeET4_jRbjT5_S1E_jjP12ihipStream_tbEUljE_ZNSN_ISO_Lb1ESQ_SR_ST_SU_SY_EESZ_S10_S11_S12_S16_S17_S18_S1B_S1C_jS1D_jS1E_S1E_jjS1G_bEUljE0_EEESZ_S10_S11_S18_S1C_S1E_T6_T7_T9_mT8_S1G_bDpT10_ENKUlT_T0_E_clISt17integral_constantIbLb0EES1U_EEDaS1P_S1Q_EUlS1P_E_NS1_11comp_targetILNS1_3genE8ELNS1_11target_archE1030ELNS1_3gpuE2ELNS1_3repE0EEENS1_30default_config_static_selectorELNS0_4arch9wavefront6targetE1EEEvS12_,"axG",@progbits,_ZN7rocprim17ROCPRIM_400000_NS6detail17trampoline_kernelINS0_13select_configILj256ELj13ELNS0_17block_load_methodE3ELS4_3ELS4_3ELNS0_20block_scan_algorithmE0ELj4294967295EEENS1_25partition_config_selectorILNS1_17partition_subalgoE4EjNS0_10empty_typeEbEEZZNS1_14partition_implILS8_4ELb0ES6_15HIP_vector_typeIjLj2EENS0_17counting_iteratorIjlEEPS9_SG_NS0_5tupleIJPjSI_NS0_16reverse_iteratorISI_EEEEENSH_IJSG_SG_SG_EEES9_SI_JZNS1_25segmented_radix_sort_implINS0_14default_configELb1EPKaPaPKlPlN2at6native12_GLOBAL__N_18offset_tEEE10hipError_tPvRmT1_PNSt15iterator_traitsIS12_E10value_typeET2_T3_PNS13_IS18_E10value_typeET4_jRbjT5_S1E_jjP12ihipStream_tbEUljE_ZNSN_ISO_Lb1ESQ_SR_ST_SU_SY_EESZ_S10_S11_S12_S16_S17_S18_S1B_S1C_jS1D_jS1E_S1E_jjS1G_bEUljE0_EEESZ_S10_S11_S18_S1C_S1E_T6_T7_T9_mT8_S1G_bDpT10_ENKUlT_T0_E_clISt17integral_constantIbLb0EES1U_EEDaS1P_S1Q_EUlS1P_E_NS1_11comp_targetILNS1_3genE8ELNS1_11target_archE1030ELNS1_3gpuE2ELNS1_3repE0EEENS1_30default_config_static_selectorELNS0_4arch9wavefront6targetE1EEEvS12_,comdat
.Lfunc_end233:
	.size	_ZN7rocprim17ROCPRIM_400000_NS6detail17trampoline_kernelINS0_13select_configILj256ELj13ELNS0_17block_load_methodE3ELS4_3ELS4_3ELNS0_20block_scan_algorithmE0ELj4294967295EEENS1_25partition_config_selectorILNS1_17partition_subalgoE4EjNS0_10empty_typeEbEEZZNS1_14partition_implILS8_4ELb0ES6_15HIP_vector_typeIjLj2EENS0_17counting_iteratorIjlEEPS9_SG_NS0_5tupleIJPjSI_NS0_16reverse_iteratorISI_EEEEENSH_IJSG_SG_SG_EEES9_SI_JZNS1_25segmented_radix_sort_implINS0_14default_configELb1EPKaPaPKlPlN2at6native12_GLOBAL__N_18offset_tEEE10hipError_tPvRmT1_PNSt15iterator_traitsIS12_E10value_typeET2_T3_PNS13_IS18_E10value_typeET4_jRbjT5_S1E_jjP12ihipStream_tbEUljE_ZNSN_ISO_Lb1ESQ_SR_ST_SU_SY_EESZ_S10_S11_S12_S16_S17_S18_S1B_S1C_jS1D_jS1E_S1E_jjS1G_bEUljE0_EEESZ_S10_S11_S18_S1C_S1E_T6_T7_T9_mT8_S1G_bDpT10_ENKUlT_T0_E_clISt17integral_constantIbLb0EES1U_EEDaS1P_S1Q_EUlS1P_E_NS1_11comp_targetILNS1_3genE8ELNS1_11target_archE1030ELNS1_3gpuE2ELNS1_3repE0EEENS1_30default_config_static_selectorELNS0_4arch9wavefront6targetE1EEEvS12_, .Lfunc_end233-_ZN7rocprim17ROCPRIM_400000_NS6detail17trampoline_kernelINS0_13select_configILj256ELj13ELNS0_17block_load_methodE3ELS4_3ELS4_3ELNS0_20block_scan_algorithmE0ELj4294967295EEENS1_25partition_config_selectorILNS1_17partition_subalgoE4EjNS0_10empty_typeEbEEZZNS1_14partition_implILS8_4ELb0ES6_15HIP_vector_typeIjLj2EENS0_17counting_iteratorIjlEEPS9_SG_NS0_5tupleIJPjSI_NS0_16reverse_iteratorISI_EEEEENSH_IJSG_SG_SG_EEES9_SI_JZNS1_25segmented_radix_sort_implINS0_14default_configELb1EPKaPaPKlPlN2at6native12_GLOBAL__N_18offset_tEEE10hipError_tPvRmT1_PNSt15iterator_traitsIS12_E10value_typeET2_T3_PNS13_IS18_E10value_typeET4_jRbjT5_S1E_jjP12ihipStream_tbEUljE_ZNSN_ISO_Lb1ESQ_SR_ST_SU_SY_EESZ_S10_S11_S12_S16_S17_S18_S1B_S1C_jS1D_jS1E_S1E_jjS1G_bEUljE0_EEESZ_S10_S11_S18_S1C_S1E_T6_T7_T9_mT8_S1G_bDpT10_ENKUlT_T0_E_clISt17integral_constantIbLb0EES1U_EEDaS1P_S1Q_EUlS1P_E_NS1_11comp_targetILNS1_3genE8ELNS1_11target_archE1030ELNS1_3gpuE2ELNS1_3repE0EEENS1_30default_config_static_selectorELNS0_4arch9wavefront6targetE1EEEvS12_
                                        ; -- End function
	.section	.AMDGPU.csdata,"",@progbits
; Kernel info:
; codeLenInByte = 0
; NumSgprs: 4
; NumVgprs: 0
; NumAgprs: 0
; TotalNumVgprs: 0
; ScratchSize: 0
; MemoryBound: 0
; FloatMode: 240
; IeeeMode: 1
; LDSByteSize: 0 bytes/workgroup (compile time only)
; SGPRBlocks: 0
; VGPRBlocks: 0
; NumSGPRsForWavesPerEU: 4
; NumVGPRsForWavesPerEU: 1
; AccumOffset: 4
; Occupancy: 8
; WaveLimiterHint : 0
; COMPUTE_PGM_RSRC2:SCRATCH_EN: 0
; COMPUTE_PGM_RSRC2:USER_SGPR: 6
; COMPUTE_PGM_RSRC2:TRAP_HANDLER: 0
; COMPUTE_PGM_RSRC2:TGID_X_EN: 1
; COMPUTE_PGM_RSRC2:TGID_Y_EN: 0
; COMPUTE_PGM_RSRC2:TGID_Z_EN: 0
; COMPUTE_PGM_RSRC2:TIDIG_COMP_CNT: 0
; COMPUTE_PGM_RSRC3_GFX90A:ACCUM_OFFSET: 0
; COMPUTE_PGM_RSRC3_GFX90A:TG_SPLIT: 0
	.section	.text._ZN7rocprim17ROCPRIM_400000_NS6detail17trampoline_kernelINS0_13select_configILj256ELj13ELNS0_17block_load_methodE3ELS4_3ELS4_3ELNS0_20block_scan_algorithmE0ELj4294967295EEENS1_25partition_config_selectorILNS1_17partition_subalgoE4EjNS0_10empty_typeEbEEZZNS1_14partition_implILS8_4ELb0ES6_15HIP_vector_typeIjLj2EENS0_17counting_iteratorIjlEEPS9_SG_NS0_5tupleIJPjSI_NS0_16reverse_iteratorISI_EEEEENSH_IJSG_SG_SG_EEES9_SI_JZNS1_25segmented_radix_sort_implINS0_14default_configELb1EPKaPaPKlPlN2at6native12_GLOBAL__N_18offset_tEEE10hipError_tPvRmT1_PNSt15iterator_traitsIS12_E10value_typeET2_T3_PNS13_IS18_E10value_typeET4_jRbjT5_S1E_jjP12ihipStream_tbEUljE_ZNSN_ISO_Lb1ESQ_SR_ST_SU_SY_EESZ_S10_S11_S12_S16_S17_S18_S1B_S1C_jS1D_jS1E_S1E_jjS1G_bEUljE0_EEESZ_S10_S11_S18_S1C_S1E_T6_T7_T9_mT8_S1G_bDpT10_ENKUlT_T0_E_clISt17integral_constantIbLb1EES1U_EEDaS1P_S1Q_EUlS1P_E_NS1_11comp_targetILNS1_3genE0ELNS1_11target_archE4294967295ELNS1_3gpuE0ELNS1_3repE0EEENS1_30default_config_static_selectorELNS0_4arch9wavefront6targetE1EEEvS12_,"axG",@progbits,_ZN7rocprim17ROCPRIM_400000_NS6detail17trampoline_kernelINS0_13select_configILj256ELj13ELNS0_17block_load_methodE3ELS4_3ELS4_3ELNS0_20block_scan_algorithmE0ELj4294967295EEENS1_25partition_config_selectorILNS1_17partition_subalgoE4EjNS0_10empty_typeEbEEZZNS1_14partition_implILS8_4ELb0ES6_15HIP_vector_typeIjLj2EENS0_17counting_iteratorIjlEEPS9_SG_NS0_5tupleIJPjSI_NS0_16reverse_iteratorISI_EEEEENSH_IJSG_SG_SG_EEES9_SI_JZNS1_25segmented_radix_sort_implINS0_14default_configELb1EPKaPaPKlPlN2at6native12_GLOBAL__N_18offset_tEEE10hipError_tPvRmT1_PNSt15iterator_traitsIS12_E10value_typeET2_T3_PNS13_IS18_E10value_typeET4_jRbjT5_S1E_jjP12ihipStream_tbEUljE_ZNSN_ISO_Lb1ESQ_SR_ST_SU_SY_EESZ_S10_S11_S12_S16_S17_S18_S1B_S1C_jS1D_jS1E_S1E_jjS1G_bEUljE0_EEESZ_S10_S11_S18_S1C_S1E_T6_T7_T9_mT8_S1G_bDpT10_ENKUlT_T0_E_clISt17integral_constantIbLb1EES1U_EEDaS1P_S1Q_EUlS1P_E_NS1_11comp_targetILNS1_3genE0ELNS1_11target_archE4294967295ELNS1_3gpuE0ELNS1_3repE0EEENS1_30default_config_static_selectorELNS0_4arch9wavefront6targetE1EEEvS12_,comdat
	.globl	_ZN7rocprim17ROCPRIM_400000_NS6detail17trampoline_kernelINS0_13select_configILj256ELj13ELNS0_17block_load_methodE3ELS4_3ELS4_3ELNS0_20block_scan_algorithmE0ELj4294967295EEENS1_25partition_config_selectorILNS1_17partition_subalgoE4EjNS0_10empty_typeEbEEZZNS1_14partition_implILS8_4ELb0ES6_15HIP_vector_typeIjLj2EENS0_17counting_iteratorIjlEEPS9_SG_NS0_5tupleIJPjSI_NS0_16reverse_iteratorISI_EEEEENSH_IJSG_SG_SG_EEES9_SI_JZNS1_25segmented_radix_sort_implINS0_14default_configELb1EPKaPaPKlPlN2at6native12_GLOBAL__N_18offset_tEEE10hipError_tPvRmT1_PNSt15iterator_traitsIS12_E10value_typeET2_T3_PNS13_IS18_E10value_typeET4_jRbjT5_S1E_jjP12ihipStream_tbEUljE_ZNSN_ISO_Lb1ESQ_SR_ST_SU_SY_EESZ_S10_S11_S12_S16_S17_S18_S1B_S1C_jS1D_jS1E_S1E_jjS1G_bEUljE0_EEESZ_S10_S11_S18_S1C_S1E_T6_T7_T9_mT8_S1G_bDpT10_ENKUlT_T0_E_clISt17integral_constantIbLb1EES1U_EEDaS1P_S1Q_EUlS1P_E_NS1_11comp_targetILNS1_3genE0ELNS1_11target_archE4294967295ELNS1_3gpuE0ELNS1_3repE0EEENS1_30default_config_static_selectorELNS0_4arch9wavefront6targetE1EEEvS12_ ; -- Begin function _ZN7rocprim17ROCPRIM_400000_NS6detail17trampoline_kernelINS0_13select_configILj256ELj13ELNS0_17block_load_methodE3ELS4_3ELS4_3ELNS0_20block_scan_algorithmE0ELj4294967295EEENS1_25partition_config_selectorILNS1_17partition_subalgoE4EjNS0_10empty_typeEbEEZZNS1_14partition_implILS8_4ELb0ES6_15HIP_vector_typeIjLj2EENS0_17counting_iteratorIjlEEPS9_SG_NS0_5tupleIJPjSI_NS0_16reverse_iteratorISI_EEEEENSH_IJSG_SG_SG_EEES9_SI_JZNS1_25segmented_radix_sort_implINS0_14default_configELb1EPKaPaPKlPlN2at6native12_GLOBAL__N_18offset_tEEE10hipError_tPvRmT1_PNSt15iterator_traitsIS12_E10value_typeET2_T3_PNS13_IS18_E10value_typeET4_jRbjT5_S1E_jjP12ihipStream_tbEUljE_ZNSN_ISO_Lb1ESQ_SR_ST_SU_SY_EESZ_S10_S11_S12_S16_S17_S18_S1B_S1C_jS1D_jS1E_S1E_jjS1G_bEUljE0_EEESZ_S10_S11_S18_S1C_S1E_T6_T7_T9_mT8_S1G_bDpT10_ENKUlT_T0_E_clISt17integral_constantIbLb1EES1U_EEDaS1P_S1Q_EUlS1P_E_NS1_11comp_targetILNS1_3genE0ELNS1_11target_archE4294967295ELNS1_3gpuE0ELNS1_3repE0EEENS1_30default_config_static_selectorELNS0_4arch9wavefront6targetE1EEEvS12_
	.p2align	8
	.type	_ZN7rocprim17ROCPRIM_400000_NS6detail17trampoline_kernelINS0_13select_configILj256ELj13ELNS0_17block_load_methodE3ELS4_3ELS4_3ELNS0_20block_scan_algorithmE0ELj4294967295EEENS1_25partition_config_selectorILNS1_17partition_subalgoE4EjNS0_10empty_typeEbEEZZNS1_14partition_implILS8_4ELb0ES6_15HIP_vector_typeIjLj2EENS0_17counting_iteratorIjlEEPS9_SG_NS0_5tupleIJPjSI_NS0_16reverse_iteratorISI_EEEEENSH_IJSG_SG_SG_EEES9_SI_JZNS1_25segmented_radix_sort_implINS0_14default_configELb1EPKaPaPKlPlN2at6native12_GLOBAL__N_18offset_tEEE10hipError_tPvRmT1_PNSt15iterator_traitsIS12_E10value_typeET2_T3_PNS13_IS18_E10value_typeET4_jRbjT5_S1E_jjP12ihipStream_tbEUljE_ZNSN_ISO_Lb1ESQ_SR_ST_SU_SY_EESZ_S10_S11_S12_S16_S17_S18_S1B_S1C_jS1D_jS1E_S1E_jjS1G_bEUljE0_EEESZ_S10_S11_S18_S1C_S1E_T6_T7_T9_mT8_S1G_bDpT10_ENKUlT_T0_E_clISt17integral_constantIbLb1EES1U_EEDaS1P_S1Q_EUlS1P_E_NS1_11comp_targetILNS1_3genE0ELNS1_11target_archE4294967295ELNS1_3gpuE0ELNS1_3repE0EEENS1_30default_config_static_selectorELNS0_4arch9wavefront6targetE1EEEvS12_,@function
_ZN7rocprim17ROCPRIM_400000_NS6detail17trampoline_kernelINS0_13select_configILj256ELj13ELNS0_17block_load_methodE3ELS4_3ELS4_3ELNS0_20block_scan_algorithmE0ELj4294967295EEENS1_25partition_config_selectorILNS1_17partition_subalgoE4EjNS0_10empty_typeEbEEZZNS1_14partition_implILS8_4ELb0ES6_15HIP_vector_typeIjLj2EENS0_17counting_iteratorIjlEEPS9_SG_NS0_5tupleIJPjSI_NS0_16reverse_iteratorISI_EEEEENSH_IJSG_SG_SG_EEES9_SI_JZNS1_25segmented_radix_sort_implINS0_14default_configELb1EPKaPaPKlPlN2at6native12_GLOBAL__N_18offset_tEEE10hipError_tPvRmT1_PNSt15iterator_traitsIS12_E10value_typeET2_T3_PNS13_IS18_E10value_typeET4_jRbjT5_S1E_jjP12ihipStream_tbEUljE_ZNSN_ISO_Lb1ESQ_SR_ST_SU_SY_EESZ_S10_S11_S12_S16_S17_S18_S1B_S1C_jS1D_jS1E_S1E_jjS1G_bEUljE0_EEESZ_S10_S11_S18_S1C_S1E_T6_T7_T9_mT8_S1G_bDpT10_ENKUlT_T0_E_clISt17integral_constantIbLb1EES1U_EEDaS1P_S1Q_EUlS1P_E_NS1_11comp_targetILNS1_3genE0ELNS1_11target_archE4294967295ELNS1_3gpuE0ELNS1_3repE0EEENS1_30default_config_static_selectorELNS0_4arch9wavefront6targetE1EEEvS12_: ; @_ZN7rocprim17ROCPRIM_400000_NS6detail17trampoline_kernelINS0_13select_configILj256ELj13ELNS0_17block_load_methodE3ELS4_3ELS4_3ELNS0_20block_scan_algorithmE0ELj4294967295EEENS1_25partition_config_selectorILNS1_17partition_subalgoE4EjNS0_10empty_typeEbEEZZNS1_14partition_implILS8_4ELb0ES6_15HIP_vector_typeIjLj2EENS0_17counting_iteratorIjlEEPS9_SG_NS0_5tupleIJPjSI_NS0_16reverse_iteratorISI_EEEEENSH_IJSG_SG_SG_EEES9_SI_JZNS1_25segmented_radix_sort_implINS0_14default_configELb1EPKaPaPKlPlN2at6native12_GLOBAL__N_18offset_tEEE10hipError_tPvRmT1_PNSt15iterator_traitsIS12_E10value_typeET2_T3_PNS13_IS18_E10value_typeET4_jRbjT5_S1E_jjP12ihipStream_tbEUljE_ZNSN_ISO_Lb1ESQ_SR_ST_SU_SY_EESZ_S10_S11_S12_S16_S17_S18_S1B_S1C_jS1D_jS1E_S1E_jjS1G_bEUljE0_EEESZ_S10_S11_S18_S1C_S1E_T6_T7_T9_mT8_S1G_bDpT10_ENKUlT_T0_E_clISt17integral_constantIbLb1EES1U_EEDaS1P_S1Q_EUlS1P_E_NS1_11comp_targetILNS1_3genE0ELNS1_11target_archE4294967295ELNS1_3gpuE0ELNS1_3repE0EEENS1_30default_config_static_selectorELNS0_4arch9wavefront6targetE1EEEvS12_
; %bb.0:
	.section	.rodata,"a",@progbits
	.p2align	6, 0x0
	.amdhsa_kernel _ZN7rocprim17ROCPRIM_400000_NS6detail17trampoline_kernelINS0_13select_configILj256ELj13ELNS0_17block_load_methodE3ELS4_3ELS4_3ELNS0_20block_scan_algorithmE0ELj4294967295EEENS1_25partition_config_selectorILNS1_17partition_subalgoE4EjNS0_10empty_typeEbEEZZNS1_14partition_implILS8_4ELb0ES6_15HIP_vector_typeIjLj2EENS0_17counting_iteratorIjlEEPS9_SG_NS0_5tupleIJPjSI_NS0_16reverse_iteratorISI_EEEEENSH_IJSG_SG_SG_EEES9_SI_JZNS1_25segmented_radix_sort_implINS0_14default_configELb1EPKaPaPKlPlN2at6native12_GLOBAL__N_18offset_tEEE10hipError_tPvRmT1_PNSt15iterator_traitsIS12_E10value_typeET2_T3_PNS13_IS18_E10value_typeET4_jRbjT5_S1E_jjP12ihipStream_tbEUljE_ZNSN_ISO_Lb1ESQ_SR_ST_SU_SY_EESZ_S10_S11_S12_S16_S17_S18_S1B_S1C_jS1D_jS1E_S1E_jjS1G_bEUljE0_EEESZ_S10_S11_S18_S1C_S1E_T6_T7_T9_mT8_S1G_bDpT10_ENKUlT_T0_E_clISt17integral_constantIbLb1EES1U_EEDaS1P_S1Q_EUlS1P_E_NS1_11comp_targetILNS1_3genE0ELNS1_11target_archE4294967295ELNS1_3gpuE0ELNS1_3repE0EEENS1_30default_config_static_selectorELNS0_4arch9wavefront6targetE1EEEvS12_
		.amdhsa_group_segment_fixed_size 0
		.amdhsa_private_segment_fixed_size 0
		.amdhsa_kernarg_size 184
		.amdhsa_user_sgpr_count 6
		.amdhsa_user_sgpr_private_segment_buffer 1
		.amdhsa_user_sgpr_dispatch_ptr 0
		.amdhsa_user_sgpr_queue_ptr 0
		.amdhsa_user_sgpr_kernarg_segment_ptr 1
		.amdhsa_user_sgpr_dispatch_id 0
		.amdhsa_user_sgpr_flat_scratch_init 0
		.amdhsa_user_sgpr_kernarg_preload_length 0
		.amdhsa_user_sgpr_kernarg_preload_offset 0
		.amdhsa_user_sgpr_private_segment_size 0
		.amdhsa_uses_dynamic_stack 0
		.amdhsa_system_sgpr_private_segment_wavefront_offset 0
		.amdhsa_system_sgpr_workgroup_id_x 1
		.amdhsa_system_sgpr_workgroup_id_y 0
		.amdhsa_system_sgpr_workgroup_id_z 0
		.amdhsa_system_sgpr_workgroup_info 0
		.amdhsa_system_vgpr_workitem_id 0
		.amdhsa_next_free_vgpr 1
		.amdhsa_next_free_sgpr 0
		.amdhsa_accum_offset 4
		.amdhsa_reserve_vcc 0
		.amdhsa_reserve_flat_scratch 0
		.amdhsa_float_round_mode_32 0
		.amdhsa_float_round_mode_16_64 0
		.amdhsa_float_denorm_mode_32 3
		.amdhsa_float_denorm_mode_16_64 3
		.amdhsa_dx10_clamp 1
		.amdhsa_ieee_mode 1
		.amdhsa_fp16_overflow 0
		.amdhsa_tg_split 0
		.amdhsa_exception_fp_ieee_invalid_op 0
		.amdhsa_exception_fp_denorm_src 0
		.amdhsa_exception_fp_ieee_div_zero 0
		.amdhsa_exception_fp_ieee_overflow 0
		.amdhsa_exception_fp_ieee_underflow 0
		.amdhsa_exception_fp_ieee_inexact 0
		.amdhsa_exception_int_div_zero 0
	.end_amdhsa_kernel
	.section	.text._ZN7rocprim17ROCPRIM_400000_NS6detail17trampoline_kernelINS0_13select_configILj256ELj13ELNS0_17block_load_methodE3ELS4_3ELS4_3ELNS0_20block_scan_algorithmE0ELj4294967295EEENS1_25partition_config_selectorILNS1_17partition_subalgoE4EjNS0_10empty_typeEbEEZZNS1_14partition_implILS8_4ELb0ES6_15HIP_vector_typeIjLj2EENS0_17counting_iteratorIjlEEPS9_SG_NS0_5tupleIJPjSI_NS0_16reverse_iteratorISI_EEEEENSH_IJSG_SG_SG_EEES9_SI_JZNS1_25segmented_radix_sort_implINS0_14default_configELb1EPKaPaPKlPlN2at6native12_GLOBAL__N_18offset_tEEE10hipError_tPvRmT1_PNSt15iterator_traitsIS12_E10value_typeET2_T3_PNS13_IS18_E10value_typeET4_jRbjT5_S1E_jjP12ihipStream_tbEUljE_ZNSN_ISO_Lb1ESQ_SR_ST_SU_SY_EESZ_S10_S11_S12_S16_S17_S18_S1B_S1C_jS1D_jS1E_S1E_jjS1G_bEUljE0_EEESZ_S10_S11_S18_S1C_S1E_T6_T7_T9_mT8_S1G_bDpT10_ENKUlT_T0_E_clISt17integral_constantIbLb1EES1U_EEDaS1P_S1Q_EUlS1P_E_NS1_11comp_targetILNS1_3genE0ELNS1_11target_archE4294967295ELNS1_3gpuE0ELNS1_3repE0EEENS1_30default_config_static_selectorELNS0_4arch9wavefront6targetE1EEEvS12_,"axG",@progbits,_ZN7rocprim17ROCPRIM_400000_NS6detail17trampoline_kernelINS0_13select_configILj256ELj13ELNS0_17block_load_methodE3ELS4_3ELS4_3ELNS0_20block_scan_algorithmE0ELj4294967295EEENS1_25partition_config_selectorILNS1_17partition_subalgoE4EjNS0_10empty_typeEbEEZZNS1_14partition_implILS8_4ELb0ES6_15HIP_vector_typeIjLj2EENS0_17counting_iteratorIjlEEPS9_SG_NS0_5tupleIJPjSI_NS0_16reverse_iteratorISI_EEEEENSH_IJSG_SG_SG_EEES9_SI_JZNS1_25segmented_radix_sort_implINS0_14default_configELb1EPKaPaPKlPlN2at6native12_GLOBAL__N_18offset_tEEE10hipError_tPvRmT1_PNSt15iterator_traitsIS12_E10value_typeET2_T3_PNS13_IS18_E10value_typeET4_jRbjT5_S1E_jjP12ihipStream_tbEUljE_ZNSN_ISO_Lb1ESQ_SR_ST_SU_SY_EESZ_S10_S11_S12_S16_S17_S18_S1B_S1C_jS1D_jS1E_S1E_jjS1G_bEUljE0_EEESZ_S10_S11_S18_S1C_S1E_T6_T7_T9_mT8_S1G_bDpT10_ENKUlT_T0_E_clISt17integral_constantIbLb1EES1U_EEDaS1P_S1Q_EUlS1P_E_NS1_11comp_targetILNS1_3genE0ELNS1_11target_archE4294967295ELNS1_3gpuE0ELNS1_3repE0EEENS1_30default_config_static_selectorELNS0_4arch9wavefront6targetE1EEEvS12_,comdat
.Lfunc_end234:
	.size	_ZN7rocprim17ROCPRIM_400000_NS6detail17trampoline_kernelINS0_13select_configILj256ELj13ELNS0_17block_load_methodE3ELS4_3ELS4_3ELNS0_20block_scan_algorithmE0ELj4294967295EEENS1_25partition_config_selectorILNS1_17partition_subalgoE4EjNS0_10empty_typeEbEEZZNS1_14partition_implILS8_4ELb0ES6_15HIP_vector_typeIjLj2EENS0_17counting_iteratorIjlEEPS9_SG_NS0_5tupleIJPjSI_NS0_16reverse_iteratorISI_EEEEENSH_IJSG_SG_SG_EEES9_SI_JZNS1_25segmented_radix_sort_implINS0_14default_configELb1EPKaPaPKlPlN2at6native12_GLOBAL__N_18offset_tEEE10hipError_tPvRmT1_PNSt15iterator_traitsIS12_E10value_typeET2_T3_PNS13_IS18_E10value_typeET4_jRbjT5_S1E_jjP12ihipStream_tbEUljE_ZNSN_ISO_Lb1ESQ_SR_ST_SU_SY_EESZ_S10_S11_S12_S16_S17_S18_S1B_S1C_jS1D_jS1E_S1E_jjS1G_bEUljE0_EEESZ_S10_S11_S18_S1C_S1E_T6_T7_T9_mT8_S1G_bDpT10_ENKUlT_T0_E_clISt17integral_constantIbLb1EES1U_EEDaS1P_S1Q_EUlS1P_E_NS1_11comp_targetILNS1_3genE0ELNS1_11target_archE4294967295ELNS1_3gpuE0ELNS1_3repE0EEENS1_30default_config_static_selectorELNS0_4arch9wavefront6targetE1EEEvS12_, .Lfunc_end234-_ZN7rocprim17ROCPRIM_400000_NS6detail17trampoline_kernelINS0_13select_configILj256ELj13ELNS0_17block_load_methodE3ELS4_3ELS4_3ELNS0_20block_scan_algorithmE0ELj4294967295EEENS1_25partition_config_selectorILNS1_17partition_subalgoE4EjNS0_10empty_typeEbEEZZNS1_14partition_implILS8_4ELb0ES6_15HIP_vector_typeIjLj2EENS0_17counting_iteratorIjlEEPS9_SG_NS0_5tupleIJPjSI_NS0_16reverse_iteratorISI_EEEEENSH_IJSG_SG_SG_EEES9_SI_JZNS1_25segmented_radix_sort_implINS0_14default_configELb1EPKaPaPKlPlN2at6native12_GLOBAL__N_18offset_tEEE10hipError_tPvRmT1_PNSt15iterator_traitsIS12_E10value_typeET2_T3_PNS13_IS18_E10value_typeET4_jRbjT5_S1E_jjP12ihipStream_tbEUljE_ZNSN_ISO_Lb1ESQ_SR_ST_SU_SY_EESZ_S10_S11_S12_S16_S17_S18_S1B_S1C_jS1D_jS1E_S1E_jjS1G_bEUljE0_EEESZ_S10_S11_S18_S1C_S1E_T6_T7_T9_mT8_S1G_bDpT10_ENKUlT_T0_E_clISt17integral_constantIbLb1EES1U_EEDaS1P_S1Q_EUlS1P_E_NS1_11comp_targetILNS1_3genE0ELNS1_11target_archE4294967295ELNS1_3gpuE0ELNS1_3repE0EEENS1_30default_config_static_selectorELNS0_4arch9wavefront6targetE1EEEvS12_
                                        ; -- End function
	.section	.AMDGPU.csdata,"",@progbits
; Kernel info:
; codeLenInByte = 0
; NumSgprs: 4
; NumVgprs: 0
; NumAgprs: 0
; TotalNumVgprs: 0
; ScratchSize: 0
; MemoryBound: 0
; FloatMode: 240
; IeeeMode: 1
; LDSByteSize: 0 bytes/workgroup (compile time only)
; SGPRBlocks: 0
; VGPRBlocks: 0
; NumSGPRsForWavesPerEU: 4
; NumVGPRsForWavesPerEU: 1
; AccumOffset: 4
; Occupancy: 8
; WaveLimiterHint : 0
; COMPUTE_PGM_RSRC2:SCRATCH_EN: 0
; COMPUTE_PGM_RSRC2:USER_SGPR: 6
; COMPUTE_PGM_RSRC2:TRAP_HANDLER: 0
; COMPUTE_PGM_RSRC2:TGID_X_EN: 1
; COMPUTE_PGM_RSRC2:TGID_Y_EN: 0
; COMPUTE_PGM_RSRC2:TGID_Z_EN: 0
; COMPUTE_PGM_RSRC2:TIDIG_COMP_CNT: 0
; COMPUTE_PGM_RSRC3_GFX90A:ACCUM_OFFSET: 0
; COMPUTE_PGM_RSRC3_GFX90A:TG_SPLIT: 0
	.section	.text._ZN7rocprim17ROCPRIM_400000_NS6detail17trampoline_kernelINS0_13select_configILj256ELj13ELNS0_17block_load_methodE3ELS4_3ELS4_3ELNS0_20block_scan_algorithmE0ELj4294967295EEENS1_25partition_config_selectorILNS1_17partition_subalgoE4EjNS0_10empty_typeEbEEZZNS1_14partition_implILS8_4ELb0ES6_15HIP_vector_typeIjLj2EENS0_17counting_iteratorIjlEEPS9_SG_NS0_5tupleIJPjSI_NS0_16reverse_iteratorISI_EEEEENSH_IJSG_SG_SG_EEES9_SI_JZNS1_25segmented_radix_sort_implINS0_14default_configELb1EPKaPaPKlPlN2at6native12_GLOBAL__N_18offset_tEEE10hipError_tPvRmT1_PNSt15iterator_traitsIS12_E10value_typeET2_T3_PNS13_IS18_E10value_typeET4_jRbjT5_S1E_jjP12ihipStream_tbEUljE_ZNSN_ISO_Lb1ESQ_SR_ST_SU_SY_EESZ_S10_S11_S12_S16_S17_S18_S1B_S1C_jS1D_jS1E_S1E_jjS1G_bEUljE0_EEESZ_S10_S11_S18_S1C_S1E_T6_T7_T9_mT8_S1G_bDpT10_ENKUlT_T0_E_clISt17integral_constantIbLb1EES1U_EEDaS1P_S1Q_EUlS1P_E_NS1_11comp_targetILNS1_3genE5ELNS1_11target_archE942ELNS1_3gpuE9ELNS1_3repE0EEENS1_30default_config_static_selectorELNS0_4arch9wavefront6targetE1EEEvS12_,"axG",@progbits,_ZN7rocprim17ROCPRIM_400000_NS6detail17trampoline_kernelINS0_13select_configILj256ELj13ELNS0_17block_load_methodE3ELS4_3ELS4_3ELNS0_20block_scan_algorithmE0ELj4294967295EEENS1_25partition_config_selectorILNS1_17partition_subalgoE4EjNS0_10empty_typeEbEEZZNS1_14partition_implILS8_4ELb0ES6_15HIP_vector_typeIjLj2EENS0_17counting_iteratorIjlEEPS9_SG_NS0_5tupleIJPjSI_NS0_16reverse_iteratorISI_EEEEENSH_IJSG_SG_SG_EEES9_SI_JZNS1_25segmented_radix_sort_implINS0_14default_configELb1EPKaPaPKlPlN2at6native12_GLOBAL__N_18offset_tEEE10hipError_tPvRmT1_PNSt15iterator_traitsIS12_E10value_typeET2_T3_PNS13_IS18_E10value_typeET4_jRbjT5_S1E_jjP12ihipStream_tbEUljE_ZNSN_ISO_Lb1ESQ_SR_ST_SU_SY_EESZ_S10_S11_S12_S16_S17_S18_S1B_S1C_jS1D_jS1E_S1E_jjS1G_bEUljE0_EEESZ_S10_S11_S18_S1C_S1E_T6_T7_T9_mT8_S1G_bDpT10_ENKUlT_T0_E_clISt17integral_constantIbLb1EES1U_EEDaS1P_S1Q_EUlS1P_E_NS1_11comp_targetILNS1_3genE5ELNS1_11target_archE942ELNS1_3gpuE9ELNS1_3repE0EEENS1_30default_config_static_selectorELNS0_4arch9wavefront6targetE1EEEvS12_,comdat
	.globl	_ZN7rocprim17ROCPRIM_400000_NS6detail17trampoline_kernelINS0_13select_configILj256ELj13ELNS0_17block_load_methodE3ELS4_3ELS4_3ELNS0_20block_scan_algorithmE0ELj4294967295EEENS1_25partition_config_selectorILNS1_17partition_subalgoE4EjNS0_10empty_typeEbEEZZNS1_14partition_implILS8_4ELb0ES6_15HIP_vector_typeIjLj2EENS0_17counting_iteratorIjlEEPS9_SG_NS0_5tupleIJPjSI_NS0_16reverse_iteratorISI_EEEEENSH_IJSG_SG_SG_EEES9_SI_JZNS1_25segmented_radix_sort_implINS0_14default_configELb1EPKaPaPKlPlN2at6native12_GLOBAL__N_18offset_tEEE10hipError_tPvRmT1_PNSt15iterator_traitsIS12_E10value_typeET2_T3_PNS13_IS18_E10value_typeET4_jRbjT5_S1E_jjP12ihipStream_tbEUljE_ZNSN_ISO_Lb1ESQ_SR_ST_SU_SY_EESZ_S10_S11_S12_S16_S17_S18_S1B_S1C_jS1D_jS1E_S1E_jjS1G_bEUljE0_EEESZ_S10_S11_S18_S1C_S1E_T6_T7_T9_mT8_S1G_bDpT10_ENKUlT_T0_E_clISt17integral_constantIbLb1EES1U_EEDaS1P_S1Q_EUlS1P_E_NS1_11comp_targetILNS1_3genE5ELNS1_11target_archE942ELNS1_3gpuE9ELNS1_3repE0EEENS1_30default_config_static_selectorELNS0_4arch9wavefront6targetE1EEEvS12_ ; -- Begin function _ZN7rocprim17ROCPRIM_400000_NS6detail17trampoline_kernelINS0_13select_configILj256ELj13ELNS0_17block_load_methodE3ELS4_3ELS4_3ELNS0_20block_scan_algorithmE0ELj4294967295EEENS1_25partition_config_selectorILNS1_17partition_subalgoE4EjNS0_10empty_typeEbEEZZNS1_14partition_implILS8_4ELb0ES6_15HIP_vector_typeIjLj2EENS0_17counting_iteratorIjlEEPS9_SG_NS0_5tupleIJPjSI_NS0_16reverse_iteratorISI_EEEEENSH_IJSG_SG_SG_EEES9_SI_JZNS1_25segmented_radix_sort_implINS0_14default_configELb1EPKaPaPKlPlN2at6native12_GLOBAL__N_18offset_tEEE10hipError_tPvRmT1_PNSt15iterator_traitsIS12_E10value_typeET2_T3_PNS13_IS18_E10value_typeET4_jRbjT5_S1E_jjP12ihipStream_tbEUljE_ZNSN_ISO_Lb1ESQ_SR_ST_SU_SY_EESZ_S10_S11_S12_S16_S17_S18_S1B_S1C_jS1D_jS1E_S1E_jjS1G_bEUljE0_EEESZ_S10_S11_S18_S1C_S1E_T6_T7_T9_mT8_S1G_bDpT10_ENKUlT_T0_E_clISt17integral_constantIbLb1EES1U_EEDaS1P_S1Q_EUlS1P_E_NS1_11comp_targetILNS1_3genE5ELNS1_11target_archE942ELNS1_3gpuE9ELNS1_3repE0EEENS1_30default_config_static_selectorELNS0_4arch9wavefront6targetE1EEEvS12_
	.p2align	8
	.type	_ZN7rocprim17ROCPRIM_400000_NS6detail17trampoline_kernelINS0_13select_configILj256ELj13ELNS0_17block_load_methodE3ELS4_3ELS4_3ELNS0_20block_scan_algorithmE0ELj4294967295EEENS1_25partition_config_selectorILNS1_17partition_subalgoE4EjNS0_10empty_typeEbEEZZNS1_14partition_implILS8_4ELb0ES6_15HIP_vector_typeIjLj2EENS0_17counting_iteratorIjlEEPS9_SG_NS0_5tupleIJPjSI_NS0_16reverse_iteratorISI_EEEEENSH_IJSG_SG_SG_EEES9_SI_JZNS1_25segmented_radix_sort_implINS0_14default_configELb1EPKaPaPKlPlN2at6native12_GLOBAL__N_18offset_tEEE10hipError_tPvRmT1_PNSt15iterator_traitsIS12_E10value_typeET2_T3_PNS13_IS18_E10value_typeET4_jRbjT5_S1E_jjP12ihipStream_tbEUljE_ZNSN_ISO_Lb1ESQ_SR_ST_SU_SY_EESZ_S10_S11_S12_S16_S17_S18_S1B_S1C_jS1D_jS1E_S1E_jjS1G_bEUljE0_EEESZ_S10_S11_S18_S1C_S1E_T6_T7_T9_mT8_S1G_bDpT10_ENKUlT_T0_E_clISt17integral_constantIbLb1EES1U_EEDaS1P_S1Q_EUlS1P_E_NS1_11comp_targetILNS1_3genE5ELNS1_11target_archE942ELNS1_3gpuE9ELNS1_3repE0EEENS1_30default_config_static_selectorELNS0_4arch9wavefront6targetE1EEEvS12_,@function
_ZN7rocprim17ROCPRIM_400000_NS6detail17trampoline_kernelINS0_13select_configILj256ELj13ELNS0_17block_load_methodE3ELS4_3ELS4_3ELNS0_20block_scan_algorithmE0ELj4294967295EEENS1_25partition_config_selectorILNS1_17partition_subalgoE4EjNS0_10empty_typeEbEEZZNS1_14partition_implILS8_4ELb0ES6_15HIP_vector_typeIjLj2EENS0_17counting_iteratorIjlEEPS9_SG_NS0_5tupleIJPjSI_NS0_16reverse_iteratorISI_EEEEENSH_IJSG_SG_SG_EEES9_SI_JZNS1_25segmented_radix_sort_implINS0_14default_configELb1EPKaPaPKlPlN2at6native12_GLOBAL__N_18offset_tEEE10hipError_tPvRmT1_PNSt15iterator_traitsIS12_E10value_typeET2_T3_PNS13_IS18_E10value_typeET4_jRbjT5_S1E_jjP12ihipStream_tbEUljE_ZNSN_ISO_Lb1ESQ_SR_ST_SU_SY_EESZ_S10_S11_S12_S16_S17_S18_S1B_S1C_jS1D_jS1E_S1E_jjS1G_bEUljE0_EEESZ_S10_S11_S18_S1C_S1E_T6_T7_T9_mT8_S1G_bDpT10_ENKUlT_T0_E_clISt17integral_constantIbLb1EES1U_EEDaS1P_S1Q_EUlS1P_E_NS1_11comp_targetILNS1_3genE5ELNS1_11target_archE942ELNS1_3gpuE9ELNS1_3repE0EEENS1_30default_config_static_selectorELNS0_4arch9wavefront6targetE1EEEvS12_: ; @_ZN7rocprim17ROCPRIM_400000_NS6detail17trampoline_kernelINS0_13select_configILj256ELj13ELNS0_17block_load_methodE3ELS4_3ELS4_3ELNS0_20block_scan_algorithmE0ELj4294967295EEENS1_25partition_config_selectorILNS1_17partition_subalgoE4EjNS0_10empty_typeEbEEZZNS1_14partition_implILS8_4ELb0ES6_15HIP_vector_typeIjLj2EENS0_17counting_iteratorIjlEEPS9_SG_NS0_5tupleIJPjSI_NS0_16reverse_iteratorISI_EEEEENSH_IJSG_SG_SG_EEES9_SI_JZNS1_25segmented_radix_sort_implINS0_14default_configELb1EPKaPaPKlPlN2at6native12_GLOBAL__N_18offset_tEEE10hipError_tPvRmT1_PNSt15iterator_traitsIS12_E10value_typeET2_T3_PNS13_IS18_E10value_typeET4_jRbjT5_S1E_jjP12ihipStream_tbEUljE_ZNSN_ISO_Lb1ESQ_SR_ST_SU_SY_EESZ_S10_S11_S12_S16_S17_S18_S1B_S1C_jS1D_jS1E_S1E_jjS1G_bEUljE0_EEESZ_S10_S11_S18_S1C_S1E_T6_T7_T9_mT8_S1G_bDpT10_ENKUlT_T0_E_clISt17integral_constantIbLb1EES1U_EEDaS1P_S1Q_EUlS1P_E_NS1_11comp_targetILNS1_3genE5ELNS1_11target_archE942ELNS1_3gpuE9ELNS1_3repE0EEENS1_30default_config_static_selectorELNS0_4arch9wavefront6targetE1EEEvS12_
; %bb.0:
	.section	.rodata,"a",@progbits
	.p2align	6, 0x0
	.amdhsa_kernel _ZN7rocprim17ROCPRIM_400000_NS6detail17trampoline_kernelINS0_13select_configILj256ELj13ELNS0_17block_load_methodE3ELS4_3ELS4_3ELNS0_20block_scan_algorithmE0ELj4294967295EEENS1_25partition_config_selectorILNS1_17partition_subalgoE4EjNS0_10empty_typeEbEEZZNS1_14partition_implILS8_4ELb0ES6_15HIP_vector_typeIjLj2EENS0_17counting_iteratorIjlEEPS9_SG_NS0_5tupleIJPjSI_NS0_16reverse_iteratorISI_EEEEENSH_IJSG_SG_SG_EEES9_SI_JZNS1_25segmented_radix_sort_implINS0_14default_configELb1EPKaPaPKlPlN2at6native12_GLOBAL__N_18offset_tEEE10hipError_tPvRmT1_PNSt15iterator_traitsIS12_E10value_typeET2_T3_PNS13_IS18_E10value_typeET4_jRbjT5_S1E_jjP12ihipStream_tbEUljE_ZNSN_ISO_Lb1ESQ_SR_ST_SU_SY_EESZ_S10_S11_S12_S16_S17_S18_S1B_S1C_jS1D_jS1E_S1E_jjS1G_bEUljE0_EEESZ_S10_S11_S18_S1C_S1E_T6_T7_T9_mT8_S1G_bDpT10_ENKUlT_T0_E_clISt17integral_constantIbLb1EES1U_EEDaS1P_S1Q_EUlS1P_E_NS1_11comp_targetILNS1_3genE5ELNS1_11target_archE942ELNS1_3gpuE9ELNS1_3repE0EEENS1_30default_config_static_selectorELNS0_4arch9wavefront6targetE1EEEvS12_
		.amdhsa_group_segment_fixed_size 0
		.amdhsa_private_segment_fixed_size 0
		.amdhsa_kernarg_size 184
		.amdhsa_user_sgpr_count 6
		.amdhsa_user_sgpr_private_segment_buffer 1
		.amdhsa_user_sgpr_dispatch_ptr 0
		.amdhsa_user_sgpr_queue_ptr 0
		.amdhsa_user_sgpr_kernarg_segment_ptr 1
		.amdhsa_user_sgpr_dispatch_id 0
		.amdhsa_user_sgpr_flat_scratch_init 0
		.amdhsa_user_sgpr_kernarg_preload_length 0
		.amdhsa_user_sgpr_kernarg_preload_offset 0
		.amdhsa_user_sgpr_private_segment_size 0
		.amdhsa_uses_dynamic_stack 0
		.amdhsa_system_sgpr_private_segment_wavefront_offset 0
		.amdhsa_system_sgpr_workgroup_id_x 1
		.amdhsa_system_sgpr_workgroup_id_y 0
		.amdhsa_system_sgpr_workgroup_id_z 0
		.amdhsa_system_sgpr_workgroup_info 0
		.amdhsa_system_vgpr_workitem_id 0
		.amdhsa_next_free_vgpr 1
		.amdhsa_next_free_sgpr 0
		.amdhsa_accum_offset 4
		.amdhsa_reserve_vcc 0
		.amdhsa_reserve_flat_scratch 0
		.amdhsa_float_round_mode_32 0
		.amdhsa_float_round_mode_16_64 0
		.amdhsa_float_denorm_mode_32 3
		.amdhsa_float_denorm_mode_16_64 3
		.amdhsa_dx10_clamp 1
		.amdhsa_ieee_mode 1
		.amdhsa_fp16_overflow 0
		.amdhsa_tg_split 0
		.amdhsa_exception_fp_ieee_invalid_op 0
		.amdhsa_exception_fp_denorm_src 0
		.amdhsa_exception_fp_ieee_div_zero 0
		.amdhsa_exception_fp_ieee_overflow 0
		.amdhsa_exception_fp_ieee_underflow 0
		.amdhsa_exception_fp_ieee_inexact 0
		.amdhsa_exception_int_div_zero 0
	.end_amdhsa_kernel
	.section	.text._ZN7rocprim17ROCPRIM_400000_NS6detail17trampoline_kernelINS0_13select_configILj256ELj13ELNS0_17block_load_methodE3ELS4_3ELS4_3ELNS0_20block_scan_algorithmE0ELj4294967295EEENS1_25partition_config_selectorILNS1_17partition_subalgoE4EjNS0_10empty_typeEbEEZZNS1_14partition_implILS8_4ELb0ES6_15HIP_vector_typeIjLj2EENS0_17counting_iteratorIjlEEPS9_SG_NS0_5tupleIJPjSI_NS0_16reverse_iteratorISI_EEEEENSH_IJSG_SG_SG_EEES9_SI_JZNS1_25segmented_radix_sort_implINS0_14default_configELb1EPKaPaPKlPlN2at6native12_GLOBAL__N_18offset_tEEE10hipError_tPvRmT1_PNSt15iterator_traitsIS12_E10value_typeET2_T3_PNS13_IS18_E10value_typeET4_jRbjT5_S1E_jjP12ihipStream_tbEUljE_ZNSN_ISO_Lb1ESQ_SR_ST_SU_SY_EESZ_S10_S11_S12_S16_S17_S18_S1B_S1C_jS1D_jS1E_S1E_jjS1G_bEUljE0_EEESZ_S10_S11_S18_S1C_S1E_T6_T7_T9_mT8_S1G_bDpT10_ENKUlT_T0_E_clISt17integral_constantIbLb1EES1U_EEDaS1P_S1Q_EUlS1P_E_NS1_11comp_targetILNS1_3genE5ELNS1_11target_archE942ELNS1_3gpuE9ELNS1_3repE0EEENS1_30default_config_static_selectorELNS0_4arch9wavefront6targetE1EEEvS12_,"axG",@progbits,_ZN7rocprim17ROCPRIM_400000_NS6detail17trampoline_kernelINS0_13select_configILj256ELj13ELNS0_17block_load_methodE3ELS4_3ELS4_3ELNS0_20block_scan_algorithmE0ELj4294967295EEENS1_25partition_config_selectorILNS1_17partition_subalgoE4EjNS0_10empty_typeEbEEZZNS1_14partition_implILS8_4ELb0ES6_15HIP_vector_typeIjLj2EENS0_17counting_iteratorIjlEEPS9_SG_NS0_5tupleIJPjSI_NS0_16reverse_iteratorISI_EEEEENSH_IJSG_SG_SG_EEES9_SI_JZNS1_25segmented_radix_sort_implINS0_14default_configELb1EPKaPaPKlPlN2at6native12_GLOBAL__N_18offset_tEEE10hipError_tPvRmT1_PNSt15iterator_traitsIS12_E10value_typeET2_T3_PNS13_IS18_E10value_typeET4_jRbjT5_S1E_jjP12ihipStream_tbEUljE_ZNSN_ISO_Lb1ESQ_SR_ST_SU_SY_EESZ_S10_S11_S12_S16_S17_S18_S1B_S1C_jS1D_jS1E_S1E_jjS1G_bEUljE0_EEESZ_S10_S11_S18_S1C_S1E_T6_T7_T9_mT8_S1G_bDpT10_ENKUlT_T0_E_clISt17integral_constantIbLb1EES1U_EEDaS1P_S1Q_EUlS1P_E_NS1_11comp_targetILNS1_3genE5ELNS1_11target_archE942ELNS1_3gpuE9ELNS1_3repE0EEENS1_30default_config_static_selectorELNS0_4arch9wavefront6targetE1EEEvS12_,comdat
.Lfunc_end235:
	.size	_ZN7rocprim17ROCPRIM_400000_NS6detail17trampoline_kernelINS0_13select_configILj256ELj13ELNS0_17block_load_methodE3ELS4_3ELS4_3ELNS0_20block_scan_algorithmE0ELj4294967295EEENS1_25partition_config_selectorILNS1_17partition_subalgoE4EjNS0_10empty_typeEbEEZZNS1_14partition_implILS8_4ELb0ES6_15HIP_vector_typeIjLj2EENS0_17counting_iteratorIjlEEPS9_SG_NS0_5tupleIJPjSI_NS0_16reverse_iteratorISI_EEEEENSH_IJSG_SG_SG_EEES9_SI_JZNS1_25segmented_radix_sort_implINS0_14default_configELb1EPKaPaPKlPlN2at6native12_GLOBAL__N_18offset_tEEE10hipError_tPvRmT1_PNSt15iterator_traitsIS12_E10value_typeET2_T3_PNS13_IS18_E10value_typeET4_jRbjT5_S1E_jjP12ihipStream_tbEUljE_ZNSN_ISO_Lb1ESQ_SR_ST_SU_SY_EESZ_S10_S11_S12_S16_S17_S18_S1B_S1C_jS1D_jS1E_S1E_jjS1G_bEUljE0_EEESZ_S10_S11_S18_S1C_S1E_T6_T7_T9_mT8_S1G_bDpT10_ENKUlT_T0_E_clISt17integral_constantIbLb1EES1U_EEDaS1P_S1Q_EUlS1P_E_NS1_11comp_targetILNS1_3genE5ELNS1_11target_archE942ELNS1_3gpuE9ELNS1_3repE0EEENS1_30default_config_static_selectorELNS0_4arch9wavefront6targetE1EEEvS12_, .Lfunc_end235-_ZN7rocprim17ROCPRIM_400000_NS6detail17trampoline_kernelINS0_13select_configILj256ELj13ELNS0_17block_load_methodE3ELS4_3ELS4_3ELNS0_20block_scan_algorithmE0ELj4294967295EEENS1_25partition_config_selectorILNS1_17partition_subalgoE4EjNS0_10empty_typeEbEEZZNS1_14partition_implILS8_4ELb0ES6_15HIP_vector_typeIjLj2EENS0_17counting_iteratorIjlEEPS9_SG_NS0_5tupleIJPjSI_NS0_16reverse_iteratorISI_EEEEENSH_IJSG_SG_SG_EEES9_SI_JZNS1_25segmented_radix_sort_implINS0_14default_configELb1EPKaPaPKlPlN2at6native12_GLOBAL__N_18offset_tEEE10hipError_tPvRmT1_PNSt15iterator_traitsIS12_E10value_typeET2_T3_PNS13_IS18_E10value_typeET4_jRbjT5_S1E_jjP12ihipStream_tbEUljE_ZNSN_ISO_Lb1ESQ_SR_ST_SU_SY_EESZ_S10_S11_S12_S16_S17_S18_S1B_S1C_jS1D_jS1E_S1E_jjS1G_bEUljE0_EEESZ_S10_S11_S18_S1C_S1E_T6_T7_T9_mT8_S1G_bDpT10_ENKUlT_T0_E_clISt17integral_constantIbLb1EES1U_EEDaS1P_S1Q_EUlS1P_E_NS1_11comp_targetILNS1_3genE5ELNS1_11target_archE942ELNS1_3gpuE9ELNS1_3repE0EEENS1_30default_config_static_selectorELNS0_4arch9wavefront6targetE1EEEvS12_
                                        ; -- End function
	.section	.AMDGPU.csdata,"",@progbits
; Kernel info:
; codeLenInByte = 0
; NumSgprs: 4
; NumVgprs: 0
; NumAgprs: 0
; TotalNumVgprs: 0
; ScratchSize: 0
; MemoryBound: 0
; FloatMode: 240
; IeeeMode: 1
; LDSByteSize: 0 bytes/workgroup (compile time only)
; SGPRBlocks: 0
; VGPRBlocks: 0
; NumSGPRsForWavesPerEU: 4
; NumVGPRsForWavesPerEU: 1
; AccumOffset: 4
; Occupancy: 8
; WaveLimiterHint : 0
; COMPUTE_PGM_RSRC2:SCRATCH_EN: 0
; COMPUTE_PGM_RSRC2:USER_SGPR: 6
; COMPUTE_PGM_RSRC2:TRAP_HANDLER: 0
; COMPUTE_PGM_RSRC2:TGID_X_EN: 1
; COMPUTE_PGM_RSRC2:TGID_Y_EN: 0
; COMPUTE_PGM_RSRC2:TGID_Z_EN: 0
; COMPUTE_PGM_RSRC2:TIDIG_COMP_CNT: 0
; COMPUTE_PGM_RSRC3_GFX90A:ACCUM_OFFSET: 0
; COMPUTE_PGM_RSRC3_GFX90A:TG_SPLIT: 0
	.section	.text._ZN7rocprim17ROCPRIM_400000_NS6detail17trampoline_kernelINS0_13select_configILj256ELj13ELNS0_17block_load_methodE3ELS4_3ELS4_3ELNS0_20block_scan_algorithmE0ELj4294967295EEENS1_25partition_config_selectorILNS1_17partition_subalgoE4EjNS0_10empty_typeEbEEZZNS1_14partition_implILS8_4ELb0ES6_15HIP_vector_typeIjLj2EENS0_17counting_iteratorIjlEEPS9_SG_NS0_5tupleIJPjSI_NS0_16reverse_iteratorISI_EEEEENSH_IJSG_SG_SG_EEES9_SI_JZNS1_25segmented_radix_sort_implINS0_14default_configELb1EPKaPaPKlPlN2at6native12_GLOBAL__N_18offset_tEEE10hipError_tPvRmT1_PNSt15iterator_traitsIS12_E10value_typeET2_T3_PNS13_IS18_E10value_typeET4_jRbjT5_S1E_jjP12ihipStream_tbEUljE_ZNSN_ISO_Lb1ESQ_SR_ST_SU_SY_EESZ_S10_S11_S12_S16_S17_S18_S1B_S1C_jS1D_jS1E_S1E_jjS1G_bEUljE0_EEESZ_S10_S11_S18_S1C_S1E_T6_T7_T9_mT8_S1G_bDpT10_ENKUlT_T0_E_clISt17integral_constantIbLb1EES1U_EEDaS1P_S1Q_EUlS1P_E_NS1_11comp_targetILNS1_3genE4ELNS1_11target_archE910ELNS1_3gpuE8ELNS1_3repE0EEENS1_30default_config_static_selectorELNS0_4arch9wavefront6targetE1EEEvS12_,"axG",@progbits,_ZN7rocprim17ROCPRIM_400000_NS6detail17trampoline_kernelINS0_13select_configILj256ELj13ELNS0_17block_load_methodE3ELS4_3ELS4_3ELNS0_20block_scan_algorithmE0ELj4294967295EEENS1_25partition_config_selectorILNS1_17partition_subalgoE4EjNS0_10empty_typeEbEEZZNS1_14partition_implILS8_4ELb0ES6_15HIP_vector_typeIjLj2EENS0_17counting_iteratorIjlEEPS9_SG_NS0_5tupleIJPjSI_NS0_16reverse_iteratorISI_EEEEENSH_IJSG_SG_SG_EEES9_SI_JZNS1_25segmented_radix_sort_implINS0_14default_configELb1EPKaPaPKlPlN2at6native12_GLOBAL__N_18offset_tEEE10hipError_tPvRmT1_PNSt15iterator_traitsIS12_E10value_typeET2_T3_PNS13_IS18_E10value_typeET4_jRbjT5_S1E_jjP12ihipStream_tbEUljE_ZNSN_ISO_Lb1ESQ_SR_ST_SU_SY_EESZ_S10_S11_S12_S16_S17_S18_S1B_S1C_jS1D_jS1E_S1E_jjS1G_bEUljE0_EEESZ_S10_S11_S18_S1C_S1E_T6_T7_T9_mT8_S1G_bDpT10_ENKUlT_T0_E_clISt17integral_constantIbLb1EES1U_EEDaS1P_S1Q_EUlS1P_E_NS1_11comp_targetILNS1_3genE4ELNS1_11target_archE910ELNS1_3gpuE8ELNS1_3repE0EEENS1_30default_config_static_selectorELNS0_4arch9wavefront6targetE1EEEvS12_,comdat
	.globl	_ZN7rocprim17ROCPRIM_400000_NS6detail17trampoline_kernelINS0_13select_configILj256ELj13ELNS0_17block_load_methodE3ELS4_3ELS4_3ELNS0_20block_scan_algorithmE0ELj4294967295EEENS1_25partition_config_selectorILNS1_17partition_subalgoE4EjNS0_10empty_typeEbEEZZNS1_14partition_implILS8_4ELb0ES6_15HIP_vector_typeIjLj2EENS0_17counting_iteratorIjlEEPS9_SG_NS0_5tupleIJPjSI_NS0_16reverse_iteratorISI_EEEEENSH_IJSG_SG_SG_EEES9_SI_JZNS1_25segmented_radix_sort_implINS0_14default_configELb1EPKaPaPKlPlN2at6native12_GLOBAL__N_18offset_tEEE10hipError_tPvRmT1_PNSt15iterator_traitsIS12_E10value_typeET2_T3_PNS13_IS18_E10value_typeET4_jRbjT5_S1E_jjP12ihipStream_tbEUljE_ZNSN_ISO_Lb1ESQ_SR_ST_SU_SY_EESZ_S10_S11_S12_S16_S17_S18_S1B_S1C_jS1D_jS1E_S1E_jjS1G_bEUljE0_EEESZ_S10_S11_S18_S1C_S1E_T6_T7_T9_mT8_S1G_bDpT10_ENKUlT_T0_E_clISt17integral_constantIbLb1EES1U_EEDaS1P_S1Q_EUlS1P_E_NS1_11comp_targetILNS1_3genE4ELNS1_11target_archE910ELNS1_3gpuE8ELNS1_3repE0EEENS1_30default_config_static_selectorELNS0_4arch9wavefront6targetE1EEEvS12_ ; -- Begin function _ZN7rocprim17ROCPRIM_400000_NS6detail17trampoline_kernelINS0_13select_configILj256ELj13ELNS0_17block_load_methodE3ELS4_3ELS4_3ELNS0_20block_scan_algorithmE0ELj4294967295EEENS1_25partition_config_selectorILNS1_17partition_subalgoE4EjNS0_10empty_typeEbEEZZNS1_14partition_implILS8_4ELb0ES6_15HIP_vector_typeIjLj2EENS0_17counting_iteratorIjlEEPS9_SG_NS0_5tupleIJPjSI_NS0_16reverse_iteratorISI_EEEEENSH_IJSG_SG_SG_EEES9_SI_JZNS1_25segmented_radix_sort_implINS0_14default_configELb1EPKaPaPKlPlN2at6native12_GLOBAL__N_18offset_tEEE10hipError_tPvRmT1_PNSt15iterator_traitsIS12_E10value_typeET2_T3_PNS13_IS18_E10value_typeET4_jRbjT5_S1E_jjP12ihipStream_tbEUljE_ZNSN_ISO_Lb1ESQ_SR_ST_SU_SY_EESZ_S10_S11_S12_S16_S17_S18_S1B_S1C_jS1D_jS1E_S1E_jjS1G_bEUljE0_EEESZ_S10_S11_S18_S1C_S1E_T6_T7_T9_mT8_S1G_bDpT10_ENKUlT_T0_E_clISt17integral_constantIbLb1EES1U_EEDaS1P_S1Q_EUlS1P_E_NS1_11comp_targetILNS1_3genE4ELNS1_11target_archE910ELNS1_3gpuE8ELNS1_3repE0EEENS1_30default_config_static_selectorELNS0_4arch9wavefront6targetE1EEEvS12_
	.p2align	8
	.type	_ZN7rocprim17ROCPRIM_400000_NS6detail17trampoline_kernelINS0_13select_configILj256ELj13ELNS0_17block_load_methodE3ELS4_3ELS4_3ELNS0_20block_scan_algorithmE0ELj4294967295EEENS1_25partition_config_selectorILNS1_17partition_subalgoE4EjNS0_10empty_typeEbEEZZNS1_14partition_implILS8_4ELb0ES6_15HIP_vector_typeIjLj2EENS0_17counting_iteratorIjlEEPS9_SG_NS0_5tupleIJPjSI_NS0_16reverse_iteratorISI_EEEEENSH_IJSG_SG_SG_EEES9_SI_JZNS1_25segmented_radix_sort_implINS0_14default_configELb1EPKaPaPKlPlN2at6native12_GLOBAL__N_18offset_tEEE10hipError_tPvRmT1_PNSt15iterator_traitsIS12_E10value_typeET2_T3_PNS13_IS18_E10value_typeET4_jRbjT5_S1E_jjP12ihipStream_tbEUljE_ZNSN_ISO_Lb1ESQ_SR_ST_SU_SY_EESZ_S10_S11_S12_S16_S17_S18_S1B_S1C_jS1D_jS1E_S1E_jjS1G_bEUljE0_EEESZ_S10_S11_S18_S1C_S1E_T6_T7_T9_mT8_S1G_bDpT10_ENKUlT_T0_E_clISt17integral_constantIbLb1EES1U_EEDaS1P_S1Q_EUlS1P_E_NS1_11comp_targetILNS1_3genE4ELNS1_11target_archE910ELNS1_3gpuE8ELNS1_3repE0EEENS1_30default_config_static_selectorELNS0_4arch9wavefront6targetE1EEEvS12_,@function
_ZN7rocprim17ROCPRIM_400000_NS6detail17trampoline_kernelINS0_13select_configILj256ELj13ELNS0_17block_load_methodE3ELS4_3ELS4_3ELNS0_20block_scan_algorithmE0ELj4294967295EEENS1_25partition_config_selectorILNS1_17partition_subalgoE4EjNS0_10empty_typeEbEEZZNS1_14partition_implILS8_4ELb0ES6_15HIP_vector_typeIjLj2EENS0_17counting_iteratorIjlEEPS9_SG_NS0_5tupleIJPjSI_NS0_16reverse_iteratorISI_EEEEENSH_IJSG_SG_SG_EEES9_SI_JZNS1_25segmented_radix_sort_implINS0_14default_configELb1EPKaPaPKlPlN2at6native12_GLOBAL__N_18offset_tEEE10hipError_tPvRmT1_PNSt15iterator_traitsIS12_E10value_typeET2_T3_PNS13_IS18_E10value_typeET4_jRbjT5_S1E_jjP12ihipStream_tbEUljE_ZNSN_ISO_Lb1ESQ_SR_ST_SU_SY_EESZ_S10_S11_S12_S16_S17_S18_S1B_S1C_jS1D_jS1E_S1E_jjS1G_bEUljE0_EEESZ_S10_S11_S18_S1C_S1E_T6_T7_T9_mT8_S1G_bDpT10_ENKUlT_T0_E_clISt17integral_constantIbLb1EES1U_EEDaS1P_S1Q_EUlS1P_E_NS1_11comp_targetILNS1_3genE4ELNS1_11target_archE910ELNS1_3gpuE8ELNS1_3repE0EEENS1_30default_config_static_selectorELNS0_4arch9wavefront6targetE1EEEvS12_: ; @_ZN7rocprim17ROCPRIM_400000_NS6detail17trampoline_kernelINS0_13select_configILj256ELj13ELNS0_17block_load_methodE3ELS4_3ELS4_3ELNS0_20block_scan_algorithmE0ELj4294967295EEENS1_25partition_config_selectorILNS1_17partition_subalgoE4EjNS0_10empty_typeEbEEZZNS1_14partition_implILS8_4ELb0ES6_15HIP_vector_typeIjLj2EENS0_17counting_iteratorIjlEEPS9_SG_NS0_5tupleIJPjSI_NS0_16reverse_iteratorISI_EEEEENSH_IJSG_SG_SG_EEES9_SI_JZNS1_25segmented_radix_sort_implINS0_14default_configELb1EPKaPaPKlPlN2at6native12_GLOBAL__N_18offset_tEEE10hipError_tPvRmT1_PNSt15iterator_traitsIS12_E10value_typeET2_T3_PNS13_IS18_E10value_typeET4_jRbjT5_S1E_jjP12ihipStream_tbEUljE_ZNSN_ISO_Lb1ESQ_SR_ST_SU_SY_EESZ_S10_S11_S12_S16_S17_S18_S1B_S1C_jS1D_jS1E_S1E_jjS1G_bEUljE0_EEESZ_S10_S11_S18_S1C_S1E_T6_T7_T9_mT8_S1G_bDpT10_ENKUlT_T0_E_clISt17integral_constantIbLb1EES1U_EEDaS1P_S1Q_EUlS1P_E_NS1_11comp_targetILNS1_3genE4ELNS1_11target_archE910ELNS1_3gpuE8ELNS1_3repE0EEENS1_30default_config_static_selectorELNS0_4arch9wavefront6targetE1EEEvS12_
; %bb.0:
	s_load_dwordx2 s[48:49], s[4:5], 0x10
	s_load_dwordx4 s[44:47], s[4:5], 0x28
	s_load_dwordx2 s[34:35], s[4:5], 0x38
	s_load_dwordx4 s[28:31], s[4:5], 0x58
	s_load_dwordx2 s[2:3], s[4:5], 0x68
	s_load_dwordx2 s[50:51], s[4:5], 0x78
	;; [unrolled: 1-line block ×3, first 2 shown]
	s_load_dwordx8 s[36:43], s[4:5], 0x90
	v_cmp_eq_u32_e64 s[0:1], 0, v0
	s_and_saveexec_b64 s[6:7], s[0:1]
	s_cbranch_execz .LBB236_4
; %bb.1:
	s_mov_b64 s[10:11], exec
	v_mbcnt_lo_u32_b32 v1, s10, 0
	v_mbcnt_hi_u32_b32 v1, s11, v1
	v_cmp_eq_u32_e32 vcc, 0, v1
                                        ; implicit-def: $vgpr2
	s_and_saveexec_b64 s[8:9], vcc
	s_cbranch_execz .LBB236_3
; %bb.2:
	s_load_dwordx2 s[12:13], s[4:5], 0x88
	s_bcnt1_i32_b64 s10, s[10:11]
	v_mov_b32_e32 v2, 0
	v_mov_b32_e32 v3, s10
	s_waitcnt lgkmcnt(0)
	global_atomic_add v2, v2, v3, s[12:13] glc
.LBB236_3:
	s_or_b64 exec, exec, s[8:9]
	s_waitcnt vmcnt(0)
	v_readfirstlane_b32 s8, v2
	v_add_u32_e32 v1, s8, v1
	v_mov_b32_e32 v2, 0
	ds_write_b32 v2, v1
.LBB236_4:
	s_or_b64 exec, exec, s[6:7]
	v_mov_b32_e32 v1, 0
	s_load_dword s7, s[4:5], 0x8
	s_load_dword s6, s[4:5], 0x80
	s_waitcnt lgkmcnt(0)
	s_barrier
	ds_read_b32 v8, v1
	s_waitcnt lgkmcnt(0)
	s_barrier
	global_load_dwordx4 v[2:5], v1, s[30:31]
	v_mov_b32_e32 v7, s3
	s_movk_i32 s3, 0xd00
	s_add_i32 s8, s7, s48
	v_mul_lo_u32 v34, v8, s3
	s_add_i32 s7, s6, -1
	s_mul_i32 s3, s6, 0xd00
	s_add_u32 s4, s48, s3
	v_readfirstlane_b32 s33, v8
	s_addc_u32 s5, s49, 0
	s_cmp_eq_u32 s33, s7
	v_mov_b32_e32 v6, s2
	s_cselect_b64 s[30:31], -1, 0
	s_cmp_lg_u32 s33, s7
	v_cmp_lt_u64_e32 vcc, s[4:5], v[6:7]
	s_cselect_b64 s[4:5], -1, 0
	s_or_b64 s[4:5], vcc, s[4:5]
	v_add_u32_e32 v1, s8, v34
	s_mov_b64 s[6:7], -1
	s_and_b64 vcc, exec, s[4:5]
	v_add_u32_e32 v1, v1, v0
	s_cbranch_vccz .LBB236_6
; %bb.5:
	v_add_u32_e32 v6, 0x100, v1
	v_lshlrev_b32_e32 v18, 2, v0
	v_add_u32_e32 v7, 0x200, v1
	v_add_u32_e32 v8, 0x300, v1
	;; [unrolled: 1-line block ×11, first 2 shown]
	ds_write2st64_b32 v18, v1, v6 offset1:4
	ds_write2st64_b32 v18, v7, v8 offset0:8 offset1:12
	ds_write2st64_b32 v18, v9, v10 offset0:16 offset1:20
	;; [unrolled: 1-line block ×5, first 2 shown]
	ds_write_b32 v18, v17 offset:12288
	s_waitcnt lgkmcnt(0)
	s_barrier
	s_mov_b64 s[6:7], 0
.LBB236_6:
	s_andn2_b64 vcc, exec, s[6:7]
	s_add_i32 s3, s3, s48
	s_cbranch_vccnz .LBB236_8
; %bb.7:
	v_add_u32_e32 v6, 0x100, v1
	v_lshlrev_b32_e32 v18, 2, v0
	v_add_u32_e32 v7, 0x200, v1
	v_add_u32_e32 v8, 0x300, v1
	;; [unrolled: 1-line block ×11, first 2 shown]
	ds_write2st64_b32 v18, v1, v6 offset1:4
	ds_write2st64_b32 v18, v7, v8 offset0:8 offset1:12
	ds_write2st64_b32 v18, v9, v10 offset0:16 offset1:20
	;; [unrolled: 1-line block ×5, first 2 shown]
	ds_write_b32 v18, v17 offset:12288
	s_waitcnt lgkmcnt(0)
	s_barrier
.LBB236_8:
	v_mul_u32_u24_e32 v36, 13, v0
	v_lshlrev_b32_e32 v1, 2, v36
	ds_read2_b32 v[22:23], v1 offset1:1
	ds_read2_b32 v[20:21], v1 offset0:2 offset1:3
	ds_read2_b32 v[18:19], v1 offset0:4 offset1:5
	ds_read2_b32 v[16:17], v1 offset0:6 offset1:7
	ds_read2_b32 v[14:15], v1 offset0:8 offset1:9
	ds_read2_b32 v[12:13], v1 offset0:10 offset1:11
	ds_read_b32 v35, v1 offset:48
	v_cndmask_b32_e64 v1, 0, 1, s[4:5]
	s_sub_i32 s86, s2, s3
	v_cmp_ne_u32_e64 s[2:3], 1, v1
	s_andn2_b64 vcc, exec, s[4:5]
	s_waitcnt lgkmcnt(0)
	s_barrier
	s_cbranch_vccnz .LBB236_36
; %bb.9:
	v_add_u32_e32 v1, s37, v22
	v_add_u32_e32 v6, s39, v22
	v_mul_lo_u32 v1, v1, s36
	v_mul_lo_u32 v6, v6, s38
	v_sub_u32_e32 v1, v1, v6
	v_cmp_lt_u32_e32 vcc, s40, v1
	v_cmp_ge_u32_e64 s[4:5], s40, v1
	s_mov_b64 s[60:61], 0
	s_mov_b64 s[58:59], 0
	s_and_saveexec_b64 s[6:7], s[4:5]
; %bb.10:
	v_add_u32_e32 v1, s42, v22
	v_add_u32_e32 v6, s56, v22
	v_mul_lo_u32 v1, v1, s41
	v_mul_lo_u32 v6, v6, s43
	v_sub_u32_e32 v1, v1, v6
	v_cmp_lt_u32_e64 s[4:5], s57, v1
	s_and_b64 s[58:59], s[4:5], exec
; %bb.11:
	s_or_b64 exec, exec, s[6:7]
	v_add_u32_e32 v1, s37, v23
	v_add_u32_e32 v6, s39, v23
	v_mul_lo_u32 v1, v1, s36
	v_mul_lo_u32 v6, v6, s38
	v_sub_u32_e32 v1, v1, v6
	v_cmp_lt_u32_e64 s[4:5], s40, v1
	v_cmp_ge_u32_e64 s[6:7], s40, v1
	s_and_saveexec_b64 s[8:9], s[6:7]
; %bb.12:
	v_add_u32_e32 v1, s42, v23
	v_add_u32_e32 v6, s56, v23
	v_mul_lo_u32 v1, v1, s41
	v_mul_lo_u32 v6, v6, s43
	v_sub_u32_e32 v1, v1, v6
	v_cmp_lt_u32_e64 s[6:7], s57, v1
	s_and_b64 s[60:61], s[6:7], exec
; %bb.13:
	s_or_b64 exec, exec, s[8:9]
	v_add_u32_e32 v1, s37, v20
	v_add_u32_e32 v6, s39, v20
	v_mul_lo_u32 v1, v1, s36
	v_mul_lo_u32 v6, v6, s38
	v_sub_u32_e32 v1, v1, v6
	v_cmp_lt_u32_e64 s[6:7], s40, v1
	v_cmp_ge_u32_e64 s[8:9], s40, v1
	s_mov_b64 s[64:65], 0
	s_mov_b64 s[62:63], 0
	s_and_saveexec_b64 s[10:11], s[8:9]
; %bb.14:
	v_add_u32_e32 v1, s42, v20
	v_add_u32_e32 v6, s56, v20
	v_mul_lo_u32 v1, v1, s41
	v_mul_lo_u32 v6, v6, s43
	v_sub_u32_e32 v1, v1, v6
	v_cmp_lt_u32_e64 s[8:9], s57, v1
	s_and_b64 s[62:63], s[8:9], exec
; %bb.15:
	s_or_b64 exec, exec, s[10:11]
	v_add_u32_e32 v1, s37, v21
	v_add_u32_e32 v6, s39, v21
	v_mul_lo_u32 v1, v1, s36
	v_mul_lo_u32 v6, v6, s38
	v_sub_u32_e32 v1, v1, v6
	v_cmp_lt_u32_e64 s[8:9], s40, v1
	v_cmp_ge_u32_e64 s[10:11], s40, v1
	s_and_saveexec_b64 s[12:13], s[10:11]
; %bb.16:
	v_add_u32_e32 v1, s42, v21
	v_add_u32_e32 v6, s56, v21
	v_mul_lo_u32 v1, v1, s41
	v_mul_lo_u32 v6, v6, s43
	v_sub_u32_e32 v1, v1, v6
	v_cmp_lt_u32_e64 s[10:11], s57, v1
	s_and_b64 s[64:65], s[10:11], exec
; %bb.17:
	s_or_b64 exec, exec, s[12:13]
	v_add_u32_e32 v1, s37, v18
	v_add_u32_e32 v6, s39, v18
	v_mul_lo_u32 v1, v1, s36
	v_mul_lo_u32 v6, v6, s38
	v_sub_u32_e32 v1, v1, v6
	v_cmp_lt_u32_e64 s[10:11], s40, v1
	;; [unrolled: 38-line block ×5, first 2 shown]
	v_cmp_ge_u32_e64 s[24:25], s40, v1
	s_mov_b64 s[80:81], 0
	s_mov_b64 s[82:83], 0
	s_and_saveexec_b64 s[26:27], s[24:25]
; %bb.30:
	v_add_u32_e32 v1, s42, v12
	v_add_u32_e32 v6, s56, v12
	v_mul_lo_u32 v1, v1, s41
	v_mul_lo_u32 v6, v6, s43
	v_sub_u32_e32 v1, v1, v6
	v_cmp_lt_u32_e64 s[24:25], s57, v1
	s_and_b64 s[82:83], s[24:25], exec
; %bb.31:
	s_or_b64 exec, exec, s[26:27]
	v_add_u32_e32 v1, s37, v13
	v_add_u32_e32 v6, s39, v13
	v_mul_lo_u32 v1, v1, s36
	v_mul_lo_u32 v6, v6, s38
	v_sub_u32_e32 v1, v1, v6
	v_cmp_lt_u32_e64 s[24:25], s40, v1
	v_cmp_ge_u32_e64 s[26:27], s40, v1
	s_and_saveexec_b64 s[52:53], s[26:27]
; %bb.32:
	v_add_u32_e32 v1, s42, v13
	v_add_u32_e32 v6, s56, v13
	v_mul_lo_u32 v1, v1, s41
	v_mul_lo_u32 v6, v6, s43
	v_sub_u32_e32 v1, v1, v6
	v_cmp_lt_u32_e64 s[26:27], s57, v1
	s_and_b64 s[80:81], s[26:27], exec
; %bb.33:
	s_or_b64 exec, exec, s[52:53]
	v_add_u32_e32 v1, s37, v35
	v_add_u32_e32 v6, s39, v35
	v_mul_lo_u32 v1, v1, s36
	v_mul_lo_u32 v6, v6, s38
	v_sub_u32_e32 v1, v1, v6
	v_cmp_ge_u32_e64 s[26:27], s40, v1
	s_mov_b64 s[52:53], -1
	s_mov_b64 s[74:75], 0
	s_mov_b64 s[54:55], 0
	s_and_saveexec_b64 s[84:85], s[26:27]
; %bb.34:
	v_add_u32_e32 v1, s42, v35
	v_add_u32_e32 v6, s56, v35
	v_mul_lo_u32 v1, v1, s41
	v_mul_lo_u32 v6, v6, s43
	v_sub_u32_e32 v1, v1, v6
	v_cmp_lt_u32_e64 s[26:27], s57, v1
	s_and_b64 s[54:55], s[26:27], exec
	s_xor_b64 s[52:53], exec, -1
; %bb.35:
	s_or_b64 exec, exec, s[84:85]
	v_cndmask_b32_e64 v57, 0, 1, s[82:83]
	v_cndmask_b32_e64 v60, 0, 1, s[24:25]
	;; [unrolled: 1-line block ×22, first 2 shown]
	v_cndmask_b32_e64 v37, 0, 1, vcc
	v_cndmask_b32_e64 v59, 0, 1, s[80:81]
	s_add_i32 s16, s86, 0xd00
	s_and_b64 vcc, exec, s[74:75]
	s_cbranch_vccnz .LBB236_37
	s_branch .LBB236_90
.LBB236_36:
                                        ; implicit-def: $sgpr52_sgpr53
                                        ; implicit-def: $sgpr54_sgpr55
                                        ; implicit-def: $vgpr59
                                        ; implicit-def: $vgpr57
                                        ; implicit-def: $vgpr55
                                        ; implicit-def: $vgpr53
                                        ; implicit-def: $vgpr51
                                        ; implicit-def: $vgpr49
                                        ; implicit-def: $vgpr47
                                        ; implicit-def: $vgpr45
                                        ; implicit-def: $vgpr43
                                        ; implicit-def: $vgpr37
                                        ; implicit-def: $vgpr39
                                        ; implicit-def: $vgpr41
                                        ; implicit-def: $vgpr44
                                        ; implicit-def: $vgpr46
                                        ; implicit-def: $vgpr48
                                        ; implicit-def: $vgpr50
                                        ; implicit-def: $vgpr52
                                        ; implicit-def: $vgpr54
                                        ; implicit-def: $vgpr56
                                        ; implicit-def: $vgpr58
                                        ; implicit-def: $vgpr60
                                        ; implicit-def: $vgpr38
                                        ; implicit-def: $vgpr40
                                        ; implicit-def: $vgpr42
	s_add_i32 s16, s86, 0xd00
	s_cbranch_execz .LBB236_90
.LBB236_37:
	v_cmp_gt_u32_e32 vcc, s16, v36
	v_mov_b32_e32 v38, 0
	v_mov_b32_e32 v37, 0
	s_and_saveexec_b64 s[6:7], vcc
	s_cbranch_execz .LBB236_41
; %bb.38:
	v_add_u32_e32 v1, s37, v22
	v_add_u32_e32 v6, s39, v22
	v_mul_lo_u32 v1, v1, s36
	v_mul_lo_u32 v6, v6, s38
	v_sub_u32_e32 v1, v1, v6
	v_cmp_lt_u32_e32 vcc, s40, v1
	v_cmp_ge_u32_e64 s[4:5], s40, v1
	s_mov_b64 s[10:11], 0
	s_and_saveexec_b64 s[8:9], s[4:5]
; %bb.39:
	v_add_u32_e32 v1, s42, v22
	v_add_u32_e32 v6, s56, v22
	v_mul_lo_u32 v1, v1, s41
	v_mul_lo_u32 v6, v6, s43
	v_sub_u32_e32 v1, v1, v6
	v_cmp_lt_u32_e64 s[4:5], s57, v1
	s_and_b64 s[10:11], s[4:5], exec
; %bb.40:
	s_or_b64 exec, exec, s[8:9]
	v_cndmask_b32_e64 v37, 0, 1, vcc
	v_cndmask_b32_e64 v38, 0, 1, s[10:11]
.LBB236_41:
	s_or_b64 exec, exec, s[6:7]
	v_add_u32_e32 v1, 1, v36
	v_cmp_gt_u32_e32 vcc, s16, v1
	v_mov_b32_e32 v39, 0
	v_mov_b32_e32 v40, 0
	s_and_saveexec_b64 s[6:7], vcc
	s_cbranch_execz .LBB236_45
; %bb.42:
	v_add_u32_e32 v1, s37, v23
	v_add_u32_e32 v6, s39, v23
	v_mul_lo_u32 v1, v1, s36
	v_mul_lo_u32 v6, v6, s38
	v_sub_u32_e32 v1, v1, v6
	v_cmp_lt_u32_e32 vcc, s40, v1
	v_cmp_ge_u32_e64 s[4:5], s40, v1
	s_mov_b64 s[10:11], 0
	s_and_saveexec_b64 s[8:9], s[4:5]
; %bb.43:
	v_add_u32_e32 v1, s42, v23
	v_add_u32_e32 v6, s56, v23
	v_mul_lo_u32 v1, v1, s41
	v_mul_lo_u32 v6, v6, s43
	v_sub_u32_e32 v1, v1, v6
	v_cmp_lt_u32_e64 s[4:5], s57, v1
	s_and_b64 s[10:11], s[4:5], exec
; %bb.44:
	s_or_b64 exec, exec, s[8:9]
	v_cndmask_b32_e64 v39, 0, 1, vcc
	v_cndmask_b32_e64 v40, 0, 1, s[10:11]
.LBB236_45:
	s_or_b64 exec, exec, s[6:7]
	v_add_u32_e32 v1, 2, v36
	;; [unrolled: 30-line block ×12, first 2 shown]
	v_cmp_gt_u32_e32 vcc, s16, v1
	s_mov_b64 s[52:53], 0
	s_mov_b64 s[54:55], 0
	s_and_saveexec_b64 s[4:5], vcc
	s_cbranch_execz .LBB236_89
; %bb.86:
	v_add_u32_e32 v1, s37, v35
	v_add_u32_e32 v6, s39, v35
	v_mul_lo_u32 v1, v1, s36
	v_mul_lo_u32 v6, v6, s38
	v_sub_u32_e32 v1, v1, v6
	v_cmp_ge_u32_e32 vcc, s40, v1
	s_mov_b64 s[8:9], -1
	s_mov_b64 s[10:11], 0
	s_and_saveexec_b64 s[6:7], vcc
; %bb.87:
	v_add_u32_e32 v1, s42, v35
	v_add_u32_e32 v6, s56, v35
	v_mul_lo_u32 v1, v1, s41
	v_mul_lo_u32 v6, v6, s43
	v_sub_u32_e32 v1, v1, v6
	v_cmp_lt_u32_e32 vcc, s57, v1
	s_and_b64 s[10:11], vcc, exec
	s_xor_b64 s[8:9], exec, -1
; %bb.88:
	s_or_b64 exec, exec, s[6:7]
	s_and_b64 s[54:55], s[10:11], exec
	s_and_b64 s[52:53], s[8:9], exec
.LBB236_89:
	s_or_b64 exec, exec, s[4:5]
.LBB236_90:
	v_and_b32_e32 v68, 0xff, v38
	v_and_b32_e32 v79, 0xff, v40
	;; [unrolled: 1-line block ×5, first 2 shown]
	v_add3_u32 v6, v79, v70, v68
	v_and_b32_e32 v81, 0xff, v47
	v_and_b32_e32 v74, 0xff, v49
	v_add3_u32 v6, v6, v80, v72
	v_and_b32_e32 v67, 0xff, v37
	v_and_b32_e32 v61, 0xff, v39
	;; [unrolled: 1-line block ×5, first 2 shown]
	v_add3_u32 v6, v6, v81, v74
	v_and_b32_e32 v62, 0xff, v44
	v_and_b32_e32 v71, 0xff, v46
	;; [unrolled: 1-line block ×4, first 2 shown]
	v_add3_u32 v7, v61, v69, v67
	v_add3_u32 v6, v6, v82, v76
	v_and_b32_e32 v63, 0xff, v48
	v_and_b32_e32 v73, 0xff, v50
	;; [unrolled: 1-line block ×3, first 2 shown]
	v_cndmask_b32_e64 v1, 0, 1, s[54:55]
	v_add3_u32 v7, v7, v62, v71
	v_add3_u32 v6, v6, v83, v78
	v_and_b32_e32 v64, 0xff, v52
	v_and_b32_e32 v75, 0xff, v54
	v_add3_u32 v7, v7, v63, v73
	v_add3_u32 v91, v6, v84, v1
	v_mbcnt_lo_u32_b32 v1, -1, 0
	v_and_b32_e32 v65, 0xff, v56
	v_and_b32_e32 v77, 0xff, v58
	v_add3_u32 v7, v7, v64, v75
	v_mbcnt_hi_u32_b32 v85, -1, v1
	v_and_b32_e32 v66, 0xff, v60
	v_add3_u32 v7, v7, v65, v77
	v_cndmask_b32_e64 v8, 0, 1, s[52:53]
	v_and_b32_e32 v89, 15, v85
	s_cmp_lg_u32 s33, 0
	v_add3_u32 v90, v7, v66, v8
	v_cmp_eq_u32_e64 s[6:7], 0, v89
	v_cmp_lt_u32_e64 s[4:5], 1, v89
	v_cmp_lt_u32_e64 s[10:11], 3, v89
	;; [unrolled: 1-line block ×3, first 2 shown]
	v_and_b32_e32 v88, 16, v85
	v_cmp_lt_u32_e32 vcc, 31, v85
	v_lshrrev_b32_e32 v86, 6, v0
	v_or_b32_e32 v87, 63, v0
	s_cbranch_scc0 .LBB236_123
; %bb.91:
	v_mov_b32_dpp v1, v90 row_shr:1 row_mask:0xf bank_mask:0xf
	v_mov_b32_dpp v6, v91 row_shr:1 row_mask:0xf bank_mask:0xf
	v_add_u32_e32 v1, v1, v90
	v_add_u32_e32 v6, v6, v91
	v_cndmask_b32_e64 v6, v6, v91, s[6:7]
	v_cndmask_b32_e64 v1, v1, v90, s[6:7]
	s_nop 0
	v_mov_b32_dpp v8, v6 row_shr:2 row_mask:0xf bank_mask:0xf
	v_mov_b32_dpp v7, v1 row_shr:2 row_mask:0xf bank_mask:0xf
	v_add_u32_e32 v7, v1, v7
	v_add_u32_e32 v8, v6, v8
	v_cndmask_b32_e64 v6, v6, v8, s[4:5]
	v_cndmask_b32_e64 v1, v1, v7, s[4:5]
	s_nop 0
	;; [unrolled: 7-line block ×3, first 2 shown]
	v_mov_b32_dpp v8, v6 row_shr:8 row_mask:0xf bank_mask:0xf
	v_mov_b32_dpp v7, v1 row_shr:8 row_mask:0xf bank_mask:0xf
	v_add_u32_e32 v7, v1, v7
	v_add_u32_e32 v8, v6, v8
	v_cndmask_b32_e64 v6, v6, v8, s[8:9]
	v_cndmask_b32_e64 v1, v1, v7, s[8:9]
	v_cmp_eq_u32_e64 s[8:9], 0, v88
	v_mov_b32_dpp v8, v6 row_bcast:15 row_mask:0xf bank_mask:0xf
	v_mov_b32_dpp v7, v1 row_bcast:15 row_mask:0xf bank_mask:0xf
	v_add_u32_e32 v7, v1, v7
	v_add_u32_e32 v8, v6, v8
	v_cndmask_b32_e64 v6, v8, v6, s[8:9]
	v_cndmask_b32_e64 v1, v7, v1, s[8:9]
	s_nop 0
	v_mov_b32_dpp v8, v6 row_bcast:31 row_mask:0xf bank_mask:0xf
	v_mov_b32_dpp v7, v1 row_bcast:31 row_mask:0xf bank_mask:0xf
	v_add_u32_e32 v8, v6, v8
	v_add_u32_e32 v9, v1, v7
	v_cndmask_b32_e32 v7, v6, v8, vcc
	v_cndmask_b32_e32 v6, v1, v9, vcc
	v_cmp_eq_u32_e32 vcc, v87, v0
	s_and_saveexec_b64 s[8:9], vcc
	s_cbranch_execz .LBB236_93
; %bb.92:
	v_lshlrev_b32_e32 v1, 3, v86
	ds_write_b64 v1, v[6:7]
.LBB236_93:
	s_or_b64 exec, exec, s[8:9]
	v_cmp_gt_u32_e32 vcc, 4, v0
	s_waitcnt lgkmcnt(0)
	s_barrier
	s_and_saveexec_b64 s[8:9], vcc
	s_cbranch_execz .LBB236_95
; %bb.94:
	v_lshlrev_b32_e32 v1, 3, v0
	ds_read_b64 v[8:9], v1
	v_and_b32_e32 v10, 3, v85
	v_cmp_eq_u32_e32 vcc, 0, v10
	s_waitcnt lgkmcnt(0)
	v_mov_b32_dpp v11, v8 row_shr:1 row_mask:0xf bank_mask:0xf
	v_mov_b32_dpp v24, v9 row_shr:1 row_mask:0xf bank_mask:0xf
	v_add_u32_e32 v11, v11, v8
	v_add_u32_e32 v24, v24, v9
	v_cndmask_b32_e32 v9, v24, v9, vcc
	v_cndmask_b32_e32 v8, v11, v8, vcc
	v_cmp_lt_u32_e32 vcc, 1, v10
	v_mov_b32_dpp v24, v9 row_shr:2 row_mask:0xf bank_mask:0xf
	v_mov_b32_dpp v11, v8 row_shr:2 row_mask:0xf bank_mask:0xf
	v_cndmask_b32_e32 v10, 0, v11, vcc
	v_cndmask_b32_e32 v11, 0, v24, vcc
	v_add_u32_e32 v9, v11, v9
	v_add_u32_e32 v8, v10, v8
	ds_write_b64 v1, v[8:9]
.LBB236_95:
	s_or_b64 exec, exec, s[8:9]
	v_cmp_gt_u32_e32 vcc, 64, v0
	v_cmp_lt_u32_e64 s[8:9], 63, v0
	s_waitcnt lgkmcnt(0)
	s_barrier
	s_waitcnt lgkmcnt(0)
                                        ; implicit-def: $vgpr25
	s_and_saveexec_b64 s[10:11], s[8:9]
	s_xor_b64 s[8:9], exec, s[10:11]
	s_cbranch_execz .LBB236_97
; %bb.96:
	v_lshl_add_u32 v1, v86, 3, -8
	ds_read_b64 v[24:25], v1
	s_waitcnt lgkmcnt(0)
	v_add_u32_e32 v7, v25, v7
	v_add_u32_e32 v6, v24, v6
.LBB236_97:
	s_andn2_saveexec_b64 s[8:9], s[8:9]
; %bb.98:
                                        ; implicit-def: $vgpr24
; %bb.99:
	s_or_b64 exec, exec, s[8:9]
	v_add_u32_e32 v1, -1, v85
	v_and_b32_e32 v8, 64, v85
	v_cmp_lt_i32_e64 s[8:9], v1, v8
	v_cndmask_b32_e64 v1, v1, v85, s[8:9]
	v_lshlrev_b32_e32 v8, 2, v1
	ds_bpermute_b32 v1, v8, v6
	ds_bpermute_b32 v92, v8, v7
	v_cmp_eq_u32_e64 s[8:9], 0, v85
	s_and_saveexec_b64 s[10:11], vcc
	s_cbranch_execz .LBB236_122
; %bb.100:
	v_mov_b32_e32 v11, 0
	ds_read_b64 v[26:27], v11 offset:24
	s_and_saveexec_b64 s[12:13], s[8:9]
	s_cbranch_execz .LBB236_102
; %bb.101:
	s_add_i32 s14, s33, 64
	s_mov_b32 s15, 0
	s_lshl_b64 s[14:15], s[14:15], 4
	s_waitcnt lgkmcnt(0)
	v_and_b32_e32 v6, 0xff000000, v27
	v_and_b32_e32 v7, 0xff0000, v27
	s_add_u32 s14, s50, s14
	v_or_b32_e32 v6, v7, v6
	v_and_b32_e32 v7, 0xff00, v27
	s_addc_u32 s15, s51, s15
	v_or_b32_e32 v6, v6, v7
	v_or_b32_sdwa v9, v6, v27 dst_sel:DWORD dst_unused:UNUSED_PAD src0_sel:DWORD src1_sel:BYTE_0
	v_mov_b32_e32 v10, 1
	v_mov_b32_e32 v8, v26
	v_pk_mov_b32 v[6:7], s[14:15], s[14:15] op_sel:[0,1]
	;;#ASMSTART
	global_store_dwordx4 v[6:7], v[8:11] off	
s_waitcnt vmcnt(0)
	;;#ASMEND
.LBB236_102:
	s_or_b64 exec, exec, s[12:13]
	v_xad_u32 v28, v85, -1, s33
	v_add_u32_e32 v10, 64, v28
	v_lshlrev_b64 v[6:7], 4, v[10:11]
	v_mov_b32_e32 v8, s51
	v_add_co_u32_e32 v30, vcc, s50, v6
	v_addc_co_u32_e32 v31, vcc, v8, v7, vcc
	;;#ASMSTART
	global_load_dwordx4 v[6:9], v[30:31] off glc	
s_waitcnt vmcnt(0)
	;;#ASMEND
	v_and_b32_e32 v9, 0xff, v7
	v_and_b32_e32 v10, 0xff00, v7
	v_or3_b32 v9, 0, v9, v10
	v_or3_b32 v6, v6, 0, 0
	v_and_b32_e32 v10, 0xff000000, v7
	v_and_b32_e32 v7, 0xff0000, v7
	v_or3_b32 v7, v9, v7, v10
	v_or3_b32 v6, v6, 0, 0
	v_cmp_eq_u16_sdwa s[14:15], v8, v11 src0_sel:BYTE_0 src1_sel:DWORD
	s_and_saveexec_b64 s[12:13], s[14:15]
	s_cbranch_execz .LBB236_108
; %bb.103:
	s_mov_b32 s17, 1
	s_mov_b64 s[14:15], 0
	v_mov_b32_e32 v10, 0
.LBB236_104:                            ; =>This Loop Header: Depth=1
                                        ;     Child Loop BB236_105 Depth 2
	s_max_u32 s18, s17, 1
.LBB236_105:                            ;   Parent Loop BB236_104 Depth=1
                                        ; =>  This Inner Loop Header: Depth=2
	s_add_i32 s18, s18, -1
	s_cmp_eq_u32 s18, 0
	s_sleep 1
	s_cbranch_scc0 .LBB236_105
; %bb.106:                              ;   in Loop: Header=BB236_104 Depth=1
	s_cmp_lt_u32 s17, 32
	s_cselect_b64 s[18:19], -1, 0
	s_cmp_lg_u64 s[18:19], 0
	s_addc_u32 s17, s17, 0
	;;#ASMSTART
	global_load_dwordx4 v[6:9], v[30:31] off glc	
s_waitcnt vmcnt(0)
	;;#ASMEND
	v_cmp_ne_u16_sdwa s[18:19], v8, v10 src0_sel:BYTE_0 src1_sel:DWORD
	s_or_b64 s[14:15], s[18:19], s[14:15]
	s_andn2_b64 exec, exec, s[14:15]
	s_cbranch_execnz .LBB236_104
; %bb.107:
	s_or_b64 exec, exec, s[14:15]
.LBB236_108:
	s_or_b64 exec, exec, s[12:13]
	v_and_b32_e32 v94, 63, v85
	v_cmp_ne_u32_e32 vcc, 63, v94
	v_mov_b32_e32 v93, 2
	v_addc_co_u32_e32 v30, vcc, 0, v85, vcc
	v_cmp_eq_u16_sdwa s[12:13], v8, v93 src0_sel:BYTE_0 src1_sel:DWORD
	v_lshlrev_b64 v[10:11], v85, -1
	v_lshlrev_b32_e32 v95, 2, v30
	v_and_b32_e32 v9, s13, v11
	ds_bpermute_b32 v30, v95, v6
	ds_bpermute_b32 v31, v95, v7
	v_or_b32_e32 v9, 0x80000000, v9
	v_and_b32_e32 v29, s12, v10
	v_ffbl_b32_e32 v9, v9
	v_add_u32_e32 v9, 32, v9
	v_ffbl_b32_e32 v29, v29
	v_min_u32_e32 v9, v29, v9
	s_waitcnt lgkmcnt(1)
	v_add_u32_e32 v29, v30, v6
	s_waitcnt lgkmcnt(0)
	v_add_u32_e32 v30, v31, v7
	v_cmp_lt_u32_e32 vcc, v94, v9
	v_cndmask_b32_e32 v7, v7, v30, vcc
	v_cndmask_b32_e32 v6, v6, v29, vcc
	v_cmp_gt_u32_e32 vcc, 62, v94
	v_cndmask_b32_e64 v29, 0, 1, vcc
	v_lshlrev_b32_e32 v29, 1, v29
	v_add_lshl_u32 v96, v29, v85, 2
	ds_bpermute_b32 v29, v96, v6
	ds_bpermute_b32 v30, v96, v7
	v_add_u32_e32 v97, 2, v94
	v_cmp_gt_u32_e32 vcc, v97, v9
	v_add_u32_e32 v99, 4, v94
	s_waitcnt lgkmcnt(1)
	v_add_u32_e32 v29, v6, v29
	s_waitcnt lgkmcnt(0)
	v_add_u32_e32 v30, v7, v30
	v_cndmask_b32_e32 v7, v30, v7, vcc
	v_cndmask_b32_e32 v6, v29, v6, vcc
	v_cmp_gt_u32_e32 vcc, 60, v94
	v_cndmask_b32_e64 v29, 0, 1, vcc
	v_lshlrev_b32_e32 v29, 2, v29
	v_add_lshl_u32 v98, v29, v85, 2
	ds_bpermute_b32 v29, v98, v6
	ds_bpermute_b32 v30, v98, v7
	v_cmp_gt_u32_e32 vcc, v99, v9
	v_add_u32_e32 v101, 8, v94
	v_add_u32_e32 v103, 16, v94
	s_waitcnt lgkmcnt(1)
	v_add_u32_e32 v29, v6, v29
	s_waitcnt lgkmcnt(0)
	v_add_u32_e32 v30, v7, v30
	v_cndmask_b32_e32 v7, v30, v7, vcc
	v_cndmask_b32_e32 v6, v29, v6, vcc
	v_cmp_gt_u32_e32 vcc, 56, v94
	v_cndmask_b32_e64 v29, 0, 1, vcc
	v_lshlrev_b32_e32 v29, 3, v29
	v_add_lshl_u32 v100, v29, v85, 2
	ds_bpermute_b32 v29, v100, v6
	ds_bpermute_b32 v30, v100, v7
	v_cmp_gt_u32_e32 vcc, v101, v9
	v_add_u32_e32 v105, 32, v94
	s_waitcnt lgkmcnt(1)
	v_add_u32_e32 v29, v6, v29
	s_waitcnt lgkmcnt(0)
	v_add_u32_e32 v30, v7, v30
	v_cndmask_b32_e32 v7, v30, v7, vcc
	v_cndmask_b32_e32 v6, v29, v6, vcc
	v_cmp_gt_u32_e32 vcc, 48, v94
	v_cndmask_b32_e64 v29, 0, 1, vcc
	v_lshlrev_b32_e32 v29, 4, v29
	v_add_lshl_u32 v102, v29, v85, 2
	ds_bpermute_b32 v29, v102, v6
	ds_bpermute_b32 v30, v102, v7
	v_cmp_gt_u32_e32 vcc, v103, v9
	s_waitcnt lgkmcnt(1)
	v_add_u32_e32 v29, v6, v29
	s_waitcnt lgkmcnt(0)
	v_add_u32_e32 v30, v7, v30
	v_cndmask_b32_e32 v7, v30, v7, vcc
	v_cndmask_b32_e32 v6, v29, v6, vcc
	v_cmp_gt_u32_e32 vcc, 32, v94
	v_cndmask_b32_e64 v29, 0, 1, vcc
	v_lshlrev_b32_e32 v29, 5, v29
	v_add_lshl_u32 v104, v29, v85, 2
	ds_bpermute_b32 v29, v104, v6
	ds_bpermute_b32 v30, v104, v7
	v_cmp_le_u32_e32 vcc, v105, v9
	s_waitcnt lgkmcnt(1)
	v_cndmask_b32_e32 v9, 0, v29, vcc
	s_waitcnt lgkmcnt(0)
	v_cndmask_b32_e32 v29, 0, v30, vcc
	v_add_u32_e32 v7, v7, v29
	v_add_u32_e32 v6, v6, v9
	v_mov_b32_e32 v29, 0
	s_branch .LBB236_110
.LBB236_109:                            ;   in Loop: Header=BB236_110 Depth=1
	s_or_b64 exec, exec, s[12:13]
	v_cmp_eq_u16_sdwa s[12:13], v8, v93 src0_sel:BYTE_0 src1_sel:DWORD
	v_and_b32_e32 v9, s13, v11
	ds_bpermute_b32 v33, v95, v6
	ds_bpermute_b32 v106, v95, v7
	v_or_b32_e32 v9, 0x80000000, v9
	v_and_b32_e32 v32, s12, v10
	v_ffbl_b32_e32 v9, v9
	v_add_u32_e32 v9, 32, v9
	v_ffbl_b32_e32 v32, v32
	v_min_u32_e32 v9, v32, v9
	s_waitcnt lgkmcnt(1)
	v_add_u32_e32 v32, v33, v6
	s_waitcnt lgkmcnt(0)
	v_add_u32_e32 v33, v106, v7
	v_cmp_lt_u32_e32 vcc, v94, v9
	v_cndmask_b32_e32 v7, v7, v33, vcc
	v_cndmask_b32_e32 v6, v6, v32, vcc
	ds_bpermute_b32 v32, v96, v6
	ds_bpermute_b32 v33, v96, v7
	v_cmp_gt_u32_e32 vcc, v97, v9
	v_subrev_u32_e32 v28, 64, v28
	s_waitcnt lgkmcnt(1)
	v_add_u32_e32 v32, v6, v32
	s_waitcnt lgkmcnt(0)
	v_add_u32_e32 v33, v7, v33
	v_cndmask_b32_e32 v7, v33, v7, vcc
	v_cndmask_b32_e32 v6, v32, v6, vcc
	ds_bpermute_b32 v32, v98, v6
	ds_bpermute_b32 v33, v98, v7
	v_cmp_gt_u32_e32 vcc, v99, v9
	s_waitcnt lgkmcnt(1)
	v_add_u32_e32 v32, v6, v32
	s_waitcnt lgkmcnt(0)
	v_add_u32_e32 v33, v7, v33
	v_cndmask_b32_e32 v7, v33, v7, vcc
	v_cndmask_b32_e32 v6, v32, v6, vcc
	ds_bpermute_b32 v32, v100, v6
	ds_bpermute_b32 v33, v100, v7
	v_cmp_gt_u32_e32 vcc, v101, v9
	;; [unrolled: 9-line block ×3, first 2 shown]
	s_waitcnt lgkmcnt(1)
	v_add_u32_e32 v32, v6, v32
	s_waitcnt lgkmcnt(0)
	v_add_u32_e32 v33, v7, v33
	v_cndmask_b32_e32 v7, v33, v7, vcc
	v_cndmask_b32_e32 v6, v32, v6, vcc
	ds_bpermute_b32 v32, v104, v6
	ds_bpermute_b32 v33, v104, v7
	v_cmp_le_u32_e32 vcc, v105, v9
	s_waitcnt lgkmcnt(1)
	v_cndmask_b32_e32 v9, 0, v32, vcc
	s_waitcnt lgkmcnt(0)
	v_cndmask_b32_e32 v32, 0, v33, vcc
	v_add3_u32 v7, v32, v31, v7
	v_add3_u32 v6, v9, v30, v6
.LBB236_110:                            ; =>This Loop Header: Depth=1
                                        ;     Child Loop BB236_113 Depth 2
                                        ;       Child Loop BB236_114 Depth 3
	v_cmp_ne_u16_sdwa s[12:13], v8, v93 src0_sel:BYTE_0 src1_sel:DWORD
	v_cndmask_b32_e64 v8, 0, 1, s[12:13]
	;;#ASMSTART
	;;#ASMEND
	v_cmp_ne_u32_e32 vcc, 0, v8
	s_cmp_lg_u64 vcc, exec
	v_pk_mov_b32 v[30:31], v[6:7], v[6:7] op_sel:[0,1]
	s_cbranch_scc1 .LBB236_117
; %bb.111:                              ;   in Loop: Header=BB236_110 Depth=1
	v_lshlrev_b64 v[6:7], 4, v[28:29]
	v_mov_b32_e32 v8, s51
	v_add_co_u32_e32 v32, vcc, s50, v6
	v_addc_co_u32_e32 v33, vcc, v8, v7, vcc
	;;#ASMSTART
	global_load_dwordx4 v[6:9], v[32:33] off glc	
s_waitcnt vmcnt(0)
	;;#ASMEND
	v_and_b32_e32 v9, 0xff, v7
	v_and_b32_e32 v106, 0xff00, v7
	v_or3_b32 v9, 0, v9, v106
	v_or3_b32 v6, v6, 0, 0
	v_and_b32_e32 v106, 0xff000000, v7
	v_and_b32_e32 v7, 0xff0000, v7
	v_or3_b32 v7, v9, v7, v106
	v_or3_b32 v6, v6, 0, 0
	v_cmp_eq_u16_sdwa s[14:15], v8, v29 src0_sel:BYTE_0 src1_sel:DWORD
	s_and_saveexec_b64 s[12:13], s[14:15]
	s_cbranch_execz .LBB236_109
; %bb.112:                              ;   in Loop: Header=BB236_110 Depth=1
	s_mov_b32 s17, 1
	s_mov_b64 s[14:15], 0
.LBB236_113:                            ;   Parent Loop BB236_110 Depth=1
                                        ; =>  This Loop Header: Depth=2
                                        ;       Child Loop BB236_114 Depth 3
	s_max_u32 s18, s17, 1
.LBB236_114:                            ;   Parent Loop BB236_110 Depth=1
                                        ;     Parent Loop BB236_113 Depth=2
                                        ; =>    This Inner Loop Header: Depth=3
	s_add_i32 s18, s18, -1
	s_cmp_eq_u32 s18, 0
	s_sleep 1
	s_cbranch_scc0 .LBB236_114
; %bb.115:                              ;   in Loop: Header=BB236_113 Depth=2
	s_cmp_lt_u32 s17, 32
	s_cselect_b64 s[18:19], -1, 0
	s_cmp_lg_u64 s[18:19], 0
	s_addc_u32 s17, s17, 0
	;;#ASMSTART
	global_load_dwordx4 v[6:9], v[32:33] off glc	
s_waitcnt vmcnt(0)
	;;#ASMEND
	v_cmp_ne_u16_sdwa s[18:19], v8, v29 src0_sel:BYTE_0 src1_sel:DWORD
	s_or_b64 s[14:15], s[18:19], s[14:15]
	s_andn2_b64 exec, exec, s[14:15]
	s_cbranch_execnz .LBB236_113
; %bb.116:                              ;   in Loop: Header=BB236_110 Depth=1
	s_or_b64 exec, exec, s[14:15]
	s_branch .LBB236_109
.LBB236_117:                            ;   in Loop: Header=BB236_110 Depth=1
                                        ; implicit-def: $vgpr8
                                        ; implicit-def: $vgpr6_vgpr7
	s_cbranch_execz .LBB236_110
; %bb.118:
	s_and_saveexec_b64 s[12:13], s[8:9]
	s_cbranch_execz .LBB236_120
; %bb.119:
	s_add_i32 s14, s33, 64
	s_mov_b32 s15, 0
	v_add_u32_e32 v7, v31, v27
	s_lshl_b64 s[14:15], s[14:15], 4
	s_add_u32 s14, s50, s14
	v_and_b32_e32 v8, 0xff000000, v7
	v_and_b32_e32 v10, 0xff0000, v7
	s_addc_u32 s15, s51, s15
	v_or_b32_e32 v8, v10, v8
	v_and_b32_e32 v10, 0xff00, v7
	v_and_b32_e32 v7, 0xff, v7
	v_add_u32_e32 v6, v30, v26
	v_mov_b32_e32 v9, 0
	v_or3_b32 v7, v8, v10, v7
	v_mov_b32_e32 v8, 2
	v_pk_mov_b32 v[10:11], s[14:15], s[14:15] op_sel:[0,1]
	;;#ASMSTART
	global_store_dwordx4 v[10:11], v[6:9] off	
s_waitcnt vmcnt(0)
	;;#ASMEND
	s_movk_i32 s14, 0x3400
	v_add_u32_e64 v6, s14, 0
	ds_write2_b32 v6, v26, v27 offset1:2
	ds_write2_b32 v6, v30, v31 offset0:4 offset1:6
.LBB236_120:
	s_or_b64 exec, exec, s[12:13]
	s_and_b64 exec, exec, s[0:1]
	s_cbranch_execz .LBB236_122
; %bb.121:
	v_mov_b32_e32 v6, 0
	ds_write_b64 v6, v[30:31] offset:24
.LBB236_122:
	s_or_b64 exec, exec, s[10:11]
	v_mov_b32_e32 v6, 0
	s_waitcnt lgkmcnt(0)
	s_barrier
	ds_read_b64 v[10:11], v6 offset:24
	v_cndmask_b32_e64 v25, v92, v25, s[8:9]
	v_cndmask_b32_e64 v1, v1, v24, s[8:9]
	s_movk_i32 s8, 0x3400
	s_waitcnt lgkmcnt(0)
	v_add_u32_e32 v24, v10, v1
	v_add_u32_e64 v1, s8, 0
	s_barrier
	ds_read2_b32 v[6:7], v1 offset1:2
	ds_read2_b32 v[8:9], v1 offset0:4 offset1:6
	v_add_u32_e32 v1, v11, v25
	v_cndmask_b32_e64 v1, v1, v11, s[0:1]
	v_cndmask_b32_e64 v10, v24, v10, s[0:1]
	s_branch .LBB236_133
.LBB236_123:
                                        ; implicit-def: $vgpr1
                                        ; implicit-def: $vgpr8
                                        ; implicit-def: $vgpr6
                                        ; implicit-def: $vgpr10_vgpr11
	s_cbranch_execz .LBB236_133
; %bb.124:
	s_nop 0
	v_mov_b32_dpp v1, v90 row_shr:1 row_mask:0xf bank_mask:0xf
	s_waitcnt lgkmcnt(1)
	v_mov_b32_dpp v6, v91 row_shr:1 row_mask:0xf bank_mask:0xf
	v_add_u32_e32 v1, v1, v90
	v_add_u32_e32 v6, v6, v91
	v_cndmask_b32_e64 v6, v6, v91, s[6:7]
	v_cndmask_b32_e64 v1, v1, v90, s[6:7]
	v_cmp_lt_u32_e32 vcc, 3, v89
	s_waitcnt lgkmcnt(0)
	v_mov_b32_dpp v8, v6 row_shr:2 row_mask:0xf bank_mask:0xf
	v_mov_b32_dpp v7, v1 row_shr:2 row_mask:0xf bank_mask:0xf
	v_add_u32_e32 v7, v1, v7
	v_add_u32_e32 v8, v6, v8
	v_cndmask_b32_e64 v6, v6, v8, s[4:5]
	v_cndmask_b32_e64 v1, v1, v7, s[4:5]
	s_nop 0
	v_mov_b32_dpp v8, v6 row_shr:4 row_mask:0xf bank_mask:0xf
	v_mov_b32_dpp v7, v1 row_shr:4 row_mask:0xf bank_mask:0xf
	v_add_u32_e32 v7, v1, v7
	v_add_u32_e32 v8, v6, v8
	v_cndmask_b32_e32 v6, v6, v8, vcc
	v_cndmask_b32_e32 v1, v1, v7, vcc
	v_cmp_lt_u32_e32 vcc, 7, v89
	v_mov_b32_dpp v8, v6 row_shr:8 row_mask:0xf bank_mask:0xf
	v_mov_b32_dpp v7, v1 row_shr:8 row_mask:0xf bank_mask:0xf
	v_add_u32_e32 v7, v1, v7
	v_add_u32_e32 v8, v6, v8
	v_cndmask_b32_e32 v6, v6, v8, vcc
	v_cndmask_b32_e32 v1, v1, v7, vcc
	v_cmp_eq_u32_e32 vcc, 0, v88
	v_mov_b32_dpp v8, v6 row_bcast:15 row_mask:0xf bank_mask:0xf
	v_mov_b32_dpp v7, v1 row_bcast:15 row_mask:0xf bank_mask:0xf
	v_add_u32_e32 v7, v1, v7
	v_add_u32_e32 v8, v6, v8
	v_cndmask_b32_e32 v6, v8, v6, vcc
	v_cndmask_b32_e32 v1, v7, v1, vcc
	v_cmp_lt_u32_e32 vcc, 31, v85
	v_mov_b32_dpp v8, v6 row_bcast:31 row_mask:0xf bank_mask:0xf
	v_mov_b32_dpp v7, v1 row_bcast:31 row_mask:0xf bank_mask:0xf
	v_add_u32_e32 v8, v6, v8
	v_add_u32_e32 v9, v1, v7
	v_cndmask_b32_e32 v7, v6, v8, vcc
	v_cndmask_b32_e32 v6, v1, v9, vcc
	v_cmp_eq_u32_e32 vcc, v87, v0
	s_and_saveexec_b64 s[4:5], vcc
	s_cbranch_execz .LBB236_126
; %bb.125:
	v_lshlrev_b32_e32 v1, 3, v86
	ds_write_b64 v1, v[6:7]
.LBB236_126:
	s_or_b64 exec, exec, s[4:5]
	v_cmp_gt_u32_e32 vcc, 4, v0
	s_waitcnt lgkmcnt(0)
	s_barrier
	s_and_saveexec_b64 s[4:5], vcc
	s_cbranch_execz .LBB236_128
; %bb.127:
	v_lshlrev_b32_e32 v1, 3, v0
	ds_read_b64 v[8:9], v1
	v_and_b32_e32 v10, 3, v85
	v_cmp_eq_u32_e32 vcc, 0, v10
	s_waitcnt lgkmcnt(0)
	v_mov_b32_dpp v11, v8 row_shr:1 row_mask:0xf bank_mask:0xf
	v_mov_b32_dpp v24, v9 row_shr:1 row_mask:0xf bank_mask:0xf
	v_add_u32_e32 v11, v11, v8
	v_add_u32_e32 v24, v24, v9
	v_cndmask_b32_e32 v9, v24, v9, vcc
	v_cndmask_b32_e32 v8, v11, v8, vcc
	v_cmp_lt_u32_e32 vcc, 1, v10
	v_mov_b32_dpp v24, v9 row_shr:2 row_mask:0xf bank_mask:0xf
	v_mov_b32_dpp v11, v8 row_shr:2 row_mask:0xf bank_mask:0xf
	v_cndmask_b32_e32 v10, 0, v11, vcc
	v_cndmask_b32_e32 v11, 0, v24, vcc
	v_add_u32_e32 v9, v11, v9
	v_add_u32_e32 v8, v10, v8
	ds_write_b64 v1, v[8:9]
.LBB236_128:
	s_or_b64 exec, exec, s[4:5]
	v_cmp_lt_u32_e32 vcc, 63, v0
	v_mov_b32_e32 v8, 0
	v_mov_b32_e32 v10, 0
	;; [unrolled: 1-line block ×3, first 2 shown]
	s_waitcnt lgkmcnt(0)
	s_barrier
	s_and_saveexec_b64 s[4:5], vcc
	s_cbranch_execz .LBB236_130
; %bb.129:
	v_lshl_add_u32 v1, v86, 3, -8
	ds_read_b64 v[10:11], v1
.LBB236_130:
	s_or_b64 exec, exec, s[4:5]
	s_waitcnt lgkmcnt(0)
	v_add_u32_e32 v9, v11, v7
	v_add_u32_e32 v1, v10, v6
	v_add_u32_e32 v6, -1, v85
	v_and_b32_e32 v7, 64, v85
	v_cmp_lt_i32_e32 vcc, v6, v7
	v_cndmask_b32_e32 v6, v6, v85, vcc
	v_lshlrev_b32_e32 v24, 2, v6
	ds_read_b64 v[6:7], v8 offset:24
	ds_bpermute_b32 v1, v24, v1
	ds_bpermute_b32 v24, v24, v9
	s_waitcnt lgkmcnt(2)
	v_readfirstlane_b32 s6, v7
	s_and_saveexec_b64 s[4:5], s[0:1]
	s_cbranch_execz .LBB236_132
; %bb.131:
	s_add_u32 s8, s50, 0x400
	s_mov_b32 s10, 0
	s_addc_u32 s9, s51, 0
	s_and_b32 s11, s6, 0xff000000
	s_and_b32 s13, s6, 0xff0000
	s_mov_b32 s12, s10
	s_or_b64 s[12:13], s[12:13], s[10:11]
	s_and_b32 s11, s6, 0xff00
	s_or_b64 s[12:13], s[12:13], s[10:11]
	s_and_b32 s11, s6, 0xff
	s_or_b64 s[10:11], s[12:13], s[10:11]
	v_mov_b32_e32 v7, s11
	v_mov_b32_e32 v8, 2
	;; [unrolled: 1-line block ×3, first 2 shown]
	v_pk_mov_b32 v[26:27], s[8:9], s[8:9] op_sel:[0,1]
	;;#ASMSTART
	global_store_dwordx4 v[26:27], v[6:9] off	
s_waitcnt vmcnt(0)
	;;#ASMEND
.LBB236_132:
	s_or_b64 exec, exec, s[4:5]
	v_cmp_eq_u32_e32 vcc, 0, v85
	s_waitcnt lgkmcnt(1)
	v_cndmask_b32_e32 v7, v1, v10, vcc
	s_waitcnt lgkmcnt(0)
	v_cndmask_b32_e32 v1, v24, v11, vcc
	v_mov_b32_e32 v8, 0
	v_cndmask_b32_e64 v1, v1, 0, s[0:1]
	v_cndmask_b32_e64 v10, v7, 0, s[0:1]
	s_barrier
	v_mov_b32_e32 v7, s6
	v_mov_b32_e32 v9, 0
.LBB236_133:
	v_add_u32_e32 v11, v10, v67
	v_add_u32_e32 v26, v1, v68
	;; [unrolled: 1-line block ×13, first 2 shown]
	s_waitcnt vmcnt(0) lgkmcnt(0)
	v_add_co_u32_e32 v2, vcc, v2, v8
	v_add_u32_e32 v68, v62, v74
	v_add_u32_e32 v64, v67, v64
	v_addc_co_u32_e32 v3, vcc, 0, v3, vcc
	v_add_u32_e32 v69, v68, v82
	v_add_u32_e32 v70, v64, v75
	v_sub_co_u32_e32 v24, vcc, v4, v6
	v_add_u32_e32 v71, v69, v76
	v_add_u32_e32 v65, v70, v65
	v_subbrev_co_u32_e32 v25, vcc, 0, v5, vcc
	v_lshlrev_b32_e32 v76, 1, v6
	v_sub_u32_e32 v1, v1, v9
	v_add_u32_e32 v73, v65, v77
	v_add_co_u32_e32 v24, vcc, v24, v9
	v_add_u32_e32 v77, v76, v7
	v_sub_u32_e32 v10, v10, v8
	v_add_u32_e32 v1, v1, v6
	v_addc_co_u32_e32 v25, vcc, 0, v25, vcc
	v_add_u32_e32 v36, v77, v36
	v_and_b32_e32 v38, 1, v38
	v_add_u32_e32 v77, v10, v1
	v_and_b32_e32 v37, 1, v37
	v_sub_u32_e32 v77, v36, v77
	v_cmp_eq_u32_e32 vcc, 1, v38
	v_cndmask_b32_e32 v1, v77, v1, vcc
	v_cmp_eq_u32_e32 vcc, 1, v37
	v_cndmask_b32_e32 v1, v1, v10, vcc
	v_lshlrev_b32_e32 v1, 2, v1
	ds_write_b32 v1, v22
	v_sub_u32_e32 v1, v11, v8
	v_sub_u32_e32 v11, v26, v9
	v_add_u32_e32 v11, v11, v6
	v_add_u32_e32 v26, v11, v1
	v_and_b32_e32 v22, 1, v40
	v_sub_u32_e32 v26, v36, v26
	v_and_b32_e32 v10, 1, v39
	v_add_u32_e32 v26, 1, v26
	v_cmp_eq_u32_e32 vcc, 1, v22
	v_cndmask_b32_e32 v11, v26, v11, vcc
	v_cmp_eq_u32_e32 vcc, 1, v10
	v_cndmask_b32_e32 v1, v11, v1, vcc
	v_lshlrev_b32_e32 v1, 2, v1
	v_sub_u32_e32 v11, v27, v9
	ds_write_b32 v1, v23
	v_sub_u32_e32 v1, v28, v8
	v_add_u32_e32 v11, v11, v6
	v_add_u32_e32 v23, v11, v1
	v_and_b32_e32 v22, 1, v42
	v_sub_u32_e32 v23, v36, v23
	v_and_b32_e32 v10, 1, v41
	v_add_u32_e32 v23, 2, v23
	v_cmp_eq_u32_e32 vcc, 1, v22
	v_cndmask_b32_e32 v11, v23, v11, vcc
	v_cmp_eq_u32_e32 vcc, 1, v10
	v_cndmask_b32_e32 v1, v11, v1, vcc
	v_lshlrev_b32_e32 v1, 2, v1
	v_sub_u32_e32 v11, v30, v9
	ds_write_b32 v1, v20
	;; [unrolled: 14-line block ×8, first 2 shown]
	v_sub_u32_e32 v1, v70, v8
	v_add_u32_e32 v11, v11, v6
	v_add_u32_e32 v16, v1, v11
	v_and_b32_e32 v14, 1, v55
	v_sub_u32_e32 v16, v36, v16
	v_and_b32_e32 v10, 1, v56
	v_add_u32_e32 v16, 9, v16
	v_cmp_eq_u32_e32 vcc, 1, v14
	v_cndmask_b32_e32 v11, v16, v11, vcc
	v_cmp_eq_u32_e32 vcc, 1, v10
	v_add_u32_e32 v72, v71, v83
	v_cndmask_b32_e32 v1, v11, v1, vcc
	v_lshlrev_b32_e32 v1, 2, v1
	v_sub_u32_e32 v11, v72, v9
	ds_write_b32 v1, v15
	v_sub_u32_e32 v1, v65, v8
	v_add_u32_e32 v11, v11, v6
	v_add_u32_e32 v15, v1, v11
	v_and_b32_e32 v14, 1, v57
	v_sub_u32_e32 v15, v36, v15
	v_and_b32_e32 v10, 1, v58
	v_add_u32_e32 v15, 10, v15
	v_cmp_eq_u32_e32 vcc, 1, v14
	v_cndmask_b32_e32 v11, v15, v11, vcc
	v_cmp_eq_u32_e32 vcc, 1, v10
	v_add_u32_e32 v74, v72, v78
	v_cndmask_b32_e32 v1, v11, v1, vcc
	v_lshlrev_b32_e32 v1, 2, v1
	v_sub_u32_e32 v11, v74, v9
	ds_write_b32 v1, v12
	v_sub_u32_e32 v1, v73, v8
	v_add_u32_e32 v11, v11, v6
	v_add_u32_e32 v14, v1, v11
	v_and_b32_e32 v12, 1, v59
	v_sub_u32_e32 v14, v36, v14
	v_and_b32_e32 v10, 1, v60
	v_add_u32_e32 v14, 11, v14
	v_cmp_eq_u32_e32 vcc, 1, v12
	v_cndmask_b32_e32 v11, v14, v11, vcc
	v_cmp_eq_u32_e32 vcc, 1, v10
	v_cndmask_b32_e32 v1, v11, v1, vcc
	v_add_u32_e32 v75, v74, v84
	v_add_u32_e32 v66, v73, v66
	v_lshlrev_b32_e32 v1, 2, v1
	ds_write_b32 v1, v13
	v_sub_u32_e32 v1, v66, v8
	v_sub_u32_e32 v8, v75, v9
	v_add_u32_e32 v8, v8, v6
	v_add_u32_e32 v10, v1, v8
	v_sub_u32_e32 v10, v36, v10
	v_add_u32_e32 v10, 12, v10
	v_cndmask_b32_e64 v8, v10, v8, s[54:55]
	v_cndmask_b32_e64 v1, v8, v1, s[52:53]
	v_lshlrev_b32_e32 v1, 2, v1
	ds_write_b32 v1, v35
	v_mov_b32_e32 v1, s49
	v_add_co_u32_e32 v8, vcc, s48, v34
	v_addc_co_u32_e32 v10, vcc, 0, v1, vcc
	v_add_co_u32_e32 v1, vcc, v7, v76
	v_addc_co_u32_e64 v11, s[4:5], 0, 0, vcc
	v_add_co_u32_e32 v1, vcc, v1, v24
	v_addc_co_u32_e32 v11, vcc, v11, v25, vcc
	v_add_co_u32_e32 v1, vcc, v1, v2
	v_addc_co_u32_e32 v11, vcc, v11, v3, vcc
	v_sub_co_u32_e32 v1, vcc, v8, v1
	v_subb_co_u32_e32 v8, vcc, v10, v11, vcc
	v_lshlrev_b64 v[10:11], 2, v[24:25]
	v_mov_b32_e32 v12, s47
	v_add_co_u32_e32 v10, vcc, s46, v10
	v_addc_co_u32_e32 v11, vcc, v12, v11, vcc
	v_lshlrev_b64 v[12:13], 2, v[2:3]
	v_mov_b32_e32 v15, s45
	v_add_co_u32_e32 v12, vcc, s44, v12
	s_add_u32 s8, s34, -4
	v_addc_co_u32_e32 v13, vcc, v15, v13, vcc
	s_addc_u32 s9, s35, -1
	v_add_u32_e32 v14, v6, v7
	s_and_b64 vcc, exec, s[2:3]
	s_mov_b64 s[2:3], -1
	s_waitcnt lgkmcnt(0)
	s_barrier
	s_cbranch_vccz .LBB236_137
; %bb.134:
	s_and_b64 vcc, exec, s[2:3]
	s_cbranch_vccnz .LBB236_242
.LBB236_135:
	s_and_b64 s[0:1], s[0:1], s[30:31]
	s_and_saveexec_b64 s[2:3], s[0:1]
	s_cbranch_execnz .LBB236_360
.LBB236_136:
	s_endpgm
.LBB236_137:
	v_cmp_le_u32_e32 vcc, v6, v0
	s_and_saveexec_b64 s[2:3], vcc
	s_xor_b64 s[2:3], exec, s[2:3]
	s_cbranch_execz .LBB236_143
; %bb.138:
	v_cmp_le_u32_e32 vcc, v14, v0
	s_and_saveexec_b64 s[4:5], vcc
	s_xor_b64 s[4:5], exec, s[4:5]
	s_cbranch_execz .LBB236_140
; %bb.139:
	v_lshlrev_b32_e32 v15, 2, v0
	v_add_co_u32_e32 v16, vcc, v1, v0
	ds_read_b32 v15, v15
	v_addc_co_u32_e32 v17, vcc, 0, v8, vcc
	v_lshlrev_b64 v[16:17], 2, v[16:17]
	v_mov_b32_e32 v18, s35
	v_sub_co_u32_e32 v16, vcc, s34, v16
	v_subb_co_u32_e32 v17, vcc, v18, v17, vcc
	s_waitcnt lgkmcnt(0)
	global_store_dword v[16:17], v15, off offset:-4
.LBB236_140:
	s_andn2_saveexec_b64 s[4:5], s[4:5]
	s_cbranch_execz .LBB236_142
; %bb.141:
	v_lshlrev_b32_e32 v15, 2, v0
	ds_read_b32 v16, v15
	v_readfirstlane_b32 s6, v10
	v_readfirstlane_b32 s7, v11
	s_waitcnt lgkmcnt(0)
	s_nop 3
	global_store_dword v15, v16, s[6:7]
.LBB236_142:
	s_or_b64 exec, exec, s[4:5]
.LBB236_143:
	s_andn2_saveexec_b64 s[2:3], s[2:3]
	s_cbranch_execz .LBB236_145
; %bb.144:
	v_lshlrev_b32_e32 v15, 2, v0
	ds_read_b32 v16, v15
	v_readfirstlane_b32 s4, v12
	v_readfirstlane_b32 s5, v13
	s_waitcnt lgkmcnt(0)
	s_nop 3
	global_store_dword v15, v16, s[4:5]
.LBB236_145:
	s_or_b64 exec, exec, s[2:3]
	v_or_b32_e32 v15, 0x100, v0
	v_cmp_le_u32_e32 vcc, v6, v15
	s_and_saveexec_b64 s[2:3], vcc
	s_xor_b64 s[2:3], exec, s[2:3]
	s_cbranch_execz .LBB236_151
; %bb.146:
	v_cmp_le_u32_e32 vcc, v14, v15
	s_and_saveexec_b64 s[4:5], vcc
	s_xor_b64 s[4:5], exec, s[4:5]
	s_cbranch_execz .LBB236_148
; %bb.147:
	v_lshlrev_b32_e32 v15, 2, v0
	ds_read_b32 v15, v15 offset:1024
	v_add_co_u32_e32 v16, vcc, v1, v0
	v_addc_co_u32_e32 v17, vcc, 0, v8, vcc
	v_lshlrev_b64 v[16:17], 2, v[16:17]
	v_mov_b32_e32 v18, s9
	v_sub_co_u32_e32 v16, vcc, s8, v16
	v_subb_co_u32_e32 v17, vcc, v18, v17, vcc
	s_waitcnt lgkmcnt(0)
	global_store_dword v[16:17], v15, off offset:-1024
.LBB236_148:
	s_andn2_saveexec_b64 s[4:5], s[4:5]
	s_cbranch_execz .LBB236_150
; %bb.149:
	v_lshlrev_b32_e32 v15, 2, v0
	ds_read_b32 v16, v15 offset:1024
	v_readfirstlane_b32 s6, v10
	v_readfirstlane_b32 s7, v11
	s_waitcnt lgkmcnt(0)
	s_nop 3
	global_store_dword v15, v16, s[6:7] offset:1024
.LBB236_150:
	s_or_b64 exec, exec, s[4:5]
.LBB236_151:
	s_andn2_saveexec_b64 s[2:3], s[2:3]
	s_cbranch_execz .LBB236_153
; %bb.152:
	v_lshlrev_b32_e32 v15, 2, v0
	ds_read_b32 v16, v15 offset:1024
	v_readfirstlane_b32 s4, v12
	v_readfirstlane_b32 s5, v13
	s_waitcnt lgkmcnt(0)
	s_nop 3
	global_store_dword v15, v16, s[4:5] offset:1024
.LBB236_153:
	s_or_b64 exec, exec, s[2:3]
	v_or_b32_e32 v15, 0x200, v0
	v_cmp_le_u32_e32 vcc, v6, v15
	s_and_saveexec_b64 s[2:3], vcc
	s_xor_b64 s[2:3], exec, s[2:3]
	s_cbranch_execz .LBB236_159
; %bb.154:
	v_cmp_le_u32_e32 vcc, v14, v15
	s_and_saveexec_b64 s[4:5], vcc
	s_xor_b64 s[4:5], exec, s[4:5]
	s_cbranch_execz .LBB236_156
; %bb.155:
	v_lshlrev_b32_e32 v15, 2, v0
	ds_read_b32 v15, v15 offset:2048
	v_add_co_u32_e32 v16, vcc, v1, v0
	v_addc_co_u32_e32 v17, vcc, 0, v8, vcc
	v_lshlrev_b64 v[16:17], 2, v[16:17]
	v_mov_b32_e32 v18, s9
	v_sub_co_u32_e32 v16, vcc, s8, v16
	v_subb_co_u32_e32 v17, vcc, v18, v17, vcc
	s_waitcnt lgkmcnt(0)
	global_store_dword v[16:17], v15, off offset:-2048
.LBB236_156:
	s_andn2_saveexec_b64 s[4:5], s[4:5]
	s_cbranch_execz .LBB236_158
; %bb.157:
	v_lshlrev_b32_e32 v15, 2, v0
	ds_read_b32 v16, v15 offset:2048
	v_readfirstlane_b32 s6, v10
	v_readfirstlane_b32 s7, v11
	s_waitcnt lgkmcnt(0)
	s_nop 3
	global_store_dword v15, v16, s[6:7] offset:2048
.LBB236_158:
	s_or_b64 exec, exec, s[4:5]
.LBB236_159:
	s_andn2_saveexec_b64 s[2:3], s[2:3]
	s_cbranch_execz .LBB236_161
; %bb.160:
	v_lshlrev_b32_e32 v15, 2, v0
	ds_read_b32 v16, v15 offset:2048
	v_readfirstlane_b32 s4, v12
	v_readfirstlane_b32 s5, v13
	s_waitcnt lgkmcnt(0)
	s_nop 3
	global_store_dword v15, v16, s[4:5] offset:2048
.LBB236_161:
	;; [unrolled: 47-line block ×3, first 2 shown]
	s_or_b64 exec, exec, s[2:3]
	v_or_b32_e32 v15, 0x400, v0
	v_cmp_le_u32_e32 vcc, v6, v15
	s_and_saveexec_b64 s[2:3], vcc
	s_xor_b64 s[2:3], exec, s[2:3]
	s_cbranch_execz .LBB236_175
; %bb.170:
	v_cmp_le_u32_e32 vcc, v14, v15
	s_and_saveexec_b64 s[4:5], vcc
	s_xor_b64 s[4:5], exec, s[4:5]
	s_cbranch_execz .LBB236_172
; %bb.171:
	v_lshlrev_b32_e32 v15, 2, v0
	ds_read_b32 v15, v15 offset:4096
	v_add_co_u32_e32 v16, vcc, v1, v0
	v_addc_co_u32_e32 v17, vcc, 0, v8, vcc
	v_lshlrev_b64 v[16:17], 2, v[16:17]
	v_mov_b32_e32 v18, s9
	v_sub_co_u32_e32 v16, vcc, s8, v16
	v_subb_co_u32_e32 v17, vcc, v18, v17, vcc
	s_waitcnt lgkmcnt(0)
	global_store_dword v[16:17], v15, off offset:-4096
                                        ; implicit-def: $vgpr15
.LBB236_172:
	s_andn2_saveexec_b64 s[4:5], s[4:5]
	s_cbranch_execz .LBB236_174
; %bb.173:
	v_lshlrev_b32_e32 v16, 2, v0
	ds_read_b32 v16, v16 offset:4096
	v_lshlrev_b32_e32 v15, 2, v15
	v_readfirstlane_b32 s6, v10
	v_readfirstlane_b32 s7, v11
	s_waitcnt lgkmcnt(0)
	s_nop 3
	global_store_dword v15, v16, s[6:7]
.LBB236_174:
	s_or_b64 exec, exec, s[4:5]
                                        ; implicit-def: $vgpr15
.LBB236_175:
	s_andn2_saveexec_b64 s[2:3], s[2:3]
	s_cbranch_execz .LBB236_177
; %bb.176:
	v_lshlrev_b32_e32 v16, 2, v0
	ds_read_b32 v16, v16 offset:4096
	v_lshlrev_b32_e32 v15, 2, v15
	v_readfirstlane_b32 s4, v12
	v_readfirstlane_b32 s5, v13
	s_waitcnt lgkmcnt(0)
	s_nop 3
	global_store_dword v15, v16, s[4:5]
.LBB236_177:
	s_or_b64 exec, exec, s[2:3]
	v_or_b32_e32 v15, 0x500, v0
	v_cmp_le_u32_e32 vcc, v6, v15
	s_and_saveexec_b64 s[2:3], vcc
	s_xor_b64 s[2:3], exec, s[2:3]
	s_cbranch_execz .LBB236_183
; %bb.178:
	v_cmp_le_u32_e32 vcc, v14, v15
	s_and_saveexec_b64 s[4:5], vcc
	s_xor_b64 s[4:5], exec, s[4:5]
	s_cbranch_execz .LBB236_180
; %bb.179:
	v_add_co_u32_e32 v16, vcc, v1, v15
	v_lshlrev_b32_e32 v15, 2, v0
	ds_read_b32 v15, v15 offset:5120
	v_addc_co_u32_e32 v17, vcc, 0, v8, vcc
	v_lshlrev_b64 v[16:17], 2, v[16:17]
	v_mov_b32_e32 v18, s9
	v_sub_co_u32_e32 v16, vcc, s8, v16
	v_subb_co_u32_e32 v17, vcc, v18, v17, vcc
	s_waitcnt lgkmcnt(0)
	global_store_dword v[16:17], v15, off
                                        ; implicit-def: $vgpr15
.LBB236_180:
	s_andn2_saveexec_b64 s[4:5], s[4:5]
	s_cbranch_execz .LBB236_182
; %bb.181:
	v_lshlrev_b32_e32 v16, 2, v0
	ds_read_b32 v16, v16 offset:5120
	v_lshlrev_b32_e32 v15, 2, v15
	v_readfirstlane_b32 s6, v10
	v_readfirstlane_b32 s7, v11
	s_waitcnt lgkmcnt(0)
	s_nop 3
	global_store_dword v15, v16, s[6:7]
.LBB236_182:
	s_or_b64 exec, exec, s[4:5]
                                        ; implicit-def: $vgpr15
.LBB236_183:
	s_andn2_saveexec_b64 s[2:3], s[2:3]
	s_cbranch_execz .LBB236_185
; %bb.184:
	v_lshlrev_b32_e32 v16, 2, v0
	ds_read_b32 v16, v16 offset:5120
	v_lshlrev_b32_e32 v15, 2, v15
	v_readfirstlane_b32 s4, v12
	v_readfirstlane_b32 s5, v13
	s_waitcnt lgkmcnt(0)
	s_nop 3
	global_store_dword v15, v16, s[4:5]
.LBB236_185:
	s_or_b64 exec, exec, s[2:3]
	v_or_b32_e32 v15, 0x600, v0
	v_cmp_le_u32_e32 vcc, v6, v15
	s_and_saveexec_b64 s[2:3], vcc
	s_xor_b64 s[2:3], exec, s[2:3]
	s_cbranch_execz .LBB236_191
; %bb.186:
	v_cmp_le_u32_e32 vcc, v14, v15
	s_and_saveexec_b64 s[4:5], vcc
	s_xor_b64 s[4:5], exec, s[4:5]
	s_cbranch_execz .LBB236_188
; %bb.187:
	v_add_co_u32_e32 v16, vcc, v1, v15
	v_lshlrev_b32_e32 v15, 2, v0
	ds_read_b32 v15, v15 offset:6144
	v_addc_co_u32_e32 v17, vcc, 0, v8, vcc
	v_lshlrev_b64 v[16:17], 2, v[16:17]
	v_mov_b32_e32 v18, s9
	v_sub_co_u32_e32 v16, vcc, s8, v16
	v_subb_co_u32_e32 v17, vcc, v18, v17, vcc
	s_waitcnt lgkmcnt(0)
	global_store_dword v[16:17], v15, off
                                        ; implicit-def: $vgpr15
.LBB236_188:
	s_andn2_saveexec_b64 s[4:5], s[4:5]
	s_cbranch_execz .LBB236_190
; %bb.189:
	v_lshlrev_b32_e32 v16, 2, v0
	ds_read_b32 v16, v16 offset:6144
	v_lshlrev_b32_e32 v15, 2, v15
	v_readfirstlane_b32 s6, v10
	v_readfirstlane_b32 s7, v11
	s_waitcnt lgkmcnt(0)
	s_nop 3
	global_store_dword v15, v16, s[6:7]
.LBB236_190:
	s_or_b64 exec, exec, s[4:5]
                                        ; implicit-def: $vgpr15
.LBB236_191:
	;; [unrolled: 51-line block ×8, first 2 shown]
	s_andn2_saveexec_b64 s[2:3], s[2:3]
	s_cbranch_execz .LBB236_241
; %bb.240:
	v_lshlrev_b32_e32 v16, 2, v0
	ds_read_b32 v16, v16 offset:12288
	v_lshlrev_b32_e32 v15, 2, v15
	v_readfirstlane_b32 s4, v12
	v_readfirstlane_b32 s5, v13
	s_waitcnt lgkmcnt(0)
	s_nop 3
	global_store_dword v15, v16, s[4:5]
.LBB236_241:
	s_or_b64 exec, exec, s[2:3]
	s_branch .LBB236_135
.LBB236_242:
	v_cmp_gt_u32_e32 vcc, s16, v0
	s_and_saveexec_b64 s[2:3], vcc
	s_cbranch_execz .LBB236_251
; %bb.243:
	v_cmp_le_u32_e32 vcc, v6, v0
	s_and_saveexec_b64 s[4:5], vcc
	s_xor_b64 s[4:5], exec, s[4:5]
	s_cbranch_execz .LBB236_249
; %bb.244:
	v_cmp_le_u32_e32 vcc, v14, v0
	s_and_saveexec_b64 s[6:7], vcc
	s_xor_b64 s[6:7], exec, s[6:7]
	s_cbranch_execz .LBB236_246
; %bb.245:
	v_lshlrev_b32_e32 v15, 2, v0
	v_add_co_u32_e32 v16, vcc, v1, v0
	ds_read_b32 v15, v15
	v_addc_co_u32_e32 v17, vcc, 0, v8, vcc
	v_lshlrev_b64 v[16:17], 2, v[16:17]
	v_mov_b32_e32 v18, s35
	v_sub_co_u32_e32 v16, vcc, s34, v16
	v_subb_co_u32_e32 v17, vcc, v18, v17, vcc
	s_waitcnt lgkmcnt(0)
	global_store_dword v[16:17], v15, off offset:-4
.LBB236_246:
	s_andn2_saveexec_b64 s[6:7], s[6:7]
	s_cbranch_execz .LBB236_248
; %bb.247:
	v_lshlrev_b32_e32 v15, 2, v0
	ds_read_b32 v16, v15
	v_readfirstlane_b32 s10, v10
	v_readfirstlane_b32 s11, v11
	s_waitcnt lgkmcnt(0)
	s_nop 3
	global_store_dword v15, v16, s[10:11]
.LBB236_248:
	s_or_b64 exec, exec, s[6:7]
.LBB236_249:
	s_andn2_saveexec_b64 s[4:5], s[4:5]
	s_cbranch_execz .LBB236_251
; %bb.250:
	v_lshlrev_b32_e32 v15, 2, v0
	ds_read_b32 v16, v15
	v_readfirstlane_b32 s4, v12
	v_readfirstlane_b32 s5, v13
	s_waitcnt lgkmcnt(0)
	s_nop 3
	global_store_dword v15, v16, s[4:5]
.LBB236_251:
	s_or_b64 exec, exec, s[2:3]
	v_or_b32_e32 v15, 0x100, v0
	v_cmp_gt_u32_e32 vcc, s16, v15
	s_and_saveexec_b64 s[2:3], vcc
	s_cbranch_execz .LBB236_260
; %bb.252:
	v_cmp_le_u32_e32 vcc, v6, v15
	s_and_saveexec_b64 s[4:5], vcc
	s_xor_b64 s[4:5], exec, s[4:5]
	s_cbranch_execz .LBB236_258
; %bb.253:
	v_cmp_le_u32_e32 vcc, v14, v15
	s_and_saveexec_b64 s[6:7], vcc
	s_xor_b64 s[6:7], exec, s[6:7]
	s_cbranch_execz .LBB236_255
; %bb.254:
	v_lshlrev_b32_e32 v15, 2, v0
	ds_read_b32 v15, v15 offset:1024
	v_add_co_u32_e32 v16, vcc, v1, v0
	v_addc_co_u32_e32 v17, vcc, 0, v8, vcc
	v_lshlrev_b64 v[16:17], 2, v[16:17]
	v_mov_b32_e32 v18, s9
	v_sub_co_u32_e32 v16, vcc, s8, v16
	v_subb_co_u32_e32 v17, vcc, v18, v17, vcc
	s_waitcnt lgkmcnt(0)
	global_store_dword v[16:17], v15, off offset:-1024
.LBB236_255:
	s_andn2_saveexec_b64 s[6:7], s[6:7]
	s_cbranch_execz .LBB236_257
; %bb.256:
	v_lshlrev_b32_e32 v15, 2, v0
	ds_read_b32 v16, v15 offset:1024
	v_readfirstlane_b32 s10, v10
	v_readfirstlane_b32 s11, v11
	s_waitcnt lgkmcnt(0)
	s_nop 3
	global_store_dword v15, v16, s[10:11] offset:1024
.LBB236_257:
	s_or_b64 exec, exec, s[6:7]
.LBB236_258:
	s_andn2_saveexec_b64 s[4:5], s[4:5]
	s_cbranch_execz .LBB236_260
; %bb.259:
	v_lshlrev_b32_e32 v15, 2, v0
	ds_read_b32 v16, v15 offset:1024
	v_readfirstlane_b32 s4, v12
	v_readfirstlane_b32 s5, v13
	s_waitcnt lgkmcnt(0)
	s_nop 3
	global_store_dword v15, v16, s[4:5] offset:1024
.LBB236_260:
	s_or_b64 exec, exec, s[2:3]
	v_or_b32_e32 v15, 0x200, v0
	v_cmp_gt_u32_e32 vcc, s16, v15
	s_and_saveexec_b64 s[2:3], vcc
	s_cbranch_execz .LBB236_269
; %bb.261:
	v_cmp_le_u32_e32 vcc, v6, v15
	s_and_saveexec_b64 s[4:5], vcc
	s_xor_b64 s[4:5], exec, s[4:5]
	s_cbranch_execz .LBB236_267
; %bb.262:
	v_cmp_le_u32_e32 vcc, v14, v15
	s_and_saveexec_b64 s[6:7], vcc
	s_xor_b64 s[6:7], exec, s[6:7]
	s_cbranch_execz .LBB236_264
; %bb.263:
	v_lshlrev_b32_e32 v15, 2, v0
	ds_read_b32 v15, v15 offset:2048
	v_add_co_u32_e32 v16, vcc, v1, v0
	v_addc_co_u32_e32 v17, vcc, 0, v8, vcc
	v_lshlrev_b64 v[16:17], 2, v[16:17]
	v_mov_b32_e32 v18, s9
	v_sub_co_u32_e32 v16, vcc, s8, v16
	v_subb_co_u32_e32 v17, vcc, v18, v17, vcc
	s_waitcnt lgkmcnt(0)
	global_store_dword v[16:17], v15, off offset:-2048
.LBB236_264:
	s_andn2_saveexec_b64 s[6:7], s[6:7]
	s_cbranch_execz .LBB236_266
; %bb.265:
	v_lshlrev_b32_e32 v15, 2, v0
	ds_read_b32 v16, v15 offset:2048
	v_readfirstlane_b32 s10, v10
	v_readfirstlane_b32 s11, v11
	s_waitcnt lgkmcnt(0)
	s_nop 3
	global_store_dword v15, v16, s[10:11] offset:2048
.LBB236_266:
	s_or_b64 exec, exec, s[6:7]
.LBB236_267:
	s_andn2_saveexec_b64 s[4:5], s[4:5]
	s_cbranch_execz .LBB236_269
; %bb.268:
	v_lshlrev_b32_e32 v15, 2, v0
	ds_read_b32 v16, v15 offset:2048
	v_readfirstlane_b32 s4, v12
	v_readfirstlane_b32 s5, v13
	s_waitcnt lgkmcnt(0)
	s_nop 3
	global_store_dword v15, v16, s[4:5] offset:2048
.LBB236_269:
	;; [unrolled: 51-line block ×3, first 2 shown]
	s_or_b64 exec, exec, s[2:3]
	v_or_b32_e32 v15, 0x400, v0
	v_cmp_gt_u32_e32 vcc, s16, v15
	s_and_saveexec_b64 s[2:3], vcc
	s_cbranch_execz .LBB236_287
; %bb.279:
	v_cmp_le_u32_e32 vcc, v6, v15
	s_and_saveexec_b64 s[4:5], vcc
	s_xor_b64 s[4:5], exec, s[4:5]
	s_cbranch_execz .LBB236_285
; %bb.280:
	v_cmp_le_u32_e32 vcc, v14, v15
	s_and_saveexec_b64 s[6:7], vcc
	s_xor_b64 s[6:7], exec, s[6:7]
	s_cbranch_execz .LBB236_282
; %bb.281:
	v_lshlrev_b32_e32 v15, 2, v0
	ds_read_b32 v15, v15 offset:4096
	v_add_co_u32_e32 v16, vcc, v1, v0
	v_addc_co_u32_e32 v17, vcc, 0, v8, vcc
	v_lshlrev_b64 v[16:17], 2, v[16:17]
	v_mov_b32_e32 v18, s9
	v_sub_co_u32_e32 v16, vcc, s8, v16
	v_subb_co_u32_e32 v17, vcc, v18, v17, vcc
	s_waitcnt lgkmcnt(0)
	global_store_dword v[16:17], v15, off offset:-4096
                                        ; implicit-def: $vgpr15
.LBB236_282:
	s_andn2_saveexec_b64 s[6:7], s[6:7]
	s_cbranch_execz .LBB236_284
; %bb.283:
	v_lshlrev_b32_e32 v16, 2, v0
	ds_read_b32 v16, v16 offset:4096
	v_lshlrev_b32_e32 v15, 2, v15
	v_readfirstlane_b32 s10, v10
	v_readfirstlane_b32 s11, v11
	s_waitcnt lgkmcnt(0)
	s_nop 3
	global_store_dword v15, v16, s[10:11]
.LBB236_284:
	s_or_b64 exec, exec, s[6:7]
                                        ; implicit-def: $vgpr15
.LBB236_285:
	s_andn2_saveexec_b64 s[4:5], s[4:5]
	s_cbranch_execz .LBB236_287
; %bb.286:
	v_lshlrev_b32_e32 v16, 2, v0
	ds_read_b32 v16, v16 offset:4096
	v_lshlrev_b32_e32 v15, 2, v15
	v_readfirstlane_b32 s4, v12
	v_readfirstlane_b32 s5, v13
	s_waitcnt lgkmcnt(0)
	s_nop 3
	global_store_dword v15, v16, s[4:5]
.LBB236_287:
	s_or_b64 exec, exec, s[2:3]
	v_or_b32_e32 v15, 0x500, v0
	v_cmp_gt_u32_e32 vcc, s16, v15
	s_and_saveexec_b64 s[2:3], vcc
	s_cbranch_execz .LBB236_296
; %bb.288:
	v_cmp_le_u32_e32 vcc, v6, v15
	s_and_saveexec_b64 s[4:5], vcc
	s_xor_b64 s[4:5], exec, s[4:5]
	s_cbranch_execz .LBB236_294
; %bb.289:
	v_cmp_le_u32_e32 vcc, v14, v15
	s_and_saveexec_b64 s[6:7], vcc
	s_xor_b64 s[6:7], exec, s[6:7]
	s_cbranch_execz .LBB236_291
; %bb.290:
	v_add_co_u32_e32 v16, vcc, v1, v15
	v_lshlrev_b32_e32 v15, 2, v0
	ds_read_b32 v15, v15 offset:5120
	v_addc_co_u32_e32 v17, vcc, 0, v8, vcc
	v_lshlrev_b64 v[16:17], 2, v[16:17]
	v_mov_b32_e32 v18, s9
	v_sub_co_u32_e32 v16, vcc, s8, v16
	v_subb_co_u32_e32 v17, vcc, v18, v17, vcc
	s_waitcnt lgkmcnt(0)
	global_store_dword v[16:17], v15, off
                                        ; implicit-def: $vgpr15
.LBB236_291:
	s_andn2_saveexec_b64 s[6:7], s[6:7]
	s_cbranch_execz .LBB236_293
; %bb.292:
	v_lshlrev_b32_e32 v16, 2, v0
	ds_read_b32 v16, v16 offset:5120
	v_lshlrev_b32_e32 v15, 2, v15
	v_readfirstlane_b32 s10, v10
	v_readfirstlane_b32 s11, v11
	s_waitcnt lgkmcnt(0)
	s_nop 3
	global_store_dword v15, v16, s[10:11]
.LBB236_293:
	s_or_b64 exec, exec, s[6:7]
                                        ; implicit-def: $vgpr15
.LBB236_294:
	s_andn2_saveexec_b64 s[4:5], s[4:5]
	s_cbranch_execz .LBB236_296
; %bb.295:
	v_lshlrev_b32_e32 v16, 2, v0
	ds_read_b32 v16, v16 offset:5120
	v_lshlrev_b32_e32 v15, 2, v15
	v_readfirstlane_b32 s4, v12
	v_readfirstlane_b32 s5, v13
	s_waitcnt lgkmcnt(0)
	s_nop 3
	global_store_dword v15, v16, s[4:5]
.LBB236_296:
	s_or_b64 exec, exec, s[2:3]
	v_or_b32_e32 v15, 0x600, v0
	v_cmp_gt_u32_e32 vcc, s16, v15
	s_and_saveexec_b64 s[2:3], vcc
	s_cbranch_execz .LBB236_305
; %bb.297:
	v_cmp_le_u32_e32 vcc, v6, v15
	s_and_saveexec_b64 s[4:5], vcc
	s_xor_b64 s[4:5], exec, s[4:5]
	s_cbranch_execz .LBB236_303
; %bb.298:
	v_cmp_le_u32_e32 vcc, v14, v15
	s_and_saveexec_b64 s[6:7], vcc
	s_xor_b64 s[6:7], exec, s[6:7]
	s_cbranch_execz .LBB236_300
; %bb.299:
	v_add_co_u32_e32 v16, vcc, v1, v15
	v_lshlrev_b32_e32 v15, 2, v0
	ds_read_b32 v15, v15 offset:6144
	v_addc_co_u32_e32 v17, vcc, 0, v8, vcc
	v_lshlrev_b64 v[16:17], 2, v[16:17]
	v_mov_b32_e32 v18, s9
	v_sub_co_u32_e32 v16, vcc, s8, v16
	v_subb_co_u32_e32 v17, vcc, v18, v17, vcc
	s_waitcnt lgkmcnt(0)
	global_store_dword v[16:17], v15, off
                                        ; implicit-def: $vgpr15
.LBB236_300:
	s_andn2_saveexec_b64 s[6:7], s[6:7]
	s_cbranch_execz .LBB236_302
; %bb.301:
	v_lshlrev_b32_e32 v16, 2, v0
	ds_read_b32 v16, v16 offset:6144
	v_lshlrev_b32_e32 v15, 2, v15
	v_readfirstlane_b32 s10, v10
	v_readfirstlane_b32 s11, v11
	s_waitcnt lgkmcnt(0)
	s_nop 3
	global_store_dword v15, v16, s[10:11]
.LBB236_302:
	s_or_b64 exec, exec, s[6:7]
                                        ; implicit-def: $vgpr15
.LBB236_303:
	s_andn2_saveexec_b64 s[4:5], s[4:5]
	s_cbranch_execz .LBB236_305
; %bb.304:
	v_lshlrev_b32_e32 v16, 2, v0
	ds_read_b32 v16, v16 offset:6144
	v_lshlrev_b32_e32 v15, 2, v15
	v_readfirstlane_b32 s4, v12
	v_readfirstlane_b32 s5, v13
	s_waitcnt lgkmcnt(0)
	s_nop 3
	global_store_dword v15, v16, s[4:5]
.LBB236_305:
	;; [unrolled: 55-line block ×7, first 2 shown]
	s_or_b64 exec, exec, s[2:3]
	v_or_b32_e32 v15, 0xc00, v0
	v_cmp_gt_u32_e32 vcc, s16, v15
	s_and_saveexec_b64 s[2:3], vcc
	s_cbranch_execz .LBB236_359
; %bb.351:
	v_cmp_le_u32_e32 vcc, v6, v15
	s_and_saveexec_b64 s[4:5], vcc
	s_xor_b64 s[4:5], exec, s[4:5]
	s_cbranch_execz .LBB236_357
; %bb.352:
	v_cmp_le_u32_e32 vcc, v14, v15
	s_and_saveexec_b64 s[6:7], vcc
	s_xor_b64 s[6:7], exec, s[6:7]
	s_cbranch_execz .LBB236_354
; %bb.353:
	v_add_co_u32_e32 v10, vcc, v1, v15
	v_lshlrev_b32_e32 v0, 2, v0
	v_addc_co_u32_e32 v11, vcc, 0, v8, vcc
	ds_read_b32 v8, v0 offset:12288
	v_lshlrev_b64 v[0:1], 2, v[10:11]
	v_mov_b32_e32 v10, s9
	v_sub_co_u32_e32 v0, vcc, s8, v0
	v_subb_co_u32_e32 v1, vcc, v10, v1, vcc
	s_waitcnt lgkmcnt(0)
	global_store_dword v[0:1], v8, off
                                        ; implicit-def: $vgpr0
                                        ; implicit-def: $vgpr15
                                        ; implicit-def: $vgpr10_vgpr11
.LBB236_354:
	s_andn2_saveexec_b64 s[6:7], s[6:7]
	s_cbranch_execz .LBB236_356
; %bb.355:
	v_lshlrev_b32_e32 v0, 2, v0
	ds_read_b32 v0, v0 offset:12288
	v_lshlrev_b32_e32 v1, 2, v15
	v_readfirstlane_b32 s8, v10
	v_readfirstlane_b32 s9, v11
	s_waitcnt lgkmcnt(0)
	s_nop 3
	global_store_dword v1, v0, s[8:9]
.LBB236_356:
	s_or_b64 exec, exec, s[6:7]
                                        ; implicit-def: $vgpr0
                                        ; implicit-def: $vgpr15
                                        ; implicit-def: $vgpr12_vgpr13
.LBB236_357:
	s_andn2_saveexec_b64 s[4:5], s[4:5]
	s_cbranch_execz .LBB236_359
; %bb.358:
	v_lshlrev_b32_e32 v0, 2, v0
	ds_read_b32 v0, v0 offset:12288
	v_lshlrev_b32_e32 v1, 2, v15
	v_readfirstlane_b32 s4, v12
	v_readfirstlane_b32 s5, v13
	s_waitcnt lgkmcnt(0)
	s_nop 3
	global_store_dword v1, v0, s[4:5]
.LBB236_359:
	s_or_b64 exec, exec, s[2:3]
	s_and_b64 s[0:1], s[0:1], s[30:31]
	s_and_saveexec_b64 s[2:3], s[0:1]
	s_cbranch_execz .LBB236_136
.LBB236_360:
	v_add_co_u32_e32 v0, vcc, v2, v6
	v_addc_co_u32_e32 v1, vcc, 0, v3, vcc
	v_add_co_u32_e32 v2, vcc, v4, v7
	v_addc_co_u32_e32 v3, vcc, 0, v5, vcc
	v_add_co_u32_e32 v2, vcc, v2, v9
	v_mov_b32_e32 v8, 0
	v_addc_co_u32_e32 v3, vcc, 0, v3, vcc
	global_store_dwordx4 v8, v[0:3], s[28:29]
	s_endpgm
	.section	.rodata,"a",@progbits
	.p2align	6, 0x0
	.amdhsa_kernel _ZN7rocprim17ROCPRIM_400000_NS6detail17trampoline_kernelINS0_13select_configILj256ELj13ELNS0_17block_load_methodE3ELS4_3ELS4_3ELNS0_20block_scan_algorithmE0ELj4294967295EEENS1_25partition_config_selectorILNS1_17partition_subalgoE4EjNS0_10empty_typeEbEEZZNS1_14partition_implILS8_4ELb0ES6_15HIP_vector_typeIjLj2EENS0_17counting_iteratorIjlEEPS9_SG_NS0_5tupleIJPjSI_NS0_16reverse_iteratorISI_EEEEENSH_IJSG_SG_SG_EEES9_SI_JZNS1_25segmented_radix_sort_implINS0_14default_configELb1EPKaPaPKlPlN2at6native12_GLOBAL__N_18offset_tEEE10hipError_tPvRmT1_PNSt15iterator_traitsIS12_E10value_typeET2_T3_PNS13_IS18_E10value_typeET4_jRbjT5_S1E_jjP12ihipStream_tbEUljE_ZNSN_ISO_Lb1ESQ_SR_ST_SU_SY_EESZ_S10_S11_S12_S16_S17_S18_S1B_S1C_jS1D_jS1E_S1E_jjS1G_bEUljE0_EEESZ_S10_S11_S18_S1C_S1E_T6_T7_T9_mT8_S1G_bDpT10_ENKUlT_T0_E_clISt17integral_constantIbLb1EES1U_EEDaS1P_S1Q_EUlS1P_E_NS1_11comp_targetILNS1_3genE4ELNS1_11target_archE910ELNS1_3gpuE8ELNS1_3repE0EEENS1_30default_config_static_selectorELNS0_4arch9wavefront6targetE1EEEvS12_
		.amdhsa_group_segment_fixed_size 13340
		.amdhsa_private_segment_fixed_size 0
		.amdhsa_kernarg_size 184
		.amdhsa_user_sgpr_count 6
		.amdhsa_user_sgpr_private_segment_buffer 1
		.amdhsa_user_sgpr_dispatch_ptr 0
		.amdhsa_user_sgpr_queue_ptr 0
		.amdhsa_user_sgpr_kernarg_segment_ptr 1
		.amdhsa_user_sgpr_dispatch_id 0
		.amdhsa_user_sgpr_flat_scratch_init 0
		.amdhsa_user_sgpr_kernarg_preload_length 0
		.amdhsa_user_sgpr_kernarg_preload_offset 0
		.amdhsa_user_sgpr_private_segment_size 0
		.amdhsa_uses_dynamic_stack 0
		.amdhsa_system_sgpr_private_segment_wavefront_offset 0
		.amdhsa_system_sgpr_workgroup_id_x 1
		.amdhsa_system_sgpr_workgroup_id_y 0
		.amdhsa_system_sgpr_workgroup_id_z 0
		.amdhsa_system_sgpr_workgroup_info 0
		.amdhsa_system_vgpr_workitem_id 0
		.amdhsa_next_free_vgpr 107
		.amdhsa_next_free_sgpr 87
		.amdhsa_accum_offset 108
		.amdhsa_reserve_vcc 1
		.amdhsa_reserve_flat_scratch 0
		.amdhsa_float_round_mode_32 0
		.amdhsa_float_round_mode_16_64 0
		.amdhsa_float_denorm_mode_32 3
		.amdhsa_float_denorm_mode_16_64 3
		.amdhsa_dx10_clamp 1
		.amdhsa_ieee_mode 1
		.amdhsa_fp16_overflow 0
		.amdhsa_tg_split 0
		.amdhsa_exception_fp_ieee_invalid_op 0
		.amdhsa_exception_fp_denorm_src 0
		.amdhsa_exception_fp_ieee_div_zero 0
		.amdhsa_exception_fp_ieee_overflow 0
		.amdhsa_exception_fp_ieee_underflow 0
		.amdhsa_exception_fp_ieee_inexact 0
		.amdhsa_exception_int_div_zero 0
	.end_amdhsa_kernel
	.section	.text._ZN7rocprim17ROCPRIM_400000_NS6detail17trampoline_kernelINS0_13select_configILj256ELj13ELNS0_17block_load_methodE3ELS4_3ELS4_3ELNS0_20block_scan_algorithmE0ELj4294967295EEENS1_25partition_config_selectorILNS1_17partition_subalgoE4EjNS0_10empty_typeEbEEZZNS1_14partition_implILS8_4ELb0ES6_15HIP_vector_typeIjLj2EENS0_17counting_iteratorIjlEEPS9_SG_NS0_5tupleIJPjSI_NS0_16reverse_iteratorISI_EEEEENSH_IJSG_SG_SG_EEES9_SI_JZNS1_25segmented_radix_sort_implINS0_14default_configELb1EPKaPaPKlPlN2at6native12_GLOBAL__N_18offset_tEEE10hipError_tPvRmT1_PNSt15iterator_traitsIS12_E10value_typeET2_T3_PNS13_IS18_E10value_typeET4_jRbjT5_S1E_jjP12ihipStream_tbEUljE_ZNSN_ISO_Lb1ESQ_SR_ST_SU_SY_EESZ_S10_S11_S12_S16_S17_S18_S1B_S1C_jS1D_jS1E_S1E_jjS1G_bEUljE0_EEESZ_S10_S11_S18_S1C_S1E_T6_T7_T9_mT8_S1G_bDpT10_ENKUlT_T0_E_clISt17integral_constantIbLb1EES1U_EEDaS1P_S1Q_EUlS1P_E_NS1_11comp_targetILNS1_3genE4ELNS1_11target_archE910ELNS1_3gpuE8ELNS1_3repE0EEENS1_30default_config_static_selectorELNS0_4arch9wavefront6targetE1EEEvS12_,"axG",@progbits,_ZN7rocprim17ROCPRIM_400000_NS6detail17trampoline_kernelINS0_13select_configILj256ELj13ELNS0_17block_load_methodE3ELS4_3ELS4_3ELNS0_20block_scan_algorithmE0ELj4294967295EEENS1_25partition_config_selectorILNS1_17partition_subalgoE4EjNS0_10empty_typeEbEEZZNS1_14partition_implILS8_4ELb0ES6_15HIP_vector_typeIjLj2EENS0_17counting_iteratorIjlEEPS9_SG_NS0_5tupleIJPjSI_NS0_16reverse_iteratorISI_EEEEENSH_IJSG_SG_SG_EEES9_SI_JZNS1_25segmented_radix_sort_implINS0_14default_configELb1EPKaPaPKlPlN2at6native12_GLOBAL__N_18offset_tEEE10hipError_tPvRmT1_PNSt15iterator_traitsIS12_E10value_typeET2_T3_PNS13_IS18_E10value_typeET4_jRbjT5_S1E_jjP12ihipStream_tbEUljE_ZNSN_ISO_Lb1ESQ_SR_ST_SU_SY_EESZ_S10_S11_S12_S16_S17_S18_S1B_S1C_jS1D_jS1E_S1E_jjS1G_bEUljE0_EEESZ_S10_S11_S18_S1C_S1E_T6_T7_T9_mT8_S1G_bDpT10_ENKUlT_T0_E_clISt17integral_constantIbLb1EES1U_EEDaS1P_S1Q_EUlS1P_E_NS1_11comp_targetILNS1_3genE4ELNS1_11target_archE910ELNS1_3gpuE8ELNS1_3repE0EEENS1_30default_config_static_selectorELNS0_4arch9wavefront6targetE1EEEvS12_,comdat
.Lfunc_end236:
	.size	_ZN7rocprim17ROCPRIM_400000_NS6detail17trampoline_kernelINS0_13select_configILj256ELj13ELNS0_17block_load_methodE3ELS4_3ELS4_3ELNS0_20block_scan_algorithmE0ELj4294967295EEENS1_25partition_config_selectorILNS1_17partition_subalgoE4EjNS0_10empty_typeEbEEZZNS1_14partition_implILS8_4ELb0ES6_15HIP_vector_typeIjLj2EENS0_17counting_iteratorIjlEEPS9_SG_NS0_5tupleIJPjSI_NS0_16reverse_iteratorISI_EEEEENSH_IJSG_SG_SG_EEES9_SI_JZNS1_25segmented_radix_sort_implINS0_14default_configELb1EPKaPaPKlPlN2at6native12_GLOBAL__N_18offset_tEEE10hipError_tPvRmT1_PNSt15iterator_traitsIS12_E10value_typeET2_T3_PNS13_IS18_E10value_typeET4_jRbjT5_S1E_jjP12ihipStream_tbEUljE_ZNSN_ISO_Lb1ESQ_SR_ST_SU_SY_EESZ_S10_S11_S12_S16_S17_S18_S1B_S1C_jS1D_jS1E_S1E_jjS1G_bEUljE0_EEESZ_S10_S11_S18_S1C_S1E_T6_T7_T9_mT8_S1G_bDpT10_ENKUlT_T0_E_clISt17integral_constantIbLb1EES1U_EEDaS1P_S1Q_EUlS1P_E_NS1_11comp_targetILNS1_3genE4ELNS1_11target_archE910ELNS1_3gpuE8ELNS1_3repE0EEENS1_30default_config_static_selectorELNS0_4arch9wavefront6targetE1EEEvS12_, .Lfunc_end236-_ZN7rocprim17ROCPRIM_400000_NS6detail17trampoline_kernelINS0_13select_configILj256ELj13ELNS0_17block_load_methodE3ELS4_3ELS4_3ELNS0_20block_scan_algorithmE0ELj4294967295EEENS1_25partition_config_selectorILNS1_17partition_subalgoE4EjNS0_10empty_typeEbEEZZNS1_14partition_implILS8_4ELb0ES6_15HIP_vector_typeIjLj2EENS0_17counting_iteratorIjlEEPS9_SG_NS0_5tupleIJPjSI_NS0_16reverse_iteratorISI_EEEEENSH_IJSG_SG_SG_EEES9_SI_JZNS1_25segmented_radix_sort_implINS0_14default_configELb1EPKaPaPKlPlN2at6native12_GLOBAL__N_18offset_tEEE10hipError_tPvRmT1_PNSt15iterator_traitsIS12_E10value_typeET2_T3_PNS13_IS18_E10value_typeET4_jRbjT5_S1E_jjP12ihipStream_tbEUljE_ZNSN_ISO_Lb1ESQ_SR_ST_SU_SY_EESZ_S10_S11_S12_S16_S17_S18_S1B_S1C_jS1D_jS1E_S1E_jjS1G_bEUljE0_EEESZ_S10_S11_S18_S1C_S1E_T6_T7_T9_mT8_S1G_bDpT10_ENKUlT_T0_E_clISt17integral_constantIbLb1EES1U_EEDaS1P_S1Q_EUlS1P_E_NS1_11comp_targetILNS1_3genE4ELNS1_11target_archE910ELNS1_3gpuE8ELNS1_3repE0EEENS1_30default_config_static_selectorELNS0_4arch9wavefront6targetE1EEEvS12_
                                        ; -- End function
	.section	.AMDGPU.csdata,"",@progbits
; Kernel info:
; codeLenInByte = 13512
; NumSgprs: 91
; NumVgprs: 107
; NumAgprs: 0
; TotalNumVgprs: 107
; ScratchSize: 0
; MemoryBound: 0
; FloatMode: 240
; IeeeMode: 1
; LDSByteSize: 13340 bytes/workgroup (compile time only)
; SGPRBlocks: 11
; VGPRBlocks: 13
; NumSGPRsForWavesPerEU: 91
; NumVGPRsForWavesPerEU: 107
; AccumOffset: 108
; Occupancy: 4
; WaveLimiterHint : 1
; COMPUTE_PGM_RSRC2:SCRATCH_EN: 0
; COMPUTE_PGM_RSRC2:USER_SGPR: 6
; COMPUTE_PGM_RSRC2:TRAP_HANDLER: 0
; COMPUTE_PGM_RSRC2:TGID_X_EN: 1
; COMPUTE_PGM_RSRC2:TGID_Y_EN: 0
; COMPUTE_PGM_RSRC2:TGID_Z_EN: 0
; COMPUTE_PGM_RSRC2:TIDIG_COMP_CNT: 0
; COMPUTE_PGM_RSRC3_GFX90A:ACCUM_OFFSET: 26
; COMPUTE_PGM_RSRC3_GFX90A:TG_SPLIT: 0
	.section	.text._ZN7rocprim17ROCPRIM_400000_NS6detail17trampoline_kernelINS0_13select_configILj256ELj13ELNS0_17block_load_methodE3ELS4_3ELS4_3ELNS0_20block_scan_algorithmE0ELj4294967295EEENS1_25partition_config_selectorILNS1_17partition_subalgoE4EjNS0_10empty_typeEbEEZZNS1_14partition_implILS8_4ELb0ES6_15HIP_vector_typeIjLj2EENS0_17counting_iteratorIjlEEPS9_SG_NS0_5tupleIJPjSI_NS0_16reverse_iteratorISI_EEEEENSH_IJSG_SG_SG_EEES9_SI_JZNS1_25segmented_radix_sort_implINS0_14default_configELb1EPKaPaPKlPlN2at6native12_GLOBAL__N_18offset_tEEE10hipError_tPvRmT1_PNSt15iterator_traitsIS12_E10value_typeET2_T3_PNS13_IS18_E10value_typeET4_jRbjT5_S1E_jjP12ihipStream_tbEUljE_ZNSN_ISO_Lb1ESQ_SR_ST_SU_SY_EESZ_S10_S11_S12_S16_S17_S18_S1B_S1C_jS1D_jS1E_S1E_jjS1G_bEUljE0_EEESZ_S10_S11_S18_S1C_S1E_T6_T7_T9_mT8_S1G_bDpT10_ENKUlT_T0_E_clISt17integral_constantIbLb1EES1U_EEDaS1P_S1Q_EUlS1P_E_NS1_11comp_targetILNS1_3genE3ELNS1_11target_archE908ELNS1_3gpuE7ELNS1_3repE0EEENS1_30default_config_static_selectorELNS0_4arch9wavefront6targetE1EEEvS12_,"axG",@progbits,_ZN7rocprim17ROCPRIM_400000_NS6detail17trampoline_kernelINS0_13select_configILj256ELj13ELNS0_17block_load_methodE3ELS4_3ELS4_3ELNS0_20block_scan_algorithmE0ELj4294967295EEENS1_25partition_config_selectorILNS1_17partition_subalgoE4EjNS0_10empty_typeEbEEZZNS1_14partition_implILS8_4ELb0ES6_15HIP_vector_typeIjLj2EENS0_17counting_iteratorIjlEEPS9_SG_NS0_5tupleIJPjSI_NS0_16reverse_iteratorISI_EEEEENSH_IJSG_SG_SG_EEES9_SI_JZNS1_25segmented_radix_sort_implINS0_14default_configELb1EPKaPaPKlPlN2at6native12_GLOBAL__N_18offset_tEEE10hipError_tPvRmT1_PNSt15iterator_traitsIS12_E10value_typeET2_T3_PNS13_IS18_E10value_typeET4_jRbjT5_S1E_jjP12ihipStream_tbEUljE_ZNSN_ISO_Lb1ESQ_SR_ST_SU_SY_EESZ_S10_S11_S12_S16_S17_S18_S1B_S1C_jS1D_jS1E_S1E_jjS1G_bEUljE0_EEESZ_S10_S11_S18_S1C_S1E_T6_T7_T9_mT8_S1G_bDpT10_ENKUlT_T0_E_clISt17integral_constantIbLb1EES1U_EEDaS1P_S1Q_EUlS1P_E_NS1_11comp_targetILNS1_3genE3ELNS1_11target_archE908ELNS1_3gpuE7ELNS1_3repE0EEENS1_30default_config_static_selectorELNS0_4arch9wavefront6targetE1EEEvS12_,comdat
	.globl	_ZN7rocprim17ROCPRIM_400000_NS6detail17trampoline_kernelINS0_13select_configILj256ELj13ELNS0_17block_load_methodE3ELS4_3ELS4_3ELNS0_20block_scan_algorithmE0ELj4294967295EEENS1_25partition_config_selectorILNS1_17partition_subalgoE4EjNS0_10empty_typeEbEEZZNS1_14partition_implILS8_4ELb0ES6_15HIP_vector_typeIjLj2EENS0_17counting_iteratorIjlEEPS9_SG_NS0_5tupleIJPjSI_NS0_16reverse_iteratorISI_EEEEENSH_IJSG_SG_SG_EEES9_SI_JZNS1_25segmented_radix_sort_implINS0_14default_configELb1EPKaPaPKlPlN2at6native12_GLOBAL__N_18offset_tEEE10hipError_tPvRmT1_PNSt15iterator_traitsIS12_E10value_typeET2_T3_PNS13_IS18_E10value_typeET4_jRbjT5_S1E_jjP12ihipStream_tbEUljE_ZNSN_ISO_Lb1ESQ_SR_ST_SU_SY_EESZ_S10_S11_S12_S16_S17_S18_S1B_S1C_jS1D_jS1E_S1E_jjS1G_bEUljE0_EEESZ_S10_S11_S18_S1C_S1E_T6_T7_T9_mT8_S1G_bDpT10_ENKUlT_T0_E_clISt17integral_constantIbLb1EES1U_EEDaS1P_S1Q_EUlS1P_E_NS1_11comp_targetILNS1_3genE3ELNS1_11target_archE908ELNS1_3gpuE7ELNS1_3repE0EEENS1_30default_config_static_selectorELNS0_4arch9wavefront6targetE1EEEvS12_ ; -- Begin function _ZN7rocprim17ROCPRIM_400000_NS6detail17trampoline_kernelINS0_13select_configILj256ELj13ELNS0_17block_load_methodE3ELS4_3ELS4_3ELNS0_20block_scan_algorithmE0ELj4294967295EEENS1_25partition_config_selectorILNS1_17partition_subalgoE4EjNS0_10empty_typeEbEEZZNS1_14partition_implILS8_4ELb0ES6_15HIP_vector_typeIjLj2EENS0_17counting_iteratorIjlEEPS9_SG_NS0_5tupleIJPjSI_NS0_16reverse_iteratorISI_EEEEENSH_IJSG_SG_SG_EEES9_SI_JZNS1_25segmented_radix_sort_implINS0_14default_configELb1EPKaPaPKlPlN2at6native12_GLOBAL__N_18offset_tEEE10hipError_tPvRmT1_PNSt15iterator_traitsIS12_E10value_typeET2_T3_PNS13_IS18_E10value_typeET4_jRbjT5_S1E_jjP12ihipStream_tbEUljE_ZNSN_ISO_Lb1ESQ_SR_ST_SU_SY_EESZ_S10_S11_S12_S16_S17_S18_S1B_S1C_jS1D_jS1E_S1E_jjS1G_bEUljE0_EEESZ_S10_S11_S18_S1C_S1E_T6_T7_T9_mT8_S1G_bDpT10_ENKUlT_T0_E_clISt17integral_constantIbLb1EES1U_EEDaS1P_S1Q_EUlS1P_E_NS1_11comp_targetILNS1_3genE3ELNS1_11target_archE908ELNS1_3gpuE7ELNS1_3repE0EEENS1_30default_config_static_selectorELNS0_4arch9wavefront6targetE1EEEvS12_
	.p2align	8
	.type	_ZN7rocprim17ROCPRIM_400000_NS6detail17trampoline_kernelINS0_13select_configILj256ELj13ELNS0_17block_load_methodE3ELS4_3ELS4_3ELNS0_20block_scan_algorithmE0ELj4294967295EEENS1_25partition_config_selectorILNS1_17partition_subalgoE4EjNS0_10empty_typeEbEEZZNS1_14partition_implILS8_4ELb0ES6_15HIP_vector_typeIjLj2EENS0_17counting_iteratorIjlEEPS9_SG_NS0_5tupleIJPjSI_NS0_16reverse_iteratorISI_EEEEENSH_IJSG_SG_SG_EEES9_SI_JZNS1_25segmented_radix_sort_implINS0_14default_configELb1EPKaPaPKlPlN2at6native12_GLOBAL__N_18offset_tEEE10hipError_tPvRmT1_PNSt15iterator_traitsIS12_E10value_typeET2_T3_PNS13_IS18_E10value_typeET4_jRbjT5_S1E_jjP12ihipStream_tbEUljE_ZNSN_ISO_Lb1ESQ_SR_ST_SU_SY_EESZ_S10_S11_S12_S16_S17_S18_S1B_S1C_jS1D_jS1E_S1E_jjS1G_bEUljE0_EEESZ_S10_S11_S18_S1C_S1E_T6_T7_T9_mT8_S1G_bDpT10_ENKUlT_T0_E_clISt17integral_constantIbLb1EES1U_EEDaS1P_S1Q_EUlS1P_E_NS1_11comp_targetILNS1_3genE3ELNS1_11target_archE908ELNS1_3gpuE7ELNS1_3repE0EEENS1_30default_config_static_selectorELNS0_4arch9wavefront6targetE1EEEvS12_,@function
_ZN7rocprim17ROCPRIM_400000_NS6detail17trampoline_kernelINS0_13select_configILj256ELj13ELNS0_17block_load_methodE3ELS4_3ELS4_3ELNS0_20block_scan_algorithmE0ELj4294967295EEENS1_25partition_config_selectorILNS1_17partition_subalgoE4EjNS0_10empty_typeEbEEZZNS1_14partition_implILS8_4ELb0ES6_15HIP_vector_typeIjLj2EENS0_17counting_iteratorIjlEEPS9_SG_NS0_5tupleIJPjSI_NS0_16reverse_iteratorISI_EEEEENSH_IJSG_SG_SG_EEES9_SI_JZNS1_25segmented_radix_sort_implINS0_14default_configELb1EPKaPaPKlPlN2at6native12_GLOBAL__N_18offset_tEEE10hipError_tPvRmT1_PNSt15iterator_traitsIS12_E10value_typeET2_T3_PNS13_IS18_E10value_typeET4_jRbjT5_S1E_jjP12ihipStream_tbEUljE_ZNSN_ISO_Lb1ESQ_SR_ST_SU_SY_EESZ_S10_S11_S12_S16_S17_S18_S1B_S1C_jS1D_jS1E_S1E_jjS1G_bEUljE0_EEESZ_S10_S11_S18_S1C_S1E_T6_T7_T9_mT8_S1G_bDpT10_ENKUlT_T0_E_clISt17integral_constantIbLb1EES1U_EEDaS1P_S1Q_EUlS1P_E_NS1_11comp_targetILNS1_3genE3ELNS1_11target_archE908ELNS1_3gpuE7ELNS1_3repE0EEENS1_30default_config_static_selectorELNS0_4arch9wavefront6targetE1EEEvS12_: ; @_ZN7rocprim17ROCPRIM_400000_NS6detail17trampoline_kernelINS0_13select_configILj256ELj13ELNS0_17block_load_methodE3ELS4_3ELS4_3ELNS0_20block_scan_algorithmE0ELj4294967295EEENS1_25partition_config_selectorILNS1_17partition_subalgoE4EjNS0_10empty_typeEbEEZZNS1_14partition_implILS8_4ELb0ES6_15HIP_vector_typeIjLj2EENS0_17counting_iteratorIjlEEPS9_SG_NS0_5tupleIJPjSI_NS0_16reverse_iteratorISI_EEEEENSH_IJSG_SG_SG_EEES9_SI_JZNS1_25segmented_radix_sort_implINS0_14default_configELb1EPKaPaPKlPlN2at6native12_GLOBAL__N_18offset_tEEE10hipError_tPvRmT1_PNSt15iterator_traitsIS12_E10value_typeET2_T3_PNS13_IS18_E10value_typeET4_jRbjT5_S1E_jjP12ihipStream_tbEUljE_ZNSN_ISO_Lb1ESQ_SR_ST_SU_SY_EESZ_S10_S11_S12_S16_S17_S18_S1B_S1C_jS1D_jS1E_S1E_jjS1G_bEUljE0_EEESZ_S10_S11_S18_S1C_S1E_T6_T7_T9_mT8_S1G_bDpT10_ENKUlT_T0_E_clISt17integral_constantIbLb1EES1U_EEDaS1P_S1Q_EUlS1P_E_NS1_11comp_targetILNS1_3genE3ELNS1_11target_archE908ELNS1_3gpuE7ELNS1_3repE0EEENS1_30default_config_static_selectorELNS0_4arch9wavefront6targetE1EEEvS12_
; %bb.0:
	.section	.rodata,"a",@progbits
	.p2align	6, 0x0
	.amdhsa_kernel _ZN7rocprim17ROCPRIM_400000_NS6detail17trampoline_kernelINS0_13select_configILj256ELj13ELNS0_17block_load_methodE3ELS4_3ELS4_3ELNS0_20block_scan_algorithmE0ELj4294967295EEENS1_25partition_config_selectorILNS1_17partition_subalgoE4EjNS0_10empty_typeEbEEZZNS1_14partition_implILS8_4ELb0ES6_15HIP_vector_typeIjLj2EENS0_17counting_iteratorIjlEEPS9_SG_NS0_5tupleIJPjSI_NS0_16reverse_iteratorISI_EEEEENSH_IJSG_SG_SG_EEES9_SI_JZNS1_25segmented_radix_sort_implINS0_14default_configELb1EPKaPaPKlPlN2at6native12_GLOBAL__N_18offset_tEEE10hipError_tPvRmT1_PNSt15iterator_traitsIS12_E10value_typeET2_T3_PNS13_IS18_E10value_typeET4_jRbjT5_S1E_jjP12ihipStream_tbEUljE_ZNSN_ISO_Lb1ESQ_SR_ST_SU_SY_EESZ_S10_S11_S12_S16_S17_S18_S1B_S1C_jS1D_jS1E_S1E_jjS1G_bEUljE0_EEESZ_S10_S11_S18_S1C_S1E_T6_T7_T9_mT8_S1G_bDpT10_ENKUlT_T0_E_clISt17integral_constantIbLb1EES1U_EEDaS1P_S1Q_EUlS1P_E_NS1_11comp_targetILNS1_3genE3ELNS1_11target_archE908ELNS1_3gpuE7ELNS1_3repE0EEENS1_30default_config_static_selectorELNS0_4arch9wavefront6targetE1EEEvS12_
		.amdhsa_group_segment_fixed_size 0
		.amdhsa_private_segment_fixed_size 0
		.amdhsa_kernarg_size 184
		.amdhsa_user_sgpr_count 6
		.amdhsa_user_sgpr_private_segment_buffer 1
		.amdhsa_user_sgpr_dispatch_ptr 0
		.amdhsa_user_sgpr_queue_ptr 0
		.amdhsa_user_sgpr_kernarg_segment_ptr 1
		.amdhsa_user_sgpr_dispatch_id 0
		.amdhsa_user_sgpr_flat_scratch_init 0
		.amdhsa_user_sgpr_kernarg_preload_length 0
		.amdhsa_user_sgpr_kernarg_preload_offset 0
		.amdhsa_user_sgpr_private_segment_size 0
		.amdhsa_uses_dynamic_stack 0
		.amdhsa_system_sgpr_private_segment_wavefront_offset 0
		.amdhsa_system_sgpr_workgroup_id_x 1
		.amdhsa_system_sgpr_workgroup_id_y 0
		.amdhsa_system_sgpr_workgroup_id_z 0
		.amdhsa_system_sgpr_workgroup_info 0
		.amdhsa_system_vgpr_workitem_id 0
		.amdhsa_next_free_vgpr 1
		.amdhsa_next_free_sgpr 0
		.amdhsa_accum_offset 4
		.amdhsa_reserve_vcc 0
		.amdhsa_reserve_flat_scratch 0
		.amdhsa_float_round_mode_32 0
		.amdhsa_float_round_mode_16_64 0
		.amdhsa_float_denorm_mode_32 3
		.amdhsa_float_denorm_mode_16_64 3
		.amdhsa_dx10_clamp 1
		.amdhsa_ieee_mode 1
		.amdhsa_fp16_overflow 0
		.amdhsa_tg_split 0
		.amdhsa_exception_fp_ieee_invalid_op 0
		.amdhsa_exception_fp_denorm_src 0
		.amdhsa_exception_fp_ieee_div_zero 0
		.amdhsa_exception_fp_ieee_overflow 0
		.amdhsa_exception_fp_ieee_underflow 0
		.amdhsa_exception_fp_ieee_inexact 0
		.amdhsa_exception_int_div_zero 0
	.end_amdhsa_kernel
	.section	.text._ZN7rocprim17ROCPRIM_400000_NS6detail17trampoline_kernelINS0_13select_configILj256ELj13ELNS0_17block_load_methodE3ELS4_3ELS4_3ELNS0_20block_scan_algorithmE0ELj4294967295EEENS1_25partition_config_selectorILNS1_17partition_subalgoE4EjNS0_10empty_typeEbEEZZNS1_14partition_implILS8_4ELb0ES6_15HIP_vector_typeIjLj2EENS0_17counting_iteratorIjlEEPS9_SG_NS0_5tupleIJPjSI_NS0_16reverse_iteratorISI_EEEEENSH_IJSG_SG_SG_EEES9_SI_JZNS1_25segmented_radix_sort_implINS0_14default_configELb1EPKaPaPKlPlN2at6native12_GLOBAL__N_18offset_tEEE10hipError_tPvRmT1_PNSt15iterator_traitsIS12_E10value_typeET2_T3_PNS13_IS18_E10value_typeET4_jRbjT5_S1E_jjP12ihipStream_tbEUljE_ZNSN_ISO_Lb1ESQ_SR_ST_SU_SY_EESZ_S10_S11_S12_S16_S17_S18_S1B_S1C_jS1D_jS1E_S1E_jjS1G_bEUljE0_EEESZ_S10_S11_S18_S1C_S1E_T6_T7_T9_mT8_S1G_bDpT10_ENKUlT_T0_E_clISt17integral_constantIbLb1EES1U_EEDaS1P_S1Q_EUlS1P_E_NS1_11comp_targetILNS1_3genE3ELNS1_11target_archE908ELNS1_3gpuE7ELNS1_3repE0EEENS1_30default_config_static_selectorELNS0_4arch9wavefront6targetE1EEEvS12_,"axG",@progbits,_ZN7rocprim17ROCPRIM_400000_NS6detail17trampoline_kernelINS0_13select_configILj256ELj13ELNS0_17block_load_methodE3ELS4_3ELS4_3ELNS0_20block_scan_algorithmE0ELj4294967295EEENS1_25partition_config_selectorILNS1_17partition_subalgoE4EjNS0_10empty_typeEbEEZZNS1_14partition_implILS8_4ELb0ES6_15HIP_vector_typeIjLj2EENS0_17counting_iteratorIjlEEPS9_SG_NS0_5tupleIJPjSI_NS0_16reverse_iteratorISI_EEEEENSH_IJSG_SG_SG_EEES9_SI_JZNS1_25segmented_radix_sort_implINS0_14default_configELb1EPKaPaPKlPlN2at6native12_GLOBAL__N_18offset_tEEE10hipError_tPvRmT1_PNSt15iterator_traitsIS12_E10value_typeET2_T3_PNS13_IS18_E10value_typeET4_jRbjT5_S1E_jjP12ihipStream_tbEUljE_ZNSN_ISO_Lb1ESQ_SR_ST_SU_SY_EESZ_S10_S11_S12_S16_S17_S18_S1B_S1C_jS1D_jS1E_S1E_jjS1G_bEUljE0_EEESZ_S10_S11_S18_S1C_S1E_T6_T7_T9_mT8_S1G_bDpT10_ENKUlT_T0_E_clISt17integral_constantIbLb1EES1U_EEDaS1P_S1Q_EUlS1P_E_NS1_11comp_targetILNS1_3genE3ELNS1_11target_archE908ELNS1_3gpuE7ELNS1_3repE0EEENS1_30default_config_static_selectorELNS0_4arch9wavefront6targetE1EEEvS12_,comdat
.Lfunc_end237:
	.size	_ZN7rocprim17ROCPRIM_400000_NS6detail17trampoline_kernelINS0_13select_configILj256ELj13ELNS0_17block_load_methodE3ELS4_3ELS4_3ELNS0_20block_scan_algorithmE0ELj4294967295EEENS1_25partition_config_selectorILNS1_17partition_subalgoE4EjNS0_10empty_typeEbEEZZNS1_14partition_implILS8_4ELb0ES6_15HIP_vector_typeIjLj2EENS0_17counting_iteratorIjlEEPS9_SG_NS0_5tupleIJPjSI_NS0_16reverse_iteratorISI_EEEEENSH_IJSG_SG_SG_EEES9_SI_JZNS1_25segmented_radix_sort_implINS0_14default_configELb1EPKaPaPKlPlN2at6native12_GLOBAL__N_18offset_tEEE10hipError_tPvRmT1_PNSt15iterator_traitsIS12_E10value_typeET2_T3_PNS13_IS18_E10value_typeET4_jRbjT5_S1E_jjP12ihipStream_tbEUljE_ZNSN_ISO_Lb1ESQ_SR_ST_SU_SY_EESZ_S10_S11_S12_S16_S17_S18_S1B_S1C_jS1D_jS1E_S1E_jjS1G_bEUljE0_EEESZ_S10_S11_S18_S1C_S1E_T6_T7_T9_mT8_S1G_bDpT10_ENKUlT_T0_E_clISt17integral_constantIbLb1EES1U_EEDaS1P_S1Q_EUlS1P_E_NS1_11comp_targetILNS1_3genE3ELNS1_11target_archE908ELNS1_3gpuE7ELNS1_3repE0EEENS1_30default_config_static_selectorELNS0_4arch9wavefront6targetE1EEEvS12_, .Lfunc_end237-_ZN7rocprim17ROCPRIM_400000_NS6detail17trampoline_kernelINS0_13select_configILj256ELj13ELNS0_17block_load_methodE3ELS4_3ELS4_3ELNS0_20block_scan_algorithmE0ELj4294967295EEENS1_25partition_config_selectorILNS1_17partition_subalgoE4EjNS0_10empty_typeEbEEZZNS1_14partition_implILS8_4ELb0ES6_15HIP_vector_typeIjLj2EENS0_17counting_iteratorIjlEEPS9_SG_NS0_5tupleIJPjSI_NS0_16reverse_iteratorISI_EEEEENSH_IJSG_SG_SG_EEES9_SI_JZNS1_25segmented_radix_sort_implINS0_14default_configELb1EPKaPaPKlPlN2at6native12_GLOBAL__N_18offset_tEEE10hipError_tPvRmT1_PNSt15iterator_traitsIS12_E10value_typeET2_T3_PNS13_IS18_E10value_typeET4_jRbjT5_S1E_jjP12ihipStream_tbEUljE_ZNSN_ISO_Lb1ESQ_SR_ST_SU_SY_EESZ_S10_S11_S12_S16_S17_S18_S1B_S1C_jS1D_jS1E_S1E_jjS1G_bEUljE0_EEESZ_S10_S11_S18_S1C_S1E_T6_T7_T9_mT8_S1G_bDpT10_ENKUlT_T0_E_clISt17integral_constantIbLb1EES1U_EEDaS1P_S1Q_EUlS1P_E_NS1_11comp_targetILNS1_3genE3ELNS1_11target_archE908ELNS1_3gpuE7ELNS1_3repE0EEENS1_30default_config_static_selectorELNS0_4arch9wavefront6targetE1EEEvS12_
                                        ; -- End function
	.section	.AMDGPU.csdata,"",@progbits
; Kernel info:
; codeLenInByte = 0
; NumSgprs: 4
; NumVgprs: 0
; NumAgprs: 0
; TotalNumVgprs: 0
; ScratchSize: 0
; MemoryBound: 0
; FloatMode: 240
; IeeeMode: 1
; LDSByteSize: 0 bytes/workgroup (compile time only)
; SGPRBlocks: 0
; VGPRBlocks: 0
; NumSGPRsForWavesPerEU: 4
; NumVGPRsForWavesPerEU: 1
; AccumOffset: 4
; Occupancy: 8
; WaveLimiterHint : 0
; COMPUTE_PGM_RSRC2:SCRATCH_EN: 0
; COMPUTE_PGM_RSRC2:USER_SGPR: 6
; COMPUTE_PGM_RSRC2:TRAP_HANDLER: 0
; COMPUTE_PGM_RSRC2:TGID_X_EN: 1
; COMPUTE_PGM_RSRC2:TGID_Y_EN: 0
; COMPUTE_PGM_RSRC2:TGID_Z_EN: 0
; COMPUTE_PGM_RSRC2:TIDIG_COMP_CNT: 0
; COMPUTE_PGM_RSRC3_GFX90A:ACCUM_OFFSET: 0
; COMPUTE_PGM_RSRC3_GFX90A:TG_SPLIT: 0
	.section	.text._ZN7rocprim17ROCPRIM_400000_NS6detail17trampoline_kernelINS0_13select_configILj256ELj13ELNS0_17block_load_methodE3ELS4_3ELS4_3ELNS0_20block_scan_algorithmE0ELj4294967295EEENS1_25partition_config_selectorILNS1_17partition_subalgoE4EjNS0_10empty_typeEbEEZZNS1_14partition_implILS8_4ELb0ES6_15HIP_vector_typeIjLj2EENS0_17counting_iteratorIjlEEPS9_SG_NS0_5tupleIJPjSI_NS0_16reverse_iteratorISI_EEEEENSH_IJSG_SG_SG_EEES9_SI_JZNS1_25segmented_radix_sort_implINS0_14default_configELb1EPKaPaPKlPlN2at6native12_GLOBAL__N_18offset_tEEE10hipError_tPvRmT1_PNSt15iterator_traitsIS12_E10value_typeET2_T3_PNS13_IS18_E10value_typeET4_jRbjT5_S1E_jjP12ihipStream_tbEUljE_ZNSN_ISO_Lb1ESQ_SR_ST_SU_SY_EESZ_S10_S11_S12_S16_S17_S18_S1B_S1C_jS1D_jS1E_S1E_jjS1G_bEUljE0_EEESZ_S10_S11_S18_S1C_S1E_T6_T7_T9_mT8_S1G_bDpT10_ENKUlT_T0_E_clISt17integral_constantIbLb1EES1U_EEDaS1P_S1Q_EUlS1P_E_NS1_11comp_targetILNS1_3genE2ELNS1_11target_archE906ELNS1_3gpuE6ELNS1_3repE0EEENS1_30default_config_static_selectorELNS0_4arch9wavefront6targetE1EEEvS12_,"axG",@progbits,_ZN7rocprim17ROCPRIM_400000_NS6detail17trampoline_kernelINS0_13select_configILj256ELj13ELNS0_17block_load_methodE3ELS4_3ELS4_3ELNS0_20block_scan_algorithmE0ELj4294967295EEENS1_25partition_config_selectorILNS1_17partition_subalgoE4EjNS0_10empty_typeEbEEZZNS1_14partition_implILS8_4ELb0ES6_15HIP_vector_typeIjLj2EENS0_17counting_iteratorIjlEEPS9_SG_NS0_5tupleIJPjSI_NS0_16reverse_iteratorISI_EEEEENSH_IJSG_SG_SG_EEES9_SI_JZNS1_25segmented_radix_sort_implINS0_14default_configELb1EPKaPaPKlPlN2at6native12_GLOBAL__N_18offset_tEEE10hipError_tPvRmT1_PNSt15iterator_traitsIS12_E10value_typeET2_T3_PNS13_IS18_E10value_typeET4_jRbjT5_S1E_jjP12ihipStream_tbEUljE_ZNSN_ISO_Lb1ESQ_SR_ST_SU_SY_EESZ_S10_S11_S12_S16_S17_S18_S1B_S1C_jS1D_jS1E_S1E_jjS1G_bEUljE0_EEESZ_S10_S11_S18_S1C_S1E_T6_T7_T9_mT8_S1G_bDpT10_ENKUlT_T0_E_clISt17integral_constantIbLb1EES1U_EEDaS1P_S1Q_EUlS1P_E_NS1_11comp_targetILNS1_3genE2ELNS1_11target_archE906ELNS1_3gpuE6ELNS1_3repE0EEENS1_30default_config_static_selectorELNS0_4arch9wavefront6targetE1EEEvS12_,comdat
	.globl	_ZN7rocprim17ROCPRIM_400000_NS6detail17trampoline_kernelINS0_13select_configILj256ELj13ELNS0_17block_load_methodE3ELS4_3ELS4_3ELNS0_20block_scan_algorithmE0ELj4294967295EEENS1_25partition_config_selectorILNS1_17partition_subalgoE4EjNS0_10empty_typeEbEEZZNS1_14partition_implILS8_4ELb0ES6_15HIP_vector_typeIjLj2EENS0_17counting_iteratorIjlEEPS9_SG_NS0_5tupleIJPjSI_NS0_16reverse_iteratorISI_EEEEENSH_IJSG_SG_SG_EEES9_SI_JZNS1_25segmented_radix_sort_implINS0_14default_configELb1EPKaPaPKlPlN2at6native12_GLOBAL__N_18offset_tEEE10hipError_tPvRmT1_PNSt15iterator_traitsIS12_E10value_typeET2_T3_PNS13_IS18_E10value_typeET4_jRbjT5_S1E_jjP12ihipStream_tbEUljE_ZNSN_ISO_Lb1ESQ_SR_ST_SU_SY_EESZ_S10_S11_S12_S16_S17_S18_S1B_S1C_jS1D_jS1E_S1E_jjS1G_bEUljE0_EEESZ_S10_S11_S18_S1C_S1E_T6_T7_T9_mT8_S1G_bDpT10_ENKUlT_T0_E_clISt17integral_constantIbLb1EES1U_EEDaS1P_S1Q_EUlS1P_E_NS1_11comp_targetILNS1_3genE2ELNS1_11target_archE906ELNS1_3gpuE6ELNS1_3repE0EEENS1_30default_config_static_selectorELNS0_4arch9wavefront6targetE1EEEvS12_ ; -- Begin function _ZN7rocprim17ROCPRIM_400000_NS6detail17trampoline_kernelINS0_13select_configILj256ELj13ELNS0_17block_load_methodE3ELS4_3ELS4_3ELNS0_20block_scan_algorithmE0ELj4294967295EEENS1_25partition_config_selectorILNS1_17partition_subalgoE4EjNS0_10empty_typeEbEEZZNS1_14partition_implILS8_4ELb0ES6_15HIP_vector_typeIjLj2EENS0_17counting_iteratorIjlEEPS9_SG_NS0_5tupleIJPjSI_NS0_16reverse_iteratorISI_EEEEENSH_IJSG_SG_SG_EEES9_SI_JZNS1_25segmented_radix_sort_implINS0_14default_configELb1EPKaPaPKlPlN2at6native12_GLOBAL__N_18offset_tEEE10hipError_tPvRmT1_PNSt15iterator_traitsIS12_E10value_typeET2_T3_PNS13_IS18_E10value_typeET4_jRbjT5_S1E_jjP12ihipStream_tbEUljE_ZNSN_ISO_Lb1ESQ_SR_ST_SU_SY_EESZ_S10_S11_S12_S16_S17_S18_S1B_S1C_jS1D_jS1E_S1E_jjS1G_bEUljE0_EEESZ_S10_S11_S18_S1C_S1E_T6_T7_T9_mT8_S1G_bDpT10_ENKUlT_T0_E_clISt17integral_constantIbLb1EES1U_EEDaS1P_S1Q_EUlS1P_E_NS1_11comp_targetILNS1_3genE2ELNS1_11target_archE906ELNS1_3gpuE6ELNS1_3repE0EEENS1_30default_config_static_selectorELNS0_4arch9wavefront6targetE1EEEvS12_
	.p2align	8
	.type	_ZN7rocprim17ROCPRIM_400000_NS6detail17trampoline_kernelINS0_13select_configILj256ELj13ELNS0_17block_load_methodE3ELS4_3ELS4_3ELNS0_20block_scan_algorithmE0ELj4294967295EEENS1_25partition_config_selectorILNS1_17partition_subalgoE4EjNS0_10empty_typeEbEEZZNS1_14partition_implILS8_4ELb0ES6_15HIP_vector_typeIjLj2EENS0_17counting_iteratorIjlEEPS9_SG_NS0_5tupleIJPjSI_NS0_16reverse_iteratorISI_EEEEENSH_IJSG_SG_SG_EEES9_SI_JZNS1_25segmented_radix_sort_implINS0_14default_configELb1EPKaPaPKlPlN2at6native12_GLOBAL__N_18offset_tEEE10hipError_tPvRmT1_PNSt15iterator_traitsIS12_E10value_typeET2_T3_PNS13_IS18_E10value_typeET4_jRbjT5_S1E_jjP12ihipStream_tbEUljE_ZNSN_ISO_Lb1ESQ_SR_ST_SU_SY_EESZ_S10_S11_S12_S16_S17_S18_S1B_S1C_jS1D_jS1E_S1E_jjS1G_bEUljE0_EEESZ_S10_S11_S18_S1C_S1E_T6_T7_T9_mT8_S1G_bDpT10_ENKUlT_T0_E_clISt17integral_constantIbLb1EES1U_EEDaS1P_S1Q_EUlS1P_E_NS1_11comp_targetILNS1_3genE2ELNS1_11target_archE906ELNS1_3gpuE6ELNS1_3repE0EEENS1_30default_config_static_selectorELNS0_4arch9wavefront6targetE1EEEvS12_,@function
_ZN7rocprim17ROCPRIM_400000_NS6detail17trampoline_kernelINS0_13select_configILj256ELj13ELNS0_17block_load_methodE3ELS4_3ELS4_3ELNS0_20block_scan_algorithmE0ELj4294967295EEENS1_25partition_config_selectorILNS1_17partition_subalgoE4EjNS0_10empty_typeEbEEZZNS1_14partition_implILS8_4ELb0ES6_15HIP_vector_typeIjLj2EENS0_17counting_iteratorIjlEEPS9_SG_NS0_5tupleIJPjSI_NS0_16reverse_iteratorISI_EEEEENSH_IJSG_SG_SG_EEES9_SI_JZNS1_25segmented_radix_sort_implINS0_14default_configELb1EPKaPaPKlPlN2at6native12_GLOBAL__N_18offset_tEEE10hipError_tPvRmT1_PNSt15iterator_traitsIS12_E10value_typeET2_T3_PNS13_IS18_E10value_typeET4_jRbjT5_S1E_jjP12ihipStream_tbEUljE_ZNSN_ISO_Lb1ESQ_SR_ST_SU_SY_EESZ_S10_S11_S12_S16_S17_S18_S1B_S1C_jS1D_jS1E_S1E_jjS1G_bEUljE0_EEESZ_S10_S11_S18_S1C_S1E_T6_T7_T9_mT8_S1G_bDpT10_ENKUlT_T0_E_clISt17integral_constantIbLb1EES1U_EEDaS1P_S1Q_EUlS1P_E_NS1_11comp_targetILNS1_3genE2ELNS1_11target_archE906ELNS1_3gpuE6ELNS1_3repE0EEENS1_30default_config_static_selectorELNS0_4arch9wavefront6targetE1EEEvS12_: ; @_ZN7rocprim17ROCPRIM_400000_NS6detail17trampoline_kernelINS0_13select_configILj256ELj13ELNS0_17block_load_methodE3ELS4_3ELS4_3ELNS0_20block_scan_algorithmE0ELj4294967295EEENS1_25partition_config_selectorILNS1_17partition_subalgoE4EjNS0_10empty_typeEbEEZZNS1_14partition_implILS8_4ELb0ES6_15HIP_vector_typeIjLj2EENS0_17counting_iteratorIjlEEPS9_SG_NS0_5tupleIJPjSI_NS0_16reverse_iteratorISI_EEEEENSH_IJSG_SG_SG_EEES9_SI_JZNS1_25segmented_radix_sort_implINS0_14default_configELb1EPKaPaPKlPlN2at6native12_GLOBAL__N_18offset_tEEE10hipError_tPvRmT1_PNSt15iterator_traitsIS12_E10value_typeET2_T3_PNS13_IS18_E10value_typeET4_jRbjT5_S1E_jjP12ihipStream_tbEUljE_ZNSN_ISO_Lb1ESQ_SR_ST_SU_SY_EESZ_S10_S11_S12_S16_S17_S18_S1B_S1C_jS1D_jS1E_S1E_jjS1G_bEUljE0_EEESZ_S10_S11_S18_S1C_S1E_T6_T7_T9_mT8_S1G_bDpT10_ENKUlT_T0_E_clISt17integral_constantIbLb1EES1U_EEDaS1P_S1Q_EUlS1P_E_NS1_11comp_targetILNS1_3genE2ELNS1_11target_archE906ELNS1_3gpuE6ELNS1_3repE0EEENS1_30default_config_static_selectorELNS0_4arch9wavefront6targetE1EEEvS12_
; %bb.0:
	.section	.rodata,"a",@progbits
	.p2align	6, 0x0
	.amdhsa_kernel _ZN7rocprim17ROCPRIM_400000_NS6detail17trampoline_kernelINS0_13select_configILj256ELj13ELNS0_17block_load_methodE3ELS4_3ELS4_3ELNS0_20block_scan_algorithmE0ELj4294967295EEENS1_25partition_config_selectorILNS1_17partition_subalgoE4EjNS0_10empty_typeEbEEZZNS1_14partition_implILS8_4ELb0ES6_15HIP_vector_typeIjLj2EENS0_17counting_iteratorIjlEEPS9_SG_NS0_5tupleIJPjSI_NS0_16reverse_iteratorISI_EEEEENSH_IJSG_SG_SG_EEES9_SI_JZNS1_25segmented_radix_sort_implINS0_14default_configELb1EPKaPaPKlPlN2at6native12_GLOBAL__N_18offset_tEEE10hipError_tPvRmT1_PNSt15iterator_traitsIS12_E10value_typeET2_T3_PNS13_IS18_E10value_typeET4_jRbjT5_S1E_jjP12ihipStream_tbEUljE_ZNSN_ISO_Lb1ESQ_SR_ST_SU_SY_EESZ_S10_S11_S12_S16_S17_S18_S1B_S1C_jS1D_jS1E_S1E_jjS1G_bEUljE0_EEESZ_S10_S11_S18_S1C_S1E_T6_T7_T9_mT8_S1G_bDpT10_ENKUlT_T0_E_clISt17integral_constantIbLb1EES1U_EEDaS1P_S1Q_EUlS1P_E_NS1_11comp_targetILNS1_3genE2ELNS1_11target_archE906ELNS1_3gpuE6ELNS1_3repE0EEENS1_30default_config_static_selectorELNS0_4arch9wavefront6targetE1EEEvS12_
		.amdhsa_group_segment_fixed_size 0
		.amdhsa_private_segment_fixed_size 0
		.amdhsa_kernarg_size 184
		.amdhsa_user_sgpr_count 6
		.amdhsa_user_sgpr_private_segment_buffer 1
		.amdhsa_user_sgpr_dispatch_ptr 0
		.amdhsa_user_sgpr_queue_ptr 0
		.amdhsa_user_sgpr_kernarg_segment_ptr 1
		.amdhsa_user_sgpr_dispatch_id 0
		.amdhsa_user_sgpr_flat_scratch_init 0
		.amdhsa_user_sgpr_kernarg_preload_length 0
		.amdhsa_user_sgpr_kernarg_preload_offset 0
		.amdhsa_user_sgpr_private_segment_size 0
		.amdhsa_uses_dynamic_stack 0
		.amdhsa_system_sgpr_private_segment_wavefront_offset 0
		.amdhsa_system_sgpr_workgroup_id_x 1
		.amdhsa_system_sgpr_workgroup_id_y 0
		.amdhsa_system_sgpr_workgroup_id_z 0
		.amdhsa_system_sgpr_workgroup_info 0
		.amdhsa_system_vgpr_workitem_id 0
		.amdhsa_next_free_vgpr 1
		.amdhsa_next_free_sgpr 0
		.amdhsa_accum_offset 4
		.amdhsa_reserve_vcc 0
		.amdhsa_reserve_flat_scratch 0
		.amdhsa_float_round_mode_32 0
		.amdhsa_float_round_mode_16_64 0
		.amdhsa_float_denorm_mode_32 3
		.amdhsa_float_denorm_mode_16_64 3
		.amdhsa_dx10_clamp 1
		.amdhsa_ieee_mode 1
		.amdhsa_fp16_overflow 0
		.amdhsa_tg_split 0
		.amdhsa_exception_fp_ieee_invalid_op 0
		.amdhsa_exception_fp_denorm_src 0
		.amdhsa_exception_fp_ieee_div_zero 0
		.amdhsa_exception_fp_ieee_overflow 0
		.amdhsa_exception_fp_ieee_underflow 0
		.amdhsa_exception_fp_ieee_inexact 0
		.amdhsa_exception_int_div_zero 0
	.end_amdhsa_kernel
	.section	.text._ZN7rocprim17ROCPRIM_400000_NS6detail17trampoline_kernelINS0_13select_configILj256ELj13ELNS0_17block_load_methodE3ELS4_3ELS4_3ELNS0_20block_scan_algorithmE0ELj4294967295EEENS1_25partition_config_selectorILNS1_17partition_subalgoE4EjNS0_10empty_typeEbEEZZNS1_14partition_implILS8_4ELb0ES6_15HIP_vector_typeIjLj2EENS0_17counting_iteratorIjlEEPS9_SG_NS0_5tupleIJPjSI_NS0_16reverse_iteratorISI_EEEEENSH_IJSG_SG_SG_EEES9_SI_JZNS1_25segmented_radix_sort_implINS0_14default_configELb1EPKaPaPKlPlN2at6native12_GLOBAL__N_18offset_tEEE10hipError_tPvRmT1_PNSt15iterator_traitsIS12_E10value_typeET2_T3_PNS13_IS18_E10value_typeET4_jRbjT5_S1E_jjP12ihipStream_tbEUljE_ZNSN_ISO_Lb1ESQ_SR_ST_SU_SY_EESZ_S10_S11_S12_S16_S17_S18_S1B_S1C_jS1D_jS1E_S1E_jjS1G_bEUljE0_EEESZ_S10_S11_S18_S1C_S1E_T6_T7_T9_mT8_S1G_bDpT10_ENKUlT_T0_E_clISt17integral_constantIbLb1EES1U_EEDaS1P_S1Q_EUlS1P_E_NS1_11comp_targetILNS1_3genE2ELNS1_11target_archE906ELNS1_3gpuE6ELNS1_3repE0EEENS1_30default_config_static_selectorELNS0_4arch9wavefront6targetE1EEEvS12_,"axG",@progbits,_ZN7rocprim17ROCPRIM_400000_NS6detail17trampoline_kernelINS0_13select_configILj256ELj13ELNS0_17block_load_methodE3ELS4_3ELS4_3ELNS0_20block_scan_algorithmE0ELj4294967295EEENS1_25partition_config_selectorILNS1_17partition_subalgoE4EjNS0_10empty_typeEbEEZZNS1_14partition_implILS8_4ELb0ES6_15HIP_vector_typeIjLj2EENS0_17counting_iteratorIjlEEPS9_SG_NS0_5tupleIJPjSI_NS0_16reverse_iteratorISI_EEEEENSH_IJSG_SG_SG_EEES9_SI_JZNS1_25segmented_radix_sort_implINS0_14default_configELb1EPKaPaPKlPlN2at6native12_GLOBAL__N_18offset_tEEE10hipError_tPvRmT1_PNSt15iterator_traitsIS12_E10value_typeET2_T3_PNS13_IS18_E10value_typeET4_jRbjT5_S1E_jjP12ihipStream_tbEUljE_ZNSN_ISO_Lb1ESQ_SR_ST_SU_SY_EESZ_S10_S11_S12_S16_S17_S18_S1B_S1C_jS1D_jS1E_S1E_jjS1G_bEUljE0_EEESZ_S10_S11_S18_S1C_S1E_T6_T7_T9_mT8_S1G_bDpT10_ENKUlT_T0_E_clISt17integral_constantIbLb1EES1U_EEDaS1P_S1Q_EUlS1P_E_NS1_11comp_targetILNS1_3genE2ELNS1_11target_archE906ELNS1_3gpuE6ELNS1_3repE0EEENS1_30default_config_static_selectorELNS0_4arch9wavefront6targetE1EEEvS12_,comdat
.Lfunc_end238:
	.size	_ZN7rocprim17ROCPRIM_400000_NS6detail17trampoline_kernelINS0_13select_configILj256ELj13ELNS0_17block_load_methodE3ELS4_3ELS4_3ELNS0_20block_scan_algorithmE0ELj4294967295EEENS1_25partition_config_selectorILNS1_17partition_subalgoE4EjNS0_10empty_typeEbEEZZNS1_14partition_implILS8_4ELb0ES6_15HIP_vector_typeIjLj2EENS0_17counting_iteratorIjlEEPS9_SG_NS0_5tupleIJPjSI_NS0_16reverse_iteratorISI_EEEEENSH_IJSG_SG_SG_EEES9_SI_JZNS1_25segmented_radix_sort_implINS0_14default_configELb1EPKaPaPKlPlN2at6native12_GLOBAL__N_18offset_tEEE10hipError_tPvRmT1_PNSt15iterator_traitsIS12_E10value_typeET2_T3_PNS13_IS18_E10value_typeET4_jRbjT5_S1E_jjP12ihipStream_tbEUljE_ZNSN_ISO_Lb1ESQ_SR_ST_SU_SY_EESZ_S10_S11_S12_S16_S17_S18_S1B_S1C_jS1D_jS1E_S1E_jjS1G_bEUljE0_EEESZ_S10_S11_S18_S1C_S1E_T6_T7_T9_mT8_S1G_bDpT10_ENKUlT_T0_E_clISt17integral_constantIbLb1EES1U_EEDaS1P_S1Q_EUlS1P_E_NS1_11comp_targetILNS1_3genE2ELNS1_11target_archE906ELNS1_3gpuE6ELNS1_3repE0EEENS1_30default_config_static_selectorELNS0_4arch9wavefront6targetE1EEEvS12_, .Lfunc_end238-_ZN7rocprim17ROCPRIM_400000_NS6detail17trampoline_kernelINS0_13select_configILj256ELj13ELNS0_17block_load_methodE3ELS4_3ELS4_3ELNS0_20block_scan_algorithmE0ELj4294967295EEENS1_25partition_config_selectorILNS1_17partition_subalgoE4EjNS0_10empty_typeEbEEZZNS1_14partition_implILS8_4ELb0ES6_15HIP_vector_typeIjLj2EENS0_17counting_iteratorIjlEEPS9_SG_NS0_5tupleIJPjSI_NS0_16reverse_iteratorISI_EEEEENSH_IJSG_SG_SG_EEES9_SI_JZNS1_25segmented_radix_sort_implINS0_14default_configELb1EPKaPaPKlPlN2at6native12_GLOBAL__N_18offset_tEEE10hipError_tPvRmT1_PNSt15iterator_traitsIS12_E10value_typeET2_T3_PNS13_IS18_E10value_typeET4_jRbjT5_S1E_jjP12ihipStream_tbEUljE_ZNSN_ISO_Lb1ESQ_SR_ST_SU_SY_EESZ_S10_S11_S12_S16_S17_S18_S1B_S1C_jS1D_jS1E_S1E_jjS1G_bEUljE0_EEESZ_S10_S11_S18_S1C_S1E_T6_T7_T9_mT8_S1G_bDpT10_ENKUlT_T0_E_clISt17integral_constantIbLb1EES1U_EEDaS1P_S1Q_EUlS1P_E_NS1_11comp_targetILNS1_3genE2ELNS1_11target_archE906ELNS1_3gpuE6ELNS1_3repE0EEENS1_30default_config_static_selectorELNS0_4arch9wavefront6targetE1EEEvS12_
                                        ; -- End function
	.section	.AMDGPU.csdata,"",@progbits
; Kernel info:
; codeLenInByte = 0
; NumSgprs: 4
; NumVgprs: 0
; NumAgprs: 0
; TotalNumVgprs: 0
; ScratchSize: 0
; MemoryBound: 0
; FloatMode: 240
; IeeeMode: 1
; LDSByteSize: 0 bytes/workgroup (compile time only)
; SGPRBlocks: 0
; VGPRBlocks: 0
; NumSGPRsForWavesPerEU: 4
; NumVGPRsForWavesPerEU: 1
; AccumOffset: 4
; Occupancy: 8
; WaveLimiterHint : 0
; COMPUTE_PGM_RSRC2:SCRATCH_EN: 0
; COMPUTE_PGM_RSRC2:USER_SGPR: 6
; COMPUTE_PGM_RSRC2:TRAP_HANDLER: 0
; COMPUTE_PGM_RSRC2:TGID_X_EN: 1
; COMPUTE_PGM_RSRC2:TGID_Y_EN: 0
; COMPUTE_PGM_RSRC2:TGID_Z_EN: 0
; COMPUTE_PGM_RSRC2:TIDIG_COMP_CNT: 0
; COMPUTE_PGM_RSRC3_GFX90A:ACCUM_OFFSET: 0
; COMPUTE_PGM_RSRC3_GFX90A:TG_SPLIT: 0
	.section	.text._ZN7rocprim17ROCPRIM_400000_NS6detail17trampoline_kernelINS0_13select_configILj256ELj13ELNS0_17block_load_methodE3ELS4_3ELS4_3ELNS0_20block_scan_algorithmE0ELj4294967295EEENS1_25partition_config_selectorILNS1_17partition_subalgoE4EjNS0_10empty_typeEbEEZZNS1_14partition_implILS8_4ELb0ES6_15HIP_vector_typeIjLj2EENS0_17counting_iteratorIjlEEPS9_SG_NS0_5tupleIJPjSI_NS0_16reverse_iteratorISI_EEEEENSH_IJSG_SG_SG_EEES9_SI_JZNS1_25segmented_radix_sort_implINS0_14default_configELb1EPKaPaPKlPlN2at6native12_GLOBAL__N_18offset_tEEE10hipError_tPvRmT1_PNSt15iterator_traitsIS12_E10value_typeET2_T3_PNS13_IS18_E10value_typeET4_jRbjT5_S1E_jjP12ihipStream_tbEUljE_ZNSN_ISO_Lb1ESQ_SR_ST_SU_SY_EESZ_S10_S11_S12_S16_S17_S18_S1B_S1C_jS1D_jS1E_S1E_jjS1G_bEUljE0_EEESZ_S10_S11_S18_S1C_S1E_T6_T7_T9_mT8_S1G_bDpT10_ENKUlT_T0_E_clISt17integral_constantIbLb1EES1U_EEDaS1P_S1Q_EUlS1P_E_NS1_11comp_targetILNS1_3genE10ELNS1_11target_archE1200ELNS1_3gpuE4ELNS1_3repE0EEENS1_30default_config_static_selectorELNS0_4arch9wavefront6targetE1EEEvS12_,"axG",@progbits,_ZN7rocprim17ROCPRIM_400000_NS6detail17trampoline_kernelINS0_13select_configILj256ELj13ELNS0_17block_load_methodE3ELS4_3ELS4_3ELNS0_20block_scan_algorithmE0ELj4294967295EEENS1_25partition_config_selectorILNS1_17partition_subalgoE4EjNS0_10empty_typeEbEEZZNS1_14partition_implILS8_4ELb0ES6_15HIP_vector_typeIjLj2EENS0_17counting_iteratorIjlEEPS9_SG_NS0_5tupleIJPjSI_NS0_16reverse_iteratorISI_EEEEENSH_IJSG_SG_SG_EEES9_SI_JZNS1_25segmented_radix_sort_implINS0_14default_configELb1EPKaPaPKlPlN2at6native12_GLOBAL__N_18offset_tEEE10hipError_tPvRmT1_PNSt15iterator_traitsIS12_E10value_typeET2_T3_PNS13_IS18_E10value_typeET4_jRbjT5_S1E_jjP12ihipStream_tbEUljE_ZNSN_ISO_Lb1ESQ_SR_ST_SU_SY_EESZ_S10_S11_S12_S16_S17_S18_S1B_S1C_jS1D_jS1E_S1E_jjS1G_bEUljE0_EEESZ_S10_S11_S18_S1C_S1E_T6_T7_T9_mT8_S1G_bDpT10_ENKUlT_T0_E_clISt17integral_constantIbLb1EES1U_EEDaS1P_S1Q_EUlS1P_E_NS1_11comp_targetILNS1_3genE10ELNS1_11target_archE1200ELNS1_3gpuE4ELNS1_3repE0EEENS1_30default_config_static_selectorELNS0_4arch9wavefront6targetE1EEEvS12_,comdat
	.globl	_ZN7rocprim17ROCPRIM_400000_NS6detail17trampoline_kernelINS0_13select_configILj256ELj13ELNS0_17block_load_methodE3ELS4_3ELS4_3ELNS0_20block_scan_algorithmE0ELj4294967295EEENS1_25partition_config_selectorILNS1_17partition_subalgoE4EjNS0_10empty_typeEbEEZZNS1_14partition_implILS8_4ELb0ES6_15HIP_vector_typeIjLj2EENS0_17counting_iteratorIjlEEPS9_SG_NS0_5tupleIJPjSI_NS0_16reverse_iteratorISI_EEEEENSH_IJSG_SG_SG_EEES9_SI_JZNS1_25segmented_radix_sort_implINS0_14default_configELb1EPKaPaPKlPlN2at6native12_GLOBAL__N_18offset_tEEE10hipError_tPvRmT1_PNSt15iterator_traitsIS12_E10value_typeET2_T3_PNS13_IS18_E10value_typeET4_jRbjT5_S1E_jjP12ihipStream_tbEUljE_ZNSN_ISO_Lb1ESQ_SR_ST_SU_SY_EESZ_S10_S11_S12_S16_S17_S18_S1B_S1C_jS1D_jS1E_S1E_jjS1G_bEUljE0_EEESZ_S10_S11_S18_S1C_S1E_T6_T7_T9_mT8_S1G_bDpT10_ENKUlT_T0_E_clISt17integral_constantIbLb1EES1U_EEDaS1P_S1Q_EUlS1P_E_NS1_11comp_targetILNS1_3genE10ELNS1_11target_archE1200ELNS1_3gpuE4ELNS1_3repE0EEENS1_30default_config_static_selectorELNS0_4arch9wavefront6targetE1EEEvS12_ ; -- Begin function _ZN7rocprim17ROCPRIM_400000_NS6detail17trampoline_kernelINS0_13select_configILj256ELj13ELNS0_17block_load_methodE3ELS4_3ELS4_3ELNS0_20block_scan_algorithmE0ELj4294967295EEENS1_25partition_config_selectorILNS1_17partition_subalgoE4EjNS0_10empty_typeEbEEZZNS1_14partition_implILS8_4ELb0ES6_15HIP_vector_typeIjLj2EENS0_17counting_iteratorIjlEEPS9_SG_NS0_5tupleIJPjSI_NS0_16reverse_iteratorISI_EEEEENSH_IJSG_SG_SG_EEES9_SI_JZNS1_25segmented_radix_sort_implINS0_14default_configELb1EPKaPaPKlPlN2at6native12_GLOBAL__N_18offset_tEEE10hipError_tPvRmT1_PNSt15iterator_traitsIS12_E10value_typeET2_T3_PNS13_IS18_E10value_typeET4_jRbjT5_S1E_jjP12ihipStream_tbEUljE_ZNSN_ISO_Lb1ESQ_SR_ST_SU_SY_EESZ_S10_S11_S12_S16_S17_S18_S1B_S1C_jS1D_jS1E_S1E_jjS1G_bEUljE0_EEESZ_S10_S11_S18_S1C_S1E_T6_T7_T9_mT8_S1G_bDpT10_ENKUlT_T0_E_clISt17integral_constantIbLb1EES1U_EEDaS1P_S1Q_EUlS1P_E_NS1_11comp_targetILNS1_3genE10ELNS1_11target_archE1200ELNS1_3gpuE4ELNS1_3repE0EEENS1_30default_config_static_selectorELNS0_4arch9wavefront6targetE1EEEvS12_
	.p2align	8
	.type	_ZN7rocprim17ROCPRIM_400000_NS6detail17trampoline_kernelINS0_13select_configILj256ELj13ELNS0_17block_load_methodE3ELS4_3ELS4_3ELNS0_20block_scan_algorithmE0ELj4294967295EEENS1_25partition_config_selectorILNS1_17partition_subalgoE4EjNS0_10empty_typeEbEEZZNS1_14partition_implILS8_4ELb0ES6_15HIP_vector_typeIjLj2EENS0_17counting_iteratorIjlEEPS9_SG_NS0_5tupleIJPjSI_NS0_16reverse_iteratorISI_EEEEENSH_IJSG_SG_SG_EEES9_SI_JZNS1_25segmented_radix_sort_implINS0_14default_configELb1EPKaPaPKlPlN2at6native12_GLOBAL__N_18offset_tEEE10hipError_tPvRmT1_PNSt15iterator_traitsIS12_E10value_typeET2_T3_PNS13_IS18_E10value_typeET4_jRbjT5_S1E_jjP12ihipStream_tbEUljE_ZNSN_ISO_Lb1ESQ_SR_ST_SU_SY_EESZ_S10_S11_S12_S16_S17_S18_S1B_S1C_jS1D_jS1E_S1E_jjS1G_bEUljE0_EEESZ_S10_S11_S18_S1C_S1E_T6_T7_T9_mT8_S1G_bDpT10_ENKUlT_T0_E_clISt17integral_constantIbLb1EES1U_EEDaS1P_S1Q_EUlS1P_E_NS1_11comp_targetILNS1_3genE10ELNS1_11target_archE1200ELNS1_3gpuE4ELNS1_3repE0EEENS1_30default_config_static_selectorELNS0_4arch9wavefront6targetE1EEEvS12_,@function
_ZN7rocprim17ROCPRIM_400000_NS6detail17trampoline_kernelINS0_13select_configILj256ELj13ELNS0_17block_load_methodE3ELS4_3ELS4_3ELNS0_20block_scan_algorithmE0ELj4294967295EEENS1_25partition_config_selectorILNS1_17partition_subalgoE4EjNS0_10empty_typeEbEEZZNS1_14partition_implILS8_4ELb0ES6_15HIP_vector_typeIjLj2EENS0_17counting_iteratorIjlEEPS9_SG_NS0_5tupleIJPjSI_NS0_16reverse_iteratorISI_EEEEENSH_IJSG_SG_SG_EEES9_SI_JZNS1_25segmented_radix_sort_implINS0_14default_configELb1EPKaPaPKlPlN2at6native12_GLOBAL__N_18offset_tEEE10hipError_tPvRmT1_PNSt15iterator_traitsIS12_E10value_typeET2_T3_PNS13_IS18_E10value_typeET4_jRbjT5_S1E_jjP12ihipStream_tbEUljE_ZNSN_ISO_Lb1ESQ_SR_ST_SU_SY_EESZ_S10_S11_S12_S16_S17_S18_S1B_S1C_jS1D_jS1E_S1E_jjS1G_bEUljE0_EEESZ_S10_S11_S18_S1C_S1E_T6_T7_T9_mT8_S1G_bDpT10_ENKUlT_T0_E_clISt17integral_constantIbLb1EES1U_EEDaS1P_S1Q_EUlS1P_E_NS1_11comp_targetILNS1_3genE10ELNS1_11target_archE1200ELNS1_3gpuE4ELNS1_3repE0EEENS1_30default_config_static_selectorELNS0_4arch9wavefront6targetE1EEEvS12_: ; @_ZN7rocprim17ROCPRIM_400000_NS6detail17trampoline_kernelINS0_13select_configILj256ELj13ELNS0_17block_load_methodE3ELS4_3ELS4_3ELNS0_20block_scan_algorithmE0ELj4294967295EEENS1_25partition_config_selectorILNS1_17partition_subalgoE4EjNS0_10empty_typeEbEEZZNS1_14partition_implILS8_4ELb0ES6_15HIP_vector_typeIjLj2EENS0_17counting_iteratorIjlEEPS9_SG_NS0_5tupleIJPjSI_NS0_16reverse_iteratorISI_EEEEENSH_IJSG_SG_SG_EEES9_SI_JZNS1_25segmented_radix_sort_implINS0_14default_configELb1EPKaPaPKlPlN2at6native12_GLOBAL__N_18offset_tEEE10hipError_tPvRmT1_PNSt15iterator_traitsIS12_E10value_typeET2_T3_PNS13_IS18_E10value_typeET4_jRbjT5_S1E_jjP12ihipStream_tbEUljE_ZNSN_ISO_Lb1ESQ_SR_ST_SU_SY_EESZ_S10_S11_S12_S16_S17_S18_S1B_S1C_jS1D_jS1E_S1E_jjS1G_bEUljE0_EEESZ_S10_S11_S18_S1C_S1E_T6_T7_T9_mT8_S1G_bDpT10_ENKUlT_T0_E_clISt17integral_constantIbLb1EES1U_EEDaS1P_S1Q_EUlS1P_E_NS1_11comp_targetILNS1_3genE10ELNS1_11target_archE1200ELNS1_3gpuE4ELNS1_3repE0EEENS1_30default_config_static_selectorELNS0_4arch9wavefront6targetE1EEEvS12_
; %bb.0:
	.section	.rodata,"a",@progbits
	.p2align	6, 0x0
	.amdhsa_kernel _ZN7rocprim17ROCPRIM_400000_NS6detail17trampoline_kernelINS0_13select_configILj256ELj13ELNS0_17block_load_methodE3ELS4_3ELS4_3ELNS0_20block_scan_algorithmE0ELj4294967295EEENS1_25partition_config_selectorILNS1_17partition_subalgoE4EjNS0_10empty_typeEbEEZZNS1_14partition_implILS8_4ELb0ES6_15HIP_vector_typeIjLj2EENS0_17counting_iteratorIjlEEPS9_SG_NS0_5tupleIJPjSI_NS0_16reverse_iteratorISI_EEEEENSH_IJSG_SG_SG_EEES9_SI_JZNS1_25segmented_radix_sort_implINS0_14default_configELb1EPKaPaPKlPlN2at6native12_GLOBAL__N_18offset_tEEE10hipError_tPvRmT1_PNSt15iterator_traitsIS12_E10value_typeET2_T3_PNS13_IS18_E10value_typeET4_jRbjT5_S1E_jjP12ihipStream_tbEUljE_ZNSN_ISO_Lb1ESQ_SR_ST_SU_SY_EESZ_S10_S11_S12_S16_S17_S18_S1B_S1C_jS1D_jS1E_S1E_jjS1G_bEUljE0_EEESZ_S10_S11_S18_S1C_S1E_T6_T7_T9_mT8_S1G_bDpT10_ENKUlT_T0_E_clISt17integral_constantIbLb1EES1U_EEDaS1P_S1Q_EUlS1P_E_NS1_11comp_targetILNS1_3genE10ELNS1_11target_archE1200ELNS1_3gpuE4ELNS1_3repE0EEENS1_30default_config_static_selectorELNS0_4arch9wavefront6targetE1EEEvS12_
		.amdhsa_group_segment_fixed_size 0
		.amdhsa_private_segment_fixed_size 0
		.amdhsa_kernarg_size 184
		.amdhsa_user_sgpr_count 6
		.amdhsa_user_sgpr_private_segment_buffer 1
		.amdhsa_user_sgpr_dispatch_ptr 0
		.amdhsa_user_sgpr_queue_ptr 0
		.amdhsa_user_sgpr_kernarg_segment_ptr 1
		.amdhsa_user_sgpr_dispatch_id 0
		.amdhsa_user_sgpr_flat_scratch_init 0
		.amdhsa_user_sgpr_kernarg_preload_length 0
		.amdhsa_user_sgpr_kernarg_preload_offset 0
		.amdhsa_user_sgpr_private_segment_size 0
		.amdhsa_uses_dynamic_stack 0
		.amdhsa_system_sgpr_private_segment_wavefront_offset 0
		.amdhsa_system_sgpr_workgroup_id_x 1
		.amdhsa_system_sgpr_workgroup_id_y 0
		.amdhsa_system_sgpr_workgroup_id_z 0
		.amdhsa_system_sgpr_workgroup_info 0
		.amdhsa_system_vgpr_workitem_id 0
		.amdhsa_next_free_vgpr 1
		.amdhsa_next_free_sgpr 0
		.amdhsa_accum_offset 4
		.amdhsa_reserve_vcc 0
		.amdhsa_reserve_flat_scratch 0
		.amdhsa_float_round_mode_32 0
		.amdhsa_float_round_mode_16_64 0
		.amdhsa_float_denorm_mode_32 3
		.amdhsa_float_denorm_mode_16_64 3
		.amdhsa_dx10_clamp 1
		.amdhsa_ieee_mode 1
		.amdhsa_fp16_overflow 0
		.amdhsa_tg_split 0
		.amdhsa_exception_fp_ieee_invalid_op 0
		.amdhsa_exception_fp_denorm_src 0
		.amdhsa_exception_fp_ieee_div_zero 0
		.amdhsa_exception_fp_ieee_overflow 0
		.amdhsa_exception_fp_ieee_underflow 0
		.amdhsa_exception_fp_ieee_inexact 0
		.amdhsa_exception_int_div_zero 0
	.end_amdhsa_kernel
	.section	.text._ZN7rocprim17ROCPRIM_400000_NS6detail17trampoline_kernelINS0_13select_configILj256ELj13ELNS0_17block_load_methodE3ELS4_3ELS4_3ELNS0_20block_scan_algorithmE0ELj4294967295EEENS1_25partition_config_selectorILNS1_17partition_subalgoE4EjNS0_10empty_typeEbEEZZNS1_14partition_implILS8_4ELb0ES6_15HIP_vector_typeIjLj2EENS0_17counting_iteratorIjlEEPS9_SG_NS0_5tupleIJPjSI_NS0_16reverse_iteratorISI_EEEEENSH_IJSG_SG_SG_EEES9_SI_JZNS1_25segmented_radix_sort_implINS0_14default_configELb1EPKaPaPKlPlN2at6native12_GLOBAL__N_18offset_tEEE10hipError_tPvRmT1_PNSt15iterator_traitsIS12_E10value_typeET2_T3_PNS13_IS18_E10value_typeET4_jRbjT5_S1E_jjP12ihipStream_tbEUljE_ZNSN_ISO_Lb1ESQ_SR_ST_SU_SY_EESZ_S10_S11_S12_S16_S17_S18_S1B_S1C_jS1D_jS1E_S1E_jjS1G_bEUljE0_EEESZ_S10_S11_S18_S1C_S1E_T6_T7_T9_mT8_S1G_bDpT10_ENKUlT_T0_E_clISt17integral_constantIbLb1EES1U_EEDaS1P_S1Q_EUlS1P_E_NS1_11comp_targetILNS1_3genE10ELNS1_11target_archE1200ELNS1_3gpuE4ELNS1_3repE0EEENS1_30default_config_static_selectorELNS0_4arch9wavefront6targetE1EEEvS12_,"axG",@progbits,_ZN7rocprim17ROCPRIM_400000_NS6detail17trampoline_kernelINS0_13select_configILj256ELj13ELNS0_17block_load_methodE3ELS4_3ELS4_3ELNS0_20block_scan_algorithmE0ELj4294967295EEENS1_25partition_config_selectorILNS1_17partition_subalgoE4EjNS0_10empty_typeEbEEZZNS1_14partition_implILS8_4ELb0ES6_15HIP_vector_typeIjLj2EENS0_17counting_iteratorIjlEEPS9_SG_NS0_5tupleIJPjSI_NS0_16reverse_iteratorISI_EEEEENSH_IJSG_SG_SG_EEES9_SI_JZNS1_25segmented_radix_sort_implINS0_14default_configELb1EPKaPaPKlPlN2at6native12_GLOBAL__N_18offset_tEEE10hipError_tPvRmT1_PNSt15iterator_traitsIS12_E10value_typeET2_T3_PNS13_IS18_E10value_typeET4_jRbjT5_S1E_jjP12ihipStream_tbEUljE_ZNSN_ISO_Lb1ESQ_SR_ST_SU_SY_EESZ_S10_S11_S12_S16_S17_S18_S1B_S1C_jS1D_jS1E_S1E_jjS1G_bEUljE0_EEESZ_S10_S11_S18_S1C_S1E_T6_T7_T9_mT8_S1G_bDpT10_ENKUlT_T0_E_clISt17integral_constantIbLb1EES1U_EEDaS1P_S1Q_EUlS1P_E_NS1_11comp_targetILNS1_3genE10ELNS1_11target_archE1200ELNS1_3gpuE4ELNS1_3repE0EEENS1_30default_config_static_selectorELNS0_4arch9wavefront6targetE1EEEvS12_,comdat
.Lfunc_end239:
	.size	_ZN7rocprim17ROCPRIM_400000_NS6detail17trampoline_kernelINS0_13select_configILj256ELj13ELNS0_17block_load_methodE3ELS4_3ELS4_3ELNS0_20block_scan_algorithmE0ELj4294967295EEENS1_25partition_config_selectorILNS1_17partition_subalgoE4EjNS0_10empty_typeEbEEZZNS1_14partition_implILS8_4ELb0ES6_15HIP_vector_typeIjLj2EENS0_17counting_iteratorIjlEEPS9_SG_NS0_5tupleIJPjSI_NS0_16reverse_iteratorISI_EEEEENSH_IJSG_SG_SG_EEES9_SI_JZNS1_25segmented_radix_sort_implINS0_14default_configELb1EPKaPaPKlPlN2at6native12_GLOBAL__N_18offset_tEEE10hipError_tPvRmT1_PNSt15iterator_traitsIS12_E10value_typeET2_T3_PNS13_IS18_E10value_typeET4_jRbjT5_S1E_jjP12ihipStream_tbEUljE_ZNSN_ISO_Lb1ESQ_SR_ST_SU_SY_EESZ_S10_S11_S12_S16_S17_S18_S1B_S1C_jS1D_jS1E_S1E_jjS1G_bEUljE0_EEESZ_S10_S11_S18_S1C_S1E_T6_T7_T9_mT8_S1G_bDpT10_ENKUlT_T0_E_clISt17integral_constantIbLb1EES1U_EEDaS1P_S1Q_EUlS1P_E_NS1_11comp_targetILNS1_3genE10ELNS1_11target_archE1200ELNS1_3gpuE4ELNS1_3repE0EEENS1_30default_config_static_selectorELNS0_4arch9wavefront6targetE1EEEvS12_, .Lfunc_end239-_ZN7rocprim17ROCPRIM_400000_NS6detail17trampoline_kernelINS0_13select_configILj256ELj13ELNS0_17block_load_methodE3ELS4_3ELS4_3ELNS0_20block_scan_algorithmE0ELj4294967295EEENS1_25partition_config_selectorILNS1_17partition_subalgoE4EjNS0_10empty_typeEbEEZZNS1_14partition_implILS8_4ELb0ES6_15HIP_vector_typeIjLj2EENS0_17counting_iteratorIjlEEPS9_SG_NS0_5tupleIJPjSI_NS0_16reverse_iteratorISI_EEEEENSH_IJSG_SG_SG_EEES9_SI_JZNS1_25segmented_radix_sort_implINS0_14default_configELb1EPKaPaPKlPlN2at6native12_GLOBAL__N_18offset_tEEE10hipError_tPvRmT1_PNSt15iterator_traitsIS12_E10value_typeET2_T3_PNS13_IS18_E10value_typeET4_jRbjT5_S1E_jjP12ihipStream_tbEUljE_ZNSN_ISO_Lb1ESQ_SR_ST_SU_SY_EESZ_S10_S11_S12_S16_S17_S18_S1B_S1C_jS1D_jS1E_S1E_jjS1G_bEUljE0_EEESZ_S10_S11_S18_S1C_S1E_T6_T7_T9_mT8_S1G_bDpT10_ENKUlT_T0_E_clISt17integral_constantIbLb1EES1U_EEDaS1P_S1Q_EUlS1P_E_NS1_11comp_targetILNS1_3genE10ELNS1_11target_archE1200ELNS1_3gpuE4ELNS1_3repE0EEENS1_30default_config_static_selectorELNS0_4arch9wavefront6targetE1EEEvS12_
                                        ; -- End function
	.section	.AMDGPU.csdata,"",@progbits
; Kernel info:
; codeLenInByte = 0
; NumSgprs: 4
; NumVgprs: 0
; NumAgprs: 0
; TotalNumVgprs: 0
; ScratchSize: 0
; MemoryBound: 0
; FloatMode: 240
; IeeeMode: 1
; LDSByteSize: 0 bytes/workgroup (compile time only)
; SGPRBlocks: 0
; VGPRBlocks: 0
; NumSGPRsForWavesPerEU: 4
; NumVGPRsForWavesPerEU: 1
; AccumOffset: 4
; Occupancy: 8
; WaveLimiterHint : 0
; COMPUTE_PGM_RSRC2:SCRATCH_EN: 0
; COMPUTE_PGM_RSRC2:USER_SGPR: 6
; COMPUTE_PGM_RSRC2:TRAP_HANDLER: 0
; COMPUTE_PGM_RSRC2:TGID_X_EN: 1
; COMPUTE_PGM_RSRC2:TGID_Y_EN: 0
; COMPUTE_PGM_RSRC2:TGID_Z_EN: 0
; COMPUTE_PGM_RSRC2:TIDIG_COMP_CNT: 0
; COMPUTE_PGM_RSRC3_GFX90A:ACCUM_OFFSET: 0
; COMPUTE_PGM_RSRC3_GFX90A:TG_SPLIT: 0
	.section	.text._ZN7rocprim17ROCPRIM_400000_NS6detail17trampoline_kernelINS0_13select_configILj256ELj13ELNS0_17block_load_methodE3ELS4_3ELS4_3ELNS0_20block_scan_algorithmE0ELj4294967295EEENS1_25partition_config_selectorILNS1_17partition_subalgoE4EjNS0_10empty_typeEbEEZZNS1_14partition_implILS8_4ELb0ES6_15HIP_vector_typeIjLj2EENS0_17counting_iteratorIjlEEPS9_SG_NS0_5tupleIJPjSI_NS0_16reverse_iteratorISI_EEEEENSH_IJSG_SG_SG_EEES9_SI_JZNS1_25segmented_radix_sort_implINS0_14default_configELb1EPKaPaPKlPlN2at6native12_GLOBAL__N_18offset_tEEE10hipError_tPvRmT1_PNSt15iterator_traitsIS12_E10value_typeET2_T3_PNS13_IS18_E10value_typeET4_jRbjT5_S1E_jjP12ihipStream_tbEUljE_ZNSN_ISO_Lb1ESQ_SR_ST_SU_SY_EESZ_S10_S11_S12_S16_S17_S18_S1B_S1C_jS1D_jS1E_S1E_jjS1G_bEUljE0_EEESZ_S10_S11_S18_S1C_S1E_T6_T7_T9_mT8_S1G_bDpT10_ENKUlT_T0_E_clISt17integral_constantIbLb1EES1U_EEDaS1P_S1Q_EUlS1P_E_NS1_11comp_targetILNS1_3genE9ELNS1_11target_archE1100ELNS1_3gpuE3ELNS1_3repE0EEENS1_30default_config_static_selectorELNS0_4arch9wavefront6targetE1EEEvS12_,"axG",@progbits,_ZN7rocprim17ROCPRIM_400000_NS6detail17trampoline_kernelINS0_13select_configILj256ELj13ELNS0_17block_load_methodE3ELS4_3ELS4_3ELNS0_20block_scan_algorithmE0ELj4294967295EEENS1_25partition_config_selectorILNS1_17partition_subalgoE4EjNS0_10empty_typeEbEEZZNS1_14partition_implILS8_4ELb0ES6_15HIP_vector_typeIjLj2EENS0_17counting_iteratorIjlEEPS9_SG_NS0_5tupleIJPjSI_NS0_16reverse_iteratorISI_EEEEENSH_IJSG_SG_SG_EEES9_SI_JZNS1_25segmented_radix_sort_implINS0_14default_configELb1EPKaPaPKlPlN2at6native12_GLOBAL__N_18offset_tEEE10hipError_tPvRmT1_PNSt15iterator_traitsIS12_E10value_typeET2_T3_PNS13_IS18_E10value_typeET4_jRbjT5_S1E_jjP12ihipStream_tbEUljE_ZNSN_ISO_Lb1ESQ_SR_ST_SU_SY_EESZ_S10_S11_S12_S16_S17_S18_S1B_S1C_jS1D_jS1E_S1E_jjS1G_bEUljE0_EEESZ_S10_S11_S18_S1C_S1E_T6_T7_T9_mT8_S1G_bDpT10_ENKUlT_T0_E_clISt17integral_constantIbLb1EES1U_EEDaS1P_S1Q_EUlS1P_E_NS1_11comp_targetILNS1_3genE9ELNS1_11target_archE1100ELNS1_3gpuE3ELNS1_3repE0EEENS1_30default_config_static_selectorELNS0_4arch9wavefront6targetE1EEEvS12_,comdat
	.globl	_ZN7rocprim17ROCPRIM_400000_NS6detail17trampoline_kernelINS0_13select_configILj256ELj13ELNS0_17block_load_methodE3ELS4_3ELS4_3ELNS0_20block_scan_algorithmE0ELj4294967295EEENS1_25partition_config_selectorILNS1_17partition_subalgoE4EjNS0_10empty_typeEbEEZZNS1_14partition_implILS8_4ELb0ES6_15HIP_vector_typeIjLj2EENS0_17counting_iteratorIjlEEPS9_SG_NS0_5tupleIJPjSI_NS0_16reverse_iteratorISI_EEEEENSH_IJSG_SG_SG_EEES9_SI_JZNS1_25segmented_radix_sort_implINS0_14default_configELb1EPKaPaPKlPlN2at6native12_GLOBAL__N_18offset_tEEE10hipError_tPvRmT1_PNSt15iterator_traitsIS12_E10value_typeET2_T3_PNS13_IS18_E10value_typeET4_jRbjT5_S1E_jjP12ihipStream_tbEUljE_ZNSN_ISO_Lb1ESQ_SR_ST_SU_SY_EESZ_S10_S11_S12_S16_S17_S18_S1B_S1C_jS1D_jS1E_S1E_jjS1G_bEUljE0_EEESZ_S10_S11_S18_S1C_S1E_T6_T7_T9_mT8_S1G_bDpT10_ENKUlT_T0_E_clISt17integral_constantIbLb1EES1U_EEDaS1P_S1Q_EUlS1P_E_NS1_11comp_targetILNS1_3genE9ELNS1_11target_archE1100ELNS1_3gpuE3ELNS1_3repE0EEENS1_30default_config_static_selectorELNS0_4arch9wavefront6targetE1EEEvS12_ ; -- Begin function _ZN7rocprim17ROCPRIM_400000_NS6detail17trampoline_kernelINS0_13select_configILj256ELj13ELNS0_17block_load_methodE3ELS4_3ELS4_3ELNS0_20block_scan_algorithmE0ELj4294967295EEENS1_25partition_config_selectorILNS1_17partition_subalgoE4EjNS0_10empty_typeEbEEZZNS1_14partition_implILS8_4ELb0ES6_15HIP_vector_typeIjLj2EENS0_17counting_iteratorIjlEEPS9_SG_NS0_5tupleIJPjSI_NS0_16reverse_iteratorISI_EEEEENSH_IJSG_SG_SG_EEES9_SI_JZNS1_25segmented_radix_sort_implINS0_14default_configELb1EPKaPaPKlPlN2at6native12_GLOBAL__N_18offset_tEEE10hipError_tPvRmT1_PNSt15iterator_traitsIS12_E10value_typeET2_T3_PNS13_IS18_E10value_typeET4_jRbjT5_S1E_jjP12ihipStream_tbEUljE_ZNSN_ISO_Lb1ESQ_SR_ST_SU_SY_EESZ_S10_S11_S12_S16_S17_S18_S1B_S1C_jS1D_jS1E_S1E_jjS1G_bEUljE0_EEESZ_S10_S11_S18_S1C_S1E_T6_T7_T9_mT8_S1G_bDpT10_ENKUlT_T0_E_clISt17integral_constantIbLb1EES1U_EEDaS1P_S1Q_EUlS1P_E_NS1_11comp_targetILNS1_3genE9ELNS1_11target_archE1100ELNS1_3gpuE3ELNS1_3repE0EEENS1_30default_config_static_selectorELNS0_4arch9wavefront6targetE1EEEvS12_
	.p2align	8
	.type	_ZN7rocprim17ROCPRIM_400000_NS6detail17trampoline_kernelINS0_13select_configILj256ELj13ELNS0_17block_load_methodE3ELS4_3ELS4_3ELNS0_20block_scan_algorithmE0ELj4294967295EEENS1_25partition_config_selectorILNS1_17partition_subalgoE4EjNS0_10empty_typeEbEEZZNS1_14partition_implILS8_4ELb0ES6_15HIP_vector_typeIjLj2EENS0_17counting_iteratorIjlEEPS9_SG_NS0_5tupleIJPjSI_NS0_16reverse_iteratorISI_EEEEENSH_IJSG_SG_SG_EEES9_SI_JZNS1_25segmented_radix_sort_implINS0_14default_configELb1EPKaPaPKlPlN2at6native12_GLOBAL__N_18offset_tEEE10hipError_tPvRmT1_PNSt15iterator_traitsIS12_E10value_typeET2_T3_PNS13_IS18_E10value_typeET4_jRbjT5_S1E_jjP12ihipStream_tbEUljE_ZNSN_ISO_Lb1ESQ_SR_ST_SU_SY_EESZ_S10_S11_S12_S16_S17_S18_S1B_S1C_jS1D_jS1E_S1E_jjS1G_bEUljE0_EEESZ_S10_S11_S18_S1C_S1E_T6_T7_T9_mT8_S1G_bDpT10_ENKUlT_T0_E_clISt17integral_constantIbLb1EES1U_EEDaS1P_S1Q_EUlS1P_E_NS1_11comp_targetILNS1_3genE9ELNS1_11target_archE1100ELNS1_3gpuE3ELNS1_3repE0EEENS1_30default_config_static_selectorELNS0_4arch9wavefront6targetE1EEEvS12_,@function
_ZN7rocprim17ROCPRIM_400000_NS6detail17trampoline_kernelINS0_13select_configILj256ELj13ELNS0_17block_load_methodE3ELS4_3ELS4_3ELNS0_20block_scan_algorithmE0ELj4294967295EEENS1_25partition_config_selectorILNS1_17partition_subalgoE4EjNS0_10empty_typeEbEEZZNS1_14partition_implILS8_4ELb0ES6_15HIP_vector_typeIjLj2EENS0_17counting_iteratorIjlEEPS9_SG_NS0_5tupleIJPjSI_NS0_16reverse_iteratorISI_EEEEENSH_IJSG_SG_SG_EEES9_SI_JZNS1_25segmented_radix_sort_implINS0_14default_configELb1EPKaPaPKlPlN2at6native12_GLOBAL__N_18offset_tEEE10hipError_tPvRmT1_PNSt15iterator_traitsIS12_E10value_typeET2_T3_PNS13_IS18_E10value_typeET4_jRbjT5_S1E_jjP12ihipStream_tbEUljE_ZNSN_ISO_Lb1ESQ_SR_ST_SU_SY_EESZ_S10_S11_S12_S16_S17_S18_S1B_S1C_jS1D_jS1E_S1E_jjS1G_bEUljE0_EEESZ_S10_S11_S18_S1C_S1E_T6_T7_T9_mT8_S1G_bDpT10_ENKUlT_T0_E_clISt17integral_constantIbLb1EES1U_EEDaS1P_S1Q_EUlS1P_E_NS1_11comp_targetILNS1_3genE9ELNS1_11target_archE1100ELNS1_3gpuE3ELNS1_3repE0EEENS1_30default_config_static_selectorELNS0_4arch9wavefront6targetE1EEEvS12_: ; @_ZN7rocprim17ROCPRIM_400000_NS6detail17trampoline_kernelINS0_13select_configILj256ELj13ELNS0_17block_load_methodE3ELS4_3ELS4_3ELNS0_20block_scan_algorithmE0ELj4294967295EEENS1_25partition_config_selectorILNS1_17partition_subalgoE4EjNS0_10empty_typeEbEEZZNS1_14partition_implILS8_4ELb0ES6_15HIP_vector_typeIjLj2EENS0_17counting_iteratorIjlEEPS9_SG_NS0_5tupleIJPjSI_NS0_16reverse_iteratorISI_EEEEENSH_IJSG_SG_SG_EEES9_SI_JZNS1_25segmented_radix_sort_implINS0_14default_configELb1EPKaPaPKlPlN2at6native12_GLOBAL__N_18offset_tEEE10hipError_tPvRmT1_PNSt15iterator_traitsIS12_E10value_typeET2_T3_PNS13_IS18_E10value_typeET4_jRbjT5_S1E_jjP12ihipStream_tbEUljE_ZNSN_ISO_Lb1ESQ_SR_ST_SU_SY_EESZ_S10_S11_S12_S16_S17_S18_S1B_S1C_jS1D_jS1E_S1E_jjS1G_bEUljE0_EEESZ_S10_S11_S18_S1C_S1E_T6_T7_T9_mT8_S1G_bDpT10_ENKUlT_T0_E_clISt17integral_constantIbLb1EES1U_EEDaS1P_S1Q_EUlS1P_E_NS1_11comp_targetILNS1_3genE9ELNS1_11target_archE1100ELNS1_3gpuE3ELNS1_3repE0EEENS1_30default_config_static_selectorELNS0_4arch9wavefront6targetE1EEEvS12_
; %bb.0:
	.section	.rodata,"a",@progbits
	.p2align	6, 0x0
	.amdhsa_kernel _ZN7rocprim17ROCPRIM_400000_NS6detail17trampoline_kernelINS0_13select_configILj256ELj13ELNS0_17block_load_methodE3ELS4_3ELS4_3ELNS0_20block_scan_algorithmE0ELj4294967295EEENS1_25partition_config_selectorILNS1_17partition_subalgoE4EjNS0_10empty_typeEbEEZZNS1_14partition_implILS8_4ELb0ES6_15HIP_vector_typeIjLj2EENS0_17counting_iteratorIjlEEPS9_SG_NS0_5tupleIJPjSI_NS0_16reverse_iteratorISI_EEEEENSH_IJSG_SG_SG_EEES9_SI_JZNS1_25segmented_radix_sort_implINS0_14default_configELb1EPKaPaPKlPlN2at6native12_GLOBAL__N_18offset_tEEE10hipError_tPvRmT1_PNSt15iterator_traitsIS12_E10value_typeET2_T3_PNS13_IS18_E10value_typeET4_jRbjT5_S1E_jjP12ihipStream_tbEUljE_ZNSN_ISO_Lb1ESQ_SR_ST_SU_SY_EESZ_S10_S11_S12_S16_S17_S18_S1B_S1C_jS1D_jS1E_S1E_jjS1G_bEUljE0_EEESZ_S10_S11_S18_S1C_S1E_T6_T7_T9_mT8_S1G_bDpT10_ENKUlT_T0_E_clISt17integral_constantIbLb1EES1U_EEDaS1P_S1Q_EUlS1P_E_NS1_11comp_targetILNS1_3genE9ELNS1_11target_archE1100ELNS1_3gpuE3ELNS1_3repE0EEENS1_30default_config_static_selectorELNS0_4arch9wavefront6targetE1EEEvS12_
		.amdhsa_group_segment_fixed_size 0
		.amdhsa_private_segment_fixed_size 0
		.amdhsa_kernarg_size 184
		.amdhsa_user_sgpr_count 6
		.amdhsa_user_sgpr_private_segment_buffer 1
		.amdhsa_user_sgpr_dispatch_ptr 0
		.amdhsa_user_sgpr_queue_ptr 0
		.amdhsa_user_sgpr_kernarg_segment_ptr 1
		.amdhsa_user_sgpr_dispatch_id 0
		.amdhsa_user_sgpr_flat_scratch_init 0
		.amdhsa_user_sgpr_kernarg_preload_length 0
		.amdhsa_user_sgpr_kernarg_preload_offset 0
		.amdhsa_user_sgpr_private_segment_size 0
		.amdhsa_uses_dynamic_stack 0
		.amdhsa_system_sgpr_private_segment_wavefront_offset 0
		.amdhsa_system_sgpr_workgroup_id_x 1
		.amdhsa_system_sgpr_workgroup_id_y 0
		.amdhsa_system_sgpr_workgroup_id_z 0
		.amdhsa_system_sgpr_workgroup_info 0
		.amdhsa_system_vgpr_workitem_id 0
		.amdhsa_next_free_vgpr 1
		.amdhsa_next_free_sgpr 0
		.amdhsa_accum_offset 4
		.amdhsa_reserve_vcc 0
		.amdhsa_reserve_flat_scratch 0
		.amdhsa_float_round_mode_32 0
		.amdhsa_float_round_mode_16_64 0
		.amdhsa_float_denorm_mode_32 3
		.amdhsa_float_denorm_mode_16_64 3
		.amdhsa_dx10_clamp 1
		.amdhsa_ieee_mode 1
		.amdhsa_fp16_overflow 0
		.amdhsa_tg_split 0
		.amdhsa_exception_fp_ieee_invalid_op 0
		.amdhsa_exception_fp_denorm_src 0
		.amdhsa_exception_fp_ieee_div_zero 0
		.amdhsa_exception_fp_ieee_overflow 0
		.amdhsa_exception_fp_ieee_underflow 0
		.amdhsa_exception_fp_ieee_inexact 0
		.amdhsa_exception_int_div_zero 0
	.end_amdhsa_kernel
	.section	.text._ZN7rocprim17ROCPRIM_400000_NS6detail17trampoline_kernelINS0_13select_configILj256ELj13ELNS0_17block_load_methodE3ELS4_3ELS4_3ELNS0_20block_scan_algorithmE0ELj4294967295EEENS1_25partition_config_selectorILNS1_17partition_subalgoE4EjNS0_10empty_typeEbEEZZNS1_14partition_implILS8_4ELb0ES6_15HIP_vector_typeIjLj2EENS0_17counting_iteratorIjlEEPS9_SG_NS0_5tupleIJPjSI_NS0_16reverse_iteratorISI_EEEEENSH_IJSG_SG_SG_EEES9_SI_JZNS1_25segmented_radix_sort_implINS0_14default_configELb1EPKaPaPKlPlN2at6native12_GLOBAL__N_18offset_tEEE10hipError_tPvRmT1_PNSt15iterator_traitsIS12_E10value_typeET2_T3_PNS13_IS18_E10value_typeET4_jRbjT5_S1E_jjP12ihipStream_tbEUljE_ZNSN_ISO_Lb1ESQ_SR_ST_SU_SY_EESZ_S10_S11_S12_S16_S17_S18_S1B_S1C_jS1D_jS1E_S1E_jjS1G_bEUljE0_EEESZ_S10_S11_S18_S1C_S1E_T6_T7_T9_mT8_S1G_bDpT10_ENKUlT_T0_E_clISt17integral_constantIbLb1EES1U_EEDaS1P_S1Q_EUlS1P_E_NS1_11comp_targetILNS1_3genE9ELNS1_11target_archE1100ELNS1_3gpuE3ELNS1_3repE0EEENS1_30default_config_static_selectorELNS0_4arch9wavefront6targetE1EEEvS12_,"axG",@progbits,_ZN7rocprim17ROCPRIM_400000_NS6detail17trampoline_kernelINS0_13select_configILj256ELj13ELNS0_17block_load_methodE3ELS4_3ELS4_3ELNS0_20block_scan_algorithmE0ELj4294967295EEENS1_25partition_config_selectorILNS1_17partition_subalgoE4EjNS0_10empty_typeEbEEZZNS1_14partition_implILS8_4ELb0ES6_15HIP_vector_typeIjLj2EENS0_17counting_iteratorIjlEEPS9_SG_NS0_5tupleIJPjSI_NS0_16reverse_iteratorISI_EEEEENSH_IJSG_SG_SG_EEES9_SI_JZNS1_25segmented_radix_sort_implINS0_14default_configELb1EPKaPaPKlPlN2at6native12_GLOBAL__N_18offset_tEEE10hipError_tPvRmT1_PNSt15iterator_traitsIS12_E10value_typeET2_T3_PNS13_IS18_E10value_typeET4_jRbjT5_S1E_jjP12ihipStream_tbEUljE_ZNSN_ISO_Lb1ESQ_SR_ST_SU_SY_EESZ_S10_S11_S12_S16_S17_S18_S1B_S1C_jS1D_jS1E_S1E_jjS1G_bEUljE0_EEESZ_S10_S11_S18_S1C_S1E_T6_T7_T9_mT8_S1G_bDpT10_ENKUlT_T0_E_clISt17integral_constantIbLb1EES1U_EEDaS1P_S1Q_EUlS1P_E_NS1_11comp_targetILNS1_3genE9ELNS1_11target_archE1100ELNS1_3gpuE3ELNS1_3repE0EEENS1_30default_config_static_selectorELNS0_4arch9wavefront6targetE1EEEvS12_,comdat
.Lfunc_end240:
	.size	_ZN7rocprim17ROCPRIM_400000_NS6detail17trampoline_kernelINS0_13select_configILj256ELj13ELNS0_17block_load_methodE3ELS4_3ELS4_3ELNS0_20block_scan_algorithmE0ELj4294967295EEENS1_25partition_config_selectorILNS1_17partition_subalgoE4EjNS0_10empty_typeEbEEZZNS1_14partition_implILS8_4ELb0ES6_15HIP_vector_typeIjLj2EENS0_17counting_iteratorIjlEEPS9_SG_NS0_5tupleIJPjSI_NS0_16reverse_iteratorISI_EEEEENSH_IJSG_SG_SG_EEES9_SI_JZNS1_25segmented_radix_sort_implINS0_14default_configELb1EPKaPaPKlPlN2at6native12_GLOBAL__N_18offset_tEEE10hipError_tPvRmT1_PNSt15iterator_traitsIS12_E10value_typeET2_T3_PNS13_IS18_E10value_typeET4_jRbjT5_S1E_jjP12ihipStream_tbEUljE_ZNSN_ISO_Lb1ESQ_SR_ST_SU_SY_EESZ_S10_S11_S12_S16_S17_S18_S1B_S1C_jS1D_jS1E_S1E_jjS1G_bEUljE0_EEESZ_S10_S11_S18_S1C_S1E_T6_T7_T9_mT8_S1G_bDpT10_ENKUlT_T0_E_clISt17integral_constantIbLb1EES1U_EEDaS1P_S1Q_EUlS1P_E_NS1_11comp_targetILNS1_3genE9ELNS1_11target_archE1100ELNS1_3gpuE3ELNS1_3repE0EEENS1_30default_config_static_selectorELNS0_4arch9wavefront6targetE1EEEvS12_, .Lfunc_end240-_ZN7rocprim17ROCPRIM_400000_NS6detail17trampoline_kernelINS0_13select_configILj256ELj13ELNS0_17block_load_methodE3ELS4_3ELS4_3ELNS0_20block_scan_algorithmE0ELj4294967295EEENS1_25partition_config_selectorILNS1_17partition_subalgoE4EjNS0_10empty_typeEbEEZZNS1_14partition_implILS8_4ELb0ES6_15HIP_vector_typeIjLj2EENS0_17counting_iteratorIjlEEPS9_SG_NS0_5tupleIJPjSI_NS0_16reverse_iteratorISI_EEEEENSH_IJSG_SG_SG_EEES9_SI_JZNS1_25segmented_radix_sort_implINS0_14default_configELb1EPKaPaPKlPlN2at6native12_GLOBAL__N_18offset_tEEE10hipError_tPvRmT1_PNSt15iterator_traitsIS12_E10value_typeET2_T3_PNS13_IS18_E10value_typeET4_jRbjT5_S1E_jjP12ihipStream_tbEUljE_ZNSN_ISO_Lb1ESQ_SR_ST_SU_SY_EESZ_S10_S11_S12_S16_S17_S18_S1B_S1C_jS1D_jS1E_S1E_jjS1G_bEUljE0_EEESZ_S10_S11_S18_S1C_S1E_T6_T7_T9_mT8_S1G_bDpT10_ENKUlT_T0_E_clISt17integral_constantIbLb1EES1U_EEDaS1P_S1Q_EUlS1P_E_NS1_11comp_targetILNS1_3genE9ELNS1_11target_archE1100ELNS1_3gpuE3ELNS1_3repE0EEENS1_30default_config_static_selectorELNS0_4arch9wavefront6targetE1EEEvS12_
                                        ; -- End function
	.section	.AMDGPU.csdata,"",@progbits
; Kernel info:
; codeLenInByte = 0
; NumSgprs: 4
; NumVgprs: 0
; NumAgprs: 0
; TotalNumVgprs: 0
; ScratchSize: 0
; MemoryBound: 0
; FloatMode: 240
; IeeeMode: 1
; LDSByteSize: 0 bytes/workgroup (compile time only)
; SGPRBlocks: 0
; VGPRBlocks: 0
; NumSGPRsForWavesPerEU: 4
; NumVGPRsForWavesPerEU: 1
; AccumOffset: 4
; Occupancy: 8
; WaveLimiterHint : 0
; COMPUTE_PGM_RSRC2:SCRATCH_EN: 0
; COMPUTE_PGM_RSRC2:USER_SGPR: 6
; COMPUTE_PGM_RSRC2:TRAP_HANDLER: 0
; COMPUTE_PGM_RSRC2:TGID_X_EN: 1
; COMPUTE_PGM_RSRC2:TGID_Y_EN: 0
; COMPUTE_PGM_RSRC2:TGID_Z_EN: 0
; COMPUTE_PGM_RSRC2:TIDIG_COMP_CNT: 0
; COMPUTE_PGM_RSRC3_GFX90A:ACCUM_OFFSET: 0
; COMPUTE_PGM_RSRC3_GFX90A:TG_SPLIT: 0
	.section	.text._ZN7rocprim17ROCPRIM_400000_NS6detail17trampoline_kernelINS0_13select_configILj256ELj13ELNS0_17block_load_methodE3ELS4_3ELS4_3ELNS0_20block_scan_algorithmE0ELj4294967295EEENS1_25partition_config_selectorILNS1_17partition_subalgoE4EjNS0_10empty_typeEbEEZZNS1_14partition_implILS8_4ELb0ES6_15HIP_vector_typeIjLj2EENS0_17counting_iteratorIjlEEPS9_SG_NS0_5tupleIJPjSI_NS0_16reverse_iteratorISI_EEEEENSH_IJSG_SG_SG_EEES9_SI_JZNS1_25segmented_radix_sort_implINS0_14default_configELb1EPKaPaPKlPlN2at6native12_GLOBAL__N_18offset_tEEE10hipError_tPvRmT1_PNSt15iterator_traitsIS12_E10value_typeET2_T3_PNS13_IS18_E10value_typeET4_jRbjT5_S1E_jjP12ihipStream_tbEUljE_ZNSN_ISO_Lb1ESQ_SR_ST_SU_SY_EESZ_S10_S11_S12_S16_S17_S18_S1B_S1C_jS1D_jS1E_S1E_jjS1G_bEUljE0_EEESZ_S10_S11_S18_S1C_S1E_T6_T7_T9_mT8_S1G_bDpT10_ENKUlT_T0_E_clISt17integral_constantIbLb1EES1U_EEDaS1P_S1Q_EUlS1P_E_NS1_11comp_targetILNS1_3genE8ELNS1_11target_archE1030ELNS1_3gpuE2ELNS1_3repE0EEENS1_30default_config_static_selectorELNS0_4arch9wavefront6targetE1EEEvS12_,"axG",@progbits,_ZN7rocprim17ROCPRIM_400000_NS6detail17trampoline_kernelINS0_13select_configILj256ELj13ELNS0_17block_load_methodE3ELS4_3ELS4_3ELNS0_20block_scan_algorithmE0ELj4294967295EEENS1_25partition_config_selectorILNS1_17partition_subalgoE4EjNS0_10empty_typeEbEEZZNS1_14partition_implILS8_4ELb0ES6_15HIP_vector_typeIjLj2EENS0_17counting_iteratorIjlEEPS9_SG_NS0_5tupleIJPjSI_NS0_16reverse_iteratorISI_EEEEENSH_IJSG_SG_SG_EEES9_SI_JZNS1_25segmented_radix_sort_implINS0_14default_configELb1EPKaPaPKlPlN2at6native12_GLOBAL__N_18offset_tEEE10hipError_tPvRmT1_PNSt15iterator_traitsIS12_E10value_typeET2_T3_PNS13_IS18_E10value_typeET4_jRbjT5_S1E_jjP12ihipStream_tbEUljE_ZNSN_ISO_Lb1ESQ_SR_ST_SU_SY_EESZ_S10_S11_S12_S16_S17_S18_S1B_S1C_jS1D_jS1E_S1E_jjS1G_bEUljE0_EEESZ_S10_S11_S18_S1C_S1E_T6_T7_T9_mT8_S1G_bDpT10_ENKUlT_T0_E_clISt17integral_constantIbLb1EES1U_EEDaS1P_S1Q_EUlS1P_E_NS1_11comp_targetILNS1_3genE8ELNS1_11target_archE1030ELNS1_3gpuE2ELNS1_3repE0EEENS1_30default_config_static_selectorELNS0_4arch9wavefront6targetE1EEEvS12_,comdat
	.globl	_ZN7rocprim17ROCPRIM_400000_NS6detail17trampoline_kernelINS0_13select_configILj256ELj13ELNS0_17block_load_methodE3ELS4_3ELS4_3ELNS0_20block_scan_algorithmE0ELj4294967295EEENS1_25partition_config_selectorILNS1_17partition_subalgoE4EjNS0_10empty_typeEbEEZZNS1_14partition_implILS8_4ELb0ES6_15HIP_vector_typeIjLj2EENS0_17counting_iteratorIjlEEPS9_SG_NS0_5tupleIJPjSI_NS0_16reverse_iteratorISI_EEEEENSH_IJSG_SG_SG_EEES9_SI_JZNS1_25segmented_radix_sort_implINS0_14default_configELb1EPKaPaPKlPlN2at6native12_GLOBAL__N_18offset_tEEE10hipError_tPvRmT1_PNSt15iterator_traitsIS12_E10value_typeET2_T3_PNS13_IS18_E10value_typeET4_jRbjT5_S1E_jjP12ihipStream_tbEUljE_ZNSN_ISO_Lb1ESQ_SR_ST_SU_SY_EESZ_S10_S11_S12_S16_S17_S18_S1B_S1C_jS1D_jS1E_S1E_jjS1G_bEUljE0_EEESZ_S10_S11_S18_S1C_S1E_T6_T7_T9_mT8_S1G_bDpT10_ENKUlT_T0_E_clISt17integral_constantIbLb1EES1U_EEDaS1P_S1Q_EUlS1P_E_NS1_11comp_targetILNS1_3genE8ELNS1_11target_archE1030ELNS1_3gpuE2ELNS1_3repE0EEENS1_30default_config_static_selectorELNS0_4arch9wavefront6targetE1EEEvS12_ ; -- Begin function _ZN7rocprim17ROCPRIM_400000_NS6detail17trampoline_kernelINS0_13select_configILj256ELj13ELNS0_17block_load_methodE3ELS4_3ELS4_3ELNS0_20block_scan_algorithmE0ELj4294967295EEENS1_25partition_config_selectorILNS1_17partition_subalgoE4EjNS0_10empty_typeEbEEZZNS1_14partition_implILS8_4ELb0ES6_15HIP_vector_typeIjLj2EENS0_17counting_iteratorIjlEEPS9_SG_NS0_5tupleIJPjSI_NS0_16reverse_iteratorISI_EEEEENSH_IJSG_SG_SG_EEES9_SI_JZNS1_25segmented_radix_sort_implINS0_14default_configELb1EPKaPaPKlPlN2at6native12_GLOBAL__N_18offset_tEEE10hipError_tPvRmT1_PNSt15iterator_traitsIS12_E10value_typeET2_T3_PNS13_IS18_E10value_typeET4_jRbjT5_S1E_jjP12ihipStream_tbEUljE_ZNSN_ISO_Lb1ESQ_SR_ST_SU_SY_EESZ_S10_S11_S12_S16_S17_S18_S1B_S1C_jS1D_jS1E_S1E_jjS1G_bEUljE0_EEESZ_S10_S11_S18_S1C_S1E_T6_T7_T9_mT8_S1G_bDpT10_ENKUlT_T0_E_clISt17integral_constantIbLb1EES1U_EEDaS1P_S1Q_EUlS1P_E_NS1_11comp_targetILNS1_3genE8ELNS1_11target_archE1030ELNS1_3gpuE2ELNS1_3repE0EEENS1_30default_config_static_selectorELNS0_4arch9wavefront6targetE1EEEvS12_
	.p2align	8
	.type	_ZN7rocprim17ROCPRIM_400000_NS6detail17trampoline_kernelINS0_13select_configILj256ELj13ELNS0_17block_load_methodE3ELS4_3ELS4_3ELNS0_20block_scan_algorithmE0ELj4294967295EEENS1_25partition_config_selectorILNS1_17partition_subalgoE4EjNS0_10empty_typeEbEEZZNS1_14partition_implILS8_4ELb0ES6_15HIP_vector_typeIjLj2EENS0_17counting_iteratorIjlEEPS9_SG_NS0_5tupleIJPjSI_NS0_16reverse_iteratorISI_EEEEENSH_IJSG_SG_SG_EEES9_SI_JZNS1_25segmented_radix_sort_implINS0_14default_configELb1EPKaPaPKlPlN2at6native12_GLOBAL__N_18offset_tEEE10hipError_tPvRmT1_PNSt15iterator_traitsIS12_E10value_typeET2_T3_PNS13_IS18_E10value_typeET4_jRbjT5_S1E_jjP12ihipStream_tbEUljE_ZNSN_ISO_Lb1ESQ_SR_ST_SU_SY_EESZ_S10_S11_S12_S16_S17_S18_S1B_S1C_jS1D_jS1E_S1E_jjS1G_bEUljE0_EEESZ_S10_S11_S18_S1C_S1E_T6_T7_T9_mT8_S1G_bDpT10_ENKUlT_T0_E_clISt17integral_constantIbLb1EES1U_EEDaS1P_S1Q_EUlS1P_E_NS1_11comp_targetILNS1_3genE8ELNS1_11target_archE1030ELNS1_3gpuE2ELNS1_3repE0EEENS1_30default_config_static_selectorELNS0_4arch9wavefront6targetE1EEEvS12_,@function
_ZN7rocprim17ROCPRIM_400000_NS6detail17trampoline_kernelINS0_13select_configILj256ELj13ELNS0_17block_load_methodE3ELS4_3ELS4_3ELNS0_20block_scan_algorithmE0ELj4294967295EEENS1_25partition_config_selectorILNS1_17partition_subalgoE4EjNS0_10empty_typeEbEEZZNS1_14partition_implILS8_4ELb0ES6_15HIP_vector_typeIjLj2EENS0_17counting_iteratorIjlEEPS9_SG_NS0_5tupleIJPjSI_NS0_16reverse_iteratorISI_EEEEENSH_IJSG_SG_SG_EEES9_SI_JZNS1_25segmented_radix_sort_implINS0_14default_configELb1EPKaPaPKlPlN2at6native12_GLOBAL__N_18offset_tEEE10hipError_tPvRmT1_PNSt15iterator_traitsIS12_E10value_typeET2_T3_PNS13_IS18_E10value_typeET4_jRbjT5_S1E_jjP12ihipStream_tbEUljE_ZNSN_ISO_Lb1ESQ_SR_ST_SU_SY_EESZ_S10_S11_S12_S16_S17_S18_S1B_S1C_jS1D_jS1E_S1E_jjS1G_bEUljE0_EEESZ_S10_S11_S18_S1C_S1E_T6_T7_T9_mT8_S1G_bDpT10_ENKUlT_T0_E_clISt17integral_constantIbLb1EES1U_EEDaS1P_S1Q_EUlS1P_E_NS1_11comp_targetILNS1_3genE8ELNS1_11target_archE1030ELNS1_3gpuE2ELNS1_3repE0EEENS1_30default_config_static_selectorELNS0_4arch9wavefront6targetE1EEEvS12_: ; @_ZN7rocprim17ROCPRIM_400000_NS6detail17trampoline_kernelINS0_13select_configILj256ELj13ELNS0_17block_load_methodE3ELS4_3ELS4_3ELNS0_20block_scan_algorithmE0ELj4294967295EEENS1_25partition_config_selectorILNS1_17partition_subalgoE4EjNS0_10empty_typeEbEEZZNS1_14partition_implILS8_4ELb0ES6_15HIP_vector_typeIjLj2EENS0_17counting_iteratorIjlEEPS9_SG_NS0_5tupleIJPjSI_NS0_16reverse_iteratorISI_EEEEENSH_IJSG_SG_SG_EEES9_SI_JZNS1_25segmented_radix_sort_implINS0_14default_configELb1EPKaPaPKlPlN2at6native12_GLOBAL__N_18offset_tEEE10hipError_tPvRmT1_PNSt15iterator_traitsIS12_E10value_typeET2_T3_PNS13_IS18_E10value_typeET4_jRbjT5_S1E_jjP12ihipStream_tbEUljE_ZNSN_ISO_Lb1ESQ_SR_ST_SU_SY_EESZ_S10_S11_S12_S16_S17_S18_S1B_S1C_jS1D_jS1E_S1E_jjS1G_bEUljE0_EEESZ_S10_S11_S18_S1C_S1E_T6_T7_T9_mT8_S1G_bDpT10_ENKUlT_T0_E_clISt17integral_constantIbLb1EES1U_EEDaS1P_S1Q_EUlS1P_E_NS1_11comp_targetILNS1_3genE8ELNS1_11target_archE1030ELNS1_3gpuE2ELNS1_3repE0EEENS1_30default_config_static_selectorELNS0_4arch9wavefront6targetE1EEEvS12_
; %bb.0:
	.section	.rodata,"a",@progbits
	.p2align	6, 0x0
	.amdhsa_kernel _ZN7rocprim17ROCPRIM_400000_NS6detail17trampoline_kernelINS0_13select_configILj256ELj13ELNS0_17block_load_methodE3ELS4_3ELS4_3ELNS0_20block_scan_algorithmE0ELj4294967295EEENS1_25partition_config_selectorILNS1_17partition_subalgoE4EjNS0_10empty_typeEbEEZZNS1_14partition_implILS8_4ELb0ES6_15HIP_vector_typeIjLj2EENS0_17counting_iteratorIjlEEPS9_SG_NS0_5tupleIJPjSI_NS0_16reverse_iteratorISI_EEEEENSH_IJSG_SG_SG_EEES9_SI_JZNS1_25segmented_radix_sort_implINS0_14default_configELb1EPKaPaPKlPlN2at6native12_GLOBAL__N_18offset_tEEE10hipError_tPvRmT1_PNSt15iterator_traitsIS12_E10value_typeET2_T3_PNS13_IS18_E10value_typeET4_jRbjT5_S1E_jjP12ihipStream_tbEUljE_ZNSN_ISO_Lb1ESQ_SR_ST_SU_SY_EESZ_S10_S11_S12_S16_S17_S18_S1B_S1C_jS1D_jS1E_S1E_jjS1G_bEUljE0_EEESZ_S10_S11_S18_S1C_S1E_T6_T7_T9_mT8_S1G_bDpT10_ENKUlT_T0_E_clISt17integral_constantIbLb1EES1U_EEDaS1P_S1Q_EUlS1P_E_NS1_11comp_targetILNS1_3genE8ELNS1_11target_archE1030ELNS1_3gpuE2ELNS1_3repE0EEENS1_30default_config_static_selectorELNS0_4arch9wavefront6targetE1EEEvS12_
		.amdhsa_group_segment_fixed_size 0
		.amdhsa_private_segment_fixed_size 0
		.amdhsa_kernarg_size 184
		.amdhsa_user_sgpr_count 6
		.amdhsa_user_sgpr_private_segment_buffer 1
		.amdhsa_user_sgpr_dispatch_ptr 0
		.amdhsa_user_sgpr_queue_ptr 0
		.amdhsa_user_sgpr_kernarg_segment_ptr 1
		.amdhsa_user_sgpr_dispatch_id 0
		.amdhsa_user_sgpr_flat_scratch_init 0
		.amdhsa_user_sgpr_kernarg_preload_length 0
		.amdhsa_user_sgpr_kernarg_preload_offset 0
		.amdhsa_user_sgpr_private_segment_size 0
		.amdhsa_uses_dynamic_stack 0
		.amdhsa_system_sgpr_private_segment_wavefront_offset 0
		.amdhsa_system_sgpr_workgroup_id_x 1
		.amdhsa_system_sgpr_workgroup_id_y 0
		.amdhsa_system_sgpr_workgroup_id_z 0
		.amdhsa_system_sgpr_workgroup_info 0
		.amdhsa_system_vgpr_workitem_id 0
		.amdhsa_next_free_vgpr 1
		.amdhsa_next_free_sgpr 0
		.amdhsa_accum_offset 4
		.amdhsa_reserve_vcc 0
		.amdhsa_reserve_flat_scratch 0
		.amdhsa_float_round_mode_32 0
		.amdhsa_float_round_mode_16_64 0
		.amdhsa_float_denorm_mode_32 3
		.amdhsa_float_denorm_mode_16_64 3
		.amdhsa_dx10_clamp 1
		.amdhsa_ieee_mode 1
		.amdhsa_fp16_overflow 0
		.amdhsa_tg_split 0
		.amdhsa_exception_fp_ieee_invalid_op 0
		.amdhsa_exception_fp_denorm_src 0
		.amdhsa_exception_fp_ieee_div_zero 0
		.amdhsa_exception_fp_ieee_overflow 0
		.amdhsa_exception_fp_ieee_underflow 0
		.amdhsa_exception_fp_ieee_inexact 0
		.amdhsa_exception_int_div_zero 0
	.end_amdhsa_kernel
	.section	.text._ZN7rocprim17ROCPRIM_400000_NS6detail17trampoline_kernelINS0_13select_configILj256ELj13ELNS0_17block_load_methodE3ELS4_3ELS4_3ELNS0_20block_scan_algorithmE0ELj4294967295EEENS1_25partition_config_selectorILNS1_17partition_subalgoE4EjNS0_10empty_typeEbEEZZNS1_14partition_implILS8_4ELb0ES6_15HIP_vector_typeIjLj2EENS0_17counting_iteratorIjlEEPS9_SG_NS0_5tupleIJPjSI_NS0_16reverse_iteratorISI_EEEEENSH_IJSG_SG_SG_EEES9_SI_JZNS1_25segmented_radix_sort_implINS0_14default_configELb1EPKaPaPKlPlN2at6native12_GLOBAL__N_18offset_tEEE10hipError_tPvRmT1_PNSt15iterator_traitsIS12_E10value_typeET2_T3_PNS13_IS18_E10value_typeET4_jRbjT5_S1E_jjP12ihipStream_tbEUljE_ZNSN_ISO_Lb1ESQ_SR_ST_SU_SY_EESZ_S10_S11_S12_S16_S17_S18_S1B_S1C_jS1D_jS1E_S1E_jjS1G_bEUljE0_EEESZ_S10_S11_S18_S1C_S1E_T6_T7_T9_mT8_S1G_bDpT10_ENKUlT_T0_E_clISt17integral_constantIbLb1EES1U_EEDaS1P_S1Q_EUlS1P_E_NS1_11comp_targetILNS1_3genE8ELNS1_11target_archE1030ELNS1_3gpuE2ELNS1_3repE0EEENS1_30default_config_static_selectorELNS0_4arch9wavefront6targetE1EEEvS12_,"axG",@progbits,_ZN7rocprim17ROCPRIM_400000_NS6detail17trampoline_kernelINS0_13select_configILj256ELj13ELNS0_17block_load_methodE3ELS4_3ELS4_3ELNS0_20block_scan_algorithmE0ELj4294967295EEENS1_25partition_config_selectorILNS1_17partition_subalgoE4EjNS0_10empty_typeEbEEZZNS1_14partition_implILS8_4ELb0ES6_15HIP_vector_typeIjLj2EENS0_17counting_iteratorIjlEEPS9_SG_NS0_5tupleIJPjSI_NS0_16reverse_iteratorISI_EEEEENSH_IJSG_SG_SG_EEES9_SI_JZNS1_25segmented_radix_sort_implINS0_14default_configELb1EPKaPaPKlPlN2at6native12_GLOBAL__N_18offset_tEEE10hipError_tPvRmT1_PNSt15iterator_traitsIS12_E10value_typeET2_T3_PNS13_IS18_E10value_typeET4_jRbjT5_S1E_jjP12ihipStream_tbEUljE_ZNSN_ISO_Lb1ESQ_SR_ST_SU_SY_EESZ_S10_S11_S12_S16_S17_S18_S1B_S1C_jS1D_jS1E_S1E_jjS1G_bEUljE0_EEESZ_S10_S11_S18_S1C_S1E_T6_T7_T9_mT8_S1G_bDpT10_ENKUlT_T0_E_clISt17integral_constantIbLb1EES1U_EEDaS1P_S1Q_EUlS1P_E_NS1_11comp_targetILNS1_3genE8ELNS1_11target_archE1030ELNS1_3gpuE2ELNS1_3repE0EEENS1_30default_config_static_selectorELNS0_4arch9wavefront6targetE1EEEvS12_,comdat
.Lfunc_end241:
	.size	_ZN7rocprim17ROCPRIM_400000_NS6detail17trampoline_kernelINS0_13select_configILj256ELj13ELNS0_17block_load_methodE3ELS4_3ELS4_3ELNS0_20block_scan_algorithmE0ELj4294967295EEENS1_25partition_config_selectorILNS1_17partition_subalgoE4EjNS0_10empty_typeEbEEZZNS1_14partition_implILS8_4ELb0ES6_15HIP_vector_typeIjLj2EENS0_17counting_iteratorIjlEEPS9_SG_NS0_5tupleIJPjSI_NS0_16reverse_iteratorISI_EEEEENSH_IJSG_SG_SG_EEES9_SI_JZNS1_25segmented_radix_sort_implINS0_14default_configELb1EPKaPaPKlPlN2at6native12_GLOBAL__N_18offset_tEEE10hipError_tPvRmT1_PNSt15iterator_traitsIS12_E10value_typeET2_T3_PNS13_IS18_E10value_typeET4_jRbjT5_S1E_jjP12ihipStream_tbEUljE_ZNSN_ISO_Lb1ESQ_SR_ST_SU_SY_EESZ_S10_S11_S12_S16_S17_S18_S1B_S1C_jS1D_jS1E_S1E_jjS1G_bEUljE0_EEESZ_S10_S11_S18_S1C_S1E_T6_T7_T9_mT8_S1G_bDpT10_ENKUlT_T0_E_clISt17integral_constantIbLb1EES1U_EEDaS1P_S1Q_EUlS1P_E_NS1_11comp_targetILNS1_3genE8ELNS1_11target_archE1030ELNS1_3gpuE2ELNS1_3repE0EEENS1_30default_config_static_selectorELNS0_4arch9wavefront6targetE1EEEvS12_, .Lfunc_end241-_ZN7rocprim17ROCPRIM_400000_NS6detail17trampoline_kernelINS0_13select_configILj256ELj13ELNS0_17block_load_methodE3ELS4_3ELS4_3ELNS0_20block_scan_algorithmE0ELj4294967295EEENS1_25partition_config_selectorILNS1_17partition_subalgoE4EjNS0_10empty_typeEbEEZZNS1_14partition_implILS8_4ELb0ES6_15HIP_vector_typeIjLj2EENS0_17counting_iteratorIjlEEPS9_SG_NS0_5tupleIJPjSI_NS0_16reverse_iteratorISI_EEEEENSH_IJSG_SG_SG_EEES9_SI_JZNS1_25segmented_radix_sort_implINS0_14default_configELb1EPKaPaPKlPlN2at6native12_GLOBAL__N_18offset_tEEE10hipError_tPvRmT1_PNSt15iterator_traitsIS12_E10value_typeET2_T3_PNS13_IS18_E10value_typeET4_jRbjT5_S1E_jjP12ihipStream_tbEUljE_ZNSN_ISO_Lb1ESQ_SR_ST_SU_SY_EESZ_S10_S11_S12_S16_S17_S18_S1B_S1C_jS1D_jS1E_S1E_jjS1G_bEUljE0_EEESZ_S10_S11_S18_S1C_S1E_T6_T7_T9_mT8_S1G_bDpT10_ENKUlT_T0_E_clISt17integral_constantIbLb1EES1U_EEDaS1P_S1Q_EUlS1P_E_NS1_11comp_targetILNS1_3genE8ELNS1_11target_archE1030ELNS1_3gpuE2ELNS1_3repE0EEENS1_30default_config_static_selectorELNS0_4arch9wavefront6targetE1EEEvS12_
                                        ; -- End function
	.section	.AMDGPU.csdata,"",@progbits
; Kernel info:
; codeLenInByte = 0
; NumSgprs: 4
; NumVgprs: 0
; NumAgprs: 0
; TotalNumVgprs: 0
; ScratchSize: 0
; MemoryBound: 0
; FloatMode: 240
; IeeeMode: 1
; LDSByteSize: 0 bytes/workgroup (compile time only)
; SGPRBlocks: 0
; VGPRBlocks: 0
; NumSGPRsForWavesPerEU: 4
; NumVGPRsForWavesPerEU: 1
; AccumOffset: 4
; Occupancy: 8
; WaveLimiterHint : 0
; COMPUTE_PGM_RSRC2:SCRATCH_EN: 0
; COMPUTE_PGM_RSRC2:USER_SGPR: 6
; COMPUTE_PGM_RSRC2:TRAP_HANDLER: 0
; COMPUTE_PGM_RSRC2:TGID_X_EN: 1
; COMPUTE_PGM_RSRC2:TGID_Y_EN: 0
; COMPUTE_PGM_RSRC2:TGID_Z_EN: 0
; COMPUTE_PGM_RSRC2:TIDIG_COMP_CNT: 0
; COMPUTE_PGM_RSRC3_GFX90A:ACCUM_OFFSET: 0
; COMPUTE_PGM_RSRC3_GFX90A:TG_SPLIT: 0
	.section	.text._ZN7rocprim17ROCPRIM_400000_NS6detail17trampoline_kernelINS0_13select_configILj256ELj13ELNS0_17block_load_methodE3ELS4_3ELS4_3ELNS0_20block_scan_algorithmE0ELj4294967295EEENS1_25partition_config_selectorILNS1_17partition_subalgoE4EjNS0_10empty_typeEbEEZZNS1_14partition_implILS8_4ELb0ES6_15HIP_vector_typeIjLj2EENS0_17counting_iteratorIjlEEPS9_SG_NS0_5tupleIJPjSI_NS0_16reverse_iteratorISI_EEEEENSH_IJSG_SG_SG_EEES9_SI_JZNS1_25segmented_radix_sort_implINS0_14default_configELb1EPKaPaPKlPlN2at6native12_GLOBAL__N_18offset_tEEE10hipError_tPvRmT1_PNSt15iterator_traitsIS12_E10value_typeET2_T3_PNS13_IS18_E10value_typeET4_jRbjT5_S1E_jjP12ihipStream_tbEUljE_ZNSN_ISO_Lb1ESQ_SR_ST_SU_SY_EESZ_S10_S11_S12_S16_S17_S18_S1B_S1C_jS1D_jS1E_S1E_jjS1G_bEUljE0_EEESZ_S10_S11_S18_S1C_S1E_T6_T7_T9_mT8_S1G_bDpT10_ENKUlT_T0_E_clISt17integral_constantIbLb1EES1T_IbLb0EEEEDaS1P_S1Q_EUlS1P_E_NS1_11comp_targetILNS1_3genE0ELNS1_11target_archE4294967295ELNS1_3gpuE0ELNS1_3repE0EEENS1_30default_config_static_selectorELNS0_4arch9wavefront6targetE1EEEvS12_,"axG",@progbits,_ZN7rocprim17ROCPRIM_400000_NS6detail17trampoline_kernelINS0_13select_configILj256ELj13ELNS0_17block_load_methodE3ELS4_3ELS4_3ELNS0_20block_scan_algorithmE0ELj4294967295EEENS1_25partition_config_selectorILNS1_17partition_subalgoE4EjNS0_10empty_typeEbEEZZNS1_14partition_implILS8_4ELb0ES6_15HIP_vector_typeIjLj2EENS0_17counting_iteratorIjlEEPS9_SG_NS0_5tupleIJPjSI_NS0_16reverse_iteratorISI_EEEEENSH_IJSG_SG_SG_EEES9_SI_JZNS1_25segmented_radix_sort_implINS0_14default_configELb1EPKaPaPKlPlN2at6native12_GLOBAL__N_18offset_tEEE10hipError_tPvRmT1_PNSt15iterator_traitsIS12_E10value_typeET2_T3_PNS13_IS18_E10value_typeET4_jRbjT5_S1E_jjP12ihipStream_tbEUljE_ZNSN_ISO_Lb1ESQ_SR_ST_SU_SY_EESZ_S10_S11_S12_S16_S17_S18_S1B_S1C_jS1D_jS1E_S1E_jjS1G_bEUljE0_EEESZ_S10_S11_S18_S1C_S1E_T6_T7_T9_mT8_S1G_bDpT10_ENKUlT_T0_E_clISt17integral_constantIbLb1EES1T_IbLb0EEEEDaS1P_S1Q_EUlS1P_E_NS1_11comp_targetILNS1_3genE0ELNS1_11target_archE4294967295ELNS1_3gpuE0ELNS1_3repE0EEENS1_30default_config_static_selectorELNS0_4arch9wavefront6targetE1EEEvS12_,comdat
	.globl	_ZN7rocprim17ROCPRIM_400000_NS6detail17trampoline_kernelINS0_13select_configILj256ELj13ELNS0_17block_load_methodE3ELS4_3ELS4_3ELNS0_20block_scan_algorithmE0ELj4294967295EEENS1_25partition_config_selectorILNS1_17partition_subalgoE4EjNS0_10empty_typeEbEEZZNS1_14partition_implILS8_4ELb0ES6_15HIP_vector_typeIjLj2EENS0_17counting_iteratorIjlEEPS9_SG_NS0_5tupleIJPjSI_NS0_16reverse_iteratorISI_EEEEENSH_IJSG_SG_SG_EEES9_SI_JZNS1_25segmented_radix_sort_implINS0_14default_configELb1EPKaPaPKlPlN2at6native12_GLOBAL__N_18offset_tEEE10hipError_tPvRmT1_PNSt15iterator_traitsIS12_E10value_typeET2_T3_PNS13_IS18_E10value_typeET4_jRbjT5_S1E_jjP12ihipStream_tbEUljE_ZNSN_ISO_Lb1ESQ_SR_ST_SU_SY_EESZ_S10_S11_S12_S16_S17_S18_S1B_S1C_jS1D_jS1E_S1E_jjS1G_bEUljE0_EEESZ_S10_S11_S18_S1C_S1E_T6_T7_T9_mT8_S1G_bDpT10_ENKUlT_T0_E_clISt17integral_constantIbLb1EES1T_IbLb0EEEEDaS1P_S1Q_EUlS1P_E_NS1_11comp_targetILNS1_3genE0ELNS1_11target_archE4294967295ELNS1_3gpuE0ELNS1_3repE0EEENS1_30default_config_static_selectorELNS0_4arch9wavefront6targetE1EEEvS12_ ; -- Begin function _ZN7rocprim17ROCPRIM_400000_NS6detail17trampoline_kernelINS0_13select_configILj256ELj13ELNS0_17block_load_methodE3ELS4_3ELS4_3ELNS0_20block_scan_algorithmE0ELj4294967295EEENS1_25partition_config_selectorILNS1_17partition_subalgoE4EjNS0_10empty_typeEbEEZZNS1_14partition_implILS8_4ELb0ES6_15HIP_vector_typeIjLj2EENS0_17counting_iteratorIjlEEPS9_SG_NS0_5tupleIJPjSI_NS0_16reverse_iteratorISI_EEEEENSH_IJSG_SG_SG_EEES9_SI_JZNS1_25segmented_radix_sort_implINS0_14default_configELb1EPKaPaPKlPlN2at6native12_GLOBAL__N_18offset_tEEE10hipError_tPvRmT1_PNSt15iterator_traitsIS12_E10value_typeET2_T3_PNS13_IS18_E10value_typeET4_jRbjT5_S1E_jjP12ihipStream_tbEUljE_ZNSN_ISO_Lb1ESQ_SR_ST_SU_SY_EESZ_S10_S11_S12_S16_S17_S18_S1B_S1C_jS1D_jS1E_S1E_jjS1G_bEUljE0_EEESZ_S10_S11_S18_S1C_S1E_T6_T7_T9_mT8_S1G_bDpT10_ENKUlT_T0_E_clISt17integral_constantIbLb1EES1T_IbLb0EEEEDaS1P_S1Q_EUlS1P_E_NS1_11comp_targetILNS1_3genE0ELNS1_11target_archE4294967295ELNS1_3gpuE0ELNS1_3repE0EEENS1_30default_config_static_selectorELNS0_4arch9wavefront6targetE1EEEvS12_
	.p2align	8
	.type	_ZN7rocprim17ROCPRIM_400000_NS6detail17trampoline_kernelINS0_13select_configILj256ELj13ELNS0_17block_load_methodE3ELS4_3ELS4_3ELNS0_20block_scan_algorithmE0ELj4294967295EEENS1_25partition_config_selectorILNS1_17partition_subalgoE4EjNS0_10empty_typeEbEEZZNS1_14partition_implILS8_4ELb0ES6_15HIP_vector_typeIjLj2EENS0_17counting_iteratorIjlEEPS9_SG_NS0_5tupleIJPjSI_NS0_16reverse_iteratorISI_EEEEENSH_IJSG_SG_SG_EEES9_SI_JZNS1_25segmented_radix_sort_implINS0_14default_configELb1EPKaPaPKlPlN2at6native12_GLOBAL__N_18offset_tEEE10hipError_tPvRmT1_PNSt15iterator_traitsIS12_E10value_typeET2_T3_PNS13_IS18_E10value_typeET4_jRbjT5_S1E_jjP12ihipStream_tbEUljE_ZNSN_ISO_Lb1ESQ_SR_ST_SU_SY_EESZ_S10_S11_S12_S16_S17_S18_S1B_S1C_jS1D_jS1E_S1E_jjS1G_bEUljE0_EEESZ_S10_S11_S18_S1C_S1E_T6_T7_T9_mT8_S1G_bDpT10_ENKUlT_T0_E_clISt17integral_constantIbLb1EES1T_IbLb0EEEEDaS1P_S1Q_EUlS1P_E_NS1_11comp_targetILNS1_3genE0ELNS1_11target_archE4294967295ELNS1_3gpuE0ELNS1_3repE0EEENS1_30default_config_static_selectorELNS0_4arch9wavefront6targetE1EEEvS12_,@function
_ZN7rocprim17ROCPRIM_400000_NS6detail17trampoline_kernelINS0_13select_configILj256ELj13ELNS0_17block_load_methodE3ELS4_3ELS4_3ELNS0_20block_scan_algorithmE0ELj4294967295EEENS1_25partition_config_selectorILNS1_17partition_subalgoE4EjNS0_10empty_typeEbEEZZNS1_14partition_implILS8_4ELb0ES6_15HIP_vector_typeIjLj2EENS0_17counting_iteratorIjlEEPS9_SG_NS0_5tupleIJPjSI_NS0_16reverse_iteratorISI_EEEEENSH_IJSG_SG_SG_EEES9_SI_JZNS1_25segmented_radix_sort_implINS0_14default_configELb1EPKaPaPKlPlN2at6native12_GLOBAL__N_18offset_tEEE10hipError_tPvRmT1_PNSt15iterator_traitsIS12_E10value_typeET2_T3_PNS13_IS18_E10value_typeET4_jRbjT5_S1E_jjP12ihipStream_tbEUljE_ZNSN_ISO_Lb1ESQ_SR_ST_SU_SY_EESZ_S10_S11_S12_S16_S17_S18_S1B_S1C_jS1D_jS1E_S1E_jjS1G_bEUljE0_EEESZ_S10_S11_S18_S1C_S1E_T6_T7_T9_mT8_S1G_bDpT10_ENKUlT_T0_E_clISt17integral_constantIbLb1EES1T_IbLb0EEEEDaS1P_S1Q_EUlS1P_E_NS1_11comp_targetILNS1_3genE0ELNS1_11target_archE4294967295ELNS1_3gpuE0ELNS1_3repE0EEENS1_30default_config_static_selectorELNS0_4arch9wavefront6targetE1EEEvS12_: ; @_ZN7rocprim17ROCPRIM_400000_NS6detail17trampoline_kernelINS0_13select_configILj256ELj13ELNS0_17block_load_methodE3ELS4_3ELS4_3ELNS0_20block_scan_algorithmE0ELj4294967295EEENS1_25partition_config_selectorILNS1_17partition_subalgoE4EjNS0_10empty_typeEbEEZZNS1_14partition_implILS8_4ELb0ES6_15HIP_vector_typeIjLj2EENS0_17counting_iteratorIjlEEPS9_SG_NS0_5tupleIJPjSI_NS0_16reverse_iteratorISI_EEEEENSH_IJSG_SG_SG_EEES9_SI_JZNS1_25segmented_radix_sort_implINS0_14default_configELb1EPKaPaPKlPlN2at6native12_GLOBAL__N_18offset_tEEE10hipError_tPvRmT1_PNSt15iterator_traitsIS12_E10value_typeET2_T3_PNS13_IS18_E10value_typeET4_jRbjT5_S1E_jjP12ihipStream_tbEUljE_ZNSN_ISO_Lb1ESQ_SR_ST_SU_SY_EESZ_S10_S11_S12_S16_S17_S18_S1B_S1C_jS1D_jS1E_S1E_jjS1G_bEUljE0_EEESZ_S10_S11_S18_S1C_S1E_T6_T7_T9_mT8_S1G_bDpT10_ENKUlT_T0_E_clISt17integral_constantIbLb1EES1T_IbLb0EEEEDaS1P_S1Q_EUlS1P_E_NS1_11comp_targetILNS1_3genE0ELNS1_11target_archE4294967295ELNS1_3gpuE0ELNS1_3repE0EEENS1_30default_config_static_selectorELNS0_4arch9wavefront6targetE1EEEvS12_
; %bb.0:
	.section	.rodata,"a",@progbits
	.p2align	6, 0x0
	.amdhsa_kernel _ZN7rocprim17ROCPRIM_400000_NS6detail17trampoline_kernelINS0_13select_configILj256ELj13ELNS0_17block_load_methodE3ELS4_3ELS4_3ELNS0_20block_scan_algorithmE0ELj4294967295EEENS1_25partition_config_selectorILNS1_17partition_subalgoE4EjNS0_10empty_typeEbEEZZNS1_14partition_implILS8_4ELb0ES6_15HIP_vector_typeIjLj2EENS0_17counting_iteratorIjlEEPS9_SG_NS0_5tupleIJPjSI_NS0_16reverse_iteratorISI_EEEEENSH_IJSG_SG_SG_EEES9_SI_JZNS1_25segmented_radix_sort_implINS0_14default_configELb1EPKaPaPKlPlN2at6native12_GLOBAL__N_18offset_tEEE10hipError_tPvRmT1_PNSt15iterator_traitsIS12_E10value_typeET2_T3_PNS13_IS18_E10value_typeET4_jRbjT5_S1E_jjP12ihipStream_tbEUljE_ZNSN_ISO_Lb1ESQ_SR_ST_SU_SY_EESZ_S10_S11_S12_S16_S17_S18_S1B_S1C_jS1D_jS1E_S1E_jjS1G_bEUljE0_EEESZ_S10_S11_S18_S1C_S1E_T6_T7_T9_mT8_S1G_bDpT10_ENKUlT_T0_E_clISt17integral_constantIbLb1EES1T_IbLb0EEEEDaS1P_S1Q_EUlS1P_E_NS1_11comp_targetILNS1_3genE0ELNS1_11target_archE4294967295ELNS1_3gpuE0ELNS1_3repE0EEENS1_30default_config_static_selectorELNS0_4arch9wavefront6targetE1EEEvS12_
		.amdhsa_group_segment_fixed_size 0
		.amdhsa_private_segment_fixed_size 0
		.amdhsa_kernarg_size 176
		.amdhsa_user_sgpr_count 6
		.amdhsa_user_sgpr_private_segment_buffer 1
		.amdhsa_user_sgpr_dispatch_ptr 0
		.amdhsa_user_sgpr_queue_ptr 0
		.amdhsa_user_sgpr_kernarg_segment_ptr 1
		.amdhsa_user_sgpr_dispatch_id 0
		.amdhsa_user_sgpr_flat_scratch_init 0
		.amdhsa_user_sgpr_kernarg_preload_length 0
		.amdhsa_user_sgpr_kernarg_preload_offset 0
		.amdhsa_user_sgpr_private_segment_size 0
		.amdhsa_uses_dynamic_stack 0
		.amdhsa_system_sgpr_private_segment_wavefront_offset 0
		.amdhsa_system_sgpr_workgroup_id_x 1
		.amdhsa_system_sgpr_workgroup_id_y 0
		.amdhsa_system_sgpr_workgroup_id_z 0
		.amdhsa_system_sgpr_workgroup_info 0
		.amdhsa_system_vgpr_workitem_id 0
		.amdhsa_next_free_vgpr 1
		.amdhsa_next_free_sgpr 0
		.amdhsa_accum_offset 4
		.amdhsa_reserve_vcc 0
		.amdhsa_reserve_flat_scratch 0
		.amdhsa_float_round_mode_32 0
		.amdhsa_float_round_mode_16_64 0
		.amdhsa_float_denorm_mode_32 3
		.amdhsa_float_denorm_mode_16_64 3
		.amdhsa_dx10_clamp 1
		.amdhsa_ieee_mode 1
		.amdhsa_fp16_overflow 0
		.amdhsa_tg_split 0
		.amdhsa_exception_fp_ieee_invalid_op 0
		.amdhsa_exception_fp_denorm_src 0
		.amdhsa_exception_fp_ieee_div_zero 0
		.amdhsa_exception_fp_ieee_overflow 0
		.amdhsa_exception_fp_ieee_underflow 0
		.amdhsa_exception_fp_ieee_inexact 0
		.amdhsa_exception_int_div_zero 0
	.end_amdhsa_kernel
	.section	.text._ZN7rocprim17ROCPRIM_400000_NS6detail17trampoline_kernelINS0_13select_configILj256ELj13ELNS0_17block_load_methodE3ELS4_3ELS4_3ELNS0_20block_scan_algorithmE0ELj4294967295EEENS1_25partition_config_selectorILNS1_17partition_subalgoE4EjNS0_10empty_typeEbEEZZNS1_14partition_implILS8_4ELb0ES6_15HIP_vector_typeIjLj2EENS0_17counting_iteratorIjlEEPS9_SG_NS0_5tupleIJPjSI_NS0_16reverse_iteratorISI_EEEEENSH_IJSG_SG_SG_EEES9_SI_JZNS1_25segmented_radix_sort_implINS0_14default_configELb1EPKaPaPKlPlN2at6native12_GLOBAL__N_18offset_tEEE10hipError_tPvRmT1_PNSt15iterator_traitsIS12_E10value_typeET2_T3_PNS13_IS18_E10value_typeET4_jRbjT5_S1E_jjP12ihipStream_tbEUljE_ZNSN_ISO_Lb1ESQ_SR_ST_SU_SY_EESZ_S10_S11_S12_S16_S17_S18_S1B_S1C_jS1D_jS1E_S1E_jjS1G_bEUljE0_EEESZ_S10_S11_S18_S1C_S1E_T6_T7_T9_mT8_S1G_bDpT10_ENKUlT_T0_E_clISt17integral_constantIbLb1EES1T_IbLb0EEEEDaS1P_S1Q_EUlS1P_E_NS1_11comp_targetILNS1_3genE0ELNS1_11target_archE4294967295ELNS1_3gpuE0ELNS1_3repE0EEENS1_30default_config_static_selectorELNS0_4arch9wavefront6targetE1EEEvS12_,"axG",@progbits,_ZN7rocprim17ROCPRIM_400000_NS6detail17trampoline_kernelINS0_13select_configILj256ELj13ELNS0_17block_load_methodE3ELS4_3ELS4_3ELNS0_20block_scan_algorithmE0ELj4294967295EEENS1_25partition_config_selectorILNS1_17partition_subalgoE4EjNS0_10empty_typeEbEEZZNS1_14partition_implILS8_4ELb0ES6_15HIP_vector_typeIjLj2EENS0_17counting_iteratorIjlEEPS9_SG_NS0_5tupleIJPjSI_NS0_16reverse_iteratorISI_EEEEENSH_IJSG_SG_SG_EEES9_SI_JZNS1_25segmented_radix_sort_implINS0_14default_configELb1EPKaPaPKlPlN2at6native12_GLOBAL__N_18offset_tEEE10hipError_tPvRmT1_PNSt15iterator_traitsIS12_E10value_typeET2_T3_PNS13_IS18_E10value_typeET4_jRbjT5_S1E_jjP12ihipStream_tbEUljE_ZNSN_ISO_Lb1ESQ_SR_ST_SU_SY_EESZ_S10_S11_S12_S16_S17_S18_S1B_S1C_jS1D_jS1E_S1E_jjS1G_bEUljE0_EEESZ_S10_S11_S18_S1C_S1E_T6_T7_T9_mT8_S1G_bDpT10_ENKUlT_T0_E_clISt17integral_constantIbLb1EES1T_IbLb0EEEEDaS1P_S1Q_EUlS1P_E_NS1_11comp_targetILNS1_3genE0ELNS1_11target_archE4294967295ELNS1_3gpuE0ELNS1_3repE0EEENS1_30default_config_static_selectorELNS0_4arch9wavefront6targetE1EEEvS12_,comdat
.Lfunc_end242:
	.size	_ZN7rocprim17ROCPRIM_400000_NS6detail17trampoline_kernelINS0_13select_configILj256ELj13ELNS0_17block_load_methodE3ELS4_3ELS4_3ELNS0_20block_scan_algorithmE0ELj4294967295EEENS1_25partition_config_selectorILNS1_17partition_subalgoE4EjNS0_10empty_typeEbEEZZNS1_14partition_implILS8_4ELb0ES6_15HIP_vector_typeIjLj2EENS0_17counting_iteratorIjlEEPS9_SG_NS0_5tupleIJPjSI_NS0_16reverse_iteratorISI_EEEEENSH_IJSG_SG_SG_EEES9_SI_JZNS1_25segmented_radix_sort_implINS0_14default_configELb1EPKaPaPKlPlN2at6native12_GLOBAL__N_18offset_tEEE10hipError_tPvRmT1_PNSt15iterator_traitsIS12_E10value_typeET2_T3_PNS13_IS18_E10value_typeET4_jRbjT5_S1E_jjP12ihipStream_tbEUljE_ZNSN_ISO_Lb1ESQ_SR_ST_SU_SY_EESZ_S10_S11_S12_S16_S17_S18_S1B_S1C_jS1D_jS1E_S1E_jjS1G_bEUljE0_EEESZ_S10_S11_S18_S1C_S1E_T6_T7_T9_mT8_S1G_bDpT10_ENKUlT_T0_E_clISt17integral_constantIbLb1EES1T_IbLb0EEEEDaS1P_S1Q_EUlS1P_E_NS1_11comp_targetILNS1_3genE0ELNS1_11target_archE4294967295ELNS1_3gpuE0ELNS1_3repE0EEENS1_30default_config_static_selectorELNS0_4arch9wavefront6targetE1EEEvS12_, .Lfunc_end242-_ZN7rocprim17ROCPRIM_400000_NS6detail17trampoline_kernelINS0_13select_configILj256ELj13ELNS0_17block_load_methodE3ELS4_3ELS4_3ELNS0_20block_scan_algorithmE0ELj4294967295EEENS1_25partition_config_selectorILNS1_17partition_subalgoE4EjNS0_10empty_typeEbEEZZNS1_14partition_implILS8_4ELb0ES6_15HIP_vector_typeIjLj2EENS0_17counting_iteratorIjlEEPS9_SG_NS0_5tupleIJPjSI_NS0_16reverse_iteratorISI_EEEEENSH_IJSG_SG_SG_EEES9_SI_JZNS1_25segmented_radix_sort_implINS0_14default_configELb1EPKaPaPKlPlN2at6native12_GLOBAL__N_18offset_tEEE10hipError_tPvRmT1_PNSt15iterator_traitsIS12_E10value_typeET2_T3_PNS13_IS18_E10value_typeET4_jRbjT5_S1E_jjP12ihipStream_tbEUljE_ZNSN_ISO_Lb1ESQ_SR_ST_SU_SY_EESZ_S10_S11_S12_S16_S17_S18_S1B_S1C_jS1D_jS1E_S1E_jjS1G_bEUljE0_EEESZ_S10_S11_S18_S1C_S1E_T6_T7_T9_mT8_S1G_bDpT10_ENKUlT_T0_E_clISt17integral_constantIbLb1EES1T_IbLb0EEEEDaS1P_S1Q_EUlS1P_E_NS1_11comp_targetILNS1_3genE0ELNS1_11target_archE4294967295ELNS1_3gpuE0ELNS1_3repE0EEENS1_30default_config_static_selectorELNS0_4arch9wavefront6targetE1EEEvS12_
                                        ; -- End function
	.section	.AMDGPU.csdata,"",@progbits
; Kernel info:
; codeLenInByte = 0
; NumSgprs: 4
; NumVgprs: 0
; NumAgprs: 0
; TotalNumVgprs: 0
; ScratchSize: 0
; MemoryBound: 0
; FloatMode: 240
; IeeeMode: 1
; LDSByteSize: 0 bytes/workgroup (compile time only)
; SGPRBlocks: 0
; VGPRBlocks: 0
; NumSGPRsForWavesPerEU: 4
; NumVGPRsForWavesPerEU: 1
; AccumOffset: 4
; Occupancy: 8
; WaveLimiterHint : 0
; COMPUTE_PGM_RSRC2:SCRATCH_EN: 0
; COMPUTE_PGM_RSRC2:USER_SGPR: 6
; COMPUTE_PGM_RSRC2:TRAP_HANDLER: 0
; COMPUTE_PGM_RSRC2:TGID_X_EN: 1
; COMPUTE_PGM_RSRC2:TGID_Y_EN: 0
; COMPUTE_PGM_RSRC2:TGID_Z_EN: 0
; COMPUTE_PGM_RSRC2:TIDIG_COMP_CNT: 0
; COMPUTE_PGM_RSRC3_GFX90A:ACCUM_OFFSET: 0
; COMPUTE_PGM_RSRC3_GFX90A:TG_SPLIT: 0
	.section	.text._ZN7rocprim17ROCPRIM_400000_NS6detail17trampoline_kernelINS0_13select_configILj256ELj13ELNS0_17block_load_methodE3ELS4_3ELS4_3ELNS0_20block_scan_algorithmE0ELj4294967295EEENS1_25partition_config_selectorILNS1_17partition_subalgoE4EjNS0_10empty_typeEbEEZZNS1_14partition_implILS8_4ELb0ES6_15HIP_vector_typeIjLj2EENS0_17counting_iteratorIjlEEPS9_SG_NS0_5tupleIJPjSI_NS0_16reverse_iteratorISI_EEEEENSH_IJSG_SG_SG_EEES9_SI_JZNS1_25segmented_radix_sort_implINS0_14default_configELb1EPKaPaPKlPlN2at6native12_GLOBAL__N_18offset_tEEE10hipError_tPvRmT1_PNSt15iterator_traitsIS12_E10value_typeET2_T3_PNS13_IS18_E10value_typeET4_jRbjT5_S1E_jjP12ihipStream_tbEUljE_ZNSN_ISO_Lb1ESQ_SR_ST_SU_SY_EESZ_S10_S11_S12_S16_S17_S18_S1B_S1C_jS1D_jS1E_S1E_jjS1G_bEUljE0_EEESZ_S10_S11_S18_S1C_S1E_T6_T7_T9_mT8_S1G_bDpT10_ENKUlT_T0_E_clISt17integral_constantIbLb1EES1T_IbLb0EEEEDaS1P_S1Q_EUlS1P_E_NS1_11comp_targetILNS1_3genE5ELNS1_11target_archE942ELNS1_3gpuE9ELNS1_3repE0EEENS1_30default_config_static_selectorELNS0_4arch9wavefront6targetE1EEEvS12_,"axG",@progbits,_ZN7rocprim17ROCPRIM_400000_NS6detail17trampoline_kernelINS0_13select_configILj256ELj13ELNS0_17block_load_methodE3ELS4_3ELS4_3ELNS0_20block_scan_algorithmE0ELj4294967295EEENS1_25partition_config_selectorILNS1_17partition_subalgoE4EjNS0_10empty_typeEbEEZZNS1_14partition_implILS8_4ELb0ES6_15HIP_vector_typeIjLj2EENS0_17counting_iteratorIjlEEPS9_SG_NS0_5tupleIJPjSI_NS0_16reverse_iteratorISI_EEEEENSH_IJSG_SG_SG_EEES9_SI_JZNS1_25segmented_radix_sort_implINS0_14default_configELb1EPKaPaPKlPlN2at6native12_GLOBAL__N_18offset_tEEE10hipError_tPvRmT1_PNSt15iterator_traitsIS12_E10value_typeET2_T3_PNS13_IS18_E10value_typeET4_jRbjT5_S1E_jjP12ihipStream_tbEUljE_ZNSN_ISO_Lb1ESQ_SR_ST_SU_SY_EESZ_S10_S11_S12_S16_S17_S18_S1B_S1C_jS1D_jS1E_S1E_jjS1G_bEUljE0_EEESZ_S10_S11_S18_S1C_S1E_T6_T7_T9_mT8_S1G_bDpT10_ENKUlT_T0_E_clISt17integral_constantIbLb1EES1T_IbLb0EEEEDaS1P_S1Q_EUlS1P_E_NS1_11comp_targetILNS1_3genE5ELNS1_11target_archE942ELNS1_3gpuE9ELNS1_3repE0EEENS1_30default_config_static_selectorELNS0_4arch9wavefront6targetE1EEEvS12_,comdat
	.globl	_ZN7rocprim17ROCPRIM_400000_NS6detail17trampoline_kernelINS0_13select_configILj256ELj13ELNS0_17block_load_methodE3ELS4_3ELS4_3ELNS0_20block_scan_algorithmE0ELj4294967295EEENS1_25partition_config_selectorILNS1_17partition_subalgoE4EjNS0_10empty_typeEbEEZZNS1_14partition_implILS8_4ELb0ES6_15HIP_vector_typeIjLj2EENS0_17counting_iteratorIjlEEPS9_SG_NS0_5tupleIJPjSI_NS0_16reverse_iteratorISI_EEEEENSH_IJSG_SG_SG_EEES9_SI_JZNS1_25segmented_radix_sort_implINS0_14default_configELb1EPKaPaPKlPlN2at6native12_GLOBAL__N_18offset_tEEE10hipError_tPvRmT1_PNSt15iterator_traitsIS12_E10value_typeET2_T3_PNS13_IS18_E10value_typeET4_jRbjT5_S1E_jjP12ihipStream_tbEUljE_ZNSN_ISO_Lb1ESQ_SR_ST_SU_SY_EESZ_S10_S11_S12_S16_S17_S18_S1B_S1C_jS1D_jS1E_S1E_jjS1G_bEUljE0_EEESZ_S10_S11_S18_S1C_S1E_T6_T7_T9_mT8_S1G_bDpT10_ENKUlT_T0_E_clISt17integral_constantIbLb1EES1T_IbLb0EEEEDaS1P_S1Q_EUlS1P_E_NS1_11comp_targetILNS1_3genE5ELNS1_11target_archE942ELNS1_3gpuE9ELNS1_3repE0EEENS1_30default_config_static_selectorELNS0_4arch9wavefront6targetE1EEEvS12_ ; -- Begin function _ZN7rocprim17ROCPRIM_400000_NS6detail17trampoline_kernelINS0_13select_configILj256ELj13ELNS0_17block_load_methodE3ELS4_3ELS4_3ELNS0_20block_scan_algorithmE0ELj4294967295EEENS1_25partition_config_selectorILNS1_17partition_subalgoE4EjNS0_10empty_typeEbEEZZNS1_14partition_implILS8_4ELb0ES6_15HIP_vector_typeIjLj2EENS0_17counting_iteratorIjlEEPS9_SG_NS0_5tupleIJPjSI_NS0_16reverse_iteratorISI_EEEEENSH_IJSG_SG_SG_EEES9_SI_JZNS1_25segmented_radix_sort_implINS0_14default_configELb1EPKaPaPKlPlN2at6native12_GLOBAL__N_18offset_tEEE10hipError_tPvRmT1_PNSt15iterator_traitsIS12_E10value_typeET2_T3_PNS13_IS18_E10value_typeET4_jRbjT5_S1E_jjP12ihipStream_tbEUljE_ZNSN_ISO_Lb1ESQ_SR_ST_SU_SY_EESZ_S10_S11_S12_S16_S17_S18_S1B_S1C_jS1D_jS1E_S1E_jjS1G_bEUljE0_EEESZ_S10_S11_S18_S1C_S1E_T6_T7_T9_mT8_S1G_bDpT10_ENKUlT_T0_E_clISt17integral_constantIbLb1EES1T_IbLb0EEEEDaS1P_S1Q_EUlS1P_E_NS1_11comp_targetILNS1_3genE5ELNS1_11target_archE942ELNS1_3gpuE9ELNS1_3repE0EEENS1_30default_config_static_selectorELNS0_4arch9wavefront6targetE1EEEvS12_
	.p2align	8
	.type	_ZN7rocprim17ROCPRIM_400000_NS6detail17trampoline_kernelINS0_13select_configILj256ELj13ELNS0_17block_load_methodE3ELS4_3ELS4_3ELNS0_20block_scan_algorithmE0ELj4294967295EEENS1_25partition_config_selectorILNS1_17partition_subalgoE4EjNS0_10empty_typeEbEEZZNS1_14partition_implILS8_4ELb0ES6_15HIP_vector_typeIjLj2EENS0_17counting_iteratorIjlEEPS9_SG_NS0_5tupleIJPjSI_NS0_16reverse_iteratorISI_EEEEENSH_IJSG_SG_SG_EEES9_SI_JZNS1_25segmented_radix_sort_implINS0_14default_configELb1EPKaPaPKlPlN2at6native12_GLOBAL__N_18offset_tEEE10hipError_tPvRmT1_PNSt15iterator_traitsIS12_E10value_typeET2_T3_PNS13_IS18_E10value_typeET4_jRbjT5_S1E_jjP12ihipStream_tbEUljE_ZNSN_ISO_Lb1ESQ_SR_ST_SU_SY_EESZ_S10_S11_S12_S16_S17_S18_S1B_S1C_jS1D_jS1E_S1E_jjS1G_bEUljE0_EEESZ_S10_S11_S18_S1C_S1E_T6_T7_T9_mT8_S1G_bDpT10_ENKUlT_T0_E_clISt17integral_constantIbLb1EES1T_IbLb0EEEEDaS1P_S1Q_EUlS1P_E_NS1_11comp_targetILNS1_3genE5ELNS1_11target_archE942ELNS1_3gpuE9ELNS1_3repE0EEENS1_30default_config_static_selectorELNS0_4arch9wavefront6targetE1EEEvS12_,@function
_ZN7rocprim17ROCPRIM_400000_NS6detail17trampoline_kernelINS0_13select_configILj256ELj13ELNS0_17block_load_methodE3ELS4_3ELS4_3ELNS0_20block_scan_algorithmE0ELj4294967295EEENS1_25partition_config_selectorILNS1_17partition_subalgoE4EjNS0_10empty_typeEbEEZZNS1_14partition_implILS8_4ELb0ES6_15HIP_vector_typeIjLj2EENS0_17counting_iteratorIjlEEPS9_SG_NS0_5tupleIJPjSI_NS0_16reverse_iteratorISI_EEEEENSH_IJSG_SG_SG_EEES9_SI_JZNS1_25segmented_radix_sort_implINS0_14default_configELb1EPKaPaPKlPlN2at6native12_GLOBAL__N_18offset_tEEE10hipError_tPvRmT1_PNSt15iterator_traitsIS12_E10value_typeET2_T3_PNS13_IS18_E10value_typeET4_jRbjT5_S1E_jjP12ihipStream_tbEUljE_ZNSN_ISO_Lb1ESQ_SR_ST_SU_SY_EESZ_S10_S11_S12_S16_S17_S18_S1B_S1C_jS1D_jS1E_S1E_jjS1G_bEUljE0_EEESZ_S10_S11_S18_S1C_S1E_T6_T7_T9_mT8_S1G_bDpT10_ENKUlT_T0_E_clISt17integral_constantIbLb1EES1T_IbLb0EEEEDaS1P_S1Q_EUlS1P_E_NS1_11comp_targetILNS1_3genE5ELNS1_11target_archE942ELNS1_3gpuE9ELNS1_3repE0EEENS1_30default_config_static_selectorELNS0_4arch9wavefront6targetE1EEEvS12_: ; @_ZN7rocprim17ROCPRIM_400000_NS6detail17trampoline_kernelINS0_13select_configILj256ELj13ELNS0_17block_load_methodE3ELS4_3ELS4_3ELNS0_20block_scan_algorithmE0ELj4294967295EEENS1_25partition_config_selectorILNS1_17partition_subalgoE4EjNS0_10empty_typeEbEEZZNS1_14partition_implILS8_4ELb0ES6_15HIP_vector_typeIjLj2EENS0_17counting_iteratorIjlEEPS9_SG_NS0_5tupleIJPjSI_NS0_16reverse_iteratorISI_EEEEENSH_IJSG_SG_SG_EEES9_SI_JZNS1_25segmented_radix_sort_implINS0_14default_configELb1EPKaPaPKlPlN2at6native12_GLOBAL__N_18offset_tEEE10hipError_tPvRmT1_PNSt15iterator_traitsIS12_E10value_typeET2_T3_PNS13_IS18_E10value_typeET4_jRbjT5_S1E_jjP12ihipStream_tbEUljE_ZNSN_ISO_Lb1ESQ_SR_ST_SU_SY_EESZ_S10_S11_S12_S16_S17_S18_S1B_S1C_jS1D_jS1E_S1E_jjS1G_bEUljE0_EEESZ_S10_S11_S18_S1C_S1E_T6_T7_T9_mT8_S1G_bDpT10_ENKUlT_T0_E_clISt17integral_constantIbLb1EES1T_IbLb0EEEEDaS1P_S1Q_EUlS1P_E_NS1_11comp_targetILNS1_3genE5ELNS1_11target_archE942ELNS1_3gpuE9ELNS1_3repE0EEENS1_30default_config_static_selectorELNS0_4arch9wavefront6targetE1EEEvS12_
; %bb.0:
	.section	.rodata,"a",@progbits
	.p2align	6, 0x0
	.amdhsa_kernel _ZN7rocprim17ROCPRIM_400000_NS6detail17trampoline_kernelINS0_13select_configILj256ELj13ELNS0_17block_load_methodE3ELS4_3ELS4_3ELNS0_20block_scan_algorithmE0ELj4294967295EEENS1_25partition_config_selectorILNS1_17partition_subalgoE4EjNS0_10empty_typeEbEEZZNS1_14partition_implILS8_4ELb0ES6_15HIP_vector_typeIjLj2EENS0_17counting_iteratorIjlEEPS9_SG_NS0_5tupleIJPjSI_NS0_16reverse_iteratorISI_EEEEENSH_IJSG_SG_SG_EEES9_SI_JZNS1_25segmented_radix_sort_implINS0_14default_configELb1EPKaPaPKlPlN2at6native12_GLOBAL__N_18offset_tEEE10hipError_tPvRmT1_PNSt15iterator_traitsIS12_E10value_typeET2_T3_PNS13_IS18_E10value_typeET4_jRbjT5_S1E_jjP12ihipStream_tbEUljE_ZNSN_ISO_Lb1ESQ_SR_ST_SU_SY_EESZ_S10_S11_S12_S16_S17_S18_S1B_S1C_jS1D_jS1E_S1E_jjS1G_bEUljE0_EEESZ_S10_S11_S18_S1C_S1E_T6_T7_T9_mT8_S1G_bDpT10_ENKUlT_T0_E_clISt17integral_constantIbLb1EES1T_IbLb0EEEEDaS1P_S1Q_EUlS1P_E_NS1_11comp_targetILNS1_3genE5ELNS1_11target_archE942ELNS1_3gpuE9ELNS1_3repE0EEENS1_30default_config_static_selectorELNS0_4arch9wavefront6targetE1EEEvS12_
		.amdhsa_group_segment_fixed_size 0
		.amdhsa_private_segment_fixed_size 0
		.amdhsa_kernarg_size 176
		.amdhsa_user_sgpr_count 6
		.amdhsa_user_sgpr_private_segment_buffer 1
		.amdhsa_user_sgpr_dispatch_ptr 0
		.amdhsa_user_sgpr_queue_ptr 0
		.amdhsa_user_sgpr_kernarg_segment_ptr 1
		.amdhsa_user_sgpr_dispatch_id 0
		.amdhsa_user_sgpr_flat_scratch_init 0
		.amdhsa_user_sgpr_kernarg_preload_length 0
		.amdhsa_user_sgpr_kernarg_preload_offset 0
		.amdhsa_user_sgpr_private_segment_size 0
		.amdhsa_uses_dynamic_stack 0
		.amdhsa_system_sgpr_private_segment_wavefront_offset 0
		.amdhsa_system_sgpr_workgroup_id_x 1
		.amdhsa_system_sgpr_workgroup_id_y 0
		.amdhsa_system_sgpr_workgroup_id_z 0
		.amdhsa_system_sgpr_workgroup_info 0
		.amdhsa_system_vgpr_workitem_id 0
		.amdhsa_next_free_vgpr 1
		.amdhsa_next_free_sgpr 0
		.amdhsa_accum_offset 4
		.amdhsa_reserve_vcc 0
		.amdhsa_reserve_flat_scratch 0
		.amdhsa_float_round_mode_32 0
		.amdhsa_float_round_mode_16_64 0
		.amdhsa_float_denorm_mode_32 3
		.amdhsa_float_denorm_mode_16_64 3
		.amdhsa_dx10_clamp 1
		.amdhsa_ieee_mode 1
		.amdhsa_fp16_overflow 0
		.amdhsa_tg_split 0
		.amdhsa_exception_fp_ieee_invalid_op 0
		.amdhsa_exception_fp_denorm_src 0
		.amdhsa_exception_fp_ieee_div_zero 0
		.amdhsa_exception_fp_ieee_overflow 0
		.amdhsa_exception_fp_ieee_underflow 0
		.amdhsa_exception_fp_ieee_inexact 0
		.amdhsa_exception_int_div_zero 0
	.end_amdhsa_kernel
	.section	.text._ZN7rocprim17ROCPRIM_400000_NS6detail17trampoline_kernelINS0_13select_configILj256ELj13ELNS0_17block_load_methodE3ELS4_3ELS4_3ELNS0_20block_scan_algorithmE0ELj4294967295EEENS1_25partition_config_selectorILNS1_17partition_subalgoE4EjNS0_10empty_typeEbEEZZNS1_14partition_implILS8_4ELb0ES6_15HIP_vector_typeIjLj2EENS0_17counting_iteratorIjlEEPS9_SG_NS0_5tupleIJPjSI_NS0_16reverse_iteratorISI_EEEEENSH_IJSG_SG_SG_EEES9_SI_JZNS1_25segmented_radix_sort_implINS0_14default_configELb1EPKaPaPKlPlN2at6native12_GLOBAL__N_18offset_tEEE10hipError_tPvRmT1_PNSt15iterator_traitsIS12_E10value_typeET2_T3_PNS13_IS18_E10value_typeET4_jRbjT5_S1E_jjP12ihipStream_tbEUljE_ZNSN_ISO_Lb1ESQ_SR_ST_SU_SY_EESZ_S10_S11_S12_S16_S17_S18_S1B_S1C_jS1D_jS1E_S1E_jjS1G_bEUljE0_EEESZ_S10_S11_S18_S1C_S1E_T6_T7_T9_mT8_S1G_bDpT10_ENKUlT_T0_E_clISt17integral_constantIbLb1EES1T_IbLb0EEEEDaS1P_S1Q_EUlS1P_E_NS1_11comp_targetILNS1_3genE5ELNS1_11target_archE942ELNS1_3gpuE9ELNS1_3repE0EEENS1_30default_config_static_selectorELNS0_4arch9wavefront6targetE1EEEvS12_,"axG",@progbits,_ZN7rocprim17ROCPRIM_400000_NS6detail17trampoline_kernelINS0_13select_configILj256ELj13ELNS0_17block_load_methodE3ELS4_3ELS4_3ELNS0_20block_scan_algorithmE0ELj4294967295EEENS1_25partition_config_selectorILNS1_17partition_subalgoE4EjNS0_10empty_typeEbEEZZNS1_14partition_implILS8_4ELb0ES6_15HIP_vector_typeIjLj2EENS0_17counting_iteratorIjlEEPS9_SG_NS0_5tupleIJPjSI_NS0_16reverse_iteratorISI_EEEEENSH_IJSG_SG_SG_EEES9_SI_JZNS1_25segmented_radix_sort_implINS0_14default_configELb1EPKaPaPKlPlN2at6native12_GLOBAL__N_18offset_tEEE10hipError_tPvRmT1_PNSt15iterator_traitsIS12_E10value_typeET2_T3_PNS13_IS18_E10value_typeET4_jRbjT5_S1E_jjP12ihipStream_tbEUljE_ZNSN_ISO_Lb1ESQ_SR_ST_SU_SY_EESZ_S10_S11_S12_S16_S17_S18_S1B_S1C_jS1D_jS1E_S1E_jjS1G_bEUljE0_EEESZ_S10_S11_S18_S1C_S1E_T6_T7_T9_mT8_S1G_bDpT10_ENKUlT_T0_E_clISt17integral_constantIbLb1EES1T_IbLb0EEEEDaS1P_S1Q_EUlS1P_E_NS1_11comp_targetILNS1_3genE5ELNS1_11target_archE942ELNS1_3gpuE9ELNS1_3repE0EEENS1_30default_config_static_selectorELNS0_4arch9wavefront6targetE1EEEvS12_,comdat
.Lfunc_end243:
	.size	_ZN7rocprim17ROCPRIM_400000_NS6detail17trampoline_kernelINS0_13select_configILj256ELj13ELNS0_17block_load_methodE3ELS4_3ELS4_3ELNS0_20block_scan_algorithmE0ELj4294967295EEENS1_25partition_config_selectorILNS1_17partition_subalgoE4EjNS0_10empty_typeEbEEZZNS1_14partition_implILS8_4ELb0ES6_15HIP_vector_typeIjLj2EENS0_17counting_iteratorIjlEEPS9_SG_NS0_5tupleIJPjSI_NS0_16reverse_iteratorISI_EEEEENSH_IJSG_SG_SG_EEES9_SI_JZNS1_25segmented_radix_sort_implINS0_14default_configELb1EPKaPaPKlPlN2at6native12_GLOBAL__N_18offset_tEEE10hipError_tPvRmT1_PNSt15iterator_traitsIS12_E10value_typeET2_T3_PNS13_IS18_E10value_typeET4_jRbjT5_S1E_jjP12ihipStream_tbEUljE_ZNSN_ISO_Lb1ESQ_SR_ST_SU_SY_EESZ_S10_S11_S12_S16_S17_S18_S1B_S1C_jS1D_jS1E_S1E_jjS1G_bEUljE0_EEESZ_S10_S11_S18_S1C_S1E_T6_T7_T9_mT8_S1G_bDpT10_ENKUlT_T0_E_clISt17integral_constantIbLb1EES1T_IbLb0EEEEDaS1P_S1Q_EUlS1P_E_NS1_11comp_targetILNS1_3genE5ELNS1_11target_archE942ELNS1_3gpuE9ELNS1_3repE0EEENS1_30default_config_static_selectorELNS0_4arch9wavefront6targetE1EEEvS12_, .Lfunc_end243-_ZN7rocprim17ROCPRIM_400000_NS6detail17trampoline_kernelINS0_13select_configILj256ELj13ELNS0_17block_load_methodE3ELS4_3ELS4_3ELNS0_20block_scan_algorithmE0ELj4294967295EEENS1_25partition_config_selectorILNS1_17partition_subalgoE4EjNS0_10empty_typeEbEEZZNS1_14partition_implILS8_4ELb0ES6_15HIP_vector_typeIjLj2EENS0_17counting_iteratorIjlEEPS9_SG_NS0_5tupleIJPjSI_NS0_16reverse_iteratorISI_EEEEENSH_IJSG_SG_SG_EEES9_SI_JZNS1_25segmented_radix_sort_implINS0_14default_configELb1EPKaPaPKlPlN2at6native12_GLOBAL__N_18offset_tEEE10hipError_tPvRmT1_PNSt15iterator_traitsIS12_E10value_typeET2_T3_PNS13_IS18_E10value_typeET4_jRbjT5_S1E_jjP12ihipStream_tbEUljE_ZNSN_ISO_Lb1ESQ_SR_ST_SU_SY_EESZ_S10_S11_S12_S16_S17_S18_S1B_S1C_jS1D_jS1E_S1E_jjS1G_bEUljE0_EEESZ_S10_S11_S18_S1C_S1E_T6_T7_T9_mT8_S1G_bDpT10_ENKUlT_T0_E_clISt17integral_constantIbLb1EES1T_IbLb0EEEEDaS1P_S1Q_EUlS1P_E_NS1_11comp_targetILNS1_3genE5ELNS1_11target_archE942ELNS1_3gpuE9ELNS1_3repE0EEENS1_30default_config_static_selectorELNS0_4arch9wavefront6targetE1EEEvS12_
                                        ; -- End function
	.section	.AMDGPU.csdata,"",@progbits
; Kernel info:
; codeLenInByte = 0
; NumSgprs: 4
; NumVgprs: 0
; NumAgprs: 0
; TotalNumVgprs: 0
; ScratchSize: 0
; MemoryBound: 0
; FloatMode: 240
; IeeeMode: 1
; LDSByteSize: 0 bytes/workgroup (compile time only)
; SGPRBlocks: 0
; VGPRBlocks: 0
; NumSGPRsForWavesPerEU: 4
; NumVGPRsForWavesPerEU: 1
; AccumOffset: 4
; Occupancy: 8
; WaveLimiterHint : 0
; COMPUTE_PGM_RSRC2:SCRATCH_EN: 0
; COMPUTE_PGM_RSRC2:USER_SGPR: 6
; COMPUTE_PGM_RSRC2:TRAP_HANDLER: 0
; COMPUTE_PGM_RSRC2:TGID_X_EN: 1
; COMPUTE_PGM_RSRC2:TGID_Y_EN: 0
; COMPUTE_PGM_RSRC2:TGID_Z_EN: 0
; COMPUTE_PGM_RSRC2:TIDIG_COMP_CNT: 0
; COMPUTE_PGM_RSRC3_GFX90A:ACCUM_OFFSET: 0
; COMPUTE_PGM_RSRC3_GFX90A:TG_SPLIT: 0
	.section	.text._ZN7rocprim17ROCPRIM_400000_NS6detail17trampoline_kernelINS0_13select_configILj256ELj13ELNS0_17block_load_methodE3ELS4_3ELS4_3ELNS0_20block_scan_algorithmE0ELj4294967295EEENS1_25partition_config_selectorILNS1_17partition_subalgoE4EjNS0_10empty_typeEbEEZZNS1_14partition_implILS8_4ELb0ES6_15HIP_vector_typeIjLj2EENS0_17counting_iteratorIjlEEPS9_SG_NS0_5tupleIJPjSI_NS0_16reverse_iteratorISI_EEEEENSH_IJSG_SG_SG_EEES9_SI_JZNS1_25segmented_radix_sort_implINS0_14default_configELb1EPKaPaPKlPlN2at6native12_GLOBAL__N_18offset_tEEE10hipError_tPvRmT1_PNSt15iterator_traitsIS12_E10value_typeET2_T3_PNS13_IS18_E10value_typeET4_jRbjT5_S1E_jjP12ihipStream_tbEUljE_ZNSN_ISO_Lb1ESQ_SR_ST_SU_SY_EESZ_S10_S11_S12_S16_S17_S18_S1B_S1C_jS1D_jS1E_S1E_jjS1G_bEUljE0_EEESZ_S10_S11_S18_S1C_S1E_T6_T7_T9_mT8_S1G_bDpT10_ENKUlT_T0_E_clISt17integral_constantIbLb1EES1T_IbLb0EEEEDaS1P_S1Q_EUlS1P_E_NS1_11comp_targetILNS1_3genE4ELNS1_11target_archE910ELNS1_3gpuE8ELNS1_3repE0EEENS1_30default_config_static_selectorELNS0_4arch9wavefront6targetE1EEEvS12_,"axG",@progbits,_ZN7rocprim17ROCPRIM_400000_NS6detail17trampoline_kernelINS0_13select_configILj256ELj13ELNS0_17block_load_methodE3ELS4_3ELS4_3ELNS0_20block_scan_algorithmE0ELj4294967295EEENS1_25partition_config_selectorILNS1_17partition_subalgoE4EjNS0_10empty_typeEbEEZZNS1_14partition_implILS8_4ELb0ES6_15HIP_vector_typeIjLj2EENS0_17counting_iteratorIjlEEPS9_SG_NS0_5tupleIJPjSI_NS0_16reverse_iteratorISI_EEEEENSH_IJSG_SG_SG_EEES9_SI_JZNS1_25segmented_radix_sort_implINS0_14default_configELb1EPKaPaPKlPlN2at6native12_GLOBAL__N_18offset_tEEE10hipError_tPvRmT1_PNSt15iterator_traitsIS12_E10value_typeET2_T3_PNS13_IS18_E10value_typeET4_jRbjT5_S1E_jjP12ihipStream_tbEUljE_ZNSN_ISO_Lb1ESQ_SR_ST_SU_SY_EESZ_S10_S11_S12_S16_S17_S18_S1B_S1C_jS1D_jS1E_S1E_jjS1G_bEUljE0_EEESZ_S10_S11_S18_S1C_S1E_T6_T7_T9_mT8_S1G_bDpT10_ENKUlT_T0_E_clISt17integral_constantIbLb1EES1T_IbLb0EEEEDaS1P_S1Q_EUlS1P_E_NS1_11comp_targetILNS1_3genE4ELNS1_11target_archE910ELNS1_3gpuE8ELNS1_3repE0EEENS1_30default_config_static_selectorELNS0_4arch9wavefront6targetE1EEEvS12_,comdat
	.globl	_ZN7rocprim17ROCPRIM_400000_NS6detail17trampoline_kernelINS0_13select_configILj256ELj13ELNS0_17block_load_methodE3ELS4_3ELS4_3ELNS0_20block_scan_algorithmE0ELj4294967295EEENS1_25partition_config_selectorILNS1_17partition_subalgoE4EjNS0_10empty_typeEbEEZZNS1_14partition_implILS8_4ELb0ES6_15HIP_vector_typeIjLj2EENS0_17counting_iteratorIjlEEPS9_SG_NS0_5tupleIJPjSI_NS0_16reverse_iteratorISI_EEEEENSH_IJSG_SG_SG_EEES9_SI_JZNS1_25segmented_radix_sort_implINS0_14default_configELb1EPKaPaPKlPlN2at6native12_GLOBAL__N_18offset_tEEE10hipError_tPvRmT1_PNSt15iterator_traitsIS12_E10value_typeET2_T3_PNS13_IS18_E10value_typeET4_jRbjT5_S1E_jjP12ihipStream_tbEUljE_ZNSN_ISO_Lb1ESQ_SR_ST_SU_SY_EESZ_S10_S11_S12_S16_S17_S18_S1B_S1C_jS1D_jS1E_S1E_jjS1G_bEUljE0_EEESZ_S10_S11_S18_S1C_S1E_T6_T7_T9_mT8_S1G_bDpT10_ENKUlT_T0_E_clISt17integral_constantIbLb1EES1T_IbLb0EEEEDaS1P_S1Q_EUlS1P_E_NS1_11comp_targetILNS1_3genE4ELNS1_11target_archE910ELNS1_3gpuE8ELNS1_3repE0EEENS1_30default_config_static_selectorELNS0_4arch9wavefront6targetE1EEEvS12_ ; -- Begin function _ZN7rocprim17ROCPRIM_400000_NS6detail17trampoline_kernelINS0_13select_configILj256ELj13ELNS0_17block_load_methodE3ELS4_3ELS4_3ELNS0_20block_scan_algorithmE0ELj4294967295EEENS1_25partition_config_selectorILNS1_17partition_subalgoE4EjNS0_10empty_typeEbEEZZNS1_14partition_implILS8_4ELb0ES6_15HIP_vector_typeIjLj2EENS0_17counting_iteratorIjlEEPS9_SG_NS0_5tupleIJPjSI_NS0_16reverse_iteratorISI_EEEEENSH_IJSG_SG_SG_EEES9_SI_JZNS1_25segmented_radix_sort_implINS0_14default_configELb1EPKaPaPKlPlN2at6native12_GLOBAL__N_18offset_tEEE10hipError_tPvRmT1_PNSt15iterator_traitsIS12_E10value_typeET2_T3_PNS13_IS18_E10value_typeET4_jRbjT5_S1E_jjP12ihipStream_tbEUljE_ZNSN_ISO_Lb1ESQ_SR_ST_SU_SY_EESZ_S10_S11_S12_S16_S17_S18_S1B_S1C_jS1D_jS1E_S1E_jjS1G_bEUljE0_EEESZ_S10_S11_S18_S1C_S1E_T6_T7_T9_mT8_S1G_bDpT10_ENKUlT_T0_E_clISt17integral_constantIbLb1EES1T_IbLb0EEEEDaS1P_S1Q_EUlS1P_E_NS1_11comp_targetILNS1_3genE4ELNS1_11target_archE910ELNS1_3gpuE8ELNS1_3repE0EEENS1_30default_config_static_selectorELNS0_4arch9wavefront6targetE1EEEvS12_
	.p2align	8
	.type	_ZN7rocprim17ROCPRIM_400000_NS6detail17trampoline_kernelINS0_13select_configILj256ELj13ELNS0_17block_load_methodE3ELS4_3ELS4_3ELNS0_20block_scan_algorithmE0ELj4294967295EEENS1_25partition_config_selectorILNS1_17partition_subalgoE4EjNS0_10empty_typeEbEEZZNS1_14partition_implILS8_4ELb0ES6_15HIP_vector_typeIjLj2EENS0_17counting_iteratorIjlEEPS9_SG_NS0_5tupleIJPjSI_NS0_16reverse_iteratorISI_EEEEENSH_IJSG_SG_SG_EEES9_SI_JZNS1_25segmented_radix_sort_implINS0_14default_configELb1EPKaPaPKlPlN2at6native12_GLOBAL__N_18offset_tEEE10hipError_tPvRmT1_PNSt15iterator_traitsIS12_E10value_typeET2_T3_PNS13_IS18_E10value_typeET4_jRbjT5_S1E_jjP12ihipStream_tbEUljE_ZNSN_ISO_Lb1ESQ_SR_ST_SU_SY_EESZ_S10_S11_S12_S16_S17_S18_S1B_S1C_jS1D_jS1E_S1E_jjS1G_bEUljE0_EEESZ_S10_S11_S18_S1C_S1E_T6_T7_T9_mT8_S1G_bDpT10_ENKUlT_T0_E_clISt17integral_constantIbLb1EES1T_IbLb0EEEEDaS1P_S1Q_EUlS1P_E_NS1_11comp_targetILNS1_3genE4ELNS1_11target_archE910ELNS1_3gpuE8ELNS1_3repE0EEENS1_30default_config_static_selectorELNS0_4arch9wavefront6targetE1EEEvS12_,@function
_ZN7rocprim17ROCPRIM_400000_NS6detail17trampoline_kernelINS0_13select_configILj256ELj13ELNS0_17block_load_methodE3ELS4_3ELS4_3ELNS0_20block_scan_algorithmE0ELj4294967295EEENS1_25partition_config_selectorILNS1_17partition_subalgoE4EjNS0_10empty_typeEbEEZZNS1_14partition_implILS8_4ELb0ES6_15HIP_vector_typeIjLj2EENS0_17counting_iteratorIjlEEPS9_SG_NS0_5tupleIJPjSI_NS0_16reverse_iteratorISI_EEEEENSH_IJSG_SG_SG_EEES9_SI_JZNS1_25segmented_radix_sort_implINS0_14default_configELb1EPKaPaPKlPlN2at6native12_GLOBAL__N_18offset_tEEE10hipError_tPvRmT1_PNSt15iterator_traitsIS12_E10value_typeET2_T3_PNS13_IS18_E10value_typeET4_jRbjT5_S1E_jjP12ihipStream_tbEUljE_ZNSN_ISO_Lb1ESQ_SR_ST_SU_SY_EESZ_S10_S11_S12_S16_S17_S18_S1B_S1C_jS1D_jS1E_S1E_jjS1G_bEUljE0_EEESZ_S10_S11_S18_S1C_S1E_T6_T7_T9_mT8_S1G_bDpT10_ENKUlT_T0_E_clISt17integral_constantIbLb1EES1T_IbLb0EEEEDaS1P_S1Q_EUlS1P_E_NS1_11comp_targetILNS1_3genE4ELNS1_11target_archE910ELNS1_3gpuE8ELNS1_3repE0EEENS1_30default_config_static_selectorELNS0_4arch9wavefront6targetE1EEEvS12_: ; @_ZN7rocprim17ROCPRIM_400000_NS6detail17trampoline_kernelINS0_13select_configILj256ELj13ELNS0_17block_load_methodE3ELS4_3ELS4_3ELNS0_20block_scan_algorithmE0ELj4294967295EEENS1_25partition_config_selectorILNS1_17partition_subalgoE4EjNS0_10empty_typeEbEEZZNS1_14partition_implILS8_4ELb0ES6_15HIP_vector_typeIjLj2EENS0_17counting_iteratorIjlEEPS9_SG_NS0_5tupleIJPjSI_NS0_16reverse_iteratorISI_EEEEENSH_IJSG_SG_SG_EEES9_SI_JZNS1_25segmented_radix_sort_implINS0_14default_configELb1EPKaPaPKlPlN2at6native12_GLOBAL__N_18offset_tEEE10hipError_tPvRmT1_PNSt15iterator_traitsIS12_E10value_typeET2_T3_PNS13_IS18_E10value_typeET4_jRbjT5_S1E_jjP12ihipStream_tbEUljE_ZNSN_ISO_Lb1ESQ_SR_ST_SU_SY_EESZ_S10_S11_S12_S16_S17_S18_S1B_S1C_jS1D_jS1E_S1E_jjS1G_bEUljE0_EEESZ_S10_S11_S18_S1C_S1E_T6_T7_T9_mT8_S1G_bDpT10_ENKUlT_T0_E_clISt17integral_constantIbLb1EES1T_IbLb0EEEEDaS1P_S1Q_EUlS1P_E_NS1_11comp_targetILNS1_3genE4ELNS1_11target_archE910ELNS1_3gpuE8ELNS1_3repE0EEENS1_30default_config_static_selectorELNS0_4arch9wavefront6targetE1EEEvS12_
; %bb.0:
	s_load_dwordx2 s[0:1], s[4:5], 0x68
	s_load_dword s7, s[4:5], 0x8
	s_load_dwordx2 s[56:57], s[4:5], 0x10
	s_load_dwordx4 s[44:47], s[4:5], 0x58
	s_mul_i32 s33, s6, 0xd00
	s_waitcnt lgkmcnt(0)
	v_mov_b32_e32 v3, s1
	v_mov_b32_e32 v2, s0
	s_load_dword s1, s[4:5], 0x80
	s_load_dwordx2 s[60:61], s[4:5], 0xa8
	s_load_dwordx8 s[36:43], s[4:5], 0x88
	s_load_dwordx4 s[48:51], s[46:47], 0x0
	s_waitcnt lgkmcnt(0)
	s_add_i32 s8, s1, -1
	s_mulk_i32 s1, 0xd00
	s_add_u32 s2, s56, s1
	s_addc_u32 s3, s57, 0
	s_cmp_eq_u32 s6, s8
	s_cselect_b64 s[30:31], -1, 0
	s_cmp_lg_u32 s6, s8
	v_cmp_lt_u64_e32 vcc, s[2:3], v[2:3]
	s_cselect_b64 s[2:3], -1, 0
	s_add_i32 s7, s7, s33
	s_or_b64 s[2:3], s[2:3], vcc
	s_add_i32 s7, s7, s56
	v_add_u32_e32 v1, s7, v0
	s_mov_b64 s[8:9], -1
	s_and_b64 vcc, exec, s[2:3]
	s_cbranch_vccz .LBB244_2
; %bb.1:
	v_add_u32_e32 v2, 0x100, v1
	v_lshlrev_b32_e32 v14, 2, v0
	v_add_u32_e32 v3, 0x200, v1
	v_add_u32_e32 v4, 0x300, v1
	;; [unrolled: 1-line block ×11, first 2 shown]
	ds_write2st64_b32 v14, v1, v2 offset1:4
	ds_write2st64_b32 v14, v3, v4 offset0:8 offset1:12
	ds_write2st64_b32 v14, v5, v6 offset0:16 offset1:20
	;; [unrolled: 1-line block ×5, first 2 shown]
	ds_write_b32 v14, v13 offset:12288
	s_waitcnt lgkmcnt(0)
	s_barrier
	s_mov_b64 s[8:9], 0
.LBB244_2:
	s_andn2_b64 vcc, exec, s[8:9]
	s_add_i32 s1, s1, s56
	s_cbranch_vccnz .LBB244_4
; %bb.3:
	v_add_u32_e32 v2, 0x100, v1
	v_lshlrev_b32_e32 v14, 2, v0
	v_add_u32_e32 v3, 0x200, v1
	v_add_u32_e32 v4, 0x300, v1
	;; [unrolled: 1-line block ×11, first 2 shown]
	ds_write2st64_b32 v14, v1, v2 offset1:4
	ds_write2st64_b32 v14, v3, v4 offset0:8 offset1:12
	ds_write2st64_b32 v14, v5, v6 offset0:16 offset1:20
	;; [unrolled: 1-line block ×5, first 2 shown]
	ds_write_b32 v14, v13 offset:12288
	s_waitcnt lgkmcnt(0)
	s_barrier
.LBB244_4:
	v_mul_u32_u24_e32 v31, 13, v0
	v_lshlrev_b32_e32 v1, 2, v31
	s_load_dwordx4 s[52:55], s[4:5], 0x28
	s_load_dwordx2 s[34:35], s[4:5], 0x38
	s_waitcnt lgkmcnt(0)
	ds_read2_b32 v[18:19], v1 offset1:1
	ds_read2_b32 v[16:17], v1 offset0:2 offset1:3
	ds_read2_b32 v[14:15], v1 offset0:4 offset1:5
	;; [unrolled: 1-line block ×5, first 2 shown]
	ds_read_b32 v30, v1 offset:48
	v_cndmask_b32_e64 v1, 0, 1, s[2:3]
	s_sub_i32 s7, s0, s1
	v_cmp_ne_u32_e64 s[0:1], 1, v1
	s_andn2_b64 vcc, exec, s[2:3]
	s_waitcnt lgkmcnt(0)
	s_barrier
	s_cbranch_vccnz .LBB244_32
; %bb.5:
	v_add_u32_e32 v1, s37, v18
	v_add_u32_e32 v2, s39, v18
	v_mul_lo_u32 v1, v1, s36
	v_mul_lo_u32 v2, v2, s38
	v_sub_u32_e32 v1, v1, v2
	v_cmp_lt_u32_e32 vcc, s40, v1
	v_cmp_ge_u32_e64 s[2:3], s40, v1
	s_mov_b64 s[64:65], 0
	s_mov_b64 s[62:63], 0
	s_and_saveexec_b64 s[8:9], s[2:3]
; %bb.6:
	v_add_u32_e32 v1, s42, v18
	v_add_u32_e32 v2, s60, v18
	v_mul_lo_u32 v1, v1, s41
	v_mul_lo_u32 v2, v2, s43
	v_sub_u32_e32 v1, v1, v2
	v_cmp_lt_u32_e64 s[2:3], s61, v1
	s_and_b64 s[62:63], s[2:3], exec
; %bb.7:
	s_or_b64 exec, exec, s[8:9]
	v_add_u32_e32 v1, s37, v19
	v_add_u32_e32 v2, s39, v19
	v_mul_lo_u32 v1, v1, s36
	v_mul_lo_u32 v2, v2, s38
	v_sub_u32_e32 v1, v1, v2
	v_cmp_lt_u32_e64 s[2:3], s40, v1
	v_cmp_ge_u32_e64 s[8:9], s40, v1
	s_and_saveexec_b64 s[10:11], s[8:9]
; %bb.8:
	v_add_u32_e32 v1, s42, v19
	v_add_u32_e32 v2, s60, v19
	v_mul_lo_u32 v1, v1, s41
	v_mul_lo_u32 v2, v2, s43
	v_sub_u32_e32 v1, v1, v2
	v_cmp_lt_u32_e64 s[8:9], s61, v1
	s_and_b64 s[64:65], s[8:9], exec
; %bb.9:
	s_or_b64 exec, exec, s[10:11]
	v_add_u32_e32 v1, s37, v16
	v_add_u32_e32 v2, s39, v16
	v_mul_lo_u32 v1, v1, s36
	v_mul_lo_u32 v2, v2, s38
	v_sub_u32_e32 v1, v1, v2
	v_cmp_lt_u32_e64 s[26:27], s40, v1
	v_cmp_ge_u32_e64 s[8:9], s40, v1
	s_mov_b64 s[68:69], 0
	s_mov_b64 s[66:67], 0
	s_and_saveexec_b64 s[10:11], s[8:9]
; %bb.10:
	v_add_u32_e32 v1, s42, v16
	v_add_u32_e32 v2, s60, v16
	v_mul_lo_u32 v1, v1, s41
	v_mul_lo_u32 v2, v2, s43
	v_sub_u32_e32 v1, v1, v2
	v_cmp_lt_u32_e64 s[8:9], s61, v1
	s_and_b64 s[66:67], s[8:9], exec
; %bb.11:
	s_or_b64 exec, exec, s[10:11]
	v_add_u32_e32 v1, s37, v17
	v_add_u32_e32 v2, s39, v17
	v_mul_lo_u32 v1, v1, s36
	v_mul_lo_u32 v2, v2, s38
	v_sub_u32_e32 v1, v1, v2
	v_cmp_lt_u32_e64 s[8:9], s40, v1
	v_cmp_ge_u32_e64 s[10:11], s40, v1
	s_and_saveexec_b64 s[12:13], s[10:11]
; %bb.12:
	v_add_u32_e32 v1, s42, v17
	v_add_u32_e32 v2, s60, v17
	v_mul_lo_u32 v1, v1, s41
	v_mul_lo_u32 v2, v2, s43
	v_sub_u32_e32 v1, v1, v2
	v_cmp_lt_u32_e64 s[10:11], s61, v1
	s_and_b64 s[68:69], s[10:11], exec
; %bb.13:
	s_or_b64 exec, exec, s[12:13]
	v_add_u32_e32 v1, s37, v14
	v_add_u32_e32 v2, s39, v14
	v_mul_lo_u32 v1, v1, s36
	v_mul_lo_u32 v2, v2, s38
	v_sub_u32_e32 v1, v1, v2
	v_cmp_lt_u32_e64 s[10:11], s40, v1
	;; [unrolled: 38-line block ×5, first 2 shown]
	v_cmp_ge_u32_e64 s[24:25], s40, v1
	s_mov_b64 s[84:85], 0
	s_mov_b64 s[86:87], 0
	s_and_saveexec_b64 s[28:29], s[24:25]
; %bb.26:
	v_add_u32_e32 v1, s42, v8
	v_add_u32_e32 v2, s60, v8
	v_mul_lo_u32 v1, v1, s41
	v_mul_lo_u32 v2, v2, s43
	v_sub_u32_e32 v1, v1, v2
	v_cmp_lt_u32_e64 s[24:25], s61, v1
	s_and_b64 s[86:87], s[24:25], exec
; %bb.27:
	s_or_b64 exec, exec, s[28:29]
	v_add_u32_e32 v1, s37, v9
	v_add_u32_e32 v2, s39, v9
	v_mul_lo_u32 v1, v1, s36
	v_mul_lo_u32 v2, v2, s38
	v_sub_u32_e32 v1, v1, v2
	v_cmp_lt_u32_e64 s[24:25], s40, v1
	v_cmp_ge_u32_e64 s[28:29], s40, v1
	s_and_saveexec_b64 s[46:47], s[28:29]
; %bb.28:
	v_add_u32_e32 v1, s42, v9
	v_add_u32_e32 v2, s60, v9
	v_mul_lo_u32 v1, v1, s41
	v_mul_lo_u32 v2, v2, s43
	v_sub_u32_e32 v1, v1, v2
	v_cmp_lt_u32_e64 s[28:29], s61, v1
	s_and_b64 s[84:85], s[28:29], exec
; %bb.29:
	s_or_b64 exec, exec, s[46:47]
	v_add_u32_e32 v1, s37, v30
	v_add_u32_e32 v2, s39, v30
	v_mul_lo_u32 v1, v1, s36
	v_mul_lo_u32 v2, v2, s38
	v_sub_u32_e32 v1, v1, v2
	v_cmp_ge_u32_e64 s[28:29], s40, v1
	s_mov_b64 s[46:47], -1
	s_mov_b64 s[78:79], 0
	s_mov_b64 s[58:59], 0
	s_and_saveexec_b64 s[88:89], s[28:29]
; %bb.30:
	v_add_u32_e32 v1, s42, v30
	v_add_u32_e32 v2, s60, v30
	v_mul_lo_u32 v1, v1, s41
	v_mul_lo_u32 v2, v2, s43
	v_sub_u32_e32 v1, v1, v2
	v_cmp_lt_u32_e64 s[28:29], s61, v1
	s_and_b64 s[58:59], s[28:29], exec
	s_xor_b64 s[46:47], exec, -1
; %bb.31:
	s_or_b64 exec, exec, s[88:89]
	v_cndmask_b32_e64 v52, 0, 1, s[86:87]
	v_cndmask_b32_e64 v55, 0, 1, s[24:25]
	;; [unrolled: 1-line block ×22, first 2 shown]
	v_cndmask_b32_e64 v32, 0, 1, vcc
	v_cndmask_b32_e64 v54, 0, 1, s[84:85]
	s_load_dwordx2 s[12:13], s[4:5], 0x78
	s_add_i32 s18, s7, 0xd00
	s_and_b64 vcc, exec, s[78:79]
	s_cbranch_vccnz .LBB244_33
	s_branch .LBB244_86
.LBB244_32:
                                        ; implicit-def: $sgpr46_sgpr47
                                        ; implicit-def: $sgpr58_sgpr59
                                        ; implicit-def: $vgpr54
                                        ; implicit-def: $vgpr52
                                        ; implicit-def: $vgpr50
                                        ; implicit-def: $vgpr48
                                        ; implicit-def: $vgpr46
                                        ; implicit-def: $vgpr44
                                        ; implicit-def: $vgpr42
                                        ; implicit-def: $vgpr40
                                        ; implicit-def: $vgpr38
                                        ; implicit-def: $vgpr32
                                        ; implicit-def: $vgpr34
                                        ; implicit-def: $vgpr36
                                        ; implicit-def: $vgpr39
                                        ; implicit-def: $vgpr41
                                        ; implicit-def: $vgpr43
                                        ; implicit-def: $vgpr45
                                        ; implicit-def: $vgpr47
                                        ; implicit-def: $vgpr49
                                        ; implicit-def: $vgpr51
                                        ; implicit-def: $vgpr53
                                        ; implicit-def: $vgpr55
                                        ; implicit-def: $vgpr33
                                        ; implicit-def: $vgpr35
                                        ; implicit-def: $vgpr37
	s_load_dwordx2 s[12:13], s[4:5], 0x78
	s_add_i32 s18, s7, 0xd00
	s_cbranch_execz .LBB244_86
.LBB244_33:
	v_cmp_gt_u32_e32 vcc, s18, v31
	v_mov_b32_e32 v33, 0
	v_mov_b32_e32 v32, 0
	s_and_saveexec_b64 s[4:5], vcc
	s_cbranch_execz .LBB244_37
; %bb.34:
	v_add_u32_e32 v1, s37, v18
	v_add_u32_e32 v2, s39, v18
	v_mul_lo_u32 v1, v1, s36
	v_mul_lo_u32 v2, v2, s38
	v_sub_u32_e32 v1, v1, v2
	v_cmp_lt_u32_e32 vcc, s40, v1
	v_cmp_ge_u32_e64 s[2:3], s40, v1
	s_mov_b64 s[10:11], 0
	s_and_saveexec_b64 s[8:9], s[2:3]
; %bb.35:
	v_add_u32_e32 v1, s42, v18
	v_add_u32_e32 v2, s60, v18
	v_mul_lo_u32 v1, v1, s41
	v_mul_lo_u32 v2, v2, s43
	v_sub_u32_e32 v1, v1, v2
	v_cmp_lt_u32_e64 s[2:3], s61, v1
	s_and_b64 s[10:11], s[2:3], exec
; %bb.36:
	s_or_b64 exec, exec, s[8:9]
	v_cndmask_b32_e64 v32, 0, 1, vcc
	v_cndmask_b32_e64 v33, 0, 1, s[10:11]
.LBB244_37:
	s_or_b64 exec, exec, s[4:5]
	v_add_u32_e32 v1, 1, v31
	v_cmp_gt_u32_e32 vcc, s18, v1
	v_mov_b32_e32 v34, 0
	v_mov_b32_e32 v35, 0
	s_and_saveexec_b64 s[4:5], vcc
	s_cbranch_execz .LBB244_41
; %bb.38:
	v_add_u32_e32 v1, s37, v19
	v_add_u32_e32 v2, s39, v19
	v_mul_lo_u32 v1, v1, s36
	v_mul_lo_u32 v2, v2, s38
	v_sub_u32_e32 v1, v1, v2
	v_cmp_lt_u32_e32 vcc, s40, v1
	v_cmp_ge_u32_e64 s[2:3], s40, v1
	s_mov_b64 s[10:11], 0
	s_and_saveexec_b64 s[8:9], s[2:3]
; %bb.39:
	v_add_u32_e32 v1, s42, v19
	v_add_u32_e32 v2, s60, v19
	v_mul_lo_u32 v1, v1, s41
	v_mul_lo_u32 v2, v2, s43
	v_sub_u32_e32 v1, v1, v2
	v_cmp_lt_u32_e64 s[2:3], s61, v1
	s_and_b64 s[10:11], s[2:3], exec
; %bb.40:
	s_or_b64 exec, exec, s[8:9]
	v_cndmask_b32_e64 v34, 0, 1, vcc
	v_cndmask_b32_e64 v35, 0, 1, s[10:11]
.LBB244_41:
	s_or_b64 exec, exec, s[4:5]
	v_add_u32_e32 v1, 2, v31
	;; [unrolled: 30-line block ×12, first 2 shown]
	v_cmp_gt_u32_e32 vcc, s18, v1
	s_mov_b64 s[46:47], 0
	s_mov_b64 s[58:59], 0
	s_and_saveexec_b64 s[2:3], vcc
	s_cbranch_execz .LBB244_85
; %bb.82:
	v_add_u32_e32 v1, s37, v30
	v_add_u32_e32 v2, s39, v30
	v_mul_lo_u32 v1, v1, s36
	v_mul_lo_u32 v2, v2, s38
	v_sub_u32_e32 v1, v1, v2
	v_cmp_ge_u32_e32 vcc, s40, v1
	s_mov_b64 s[8:9], -1
	s_mov_b64 s[10:11], 0
	s_and_saveexec_b64 s[4:5], vcc
; %bb.83:
	v_add_u32_e32 v1, s42, v30
	v_add_u32_e32 v2, s60, v30
	v_mul_lo_u32 v1, v1, s41
	v_mul_lo_u32 v2, v2, s43
	v_sub_u32_e32 v1, v1, v2
	v_cmp_lt_u32_e32 vcc, s61, v1
	s_and_b64 s[10:11], vcc, exec
	s_xor_b64 s[8:9], exec, -1
; %bb.84:
	s_or_b64 exec, exec, s[4:5]
	s_and_b64 s[58:59], s[10:11], exec
	s_and_b64 s[46:47], s[8:9], exec
.LBB244_85:
	s_or_b64 exec, exec, s[2:3]
.LBB244_86:
	v_and_b32_e32 v63, 0xff, v33
	v_and_b32_e32 v74, 0xff, v35
	;; [unrolled: 1-line block ×5, first 2 shown]
	v_add3_u32 v2, v74, v65, v63
	v_and_b32_e32 v76, 0xff, v42
	v_and_b32_e32 v69, 0xff, v44
	v_add3_u32 v2, v2, v75, v67
	v_and_b32_e32 v62, 0xff, v32
	v_and_b32_e32 v56, 0xff, v34
	v_and_b32_e32 v64, 0xff, v36
	v_and_b32_e32 v77, 0xff, v46
	v_and_b32_e32 v71, 0xff, v48
	v_add3_u32 v2, v2, v76, v69
	v_and_b32_e32 v57, 0xff, v39
	v_and_b32_e32 v66, 0xff, v41
	;; [unrolled: 1-line block ×4, first 2 shown]
	v_add3_u32 v3, v56, v64, v62
	v_add3_u32 v2, v2, v77, v71
	v_and_b32_e32 v58, 0xff, v43
	v_and_b32_e32 v68, 0xff, v45
	;; [unrolled: 1-line block ×3, first 2 shown]
	v_cndmask_b32_e64 v1, 0, 1, s[58:59]
	v_add3_u32 v3, v3, v57, v66
	v_add3_u32 v2, v2, v78, v73
	v_and_b32_e32 v59, 0xff, v47
	v_and_b32_e32 v70, 0xff, v49
	v_add3_u32 v3, v3, v58, v68
	v_add3_u32 v86, v2, v79, v1
	v_mbcnt_lo_u32_b32 v1, -1, 0
	v_and_b32_e32 v60, 0xff, v51
	v_and_b32_e32 v72, 0xff, v53
	v_add3_u32 v3, v3, v59, v70
	v_mbcnt_hi_u32_b32 v80, -1, v1
	v_and_b32_e32 v61, 0xff, v55
	v_add3_u32 v3, v3, v60, v72
	v_cndmask_b32_e64 v4, 0, 1, s[46:47]
	v_and_b32_e32 v84, 15, v80
	s_cmp_lg_u32 s6, 0
	v_add3_u32 v85, v3, v61, v4
	v_cmp_eq_u32_e64 s[4:5], 0, v84
	v_cmp_lt_u32_e64 s[2:3], 1, v84
	v_cmp_lt_u32_e64 s[8:9], 3, v84
	;; [unrolled: 1-line block ×3, first 2 shown]
	v_and_b32_e32 v83, 16, v80
	v_cmp_lt_u32_e32 vcc, 31, v80
	v_lshrrev_b32_e32 v81, 6, v0
	v_or_b32_e32 v82, 63, v0
	s_cbranch_scc0 .LBB244_119
; %bb.87:
	v_mov_b32_dpp v1, v85 row_shr:1 row_mask:0xf bank_mask:0xf
	v_mov_b32_dpp v2, v86 row_shr:1 row_mask:0xf bank_mask:0xf
	v_add_u32_e32 v1, v1, v85
	v_add_u32_e32 v2, v2, v86
	v_cndmask_b32_e64 v2, v2, v86, s[4:5]
	v_cndmask_b32_e64 v1, v1, v85, s[4:5]
	s_nop 0
	v_mov_b32_dpp v4, v2 row_shr:2 row_mask:0xf bank_mask:0xf
	v_mov_b32_dpp v3, v1 row_shr:2 row_mask:0xf bank_mask:0xf
	v_add_u32_e32 v3, v1, v3
	v_add_u32_e32 v4, v2, v4
	v_cndmask_b32_e64 v2, v2, v4, s[2:3]
	v_cndmask_b32_e64 v1, v1, v3, s[2:3]
	s_nop 0
	v_mov_b32_dpp v4, v2 row_shr:4 row_mask:0xf bank_mask:0xf
	v_mov_b32_dpp v3, v1 row_shr:4 row_mask:0xf bank_mask:0xf
	v_add_u32_e32 v3, v1, v3
	v_add_u32_e32 v4, v2, v4
	v_cndmask_b32_e64 v2, v2, v4, s[8:9]
	v_cndmask_b32_e64 v1, v1, v3, s[8:9]
	v_cmp_eq_u32_e64 s[8:9], 0, v83
	v_mov_b32_dpp v4, v2 row_shr:8 row_mask:0xf bank_mask:0xf
	v_mov_b32_dpp v3, v1 row_shr:8 row_mask:0xf bank_mask:0xf
	v_add_u32_e32 v3, v1, v3
	v_add_u32_e32 v4, v2, v4
	v_cndmask_b32_e64 v2, v2, v4, s[10:11]
	v_cndmask_b32_e64 v1, v1, v3, s[10:11]
	s_nop 0
	v_mov_b32_dpp v4, v2 row_bcast:15 row_mask:0xf bank_mask:0xf
	v_mov_b32_dpp v3, v1 row_bcast:15 row_mask:0xf bank_mask:0xf
	v_add_u32_e32 v3, v1, v3
	v_add_u32_e32 v4, v2, v4
	v_cndmask_b32_e64 v2, v4, v2, s[8:9]
	v_cndmask_b32_e64 v1, v3, v1, s[8:9]
	s_nop 0
	v_mov_b32_dpp v4, v2 row_bcast:31 row_mask:0xf bank_mask:0xf
	v_mov_b32_dpp v3, v1 row_bcast:31 row_mask:0xf bank_mask:0xf
	v_add_u32_e32 v4, v2, v4
	v_add_u32_e32 v5, v1, v3
	v_cndmask_b32_e32 v3, v2, v4, vcc
	v_cndmask_b32_e32 v2, v1, v5, vcc
	v_cmp_eq_u32_e32 vcc, v82, v0
	s_and_saveexec_b64 s[8:9], vcc
	s_cbranch_execz .LBB244_89
; %bb.88:
	v_lshlrev_b32_e32 v1, 3, v81
	ds_write_b64 v1, v[2:3]
.LBB244_89:
	s_or_b64 exec, exec, s[8:9]
	v_cmp_gt_u32_e32 vcc, 4, v0
	s_waitcnt lgkmcnt(0)
	s_barrier
	s_and_saveexec_b64 s[8:9], vcc
	s_cbranch_execz .LBB244_91
; %bb.90:
	v_lshlrev_b32_e32 v1, 3, v0
	ds_read_b64 v[4:5], v1
	v_and_b32_e32 v6, 3, v80
	v_cmp_eq_u32_e32 vcc, 0, v6
	s_waitcnt lgkmcnt(0)
	v_mov_b32_dpp v7, v4 row_shr:1 row_mask:0xf bank_mask:0xf
	v_mov_b32_dpp v20, v5 row_shr:1 row_mask:0xf bank_mask:0xf
	v_add_u32_e32 v7, v7, v4
	v_add_u32_e32 v20, v20, v5
	v_cndmask_b32_e32 v5, v20, v5, vcc
	v_cndmask_b32_e32 v4, v7, v4, vcc
	v_cmp_lt_u32_e32 vcc, 1, v6
	v_mov_b32_dpp v20, v5 row_shr:2 row_mask:0xf bank_mask:0xf
	v_mov_b32_dpp v7, v4 row_shr:2 row_mask:0xf bank_mask:0xf
	v_cndmask_b32_e32 v6, 0, v7, vcc
	v_cndmask_b32_e32 v7, 0, v20, vcc
	v_add_u32_e32 v5, v7, v5
	v_add_u32_e32 v4, v6, v4
	ds_write_b64 v1, v[4:5]
.LBB244_91:
	s_or_b64 exec, exec, s[8:9]
	v_cmp_gt_u32_e32 vcc, 64, v0
	v_cmp_lt_u32_e64 s[8:9], 63, v0
	s_waitcnt lgkmcnt(0)
	s_barrier
	s_waitcnt lgkmcnt(0)
                                        ; implicit-def: $vgpr21
	s_and_saveexec_b64 s[10:11], s[8:9]
	s_xor_b64 s[8:9], exec, s[10:11]
	s_cbranch_execz .LBB244_93
; %bb.92:
	v_lshl_add_u32 v1, v81, 3, -8
	ds_read_b64 v[20:21], v1
	s_waitcnt lgkmcnt(0)
	v_add_u32_e32 v3, v21, v3
	v_add_u32_e32 v2, v20, v2
.LBB244_93:
	s_andn2_saveexec_b64 s[8:9], s[8:9]
; %bb.94:
                                        ; implicit-def: $vgpr20
; %bb.95:
	s_or_b64 exec, exec, s[8:9]
	v_add_u32_e32 v1, -1, v80
	v_and_b32_e32 v4, 64, v80
	v_cmp_lt_i32_e64 s[8:9], v1, v4
	v_cndmask_b32_e64 v1, v1, v80, s[8:9]
	v_lshlrev_b32_e32 v4, 2, v1
	ds_bpermute_b32 v1, v4, v2
	ds_bpermute_b32 v87, v4, v3
	v_cmp_eq_u32_e64 s[8:9], 0, v80
	s_and_saveexec_b64 s[10:11], vcc
	s_cbranch_execz .LBB244_118
; %bb.96:
	v_mov_b32_e32 v7, 0
	ds_read_b64 v[22:23], v7 offset:24
	s_and_saveexec_b64 s[14:15], s[8:9]
	s_cbranch_execz .LBB244_98
; %bb.97:
	s_add_i32 s16, s6, 64
	s_mov_b32 s17, 0
	s_lshl_b64 s[16:17], s[16:17], 4
	s_waitcnt lgkmcnt(0)
	v_and_b32_e32 v2, 0xff000000, v23
	v_and_b32_e32 v3, 0xff0000, v23
	s_add_u32 s16, s12, s16
	v_or_b32_e32 v2, v3, v2
	v_and_b32_e32 v3, 0xff00, v23
	s_addc_u32 s17, s13, s17
	v_or_b32_e32 v2, v2, v3
	v_or_b32_sdwa v5, v2, v23 dst_sel:DWORD dst_unused:UNUSED_PAD src0_sel:DWORD src1_sel:BYTE_0
	v_mov_b32_e32 v6, 1
	v_mov_b32_e32 v4, v22
	v_pk_mov_b32 v[2:3], s[16:17], s[16:17] op_sel:[0,1]
	;;#ASMSTART
	global_store_dwordx4 v[2:3], v[4:7] off	
s_waitcnt vmcnt(0)
	;;#ASMEND
.LBB244_98:
	s_or_b64 exec, exec, s[14:15]
	v_xad_u32 v24, v80, -1, s6
	v_add_u32_e32 v6, 64, v24
	v_lshlrev_b64 v[2:3], 4, v[6:7]
	v_mov_b32_e32 v4, s13
	v_add_co_u32_e32 v26, vcc, s12, v2
	v_addc_co_u32_e32 v27, vcc, v4, v3, vcc
	;;#ASMSTART
	global_load_dwordx4 v[2:5], v[26:27] off glc	
s_waitcnt vmcnt(0)
	;;#ASMEND
	v_and_b32_e32 v5, 0xff, v3
	v_and_b32_e32 v6, 0xff00, v3
	v_or3_b32 v5, 0, v5, v6
	v_or3_b32 v2, v2, 0, 0
	v_and_b32_e32 v6, 0xff000000, v3
	v_and_b32_e32 v3, 0xff0000, v3
	v_or3_b32 v3, v5, v3, v6
	v_or3_b32 v2, v2, 0, 0
	v_cmp_eq_u16_sdwa s[16:17], v4, v7 src0_sel:BYTE_0 src1_sel:DWORD
	s_and_saveexec_b64 s[14:15], s[16:17]
	s_cbranch_execz .LBB244_104
; %bb.99:
	s_mov_b32 s7, 1
	s_mov_b64 s[16:17], 0
	v_mov_b32_e32 v6, 0
.LBB244_100:                            ; =>This Loop Header: Depth=1
                                        ;     Child Loop BB244_101 Depth 2
	s_max_u32 s19, s7, 1
.LBB244_101:                            ;   Parent Loop BB244_100 Depth=1
                                        ; =>  This Inner Loop Header: Depth=2
	s_add_i32 s19, s19, -1
	s_cmp_eq_u32 s19, 0
	s_sleep 1
	s_cbranch_scc0 .LBB244_101
; %bb.102:                              ;   in Loop: Header=BB244_100 Depth=1
	s_cmp_lt_u32 s7, 32
	s_cselect_b64 s[20:21], -1, 0
	s_cmp_lg_u64 s[20:21], 0
	s_addc_u32 s7, s7, 0
	;;#ASMSTART
	global_load_dwordx4 v[2:5], v[26:27] off glc	
s_waitcnt vmcnt(0)
	;;#ASMEND
	v_cmp_ne_u16_sdwa s[20:21], v4, v6 src0_sel:BYTE_0 src1_sel:DWORD
	s_or_b64 s[16:17], s[20:21], s[16:17]
	s_andn2_b64 exec, exec, s[16:17]
	s_cbranch_execnz .LBB244_100
; %bb.103:
	s_or_b64 exec, exec, s[16:17]
.LBB244_104:
	s_or_b64 exec, exec, s[14:15]
	v_and_b32_e32 v89, 63, v80
	v_cmp_ne_u32_e32 vcc, 63, v89
	v_mov_b32_e32 v88, 2
	v_addc_co_u32_e32 v26, vcc, 0, v80, vcc
	v_cmp_eq_u16_sdwa s[14:15], v4, v88 src0_sel:BYTE_0 src1_sel:DWORD
	v_lshlrev_b64 v[6:7], v80, -1
	v_lshlrev_b32_e32 v90, 2, v26
	v_and_b32_e32 v5, s15, v7
	ds_bpermute_b32 v26, v90, v2
	ds_bpermute_b32 v27, v90, v3
	v_or_b32_e32 v5, 0x80000000, v5
	v_and_b32_e32 v25, s14, v6
	v_ffbl_b32_e32 v5, v5
	v_add_u32_e32 v5, 32, v5
	v_ffbl_b32_e32 v25, v25
	v_min_u32_e32 v5, v25, v5
	s_waitcnt lgkmcnt(1)
	v_add_u32_e32 v25, v26, v2
	s_waitcnt lgkmcnt(0)
	v_add_u32_e32 v26, v27, v3
	v_cmp_lt_u32_e32 vcc, v89, v5
	v_cndmask_b32_e32 v3, v3, v26, vcc
	v_cndmask_b32_e32 v2, v2, v25, vcc
	v_cmp_gt_u32_e32 vcc, 62, v89
	v_cndmask_b32_e64 v25, 0, 1, vcc
	v_lshlrev_b32_e32 v25, 1, v25
	v_add_lshl_u32 v91, v25, v80, 2
	ds_bpermute_b32 v25, v91, v2
	ds_bpermute_b32 v26, v91, v3
	v_add_u32_e32 v92, 2, v89
	v_cmp_gt_u32_e32 vcc, v92, v5
	v_add_u32_e32 v94, 4, v89
	s_waitcnt lgkmcnt(1)
	v_add_u32_e32 v25, v2, v25
	s_waitcnt lgkmcnt(0)
	v_add_u32_e32 v26, v3, v26
	v_cndmask_b32_e32 v3, v26, v3, vcc
	v_cndmask_b32_e32 v2, v25, v2, vcc
	v_cmp_gt_u32_e32 vcc, 60, v89
	v_cndmask_b32_e64 v25, 0, 1, vcc
	v_lshlrev_b32_e32 v25, 2, v25
	v_add_lshl_u32 v93, v25, v80, 2
	ds_bpermute_b32 v25, v93, v2
	ds_bpermute_b32 v26, v93, v3
	v_cmp_gt_u32_e32 vcc, v94, v5
	v_add_u32_e32 v96, 8, v89
	v_add_u32_e32 v98, 16, v89
	s_waitcnt lgkmcnt(1)
	v_add_u32_e32 v25, v2, v25
	s_waitcnt lgkmcnt(0)
	v_add_u32_e32 v26, v3, v26
	v_cndmask_b32_e32 v3, v26, v3, vcc
	v_cndmask_b32_e32 v2, v25, v2, vcc
	v_cmp_gt_u32_e32 vcc, 56, v89
	v_cndmask_b32_e64 v25, 0, 1, vcc
	v_lshlrev_b32_e32 v25, 3, v25
	v_add_lshl_u32 v95, v25, v80, 2
	ds_bpermute_b32 v25, v95, v2
	ds_bpermute_b32 v26, v95, v3
	v_cmp_gt_u32_e32 vcc, v96, v5
	v_add_u32_e32 v100, 32, v89
	s_waitcnt lgkmcnt(1)
	v_add_u32_e32 v25, v2, v25
	s_waitcnt lgkmcnt(0)
	v_add_u32_e32 v26, v3, v26
	v_cndmask_b32_e32 v3, v26, v3, vcc
	v_cndmask_b32_e32 v2, v25, v2, vcc
	v_cmp_gt_u32_e32 vcc, 48, v89
	v_cndmask_b32_e64 v25, 0, 1, vcc
	v_lshlrev_b32_e32 v25, 4, v25
	v_add_lshl_u32 v97, v25, v80, 2
	ds_bpermute_b32 v25, v97, v2
	ds_bpermute_b32 v26, v97, v3
	v_cmp_gt_u32_e32 vcc, v98, v5
	s_waitcnt lgkmcnt(1)
	v_add_u32_e32 v25, v2, v25
	s_waitcnt lgkmcnt(0)
	v_add_u32_e32 v26, v3, v26
	v_cndmask_b32_e32 v3, v26, v3, vcc
	v_cndmask_b32_e32 v2, v25, v2, vcc
	v_cmp_gt_u32_e32 vcc, 32, v89
	v_cndmask_b32_e64 v25, 0, 1, vcc
	v_lshlrev_b32_e32 v25, 5, v25
	v_add_lshl_u32 v99, v25, v80, 2
	ds_bpermute_b32 v25, v99, v2
	ds_bpermute_b32 v26, v99, v3
	v_cmp_le_u32_e32 vcc, v100, v5
	s_waitcnt lgkmcnt(1)
	v_cndmask_b32_e32 v5, 0, v25, vcc
	s_waitcnt lgkmcnt(0)
	v_cndmask_b32_e32 v25, 0, v26, vcc
	v_add_u32_e32 v3, v3, v25
	v_add_u32_e32 v2, v2, v5
	v_mov_b32_e32 v25, 0
	s_branch .LBB244_106
.LBB244_105:                            ;   in Loop: Header=BB244_106 Depth=1
	s_or_b64 exec, exec, s[14:15]
	v_cmp_eq_u16_sdwa s[14:15], v4, v88 src0_sel:BYTE_0 src1_sel:DWORD
	v_and_b32_e32 v5, s15, v7
	ds_bpermute_b32 v29, v90, v2
	ds_bpermute_b32 v101, v90, v3
	v_or_b32_e32 v5, 0x80000000, v5
	v_and_b32_e32 v28, s14, v6
	v_ffbl_b32_e32 v5, v5
	v_add_u32_e32 v5, 32, v5
	v_ffbl_b32_e32 v28, v28
	v_min_u32_e32 v5, v28, v5
	s_waitcnt lgkmcnt(1)
	v_add_u32_e32 v28, v29, v2
	s_waitcnt lgkmcnt(0)
	v_add_u32_e32 v29, v101, v3
	v_cmp_lt_u32_e32 vcc, v89, v5
	v_cndmask_b32_e32 v3, v3, v29, vcc
	v_cndmask_b32_e32 v2, v2, v28, vcc
	ds_bpermute_b32 v28, v91, v2
	ds_bpermute_b32 v29, v91, v3
	v_cmp_gt_u32_e32 vcc, v92, v5
	v_subrev_u32_e32 v24, 64, v24
	s_waitcnt lgkmcnt(1)
	v_add_u32_e32 v28, v2, v28
	s_waitcnt lgkmcnt(0)
	v_add_u32_e32 v29, v3, v29
	v_cndmask_b32_e32 v3, v29, v3, vcc
	v_cndmask_b32_e32 v2, v28, v2, vcc
	ds_bpermute_b32 v28, v93, v2
	ds_bpermute_b32 v29, v93, v3
	v_cmp_gt_u32_e32 vcc, v94, v5
	s_waitcnt lgkmcnt(1)
	v_add_u32_e32 v28, v2, v28
	s_waitcnt lgkmcnt(0)
	v_add_u32_e32 v29, v3, v29
	v_cndmask_b32_e32 v3, v29, v3, vcc
	v_cndmask_b32_e32 v2, v28, v2, vcc
	ds_bpermute_b32 v28, v95, v2
	ds_bpermute_b32 v29, v95, v3
	v_cmp_gt_u32_e32 vcc, v96, v5
	;; [unrolled: 9-line block ×3, first 2 shown]
	s_waitcnt lgkmcnt(1)
	v_add_u32_e32 v28, v2, v28
	s_waitcnt lgkmcnt(0)
	v_add_u32_e32 v29, v3, v29
	v_cndmask_b32_e32 v3, v29, v3, vcc
	v_cndmask_b32_e32 v2, v28, v2, vcc
	ds_bpermute_b32 v28, v99, v2
	ds_bpermute_b32 v29, v99, v3
	v_cmp_le_u32_e32 vcc, v100, v5
	s_waitcnt lgkmcnt(1)
	v_cndmask_b32_e32 v5, 0, v28, vcc
	s_waitcnt lgkmcnt(0)
	v_cndmask_b32_e32 v28, 0, v29, vcc
	v_add3_u32 v3, v28, v27, v3
	v_add3_u32 v2, v5, v26, v2
.LBB244_106:                            ; =>This Loop Header: Depth=1
                                        ;     Child Loop BB244_109 Depth 2
                                        ;       Child Loop BB244_110 Depth 3
	v_cmp_ne_u16_sdwa s[14:15], v4, v88 src0_sel:BYTE_0 src1_sel:DWORD
	v_cndmask_b32_e64 v4, 0, 1, s[14:15]
	;;#ASMSTART
	;;#ASMEND
	v_cmp_ne_u32_e32 vcc, 0, v4
	s_cmp_lg_u64 vcc, exec
	v_pk_mov_b32 v[26:27], v[2:3], v[2:3] op_sel:[0,1]
	s_cbranch_scc1 .LBB244_113
; %bb.107:                              ;   in Loop: Header=BB244_106 Depth=1
	v_lshlrev_b64 v[2:3], 4, v[24:25]
	v_mov_b32_e32 v4, s13
	v_add_co_u32_e32 v28, vcc, s12, v2
	v_addc_co_u32_e32 v29, vcc, v4, v3, vcc
	;;#ASMSTART
	global_load_dwordx4 v[2:5], v[28:29] off glc	
s_waitcnt vmcnt(0)
	;;#ASMEND
	v_and_b32_e32 v5, 0xff, v3
	v_and_b32_e32 v101, 0xff00, v3
	v_or3_b32 v5, 0, v5, v101
	v_or3_b32 v2, v2, 0, 0
	v_and_b32_e32 v101, 0xff000000, v3
	v_and_b32_e32 v3, 0xff0000, v3
	v_or3_b32 v3, v5, v3, v101
	v_or3_b32 v2, v2, 0, 0
	v_cmp_eq_u16_sdwa s[16:17], v4, v25 src0_sel:BYTE_0 src1_sel:DWORD
	s_and_saveexec_b64 s[14:15], s[16:17]
	s_cbranch_execz .LBB244_105
; %bb.108:                              ;   in Loop: Header=BB244_106 Depth=1
	s_mov_b32 s7, 1
	s_mov_b64 s[16:17], 0
.LBB244_109:                            ;   Parent Loop BB244_106 Depth=1
                                        ; =>  This Loop Header: Depth=2
                                        ;       Child Loop BB244_110 Depth 3
	s_max_u32 s19, s7, 1
.LBB244_110:                            ;   Parent Loop BB244_106 Depth=1
                                        ;     Parent Loop BB244_109 Depth=2
                                        ; =>    This Inner Loop Header: Depth=3
	s_add_i32 s19, s19, -1
	s_cmp_eq_u32 s19, 0
	s_sleep 1
	s_cbranch_scc0 .LBB244_110
; %bb.111:                              ;   in Loop: Header=BB244_109 Depth=2
	s_cmp_lt_u32 s7, 32
	s_cselect_b64 s[20:21], -1, 0
	s_cmp_lg_u64 s[20:21], 0
	s_addc_u32 s7, s7, 0
	;;#ASMSTART
	global_load_dwordx4 v[2:5], v[28:29] off glc	
s_waitcnt vmcnt(0)
	;;#ASMEND
	v_cmp_ne_u16_sdwa s[20:21], v4, v25 src0_sel:BYTE_0 src1_sel:DWORD
	s_or_b64 s[16:17], s[20:21], s[16:17]
	s_andn2_b64 exec, exec, s[16:17]
	s_cbranch_execnz .LBB244_109
; %bb.112:                              ;   in Loop: Header=BB244_106 Depth=1
	s_or_b64 exec, exec, s[16:17]
	s_branch .LBB244_105
.LBB244_113:                            ;   in Loop: Header=BB244_106 Depth=1
                                        ; implicit-def: $vgpr4
                                        ; implicit-def: $vgpr2_vgpr3
	s_cbranch_execz .LBB244_106
; %bb.114:
	s_and_saveexec_b64 s[14:15], s[8:9]
	s_cbranch_execz .LBB244_116
; %bb.115:
	s_add_i32 s6, s6, 64
	s_mov_b32 s7, 0
	v_add_u32_e32 v3, v27, v23
	s_lshl_b64 s[6:7], s[6:7], 4
	s_add_u32 s6, s12, s6
	v_and_b32_e32 v4, 0xff000000, v3
	v_and_b32_e32 v6, 0xff0000, v3
	s_addc_u32 s7, s13, s7
	v_or_b32_e32 v4, v6, v4
	v_and_b32_e32 v6, 0xff00, v3
	v_and_b32_e32 v3, 0xff, v3
	v_add_u32_e32 v2, v26, v22
	v_mov_b32_e32 v5, 0
	v_or3_b32 v3, v4, v6, v3
	v_mov_b32_e32 v4, 2
	v_pk_mov_b32 v[6:7], s[6:7], s[6:7] op_sel:[0,1]
	;;#ASMSTART
	global_store_dwordx4 v[6:7], v[2:5] off	
s_waitcnt vmcnt(0)
	;;#ASMEND
	s_movk_i32 s6, 0x3400
	v_add_u32_e64 v2, s6, 0
	ds_write2_b32 v2, v22, v23 offset1:2
	ds_write2_b32 v2, v26, v27 offset0:4 offset1:6
.LBB244_116:
	s_or_b64 exec, exec, s[14:15]
	v_cmp_eq_u32_e32 vcc, 0, v0
	s_and_b64 exec, exec, vcc
	s_cbranch_execz .LBB244_118
; %bb.117:
	v_mov_b32_e32 v2, 0
	ds_write_b64 v2, v[26:27] offset:24
.LBB244_118:
	s_or_b64 exec, exec, s[10:11]
	v_mov_b32_e32 v2, 0
	s_waitcnt lgkmcnt(0)
	s_barrier
	ds_read_b64 v[6:7], v2 offset:24
	s_movk_i32 s6, 0x3400
	v_cndmask_b32_e64 v2, v87, v21, s[8:9]
	v_cndmask_b32_e64 v1, v1, v20, s[8:9]
	v_add_u32_e64 v4, s6, 0
	s_waitcnt lgkmcnt(0)
	v_add_u32_e32 v20, v6, v1
	v_add_u32_e32 v1, v7, v2
	s_barrier
	ds_read2_b32 v[2:3], v4 offset1:2
	ds_read2_b32 v[4:5], v4 offset0:4 offset1:6
	v_cmp_eq_u32_e32 vcc, 0, v0
	v_cndmask_b32_e32 v1, v1, v7, vcc
	v_cndmask_b32_e32 v20, v20, v6, vcc
	s_branch .LBB244_129
.LBB244_119:
                                        ; implicit-def: $vgpr1
                                        ; implicit-def: $vgpr4
                                        ; implicit-def: $vgpr2
                                        ; implicit-def: $vgpr20_vgpr21
	s_cbranch_execz .LBB244_129
; %bb.120:
	s_nop 0
	v_mov_b32_dpp v1, v85 row_shr:1 row_mask:0xf bank_mask:0xf
	s_waitcnt lgkmcnt(0)
	v_mov_b32_dpp v2, v86 row_shr:1 row_mask:0xf bank_mask:0xf
	v_add_u32_e32 v1, v1, v85
	v_add_u32_e32 v2, v2, v86
	v_cndmask_b32_e64 v2, v2, v86, s[4:5]
	v_cndmask_b32_e64 v1, v1, v85, s[4:5]
	v_cmp_lt_u32_e32 vcc, 3, v84
	v_mov_b32_dpp v4, v2 row_shr:2 row_mask:0xf bank_mask:0xf
	v_mov_b32_dpp v3, v1 row_shr:2 row_mask:0xf bank_mask:0xf
	v_add_u32_e32 v3, v1, v3
	v_add_u32_e32 v4, v2, v4
	v_cndmask_b32_e64 v2, v2, v4, s[2:3]
	v_cndmask_b32_e64 v1, v1, v3, s[2:3]
	s_nop 0
	v_mov_b32_dpp v4, v2 row_shr:4 row_mask:0xf bank_mask:0xf
	v_mov_b32_dpp v3, v1 row_shr:4 row_mask:0xf bank_mask:0xf
	v_add_u32_e32 v3, v1, v3
	v_add_u32_e32 v4, v2, v4
	v_cndmask_b32_e32 v2, v2, v4, vcc
	v_cndmask_b32_e32 v1, v1, v3, vcc
	v_cmp_lt_u32_e32 vcc, 7, v84
	v_mov_b32_dpp v4, v2 row_shr:8 row_mask:0xf bank_mask:0xf
	v_mov_b32_dpp v3, v1 row_shr:8 row_mask:0xf bank_mask:0xf
	v_add_u32_e32 v3, v1, v3
	v_add_u32_e32 v4, v2, v4
	v_cndmask_b32_e32 v2, v2, v4, vcc
	v_cndmask_b32_e32 v1, v1, v3, vcc
	v_cmp_eq_u32_e32 vcc, 0, v83
	v_mov_b32_dpp v4, v2 row_bcast:15 row_mask:0xf bank_mask:0xf
	v_mov_b32_dpp v3, v1 row_bcast:15 row_mask:0xf bank_mask:0xf
	v_add_u32_e32 v3, v1, v3
	v_add_u32_e32 v4, v2, v4
	v_cndmask_b32_e32 v2, v4, v2, vcc
	v_cndmask_b32_e32 v1, v3, v1, vcc
	v_cmp_lt_u32_e32 vcc, 31, v80
	v_mov_b32_dpp v4, v2 row_bcast:31 row_mask:0xf bank_mask:0xf
	v_mov_b32_dpp v3, v1 row_bcast:31 row_mask:0xf bank_mask:0xf
	v_add_u32_e32 v4, v2, v4
	v_add_u32_e32 v5, v1, v3
	v_cndmask_b32_e32 v3, v2, v4, vcc
	v_cndmask_b32_e32 v2, v1, v5, vcc
	v_cmp_eq_u32_e32 vcc, v82, v0
	s_and_saveexec_b64 s[2:3], vcc
	s_cbranch_execz .LBB244_122
; %bb.121:
	v_lshlrev_b32_e32 v1, 3, v81
	ds_write_b64 v1, v[2:3]
.LBB244_122:
	s_or_b64 exec, exec, s[2:3]
	v_cmp_gt_u32_e32 vcc, 4, v0
	s_waitcnt lgkmcnt(0)
	s_barrier
	s_and_saveexec_b64 s[2:3], vcc
	s_cbranch_execz .LBB244_124
; %bb.123:
	v_lshlrev_b32_e32 v1, 3, v0
	ds_read_b64 v[4:5], v1
	v_and_b32_e32 v6, 3, v80
	v_cmp_eq_u32_e32 vcc, 0, v6
	s_waitcnt lgkmcnt(0)
	v_mov_b32_dpp v7, v4 row_shr:1 row_mask:0xf bank_mask:0xf
	v_mov_b32_dpp v20, v5 row_shr:1 row_mask:0xf bank_mask:0xf
	v_add_u32_e32 v7, v7, v4
	v_add_u32_e32 v20, v20, v5
	v_cndmask_b32_e32 v5, v20, v5, vcc
	v_cndmask_b32_e32 v4, v7, v4, vcc
	v_cmp_lt_u32_e32 vcc, 1, v6
	v_mov_b32_dpp v20, v5 row_shr:2 row_mask:0xf bank_mask:0xf
	v_mov_b32_dpp v7, v4 row_shr:2 row_mask:0xf bank_mask:0xf
	v_cndmask_b32_e32 v6, 0, v7, vcc
	v_cndmask_b32_e32 v7, 0, v20, vcc
	v_add_u32_e32 v5, v7, v5
	v_add_u32_e32 v4, v6, v4
	ds_write_b64 v1, v[4:5]
.LBB244_124:
	s_or_b64 exec, exec, s[2:3]
	v_cmp_lt_u32_e32 vcc, 63, v0
	v_mov_b32_e32 v4, 0
	v_mov_b32_e32 v6, 0
	v_mov_b32_e32 v7, 0
	s_waitcnt lgkmcnt(0)
	s_barrier
	s_and_saveexec_b64 s[2:3], vcc
	s_cbranch_execz .LBB244_126
; %bb.125:
	v_lshl_add_u32 v1, v81, 3, -8
	ds_read_b64 v[6:7], v1
.LBB244_126:
	s_or_b64 exec, exec, s[2:3]
	s_waitcnt lgkmcnt(0)
	v_add_u32_e32 v5, v7, v3
	v_add_u32_e32 v1, v6, v2
	v_add_u32_e32 v2, -1, v80
	v_and_b32_e32 v3, 64, v80
	v_cmp_lt_i32_e32 vcc, v2, v3
	v_cndmask_b32_e32 v2, v2, v80, vcc
	v_lshlrev_b32_e32 v20, 2, v2
	ds_read_b64 v[2:3], v4 offset:24
	ds_bpermute_b32 v1, v20, v1
	ds_bpermute_b32 v20, v20, v5
	v_cmp_eq_u32_e32 vcc, 0, v0
	s_waitcnt lgkmcnt(2)
	v_readfirstlane_b32 s4, v3
	s_and_saveexec_b64 s[2:3], vcc
	s_cbranch_execz .LBB244_128
; %bb.127:
	s_add_u32 s6, s12, 0x400
	s_mov_b32 s8, 0
	s_addc_u32 s7, s13, 0
	s_and_b32 s9, s4, 0xff000000
	s_and_b32 s11, s4, 0xff0000
	s_mov_b32 s10, s8
	s_or_b64 s[10:11], s[10:11], s[8:9]
	s_and_b32 s9, s4, 0xff00
	s_or_b64 s[10:11], s[10:11], s[8:9]
	s_and_b32 s9, s4, 0xff
	s_or_b64 s[8:9], s[10:11], s[8:9]
	v_mov_b32_e32 v3, s9
	v_mov_b32_e32 v4, 2
	v_mov_b32_e32 v5, 0
	v_pk_mov_b32 v[22:23], s[6:7], s[6:7] op_sel:[0,1]
	;;#ASMSTART
	global_store_dwordx4 v[22:23], v[2:5] off	
s_waitcnt vmcnt(0)
	;;#ASMEND
.LBB244_128:
	s_or_b64 exec, exec, s[2:3]
	v_cmp_eq_u32_e64 s[2:3], 0, v80
	s_waitcnt lgkmcnt(1)
	v_cndmask_b32_e64 v3, v1, v6, s[2:3]
	s_waitcnt lgkmcnt(0)
	v_cndmask_b32_e64 v1, v20, v7, s[2:3]
	v_mov_b32_e32 v4, 0
	v_cndmask_b32_e64 v1, v1, 0, vcc
	v_cndmask_b32_e64 v20, v3, 0, vcc
	s_barrier
	v_mov_b32_e32 v3, s4
	v_mov_b32_e32 v5, 0
.LBB244_129:
	v_add_u32_e32 v24, v1, v63
	v_add_u32_e32 v25, v24, v74
	v_add_u32_e32 v21, v20, v62
	v_add_u32_e32 v28, v25, v65
	v_add_u32_e32 v26, v21, v56
	v_add_u32_e32 v29, v28, v75
	v_add_u32_e32 v27, v26, v64
	v_add_u32_e32 v62, v29, v67
	v_add_u32_e32 v56, v27, v57
	v_add_u32_e32 v63, v62, v76
	v_add_u32_e32 v57, v56, v66
	v_add_u32_e32 v65, v63, v69
	v_add_u32_e32 v58, v57, v58
	v_add_u32_e32 v66, v65, v77
	v_mov_b32_e32 v7, s49
	s_waitcnt lgkmcnt(0)
	v_add_co_u32_e32 v6, vcc, s48, v4
	v_add_u32_e32 v64, v58, v68
	v_add_u32_e32 v68, v66, v71
	v_addc_co_u32_e32 v7, vcc, 0, v7, vcc
	v_add_u32_e32 v69, v68, v78
	v_mov_b32_e32 v22, s51
	v_sub_co_u32_e32 v23, vcc, s50, v2
	v_add_u32_e32 v71, v69, v73
	v_subbrev_co_u32_e32 v73, vcc, 0, v22, vcc
	v_add_co_u32_e32 v22, vcc, v23, v5
	v_addc_co_u32_e32 v23, vcc, 0, v73, vcc
	v_lshlrev_b32_e32 v73, 1, v2
	v_sub_u32_e32 v1, v1, v5
	v_add_u32_e32 v74, v73, v3
	v_sub_u32_e32 v20, v20, v4
	v_add_u32_e32 v1, v1, v2
	v_add_u32_e32 v31, v74, v31
	v_and_b32_e32 v33, 1, v33
	v_add_u32_e32 v74, v20, v1
	v_and_b32_e32 v32, 1, v32
	v_sub_u32_e32 v74, v31, v74
	v_cmp_eq_u32_e32 vcc, 1, v33
	v_cndmask_b32_e32 v1, v74, v1, vcc
	v_cmp_eq_u32_e32 vcc, 1, v32
	v_cndmask_b32_e32 v1, v1, v20, vcc
	v_lshlrev_b32_e32 v1, 2, v1
	v_sub_u32_e32 v20, v24, v5
	ds_write_b32 v1, v18
	v_sub_u32_e32 v1, v21, v4
	v_add_u32_e32 v20, v20, v2
	v_add_u32_e32 v24, v20, v1
	v_and_b32_e32 v21, 1, v35
	v_sub_u32_e32 v24, v31, v24
	v_and_b32_e32 v18, 1, v34
	v_add_u32_e32 v24, 1, v24
	v_cmp_eq_u32_e32 vcc, 1, v21
	v_cndmask_b32_e32 v20, v24, v20, vcc
	v_cmp_eq_u32_e32 vcc, 1, v18
	v_cndmask_b32_e32 v1, v20, v1, vcc
	v_lshlrev_b32_e32 v1, 2, v1
	ds_write_b32 v1, v19
	v_sub_u32_e32 v19, v25, v5
	v_sub_u32_e32 v1, v26, v4
	v_add_u32_e32 v19, v19, v2
	v_add_u32_e32 v21, v19, v1
	v_and_b32_e32 v20, 1, v37
	v_sub_u32_e32 v21, v31, v21
	v_and_b32_e32 v18, 1, v36
	v_add_u32_e32 v21, 2, v21
	v_cmp_eq_u32_e32 vcc, 1, v20
	v_cndmask_b32_e32 v19, v21, v19, vcc
	v_cmp_eq_u32_e32 vcc, 1, v18
	v_cndmask_b32_e32 v1, v19, v1, vcc
	v_lshlrev_b32_e32 v1, 2, v1
	v_sub_u32_e32 v18, v28, v5
	ds_write_b32 v1, v16
	v_sub_u32_e32 v1, v27, v4
	v_add_u32_e32 v18, v18, v2
	v_add_u32_e32 v20, v1, v18
	v_and_b32_e32 v19, 1, v38
	v_sub_u32_e32 v20, v31, v20
	v_and_b32_e32 v16, 1, v39
	v_add_u32_e32 v20, 3, v20
	v_cmp_eq_u32_e32 vcc, 1, v19
	v_cndmask_b32_e32 v18, v20, v18, vcc
	v_cmp_eq_u32_e32 vcc, 1, v16
	v_cndmask_b32_e32 v1, v18, v1, vcc
	v_lshlrev_b32_e32 v1, 2, v1
	ds_write_b32 v1, v17
	v_sub_u32_e32 v17, v29, v5
	v_sub_u32_e32 v1, v56, v4
	v_add_u32_e32 v17, v17, v2
	v_add_u32_e32 v19, v1, v17
	v_and_b32_e32 v18, 1, v40
	v_sub_u32_e32 v19, v31, v19
	v_and_b32_e32 v16, 1, v41
	v_add_u32_e32 v19, 4, v19
	;; [unrolled: 28-line block ×3, first 2 shown]
	v_cmp_eq_u32_e32 vcc, 1, v16
	v_cndmask_b32_e32 v15, v17, v15, vcc
	v_cmp_eq_u32_e32 vcc, 1, v14
	v_cndmask_b32_e32 v1, v15, v1, vcc
	v_lshlrev_b32_e32 v1, 2, v1
	v_sub_u32_e32 v14, v65, v5
	ds_write_b32 v1, v12
	v_sub_u32_e32 v1, v64, v4
	v_add_u32_e32 v14, v14, v2
	v_add_u32_e32 v16, v1, v14
	v_and_b32_e32 v15, 1, v46
	v_sub_u32_e32 v16, v31, v16
	v_and_b32_e32 v12, 1, v47
	v_add_u32_e32 v16, 7, v16
	v_cmp_eq_u32_e32 vcc, 1, v15
	v_cndmask_b32_e32 v14, v16, v14, vcc
	v_cmp_eq_u32_e32 vcc, 1, v12
	v_cndmask_b32_e32 v1, v14, v1, vcc
	v_lshlrev_b32_e32 v1, 2, v1
	v_add_u32_e32 v59, v64, v59
	ds_write_b32 v1, v13
	v_sub_u32_e32 v13, v66, v5
	v_sub_u32_e32 v1, v59, v4
	v_add_u32_e32 v13, v13, v2
	v_add_u32_e32 v15, v1, v13
	v_and_b32_e32 v14, 1, v48
	v_sub_u32_e32 v15, v31, v15
	v_and_b32_e32 v12, 1, v49
	v_add_u32_e32 v15, 8, v15
	v_cmp_eq_u32_e32 vcc, 1, v14
	v_cndmask_b32_e32 v13, v15, v13, vcc
	v_cmp_eq_u32_e32 vcc, 1, v12
	v_cndmask_b32_e32 v1, v13, v1, vcc
	v_add_u32_e32 v67, v59, v70
	v_lshlrev_b32_e32 v1, 2, v1
	v_sub_u32_e32 v12, v68, v5
	ds_write_b32 v1, v10
	v_sub_u32_e32 v1, v67, v4
	v_add_u32_e32 v12, v12, v2
	v_add_u32_e32 v14, v1, v12
	v_and_b32_e32 v13, 1, v50
	v_sub_u32_e32 v14, v31, v14
	v_and_b32_e32 v10, 1, v51
	v_add_u32_e32 v14, 9, v14
	v_cmp_eq_u32_e32 vcc, 1, v13
	v_cndmask_b32_e32 v12, v14, v12, vcc
	v_cmp_eq_u32_e32 vcc, 1, v10
	v_cndmask_b32_e32 v1, v12, v1, vcc
	v_lshlrev_b32_e32 v1, 2, v1
	v_add_u32_e32 v60, v67, v60
	ds_write_b32 v1, v11
	v_sub_u32_e32 v11, v69, v5
	v_sub_u32_e32 v1, v60, v4
	v_add_u32_e32 v11, v11, v2
	v_add_u32_e32 v13, v1, v11
	v_and_b32_e32 v12, 1, v52
	v_sub_u32_e32 v13, v31, v13
	v_and_b32_e32 v10, 1, v53
	v_add_u32_e32 v13, 10, v13
	v_cmp_eq_u32_e32 vcc, 1, v12
	v_cndmask_b32_e32 v11, v13, v11, vcc
	v_cmp_eq_u32_e32 vcc, 1, v10
	v_cndmask_b32_e32 v1, v11, v1, vcc
	v_add_u32_e32 v70, v60, v72
	v_lshlrev_b32_e32 v1, 2, v1
	v_sub_u32_e32 v10, v71, v5
	ds_write_b32 v1, v8
	v_sub_u32_e32 v1, v70, v4
	v_add_u32_e32 v10, v10, v2
	v_add_u32_e32 v12, v1, v10
	v_and_b32_e32 v11, 1, v54
	v_sub_u32_e32 v12, v31, v12
	v_and_b32_e32 v8, 1, v55
	v_add_u32_e32 v12, 11, v12
	v_cmp_eq_u32_e32 vcc, 1, v11
	v_cndmask_b32_e32 v10, v12, v10, vcc
	v_cmp_eq_u32_e32 vcc, 1, v8
	v_cndmask_b32_e32 v1, v10, v1, vcc
	v_add_u32_e32 v72, v71, v79
	v_add_u32_e32 v61, v70, v61
	v_lshlrev_b32_e32 v1, 2, v1
	ds_write_b32 v1, v9
	v_sub_u32_e32 v1, v61, v4
	v_sub_u32_e32 v4, v72, v5
	v_add_u32_e32 v4, v4, v2
	v_add_u32_e32 v8, v1, v4
	v_sub_u32_e32 v8, v31, v8
	v_add_u32_e32 v8, 12, v8
	v_cndmask_b32_e64 v4, v8, v4, s[58:59]
	v_cndmask_b32_e64 v1, v4, v1, s[46:47]
	v_lshlrev_b32_e32 v1, 2, v1
	ds_write_b32 v1, v30
	v_add_co_u32_e32 v1, vcc, v3, v73
	v_addc_co_u32_e64 v4, s[2:3], 0, 0, vcc
	v_add_co_u32_e32 v1, vcc, v1, v22
	v_addc_co_u32_e32 v4, vcc, v4, v23, vcc
	s_add_u32 s4, s56, s33
	v_add_co_u32_e32 v1, vcc, v1, v6
	s_addc_u32 s5, s57, 0
	v_addc_co_u32_e32 v4, vcc, v4, v7, vcc
	v_mov_b32_e32 v8, s5
	v_sub_co_u32_e32 v1, vcc, s4, v1
	v_subb_co_u32_e32 v4, vcc, v8, v4, vcc
	v_lshlrev_b64 v[8:9], 2, v[22:23]
	v_mov_b32_e32 v10, s55
	v_add_co_u32_e32 v8, vcc, s54, v8
	v_addc_co_u32_e32 v9, vcc, v10, v9, vcc
	v_lshlrev_b64 v[10:11], 2, v[6:7]
	v_mov_b32_e32 v13, s53
	v_add_co_u32_e32 v10, vcc, s52, v10
	s_add_u32 s6, s34, -4
	v_addc_co_u32_e32 v11, vcc, v13, v11, vcc
	s_addc_u32 s7, s35, -1
	v_add_u32_e32 v12, v2, v3
	s_and_b64 vcc, exec, s[0:1]
	s_mov_b64 s[0:1], -1
	s_waitcnt lgkmcnt(0)
	s_barrier
	s_cbranch_vccz .LBB244_133
; %bb.130:
	s_and_b64 vcc, exec, s[0:1]
	s_cbranch_vccnz .LBB244_238
.LBB244_131:
	v_cmp_eq_u32_e32 vcc, 0, v0
	s_and_b64 s[0:1], vcc, s[30:31]
	s_and_saveexec_b64 s[2:3], s[0:1]
	s_cbranch_execnz .LBB244_356
.LBB244_132:
	s_endpgm
.LBB244_133:
	v_cmp_le_u32_e32 vcc, v2, v0
	s_and_saveexec_b64 s[0:1], vcc
	s_xor_b64 s[0:1], exec, s[0:1]
	s_cbranch_execz .LBB244_139
; %bb.134:
	v_cmp_le_u32_e32 vcc, v12, v0
	s_and_saveexec_b64 s[2:3], vcc
	s_xor_b64 s[2:3], exec, s[2:3]
	s_cbranch_execz .LBB244_136
; %bb.135:
	v_lshlrev_b32_e32 v13, 2, v0
	v_add_co_u32_e32 v14, vcc, v1, v0
	ds_read_b32 v13, v13
	v_addc_co_u32_e32 v15, vcc, 0, v4, vcc
	v_lshlrev_b64 v[14:15], 2, v[14:15]
	v_mov_b32_e32 v16, s35
	v_sub_co_u32_e32 v14, vcc, s34, v14
	v_subb_co_u32_e32 v15, vcc, v16, v15, vcc
	s_waitcnt lgkmcnt(0)
	global_store_dword v[14:15], v13, off offset:-4
.LBB244_136:
	s_andn2_saveexec_b64 s[2:3], s[2:3]
	s_cbranch_execz .LBB244_138
; %bb.137:
	v_lshlrev_b32_e32 v13, 2, v0
	ds_read_b32 v14, v13
	v_readfirstlane_b32 s4, v8
	v_readfirstlane_b32 s5, v9
	s_waitcnt lgkmcnt(0)
	s_nop 3
	global_store_dword v13, v14, s[4:5]
.LBB244_138:
	s_or_b64 exec, exec, s[2:3]
.LBB244_139:
	s_andn2_saveexec_b64 s[0:1], s[0:1]
	s_cbranch_execz .LBB244_141
; %bb.140:
	v_lshlrev_b32_e32 v13, 2, v0
	ds_read_b32 v14, v13
	v_readfirstlane_b32 s2, v10
	v_readfirstlane_b32 s3, v11
	s_waitcnt lgkmcnt(0)
	s_nop 3
	global_store_dword v13, v14, s[2:3]
.LBB244_141:
	s_or_b64 exec, exec, s[0:1]
	v_or_b32_e32 v13, 0x100, v0
	v_cmp_le_u32_e32 vcc, v2, v13
	s_and_saveexec_b64 s[0:1], vcc
	s_xor_b64 s[0:1], exec, s[0:1]
	s_cbranch_execz .LBB244_147
; %bb.142:
	v_cmp_le_u32_e32 vcc, v12, v13
	s_and_saveexec_b64 s[2:3], vcc
	s_xor_b64 s[2:3], exec, s[2:3]
	s_cbranch_execz .LBB244_144
; %bb.143:
	v_lshlrev_b32_e32 v13, 2, v0
	ds_read_b32 v13, v13 offset:1024
	v_add_co_u32_e32 v14, vcc, v1, v0
	v_addc_co_u32_e32 v15, vcc, 0, v4, vcc
	v_lshlrev_b64 v[14:15], 2, v[14:15]
	v_mov_b32_e32 v16, s7
	v_sub_co_u32_e32 v14, vcc, s6, v14
	v_subb_co_u32_e32 v15, vcc, v16, v15, vcc
	s_waitcnt lgkmcnt(0)
	global_store_dword v[14:15], v13, off offset:-1024
.LBB244_144:
	s_andn2_saveexec_b64 s[2:3], s[2:3]
	s_cbranch_execz .LBB244_146
; %bb.145:
	v_lshlrev_b32_e32 v13, 2, v0
	ds_read_b32 v14, v13 offset:1024
	v_readfirstlane_b32 s4, v8
	v_readfirstlane_b32 s5, v9
	s_waitcnt lgkmcnt(0)
	s_nop 3
	global_store_dword v13, v14, s[4:5] offset:1024
.LBB244_146:
	s_or_b64 exec, exec, s[2:3]
.LBB244_147:
	s_andn2_saveexec_b64 s[0:1], s[0:1]
	s_cbranch_execz .LBB244_149
; %bb.148:
	v_lshlrev_b32_e32 v13, 2, v0
	ds_read_b32 v14, v13 offset:1024
	v_readfirstlane_b32 s2, v10
	v_readfirstlane_b32 s3, v11
	s_waitcnt lgkmcnt(0)
	s_nop 3
	global_store_dword v13, v14, s[2:3] offset:1024
.LBB244_149:
	s_or_b64 exec, exec, s[0:1]
	v_or_b32_e32 v13, 0x200, v0
	v_cmp_le_u32_e32 vcc, v2, v13
	s_and_saveexec_b64 s[0:1], vcc
	s_xor_b64 s[0:1], exec, s[0:1]
	s_cbranch_execz .LBB244_155
; %bb.150:
	v_cmp_le_u32_e32 vcc, v12, v13
	s_and_saveexec_b64 s[2:3], vcc
	s_xor_b64 s[2:3], exec, s[2:3]
	s_cbranch_execz .LBB244_152
; %bb.151:
	v_lshlrev_b32_e32 v13, 2, v0
	ds_read_b32 v13, v13 offset:2048
	v_add_co_u32_e32 v14, vcc, v1, v0
	v_addc_co_u32_e32 v15, vcc, 0, v4, vcc
	v_lshlrev_b64 v[14:15], 2, v[14:15]
	v_mov_b32_e32 v16, s7
	v_sub_co_u32_e32 v14, vcc, s6, v14
	v_subb_co_u32_e32 v15, vcc, v16, v15, vcc
	s_waitcnt lgkmcnt(0)
	global_store_dword v[14:15], v13, off offset:-2048
.LBB244_152:
	s_andn2_saveexec_b64 s[2:3], s[2:3]
	s_cbranch_execz .LBB244_154
; %bb.153:
	v_lshlrev_b32_e32 v13, 2, v0
	ds_read_b32 v14, v13 offset:2048
	v_readfirstlane_b32 s4, v8
	v_readfirstlane_b32 s5, v9
	s_waitcnt lgkmcnt(0)
	s_nop 3
	global_store_dword v13, v14, s[4:5] offset:2048
.LBB244_154:
	s_or_b64 exec, exec, s[2:3]
.LBB244_155:
	s_andn2_saveexec_b64 s[0:1], s[0:1]
	s_cbranch_execz .LBB244_157
; %bb.156:
	v_lshlrev_b32_e32 v13, 2, v0
	ds_read_b32 v14, v13 offset:2048
	v_readfirstlane_b32 s2, v10
	v_readfirstlane_b32 s3, v11
	s_waitcnt lgkmcnt(0)
	s_nop 3
	global_store_dword v13, v14, s[2:3] offset:2048
.LBB244_157:
	;; [unrolled: 47-line block ×3, first 2 shown]
	s_or_b64 exec, exec, s[0:1]
	v_or_b32_e32 v13, 0x400, v0
	v_cmp_le_u32_e32 vcc, v2, v13
	s_and_saveexec_b64 s[0:1], vcc
	s_xor_b64 s[0:1], exec, s[0:1]
	s_cbranch_execz .LBB244_171
; %bb.166:
	v_cmp_le_u32_e32 vcc, v12, v13
	s_and_saveexec_b64 s[2:3], vcc
	s_xor_b64 s[2:3], exec, s[2:3]
	s_cbranch_execz .LBB244_168
; %bb.167:
	v_lshlrev_b32_e32 v13, 2, v0
	ds_read_b32 v13, v13 offset:4096
	v_add_co_u32_e32 v14, vcc, v1, v0
	v_addc_co_u32_e32 v15, vcc, 0, v4, vcc
	v_lshlrev_b64 v[14:15], 2, v[14:15]
	v_mov_b32_e32 v16, s7
	v_sub_co_u32_e32 v14, vcc, s6, v14
	v_subb_co_u32_e32 v15, vcc, v16, v15, vcc
	s_waitcnt lgkmcnt(0)
	global_store_dword v[14:15], v13, off offset:-4096
                                        ; implicit-def: $vgpr13
.LBB244_168:
	s_andn2_saveexec_b64 s[2:3], s[2:3]
	s_cbranch_execz .LBB244_170
; %bb.169:
	v_lshlrev_b32_e32 v14, 2, v0
	ds_read_b32 v14, v14 offset:4096
	v_lshlrev_b32_e32 v13, 2, v13
	v_readfirstlane_b32 s4, v8
	v_readfirstlane_b32 s5, v9
	s_waitcnt lgkmcnt(0)
	s_nop 3
	global_store_dword v13, v14, s[4:5]
.LBB244_170:
	s_or_b64 exec, exec, s[2:3]
                                        ; implicit-def: $vgpr13
.LBB244_171:
	s_andn2_saveexec_b64 s[0:1], s[0:1]
	s_cbranch_execz .LBB244_173
; %bb.172:
	v_lshlrev_b32_e32 v14, 2, v0
	ds_read_b32 v14, v14 offset:4096
	v_lshlrev_b32_e32 v13, 2, v13
	v_readfirstlane_b32 s2, v10
	v_readfirstlane_b32 s3, v11
	s_waitcnt lgkmcnt(0)
	s_nop 3
	global_store_dword v13, v14, s[2:3]
.LBB244_173:
	s_or_b64 exec, exec, s[0:1]
	v_or_b32_e32 v13, 0x500, v0
	v_cmp_le_u32_e32 vcc, v2, v13
	s_and_saveexec_b64 s[0:1], vcc
	s_xor_b64 s[0:1], exec, s[0:1]
	s_cbranch_execz .LBB244_179
; %bb.174:
	v_cmp_le_u32_e32 vcc, v12, v13
	s_and_saveexec_b64 s[2:3], vcc
	s_xor_b64 s[2:3], exec, s[2:3]
	s_cbranch_execz .LBB244_176
; %bb.175:
	v_add_co_u32_e32 v14, vcc, v1, v13
	v_lshlrev_b32_e32 v13, 2, v0
	ds_read_b32 v13, v13 offset:5120
	v_addc_co_u32_e32 v15, vcc, 0, v4, vcc
	v_lshlrev_b64 v[14:15], 2, v[14:15]
	v_mov_b32_e32 v16, s7
	v_sub_co_u32_e32 v14, vcc, s6, v14
	v_subb_co_u32_e32 v15, vcc, v16, v15, vcc
	s_waitcnt lgkmcnt(0)
	global_store_dword v[14:15], v13, off
                                        ; implicit-def: $vgpr13
.LBB244_176:
	s_andn2_saveexec_b64 s[2:3], s[2:3]
	s_cbranch_execz .LBB244_178
; %bb.177:
	v_lshlrev_b32_e32 v14, 2, v0
	ds_read_b32 v14, v14 offset:5120
	v_lshlrev_b32_e32 v13, 2, v13
	v_readfirstlane_b32 s4, v8
	v_readfirstlane_b32 s5, v9
	s_waitcnt lgkmcnt(0)
	s_nop 3
	global_store_dword v13, v14, s[4:5]
.LBB244_178:
	s_or_b64 exec, exec, s[2:3]
                                        ; implicit-def: $vgpr13
.LBB244_179:
	s_andn2_saveexec_b64 s[0:1], s[0:1]
	s_cbranch_execz .LBB244_181
; %bb.180:
	v_lshlrev_b32_e32 v14, 2, v0
	ds_read_b32 v14, v14 offset:5120
	v_lshlrev_b32_e32 v13, 2, v13
	v_readfirstlane_b32 s2, v10
	v_readfirstlane_b32 s3, v11
	s_waitcnt lgkmcnt(0)
	s_nop 3
	global_store_dword v13, v14, s[2:3]
.LBB244_181:
	s_or_b64 exec, exec, s[0:1]
	v_or_b32_e32 v13, 0x600, v0
	v_cmp_le_u32_e32 vcc, v2, v13
	s_and_saveexec_b64 s[0:1], vcc
	s_xor_b64 s[0:1], exec, s[0:1]
	s_cbranch_execz .LBB244_187
; %bb.182:
	v_cmp_le_u32_e32 vcc, v12, v13
	s_and_saveexec_b64 s[2:3], vcc
	s_xor_b64 s[2:3], exec, s[2:3]
	s_cbranch_execz .LBB244_184
; %bb.183:
	v_add_co_u32_e32 v14, vcc, v1, v13
	v_lshlrev_b32_e32 v13, 2, v0
	ds_read_b32 v13, v13 offset:6144
	v_addc_co_u32_e32 v15, vcc, 0, v4, vcc
	v_lshlrev_b64 v[14:15], 2, v[14:15]
	v_mov_b32_e32 v16, s7
	v_sub_co_u32_e32 v14, vcc, s6, v14
	v_subb_co_u32_e32 v15, vcc, v16, v15, vcc
	s_waitcnt lgkmcnt(0)
	global_store_dword v[14:15], v13, off
                                        ; implicit-def: $vgpr13
.LBB244_184:
	s_andn2_saveexec_b64 s[2:3], s[2:3]
	s_cbranch_execz .LBB244_186
; %bb.185:
	v_lshlrev_b32_e32 v14, 2, v0
	ds_read_b32 v14, v14 offset:6144
	v_lshlrev_b32_e32 v13, 2, v13
	v_readfirstlane_b32 s4, v8
	v_readfirstlane_b32 s5, v9
	s_waitcnt lgkmcnt(0)
	s_nop 3
	global_store_dword v13, v14, s[4:5]
.LBB244_186:
	s_or_b64 exec, exec, s[2:3]
                                        ; implicit-def: $vgpr13
.LBB244_187:
	;; [unrolled: 51-line block ×8, first 2 shown]
	s_andn2_saveexec_b64 s[0:1], s[0:1]
	s_cbranch_execz .LBB244_237
; %bb.236:
	v_lshlrev_b32_e32 v14, 2, v0
	ds_read_b32 v14, v14 offset:12288
	v_lshlrev_b32_e32 v13, 2, v13
	v_readfirstlane_b32 s2, v10
	v_readfirstlane_b32 s3, v11
	s_waitcnt lgkmcnt(0)
	s_nop 3
	global_store_dword v13, v14, s[2:3]
.LBB244_237:
	s_or_b64 exec, exec, s[0:1]
	s_branch .LBB244_131
.LBB244_238:
	v_cmp_gt_u32_e32 vcc, s18, v0
	s_and_saveexec_b64 s[0:1], vcc
	s_cbranch_execz .LBB244_247
; %bb.239:
	v_cmp_le_u32_e32 vcc, v2, v0
	s_and_saveexec_b64 s[2:3], vcc
	s_xor_b64 s[2:3], exec, s[2:3]
	s_cbranch_execz .LBB244_245
; %bb.240:
	v_cmp_le_u32_e32 vcc, v12, v0
	s_and_saveexec_b64 s[4:5], vcc
	s_xor_b64 s[4:5], exec, s[4:5]
	s_cbranch_execz .LBB244_242
; %bb.241:
	v_lshlrev_b32_e32 v13, 2, v0
	v_add_co_u32_e32 v14, vcc, v1, v0
	ds_read_b32 v13, v13
	v_addc_co_u32_e32 v15, vcc, 0, v4, vcc
	v_lshlrev_b64 v[14:15], 2, v[14:15]
	v_mov_b32_e32 v16, s35
	v_sub_co_u32_e32 v14, vcc, s34, v14
	v_subb_co_u32_e32 v15, vcc, v16, v15, vcc
	s_waitcnt lgkmcnt(0)
	global_store_dword v[14:15], v13, off offset:-4
.LBB244_242:
	s_andn2_saveexec_b64 s[4:5], s[4:5]
	s_cbranch_execz .LBB244_244
; %bb.243:
	v_lshlrev_b32_e32 v13, 2, v0
	ds_read_b32 v14, v13
	v_readfirstlane_b32 s8, v8
	v_readfirstlane_b32 s9, v9
	s_waitcnt lgkmcnt(0)
	s_nop 3
	global_store_dword v13, v14, s[8:9]
.LBB244_244:
	s_or_b64 exec, exec, s[4:5]
.LBB244_245:
	s_andn2_saveexec_b64 s[2:3], s[2:3]
	s_cbranch_execz .LBB244_247
; %bb.246:
	v_lshlrev_b32_e32 v13, 2, v0
	ds_read_b32 v14, v13
	v_readfirstlane_b32 s2, v10
	v_readfirstlane_b32 s3, v11
	s_waitcnt lgkmcnt(0)
	s_nop 3
	global_store_dword v13, v14, s[2:3]
.LBB244_247:
	s_or_b64 exec, exec, s[0:1]
	v_or_b32_e32 v13, 0x100, v0
	v_cmp_gt_u32_e32 vcc, s18, v13
	s_and_saveexec_b64 s[0:1], vcc
	s_cbranch_execz .LBB244_256
; %bb.248:
	v_cmp_le_u32_e32 vcc, v2, v13
	s_and_saveexec_b64 s[2:3], vcc
	s_xor_b64 s[2:3], exec, s[2:3]
	s_cbranch_execz .LBB244_254
; %bb.249:
	v_cmp_le_u32_e32 vcc, v12, v13
	s_and_saveexec_b64 s[4:5], vcc
	s_xor_b64 s[4:5], exec, s[4:5]
	s_cbranch_execz .LBB244_251
; %bb.250:
	v_lshlrev_b32_e32 v13, 2, v0
	ds_read_b32 v13, v13 offset:1024
	v_add_co_u32_e32 v14, vcc, v1, v0
	v_addc_co_u32_e32 v15, vcc, 0, v4, vcc
	v_lshlrev_b64 v[14:15], 2, v[14:15]
	v_mov_b32_e32 v16, s7
	v_sub_co_u32_e32 v14, vcc, s6, v14
	v_subb_co_u32_e32 v15, vcc, v16, v15, vcc
	s_waitcnt lgkmcnt(0)
	global_store_dword v[14:15], v13, off offset:-1024
.LBB244_251:
	s_andn2_saveexec_b64 s[4:5], s[4:5]
	s_cbranch_execz .LBB244_253
; %bb.252:
	v_lshlrev_b32_e32 v13, 2, v0
	ds_read_b32 v14, v13 offset:1024
	v_readfirstlane_b32 s8, v8
	v_readfirstlane_b32 s9, v9
	s_waitcnt lgkmcnt(0)
	s_nop 3
	global_store_dword v13, v14, s[8:9] offset:1024
.LBB244_253:
	s_or_b64 exec, exec, s[4:5]
.LBB244_254:
	s_andn2_saveexec_b64 s[2:3], s[2:3]
	s_cbranch_execz .LBB244_256
; %bb.255:
	v_lshlrev_b32_e32 v13, 2, v0
	ds_read_b32 v14, v13 offset:1024
	v_readfirstlane_b32 s2, v10
	v_readfirstlane_b32 s3, v11
	s_waitcnt lgkmcnt(0)
	s_nop 3
	global_store_dword v13, v14, s[2:3] offset:1024
.LBB244_256:
	s_or_b64 exec, exec, s[0:1]
	v_or_b32_e32 v13, 0x200, v0
	v_cmp_gt_u32_e32 vcc, s18, v13
	s_and_saveexec_b64 s[0:1], vcc
	s_cbranch_execz .LBB244_265
; %bb.257:
	v_cmp_le_u32_e32 vcc, v2, v13
	s_and_saveexec_b64 s[2:3], vcc
	s_xor_b64 s[2:3], exec, s[2:3]
	s_cbranch_execz .LBB244_263
; %bb.258:
	v_cmp_le_u32_e32 vcc, v12, v13
	s_and_saveexec_b64 s[4:5], vcc
	s_xor_b64 s[4:5], exec, s[4:5]
	s_cbranch_execz .LBB244_260
; %bb.259:
	v_lshlrev_b32_e32 v13, 2, v0
	ds_read_b32 v13, v13 offset:2048
	v_add_co_u32_e32 v14, vcc, v1, v0
	v_addc_co_u32_e32 v15, vcc, 0, v4, vcc
	v_lshlrev_b64 v[14:15], 2, v[14:15]
	v_mov_b32_e32 v16, s7
	v_sub_co_u32_e32 v14, vcc, s6, v14
	v_subb_co_u32_e32 v15, vcc, v16, v15, vcc
	s_waitcnt lgkmcnt(0)
	global_store_dword v[14:15], v13, off offset:-2048
.LBB244_260:
	s_andn2_saveexec_b64 s[4:5], s[4:5]
	s_cbranch_execz .LBB244_262
; %bb.261:
	v_lshlrev_b32_e32 v13, 2, v0
	ds_read_b32 v14, v13 offset:2048
	v_readfirstlane_b32 s8, v8
	v_readfirstlane_b32 s9, v9
	s_waitcnt lgkmcnt(0)
	s_nop 3
	global_store_dword v13, v14, s[8:9] offset:2048
.LBB244_262:
	s_or_b64 exec, exec, s[4:5]
.LBB244_263:
	s_andn2_saveexec_b64 s[2:3], s[2:3]
	s_cbranch_execz .LBB244_265
; %bb.264:
	v_lshlrev_b32_e32 v13, 2, v0
	ds_read_b32 v14, v13 offset:2048
	v_readfirstlane_b32 s2, v10
	v_readfirstlane_b32 s3, v11
	s_waitcnt lgkmcnt(0)
	s_nop 3
	global_store_dword v13, v14, s[2:3] offset:2048
.LBB244_265:
	s_or_b64 exec, exec, s[0:1]
	v_or_b32_e32 v13, 0x300, v0
	v_cmp_gt_u32_e32 vcc, s18, v13
	s_and_saveexec_b64 s[0:1], vcc
	s_cbranch_execz .LBB244_274
; %bb.266:
	v_cmp_le_u32_e32 vcc, v2, v13
	s_and_saveexec_b64 s[2:3], vcc
	s_xor_b64 s[2:3], exec, s[2:3]
	s_cbranch_execz .LBB244_272
; %bb.267:
	v_cmp_le_u32_e32 vcc, v12, v13
	s_and_saveexec_b64 s[4:5], vcc
	s_xor_b64 s[4:5], exec, s[4:5]
	s_cbranch_execz .LBB244_269
; %bb.268:
	v_lshlrev_b32_e32 v13, 2, v0
	ds_read_b32 v13, v13 offset:3072
	v_add_co_u32_e32 v14, vcc, v1, v0
	v_addc_co_u32_e32 v15, vcc, 0, v4, vcc
	v_lshlrev_b64 v[14:15], 2, v[14:15]
	v_mov_b32_e32 v16, s7
	v_sub_co_u32_e32 v14, vcc, s6, v14
	v_subb_co_u32_e32 v15, vcc, v16, v15, vcc
	s_waitcnt lgkmcnt(0)
	global_store_dword v[14:15], v13, off offset:-3072
.LBB244_269:
	s_andn2_saveexec_b64 s[4:5], s[4:5]
	s_cbranch_execz .LBB244_271
; %bb.270:
	v_lshlrev_b32_e32 v13, 2, v0
	ds_read_b32 v14, v13 offset:3072
	v_readfirstlane_b32 s8, v8
	v_readfirstlane_b32 s9, v9
	s_waitcnt lgkmcnt(0)
	s_nop 3
	global_store_dword v13, v14, s[8:9] offset:3072
.LBB244_271:
	s_or_b64 exec, exec, s[4:5]
.LBB244_272:
	s_andn2_saveexec_b64 s[2:3], s[2:3]
	s_cbranch_execz .LBB244_274
; %bb.273:
	v_lshlrev_b32_e32 v13, 2, v0
	ds_read_b32 v14, v13 offset:3072
	v_readfirstlane_b32 s2, v10
	v_readfirstlane_b32 s3, v11
	s_waitcnt lgkmcnt(0)
	s_nop 3
	global_store_dword v13, v14, s[2:3] offset:3072
.LBB244_274:
	s_or_b64 exec, exec, s[0:1]
	v_or_b32_e32 v13, 0x400, v0
	v_cmp_gt_u32_e32 vcc, s18, v13
	s_and_saveexec_b64 s[0:1], vcc
	s_cbranch_execz .LBB244_283
; %bb.275:
	v_cmp_le_u32_e32 vcc, v2, v13
	s_and_saveexec_b64 s[2:3], vcc
	s_xor_b64 s[2:3], exec, s[2:3]
	s_cbranch_execz .LBB244_281
; %bb.276:
	v_cmp_le_u32_e32 vcc, v12, v13
	s_and_saveexec_b64 s[4:5], vcc
	s_xor_b64 s[4:5], exec, s[4:5]
	s_cbranch_execz .LBB244_278
; %bb.277:
	v_lshlrev_b32_e32 v13, 2, v0
	ds_read_b32 v13, v13 offset:4096
	v_add_co_u32_e32 v14, vcc, v1, v0
	v_addc_co_u32_e32 v15, vcc, 0, v4, vcc
	v_lshlrev_b64 v[14:15], 2, v[14:15]
	v_mov_b32_e32 v16, s7
	v_sub_co_u32_e32 v14, vcc, s6, v14
	v_subb_co_u32_e32 v15, vcc, v16, v15, vcc
	s_waitcnt lgkmcnt(0)
	global_store_dword v[14:15], v13, off offset:-4096
                                        ; implicit-def: $vgpr13
.LBB244_278:
	s_andn2_saveexec_b64 s[4:5], s[4:5]
	s_cbranch_execz .LBB244_280
; %bb.279:
	v_lshlrev_b32_e32 v14, 2, v0
	ds_read_b32 v14, v14 offset:4096
	v_lshlrev_b32_e32 v13, 2, v13
	v_readfirstlane_b32 s8, v8
	v_readfirstlane_b32 s9, v9
	s_waitcnt lgkmcnt(0)
	s_nop 3
	global_store_dword v13, v14, s[8:9]
.LBB244_280:
	s_or_b64 exec, exec, s[4:5]
                                        ; implicit-def: $vgpr13
.LBB244_281:
	s_andn2_saveexec_b64 s[2:3], s[2:3]
	s_cbranch_execz .LBB244_283
; %bb.282:
	v_lshlrev_b32_e32 v14, 2, v0
	ds_read_b32 v14, v14 offset:4096
	v_lshlrev_b32_e32 v13, 2, v13
	v_readfirstlane_b32 s2, v10
	v_readfirstlane_b32 s3, v11
	s_waitcnt lgkmcnt(0)
	s_nop 3
	global_store_dword v13, v14, s[2:3]
.LBB244_283:
	s_or_b64 exec, exec, s[0:1]
	v_or_b32_e32 v13, 0x500, v0
	v_cmp_gt_u32_e32 vcc, s18, v13
	s_and_saveexec_b64 s[0:1], vcc
	s_cbranch_execz .LBB244_292
; %bb.284:
	v_cmp_le_u32_e32 vcc, v2, v13
	s_and_saveexec_b64 s[2:3], vcc
	s_xor_b64 s[2:3], exec, s[2:3]
	s_cbranch_execz .LBB244_290
; %bb.285:
	v_cmp_le_u32_e32 vcc, v12, v13
	s_and_saveexec_b64 s[4:5], vcc
	s_xor_b64 s[4:5], exec, s[4:5]
	s_cbranch_execz .LBB244_287
; %bb.286:
	v_add_co_u32_e32 v14, vcc, v1, v13
	v_lshlrev_b32_e32 v13, 2, v0
	ds_read_b32 v13, v13 offset:5120
	v_addc_co_u32_e32 v15, vcc, 0, v4, vcc
	v_lshlrev_b64 v[14:15], 2, v[14:15]
	v_mov_b32_e32 v16, s7
	v_sub_co_u32_e32 v14, vcc, s6, v14
	v_subb_co_u32_e32 v15, vcc, v16, v15, vcc
	s_waitcnt lgkmcnt(0)
	global_store_dword v[14:15], v13, off
                                        ; implicit-def: $vgpr13
.LBB244_287:
	s_andn2_saveexec_b64 s[4:5], s[4:5]
	s_cbranch_execz .LBB244_289
; %bb.288:
	v_lshlrev_b32_e32 v14, 2, v0
	ds_read_b32 v14, v14 offset:5120
	v_lshlrev_b32_e32 v13, 2, v13
	v_readfirstlane_b32 s8, v8
	v_readfirstlane_b32 s9, v9
	s_waitcnt lgkmcnt(0)
	s_nop 3
	global_store_dword v13, v14, s[8:9]
.LBB244_289:
	s_or_b64 exec, exec, s[4:5]
                                        ; implicit-def: $vgpr13
.LBB244_290:
	s_andn2_saveexec_b64 s[2:3], s[2:3]
	s_cbranch_execz .LBB244_292
; %bb.291:
	v_lshlrev_b32_e32 v14, 2, v0
	ds_read_b32 v14, v14 offset:5120
	v_lshlrev_b32_e32 v13, 2, v13
	v_readfirstlane_b32 s2, v10
	v_readfirstlane_b32 s3, v11
	s_waitcnt lgkmcnt(0)
	s_nop 3
	global_store_dword v13, v14, s[2:3]
.LBB244_292:
	s_or_b64 exec, exec, s[0:1]
	v_or_b32_e32 v13, 0x600, v0
	v_cmp_gt_u32_e32 vcc, s18, v13
	s_and_saveexec_b64 s[0:1], vcc
	s_cbranch_execz .LBB244_301
; %bb.293:
	v_cmp_le_u32_e32 vcc, v2, v13
	s_and_saveexec_b64 s[2:3], vcc
	s_xor_b64 s[2:3], exec, s[2:3]
	s_cbranch_execz .LBB244_299
; %bb.294:
	v_cmp_le_u32_e32 vcc, v12, v13
	s_and_saveexec_b64 s[4:5], vcc
	s_xor_b64 s[4:5], exec, s[4:5]
	s_cbranch_execz .LBB244_296
; %bb.295:
	v_add_co_u32_e32 v14, vcc, v1, v13
	v_lshlrev_b32_e32 v13, 2, v0
	ds_read_b32 v13, v13 offset:6144
	v_addc_co_u32_e32 v15, vcc, 0, v4, vcc
	v_lshlrev_b64 v[14:15], 2, v[14:15]
	v_mov_b32_e32 v16, s7
	v_sub_co_u32_e32 v14, vcc, s6, v14
	v_subb_co_u32_e32 v15, vcc, v16, v15, vcc
	s_waitcnt lgkmcnt(0)
	global_store_dword v[14:15], v13, off
                                        ; implicit-def: $vgpr13
.LBB244_296:
	s_andn2_saveexec_b64 s[4:5], s[4:5]
	s_cbranch_execz .LBB244_298
; %bb.297:
	v_lshlrev_b32_e32 v14, 2, v0
	ds_read_b32 v14, v14 offset:6144
	v_lshlrev_b32_e32 v13, 2, v13
	v_readfirstlane_b32 s8, v8
	v_readfirstlane_b32 s9, v9
	s_waitcnt lgkmcnt(0)
	s_nop 3
	global_store_dword v13, v14, s[8:9]
.LBB244_298:
	s_or_b64 exec, exec, s[4:5]
                                        ; implicit-def: $vgpr13
.LBB244_299:
	s_andn2_saveexec_b64 s[2:3], s[2:3]
	s_cbranch_execz .LBB244_301
; %bb.300:
	v_lshlrev_b32_e32 v14, 2, v0
	ds_read_b32 v14, v14 offset:6144
	v_lshlrev_b32_e32 v13, 2, v13
	v_readfirstlane_b32 s2, v10
	v_readfirstlane_b32 s3, v11
	s_waitcnt lgkmcnt(0)
	s_nop 3
	global_store_dword v13, v14, s[2:3]
.LBB244_301:
	;; [unrolled: 55-line block ×7, first 2 shown]
	s_or_b64 exec, exec, s[0:1]
	v_or_b32_e32 v13, 0xc00, v0
	v_cmp_gt_u32_e32 vcc, s18, v13
	s_and_saveexec_b64 s[0:1], vcc
	s_cbranch_execz .LBB244_355
; %bb.347:
	v_cmp_le_u32_e32 vcc, v2, v13
	s_and_saveexec_b64 s[2:3], vcc
	s_xor_b64 s[2:3], exec, s[2:3]
	s_cbranch_execz .LBB244_353
; %bb.348:
	v_cmp_le_u32_e32 vcc, v12, v13
	s_and_saveexec_b64 s[4:5], vcc
	s_xor_b64 s[4:5], exec, s[4:5]
	s_cbranch_execz .LBB244_350
; %bb.349:
	v_add_co_u32_e32 v8, vcc, v1, v13
	v_lshlrev_b32_e32 v1, 2, v0
	ds_read_b32 v1, v1 offset:12288
	v_addc_co_u32_e32 v9, vcc, 0, v4, vcc
	v_lshlrev_b64 v[8:9], 2, v[8:9]
	v_mov_b32_e32 v4, s7
	v_sub_co_u32_e32 v8, vcc, s6, v8
	v_subb_co_u32_e32 v9, vcc, v4, v9, vcc
	s_waitcnt lgkmcnt(0)
	global_store_dword v[8:9], v1, off
                                        ; implicit-def: $vgpr13
                                        ; implicit-def: $vgpr8_vgpr9
.LBB244_350:
	s_andn2_saveexec_b64 s[4:5], s[4:5]
	s_cbranch_execz .LBB244_352
; %bb.351:
	v_lshlrev_b32_e32 v1, 2, v0
	ds_read_b32 v1, v1 offset:12288
	v_lshlrev_b32_e32 v4, 2, v13
	v_readfirstlane_b32 s6, v8
	v_readfirstlane_b32 s7, v9
	s_waitcnt lgkmcnt(0)
	s_nop 3
	global_store_dword v4, v1, s[6:7]
.LBB244_352:
	s_or_b64 exec, exec, s[4:5]
                                        ; implicit-def: $vgpr13
                                        ; implicit-def: $vgpr10_vgpr11
.LBB244_353:
	s_andn2_saveexec_b64 s[2:3], s[2:3]
	s_cbranch_execz .LBB244_355
; %bb.354:
	v_lshlrev_b32_e32 v1, 2, v0
	ds_read_b32 v1, v1 offset:12288
	v_lshlrev_b32_e32 v4, 2, v13
	v_readfirstlane_b32 s2, v10
	v_readfirstlane_b32 s3, v11
	s_waitcnt lgkmcnt(0)
	s_nop 3
	global_store_dword v4, v1, s[2:3]
.LBB244_355:
	s_or_b64 exec, exec, s[0:1]
	v_cmp_eq_u32_e32 vcc, 0, v0
	s_and_b64 s[0:1], vcc, s[30:31]
	s_and_saveexec_b64 s[2:3], s[0:1]
	s_cbranch_execz .LBB244_132
.LBB244_356:
	v_add_co_u32_e32 v0, vcc, v6, v2
	v_addc_co_u32_e32 v1, vcc, 0, v7, vcc
	v_mov_b32_e32 v2, s51
	v_add_co_u32_e32 v3, vcc, s50, v3
	v_addc_co_u32_e32 v6, vcc, 0, v2, vcc
	v_add_co_u32_e32 v2, vcc, v3, v5
	v_mov_b32_e32 v4, 0
	v_addc_co_u32_e32 v3, vcc, 0, v6, vcc
	global_store_dwordx4 v4, v[0:3], s[44:45]
	s_endpgm
	.section	.rodata,"a",@progbits
	.p2align	6, 0x0
	.amdhsa_kernel _ZN7rocprim17ROCPRIM_400000_NS6detail17trampoline_kernelINS0_13select_configILj256ELj13ELNS0_17block_load_methodE3ELS4_3ELS4_3ELNS0_20block_scan_algorithmE0ELj4294967295EEENS1_25partition_config_selectorILNS1_17partition_subalgoE4EjNS0_10empty_typeEbEEZZNS1_14partition_implILS8_4ELb0ES6_15HIP_vector_typeIjLj2EENS0_17counting_iteratorIjlEEPS9_SG_NS0_5tupleIJPjSI_NS0_16reverse_iteratorISI_EEEEENSH_IJSG_SG_SG_EEES9_SI_JZNS1_25segmented_radix_sort_implINS0_14default_configELb1EPKaPaPKlPlN2at6native12_GLOBAL__N_18offset_tEEE10hipError_tPvRmT1_PNSt15iterator_traitsIS12_E10value_typeET2_T3_PNS13_IS18_E10value_typeET4_jRbjT5_S1E_jjP12ihipStream_tbEUljE_ZNSN_ISO_Lb1ESQ_SR_ST_SU_SY_EESZ_S10_S11_S12_S16_S17_S18_S1B_S1C_jS1D_jS1E_S1E_jjS1G_bEUljE0_EEESZ_S10_S11_S18_S1C_S1E_T6_T7_T9_mT8_S1G_bDpT10_ENKUlT_T0_E_clISt17integral_constantIbLb1EES1T_IbLb0EEEEDaS1P_S1Q_EUlS1P_E_NS1_11comp_targetILNS1_3genE4ELNS1_11target_archE910ELNS1_3gpuE8ELNS1_3repE0EEENS1_30default_config_static_selectorELNS0_4arch9wavefront6targetE1EEEvS12_
		.amdhsa_group_segment_fixed_size 13340
		.amdhsa_private_segment_fixed_size 0
		.amdhsa_kernarg_size 176
		.amdhsa_user_sgpr_count 6
		.amdhsa_user_sgpr_private_segment_buffer 1
		.amdhsa_user_sgpr_dispatch_ptr 0
		.amdhsa_user_sgpr_queue_ptr 0
		.amdhsa_user_sgpr_kernarg_segment_ptr 1
		.amdhsa_user_sgpr_dispatch_id 0
		.amdhsa_user_sgpr_flat_scratch_init 0
		.amdhsa_user_sgpr_kernarg_preload_length 0
		.amdhsa_user_sgpr_kernarg_preload_offset 0
		.amdhsa_user_sgpr_private_segment_size 0
		.amdhsa_uses_dynamic_stack 0
		.amdhsa_system_sgpr_private_segment_wavefront_offset 0
		.amdhsa_system_sgpr_workgroup_id_x 1
		.amdhsa_system_sgpr_workgroup_id_y 0
		.amdhsa_system_sgpr_workgroup_id_z 0
		.amdhsa_system_sgpr_workgroup_info 0
		.amdhsa_system_vgpr_workitem_id 0
		.amdhsa_next_free_vgpr 102
		.amdhsa_next_free_sgpr 90
		.amdhsa_accum_offset 104
		.amdhsa_reserve_vcc 1
		.amdhsa_reserve_flat_scratch 0
		.amdhsa_float_round_mode_32 0
		.amdhsa_float_round_mode_16_64 0
		.amdhsa_float_denorm_mode_32 3
		.amdhsa_float_denorm_mode_16_64 3
		.amdhsa_dx10_clamp 1
		.amdhsa_ieee_mode 1
		.amdhsa_fp16_overflow 0
		.amdhsa_tg_split 0
		.amdhsa_exception_fp_ieee_invalid_op 0
		.amdhsa_exception_fp_denorm_src 0
		.amdhsa_exception_fp_ieee_div_zero 0
		.amdhsa_exception_fp_ieee_overflow 0
		.amdhsa_exception_fp_ieee_underflow 0
		.amdhsa_exception_fp_ieee_inexact 0
		.amdhsa_exception_int_div_zero 0
	.end_amdhsa_kernel
	.section	.text._ZN7rocprim17ROCPRIM_400000_NS6detail17trampoline_kernelINS0_13select_configILj256ELj13ELNS0_17block_load_methodE3ELS4_3ELS4_3ELNS0_20block_scan_algorithmE0ELj4294967295EEENS1_25partition_config_selectorILNS1_17partition_subalgoE4EjNS0_10empty_typeEbEEZZNS1_14partition_implILS8_4ELb0ES6_15HIP_vector_typeIjLj2EENS0_17counting_iteratorIjlEEPS9_SG_NS0_5tupleIJPjSI_NS0_16reverse_iteratorISI_EEEEENSH_IJSG_SG_SG_EEES9_SI_JZNS1_25segmented_radix_sort_implINS0_14default_configELb1EPKaPaPKlPlN2at6native12_GLOBAL__N_18offset_tEEE10hipError_tPvRmT1_PNSt15iterator_traitsIS12_E10value_typeET2_T3_PNS13_IS18_E10value_typeET4_jRbjT5_S1E_jjP12ihipStream_tbEUljE_ZNSN_ISO_Lb1ESQ_SR_ST_SU_SY_EESZ_S10_S11_S12_S16_S17_S18_S1B_S1C_jS1D_jS1E_S1E_jjS1G_bEUljE0_EEESZ_S10_S11_S18_S1C_S1E_T6_T7_T9_mT8_S1G_bDpT10_ENKUlT_T0_E_clISt17integral_constantIbLb1EES1T_IbLb0EEEEDaS1P_S1Q_EUlS1P_E_NS1_11comp_targetILNS1_3genE4ELNS1_11target_archE910ELNS1_3gpuE8ELNS1_3repE0EEENS1_30default_config_static_selectorELNS0_4arch9wavefront6targetE1EEEvS12_,"axG",@progbits,_ZN7rocprim17ROCPRIM_400000_NS6detail17trampoline_kernelINS0_13select_configILj256ELj13ELNS0_17block_load_methodE3ELS4_3ELS4_3ELNS0_20block_scan_algorithmE0ELj4294967295EEENS1_25partition_config_selectorILNS1_17partition_subalgoE4EjNS0_10empty_typeEbEEZZNS1_14partition_implILS8_4ELb0ES6_15HIP_vector_typeIjLj2EENS0_17counting_iteratorIjlEEPS9_SG_NS0_5tupleIJPjSI_NS0_16reverse_iteratorISI_EEEEENSH_IJSG_SG_SG_EEES9_SI_JZNS1_25segmented_radix_sort_implINS0_14default_configELb1EPKaPaPKlPlN2at6native12_GLOBAL__N_18offset_tEEE10hipError_tPvRmT1_PNSt15iterator_traitsIS12_E10value_typeET2_T3_PNS13_IS18_E10value_typeET4_jRbjT5_S1E_jjP12ihipStream_tbEUljE_ZNSN_ISO_Lb1ESQ_SR_ST_SU_SY_EESZ_S10_S11_S12_S16_S17_S18_S1B_S1C_jS1D_jS1E_S1E_jjS1G_bEUljE0_EEESZ_S10_S11_S18_S1C_S1E_T6_T7_T9_mT8_S1G_bDpT10_ENKUlT_T0_E_clISt17integral_constantIbLb1EES1T_IbLb0EEEEDaS1P_S1Q_EUlS1P_E_NS1_11comp_targetILNS1_3genE4ELNS1_11target_archE910ELNS1_3gpuE8ELNS1_3repE0EEENS1_30default_config_static_selectorELNS0_4arch9wavefront6targetE1EEEvS12_,comdat
.Lfunc_end244:
	.size	_ZN7rocprim17ROCPRIM_400000_NS6detail17trampoline_kernelINS0_13select_configILj256ELj13ELNS0_17block_load_methodE3ELS4_3ELS4_3ELNS0_20block_scan_algorithmE0ELj4294967295EEENS1_25partition_config_selectorILNS1_17partition_subalgoE4EjNS0_10empty_typeEbEEZZNS1_14partition_implILS8_4ELb0ES6_15HIP_vector_typeIjLj2EENS0_17counting_iteratorIjlEEPS9_SG_NS0_5tupleIJPjSI_NS0_16reverse_iteratorISI_EEEEENSH_IJSG_SG_SG_EEES9_SI_JZNS1_25segmented_radix_sort_implINS0_14default_configELb1EPKaPaPKlPlN2at6native12_GLOBAL__N_18offset_tEEE10hipError_tPvRmT1_PNSt15iterator_traitsIS12_E10value_typeET2_T3_PNS13_IS18_E10value_typeET4_jRbjT5_S1E_jjP12ihipStream_tbEUljE_ZNSN_ISO_Lb1ESQ_SR_ST_SU_SY_EESZ_S10_S11_S12_S16_S17_S18_S1B_S1C_jS1D_jS1E_S1E_jjS1G_bEUljE0_EEESZ_S10_S11_S18_S1C_S1E_T6_T7_T9_mT8_S1G_bDpT10_ENKUlT_T0_E_clISt17integral_constantIbLb1EES1T_IbLb0EEEEDaS1P_S1Q_EUlS1P_E_NS1_11comp_targetILNS1_3genE4ELNS1_11target_archE910ELNS1_3gpuE8ELNS1_3repE0EEENS1_30default_config_static_selectorELNS0_4arch9wavefront6targetE1EEEvS12_, .Lfunc_end244-_ZN7rocprim17ROCPRIM_400000_NS6detail17trampoline_kernelINS0_13select_configILj256ELj13ELNS0_17block_load_methodE3ELS4_3ELS4_3ELNS0_20block_scan_algorithmE0ELj4294967295EEENS1_25partition_config_selectorILNS1_17partition_subalgoE4EjNS0_10empty_typeEbEEZZNS1_14partition_implILS8_4ELb0ES6_15HIP_vector_typeIjLj2EENS0_17counting_iteratorIjlEEPS9_SG_NS0_5tupleIJPjSI_NS0_16reverse_iteratorISI_EEEEENSH_IJSG_SG_SG_EEES9_SI_JZNS1_25segmented_radix_sort_implINS0_14default_configELb1EPKaPaPKlPlN2at6native12_GLOBAL__N_18offset_tEEE10hipError_tPvRmT1_PNSt15iterator_traitsIS12_E10value_typeET2_T3_PNS13_IS18_E10value_typeET4_jRbjT5_S1E_jjP12ihipStream_tbEUljE_ZNSN_ISO_Lb1ESQ_SR_ST_SU_SY_EESZ_S10_S11_S12_S16_S17_S18_S1B_S1C_jS1D_jS1E_S1E_jjS1G_bEUljE0_EEESZ_S10_S11_S18_S1C_S1E_T6_T7_T9_mT8_S1G_bDpT10_ENKUlT_T0_E_clISt17integral_constantIbLb1EES1T_IbLb0EEEEDaS1P_S1Q_EUlS1P_E_NS1_11comp_targetILNS1_3genE4ELNS1_11target_archE910ELNS1_3gpuE8ELNS1_3repE0EEENS1_30default_config_static_selectorELNS0_4arch9wavefront6targetE1EEEvS12_
                                        ; -- End function
	.section	.AMDGPU.csdata,"",@progbits
; Kernel info:
; codeLenInByte = 13412
; NumSgprs: 94
; NumVgprs: 102
; NumAgprs: 0
; TotalNumVgprs: 102
; ScratchSize: 0
; MemoryBound: 0
; FloatMode: 240
; IeeeMode: 1
; LDSByteSize: 13340 bytes/workgroup (compile time only)
; SGPRBlocks: 11
; VGPRBlocks: 12
; NumSGPRsForWavesPerEU: 94
; NumVGPRsForWavesPerEU: 102
; AccumOffset: 104
; Occupancy: 4
; WaveLimiterHint : 1
; COMPUTE_PGM_RSRC2:SCRATCH_EN: 0
; COMPUTE_PGM_RSRC2:USER_SGPR: 6
; COMPUTE_PGM_RSRC2:TRAP_HANDLER: 0
; COMPUTE_PGM_RSRC2:TGID_X_EN: 1
; COMPUTE_PGM_RSRC2:TGID_Y_EN: 0
; COMPUTE_PGM_RSRC2:TGID_Z_EN: 0
; COMPUTE_PGM_RSRC2:TIDIG_COMP_CNT: 0
; COMPUTE_PGM_RSRC3_GFX90A:ACCUM_OFFSET: 25
; COMPUTE_PGM_RSRC3_GFX90A:TG_SPLIT: 0
	.section	.text._ZN7rocprim17ROCPRIM_400000_NS6detail17trampoline_kernelINS0_13select_configILj256ELj13ELNS0_17block_load_methodE3ELS4_3ELS4_3ELNS0_20block_scan_algorithmE0ELj4294967295EEENS1_25partition_config_selectorILNS1_17partition_subalgoE4EjNS0_10empty_typeEbEEZZNS1_14partition_implILS8_4ELb0ES6_15HIP_vector_typeIjLj2EENS0_17counting_iteratorIjlEEPS9_SG_NS0_5tupleIJPjSI_NS0_16reverse_iteratorISI_EEEEENSH_IJSG_SG_SG_EEES9_SI_JZNS1_25segmented_radix_sort_implINS0_14default_configELb1EPKaPaPKlPlN2at6native12_GLOBAL__N_18offset_tEEE10hipError_tPvRmT1_PNSt15iterator_traitsIS12_E10value_typeET2_T3_PNS13_IS18_E10value_typeET4_jRbjT5_S1E_jjP12ihipStream_tbEUljE_ZNSN_ISO_Lb1ESQ_SR_ST_SU_SY_EESZ_S10_S11_S12_S16_S17_S18_S1B_S1C_jS1D_jS1E_S1E_jjS1G_bEUljE0_EEESZ_S10_S11_S18_S1C_S1E_T6_T7_T9_mT8_S1G_bDpT10_ENKUlT_T0_E_clISt17integral_constantIbLb1EES1T_IbLb0EEEEDaS1P_S1Q_EUlS1P_E_NS1_11comp_targetILNS1_3genE3ELNS1_11target_archE908ELNS1_3gpuE7ELNS1_3repE0EEENS1_30default_config_static_selectorELNS0_4arch9wavefront6targetE1EEEvS12_,"axG",@progbits,_ZN7rocprim17ROCPRIM_400000_NS6detail17trampoline_kernelINS0_13select_configILj256ELj13ELNS0_17block_load_methodE3ELS4_3ELS4_3ELNS0_20block_scan_algorithmE0ELj4294967295EEENS1_25partition_config_selectorILNS1_17partition_subalgoE4EjNS0_10empty_typeEbEEZZNS1_14partition_implILS8_4ELb0ES6_15HIP_vector_typeIjLj2EENS0_17counting_iteratorIjlEEPS9_SG_NS0_5tupleIJPjSI_NS0_16reverse_iteratorISI_EEEEENSH_IJSG_SG_SG_EEES9_SI_JZNS1_25segmented_radix_sort_implINS0_14default_configELb1EPKaPaPKlPlN2at6native12_GLOBAL__N_18offset_tEEE10hipError_tPvRmT1_PNSt15iterator_traitsIS12_E10value_typeET2_T3_PNS13_IS18_E10value_typeET4_jRbjT5_S1E_jjP12ihipStream_tbEUljE_ZNSN_ISO_Lb1ESQ_SR_ST_SU_SY_EESZ_S10_S11_S12_S16_S17_S18_S1B_S1C_jS1D_jS1E_S1E_jjS1G_bEUljE0_EEESZ_S10_S11_S18_S1C_S1E_T6_T7_T9_mT8_S1G_bDpT10_ENKUlT_T0_E_clISt17integral_constantIbLb1EES1T_IbLb0EEEEDaS1P_S1Q_EUlS1P_E_NS1_11comp_targetILNS1_3genE3ELNS1_11target_archE908ELNS1_3gpuE7ELNS1_3repE0EEENS1_30default_config_static_selectorELNS0_4arch9wavefront6targetE1EEEvS12_,comdat
	.globl	_ZN7rocprim17ROCPRIM_400000_NS6detail17trampoline_kernelINS0_13select_configILj256ELj13ELNS0_17block_load_methodE3ELS4_3ELS4_3ELNS0_20block_scan_algorithmE0ELj4294967295EEENS1_25partition_config_selectorILNS1_17partition_subalgoE4EjNS0_10empty_typeEbEEZZNS1_14partition_implILS8_4ELb0ES6_15HIP_vector_typeIjLj2EENS0_17counting_iteratorIjlEEPS9_SG_NS0_5tupleIJPjSI_NS0_16reverse_iteratorISI_EEEEENSH_IJSG_SG_SG_EEES9_SI_JZNS1_25segmented_radix_sort_implINS0_14default_configELb1EPKaPaPKlPlN2at6native12_GLOBAL__N_18offset_tEEE10hipError_tPvRmT1_PNSt15iterator_traitsIS12_E10value_typeET2_T3_PNS13_IS18_E10value_typeET4_jRbjT5_S1E_jjP12ihipStream_tbEUljE_ZNSN_ISO_Lb1ESQ_SR_ST_SU_SY_EESZ_S10_S11_S12_S16_S17_S18_S1B_S1C_jS1D_jS1E_S1E_jjS1G_bEUljE0_EEESZ_S10_S11_S18_S1C_S1E_T6_T7_T9_mT8_S1G_bDpT10_ENKUlT_T0_E_clISt17integral_constantIbLb1EES1T_IbLb0EEEEDaS1P_S1Q_EUlS1P_E_NS1_11comp_targetILNS1_3genE3ELNS1_11target_archE908ELNS1_3gpuE7ELNS1_3repE0EEENS1_30default_config_static_selectorELNS0_4arch9wavefront6targetE1EEEvS12_ ; -- Begin function _ZN7rocprim17ROCPRIM_400000_NS6detail17trampoline_kernelINS0_13select_configILj256ELj13ELNS0_17block_load_methodE3ELS4_3ELS4_3ELNS0_20block_scan_algorithmE0ELj4294967295EEENS1_25partition_config_selectorILNS1_17partition_subalgoE4EjNS0_10empty_typeEbEEZZNS1_14partition_implILS8_4ELb0ES6_15HIP_vector_typeIjLj2EENS0_17counting_iteratorIjlEEPS9_SG_NS0_5tupleIJPjSI_NS0_16reverse_iteratorISI_EEEEENSH_IJSG_SG_SG_EEES9_SI_JZNS1_25segmented_radix_sort_implINS0_14default_configELb1EPKaPaPKlPlN2at6native12_GLOBAL__N_18offset_tEEE10hipError_tPvRmT1_PNSt15iterator_traitsIS12_E10value_typeET2_T3_PNS13_IS18_E10value_typeET4_jRbjT5_S1E_jjP12ihipStream_tbEUljE_ZNSN_ISO_Lb1ESQ_SR_ST_SU_SY_EESZ_S10_S11_S12_S16_S17_S18_S1B_S1C_jS1D_jS1E_S1E_jjS1G_bEUljE0_EEESZ_S10_S11_S18_S1C_S1E_T6_T7_T9_mT8_S1G_bDpT10_ENKUlT_T0_E_clISt17integral_constantIbLb1EES1T_IbLb0EEEEDaS1P_S1Q_EUlS1P_E_NS1_11comp_targetILNS1_3genE3ELNS1_11target_archE908ELNS1_3gpuE7ELNS1_3repE0EEENS1_30default_config_static_selectorELNS0_4arch9wavefront6targetE1EEEvS12_
	.p2align	8
	.type	_ZN7rocprim17ROCPRIM_400000_NS6detail17trampoline_kernelINS0_13select_configILj256ELj13ELNS0_17block_load_methodE3ELS4_3ELS4_3ELNS0_20block_scan_algorithmE0ELj4294967295EEENS1_25partition_config_selectorILNS1_17partition_subalgoE4EjNS0_10empty_typeEbEEZZNS1_14partition_implILS8_4ELb0ES6_15HIP_vector_typeIjLj2EENS0_17counting_iteratorIjlEEPS9_SG_NS0_5tupleIJPjSI_NS0_16reverse_iteratorISI_EEEEENSH_IJSG_SG_SG_EEES9_SI_JZNS1_25segmented_radix_sort_implINS0_14default_configELb1EPKaPaPKlPlN2at6native12_GLOBAL__N_18offset_tEEE10hipError_tPvRmT1_PNSt15iterator_traitsIS12_E10value_typeET2_T3_PNS13_IS18_E10value_typeET4_jRbjT5_S1E_jjP12ihipStream_tbEUljE_ZNSN_ISO_Lb1ESQ_SR_ST_SU_SY_EESZ_S10_S11_S12_S16_S17_S18_S1B_S1C_jS1D_jS1E_S1E_jjS1G_bEUljE0_EEESZ_S10_S11_S18_S1C_S1E_T6_T7_T9_mT8_S1G_bDpT10_ENKUlT_T0_E_clISt17integral_constantIbLb1EES1T_IbLb0EEEEDaS1P_S1Q_EUlS1P_E_NS1_11comp_targetILNS1_3genE3ELNS1_11target_archE908ELNS1_3gpuE7ELNS1_3repE0EEENS1_30default_config_static_selectorELNS0_4arch9wavefront6targetE1EEEvS12_,@function
_ZN7rocprim17ROCPRIM_400000_NS6detail17trampoline_kernelINS0_13select_configILj256ELj13ELNS0_17block_load_methodE3ELS4_3ELS4_3ELNS0_20block_scan_algorithmE0ELj4294967295EEENS1_25partition_config_selectorILNS1_17partition_subalgoE4EjNS0_10empty_typeEbEEZZNS1_14partition_implILS8_4ELb0ES6_15HIP_vector_typeIjLj2EENS0_17counting_iteratorIjlEEPS9_SG_NS0_5tupleIJPjSI_NS0_16reverse_iteratorISI_EEEEENSH_IJSG_SG_SG_EEES9_SI_JZNS1_25segmented_radix_sort_implINS0_14default_configELb1EPKaPaPKlPlN2at6native12_GLOBAL__N_18offset_tEEE10hipError_tPvRmT1_PNSt15iterator_traitsIS12_E10value_typeET2_T3_PNS13_IS18_E10value_typeET4_jRbjT5_S1E_jjP12ihipStream_tbEUljE_ZNSN_ISO_Lb1ESQ_SR_ST_SU_SY_EESZ_S10_S11_S12_S16_S17_S18_S1B_S1C_jS1D_jS1E_S1E_jjS1G_bEUljE0_EEESZ_S10_S11_S18_S1C_S1E_T6_T7_T9_mT8_S1G_bDpT10_ENKUlT_T0_E_clISt17integral_constantIbLb1EES1T_IbLb0EEEEDaS1P_S1Q_EUlS1P_E_NS1_11comp_targetILNS1_3genE3ELNS1_11target_archE908ELNS1_3gpuE7ELNS1_3repE0EEENS1_30default_config_static_selectorELNS0_4arch9wavefront6targetE1EEEvS12_: ; @_ZN7rocprim17ROCPRIM_400000_NS6detail17trampoline_kernelINS0_13select_configILj256ELj13ELNS0_17block_load_methodE3ELS4_3ELS4_3ELNS0_20block_scan_algorithmE0ELj4294967295EEENS1_25partition_config_selectorILNS1_17partition_subalgoE4EjNS0_10empty_typeEbEEZZNS1_14partition_implILS8_4ELb0ES6_15HIP_vector_typeIjLj2EENS0_17counting_iteratorIjlEEPS9_SG_NS0_5tupleIJPjSI_NS0_16reverse_iteratorISI_EEEEENSH_IJSG_SG_SG_EEES9_SI_JZNS1_25segmented_radix_sort_implINS0_14default_configELb1EPKaPaPKlPlN2at6native12_GLOBAL__N_18offset_tEEE10hipError_tPvRmT1_PNSt15iterator_traitsIS12_E10value_typeET2_T3_PNS13_IS18_E10value_typeET4_jRbjT5_S1E_jjP12ihipStream_tbEUljE_ZNSN_ISO_Lb1ESQ_SR_ST_SU_SY_EESZ_S10_S11_S12_S16_S17_S18_S1B_S1C_jS1D_jS1E_S1E_jjS1G_bEUljE0_EEESZ_S10_S11_S18_S1C_S1E_T6_T7_T9_mT8_S1G_bDpT10_ENKUlT_T0_E_clISt17integral_constantIbLb1EES1T_IbLb0EEEEDaS1P_S1Q_EUlS1P_E_NS1_11comp_targetILNS1_3genE3ELNS1_11target_archE908ELNS1_3gpuE7ELNS1_3repE0EEENS1_30default_config_static_selectorELNS0_4arch9wavefront6targetE1EEEvS12_
; %bb.0:
	.section	.rodata,"a",@progbits
	.p2align	6, 0x0
	.amdhsa_kernel _ZN7rocprim17ROCPRIM_400000_NS6detail17trampoline_kernelINS0_13select_configILj256ELj13ELNS0_17block_load_methodE3ELS4_3ELS4_3ELNS0_20block_scan_algorithmE0ELj4294967295EEENS1_25partition_config_selectorILNS1_17partition_subalgoE4EjNS0_10empty_typeEbEEZZNS1_14partition_implILS8_4ELb0ES6_15HIP_vector_typeIjLj2EENS0_17counting_iteratorIjlEEPS9_SG_NS0_5tupleIJPjSI_NS0_16reverse_iteratorISI_EEEEENSH_IJSG_SG_SG_EEES9_SI_JZNS1_25segmented_radix_sort_implINS0_14default_configELb1EPKaPaPKlPlN2at6native12_GLOBAL__N_18offset_tEEE10hipError_tPvRmT1_PNSt15iterator_traitsIS12_E10value_typeET2_T3_PNS13_IS18_E10value_typeET4_jRbjT5_S1E_jjP12ihipStream_tbEUljE_ZNSN_ISO_Lb1ESQ_SR_ST_SU_SY_EESZ_S10_S11_S12_S16_S17_S18_S1B_S1C_jS1D_jS1E_S1E_jjS1G_bEUljE0_EEESZ_S10_S11_S18_S1C_S1E_T6_T7_T9_mT8_S1G_bDpT10_ENKUlT_T0_E_clISt17integral_constantIbLb1EES1T_IbLb0EEEEDaS1P_S1Q_EUlS1P_E_NS1_11comp_targetILNS1_3genE3ELNS1_11target_archE908ELNS1_3gpuE7ELNS1_3repE0EEENS1_30default_config_static_selectorELNS0_4arch9wavefront6targetE1EEEvS12_
		.amdhsa_group_segment_fixed_size 0
		.amdhsa_private_segment_fixed_size 0
		.amdhsa_kernarg_size 176
		.amdhsa_user_sgpr_count 6
		.amdhsa_user_sgpr_private_segment_buffer 1
		.amdhsa_user_sgpr_dispatch_ptr 0
		.amdhsa_user_sgpr_queue_ptr 0
		.amdhsa_user_sgpr_kernarg_segment_ptr 1
		.amdhsa_user_sgpr_dispatch_id 0
		.amdhsa_user_sgpr_flat_scratch_init 0
		.amdhsa_user_sgpr_kernarg_preload_length 0
		.amdhsa_user_sgpr_kernarg_preload_offset 0
		.amdhsa_user_sgpr_private_segment_size 0
		.amdhsa_uses_dynamic_stack 0
		.amdhsa_system_sgpr_private_segment_wavefront_offset 0
		.amdhsa_system_sgpr_workgroup_id_x 1
		.amdhsa_system_sgpr_workgroup_id_y 0
		.amdhsa_system_sgpr_workgroup_id_z 0
		.amdhsa_system_sgpr_workgroup_info 0
		.amdhsa_system_vgpr_workitem_id 0
		.amdhsa_next_free_vgpr 1
		.amdhsa_next_free_sgpr 0
		.amdhsa_accum_offset 4
		.amdhsa_reserve_vcc 0
		.amdhsa_reserve_flat_scratch 0
		.amdhsa_float_round_mode_32 0
		.amdhsa_float_round_mode_16_64 0
		.amdhsa_float_denorm_mode_32 3
		.amdhsa_float_denorm_mode_16_64 3
		.amdhsa_dx10_clamp 1
		.amdhsa_ieee_mode 1
		.amdhsa_fp16_overflow 0
		.amdhsa_tg_split 0
		.amdhsa_exception_fp_ieee_invalid_op 0
		.amdhsa_exception_fp_denorm_src 0
		.amdhsa_exception_fp_ieee_div_zero 0
		.amdhsa_exception_fp_ieee_overflow 0
		.amdhsa_exception_fp_ieee_underflow 0
		.amdhsa_exception_fp_ieee_inexact 0
		.amdhsa_exception_int_div_zero 0
	.end_amdhsa_kernel
	.section	.text._ZN7rocprim17ROCPRIM_400000_NS6detail17trampoline_kernelINS0_13select_configILj256ELj13ELNS0_17block_load_methodE3ELS4_3ELS4_3ELNS0_20block_scan_algorithmE0ELj4294967295EEENS1_25partition_config_selectorILNS1_17partition_subalgoE4EjNS0_10empty_typeEbEEZZNS1_14partition_implILS8_4ELb0ES6_15HIP_vector_typeIjLj2EENS0_17counting_iteratorIjlEEPS9_SG_NS0_5tupleIJPjSI_NS0_16reverse_iteratorISI_EEEEENSH_IJSG_SG_SG_EEES9_SI_JZNS1_25segmented_radix_sort_implINS0_14default_configELb1EPKaPaPKlPlN2at6native12_GLOBAL__N_18offset_tEEE10hipError_tPvRmT1_PNSt15iterator_traitsIS12_E10value_typeET2_T3_PNS13_IS18_E10value_typeET4_jRbjT5_S1E_jjP12ihipStream_tbEUljE_ZNSN_ISO_Lb1ESQ_SR_ST_SU_SY_EESZ_S10_S11_S12_S16_S17_S18_S1B_S1C_jS1D_jS1E_S1E_jjS1G_bEUljE0_EEESZ_S10_S11_S18_S1C_S1E_T6_T7_T9_mT8_S1G_bDpT10_ENKUlT_T0_E_clISt17integral_constantIbLb1EES1T_IbLb0EEEEDaS1P_S1Q_EUlS1P_E_NS1_11comp_targetILNS1_3genE3ELNS1_11target_archE908ELNS1_3gpuE7ELNS1_3repE0EEENS1_30default_config_static_selectorELNS0_4arch9wavefront6targetE1EEEvS12_,"axG",@progbits,_ZN7rocprim17ROCPRIM_400000_NS6detail17trampoline_kernelINS0_13select_configILj256ELj13ELNS0_17block_load_methodE3ELS4_3ELS4_3ELNS0_20block_scan_algorithmE0ELj4294967295EEENS1_25partition_config_selectorILNS1_17partition_subalgoE4EjNS0_10empty_typeEbEEZZNS1_14partition_implILS8_4ELb0ES6_15HIP_vector_typeIjLj2EENS0_17counting_iteratorIjlEEPS9_SG_NS0_5tupleIJPjSI_NS0_16reverse_iteratorISI_EEEEENSH_IJSG_SG_SG_EEES9_SI_JZNS1_25segmented_radix_sort_implINS0_14default_configELb1EPKaPaPKlPlN2at6native12_GLOBAL__N_18offset_tEEE10hipError_tPvRmT1_PNSt15iterator_traitsIS12_E10value_typeET2_T3_PNS13_IS18_E10value_typeET4_jRbjT5_S1E_jjP12ihipStream_tbEUljE_ZNSN_ISO_Lb1ESQ_SR_ST_SU_SY_EESZ_S10_S11_S12_S16_S17_S18_S1B_S1C_jS1D_jS1E_S1E_jjS1G_bEUljE0_EEESZ_S10_S11_S18_S1C_S1E_T6_T7_T9_mT8_S1G_bDpT10_ENKUlT_T0_E_clISt17integral_constantIbLb1EES1T_IbLb0EEEEDaS1P_S1Q_EUlS1P_E_NS1_11comp_targetILNS1_3genE3ELNS1_11target_archE908ELNS1_3gpuE7ELNS1_3repE0EEENS1_30default_config_static_selectorELNS0_4arch9wavefront6targetE1EEEvS12_,comdat
.Lfunc_end245:
	.size	_ZN7rocprim17ROCPRIM_400000_NS6detail17trampoline_kernelINS0_13select_configILj256ELj13ELNS0_17block_load_methodE3ELS4_3ELS4_3ELNS0_20block_scan_algorithmE0ELj4294967295EEENS1_25partition_config_selectorILNS1_17partition_subalgoE4EjNS0_10empty_typeEbEEZZNS1_14partition_implILS8_4ELb0ES6_15HIP_vector_typeIjLj2EENS0_17counting_iteratorIjlEEPS9_SG_NS0_5tupleIJPjSI_NS0_16reverse_iteratorISI_EEEEENSH_IJSG_SG_SG_EEES9_SI_JZNS1_25segmented_radix_sort_implINS0_14default_configELb1EPKaPaPKlPlN2at6native12_GLOBAL__N_18offset_tEEE10hipError_tPvRmT1_PNSt15iterator_traitsIS12_E10value_typeET2_T3_PNS13_IS18_E10value_typeET4_jRbjT5_S1E_jjP12ihipStream_tbEUljE_ZNSN_ISO_Lb1ESQ_SR_ST_SU_SY_EESZ_S10_S11_S12_S16_S17_S18_S1B_S1C_jS1D_jS1E_S1E_jjS1G_bEUljE0_EEESZ_S10_S11_S18_S1C_S1E_T6_T7_T9_mT8_S1G_bDpT10_ENKUlT_T0_E_clISt17integral_constantIbLb1EES1T_IbLb0EEEEDaS1P_S1Q_EUlS1P_E_NS1_11comp_targetILNS1_3genE3ELNS1_11target_archE908ELNS1_3gpuE7ELNS1_3repE0EEENS1_30default_config_static_selectorELNS0_4arch9wavefront6targetE1EEEvS12_, .Lfunc_end245-_ZN7rocprim17ROCPRIM_400000_NS6detail17trampoline_kernelINS0_13select_configILj256ELj13ELNS0_17block_load_methodE3ELS4_3ELS4_3ELNS0_20block_scan_algorithmE0ELj4294967295EEENS1_25partition_config_selectorILNS1_17partition_subalgoE4EjNS0_10empty_typeEbEEZZNS1_14partition_implILS8_4ELb0ES6_15HIP_vector_typeIjLj2EENS0_17counting_iteratorIjlEEPS9_SG_NS0_5tupleIJPjSI_NS0_16reverse_iteratorISI_EEEEENSH_IJSG_SG_SG_EEES9_SI_JZNS1_25segmented_radix_sort_implINS0_14default_configELb1EPKaPaPKlPlN2at6native12_GLOBAL__N_18offset_tEEE10hipError_tPvRmT1_PNSt15iterator_traitsIS12_E10value_typeET2_T3_PNS13_IS18_E10value_typeET4_jRbjT5_S1E_jjP12ihipStream_tbEUljE_ZNSN_ISO_Lb1ESQ_SR_ST_SU_SY_EESZ_S10_S11_S12_S16_S17_S18_S1B_S1C_jS1D_jS1E_S1E_jjS1G_bEUljE0_EEESZ_S10_S11_S18_S1C_S1E_T6_T7_T9_mT8_S1G_bDpT10_ENKUlT_T0_E_clISt17integral_constantIbLb1EES1T_IbLb0EEEEDaS1P_S1Q_EUlS1P_E_NS1_11comp_targetILNS1_3genE3ELNS1_11target_archE908ELNS1_3gpuE7ELNS1_3repE0EEENS1_30default_config_static_selectorELNS0_4arch9wavefront6targetE1EEEvS12_
                                        ; -- End function
	.section	.AMDGPU.csdata,"",@progbits
; Kernel info:
; codeLenInByte = 0
; NumSgprs: 4
; NumVgprs: 0
; NumAgprs: 0
; TotalNumVgprs: 0
; ScratchSize: 0
; MemoryBound: 0
; FloatMode: 240
; IeeeMode: 1
; LDSByteSize: 0 bytes/workgroup (compile time only)
; SGPRBlocks: 0
; VGPRBlocks: 0
; NumSGPRsForWavesPerEU: 4
; NumVGPRsForWavesPerEU: 1
; AccumOffset: 4
; Occupancy: 8
; WaveLimiterHint : 0
; COMPUTE_PGM_RSRC2:SCRATCH_EN: 0
; COMPUTE_PGM_RSRC2:USER_SGPR: 6
; COMPUTE_PGM_RSRC2:TRAP_HANDLER: 0
; COMPUTE_PGM_RSRC2:TGID_X_EN: 1
; COMPUTE_PGM_RSRC2:TGID_Y_EN: 0
; COMPUTE_PGM_RSRC2:TGID_Z_EN: 0
; COMPUTE_PGM_RSRC2:TIDIG_COMP_CNT: 0
; COMPUTE_PGM_RSRC3_GFX90A:ACCUM_OFFSET: 0
; COMPUTE_PGM_RSRC3_GFX90A:TG_SPLIT: 0
	.section	.text._ZN7rocprim17ROCPRIM_400000_NS6detail17trampoline_kernelINS0_13select_configILj256ELj13ELNS0_17block_load_methodE3ELS4_3ELS4_3ELNS0_20block_scan_algorithmE0ELj4294967295EEENS1_25partition_config_selectorILNS1_17partition_subalgoE4EjNS0_10empty_typeEbEEZZNS1_14partition_implILS8_4ELb0ES6_15HIP_vector_typeIjLj2EENS0_17counting_iteratorIjlEEPS9_SG_NS0_5tupleIJPjSI_NS0_16reverse_iteratorISI_EEEEENSH_IJSG_SG_SG_EEES9_SI_JZNS1_25segmented_radix_sort_implINS0_14default_configELb1EPKaPaPKlPlN2at6native12_GLOBAL__N_18offset_tEEE10hipError_tPvRmT1_PNSt15iterator_traitsIS12_E10value_typeET2_T3_PNS13_IS18_E10value_typeET4_jRbjT5_S1E_jjP12ihipStream_tbEUljE_ZNSN_ISO_Lb1ESQ_SR_ST_SU_SY_EESZ_S10_S11_S12_S16_S17_S18_S1B_S1C_jS1D_jS1E_S1E_jjS1G_bEUljE0_EEESZ_S10_S11_S18_S1C_S1E_T6_T7_T9_mT8_S1G_bDpT10_ENKUlT_T0_E_clISt17integral_constantIbLb1EES1T_IbLb0EEEEDaS1P_S1Q_EUlS1P_E_NS1_11comp_targetILNS1_3genE2ELNS1_11target_archE906ELNS1_3gpuE6ELNS1_3repE0EEENS1_30default_config_static_selectorELNS0_4arch9wavefront6targetE1EEEvS12_,"axG",@progbits,_ZN7rocprim17ROCPRIM_400000_NS6detail17trampoline_kernelINS0_13select_configILj256ELj13ELNS0_17block_load_methodE3ELS4_3ELS4_3ELNS0_20block_scan_algorithmE0ELj4294967295EEENS1_25partition_config_selectorILNS1_17partition_subalgoE4EjNS0_10empty_typeEbEEZZNS1_14partition_implILS8_4ELb0ES6_15HIP_vector_typeIjLj2EENS0_17counting_iteratorIjlEEPS9_SG_NS0_5tupleIJPjSI_NS0_16reverse_iteratorISI_EEEEENSH_IJSG_SG_SG_EEES9_SI_JZNS1_25segmented_radix_sort_implINS0_14default_configELb1EPKaPaPKlPlN2at6native12_GLOBAL__N_18offset_tEEE10hipError_tPvRmT1_PNSt15iterator_traitsIS12_E10value_typeET2_T3_PNS13_IS18_E10value_typeET4_jRbjT5_S1E_jjP12ihipStream_tbEUljE_ZNSN_ISO_Lb1ESQ_SR_ST_SU_SY_EESZ_S10_S11_S12_S16_S17_S18_S1B_S1C_jS1D_jS1E_S1E_jjS1G_bEUljE0_EEESZ_S10_S11_S18_S1C_S1E_T6_T7_T9_mT8_S1G_bDpT10_ENKUlT_T0_E_clISt17integral_constantIbLb1EES1T_IbLb0EEEEDaS1P_S1Q_EUlS1P_E_NS1_11comp_targetILNS1_3genE2ELNS1_11target_archE906ELNS1_3gpuE6ELNS1_3repE0EEENS1_30default_config_static_selectorELNS0_4arch9wavefront6targetE1EEEvS12_,comdat
	.globl	_ZN7rocprim17ROCPRIM_400000_NS6detail17trampoline_kernelINS0_13select_configILj256ELj13ELNS0_17block_load_methodE3ELS4_3ELS4_3ELNS0_20block_scan_algorithmE0ELj4294967295EEENS1_25partition_config_selectorILNS1_17partition_subalgoE4EjNS0_10empty_typeEbEEZZNS1_14partition_implILS8_4ELb0ES6_15HIP_vector_typeIjLj2EENS0_17counting_iteratorIjlEEPS9_SG_NS0_5tupleIJPjSI_NS0_16reverse_iteratorISI_EEEEENSH_IJSG_SG_SG_EEES9_SI_JZNS1_25segmented_radix_sort_implINS0_14default_configELb1EPKaPaPKlPlN2at6native12_GLOBAL__N_18offset_tEEE10hipError_tPvRmT1_PNSt15iterator_traitsIS12_E10value_typeET2_T3_PNS13_IS18_E10value_typeET4_jRbjT5_S1E_jjP12ihipStream_tbEUljE_ZNSN_ISO_Lb1ESQ_SR_ST_SU_SY_EESZ_S10_S11_S12_S16_S17_S18_S1B_S1C_jS1D_jS1E_S1E_jjS1G_bEUljE0_EEESZ_S10_S11_S18_S1C_S1E_T6_T7_T9_mT8_S1G_bDpT10_ENKUlT_T0_E_clISt17integral_constantIbLb1EES1T_IbLb0EEEEDaS1P_S1Q_EUlS1P_E_NS1_11comp_targetILNS1_3genE2ELNS1_11target_archE906ELNS1_3gpuE6ELNS1_3repE0EEENS1_30default_config_static_selectorELNS0_4arch9wavefront6targetE1EEEvS12_ ; -- Begin function _ZN7rocprim17ROCPRIM_400000_NS6detail17trampoline_kernelINS0_13select_configILj256ELj13ELNS0_17block_load_methodE3ELS4_3ELS4_3ELNS0_20block_scan_algorithmE0ELj4294967295EEENS1_25partition_config_selectorILNS1_17partition_subalgoE4EjNS0_10empty_typeEbEEZZNS1_14partition_implILS8_4ELb0ES6_15HIP_vector_typeIjLj2EENS0_17counting_iteratorIjlEEPS9_SG_NS0_5tupleIJPjSI_NS0_16reverse_iteratorISI_EEEEENSH_IJSG_SG_SG_EEES9_SI_JZNS1_25segmented_radix_sort_implINS0_14default_configELb1EPKaPaPKlPlN2at6native12_GLOBAL__N_18offset_tEEE10hipError_tPvRmT1_PNSt15iterator_traitsIS12_E10value_typeET2_T3_PNS13_IS18_E10value_typeET4_jRbjT5_S1E_jjP12ihipStream_tbEUljE_ZNSN_ISO_Lb1ESQ_SR_ST_SU_SY_EESZ_S10_S11_S12_S16_S17_S18_S1B_S1C_jS1D_jS1E_S1E_jjS1G_bEUljE0_EEESZ_S10_S11_S18_S1C_S1E_T6_T7_T9_mT8_S1G_bDpT10_ENKUlT_T0_E_clISt17integral_constantIbLb1EES1T_IbLb0EEEEDaS1P_S1Q_EUlS1P_E_NS1_11comp_targetILNS1_3genE2ELNS1_11target_archE906ELNS1_3gpuE6ELNS1_3repE0EEENS1_30default_config_static_selectorELNS0_4arch9wavefront6targetE1EEEvS12_
	.p2align	8
	.type	_ZN7rocprim17ROCPRIM_400000_NS6detail17trampoline_kernelINS0_13select_configILj256ELj13ELNS0_17block_load_methodE3ELS4_3ELS4_3ELNS0_20block_scan_algorithmE0ELj4294967295EEENS1_25partition_config_selectorILNS1_17partition_subalgoE4EjNS0_10empty_typeEbEEZZNS1_14partition_implILS8_4ELb0ES6_15HIP_vector_typeIjLj2EENS0_17counting_iteratorIjlEEPS9_SG_NS0_5tupleIJPjSI_NS0_16reverse_iteratorISI_EEEEENSH_IJSG_SG_SG_EEES9_SI_JZNS1_25segmented_radix_sort_implINS0_14default_configELb1EPKaPaPKlPlN2at6native12_GLOBAL__N_18offset_tEEE10hipError_tPvRmT1_PNSt15iterator_traitsIS12_E10value_typeET2_T3_PNS13_IS18_E10value_typeET4_jRbjT5_S1E_jjP12ihipStream_tbEUljE_ZNSN_ISO_Lb1ESQ_SR_ST_SU_SY_EESZ_S10_S11_S12_S16_S17_S18_S1B_S1C_jS1D_jS1E_S1E_jjS1G_bEUljE0_EEESZ_S10_S11_S18_S1C_S1E_T6_T7_T9_mT8_S1G_bDpT10_ENKUlT_T0_E_clISt17integral_constantIbLb1EES1T_IbLb0EEEEDaS1P_S1Q_EUlS1P_E_NS1_11comp_targetILNS1_3genE2ELNS1_11target_archE906ELNS1_3gpuE6ELNS1_3repE0EEENS1_30default_config_static_selectorELNS0_4arch9wavefront6targetE1EEEvS12_,@function
_ZN7rocprim17ROCPRIM_400000_NS6detail17trampoline_kernelINS0_13select_configILj256ELj13ELNS0_17block_load_methodE3ELS4_3ELS4_3ELNS0_20block_scan_algorithmE0ELj4294967295EEENS1_25partition_config_selectorILNS1_17partition_subalgoE4EjNS0_10empty_typeEbEEZZNS1_14partition_implILS8_4ELb0ES6_15HIP_vector_typeIjLj2EENS0_17counting_iteratorIjlEEPS9_SG_NS0_5tupleIJPjSI_NS0_16reverse_iteratorISI_EEEEENSH_IJSG_SG_SG_EEES9_SI_JZNS1_25segmented_radix_sort_implINS0_14default_configELb1EPKaPaPKlPlN2at6native12_GLOBAL__N_18offset_tEEE10hipError_tPvRmT1_PNSt15iterator_traitsIS12_E10value_typeET2_T3_PNS13_IS18_E10value_typeET4_jRbjT5_S1E_jjP12ihipStream_tbEUljE_ZNSN_ISO_Lb1ESQ_SR_ST_SU_SY_EESZ_S10_S11_S12_S16_S17_S18_S1B_S1C_jS1D_jS1E_S1E_jjS1G_bEUljE0_EEESZ_S10_S11_S18_S1C_S1E_T6_T7_T9_mT8_S1G_bDpT10_ENKUlT_T0_E_clISt17integral_constantIbLb1EES1T_IbLb0EEEEDaS1P_S1Q_EUlS1P_E_NS1_11comp_targetILNS1_3genE2ELNS1_11target_archE906ELNS1_3gpuE6ELNS1_3repE0EEENS1_30default_config_static_selectorELNS0_4arch9wavefront6targetE1EEEvS12_: ; @_ZN7rocprim17ROCPRIM_400000_NS6detail17trampoline_kernelINS0_13select_configILj256ELj13ELNS0_17block_load_methodE3ELS4_3ELS4_3ELNS0_20block_scan_algorithmE0ELj4294967295EEENS1_25partition_config_selectorILNS1_17partition_subalgoE4EjNS0_10empty_typeEbEEZZNS1_14partition_implILS8_4ELb0ES6_15HIP_vector_typeIjLj2EENS0_17counting_iteratorIjlEEPS9_SG_NS0_5tupleIJPjSI_NS0_16reverse_iteratorISI_EEEEENSH_IJSG_SG_SG_EEES9_SI_JZNS1_25segmented_radix_sort_implINS0_14default_configELb1EPKaPaPKlPlN2at6native12_GLOBAL__N_18offset_tEEE10hipError_tPvRmT1_PNSt15iterator_traitsIS12_E10value_typeET2_T3_PNS13_IS18_E10value_typeET4_jRbjT5_S1E_jjP12ihipStream_tbEUljE_ZNSN_ISO_Lb1ESQ_SR_ST_SU_SY_EESZ_S10_S11_S12_S16_S17_S18_S1B_S1C_jS1D_jS1E_S1E_jjS1G_bEUljE0_EEESZ_S10_S11_S18_S1C_S1E_T6_T7_T9_mT8_S1G_bDpT10_ENKUlT_T0_E_clISt17integral_constantIbLb1EES1T_IbLb0EEEEDaS1P_S1Q_EUlS1P_E_NS1_11comp_targetILNS1_3genE2ELNS1_11target_archE906ELNS1_3gpuE6ELNS1_3repE0EEENS1_30default_config_static_selectorELNS0_4arch9wavefront6targetE1EEEvS12_
; %bb.0:
	.section	.rodata,"a",@progbits
	.p2align	6, 0x0
	.amdhsa_kernel _ZN7rocprim17ROCPRIM_400000_NS6detail17trampoline_kernelINS0_13select_configILj256ELj13ELNS0_17block_load_methodE3ELS4_3ELS4_3ELNS0_20block_scan_algorithmE0ELj4294967295EEENS1_25partition_config_selectorILNS1_17partition_subalgoE4EjNS0_10empty_typeEbEEZZNS1_14partition_implILS8_4ELb0ES6_15HIP_vector_typeIjLj2EENS0_17counting_iteratorIjlEEPS9_SG_NS0_5tupleIJPjSI_NS0_16reverse_iteratorISI_EEEEENSH_IJSG_SG_SG_EEES9_SI_JZNS1_25segmented_radix_sort_implINS0_14default_configELb1EPKaPaPKlPlN2at6native12_GLOBAL__N_18offset_tEEE10hipError_tPvRmT1_PNSt15iterator_traitsIS12_E10value_typeET2_T3_PNS13_IS18_E10value_typeET4_jRbjT5_S1E_jjP12ihipStream_tbEUljE_ZNSN_ISO_Lb1ESQ_SR_ST_SU_SY_EESZ_S10_S11_S12_S16_S17_S18_S1B_S1C_jS1D_jS1E_S1E_jjS1G_bEUljE0_EEESZ_S10_S11_S18_S1C_S1E_T6_T7_T9_mT8_S1G_bDpT10_ENKUlT_T0_E_clISt17integral_constantIbLb1EES1T_IbLb0EEEEDaS1P_S1Q_EUlS1P_E_NS1_11comp_targetILNS1_3genE2ELNS1_11target_archE906ELNS1_3gpuE6ELNS1_3repE0EEENS1_30default_config_static_selectorELNS0_4arch9wavefront6targetE1EEEvS12_
		.amdhsa_group_segment_fixed_size 0
		.amdhsa_private_segment_fixed_size 0
		.amdhsa_kernarg_size 176
		.amdhsa_user_sgpr_count 6
		.amdhsa_user_sgpr_private_segment_buffer 1
		.amdhsa_user_sgpr_dispatch_ptr 0
		.amdhsa_user_sgpr_queue_ptr 0
		.amdhsa_user_sgpr_kernarg_segment_ptr 1
		.amdhsa_user_sgpr_dispatch_id 0
		.amdhsa_user_sgpr_flat_scratch_init 0
		.amdhsa_user_sgpr_kernarg_preload_length 0
		.amdhsa_user_sgpr_kernarg_preload_offset 0
		.amdhsa_user_sgpr_private_segment_size 0
		.amdhsa_uses_dynamic_stack 0
		.amdhsa_system_sgpr_private_segment_wavefront_offset 0
		.amdhsa_system_sgpr_workgroup_id_x 1
		.amdhsa_system_sgpr_workgroup_id_y 0
		.amdhsa_system_sgpr_workgroup_id_z 0
		.amdhsa_system_sgpr_workgroup_info 0
		.amdhsa_system_vgpr_workitem_id 0
		.amdhsa_next_free_vgpr 1
		.amdhsa_next_free_sgpr 0
		.amdhsa_accum_offset 4
		.amdhsa_reserve_vcc 0
		.amdhsa_reserve_flat_scratch 0
		.amdhsa_float_round_mode_32 0
		.amdhsa_float_round_mode_16_64 0
		.amdhsa_float_denorm_mode_32 3
		.amdhsa_float_denorm_mode_16_64 3
		.amdhsa_dx10_clamp 1
		.amdhsa_ieee_mode 1
		.amdhsa_fp16_overflow 0
		.amdhsa_tg_split 0
		.amdhsa_exception_fp_ieee_invalid_op 0
		.amdhsa_exception_fp_denorm_src 0
		.amdhsa_exception_fp_ieee_div_zero 0
		.amdhsa_exception_fp_ieee_overflow 0
		.amdhsa_exception_fp_ieee_underflow 0
		.amdhsa_exception_fp_ieee_inexact 0
		.amdhsa_exception_int_div_zero 0
	.end_amdhsa_kernel
	.section	.text._ZN7rocprim17ROCPRIM_400000_NS6detail17trampoline_kernelINS0_13select_configILj256ELj13ELNS0_17block_load_methodE3ELS4_3ELS4_3ELNS0_20block_scan_algorithmE0ELj4294967295EEENS1_25partition_config_selectorILNS1_17partition_subalgoE4EjNS0_10empty_typeEbEEZZNS1_14partition_implILS8_4ELb0ES6_15HIP_vector_typeIjLj2EENS0_17counting_iteratorIjlEEPS9_SG_NS0_5tupleIJPjSI_NS0_16reverse_iteratorISI_EEEEENSH_IJSG_SG_SG_EEES9_SI_JZNS1_25segmented_radix_sort_implINS0_14default_configELb1EPKaPaPKlPlN2at6native12_GLOBAL__N_18offset_tEEE10hipError_tPvRmT1_PNSt15iterator_traitsIS12_E10value_typeET2_T3_PNS13_IS18_E10value_typeET4_jRbjT5_S1E_jjP12ihipStream_tbEUljE_ZNSN_ISO_Lb1ESQ_SR_ST_SU_SY_EESZ_S10_S11_S12_S16_S17_S18_S1B_S1C_jS1D_jS1E_S1E_jjS1G_bEUljE0_EEESZ_S10_S11_S18_S1C_S1E_T6_T7_T9_mT8_S1G_bDpT10_ENKUlT_T0_E_clISt17integral_constantIbLb1EES1T_IbLb0EEEEDaS1P_S1Q_EUlS1P_E_NS1_11comp_targetILNS1_3genE2ELNS1_11target_archE906ELNS1_3gpuE6ELNS1_3repE0EEENS1_30default_config_static_selectorELNS0_4arch9wavefront6targetE1EEEvS12_,"axG",@progbits,_ZN7rocprim17ROCPRIM_400000_NS6detail17trampoline_kernelINS0_13select_configILj256ELj13ELNS0_17block_load_methodE3ELS4_3ELS4_3ELNS0_20block_scan_algorithmE0ELj4294967295EEENS1_25partition_config_selectorILNS1_17partition_subalgoE4EjNS0_10empty_typeEbEEZZNS1_14partition_implILS8_4ELb0ES6_15HIP_vector_typeIjLj2EENS0_17counting_iteratorIjlEEPS9_SG_NS0_5tupleIJPjSI_NS0_16reverse_iteratorISI_EEEEENSH_IJSG_SG_SG_EEES9_SI_JZNS1_25segmented_radix_sort_implINS0_14default_configELb1EPKaPaPKlPlN2at6native12_GLOBAL__N_18offset_tEEE10hipError_tPvRmT1_PNSt15iterator_traitsIS12_E10value_typeET2_T3_PNS13_IS18_E10value_typeET4_jRbjT5_S1E_jjP12ihipStream_tbEUljE_ZNSN_ISO_Lb1ESQ_SR_ST_SU_SY_EESZ_S10_S11_S12_S16_S17_S18_S1B_S1C_jS1D_jS1E_S1E_jjS1G_bEUljE0_EEESZ_S10_S11_S18_S1C_S1E_T6_T7_T9_mT8_S1G_bDpT10_ENKUlT_T0_E_clISt17integral_constantIbLb1EES1T_IbLb0EEEEDaS1P_S1Q_EUlS1P_E_NS1_11comp_targetILNS1_3genE2ELNS1_11target_archE906ELNS1_3gpuE6ELNS1_3repE0EEENS1_30default_config_static_selectorELNS0_4arch9wavefront6targetE1EEEvS12_,comdat
.Lfunc_end246:
	.size	_ZN7rocprim17ROCPRIM_400000_NS6detail17trampoline_kernelINS0_13select_configILj256ELj13ELNS0_17block_load_methodE3ELS4_3ELS4_3ELNS0_20block_scan_algorithmE0ELj4294967295EEENS1_25partition_config_selectorILNS1_17partition_subalgoE4EjNS0_10empty_typeEbEEZZNS1_14partition_implILS8_4ELb0ES6_15HIP_vector_typeIjLj2EENS0_17counting_iteratorIjlEEPS9_SG_NS0_5tupleIJPjSI_NS0_16reverse_iteratorISI_EEEEENSH_IJSG_SG_SG_EEES9_SI_JZNS1_25segmented_radix_sort_implINS0_14default_configELb1EPKaPaPKlPlN2at6native12_GLOBAL__N_18offset_tEEE10hipError_tPvRmT1_PNSt15iterator_traitsIS12_E10value_typeET2_T3_PNS13_IS18_E10value_typeET4_jRbjT5_S1E_jjP12ihipStream_tbEUljE_ZNSN_ISO_Lb1ESQ_SR_ST_SU_SY_EESZ_S10_S11_S12_S16_S17_S18_S1B_S1C_jS1D_jS1E_S1E_jjS1G_bEUljE0_EEESZ_S10_S11_S18_S1C_S1E_T6_T7_T9_mT8_S1G_bDpT10_ENKUlT_T0_E_clISt17integral_constantIbLb1EES1T_IbLb0EEEEDaS1P_S1Q_EUlS1P_E_NS1_11comp_targetILNS1_3genE2ELNS1_11target_archE906ELNS1_3gpuE6ELNS1_3repE0EEENS1_30default_config_static_selectorELNS0_4arch9wavefront6targetE1EEEvS12_, .Lfunc_end246-_ZN7rocprim17ROCPRIM_400000_NS6detail17trampoline_kernelINS0_13select_configILj256ELj13ELNS0_17block_load_methodE3ELS4_3ELS4_3ELNS0_20block_scan_algorithmE0ELj4294967295EEENS1_25partition_config_selectorILNS1_17partition_subalgoE4EjNS0_10empty_typeEbEEZZNS1_14partition_implILS8_4ELb0ES6_15HIP_vector_typeIjLj2EENS0_17counting_iteratorIjlEEPS9_SG_NS0_5tupleIJPjSI_NS0_16reverse_iteratorISI_EEEEENSH_IJSG_SG_SG_EEES9_SI_JZNS1_25segmented_radix_sort_implINS0_14default_configELb1EPKaPaPKlPlN2at6native12_GLOBAL__N_18offset_tEEE10hipError_tPvRmT1_PNSt15iterator_traitsIS12_E10value_typeET2_T3_PNS13_IS18_E10value_typeET4_jRbjT5_S1E_jjP12ihipStream_tbEUljE_ZNSN_ISO_Lb1ESQ_SR_ST_SU_SY_EESZ_S10_S11_S12_S16_S17_S18_S1B_S1C_jS1D_jS1E_S1E_jjS1G_bEUljE0_EEESZ_S10_S11_S18_S1C_S1E_T6_T7_T9_mT8_S1G_bDpT10_ENKUlT_T0_E_clISt17integral_constantIbLb1EES1T_IbLb0EEEEDaS1P_S1Q_EUlS1P_E_NS1_11comp_targetILNS1_3genE2ELNS1_11target_archE906ELNS1_3gpuE6ELNS1_3repE0EEENS1_30default_config_static_selectorELNS0_4arch9wavefront6targetE1EEEvS12_
                                        ; -- End function
	.section	.AMDGPU.csdata,"",@progbits
; Kernel info:
; codeLenInByte = 0
; NumSgprs: 4
; NumVgprs: 0
; NumAgprs: 0
; TotalNumVgprs: 0
; ScratchSize: 0
; MemoryBound: 0
; FloatMode: 240
; IeeeMode: 1
; LDSByteSize: 0 bytes/workgroup (compile time only)
; SGPRBlocks: 0
; VGPRBlocks: 0
; NumSGPRsForWavesPerEU: 4
; NumVGPRsForWavesPerEU: 1
; AccumOffset: 4
; Occupancy: 8
; WaveLimiterHint : 0
; COMPUTE_PGM_RSRC2:SCRATCH_EN: 0
; COMPUTE_PGM_RSRC2:USER_SGPR: 6
; COMPUTE_PGM_RSRC2:TRAP_HANDLER: 0
; COMPUTE_PGM_RSRC2:TGID_X_EN: 1
; COMPUTE_PGM_RSRC2:TGID_Y_EN: 0
; COMPUTE_PGM_RSRC2:TGID_Z_EN: 0
; COMPUTE_PGM_RSRC2:TIDIG_COMP_CNT: 0
; COMPUTE_PGM_RSRC3_GFX90A:ACCUM_OFFSET: 0
; COMPUTE_PGM_RSRC3_GFX90A:TG_SPLIT: 0
	.section	.text._ZN7rocprim17ROCPRIM_400000_NS6detail17trampoline_kernelINS0_13select_configILj256ELj13ELNS0_17block_load_methodE3ELS4_3ELS4_3ELNS0_20block_scan_algorithmE0ELj4294967295EEENS1_25partition_config_selectorILNS1_17partition_subalgoE4EjNS0_10empty_typeEbEEZZNS1_14partition_implILS8_4ELb0ES6_15HIP_vector_typeIjLj2EENS0_17counting_iteratorIjlEEPS9_SG_NS0_5tupleIJPjSI_NS0_16reverse_iteratorISI_EEEEENSH_IJSG_SG_SG_EEES9_SI_JZNS1_25segmented_radix_sort_implINS0_14default_configELb1EPKaPaPKlPlN2at6native12_GLOBAL__N_18offset_tEEE10hipError_tPvRmT1_PNSt15iterator_traitsIS12_E10value_typeET2_T3_PNS13_IS18_E10value_typeET4_jRbjT5_S1E_jjP12ihipStream_tbEUljE_ZNSN_ISO_Lb1ESQ_SR_ST_SU_SY_EESZ_S10_S11_S12_S16_S17_S18_S1B_S1C_jS1D_jS1E_S1E_jjS1G_bEUljE0_EEESZ_S10_S11_S18_S1C_S1E_T6_T7_T9_mT8_S1G_bDpT10_ENKUlT_T0_E_clISt17integral_constantIbLb1EES1T_IbLb0EEEEDaS1P_S1Q_EUlS1P_E_NS1_11comp_targetILNS1_3genE10ELNS1_11target_archE1200ELNS1_3gpuE4ELNS1_3repE0EEENS1_30default_config_static_selectorELNS0_4arch9wavefront6targetE1EEEvS12_,"axG",@progbits,_ZN7rocprim17ROCPRIM_400000_NS6detail17trampoline_kernelINS0_13select_configILj256ELj13ELNS0_17block_load_methodE3ELS4_3ELS4_3ELNS0_20block_scan_algorithmE0ELj4294967295EEENS1_25partition_config_selectorILNS1_17partition_subalgoE4EjNS0_10empty_typeEbEEZZNS1_14partition_implILS8_4ELb0ES6_15HIP_vector_typeIjLj2EENS0_17counting_iteratorIjlEEPS9_SG_NS0_5tupleIJPjSI_NS0_16reverse_iteratorISI_EEEEENSH_IJSG_SG_SG_EEES9_SI_JZNS1_25segmented_radix_sort_implINS0_14default_configELb1EPKaPaPKlPlN2at6native12_GLOBAL__N_18offset_tEEE10hipError_tPvRmT1_PNSt15iterator_traitsIS12_E10value_typeET2_T3_PNS13_IS18_E10value_typeET4_jRbjT5_S1E_jjP12ihipStream_tbEUljE_ZNSN_ISO_Lb1ESQ_SR_ST_SU_SY_EESZ_S10_S11_S12_S16_S17_S18_S1B_S1C_jS1D_jS1E_S1E_jjS1G_bEUljE0_EEESZ_S10_S11_S18_S1C_S1E_T6_T7_T9_mT8_S1G_bDpT10_ENKUlT_T0_E_clISt17integral_constantIbLb1EES1T_IbLb0EEEEDaS1P_S1Q_EUlS1P_E_NS1_11comp_targetILNS1_3genE10ELNS1_11target_archE1200ELNS1_3gpuE4ELNS1_3repE0EEENS1_30default_config_static_selectorELNS0_4arch9wavefront6targetE1EEEvS12_,comdat
	.globl	_ZN7rocprim17ROCPRIM_400000_NS6detail17trampoline_kernelINS0_13select_configILj256ELj13ELNS0_17block_load_methodE3ELS4_3ELS4_3ELNS0_20block_scan_algorithmE0ELj4294967295EEENS1_25partition_config_selectorILNS1_17partition_subalgoE4EjNS0_10empty_typeEbEEZZNS1_14partition_implILS8_4ELb0ES6_15HIP_vector_typeIjLj2EENS0_17counting_iteratorIjlEEPS9_SG_NS0_5tupleIJPjSI_NS0_16reverse_iteratorISI_EEEEENSH_IJSG_SG_SG_EEES9_SI_JZNS1_25segmented_radix_sort_implINS0_14default_configELb1EPKaPaPKlPlN2at6native12_GLOBAL__N_18offset_tEEE10hipError_tPvRmT1_PNSt15iterator_traitsIS12_E10value_typeET2_T3_PNS13_IS18_E10value_typeET4_jRbjT5_S1E_jjP12ihipStream_tbEUljE_ZNSN_ISO_Lb1ESQ_SR_ST_SU_SY_EESZ_S10_S11_S12_S16_S17_S18_S1B_S1C_jS1D_jS1E_S1E_jjS1G_bEUljE0_EEESZ_S10_S11_S18_S1C_S1E_T6_T7_T9_mT8_S1G_bDpT10_ENKUlT_T0_E_clISt17integral_constantIbLb1EES1T_IbLb0EEEEDaS1P_S1Q_EUlS1P_E_NS1_11comp_targetILNS1_3genE10ELNS1_11target_archE1200ELNS1_3gpuE4ELNS1_3repE0EEENS1_30default_config_static_selectorELNS0_4arch9wavefront6targetE1EEEvS12_ ; -- Begin function _ZN7rocprim17ROCPRIM_400000_NS6detail17trampoline_kernelINS0_13select_configILj256ELj13ELNS0_17block_load_methodE3ELS4_3ELS4_3ELNS0_20block_scan_algorithmE0ELj4294967295EEENS1_25partition_config_selectorILNS1_17partition_subalgoE4EjNS0_10empty_typeEbEEZZNS1_14partition_implILS8_4ELb0ES6_15HIP_vector_typeIjLj2EENS0_17counting_iteratorIjlEEPS9_SG_NS0_5tupleIJPjSI_NS0_16reverse_iteratorISI_EEEEENSH_IJSG_SG_SG_EEES9_SI_JZNS1_25segmented_radix_sort_implINS0_14default_configELb1EPKaPaPKlPlN2at6native12_GLOBAL__N_18offset_tEEE10hipError_tPvRmT1_PNSt15iterator_traitsIS12_E10value_typeET2_T3_PNS13_IS18_E10value_typeET4_jRbjT5_S1E_jjP12ihipStream_tbEUljE_ZNSN_ISO_Lb1ESQ_SR_ST_SU_SY_EESZ_S10_S11_S12_S16_S17_S18_S1B_S1C_jS1D_jS1E_S1E_jjS1G_bEUljE0_EEESZ_S10_S11_S18_S1C_S1E_T6_T7_T9_mT8_S1G_bDpT10_ENKUlT_T0_E_clISt17integral_constantIbLb1EES1T_IbLb0EEEEDaS1P_S1Q_EUlS1P_E_NS1_11comp_targetILNS1_3genE10ELNS1_11target_archE1200ELNS1_3gpuE4ELNS1_3repE0EEENS1_30default_config_static_selectorELNS0_4arch9wavefront6targetE1EEEvS12_
	.p2align	8
	.type	_ZN7rocprim17ROCPRIM_400000_NS6detail17trampoline_kernelINS0_13select_configILj256ELj13ELNS0_17block_load_methodE3ELS4_3ELS4_3ELNS0_20block_scan_algorithmE0ELj4294967295EEENS1_25partition_config_selectorILNS1_17partition_subalgoE4EjNS0_10empty_typeEbEEZZNS1_14partition_implILS8_4ELb0ES6_15HIP_vector_typeIjLj2EENS0_17counting_iteratorIjlEEPS9_SG_NS0_5tupleIJPjSI_NS0_16reverse_iteratorISI_EEEEENSH_IJSG_SG_SG_EEES9_SI_JZNS1_25segmented_radix_sort_implINS0_14default_configELb1EPKaPaPKlPlN2at6native12_GLOBAL__N_18offset_tEEE10hipError_tPvRmT1_PNSt15iterator_traitsIS12_E10value_typeET2_T3_PNS13_IS18_E10value_typeET4_jRbjT5_S1E_jjP12ihipStream_tbEUljE_ZNSN_ISO_Lb1ESQ_SR_ST_SU_SY_EESZ_S10_S11_S12_S16_S17_S18_S1B_S1C_jS1D_jS1E_S1E_jjS1G_bEUljE0_EEESZ_S10_S11_S18_S1C_S1E_T6_T7_T9_mT8_S1G_bDpT10_ENKUlT_T0_E_clISt17integral_constantIbLb1EES1T_IbLb0EEEEDaS1P_S1Q_EUlS1P_E_NS1_11comp_targetILNS1_3genE10ELNS1_11target_archE1200ELNS1_3gpuE4ELNS1_3repE0EEENS1_30default_config_static_selectorELNS0_4arch9wavefront6targetE1EEEvS12_,@function
_ZN7rocprim17ROCPRIM_400000_NS6detail17trampoline_kernelINS0_13select_configILj256ELj13ELNS0_17block_load_methodE3ELS4_3ELS4_3ELNS0_20block_scan_algorithmE0ELj4294967295EEENS1_25partition_config_selectorILNS1_17partition_subalgoE4EjNS0_10empty_typeEbEEZZNS1_14partition_implILS8_4ELb0ES6_15HIP_vector_typeIjLj2EENS0_17counting_iteratorIjlEEPS9_SG_NS0_5tupleIJPjSI_NS0_16reverse_iteratorISI_EEEEENSH_IJSG_SG_SG_EEES9_SI_JZNS1_25segmented_radix_sort_implINS0_14default_configELb1EPKaPaPKlPlN2at6native12_GLOBAL__N_18offset_tEEE10hipError_tPvRmT1_PNSt15iterator_traitsIS12_E10value_typeET2_T3_PNS13_IS18_E10value_typeET4_jRbjT5_S1E_jjP12ihipStream_tbEUljE_ZNSN_ISO_Lb1ESQ_SR_ST_SU_SY_EESZ_S10_S11_S12_S16_S17_S18_S1B_S1C_jS1D_jS1E_S1E_jjS1G_bEUljE0_EEESZ_S10_S11_S18_S1C_S1E_T6_T7_T9_mT8_S1G_bDpT10_ENKUlT_T0_E_clISt17integral_constantIbLb1EES1T_IbLb0EEEEDaS1P_S1Q_EUlS1P_E_NS1_11comp_targetILNS1_3genE10ELNS1_11target_archE1200ELNS1_3gpuE4ELNS1_3repE0EEENS1_30default_config_static_selectorELNS0_4arch9wavefront6targetE1EEEvS12_: ; @_ZN7rocprim17ROCPRIM_400000_NS6detail17trampoline_kernelINS0_13select_configILj256ELj13ELNS0_17block_load_methodE3ELS4_3ELS4_3ELNS0_20block_scan_algorithmE0ELj4294967295EEENS1_25partition_config_selectorILNS1_17partition_subalgoE4EjNS0_10empty_typeEbEEZZNS1_14partition_implILS8_4ELb0ES6_15HIP_vector_typeIjLj2EENS0_17counting_iteratorIjlEEPS9_SG_NS0_5tupleIJPjSI_NS0_16reverse_iteratorISI_EEEEENSH_IJSG_SG_SG_EEES9_SI_JZNS1_25segmented_radix_sort_implINS0_14default_configELb1EPKaPaPKlPlN2at6native12_GLOBAL__N_18offset_tEEE10hipError_tPvRmT1_PNSt15iterator_traitsIS12_E10value_typeET2_T3_PNS13_IS18_E10value_typeET4_jRbjT5_S1E_jjP12ihipStream_tbEUljE_ZNSN_ISO_Lb1ESQ_SR_ST_SU_SY_EESZ_S10_S11_S12_S16_S17_S18_S1B_S1C_jS1D_jS1E_S1E_jjS1G_bEUljE0_EEESZ_S10_S11_S18_S1C_S1E_T6_T7_T9_mT8_S1G_bDpT10_ENKUlT_T0_E_clISt17integral_constantIbLb1EES1T_IbLb0EEEEDaS1P_S1Q_EUlS1P_E_NS1_11comp_targetILNS1_3genE10ELNS1_11target_archE1200ELNS1_3gpuE4ELNS1_3repE0EEENS1_30default_config_static_selectorELNS0_4arch9wavefront6targetE1EEEvS12_
; %bb.0:
	.section	.rodata,"a",@progbits
	.p2align	6, 0x0
	.amdhsa_kernel _ZN7rocprim17ROCPRIM_400000_NS6detail17trampoline_kernelINS0_13select_configILj256ELj13ELNS0_17block_load_methodE3ELS4_3ELS4_3ELNS0_20block_scan_algorithmE0ELj4294967295EEENS1_25partition_config_selectorILNS1_17partition_subalgoE4EjNS0_10empty_typeEbEEZZNS1_14partition_implILS8_4ELb0ES6_15HIP_vector_typeIjLj2EENS0_17counting_iteratorIjlEEPS9_SG_NS0_5tupleIJPjSI_NS0_16reverse_iteratorISI_EEEEENSH_IJSG_SG_SG_EEES9_SI_JZNS1_25segmented_radix_sort_implINS0_14default_configELb1EPKaPaPKlPlN2at6native12_GLOBAL__N_18offset_tEEE10hipError_tPvRmT1_PNSt15iterator_traitsIS12_E10value_typeET2_T3_PNS13_IS18_E10value_typeET4_jRbjT5_S1E_jjP12ihipStream_tbEUljE_ZNSN_ISO_Lb1ESQ_SR_ST_SU_SY_EESZ_S10_S11_S12_S16_S17_S18_S1B_S1C_jS1D_jS1E_S1E_jjS1G_bEUljE0_EEESZ_S10_S11_S18_S1C_S1E_T6_T7_T9_mT8_S1G_bDpT10_ENKUlT_T0_E_clISt17integral_constantIbLb1EES1T_IbLb0EEEEDaS1P_S1Q_EUlS1P_E_NS1_11comp_targetILNS1_3genE10ELNS1_11target_archE1200ELNS1_3gpuE4ELNS1_3repE0EEENS1_30default_config_static_selectorELNS0_4arch9wavefront6targetE1EEEvS12_
		.amdhsa_group_segment_fixed_size 0
		.amdhsa_private_segment_fixed_size 0
		.amdhsa_kernarg_size 176
		.amdhsa_user_sgpr_count 6
		.amdhsa_user_sgpr_private_segment_buffer 1
		.amdhsa_user_sgpr_dispatch_ptr 0
		.amdhsa_user_sgpr_queue_ptr 0
		.amdhsa_user_sgpr_kernarg_segment_ptr 1
		.amdhsa_user_sgpr_dispatch_id 0
		.amdhsa_user_sgpr_flat_scratch_init 0
		.amdhsa_user_sgpr_kernarg_preload_length 0
		.amdhsa_user_sgpr_kernarg_preload_offset 0
		.amdhsa_user_sgpr_private_segment_size 0
		.amdhsa_uses_dynamic_stack 0
		.amdhsa_system_sgpr_private_segment_wavefront_offset 0
		.amdhsa_system_sgpr_workgroup_id_x 1
		.amdhsa_system_sgpr_workgroup_id_y 0
		.amdhsa_system_sgpr_workgroup_id_z 0
		.amdhsa_system_sgpr_workgroup_info 0
		.amdhsa_system_vgpr_workitem_id 0
		.amdhsa_next_free_vgpr 1
		.amdhsa_next_free_sgpr 0
		.amdhsa_accum_offset 4
		.amdhsa_reserve_vcc 0
		.amdhsa_reserve_flat_scratch 0
		.amdhsa_float_round_mode_32 0
		.amdhsa_float_round_mode_16_64 0
		.amdhsa_float_denorm_mode_32 3
		.amdhsa_float_denorm_mode_16_64 3
		.amdhsa_dx10_clamp 1
		.amdhsa_ieee_mode 1
		.amdhsa_fp16_overflow 0
		.amdhsa_tg_split 0
		.amdhsa_exception_fp_ieee_invalid_op 0
		.amdhsa_exception_fp_denorm_src 0
		.amdhsa_exception_fp_ieee_div_zero 0
		.amdhsa_exception_fp_ieee_overflow 0
		.amdhsa_exception_fp_ieee_underflow 0
		.amdhsa_exception_fp_ieee_inexact 0
		.amdhsa_exception_int_div_zero 0
	.end_amdhsa_kernel
	.section	.text._ZN7rocprim17ROCPRIM_400000_NS6detail17trampoline_kernelINS0_13select_configILj256ELj13ELNS0_17block_load_methodE3ELS4_3ELS4_3ELNS0_20block_scan_algorithmE0ELj4294967295EEENS1_25partition_config_selectorILNS1_17partition_subalgoE4EjNS0_10empty_typeEbEEZZNS1_14partition_implILS8_4ELb0ES6_15HIP_vector_typeIjLj2EENS0_17counting_iteratorIjlEEPS9_SG_NS0_5tupleIJPjSI_NS0_16reverse_iteratorISI_EEEEENSH_IJSG_SG_SG_EEES9_SI_JZNS1_25segmented_radix_sort_implINS0_14default_configELb1EPKaPaPKlPlN2at6native12_GLOBAL__N_18offset_tEEE10hipError_tPvRmT1_PNSt15iterator_traitsIS12_E10value_typeET2_T3_PNS13_IS18_E10value_typeET4_jRbjT5_S1E_jjP12ihipStream_tbEUljE_ZNSN_ISO_Lb1ESQ_SR_ST_SU_SY_EESZ_S10_S11_S12_S16_S17_S18_S1B_S1C_jS1D_jS1E_S1E_jjS1G_bEUljE0_EEESZ_S10_S11_S18_S1C_S1E_T6_T7_T9_mT8_S1G_bDpT10_ENKUlT_T0_E_clISt17integral_constantIbLb1EES1T_IbLb0EEEEDaS1P_S1Q_EUlS1P_E_NS1_11comp_targetILNS1_3genE10ELNS1_11target_archE1200ELNS1_3gpuE4ELNS1_3repE0EEENS1_30default_config_static_selectorELNS0_4arch9wavefront6targetE1EEEvS12_,"axG",@progbits,_ZN7rocprim17ROCPRIM_400000_NS6detail17trampoline_kernelINS0_13select_configILj256ELj13ELNS0_17block_load_methodE3ELS4_3ELS4_3ELNS0_20block_scan_algorithmE0ELj4294967295EEENS1_25partition_config_selectorILNS1_17partition_subalgoE4EjNS0_10empty_typeEbEEZZNS1_14partition_implILS8_4ELb0ES6_15HIP_vector_typeIjLj2EENS0_17counting_iteratorIjlEEPS9_SG_NS0_5tupleIJPjSI_NS0_16reverse_iteratorISI_EEEEENSH_IJSG_SG_SG_EEES9_SI_JZNS1_25segmented_radix_sort_implINS0_14default_configELb1EPKaPaPKlPlN2at6native12_GLOBAL__N_18offset_tEEE10hipError_tPvRmT1_PNSt15iterator_traitsIS12_E10value_typeET2_T3_PNS13_IS18_E10value_typeET4_jRbjT5_S1E_jjP12ihipStream_tbEUljE_ZNSN_ISO_Lb1ESQ_SR_ST_SU_SY_EESZ_S10_S11_S12_S16_S17_S18_S1B_S1C_jS1D_jS1E_S1E_jjS1G_bEUljE0_EEESZ_S10_S11_S18_S1C_S1E_T6_T7_T9_mT8_S1G_bDpT10_ENKUlT_T0_E_clISt17integral_constantIbLb1EES1T_IbLb0EEEEDaS1P_S1Q_EUlS1P_E_NS1_11comp_targetILNS1_3genE10ELNS1_11target_archE1200ELNS1_3gpuE4ELNS1_3repE0EEENS1_30default_config_static_selectorELNS0_4arch9wavefront6targetE1EEEvS12_,comdat
.Lfunc_end247:
	.size	_ZN7rocprim17ROCPRIM_400000_NS6detail17trampoline_kernelINS0_13select_configILj256ELj13ELNS0_17block_load_methodE3ELS4_3ELS4_3ELNS0_20block_scan_algorithmE0ELj4294967295EEENS1_25partition_config_selectorILNS1_17partition_subalgoE4EjNS0_10empty_typeEbEEZZNS1_14partition_implILS8_4ELb0ES6_15HIP_vector_typeIjLj2EENS0_17counting_iteratorIjlEEPS9_SG_NS0_5tupleIJPjSI_NS0_16reverse_iteratorISI_EEEEENSH_IJSG_SG_SG_EEES9_SI_JZNS1_25segmented_radix_sort_implINS0_14default_configELb1EPKaPaPKlPlN2at6native12_GLOBAL__N_18offset_tEEE10hipError_tPvRmT1_PNSt15iterator_traitsIS12_E10value_typeET2_T3_PNS13_IS18_E10value_typeET4_jRbjT5_S1E_jjP12ihipStream_tbEUljE_ZNSN_ISO_Lb1ESQ_SR_ST_SU_SY_EESZ_S10_S11_S12_S16_S17_S18_S1B_S1C_jS1D_jS1E_S1E_jjS1G_bEUljE0_EEESZ_S10_S11_S18_S1C_S1E_T6_T7_T9_mT8_S1G_bDpT10_ENKUlT_T0_E_clISt17integral_constantIbLb1EES1T_IbLb0EEEEDaS1P_S1Q_EUlS1P_E_NS1_11comp_targetILNS1_3genE10ELNS1_11target_archE1200ELNS1_3gpuE4ELNS1_3repE0EEENS1_30default_config_static_selectorELNS0_4arch9wavefront6targetE1EEEvS12_, .Lfunc_end247-_ZN7rocprim17ROCPRIM_400000_NS6detail17trampoline_kernelINS0_13select_configILj256ELj13ELNS0_17block_load_methodE3ELS4_3ELS4_3ELNS0_20block_scan_algorithmE0ELj4294967295EEENS1_25partition_config_selectorILNS1_17partition_subalgoE4EjNS0_10empty_typeEbEEZZNS1_14partition_implILS8_4ELb0ES6_15HIP_vector_typeIjLj2EENS0_17counting_iteratorIjlEEPS9_SG_NS0_5tupleIJPjSI_NS0_16reverse_iteratorISI_EEEEENSH_IJSG_SG_SG_EEES9_SI_JZNS1_25segmented_radix_sort_implINS0_14default_configELb1EPKaPaPKlPlN2at6native12_GLOBAL__N_18offset_tEEE10hipError_tPvRmT1_PNSt15iterator_traitsIS12_E10value_typeET2_T3_PNS13_IS18_E10value_typeET4_jRbjT5_S1E_jjP12ihipStream_tbEUljE_ZNSN_ISO_Lb1ESQ_SR_ST_SU_SY_EESZ_S10_S11_S12_S16_S17_S18_S1B_S1C_jS1D_jS1E_S1E_jjS1G_bEUljE0_EEESZ_S10_S11_S18_S1C_S1E_T6_T7_T9_mT8_S1G_bDpT10_ENKUlT_T0_E_clISt17integral_constantIbLb1EES1T_IbLb0EEEEDaS1P_S1Q_EUlS1P_E_NS1_11comp_targetILNS1_3genE10ELNS1_11target_archE1200ELNS1_3gpuE4ELNS1_3repE0EEENS1_30default_config_static_selectorELNS0_4arch9wavefront6targetE1EEEvS12_
                                        ; -- End function
	.section	.AMDGPU.csdata,"",@progbits
; Kernel info:
; codeLenInByte = 0
; NumSgprs: 4
; NumVgprs: 0
; NumAgprs: 0
; TotalNumVgprs: 0
; ScratchSize: 0
; MemoryBound: 0
; FloatMode: 240
; IeeeMode: 1
; LDSByteSize: 0 bytes/workgroup (compile time only)
; SGPRBlocks: 0
; VGPRBlocks: 0
; NumSGPRsForWavesPerEU: 4
; NumVGPRsForWavesPerEU: 1
; AccumOffset: 4
; Occupancy: 8
; WaveLimiterHint : 0
; COMPUTE_PGM_RSRC2:SCRATCH_EN: 0
; COMPUTE_PGM_RSRC2:USER_SGPR: 6
; COMPUTE_PGM_RSRC2:TRAP_HANDLER: 0
; COMPUTE_PGM_RSRC2:TGID_X_EN: 1
; COMPUTE_PGM_RSRC2:TGID_Y_EN: 0
; COMPUTE_PGM_RSRC2:TGID_Z_EN: 0
; COMPUTE_PGM_RSRC2:TIDIG_COMP_CNT: 0
; COMPUTE_PGM_RSRC3_GFX90A:ACCUM_OFFSET: 0
; COMPUTE_PGM_RSRC3_GFX90A:TG_SPLIT: 0
	.section	.text._ZN7rocprim17ROCPRIM_400000_NS6detail17trampoline_kernelINS0_13select_configILj256ELj13ELNS0_17block_load_methodE3ELS4_3ELS4_3ELNS0_20block_scan_algorithmE0ELj4294967295EEENS1_25partition_config_selectorILNS1_17partition_subalgoE4EjNS0_10empty_typeEbEEZZNS1_14partition_implILS8_4ELb0ES6_15HIP_vector_typeIjLj2EENS0_17counting_iteratorIjlEEPS9_SG_NS0_5tupleIJPjSI_NS0_16reverse_iteratorISI_EEEEENSH_IJSG_SG_SG_EEES9_SI_JZNS1_25segmented_radix_sort_implINS0_14default_configELb1EPKaPaPKlPlN2at6native12_GLOBAL__N_18offset_tEEE10hipError_tPvRmT1_PNSt15iterator_traitsIS12_E10value_typeET2_T3_PNS13_IS18_E10value_typeET4_jRbjT5_S1E_jjP12ihipStream_tbEUljE_ZNSN_ISO_Lb1ESQ_SR_ST_SU_SY_EESZ_S10_S11_S12_S16_S17_S18_S1B_S1C_jS1D_jS1E_S1E_jjS1G_bEUljE0_EEESZ_S10_S11_S18_S1C_S1E_T6_T7_T9_mT8_S1G_bDpT10_ENKUlT_T0_E_clISt17integral_constantIbLb1EES1T_IbLb0EEEEDaS1P_S1Q_EUlS1P_E_NS1_11comp_targetILNS1_3genE9ELNS1_11target_archE1100ELNS1_3gpuE3ELNS1_3repE0EEENS1_30default_config_static_selectorELNS0_4arch9wavefront6targetE1EEEvS12_,"axG",@progbits,_ZN7rocprim17ROCPRIM_400000_NS6detail17trampoline_kernelINS0_13select_configILj256ELj13ELNS0_17block_load_methodE3ELS4_3ELS4_3ELNS0_20block_scan_algorithmE0ELj4294967295EEENS1_25partition_config_selectorILNS1_17partition_subalgoE4EjNS0_10empty_typeEbEEZZNS1_14partition_implILS8_4ELb0ES6_15HIP_vector_typeIjLj2EENS0_17counting_iteratorIjlEEPS9_SG_NS0_5tupleIJPjSI_NS0_16reverse_iteratorISI_EEEEENSH_IJSG_SG_SG_EEES9_SI_JZNS1_25segmented_radix_sort_implINS0_14default_configELb1EPKaPaPKlPlN2at6native12_GLOBAL__N_18offset_tEEE10hipError_tPvRmT1_PNSt15iterator_traitsIS12_E10value_typeET2_T3_PNS13_IS18_E10value_typeET4_jRbjT5_S1E_jjP12ihipStream_tbEUljE_ZNSN_ISO_Lb1ESQ_SR_ST_SU_SY_EESZ_S10_S11_S12_S16_S17_S18_S1B_S1C_jS1D_jS1E_S1E_jjS1G_bEUljE0_EEESZ_S10_S11_S18_S1C_S1E_T6_T7_T9_mT8_S1G_bDpT10_ENKUlT_T0_E_clISt17integral_constantIbLb1EES1T_IbLb0EEEEDaS1P_S1Q_EUlS1P_E_NS1_11comp_targetILNS1_3genE9ELNS1_11target_archE1100ELNS1_3gpuE3ELNS1_3repE0EEENS1_30default_config_static_selectorELNS0_4arch9wavefront6targetE1EEEvS12_,comdat
	.globl	_ZN7rocprim17ROCPRIM_400000_NS6detail17trampoline_kernelINS0_13select_configILj256ELj13ELNS0_17block_load_methodE3ELS4_3ELS4_3ELNS0_20block_scan_algorithmE0ELj4294967295EEENS1_25partition_config_selectorILNS1_17partition_subalgoE4EjNS0_10empty_typeEbEEZZNS1_14partition_implILS8_4ELb0ES6_15HIP_vector_typeIjLj2EENS0_17counting_iteratorIjlEEPS9_SG_NS0_5tupleIJPjSI_NS0_16reverse_iteratorISI_EEEEENSH_IJSG_SG_SG_EEES9_SI_JZNS1_25segmented_radix_sort_implINS0_14default_configELb1EPKaPaPKlPlN2at6native12_GLOBAL__N_18offset_tEEE10hipError_tPvRmT1_PNSt15iterator_traitsIS12_E10value_typeET2_T3_PNS13_IS18_E10value_typeET4_jRbjT5_S1E_jjP12ihipStream_tbEUljE_ZNSN_ISO_Lb1ESQ_SR_ST_SU_SY_EESZ_S10_S11_S12_S16_S17_S18_S1B_S1C_jS1D_jS1E_S1E_jjS1G_bEUljE0_EEESZ_S10_S11_S18_S1C_S1E_T6_T7_T9_mT8_S1G_bDpT10_ENKUlT_T0_E_clISt17integral_constantIbLb1EES1T_IbLb0EEEEDaS1P_S1Q_EUlS1P_E_NS1_11comp_targetILNS1_3genE9ELNS1_11target_archE1100ELNS1_3gpuE3ELNS1_3repE0EEENS1_30default_config_static_selectorELNS0_4arch9wavefront6targetE1EEEvS12_ ; -- Begin function _ZN7rocprim17ROCPRIM_400000_NS6detail17trampoline_kernelINS0_13select_configILj256ELj13ELNS0_17block_load_methodE3ELS4_3ELS4_3ELNS0_20block_scan_algorithmE0ELj4294967295EEENS1_25partition_config_selectorILNS1_17partition_subalgoE4EjNS0_10empty_typeEbEEZZNS1_14partition_implILS8_4ELb0ES6_15HIP_vector_typeIjLj2EENS0_17counting_iteratorIjlEEPS9_SG_NS0_5tupleIJPjSI_NS0_16reverse_iteratorISI_EEEEENSH_IJSG_SG_SG_EEES9_SI_JZNS1_25segmented_radix_sort_implINS0_14default_configELb1EPKaPaPKlPlN2at6native12_GLOBAL__N_18offset_tEEE10hipError_tPvRmT1_PNSt15iterator_traitsIS12_E10value_typeET2_T3_PNS13_IS18_E10value_typeET4_jRbjT5_S1E_jjP12ihipStream_tbEUljE_ZNSN_ISO_Lb1ESQ_SR_ST_SU_SY_EESZ_S10_S11_S12_S16_S17_S18_S1B_S1C_jS1D_jS1E_S1E_jjS1G_bEUljE0_EEESZ_S10_S11_S18_S1C_S1E_T6_T7_T9_mT8_S1G_bDpT10_ENKUlT_T0_E_clISt17integral_constantIbLb1EES1T_IbLb0EEEEDaS1P_S1Q_EUlS1P_E_NS1_11comp_targetILNS1_3genE9ELNS1_11target_archE1100ELNS1_3gpuE3ELNS1_3repE0EEENS1_30default_config_static_selectorELNS0_4arch9wavefront6targetE1EEEvS12_
	.p2align	8
	.type	_ZN7rocprim17ROCPRIM_400000_NS6detail17trampoline_kernelINS0_13select_configILj256ELj13ELNS0_17block_load_methodE3ELS4_3ELS4_3ELNS0_20block_scan_algorithmE0ELj4294967295EEENS1_25partition_config_selectorILNS1_17partition_subalgoE4EjNS0_10empty_typeEbEEZZNS1_14partition_implILS8_4ELb0ES6_15HIP_vector_typeIjLj2EENS0_17counting_iteratorIjlEEPS9_SG_NS0_5tupleIJPjSI_NS0_16reverse_iteratorISI_EEEEENSH_IJSG_SG_SG_EEES9_SI_JZNS1_25segmented_radix_sort_implINS0_14default_configELb1EPKaPaPKlPlN2at6native12_GLOBAL__N_18offset_tEEE10hipError_tPvRmT1_PNSt15iterator_traitsIS12_E10value_typeET2_T3_PNS13_IS18_E10value_typeET4_jRbjT5_S1E_jjP12ihipStream_tbEUljE_ZNSN_ISO_Lb1ESQ_SR_ST_SU_SY_EESZ_S10_S11_S12_S16_S17_S18_S1B_S1C_jS1D_jS1E_S1E_jjS1G_bEUljE0_EEESZ_S10_S11_S18_S1C_S1E_T6_T7_T9_mT8_S1G_bDpT10_ENKUlT_T0_E_clISt17integral_constantIbLb1EES1T_IbLb0EEEEDaS1P_S1Q_EUlS1P_E_NS1_11comp_targetILNS1_3genE9ELNS1_11target_archE1100ELNS1_3gpuE3ELNS1_3repE0EEENS1_30default_config_static_selectorELNS0_4arch9wavefront6targetE1EEEvS12_,@function
_ZN7rocprim17ROCPRIM_400000_NS6detail17trampoline_kernelINS0_13select_configILj256ELj13ELNS0_17block_load_methodE3ELS4_3ELS4_3ELNS0_20block_scan_algorithmE0ELj4294967295EEENS1_25partition_config_selectorILNS1_17partition_subalgoE4EjNS0_10empty_typeEbEEZZNS1_14partition_implILS8_4ELb0ES6_15HIP_vector_typeIjLj2EENS0_17counting_iteratorIjlEEPS9_SG_NS0_5tupleIJPjSI_NS0_16reverse_iteratorISI_EEEEENSH_IJSG_SG_SG_EEES9_SI_JZNS1_25segmented_radix_sort_implINS0_14default_configELb1EPKaPaPKlPlN2at6native12_GLOBAL__N_18offset_tEEE10hipError_tPvRmT1_PNSt15iterator_traitsIS12_E10value_typeET2_T3_PNS13_IS18_E10value_typeET4_jRbjT5_S1E_jjP12ihipStream_tbEUljE_ZNSN_ISO_Lb1ESQ_SR_ST_SU_SY_EESZ_S10_S11_S12_S16_S17_S18_S1B_S1C_jS1D_jS1E_S1E_jjS1G_bEUljE0_EEESZ_S10_S11_S18_S1C_S1E_T6_T7_T9_mT8_S1G_bDpT10_ENKUlT_T0_E_clISt17integral_constantIbLb1EES1T_IbLb0EEEEDaS1P_S1Q_EUlS1P_E_NS1_11comp_targetILNS1_3genE9ELNS1_11target_archE1100ELNS1_3gpuE3ELNS1_3repE0EEENS1_30default_config_static_selectorELNS0_4arch9wavefront6targetE1EEEvS12_: ; @_ZN7rocprim17ROCPRIM_400000_NS6detail17trampoline_kernelINS0_13select_configILj256ELj13ELNS0_17block_load_methodE3ELS4_3ELS4_3ELNS0_20block_scan_algorithmE0ELj4294967295EEENS1_25partition_config_selectorILNS1_17partition_subalgoE4EjNS0_10empty_typeEbEEZZNS1_14partition_implILS8_4ELb0ES6_15HIP_vector_typeIjLj2EENS0_17counting_iteratorIjlEEPS9_SG_NS0_5tupleIJPjSI_NS0_16reverse_iteratorISI_EEEEENSH_IJSG_SG_SG_EEES9_SI_JZNS1_25segmented_radix_sort_implINS0_14default_configELb1EPKaPaPKlPlN2at6native12_GLOBAL__N_18offset_tEEE10hipError_tPvRmT1_PNSt15iterator_traitsIS12_E10value_typeET2_T3_PNS13_IS18_E10value_typeET4_jRbjT5_S1E_jjP12ihipStream_tbEUljE_ZNSN_ISO_Lb1ESQ_SR_ST_SU_SY_EESZ_S10_S11_S12_S16_S17_S18_S1B_S1C_jS1D_jS1E_S1E_jjS1G_bEUljE0_EEESZ_S10_S11_S18_S1C_S1E_T6_T7_T9_mT8_S1G_bDpT10_ENKUlT_T0_E_clISt17integral_constantIbLb1EES1T_IbLb0EEEEDaS1P_S1Q_EUlS1P_E_NS1_11comp_targetILNS1_3genE9ELNS1_11target_archE1100ELNS1_3gpuE3ELNS1_3repE0EEENS1_30default_config_static_selectorELNS0_4arch9wavefront6targetE1EEEvS12_
; %bb.0:
	.section	.rodata,"a",@progbits
	.p2align	6, 0x0
	.amdhsa_kernel _ZN7rocprim17ROCPRIM_400000_NS6detail17trampoline_kernelINS0_13select_configILj256ELj13ELNS0_17block_load_methodE3ELS4_3ELS4_3ELNS0_20block_scan_algorithmE0ELj4294967295EEENS1_25partition_config_selectorILNS1_17partition_subalgoE4EjNS0_10empty_typeEbEEZZNS1_14partition_implILS8_4ELb0ES6_15HIP_vector_typeIjLj2EENS0_17counting_iteratorIjlEEPS9_SG_NS0_5tupleIJPjSI_NS0_16reverse_iteratorISI_EEEEENSH_IJSG_SG_SG_EEES9_SI_JZNS1_25segmented_radix_sort_implINS0_14default_configELb1EPKaPaPKlPlN2at6native12_GLOBAL__N_18offset_tEEE10hipError_tPvRmT1_PNSt15iterator_traitsIS12_E10value_typeET2_T3_PNS13_IS18_E10value_typeET4_jRbjT5_S1E_jjP12ihipStream_tbEUljE_ZNSN_ISO_Lb1ESQ_SR_ST_SU_SY_EESZ_S10_S11_S12_S16_S17_S18_S1B_S1C_jS1D_jS1E_S1E_jjS1G_bEUljE0_EEESZ_S10_S11_S18_S1C_S1E_T6_T7_T9_mT8_S1G_bDpT10_ENKUlT_T0_E_clISt17integral_constantIbLb1EES1T_IbLb0EEEEDaS1P_S1Q_EUlS1P_E_NS1_11comp_targetILNS1_3genE9ELNS1_11target_archE1100ELNS1_3gpuE3ELNS1_3repE0EEENS1_30default_config_static_selectorELNS0_4arch9wavefront6targetE1EEEvS12_
		.amdhsa_group_segment_fixed_size 0
		.amdhsa_private_segment_fixed_size 0
		.amdhsa_kernarg_size 176
		.amdhsa_user_sgpr_count 6
		.amdhsa_user_sgpr_private_segment_buffer 1
		.amdhsa_user_sgpr_dispatch_ptr 0
		.amdhsa_user_sgpr_queue_ptr 0
		.amdhsa_user_sgpr_kernarg_segment_ptr 1
		.amdhsa_user_sgpr_dispatch_id 0
		.amdhsa_user_sgpr_flat_scratch_init 0
		.amdhsa_user_sgpr_kernarg_preload_length 0
		.amdhsa_user_sgpr_kernarg_preload_offset 0
		.amdhsa_user_sgpr_private_segment_size 0
		.amdhsa_uses_dynamic_stack 0
		.amdhsa_system_sgpr_private_segment_wavefront_offset 0
		.amdhsa_system_sgpr_workgroup_id_x 1
		.amdhsa_system_sgpr_workgroup_id_y 0
		.amdhsa_system_sgpr_workgroup_id_z 0
		.amdhsa_system_sgpr_workgroup_info 0
		.amdhsa_system_vgpr_workitem_id 0
		.amdhsa_next_free_vgpr 1
		.amdhsa_next_free_sgpr 0
		.amdhsa_accum_offset 4
		.amdhsa_reserve_vcc 0
		.amdhsa_reserve_flat_scratch 0
		.amdhsa_float_round_mode_32 0
		.amdhsa_float_round_mode_16_64 0
		.amdhsa_float_denorm_mode_32 3
		.amdhsa_float_denorm_mode_16_64 3
		.amdhsa_dx10_clamp 1
		.amdhsa_ieee_mode 1
		.amdhsa_fp16_overflow 0
		.amdhsa_tg_split 0
		.amdhsa_exception_fp_ieee_invalid_op 0
		.amdhsa_exception_fp_denorm_src 0
		.amdhsa_exception_fp_ieee_div_zero 0
		.amdhsa_exception_fp_ieee_overflow 0
		.amdhsa_exception_fp_ieee_underflow 0
		.amdhsa_exception_fp_ieee_inexact 0
		.amdhsa_exception_int_div_zero 0
	.end_amdhsa_kernel
	.section	.text._ZN7rocprim17ROCPRIM_400000_NS6detail17trampoline_kernelINS0_13select_configILj256ELj13ELNS0_17block_load_methodE3ELS4_3ELS4_3ELNS0_20block_scan_algorithmE0ELj4294967295EEENS1_25partition_config_selectorILNS1_17partition_subalgoE4EjNS0_10empty_typeEbEEZZNS1_14partition_implILS8_4ELb0ES6_15HIP_vector_typeIjLj2EENS0_17counting_iteratorIjlEEPS9_SG_NS0_5tupleIJPjSI_NS0_16reverse_iteratorISI_EEEEENSH_IJSG_SG_SG_EEES9_SI_JZNS1_25segmented_radix_sort_implINS0_14default_configELb1EPKaPaPKlPlN2at6native12_GLOBAL__N_18offset_tEEE10hipError_tPvRmT1_PNSt15iterator_traitsIS12_E10value_typeET2_T3_PNS13_IS18_E10value_typeET4_jRbjT5_S1E_jjP12ihipStream_tbEUljE_ZNSN_ISO_Lb1ESQ_SR_ST_SU_SY_EESZ_S10_S11_S12_S16_S17_S18_S1B_S1C_jS1D_jS1E_S1E_jjS1G_bEUljE0_EEESZ_S10_S11_S18_S1C_S1E_T6_T7_T9_mT8_S1G_bDpT10_ENKUlT_T0_E_clISt17integral_constantIbLb1EES1T_IbLb0EEEEDaS1P_S1Q_EUlS1P_E_NS1_11comp_targetILNS1_3genE9ELNS1_11target_archE1100ELNS1_3gpuE3ELNS1_3repE0EEENS1_30default_config_static_selectorELNS0_4arch9wavefront6targetE1EEEvS12_,"axG",@progbits,_ZN7rocprim17ROCPRIM_400000_NS6detail17trampoline_kernelINS0_13select_configILj256ELj13ELNS0_17block_load_methodE3ELS4_3ELS4_3ELNS0_20block_scan_algorithmE0ELj4294967295EEENS1_25partition_config_selectorILNS1_17partition_subalgoE4EjNS0_10empty_typeEbEEZZNS1_14partition_implILS8_4ELb0ES6_15HIP_vector_typeIjLj2EENS0_17counting_iteratorIjlEEPS9_SG_NS0_5tupleIJPjSI_NS0_16reverse_iteratorISI_EEEEENSH_IJSG_SG_SG_EEES9_SI_JZNS1_25segmented_radix_sort_implINS0_14default_configELb1EPKaPaPKlPlN2at6native12_GLOBAL__N_18offset_tEEE10hipError_tPvRmT1_PNSt15iterator_traitsIS12_E10value_typeET2_T3_PNS13_IS18_E10value_typeET4_jRbjT5_S1E_jjP12ihipStream_tbEUljE_ZNSN_ISO_Lb1ESQ_SR_ST_SU_SY_EESZ_S10_S11_S12_S16_S17_S18_S1B_S1C_jS1D_jS1E_S1E_jjS1G_bEUljE0_EEESZ_S10_S11_S18_S1C_S1E_T6_T7_T9_mT8_S1G_bDpT10_ENKUlT_T0_E_clISt17integral_constantIbLb1EES1T_IbLb0EEEEDaS1P_S1Q_EUlS1P_E_NS1_11comp_targetILNS1_3genE9ELNS1_11target_archE1100ELNS1_3gpuE3ELNS1_3repE0EEENS1_30default_config_static_selectorELNS0_4arch9wavefront6targetE1EEEvS12_,comdat
.Lfunc_end248:
	.size	_ZN7rocprim17ROCPRIM_400000_NS6detail17trampoline_kernelINS0_13select_configILj256ELj13ELNS0_17block_load_methodE3ELS4_3ELS4_3ELNS0_20block_scan_algorithmE0ELj4294967295EEENS1_25partition_config_selectorILNS1_17partition_subalgoE4EjNS0_10empty_typeEbEEZZNS1_14partition_implILS8_4ELb0ES6_15HIP_vector_typeIjLj2EENS0_17counting_iteratorIjlEEPS9_SG_NS0_5tupleIJPjSI_NS0_16reverse_iteratorISI_EEEEENSH_IJSG_SG_SG_EEES9_SI_JZNS1_25segmented_radix_sort_implINS0_14default_configELb1EPKaPaPKlPlN2at6native12_GLOBAL__N_18offset_tEEE10hipError_tPvRmT1_PNSt15iterator_traitsIS12_E10value_typeET2_T3_PNS13_IS18_E10value_typeET4_jRbjT5_S1E_jjP12ihipStream_tbEUljE_ZNSN_ISO_Lb1ESQ_SR_ST_SU_SY_EESZ_S10_S11_S12_S16_S17_S18_S1B_S1C_jS1D_jS1E_S1E_jjS1G_bEUljE0_EEESZ_S10_S11_S18_S1C_S1E_T6_T7_T9_mT8_S1G_bDpT10_ENKUlT_T0_E_clISt17integral_constantIbLb1EES1T_IbLb0EEEEDaS1P_S1Q_EUlS1P_E_NS1_11comp_targetILNS1_3genE9ELNS1_11target_archE1100ELNS1_3gpuE3ELNS1_3repE0EEENS1_30default_config_static_selectorELNS0_4arch9wavefront6targetE1EEEvS12_, .Lfunc_end248-_ZN7rocprim17ROCPRIM_400000_NS6detail17trampoline_kernelINS0_13select_configILj256ELj13ELNS0_17block_load_methodE3ELS4_3ELS4_3ELNS0_20block_scan_algorithmE0ELj4294967295EEENS1_25partition_config_selectorILNS1_17partition_subalgoE4EjNS0_10empty_typeEbEEZZNS1_14partition_implILS8_4ELb0ES6_15HIP_vector_typeIjLj2EENS0_17counting_iteratorIjlEEPS9_SG_NS0_5tupleIJPjSI_NS0_16reverse_iteratorISI_EEEEENSH_IJSG_SG_SG_EEES9_SI_JZNS1_25segmented_radix_sort_implINS0_14default_configELb1EPKaPaPKlPlN2at6native12_GLOBAL__N_18offset_tEEE10hipError_tPvRmT1_PNSt15iterator_traitsIS12_E10value_typeET2_T3_PNS13_IS18_E10value_typeET4_jRbjT5_S1E_jjP12ihipStream_tbEUljE_ZNSN_ISO_Lb1ESQ_SR_ST_SU_SY_EESZ_S10_S11_S12_S16_S17_S18_S1B_S1C_jS1D_jS1E_S1E_jjS1G_bEUljE0_EEESZ_S10_S11_S18_S1C_S1E_T6_T7_T9_mT8_S1G_bDpT10_ENKUlT_T0_E_clISt17integral_constantIbLb1EES1T_IbLb0EEEEDaS1P_S1Q_EUlS1P_E_NS1_11comp_targetILNS1_3genE9ELNS1_11target_archE1100ELNS1_3gpuE3ELNS1_3repE0EEENS1_30default_config_static_selectorELNS0_4arch9wavefront6targetE1EEEvS12_
                                        ; -- End function
	.section	.AMDGPU.csdata,"",@progbits
; Kernel info:
; codeLenInByte = 0
; NumSgprs: 4
; NumVgprs: 0
; NumAgprs: 0
; TotalNumVgprs: 0
; ScratchSize: 0
; MemoryBound: 0
; FloatMode: 240
; IeeeMode: 1
; LDSByteSize: 0 bytes/workgroup (compile time only)
; SGPRBlocks: 0
; VGPRBlocks: 0
; NumSGPRsForWavesPerEU: 4
; NumVGPRsForWavesPerEU: 1
; AccumOffset: 4
; Occupancy: 8
; WaveLimiterHint : 0
; COMPUTE_PGM_RSRC2:SCRATCH_EN: 0
; COMPUTE_PGM_RSRC2:USER_SGPR: 6
; COMPUTE_PGM_RSRC2:TRAP_HANDLER: 0
; COMPUTE_PGM_RSRC2:TGID_X_EN: 1
; COMPUTE_PGM_RSRC2:TGID_Y_EN: 0
; COMPUTE_PGM_RSRC2:TGID_Z_EN: 0
; COMPUTE_PGM_RSRC2:TIDIG_COMP_CNT: 0
; COMPUTE_PGM_RSRC3_GFX90A:ACCUM_OFFSET: 0
; COMPUTE_PGM_RSRC3_GFX90A:TG_SPLIT: 0
	.section	.text._ZN7rocprim17ROCPRIM_400000_NS6detail17trampoline_kernelINS0_13select_configILj256ELj13ELNS0_17block_load_methodE3ELS4_3ELS4_3ELNS0_20block_scan_algorithmE0ELj4294967295EEENS1_25partition_config_selectorILNS1_17partition_subalgoE4EjNS0_10empty_typeEbEEZZNS1_14partition_implILS8_4ELb0ES6_15HIP_vector_typeIjLj2EENS0_17counting_iteratorIjlEEPS9_SG_NS0_5tupleIJPjSI_NS0_16reverse_iteratorISI_EEEEENSH_IJSG_SG_SG_EEES9_SI_JZNS1_25segmented_radix_sort_implINS0_14default_configELb1EPKaPaPKlPlN2at6native12_GLOBAL__N_18offset_tEEE10hipError_tPvRmT1_PNSt15iterator_traitsIS12_E10value_typeET2_T3_PNS13_IS18_E10value_typeET4_jRbjT5_S1E_jjP12ihipStream_tbEUljE_ZNSN_ISO_Lb1ESQ_SR_ST_SU_SY_EESZ_S10_S11_S12_S16_S17_S18_S1B_S1C_jS1D_jS1E_S1E_jjS1G_bEUljE0_EEESZ_S10_S11_S18_S1C_S1E_T6_T7_T9_mT8_S1G_bDpT10_ENKUlT_T0_E_clISt17integral_constantIbLb1EES1T_IbLb0EEEEDaS1P_S1Q_EUlS1P_E_NS1_11comp_targetILNS1_3genE8ELNS1_11target_archE1030ELNS1_3gpuE2ELNS1_3repE0EEENS1_30default_config_static_selectorELNS0_4arch9wavefront6targetE1EEEvS12_,"axG",@progbits,_ZN7rocprim17ROCPRIM_400000_NS6detail17trampoline_kernelINS0_13select_configILj256ELj13ELNS0_17block_load_methodE3ELS4_3ELS4_3ELNS0_20block_scan_algorithmE0ELj4294967295EEENS1_25partition_config_selectorILNS1_17partition_subalgoE4EjNS0_10empty_typeEbEEZZNS1_14partition_implILS8_4ELb0ES6_15HIP_vector_typeIjLj2EENS0_17counting_iteratorIjlEEPS9_SG_NS0_5tupleIJPjSI_NS0_16reverse_iteratorISI_EEEEENSH_IJSG_SG_SG_EEES9_SI_JZNS1_25segmented_radix_sort_implINS0_14default_configELb1EPKaPaPKlPlN2at6native12_GLOBAL__N_18offset_tEEE10hipError_tPvRmT1_PNSt15iterator_traitsIS12_E10value_typeET2_T3_PNS13_IS18_E10value_typeET4_jRbjT5_S1E_jjP12ihipStream_tbEUljE_ZNSN_ISO_Lb1ESQ_SR_ST_SU_SY_EESZ_S10_S11_S12_S16_S17_S18_S1B_S1C_jS1D_jS1E_S1E_jjS1G_bEUljE0_EEESZ_S10_S11_S18_S1C_S1E_T6_T7_T9_mT8_S1G_bDpT10_ENKUlT_T0_E_clISt17integral_constantIbLb1EES1T_IbLb0EEEEDaS1P_S1Q_EUlS1P_E_NS1_11comp_targetILNS1_3genE8ELNS1_11target_archE1030ELNS1_3gpuE2ELNS1_3repE0EEENS1_30default_config_static_selectorELNS0_4arch9wavefront6targetE1EEEvS12_,comdat
	.globl	_ZN7rocprim17ROCPRIM_400000_NS6detail17trampoline_kernelINS0_13select_configILj256ELj13ELNS0_17block_load_methodE3ELS4_3ELS4_3ELNS0_20block_scan_algorithmE0ELj4294967295EEENS1_25partition_config_selectorILNS1_17partition_subalgoE4EjNS0_10empty_typeEbEEZZNS1_14partition_implILS8_4ELb0ES6_15HIP_vector_typeIjLj2EENS0_17counting_iteratorIjlEEPS9_SG_NS0_5tupleIJPjSI_NS0_16reverse_iteratorISI_EEEEENSH_IJSG_SG_SG_EEES9_SI_JZNS1_25segmented_radix_sort_implINS0_14default_configELb1EPKaPaPKlPlN2at6native12_GLOBAL__N_18offset_tEEE10hipError_tPvRmT1_PNSt15iterator_traitsIS12_E10value_typeET2_T3_PNS13_IS18_E10value_typeET4_jRbjT5_S1E_jjP12ihipStream_tbEUljE_ZNSN_ISO_Lb1ESQ_SR_ST_SU_SY_EESZ_S10_S11_S12_S16_S17_S18_S1B_S1C_jS1D_jS1E_S1E_jjS1G_bEUljE0_EEESZ_S10_S11_S18_S1C_S1E_T6_T7_T9_mT8_S1G_bDpT10_ENKUlT_T0_E_clISt17integral_constantIbLb1EES1T_IbLb0EEEEDaS1P_S1Q_EUlS1P_E_NS1_11comp_targetILNS1_3genE8ELNS1_11target_archE1030ELNS1_3gpuE2ELNS1_3repE0EEENS1_30default_config_static_selectorELNS0_4arch9wavefront6targetE1EEEvS12_ ; -- Begin function _ZN7rocprim17ROCPRIM_400000_NS6detail17trampoline_kernelINS0_13select_configILj256ELj13ELNS0_17block_load_methodE3ELS4_3ELS4_3ELNS0_20block_scan_algorithmE0ELj4294967295EEENS1_25partition_config_selectorILNS1_17partition_subalgoE4EjNS0_10empty_typeEbEEZZNS1_14partition_implILS8_4ELb0ES6_15HIP_vector_typeIjLj2EENS0_17counting_iteratorIjlEEPS9_SG_NS0_5tupleIJPjSI_NS0_16reverse_iteratorISI_EEEEENSH_IJSG_SG_SG_EEES9_SI_JZNS1_25segmented_radix_sort_implINS0_14default_configELb1EPKaPaPKlPlN2at6native12_GLOBAL__N_18offset_tEEE10hipError_tPvRmT1_PNSt15iterator_traitsIS12_E10value_typeET2_T3_PNS13_IS18_E10value_typeET4_jRbjT5_S1E_jjP12ihipStream_tbEUljE_ZNSN_ISO_Lb1ESQ_SR_ST_SU_SY_EESZ_S10_S11_S12_S16_S17_S18_S1B_S1C_jS1D_jS1E_S1E_jjS1G_bEUljE0_EEESZ_S10_S11_S18_S1C_S1E_T6_T7_T9_mT8_S1G_bDpT10_ENKUlT_T0_E_clISt17integral_constantIbLb1EES1T_IbLb0EEEEDaS1P_S1Q_EUlS1P_E_NS1_11comp_targetILNS1_3genE8ELNS1_11target_archE1030ELNS1_3gpuE2ELNS1_3repE0EEENS1_30default_config_static_selectorELNS0_4arch9wavefront6targetE1EEEvS12_
	.p2align	8
	.type	_ZN7rocprim17ROCPRIM_400000_NS6detail17trampoline_kernelINS0_13select_configILj256ELj13ELNS0_17block_load_methodE3ELS4_3ELS4_3ELNS0_20block_scan_algorithmE0ELj4294967295EEENS1_25partition_config_selectorILNS1_17partition_subalgoE4EjNS0_10empty_typeEbEEZZNS1_14partition_implILS8_4ELb0ES6_15HIP_vector_typeIjLj2EENS0_17counting_iteratorIjlEEPS9_SG_NS0_5tupleIJPjSI_NS0_16reverse_iteratorISI_EEEEENSH_IJSG_SG_SG_EEES9_SI_JZNS1_25segmented_radix_sort_implINS0_14default_configELb1EPKaPaPKlPlN2at6native12_GLOBAL__N_18offset_tEEE10hipError_tPvRmT1_PNSt15iterator_traitsIS12_E10value_typeET2_T3_PNS13_IS18_E10value_typeET4_jRbjT5_S1E_jjP12ihipStream_tbEUljE_ZNSN_ISO_Lb1ESQ_SR_ST_SU_SY_EESZ_S10_S11_S12_S16_S17_S18_S1B_S1C_jS1D_jS1E_S1E_jjS1G_bEUljE0_EEESZ_S10_S11_S18_S1C_S1E_T6_T7_T9_mT8_S1G_bDpT10_ENKUlT_T0_E_clISt17integral_constantIbLb1EES1T_IbLb0EEEEDaS1P_S1Q_EUlS1P_E_NS1_11comp_targetILNS1_3genE8ELNS1_11target_archE1030ELNS1_3gpuE2ELNS1_3repE0EEENS1_30default_config_static_selectorELNS0_4arch9wavefront6targetE1EEEvS12_,@function
_ZN7rocprim17ROCPRIM_400000_NS6detail17trampoline_kernelINS0_13select_configILj256ELj13ELNS0_17block_load_methodE3ELS4_3ELS4_3ELNS0_20block_scan_algorithmE0ELj4294967295EEENS1_25partition_config_selectorILNS1_17partition_subalgoE4EjNS0_10empty_typeEbEEZZNS1_14partition_implILS8_4ELb0ES6_15HIP_vector_typeIjLj2EENS0_17counting_iteratorIjlEEPS9_SG_NS0_5tupleIJPjSI_NS0_16reverse_iteratorISI_EEEEENSH_IJSG_SG_SG_EEES9_SI_JZNS1_25segmented_radix_sort_implINS0_14default_configELb1EPKaPaPKlPlN2at6native12_GLOBAL__N_18offset_tEEE10hipError_tPvRmT1_PNSt15iterator_traitsIS12_E10value_typeET2_T3_PNS13_IS18_E10value_typeET4_jRbjT5_S1E_jjP12ihipStream_tbEUljE_ZNSN_ISO_Lb1ESQ_SR_ST_SU_SY_EESZ_S10_S11_S12_S16_S17_S18_S1B_S1C_jS1D_jS1E_S1E_jjS1G_bEUljE0_EEESZ_S10_S11_S18_S1C_S1E_T6_T7_T9_mT8_S1G_bDpT10_ENKUlT_T0_E_clISt17integral_constantIbLb1EES1T_IbLb0EEEEDaS1P_S1Q_EUlS1P_E_NS1_11comp_targetILNS1_3genE8ELNS1_11target_archE1030ELNS1_3gpuE2ELNS1_3repE0EEENS1_30default_config_static_selectorELNS0_4arch9wavefront6targetE1EEEvS12_: ; @_ZN7rocprim17ROCPRIM_400000_NS6detail17trampoline_kernelINS0_13select_configILj256ELj13ELNS0_17block_load_methodE3ELS4_3ELS4_3ELNS0_20block_scan_algorithmE0ELj4294967295EEENS1_25partition_config_selectorILNS1_17partition_subalgoE4EjNS0_10empty_typeEbEEZZNS1_14partition_implILS8_4ELb0ES6_15HIP_vector_typeIjLj2EENS0_17counting_iteratorIjlEEPS9_SG_NS0_5tupleIJPjSI_NS0_16reverse_iteratorISI_EEEEENSH_IJSG_SG_SG_EEES9_SI_JZNS1_25segmented_radix_sort_implINS0_14default_configELb1EPKaPaPKlPlN2at6native12_GLOBAL__N_18offset_tEEE10hipError_tPvRmT1_PNSt15iterator_traitsIS12_E10value_typeET2_T3_PNS13_IS18_E10value_typeET4_jRbjT5_S1E_jjP12ihipStream_tbEUljE_ZNSN_ISO_Lb1ESQ_SR_ST_SU_SY_EESZ_S10_S11_S12_S16_S17_S18_S1B_S1C_jS1D_jS1E_S1E_jjS1G_bEUljE0_EEESZ_S10_S11_S18_S1C_S1E_T6_T7_T9_mT8_S1G_bDpT10_ENKUlT_T0_E_clISt17integral_constantIbLb1EES1T_IbLb0EEEEDaS1P_S1Q_EUlS1P_E_NS1_11comp_targetILNS1_3genE8ELNS1_11target_archE1030ELNS1_3gpuE2ELNS1_3repE0EEENS1_30default_config_static_selectorELNS0_4arch9wavefront6targetE1EEEvS12_
; %bb.0:
	.section	.rodata,"a",@progbits
	.p2align	6, 0x0
	.amdhsa_kernel _ZN7rocprim17ROCPRIM_400000_NS6detail17trampoline_kernelINS0_13select_configILj256ELj13ELNS0_17block_load_methodE3ELS4_3ELS4_3ELNS0_20block_scan_algorithmE0ELj4294967295EEENS1_25partition_config_selectorILNS1_17partition_subalgoE4EjNS0_10empty_typeEbEEZZNS1_14partition_implILS8_4ELb0ES6_15HIP_vector_typeIjLj2EENS0_17counting_iteratorIjlEEPS9_SG_NS0_5tupleIJPjSI_NS0_16reverse_iteratorISI_EEEEENSH_IJSG_SG_SG_EEES9_SI_JZNS1_25segmented_radix_sort_implINS0_14default_configELb1EPKaPaPKlPlN2at6native12_GLOBAL__N_18offset_tEEE10hipError_tPvRmT1_PNSt15iterator_traitsIS12_E10value_typeET2_T3_PNS13_IS18_E10value_typeET4_jRbjT5_S1E_jjP12ihipStream_tbEUljE_ZNSN_ISO_Lb1ESQ_SR_ST_SU_SY_EESZ_S10_S11_S12_S16_S17_S18_S1B_S1C_jS1D_jS1E_S1E_jjS1G_bEUljE0_EEESZ_S10_S11_S18_S1C_S1E_T6_T7_T9_mT8_S1G_bDpT10_ENKUlT_T0_E_clISt17integral_constantIbLb1EES1T_IbLb0EEEEDaS1P_S1Q_EUlS1P_E_NS1_11comp_targetILNS1_3genE8ELNS1_11target_archE1030ELNS1_3gpuE2ELNS1_3repE0EEENS1_30default_config_static_selectorELNS0_4arch9wavefront6targetE1EEEvS12_
		.amdhsa_group_segment_fixed_size 0
		.amdhsa_private_segment_fixed_size 0
		.amdhsa_kernarg_size 176
		.amdhsa_user_sgpr_count 6
		.amdhsa_user_sgpr_private_segment_buffer 1
		.amdhsa_user_sgpr_dispatch_ptr 0
		.amdhsa_user_sgpr_queue_ptr 0
		.amdhsa_user_sgpr_kernarg_segment_ptr 1
		.amdhsa_user_sgpr_dispatch_id 0
		.amdhsa_user_sgpr_flat_scratch_init 0
		.amdhsa_user_sgpr_kernarg_preload_length 0
		.amdhsa_user_sgpr_kernarg_preload_offset 0
		.amdhsa_user_sgpr_private_segment_size 0
		.amdhsa_uses_dynamic_stack 0
		.amdhsa_system_sgpr_private_segment_wavefront_offset 0
		.amdhsa_system_sgpr_workgroup_id_x 1
		.amdhsa_system_sgpr_workgroup_id_y 0
		.amdhsa_system_sgpr_workgroup_id_z 0
		.amdhsa_system_sgpr_workgroup_info 0
		.amdhsa_system_vgpr_workitem_id 0
		.amdhsa_next_free_vgpr 1
		.amdhsa_next_free_sgpr 0
		.amdhsa_accum_offset 4
		.amdhsa_reserve_vcc 0
		.amdhsa_reserve_flat_scratch 0
		.amdhsa_float_round_mode_32 0
		.amdhsa_float_round_mode_16_64 0
		.amdhsa_float_denorm_mode_32 3
		.amdhsa_float_denorm_mode_16_64 3
		.amdhsa_dx10_clamp 1
		.amdhsa_ieee_mode 1
		.amdhsa_fp16_overflow 0
		.amdhsa_tg_split 0
		.amdhsa_exception_fp_ieee_invalid_op 0
		.amdhsa_exception_fp_denorm_src 0
		.amdhsa_exception_fp_ieee_div_zero 0
		.amdhsa_exception_fp_ieee_overflow 0
		.amdhsa_exception_fp_ieee_underflow 0
		.amdhsa_exception_fp_ieee_inexact 0
		.amdhsa_exception_int_div_zero 0
	.end_amdhsa_kernel
	.section	.text._ZN7rocprim17ROCPRIM_400000_NS6detail17trampoline_kernelINS0_13select_configILj256ELj13ELNS0_17block_load_methodE3ELS4_3ELS4_3ELNS0_20block_scan_algorithmE0ELj4294967295EEENS1_25partition_config_selectorILNS1_17partition_subalgoE4EjNS0_10empty_typeEbEEZZNS1_14partition_implILS8_4ELb0ES6_15HIP_vector_typeIjLj2EENS0_17counting_iteratorIjlEEPS9_SG_NS0_5tupleIJPjSI_NS0_16reverse_iteratorISI_EEEEENSH_IJSG_SG_SG_EEES9_SI_JZNS1_25segmented_radix_sort_implINS0_14default_configELb1EPKaPaPKlPlN2at6native12_GLOBAL__N_18offset_tEEE10hipError_tPvRmT1_PNSt15iterator_traitsIS12_E10value_typeET2_T3_PNS13_IS18_E10value_typeET4_jRbjT5_S1E_jjP12ihipStream_tbEUljE_ZNSN_ISO_Lb1ESQ_SR_ST_SU_SY_EESZ_S10_S11_S12_S16_S17_S18_S1B_S1C_jS1D_jS1E_S1E_jjS1G_bEUljE0_EEESZ_S10_S11_S18_S1C_S1E_T6_T7_T9_mT8_S1G_bDpT10_ENKUlT_T0_E_clISt17integral_constantIbLb1EES1T_IbLb0EEEEDaS1P_S1Q_EUlS1P_E_NS1_11comp_targetILNS1_3genE8ELNS1_11target_archE1030ELNS1_3gpuE2ELNS1_3repE0EEENS1_30default_config_static_selectorELNS0_4arch9wavefront6targetE1EEEvS12_,"axG",@progbits,_ZN7rocprim17ROCPRIM_400000_NS6detail17trampoline_kernelINS0_13select_configILj256ELj13ELNS0_17block_load_methodE3ELS4_3ELS4_3ELNS0_20block_scan_algorithmE0ELj4294967295EEENS1_25partition_config_selectorILNS1_17partition_subalgoE4EjNS0_10empty_typeEbEEZZNS1_14partition_implILS8_4ELb0ES6_15HIP_vector_typeIjLj2EENS0_17counting_iteratorIjlEEPS9_SG_NS0_5tupleIJPjSI_NS0_16reverse_iteratorISI_EEEEENSH_IJSG_SG_SG_EEES9_SI_JZNS1_25segmented_radix_sort_implINS0_14default_configELb1EPKaPaPKlPlN2at6native12_GLOBAL__N_18offset_tEEE10hipError_tPvRmT1_PNSt15iterator_traitsIS12_E10value_typeET2_T3_PNS13_IS18_E10value_typeET4_jRbjT5_S1E_jjP12ihipStream_tbEUljE_ZNSN_ISO_Lb1ESQ_SR_ST_SU_SY_EESZ_S10_S11_S12_S16_S17_S18_S1B_S1C_jS1D_jS1E_S1E_jjS1G_bEUljE0_EEESZ_S10_S11_S18_S1C_S1E_T6_T7_T9_mT8_S1G_bDpT10_ENKUlT_T0_E_clISt17integral_constantIbLb1EES1T_IbLb0EEEEDaS1P_S1Q_EUlS1P_E_NS1_11comp_targetILNS1_3genE8ELNS1_11target_archE1030ELNS1_3gpuE2ELNS1_3repE0EEENS1_30default_config_static_selectorELNS0_4arch9wavefront6targetE1EEEvS12_,comdat
.Lfunc_end249:
	.size	_ZN7rocprim17ROCPRIM_400000_NS6detail17trampoline_kernelINS0_13select_configILj256ELj13ELNS0_17block_load_methodE3ELS4_3ELS4_3ELNS0_20block_scan_algorithmE0ELj4294967295EEENS1_25partition_config_selectorILNS1_17partition_subalgoE4EjNS0_10empty_typeEbEEZZNS1_14partition_implILS8_4ELb0ES6_15HIP_vector_typeIjLj2EENS0_17counting_iteratorIjlEEPS9_SG_NS0_5tupleIJPjSI_NS0_16reverse_iteratorISI_EEEEENSH_IJSG_SG_SG_EEES9_SI_JZNS1_25segmented_radix_sort_implINS0_14default_configELb1EPKaPaPKlPlN2at6native12_GLOBAL__N_18offset_tEEE10hipError_tPvRmT1_PNSt15iterator_traitsIS12_E10value_typeET2_T3_PNS13_IS18_E10value_typeET4_jRbjT5_S1E_jjP12ihipStream_tbEUljE_ZNSN_ISO_Lb1ESQ_SR_ST_SU_SY_EESZ_S10_S11_S12_S16_S17_S18_S1B_S1C_jS1D_jS1E_S1E_jjS1G_bEUljE0_EEESZ_S10_S11_S18_S1C_S1E_T6_T7_T9_mT8_S1G_bDpT10_ENKUlT_T0_E_clISt17integral_constantIbLb1EES1T_IbLb0EEEEDaS1P_S1Q_EUlS1P_E_NS1_11comp_targetILNS1_3genE8ELNS1_11target_archE1030ELNS1_3gpuE2ELNS1_3repE0EEENS1_30default_config_static_selectorELNS0_4arch9wavefront6targetE1EEEvS12_, .Lfunc_end249-_ZN7rocprim17ROCPRIM_400000_NS6detail17trampoline_kernelINS0_13select_configILj256ELj13ELNS0_17block_load_methodE3ELS4_3ELS4_3ELNS0_20block_scan_algorithmE0ELj4294967295EEENS1_25partition_config_selectorILNS1_17partition_subalgoE4EjNS0_10empty_typeEbEEZZNS1_14partition_implILS8_4ELb0ES6_15HIP_vector_typeIjLj2EENS0_17counting_iteratorIjlEEPS9_SG_NS0_5tupleIJPjSI_NS0_16reverse_iteratorISI_EEEEENSH_IJSG_SG_SG_EEES9_SI_JZNS1_25segmented_radix_sort_implINS0_14default_configELb1EPKaPaPKlPlN2at6native12_GLOBAL__N_18offset_tEEE10hipError_tPvRmT1_PNSt15iterator_traitsIS12_E10value_typeET2_T3_PNS13_IS18_E10value_typeET4_jRbjT5_S1E_jjP12ihipStream_tbEUljE_ZNSN_ISO_Lb1ESQ_SR_ST_SU_SY_EESZ_S10_S11_S12_S16_S17_S18_S1B_S1C_jS1D_jS1E_S1E_jjS1G_bEUljE0_EEESZ_S10_S11_S18_S1C_S1E_T6_T7_T9_mT8_S1G_bDpT10_ENKUlT_T0_E_clISt17integral_constantIbLb1EES1T_IbLb0EEEEDaS1P_S1Q_EUlS1P_E_NS1_11comp_targetILNS1_3genE8ELNS1_11target_archE1030ELNS1_3gpuE2ELNS1_3repE0EEENS1_30default_config_static_selectorELNS0_4arch9wavefront6targetE1EEEvS12_
                                        ; -- End function
	.section	.AMDGPU.csdata,"",@progbits
; Kernel info:
; codeLenInByte = 0
; NumSgprs: 4
; NumVgprs: 0
; NumAgprs: 0
; TotalNumVgprs: 0
; ScratchSize: 0
; MemoryBound: 0
; FloatMode: 240
; IeeeMode: 1
; LDSByteSize: 0 bytes/workgroup (compile time only)
; SGPRBlocks: 0
; VGPRBlocks: 0
; NumSGPRsForWavesPerEU: 4
; NumVGPRsForWavesPerEU: 1
; AccumOffset: 4
; Occupancy: 8
; WaveLimiterHint : 0
; COMPUTE_PGM_RSRC2:SCRATCH_EN: 0
; COMPUTE_PGM_RSRC2:USER_SGPR: 6
; COMPUTE_PGM_RSRC2:TRAP_HANDLER: 0
; COMPUTE_PGM_RSRC2:TGID_X_EN: 1
; COMPUTE_PGM_RSRC2:TGID_Y_EN: 0
; COMPUTE_PGM_RSRC2:TGID_Z_EN: 0
; COMPUTE_PGM_RSRC2:TIDIG_COMP_CNT: 0
; COMPUTE_PGM_RSRC3_GFX90A:ACCUM_OFFSET: 0
; COMPUTE_PGM_RSRC3_GFX90A:TG_SPLIT: 0
	.section	.text._ZN7rocprim17ROCPRIM_400000_NS6detail17trampoline_kernelINS0_13select_configILj256ELj13ELNS0_17block_load_methodE3ELS4_3ELS4_3ELNS0_20block_scan_algorithmE0ELj4294967295EEENS1_25partition_config_selectorILNS1_17partition_subalgoE4EjNS0_10empty_typeEbEEZZNS1_14partition_implILS8_4ELb0ES6_15HIP_vector_typeIjLj2EENS0_17counting_iteratorIjlEEPS9_SG_NS0_5tupleIJPjSI_NS0_16reverse_iteratorISI_EEEEENSH_IJSG_SG_SG_EEES9_SI_JZNS1_25segmented_radix_sort_implINS0_14default_configELb1EPKaPaPKlPlN2at6native12_GLOBAL__N_18offset_tEEE10hipError_tPvRmT1_PNSt15iterator_traitsIS12_E10value_typeET2_T3_PNS13_IS18_E10value_typeET4_jRbjT5_S1E_jjP12ihipStream_tbEUljE_ZNSN_ISO_Lb1ESQ_SR_ST_SU_SY_EESZ_S10_S11_S12_S16_S17_S18_S1B_S1C_jS1D_jS1E_S1E_jjS1G_bEUljE0_EEESZ_S10_S11_S18_S1C_S1E_T6_T7_T9_mT8_S1G_bDpT10_ENKUlT_T0_E_clISt17integral_constantIbLb0EES1T_IbLb1EEEEDaS1P_S1Q_EUlS1P_E_NS1_11comp_targetILNS1_3genE0ELNS1_11target_archE4294967295ELNS1_3gpuE0ELNS1_3repE0EEENS1_30default_config_static_selectorELNS0_4arch9wavefront6targetE1EEEvS12_,"axG",@progbits,_ZN7rocprim17ROCPRIM_400000_NS6detail17trampoline_kernelINS0_13select_configILj256ELj13ELNS0_17block_load_methodE3ELS4_3ELS4_3ELNS0_20block_scan_algorithmE0ELj4294967295EEENS1_25partition_config_selectorILNS1_17partition_subalgoE4EjNS0_10empty_typeEbEEZZNS1_14partition_implILS8_4ELb0ES6_15HIP_vector_typeIjLj2EENS0_17counting_iteratorIjlEEPS9_SG_NS0_5tupleIJPjSI_NS0_16reverse_iteratorISI_EEEEENSH_IJSG_SG_SG_EEES9_SI_JZNS1_25segmented_radix_sort_implINS0_14default_configELb1EPKaPaPKlPlN2at6native12_GLOBAL__N_18offset_tEEE10hipError_tPvRmT1_PNSt15iterator_traitsIS12_E10value_typeET2_T3_PNS13_IS18_E10value_typeET4_jRbjT5_S1E_jjP12ihipStream_tbEUljE_ZNSN_ISO_Lb1ESQ_SR_ST_SU_SY_EESZ_S10_S11_S12_S16_S17_S18_S1B_S1C_jS1D_jS1E_S1E_jjS1G_bEUljE0_EEESZ_S10_S11_S18_S1C_S1E_T6_T7_T9_mT8_S1G_bDpT10_ENKUlT_T0_E_clISt17integral_constantIbLb0EES1T_IbLb1EEEEDaS1P_S1Q_EUlS1P_E_NS1_11comp_targetILNS1_3genE0ELNS1_11target_archE4294967295ELNS1_3gpuE0ELNS1_3repE0EEENS1_30default_config_static_selectorELNS0_4arch9wavefront6targetE1EEEvS12_,comdat
	.globl	_ZN7rocprim17ROCPRIM_400000_NS6detail17trampoline_kernelINS0_13select_configILj256ELj13ELNS0_17block_load_methodE3ELS4_3ELS4_3ELNS0_20block_scan_algorithmE0ELj4294967295EEENS1_25partition_config_selectorILNS1_17partition_subalgoE4EjNS0_10empty_typeEbEEZZNS1_14partition_implILS8_4ELb0ES6_15HIP_vector_typeIjLj2EENS0_17counting_iteratorIjlEEPS9_SG_NS0_5tupleIJPjSI_NS0_16reverse_iteratorISI_EEEEENSH_IJSG_SG_SG_EEES9_SI_JZNS1_25segmented_radix_sort_implINS0_14default_configELb1EPKaPaPKlPlN2at6native12_GLOBAL__N_18offset_tEEE10hipError_tPvRmT1_PNSt15iterator_traitsIS12_E10value_typeET2_T3_PNS13_IS18_E10value_typeET4_jRbjT5_S1E_jjP12ihipStream_tbEUljE_ZNSN_ISO_Lb1ESQ_SR_ST_SU_SY_EESZ_S10_S11_S12_S16_S17_S18_S1B_S1C_jS1D_jS1E_S1E_jjS1G_bEUljE0_EEESZ_S10_S11_S18_S1C_S1E_T6_T7_T9_mT8_S1G_bDpT10_ENKUlT_T0_E_clISt17integral_constantIbLb0EES1T_IbLb1EEEEDaS1P_S1Q_EUlS1P_E_NS1_11comp_targetILNS1_3genE0ELNS1_11target_archE4294967295ELNS1_3gpuE0ELNS1_3repE0EEENS1_30default_config_static_selectorELNS0_4arch9wavefront6targetE1EEEvS12_ ; -- Begin function _ZN7rocprim17ROCPRIM_400000_NS6detail17trampoline_kernelINS0_13select_configILj256ELj13ELNS0_17block_load_methodE3ELS4_3ELS4_3ELNS0_20block_scan_algorithmE0ELj4294967295EEENS1_25partition_config_selectorILNS1_17partition_subalgoE4EjNS0_10empty_typeEbEEZZNS1_14partition_implILS8_4ELb0ES6_15HIP_vector_typeIjLj2EENS0_17counting_iteratorIjlEEPS9_SG_NS0_5tupleIJPjSI_NS0_16reverse_iteratorISI_EEEEENSH_IJSG_SG_SG_EEES9_SI_JZNS1_25segmented_radix_sort_implINS0_14default_configELb1EPKaPaPKlPlN2at6native12_GLOBAL__N_18offset_tEEE10hipError_tPvRmT1_PNSt15iterator_traitsIS12_E10value_typeET2_T3_PNS13_IS18_E10value_typeET4_jRbjT5_S1E_jjP12ihipStream_tbEUljE_ZNSN_ISO_Lb1ESQ_SR_ST_SU_SY_EESZ_S10_S11_S12_S16_S17_S18_S1B_S1C_jS1D_jS1E_S1E_jjS1G_bEUljE0_EEESZ_S10_S11_S18_S1C_S1E_T6_T7_T9_mT8_S1G_bDpT10_ENKUlT_T0_E_clISt17integral_constantIbLb0EES1T_IbLb1EEEEDaS1P_S1Q_EUlS1P_E_NS1_11comp_targetILNS1_3genE0ELNS1_11target_archE4294967295ELNS1_3gpuE0ELNS1_3repE0EEENS1_30default_config_static_selectorELNS0_4arch9wavefront6targetE1EEEvS12_
	.p2align	8
	.type	_ZN7rocprim17ROCPRIM_400000_NS6detail17trampoline_kernelINS0_13select_configILj256ELj13ELNS0_17block_load_methodE3ELS4_3ELS4_3ELNS0_20block_scan_algorithmE0ELj4294967295EEENS1_25partition_config_selectorILNS1_17partition_subalgoE4EjNS0_10empty_typeEbEEZZNS1_14partition_implILS8_4ELb0ES6_15HIP_vector_typeIjLj2EENS0_17counting_iteratorIjlEEPS9_SG_NS0_5tupleIJPjSI_NS0_16reverse_iteratorISI_EEEEENSH_IJSG_SG_SG_EEES9_SI_JZNS1_25segmented_radix_sort_implINS0_14default_configELb1EPKaPaPKlPlN2at6native12_GLOBAL__N_18offset_tEEE10hipError_tPvRmT1_PNSt15iterator_traitsIS12_E10value_typeET2_T3_PNS13_IS18_E10value_typeET4_jRbjT5_S1E_jjP12ihipStream_tbEUljE_ZNSN_ISO_Lb1ESQ_SR_ST_SU_SY_EESZ_S10_S11_S12_S16_S17_S18_S1B_S1C_jS1D_jS1E_S1E_jjS1G_bEUljE0_EEESZ_S10_S11_S18_S1C_S1E_T6_T7_T9_mT8_S1G_bDpT10_ENKUlT_T0_E_clISt17integral_constantIbLb0EES1T_IbLb1EEEEDaS1P_S1Q_EUlS1P_E_NS1_11comp_targetILNS1_3genE0ELNS1_11target_archE4294967295ELNS1_3gpuE0ELNS1_3repE0EEENS1_30default_config_static_selectorELNS0_4arch9wavefront6targetE1EEEvS12_,@function
_ZN7rocprim17ROCPRIM_400000_NS6detail17trampoline_kernelINS0_13select_configILj256ELj13ELNS0_17block_load_methodE3ELS4_3ELS4_3ELNS0_20block_scan_algorithmE0ELj4294967295EEENS1_25partition_config_selectorILNS1_17partition_subalgoE4EjNS0_10empty_typeEbEEZZNS1_14partition_implILS8_4ELb0ES6_15HIP_vector_typeIjLj2EENS0_17counting_iteratorIjlEEPS9_SG_NS0_5tupleIJPjSI_NS0_16reverse_iteratorISI_EEEEENSH_IJSG_SG_SG_EEES9_SI_JZNS1_25segmented_radix_sort_implINS0_14default_configELb1EPKaPaPKlPlN2at6native12_GLOBAL__N_18offset_tEEE10hipError_tPvRmT1_PNSt15iterator_traitsIS12_E10value_typeET2_T3_PNS13_IS18_E10value_typeET4_jRbjT5_S1E_jjP12ihipStream_tbEUljE_ZNSN_ISO_Lb1ESQ_SR_ST_SU_SY_EESZ_S10_S11_S12_S16_S17_S18_S1B_S1C_jS1D_jS1E_S1E_jjS1G_bEUljE0_EEESZ_S10_S11_S18_S1C_S1E_T6_T7_T9_mT8_S1G_bDpT10_ENKUlT_T0_E_clISt17integral_constantIbLb0EES1T_IbLb1EEEEDaS1P_S1Q_EUlS1P_E_NS1_11comp_targetILNS1_3genE0ELNS1_11target_archE4294967295ELNS1_3gpuE0ELNS1_3repE0EEENS1_30default_config_static_selectorELNS0_4arch9wavefront6targetE1EEEvS12_: ; @_ZN7rocprim17ROCPRIM_400000_NS6detail17trampoline_kernelINS0_13select_configILj256ELj13ELNS0_17block_load_methodE3ELS4_3ELS4_3ELNS0_20block_scan_algorithmE0ELj4294967295EEENS1_25partition_config_selectorILNS1_17partition_subalgoE4EjNS0_10empty_typeEbEEZZNS1_14partition_implILS8_4ELb0ES6_15HIP_vector_typeIjLj2EENS0_17counting_iteratorIjlEEPS9_SG_NS0_5tupleIJPjSI_NS0_16reverse_iteratorISI_EEEEENSH_IJSG_SG_SG_EEES9_SI_JZNS1_25segmented_radix_sort_implINS0_14default_configELb1EPKaPaPKlPlN2at6native12_GLOBAL__N_18offset_tEEE10hipError_tPvRmT1_PNSt15iterator_traitsIS12_E10value_typeET2_T3_PNS13_IS18_E10value_typeET4_jRbjT5_S1E_jjP12ihipStream_tbEUljE_ZNSN_ISO_Lb1ESQ_SR_ST_SU_SY_EESZ_S10_S11_S12_S16_S17_S18_S1B_S1C_jS1D_jS1E_S1E_jjS1G_bEUljE0_EEESZ_S10_S11_S18_S1C_S1E_T6_T7_T9_mT8_S1G_bDpT10_ENKUlT_T0_E_clISt17integral_constantIbLb0EES1T_IbLb1EEEEDaS1P_S1Q_EUlS1P_E_NS1_11comp_targetILNS1_3genE0ELNS1_11target_archE4294967295ELNS1_3gpuE0ELNS1_3repE0EEENS1_30default_config_static_selectorELNS0_4arch9wavefront6targetE1EEEvS12_
; %bb.0:
	.section	.rodata,"a",@progbits
	.p2align	6, 0x0
	.amdhsa_kernel _ZN7rocprim17ROCPRIM_400000_NS6detail17trampoline_kernelINS0_13select_configILj256ELj13ELNS0_17block_load_methodE3ELS4_3ELS4_3ELNS0_20block_scan_algorithmE0ELj4294967295EEENS1_25partition_config_selectorILNS1_17partition_subalgoE4EjNS0_10empty_typeEbEEZZNS1_14partition_implILS8_4ELb0ES6_15HIP_vector_typeIjLj2EENS0_17counting_iteratorIjlEEPS9_SG_NS0_5tupleIJPjSI_NS0_16reverse_iteratorISI_EEEEENSH_IJSG_SG_SG_EEES9_SI_JZNS1_25segmented_radix_sort_implINS0_14default_configELb1EPKaPaPKlPlN2at6native12_GLOBAL__N_18offset_tEEE10hipError_tPvRmT1_PNSt15iterator_traitsIS12_E10value_typeET2_T3_PNS13_IS18_E10value_typeET4_jRbjT5_S1E_jjP12ihipStream_tbEUljE_ZNSN_ISO_Lb1ESQ_SR_ST_SU_SY_EESZ_S10_S11_S12_S16_S17_S18_S1B_S1C_jS1D_jS1E_S1E_jjS1G_bEUljE0_EEESZ_S10_S11_S18_S1C_S1E_T6_T7_T9_mT8_S1G_bDpT10_ENKUlT_T0_E_clISt17integral_constantIbLb0EES1T_IbLb1EEEEDaS1P_S1Q_EUlS1P_E_NS1_11comp_targetILNS1_3genE0ELNS1_11target_archE4294967295ELNS1_3gpuE0ELNS1_3repE0EEENS1_30default_config_static_selectorELNS0_4arch9wavefront6targetE1EEEvS12_
		.amdhsa_group_segment_fixed_size 0
		.amdhsa_private_segment_fixed_size 0
		.amdhsa_kernarg_size 184
		.amdhsa_user_sgpr_count 6
		.amdhsa_user_sgpr_private_segment_buffer 1
		.amdhsa_user_sgpr_dispatch_ptr 0
		.amdhsa_user_sgpr_queue_ptr 0
		.amdhsa_user_sgpr_kernarg_segment_ptr 1
		.amdhsa_user_sgpr_dispatch_id 0
		.amdhsa_user_sgpr_flat_scratch_init 0
		.amdhsa_user_sgpr_kernarg_preload_length 0
		.amdhsa_user_sgpr_kernarg_preload_offset 0
		.amdhsa_user_sgpr_private_segment_size 0
		.amdhsa_uses_dynamic_stack 0
		.amdhsa_system_sgpr_private_segment_wavefront_offset 0
		.amdhsa_system_sgpr_workgroup_id_x 1
		.amdhsa_system_sgpr_workgroup_id_y 0
		.amdhsa_system_sgpr_workgroup_id_z 0
		.amdhsa_system_sgpr_workgroup_info 0
		.amdhsa_system_vgpr_workitem_id 0
		.amdhsa_next_free_vgpr 1
		.amdhsa_next_free_sgpr 0
		.amdhsa_accum_offset 4
		.amdhsa_reserve_vcc 0
		.amdhsa_reserve_flat_scratch 0
		.amdhsa_float_round_mode_32 0
		.amdhsa_float_round_mode_16_64 0
		.amdhsa_float_denorm_mode_32 3
		.amdhsa_float_denorm_mode_16_64 3
		.amdhsa_dx10_clamp 1
		.amdhsa_ieee_mode 1
		.amdhsa_fp16_overflow 0
		.amdhsa_tg_split 0
		.amdhsa_exception_fp_ieee_invalid_op 0
		.amdhsa_exception_fp_denorm_src 0
		.amdhsa_exception_fp_ieee_div_zero 0
		.amdhsa_exception_fp_ieee_overflow 0
		.amdhsa_exception_fp_ieee_underflow 0
		.amdhsa_exception_fp_ieee_inexact 0
		.amdhsa_exception_int_div_zero 0
	.end_amdhsa_kernel
	.section	.text._ZN7rocprim17ROCPRIM_400000_NS6detail17trampoline_kernelINS0_13select_configILj256ELj13ELNS0_17block_load_methodE3ELS4_3ELS4_3ELNS0_20block_scan_algorithmE0ELj4294967295EEENS1_25partition_config_selectorILNS1_17partition_subalgoE4EjNS0_10empty_typeEbEEZZNS1_14partition_implILS8_4ELb0ES6_15HIP_vector_typeIjLj2EENS0_17counting_iteratorIjlEEPS9_SG_NS0_5tupleIJPjSI_NS0_16reverse_iteratorISI_EEEEENSH_IJSG_SG_SG_EEES9_SI_JZNS1_25segmented_radix_sort_implINS0_14default_configELb1EPKaPaPKlPlN2at6native12_GLOBAL__N_18offset_tEEE10hipError_tPvRmT1_PNSt15iterator_traitsIS12_E10value_typeET2_T3_PNS13_IS18_E10value_typeET4_jRbjT5_S1E_jjP12ihipStream_tbEUljE_ZNSN_ISO_Lb1ESQ_SR_ST_SU_SY_EESZ_S10_S11_S12_S16_S17_S18_S1B_S1C_jS1D_jS1E_S1E_jjS1G_bEUljE0_EEESZ_S10_S11_S18_S1C_S1E_T6_T7_T9_mT8_S1G_bDpT10_ENKUlT_T0_E_clISt17integral_constantIbLb0EES1T_IbLb1EEEEDaS1P_S1Q_EUlS1P_E_NS1_11comp_targetILNS1_3genE0ELNS1_11target_archE4294967295ELNS1_3gpuE0ELNS1_3repE0EEENS1_30default_config_static_selectorELNS0_4arch9wavefront6targetE1EEEvS12_,"axG",@progbits,_ZN7rocprim17ROCPRIM_400000_NS6detail17trampoline_kernelINS0_13select_configILj256ELj13ELNS0_17block_load_methodE3ELS4_3ELS4_3ELNS0_20block_scan_algorithmE0ELj4294967295EEENS1_25partition_config_selectorILNS1_17partition_subalgoE4EjNS0_10empty_typeEbEEZZNS1_14partition_implILS8_4ELb0ES6_15HIP_vector_typeIjLj2EENS0_17counting_iteratorIjlEEPS9_SG_NS0_5tupleIJPjSI_NS0_16reverse_iteratorISI_EEEEENSH_IJSG_SG_SG_EEES9_SI_JZNS1_25segmented_radix_sort_implINS0_14default_configELb1EPKaPaPKlPlN2at6native12_GLOBAL__N_18offset_tEEE10hipError_tPvRmT1_PNSt15iterator_traitsIS12_E10value_typeET2_T3_PNS13_IS18_E10value_typeET4_jRbjT5_S1E_jjP12ihipStream_tbEUljE_ZNSN_ISO_Lb1ESQ_SR_ST_SU_SY_EESZ_S10_S11_S12_S16_S17_S18_S1B_S1C_jS1D_jS1E_S1E_jjS1G_bEUljE0_EEESZ_S10_S11_S18_S1C_S1E_T6_T7_T9_mT8_S1G_bDpT10_ENKUlT_T0_E_clISt17integral_constantIbLb0EES1T_IbLb1EEEEDaS1P_S1Q_EUlS1P_E_NS1_11comp_targetILNS1_3genE0ELNS1_11target_archE4294967295ELNS1_3gpuE0ELNS1_3repE0EEENS1_30default_config_static_selectorELNS0_4arch9wavefront6targetE1EEEvS12_,comdat
.Lfunc_end250:
	.size	_ZN7rocprim17ROCPRIM_400000_NS6detail17trampoline_kernelINS0_13select_configILj256ELj13ELNS0_17block_load_methodE3ELS4_3ELS4_3ELNS0_20block_scan_algorithmE0ELj4294967295EEENS1_25partition_config_selectorILNS1_17partition_subalgoE4EjNS0_10empty_typeEbEEZZNS1_14partition_implILS8_4ELb0ES6_15HIP_vector_typeIjLj2EENS0_17counting_iteratorIjlEEPS9_SG_NS0_5tupleIJPjSI_NS0_16reverse_iteratorISI_EEEEENSH_IJSG_SG_SG_EEES9_SI_JZNS1_25segmented_radix_sort_implINS0_14default_configELb1EPKaPaPKlPlN2at6native12_GLOBAL__N_18offset_tEEE10hipError_tPvRmT1_PNSt15iterator_traitsIS12_E10value_typeET2_T3_PNS13_IS18_E10value_typeET4_jRbjT5_S1E_jjP12ihipStream_tbEUljE_ZNSN_ISO_Lb1ESQ_SR_ST_SU_SY_EESZ_S10_S11_S12_S16_S17_S18_S1B_S1C_jS1D_jS1E_S1E_jjS1G_bEUljE0_EEESZ_S10_S11_S18_S1C_S1E_T6_T7_T9_mT8_S1G_bDpT10_ENKUlT_T0_E_clISt17integral_constantIbLb0EES1T_IbLb1EEEEDaS1P_S1Q_EUlS1P_E_NS1_11comp_targetILNS1_3genE0ELNS1_11target_archE4294967295ELNS1_3gpuE0ELNS1_3repE0EEENS1_30default_config_static_selectorELNS0_4arch9wavefront6targetE1EEEvS12_, .Lfunc_end250-_ZN7rocprim17ROCPRIM_400000_NS6detail17trampoline_kernelINS0_13select_configILj256ELj13ELNS0_17block_load_methodE3ELS4_3ELS4_3ELNS0_20block_scan_algorithmE0ELj4294967295EEENS1_25partition_config_selectorILNS1_17partition_subalgoE4EjNS0_10empty_typeEbEEZZNS1_14partition_implILS8_4ELb0ES6_15HIP_vector_typeIjLj2EENS0_17counting_iteratorIjlEEPS9_SG_NS0_5tupleIJPjSI_NS0_16reverse_iteratorISI_EEEEENSH_IJSG_SG_SG_EEES9_SI_JZNS1_25segmented_radix_sort_implINS0_14default_configELb1EPKaPaPKlPlN2at6native12_GLOBAL__N_18offset_tEEE10hipError_tPvRmT1_PNSt15iterator_traitsIS12_E10value_typeET2_T3_PNS13_IS18_E10value_typeET4_jRbjT5_S1E_jjP12ihipStream_tbEUljE_ZNSN_ISO_Lb1ESQ_SR_ST_SU_SY_EESZ_S10_S11_S12_S16_S17_S18_S1B_S1C_jS1D_jS1E_S1E_jjS1G_bEUljE0_EEESZ_S10_S11_S18_S1C_S1E_T6_T7_T9_mT8_S1G_bDpT10_ENKUlT_T0_E_clISt17integral_constantIbLb0EES1T_IbLb1EEEEDaS1P_S1Q_EUlS1P_E_NS1_11comp_targetILNS1_3genE0ELNS1_11target_archE4294967295ELNS1_3gpuE0ELNS1_3repE0EEENS1_30default_config_static_selectorELNS0_4arch9wavefront6targetE1EEEvS12_
                                        ; -- End function
	.section	.AMDGPU.csdata,"",@progbits
; Kernel info:
; codeLenInByte = 0
; NumSgprs: 4
; NumVgprs: 0
; NumAgprs: 0
; TotalNumVgprs: 0
; ScratchSize: 0
; MemoryBound: 0
; FloatMode: 240
; IeeeMode: 1
; LDSByteSize: 0 bytes/workgroup (compile time only)
; SGPRBlocks: 0
; VGPRBlocks: 0
; NumSGPRsForWavesPerEU: 4
; NumVGPRsForWavesPerEU: 1
; AccumOffset: 4
; Occupancy: 8
; WaveLimiterHint : 0
; COMPUTE_PGM_RSRC2:SCRATCH_EN: 0
; COMPUTE_PGM_RSRC2:USER_SGPR: 6
; COMPUTE_PGM_RSRC2:TRAP_HANDLER: 0
; COMPUTE_PGM_RSRC2:TGID_X_EN: 1
; COMPUTE_PGM_RSRC2:TGID_Y_EN: 0
; COMPUTE_PGM_RSRC2:TGID_Z_EN: 0
; COMPUTE_PGM_RSRC2:TIDIG_COMP_CNT: 0
; COMPUTE_PGM_RSRC3_GFX90A:ACCUM_OFFSET: 0
; COMPUTE_PGM_RSRC3_GFX90A:TG_SPLIT: 0
	.section	.text._ZN7rocprim17ROCPRIM_400000_NS6detail17trampoline_kernelINS0_13select_configILj256ELj13ELNS0_17block_load_methodE3ELS4_3ELS4_3ELNS0_20block_scan_algorithmE0ELj4294967295EEENS1_25partition_config_selectorILNS1_17partition_subalgoE4EjNS0_10empty_typeEbEEZZNS1_14partition_implILS8_4ELb0ES6_15HIP_vector_typeIjLj2EENS0_17counting_iteratorIjlEEPS9_SG_NS0_5tupleIJPjSI_NS0_16reverse_iteratorISI_EEEEENSH_IJSG_SG_SG_EEES9_SI_JZNS1_25segmented_radix_sort_implINS0_14default_configELb1EPKaPaPKlPlN2at6native12_GLOBAL__N_18offset_tEEE10hipError_tPvRmT1_PNSt15iterator_traitsIS12_E10value_typeET2_T3_PNS13_IS18_E10value_typeET4_jRbjT5_S1E_jjP12ihipStream_tbEUljE_ZNSN_ISO_Lb1ESQ_SR_ST_SU_SY_EESZ_S10_S11_S12_S16_S17_S18_S1B_S1C_jS1D_jS1E_S1E_jjS1G_bEUljE0_EEESZ_S10_S11_S18_S1C_S1E_T6_T7_T9_mT8_S1G_bDpT10_ENKUlT_T0_E_clISt17integral_constantIbLb0EES1T_IbLb1EEEEDaS1P_S1Q_EUlS1P_E_NS1_11comp_targetILNS1_3genE5ELNS1_11target_archE942ELNS1_3gpuE9ELNS1_3repE0EEENS1_30default_config_static_selectorELNS0_4arch9wavefront6targetE1EEEvS12_,"axG",@progbits,_ZN7rocprim17ROCPRIM_400000_NS6detail17trampoline_kernelINS0_13select_configILj256ELj13ELNS0_17block_load_methodE3ELS4_3ELS4_3ELNS0_20block_scan_algorithmE0ELj4294967295EEENS1_25partition_config_selectorILNS1_17partition_subalgoE4EjNS0_10empty_typeEbEEZZNS1_14partition_implILS8_4ELb0ES6_15HIP_vector_typeIjLj2EENS0_17counting_iteratorIjlEEPS9_SG_NS0_5tupleIJPjSI_NS0_16reverse_iteratorISI_EEEEENSH_IJSG_SG_SG_EEES9_SI_JZNS1_25segmented_radix_sort_implINS0_14default_configELb1EPKaPaPKlPlN2at6native12_GLOBAL__N_18offset_tEEE10hipError_tPvRmT1_PNSt15iterator_traitsIS12_E10value_typeET2_T3_PNS13_IS18_E10value_typeET4_jRbjT5_S1E_jjP12ihipStream_tbEUljE_ZNSN_ISO_Lb1ESQ_SR_ST_SU_SY_EESZ_S10_S11_S12_S16_S17_S18_S1B_S1C_jS1D_jS1E_S1E_jjS1G_bEUljE0_EEESZ_S10_S11_S18_S1C_S1E_T6_T7_T9_mT8_S1G_bDpT10_ENKUlT_T0_E_clISt17integral_constantIbLb0EES1T_IbLb1EEEEDaS1P_S1Q_EUlS1P_E_NS1_11comp_targetILNS1_3genE5ELNS1_11target_archE942ELNS1_3gpuE9ELNS1_3repE0EEENS1_30default_config_static_selectorELNS0_4arch9wavefront6targetE1EEEvS12_,comdat
	.globl	_ZN7rocprim17ROCPRIM_400000_NS6detail17trampoline_kernelINS0_13select_configILj256ELj13ELNS0_17block_load_methodE3ELS4_3ELS4_3ELNS0_20block_scan_algorithmE0ELj4294967295EEENS1_25partition_config_selectorILNS1_17partition_subalgoE4EjNS0_10empty_typeEbEEZZNS1_14partition_implILS8_4ELb0ES6_15HIP_vector_typeIjLj2EENS0_17counting_iteratorIjlEEPS9_SG_NS0_5tupleIJPjSI_NS0_16reverse_iteratorISI_EEEEENSH_IJSG_SG_SG_EEES9_SI_JZNS1_25segmented_radix_sort_implINS0_14default_configELb1EPKaPaPKlPlN2at6native12_GLOBAL__N_18offset_tEEE10hipError_tPvRmT1_PNSt15iterator_traitsIS12_E10value_typeET2_T3_PNS13_IS18_E10value_typeET4_jRbjT5_S1E_jjP12ihipStream_tbEUljE_ZNSN_ISO_Lb1ESQ_SR_ST_SU_SY_EESZ_S10_S11_S12_S16_S17_S18_S1B_S1C_jS1D_jS1E_S1E_jjS1G_bEUljE0_EEESZ_S10_S11_S18_S1C_S1E_T6_T7_T9_mT8_S1G_bDpT10_ENKUlT_T0_E_clISt17integral_constantIbLb0EES1T_IbLb1EEEEDaS1P_S1Q_EUlS1P_E_NS1_11comp_targetILNS1_3genE5ELNS1_11target_archE942ELNS1_3gpuE9ELNS1_3repE0EEENS1_30default_config_static_selectorELNS0_4arch9wavefront6targetE1EEEvS12_ ; -- Begin function _ZN7rocprim17ROCPRIM_400000_NS6detail17trampoline_kernelINS0_13select_configILj256ELj13ELNS0_17block_load_methodE3ELS4_3ELS4_3ELNS0_20block_scan_algorithmE0ELj4294967295EEENS1_25partition_config_selectorILNS1_17partition_subalgoE4EjNS0_10empty_typeEbEEZZNS1_14partition_implILS8_4ELb0ES6_15HIP_vector_typeIjLj2EENS0_17counting_iteratorIjlEEPS9_SG_NS0_5tupleIJPjSI_NS0_16reverse_iteratorISI_EEEEENSH_IJSG_SG_SG_EEES9_SI_JZNS1_25segmented_radix_sort_implINS0_14default_configELb1EPKaPaPKlPlN2at6native12_GLOBAL__N_18offset_tEEE10hipError_tPvRmT1_PNSt15iterator_traitsIS12_E10value_typeET2_T3_PNS13_IS18_E10value_typeET4_jRbjT5_S1E_jjP12ihipStream_tbEUljE_ZNSN_ISO_Lb1ESQ_SR_ST_SU_SY_EESZ_S10_S11_S12_S16_S17_S18_S1B_S1C_jS1D_jS1E_S1E_jjS1G_bEUljE0_EEESZ_S10_S11_S18_S1C_S1E_T6_T7_T9_mT8_S1G_bDpT10_ENKUlT_T0_E_clISt17integral_constantIbLb0EES1T_IbLb1EEEEDaS1P_S1Q_EUlS1P_E_NS1_11comp_targetILNS1_3genE5ELNS1_11target_archE942ELNS1_3gpuE9ELNS1_3repE0EEENS1_30default_config_static_selectorELNS0_4arch9wavefront6targetE1EEEvS12_
	.p2align	8
	.type	_ZN7rocprim17ROCPRIM_400000_NS6detail17trampoline_kernelINS0_13select_configILj256ELj13ELNS0_17block_load_methodE3ELS4_3ELS4_3ELNS0_20block_scan_algorithmE0ELj4294967295EEENS1_25partition_config_selectorILNS1_17partition_subalgoE4EjNS0_10empty_typeEbEEZZNS1_14partition_implILS8_4ELb0ES6_15HIP_vector_typeIjLj2EENS0_17counting_iteratorIjlEEPS9_SG_NS0_5tupleIJPjSI_NS0_16reverse_iteratorISI_EEEEENSH_IJSG_SG_SG_EEES9_SI_JZNS1_25segmented_radix_sort_implINS0_14default_configELb1EPKaPaPKlPlN2at6native12_GLOBAL__N_18offset_tEEE10hipError_tPvRmT1_PNSt15iterator_traitsIS12_E10value_typeET2_T3_PNS13_IS18_E10value_typeET4_jRbjT5_S1E_jjP12ihipStream_tbEUljE_ZNSN_ISO_Lb1ESQ_SR_ST_SU_SY_EESZ_S10_S11_S12_S16_S17_S18_S1B_S1C_jS1D_jS1E_S1E_jjS1G_bEUljE0_EEESZ_S10_S11_S18_S1C_S1E_T6_T7_T9_mT8_S1G_bDpT10_ENKUlT_T0_E_clISt17integral_constantIbLb0EES1T_IbLb1EEEEDaS1P_S1Q_EUlS1P_E_NS1_11comp_targetILNS1_3genE5ELNS1_11target_archE942ELNS1_3gpuE9ELNS1_3repE0EEENS1_30default_config_static_selectorELNS0_4arch9wavefront6targetE1EEEvS12_,@function
_ZN7rocprim17ROCPRIM_400000_NS6detail17trampoline_kernelINS0_13select_configILj256ELj13ELNS0_17block_load_methodE3ELS4_3ELS4_3ELNS0_20block_scan_algorithmE0ELj4294967295EEENS1_25partition_config_selectorILNS1_17partition_subalgoE4EjNS0_10empty_typeEbEEZZNS1_14partition_implILS8_4ELb0ES6_15HIP_vector_typeIjLj2EENS0_17counting_iteratorIjlEEPS9_SG_NS0_5tupleIJPjSI_NS0_16reverse_iteratorISI_EEEEENSH_IJSG_SG_SG_EEES9_SI_JZNS1_25segmented_radix_sort_implINS0_14default_configELb1EPKaPaPKlPlN2at6native12_GLOBAL__N_18offset_tEEE10hipError_tPvRmT1_PNSt15iterator_traitsIS12_E10value_typeET2_T3_PNS13_IS18_E10value_typeET4_jRbjT5_S1E_jjP12ihipStream_tbEUljE_ZNSN_ISO_Lb1ESQ_SR_ST_SU_SY_EESZ_S10_S11_S12_S16_S17_S18_S1B_S1C_jS1D_jS1E_S1E_jjS1G_bEUljE0_EEESZ_S10_S11_S18_S1C_S1E_T6_T7_T9_mT8_S1G_bDpT10_ENKUlT_T0_E_clISt17integral_constantIbLb0EES1T_IbLb1EEEEDaS1P_S1Q_EUlS1P_E_NS1_11comp_targetILNS1_3genE5ELNS1_11target_archE942ELNS1_3gpuE9ELNS1_3repE0EEENS1_30default_config_static_selectorELNS0_4arch9wavefront6targetE1EEEvS12_: ; @_ZN7rocprim17ROCPRIM_400000_NS6detail17trampoline_kernelINS0_13select_configILj256ELj13ELNS0_17block_load_methodE3ELS4_3ELS4_3ELNS0_20block_scan_algorithmE0ELj4294967295EEENS1_25partition_config_selectorILNS1_17partition_subalgoE4EjNS0_10empty_typeEbEEZZNS1_14partition_implILS8_4ELb0ES6_15HIP_vector_typeIjLj2EENS0_17counting_iteratorIjlEEPS9_SG_NS0_5tupleIJPjSI_NS0_16reverse_iteratorISI_EEEEENSH_IJSG_SG_SG_EEES9_SI_JZNS1_25segmented_radix_sort_implINS0_14default_configELb1EPKaPaPKlPlN2at6native12_GLOBAL__N_18offset_tEEE10hipError_tPvRmT1_PNSt15iterator_traitsIS12_E10value_typeET2_T3_PNS13_IS18_E10value_typeET4_jRbjT5_S1E_jjP12ihipStream_tbEUljE_ZNSN_ISO_Lb1ESQ_SR_ST_SU_SY_EESZ_S10_S11_S12_S16_S17_S18_S1B_S1C_jS1D_jS1E_S1E_jjS1G_bEUljE0_EEESZ_S10_S11_S18_S1C_S1E_T6_T7_T9_mT8_S1G_bDpT10_ENKUlT_T0_E_clISt17integral_constantIbLb0EES1T_IbLb1EEEEDaS1P_S1Q_EUlS1P_E_NS1_11comp_targetILNS1_3genE5ELNS1_11target_archE942ELNS1_3gpuE9ELNS1_3repE0EEENS1_30default_config_static_selectorELNS0_4arch9wavefront6targetE1EEEvS12_
; %bb.0:
	.section	.rodata,"a",@progbits
	.p2align	6, 0x0
	.amdhsa_kernel _ZN7rocprim17ROCPRIM_400000_NS6detail17trampoline_kernelINS0_13select_configILj256ELj13ELNS0_17block_load_methodE3ELS4_3ELS4_3ELNS0_20block_scan_algorithmE0ELj4294967295EEENS1_25partition_config_selectorILNS1_17partition_subalgoE4EjNS0_10empty_typeEbEEZZNS1_14partition_implILS8_4ELb0ES6_15HIP_vector_typeIjLj2EENS0_17counting_iteratorIjlEEPS9_SG_NS0_5tupleIJPjSI_NS0_16reverse_iteratorISI_EEEEENSH_IJSG_SG_SG_EEES9_SI_JZNS1_25segmented_radix_sort_implINS0_14default_configELb1EPKaPaPKlPlN2at6native12_GLOBAL__N_18offset_tEEE10hipError_tPvRmT1_PNSt15iterator_traitsIS12_E10value_typeET2_T3_PNS13_IS18_E10value_typeET4_jRbjT5_S1E_jjP12ihipStream_tbEUljE_ZNSN_ISO_Lb1ESQ_SR_ST_SU_SY_EESZ_S10_S11_S12_S16_S17_S18_S1B_S1C_jS1D_jS1E_S1E_jjS1G_bEUljE0_EEESZ_S10_S11_S18_S1C_S1E_T6_T7_T9_mT8_S1G_bDpT10_ENKUlT_T0_E_clISt17integral_constantIbLb0EES1T_IbLb1EEEEDaS1P_S1Q_EUlS1P_E_NS1_11comp_targetILNS1_3genE5ELNS1_11target_archE942ELNS1_3gpuE9ELNS1_3repE0EEENS1_30default_config_static_selectorELNS0_4arch9wavefront6targetE1EEEvS12_
		.amdhsa_group_segment_fixed_size 0
		.amdhsa_private_segment_fixed_size 0
		.amdhsa_kernarg_size 184
		.amdhsa_user_sgpr_count 6
		.amdhsa_user_sgpr_private_segment_buffer 1
		.amdhsa_user_sgpr_dispatch_ptr 0
		.amdhsa_user_sgpr_queue_ptr 0
		.amdhsa_user_sgpr_kernarg_segment_ptr 1
		.amdhsa_user_sgpr_dispatch_id 0
		.amdhsa_user_sgpr_flat_scratch_init 0
		.amdhsa_user_sgpr_kernarg_preload_length 0
		.amdhsa_user_sgpr_kernarg_preload_offset 0
		.amdhsa_user_sgpr_private_segment_size 0
		.amdhsa_uses_dynamic_stack 0
		.amdhsa_system_sgpr_private_segment_wavefront_offset 0
		.amdhsa_system_sgpr_workgroup_id_x 1
		.amdhsa_system_sgpr_workgroup_id_y 0
		.amdhsa_system_sgpr_workgroup_id_z 0
		.amdhsa_system_sgpr_workgroup_info 0
		.amdhsa_system_vgpr_workitem_id 0
		.amdhsa_next_free_vgpr 1
		.amdhsa_next_free_sgpr 0
		.amdhsa_accum_offset 4
		.amdhsa_reserve_vcc 0
		.amdhsa_reserve_flat_scratch 0
		.amdhsa_float_round_mode_32 0
		.amdhsa_float_round_mode_16_64 0
		.amdhsa_float_denorm_mode_32 3
		.amdhsa_float_denorm_mode_16_64 3
		.amdhsa_dx10_clamp 1
		.amdhsa_ieee_mode 1
		.amdhsa_fp16_overflow 0
		.amdhsa_tg_split 0
		.amdhsa_exception_fp_ieee_invalid_op 0
		.amdhsa_exception_fp_denorm_src 0
		.amdhsa_exception_fp_ieee_div_zero 0
		.amdhsa_exception_fp_ieee_overflow 0
		.amdhsa_exception_fp_ieee_underflow 0
		.amdhsa_exception_fp_ieee_inexact 0
		.amdhsa_exception_int_div_zero 0
	.end_amdhsa_kernel
	.section	.text._ZN7rocprim17ROCPRIM_400000_NS6detail17trampoline_kernelINS0_13select_configILj256ELj13ELNS0_17block_load_methodE3ELS4_3ELS4_3ELNS0_20block_scan_algorithmE0ELj4294967295EEENS1_25partition_config_selectorILNS1_17partition_subalgoE4EjNS0_10empty_typeEbEEZZNS1_14partition_implILS8_4ELb0ES6_15HIP_vector_typeIjLj2EENS0_17counting_iteratorIjlEEPS9_SG_NS0_5tupleIJPjSI_NS0_16reverse_iteratorISI_EEEEENSH_IJSG_SG_SG_EEES9_SI_JZNS1_25segmented_radix_sort_implINS0_14default_configELb1EPKaPaPKlPlN2at6native12_GLOBAL__N_18offset_tEEE10hipError_tPvRmT1_PNSt15iterator_traitsIS12_E10value_typeET2_T3_PNS13_IS18_E10value_typeET4_jRbjT5_S1E_jjP12ihipStream_tbEUljE_ZNSN_ISO_Lb1ESQ_SR_ST_SU_SY_EESZ_S10_S11_S12_S16_S17_S18_S1B_S1C_jS1D_jS1E_S1E_jjS1G_bEUljE0_EEESZ_S10_S11_S18_S1C_S1E_T6_T7_T9_mT8_S1G_bDpT10_ENKUlT_T0_E_clISt17integral_constantIbLb0EES1T_IbLb1EEEEDaS1P_S1Q_EUlS1P_E_NS1_11comp_targetILNS1_3genE5ELNS1_11target_archE942ELNS1_3gpuE9ELNS1_3repE0EEENS1_30default_config_static_selectorELNS0_4arch9wavefront6targetE1EEEvS12_,"axG",@progbits,_ZN7rocprim17ROCPRIM_400000_NS6detail17trampoline_kernelINS0_13select_configILj256ELj13ELNS0_17block_load_methodE3ELS4_3ELS4_3ELNS0_20block_scan_algorithmE0ELj4294967295EEENS1_25partition_config_selectorILNS1_17partition_subalgoE4EjNS0_10empty_typeEbEEZZNS1_14partition_implILS8_4ELb0ES6_15HIP_vector_typeIjLj2EENS0_17counting_iteratorIjlEEPS9_SG_NS0_5tupleIJPjSI_NS0_16reverse_iteratorISI_EEEEENSH_IJSG_SG_SG_EEES9_SI_JZNS1_25segmented_radix_sort_implINS0_14default_configELb1EPKaPaPKlPlN2at6native12_GLOBAL__N_18offset_tEEE10hipError_tPvRmT1_PNSt15iterator_traitsIS12_E10value_typeET2_T3_PNS13_IS18_E10value_typeET4_jRbjT5_S1E_jjP12ihipStream_tbEUljE_ZNSN_ISO_Lb1ESQ_SR_ST_SU_SY_EESZ_S10_S11_S12_S16_S17_S18_S1B_S1C_jS1D_jS1E_S1E_jjS1G_bEUljE0_EEESZ_S10_S11_S18_S1C_S1E_T6_T7_T9_mT8_S1G_bDpT10_ENKUlT_T0_E_clISt17integral_constantIbLb0EES1T_IbLb1EEEEDaS1P_S1Q_EUlS1P_E_NS1_11comp_targetILNS1_3genE5ELNS1_11target_archE942ELNS1_3gpuE9ELNS1_3repE0EEENS1_30default_config_static_selectorELNS0_4arch9wavefront6targetE1EEEvS12_,comdat
.Lfunc_end251:
	.size	_ZN7rocprim17ROCPRIM_400000_NS6detail17trampoline_kernelINS0_13select_configILj256ELj13ELNS0_17block_load_methodE3ELS4_3ELS4_3ELNS0_20block_scan_algorithmE0ELj4294967295EEENS1_25partition_config_selectorILNS1_17partition_subalgoE4EjNS0_10empty_typeEbEEZZNS1_14partition_implILS8_4ELb0ES6_15HIP_vector_typeIjLj2EENS0_17counting_iteratorIjlEEPS9_SG_NS0_5tupleIJPjSI_NS0_16reverse_iteratorISI_EEEEENSH_IJSG_SG_SG_EEES9_SI_JZNS1_25segmented_radix_sort_implINS0_14default_configELb1EPKaPaPKlPlN2at6native12_GLOBAL__N_18offset_tEEE10hipError_tPvRmT1_PNSt15iterator_traitsIS12_E10value_typeET2_T3_PNS13_IS18_E10value_typeET4_jRbjT5_S1E_jjP12ihipStream_tbEUljE_ZNSN_ISO_Lb1ESQ_SR_ST_SU_SY_EESZ_S10_S11_S12_S16_S17_S18_S1B_S1C_jS1D_jS1E_S1E_jjS1G_bEUljE0_EEESZ_S10_S11_S18_S1C_S1E_T6_T7_T9_mT8_S1G_bDpT10_ENKUlT_T0_E_clISt17integral_constantIbLb0EES1T_IbLb1EEEEDaS1P_S1Q_EUlS1P_E_NS1_11comp_targetILNS1_3genE5ELNS1_11target_archE942ELNS1_3gpuE9ELNS1_3repE0EEENS1_30default_config_static_selectorELNS0_4arch9wavefront6targetE1EEEvS12_, .Lfunc_end251-_ZN7rocprim17ROCPRIM_400000_NS6detail17trampoline_kernelINS0_13select_configILj256ELj13ELNS0_17block_load_methodE3ELS4_3ELS4_3ELNS0_20block_scan_algorithmE0ELj4294967295EEENS1_25partition_config_selectorILNS1_17partition_subalgoE4EjNS0_10empty_typeEbEEZZNS1_14partition_implILS8_4ELb0ES6_15HIP_vector_typeIjLj2EENS0_17counting_iteratorIjlEEPS9_SG_NS0_5tupleIJPjSI_NS0_16reverse_iteratorISI_EEEEENSH_IJSG_SG_SG_EEES9_SI_JZNS1_25segmented_radix_sort_implINS0_14default_configELb1EPKaPaPKlPlN2at6native12_GLOBAL__N_18offset_tEEE10hipError_tPvRmT1_PNSt15iterator_traitsIS12_E10value_typeET2_T3_PNS13_IS18_E10value_typeET4_jRbjT5_S1E_jjP12ihipStream_tbEUljE_ZNSN_ISO_Lb1ESQ_SR_ST_SU_SY_EESZ_S10_S11_S12_S16_S17_S18_S1B_S1C_jS1D_jS1E_S1E_jjS1G_bEUljE0_EEESZ_S10_S11_S18_S1C_S1E_T6_T7_T9_mT8_S1G_bDpT10_ENKUlT_T0_E_clISt17integral_constantIbLb0EES1T_IbLb1EEEEDaS1P_S1Q_EUlS1P_E_NS1_11comp_targetILNS1_3genE5ELNS1_11target_archE942ELNS1_3gpuE9ELNS1_3repE0EEENS1_30default_config_static_selectorELNS0_4arch9wavefront6targetE1EEEvS12_
                                        ; -- End function
	.section	.AMDGPU.csdata,"",@progbits
; Kernel info:
; codeLenInByte = 0
; NumSgprs: 4
; NumVgprs: 0
; NumAgprs: 0
; TotalNumVgprs: 0
; ScratchSize: 0
; MemoryBound: 0
; FloatMode: 240
; IeeeMode: 1
; LDSByteSize: 0 bytes/workgroup (compile time only)
; SGPRBlocks: 0
; VGPRBlocks: 0
; NumSGPRsForWavesPerEU: 4
; NumVGPRsForWavesPerEU: 1
; AccumOffset: 4
; Occupancy: 8
; WaveLimiterHint : 0
; COMPUTE_PGM_RSRC2:SCRATCH_EN: 0
; COMPUTE_PGM_RSRC2:USER_SGPR: 6
; COMPUTE_PGM_RSRC2:TRAP_HANDLER: 0
; COMPUTE_PGM_RSRC2:TGID_X_EN: 1
; COMPUTE_PGM_RSRC2:TGID_Y_EN: 0
; COMPUTE_PGM_RSRC2:TGID_Z_EN: 0
; COMPUTE_PGM_RSRC2:TIDIG_COMP_CNT: 0
; COMPUTE_PGM_RSRC3_GFX90A:ACCUM_OFFSET: 0
; COMPUTE_PGM_RSRC3_GFX90A:TG_SPLIT: 0
	.section	.text._ZN7rocprim17ROCPRIM_400000_NS6detail17trampoline_kernelINS0_13select_configILj256ELj13ELNS0_17block_load_methodE3ELS4_3ELS4_3ELNS0_20block_scan_algorithmE0ELj4294967295EEENS1_25partition_config_selectorILNS1_17partition_subalgoE4EjNS0_10empty_typeEbEEZZNS1_14partition_implILS8_4ELb0ES6_15HIP_vector_typeIjLj2EENS0_17counting_iteratorIjlEEPS9_SG_NS0_5tupleIJPjSI_NS0_16reverse_iteratorISI_EEEEENSH_IJSG_SG_SG_EEES9_SI_JZNS1_25segmented_radix_sort_implINS0_14default_configELb1EPKaPaPKlPlN2at6native12_GLOBAL__N_18offset_tEEE10hipError_tPvRmT1_PNSt15iterator_traitsIS12_E10value_typeET2_T3_PNS13_IS18_E10value_typeET4_jRbjT5_S1E_jjP12ihipStream_tbEUljE_ZNSN_ISO_Lb1ESQ_SR_ST_SU_SY_EESZ_S10_S11_S12_S16_S17_S18_S1B_S1C_jS1D_jS1E_S1E_jjS1G_bEUljE0_EEESZ_S10_S11_S18_S1C_S1E_T6_T7_T9_mT8_S1G_bDpT10_ENKUlT_T0_E_clISt17integral_constantIbLb0EES1T_IbLb1EEEEDaS1P_S1Q_EUlS1P_E_NS1_11comp_targetILNS1_3genE4ELNS1_11target_archE910ELNS1_3gpuE8ELNS1_3repE0EEENS1_30default_config_static_selectorELNS0_4arch9wavefront6targetE1EEEvS12_,"axG",@progbits,_ZN7rocprim17ROCPRIM_400000_NS6detail17trampoline_kernelINS0_13select_configILj256ELj13ELNS0_17block_load_methodE3ELS4_3ELS4_3ELNS0_20block_scan_algorithmE0ELj4294967295EEENS1_25partition_config_selectorILNS1_17partition_subalgoE4EjNS0_10empty_typeEbEEZZNS1_14partition_implILS8_4ELb0ES6_15HIP_vector_typeIjLj2EENS0_17counting_iteratorIjlEEPS9_SG_NS0_5tupleIJPjSI_NS0_16reverse_iteratorISI_EEEEENSH_IJSG_SG_SG_EEES9_SI_JZNS1_25segmented_radix_sort_implINS0_14default_configELb1EPKaPaPKlPlN2at6native12_GLOBAL__N_18offset_tEEE10hipError_tPvRmT1_PNSt15iterator_traitsIS12_E10value_typeET2_T3_PNS13_IS18_E10value_typeET4_jRbjT5_S1E_jjP12ihipStream_tbEUljE_ZNSN_ISO_Lb1ESQ_SR_ST_SU_SY_EESZ_S10_S11_S12_S16_S17_S18_S1B_S1C_jS1D_jS1E_S1E_jjS1G_bEUljE0_EEESZ_S10_S11_S18_S1C_S1E_T6_T7_T9_mT8_S1G_bDpT10_ENKUlT_T0_E_clISt17integral_constantIbLb0EES1T_IbLb1EEEEDaS1P_S1Q_EUlS1P_E_NS1_11comp_targetILNS1_3genE4ELNS1_11target_archE910ELNS1_3gpuE8ELNS1_3repE0EEENS1_30default_config_static_selectorELNS0_4arch9wavefront6targetE1EEEvS12_,comdat
	.globl	_ZN7rocprim17ROCPRIM_400000_NS6detail17trampoline_kernelINS0_13select_configILj256ELj13ELNS0_17block_load_methodE3ELS4_3ELS4_3ELNS0_20block_scan_algorithmE0ELj4294967295EEENS1_25partition_config_selectorILNS1_17partition_subalgoE4EjNS0_10empty_typeEbEEZZNS1_14partition_implILS8_4ELb0ES6_15HIP_vector_typeIjLj2EENS0_17counting_iteratorIjlEEPS9_SG_NS0_5tupleIJPjSI_NS0_16reverse_iteratorISI_EEEEENSH_IJSG_SG_SG_EEES9_SI_JZNS1_25segmented_radix_sort_implINS0_14default_configELb1EPKaPaPKlPlN2at6native12_GLOBAL__N_18offset_tEEE10hipError_tPvRmT1_PNSt15iterator_traitsIS12_E10value_typeET2_T3_PNS13_IS18_E10value_typeET4_jRbjT5_S1E_jjP12ihipStream_tbEUljE_ZNSN_ISO_Lb1ESQ_SR_ST_SU_SY_EESZ_S10_S11_S12_S16_S17_S18_S1B_S1C_jS1D_jS1E_S1E_jjS1G_bEUljE0_EEESZ_S10_S11_S18_S1C_S1E_T6_T7_T9_mT8_S1G_bDpT10_ENKUlT_T0_E_clISt17integral_constantIbLb0EES1T_IbLb1EEEEDaS1P_S1Q_EUlS1P_E_NS1_11comp_targetILNS1_3genE4ELNS1_11target_archE910ELNS1_3gpuE8ELNS1_3repE0EEENS1_30default_config_static_selectorELNS0_4arch9wavefront6targetE1EEEvS12_ ; -- Begin function _ZN7rocprim17ROCPRIM_400000_NS6detail17trampoline_kernelINS0_13select_configILj256ELj13ELNS0_17block_load_methodE3ELS4_3ELS4_3ELNS0_20block_scan_algorithmE0ELj4294967295EEENS1_25partition_config_selectorILNS1_17partition_subalgoE4EjNS0_10empty_typeEbEEZZNS1_14partition_implILS8_4ELb0ES6_15HIP_vector_typeIjLj2EENS0_17counting_iteratorIjlEEPS9_SG_NS0_5tupleIJPjSI_NS0_16reverse_iteratorISI_EEEEENSH_IJSG_SG_SG_EEES9_SI_JZNS1_25segmented_radix_sort_implINS0_14default_configELb1EPKaPaPKlPlN2at6native12_GLOBAL__N_18offset_tEEE10hipError_tPvRmT1_PNSt15iterator_traitsIS12_E10value_typeET2_T3_PNS13_IS18_E10value_typeET4_jRbjT5_S1E_jjP12ihipStream_tbEUljE_ZNSN_ISO_Lb1ESQ_SR_ST_SU_SY_EESZ_S10_S11_S12_S16_S17_S18_S1B_S1C_jS1D_jS1E_S1E_jjS1G_bEUljE0_EEESZ_S10_S11_S18_S1C_S1E_T6_T7_T9_mT8_S1G_bDpT10_ENKUlT_T0_E_clISt17integral_constantIbLb0EES1T_IbLb1EEEEDaS1P_S1Q_EUlS1P_E_NS1_11comp_targetILNS1_3genE4ELNS1_11target_archE910ELNS1_3gpuE8ELNS1_3repE0EEENS1_30default_config_static_selectorELNS0_4arch9wavefront6targetE1EEEvS12_
	.p2align	8
	.type	_ZN7rocprim17ROCPRIM_400000_NS6detail17trampoline_kernelINS0_13select_configILj256ELj13ELNS0_17block_load_methodE3ELS4_3ELS4_3ELNS0_20block_scan_algorithmE0ELj4294967295EEENS1_25partition_config_selectorILNS1_17partition_subalgoE4EjNS0_10empty_typeEbEEZZNS1_14partition_implILS8_4ELb0ES6_15HIP_vector_typeIjLj2EENS0_17counting_iteratorIjlEEPS9_SG_NS0_5tupleIJPjSI_NS0_16reverse_iteratorISI_EEEEENSH_IJSG_SG_SG_EEES9_SI_JZNS1_25segmented_radix_sort_implINS0_14default_configELb1EPKaPaPKlPlN2at6native12_GLOBAL__N_18offset_tEEE10hipError_tPvRmT1_PNSt15iterator_traitsIS12_E10value_typeET2_T3_PNS13_IS18_E10value_typeET4_jRbjT5_S1E_jjP12ihipStream_tbEUljE_ZNSN_ISO_Lb1ESQ_SR_ST_SU_SY_EESZ_S10_S11_S12_S16_S17_S18_S1B_S1C_jS1D_jS1E_S1E_jjS1G_bEUljE0_EEESZ_S10_S11_S18_S1C_S1E_T6_T7_T9_mT8_S1G_bDpT10_ENKUlT_T0_E_clISt17integral_constantIbLb0EES1T_IbLb1EEEEDaS1P_S1Q_EUlS1P_E_NS1_11comp_targetILNS1_3genE4ELNS1_11target_archE910ELNS1_3gpuE8ELNS1_3repE0EEENS1_30default_config_static_selectorELNS0_4arch9wavefront6targetE1EEEvS12_,@function
_ZN7rocprim17ROCPRIM_400000_NS6detail17trampoline_kernelINS0_13select_configILj256ELj13ELNS0_17block_load_methodE3ELS4_3ELS4_3ELNS0_20block_scan_algorithmE0ELj4294967295EEENS1_25partition_config_selectorILNS1_17partition_subalgoE4EjNS0_10empty_typeEbEEZZNS1_14partition_implILS8_4ELb0ES6_15HIP_vector_typeIjLj2EENS0_17counting_iteratorIjlEEPS9_SG_NS0_5tupleIJPjSI_NS0_16reverse_iteratorISI_EEEEENSH_IJSG_SG_SG_EEES9_SI_JZNS1_25segmented_radix_sort_implINS0_14default_configELb1EPKaPaPKlPlN2at6native12_GLOBAL__N_18offset_tEEE10hipError_tPvRmT1_PNSt15iterator_traitsIS12_E10value_typeET2_T3_PNS13_IS18_E10value_typeET4_jRbjT5_S1E_jjP12ihipStream_tbEUljE_ZNSN_ISO_Lb1ESQ_SR_ST_SU_SY_EESZ_S10_S11_S12_S16_S17_S18_S1B_S1C_jS1D_jS1E_S1E_jjS1G_bEUljE0_EEESZ_S10_S11_S18_S1C_S1E_T6_T7_T9_mT8_S1G_bDpT10_ENKUlT_T0_E_clISt17integral_constantIbLb0EES1T_IbLb1EEEEDaS1P_S1Q_EUlS1P_E_NS1_11comp_targetILNS1_3genE4ELNS1_11target_archE910ELNS1_3gpuE8ELNS1_3repE0EEENS1_30default_config_static_selectorELNS0_4arch9wavefront6targetE1EEEvS12_: ; @_ZN7rocprim17ROCPRIM_400000_NS6detail17trampoline_kernelINS0_13select_configILj256ELj13ELNS0_17block_load_methodE3ELS4_3ELS4_3ELNS0_20block_scan_algorithmE0ELj4294967295EEENS1_25partition_config_selectorILNS1_17partition_subalgoE4EjNS0_10empty_typeEbEEZZNS1_14partition_implILS8_4ELb0ES6_15HIP_vector_typeIjLj2EENS0_17counting_iteratorIjlEEPS9_SG_NS0_5tupleIJPjSI_NS0_16reverse_iteratorISI_EEEEENSH_IJSG_SG_SG_EEES9_SI_JZNS1_25segmented_radix_sort_implINS0_14default_configELb1EPKaPaPKlPlN2at6native12_GLOBAL__N_18offset_tEEE10hipError_tPvRmT1_PNSt15iterator_traitsIS12_E10value_typeET2_T3_PNS13_IS18_E10value_typeET4_jRbjT5_S1E_jjP12ihipStream_tbEUljE_ZNSN_ISO_Lb1ESQ_SR_ST_SU_SY_EESZ_S10_S11_S12_S16_S17_S18_S1B_S1C_jS1D_jS1E_S1E_jjS1G_bEUljE0_EEESZ_S10_S11_S18_S1C_S1E_T6_T7_T9_mT8_S1G_bDpT10_ENKUlT_T0_E_clISt17integral_constantIbLb0EES1T_IbLb1EEEEDaS1P_S1Q_EUlS1P_E_NS1_11comp_targetILNS1_3genE4ELNS1_11target_archE910ELNS1_3gpuE8ELNS1_3repE0EEENS1_30default_config_static_selectorELNS0_4arch9wavefront6targetE1EEEvS12_
; %bb.0:
	s_load_dwordx2 s[48:49], s[4:5], 0x10
	s_load_dwordx4 s[44:47], s[4:5], 0x28
	s_load_dwordx2 s[34:35], s[4:5], 0x38
	s_load_dwordx4 s[28:31], s[4:5], 0x58
	s_load_dwordx2 s[2:3], s[4:5], 0x68
	s_load_dwordx2 s[50:51], s[4:5], 0x78
	;; [unrolled: 1-line block ×3, first 2 shown]
	s_load_dwordx8 s[36:43], s[4:5], 0x90
	v_cmp_eq_u32_e64 s[0:1], 0, v0
	s_and_saveexec_b64 s[6:7], s[0:1]
	s_cbranch_execz .LBB252_4
; %bb.1:
	s_mov_b64 s[10:11], exec
	v_mbcnt_lo_u32_b32 v1, s10, 0
	v_mbcnt_hi_u32_b32 v1, s11, v1
	v_cmp_eq_u32_e32 vcc, 0, v1
                                        ; implicit-def: $vgpr2
	s_and_saveexec_b64 s[8:9], vcc
	s_cbranch_execz .LBB252_3
; %bb.2:
	s_load_dwordx2 s[12:13], s[4:5], 0x88
	s_bcnt1_i32_b64 s10, s[10:11]
	v_mov_b32_e32 v2, 0
	v_mov_b32_e32 v3, s10
	s_waitcnt lgkmcnt(0)
	global_atomic_add v2, v2, v3, s[12:13] glc
.LBB252_3:
	s_or_b64 exec, exec, s[8:9]
	s_waitcnt vmcnt(0)
	v_readfirstlane_b32 s8, v2
	v_add_u32_e32 v1, s8, v1
	v_mov_b32_e32 v2, 0
	ds_write_b32 v2, v1
.LBB252_4:
	s_or_b64 exec, exec, s[6:7]
	v_mov_b32_e32 v1, 0
	s_load_dword s7, s[4:5], 0x8
	s_load_dword s6, s[4:5], 0x80
	s_waitcnt lgkmcnt(0)
	s_barrier
	ds_read_b32 v8, v1
	s_waitcnt lgkmcnt(0)
	s_barrier
	global_load_dwordx4 v[2:5], v1, s[30:31]
	v_mov_b32_e32 v7, s3
	s_movk_i32 s3, 0xd00
	s_add_i32 s8, s7, s48
	v_mul_lo_u32 v34, v8, s3
	s_add_i32 s7, s6, -1
	s_mul_i32 s3, s6, 0xd00
	s_add_u32 s4, s48, s3
	v_readfirstlane_b32 s33, v8
	s_addc_u32 s5, s49, 0
	s_cmp_eq_u32 s33, s7
	v_mov_b32_e32 v6, s2
	s_cselect_b64 s[30:31], -1, 0
	s_cmp_lg_u32 s33, s7
	v_cmp_lt_u64_e32 vcc, s[4:5], v[6:7]
	s_cselect_b64 s[4:5], -1, 0
	s_or_b64 s[4:5], vcc, s[4:5]
	v_add_u32_e32 v1, s8, v34
	s_mov_b64 s[6:7], -1
	s_and_b64 vcc, exec, s[4:5]
	v_add_u32_e32 v1, v1, v0
	s_cbranch_vccz .LBB252_6
; %bb.5:
	v_add_u32_e32 v6, 0x100, v1
	v_lshlrev_b32_e32 v18, 2, v0
	v_add_u32_e32 v7, 0x200, v1
	v_add_u32_e32 v8, 0x300, v1
	;; [unrolled: 1-line block ×11, first 2 shown]
	ds_write2st64_b32 v18, v1, v6 offset1:4
	ds_write2st64_b32 v18, v7, v8 offset0:8 offset1:12
	ds_write2st64_b32 v18, v9, v10 offset0:16 offset1:20
	ds_write2st64_b32 v18, v11, v12 offset0:24 offset1:28
	ds_write2st64_b32 v18, v13, v14 offset0:32 offset1:36
	ds_write2st64_b32 v18, v15, v16 offset0:40 offset1:44
	ds_write_b32 v18, v17 offset:12288
	s_waitcnt lgkmcnt(0)
	s_barrier
	s_mov_b64 s[6:7], 0
.LBB252_6:
	s_andn2_b64 vcc, exec, s[6:7]
	s_add_i32 s3, s3, s48
	s_cbranch_vccnz .LBB252_8
; %bb.7:
	v_add_u32_e32 v6, 0x100, v1
	v_lshlrev_b32_e32 v18, 2, v0
	v_add_u32_e32 v7, 0x200, v1
	v_add_u32_e32 v8, 0x300, v1
	;; [unrolled: 1-line block ×11, first 2 shown]
	ds_write2st64_b32 v18, v1, v6 offset1:4
	ds_write2st64_b32 v18, v7, v8 offset0:8 offset1:12
	ds_write2st64_b32 v18, v9, v10 offset0:16 offset1:20
	;; [unrolled: 1-line block ×5, first 2 shown]
	ds_write_b32 v18, v17 offset:12288
	s_waitcnt lgkmcnt(0)
	s_barrier
.LBB252_8:
	v_mul_u32_u24_e32 v36, 13, v0
	v_lshlrev_b32_e32 v1, 2, v36
	ds_read2_b32 v[22:23], v1 offset1:1
	ds_read2_b32 v[20:21], v1 offset0:2 offset1:3
	ds_read2_b32 v[18:19], v1 offset0:4 offset1:5
	;; [unrolled: 1-line block ×5, first 2 shown]
	ds_read_b32 v35, v1 offset:48
	v_cndmask_b32_e64 v1, 0, 1, s[4:5]
	s_sub_i32 s86, s2, s3
	v_cmp_ne_u32_e64 s[2:3], 1, v1
	s_andn2_b64 vcc, exec, s[4:5]
	s_waitcnt lgkmcnt(0)
	s_barrier
	s_cbranch_vccnz .LBB252_36
; %bb.9:
	v_add_u32_e32 v1, s37, v22
	v_add_u32_e32 v6, s39, v22
	v_mul_lo_u32 v1, v1, s36
	v_mul_lo_u32 v6, v6, s38
	v_sub_u32_e32 v1, v1, v6
	v_cmp_lt_u32_e32 vcc, s40, v1
	v_cmp_ge_u32_e64 s[4:5], s40, v1
	s_mov_b64 s[60:61], 0
	s_mov_b64 s[58:59], 0
	s_and_saveexec_b64 s[6:7], s[4:5]
; %bb.10:
	v_add_u32_e32 v1, s42, v22
	v_add_u32_e32 v6, s56, v22
	v_mul_lo_u32 v1, v1, s41
	v_mul_lo_u32 v6, v6, s43
	v_sub_u32_e32 v1, v1, v6
	v_cmp_lt_u32_e64 s[4:5], s57, v1
	s_and_b64 s[58:59], s[4:5], exec
; %bb.11:
	s_or_b64 exec, exec, s[6:7]
	v_add_u32_e32 v1, s37, v23
	v_add_u32_e32 v6, s39, v23
	v_mul_lo_u32 v1, v1, s36
	v_mul_lo_u32 v6, v6, s38
	v_sub_u32_e32 v1, v1, v6
	v_cmp_lt_u32_e64 s[4:5], s40, v1
	v_cmp_ge_u32_e64 s[6:7], s40, v1
	s_and_saveexec_b64 s[8:9], s[6:7]
; %bb.12:
	v_add_u32_e32 v1, s42, v23
	v_add_u32_e32 v6, s56, v23
	v_mul_lo_u32 v1, v1, s41
	v_mul_lo_u32 v6, v6, s43
	v_sub_u32_e32 v1, v1, v6
	v_cmp_lt_u32_e64 s[6:7], s57, v1
	s_and_b64 s[60:61], s[6:7], exec
; %bb.13:
	s_or_b64 exec, exec, s[8:9]
	v_add_u32_e32 v1, s37, v20
	v_add_u32_e32 v6, s39, v20
	v_mul_lo_u32 v1, v1, s36
	v_mul_lo_u32 v6, v6, s38
	v_sub_u32_e32 v1, v1, v6
	v_cmp_lt_u32_e64 s[6:7], s40, v1
	v_cmp_ge_u32_e64 s[8:9], s40, v1
	s_mov_b64 s[64:65], 0
	s_mov_b64 s[62:63], 0
	s_and_saveexec_b64 s[10:11], s[8:9]
; %bb.14:
	v_add_u32_e32 v1, s42, v20
	v_add_u32_e32 v6, s56, v20
	v_mul_lo_u32 v1, v1, s41
	v_mul_lo_u32 v6, v6, s43
	v_sub_u32_e32 v1, v1, v6
	v_cmp_lt_u32_e64 s[8:9], s57, v1
	s_and_b64 s[62:63], s[8:9], exec
; %bb.15:
	s_or_b64 exec, exec, s[10:11]
	v_add_u32_e32 v1, s37, v21
	v_add_u32_e32 v6, s39, v21
	v_mul_lo_u32 v1, v1, s36
	v_mul_lo_u32 v6, v6, s38
	v_sub_u32_e32 v1, v1, v6
	v_cmp_lt_u32_e64 s[8:9], s40, v1
	v_cmp_ge_u32_e64 s[10:11], s40, v1
	s_and_saveexec_b64 s[12:13], s[10:11]
; %bb.16:
	v_add_u32_e32 v1, s42, v21
	v_add_u32_e32 v6, s56, v21
	v_mul_lo_u32 v1, v1, s41
	v_mul_lo_u32 v6, v6, s43
	v_sub_u32_e32 v1, v1, v6
	v_cmp_lt_u32_e64 s[10:11], s57, v1
	s_and_b64 s[64:65], s[10:11], exec
; %bb.17:
	s_or_b64 exec, exec, s[12:13]
	v_add_u32_e32 v1, s37, v18
	v_add_u32_e32 v6, s39, v18
	v_mul_lo_u32 v1, v1, s36
	v_mul_lo_u32 v6, v6, s38
	v_sub_u32_e32 v1, v1, v6
	v_cmp_lt_u32_e64 s[10:11], s40, v1
	;; [unrolled: 38-line block ×5, first 2 shown]
	v_cmp_ge_u32_e64 s[24:25], s40, v1
	s_mov_b64 s[80:81], 0
	s_mov_b64 s[82:83], 0
	s_and_saveexec_b64 s[26:27], s[24:25]
; %bb.30:
	v_add_u32_e32 v1, s42, v12
	v_add_u32_e32 v6, s56, v12
	v_mul_lo_u32 v1, v1, s41
	v_mul_lo_u32 v6, v6, s43
	v_sub_u32_e32 v1, v1, v6
	v_cmp_lt_u32_e64 s[24:25], s57, v1
	s_and_b64 s[82:83], s[24:25], exec
; %bb.31:
	s_or_b64 exec, exec, s[26:27]
	v_add_u32_e32 v1, s37, v13
	v_add_u32_e32 v6, s39, v13
	v_mul_lo_u32 v1, v1, s36
	v_mul_lo_u32 v6, v6, s38
	v_sub_u32_e32 v1, v1, v6
	v_cmp_lt_u32_e64 s[24:25], s40, v1
	v_cmp_ge_u32_e64 s[26:27], s40, v1
	s_and_saveexec_b64 s[52:53], s[26:27]
; %bb.32:
	v_add_u32_e32 v1, s42, v13
	v_add_u32_e32 v6, s56, v13
	v_mul_lo_u32 v1, v1, s41
	v_mul_lo_u32 v6, v6, s43
	v_sub_u32_e32 v1, v1, v6
	v_cmp_lt_u32_e64 s[26:27], s57, v1
	s_and_b64 s[80:81], s[26:27], exec
; %bb.33:
	s_or_b64 exec, exec, s[52:53]
	v_add_u32_e32 v1, s37, v35
	v_add_u32_e32 v6, s39, v35
	v_mul_lo_u32 v1, v1, s36
	v_mul_lo_u32 v6, v6, s38
	v_sub_u32_e32 v1, v1, v6
	v_cmp_ge_u32_e64 s[26:27], s40, v1
	s_mov_b64 s[52:53], -1
	s_mov_b64 s[74:75], 0
	s_mov_b64 s[54:55], 0
	s_and_saveexec_b64 s[84:85], s[26:27]
; %bb.34:
	v_add_u32_e32 v1, s42, v35
	v_add_u32_e32 v6, s56, v35
	v_mul_lo_u32 v1, v1, s41
	v_mul_lo_u32 v6, v6, s43
	v_sub_u32_e32 v1, v1, v6
	v_cmp_lt_u32_e64 s[26:27], s57, v1
	s_and_b64 s[54:55], s[26:27], exec
	s_xor_b64 s[52:53], exec, -1
; %bb.35:
	s_or_b64 exec, exec, s[84:85]
	v_cndmask_b32_e64 v57, 0, 1, s[82:83]
	v_cndmask_b32_e64 v60, 0, 1, s[24:25]
	;; [unrolled: 1-line block ×22, first 2 shown]
	v_cndmask_b32_e64 v37, 0, 1, vcc
	v_cndmask_b32_e64 v59, 0, 1, s[80:81]
	s_add_i32 s16, s86, 0xd00
	s_and_b64 vcc, exec, s[74:75]
	s_cbranch_vccnz .LBB252_37
	s_branch .LBB252_90
.LBB252_36:
                                        ; implicit-def: $sgpr52_sgpr53
                                        ; implicit-def: $sgpr54_sgpr55
                                        ; implicit-def: $vgpr59
                                        ; implicit-def: $vgpr57
                                        ; implicit-def: $vgpr55
                                        ; implicit-def: $vgpr53
                                        ; implicit-def: $vgpr51
                                        ; implicit-def: $vgpr49
                                        ; implicit-def: $vgpr47
                                        ; implicit-def: $vgpr45
                                        ; implicit-def: $vgpr43
                                        ; implicit-def: $vgpr37
                                        ; implicit-def: $vgpr39
                                        ; implicit-def: $vgpr41
                                        ; implicit-def: $vgpr44
                                        ; implicit-def: $vgpr46
                                        ; implicit-def: $vgpr48
                                        ; implicit-def: $vgpr50
                                        ; implicit-def: $vgpr52
                                        ; implicit-def: $vgpr54
                                        ; implicit-def: $vgpr56
                                        ; implicit-def: $vgpr58
                                        ; implicit-def: $vgpr60
                                        ; implicit-def: $vgpr38
                                        ; implicit-def: $vgpr40
                                        ; implicit-def: $vgpr42
	s_add_i32 s16, s86, 0xd00
	s_cbranch_execz .LBB252_90
.LBB252_37:
	v_cmp_gt_u32_e32 vcc, s16, v36
	v_mov_b32_e32 v38, 0
	v_mov_b32_e32 v37, 0
	s_and_saveexec_b64 s[6:7], vcc
	s_cbranch_execz .LBB252_41
; %bb.38:
	v_add_u32_e32 v1, s37, v22
	v_add_u32_e32 v6, s39, v22
	v_mul_lo_u32 v1, v1, s36
	v_mul_lo_u32 v6, v6, s38
	v_sub_u32_e32 v1, v1, v6
	v_cmp_lt_u32_e32 vcc, s40, v1
	v_cmp_ge_u32_e64 s[4:5], s40, v1
	s_mov_b64 s[10:11], 0
	s_and_saveexec_b64 s[8:9], s[4:5]
; %bb.39:
	v_add_u32_e32 v1, s42, v22
	v_add_u32_e32 v6, s56, v22
	v_mul_lo_u32 v1, v1, s41
	v_mul_lo_u32 v6, v6, s43
	v_sub_u32_e32 v1, v1, v6
	v_cmp_lt_u32_e64 s[4:5], s57, v1
	s_and_b64 s[10:11], s[4:5], exec
; %bb.40:
	s_or_b64 exec, exec, s[8:9]
	v_cndmask_b32_e64 v37, 0, 1, vcc
	v_cndmask_b32_e64 v38, 0, 1, s[10:11]
.LBB252_41:
	s_or_b64 exec, exec, s[6:7]
	v_add_u32_e32 v1, 1, v36
	v_cmp_gt_u32_e32 vcc, s16, v1
	v_mov_b32_e32 v39, 0
	v_mov_b32_e32 v40, 0
	s_and_saveexec_b64 s[6:7], vcc
	s_cbranch_execz .LBB252_45
; %bb.42:
	v_add_u32_e32 v1, s37, v23
	v_add_u32_e32 v6, s39, v23
	v_mul_lo_u32 v1, v1, s36
	v_mul_lo_u32 v6, v6, s38
	v_sub_u32_e32 v1, v1, v6
	v_cmp_lt_u32_e32 vcc, s40, v1
	v_cmp_ge_u32_e64 s[4:5], s40, v1
	s_mov_b64 s[10:11], 0
	s_and_saveexec_b64 s[8:9], s[4:5]
; %bb.43:
	v_add_u32_e32 v1, s42, v23
	v_add_u32_e32 v6, s56, v23
	v_mul_lo_u32 v1, v1, s41
	v_mul_lo_u32 v6, v6, s43
	v_sub_u32_e32 v1, v1, v6
	v_cmp_lt_u32_e64 s[4:5], s57, v1
	s_and_b64 s[10:11], s[4:5], exec
; %bb.44:
	s_or_b64 exec, exec, s[8:9]
	v_cndmask_b32_e64 v39, 0, 1, vcc
	v_cndmask_b32_e64 v40, 0, 1, s[10:11]
.LBB252_45:
	s_or_b64 exec, exec, s[6:7]
	v_add_u32_e32 v1, 2, v36
	;; [unrolled: 30-line block ×12, first 2 shown]
	v_cmp_gt_u32_e32 vcc, s16, v1
	s_mov_b64 s[52:53], 0
	s_mov_b64 s[54:55], 0
	s_and_saveexec_b64 s[4:5], vcc
	s_cbranch_execz .LBB252_89
; %bb.86:
	v_add_u32_e32 v1, s37, v35
	v_add_u32_e32 v6, s39, v35
	v_mul_lo_u32 v1, v1, s36
	v_mul_lo_u32 v6, v6, s38
	v_sub_u32_e32 v1, v1, v6
	v_cmp_ge_u32_e32 vcc, s40, v1
	s_mov_b64 s[8:9], -1
	s_mov_b64 s[10:11], 0
	s_and_saveexec_b64 s[6:7], vcc
; %bb.87:
	v_add_u32_e32 v1, s42, v35
	v_add_u32_e32 v6, s56, v35
	v_mul_lo_u32 v1, v1, s41
	v_mul_lo_u32 v6, v6, s43
	v_sub_u32_e32 v1, v1, v6
	v_cmp_lt_u32_e32 vcc, s57, v1
	s_and_b64 s[10:11], vcc, exec
	s_xor_b64 s[8:9], exec, -1
; %bb.88:
	s_or_b64 exec, exec, s[6:7]
	s_and_b64 s[54:55], s[10:11], exec
	s_and_b64 s[52:53], s[8:9], exec
.LBB252_89:
	s_or_b64 exec, exec, s[4:5]
.LBB252_90:
	v_and_b32_e32 v68, 0xff, v38
	v_and_b32_e32 v79, 0xff, v40
	;; [unrolled: 1-line block ×5, first 2 shown]
	v_add3_u32 v6, v79, v70, v68
	v_and_b32_e32 v81, 0xff, v47
	v_and_b32_e32 v74, 0xff, v49
	v_add3_u32 v6, v6, v80, v72
	v_and_b32_e32 v67, 0xff, v37
	v_and_b32_e32 v61, 0xff, v39
	;; [unrolled: 1-line block ×5, first 2 shown]
	v_add3_u32 v6, v6, v81, v74
	v_and_b32_e32 v62, 0xff, v44
	v_and_b32_e32 v71, 0xff, v46
	;; [unrolled: 1-line block ×4, first 2 shown]
	v_add3_u32 v7, v61, v69, v67
	v_add3_u32 v6, v6, v82, v76
	v_and_b32_e32 v63, 0xff, v48
	v_and_b32_e32 v73, 0xff, v50
	;; [unrolled: 1-line block ×3, first 2 shown]
	v_cndmask_b32_e64 v1, 0, 1, s[54:55]
	v_add3_u32 v7, v7, v62, v71
	v_add3_u32 v6, v6, v83, v78
	v_and_b32_e32 v64, 0xff, v52
	v_and_b32_e32 v75, 0xff, v54
	v_add3_u32 v7, v7, v63, v73
	v_add3_u32 v91, v6, v84, v1
	v_mbcnt_lo_u32_b32 v1, -1, 0
	v_and_b32_e32 v65, 0xff, v56
	v_and_b32_e32 v77, 0xff, v58
	v_add3_u32 v7, v7, v64, v75
	v_mbcnt_hi_u32_b32 v85, -1, v1
	v_and_b32_e32 v66, 0xff, v60
	v_add3_u32 v7, v7, v65, v77
	v_cndmask_b32_e64 v8, 0, 1, s[52:53]
	v_and_b32_e32 v89, 15, v85
	s_cmp_lg_u32 s33, 0
	v_add3_u32 v90, v7, v66, v8
	v_cmp_eq_u32_e64 s[6:7], 0, v89
	v_cmp_lt_u32_e64 s[4:5], 1, v89
	v_cmp_lt_u32_e64 s[10:11], 3, v89
	;; [unrolled: 1-line block ×3, first 2 shown]
	v_and_b32_e32 v88, 16, v85
	v_cmp_lt_u32_e32 vcc, 31, v85
	v_lshrrev_b32_e32 v86, 6, v0
	v_or_b32_e32 v87, 63, v0
	s_cbranch_scc0 .LBB252_119
; %bb.91:
	v_mov_b32_dpp v1, v90 row_shr:1 row_mask:0xf bank_mask:0xf
	v_mov_b32_dpp v6, v91 row_shr:1 row_mask:0xf bank_mask:0xf
	v_add_u32_e32 v1, v1, v90
	v_add_u32_e32 v6, v6, v91
	v_cndmask_b32_e64 v6, v6, v91, s[6:7]
	v_cndmask_b32_e64 v1, v1, v90, s[6:7]
	s_nop 0
	v_mov_b32_dpp v8, v6 row_shr:2 row_mask:0xf bank_mask:0xf
	v_mov_b32_dpp v7, v1 row_shr:2 row_mask:0xf bank_mask:0xf
	v_add_u32_e32 v7, v1, v7
	v_add_u32_e32 v8, v6, v8
	v_cndmask_b32_e64 v6, v6, v8, s[4:5]
	v_cndmask_b32_e64 v1, v1, v7, s[4:5]
	s_nop 0
	;; [unrolled: 7-line block ×3, first 2 shown]
	v_mov_b32_dpp v8, v6 row_shr:8 row_mask:0xf bank_mask:0xf
	v_mov_b32_dpp v7, v1 row_shr:8 row_mask:0xf bank_mask:0xf
	v_add_u32_e32 v7, v1, v7
	v_add_u32_e32 v8, v6, v8
	v_cndmask_b32_e64 v6, v6, v8, s[8:9]
	v_cndmask_b32_e64 v1, v1, v7, s[8:9]
	v_cmp_eq_u32_e64 s[8:9], 0, v88
	v_mov_b32_dpp v8, v6 row_bcast:15 row_mask:0xf bank_mask:0xf
	v_mov_b32_dpp v7, v1 row_bcast:15 row_mask:0xf bank_mask:0xf
	v_add_u32_e32 v7, v1, v7
	v_add_u32_e32 v8, v6, v8
	v_cndmask_b32_e64 v6, v8, v6, s[8:9]
	v_cndmask_b32_e64 v1, v7, v1, s[8:9]
	s_nop 0
	v_mov_b32_dpp v8, v6 row_bcast:31 row_mask:0xf bank_mask:0xf
	v_mov_b32_dpp v7, v1 row_bcast:31 row_mask:0xf bank_mask:0xf
	v_add_u32_e32 v8, v6, v8
	v_add_u32_e32 v9, v1, v7
	v_cndmask_b32_e32 v7, v6, v8, vcc
	v_cndmask_b32_e32 v6, v1, v9, vcc
	v_cmp_eq_u32_e32 vcc, v87, v0
	s_and_saveexec_b64 s[8:9], vcc
	s_cbranch_execz .LBB252_93
; %bb.92:
	v_lshlrev_b32_e32 v1, 3, v86
	ds_write_b64 v1, v[6:7]
.LBB252_93:
	s_or_b64 exec, exec, s[8:9]
	v_cmp_gt_u32_e32 vcc, 4, v0
	s_waitcnt lgkmcnt(0)
	s_barrier
	s_and_saveexec_b64 s[8:9], vcc
	s_cbranch_execz .LBB252_95
; %bb.94:
	v_lshlrev_b32_e32 v1, 3, v0
	ds_read_b64 v[8:9], v1
	v_and_b32_e32 v10, 3, v85
	v_cmp_eq_u32_e32 vcc, 0, v10
	s_waitcnt lgkmcnt(0)
	v_mov_b32_dpp v11, v8 row_shr:1 row_mask:0xf bank_mask:0xf
	v_mov_b32_dpp v24, v9 row_shr:1 row_mask:0xf bank_mask:0xf
	v_add_u32_e32 v11, v11, v8
	v_add_u32_e32 v24, v24, v9
	v_cndmask_b32_e32 v9, v24, v9, vcc
	v_cndmask_b32_e32 v8, v11, v8, vcc
	v_cmp_lt_u32_e32 vcc, 1, v10
	v_mov_b32_dpp v24, v9 row_shr:2 row_mask:0xf bank_mask:0xf
	v_mov_b32_dpp v11, v8 row_shr:2 row_mask:0xf bank_mask:0xf
	v_cndmask_b32_e32 v10, 0, v11, vcc
	v_cndmask_b32_e32 v11, 0, v24, vcc
	v_add_u32_e32 v9, v11, v9
	v_add_u32_e32 v8, v10, v8
	ds_write_b64 v1, v[8:9]
.LBB252_95:
	s_or_b64 exec, exec, s[8:9]
	v_cmp_gt_u32_e32 vcc, 64, v0
	v_cmp_lt_u32_e64 s[8:9], 63, v0
	s_waitcnt lgkmcnt(0)
	s_barrier
	s_waitcnt lgkmcnt(0)
                                        ; implicit-def: $vgpr25
	s_and_saveexec_b64 s[10:11], s[8:9]
	s_xor_b64 s[8:9], exec, s[10:11]
	s_cbranch_execz .LBB252_97
; %bb.96:
	v_lshl_add_u32 v1, v86, 3, -8
	ds_read_b64 v[24:25], v1
	s_waitcnt lgkmcnt(0)
	v_add_u32_e32 v7, v25, v7
	v_add_u32_e32 v6, v24, v6
.LBB252_97:
	s_andn2_saveexec_b64 s[8:9], s[8:9]
; %bb.98:
                                        ; implicit-def: $vgpr24
; %bb.99:
	s_or_b64 exec, exec, s[8:9]
	v_add_u32_e32 v1, -1, v85
	v_and_b32_e32 v8, 64, v85
	v_cmp_lt_i32_e64 s[8:9], v1, v8
	v_cndmask_b32_e64 v1, v1, v85, s[8:9]
	v_lshlrev_b32_e32 v8, 2, v1
	ds_bpermute_b32 v1, v8, v6
	ds_bpermute_b32 v92, v8, v7
	v_cmp_eq_u32_e64 s[8:9], 0, v85
	s_and_saveexec_b64 s[10:11], vcc
	s_cbranch_execz .LBB252_118
; %bb.100:
	v_mov_b32_e32 v11, 0
	ds_read_b64 v[26:27], v11 offset:24
	s_and_saveexec_b64 s[12:13], s[8:9]
	s_cbranch_execz .LBB252_102
; %bb.101:
	s_add_i32 s14, s33, 64
	s_mov_b32 s15, 0
	s_lshl_b64 s[14:15], s[14:15], 4
	s_waitcnt lgkmcnt(0)
	v_and_b32_e32 v6, 0xff000000, v27
	v_and_b32_e32 v7, 0xff0000, v27
	s_add_u32 s14, s50, s14
	v_or_b32_e32 v6, v7, v6
	v_and_b32_e32 v7, 0xff00, v27
	s_addc_u32 s15, s51, s15
	v_or_b32_e32 v6, v6, v7
	v_or_b32_sdwa v9, v6, v27 dst_sel:DWORD dst_unused:UNUSED_PAD src0_sel:DWORD src1_sel:BYTE_0
	v_mov_b32_e32 v10, 1
	v_mov_b32_e32 v8, v26
	v_pk_mov_b32 v[6:7], s[14:15], s[14:15] op_sel:[0,1]
	;;#ASMSTART
	global_store_dwordx4 v[6:7], v[8:11] off	
s_waitcnt vmcnt(0)
	;;#ASMEND
.LBB252_102:
	s_or_b64 exec, exec, s[12:13]
	v_xad_u32 v28, v85, -1, s33
	v_add_u32_e32 v10, 64, v28
	v_lshlrev_b64 v[6:7], 4, v[10:11]
	v_mov_b32_e32 v8, s51
	v_add_co_u32_e32 v30, vcc, s50, v6
	v_addc_co_u32_e32 v31, vcc, v8, v7, vcc
	;;#ASMSTART
	global_load_dwordx4 v[6:9], v[30:31] off glc	
s_waitcnt vmcnt(0)
	;;#ASMEND
	v_and_b32_e32 v9, 0xff, v7
	v_and_b32_e32 v10, 0xff00, v7
	v_or3_b32 v9, 0, v9, v10
	v_or3_b32 v6, v6, 0, 0
	v_and_b32_e32 v10, 0xff000000, v7
	v_and_b32_e32 v7, 0xff0000, v7
	v_or3_b32 v7, v9, v7, v10
	v_or3_b32 v6, v6, 0, 0
	v_cmp_eq_u16_sdwa s[14:15], v8, v11 src0_sel:BYTE_0 src1_sel:DWORD
	s_and_saveexec_b64 s[12:13], s[14:15]
	s_cbranch_execz .LBB252_106
; %bb.103:
	s_mov_b64 s[14:15], 0
	v_mov_b32_e32 v10, 0
.LBB252_104:                            ; =>This Inner Loop Header: Depth=1
	;;#ASMSTART
	global_load_dwordx4 v[6:9], v[30:31] off glc	
s_waitcnt vmcnt(0)
	;;#ASMEND
	v_cmp_ne_u16_sdwa s[18:19], v8, v10 src0_sel:BYTE_0 src1_sel:DWORD
	s_or_b64 s[14:15], s[18:19], s[14:15]
	s_andn2_b64 exec, exec, s[14:15]
	s_cbranch_execnz .LBB252_104
; %bb.105:
	s_or_b64 exec, exec, s[14:15]
.LBB252_106:
	s_or_b64 exec, exec, s[12:13]
	v_and_b32_e32 v94, 63, v85
	v_cmp_ne_u32_e32 vcc, 63, v94
	v_mov_b32_e32 v93, 2
	v_addc_co_u32_e32 v30, vcc, 0, v85, vcc
	v_cmp_eq_u16_sdwa s[12:13], v8, v93 src0_sel:BYTE_0 src1_sel:DWORD
	v_lshlrev_b64 v[10:11], v85, -1
	v_lshlrev_b32_e32 v95, 2, v30
	v_and_b32_e32 v9, s13, v11
	ds_bpermute_b32 v30, v95, v6
	ds_bpermute_b32 v31, v95, v7
	v_or_b32_e32 v9, 0x80000000, v9
	v_and_b32_e32 v29, s12, v10
	v_ffbl_b32_e32 v9, v9
	v_add_u32_e32 v9, 32, v9
	v_ffbl_b32_e32 v29, v29
	v_min_u32_e32 v9, v29, v9
	s_waitcnt lgkmcnt(1)
	v_add_u32_e32 v29, v30, v6
	s_waitcnt lgkmcnt(0)
	v_add_u32_e32 v30, v31, v7
	v_cmp_lt_u32_e32 vcc, v94, v9
	v_cndmask_b32_e32 v7, v7, v30, vcc
	v_cndmask_b32_e32 v6, v6, v29, vcc
	v_cmp_gt_u32_e32 vcc, 62, v94
	v_cndmask_b32_e64 v29, 0, 1, vcc
	v_lshlrev_b32_e32 v29, 1, v29
	v_add_lshl_u32 v96, v29, v85, 2
	ds_bpermute_b32 v29, v96, v6
	ds_bpermute_b32 v30, v96, v7
	v_add_u32_e32 v97, 2, v94
	v_cmp_gt_u32_e32 vcc, v97, v9
	v_add_u32_e32 v99, 4, v94
	s_waitcnt lgkmcnt(1)
	v_add_u32_e32 v29, v6, v29
	s_waitcnt lgkmcnt(0)
	v_add_u32_e32 v30, v7, v30
	v_cndmask_b32_e32 v7, v30, v7, vcc
	v_cndmask_b32_e32 v6, v29, v6, vcc
	v_cmp_gt_u32_e32 vcc, 60, v94
	v_cndmask_b32_e64 v29, 0, 1, vcc
	v_lshlrev_b32_e32 v29, 2, v29
	v_add_lshl_u32 v98, v29, v85, 2
	ds_bpermute_b32 v29, v98, v6
	ds_bpermute_b32 v30, v98, v7
	v_cmp_gt_u32_e32 vcc, v99, v9
	v_add_u32_e32 v101, 8, v94
	v_add_u32_e32 v103, 16, v94
	s_waitcnt lgkmcnt(1)
	v_add_u32_e32 v29, v6, v29
	s_waitcnt lgkmcnt(0)
	v_add_u32_e32 v30, v7, v30
	v_cndmask_b32_e32 v7, v30, v7, vcc
	v_cndmask_b32_e32 v6, v29, v6, vcc
	v_cmp_gt_u32_e32 vcc, 56, v94
	v_cndmask_b32_e64 v29, 0, 1, vcc
	v_lshlrev_b32_e32 v29, 3, v29
	v_add_lshl_u32 v100, v29, v85, 2
	ds_bpermute_b32 v29, v100, v6
	ds_bpermute_b32 v30, v100, v7
	v_cmp_gt_u32_e32 vcc, v101, v9
	v_add_u32_e32 v105, 32, v94
	s_waitcnt lgkmcnt(1)
	v_add_u32_e32 v29, v6, v29
	s_waitcnt lgkmcnt(0)
	v_add_u32_e32 v30, v7, v30
	v_cndmask_b32_e32 v7, v30, v7, vcc
	v_cndmask_b32_e32 v6, v29, v6, vcc
	v_cmp_gt_u32_e32 vcc, 48, v94
	v_cndmask_b32_e64 v29, 0, 1, vcc
	v_lshlrev_b32_e32 v29, 4, v29
	v_add_lshl_u32 v102, v29, v85, 2
	ds_bpermute_b32 v29, v102, v6
	ds_bpermute_b32 v30, v102, v7
	v_cmp_gt_u32_e32 vcc, v103, v9
	s_waitcnt lgkmcnt(1)
	v_add_u32_e32 v29, v6, v29
	s_waitcnt lgkmcnt(0)
	v_add_u32_e32 v30, v7, v30
	v_cndmask_b32_e32 v7, v30, v7, vcc
	v_cndmask_b32_e32 v6, v29, v6, vcc
	v_cmp_gt_u32_e32 vcc, 32, v94
	v_cndmask_b32_e64 v29, 0, 1, vcc
	v_lshlrev_b32_e32 v29, 5, v29
	v_add_lshl_u32 v104, v29, v85, 2
	ds_bpermute_b32 v29, v104, v6
	ds_bpermute_b32 v30, v104, v7
	v_cmp_le_u32_e32 vcc, v105, v9
	s_waitcnt lgkmcnt(1)
	v_cndmask_b32_e32 v9, 0, v29, vcc
	s_waitcnt lgkmcnt(0)
	v_cndmask_b32_e32 v29, 0, v30, vcc
	v_add_u32_e32 v7, v7, v29
	v_add_u32_e32 v6, v6, v9
	v_mov_b32_e32 v29, 0
	s_branch .LBB252_108
.LBB252_107:                            ;   in Loop: Header=BB252_108 Depth=1
	s_or_b64 exec, exec, s[12:13]
	v_cmp_eq_u16_sdwa s[12:13], v8, v93 src0_sel:BYTE_0 src1_sel:DWORD
	v_and_b32_e32 v9, s13, v11
	ds_bpermute_b32 v33, v95, v6
	ds_bpermute_b32 v106, v95, v7
	v_or_b32_e32 v9, 0x80000000, v9
	v_and_b32_e32 v32, s12, v10
	v_ffbl_b32_e32 v9, v9
	v_add_u32_e32 v9, 32, v9
	v_ffbl_b32_e32 v32, v32
	v_min_u32_e32 v9, v32, v9
	s_waitcnt lgkmcnt(1)
	v_add_u32_e32 v32, v33, v6
	s_waitcnt lgkmcnt(0)
	v_add_u32_e32 v33, v106, v7
	v_cmp_lt_u32_e32 vcc, v94, v9
	v_cndmask_b32_e32 v7, v7, v33, vcc
	v_cndmask_b32_e32 v6, v6, v32, vcc
	ds_bpermute_b32 v32, v96, v6
	ds_bpermute_b32 v33, v96, v7
	v_cmp_gt_u32_e32 vcc, v97, v9
	v_subrev_u32_e32 v28, 64, v28
	s_waitcnt lgkmcnt(1)
	v_add_u32_e32 v32, v6, v32
	s_waitcnt lgkmcnt(0)
	v_add_u32_e32 v33, v7, v33
	v_cndmask_b32_e32 v7, v33, v7, vcc
	v_cndmask_b32_e32 v6, v32, v6, vcc
	ds_bpermute_b32 v32, v98, v6
	ds_bpermute_b32 v33, v98, v7
	v_cmp_gt_u32_e32 vcc, v99, v9
	s_waitcnt lgkmcnt(1)
	v_add_u32_e32 v32, v6, v32
	s_waitcnt lgkmcnt(0)
	v_add_u32_e32 v33, v7, v33
	v_cndmask_b32_e32 v7, v33, v7, vcc
	v_cndmask_b32_e32 v6, v32, v6, vcc
	ds_bpermute_b32 v32, v100, v6
	ds_bpermute_b32 v33, v100, v7
	v_cmp_gt_u32_e32 vcc, v101, v9
	;; [unrolled: 9-line block ×3, first 2 shown]
	s_waitcnt lgkmcnt(1)
	v_add_u32_e32 v32, v6, v32
	s_waitcnt lgkmcnt(0)
	v_add_u32_e32 v33, v7, v33
	v_cndmask_b32_e32 v7, v33, v7, vcc
	v_cndmask_b32_e32 v6, v32, v6, vcc
	ds_bpermute_b32 v32, v104, v6
	ds_bpermute_b32 v33, v104, v7
	v_cmp_le_u32_e32 vcc, v105, v9
	s_waitcnt lgkmcnt(1)
	v_cndmask_b32_e32 v9, 0, v32, vcc
	s_waitcnt lgkmcnt(0)
	v_cndmask_b32_e32 v32, 0, v33, vcc
	v_add3_u32 v7, v32, v31, v7
	v_add3_u32 v6, v9, v30, v6
.LBB252_108:                            ; =>This Loop Header: Depth=1
                                        ;     Child Loop BB252_111 Depth 2
	v_cmp_ne_u16_sdwa s[12:13], v8, v93 src0_sel:BYTE_0 src1_sel:DWORD
	v_cndmask_b32_e64 v8, 0, 1, s[12:13]
	;;#ASMSTART
	;;#ASMEND
	v_cmp_ne_u32_e32 vcc, 0, v8
	s_cmp_lg_u64 vcc, exec
	v_pk_mov_b32 v[30:31], v[6:7], v[6:7] op_sel:[0,1]
	s_cbranch_scc1 .LBB252_113
; %bb.109:                              ;   in Loop: Header=BB252_108 Depth=1
	v_lshlrev_b64 v[6:7], 4, v[28:29]
	v_mov_b32_e32 v8, s51
	v_add_co_u32_e32 v32, vcc, s50, v6
	v_addc_co_u32_e32 v33, vcc, v8, v7, vcc
	;;#ASMSTART
	global_load_dwordx4 v[6:9], v[32:33] off glc	
s_waitcnt vmcnt(0)
	;;#ASMEND
	v_and_b32_e32 v9, 0xff, v7
	v_and_b32_e32 v106, 0xff00, v7
	v_or3_b32 v9, 0, v9, v106
	v_or3_b32 v6, v6, 0, 0
	v_and_b32_e32 v106, 0xff000000, v7
	v_and_b32_e32 v7, 0xff0000, v7
	v_or3_b32 v7, v9, v7, v106
	v_or3_b32 v6, v6, 0, 0
	v_cmp_eq_u16_sdwa s[14:15], v8, v29 src0_sel:BYTE_0 src1_sel:DWORD
	s_and_saveexec_b64 s[12:13], s[14:15]
	s_cbranch_execz .LBB252_107
; %bb.110:                              ;   in Loop: Header=BB252_108 Depth=1
	s_mov_b64 s[14:15], 0
.LBB252_111:                            ;   Parent Loop BB252_108 Depth=1
                                        ; =>  This Inner Loop Header: Depth=2
	;;#ASMSTART
	global_load_dwordx4 v[6:9], v[32:33] off glc	
s_waitcnt vmcnt(0)
	;;#ASMEND
	v_cmp_ne_u16_sdwa s[18:19], v8, v29 src0_sel:BYTE_0 src1_sel:DWORD
	s_or_b64 s[14:15], s[18:19], s[14:15]
	s_andn2_b64 exec, exec, s[14:15]
	s_cbranch_execnz .LBB252_111
; %bb.112:                              ;   in Loop: Header=BB252_108 Depth=1
	s_or_b64 exec, exec, s[14:15]
	s_branch .LBB252_107
.LBB252_113:                            ;   in Loop: Header=BB252_108 Depth=1
                                        ; implicit-def: $vgpr8
                                        ; implicit-def: $vgpr6_vgpr7
	s_cbranch_execz .LBB252_108
; %bb.114:
	s_and_saveexec_b64 s[12:13], s[8:9]
	s_cbranch_execz .LBB252_116
; %bb.115:
	s_add_i32 s14, s33, 64
	s_mov_b32 s15, 0
	v_add_u32_e32 v7, v31, v27
	s_lshl_b64 s[14:15], s[14:15], 4
	s_add_u32 s14, s50, s14
	v_and_b32_e32 v8, 0xff000000, v7
	v_and_b32_e32 v10, 0xff0000, v7
	s_addc_u32 s15, s51, s15
	v_or_b32_e32 v8, v10, v8
	v_and_b32_e32 v10, 0xff00, v7
	v_and_b32_e32 v7, 0xff, v7
	v_add_u32_e32 v6, v30, v26
	v_mov_b32_e32 v9, 0
	v_or3_b32 v7, v8, v10, v7
	v_mov_b32_e32 v8, 2
	v_pk_mov_b32 v[10:11], s[14:15], s[14:15] op_sel:[0,1]
	;;#ASMSTART
	global_store_dwordx4 v[10:11], v[6:9] off	
s_waitcnt vmcnt(0)
	;;#ASMEND
	s_movk_i32 s14, 0x3400
	v_add_u32_e64 v6, s14, 0
	ds_write2_b32 v6, v26, v27 offset1:2
	ds_write2_b32 v6, v30, v31 offset0:4 offset1:6
.LBB252_116:
	s_or_b64 exec, exec, s[12:13]
	s_and_b64 exec, exec, s[0:1]
	s_cbranch_execz .LBB252_118
; %bb.117:
	v_mov_b32_e32 v6, 0
	ds_write_b64 v6, v[30:31] offset:24
.LBB252_118:
	s_or_b64 exec, exec, s[10:11]
	v_mov_b32_e32 v6, 0
	s_waitcnt lgkmcnt(0)
	s_barrier
	ds_read_b64 v[10:11], v6 offset:24
	v_cndmask_b32_e64 v25, v92, v25, s[8:9]
	v_cndmask_b32_e64 v1, v1, v24, s[8:9]
	s_movk_i32 s8, 0x3400
	s_waitcnt lgkmcnt(0)
	v_add_u32_e32 v24, v10, v1
	v_add_u32_e64 v1, s8, 0
	s_barrier
	ds_read2_b32 v[6:7], v1 offset1:2
	ds_read2_b32 v[8:9], v1 offset0:4 offset1:6
	v_add_u32_e32 v1, v11, v25
	v_cndmask_b32_e64 v1, v1, v11, s[0:1]
	v_cndmask_b32_e64 v10, v24, v10, s[0:1]
	s_branch .LBB252_129
.LBB252_119:
                                        ; implicit-def: $vgpr1
                                        ; implicit-def: $vgpr8
                                        ; implicit-def: $vgpr6
                                        ; implicit-def: $vgpr10_vgpr11
	s_cbranch_execz .LBB252_129
; %bb.120:
	s_nop 0
	v_mov_b32_dpp v1, v90 row_shr:1 row_mask:0xf bank_mask:0xf
	s_waitcnt lgkmcnt(1)
	v_mov_b32_dpp v6, v91 row_shr:1 row_mask:0xf bank_mask:0xf
	v_add_u32_e32 v1, v1, v90
	v_add_u32_e32 v6, v6, v91
	v_cndmask_b32_e64 v6, v6, v91, s[6:7]
	v_cndmask_b32_e64 v1, v1, v90, s[6:7]
	v_cmp_lt_u32_e32 vcc, 3, v89
	s_waitcnt lgkmcnt(0)
	v_mov_b32_dpp v8, v6 row_shr:2 row_mask:0xf bank_mask:0xf
	v_mov_b32_dpp v7, v1 row_shr:2 row_mask:0xf bank_mask:0xf
	v_add_u32_e32 v7, v1, v7
	v_add_u32_e32 v8, v6, v8
	v_cndmask_b32_e64 v6, v6, v8, s[4:5]
	v_cndmask_b32_e64 v1, v1, v7, s[4:5]
	s_nop 0
	v_mov_b32_dpp v8, v6 row_shr:4 row_mask:0xf bank_mask:0xf
	v_mov_b32_dpp v7, v1 row_shr:4 row_mask:0xf bank_mask:0xf
	v_add_u32_e32 v7, v1, v7
	v_add_u32_e32 v8, v6, v8
	v_cndmask_b32_e32 v6, v6, v8, vcc
	v_cndmask_b32_e32 v1, v1, v7, vcc
	v_cmp_lt_u32_e32 vcc, 7, v89
	v_mov_b32_dpp v8, v6 row_shr:8 row_mask:0xf bank_mask:0xf
	v_mov_b32_dpp v7, v1 row_shr:8 row_mask:0xf bank_mask:0xf
	v_add_u32_e32 v7, v1, v7
	v_add_u32_e32 v8, v6, v8
	v_cndmask_b32_e32 v6, v6, v8, vcc
	v_cndmask_b32_e32 v1, v1, v7, vcc
	v_cmp_eq_u32_e32 vcc, 0, v88
	v_mov_b32_dpp v8, v6 row_bcast:15 row_mask:0xf bank_mask:0xf
	v_mov_b32_dpp v7, v1 row_bcast:15 row_mask:0xf bank_mask:0xf
	v_add_u32_e32 v7, v1, v7
	v_add_u32_e32 v8, v6, v8
	v_cndmask_b32_e32 v6, v8, v6, vcc
	v_cndmask_b32_e32 v1, v7, v1, vcc
	v_cmp_lt_u32_e32 vcc, 31, v85
	v_mov_b32_dpp v8, v6 row_bcast:31 row_mask:0xf bank_mask:0xf
	v_mov_b32_dpp v7, v1 row_bcast:31 row_mask:0xf bank_mask:0xf
	v_add_u32_e32 v8, v6, v8
	v_add_u32_e32 v9, v1, v7
	v_cndmask_b32_e32 v7, v6, v8, vcc
	v_cndmask_b32_e32 v6, v1, v9, vcc
	v_cmp_eq_u32_e32 vcc, v87, v0
	s_and_saveexec_b64 s[4:5], vcc
	s_cbranch_execz .LBB252_122
; %bb.121:
	v_lshlrev_b32_e32 v1, 3, v86
	ds_write_b64 v1, v[6:7]
.LBB252_122:
	s_or_b64 exec, exec, s[4:5]
	v_cmp_gt_u32_e32 vcc, 4, v0
	s_waitcnt lgkmcnt(0)
	s_barrier
	s_and_saveexec_b64 s[4:5], vcc
	s_cbranch_execz .LBB252_124
; %bb.123:
	v_lshlrev_b32_e32 v1, 3, v0
	ds_read_b64 v[8:9], v1
	v_and_b32_e32 v10, 3, v85
	v_cmp_eq_u32_e32 vcc, 0, v10
	s_waitcnt lgkmcnt(0)
	v_mov_b32_dpp v11, v8 row_shr:1 row_mask:0xf bank_mask:0xf
	v_mov_b32_dpp v24, v9 row_shr:1 row_mask:0xf bank_mask:0xf
	v_add_u32_e32 v11, v11, v8
	v_add_u32_e32 v24, v24, v9
	v_cndmask_b32_e32 v9, v24, v9, vcc
	v_cndmask_b32_e32 v8, v11, v8, vcc
	v_cmp_lt_u32_e32 vcc, 1, v10
	v_mov_b32_dpp v24, v9 row_shr:2 row_mask:0xf bank_mask:0xf
	v_mov_b32_dpp v11, v8 row_shr:2 row_mask:0xf bank_mask:0xf
	v_cndmask_b32_e32 v10, 0, v11, vcc
	v_cndmask_b32_e32 v11, 0, v24, vcc
	v_add_u32_e32 v9, v11, v9
	v_add_u32_e32 v8, v10, v8
	ds_write_b64 v1, v[8:9]
.LBB252_124:
	s_or_b64 exec, exec, s[4:5]
	v_cmp_lt_u32_e32 vcc, 63, v0
	v_mov_b32_e32 v8, 0
	v_mov_b32_e32 v10, 0
	;; [unrolled: 1-line block ×3, first 2 shown]
	s_waitcnt lgkmcnt(0)
	s_barrier
	s_and_saveexec_b64 s[4:5], vcc
	s_cbranch_execz .LBB252_126
; %bb.125:
	v_lshl_add_u32 v1, v86, 3, -8
	ds_read_b64 v[10:11], v1
.LBB252_126:
	s_or_b64 exec, exec, s[4:5]
	s_waitcnt lgkmcnt(0)
	v_add_u32_e32 v9, v11, v7
	v_add_u32_e32 v1, v10, v6
	v_add_u32_e32 v6, -1, v85
	v_and_b32_e32 v7, 64, v85
	v_cmp_lt_i32_e32 vcc, v6, v7
	v_cndmask_b32_e32 v6, v6, v85, vcc
	v_lshlrev_b32_e32 v24, 2, v6
	ds_read_b64 v[6:7], v8 offset:24
	ds_bpermute_b32 v1, v24, v1
	ds_bpermute_b32 v24, v24, v9
	s_waitcnt lgkmcnt(2)
	v_readfirstlane_b32 s6, v7
	s_and_saveexec_b64 s[4:5], s[0:1]
	s_cbranch_execz .LBB252_128
; %bb.127:
	s_add_u32 s8, s50, 0x400
	s_mov_b32 s10, 0
	s_addc_u32 s9, s51, 0
	s_and_b32 s11, s6, 0xff000000
	s_and_b32 s13, s6, 0xff0000
	s_mov_b32 s12, s10
	s_or_b64 s[12:13], s[12:13], s[10:11]
	s_and_b32 s11, s6, 0xff00
	s_or_b64 s[12:13], s[12:13], s[10:11]
	s_and_b32 s11, s6, 0xff
	s_or_b64 s[10:11], s[12:13], s[10:11]
	v_mov_b32_e32 v7, s11
	v_mov_b32_e32 v8, 2
	v_mov_b32_e32 v9, 0
	v_pk_mov_b32 v[26:27], s[8:9], s[8:9] op_sel:[0,1]
	;;#ASMSTART
	global_store_dwordx4 v[26:27], v[6:9] off	
s_waitcnt vmcnt(0)
	;;#ASMEND
.LBB252_128:
	s_or_b64 exec, exec, s[4:5]
	v_cmp_eq_u32_e32 vcc, 0, v85
	s_waitcnt lgkmcnt(1)
	v_cndmask_b32_e32 v7, v1, v10, vcc
	s_waitcnt lgkmcnt(0)
	v_cndmask_b32_e32 v1, v24, v11, vcc
	v_mov_b32_e32 v8, 0
	v_cndmask_b32_e64 v1, v1, 0, s[0:1]
	v_cndmask_b32_e64 v10, v7, 0, s[0:1]
	s_barrier
	v_mov_b32_e32 v7, s6
	v_mov_b32_e32 v9, 0
.LBB252_129:
	v_add_u32_e32 v11, v10, v67
	v_add_u32_e32 v26, v1, v68
	;; [unrolled: 1-line block ×13, first 2 shown]
	s_waitcnt vmcnt(0) lgkmcnt(0)
	v_add_co_u32_e32 v2, vcc, v2, v8
	v_add_u32_e32 v68, v62, v74
	v_add_u32_e32 v64, v67, v64
	v_addc_co_u32_e32 v3, vcc, 0, v3, vcc
	v_add_u32_e32 v69, v68, v82
	v_add_u32_e32 v70, v64, v75
	v_sub_co_u32_e32 v24, vcc, v4, v6
	v_add_u32_e32 v71, v69, v76
	v_add_u32_e32 v65, v70, v65
	v_subbrev_co_u32_e32 v25, vcc, 0, v5, vcc
	v_lshlrev_b32_e32 v76, 1, v6
	v_sub_u32_e32 v1, v1, v9
	v_add_u32_e32 v73, v65, v77
	v_add_co_u32_e32 v24, vcc, v24, v9
	v_add_u32_e32 v77, v76, v7
	v_sub_u32_e32 v10, v10, v8
	v_add_u32_e32 v1, v1, v6
	v_addc_co_u32_e32 v25, vcc, 0, v25, vcc
	v_add_u32_e32 v36, v77, v36
	v_and_b32_e32 v38, 1, v38
	v_add_u32_e32 v77, v10, v1
	v_and_b32_e32 v37, 1, v37
	v_sub_u32_e32 v77, v36, v77
	v_cmp_eq_u32_e32 vcc, 1, v38
	v_cndmask_b32_e32 v1, v77, v1, vcc
	v_cmp_eq_u32_e32 vcc, 1, v37
	v_cndmask_b32_e32 v1, v1, v10, vcc
	v_lshlrev_b32_e32 v1, 2, v1
	ds_write_b32 v1, v22
	v_sub_u32_e32 v1, v11, v8
	v_sub_u32_e32 v11, v26, v9
	v_add_u32_e32 v11, v11, v6
	v_add_u32_e32 v26, v11, v1
	v_and_b32_e32 v22, 1, v40
	v_sub_u32_e32 v26, v36, v26
	v_and_b32_e32 v10, 1, v39
	v_add_u32_e32 v26, 1, v26
	v_cmp_eq_u32_e32 vcc, 1, v22
	v_cndmask_b32_e32 v11, v26, v11, vcc
	v_cmp_eq_u32_e32 vcc, 1, v10
	v_cndmask_b32_e32 v1, v11, v1, vcc
	v_lshlrev_b32_e32 v1, 2, v1
	v_sub_u32_e32 v11, v27, v9
	ds_write_b32 v1, v23
	v_sub_u32_e32 v1, v28, v8
	v_add_u32_e32 v11, v11, v6
	v_add_u32_e32 v23, v11, v1
	v_and_b32_e32 v22, 1, v42
	v_sub_u32_e32 v23, v36, v23
	v_and_b32_e32 v10, 1, v41
	v_add_u32_e32 v23, 2, v23
	v_cmp_eq_u32_e32 vcc, 1, v22
	v_cndmask_b32_e32 v11, v23, v11, vcc
	v_cmp_eq_u32_e32 vcc, 1, v10
	v_cndmask_b32_e32 v1, v11, v1, vcc
	v_lshlrev_b32_e32 v1, 2, v1
	v_sub_u32_e32 v11, v30, v9
	ds_write_b32 v1, v20
	;; [unrolled: 14-line block ×8, first 2 shown]
	v_sub_u32_e32 v1, v70, v8
	v_add_u32_e32 v11, v11, v6
	v_add_u32_e32 v16, v1, v11
	v_and_b32_e32 v14, 1, v55
	v_sub_u32_e32 v16, v36, v16
	v_and_b32_e32 v10, 1, v56
	v_add_u32_e32 v16, 9, v16
	v_cmp_eq_u32_e32 vcc, 1, v14
	v_cndmask_b32_e32 v11, v16, v11, vcc
	v_cmp_eq_u32_e32 vcc, 1, v10
	v_add_u32_e32 v72, v71, v83
	v_cndmask_b32_e32 v1, v11, v1, vcc
	v_lshlrev_b32_e32 v1, 2, v1
	v_sub_u32_e32 v11, v72, v9
	ds_write_b32 v1, v15
	v_sub_u32_e32 v1, v65, v8
	v_add_u32_e32 v11, v11, v6
	v_add_u32_e32 v15, v1, v11
	v_and_b32_e32 v14, 1, v57
	v_sub_u32_e32 v15, v36, v15
	v_and_b32_e32 v10, 1, v58
	v_add_u32_e32 v15, 10, v15
	v_cmp_eq_u32_e32 vcc, 1, v14
	v_cndmask_b32_e32 v11, v15, v11, vcc
	v_cmp_eq_u32_e32 vcc, 1, v10
	v_add_u32_e32 v74, v72, v78
	v_cndmask_b32_e32 v1, v11, v1, vcc
	v_lshlrev_b32_e32 v1, 2, v1
	v_sub_u32_e32 v11, v74, v9
	ds_write_b32 v1, v12
	v_sub_u32_e32 v1, v73, v8
	v_add_u32_e32 v11, v11, v6
	v_add_u32_e32 v14, v1, v11
	v_and_b32_e32 v12, 1, v59
	v_sub_u32_e32 v14, v36, v14
	v_and_b32_e32 v10, 1, v60
	v_add_u32_e32 v14, 11, v14
	v_cmp_eq_u32_e32 vcc, 1, v12
	v_cndmask_b32_e32 v11, v14, v11, vcc
	v_cmp_eq_u32_e32 vcc, 1, v10
	v_cndmask_b32_e32 v1, v11, v1, vcc
	v_add_u32_e32 v75, v74, v84
	v_add_u32_e32 v66, v73, v66
	v_lshlrev_b32_e32 v1, 2, v1
	ds_write_b32 v1, v13
	v_sub_u32_e32 v1, v66, v8
	v_sub_u32_e32 v8, v75, v9
	v_add_u32_e32 v8, v8, v6
	v_add_u32_e32 v10, v1, v8
	v_sub_u32_e32 v10, v36, v10
	v_add_u32_e32 v10, 12, v10
	v_cndmask_b32_e64 v8, v10, v8, s[54:55]
	v_cndmask_b32_e64 v1, v8, v1, s[52:53]
	v_lshlrev_b32_e32 v1, 2, v1
	ds_write_b32 v1, v35
	v_mov_b32_e32 v1, s49
	v_add_co_u32_e32 v8, vcc, s48, v34
	v_addc_co_u32_e32 v10, vcc, 0, v1, vcc
	v_add_co_u32_e32 v1, vcc, v7, v76
	v_addc_co_u32_e64 v11, s[4:5], 0, 0, vcc
	v_add_co_u32_e32 v1, vcc, v1, v24
	v_addc_co_u32_e32 v11, vcc, v11, v25, vcc
	v_add_co_u32_e32 v1, vcc, v1, v2
	v_addc_co_u32_e32 v11, vcc, v11, v3, vcc
	v_sub_co_u32_e32 v1, vcc, v8, v1
	v_subb_co_u32_e32 v8, vcc, v10, v11, vcc
	v_lshlrev_b64 v[10:11], 2, v[24:25]
	v_mov_b32_e32 v12, s47
	v_add_co_u32_e32 v10, vcc, s46, v10
	v_addc_co_u32_e32 v11, vcc, v12, v11, vcc
	v_lshlrev_b64 v[12:13], 2, v[2:3]
	v_mov_b32_e32 v15, s45
	v_add_co_u32_e32 v12, vcc, s44, v12
	s_add_u32 s8, s34, -4
	v_addc_co_u32_e32 v13, vcc, v15, v13, vcc
	s_addc_u32 s9, s35, -1
	v_add_u32_e32 v14, v6, v7
	s_and_b64 vcc, exec, s[2:3]
	s_mov_b64 s[2:3], -1
	s_waitcnt lgkmcnt(0)
	s_barrier
	s_cbranch_vccz .LBB252_133
; %bb.130:
	s_and_b64 vcc, exec, s[2:3]
	s_cbranch_vccnz .LBB252_238
.LBB252_131:
	s_and_b64 s[0:1], s[0:1], s[30:31]
	s_and_saveexec_b64 s[2:3], s[0:1]
	s_cbranch_execnz .LBB252_356
.LBB252_132:
	s_endpgm
.LBB252_133:
	v_cmp_le_u32_e32 vcc, v6, v0
	s_and_saveexec_b64 s[2:3], vcc
	s_xor_b64 s[2:3], exec, s[2:3]
	s_cbranch_execz .LBB252_139
; %bb.134:
	v_cmp_le_u32_e32 vcc, v14, v0
	s_and_saveexec_b64 s[4:5], vcc
	s_xor_b64 s[4:5], exec, s[4:5]
	s_cbranch_execz .LBB252_136
; %bb.135:
	v_lshlrev_b32_e32 v15, 2, v0
	v_add_co_u32_e32 v16, vcc, v1, v0
	ds_read_b32 v15, v15
	v_addc_co_u32_e32 v17, vcc, 0, v8, vcc
	v_lshlrev_b64 v[16:17], 2, v[16:17]
	v_mov_b32_e32 v18, s35
	v_sub_co_u32_e32 v16, vcc, s34, v16
	v_subb_co_u32_e32 v17, vcc, v18, v17, vcc
	s_waitcnt lgkmcnt(0)
	global_store_dword v[16:17], v15, off offset:-4
.LBB252_136:
	s_andn2_saveexec_b64 s[4:5], s[4:5]
	s_cbranch_execz .LBB252_138
; %bb.137:
	v_lshlrev_b32_e32 v15, 2, v0
	ds_read_b32 v16, v15
	v_readfirstlane_b32 s6, v10
	v_readfirstlane_b32 s7, v11
	s_waitcnt lgkmcnt(0)
	s_nop 3
	global_store_dword v15, v16, s[6:7]
.LBB252_138:
	s_or_b64 exec, exec, s[4:5]
.LBB252_139:
	s_andn2_saveexec_b64 s[2:3], s[2:3]
	s_cbranch_execz .LBB252_141
; %bb.140:
	v_lshlrev_b32_e32 v15, 2, v0
	ds_read_b32 v16, v15
	v_readfirstlane_b32 s4, v12
	v_readfirstlane_b32 s5, v13
	s_waitcnt lgkmcnt(0)
	s_nop 3
	global_store_dword v15, v16, s[4:5]
.LBB252_141:
	s_or_b64 exec, exec, s[2:3]
	v_or_b32_e32 v15, 0x100, v0
	v_cmp_le_u32_e32 vcc, v6, v15
	s_and_saveexec_b64 s[2:3], vcc
	s_xor_b64 s[2:3], exec, s[2:3]
	s_cbranch_execz .LBB252_147
; %bb.142:
	v_cmp_le_u32_e32 vcc, v14, v15
	s_and_saveexec_b64 s[4:5], vcc
	s_xor_b64 s[4:5], exec, s[4:5]
	s_cbranch_execz .LBB252_144
; %bb.143:
	v_lshlrev_b32_e32 v15, 2, v0
	ds_read_b32 v15, v15 offset:1024
	v_add_co_u32_e32 v16, vcc, v1, v0
	v_addc_co_u32_e32 v17, vcc, 0, v8, vcc
	v_lshlrev_b64 v[16:17], 2, v[16:17]
	v_mov_b32_e32 v18, s9
	v_sub_co_u32_e32 v16, vcc, s8, v16
	v_subb_co_u32_e32 v17, vcc, v18, v17, vcc
	s_waitcnt lgkmcnt(0)
	global_store_dword v[16:17], v15, off offset:-1024
.LBB252_144:
	s_andn2_saveexec_b64 s[4:5], s[4:5]
	s_cbranch_execz .LBB252_146
; %bb.145:
	v_lshlrev_b32_e32 v15, 2, v0
	ds_read_b32 v16, v15 offset:1024
	v_readfirstlane_b32 s6, v10
	v_readfirstlane_b32 s7, v11
	s_waitcnt lgkmcnt(0)
	s_nop 3
	global_store_dword v15, v16, s[6:7] offset:1024
.LBB252_146:
	s_or_b64 exec, exec, s[4:5]
.LBB252_147:
	s_andn2_saveexec_b64 s[2:3], s[2:3]
	s_cbranch_execz .LBB252_149
; %bb.148:
	v_lshlrev_b32_e32 v15, 2, v0
	ds_read_b32 v16, v15 offset:1024
	v_readfirstlane_b32 s4, v12
	v_readfirstlane_b32 s5, v13
	s_waitcnt lgkmcnt(0)
	s_nop 3
	global_store_dword v15, v16, s[4:5] offset:1024
.LBB252_149:
	s_or_b64 exec, exec, s[2:3]
	v_or_b32_e32 v15, 0x200, v0
	v_cmp_le_u32_e32 vcc, v6, v15
	s_and_saveexec_b64 s[2:3], vcc
	s_xor_b64 s[2:3], exec, s[2:3]
	s_cbranch_execz .LBB252_155
; %bb.150:
	v_cmp_le_u32_e32 vcc, v14, v15
	s_and_saveexec_b64 s[4:5], vcc
	s_xor_b64 s[4:5], exec, s[4:5]
	s_cbranch_execz .LBB252_152
; %bb.151:
	v_lshlrev_b32_e32 v15, 2, v0
	ds_read_b32 v15, v15 offset:2048
	v_add_co_u32_e32 v16, vcc, v1, v0
	v_addc_co_u32_e32 v17, vcc, 0, v8, vcc
	v_lshlrev_b64 v[16:17], 2, v[16:17]
	v_mov_b32_e32 v18, s9
	v_sub_co_u32_e32 v16, vcc, s8, v16
	v_subb_co_u32_e32 v17, vcc, v18, v17, vcc
	s_waitcnt lgkmcnt(0)
	global_store_dword v[16:17], v15, off offset:-2048
.LBB252_152:
	s_andn2_saveexec_b64 s[4:5], s[4:5]
	s_cbranch_execz .LBB252_154
; %bb.153:
	v_lshlrev_b32_e32 v15, 2, v0
	ds_read_b32 v16, v15 offset:2048
	v_readfirstlane_b32 s6, v10
	v_readfirstlane_b32 s7, v11
	s_waitcnt lgkmcnt(0)
	s_nop 3
	global_store_dword v15, v16, s[6:7] offset:2048
.LBB252_154:
	s_or_b64 exec, exec, s[4:5]
.LBB252_155:
	s_andn2_saveexec_b64 s[2:3], s[2:3]
	s_cbranch_execz .LBB252_157
; %bb.156:
	v_lshlrev_b32_e32 v15, 2, v0
	ds_read_b32 v16, v15 offset:2048
	v_readfirstlane_b32 s4, v12
	v_readfirstlane_b32 s5, v13
	s_waitcnt lgkmcnt(0)
	s_nop 3
	global_store_dword v15, v16, s[4:5] offset:2048
.LBB252_157:
	;; [unrolled: 47-line block ×3, first 2 shown]
	s_or_b64 exec, exec, s[2:3]
	v_or_b32_e32 v15, 0x400, v0
	v_cmp_le_u32_e32 vcc, v6, v15
	s_and_saveexec_b64 s[2:3], vcc
	s_xor_b64 s[2:3], exec, s[2:3]
	s_cbranch_execz .LBB252_171
; %bb.166:
	v_cmp_le_u32_e32 vcc, v14, v15
	s_and_saveexec_b64 s[4:5], vcc
	s_xor_b64 s[4:5], exec, s[4:5]
	s_cbranch_execz .LBB252_168
; %bb.167:
	v_lshlrev_b32_e32 v15, 2, v0
	ds_read_b32 v15, v15 offset:4096
	v_add_co_u32_e32 v16, vcc, v1, v0
	v_addc_co_u32_e32 v17, vcc, 0, v8, vcc
	v_lshlrev_b64 v[16:17], 2, v[16:17]
	v_mov_b32_e32 v18, s9
	v_sub_co_u32_e32 v16, vcc, s8, v16
	v_subb_co_u32_e32 v17, vcc, v18, v17, vcc
	s_waitcnt lgkmcnt(0)
	global_store_dword v[16:17], v15, off offset:-4096
                                        ; implicit-def: $vgpr15
.LBB252_168:
	s_andn2_saveexec_b64 s[4:5], s[4:5]
	s_cbranch_execz .LBB252_170
; %bb.169:
	v_lshlrev_b32_e32 v16, 2, v0
	ds_read_b32 v16, v16 offset:4096
	v_lshlrev_b32_e32 v15, 2, v15
	v_readfirstlane_b32 s6, v10
	v_readfirstlane_b32 s7, v11
	s_waitcnt lgkmcnt(0)
	s_nop 3
	global_store_dword v15, v16, s[6:7]
.LBB252_170:
	s_or_b64 exec, exec, s[4:5]
                                        ; implicit-def: $vgpr15
.LBB252_171:
	s_andn2_saveexec_b64 s[2:3], s[2:3]
	s_cbranch_execz .LBB252_173
; %bb.172:
	v_lshlrev_b32_e32 v16, 2, v0
	ds_read_b32 v16, v16 offset:4096
	v_lshlrev_b32_e32 v15, 2, v15
	v_readfirstlane_b32 s4, v12
	v_readfirstlane_b32 s5, v13
	s_waitcnt lgkmcnt(0)
	s_nop 3
	global_store_dword v15, v16, s[4:5]
.LBB252_173:
	s_or_b64 exec, exec, s[2:3]
	v_or_b32_e32 v15, 0x500, v0
	v_cmp_le_u32_e32 vcc, v6, v15
	s_and_saveexec_b64 s[2:3], vcc
	s_xor_b64 s[2:3], exec, s[2:3]
	s_cbranch_execz .LBB252_179
; %bb.174:
	v_cmp_le_u32_e32 vcc, v14, v15
	s_and_saveexec_b64 s[4:5], vcc
	s_xor_b64 s[4:5], exec, s[4:5]
	s_cbranch_execz .LBB252_176
; %bb.175:
	v_add_co_u32_e32 v16, vcc, v1, v15
	v_lshlrev_b32_e32 v15, 2, v0
	ds_read_b32 v15, v15 offset:5120
	v_addc_co_u32_e32 v17, vcc, 0, v8, vcc
	v_lshlrev_b64 v[16:17], 2, v[16:17]
	v_mov_b32_e32 v18, s9
	v_sub_co_u32_e32 v16, vcc, s8, v16
	v_subb_co_u32_e32 v17, vcc, v18, v17, vcc
	s_waitcnt lgkmcnt(0)
	global_store_dword v[16:17], v15, off
                                        ; implicit-def: $vgpr15
.LBB252_176:
	s_andn2_saveexec_b64 s[4:5], s[4:5]
	s_cbranch_execz .LBB252_178
; %bb.177:
	v_lshlrev_b32_e32 v16, 2, v0
	ds_read_b32 v16, v16 offset:5120
	v_lshlrev_b32_e32 v15, 2, v15
	v_readfirstlane_b32 s6, v10
	v_readfirstlane_b32 s7, v11
	s_waitcnt lgkmcnt(0)
	s_nop 3
	global_store_dword v15, v16, s[6:7]
.LBB252_178:
	s_or_b64 exec, exec, s[4:5]
                                        ; implicit-def: $vgpr15
.LBB252_179:
	s_andn2_saveexec_b64 s[2:3], s[2:3]
	s_cbranch_execz .LBB252_181
; %bb.180:
	v_lshlrev_b32_e32 v16, 2, v0
	ds_read_b32 v16, v16 offset:5120
	v_lshlrev_b32_e32 v15, 2, v15
	v_readfirstlane_b32 s4, v12
	v_readfirstlane_b32 s5, v13
	s_waitcnt lgkmcnt(0)
	s_nop 3
	global_store_dword v15, v16, s[4:5]
.LBB252_181:
	s_or_b64 exec, exec, s[2:3]
	v_or_b32_e32 v15, 0x600, v0
	v_cmp_le_u32_e32 vcc, v6, v15
	s_and_saveexec_b64 s[2:3], vcc
	s_xor_b64 s[2:3], exec, s[2:3]
	s_cbranch_execz .LBB252_187
; %bb.182:
	v_cmp_le_u32_e32 vcc, v14, v15
	s_and_saveexec_b64 s[4:5], vcc
	s_xor_b64 s[4:5], exec, s[4:5]
	s_cbranch_execz .LBB252_184
; %bb.183:
	v_add_co_u32_e32 v16, vcc, v1, v15
	v_lshlrev_b32_e32 v15, 2, v0
	ds_read_b32 v15, v15 offset:6144
	v_addc_co_u32_e32 v17, vcc, 0, v8, vcc
	v_lshlrev_b64 v[16:17], 2, v[16:17]
	v_mov_b32_e32 v18, s9
	v_sub_co_u32_e32 v16, vcc, s8, v16
	v_subb_co_u32_e32 v17, vcc, v18, v17, vcc
	s_waitcnt lgkmcnt(0)
	global_store_dword v[16:17], v15, off
                                        ; implicit-def: $vgpr15
.LBB252_184:
	s_andn2_saveexec_b64 s[4:5], s[4:5]
	s_cbranch_execz .LBB252_186
; %bb.185:
	v_lshlrev_b32_e32 v16, 2, v0
	ds_read_b32 v16, v16 offset:6144
	v_lshlrev_b32_e32 v15, 2, v15
	v_readfirstlane_b32 s6, v10
	v_readfirstlane_b32 s7, v11
	s_waitcnt lgkmcnt(0)
	s_nop 3
	global_store_dword v15, v16, s[6:7]
.LBB252_186:
	s_or_b64 exec, exec, s[4:5]
                                        ; implicit-def: $vgpr15
.LBB252_187:
	;; [unrolled: 51-line block ×8, first 2 shown]
	s_andn2_saveexec_b64 s[2:3], s[2:3]
	s_cbranch_execz .LBB252_237
; %bb.236:
	v_lshlrev_b32_e32 v16, 2, v0
	ds_read_b32 v16, v16 offset:12288
	v_lshlrev_b32_e32 v15, 2, v15
	v_readfirstlane_b32 s4, v12
	v_readfirstlane_b32 s5, v13
	s_waitcnt lgkmcnt(0)
	s_nop 3
	global_store_dword v15, v16, s[4:5]
.LBB252_237:
	s_or_b64 exec, exec, s[2:3]
	s_branch .LBB252_131
.LBB252_238:
	v_cmp_gt_u32_e32 vcc, s16, v0
	s_and_saveexec_b64 s[2:3], vcc
	s_cbranch_execz .LBB252_247
; %bb.239:
	v_cmp_le_u32_e32 vcc, v6, v0
	s_and_saveexec_b64 s[4:5], vcc
	s_xor_b64 s[4:5], exec, s[4:5]
	s_cbranch_execz .LBB252_245
; %bb.240:
	v_cmp_le_u32_e32 vcc, v14, v0
	s_and_saveexec_b64 s[6:7], vcc
	s_xor_b64 s[6:7], exec, s[6:7]
	s_cbranch_execz .LBB252_242
; %bb.241:
	v_lshlrev_b32_e32 v15, 2, v0
	v_add_co_u32_e32 v16, vcc, v1, v0
	ds_read_b32 v15, v15
	v_addc_co_u32_e32 v17, vcc, 0, v8, vcc
	v_lshlrev_b64 v[16:17], 2, v[16:17]
	v_mov_b32_e32 v18, s35
	v_sub_co_u32_e32 v16, vcc, s34, v16
	v_subb_co_u32_e32 v17, vcc, v18, v17, vcc
	s_waitcnt lgkmcnt(0)
	global_store_dword v[16:17], v15, off offset:-4
.LBB252_242:
	s_andn2_saveexec_b64 s[6:7], s[6:7]
	s_cbranch_execz .LBB252_244
; %bb.243:
	v_lshlrev_b32_e32 v15, 2, v0
	ds_read_b32 v16, v15
	v_readfirstlane_b32 s10, v10
	v_readfirstlane_b32 s11, v11
	s_waitcnt lgkmcnt(0)
	s_nop 3
	global_store_dword v15, v16, s[10:11]
.LBB252_244:
	s_or_b64 exec, exec, s[6:7]
.LBB252_245:
	s_andn2_saveexec_b64 s[4:5], s[4:5]
	s_cbranch_execz .LBB252_247
; %bb.246:
	v_lshlrev_b32_e32 v15, 2, v0
	ds_read_b32 v16, v15
	v_readfirstlane_b32 s4, v12
	v_readfirstlane_b32 s5, v13
	s_waitcnt lgkmcnt(0)
	s_nop 3
	global_store_dword v15, v16, s[4:5]
.LBB252_247:
	s_or_b64 exec, exec, s[2:3]
	v_or_b32_e32 v15, 0x100, v0
	v_cmp_gt_u32_e32 vcc, s16, v15
	s_and_saveexec_b64 s[2:3], vcc
	s_cbranch_execz .LBB252_256
; %bb.248:
	v_cmp_le_u32_e32 vcc, v6, v15
	s_and_saveexec_b64 s[4:5], vcc
	s_xor_b64 s[4:5], exec, s[4:5]
	s_cbranch_execz .LBB252_254
; %bb.249:
	v_cmp_le_u32_e32 vcc, v14, v15
	s_and_saveexec_b64 s[6:7], vcc
	s_xor_b64 s[6:7], exec, s[6:7]
	s_cbranch_execz .LBB252_251
; %bb.250:
	v_lshlrev_b32_e32 v15, 2, v0
	ds_read_b32 v15, v15 offset:1024
	v_add_co_u32_e32 v16, vcc, v1, v0
	v_addc_co_u32_e32 v17, vcc, 0, v8, vcc
	v_lshlrev_b64 v[16:17], 2, v[16:17]
	v_mov_b32_e32 v18, s9
	v_sub_co_u32_e32 v16, vcc, s8, v16
	v_subb_co_u32_e32 v17, vcc, v18, v17, vcc
	s_waitcnt lgkmcnt(0)
	global_store_dword v[16:17], v15, off offset:-1024
.LBB252_251:
	s_andn2_saveexec_b64 s[6:7], s[6:7]
	s_cbranch_execz .LBB252_253
; %bb.252:
	v_lshlrev_b32_e32 v15, 2, v0
	ds_read_b32 v16, v15 offset:1024
	v_readfirstlane_b32 s10, v10
	v_readfirstlane_b32 s11, v11
	s_waitcnt lgkmcnt(0)
	s_nop 3
	global_store_dword v15, v16, s[10:11] offset:1024
.LBB252_253:
	s_or_b64 exec, exec, s[6:7]
.LBB252_254:
	s_andn2_saveexec_b64 s[4:5], s[4:5]
	s_cbranch_execz .LBB252_256
; %bb.255:
	v_lshlrev_b32_e32 v15, 2, v0
	ds_read_b32 v16, v15 offset:1024
	v_readfirstlane_b32 s4, v12
	v_readfirstlane_b32 s5, v13
	s_waitcnt lgkmcnt(0)
	s_nop 3
	global_store_dword v15, v16, s[4:5] offset:1024
.LBB252_256:
	s_or_b64 exec, exec, s[2:3]
	v_or_b32_e32 v15, 0x200, v0
	v_cmp_gt_u32_e32 vcc, s16, v15
	s_and_saveexec_b64 s[2:3], vcc
	s_cbranch_execz .LBB252_265
; %bb.257:
	v_cmp_le_u32_e32 vcc, v6, v15
	s_and_saveexec_b64 s[4:5], vcc
	s_xor_b64 s[4:5], exec, s[4:5]
	s_cbranch_execz .LBB252_263
; %bb.258:
	v_cmp_le_u32_e32 vcc, v14, v15
	s_and_saveexec_b64 s[6:7], vcc
	s_xor_b64 s[6:7], exec, s[6:7]
	s_cbranch_execz .LBB252_260
; %bb.259:
	v_lshlrev_b32_e32 v15, 2, v0
	ds_read_b32 v15, v15 offset:2048
	v_add_co_u32_e32 v16, vcc, v1, v0
	v_addc_co_u32_e32 v17, vcc, 0, v8, vcc
	v_lshlrev_b64 v[16:17], 2, v[16:17]
	v_mov_b32_e32 v18, s9
	v_sub_co_u32_e32 v16, vcc, s8, v16
	v_subb_co_u32_e32 v17, vcc, v18, v17, vcc
	s_waitcnt lgkmcnt(0)
	global_store_dword v[16:17], v15, off offset:-2048
.LBB252_260:
	s_andn2_saveexec_b64 s[6:7], s[6:7]
	s_cbranch_execz .LBB252_262
; %bb.261:
	v_lshlrev_b32_e32 v15, 2, v0
	ds_read_b32 v16, v15 offset:2048
	v_readfirstlane_b32 s10, v10
	v_readfirstlane_b32 s11, v11
	s_waitcnt lgkmcnt(0)
	s_nop 3
	global_store_dword v15, v16, s[10:11] offset:2048
.LBB252_262:
	s_or_b64 exec, exec, s[6:7]
.LBB252_263:
	s_andn2_saveexec_b64 s[4:5], s[4:5]
	s_cbranch_execz .LBB252_265
; %bb.264:
	v_lshlrev_b32_e32 v15, 2, v0
	ds_read_b32 v16, v15 offset:2048
	v_readfirstlane_b32 s4, v12
	v_readfirstlane_b32 s5, v13
	s_waitcnt lgkmcnt(0)
	s_nop 3
	global_store_dword v15, v16, s[4:5] offset:2048
.LBB252_265:
	s_or_b64 exec, exec, s[2:3]
	v_or_b32_e32 v15, 0x300, v0
	v_cmp_gt_u32_e32 vcc, s16, v15
	s_and_saveexec_b64 s[2:3], vcc
	s_cbranch_execz .LBB252_274
; %bb.266:
	v_cmp_le_u32_e32 vcc, v6, v15
	s_and_saveexec_b64 s[4:5], vcc
	s_xor_b64 s[4:5], exec, s[4:5]
	s_cbranch_execz .LBB252_272
; %bb.267:
	v_cmp_le_u32_e32 vcc, v14, v15
	s_and_saveexec_b64 s[6:7], vcc
	s_xor_b64 s[6:7], exec, s[6:7]
	s_cbranch_execz .LBB252_269
; %bb.268:
	v_lshlrev_b32_e32 v15, 2, v0
	ds_read_b32 v15, v15 offset:3072
	v_add_co_u32_e32 v16, vcc, v1, v0
	v_addc_co_u32_e32 v17, vcc, 0, v8, vcc
	v_lshlrev_b64 v[16:17], 2, v[16:17]
	v_mov_b32_e32 v18, s9
	v_sub_co_u32_e32 v16, vcc, s8, v16
	v_subb_co_u32_e32 v17, vcc, v18, v17, vcc
	s_waitcnt lgkmcnt(0)
	global_store_dword v[16:17], v15, off offset:-3072
.LBB252_269:
	s_andn2_saveexec_b64 s[6:7], s[6:7]
	s_cbranch_execz .LBB252_271
; %bb.270:
	v_lshlrev_b32_e32 v15, 2, v0
	ds_read_b32 v16, v15 offset:3072
	v_readfirstlane_b32 s10, v10
	v_readfirstlane_b32 s11, v11
	s_waitcnt lgkmcnt(0)
	s_nop 3
	global_store_dword v15, v16, s[10:11] offset:3072
.LBB252_271:
	s_or_b64 exec, exec, s[6:7]
.LBB252_272:
	s_andn2_saveexec_b64 s[4:5], s[4:5]
	s_cbranch_execz .LBB252_274
; %bb.273:
	v_lshlrev_b32_e32 v15, 2, v0
	ds_read_b32 v16, v15 offset:3072
	v_readfirstlane_b32 s4, v12
	v_readfirstlane_b32 s5, v13
	s_waitcnt lgkmcnt(0)
	s_nop 3
	global_store_dword v15, v16, s[4:5] offset:3072
.LBB252_274:
	s_or_b64 exec, exec, s[2:3]
	v_or_b32_e32 v15, 0x400, v0
	v_cmp_gt_u32_e32 vcc, s16, v15
	s_and_saveexec_b64 s[2:3], vcc
	s_cbranch_execz .LBB252_283
; %bb.275:
	v_cmp_le_u32_e32 vcc, v6, v15
	s_and_saveexec_b64 s[4:5], vcc
	s_xor_b64 s[4:5], exec, s[4:5]
	s_cbranch_execz .LBB252_281
; %bb.276:
	v_cmp_le_u32_e32 vcc, v14, v15
	s_and_saveexec_b64 s[6:7], vcc
	s_xor_b64 s[6:7], exec, s[6:7]
	s_cbranch_execz .LBB252_278
; %bb.277:
	v_lshlrev_b32_e32 v15, 2, v0
	ds_read_b32 v15, v15 offset:4096
	v_add_co_u32_e32 v16, vcc, v1, v0
	v_addc_co_u32_e32 v17, vcc, 0, v8, vcc
	v_lshlrev_b64 v[16:17], 2, v[16:17]
	v_mov_b32_e32 v18, s9
	v_sub_co_u32_e32 v16, vcc, s8, v16
	v_subb_co_u32_e32 v17, vcc, v18, v17, vcc
	s_waitcnt lgkmcnt(0)
	global_store_dword v[16:17], v15, off offset:-4096
                                        ; implicit-def: $vgpr15
.LBB252_278:
	s_andn2_saveexec_b64 s[6:7], s[6:7]
	s_cbranch_execz .LBB252_280
; %bb.279:
	v_lshlrev_b32_e32 v16, 2, v0
	ds_read_b32 v16, v16 offset:4096
	v_lshlrev_b32_e32 v15, 2, v15
	v_readfirstlane_b32 s10, v10
	v_readfirstlane_b32 s11, v11
	s_waitcnt lgkmcnt(0)
	s_nop 3
	global_store_dword v15, v16, s[10:11]
.LBB252_280:
	s_or_b64 exec, exec, s[6:7]
                                        ; implicit-def: $vgpr15
.LBB252_281:
	s_andn2_saveexec_b64 s[4:5], s[4:5]
	s_cbranch_execz .LBB252_283
; %bb.282:
	v_lshlrev_b32_e32 v16, 2, v0
	ds_read_b32 v16, v16 offset:4096
	v_lshlrev_b32_e32 v15, 2, v15
	v_readfirstlane_b32 s4, v12
	v_readfirstlane_b32 s5, v13
	s_waitcnt lgkmcnt(0)
	s_nop 3
	global_store_dword v15, v16, s[4:5]
.LBB252_283:
	s_or_b64 exec, exec, s[2:3]
	v_or_b32_e32 v15, 0x500, v0
	v_cmp_gt_u32_e32 vcc, s16, v15
	s_and_saveexec_b64 s[2:3], vcc
	s_cbranch_execz .LBB252_292
; %bb.284:
	v_cmp_le_u32_e32 vcc, v6, v15
	s_and_saveexec_b64 s[4:5], vcc
	s_xor_b64 s[4:5], exec, s[4:5]
	s_cbranch_execz .LBB252_290
; %bb.285:
	v_cmp_le_u32_e32 vcc, v14, v15
	s_and_saveexec_b64 s[6:7], vcc
	s_xor_b64 s[6:7], exec, s[6:7]
	s_cbranch_execz .LBB252_287
; %bb.286:
	v_add_co_u32_e32 v16, vcc, v1, v15
	v_lshlrev_b32_e32 v15, 2, v0
	ds_read_b32 v15, v15 offset:5120
	v_addc_co_u32_e32 v17, vcc, 0, v8, vcc
	v_lshlrev_b64 v[16:17], 2, v[16:17]
	v_mov_b32_e32 v18, s9
	v_sub_co_u32_e32 v16, vcc, s8, v16
	v_subb_co_u32_e32 v17, vcc, v18, v17, vcc
	s_waitcnt lgkmcnt(0)
	global_store_dword v[16:17], v15, off
                                        ; implicit-def: $vgpr15
.LBB252_287:
	s_andn2_saveexec_b64 s[6:7], s[6:7]
	s_cbranch_execz .LBB252_289
; %bb.288:
	v_lshlrev_b32_e32 v16, 2, v0
	ds_read_b32 v16, v16 offset:5120
	v_lshlrev_b32_e32 v15, 2, v15
	v_readfirstlane_b32 s10, v10
	v_readfirstlane_b32 s11, v11
	s_waitcnt lgkmcnt(0)
	s_nop 3
	global_store_dword v15, v16, s[10:11]
.LBB252_289:
	s_or_b64 exec, exec, s[6:7]
                                        ; implicit-def: $vgpr15
.LBB252_290:
	s_andn2_saveexec_b64 s[4:5], s[4:5]
	s_cbranch_execz .LBB252_292
; %bb.291:
	v_lshlrev_b32_e32 v16, 2, v0
	ds_read_b32 v16, v16 offset:5120
	v_lshlrev_b32_e32 v15, 2, v15
	v_readfirstlane_b32 s4, v12
	v_readfirstlane_b32 s5, v13
	s_waitcnt lgkmcnt(0)
	s_nop 3
	global_store_dword v15, v16, s[4:5]
.LBB252_292:
	s_or_b64 exec, exec, s[2:3]
	v_or_b32_e32 v15, 0x600, v0
	v_cmp_gt_u32_e32 vcc, s16, v15
	s_and_saveexec_b64 s[2:3], vcc
	s_cbranch_execz .LBB252_301
; %bb.293:
	v_cmp_le_u32_e32 vcc, v6, v15
	s_and_saveexec_b64 s[4:5], vcc
	s_xor_b64 s[4:5], exec, s[4:5]
	s_cbranch_execz .LBB252_299
; %bb.294:
	v_cmp_le_u32_e32 vcc, v14, v15
	s_and_saveexec_b64 s[6:7], vcc
	s_xor_b64 s[6:7], exec, s[6:7]
	s_cbranch_execz .LBB252_296
; %bb.295:
	v_add_co_u32_e32 v16, vcc, v1, v15
	v_lshlrev_b32_e32 v15, 2, v0
	ds_read_b32 v15, v15 offset:6144
	v_addc_co_u32_e32 v17, vcc, 0, v8, vcc
	v_lshlrev_b64 v[16:17], 2, v[16:17]
	v_mov_b32_e32 v18, s9
	v_sub_co_u32_e32 v16, vcc, s8, v16
	v_subb_co_u32_e32 v17, vcc, v18, v17, vcc
	s_waitcnt lgkmcnt(0)
	global_store_dword v[16:17], v15, off
                                        ; implicit-def: $vgpr15
.LBB252_296:
	s_andn2_saveexec_b64 s[6:7], s[6:7]
	s_cbranch_execz .LBB252_298
; %bb.297:
	v_lshlrev_b32_e32 v16, 2, v0
	ds_read_b32 v16, v16 offset:6144
	v_lshlrev_b32_e32 v15, 2, v15
	v_readfirstlane_b32 s10, v10
	v_readfirstlane_b32 s11, v11
	s_waitcnt lgkmcnt(0)
	s_nop 3
	global_store_dword v15, v16, s[10:11]
.LBB252_298:
	s_or_b64 exec, exec, s[6:7]
                                        ; implicit-def: $vgpr15
.LBB252_299:
	s_andn2_saveexec_b64 s[4:5], s[4:5]
	s_cbranch_execz .LBB252_301
; %bb.300:
	v_lshlrev_b32_e32 v16, 2, v0
	ds_read_b32 v16, v16 offset:6144
	v_lshlrev_b32_e32 v15, 2, v15
	v_readfirstlane_b32 s4, v12
	v_readfirstlane_b32 s5, v13
	s_waitcnt lgkmcnt(0)
	s_nop 3
	global_store_dword v15, v16, s[4:5]
.LBB252_301:
	;; [unrolled: 55-line block ×7, first 2 shown]
	s_or_b64 exec, exec, s[2:3]
	v_or_b32_e32 v15, 0xc00, v0
	v_cmp_gt_u32_e32 vcc, s16, v15
	s_and_saveexec_b64 s[2:3], vcc
	s_cbranch_execz .LBB252_355
; %bb.347:
	v_cmp_le_u32_e32 vcc, v6, v15
	s_and_saveexec_b64 s[4:5], vcc
	s_xor_b64 s[4:5], exec, s[4:5]
	s_cbranch_execz .LBB252_353
; %bb.348:
	v_cmp_le_u32_e32 vcc, v14, v15
	s_and_saveexec_b64 s[6:7], vcc
	s_xor_b64 s[6:7], exec, s[6:7]
	s_cbranch_execz .LBB252_350
; %bb.349:
	v_add_co_u32_e32 v10, vcc, v1, v15
	v_lshlrev_b32_e32 v0, 2, v0
	v_addc_co_u32_e32 v11, vcc, 0, v8, vcc
	ds_read_b32 v8, v0 offset:12288
	v_lshlrev_b64 v[0:1], 2, v[10:11]
	v_mov_b32_e32 v10, s9
	v_sub_co_u32_e32 v0, vcc, s8, v0
	v_subb_co_u32_e32 v1, vcc, v10, v1, vcc
	s_waitcnt lgkmcnt(0)
	global_store_dword v[0:1], v8, off
                                        ; implicit-def: $vgpr0
                                        ; implicit-def: $vgpr15
                                        ; implicit-def: $vgpr10_vgpr11
.LBB252_350:
	s_andn2_saveexec_b64 s[6:7], s[6:7]
	s_cbranch_execz .LBB252_352
; %bb.351:
	v_lshlrev_b32_e32 v0, 2, v0
	ds_read_b32 v0, v0 offset:12288
	v_lshlrev_b32_e32 v1, 2, v15
	v_readfirstlane_b32 s8, v10
	v_readfirstlane_b32 s9, v11
	s_waitcnt lgkmcnt(0)
	s_nop 3
	global_store_dword v1, v0, s[8:9]
.LBB252_352:
	s_or_b64 exec, exec, s[6:7]
                                        ; implicit-def: $vgpr0
                                        ; implicit-def: $vgpr15
                                        ; implicit-def: $vgpr12_vgpr13
.LBB252_353:
	s_andn2_saveexec_b64 s[4:5], s[4:5]
	s_cbranch_execz .LBB252_355
; %bb.354:
	v_lshlrev_b32_e32 v0, 2, v0
	ds_read_b32 v0, v0 offset:12288
	v_lshlrev_b32_e32 v1, 2, v15
	v_readfirstlane_b32 s4, v12
	v_readfirstlane_b32 s5, v13
	s_waitcnt lgkmcnt(0)
	s_nop 3
	global_store_dword v1, v0, s[4:5]
.LBB252_355:
	s_or_b64 exec, exec, s[2:3]
	s_and_b64 s[0:1], s[0:1], s[30:31]
	s_and_saveexec_b64 s[2:3], s[0:1]
	s_cbranch_execz .LBB252_132
.LBB252_356:
	v_add_co_u32_e32 v0, vcc, v2, v6
	v_addc_co_u32_e32 v1, vcc, 0, v3, vcc
	v_add_co_u32_e32 v2, vcc, v4, v7
	v_addc_co_u32_e32 v3, vcc, 0, v5, vcc
	v_add_co_u32_e32 v2, vcc, v2, v9
	v_mov_b32_e32 v8, 0
	v_addc_co_u32_e32 v3, vcc, 0, v3, vcc
	global_store_dwordx4 v8, v[0:3], s[28:29]
	s_endpgm
	.section	.rodata,"a",@progbits
	.p2align	6, 0x0
	.amdhsa_kernel _ZN7rocprim17ROCPRIM_400000_NS6detail17trampoline_kernelINS0_13select_configILj256ELj13ELNS0_17block_load_methodE3ELS4_3ELS4_3ELNS0_20block_scan_algorithmE0ELj4294967295EEENS1_25partition_config_selectorILNS1_17partition_subalgoE4EjNS0_10empty_typeEbEEZZNS1_14partition_implILS8_4ELb0ES6_15HIP_vector_typeIjLj2EENS0_17counting_iteratorIjlEEPS9_SG_NS0_5tupleIJPjSI_NS0_16reverse_iteratorISI_EEEEENSH_IJSG_SG_SG_EEES9_SI_JZNS1_25segmented_radix_sort_implINS0_14default_configELb1EPKaPaPKlPlN2at6native12_GLOBAL__N_18offset_tEEE10hipError_tPvRmT1_PNSt15iterator_traitsIS12_E10value_typeET2_T3_PNS13_IS18_E10value_typeET4_jRbjT5_S1E_jjP12ihipStream_tbEUljE_ZNSN_ISO_Lb1ESQ_SR_ST_SU_SY_EESZ_S10_S11_S12_S16_S17_S18_S1B_S1C_jS1D_jS1E_S1E_jjS1G_bEUljE0_EEESZ_S10_S11_S18_S1C_S1E_T6_T7_T9_mT8_S1G_bDpT10_ENKUlT_T0_E_clISt17integral_constantIbLb0EES1T_IbLb1EEEEDaS1P_S1Q_EUlS1P_E_NS1_11comp_targetILNS1_3genE4ELNS1_11target_archE910ELNS1_3gpuE8ELNS1_3repE0EEENS1_30default_config_static_selectorELNS0_4arch9wavefront6targetE1EEEvS12_
		.amdhsa_group_segment_fixed_size 13340
		.amdhsa_private_segment_fixed_size 0
		.amdhsa_kernarg_size 184
		.amdhsa_user_sgpr_count 6
		.amdhsa_user_sgpr_private_segment_buffer 1
		.amdhsa_user_sgpr_dispatch_ptr 0
		.amdhsa_user_sgpr_queue_ptr 0
		.amdhsa_user_sgpr_kernarg_segment_ptr 1
		.amdhsa_user_sgpr_dispatch_id 0
		.amdhsa_user_sgpr_flat_scratch_init 0
		.amdhsa_user_sgpr_kernarg_preload_length 0
		.amdhsa_user_sgpr_kernarg_preload_offset 0
		.amdhsa_user_sgpr_private_segment_size 0
		.amdhsa_uses_dynamic_stack 0
		.amdhsa_system_sgpr_private_segment_wavefront_offset 0
		.amdhsa_system_sgpr_workgroup_id_x 1
		.amdhsa_system_sgpr_workgroup_id_y 0
		.amdhsa_system_sgpr_workgroup_id_z 0
		.amdhsa_system_sgpr_workgroup_info 0
		.amdhsa_system_vgpr_workitem_id 0
		.amdhsa_next_free_vgpr 107
		.amdhsa_next_free_sgpr 87
		.amdhsa_accum_offset 108
		.amdhsa_reserve_vcc 1
		.amdhsa_reserve_flat_scratch 0
		.amdhsa_float_round_mode_32 0
		.amdhsa_float_round_mode_16_64 0
		.amdhsa_float_denorm_mode_32 3
		.amdhsa_float_denorm_mode_16_64 3
		.amdhsa_dx10_clamp 1
		.amdhsa_ieee_mode 1
		.amdhsa_fp16_overflow 0
		.amdhsa_tg_split 0
		.amdhsa_exception_fp_ieee_invalid_op 0
		.amdhsa_exception_fp_denorm_src 0
		.amdhsa_exception_fp_ieee_div_zero 0
		.amdhsa_exception_fp_ieee_overflow 0
		.amdhsa_exception_fp_ieee_underflow 0
		.amdhsa_exception_fp_ieee_inexact 0
		.amdhsa_exception_int_div_zero 0
	.end_amdhsa_kernel
	.section	.text._ZN7rocprim17ROCPRIM_400000_NS6detail17trampoline_kernelINS0_13select_configILj256ELj13ELNS0_17block_load_methodE3ELS4_3ELS4_3ELNS0_20block_scan_algorithmE0ELj4294967295EEENS1_25partition_config_selectorILNS1_17partition_subalgoE4EjNS0_10empty_typeEbEEZZNS1_14partition_implILS8_4ELb0ES6_15HIP_vector_typeIjLj2EENS0_17counting_iteratorIjlEEPS9_SG_NS0_5tupleIJPjSI_NS0_16reverse_iteratorISI_EEEEENSH_IJSG_SG_SG_EEES9_SI_JZNS1_25segmented_radix_sort_implINS0_14default_configELb1EPKaPaPKlPlN2at6native12_GLOBAL__N_18offset_tEEE10hipError_tPvRmT1_PNSt15iterator_traitsIS12_E10value_typeET2_T3_PNS13_IS18_E10value_typeET4_jRbjT5_S1E_jjP12ihipStream_tbEUljE_ZNSN_ISO_Lb1ESQ_SR_ST_SU_SY_EESZ_S10_S11_S12_S16_S17_S18_S1B_S1C_jS1D_jS1E_S1E_jjS1G_bEUljE0_EEESZ_S10_S11_S18_S1C_S1E_T6_T7_T9_mT8_S1G_bDpT10_ENKUlT_T0_E_clISt17integral_constantIbLb0EES1T_IbLb1EEEEDaS1P_S1Q_EUlS1P_E_NS1_11comp_targetILNS1_3genE4ELNS1_11target_archE910ELNS1_3gpuE8ELNS1_3repE0EEENS1_30default_config_static_selectorELNS0_4arch9wavefront6targetE1EEEvS12_,"axG",@progbits,_ZN7rocprim17ROCPRIM_400000_NS6detail17trampoline_kernelINS0_13select_configILj256ELj13ELNS0_17block_load_methodE3ELS4_3ELS4_3ELNS0_20block_scan_algorithmE0ELj4294967295EEENS1_25partition_config_selectorILNS1_17partition_subalgoE4EjNS0_10empty_typeEbEEZZNS1_14partition_implILS8_4ELb0ES6_15HIP_vector_typeIjLj2EENS0_17counting_iteratorIjlEEPS9_SG_NS0_5tupleIJPjSI_NS0_16reverse_iteratorISI_EEEEENSH_IJSG_SG_SG_EEES9_SI_JZNS1_25segmented_radix_sort_implINS0_14default_configELb1EPKaPaPKlPlN2at6native12_GLOBAL__N_18offset_tEEE10hipError_tPvRmT1_PNSt15iterator_traitsIS12_E10value_typeET2_T3_PNS13_IS18_E10value_typeET4_jRbjT5_S1E_jjP12ihipStream_tbEUljE_ZNSN_ISO_Lb1ESQ_SR_ST_SU_SY_EESZ_S10_S11_S12_S16_S17_S18_S1B_S1C_jS1D_jS1E_S1E_jjS1G_bEUljE0_EEESZ_S10_S11_S18_S1C_S1E_T6_T7_T9_mT8_S1G_bDpT10_ENKUlT_T0_E_clISt17integral_constantIbLb0EES1T_IbLb1EEEEDaS1P_S1Q_EUlS1P_E_NS1_11comp_targetILNS1_3genE4ELNS1_11target_archE910ELNS1_3gpuE8ELNS1_3repE0EEENS1_30default_config_static_selectorELNS0_4arch9wavefront6targetE1EEEvS12_,comdat
.Lfunc_end252:
	.size	_ZN7rocprim17ROCPRIM_400000_NS6detail17trampoline_kernelINS0_13select_configILj256ELj13ELNS0_17block_load_methodE3ELS4_3ELS4_3ELNS0_20block_scan_algorithmE0ELj4294967295EEENS1_25partition_config_selectorILNS1_17partition_subalgoE4EjNS0_10empty_typeEbEEZZNS1_14partition_implILS8_4ELb0ES6_15HIP_vector_typeIjLj2EENS0_17counting_iteratorIjlEEPS9_SG_NS0_5tupleIJPjSI_NS0_16reverse_iteratorISI_EEEEENSH_IJSG_SG_SG_EEES9_SI_JZNS1_25segmented_radix_sort_implINS0_14default_configELb1EPKaPaPKlPlN2at6native12_GLOBAL__N_18offset_tEEE10hipError_tPvRmT1_PNSt15iterator_traitsIS12_E10value_typeET2_T3_PNS13_IS18_E10value_typeET4_jRbjT5_S1E_jjP12ihipStream_tbEUljE_ZNSN_ISO_Lb1ESQ_SR_ST_SU_SY_EESZ_S10_S11_S12_S16_S17_S18_S1B_S1C_jS1D_jS1E_S1E_jjS1G_bEUljE0_EEESZ_S10_S11_S18_S1C_S1E_T6_T7_T9_mT8_S1G_bDpT10_ENKUlT_T0_E_clISt17integral_constantIbLb0EES1T_IbLb1EEEEDaS1P_S1Q_EUlS1P_E_NS1_11comp_targetILNS1_3genE4ELNS1_11target_archE910ELNS1_3gpuE8ELNS1_3repE0EEENS1_30default_config_static_selectorELNS0_4arch9wavefront6targetE1EEEvS12_, .Lfunc_end252-_ZN7rocprim17ROCPRIM_400000_NS6detail17trampoline_kernelINS0_13select_configILj256ELj13ELNS0_17block_load_methodE3ELS4_3ELS4_3ELNS0_20block_scan_algorithmE0ELj4294967295EEENS1_25partition_config_selectorILNS1_17partition_subalgoE4EjNS0_10empty_typeEbEEZZNS1_14partition_implILS8_4ELb0ES6_15HIP_vector_typeIjLj2EENS0_17counting_iteratorIjlEEPS9_SG_NS0_5tupleIJPjSI_NS0_16reverse_iteratorISI_EEEEENSH_IJSG_SG_SG_EEES9_SI_JZNS1_25segmented_radix_sort_implINS0_14default_configELb1EPKaPaPKlPlN2at6native12_GLOBAL__N_18offset_tEEE10hipError_tPvRmT1_PNSt15iterator_traitsIS12_E10value_typeET2_T3_PNS13_IS18_E10value_typeET4_jRbjT5_S1E_jjP12ihipStream_tbEUljE_ZNSN_ISO_Lb1ESQ_SR_ST_SU_SY_EESZ_S10_S11_S12_S16_S17_S18_S1B_S1C_jS1D_jS1E_S1E_jjS1G_bEUljE0_EEESZ_S10_S11_S18_S1C_S1E_T6_T7_T9_mT8_S1G_bDpT10_ENKUlT_T0_E_clISt17integral_constantIbLb0EES1T_IbLb1EEEEDaS1P_S1Q_EUlS1P_E_NS1_11comp_targetILNS1_3genE4ELNS1_11target_archE910ELNS1_3gpuE8ELNS1_3repE0EEENS1_30default_config_static_selectorELNS0_4arch9wavefront6targetE1EEEvS12_
                                        ; -- End function
	.section	.AMDGPU.csdata,"",@progbits
; Kernel info:
; codeLenInByte = 13432
; NumSgprs: 91
; NumVgprs: 107
; NumAgprs: 0
; TotalNumVgprs: 107
; ScratchSize: 0
; MemoryBound: 0
; FloatMode: 240
; IeeeMode: 1
; LDSByteSize: 13340 bytes/workgroup (compile time only)
; SGPRBlocks: 11
; VGPRBlocks: 13
; NumSGPRsForWavesPerEU: 91
; NumVGPRsForWavesPerEU: 107
; AccumOffset: 108
; Occupancy: 4
; WaveLimiterHint : 1
; COMPUTE_PGM_RSRC2:SCRATCH_EN: 0
; COMPUTE_PGM_RSRC2:USER_SGPR: 6
; COMPUTE_PGM_RSRC2:TRAP_HANDLER: 0
; COMPUTE_PGM_RSRC2:TGID_X_EN: 1
; COMPUTE_PGM_RSRC2:TGID_Y_EN: 0
; COMPUTE_PGM_RSRC2:TGID_Z_EN: 0
; COMPUTE_PGM_RSRC2:TIDIG_COMP_CNT: 0
; COMPUTE_PGM_RSRC3_GFX90A:ACCUM_OFFSET: 26
; COMPUTE_PGM_RSRC3_GFX90A:TG_SPLIT: 0
	.section	.text._ZN7rocprim17ROCPRIM_400000_NS6detail17trampoline_kernelINS0_13select_configILj256ELj13ELNS0_17block_load_methodE3ELS4_3ELS4_3ELNS0_20block_scan_algorithmE0ELj4294967295EEENS1_25partition_config_selectorILNS1_17partition_subalgoE4EjNS0_10empty_typeEbEEZZNS1_14partition_implILS8_4ELb0ES6_15HIP_vector_typeIjLj2EENS0_17counting_iteratorIjlEEPS9_SG_NS0_5tupleIJPjSI_NS0_16reverse_iteratorISI_EEEEENSH_IJSG_SG_SG_EEES9_SI_JZNS1_25segmented_radix_sort_implINS0_14default_configELb1EPKaPaPKlPlN2at6native12_GLOBAL__N_18offset_tEEE10hipError_tPvRmT1_PNSt15iterator_traitsIS12_E10value_typeET2_T3_PNS13_IS18_E10value_typeET4_jRbjT5_S1E_jjP12ihipStream_tbEUljE_ZNSN_ISO_Lb1ESQ_SR_ST_SU_SY_EESZ_S10_S11_S12_S16_S17_S18_S1B_S1C_jS1D_jS1E_S1E_jjS1G_bEUljE0_EEESZ_S10_S11_S18_S1C_S1E_T6_T7_T9_mT8_S1G_bDpT10_ENKUlT_T0_E_clISt17integral_constantIbLb0EES1T_IbLb1EEEEDaS1P_S1Q_EUlS1P_E_NS1_11comp_targetILNS1_3genE3ELNS1_11target_archE908ELNS1_3gpuE7ELNS1_3repE0EEENS1_30default_config_static_selectorELNS0_4arch9wavefront6targetE1EEEvS12_,"axG",@progbits,_ZN7rocprim17ROCPRIM_400000_NS6detail17trampoline_kernelINS0_13select_configILj256ELj13ELNS0_17block_load_methodE3ELS4_3ELS4_3ELNS0_20block_scan_algorithmE0ELj4294967295EEENS1_25partition_config_selectorILNS1_17partition_subalgoE4EjNS0_10empty_typeEbEEZZNS1_14partition_implILS8_4ELb0ES6_15HIP_vector_typeIjLj2EENS0_17counting_iteratorIjlEEPS9_SG_NS0_5tupleIJPjSI_NS0_16reverse_iteratorISI_EEEEENSH_IJSG_SG_SG_EEES9_SI_JZNS1_25segmented_radix_sort_implINS0_14default_configELb1EPKaPaPKlPlN2at6native12_GLOBAL__N_18offset_tEEE10hipError_tPvRmT1_PNSt15iterator_traitsIS12_E10value_typeET2_T3_PNS13_IS18_E10value_typeET4_jRbjT5_S1E_jjP12ihipStream_tbEUljE_ZNSN_ISO_Lb1ESQ_SR_ST_SU_SY_EESZ_S10_S11_S12_S16_S17_S18_S1B_S1C_jS1D_jS1E_S1E_jjS1G_bEUljE0_EEESZ_S10_S11_S18_S1C_S1E_T6_T7_T9_mT8_S1G_bDpT10_ENKUlT_T0_E_clISt17integral_constantIbLb0EES1T_IbLb1EEEEDaS1P_S1Q_EUlS1P_E_NS1_11comp_targetILNS1_3genE3ELNS1_11target_archE908ELNS1_3gpuE7ELNS1_3repE0EEENS1_30default_config_static_selectorELNS0_4arch9wavefront6targetE1EEEvS12_,comdat
	.globl	_ZN7rocprim17ROCPRIM_400000_NS6detail17trampoline_kernelINS0_13select_configILj256ELj13ELNS0_17block_load_methodE3ELS4_3ELS4_3ELNS0_20block_scan_algorithmE0ELj4294967295EEENS1_25partition_config_selectorILNS1_17partition_subalgoE4EjNS0_10empty_typeEbEEZZNS1_14partition_implILS8_4ELb0ES6_15HIP_vector_typeIjLj2EENS0_17counting_iteratorIjlEEPS9_SG_NS0_5tupleIJPjSI_NS0_16reverse_iteratorISI_EEEEENSH_IJSG_SG_SG_EEES9_SI_JZNS1_25segmented_radix_sort_implINS0_14default_configELb1EPKaPaPKlPlN2at6native12_GLOBAL__N_18offset_tEEE10hipError_tPvRmT1_PNSt15iterator_traitsIS12_E10value_typeET2_T3_PNS13_IS18_E10value_typeET4_jRbjT5_S1E_jjP12ihipStream_tbEUljE_ZNSN_ISO_Lb1ESQ_SR_ST_SU_SY_EESZ_S10_S11_S12_S16_S17_S18_S1B_S1C_jS1D_jS1E_S1E_jjS1G_bEUljE0_EEESZ_S10_S11_S18_S1C_S1E_T6_T7_T9_mT8_S1G_bDpT10_ENKUlT_T0_E_clISt17integral_constantIbLb0EES1T_IbLb1EEEEDaS1P_S1Q_EUlS1P_E_NS1_11comp_targetILNS1_3genE3ELNS1_11target_archE908ELNS1_3gpuE7ELNS1_3repE0EEENS1_30default_config_static_selectorELNS0_4arch9wavefront6targetE1EEEvS12_ ; -- Begin function _ZN7rocprim17ROCPRIM_400000_NS6detail17trampoline_kernelINS0_13select_configILj256ELj13ELNS0_17block_load_methodE3ELS4_3ELS4_3ELNS0_20block_scan_algorithmE0ELj4294967295EEENS1_25partition_config_selectorILNS1_17partition_subalgoE4EjNS0_10empty_typeEbEEZZNS1_14partition_implILS8_4ELb0ES6_15HIP_vector_typeIjLj2EENS0_17counting_iteratorIjlEEPS9_SG_NS0_5tupleIJPjSI_NS0_16reverse_iteratorISI_EEEEENSH_IJSG_SG_SG_EEES9_SI_JZNS1_25segmented_radix_sort_implINS0_14default_configELb1EPKaPaPKlPlN2at6native12_GLOBAL__N_18offset_tEEE10hipError_tPvRmT1_PNSt15iterator_traitsIS12_E10value_typeET2_T3_PNS13_IS18_E10value_typeET4_jRbjT5_S1E_jjP12ihipStream_tbEUljE_ZNSN_ISO_Lb1ESQ_SR_ST_SU_SY_EESZ_S10_S11_S12_S16_S17_S18_S1B_S1C_jS1D_jS1E_S1E_jjS1G_bEUljE0_EEESZ_S10_S11_S18_S1C_S1E_T6_T7_T9_mT8_S1G_bDpT10_ENKUlT_T0_E_clISt17integral_constantIbLb0EES1T_IbLb1EEEEDaS1P_S1Q_EUlS1P_E_NS1_11comp_targetILNS1_3genE3ELNS1_11target_archE908ELNS1_3gpuE7ELNS1_3repE0EEENS1_30default_config_static_selectorELNS0_4arch9wavefront6targetE1EEEvS12_
	.p2align	8
	.type	_ZN7rocprim17ROCPRIM_400000_NS6detail17trampoline_kernelINS0_13select_configILj256ELj13ELNS0_17block_load_methodE3ELS4_3ELS4_3ELNS0_20block_scan_algorithmE0ELj4294967295EEENS1_25partition_config_selectorILNS1_17partition_subalgoE4EjNS0_10empty_typeEbEEZZNS1_14partition_implILS8_4ELb0ES6_15HIP_vector_typeIjLj2EENS0_17counting_iteratorIjlEEPS9_SG_NS0_5tupleIJPjSI_NS0_16reverse_iteratorISI_EEEEENSH_IJSG_SG_SG_EEES9_SI_JZNS1_25segmented_radix_sort_implINS0_14default_configELb1EPKaPaPKlPlN2at6native12_GLOBAL__N_18offset_tEEE10hipError_tPvRmT1_PNSt15iterator_traitsIS12_E10value_typeET2_T3_PNS13_IS18_E10value_typeET4_jRbjT5_S1E_jjP12ihipStream_tbEUljE_ZNSN_ISO_Lb1ESQ_SR_ST_SU_SY_EESZ_S10_S11_S12_S16_S17_S18_S1B_S1C_jS1D_jS1E_S1E_jjS1G_bEUljE0_EEESZ_S10_S11_S18_S1C_S1E_T6_T7_T9_mT8_S1G_bDpT10_ENKUlT_T0_E_clISt17integral_constantIbLb0EES1T_IbLb1EEEEDaS1P_S1Q_EUlS1P_E_NS1_11comp_targetILNS1_3genE3ELNS1_11target_archE908ELNS1_3gpuE7ELNS1_3repE0EEENS1_30default_config_static_selectorELNS0_4arch9wavefront6targetE1EEEvS12_,@function
_ZN7rocprim17ROCPRIM_400000_NS6detail17trampoline_kernelINS0_13select_configILj256ELj13ELNS0_17block_load_methodE3ELS4_3ELS4_3ELNS0_20block_scan_algorithmE0ELj4294967295EEENS1_25partition_config_selectorILNS1_17partition_subalgoE4EjNS0_10empty_typeEbEEZZNS1_14partition_implILS8_4ELb0ES6_15HIP_vector_typeIjLj2EENS0_17counting_iteratorIjlEEPS9_SG_NS0_5tupleIJPjSI_NS0_16reverse_iteratorISI_EEEEENSH_IJSG_SG_SG_EEES9_SI_JZNS1_25segmented_radix_sort_implINS0_14default_configELb1EPKaPaPKlPlN2at6native12_GLOBAL__N_18offset_tEEE10hipError_tPvRmT1_PNSt15iterator_traitsIS12_E10value_typeET2_T3_PNS13_IS18_E10value_typeET4_jRbjT5_S1E_jjP12ihipStream_tbEUljE_ZNSN_ISO_Lb1ESQ_SR_ST_SU_SY_EESZ_S10_S11_S12_S16_S17_S18_S1B_S1C_jS1D_jS1E_S1E_jjS1G_bEUljE0_EEESZ_S10_S11_S18_S1C_S1E_T6_T7_T9_mT8_S1G_bDpT10_ENKUlT_T0_E_clISt17integral_constantIbLb0EES1T_IbLb1EEEEDaS1P_S1Q_EUlS1P_E_NS1_11comp_targetILNS1_3genE3ELNS1_11target_archE908ELNS1_3gpuE7ELNS1_3repE0EEENS1_30default_config_static_selectorELNS0_4arch9wavefront6targetE1EEEvS12_: ; @_ZN7rocprim17ROCPRIM_400000_NS6detail17trampoline_kernelINS0_13select_configILj256ELj13ELNS0_17block_load_methodE3ELS4_3ELS4_3ELNS0_20block_scan_algorithmE0ELj4294967295EEENS1_25partition_config_selectorILNS1_17partition_subalgoE4EjNS0_10empty_typeEbEEZZNS1_14partition_implILS8_4ELb0ES6_15HIP_vector_typeIjLj2EENS0_17counting_iteratorIjlEEPS9_SG_NS0_5tupleIJPjSI_NS0_16reverse_iteratorISI_EEEEENSH_IJSG_SG_SG_EEES9_SI_JZNS1_25segmented_radix_sort_implINS0_14default_configELb1EPKaPaPKlPlN2at6native12_GLOBAL__N_18offset_tEEE10hipError_tPvRmT1_PNSt15iterator_traitsIS12_E10value_typeET2_T3_PNS13_IS18_E10value_typeET4_jRbjT5_S1E_jjP12ihipStream_tbEUljE_ZNSN_ISO_Lb1ESQ_SR_ST_SU_SY_EESZ_S10_S11_S12_S16_S17_S18_S1B_S1C_jS1D_jS1E_S1E_jjS1G_bEUljE0_EEESZ_S10_S11_S18_S1C_S1E_T6_T7_T9_mT8_S1G_bDpT10_ENKUlT_T0_E_clISt17integral_constantIbLb0EES1T_IbLb1EEEEDaS1P_S1Q_EUlS1P_E_NS1_11comp_targetILNS1_3genE3ELNS1_11target_archE908ELNS1_3gpuE7ELNS1_3repE0EEENS1_30default_config_static_selectorELNS0_4arch9wavefront6targetE1EEEvS12_
; %bb.0:
	.section	.rodata,"a",@progbits
	.p2align	6, 0x0
	.amdhsa_kernel _ZN7rocprim17ROCPRIM_400000_NS6detail17trampoline_kernelINS0_13select_configILj256ELj13ELNS0_17block_load_methodE3ELS4_3ELS4_3ELNS0_20block_scan_algorithmE0ELj4294967295EEENS1_25partition_config_selectorILNS1_17partition_subalgoE4EjNS0_10empty_typeEbEEZZNS1_14partition_implILS8_4ELb0ES6_15HIP_vector_typeIjLj2EENS0_17counting_iteratorIjlEEPS9_SG_NS0_5tupleIJPjSI_NS0_16reverse_iteratorISI_EEEEENSH_IJSG_SG_SG_EEES9_SI_JZNS1_25segmented_radix_sort_implINS0_14default_configELb1EPKaPaPKlPlN2at6native12_GLOBAL__N_18offset_tEEE10hipError_tPvRmT1_PNSt15iterator_traitsIS12_E10value_typeET2_T3_PNS13_IS18_E10value_typeET4_jRbjT5_S1E_jjP12ihipStream_tbEUljE_ZNSN_ISO_Lb1ESQ_SR_ST_SU_SY_EESZ_S10_S11_S12_S16_S17_S18_S1B_S1C_jS1D_jS1E_S1E_jjS1G_bEUljE0_EEESZ_S10_S11_S18_S1C_S1E_T6_T7_T9_mT8_S1G_bDpT10_ENKUlT_T0_E_clISt17integral_constantIbLb0EES1T_IbLb1EEEEDaS1P_S1Q_EUlS1P_E_NS1_11comp_targetILNS1_3genE3ELNS1_11target_archE908ELNS1_3gpuE7ELNS1_3repE0EEENS1_30default_config_static_selectorELNS0_4arch9wavefront6targetE1EEEvS12_
		.amdhsa_group_segment_fixed_size 0
		.amdhsa_private_segment_fixed_size 0
		.amdhsa_kernarg_size 184
		.amdhsa_user_sgpr_count 6
		.amdhsa_user_sgpr_private_segment_buffer 1
		.amdhsa_user_sgpr_dispatch_ptr 0
		.amdhsa_user_sgpr_queue_ptr 0
		.amdhsa_user_sgpr_kernarg_segment_ptr 1
		.amdhsa_user_sgpr_dispatch_id 0
		.amdhsa_user_sgpr_flat_scratch_init 0
		.amdhsa_user_sgpr_kernarg_preload_length 0
		.amdhsa_user_sgpr_kernarg_preload_offset 0
		.amdhsa_user_sgpr_private_segment_size 0
		.amdhsa_uses_dynamic_stack 0
		.amdhsa_system_sgpr_private_segment_wavefront_offset 0
		.amdhsa_system_sgpr_workgroup_id_x 1
		.amdhsa_system_sgpr_workgroup_id_y 0
		.amdhsa_system_sgpr_workgroup_id_z 0
		.amdhsa_system_sgpr_workgroup_info 0
		.amdhsa_system_vgpr_workitem_id 0
		.amdhsa_next_free_vgpr 1
		.amdhsa_next_free_sgpr 0
		.amdhsa_accum_offset 4
		.amdhsa_reserve_vcc 0
		.amdhsa_reserve_flat_scratch 0
		.amdhsa_float_round_mode_32 0
		.amdhsa_float_round_mode_16_64 0
		.amdhsa_float_denorm_mode_32 3
		.amdhsa_float_denorm_mode_16_64 3
		.amdhsa_dx10_clamp 1
		.amdhsa_ieee_mode 1
		.amdhsa_fp16_overflow 0
		.amdhsa_tg_split 0
		.amdhsa_exception_fp_ieee_invalid_op 0
		.amdhsa_exception_fp_denorm_src 0
		.amdhsa_exception_fp_ieee_div_zero 0
		.amdhsa_exception_fp_ieee_overflow 0
		.amdhsa_exception_fp_ieee_underflow 0
		.amdhsa_exception_fp_ieee_inexact 0
		.amdhsa_exception_int_div_zero 0
	.end_amdhsa_kernel
	.section	.text._ZN7rocprim17ROCPRIM_400000_NS6detail17trampoline_kernelINS0_13select_configILj256ELj13ELNS0_17block_load_methodE3ELS4_3ELS4_3ELNS0_20block_scan_algorithmE0ELj4294967295EEENS1_25partition_config_selectorILNS1_17partition_subalgoE4EjNS0_10empty_typeEbEEZZNS1_14partition_implILS8_4ELb0ES6_15HIP_vector_typeIjLj2EENS0_17counting_iteratorIjlEEPS9_SG_NS0_5tupleIJPjSI_NS0_16reverse_iteratorISI_EEEEENSH_IJSG_SG_SG_EEES9_SI_JZNS1_25segmented_radix_sort_implINS0_14default_configELb1EPKaPaPKlPlN2at6native12_GLOBAL__N_18offset_tEEE10hipError_tPvRmT1_PNSt15iterator_traitsIS12_E10value_typeET2_T3_PNS13_IS18_E10value_typeET4_jRbjT5_S1E_jjP12ihipStream_tbEUljE_ZNSN_ISO_Lb1ESQ_SR_ST_SU_SY_EESZ_S10_S11_S12_S16_S17_S18_S1B_S1C_jS1D_jS1E_S1E_jjS1G_bEUljE0_EEESZ_S10_S11_S18_S1C_S1E_T6_T7_T9_mT8_S1G_bDpT10_ENKUlT_T0_E_clISt17integral_constantIbLb0EES1T_IbLb1EEEEDaS1P_S1Q_EUlS1P_E_NS1_11comp_targetILNS1_3genE3ELNS1_11target_archE908ELNS1_3gpuE7ELNS1_3repE0EEENS1_30default_config_static_selectorELNS0_4arch9wavefront6targetE1EEEvS12_,"axG",@progbits,_ZN7rocprim17ROCPRIM_400000_NS6detail17trampoline_kernelINS0_13select_configILj256ELj13ELNS0_17block_load_methodE3ELS4_3ELS4_3ELNS0_20block_scan_algorithmE0ELj4294967295EEENS1_25partition_config_selectorILNS1_17partition_subalgoE4EjNS0_10empty_typeEbEEZZNS1_14partition_implILS8_4ELb0ES6_15HIP_vector_typeIjLj2EENS0_17counting_iteratorIjlEEPS9_SG_NS0_5tupleIJPjSI_NS0_16reverse_iteratorISI_EEEEENSH_IJSG_SG_SG_EEES9_SI_JZNS1_25segmented_radix_sort_implINS0_14default_configELb1EPKaPaPKlPlN2at6native12_GLOBAL__N_18offset_tEEE10hipError_tPvRmT1_PNSt15iterator_traitsIS12_E10value_typeET2_T3_PNS13_IS18_E10value_typeET4_jRbjT5_S1E_jjP12ihipStream_tbEUljE_ZNSN_ISO_Lb1ESQ_SR_ST_SU_SY_EESZ_S10_S11_S12_S16_S17_S18_S1B_S1C_jS1D_jS1E_S1E_jjS1G_bEUljE0_EEESZ_S10_S11_S18_S1C_S1E_T6_T7_T9_mT8_S1G_bDpT10_ENKUlT_T0_E_clISt17integral_constantIbLb0EES1T_IbLb1EEEEDaS1P_S1Q_EUlS1P_E_NS1_11comp_targetILNS1_3genE3ELNS1_11target_archE908ELNS1_3gpuE7ELNS1_3repE0EEENS1_30default_config_static_selectorELNS0_4arch9wavefront6targetE1EEEvS12_,comdat
.Lfunc_end253:
	.size	_ZN7rocprim17ROCPRIM_400000_NS6detail17trampoline_kernelINS0_13select_configILj256ELj13ELNS0_17block_load_methodE3ELS4_3ELS4_3ELNS0_20block_scan_algorithmE0ELj4294967295EEENS1_25partition_config_selectorILNS1_17partition_subalgoE4EjNS0_10empty_typeEbEEZZNS1_14partition_implILS8_4ELb0ES6_15HIP_vector_typeIjLj2EENS0_17counting_iteratorIjlEEPS9_SG_NS0_5tupleIJPjSI_NS0_16reverse_iteratorISI_EEEEENSH_IJSG_SG_SG_EEES9_SI_JZNS1_25segmented_radix_sort_implINS0_14default_configELb1EPKaPaPKlPlN2at6native12_GLOBAL__N_18offset_tEEE10hipError_tPvRmT1_PNSt15iterator_traitsIS12_E10value_typeET2_T3_PNS13_IS18_E10value_typeET4_jRbjT5_S1E_jjP12ihipStream_tbEUljE_ZNSN_ISO_Lb1ESQ_SR_ST_SU_SY_EESZ_S10_S11_S12_S16_S17_S18_S1B_S1C_jS1D_jS1E_S1E_jjS1G_bEUljE0_EEESZ_S10_S11_S18_S1C_S1E_T6_T7_T9_mT8_S1G_bDpT10_ENKUlT_T0_E_clISt17integral_constantIbLb0EES1T_IbLb1EEEEDaS1P_S1Q_EUlS1P_E_NS1_11comp_targetILNS1_3genE3ELNS1_11target_archE908ELNS1_3gpuE7ELNS1_3repE0EEENS1_30default_config_static_selectorELNS0_4arch9wavefront6targetE1EEEvS12_, .Lfunc_end253-_ZN7rocprim17ROCPRIM_400000_NS6detail17trampoline_kernelINS0_13select_configILj256ELj13ELNS0_17block_load_methodE3ELS4_3ELS4_3ELNS0_20block_scan_algorithmE0ELj4294967295EEENS1_25partition_config_selectorILNS1_17partition_subalgoE4EjNS0_10empty_typeEbEEZZNS1_14partition_implILS8_4ELb0ES6_15HIP_vector_typeIjLj2EENS0_17counting_iteratorIjlEEPS9_SG_NS0_5tupleIJPjSI_NS0_16reverse_iteratorISI_EEEEENSH_IJSG_SG_SG_EEES9_SI_JZNS1_25segmented_radix_sort_implINS0_14default_configELb1EPKaPaPKlPlN2at6native12_GLOBAL__N_18offset_tEEE10hipError_tPvRmT1_PNSt15iterator_traitsIS12_E10value_typeET2_T3_PNS13_IS18_E10value_typeET4_jRbjT5_S1E_jjP12ihipStream_tbEUljE_ZNSN_ISO_Lb1ESQ_SR_ST_SU_SY_EESZ_S10_S11_S12_S16_S17_S18_S1B_S1C_jS1D_jS1E_S1E_jjS1G_bEUljE0_EEESZ_S10_S11_S18_S1C_S1E_T6_T7_T9_mT8_S1G_bDpT10_ENKUlT_T0_E_clISt17integral_constantIbLb0EES1T_IbLb1EEEEDaS1P_S1Q_EUlS1P_E_NS1_11comp_targetILNS1_3genE3ELNS1_11target_archE908ELNS1_3gpuE7ELNS1_3repE0EEENS1_30default_config_static_selectorELNS0_4arch9wavefront6targetE1EEEvS12_
                                        ; -- End function
	.section	.AMDGPU.csdata,"",@progbits
; Kernel info:
; codeLenInByte = 0
; NumSgprs: 4
; NumVgprs: 0
; NumAgprs: 0
; TotalNumVgprs: 0
; ScratchSize: 0
; MemoryBound: 0
; FloatMode: 240
; IeeeMode: 1
; LDSByteSize: 0 bytes/workgroup (compile time only)
; SGPRBlocks: 0
; VGPRBlocks: 0
; NumSGPRsForWavesPerEU: 4
; NumVGPRsForWavesPerEU: 1
; AccumOffset: 4
; Occupancy: 8
; WaveLimiterHint : 0
; COMPUTE_PGM_RSRC2:SCRATCH_EN: 0
; COMPUTE_PGM_RSRC2:USER_SGPR: 6
; COMPUTE_PGM_RSRC2:TRAP_HANDLER: 0
; COMPUTE_PGM_RSRC2:TGID_X_EN: 1
; COMPUTE_PGM_RSRC2:TGID_Y_EN: 0
; COMPUTE_PGM_RSRC2:TGID_Z_EN: 0
; COMPUTE_PGM_RSRC2:TIDIG_COMP_CNT: 0
; COMPUTE_PGM_RSRC3_GFX90A:ACCUM_OFFSET: 0
; COMPUTE_PGM_RSRC3_GFX90A:TG_SPLIT: 0
	.section	.text._ZN7rocprim17ROCPRIM_400000_NS6detail17trampoline_kernelINS0_13select_configILj256ELj13ELNS0_17block_load_methodE3ELS4_3ELS4_3ELNS0_20block_scan_algorithmE0ELj4294967295EEENS1_25partition_config_selectorILNS1_17partition_subalgoE4EjNS0_10empty_typeEbEEZZNS1_14partition_implILS8_4ELb0ES6_15HIP_vector_typeIjLj2EENS0_17counting_iteratorIjlEEPS9_SG_NS0_5tupleIJPjSI_NS0_16reverse_iteratorISI_EEEEENSH_IJSG_SG_SG_EEES9_SI_JZNS1_25segmented_radix_sort_implINS0_14default_configELb1EPKaPaPKlPlN2at6native12_GLOBAL__N_18offset_tEEE10hipError_tPvRmT1_PNSt15iterator_traitsIS12_E10value_typeET2_T3_PNS13_IS18_E10value_typeET4_jRbjT5_S1E_jjP12ihipStream_tbEUljE_ZNSN_ISO_Lb1ESQ_SR_ST_SU_SY_EESZ_S10_S11_S12_S16_S17_S18_S1B_S1C_jS1D_jS1E_S1E_jjS1G_bEUljE0_EEESZ_S10_S11_S18_S1C_S1E_T6_T7_T9_mT8_S1G_bDpT10_ENKUlT_T0_E_clISt17integral_constantIbLb0EES1T_IbLb1EEEEDaS1P_S1Q_EUlS1P_E_NS1_11comp_targetILNS1_3genE2ELNS1_11target_archE906ELNS1_3gpuE6ELNS1_3repE0EEENS1_30default_config_static_selectorELNS0_4arch9wavefront6targetE1EEEvS12_,"axG",@progbits,_ZN7rocprim17ROCPRIM_400000_NS6detail17trampoline_kernelINS0_13select_configILj256ELj13ELNS0_17block_load_methodE3ELS4_3ELS4_3ELNS0_20block_scan_algorithmE0ELj4294967295EEENS1_25partition_config_selectorILNS1_17partition_subalgoE4EjNS0_10empty_typeEbEEZZNS1_14partition_implILS8_4ELb0ES6_15HIP_vector_typeIjLj2EENS0_17counting_iteratorIjlEEPS9_SG_NS0_5tupleIJPjSI_NS0_16reverse_iteratorISI_EEEEENSH_IJSG_SG_SG_EEES9_SI_JZNS1_25segmented_radix_sort_implINS0_14default_configELb1EPKaPaPKlPlN2at6native12_GLOBAL__N_18offset_tEEE10hipError_tPvRmT1_PNSt15iterator_traitsIS12_E10value_typeET2_T3_PNS13_IS18_E10value_typeET4_jRbjT5_S1E_jjP12ihipStream_tbEUljE_ZNSN_ISO_Lb1ESQ_SR_ST_SU_SY_EESZ_S10_S11_S12_S16_S17_S18_S1B_S1C_jS1D_jS1E_S1E_jjS1G_bEUljE0_EEESZ_S10_S11_S18_S1C_S1E_T6_T7_T9_mT8_S1G_bDpT10_ENKUlT_T0_E_clISt17integral_constantIbLb0EES1T_IbLb1EEEEDaS1P_S1Q_EUlS1P_E_NS1_11comp_targetILNS1_3genE2ELNS1_11target_archE906ELNS1_3gpuE6ELNS1_3repE0EEENS1_30default_config_static_selectorELNS0_4arch9wavefront6targetE1EEEvS12_,comdat
	.globl	_ZN7rocprim17ROCPRIM_400000_NS6detail17trampoline_kernelINS0_13select_configILj256ELj13ELNS0_17block_load_methodE3ELS4_3ELS4_3ELNS0_20block_scan_algorithmE0ELj4294967295EEENS1_25partition_config_selectorILNS1_17partition_subalgoE4EjNS0_10empty_typeEbEEZZNS1_14partition_implILS8_4ELb0ES6_15HIP_vector_typeIjLj2EENS0_17counting_iteratorIjlEEPS9_SG_NS0_5tupleIJPjSI_NS0_16reverse_iteratorISI_EEEEENSH_IJSG_SG_SG_EEES9_SI_JZNS1_25segmented_radix_sort_implINS0_14default_configELb1EPKaPaPKlPlN2at6native12_GLOBAL__N_18offset_tEEE10hipError_tPvRmT1_PNSt15iterator_traitsIS12_E10value_typeET2_T3_PNS13_IS18_E10value_typeET4_jRbjT5_S1E_jjP12ihipStream_tbEUljE_ZNSN_ISO_Lb1ESQ_SR_ST_SU_SY_EESZ_S10_S11_S12_S16_S17_S18_S1B_S1C_jS1D_jS1E_S1E_jjS1G_bEUljE0_EEESZ_S10_S11_S18_S1C_S1E_T6_T7_T9_mT8_S1G_bDpT10_ENKUlT_T0_E_clISt17integral_constantIbLb0EES1T_IbLb1EEEEDaS1P_S1Q_EUlS1P_E_NS1_11comp_targetILNS1_3genE2ELNS1_11target_archE906ELNS1_3gpuE6ELNS1_3repE0EEENS1_30default_config_static_selectorELNS0_4arch9wavefront6targetE1EEEvS12_ ; -- Begin function _ZN7rocprim17ROCPRIM_400000_NS6detail17trampoline_kernelINS0_13select_configILj256ELj13ELNS0_17block_load_methodE3ELS4_3ELS4_3ELNS0_20block_scan_algorithmE0ELj4294967295EEENS1_25partition_config_selectorILNS1_17partition_subalgoE4EjNS0_10empty_typeEbEEZZNS1_14partition_implILS8_4ELb0ES6_15HIP_vector_typeIjLj2EENS0_17counting_iteratorIjlEEPS9_SG_NS0_5tupleIJPjSI_NS0_16reverse_iteratorISI_EEEEENSH_IJSG_SG_SG_EEES9_SI_JZNS1_25segmented_radix_sort_implINS0_14default_configELb1EPKaPaPKlPlN2at6native12_GLOBAL__N_18offset_tEEE10hipError_tPvRmT1_PNSt15iterator_traitsIS12_E10value_typeET2_T3_PNS13_IS18_E10value_typeET4_jRbjT5_S1E_jjP12ihipStream_tbEUljE_ZNSN_ISO_Lb1ESQ_SR_ST_SU_SY_EESZ_S10_S11_S12_S16_S17_S18_S1B_S1C_jS1D_jS1E_S1E_jjS1G_bEUljE0_EEESZ_S10_S11_S18_S1C_S1E_T6_T7_T9_mT8_S1G_bDpT10_ENKUlT_T0_E_clISt17integral_constantIbLb0EES1T_IbLb1EEEEDaS1P_S1Q_EUlS1P_E_NS1_11comp_targetILNS1_3genE2ELNS1_11target_archE906ELNS1_3gpuE6ELNS1_3repE0EEENS1_30default_config_static_selectorELNS0_4arch9wavefront6targetE1EEEvS12_
	.p2align	8
	.type	_ZN7rocprim17ROCPRIM_400000_NS6detail17trampoline_kernelINS0_13select_configILj256ELj13ELNS0_17block_load_methodE3ELS4_3ELS4_3ELNS0_20block_scan_algorithmE0ELj4294967295EEENS1_25partition_config_selectorILNS1_17partition_subalgoE4EjNS0_10empty_typeEbEEZZNS1_14partition_implILS8_4ELb0ES6_15HIP_vector_typeIjLj2EENS0_17counting_iteratorIjlEEPS9_SG_NS0_5tupleIJPjSI_NS0_16reverse_iteratorISI_EEEEENSH_IJSG_SG_SG_EEES9_SI_JZNS1_25segmented_radix_sort_implINS0_14default_configELb1EPKaPaPKlPlN2at6native12_GLOBAL__N_18offset_tEEE10hipError_tPvRmT1_PNSt15iterator_traitsIS12_E10value_typeET2_T3_PNS13_IS18_E10value_typeET4_jRbjT5_S1E_jjP12ihipStream_tbEUljE_ZNSN_ISO_Lb1ESQ_SR_ST_SU_SY_EESZ_S10_S11_S12_S16_S17_S18_S1B_S1C_jS1D_jS1E_S1E_jjS1G_bEUljE0_EEESZ_S10_S11_S18_S1C_S1E_T6_T7_T9_mT8_S1G_bDpT10_ENKUlT_T0_E_clISt17integral_constantIbLb0EES1T_IbLb1EEEEDaS1P_S1Q_EUlS1P_E_NS1_11comp_targetILNS1_3genE2ELNS1_11target_archE906ELNS1_3gpuE6ELNS1_3repE0EEENS1_30default_config_static_selectorELNS0_4arch9wavefront6targetE1EEEvS12_,@function
_ZN7rocprim17ROCPRIM_400000_NS6detail17trampoline_kernelINS0_13select_configILj256ELj13ELNS0_17block_load_methodE3ELS4_3ELS4_3ELNS0_20block_scan_algorithmE0ELj4294967295EEENS1_25partition_config_selectorILNS1_17partition_subalgoE4EjNS0_10empty_typeEbEEZZNS1_14partition_implILS8_4ELb0ES6_15HIP_vector_typeIjLj2EENS0_17counting_iteratorIjlEEPS9_SG_NS0_5tupleIJPjSI_NS0_16reverse_iteratorISI_EEEEENSH_IJSG_SG_SG_EEES9_SI_JZNS1_25segmented_radix_sort_implINS0_14default_configELb1EPKaPaPKlPlN2at6native12_GLOBAL__N_18offset_tEEE10hipError_tPvRmT1_PNSt15iterator_traitsIS12_E10value_typeET2_T3_PNS13_IS18_E10value_typeET4_jRbjT5_S1E_jjP12ihipStream_tbEUljE_ZNSN_ISO_Lb1ESQ_SR_ST_SU_SY_EESZ_S10_S11_S12_S16_S17_S18_S1B_S1C_jS1D_jS1E_S1E_jjS1G_bEUljE0_EEESZ_S10_S11_S18_S1C_S1E_T6_T7_T9_mT8_S1G_bDpT10_ENKUlT_T0_E_clISt17integral_constantIbLb0EES1T_IbLb1EEEEDaS1P_S1Q_EUlS1P_E_NS1_11comp_targetILNS1_3genE2ELNS1_11target_archE906ELNS1_3gpuE6ELNS1_3repE0EEENS1_30default_config_static_selectorELNS0_4arch9wavefront6targetE1EEEvS12_: ; @_ZN7rocprim17ROCPRIM_400000_NS6detail17trampoline_kernelINS0_13select_configILj256ELj13ELNS0_17block_load_methodE3ELS4_3ELS4_3ELNS0_20block_scan_algorithmE0ELj4294967295EEENS1_25partition_config_selectorILNS1_17partition_subalgoE4EjNS0_10empty_typeEbEEZZNS1_14partition_implILS8_4ELb0ES6_15HIP_vector_typeIjLj2EENS0_17counting_iteratorIjlEEPS9_SG_NS0_5tupleIJPjSI_NS0_16reverse_iteratorISI_EEEEENSH_IJSG_SG_SG_EEES9_SI_JZNS1_25segmented_radix_sort_implINS0_14default_configELb1EPKaPaPKlPlN2at6native12_GLOBAL__N_18offset_tEEE10hipError_tPvRmT1_PNSt15iterator_traitsIS12_E10value_typeET2_T3_PNS13_IS18_E10value_typeET4_jRbjT5_S1E_jjP12ihipStream_tbEUljE_ZNSN_ISO_Lb1ESQ_SR_ST_SU_SY_EESZ_S10_S11_S12_S16_S17_S18_S1B_S1C_jS1D_jS1E_S1E_jjS1G_bEUljE0_EEESZ_S10_S11_S18_S1C_S1E_T6_T7_T9_mT8_S1G_bDpT10_ENKUlT_T0_E_clISt17integral_constantIbLb0EES1T_IbLb1EEEEDaS1P_S1Q_EUlS1P_E_NS1_11comp_targetILNS1_3genE2ELNS1_11target_archE906ELNS1_3gpuE6ELNS1_3repE0EEENS1_30default_config_static_selectorELNS0_4arch9wavefront6targetE1EEEvS12_
; %bb.0:
	.section	.rodata,"a",@progbits
	.p2align	6, 0x0
	.amdhsa_kernel _ZN7rocprim17ROCPRIM_400000_NS6detail17trampoline_kernelINS0_13select_configILj256ELj13ELNS0_17block_load_methodE3ELS4_3ELS4_3ELNS0_20block_scan_algorithmE0ELj4294967295EEENS1_25partition_config_selectorILNS1_17partition_subalgoE4EjNS0_10empty_typeEbEEZZNS1_14partition_implILS8_4ELb0ES6_15HIP_vector_typeIjLj2EENS0_17counting_iteratorIjlEEPS9_SG_NS0_5tupleIJPjSI_NS0_16reverse_iteratorISI_EEEEENSH_IJSG_SG_SG_EEES9_SI_JZNS1_25segmented_radix_sort_implINS0_14default_configELb1EPKaPaPKlPlN2at6native12_GLOBAL__N_18offset_tEEE10hipError_tPvRmT1_PNSt15iterator_traitsIS12_E10value_typeET2_T3_PNS13_IS18_E10value_typeET4_jRbjT5_S1E_jjP12ihipStream_tbEUljE_ZNSN_ISO_Lb1ESQ_SR_ST_SU_SY_EESZ_S10_S11_S12_S16_S17_S18_S1B_S1C_jS1D_jS1E_S1E_jjS1G_bEUljE0_EEESZ_S10_S11_S18_S1C_S1E_T6_T7_T9_mT8_S1G_bDpT10_ENKUlT_T0_E_clISt17integral_constantIbLb0EES1T_IbLb1EEEEDaS1P_S1Q_EUlS1P_E_NS1_11comp_targetILNS1_3genE2ELNS1_11target_archE906ELNS1_3gpuE6ELNS1_3repE0EEENS1_30default_config_static_selectorELNS0_4arch9wavefront6targetE1EEEvS12_
		.amdhsa_group_segment_fixed_size 0
		.amdhsa_private_segment_fixed_size 0
		.amdhsa_kernarg_size 184
		.amdhsa_user_sgpr_count 6
		.amdhsa_user_sgpr_private_segment_buffer 1
		.amdhsa_user_sgpr_dispatch_ptr 0
		.amdhsa_user_sgpr_queue_ptr 0
		.amdhsa_user_sgpr_kernarg_segment_ptr 1
		.amdhsa_user_sgpr_dispatch_id 0
		.amdhsa_user_sgpr_flat_scratch_init 0
		.amdhsa_user_sgpr_kernarg_preload_length 0
		.amdhsa_user_sgpr_kernarg_preload_offset 0
		.amdhsa_user_sgpr_private_segment_size 0
		.amdhsa_uses_dynamic_stack 0
		.amdhsa_system_sgpr_private_segment_wavefront_offset 0
		.amdhsa_system_sgpr_workgroup_id_x 1
		.amdhsa_system_sgpr_workgroup_id_y 0
		.amdhsa_system_sgpr_workgroup_id_z 0
		.amdhsa_system_sgpr_workgroup_info 0
		.amdhsa_system_vgpr_workitem_id 0
		.amdhsa_next_free_vgpr 1
		.amdhsa_next_free_sgpr 0
		.amdhsa_accum_offset 4
		.amdhsa_reserve_vcc 0
		.amdhsa_reserve_flat_scratch 0
		.amdhsa_float_round_mode_32 0
		.amdhsa_float_round_mode_16_64 0
		.amdhsa_float_denorm_mode_32 3
		.amdhsa_float_denorm_mode_16_64 3
		.amdhsa_dx10_clamp 1
		.amdhsa_ieee_mode 1
		.amdhsa_fp16_overflow 0
		.amdhsa_tg_split 0
		.amdhsa_exception_fp_ieee_invalid_op 0
		.amdhsa_exception_fp_denorm_src 0
		.amdhsa_exception_fp_ieee_div_zero 0
		.amdhsa_exception_fp_ieee_overflow 0
		.amdhsa_exception_fp_ieee_underflow 0
		.amdhsa_exception_fp_ieee_inexact 0
		.amdhsa_exception_int_div_zero 0
	.end_amdhsa_kernel
	.section	.text._ZN7rocprim17ROCPRIM_400000_NS6detail17trampoline_kernelINS0_13select_configILj256ELj13ELNS0_17block_load_methodE3ELS4_3ELS4_3ELNS0_20block_scan_algorithmE0ELj4294967295EEENS1_25partition_config_selectorILNS1_17partition_subalgoE4EjNS0_10empty_typeEbEEZZNS1_14partition_implILS8_4ELb0ES6_15HIP_vector_typeIjLj2EENS0_17counting_iteratorIjlEEPS9_SG_NS0_5tupleIJPjSI_NS0_16reverse_iteratorISI_EEEEENSH_IJSG_SG_SG_EEES9_SI_JZNS1_25segmented_radix_sort_implINS0_14default_configELb1EPKaPaPKlPlN2at6native12_GLOBAL__N_18offset_tEEE10hipError_tPvRmT1_PNSt15iterator_traitsIS12_E10value_typeET2_T3_PNS13_IS18_E10value_typeET4_jRbjT5_S1E_jjP12ihipStream_tbEUljE_ZNSN_ISO_Lb1ESQ_SR_ST_SU_SY_EESZ_S10_S11_S12_S16_S17_S18_S1B_S1C_jS1D_jS1E_S1E_jjS1G_bEUljE0_EEESZ_S10_S11_S18_S1C_S1E_T6_T7_T9_mT8_S1G_bDpT10_ENKUlT_T0_E_clISt17integral_constantIbLb0EES1T_IbLb1EEEEDaS1P_S1Q_EUlS1P_E_NS1_11comp_targetILNS1_3genE2ELNS1_11target_archE906ELNS1_3gpuE6ELNS1_3repE0EEENS1_30default_config_static_selectorELNS0_4arch9wavefront6targetE1EEEvS12_,"axG",@progbits,_ZN7rocprim17ROCPRIM_400000_NS6detail17trampoline_kernelINS0_13select_configILj256ELj13ELNS0_17block_load_methodE3ELS4_3ELS4_3ELNS0_20block_scan_algorithmE0ELj4294967295EEENS1_25partition_config_selectorILNS1_17partition_subalgoE4EjNS0_10empty_typeEbEEZZNS1_14partition_implILS8_4ELb0ES6_15HIP_vector_typeIjLj2EENS0_17counting_iteratorIjlEEPS9_SG_NS0_5tupleIJPjSI_NS0_16reverse_iteratorISI_EEEEENSH_IJSG_SG_SG_EEES9_SI_JZNS1_25segmented_radix_sort_implINS0_14default_configELb1EPKaPaPKlPlN2at6native12_GLOBAL__N_18offset_tEEE10hipError_tPvRmT1_PNSt15iterator_traitsIS12_E10value_typeET2_T3_PNS13_IS18_E10value_typeET4_jRbjT5_S1E_jjP12ihipStream_tbEUljE_ZNSN_ISO_Lb1ESQ_SR_ST_SU_SY_EESZ_S10_S11_S12_S16_S17_S18_S1B_S1C_jS1D_jS1E_S1E_jjS1G_bEUljE0_EEESZ_S10_S11_S18_S1C_S1E_T6_T7_T9_mT8_S1G_bDpT10_ENKUlT_T0_E_clISt17integral_constantIbLb0EES1T_IbLb1EEEEDaS1P_S1Q_EUlS1P_E_NS1_11comp_targetILNS1_3genE2ELNS1_11target_archE906ELNS1_3gpuE6ELNS1_3repE0EEENS1_30default_config_static_selectorELNS0_4arch9wavefront6targetE1EEEvS12_,comdat
.Lfunc_end254:
	.size	_ZN7rocprim17ROCPRIM_400000_NS6detail17trampoline_kernelINS0_13select_configILj256ELj13ELNS0_17block_load_methodE3ELS4_3ELS4_3ELNS0_20block_scan_algorithmE0ELj4294967295EEENS1_25partition_config_selectorILNS1_17partition_subalgoE4EjNS0_10empty_typeEbEEZZNS1_14partition_implILS8_4ELb0ES6_15HIP_vector_typeIjLj2EENS0_17counting_iteratorIjlEEPS9_SG_NS0_5tupleIJPjSI_NS0_16reverse_iteratorISI_EEEEENSH_IJSG_SG_SG_EEES9_SI_JZNS1_25segmented_radix_sort_implINS0_14default_configELb1EPKaPaPKlPlN2at6native12_GLOBAL__N_18offset_tEEE10hipError_tPvRmT1_PNSt15iterator_traitsIS12_E10value_typeET2_T3_PNS13_IS18_E10value_typeET4_jRbjT5_S1E_jjP12ihipStream_tbEUljE_ZNSN_ISO_Lb1ESQ_SR_ST_SU_SY_EESZ_S10_S11_S12_S16_S17_S18_S1B_S1C_jS1D_jS1E_S1E_jjS1G_bEUljE0_EEESZ_S10_S11_S18_S1C_S1E_T6_T7_T9_mT8_S1G_bDpT10_ENKUlT_T0_E_clISt17integral_constantIbLb0EES1T_IbLb1EEEEDaS1P_S1Q_EUlS1P_E_NS1_11comp_targetILNS1_3genE2ELNS1_11target_archE906ELNS1_3gpuE6ELNS1_3repE0EEENS1_30default_config_static_selectorELNS0_4arch9wavefront6targetE1EEEvS12_, .Lfunc_end254-_ZN7rocprim17ROCPRIM_400000_NS6detail17trampoline_kernelINS0_13select_configILj256ELj13ELNS0_17block_load_methodE3ELS4_3ELS4_3ELNS0_20block_scan_algorithmE0ELj4294967295EEENS1_25partition_config_selectorILNS1_17partition_subalgoE4EjNS0_10empty_typeEbEEZZNS1_14partition_implILS8_4ELb0ES6_15HIP_vector_typeIjLj2EENS0_17counting_iteratorIjlEEPS9_SG_NS0_5tupleIJPjSI_NS0_16reverse_iteratorISI_EEEEENSH_IJSG_SG_SG_EEES9_SI_JZNS1_25segmented_radix_sort_implINS0_14default_configELb1EPKaPaPKlPlN2at6native12_GLOBAL__N_18offset_tEEE10hipError_tPvRmT1_PNSt15iterator_traitsIS12_E10value_typeET2_T3_PNS13_IS18_E10value_typeET4_jRbjT5_S1E_jjP12ihipStream_tbEUljE_ZNSN_ISO_Lb1ESQ_SR_ST_SU_SY_EESZ_S10_S11_S12_S16_S17_S18_S1B_S1C_jS1D_jS1E_S1E_jjS1G_bEUljE0_EEESZ_S10_S11_S18_S1C_S1E_T6_T7_T9_mT8_S1G_bDpT10_ENKUlT_T0_E_clISt17integral_constantIbLb0EES1T_IbLb1EEEEDaS1P_S1Q_EUlS1P_E_NS1_11comp_targetILNS1_3genE2ELNS1_11target_archE906ELNS1_3gpuE6ELNS1_3repE0EEENS1_30default_config_static_selectorELNS0_4arch9wavefront6targetE1EEEvS12_
                                        ; -- End function
	.section	.AMDGPU.csdata,"",@progbits
; Kernel info:
; codeLenInByte = 0
; NumSgprs: 4
; NumVgprs: 0
; NumAgprs: 0
; TotalNumVgprs: 0
; ScratchSize: 0
; MemoryBound: 0
; FloatMode: 240
; IeeeMode: 1
; LDSByteSize: 0 bytes/workgroup (compile time only)
; SGPRBlocks: 0
; VGPRBlocks: 0
; NumSGPRsForWavesPerEU: 4
; NumVGPRsForWavesPerEU: 1
; AccumOffset: 4
; Occupancy: 8
; WaveLimiterHint : 0
; COMPUTE_PGM_RSRC2:SCRATCH_EN: 0
; COMPUTE_PGM_RSRC2:USER_SGPR: 6
; COMPUTE_PGM_RSRC2:TRAP_HANDLER: 0
; COMPUTE_PGM_RSRC2:TGID_X_EN: 1
; COMPUTE_PGM_RSRC2:TGID_Y_EN: 0
; COMPUTE_PGM_RSRC2:TGID_Z_EN: 0
; COMPUTE_PGM_RSRC2:TIDIG_COMP_CNT: 0
; COMPUTE_PGM_RSRC3_GFX90A:ACCUM_OFFSET: 0
; COMPUTE_PGM_RSRC3_GFX90A:TG_SPLIT: 0
	.section	.text._ZN7rocprim17ROCPRIM_400000_NS6detail17trampoline_kernelINS0_13select_configILj256ELj13ELNS0_17block_load_methodE3ELS4_3ELS4_3ELNS0_20block_scan_algorithmE0ELj4294967295EEENS1_25partition_config_selectorILNS1_17partition_subalgoE4EjNS0_10empty_typeEbEEZZNS1_14partition_implILS8_4ELb0ES6_15HIP_vector_typeIjLj2EENS0_17counting_iteratorIjlEEPS9_SG_NS0_5tupleIJPjSI_NS0_16reverse_iteratorISI_EEEEENSH_IJSG_SG_SG_EEES9_SI_JZNS1_25segmented_radix_sort_implINS0_14default_configELb1EPKaPaPKlPlN2at6native12_GLOBAL__N_18offset_tEEE10hipError_tPvRmT1_PNSt15iterator_traitsIS12_E10value_typeET2_T3_PNS13_IS18_E10value_typeET4_jRbjT5_S1E_jjP12ihipStream_tbEUljE_ZNSN_ISO_Lb1ESQ_SR_ST_SU_SY_EESZ_S10_S11_S12_S16_S17_S18_S1B_S1C_jS1D_jS1E_S1E_jjS1G_bEUljE0_EEESZ_S10_S11_S18_S1C_S1E_T6_T7_T9_mT8_S1G_bDpT10_ENKUlT_T0_E_clISt17integral_constantIbLb0EES1T_IbLb1EEEEDaS1P_S1Q_EUlS1P_E_NS1_11comp_targetILNS1_3genE10ELNS1_11target_archE1200ELNS1_3gpuE4ELNS1_3repE0EEENS1_30default_config_static_selectorELNS0_4arch9wavefront6targetE1EEEvS12_,"axG",@progbits,_ZN7rocprim17ROCPRIM_400000_NS6detail17trampoline_kernelINS0_13select_configILj256ELj13ELNS0_17block_load_methodE3ELS4_3ELS4_3ELNS0_20block_scan_algorithmE0ELj4294967295EEENS1_25partition_config_selectorILNS1_17partition_subalgoE4EjNS0_10empty_typeEbEEZZNS1_14partition_implILS8_4ELb0ES6_15HIP_vector_typeIjLj2EENS0_17counting_iteratorIjlEEPS9_SG_NS0_5tupleIJPjSI_NS0_16reverse_iteratorISI_EEEEENSH_IJSG_SG_SG_EEES9_SI_JZNS1_25segmented_radix_sort_implINS0_14default_configELb1EPKaPaPKlPlN2at6native12_GLOBAL__N_18offset_tEEE10hipError_tPvRmT1_PNSt15iterator_traitsIS12_E10value_typeET2_T3_PNS13_IS18_E10value_typeET4_jRbjT5_S1E_jjP12ihipStream_tbEUljE_ZNSN_ISO_Lb1ESQ_SR_ST_SU_SY_EESZ_S10_S11_S12_S16_S17_S18_S1B_S1C_jS1D_jS1E_S1E_jjS1G_bEUljE0_EEESZ_S10_S11_S18_S1C_S1E_T6_T7_T9_mT8_S1G_bDpT10_ENKUlT_T0_E_clISt17integral_constantIbLb0EES1T_IbLb1EEEEDaS1P_S1Q_EUlS1P_E_NS1_11comp_targetILNS1_3genE10ELNS1_11target_archE1200ELNS1_3gpuE4ELNS1_3repE0EEENS1_30default_config_static_selectorELNS0_4arch9wavefront6targetE1EEEvS12_,comdat
	.globl	_ZN7rocprim17ROCPRIM_400000_NS6detail17trampoline_kernelINS0_13select_configILj256ELj13ELNS0_17block_load_methodE3ELS4_3ELS4_3ELNS0_20block_scan_algorithmE0ELj4294967295EEENS1_25partition_config_selectorILNS1_17partition_subalgoE4EjNS0_10empty_typeEbEEZZNS1_14partition_implILS8_4ELb0ES6_15HIP_vector_typeIjLj2EENS0_17counting_iteratorIjlEEPS9_SG_NS0_5tupleIJPjSI_NS0_16reverse_iteratorISI_EEEEENSH_IJSG_SG_SG_EEES9_SI_JZNS1_25segmented_radix_sort_implINS0_14default_configELb1EPKaPaPKlPlN2at6native12_GLOBAL__N_18offset_tEEE10hipError_tPvRmT1_PNSt15iterator_traitsIS12_E10value_typeET2_T3_PNS13_IS18_E10value_typeET4_jRbjT5_S1E_jjP12ihipStream_tbEUljE_ZNSN_ISO_Lb1ESQ_SR_ST_SU_SY_EESZ_S10_S11_S12_S16_S17_S18_S1B_S1C_jS1D_jS1E_S1E_jjS1G_bEUljE0_EEESZ_S10_S11_S18_S1C_S1E_T6_T7_T9_mT8_S1G_bDpT10_ENKUlT_T0_E_clISt17integral_constantIbLb0EES1T_IbLb1EEEEDaS1P_S1Q_EUlS1P_E_NS1_11comp_targetILNS1_3genE10ELNS1_11target_archE1200ELNS1_3gpuE4ELNS1_3repE0EEENS1_30default_config_static_selectorELNS0_4arch9wavefront6targetE1EEEvS12_ ; -- Begin function _ZN7rocprim17ROCPRIM_400000_NS6detail17trampoline_kernelINS0_13select_configILj256ELj13ELNS0_17block_load_methodE3ELS4_3ELS4_3ELNS0_20block_scan_algorithmE0ELj4294967295EEENS1_25partition_config_selectorILNS1_17partition_subalgoE4EjNS0_10empty_typeEbEEZZNS1_14partition_implILS8_4ELb0ES6_15HIP_vector_typeIjLj2EENS0_17counting_iteratorIjlEEPS9_SG_NS0_5tupleIJPjSI_NS0_16reverse_iteratorISI_EEEEENSH_IJSG_SG_SG_EEES9_SI_JZNS1_25segmented_radix_sort_implINS0_14default_configELb1EPKaPaPKlPlN2at6native12_GLOBAL__N_18offset_tEEE10hipError_tPvRmT1_PNSt15iterator_traitsIS12_E10value_typeET2_T3_PNS13_IS18_E10value_typeET4_jRbjT5_S1E_jjP12ihipStream_tbEUljE_ZNSN_ISO_Lb1ESQ_SR_ST_SU_SY_EESZ_S10_S11_S12_S16_S17_S18_S1B_S1C_jS1D_jS1E_S1E_jjS1G_bEUljE0_EEESZ_S10_S11_S18_S1C_S1E_T6_T7_T9_mT8_S1G_bDpT10_ENKUlT_T0_E_clISt17integral_constantIbLb0EES1T_IbLb1EEEEDaS1P_S1Q_EUlS1P_E_NS1_11comp_targetILNS1_3genE10ELNS1_11target_archE1200ELNS1_3gpuE4ELNS1_3repE0EEENS1_30default_config_static_selectorELNS0_4arch9wavefront6targetE1EEEvS12_
	.p2align	8
	.type	_ZN7rocprim17ROCPRIM_400000_NS6detail17trampoline_kernelINS0_13select_configILj256ELj13ELNS0_17block_load_methodE3ELS4_3ELS4_3ELNS0_20block_scan_algorithmE0ELj4294967295EEENS1_25partition_config_selectorILNS1_17partition_subalgoE4EjNS0_10empty_typeEbEEZZNS1_14partition_implILS8_4ELb0ES6_15HIP_vector_typeIjLj2EENS0_17counting_iteratorIjlEEPS9_SG_NS0_5tupleIJPjSI_NS0_16reverse_iteratorISI_EEEEENSH_IJSG_SG_SG_EEES9_SI_JZNS1_25segmented_radix_sort_implINS0_14default_configELb1EPKaPaPKlPlN2at6native12_GLOBAL__N_18offset_tEEE10hipError_tPvRmT1_PNSt15iterator_traitsIS12_E10value_typeET2_T3_PNS13_IS18_E10value_typeET4_jRbjT5_S1E_jjP12ihipStream_tbEUljE_ZNSN_ISO_Lb1ESQ_SR_ST_SU_SY_EESZ_S10_S11_S12_S16_S17_S18_S1B_S1C_jS1D_jS1E_S1E_jjS1G_bEUljE0_EEESZ_S10_S11_S18_S1C_S1E_T6_T7_T9_mT8_S1G_bDpT10_ENKUlT_T0_E_clISt17integral_constantIbLb0EES1T_IbLb1EEEEDaS1P_S1Q_EUlS1P_E_NS1_11comp_targetILNS1_3genE10ELNS1_11target_archE1200ELNS1_3gpuE4ELNS1_3repE0EEENS1_30default_config_static_selectorELNS0_4arch9wavefront6targetE1EEEvS12_,@function
_ZN7rocprim17ROCPRIM_400000_NS6detail17trampoline_kernelINS0_13select_configILj256ELj13ELNS0_17block_load_methodE3ELS4_3ELS4_3ELNS0_20block_scan_algorithmE0ELj4294967295EEENS1_25partition_config_selectorILNS1_17partition_subalgoE4EjNS0_10empty_typeEbEEZZNS1_14partition_implILS8_4ELb0ES6_15HIP_vector_typeIjLj2EENS0_17counting_iteratorIjlEEPS9_SG_NS0_5tupleIJPjSI_NS0_16reverse_iteratorISI_EEEEENSH_IJSG_SG_SG_EEES9_SI_JZNS1_25segmented_radix_sort_implINS0_14default_configELb1EPKaPaPKlPlN2at6native12_GLOBAL__N_18offset_tEEE10hipError_tPvRmT1_PNSt15iterator_traitsIS12_E10value_typeET2_T3_PNS13_IS18_E10value_typeET4_jRbjT5_S1E_jjP12ihipStream_tbEUljE_ZNSN_ISO_Lb1ESQ_SR_ST_SU_SY_EESZ_S10_S11_S12_S16_S17_S18_S1B_S1C_jS1D_jS1E_S1E_jjS1G_bEUljE0_EEESZ_S10_S11_S18_S1C_S1E_T6_T7_T9_mT8_S1G_bDpT10_ENKUlT_T0_E_clISt17integral_constantIbLb0EES1T_IbLb1EEEEDaS1P_S1Q_EUlS1P_E_NS1_11comp_targetILNS1_3genE10ELNS1_11target_archE1200ELNS1_3gpuE4ELNS1_3repE0EEENS1_30default_config_static_selectorELNS0_4arch9wavefront6targetE1EEEvS12_: ; @_ZN7rocprim17ROCPRIM_400000_NS6detail17trampoline_kernelINS0_13select_configILj256ELj13ELNS0_17block_load_methodE3ELS4_3ELS4_3ELNS0_20block_scan_algorithmE0ELj4294967295EEENS1_25partition_config_selectorILNS1_17partition_subalgoE4EjNS0_10empty_typeEbEEZZNS1_14partition_implILS8_4ELb0ES6_15HIP_vector_typeIjLj2EENS0_17counting_iteratorIjlEEPS9_SG_NS0_5tupleIJPjSI_NS0_16reverse_iteratorISI_EEEEENSH_IJSG_SG_SG_EEES9_SI_JZNS1_25segmented_radix_sort_implINS0_14default_configELb1EPKaPaPKlPlN2at6native12_GLOBAL__N_18offset_tEEE10hipError_tPvRmT1_PNSt15iterator_traitsIS12_E10value_typeET2_T3_PNS13_IS18_E10value_typeET4_jRbjT5_S1E_jjP12ihipStream_tbEUljE_ZNSN_ISO_Lb1ESQ_SR_ST_SU_SY_EESZ_S10_S11_S12_S16_S17_S18_S1B_S1C_jS1D_jS1E_S1E_jjS1G_bEUljE0_EEESZ_S10_S11_S18_S1C_S1E_T6_T7_T9_mT8_S1G_bDpT10_ENKUlT_T0_E_clISt17integral_constantIbLb0EES1T_IbLb1EEEEDaS1P_S1Q_EUlS1P_E_NS1_11comp_targetILNS1_3genE10ELNS1_11target_archE1200ELNS1_3gpuE4ELNS1_3repE0EEENS1_30default_config_static_selectorELNS0_4arch9wavefront6targetE1EEEvS12_
; %bb.0:
	.section	.rodata,"a",@progbits
	.p2align	6, 0x0
	.amdhsa_kernel _ZN7rocprim17ROCPRIM_400000_NS6detail17trampoline_kernelINS0_13select_configILj256ELj13ELNS0_17block_load_methodE3ELS4_3ELS4_3ELNS0_20block_scan_algorithmE0ELj4294967295EEENS1_25partition_config_selectorILNS1_17partition_subalgoE4EjNS0_10empty_typeEbEEZZNS1_14partition_implILS8_4ELb0ES6_15HIP_vector_typeIjLj2EENS0_17counting_iteratorIjlEEPS9_SG_NS0_5tupleIJPjSI_NS0_16reverse_iteratorISI_EEEEENSH_IJSG_SG_SG_EEES9_SI_JZNS1_25segmented_radix_sort_implINS0_14default_configELb1EPKaPaPKlPlN2at6native12_GLOBAL__N_18offset_tEEE10hipError_tPvRmT1_PNSt15iterator_traitsIS12_E10value_typeET2_T3_PNS13_IS18_E10value_typeET4_jRbjT5_S1E_jjP12ihipStream_tbEUljE_ZNSN_ISO_Lb1ESQ_SR_ST_SU_SY_EESZ_S10_S11_S12_S16_S17_S18_S1B_S1C_jS1D_jS1E_S1E_jjS1G_bEUljE0_EEESZ_S10_S11_S18_S1C_S1E_T6_T7_T9_mT8_S1G_bDpT10_ENKUlT_T0_E_clISt17integral_constantIbLb0EES1T_IbLb1EEEEDaS1P_S1Q_EUlS1P_E_NS1_11comp_targetILNS1_3genE10ELNS1_11target_archE1200ELNS1_3gpuE4ELNS1_3repE0EEENS1_30default_config_static_selectorELNS0_4arch9wavefront6targetE1EEEvS12_
		.amdhsa_group_segment_fixed_size 0
		.amdhsa_private_segment_fixed_size 0
		.amdhsa_kernarg_size 184
		.amdhsa_user_sgpr_count 6
		.amdhsa_user_sgpr_private_segment_buffer 1
		.amdhsa_user_sgpr_dispatch_ptr 0
		.amdhsa_user_sgpr_queue_ptr 0
		.amdhsa_user_sgpr_kernarg_segment_ptr 1
		.amdhsa_user_sgpr_dispatch_id 0
		.amdhsa_user_sgpr_flat_scratch_init 0
		.amdhsa_user_sgpr_kernarg_preload_length 0
		.amdhsa_user_sgpr_kernarg_preload_offset 0
		.amdhsa_user_sgpr_private_segment_size 0
		.amdhsa_uses_dynamic_stack 0
		.amdhsa_system_sgpr_private_segment_wavefront_offset 0
		.amdhsa_system_sgpr_workgroup_id_x 1
		.amdhsa_system_sgpr_workgroup_id_y 0
		.amdhsa_system_sgpr_workgroup_id_z 0
		.amdhsa_system_sgpr_workgroup_info 0
		.amdhsa_system_vgpr_workitem_id 0
		.amdhsa_next_free_vgpr 1
		.amdhsa_next_free_sgpr 0
		.amdhsa_accum_offset 4
		.amdhsa_reserve_vcc 0
		.amdhsa_reserve_flat_scratch 0
		.amdhsa_float_round_mode_32 0
		.amdhsa_float_round_mode_16_64 0
		.amdhsa_float_denorm_mode_32 3
		.amdhsa_float_denorm_mode_16_64 3
		.amdhsa_dx10_clamp 1
		.amdhsa_ieee_mode 1
		.amdhsa_fp16_overflow 0
		.amdhsa_tg_split 0
		.amdhsa_exception_fp_ieee_invalid_op 0
		.amdhsa_exception_fp_denorm_src 0
		.amdhsa_exception_fp_ieee_div_zero 0
		.amdhsa_exception_fp_ieee_overflow 0
		.amdhsa_exception_fp_ieee_underflow 0
		.amdhsa_exception_fp_ieee_inexact 0
		.amdhsa_exception_int_div_zero 0
	.end_amdhsa_kernel
	.section	.text._ZN7rocprim17ROCPRIM_400000_NS6detail17trampoline_kernelINS0_13select_configILj256ELj13ELNS0_17block_load_methodE3ELS4_3ELS4_3ELNS0_20block_scan_algorithmE0ELj4294967295EEENS1_25partition_config_selectorILNS1_17partition_subalgoE4EjNS0_10empty_typeEbEEZZNS1_14partition_implILS8_4ELb0ES6_15HIP_vector_typeIjLj2EENS0_17counting_iteratorIjlEEPS9_SG_NS0_5tupleIJPjSI_NS0_16reverse_iteratorISI_EEEEENSH_IJSG_SG_SG_EEES9_SI_JZNS1_25segmented_radix_sort_implINS0_14default_configELb1EPKaPaPKlPlN2at6native12_GLOBAL__N_18offset_tEEE10hipError_tPvRmT1_PNSt15iterator_traitsIS12_E10value_typeET2_T3_PNS13_IS18_E10value_typeET4_jRbjT5_S1E_jjP12ihipStream_tbEUljE_ZNSN_ISO_Lb1ESQ_SR_ST_SU_SY_EESZ_S10_S11_S12_S16_S17_S18_S1B_S1C_jS1D_jS1E_S1E_jjS1G_bEUljE0_EEESZ_S10_S11_S18_S1C_S1E_T6_T7_T9_mT8_S1G_bDpT10_ENKUlT_T0_E_clISt17integral_constantIbLb0EES1T_IbLb1EEEEDaS1P_S1Q_EUlS1P_E_NS1_11comp_targetILNS1_3genE10ELNS1_11target_archE1200ELNS1_3gpuE4ELNS1_3repE0EEENS1_30default_config_static_selectorELNS0_4arch9wavefront6targetE1EEEvS12_,"axG",@progbits,_ZN7rocprim17ROCPRIM_400000_NS6detail17trampoline_kernelINS0_13select_configILj256ELj13ELNS0_17block_load_methodE3ELS4_3ELS4_3ELNS0_20block_scan_algorithmE0ELj4294967295EEENS1_25partition_config_selectorILNS1_17partition_subalgoE4EjNS0_10empty_typeEbEEZZNS1_14partition_implILS8_4ELb0ES6_15HIP_vector_typeIjLj2EENS0_17counting_iteratorIjlEEPS9_SG_NS0_5tupleIJPjSI_NS0_16reverse_iteratorISI_EEEEENSH_IJSG_SG_SG_EEES9_SI_JZNS1_25segmented_radix_sort_implINS0_14default_configELb1EPKaPaPKlPlN2at6native12_GLOBAL__N_18offset_tEEE10hipError_tPvRmT1_PNSt15iterator_traitsIS12_E10value_typeET2_T3_PNS13_IS18_E10value_typeET4_jRbjT5_S1E_jjP12ihipStream_tbEUljE_ZNSN_ISO_Lb1ESQ_SR_ST_SU_SY_EESZ_S10_S11_S12_S16_S17_S18_S1B_S1C_jS1D_jS1E_S1E_jjS1G_bEUljE0_EEESZ_S10_S11_S18_S1C_S1E_T6_T7_T9_mT8_S1G_bDpT10_ENKUlT_T0_E_clISt17integral_constantIbLb0EES1T_IbLb1EEEEDaS1P_S1Q_EUlS1P_E_NS1_11comp_targetILNS1_3genE10ELNS1_11target_archE1200ELNS1_3gpuE4ELNS1_3repE0EEENS1_30default_config_static_selectorELNS0_4arch9wavefront6targetE1EEEvS12_,comdat
.Lfunc_end255:
	.size	_ZN7rocprim17ROCPRIM_400000_NS6detail17trampoline_kernelINS0_13select_configILj256ELj13ELNS0_17block_load_methodE3ELS4_3ELS4_3ELNS0_20block_scan_algorithmE0ELj4294967295EEENS1_25partition_config_selectorILNS1_17partition_subalgoE4EjNS0_10empty_typeEbEEZZNS1_14partition_implILS8_4ELb0ES6_15HIP_vector_typeIjLj2EENS0_17counting_iteratorIjlEEPS9_SG_NS0_5tupleIJPjSI_NS0_16reverse_iteratorISI_EEEEENSH_IJSG_SG_SG_EEES9_SI_JZNS1_25segmented_radix_sort_implINS0_14default_configELb1EPKaPaPKlPlN2at6native12_GLOBAL__N_18offset_tEEE10hipError_tPvRmT1_PNSt15iterator_traitsIS12_E10value_typeET2_T3_PNS13_IS18_E10value_typeET4_jRbjT5_S1E_jjP12ihipStream_tbEUljE_ZNSN_ISO_Lb1ESQ_SR_ST_SU_SY_EESZ_S10_S11_S12_S16_S17_S18_S1B_S1C_jS1D_jS1E_S1E_jjS1G_bEUljE0_EEESZ_S10_S11_S18_S1C_S1E_T6_T7_T9_mT8_S1G_bDpT10_ENKUlT_T0_E_clISt17integral_constantIbLb0EES1T_IbLb1EEEEDaS1P_S1Q_EUlS1P_E_NS1_11comp_targetILNS1_3genE10ELNS1_11target_archE1200ELNS1_3gpuE4ELNS1_3repE0EEENS1_30default_config_static_selectorELNS0_4arch9wavefront6targetE1EEEvS12_, .Lfunc_end255-_ZN7rocprim17ROCPRIM_400000_NS6detail17trampoline_kernelINS0_13select_configILj256ELj13ELNS0_17block_load_methodE3ELS4_3ELS4_3ELNS0_20block_scan_algorithmE0ELj4294967295EEENS1_25partition_config_selectorILNS1_17partition_subalgoE4EjNS0_10empty_typeEbEEZZNS1_14partition_implILS8_4ELb0ES6_15HIP_vector_typeIjLj2EENS0_17counting_iteratorIjlEEPS9_SG_NS0_5tupleIJPjSI_NS0_16reverse_iteratorISI_EEEEENSH_IJSG_SG_SG_EEES9_SI_JZNS1_25segmented_radix_sort_implINS0_14default_configELb1EPKaPaPKlPlN2at6native12_GLOBAL__N_18offset_tEEE10hipError_tPvRmT1_PNSt15iterator_traitsIS12_E10value_typeET2_T3_PNS13_IS18_E10value_typeET4_jRbjT5_S1E_jjP12ihipStream_tbEUljE_ZNSN_ISO_Lb1ESQ_SR_ST_SU_SY_EESZ_S10_S11_S12_S16_S17_S18_S1B_S1C_jS1D_jS1E_S1E_jjS1G_bEUljE0_EEESZ_S10_S11_S18_S1C_S1E_T6_T7_T9_mT8_S1G_bDpT10_ENKUlT_T0_E_clISt17integral_constantIbLb0EES1T_IbLb1EEEEDaS1P_S1Q_EUlS1P_E_NS1_11comp_targetILNS1_3genE10ELNS1_11target_archE1200ELNS1_3gpuE4ELNS1_3repE0EEENS1_30default_config_static_selectorELNS0_4arch9wavefront6targetE1EEEvS12_
                                        ; -- End function
	.section	.AMDGPU.csdata,"",@progbits
; Kernel info:
; codeLenInByte = 0
; NumSgprs: 4
; NumVgprs: 0
; NumAgprs: 0
; TotalNumVgprs: 0
; ScratchSize: 0
; MemoryBound: 0
; FloatMode: 240
; IeeeMode: 1
; LDSByteSize: 0 bytes/workgroup (compile time only)
; SGPRBlocks: 0
; VGPRBlocks: 0
; NumSGPRsForWavesPerEU: 4
; NumVGPRsForWavesPerEU: 1
; AccumOffset: 4
; Occupancy: 8
; WaveLimiterHint : 0
; COMPUTE_PGM_RSRC2:SCRATCH_EN: 0
; COMPUTE_PGM_RSRC2:USER_SGPR: 6
; COMPUTE_PGM_RSRC2:TRAP_HANDLER: 0
; COMPUTE_PGM_RSRC2:TGID_X_EN: 1
; COMPUTE_PGM_RSRC2:TGID_Y_EN: 0
; COMPUTE_PGM_RSRC2:TGID_Z_EN: 0
; COMPUTE_PGM_RSRC2:TIDIG_COMP_CNT: 0
; COMPUTE_PGM_RSRC3_GFX90A:ACCUM_OFFSET: 0
; COMPUTE_PGM_RSRC3_GFX90A:TG_SPLIT: 0
	.section	.text._ZN7rocprim17ROCPRIM_400000_NS6detail17trampoline_kernelINS0_13select_configILj256ELj13ELNS0_17block_load_methodE3ELS4_3ELS4_3ELNS0_20block_scan_algorithmE0ELj4294967295EEENS1_25partition_config_selectorILNS1_17partition_subalgoE4EjNS0_10empty_typeEbEEZZNS1_14partition_implILS8_4ELb0ES6_15HIP_vector_typeIjLj2EENS0_17counting_iteratorIjlEEPS9_SG_NS0_5tupleIJPjSI_NS0_16reverse_iteratorISI_EEEEENSH_IJSG_SG_SG_EEES9_SI_JZNS1_25segmented_radix_sort_implINS0_14default_configELb1EPKaPaPKlPlN2at6native12_GLOBAL__N_18offset_tEEE10hipError_tPvRmT1_PNSt15iterator_traitsIS12_E10value_typeET2_T3_PNS13_IS18_E10value_typeET4_jRbjT5_S1E_jjP12ihipStream_tbEUljE_ZNSN_ISO_Lb1ESQ_SR_ST_SU_SY_EESZ_S10_S11_S12_S16_S17_S18_S1B_S1C_jS1D_jS1E_S1E_jjS1G_bEUljE0_EEESZ_S10_S11_S18_S1C_S1E_T6_T7_T9_mT8_S1G_bDpT10_ENKUlT_T0_E_clISt17integral_constantIbLb0EES1T_IbLb1EEEEDaS1P_S1Q_EUlS1P_E_NS1_11comp_targetILNS1_3genE9ELNS1_11target_archE1100ELNS1_3gpuE3ELNS1_3repE0EEENS1_30default_config_static_selectorELNS0_4arch9wavefront6targetE1EEEvS12_,"axG",@progbits,_ZN7rocprim17ROCPRIM_400000_NS6detail17trampoline_kernelINS0_13select_configILj256ELj13ELNS0_17block_load_methodE3ELS4_3ELS4_3ELNS0_20block_scan_algorithmE0ELj4294967295EEENS1_25partition_config_selectorILNS1_17partition_subalgoE4EjNS0_10empty_typeEbEEZZNS1_14partition_implILS8_4ELb0ES6_15HIP_vector_typeIjLj2EENS0_17counting_iteratorIjlEEPS9_SG_NS0_5tupleIJPjSI_NS0_16reverse_iteratorISI_EEEEENSH_IJSG_SG_SG_EEES9_SI_JZNS1_25segmented_radix_sort_implINS0_14default_configELb1EPKaPaPKlPlN2at6native12_GLOBAL__N_18offset_tEEE10hipError_tPvRmT1_PNSt15iterator_traitsIS12_E10value_typeET2_T3_PNS13_IS18_E10value_typeET4_jRbjT5_S1E_jjP12ihipStream_tbEUljE_ZNSN_ISO_Lb1ESQ_SR_ST_SU_SY_EESZ_S10_S11_S12_S16_S17_S18_S1B_S1C_jS1D_jS1E_S1E_jjS1G_bEUljE0_EEESZ_S10_S11_S18_S1C_S1E_T6_T7_T9_mT8_S1G_bDpT10_ENKUlT_T0_E_clISt17integral_constantIbLb0EES1T_IbLb1EEEEDaS1P_S1Q_EUlS1P_E_NS1_11comp_targetILNS1_3genE9ELNS1_11target_archE1100ELNS1_3gpuE3ELNS1_3repE0EEENS1_30default_config_static_selectorELNS0_4arch9wavefront6targetE1EEEvS12_,comdat
	.globl	_ZN7rocprim17ROCPRIM_400000_NS6detail17trampoline_kernelINS0_13select_configILj256ELj13ELNS0_17block_load_methodE3ELS4_3ELS4_3ELNS0_20block_scan_algorithmE0ELj4294967295EEENS1_25partition_config_selectorILNS1_17partition_subalgoE4EjNS0_10empty_typeEbEEZZNS1_14partition_implILS8_4ELb0ES6_15HIP_vector_typeIjLj2EENS0_17counting_iteratorIjlEEPS9_SG_NS0_5tupleIJPjSI_NS0_16reverse_iteratorISI_EEEEENSH_IJSG_SG_SG_EEES9_SI_JZNS1_25segmented_radix_sort_implINS0_14default_configELb1EPKaPaPKlPlN2at6native12_GLOBAL__N_18offset_tEEE10hipError_tPvRmT1_PNSt15iterator_traitsIS12_E10value_typeET2_T3_PNS13_IS18_E10value_typeET4_jRbjT5_S1E_jjP12ihipStream_tbEUljE_ZNSN_ISO_Lb1ESQ_SR_ST_SU_SY_EESZ_S10_S11_S12_S16_S17_S18_S1B_S1C_jS1D_jS1E_S1E_jjS1G_bEUljE0_EEESZ_S10_S11_S18_S1C_S1E_T6_T7_T9_mT8_S1G_bDpT10_ENKUlT_T0_E_clISt17integral_constantIbLb0EES1T_IbLb1EEEEDaS1P_S1Q_EUlS1P_E_NS1_11comp_targetILNS1_3genE9ELNS1_11target_archE1100ELNS1_3gpuE3ELNS1_3repE0EEENS1_30default_config_static_selectorELNS0_4arch9wavefront6targetE1EEEvS12_ ; -- Begin function _ZN7rocprim17ROCPRIM_400000_NS6detail17trampoline_kernelINS0_13select_configILj256ELj13ELNS0_17block_load_methodE3ELS4_3ELS4_3ELNS0_20block_scan_algorithmE0ELj4294967295EEENS1_25partition_config_selectorILNS1_17partition_subalgoE4EjNS0_10empty_typeEbEEZZNS1_14partition_implILS8_4ELb0ES6_15HIP_vector_typeIjLj2EENS0_17counting_iteratorIjlEEPS9_SG_NS0_5tupleIJPjSI_NS0_16reverse_iteratorISI_EEEEENSH_IJSG_SG_SG_EEES9_SI_JZNS1_25segmented_radix_sort_implINS0_14default_configELb1EPKaPaPKlPlN2at6native12_GLOBAL__N_18offset_tEEE10hipError_tPvRmT1_PNSt15iterator_traitsIS12_E10value_typeET2_T3_PNS13_IS18_E10value_typeET4_jRbjT5_S1E_jjP12ihipStream_tbEUljE_ZNSN_ISO_Lb1ESQ_SR_ST_SU_SY_EESZ_S10_S11_S12_S16_S17_S18_S1B_S1C_jS1D_jS1E_S1E_jjS1G_bEUljE0_EEESZ_S10_S11_S18_S1C_S1E_T6_T7_T9_mT8_S1G_bDpT10_ENKUlT_T0_E_clISt17integral_constantIbLb0EES1T_IbLb1EEEEDaS1P_S1Q_EUlS1P_E_NS1_11comp_targetILNS1_3genE9ELNS1_11target_archE1100ELNS1_3gpuE3ELNS1_3repE0EEENS1_30default_config_static_selectorELNS0_4arch9wavefront6targetE1EEEvS12_
	.p2align	8
	.type	_ZN7rocprim17ROCPRIM_400000_NS6detail17trampoline_kernelINS0_13select_configILj256ELj13ELNS0_17block_load_methodE3ELS4_3ELS4_3ELNS0_20block_scan_algorithmE0ELj4294967295EEENS1_25partition_config_selectorILNS1_17partition_subalgoE4EjNS0_10empty_typeEbEEZZNS1_14partition_implILS8_4ELb0ES6_15HIP_vector_typeIjLj2EENS0_17counting_iteratorIjlEEPS9_SG_NS0_5tupleIJPjSI_NS0_16reverse_iteratorISI_EEEEENSH_IJSG_SG_SG_EEES9_SI_JZNS1_25segmented_radix_sort_implINS0_14default_configELb1EPKaPaPKlPlN2at6native12_GLOBAL__N_18offset_tEEE10hipError_tPvRmT1_PNSt15iterator_traitsIS12_E10value_typeET2_T3_PNS13_IS18_E10value_typeET4_jRbjT5_S1E_jjP12ihipStream_tbEUljE_ZNSN_ISO_Lb1ESQ_SR_ST_SU_SY_EESZ_S10_S11_S12_S16_S17_S18_S1B_S1C_jS1D_jS1E_S1E_jjS1G_bEUljE0_EEESZ_S10_S11_S18_S1C_S1E_T6_T7_T9_mT8_S1G_bDpT10_ENKUlT_T0_E_clISt17integral_constantIbLb0EES1T_IbLb1EEEEDaS1P_S1Q_EUlS1P_E_NS1_11comp_targetILNS1_3genE9ELNS1_11target_archE1100ELNS1_3gpuE3ELNS1_3repE0EEENS1_30default_config_static_selectorELNS0_4arch9wavefront6targetE1EEEvS12_,@function
_ZN7rocprim17ROCPRIM_400000_NS6detail17trampoline_kernelINS0_13select_configILj256ELj13ELNS0_17block_load_methodE3ELS4_3ELS4_3ELNS0_20block_scan_algorithmE0ELj4294967295EEENS1_25partition_config_selectorILNS1_17partition_subalgoE4EjNS0_10empty_typeEbEEZZNS1_14partition_implILS8_4ELb0ES6_15HIP_vector_typeIjLj2EENS0_17counting_iteratorIjlEEPS9_SG_NS0_5tupleIJPjSI_NS0_16reverse_iteratorISI_EEEEENSH_IJSG_SG_SG_EEES9_SI_JZNS1_25segmented_radix_sort_implINS0_14default_configELb1EPKaPaPKlPlN2at6native12_GLOBAL__N_18offset_tEEE10hipError_tPvRmT1_PNSt15iterator_traitsIS12_E10value_typeET2_T3_PNS13_IS18_E10value_typeET4_jRbjT5_S1E_jjP12ihipStream_tbEUljE_ZNSN_ISO_Lb1ESQ_SR_ST_SU_SY_EESZ_S10_S11_S12_S16_S17_S18_S1B_S1C_jS1D_jS1E_S1E_jjS1G_bEUljE0_EEESZ_S10_S11_S18_S1C_S1E_T6_T7_T9_mT8_S1G_bDpT10_ENKUlT_T0_E_clISt17integral_constantIbLb0EES1T_IbLb1EEEEDaS1P_S1Q_EUlS1P_E_NS1_11comp_targetILNS1_3genE9ELNS1_11target_archE1100ELNS1_3gpuE3ELNS1_3repE0EEENS1_30default_config_static_selectorELNS0_4arch9wavefront6targetE1EEEvS12_: ; @_ZN7rocprim17ROCPRIM_400000_NS6detail17trampoline_kernelINS0_13select_configILj256ELj13ELNS0_17block_load_methodE3ELS4_3ELS4_3ELNS0_20block_scan_algorithmE0ELj4294967295EEENS1_25partition_config_selectorILNS1_17partition_subalgoE4EjNS0_10empty_typeEbEEZZNS1_14partition_implILS8_4ELb0ES6_15HIP_vector_typeIjLj2EENS0_17counting_iteratorIjlEEPS9_SG_NS0_5tupleIJPjSI_NS0_16reverse_iteratorISI_EEEEENSH_IJSG_SG_SG_EEES9_SI_JZNS1_25segmented_radix_sort_implINS0_14default_configELb1EPKaPaPKlPlN2at6native12_GLOBAL__N_18offset_tEEE10hipError_tPvRmT1_PNSt15iterator_traitsIS12_E10value_typeET2_T3_PNS13_IS18_E10value_typeET4_jRbjT5_S1E_jjP12ihipStream_tbEUljE_ZNSN_ISO_Lb1ESQ_SR_ST_SU_SY_EESZ_S10_S11_S12_S16_S17_S18_S1B_S1C_jS1D_jS1E_S1E_jjS1G_bEUljE0_EEESZ_S10_S11_S18_S1C_S1E_T6_T7_T9_mT8_S1G_bDpT10_ENKUlT_T0_E_clISt17integral_constantIbLb0EES1T_IbLb1EEEEDaS1P_S1Q_EUlS1P_E_NS1_11comp_targetILNS1_3genE9ELNS1_11target_archE1100ELNS1_3gpuE3ELNS1_3repE0EEENS1_30default_config_static_selectorELNS0_4arch9wavefront6targetE1EEEvS12_
; %bb.0:
	.section	.rodata,"a",@progbits
	.p2align	6, 0x0
	.amdhsa_kernel _ZN7rocprim17ROCPRIM_400000_NS6detail17trampoline_kernelINS0_13select_configILj256ELj13ELNS0_17block_load_methodE3ELS4_3ELS4_3ELNS0_20block_scan_algorithmE0ELj4294967295EEENS1_25partition_config_selectorILNS1_17partition_subalgoE4EjNS0_10empty_typeEbEEZZNS1_14partition_implILS8_4ELb0ES6_15HIP_vector_typeIjLj2EENS0_17counting_iteratorIjlEEPS9_SG_NS0_5tupleIJPjSI_NS0_16reverse_iteratorISI_EEEEENSH_IJSG_SG_SG_EEES9_SI_JZNS1_25segmented_radix_sort_implINS0_14default_configELb1EPKaPaPKlPlN2at6native12_GLOBAL__N_18offset_tEEE10hipError_tPvRmT1_PNSt15iterator_traitsIS12_E10value_typeET2_T3_PNS13_IS18_E10value_typeET4_jRbjT5_S1E_jjP12ihipStream_tbEUljE_ZNSN_ISO_Lb1ESQ_SR_ST_SU_SY_EESZ_S10_S11_S12_S16_S17_S18_S1B_S1C_jS1D_jS1E_S1E_jjS1G_bEUljE0_EEESZ_S10_S11_S18_S1C_S1E_T6_T7_T9_mT8_S1G_bDpT10_ENKUlT_T0_E_clISt17integral_constantIbLb0EES1T_IbLb1EEEEDaS1P_S1Q_EUlS1P_E_NS1_11comp_targetILNS1_3genE9ELNS1_11target_archE1100ELNS1_3gpuE3ELNS1_3repE0EEENS1_30default_config_static_selectorELNS0_4arch9wavefront6targetE1EEEvS12_
		.amdhsa_group_segment_fixed_size 0
		.amdhsa_private_segment_fixed_size 0
		.amdhsa_kernarg_size 184
		.amdhsa_user_sgpr_count 6
		.amdhsa_user_sgpr_private_segment_buffer 1
		.amdhsa_user_sgpr_dispatch_ptr 0
		.amdhsa_user_sgpr_queue_ptr 0
		.amdhsa_user_sgpr_kernarg_segment_ptr 1
		.amdhsa_user_sgpr_dispatch_id 0
		.amdhsa_user_sgpr_flat_scratch_init 0
		.amdhsa_user_sgpr_kernarg_preload_length 0
		.amdhsa_user_sgpr_kernarg_preload_offset 0
		.amdhsa_user_sgpr_private_segment_size 0
		.amdhsa_uses_dynamic_stack 0
		.amdhsa_system_sgpr_private_segment_wavefront_offset 0
		.amdhsa_system_sgpr_workgroup_id_x 1
		.amdhsa_system_sgpr_workgroup_id_y 0
		.amdhsa_system_sgpr_workgroup_id_z 0
		.amdhsa_system_sgpr_workgroup_info 0
		.amdhsa_system_vgpr_workitem_id 0
		.amdhsa_next_free_vgpr 1
		.amdhsa_next_free_sgpr 0
		.amdhsa_accum_offset 4
		.amdhsa_reserve_vcc 0
		.amdhsa_reserve_flat_scratch 0
		.amdhsa_float_round_mode_32 0
		.amdhsa_float_round_mode_16_64 0
		.amdhsa_float_denorm_mode_32 3
		.amdhsa_float_denorm_mode_16_64 3
		.amdhsa_dx10_clamp 1
		.amdhsa_ieee_mode 1
		.amdhsa_fp16_overflow 0
		.amdhsa_tg_split 0
		.amdhsa_exception_fp_ieee_invalid_op 0
		.amdhsa_exception_fp_denorm_src 0
		.amdhsa_exception_fp_ieee_div_zero 0
		.amdhsa_exception_fp_ieee_overflow 0
		.amdhsa_exception_fp_ieee_underflow 0
		.amdhsa_exception_fp_ieee_inexact 0
		.amdhsa_exception_int_div_zero 0
	.end_amdhsa_kernel
	.section	.text._ZN7rocprim17ROCPRIM_400000_NS6detail17trampoline_kernelINS0_13select_configILj256ELj13ELNS0_17block_load_methodE3ELS4_3ELS4_3ELNS0_20block_scan_algorithmE0ELj4294967295EEENS1_25partition_config_selectorILNS1_17partition_subalgoE4EjNS0_10empty_typeEbEEZZNS1_14partition_implILS8_4ELb0ES6_15HIP_vector_typeIjLj2EENS0_17counting_iteratorIjlEEPS9_SG_NS0_5tupleIJPjSI_NS0_16reverse_iteratorISI_EEEEENSH_IJSG_SG_SG_EEES9_SI_JZNS1_25segmented_radix_sort_implINS0_14default_configELb1EPKaPaPKlPlN2at6native12_GLOBAL__N_18offset_tEEE10hipError_tPvRmT1_PNSt15iterator_traitsIS12_E10value_typeET2_T3_PNS13_IS18_E10value_typeET4_jRbjT5_S1E_jjP12ihipStream_tbEUljE_ZNSN_ISO_Lb1ESQ_SR_ST_SU_SY_EESZ_S10_S11_S12_S16_S17_S18_S1B_S1C_jS1D_jS1E_S1E_jjS1G_bEUljE0_EEESZ_S10_S11_S18_S1C_S1E_T6_T7_T9_mT8_S1G_bDpT10_ENKUlT_T0_E_clISt17integral_constantIbLb0EES1T_IbLb1EEEEDaS1P_S1Q_EUlS1P_E_NS1_11comp_targetILNS1_3genE9ELNS1_11target_archE1100ELNS1_3gpuE3ELNS1_3repE0EEENS1_30default_config_static_selectorELNS0_4arch9wavefront6targetE1EEEvS12_,"axG",@progbits,_ZN7rocprim17ROCPRIM_400000_NS6detail17trampoline_kernelINS0_13select_configILj256ELj13ELNS0_17block_load_methodE3ELS4_3ELS4_3ELNS0_20block_scan_algorithmE0ELj4294967295EEENS1_25partition_config_selectorILNS1_17partition_subalgoE4EjNS0_10empty_typeEbEEZZNS1_14partition_implILS8_4ELb0ES6_15HIP_vector_typeIjLj2EENS0_17counting_iteratorIjlEEPS9_SG_NS0_5tupleIJPjSI_NS0_16reverse_iteratorISI_EEEEENSH_IJSG_SG_SG_EEES9_SI_JZNS1_25segmented_radix_sort_implINS0_14default_configELb1EPKaPaPKlPlN2at6native12_GLOBAL__N_18offset_tEEE10hipError_tPvRmT1_PNSt15iterator_traitsIS12_E10value_typeET2_T3_PNS13_IS18_E10value_typeET4_jRbjT5_S1E_jjP12ihipStream_tbEUljE_ZNSN_ISO_Lb1ESQ_SR_ST_SU_SY_EESZ_S10_S11_S12_S16_S17_S18_S1B_S1C_jS1D_jS1E_S1E_jjS1G_bEUljE0_EEESZ_S10_S11_S18_S1C_S1E_T6_T7_T9_mT8_S1G_bDpT10_ENKUlT_T0_E_clISt17integral_constantIbLb0EES1T_IbLb1EEEEDaS1P_S1Q_EUlS1P_E_NS1_11comp_targetILNS1_3genE9ELNS1_11target_archE1100ELNS1_3gpuE3ELNS1_3repE0EEENS1_30default_config_static_selectorELNS0_4arch9wavefront6targetE1EEEvS12_,comdat
.Lfunc_end256:
	.size	_ZN7rocprim17ROCPRIM_400000_NS6detail17trampoline_kernelINS0_13select_configILj256ELj13ELNS0_17block_load_methodE3ELS4_3ELS4_3ELNS0_20block_scan_algorithmE0ELj4294967295EEENS1_25partition_config_selectorILNS1_17partition_subalgoE4EjNS0_10empty_typeEbEEZZNS1_14partition_implILS8_4ELb0ES6_15HIP_vector_typeIjLj2EENS0_17counting_iteratorIjlEEPS9_SG_NS0_5tupleIJPjSI_NS0_16reverse_iteratorISI_EEEEENSH_IJSG_SG_SG_EEES9_SI_JZNS1_25segmented_radix_sort_implINS0_14default_configELb1EPKaPaPKlPlN2at6native12_GLOBAL__N_18offset_tEEE10hipError_tPvRmT1_PNSt15iterator_traitsIS12_E10value_typeET2_T3_PNS13_IS18_E10value_typeET4_jRbjT5_S1E_jjP12ihipStream_tbEUljE_ZNSN_ISO_Lb1ESQ_SR_ST_SU_SY_EESZ_S10_S11_S12_S16_S17_S18_S1B_S1C_jS1D_jS1E_S1E_jjS1G_bEUljE0_EEESZ_S10_S11_S18_S1C_S1E_T6_T7_T9_mT8_S1G_bDpT10_ENKUlT_T0_E_clISt17integral_constantIbLb0EES1T_IbLb1EEEEDaS1P_S1Q_EUlS1P_E_NS1_11comp_targetILNS1_3genE9ELNS1_11target_archE1100ELNS1_3gpuE3ELNS1_3repE0EEENS1_30default_config_static_selectorELNS0_4arch9wavefront6targetE1EEEvS12_, .Lfunc_end256-_ZN7rocprim17ROCPRIM_400000_NS6detail17trampoline_kernelINS0_13select_configILj256ELj13ELNS0_17block_load_methodE3ELS4_3ELS4_3ELNS0_20block_scan_algorithmE0ELj4294967295EEENS1_25partition_config_selectorILNS1_17partition_subalgoE4EjNS0_10empty_typeEbEEZZNS1_14partition_implILS8_4ELb0ES6_15HIP_vector_typeIjLj2EENS0_17counting_iteratorIjlEEPS9_SG_NS0_5tupleIJPjSI_NS0_16reverse_iteratorISI_EEEEENSH_IJSG_SG_SG_EEES9_SI_JZNS1_25segmented_radix_sort_implINS0_14default_configELb1EPKaPaPKlPlN2at6native12_GLOBAL__N_18offset_tEEE10hipError_tPvRmT1_PNSt15iterator_traitsIS12_E10value_typeET2_T3_PNS13_IS18_E10value_typeET4_jRbjT5_S1E_jjP12ihipStream_tbEUljE_ZNSN_ISO_Lb1ESQ_SR_ST_SU_SY_EESZ_S10_S11_S12_S16_S17_S18_S1B_S1C_jS1D_jS1E_S1E_jjS1G_bEUljE0_EEESZ_S10_S11_S18_S1C_S1E_T6_T7_T9_mT8_S1G_bDpT10_ENKUlT_T0_E_clISt17integral_constantIbLb0EES1T_IbLb1EEEEDaS1P_S1Q_EUlS1P_E_NS1_11comp_targetILNS1_3genE9ELNS1_11target_archE1100ELNS1_3gpuE3ELNS1_3repE0EEENS1_30default_config_static_selectorELNS0_4arch9wavefront6targetE1EEEvS12_
                                        ; -- End function
	.section	.AMDGPU.csdata,"",@progbits
; Kernel info:
; codeLenInByte = 0
; NumSgprs: 4
; NumVgprs: 0
; NumAgprs: 0
; TotalNumVgprs: 0
; ScratchSize: 0
; MemoryBound: 0
; FloatMode: 240
; IeeeMode: 1
; LDSByteSize: 0 bytes/workgroup (compile time only)
; SGPRBlocks: 0
; VGPRBlocks: 0
; NumSGPRsForWavesPerEU: 4
; NumVGPRsForWavesPerEU: 1
; AccumOffset: 4
; Occupancy: 8
; WaveLimiterHint : 0
; COMPUTE_PGM_RSRC2:SCRATCH_EN: 0
; COMPUTE_PGM_RSRC2:USER_SGPR: 6
; COMPUTE_PGM_RSRC2:TRAP_HANDLER: 0
; COMPUTE_PGM_RSRC2:TGID_X_EN: 1
; COMPUTE_PGM_RSRC2:TGID_Y_EN: 0
; COMPUTE_PGM_RSRC2:TGID_Z_EN: 0
; COMPUTE_PGM_RSRC2:TIDIG_COMP_CNT: 0
; COMPUTE_PGM_RSRC3_GFX90A:ACCUM_OFFSET: 0
; COMPUTE_PGM_RSRC3_GFX90A:TG_SPLIT: 0
	.section	.text._ZN7rocprim17ROCPRIM_400000_NS6detail17trampoline_kernelINS0_13select_configILj256ELj13ELNS0_17block_load_methodE3ELS4_3ELS4_3ELNS0_20block_scan_algorithmE0ELj4294967295EEENS1_25partition_config_selectorILNS1_17partition_subalgoE4EjNS0_10empty_typeEbEEZZNS1_14partition_implILS8_4ELb0ES6_15HIP_vector_typeIjLj2EENS0_17counting_iteratorIjlEEPS9_SG_NS0_5tupleIJPjSI_NS0_16reverse_iteratorISI_EEEEENSH_IJSG_SG_SG_EEES9_SI_JZNS1_25segmented_radix_sort_implINS0_14default_configELb1EPKaPaPKlPlN2at6native12_GLOBAL__N_18offset_tEEE10hipError_tPvRmT1_PNSt15iterator_traitsIS12_E10value_typeET2_T3_PNS13_IS18_E10value_typeET4_jRbjT5_S1E_jjP12ihipStream_tbEUljE_ZNSN_ISO_Lb1ESQ_SR_ST_SU_SY_EESZ_S10_S11_S12_S16_S17_S18_S1B_S1C_jS1D_jS1E_S1E_jjS1G_bEUljE0_EEESZ_S10_S11_S18_S1C_S1E_T6_T7_T9_mT8_S1G_bDpT10_ENKUlT_T0_E_clISt17integral_constantIbLb0EES1T_IbLb1EEEEDaS1P_S1Q_EUlS1P_E_NS1_11comp_targetILNS1_3genE8ELNS1_11target_archE1030ELNS1_3gpuE2ELNS1_3repE0EEENS1_30default_config_static_selectorELNS0_4arch9wavefront6targetE1EEEvS12_,"axG",@progbits,_ZN7rocprim17ROCPRIM_400000_NS6detail17trampoline_kernelINS0_13select_configILj256ELj13ELNS0_17block_load_methodE3ELS4_3ELS4_3ELNS0_20block_scan_algorithmE0ELj4294967295EEENS1_25partition_config_selectorILNS1_17partition_subalgoE4EjNS0_10empty_typeEbEEZZNS1_14partition_implILS8_4ELb0ES6_15HIP_vector_typeIjLj2EENS0_17counting_iteratorIjlEEPS9_SG_NS0_5tupleIJPjSI_NS0_16reverse_iteratorISI_EEEEENSH_IJSG_SG_SG_EEES9_SI_JZNS1_25segmented_radix_sort_implINS0_14default_configELb1EPKaPaPKlPlN2at6native12_GLOBAL__N_18offset_tEEE10hipError_tPvRmT1_PNSt15iterator_traitsIS12_E10value_typeET2_T3_PNS13_IS18_E10value_typeET4_jRbjT5_S1E_jjP12ihipStream_tbEUljE_ZNSN_ISO_Lb1ESQ_SR_ST_SU_SY_EESZ_S10_S11_S12_S16_S17_S18_S1B_S1C_jS1D_jS1E_S1E_jjS1G_bEUljE0_EEESZ_S10_S11_S18_S1C_S1E_T6_T7_T9_mT8_S1G_bDpT10_ENKUlT_T0_E_clISt17integral_constantIbLb0EES1T_IbLb1EEEEDaS1P_S1Q_EUlS1P_E_NS1_11comp_targetILNS1_3genE8ELNS1_11target_archE1030ELNS1_3gpuE2ELNS1_3repE0EEENS1_30default_config_static_selectorELNS0_4arch9wavefront6targetE1EEEvS12_,comdat
	.globl	_ZN7rocprim17ROCPRIM_400000_NS6detail17trampoline_kernelINS0_13select_configILj256ELj13ELNS0_17block_load_methodE3ELS4_3ELS4_3ELNS0_20block_scan_algorithmE0ELj4294967295EEENS1_25partition_config_selectorILNS1_17partition_subalgoE4EjNS0_10empty_typeEbEEZZNS1_14partition_implILS8_4ELb0ES6_15HIP_vector_typeIjLj2EENS0_17counting_iteratorIjlEEPS9_SG_NS0_5tupleIJPjSI_NS0_16reverse_iteratorISI_EEEEENSH_IJSG_SG_SG_EEES9_SI_JZNS1_25segmented_radix_sort_implINS0_14default_configELb1EPKaPaPKlPlN2at6native12_GLOBAL__N_18offset_tEEE10hipError_tPvRmT1_PNSt15iterator_traitsIS12_E10value_typeET2_T3_PNS13_IS18_E10value_typeET4_jRbjT5_S1E_jjP12ihipStream_tbEUljE_ZNSN_ISO_Lb1ESQ_SR_ST_SU_SY_EESZ_S10_S11_S12_S16_S17_S18_S1B_S1C_jS1D_jS1E_S1E_jjS1G_bEUljE0_EEESZ_S10_S11_S18_S1C_S1E_T6_T7_T9_mT8_S1G_bDpT10_ENKUlT_T0_E_clISt17integral_constantIbLb0EES1T_IbLb1EEEEDaS1P_S1Q_EUlS1P_E_NS1_11comp_targetILNS1_3genE8ELNS1_11target_archE1030ELNS1_3gpuE2ELNS1_3repE0EEENS1_30default_config_static_selectorELNS0_4arch9wavefront6targetE1EEEvS12_ ; -- Begin function _ZN7rocprim17ROCPRIM_400000_NS6detail17trampoline_kernelINS0_13select_configILj256ELj13ELNS0_17block_load_methodE3ELS4_3ELS4_3ELNS0_20block_scan_algorithmE0ELj4294967295EEENS1_25partition_config_selectorILNS1_17partition_subalgoE4EjNS0_10empty_typeEbEEZZNS1_14partition_implILS8_4ELb0ES6_15HIP_vector_typeIjLj2EENS0_17counting_iteratorIjlEEPS9_SG_NS0_5tupleIJPjSI_NS0_16reverse_iteratorISI_EEEEENSH_IJSG_SG_SG_EEES9_SI_JZNS1_25segmented_radix_sort_implINS0_14default_configELb1EPKaPaPKlPlN2at6native12_GLOBAL__N_18offset_tEEE10hipError_tPvRmT1_PNSt15iterator_traitsIS12_E10value_typeET2_T3_PNS13_IS18_E10value_typeET4_jRbjT5_S1E_jjP12ihipStream_tbEUljE_ZNSN_ISO_Lb1ESQ_SR_ST_SU_SY_EESZ_S10_S11_S12_S16_S17_S18_S1B_S1C_jS1D_jS1E_S1E_jjS1G_bEUljE0_EEESZ_S10_S11_S18_S1C_S1E_T6_T7_T9_mT8_S1G_bDpT10_ENKUlT_T0_E_clISt17integral_constantIbLb0EES1T_IbLb1EEEEDaS1P_S1Q_EUlS1P_E_NS1_11comp_targetILNS1_3genE8ELNS1_11target_archE1030ELNS1_3gpuE2ELNS1_3repE0EEENS1_30default_config_static_selectorELNS0_4arch9wavefront6targetE1EEEvS12_
	.p2align	8
	.type	_ZN7rocprim17ROCPRIM_400000_NS6detail17trampoline_kernelINS0_13select_configILj256ELj13ELNS0_17block_load_methodE3ELS4_3ELS4_3ELNS0_20block_scan_algorithmE0ELj4294967295EEENS1_25partition_config_selectorILNS1_17partition_subalgoE4EjNS0_10empty_typeEbEEZZNS1_14partition_implILS8_4ELb0ES6_15HIP_vector_typeIjLj2EENS0_17counting_iteratorIjlEEPS9_SG_NS0_5tupleIJPjSI_NS0_16reverse_iteratorISI_EEEEENSH_IJSG_SG_SG_EEES9_SI_JZNS1_25segmented_radix_sort_implINS0_14default_configELb1EPKaPaPKlPlN2at6native12_GLOBAL__N_18offset_tEEE10hipError_tPvRmT1_PNSt15iterator_traitsIS12_E10value_typeET2_T3_PNS13_IS18_E10value_typeET4_jRbjT5_S1E_jjP12ihipStream_tbEUljE_ZNSN_ISO_Lb1ESQ_SR_ST_SU_SY_EESZ_S10_S11_S12_S16_S17_S18_S1B_S1C_jS1D_jS1E_S1E_jjS1G_bEUljE0_EEESZ_S10_S11_S18_S1C_S1E_T6_T7_T9_mT8_S1G_bDpT10_ENKUlT_T0_E_clISt17integral_constantIbLb0EES1T_IbLb1EEEEDaS1P_S1Q_EUlS1P_E_NS1_11comp_targetILNS1_3genE8ELNS1_11target_archE1030ELNS1_3gpuE2ELNS1_3repE0EEENS1_30default_config_static_selectorELNS0_4arch9wavefront6targetE1EEEvS12_,@function
_ZN7rocprim17ROCPRIM_400000_NS6detail17trampoline_kernelINS0_13select_configILj256ELj13ELNS0_17block_load_methodE3ELS4_3ELS4_3ELNS0_20block_scan_algorithmE0ELj4294967295EEENS1_25partition_config_selectorILNS1_17partition_subalgoE4EjNS0_10empty_typeEbEEZZNS1_14partition_implILS8_4ELb0ES6_15HIP_vector_typeIjLj2EENS0_17counting_iteratorIjlEEPS9_SG_NS0_5tupleIJPjSI_NS0_16reverse_iteratorISI_EEEEENSH_IJSG_SG_SG_EEES9_SI_JZNS1_25segmented_radix_sort_implINS0_14default_configELb1EPKaPaPKlPlN2at6native12_GLOBAL__N_18offset_tEEE10hipError_tPvRmT1_PNSt15iterator_traitsIS12_E10value_typeET2_T3_PNS13_IS18_E10value_typeET4_jRbjT5_S1E_jjP12ihipStream_tbEUljE_ZNSN_ISO_Lb1ESQ_SR_ST_SU_SY_EESZ_S10_S11_S12_S16_S17_S18_S1B_S1C_jS1D_jS1E_S1E_jjS1G_bEUljE0_EEESZ_S10_S11_S18_S1C_S1E_T6_T7_T9_mT8_S1G_bDpT10_ENKUlT_T0_E_clISt17integral_constantIbLb0EES1T_IbLb1EEEEDaS1P_S1Q_EUlS1P_E_NS1_11comp_targetILNS1_3genE8ELNS1_11target_archE1030ELNS1_3gpuE2ELNS1_3repE0EEENS1_30default_config_static_selectorELNS0_4arch9wavefront6targetE1EEEvS12_: ; @_ZN7rocprim17ROCPRIM_400000_NS6detail17trampoline_kernelINS0_13select_configILj256ELj13ELNS0_17block_load_methodE3ELS4_3ELS4_3ELNS0_20block_scan_algorithmE0ELj4294967295EEENS1_25partition_config_selectorILNS1_17partition_subalgoE4EjNS0_10empty_typeEbEEZZNS1_14partition_implILS8_4ELb0ES6_15HIP_vector_typeIjLj2EENS0_17counting_iteratorIjlEEPS9_SG_NS0_5tupleIJPjSI_NS0_16reverse_iteratorISI_EEEEENSH_IJSG_SG_SG_EEES9_SI_JZNS1_25segmented_radix_sort_implINS0_14default_configELb1EPKaPaPKlPlN2at6native12_GLOBAL__N_18offset_tEEE10hipError_tPvRmT1_PNSt15iterator_traitsIS12_E10value_typeET2_T3_PNS13_IS18_E10value_typeET4_jRbjT5_S1E_jjP12ihipStream_tbEUljE_ZNSN_ISO_Lb1ESQ_SR_ST_SU_SY_EESZ_S10_S11_S12_S16_S17_S18_S1B_S1C_jS1D_jS1E_S1E_jjS1G_bEUljE0_EEESZ_S10_S11_S18_S1C_S1E_T6_T7_T9_mT8_S1G_bDpT10_ENKUlT_T0_E_clISt17integral_constantIbLb0EES1T_IbLb1EEEEDaS1P_S1Q_EUlS1P_E_NS1_11comp_targetILNS1_3genE8ELNS1_11target_archE1030ELNS1_3gpuE2ELNS1_3repE0EEENS1_30default_config_static_selectorELNS0_4arch9wavefront6targetE1EEEvS12_
; %bb.0:
	.section	.rodata,"a",@progbits
	.p2align	6, 0x0
	.amdhsa_kernel _ZN7rocprim17ROCPRIM_400000_NS6detail17trampoline_kernelINS0_13select_configILj256ELj13ELNS0_17block_load_methodE3ELS4_3ELS4_3ELNS0_20block_scan_algorithmE0ELj4294967295EEENS1_25partition_config_selectorILNS1_17partition_subalgoE4EjNS0_10empty_typeEbEEZZNS1_14partition_implILS8_4ELb0ES6_15HIP_vector_typeIjLj2EENS0_17counting_iteratorIjlEEPS9_SG_NS0_5tupleIJPjSI_NS0_16reverse_iteratorISI_EEEEENSH_IJSG_SG_SG_EEES9_SI_JZNS1_25segmented_radix_sort_implINS0_14default_configELb1EPKaPaPKlPlN2at6native12_GLOBAL__N_18offset_tEEE10hipError_tPvRmT1_PNSt15iterator_traitsIS12_E10value_typeET2_T3_PNS13_IS18_E10value_typeET4_jRbjT5_S1E_jjP12ihipStream_tbEUljE_ZNSN_ISO_Lb1ESQ_SR_ST_SU_SY_EESZ_S10_S11_S12_S16_S17_S18_S1B_S1C_jS1D_jS1E_S1E_jjS1G_bEUljE0_EEESZ_S10_S11_S18_S1C_S1E_T6_T7_T9_mT8_S1G_bDpT10_ENKUlT_T0_E_clISt17integral_constantIbLb0EES1T_IbLb1EEEEDaS1P_S1Q_EUlS1P_E_NS1_11comp_targetILNS1_3genE8ELNS1_11target_archE1030ELNS1_3gpuE2ELNS1_3repE0EEENS1_30default_config_static_selectorELNS0_4arch9wavefront6targetE1EEEvS12_
		.amdhsa_group_segment_fixed_size 0
		.amdhsa_private_segment_fixed_size 0
		.amdhsa_kernarg_size 184
		.amdhsa_user_sgpr_count 6
		.amdhsa_user_sgpr_private_segment_buffer 1
		.amdhsa_user_sgpr_dispatch_ptr 0
		.amdhsa_user_sgpr_queue_ptr 0
		.amdhsa_user_sgpr_kernarg_segment_ptr 1
		.amdhsa_user_sgpr_dispatch_id 0
		.amdhsa_user_sgpr_flat_scratch_init 0
		.amdhsa_user_sgpr_kernarg_preload_length 0
		.amdhsa_user_sgpr_kernarg_preload_offset 0
		.amdhsa_user_sgpr_private_segment_size 0
		.amdhsa_uses_dynamic_stack 0
		.amdhsa_system_sgpr_private_segment_wavefront_offset 0
		.amdhsa_system_sgpr_workgroup_id_x 1
		.amdhsa_system_sgpr_workgroup_id_y 0
		.amdhsa_system_sgpr_workgroup_id_z 0
		.amdhsa_system_sgpr_workgroup_info 0
		.amdhsa_system_vgpr_workitem_id 0
		.amdhsa_next_free_vgpr 1
		.amdhsa_next_free_sgpr 0
		.amdhsa_accum_offset 4
		.amdhsa_reserve_vcc 0
		.amdhsa_reserve_flat_scratch 0
		.amdhsa_float_round_mode_32 0
		.amdhsa_float_round_mode_16_64 0
		.amdhsa_float_denorm_mode_32 3
		.amdhsa_float_denorm_mode_16_64 3
		.amdhsa_dx10_clamp 1
		.amdhsa_ieee_mode 1
		.amdhsa_fp16_overflow 0
		.amdhsa_tg_split 0
		.amdhsa_exception_fp_ieee_invalid_op 0
		.amdhsa_exception_fp_denorm_src 0
		.amdhsa_exception_fp_ieee_div_zero 0
		.amdhsa_exception_fp_ieee_overflow 0
		.amdhsa_exception_fp_ieee_underflow 0
		.amdhsa_exception_fp_ieee_inexact 0
		.amdhsa_exception_int_div_zero 0
	.end_amdhsa_kernel
	.section	.text._ZN7rocprim17ROCPRIM_400000_NS6detail17trampoline_kernelINS0_13select_configILj256ELj13ELNS0_17block_load_methodE3ELS4_3ELS4_3ELNS0_20block_scan_algorithmE0ELj4294967295EEENS1_25partition_config_selectorILNS1_17partition_subalgoE4EjNS0_10empty_typeEbEEZZNS1_14partition_implILS8_4ELb0ES6_15HIP_vector_typeIjLj2EENS0_17counting_iteratorIjlEEPS9_SG_NS0_5tupleIJPjSI_NS0_16reverse_iteratorISI_EEEEENSH_IJSG_SG_SG_EEES9_SI_JZNS1_25segmented_radix_sort_implINS0_14default_configELb1EPKaPaPKlPlN2at6native12_GLOBAL__N_18offset_tEEE10hipError_tPvRmT1_PNSt15iterator_traitsIS12_E10value_typeET2_T3_PNS13_IS18_E10value_typeET4_jRbjT5_S1E_jjP12ihipStream_tbEUljE_ZNSN_ISO_Lb1ESQ_SR_ST_SU_SY_EESZ_S10_S11_S12_S16_S17_S18_S1B_S1C_jS1D_jS1E_S1E_jjS1G_bEUljE0_EEESZ_S10_S11_S18_S1C_S1E_T6_T7_T9_mT8_S1G_bDpT10_ENKUlT_T0_E_clISt17integral_constantIbLb0EES1T_IbLb1EEEEDaS1P_S1Q_EUlS1P_E_NS1_11comp_targetILNS1_3genE8ELNS1_11target_archE1030ELNS1_3gpuE2ELNS1_3repE0EEENS1_30default_config_static_selectorELNS0_4arch9wavefront6targetE1EEEvS12_,"axG",@progbits,_ZN7rocprim17ROCPRIM_400000_NS6detail17trampoline_kernelINS0_13select_configILj256ELj13ELNS0_17block_load_methodE3ELS4_3ELS4_3ELNS0_20block_scan_algorithmE0ELj4294967295EEENS1_25partition_config_selectorILNS1_17partition_subalgoE4EjNS0_10empty_typeEbEEZZNS1_14partition_implILS8_4ELb0ES6_15HIP_vector_typeIjLj2EENS0_17counting_iteratorIjlEEPS9_SG_NS0_5tupleIJPjSI_NS0_16reverse_iteratorISI_EEEEENSH_IJSG_SG_SG_EEES9_SI_JZNS1_25segmented_radix_sort_implINS0_14default_configELb1EPKaPaPKlPlN2at6native12_GLOBAL__N_18offset_tEEE10hipError_tPvRmT1_PNSt15iterator_traitsIS12_E10value_typeET2_T3_PNS13_IS18_E10value_typeET4_jRbjT5_S1E_jjP12ihipStream_tbEUljE_ZNSN_ISO_Lb1ESQ_SR_ST_SU_SY_EESZ_S10_S11_S12_S16_S17_S18_S1B_S1C_jS1D_jS1E_S1E_jjS1G_bEUljE0_EEESZ_S10_S11_S18_S1C_S1E_T6_T7_T9_mT8_S1G_bDpT10_ENKUlT_T0_E_clISt17integral_constantIbLb0EES1T_IbLb1EEEEDaS1P_S1Q_EUlS1P_E_NS1_11comp_targetILNS1_3genE8ELNS1_11target_archE1030ELNS1_3gpuE2ELNS1_3repE0EEENS1_30default_config_static_selectorELNS0_4arch9wavefront6targetE1EEEvS12_,comdat
.Lfunc_end257:
	.size	_ZN7rocprim17ROCPRIM_400000_NS6detail17trampoline_kernelINS0_13select_configILj256ELj13ELNS0_17block_load_methodE3ELS4_3ELS4_3ELNS0_20block_scan_algorithmE0ELj4294967295EEENS1_25partition_config_selectorILNS1_17partition_subalgoE4EjNS0_10empty_typeEbEEZZNS1_14partition_implILS8_4ELb0ES6_15HIP_vector_typeIjLj2EENS0_17counting_iteratorIjlEEPS9_SG_NS0_5tupleIJPjSI_NS0_16reverse_iteratorISI_EEEEENSH_IJSG_SG_SG_EEES9_SI_JZNS1_25segmented_radix_sort_implINS0_14default_configELb1EPKaPaPKlPlN2at6native12_GLOBAL__N_18offset_tEEE10hipError_tPvRmT1_PNSt15iterator_traitsIS12_E10value_typeET2_T3_PNS13_IS18_E10value_typeET4_jRbjT5_S1E_jjP12ihipStream_tbEUljE_ZNSN_ISO_Lb1ESQ_SR_ST_SU_SY_EESZ_S10_S11_S12_S16_S17_S18_S1B_S1C_jS1D_jS1E_S1E_jjS1G_bEUljE0_EEESZ_S10_S11_S18_S1C_S1E_T6_T7_T9_mT8_S1G_bDpT10_ENKUlT_T0_E_clISt17integral_constantIbLb0EES1T_IbLb1EEEEDaS1P_S1Q_EUlS1P_E_NS1_11comp_targetILNS1_3genE8ELNS1_11target_archE1030ELNS1_3gpuE2ELNS1_3repE0EEENS1_30default_config_static_selectorELNS0_4arch9wavefront6targetE1EEEvS12_, .Lfunc_end257-_ZN7rocprim17ROCPRIM_400000_NS6detail17trampoline_kernelINS0_13select_configILj256ELj13ELNS0_17block_load_methodE3ELS4_3ELS4_3ELNS0_20block_scan_algorithmE0ELj4294967295EEENS1_25partition_config_selectorILNS1_17partition_subalgoE4EjNS0_10empty_typeEbEEZZNS1_14partition_implILS8_4ELb0ES6_15HIP_vector_typeIjLj2EENS0_17counting_iteratorIjlEEPS9_SG_NS0_5tupleIJPjSI_NS0_16reverse_iteratorISI_EEEEENSH_IJSG_SG_SG_EEES9_SI_JZNS1_25segmented_radix_sort_implINS0_14default_configELb1EPKaPaPKlPlN2at6native12_GLOBAL__N_18offset_tEEE10hipError_tPvRmT1_PNSt15iterator_traitsIS12_E10value_typeET2_T3_PNS13_IS18_E10value_typeET4_jRbjT5_S1E_jjP12ihipStream_tbEUljE_ZNSN_ISO_Lb1ESQ_SR_ST_SU_SY_EESZ_S10_S11_S12_S16_S17_S18_S1B_S1C_jS1D_jS1E_S1E_jjS1G_bEUljE0_EEESZ_S10_S11_S18_S1C_S1E_T6_T7_T9_mT8_S1G_bDpT10_ENKUlT_T0_E_clISt17integral_constantIbLb0EES1T_IbLb1EEEEDaS1P_S1Q_EUlS1P_E_NS1_11comp_targetILNS1_3genE8ELNS1_11target_archE1030ELNS1_3gpuE2ELNS1_3repE0EEENS1_30default_config_static_selectorELNS0_4arch9wavefront6targetE1EEEvS12_
                                        ; -- End function
	.section	.AMDGPU.csdata,"",@progbits
; Kernel info:
; codeLenInByte = 0
; NumSgprs: 4
; NumVgprs: 0
; NumAgprs: 0
; TotalNumVgprs: 0
; ScratchSize: 0
; MemoryBound: 0
; FloatMode: 240
; IeeeMode: 1
; LDSByteSize: 0 bytes/workgroup (compile time only)
; SGPRBlocks: 0
; VGPRBlocks: 0
; NumSGPRsForWavesPerEU: 4
; NumVGPRsForWavesPerEU: 1
; AccumOffset: 4
; Occupancy: 8
; WaveLimiterHint : 0
; COMPUTE_PGM_RSRC2:SCRATCH_EN: 0
; COMPUTE_PGM_RSRC2:USER_SGPR: 6
; COMPUTE_PGM_RSRC2:TRAP_HANDLER: 0
; COMPUTE_PGM_RSRC2:TGID_X_EN: 1
; COMPUTE_PGM_RSRC2:TGID_Y_EN: 0
; COMPUTE_PGM_RSRC2:TGID_Z_EN: 0
; COMPUTE_PGM_RSRC2:TIDIG_COMP_CNT: 0
; COMPUTE_PGM_RSRC3_GFX90A:ACCUM_OFFSET: 0
; COMPUTE_PGM_RSRC3_GFX90A:TG_SPLIT: 0
	.section	.text._ZN7rocprim17ROCPRIM_400000_NS6detail17trampoline_kernelINS0_13select_configILj256ELj13ELNS0_17block_load_methodE3ELS4_3ELS4_3ELNS0_20block_scan_algorithmE0ELj4294967295EEENS1_25partition_config_selectorILNS1_17partition_subalgoE3EjNS0_10empty_typeEbEEZZNS1_14partition_implILS8_3ELb0ES6_jNS0_17counting_iteratorIjlEEPS9_SE_NS0_5tupleIJPjSE_EEENSF_IJSE_SE_EEES9_SG_JZNS1_25segmented_radix_sort_implINS0_14default_configELb1EPKaPaPKlPlN2at6native12_GLOBAL__N_18offset_tEEE10hipError_tPvRmT1_PNSt15iterator_traitsISY_E10value_typeET2_T3_PNSZ_IS14_E10value_typeET4_jRbjT5_S1A_jjP12ihipStream_tbEUljE_EEESV_SW_SX_S14_S18_S1A_T6_T7_T9_mT8_S1C_bDpT10_ENKUlT_T0_E_clISt17integral_constantIbLb0EES1P_EEDaS1K_S1L_EUlS1K_E_NS1_11comp_targetILNS1_3genE0ELNS1_11target_archE4294967295ELNS1_3gpuE0ELNS1_3repE0EEENS1_30default_config_static_selectorELNS0_4arch9wavefront6targetE1EEEvSY_,"axG",@progbits,_ZN7rocprim17ROCPRIM_400000_NS6detail17trampoline_kernelINS0_13select_configILj256ELj13ELNS0_17block_load_methodE3ELS4_3ELS4_3ELNS0_20block_scan_algorithmE0ELj4294967295EEENS1_25partition_config_selectorILNS1_17partition_subalgoE3EjNS0_10empty_typeEbEEZZNS1_14partition_implILS8_3ELb0ES6_jNS0_17counting_iteratorIjlEEPS9_SE_NS0_5tupleIJPjSE_EEENSF_IJSE_SE_EEES9_SG_JZNS1_25segmented_radix_sort_implINS0_14default_configELb1EPKaPaPKlPlN2at6native12_GLOBAL__N_18offset_tEEE10hipError_tPvRmT1_PNSt15iterator_traitsISY_E10value_typeET2_T3_PNSZ_IS14_E10value_typeET4_jRbjT5_S1A_jjP12ihipStream_tbEUljE_EEESV_SW_SX_S14_S18_S1A_T6_T7_T9_mT8_S1C_bDpT10_ENKUlT_T0_E_clISt17integral_constantIbLb0EES1P_EEDaS1K_S1L_EUlS1K_E_NS1_11comp_targetILNS1_3genE0ELNS1_11target_archE4294967295ELNS1_3gpuE0ELNS1_3repE0EEENS1_30default_config_static_selectorELNS0_4arch9wavefront6targetE1EEEvSY_,comdat
	.globl	_ZN7rocprim17ROCPRIM_400000_NS6detail17trampoline_kernelINS0_13select_configILj256ELj13ELNS0_17block_load_methodE3ELS4_3ELS4_3ELNS0_20block_scan_algorithmE0ELj4294967295EEENS1_25partition_config_selectorILNS1_17partition_subalgoE3EjNS0_10empty_typeEbEEZZNS1_14partition_implILS8_3ELb0ES6_jNS0_17counting_iteratorIjlEEPS9_SE_NS0_5tupleIJPjSE_EEENSF_IJSE_SE_EEES9_SG_JZNS1_25segmented_radix_sort_implINS0_14default_configELb1EPKaPaPKlPlN2at6native12_GLOBAL__N_18offset_tEEE10hipError_tPvRmT1_PNSt15iterator_traitsISY_E10value_typeET2_T3_PNSZ_IS14_E10value_typeET4_jRbjT5_S1A_jjP12ihipStream_tbEUljE_EEESV_SW_SX_S14_S18_S1A_T6_T7_T9_mT8_S1C_bDpT10_ENKUlT_T0_E_clISt17integral_constantIbLb0EES1P_EEDaS1K_S1L_EUlS1K_E_NS1_11comp_targetILNS1_3genE0ELNS1_11target_archE4294967295ELNS1_3gpuE0ELNS1_3repE0EEENS1_30default_config_static_selectorELNS0_4arch9wavefront6targetE1EEEvSY_ ; -- Begin function _ZN7rocprim17ROCPRIM_400000_NS6detail17trampoline_kernelINS0_13select_configILj256ELj13ELNS0_17block_load_methodE3ELS4_3ELS4_3ELNS0_20block_scan_algorithmE0ELj4294967295EEENS1_25partition_config_selectorILNS1_17partition_subalgoE3EjNS0_10empty_typeEbEEZZNS1_14partition_implILS8_3ELb0ES6_jNS0_17counting_iteratorIjlEEPS9_SE_NS0_5tupleIJPjSE_EEENSF_IJSE_SE_EEES9_SG_JZNS1_25segmented_radix_sort_implINS0_14default_configELb1EPKaPaPKlPlN2at6native12_GLOBAL__N_18offset_tEEE10hipError_tPvRmT1_PNSt15iterator_traitsISY_E10value_typeET2_T3_PNSZ_IS14_E10value_typeET4_jRbjT5_S1A_jjP12ihipStream_tbEUljE_EEESV_SW_SX_S14_S18_S1A_T6_T7_T9_mT8_S1C_bDpT10_ENKUlT_T0_E_clISt17integral_constantIbLb0EES1P_EEDaS1K_S1L_EUlS1K_E_NS1_11comp_targetILNS1_3genE0ELNS1_11target_archE4294967295ELNS1_3gpuE0ELNS1_3repE0EEENS1_30default_config_static_selectorELNS0_4arch9wavefront6targetE1EEEvSY_
	.p2align	8
	.type	_ZN7rocprim17ROCPRIM_400000_NS6detail17trampoline_kernelINS0_13select_configILj256ELj13ELNS0_17block_load_methodE3ELS4_3ELS4_3ELNS0_20block_scan_algorithmE0ELj4294967295EEENS1_25partition_config_selectorILNS1_17partition_subalgoE3EjNS0_10empty_typeEbEEZZNS1_14partition_implILS8_3ELb0ES6_jNS0_17counting_iteratorIjlEEPS9_SE_NS0_5tupleIJPjSE_EEENSF_IJSE_SE_EEES9_SG_JZNS1_25segmented_radix_sort_implINS0_14default_configELb1EPKaPaPKlPlN2at6native12_GLOBAL__N_18offset_tEEE10hipError_tPvRmT1_PNSt15iterator_traitsISY_E10value_typeET2_T3_PNSZ_IS14_E10value_typeET4_jRbjT5_S1A_jjP12ihipStream_tbEUljE_EEESV_SW_SX_S14_S18_S1A_T6_T7_T9_mT8_S1C_bDpT10_ENKUlT_T0_E_clISt17integral_constantIbLb0EES1P_EEDaS1K_S1L_EUlS1K_E_NS1_11comp_targetILNS1_3genE0ELNS1_11target_archE4294967295ELNS1_3gpuE0ELNS1_3repE0EEENS1_30default_config_static_selectorELNS0_4arch9wavefront6targetE1EEEvSY_,@function
_ZN7rocprim17ROCPRIM_400000_NS6detail17trampoline_kernelINS0_13select_configILj256ELj13ELNS0_17block_load_methodE3ELS4_3ELS4_3ELNS0_20block_scan_algorithmE0ELj4294967295EEENS1_25partition_config_selectorILNS1_17partition_subalgoE3EjNS0_10empty_typeEbEEZZNS1_14partition_implILS8_3ELb0ES6_jNS0_17counting_iteratorIjlEEPS9_SE_NS0_5tupleIJPjSE_EEENSF_IJSE_SE_EEES9_SG_JZNS1_25segmented_radix_sort_implINS0_14default_configELb1EPKaPaPKlPlN2at6native12_GLOBAL__N_18offset_tEEE10hipError_tPvRmT1_PNSt15iterator_traitsISY_E10value_typeET2_T3_PNSZ_IS14_E10value_typeET4_jRbjT5_S1A_jjP12ihipStream_tbEUljE_EEESV_SW_SX_S14_S18_S1A_T6_T7_T9_mT8_S1C_bDpT10_ENKUlT_T0_E_clISt17integral_constantIbLb0EES1P_EEDaS1K_S1L_EUlS1K_E_NS1_11comp_targetILNS1_3genE0ELNS1_11target_archE4294967295ELNS1_3gpuE0ELNS1_3repE0EEENS1_30default_config_static_selectorELNS0_4arch9wavefront6targetE1EEEvSY_: ; @_ZN7rocprim17ROCPRIM_400000_NS6detail17trampoline_kernelINS0_13select_configILj256ELj13ELNS0_17block_load_methodE3ELS4_3ELS4_3ELNS0_20block_scan_algorithmE0ELj4294967295EEENS1_25partition_config_selectorILNS1_17partition_subalgoE3EjNS0_10empty_typeEbEEZZNS1_14partition_implILS8_3ELb0ES6_jNS0_17counting_iteratorIjlEEPS9_SE_NS0_5tupleIJPjSE_EEENSF_IJSE_SE_EEES9_SG_JZNS1_25segmented_radix_sort_implINS0_14default_configELb1EPKaPaPKlPlN2at6native12_GLOBAL__N_18offset_tEEE10hipError_tPvRmT1_PNSt15iterator_traitsISY_E10value_typeET2_T3_PNSZ_IS14_E10value_typeET4_jRbjT5_S1A_jjP12ihipStream_tbEUljE_EEESV_SW_SX_S14_S18_S1A_T6_T7_T9_mT8_S1C_bDpT10_ENKUlT_T0_E_clISt17integral_constantIbLb0EES1P_EEDaS1K_S1L_EUlS1K_E_NS1_11comp_targetILNS1_3genE0ELNS1_11target_archE4294967295ELNS1_3gpuE0ELNS1_3repE0EEENS1_30default_config_static_selectorELNS0_4arch9wavefront6targetE1EEEvSY_
; %bb.0:
	.section	.rodata,"a",@progbits
	.p2align	6, 0x0
	.amdhsa_kernel _ZN7rocprim17ROCPRIM_400000_NS6detail17trampoline_kernelINS0_13select_configILj256ELj13ELNS0_17block_load_methodE3ELS4_3ELS4_3ELNS0_20block_scan_algorithmE0ELj4294967295EEENS1_25partition_config_selectorILNS1_17partition_subalgoE3EjNS0_10empty_typeEbEEZZNS1_14partition_implILS8_3ELb0ES6_jNS0_17counting_iteratorIjlEEPS9_SE_NS0_5tupleIJPjSE_EEENSF_IJSE_SE_EEES9_SG_JZNS1_25segmented_radix_sort_implINS0_14default_configELb1EPKaPaPKlPlN2at6native12_GLOBAL__N_18offset_tEEE10hipError_tPvRmT1_PNSt15iterator_traitsISY_E10value_typeET2_T3_PNSZ_IS14_E10value_typeET4_jRbjT5_S1A_jjP12ihipStream_tbEUljE_EEESV_SW_SX_S14_S18_S1A_T6_T7_T9_mT8_S1C_bDpT10_ENKUlT_T0_E_clISt17integral_constantIbLb0EES1P_EEDaS1K_S1L_EUlS1K_E_NS1_11comp_targetILNS1_3genE0ELNS1_11target_archE4294967295ELNS1_3gpuE0ELNS1_3repE0EEENS1_30default_config_static_selectorELNS0_4arch9wavefront6targetE1EEEvSY_
		.amdhsa_group_segment_fixed_size 0
		.amdhsa_private_segment_fixed_size 0
		.amdhsa_kernarg_size 144
		.amdhsa_user_sgpr_count 6
		.amdhsa_user_sgpr_private_segment_buffer 1
		.amdhsa_user_sgpr_dispatch_ptr 0
		.amdhsa_user_sgpr_queue_ptr 0
		.amdhsa_user_sgpr_kernarg_segment_ptr 1
		.amdhsa_user_sgpr_dispatch_id 0
		.amdhsa_user_sgpr_flat_scratch_init 0
		.amdhsa_user_sgpr_kernarg_preload_length 0
		.amdhsa_user_sgpr_kernarg_preload_offset 0
		.amdhsa_user_sgpr_private_segment_size 0
		.amdhsa_uses_dynamic_stack 0
		.amdhsa_system_sgpr_private_segment_wavefront_offset 0
		.amdhsa_system_sgpr_workgroup_id_x 1
		.amdhsa_system_sgpr_workgroup_id_y 0
		.amdhsa_system_sgpr_workgroup_id_z 0
		.amdhsa_system_sgpr_workgroup_info 0
		.amdhsa_system_vgpr_workitem_id 0
		.amdhsa_next_free_vgpr 1
		.amdhsa_next_free_sgpr 0
		.amdhsa_accum_offset 4
		.amdhsa_reserve_vcc 0
		.amdhsa_reserve_flat_scratch 0
		.amdhsa_float_round_mode_32 0
		.amdhsa_float_round_mode_16_64 0
		.amdhsa_float_denorm_mode_32 3
		.amdhsa_float_denorm_mode_16_64 3
		.amdhsa_dx10_clamp 1
		.amdhsa_ieee_mode 1
		.amdhsa_fp16_overflow 0
		.amdhsa_tg_split 0
		.amdhsa_exception_fp_ieee_invalid_op 0
		.amdhsa_exception_fp_denorm_src 0
		.amdhsa_exception_fp_ieee_div_zero 0
		.amdhsa_exception_fp_ieee_overflow 0
		.amdhsa_exception_fp_ieee_underflow 0
		.amdhsa_exception_fp_ieee_inexact 0
		.amdhsa_exception_int_div_zero 0
	.end_amdhsa_kernel
	.section	.text._ZN7rocprim17ROCPRIM_400000_NS6detail17trampoline_kernelINS0_13select_configILj256ELj13ELNS0_17block_load_methodE3ELS4_3ELS4_3ELNS0_20block_scan_algorithmE0ELj4294967295EEENS1_25partition_config_selectorILNS1_17partition_subalgoE3EjNS0_10empty_typeEbEEZZNS1_14partition_implILS8_3ELb0ES6_jNS0_17counting_iteratorIjlEEPS9_SE_NS0_5tupleIJPjSE_EEENSF_IJSE_SE_EEES9_SG_JZNS1_25segmented_radix_sort_implINS0_14default_configELb1EPKaPaPKlPlN2at6native12_GLOBAL__N_18offset_tEEE10hipError_tPvRmT1_PNSt15iterator_traitsISY_E10value_typeET2_T3_PNSZ_IS14_E10value_typeET4_jRbjT5_S1A_jjP12ihipStream_tbEUljE_EEESV_SW_SX_S14_S18_S1A_T6_T7_T9_mT8_S1C_bDpT10_ENKUlT_T0_E_clISt17integral_constantIbLb0EES1P_EEDaS1K_S1L_EUlS1K_E_NS1_11comp_targetILNS1_3genE0ELNS1_11target_archE4294967295ELNS1_3gpuE0ELNS1_3repE0EEENS1_30default_config_static_selectorELNS0_4arch9wavefront6targetE1EEEvSY_,"axG",@progbits,_ZN7rocprim17ROCPRIM_400000_NS6detail17trampoline_kernelINS0_13select_configILj256ELj13ELNS0_17block_load_methodE3ELS4_3ELS4_3ELNS0_20block_scan_algorithmE0ELj4294967295EEENS1_25partition_config_selectorILNS1_17partition_subalgoE3EjNS0_10empty_typeEbEEZZNS1_14partition_implILS8_3ELb0ES6_jNS0_17counting_iteratorIjlEEPS9_SE_NS0_5tupleIJPjSE_EEENSF_IJSE_SE_EEES9_SG_JZNS1_25segmented_radix_sort_implINS0_14default_configELb1EPKaPaPKlPlN2at6native12_GLOBAL__N_18offset_tEEE10hipError_tPvRmT1_PNSt15iterator_traitsISY_E10value_typeET2_T3_PNSZ_IS14_E10value_typeET4_jRbjT5_S1A_jjP12ihipStream_tbEUljE_EEESV_SW_SX_S14_S18_S1A_T6_T7_T9_mT8_S1C_bDpT10_ENKUlT_T0_E_clISt17integral_constantIbLb0EES1P_EEDaS1K_S1L_EUlS1K_E_NS1_11comp_targetILNS1_3genE0ELNS1_11target_archE4294967295ELNS1_3gpuE0ELNS1_3repE0EEENS1_30default_config_static_selectorELNS0_4arch9wavefront6targetE1EEEvSY_,comdat
.Lfunc_end258:
	.size	_ZN7rocprim17ROCPRIM_400000_NS6detail17trampoline_kernelINS0_13select_configILj256ELj13ELNS0_17block_load_methodE3ELS4_3ELS4_3ELNS0_20block_scan_algorithmE0ELj4294967295EEENS1_25partition_config_selectorILNS1_17partition_subalgoE3EjNS0_10empty_typeEbEEZZNS1_14partition_implILS8_3ELb0ES6_jNS0_17counting_iteratorIjlEEPS9_SE_NS0_5tupleIJPjSE_EEENSF_IJSE_SE_EEES9_SG_JZNS1_25segmented_radix_sort_implINS0_14default_configELb1EPKaPaPKlPlN2at6native12_GLOBAL__N_18offset_tEEE10hipError_tPvRmT1_PNSt15iterator_traitsISY_E10value_typeET2_T3_PNSZ_IS14_E10value_typeET4_jRbjT5_S1A_jjP12ihipStream_tbEUljE_EEESV_SW_SX_S14_S18_S1A_T6_T7_T9_mT8_S1C_bDpT10_ENKUlT_T0_E_clISt17integral_constantIbLb0EES1P_EEDaS1K_S1L_EUlS1K_E_NS1_11comp_targetILNS1_3genE0ELNS1_11target_archE4294967295ELNS1_3gpuE0ELNS1_3repE0EEENS1_30default_config_static_selectorELNS0_4arch9wavefront6targetE1EEEvSY_, .Lfunc_end258-_ZN7rocprim17ROCPRIM_400000_NS6detail17trampoline_kernelINS0_13select_configILj256ELj13ELNS0_17block_load_methodE3ELS4_3ELS4_3ELNS0_20block_scan_algorithmE0ELj4294967295EEENS1_25partition_config_selectorILNS1_17partition_subalgoE3EjNS0_10empty_typeEbEEZZNS1_14partition_implILS8_3ELb0ES6_jNS0_17counting_iteratorIjlEEPS9_SE_NS0_5tupleIJPjSE_EEENSF_IJSE_SE_EEES9_SG_JZNS1_25segmented_radix_sort_implINS0_14default_configELb1EPKaPaPKlPlN2at6native12_GLOBAL__N_18offset_tEEE10hipError_tPvRmT1_PNSt15iterator_traitsISY_E10value_typeET2_T3_PNSZ_IS14_E10value_typeET4_jRbjT5_S1A_jjP12ihipStream_tbEUljE_EEESV_SW_SX_S14_S18_S1A_T6_T7_T9_mT8_S1C_bDpT10_ENKUlT_T0_E_clISt17integral_constantIbLb0EES1P_EEDaS1K_S1L_EUlS1K_E_NS1_11comp_targetILNS1_3genE0ELNS1_11target_archE4294967295ELNS1_3gpuE0ELNS1_3repE0EEENS1_30default_config_static_selectorELNS0_4arch9wavefront6targetE1EEEvSY_
                                        ; -- End function
	.section	.AMDGPU.csdata,"",@progbits
; Kernel info:
; codeLenInByte = 0
; NumSgprs: 4
; NumVgprs: 0
; NumAgprs: 0
; TotalNumVgprs: 0
; ScratchSize: 0
; MemoryBound: 0
; FloatMode: 240
; IeeeMode: 1
; LDSByteSize: 0 bytes/workgroup (compile time only)
; SGPRBlocks: 0
; VGPRBlocks: 0
; NumSGPRsForWavesPerEU: 4
; NumVGPRsForWavesPerEU: 1
; AccumOffset: 4
; Occupancy: 8
; WaveLimiterHint : 0
; COMPUTE_PGM_RSRC2:SCRATCH_EN: 0
; COMPUTE_PGM_RSRC2:USER_SGPR: 6
; COMPUTE_PGM_RSRC2:TRAP_HANDLER: 0
; COMPUTE_PGM_RSRC2:TGID_X_EN: 1
; COMPUTE_PGM_RSRC2:TGID_Y_EN: 0
; COMPUTE_PGM_RSRC2:TGID_Z_EN: 0
; COMPUTE_PGM_RSRC2:TIDIG_COMP_CNT: 0
; COMPUTE_PGM_RSRC3_GFX90A:ACCUM_OFFSET: 0
; COMPUTE_PGM_RSRC3_GFX90A:TG_SPLIT: 0
	.section	.text._ZN7rocprim17ROCPRIM_400000_NS6detail17trampoline_kernelINS0_13select_configILj256ELj13ELNS0_17block_load_methodE3ELS4_3ELS4_3ELNS0_20block_scan_algorithmE0ELj4294967295EEENS1_25partition_config_selectorILNS1_17partition_subalgoE3EjNS0_10empty_typeEbEEZZNS1_14partition_implILS8_3ELb0ES6_jNS0_17counting_iteratorIjlEEPS9_SE_NS0_5tupleIJPjSE_EEENSF_IJSE_SE_EEES9_SG_JZNS1_25segmented_radix_sort_implINS0_14default_configELb1EPKaPaPKlPlN2at6native12_GLOBAL__N_18offset_tEEE10hipError_tPvRmT1_PNSt15iterator_traitsISY_E10value_typeET2_T3_PNSZ_IS14_E10value_typeET4_jRbjT5_S1A_jjP12ihipStream_tbEUljE_EEESV_SW_SX_S14_S18_S1A_T6_T7_T9_mT8_S1C_bDpT10_ENKUlT_T0_E_clISt17integral_constantIbLb0EES1P_EEDaS1K_S1L_EUlS1K_E_NS1_11comp_targetILNS1_3genE5ELNS1_11target_archE942ELNS1_3gpuE9ELNS1_3repE0EEENS1_30default_config_static_selectorELNS0_4arch9wavefront6targetE1EEEvSY_,"axG",@progbits,_ZN7rocprim17ROCPRIM_400000_NS6detail17trampoline_kernelINS0_13select_configILj256ELj13ELNS0_17block_load_methodE3ELS4_3ELS4_3ELNS0_20block_scan_algorithmE0ELj4294967295EEENS1_25partition_config_selectorILNS1_17partition_subalgoE3EjNS0_10empty_typeEbEEZZNS1_14partition_implILS8_3ELb0ES6_jNS0_17counting_iteratorIjlEEPS9_SE_NS0_5tupleIJPjSE_EEENSF_IJSE_SE_EEES9_SG_JZNS1_25segmented_radix_sort_implINS0_14default_configELb1EPKaPaPKlPlN2at6native12_GLOBAL__N_18offset_tEEE10hipError_tPvRmT1_PNSt15iterator_traitsISY_E10value_typeET2_T3_PNSZ_IS14_E10value_typeET4_jRbjT5_S1A_jjP12ihipStream_tbEUljE_EEESV_SW_SX_S14_S18_S1A_T6_T7_T9_mT8_S1C_bDpT10_ENKUlT_T0_E_clISt17integral_constantIbLb0EES1P_EEDaS1K_S1L_EUlS1K_E_NS1_11comp_targetILNS1_3genE5ELNS1_11target_archE942ELNS1_3gpuE9ELNS1_3repE0EEENS1_30default_config_static_selectorELNS0_4arch9wavefront6targetE1EEEvSY_,comdat
	.globl	_ZN7rocprim17ROCPRIM_400000_NS6detail17trampoline_kernelINS0_13select_configILj256ELj13ELNS0_17block_load_methodE3ELS4_3ELS4_3ELNS0_20block_scan_algorithmE0ELj4294967295EEENS1_25partition_config_selectorILNS1_17partition_subalgoE3EjNS0_10empty_typeEbEEZZNS1_14partition_implILS8_3ELb0ES6_jNS0_17counting_iteratorIjlEEPS9_SE_NS0_5tupleIJPjSE_EEENSF_IJSE_SE_EEES9_SG_JZNS1_25segmented_radix_sort_implINS0_14default_configELb1EPKaPaPKlPlN2at6native12_GLOBAL__N_18offset_tEEE10hipError_tPvRmT1_PNSt15iterator_traitsISY_E10value_typeET2_T3_PNSZ_IS14_E10value_typeET4_jRbjT5_S1A_jjP12ihipStream_tbEUljE_EEESV_SW_SX_S14_S18_S1A_T6_T7_T9_mT8_S1C_bDpT10_ENKUlT_T0_E_clISt17integral_constantIbLb0EES1P_EEDaS1K_S1L_EUlS1K_E_NS1_11comp_targetILNS1_3genE5ELNS1_11target_archE942ELNS1_3gpuE9ELNS1_3repE0EEENS1_30default_config_static_selectorELNS0_4arch9wavefront6targetE1EEEvSY_ ; -- Begin function _ZN7rocprim17ROCPRIM_400000_NS6detail17trampoline_kernelINS0_13select_configILj256ELj13ELNS0_17block_load_methodE3ELS4_3ELS4_3ELNS0_20block_scan_algorithmE0ELj4294967295EEENS1_25partition_config_selectorILNS1_17partition_subalgoE3EjNS0_10empty_typeEbEEZZNS1_14partition_implILS8_3ELb0ES6_jNS0_17counting_iteratorIjlEEPS9_SE_NS0_5tupleIJPjSE_EEENSF_IJSE_SE_EEES9_SG_JZNS1_25segmented_radix_sort_implINS0_14default_configELb1EPKaPaPKlPlN2at6native12_GLOBAL__N_18offset_tEEE10hipError_tPvRmT1_PNSt15iterator_traitsISY_E10value_typeET2_T3_PNSZ_IS14_E10value_typeET4_jRbjT5_S1A_jjP12ihipStream_tbEUljE_EEESV_SW_SX_S14_S18_S1A_T6_T7_T9_mT8_S1C_bDpT10_ENKUlT_T0_E_clISt17integral_constantIbLb0EES1P_EEDaS1K_S1L_EUlS1K_E_NS1_11comp_targetILNS1_3genE5ELNS1_11target_archE942ELNS1_3gpuE9ELNS1_3repE0EEENS1_30default_config_static_selectorELNS0_4arch9wavefront6targetE1EEEvSY_
	.p2align	8
	.type	_ZN7rocprim17ROCPRIM_400000_NS6detail17trampoline_kernelINS0_13select_configILj256ELj13ELNS0_17block_load_methodE3ELS4_3ELS4_3ELNS0_20block_scan_algorithmE0ELj4294967295EEENS1_25partition_config_selectorILNS1_17partition_subalgoE3EjNS0_10empty_typeEbEEZZNS1_14partition_implILS8_3ELb0ES6_jNS0_17counting_iteratorIjlEEPS9_SE_NS0_5tupleIJPjSE_EEENSF_IJSE_SE_EEES9_SG_JZNS1_25segmented_radix_sort_implINS0_14default_configELb1EPKaPaPKlPlN2at6native12_GLOBAL__N_18offset_tEEE10hipError_tPvRmT1_PNSt15iterator_traitsISY_E10value_typeET2_T3_PNSZ_IS14_E10value_typeET4_jRbjT5_S1A_jjP12ihipStream_tbEUljE_EEESV_SW_SX_S14_S18_S1A_T6_T7_T9_mT8_S1C_bDpT10_ENKUlT_T0_E_clISt17integral_constantIbLb0EES1P_EEDaS1K_S1L_EUlS1K_E_NS1_11comp_targetILNS1_3genE5ELNS1_11target_archE942ELNS1_3gpuE9ELNS1_3repE0EEENS1_30default_config_static_selectorELNS0_4arch9wavefront6targetE1EEEvSY_,@function
_ZN7rocprim17ROCPRIM_400000_NS6detail17trampoline_kernelINS0_13select_configILj256ELj13ELNS0_17block_load_methodE3ELS4_3ELS4_3ELNS0_20block_scan_algorithmE0ELj4294967295EEENS1_25partition_config_selectorILNS1_17partition_subalgoE3EjNS0_10empty_typeEbEEZZNS1_14partition_implILS8_3ELb0ES6_jNS0_17counting_iteratorIjlEEPS9_SE_NS0_5tupleIJPjSE_EEENSF_IJSE_SE_EEES9_SG_JZNS1_25segmented_radix_sort_implINS0_14default_configELb1EPKaPaPKlPlN2at6native12_GLOBAL__N_18offset_tEEE10hipError_tPvRmT1_PNSt15iterator_traitsISY_E10value_typeET2_T3_PNSZ_IS14_E10value_typeET4_jRbjT5_S1A_jjP12ihipStream_tbEUljE_EEESV_SW_SX_S14_S18_S1A_T6_T7_T9_mT8_S1C_bDpT10_ENKUlT_T0_E_clISt17integral_constantIbLb0EES1P_EEDaS1K_S1L_EUlS1K_E_NS1_11comp_targetILNS1_3genE5ELNS1_11target_archE942ELNS1_3gpuE9ELNS1_3repE0EEENS1_30default_config_static_selectorELNS0_4arch9wavefront6targetE1EEEvSY_: ; @_ZN7rocprim17ROCPRIM_400000_NS6detail17trampoline_kernelINS0_13select_configILj256ELj13ELNS0_17block_load_methodE3ELS4_3ELS4_3ELNS0_20block_scan_algorithmE0ELj4294967295EEENS1_25partition_config_selectorILNS1_17partition_subalgoE3EjNS0_10empty_typeEbEEZZNS1_14partition_implILS8_3ELb0ES6_jNS0_17counting_iteratorIjlEEPS9_SE_NS0_5tupleIJPjSE_EEENSF_IJSE_SE_EEES9_SG_JZNS1_25segmented_radix_sort_implINS0_14default_configELb1EPKaPaPKlPlN2at6native12_GLOBAL__N_18offset_tEEE10hipError_tPvRmT1_PNSt15iterator_traitsISY_E10value_typeET2_T3_PNSZ_IS14_E10value_typeET4_jRbjT5_S1A_jjP12ihipStream_tbEUljE_EEESV_SW_SX_S14_S18_S1A_T6_T7_T9_mT8_S1C_bDpT10_ENKUlT_T0_E_clISt17integral_constantIbLb0EES1P_EEDaS1K_S1L_EUlS1K_E_NS1_11comp_targetILNS1_3genE5ELNS1_11target_archE942ELNS1_3gpuE9ELNS1_3repE0EEENS1_30default_config_static_selectorELNS0_4arch9wavefront6targetE1EEEvSY_
; %bb.0:
	.section	.rodata,"a",@progbits
	.p2align	6, 0x0
	.amdhsa_kernel _ZN7rocprim17ROCPRIM_400000_NS6detail17trampoline_kernelINS0_13select_configILj256ELj13ELNS0_17block_load_methodE3ELS4_3ELS4_3ELNS0_20block_scan_algorithmE0ELj4294967295EEENS1_25partition_config_selectorILNS1_17partition_subalgoE3EjNS0_10empty_typeEbEEZZNS1_14partition_implILS8_3ELb0ES6_jNS0_17counting_iteratorIjlEEPS9_SE_NS0_5tupleIJPjSE_EEENSF_IJSE_SE_EEES9_SG_JZNS1_25segmented_radix_sort_implINS0_14default_configELb1EPKaPaPKlPlN2at6native12_GLOBAL__N_18offset_tEEE10hipError_tPvRmT1_PNSt15iterator_traitsISY_E10value_typeET2_T3_PNSZ_IS14_E10value_typeET4_jRbjT5_S1A_jjP12ihipStream_tbEUljE_EEESV_SW_SX_S14_S18_S1A_T6_T7_T9_mT8_S1C_bDpT10_ENKUlT_T0_E_clISt17integral_constantIbLb0EES1P_EEDaS1K_S1L_EUlS1K_E_NS1_11comp_targetILNS1_3genE5ELNS1_11target_archE942ELNS1_3gpuE9ELNS1_3repE0EEENS1_30default_config_static_selectorELNS0_4arch9wavefront6targetE1EEEvSY_
		.amdhsa_group_segment_fixed_size 0
		.amdhsa_private_segment_fixed_size 0
		.amdhsa_kernarg_size 144
		.amdhsa_user_sgpr_count 6
		.amdhsa_user_sgpr_private_segment_buffer 1
		.amdhsa_user_sgpr_dispatch_ptr 0
		.amdhsa_user_sgpr_queue_ptr 0
		.amdhsa_user_sgpr_kernarg_segment_ptr 1
		.amdhsa_user_sgpr_dispatch_id 0
		.amdhsa_user_sgpr_flat_scratch_init 0
		.amdhsa_user_sgpr_kernarg_preload_length 0
		.amdhsa_user_sgpr_kernarg_preload_offset 0
		.amdhsa_user_sgpr_private_segment_size 0
		.amdhsa_uses_dynamic_stack 0
		.amdhsa_system_sgpr_private_segment_wavefront_offset 0
		.amdhsa_system_sgpr_workgroup_id_x 1
		.amdhsa_system_sgpr_workgroup_id_y 0
		.amdhsa_system_sgpr_workgroup_id_z 0
		.amdhsa_system_sgpr_workgroup_info 0
		.amdhsa_system_vgpr_workitem_id 0
		.amdhsa_next_free_vgpr 1
		.amdhsa_next_free_sgpr 0
		.amdhsa_accum_offset 4
		.amdhsa_reserve_vcc 0
		.amdhsa_reserve_flat_scratch 0
		.amdhsa_float_round_mode_32 0
		.amdhsa_float_round_mode_16_64 0
		.amdhsa_float_denorm_mode_32 3
		.amdhsa_float_denorm_mode_16_64 3
		.amdhsa_dx10_clamp 1
		.amdhsa_ieee_mode 1
		.amdhsa_fp16_overflow 0
		.amdhsa_tg_split 0
		.amdhsa_exception_fp_ieee_invalid_op 0
		.amdhsa_exception_fp_denorm_src 0
		.amdhsa_exception_fp_ieee_div_zero 0
		.amdhsa_exception_fp_ieee_overflow 0
		.amdhsa_exception_fp_ieee_underflow 0
		.amdhsa_exception_fp_ieee_inexact 0
		.amdhsa_exception_int_div_zero 0
	.end_amdhsa_kernel
	.section	.text._ZN7rocprim17ROCPRIM_400000_NS6detail17trampoline_kernelINS0_13select_configILj256ELj13ELNS0_17block_load_methodE3ELS4_3ELS4_3ELNS0_20block_scan_algorithmE0ELj4294967295EEENS1_25partition_config_selectorILNS1_17partition_subalgoE3EjNS0_10empty_typeEbEEZZNS1_14partition_implILS8_3ELb0ES6_jNS0_17counting_iteratorIjlEEPS9_SE_NS0_5tupleIJPjSE_EEENSF_IJSE_SE_EEES9_SG_JZNS1_25segmented_radix_sort_implINS0_14default_configELb1EPKaPaPKlPlN2at6native12_GLOBAL__N_18offset_tEEE10hipError_tPvRmT1_PNSt15iterator_traitsISY_E10value_typeET2_T3_PNSZ_IS14_E10value_typeET4_jRbjT5_S1A_jjP12ihipStream_tbEUljE_EEESV_SW_SX_S14_S18_S1A_T6_T7_T9_mT8_S1C_bDpT10_ENKUlT_T0_E_clISt17integral_constantIbLb0EES1P_EEDaS1K_S1L_EUlS1K_E_NS1_11comp_targetILNS1_3genE5ELNS1_11target_archE942ELNS1_3gpuE9ELNS1_3repE0EEENS1_30default_config_static_selectorELNS0_4arch9wavefront6targetE1EEEvSY_,"axG",@progbits,_ZN7rocprim17ROCPRIM_400000_NS6detail17trampoline_kernelINS0_13select_configILj256ELj13ELNS0_17block_load_methodE3ELS4_3ELS4_3ELNS0_20block_scan_algorithmE0ELj4294967295EEENS1_25partition_config_selectorILNS1_17partition_subalgoE3EjNS0_10empty_typeEbEEZZNS1_14partition_implILS8_3ELb0ES6_jNS0_17counting_iteratorIjlEEPS9_SE_NS0_5tupleIJPjSE_EEENSF_IJSE_SE_EEES9_SG_JZNS1_25segmented_radix_sort_implINS0_14default_configELb1EPKaPaPKlPlN2at6native12_GLOBAL__N_18offset_tEEE10hipError_tPvRmT1_PNSt15iterator_traitsISY_E10value_typeET2_T3_PNSZ_IS14_E10value_typeET4_jRbjT5_S1A_jjP12ihipStream_tbEUljE_EEESV_SW_SX_S14_S18_S1A_T6_T7_T9_mT8_S1C_bDpT10_ENKUlT_T0_E_clISt17integral_constantIbLb0EES1P_EEDaS1K_S1L_EUlS1K_E_NS1_11comp_targetILNS1_3genE5ELNS1_11target_archE942ELNS1_3gpuE9ELNS1_3repE0EEENS1_30default_config_static_selectorELNS0_4arch9wavefront6targetE1EEEvSY_,comdat
.Lfunc_end259:
	.size	_ZN7rocprim17ROCPRIM_400000_NS6detail17trampoline_kernelINS0_13select_configILj256ELj13ELNS0_17block_load_methodE3ELS4_3ELS4_3ELNS0_20block_scan_algorithmE0ELj4294967295EEENS1_25partition_config_selectorILNS1_17partition_subalgoE3EjNS0_10empty_typeEbEEZZNS1_14partition_implILS8_3ELb0ES6_jNS0_17counting_iteratorIjlEEPS9_SE_NS0_5tupleIJPjSE_EEENSF_IJSE_SE_EEES9_SG_JZNS1_25segmented_radix_sort_implINS0_14default_configELb1EPKaPaPKlPlN2at6native12_GLOBAL__N_18offset_tEEE10hipError_tPvRmT1_PNSt15iterator_traitsISY_E10value_typeET2_T3_PNSZ_IS14_E10value_typeET4_jRbjT5_S1A_jjP12ihipStream_tbEUljE_EEESV_SW_SX_S14_S18_S1A_T6_T7_T9_mT8_S1C_bDpT10_ENKUlT_T0_E_clISt17integral_constantIbLb0EES1P_EEDaS1K_S1L_EUlS1K_E_NS1_11comp_targetILNS1_3genE5ELNS1_11target_archE942ELNS1_3gpuE9ELNS1_3repE0EEENS1_30default_config_static_selectorELNS0_4arch9wavefront6targetE1EEEvSY_, .Lfunc_end259-_ZN7rocprim17ROCPRIM_400000_NS6detail17trampoline_kernelINS0_13select_configILj256ELj13ELNS0_17block_load_methodE3ELS4_3ELS4_3ELNS0_20block_scan_algorithmE0ELj4294967295EEENS1_25partition_config_selectorILNS1_17partition_subalgoE3EjNS0_10empty_typeEbEEZZNS1_14partition_implILS8_3ELb0ES6_jNS0_17counting_iteratorIjlEEPS9_SE_NS0_5tupleIJPjSE_EEENSF_IJSE_SE_EEES9_SG_JZNS1_25segmented_radix_sort_implINS0_14default_configELb1EPKaPaPKlPlN2at6native12_GLOBAL__N_18offset_tEEE10hipError_tPvRmT1_PNSt15iterator_traitsISY_E10value_typeET2_T3_PNSZ_IS14_E10value_typeET4_jRbjT5_S1A_jjP12ihipStream_tbEUljE_EEESV_SW_SX_S14_S18_S1A_T6_T7_T9_mT8_S1C_bDpT10_ENKUlT_T0_E_clISt17integral_constantIbLb0EES1P_EEDaS1K_S1L_EUlS1K_E_NS1_11comp_targetILNS1_3genE5ELNS1_11target_archE942ELNS1_3gpuE9ELNS1_3repE0EEENS1_30default_config_static_selectorELNS0_4arch9wavefront6targetE1EEEvSY_
                                        ; -- End function
	.section	.AMDGPU.csdata,"",@progbits
; Kernel info:
; codeLenInByte = 0
; NumSgprs: 4
; NumVgprs: 0
; NumAgprs: 0
; TotalNumVgprs: 0
; ScratchSize: 0
; MemoryBound: 0
; FloatMode: 240
; IeeeMode: 1
; LDSByteSize: 0 bytes/workgroup (compile time only)
; SGPRBlocks: 0
; VGPRBlocks: 0
; NumSGPRsForWavesPerEU: 4
; NumVGPRsForWavesPerEU: 1
; AccumOffset: 4
; Occupancy: 8
; WaveLimiterHint : 0
; COMPUTE_PGM_RSRC2:SCRATCH_EN: 0
; COMPUTE_PGM_RSRC2:USER_SGPR: 6
; COMPUTE_PGM_RSRC2:TRAP_HANDLER: 0
; COMPUTE_PGM_RSRC2:TGID_X_EN: 1
; COMPUTE_PGM_RSRC2:TGID_Y_EN: 0
; COMPUTE_PGM_RSRC2:TGID_Z_EN: 0
; COMPUTE_PGM_RSRC2:TIDIG_COMP_CNT: 0
; COMPUTE_PGM_RSRC3_GFX90A:ACCUM_OFFSET: 0
; COMPUTE_PGM_RSRC3_GFX90A:TG_SPLIT: 0
	.section	.text._ZN7rocprim17ROCPRIM_400000_NS6detail17trampoline_kernelINS0_13select_configILj256ELj13ELNS0_17block_load_methodE3ELS4_3ELS4_3ELNS0_20block_scan_algorithmE0ELj4294967295EEENS1_25partition_config_selectorILNS1_17partition_subalgoE3EjNS0_10empty_typeEbEEZZNS1_14partition_implILS8_3ELb0ES6_jNS0_17counting_iteratorIjlEEPS9_SE_NS0_5tupleIJPjSE_EEENSF_IJSE_SE_EEES9_SG_JZNS1_25segmented_radix_sort_implINS0_14default_configELb1EPKaPaPKlPlN2at6native12_GLOBAL__N_18offset_tEEE10hipError_tPvRmT1_PNSt15iterator_traitsISY_E10value_typeET2_T3_PNSZ_IS14_E10value_typeET4_jRbjT5_S1A_jjP12ihipStream_tbEUljE_EEESV_SW_SX_S14_S18_S1A_T6_T7_T9_mT8_S1C_bDpT10_ENKUlT_T0_E_clISt17integral_constantIbLb0EES1P_EEDaS1K_S1L_EUlS1K_E_NS1_11comp_targetILNS1_3genE4ELNS1_11target_archE910ELNS1_3gpuE8ELNS1_3repE0EEENS1_30default_config_static_selectorELNS0_4arch9wavefront6targetE1EEEvSY_,"axG",@progbits,_ZN7rocprim17ROCPRIM_400000_NS6detail17trampoline_kernelINS0_13select_configILj256ELj13ELNS0_17block_load_methodE3ELS4_3ELS4_3ELNS0_20block_scan_algorithmE0ELj4294967295EEENS1_25partition_config_selectorILNS1_17partition_subalgoE3EjNS0_10empty_typeEbEEZZNS1_14partition_implILS8_3ELb0ES6_jNS0_17counting_iteratorIjlEEPS9_SE_NS0_5tupleIJPjSE_EEENSF_IJSE_SE_EEES9_SG_JZNS1_25segmented_radix_sort_implINS0_14default_configELb1EPKaPaPKlPlN2at6native12_GLOBAL__N_18offset_tEEE10hipError_tPvRmT1_PNSt15iterator_traitsISY_E10value_typeET2_T3_PNSZ_IS14_E10value_typeET4_jRbjT5_S1A_jjP12ihipStream_tbEUljE_EEESV_SW_SX_S14_S18_S1A_T6_T7_T9_mT8_S1C_bDpT10_ENKUlT_T0_E_clISt17integral_constantIbLb0EES1P_EEDaS1K_S1L_EUlS1K_E_NS1_11comp_targetILNS1_3genE4ELNS1_11target_archE910ELNS1_3gpuE8ELNS1_3repE0EEENS1_30default_config_static_selectorELNS0_4arch9wavefront6targetE1EEEvSY_,comdat
	.globl	_ZN7rocprim17ROCPRIM_400000_NS6detail17trampoline_kernelINS0_13select_configILj256ELj13ELNS0_17block_load_methodE3ELS4_3ELS4_3ELNS0_20block_scan_algorithmE0ELj4294967295EEENS1_25partition_config_selectorILNS1_17partition_subalgoE3EjNS0_10empty_typeEbEEZZNS1_14partition_implILS8_3ELb0ES6_jNS0_17counting_iteratorIjlEEPS9_SE_NS0_5tupleIJPjSE_EEENSF_IJSE_SE_EEES9_SG_JZNS1_25segmented_radix_sort_implINS0_14default_configELb1EPKaPaPKlPlN2at6native12_GLOBAL__N_18offset_tEEE10hipError_tPvRmT1_PNSt15iterator_traitsISY_E10value_typeET2_T3_PNSZ_IS14_E10value_typeET4_jRbjT5_S1A_jjP12ihipStream_tbEUljE_EEESV_SW_SX_S14_S18_S1A_T6_T7_T9_mT8_S1C_bDpT10_ENKUlT_T0_E_clISt17integral_constantIbLb0EES1P_EEDaS1K_S1L_EUlS1K_E_NS1_11comp_targetILNS1_3genE4ELNS1_11target_archE910ELNS1_3gpuE8ELNS1_3repE0EEENS1_30default_config_static_selectorELNS0_4arch9wavefront6targetE1EEEvSY_ ; -- Begin function _ZN7rocprim17ROCPRIM_400000_NS6detail17trampoline_kernelINS0_13select_configILj256ELj13ELNS0_17block_load_methodE3ELS4_3ELS4_3ELNS0_20block_scan_algorithmE0ELj4294967295EEENS1_25partition_config_selectorILNS1_17partition_subalgoE3EjNS0_10empty_typeEbEEZZNS1_14partition_implILS8_3ELb0ES6_jNS0_17counting_iteratorIjlEEPS9_SE_NS0_5tupleIJPjSE_EEENSF_IJSE_SE_EEES9_SG_JZNS1_25segmented_radix_sort_implINS0_14default_configELb1EPKaPaPKlPlN2at6native12_GLOBAL__N_18offset_tEEE10hipError_tPvRmT1_PNSt15iterator_traitsISY_E10value_typeET2_T3_PNSZ_IS14_E10value_typeET4_jRbjT5_S1A_jjP12ihipStream_tbEUljE_EEESV_SW_SX_S14_S18_S1A_T6_T7_T9_mT8_S1C_bDpT10_ENKUlT_T0_E_clISt17integral_constantIbLb0EES1P_EEDaS1K_S1L_EUlS1K_E_NS1_11comp_targetILNS1_3genE4ELNS1_11target_archE910ELNS1_3gpuE8ELNS1_3repE0EEENS1_30default_config_static_selectorELNS0_4arch9wavefront6targetE1EEEvSY_
	.p2align	8
	.type	_ZN7rocprim17ROCPRIM_400000_NS6detail17trampoline_kernelINS0_13select_configILj256ELj13ELNS0_17block_load_methodE3ELS4_3ELS4_3ELNS0_20block_scan_algorithmE0ELj4294967295EEENS1_25partition_config_selectorILNS1_17partition_subalgoE3EjNS0_10empty_typeEbEEZZNS1_14partition_implILS8_3ELb0ES6_jNS0_17counting_iteratorIjlEEPS9_SE_NS0_5tupleIJPjSE_EEENSF_IJSE_SE_EEES9_SG_JZNS1_25segmented_radix_sort_implINS0_14default_configELb1EPKaPaPKlPlN2at6native12_GLOBAL__N_18offset_tEEE10hipError_tPvRmT1_PNSt15iterator_traitsISY_E10value_typeET2_T3_PNSZ_IS14_E10value_typeET4_jRbjT5_S1A_jjP12ihipStream_tbEUljE_EEESV_SW_SX_S14_S18_S1A_T6_T7_T9_mT8_S1C_bDpT10_ENKUlT_T0_E_clISt17integral_constantIbLb0EES1P_EEDaS1K_S1L_EUlS1K_E_NS1_11comp_targetILNS1_3genE4ELNS1_11target_archE910ELNS1_3gpuE8ELNS1_3repE0EEENS1_30default_config_static_selectorELNS0_4arch9wavefront6targetE1EEEvSY_,@function
_ZN7rocprim17ROCPRIM_400000_NS6detail17trampoline_kernelINS0_13select_configILj256ELj13ELNS0_17block_load_methodE3ELS4_3ELS4_3ELNS0_20block_scan_algorithmE0ELj4294967295EEENS1_25partition_config_selectorILNS1_17partition_subalgoE3EjNS0_10empty_typeEbEEZZNS1_14partition_implILS8_3ELb0ES6_jNS0_17counting_iteratorIjlEEPS9_SE_NS0_5tupleIJPjSE_EEENSF_IJSE_SE_EEES9_SG_JZNS1_25segmented_radix_sort_implINS0_14default_configELb1EPKaPaPKlPlN2at6native12_GLOBAL__N_18offset_tEEE10hipError_tPvRmT1_PNSt15iterator_traitsISY_E10value_typeET2_T3_PNSZ_IS14_E10value_typeET4_jRbjT5_S1A_jjP12ihipStream_tbEUljE_EEESV_SW_SX_S14_S18_S1A_T6_T7_T9_mT8_S1C_bDpT10_ENKUlT_T0_E_clISt17integral_constantIbLb0EES1P_EEDaS1K_S1L_EUlS1K_E_NS1_11comp_targetILNS1_3genE4ELNS1_11target_archE910ELNS1_3gpuE8ELNS1_3repE0EEENS1_30default_config_static_selectorELNS0_4arch9wavefront6targetE1EEEvSY_: ; @_ZN7rocprim17ROCPRIM_400000_NS6detail17trampoline_kernelINS0_13select_configILj256ELj13ELNS0_17block_load_methodE3ELS4_3ELS4_3ELNS0_20block_scan_algorithmE0ELj4294967295EEENS1_25partition_config_selectorILNS1_17partition_subalgoE3EjNS0_10empty_typeEbEEZZNS1_14partition_implILS8_3ELb0ES6_jNS0_17counting_iteratorIjlEEPS9_SE_NS0_5tupleIJPjSE_EEENSF_IJSE_SE_EEES9_SG_JZNS1_25segmented_radix_sort_implINS0_14default_configELb1EPKaPaPKlPlN2at6native12_GLOBAL__N_18offset_tEEE10hipError_tPvRmT1_PNSt15iterator_traitsISY_E10value_typeET2_T3_PNSZ_IS14_E10value_typeET4_jRbjT5_S1A_jjP12ihipStream_tbEUljE_EEESV_SW_SX_S14_S18_S1A_T6_T7_T9_mT8_S1C_bDpT10_ENKUlT_T0_E_clISt17integral_constantIbLb0EES1P_EEDaS1K_S1L_EUlS1K_E_NS1_11comp_targetILNS1_3genE4ELNS1_11target_archE910ELNS1_3gpuE8ELNS1_3repE0EEENS1_30default_config_static_selectorELNS0_4arch9wavefront6targetE1EEEvSY_
; %bb.0:
	s_load_dwordx2 s[26:27], s[4:5], 0x58
	s_load_dwordx4 s[20:23], s[4:5], 0x48
	s_load_dword s13, s[4:5], 0x8
	s_load_dwordx2 s[28:29], s[4:5], 0x10
	s_load_dword s12, s[4:5], 0x70
	s_load_dword s7, s[4:5], 0x88
	s_load_dwordx4 s[8:11], s[4:5], 0x78
	s_waitcnt lgkmcnt(0)
	s_load_dwordx2 s[30:31], s[22:23], 0x0
	v_pk_mov_b32 v[2:3], s[26:27], s[26:27] op_sel:[0,1]
	s_add_i32 s2, s12, -1
	s_mulk_i32 s12, 0xd00
	s_add_u32 s0, s28, s12
	s_addc_u32 s1, s29, 0
	s_cmp_eq_u32 s6, s2
	s_cselect_b64 s[22:23], -1, 0
	s_cmp_lg_u32 s6, s2
	s_mul_i32 s42, s6, 0xd00
	v_cmp_lt_u64_e32 vcc, s[0:1], v[2:3]
	s_cselect_b64 s[0:1], -1, 0
	s_or_b64 s[2:3], s[0:1], vcc
	s_add_i32 s0, s13, s42
	s_add_i32 s0, s0, s28
	v_add_u32_e32 v2, s0, v0
	s_mov_b64 s[0:1], -1
	s_and_b64 vcc, exec, s[2:3]
	v_lshlrev_b32_e32 v1, 2, v0
	s_cbranch_vccz .LBB260_2
; %bb.1:
	v_add_u32_e32 v3, 0x100, v2
	v_add_u32_e32 v4, 0x200, v2
	;; [unrolled: 1-line block ×12, first 2 shown]
	ds_write2st64_b32 v1, v2, v3 offset1:4
	ds_write2st64_b32 v1, v4, v5 offset0:8 offset1:12
	ds_write2st64_b32 v1, v6, v7 offset0:16 offset1:20
	;; [unrolled: 1-line block ×5, first 2 shown]
	ds_write_b32 v1, v14 offset:12288
	s_waitcnt lgkmcnt(0)
	s_barrier
	s_mov_b64 s[0:1], 0
.LBB260_2:
	s_andn2_b64 vcc, exec, s[0:1]
	s_add_i32 s12, s12, s28
	s_cbranch_vccnz .LBB260_4
; %bb.3:
	v_add_u32_e32 v3, 0x100, v2
	v_add_u32_e32 v4, 0x200, v2
	;; [unrolled: 1-line block ×12, first 2 shown]
	ds_write2st64_b32 v1, v2, v3 offset1:4
	ds_write2st64_b32 v1, v4, v5 offset0:8 offset1:12
	ds_write2st64_b32 v1, v6, v7 offset0:16 offset1:20
	;; [unrolled: 1-line block ×5, first 2 shown]
	ds_write_b32 v1, v14 offset:12288
	s_waitcnt lgkmcnt(0)
	s_barrier
.LBB260_4:
	v_mul_u32_u24_e32 v33, 13, v0
	v_lshlrev_b32_e32 v2, 2, v33
	s_waitcnt lgkmcnt(0)
	ds_read2_b32 v[30:31], v2 offset1:1
	ds_read2_b32 v[28:29], v2 offset0:2 offset1:3
	ds_read2_b32 v[26:27], v2 offset0:4 offset1:5
	;; [unrolled: 1-line block ×5, first 2 shown]
	ds_read_b32 v32, v2 offset:48
	v_cndmask_b32_e64 v2, 0, 1, s[2:3]
	s_sub_i32 s33, s26, s12
	v_cmp_ne_u32_e64 s[0:1], 1, v2
	s_andn2_b64 vcc, exec, s[2:3]
	s_waitcnt lgkmcnt(0)
	s_barrier
	s_cbranch_vccnz .LBB260_6
; %bb.5:
	v_add_u32_e32 v2, s9, v30
	v_add_u32_e32 v3, s11, v30
	v_mul_lo_u32 v2, v2, s8
	v_mul_lo_u32 v3, v3, s10
	v_sub_u32_e32 v2, v2, v3
	v_add_u32_e32 v3, s9, v31
	v_add_u32_e32 v4, s11, v31
	v_mul_lo_u32 v3, v3, s8
	v_mul_lo_u32 v4, v4, s10
	v_sub_u32_e32 v3, v3, v4
	;; [unrolled: 5-line block ×6, first 2 shown]
	v_add_u32_e32 v8, s9, v24
	v_add_u32_e32 v9, s11, v24
	v_mul_lo_u32 v8, v8, s8
	v_mul_lo_u32 v9, v9, s10
	v_cmp_lt_u32_e32 vcc, s7, v2
	v_sub_u32_e32 v8, v8, v9
	v_add_u32_e32 v9, s9, v25
	v_add_u32_e32 v10, s11, v25
	v_cndmask_b32_e64 v2, 0, 1, vcc
	v_cmp_lt_u32_e32 vcc, s7, v3
	v_mul_lo_u32 v9, v9, s8
	v_mul_lo_u32 v10, v10, s10
	v_cndmask_b32_e64 v3, 0, 1, vcc
	v_cmp_lt_u32_e32 vcc, s7, v4
	v_sub_u32_e32 v9, v9, v10
	v_add_u32_e32 v10, s9, v22
	v_add_u32_e32 v11, s11, v22
	v_cndmask_b32_e64 v4, 0, 1, vcc
	v_cmp_lt_u32_e32 vcc, s7, v5
	v_mul_lo_u32 v10, v10, s8
	v_mul_lo_u32 v11, v11, s10
	v_cndmask_b32_e64 v5, 0, 1, vcc
	;; [unrolled: 9-line block ×4, first 2 shown]
	v_cmp_lt_u32_e32 vcc, s7, v10
	v_sub_u32_e32 v12, v12, v13
	v_add_u32_e32 v13, s9, v21
	v_add_u32_e32 v14, s11, v21
	v_lshlrev_b16_e32 v3, 8, v3
	v_cndmask_b32_e64 v10, 0, 1, vcc
	v_cmp_lt_u32_e32 vcc, s7, v11
	v_mul_lo_u32 v13, v13, s8
	v_mul_lo_u32 v14, v14, s10
	v_or_b32_e32 v2, v2, v3
	v_lshlrev_b16_e32 v3, 8, v5
	v_cndmask_b32_e64 v11, 0, 1, vcc
	v_cmp_lt_u32_e32 vcc, s7, v12
	v_sub_u32_e32 v13, v13, v14
	v_or_b32_sdwa v3, v4, v3 dst_sel:WORD_1 dst_unused:UNUSED_PAD src0_sel:DWORD src1_sel:DWORD
	v_cndmask_b32_e64 v12, 0, 1, vcc
	v_cmp_lt_u32_e32 vcc, s7, v13
	v_add_u32_e32 v14, s9, v32
	v_add_u32_e32 v15, s11, v32
	v_or_b32_sdwa v37, v2, v3 dst_sel:DWORD dst_unused:UNUSED_PAD src0_sel:WORD_0 src1_sel:DWORD
	v_lshlrev_b16_e32 v2, 8, v7
	v_lshlrev_b16_e32 v3, 8, v9
	v_cndmask_b32_e64 v13, 0, 1, vcc
	v_mul_lo_u32 v14, v14, s8
	v_mul_lo_u32 v15, v15, s10
	v_or_b32_e32 v2, v6, v2
	v_or_b32_sdwa v3, v8, v3 dst_sel:WORD_1 dst_unused:UNUSED_PAD src0_sel:DWORD src1_sel:DWORD
	v_sub_u32_e32 v14, v14, v15
	v_or_b32_sdwa v36, v2, v3 dst_sel:DWORD dst_unused:UNUSED_PAD src0_sel:WORD_0 src1_sel:DWORD
	v_lshlrev_b16_e32 v2, 8, v11
	v_lshlrev_b16_e32 v3, 8, v13
	v_cmp_lt_u32_e32 vcc, s7, v14
	v_or_b32_e32 v2, v10, v2
	v_or_b32_sdwa v3, v12, v3 dst_sel:WORD_1 dst_unused:UNUSED_PAD src0_sel:DWORD src1_sel:DWORD
	v_cndmask_b32_e64 v34, 0, 1, vcc
	v_or_b32_sdwa v35, v2, v3 dst_sel:DWORD dst_unused:UNUSED_PAD src0_sel:WORD_0 src1_sel:DWORD
	s_mov_b64 s[2:3], 0
	s_branch .LBB260_7
.LBB260_6:
	s_mov_b64 s[2:3], -1
                                        ; implicit-def: $vgpr34
                                        ; implicit-def: $vgpr35
                                        ; implicit-def: $vgpr36
                                        ; implicit-def: $vgpr37
.LBB260_7:
	s_load_dwordx2 s[24:25], s[4:5], 0x28
	s_load_dwordx2 s[34:35], s[4:5], 0x68
	s_andn2_b64 vcc, exec, s[2:3]
	s_addk_i32 s33, 0xd00
	s_cbranch_vccnz .LBB260_35
; %bb.8:
	v_cmp_gt_u32_e32 vcc, s33, v33
	v_mov_b32_e32 v3, 0
	v_mov_b32_e32 v2, 0
	s_and_saveexec_b64 s[2:3], vcc
; %bb.9:
	v_add_u32_e32 v2, s9, v30
	v_add_u32_e32 v4, s11, v30
	v_mul_lo_u32 v2, v2, s8
	v_mul_lo_u32 v4, v4, s10
	v_sub_u32_e32 v2, v2, v4
	v_cmp_lt_u32_e32 vcc, s7, v2
	v_cndmask_b32_e64 v2, 0, 1, vcc
; %bb.10:
	s_or_b64 exec, exec, s[2:3]
	v_add_u32_e32 v4, 1, v33
	v_cmp_gt_u32_e32 vcc, s33, v4
	s_and_saveexec_b64 s[2:3], vcc
; %bb.11:
	v_add_u32_e32 v3, s9, v31
	v_add_u32_e32 v4, s11, v31
	v_mul_lo_u32 v3, v3, s8
	v_mul_lo_u32 v4, v4, s10
	v_sub_u32_e32 v3, v3, v4
	v_cmp_lt_u32_e32 vcc, s7, v3
	v_cndmask_b32_e64 v3, 0, 1, vcc
; %bb.12:
	s_or_b64 exec, exec, s[2:3]
	v_add_u32_e32 v4, 2, v33
	v_cmp_gt_u32_e32 vcc, s33, v4
	v_mov_b32_e32 v5, 0
	v_mov_b32_e32 v4, 0
	s_and_saveexec_b64 s[2:3], vcc
; %bb.13:
	v_add_u32_e32 v4, s9, v28
	v_add_u32_e32 v6, s11, v28
	v_mul_lo_u32 v4, v4, s8
	v_mul_lo_u32 v6, v6, s10
	v_sub_u32_e32 v4, v4, v6
	v_cmp_lt_u32_e32 vcc, s7, v4
	v_cndmask_b32_e64 v4, 0, 1, vcc
; %bb.14:
	s_or_b64 exec, exec, s[2:3]
	v_add_u32_e32 v6, 3, v33
	v_cmp_gt_u32_e32 vcc, s33, v6
	s_and_saveexec_b64 s[2:3], vcc
; %bb.15:
	v_add_u32_e32 v5, s9, v29
	v_add_u32_e32 v6, s11, v29
	v_mul_lo_u32 v5, v5, s8
	v_mul_lo_u32 v6, v6, s10
	v_sub_u32_e32 v5, v5, v6
	v_cmp_lt_u32_e32 vcc, s7, v5
	v_cndmask_b32_e64 v5, 0, 1, vcc
; %bb.16:
	s_or_b64 exec, exec, s[2:3]
	v_add_u32_e32 v6, 4, v33
	;; [unrolled: 28-line block ×6, first 2 shown]
	v_cmp_gt_u32_e32 vcc, s33, v14
	v_mov_b32_e32 v34, 0
	s_and_saveexec_b64 s[2:3], vcc
; %bb.33:
	v_add_u32_e32 v14, s9, v32
	v_add_u32_e32 v15, s11, v32
	v_mul_lo_u32 v14, v14, s8
	v_mul_lo_u32 v15, v15, s10
	v_sub_u32_e32 v14, v14, v15
	v_cmp_lt_u32_e32 vcc, s7, v14
	v_cndmask_b32_e64 v34, 0, 1, vcc
; %bb.34:
	s_or_b64 exec, exec, s[2:3]
	v_lshlrev_b16_e32 v3, 8, v3
	v_or_b32_e32 v2, v2, v3
	v_lshlrev_b16_e32 v3, 8, v5
	v_or_b32_sdwa v3, v4, v3 dst_sel:WORD_1 dst_unused:UNUSED_PAD src0_sel:DWORD src1_sel:DWORD
	v_or_b32_sdwa v37, v2, v3 dst_sel:DWORD dst_unused:UNUSED_PAD src0_sel:WORD_0 src1_sel:DWORD
	v_lshlrev_b16_e32 v2, 8, v7
	v_lshlrev_b16_e32 v3, 8, v9
	v_or_b32_e32 v2, v6, v2
	v_or_b32_sdwa v3, v8, v3 dst_sel:WORD_1 dst_unused:UNUSED_PAD src0_sel:DWORD src1_sel:DWORD
	v_or_b32_sdwa v36, v2, v3 dst_sel:DWORD dst_unused:UNUSED_PAD src0_sel:WORD_0 src1_sel:DWORD
	v_lshlrev_b16_e32 v2, 8, v11
	v_lshlrev_b16_e32 v3, 8, v13
	v_or_b32_e32 v2, v10, v2
	v_or_b32_sdwa v3, v12, v3 dst_sel:WORD_1 dst_unused:UNUSED_PAD src0_sel:DWORD src1_sel:DWORD
	v_or_b32_sdwa v35, v2, v3 dst_sel:DWORD dst_unused:UNUSED_PAD src0_sel:WORD_0 src1_sel:DWORD
.LBB260_35:
	v_and_b32_e32 v41, 0xff, v37
	v_bfe_u32 v42, v37, 8, 8
	v_bfe_u32 v43, v37, 16, 8
	v_lshrrev_b32_e32 v40, 24, v37
	v_and_b32_e32 v44, 0xff, v36
	v_add3_u32 v3, v42, v41, v43
	v_bfe_u32 v45, v36, 8, 8
	v_bfe_u32 v46, v36, 16, 8
	v_add3_u32 v3, v3, v40, v44
	v_lshrrev_b32_e32 v39, 24, v36
	v_and_b32_e32 v47, 0xff, v35
	v_add3_u32 v3, v3, v45, v46
	v_bfe_u32 v48, v35, 8, 8
	v_bfe_u32 v49, v35, 16, 8
	v_add3_u32 v3, v3, v39, v47
	v_lshrrev_b32_e32 v38, 24, v35
	v_and_b32_e32 v2, 0xff, v34
	v_add3_u32 v3, v3, v48, v49
	v_add3_u32 v52, v3, v38, v2
	v_mbcnt_lo_u32_b32 v2, -1, 0
	v_mbcnt_hi_u32_b32 v50, -1, v2
	v_and_b32_e32 v2, 15, v50
	v_cmp_eq_u32_e64 s[14:15], 0, v2
	v_cmp_lt_u32_e64 s[12:13], 1, v2
	v_cmp_lt_u32_e64 s[10:11], 3, v2
	;; [unrolled: 1-line block ×3, first 2 shown]
	v_and_b32_e32 v2, 16, v50
	v_cmp_eq_u32_e64 s[18:19], 0, v2
	v_or_b32_e32 v2, 63, v0
	s_cmp_lg_u32 s6, 0
	v_cmp_lt_u32_e64 s[2:3], 31, v50
	v_lshrrev_b32_e32 v51, 6, v0
	v_cmp_eq_u32_e64 s[4:5], v2, v0
	s_cbranch_scc0 .LBB260_62
; %bb.36:
	v_mov_b32_dpp v2, v52 row_shr:1 row_mask:0xf bank_mask:0xf
	v_cndmask_b32_e64 v2, v2, 0, s[14:15]
	v_add_u32_e32 v2, v2, v52
	s_nop 1
	v_mov_b32_dpp v3, v2 row_shr:2 row_mask:0xf bank_mask:0xf
	v_cndmask_b32_e64 v3, 0, v3, s[12:13]
	v_add_u32_e32 v2, v2, v3
	s_nop 1
	;; [unrolled: 4-line block ×4, first 2 shown]
	v_mov_b32_dpp v3, v2 row_bcast:15 row_mask:0xf bank_mask:0xf
	v_cndmask_b32_e64 v3, v3, 0, s[18:19]
	v_add_u32_e32 v2, v2, v3
	s_nop 1
	v_mov_b32_dpp v3, v2 row_bcast:31 row_mask:0xf bank_mask:0xf
	v_cndmask_b32_e64 v3, 0, v3, s[2:3]
	v_add_u32_e32 v2, v2, v3
	s_and_saveexec_b64 s[16:17], s[4:5]
	s_cbranch_execz .LBB260_38
; %bb.37:
	v_lshlrev_b32_e32 v3, 2, v51
	ds_write_b32 v3, v2
.LBB260_38:
	s_or_b64 exec, exec, s[16:17]
	v_cmp_gt_u32_e32 vcc, 4, v0
	s_waitcnt lgkmcnt(0)
	s_barrier
	s_and_saveexec_b64 s[16:17], vcc
	s_cbranch_execz .LBB260_40
; %bb.39:
	ds_read_b32 v3, v1
	v_and_b32_e32 v4, 3, v50
	v_cmp_ne_u32_e32 vcc, 0, v4
	s_waitcnt lgkmcnt(0)
	v_mov_b32_dpp v5, v3 row_shr:1 row_mask:0xf bank_mask:0xf
	v_cndmask_b32_e32 v5, 0, v5, vcc
	v_add_u32_e32 v3, v5, v3
	v_cmp_lt_u32_e32 vcc, 1, v4
	s_nop 0
	v_mov_b32_dpp v5, v3 row_shr:2 row_mask:0xf bank_mask:0xf
	v_cndmask_b32_e32 v4, 0, v5, vcc
	v_add_u32_e32 v3, v3, v4
	ds_write_b32 v1, v3
.LBB260_40:
	s_or_b64 exec, exec, s[16:17]
	v_cmp_gt_u32_e32 vcc, 64, v0
	v_cmp_lt_u32_e64 s[16:17], 63, v0
	s_waitcnt lgkmcnt(0)
	s_barrier
	s_waitcnt lgkmcnt(0)
                                        ; implicit-def: $vgpr12
	s_and_saveexec_b64 s[36:37], s[16:17]
	s_cbranch_execz .LBB260_42
; %bb.41:
	v_lshl_add_u32 v3, v51, 2, -4
	ds_read_b32 v12, v3
	s_waitcnt lgkmcnt(0)
	v_add_u32_e32 v2, v12, v2
.LBB260_42:
	s_or_b64 exec, exec, s[36:37]
	v_add_u32_e32 v3, -1, v50
	v_and_b32_e32 v4, 64, v50
	v_cmp_lt_i32_e64 s[16:17], v3, v4
	v_cndmask_b32_e64 v3, v3, v50, s[16:17]
	v_lshlrev_b32_e32 v3, 2, v3
	ds_bpermute_b32 v13, v3, v2
	v_cmp_eq_u32_e64 s[16:17], 0, v50
	s_and_saveexec_b64 s[36:37], vcc
	s_cbranch_execz .LBB260_61
; %bb.43:
	v_mov_b32_e32 v9, 0
	ds_read_b32 v2, v9 offset:12
	s_and_saveexec_b64 s[38:39], s[16:17]
	s_cbranch_execz .LBB260_45
; %bb.44:
	s_add_i32 s40, s6, 64
	s_mov_b32 s41, 0
	s_lshl_b64 s[40:41], s[40:41], 3
	s_add_u32 s40, s34, s40
	v_mov_b32_e32 v3, 1
	s_addc_u32 s41, s35, s41
	s_waitcnt lgkmcnt(0)
	global_store_dwordx2 v9, v[2:3], s[40:41]
.LBB260_45:
	s_or_b64 exec, exec, s[38:39]
	v_xad_u32 v4, v50, -1, s6
	v_add_u32_e32 v8, 64, v4
	v_lshlrev_b64 v[6:7], 3, v[8:9]
	v_mov_b32_e32 v3, s35
	v_add_co_u32_e32 v10, vcc, s34, v6
	v_addc_co_u32_e32 v11, vcc, v3, v7, vcc
	global_load_dwordx2 v[6:7], v[10:11], off glc
	s_waitcnt vmcnt(0)
	v_cmp_eq_u16_sdwa s[40:41], v7, v9 src0_sel:BYTE_0 src1_sel:DWORD
	s_and_saveexec_b64 s[38:39], s[40:41]
	s_cbranch_execz .LBB260_49
; %bb.46:
	s_mov_b64 s[40:41], 0
	v_mov_b32_e32 v3, 0
.LBB260_47:                             ; =>This Inner Loop Header: Depth=1
	global_load_dwordx2 v[6:7], v[10:11], off glc
	s_waitcnt vmcnt(0)
	v_cmp_ne_u16_sdwa s[44:45], v7, v3 src0_sel:BYTE_0 src1_sel:DWORD
	s_or_b64 s[40:41], s[44:45], s[40:41]
	s_andn2_b64 exec, exec, s[40:41]
	s_cbranch_execnz .LBB260_47
; %bb.48:
	s_or_b64 exec, exec, s[40:41]
.LBB260_49:
	s_or_b64 exec, exec, s[38:39]
	v_and_b32_e32 v14, 63, v50
	v_mov_b32_e32 v3, 2
	v_cmp_ne_u32_e32 vcc, 63, v14
	v_cmp_eq_u16_sdwa s[38:39], v7, v3 src0_sel:BYTE_0 src1_sel:DWORD
	v_lshlrev_b64 v[8:9], v50, -1
	v_addc_co_u32_e32 v11, vcc, 0, v50, vcc
	v_and_b32_e32 v5, s39, v9
	v_lshlrev_b32_e32 v15, 2, v11
	v_or_b32_e32 v5, 0x80000000, v5
	ds_bpermute_b32 v11, v15, v6
	v_and_b32_e32 v10, s38, v8
	v_ffbl_b32_e32 v5, v5
	v_add_u32_e32 v5, 32, v5
	v_ffbl_b32_e32 v10, v10
	v_min_u32_e32 v5, v10, v5
	v_cmp_lt_u32_e32 vcc, v14, v5
	s_waitcnt lgkmcnt(0)
	v_cndmask_b32_e32 v10, 0, v11, vcc
	v_cmp_gt_u32_e32 vcc, 62, v14
	v_add_u32_e32 v6, v10, v6
	v_cndmask_b32_e64 v10, 0, 1, vcc
	v_lshlrev_b32_e32 v10, 1, v10
	v_add_lshl_u32 v16, v10, v50, 2
	ds_bpermute_b32 v10, v16, v6
	v_add_u32_e32 v17, 2, v14
	v_cmp_le_u32_e32 vcc, v17, v5
	v_add_u32_e32 v19, 4, v14
	v_add_u32_e32 v54, 8, v14
	s_waitcnt lgkmcnt(0)
	v_cndmask_b32_e32 v10, 0, v10, vcc
	v_cmp_gt_u32_e32 vcc, 60, v14
	v_add_u32_e32 v6, v6, v10
	v_cndmask_b32_e64 v10, 0, 1, vcc
	v_lshlrev_b32_e32 v10, 2, v10
	v_add_lshl_u32 v18, v10, v50, 2
	ds_bpermute_b32 v10, v18, v6
	v_cmp_le_u32_e32 vcc, v19, v5
	v_add_u32_e32 v57, 16, v14
	v_add_u32_e32 v59, 32, v14
	s_waitcnt lgkmcnt(0)
	v_cndmask_b32_e32 v10, 0, v10, vcc
	v_cmp_gt_u32_e32 vcc, 56, v14
	v_add_u32_e32 v6, v6, v10
	v_cndmask_b32_e64 v10, 0, 1, vcc
	v_lshlrev_b32_e32 v10, 3, v10
	v_add_lshl_u32 v53, v10, v50, 2
	ds_bpermute_b32 v10, v53, v6
	v_cmp_le_u32_e32 vcc, v54, v5
	s_waitcnt lgkmcnt(0)
	v_cndmask_b32_e32 v10, 0, v10, vcc
	v_cmp_gt_u32_e32 vcc, 48, v14
	v_add_u32_e32 v6, v6, v10
	v_cndmask_b32_e64 v10, 0, 1, vcc
	v_lshlrev_b32_e32 v10, 4, v10
	v_add_lshl_u32 v56, v10, v50, 2
	ds_bpermute_b32 v10, v56, v6
	v_cmp_le_u32_e32 vcc, v57, v5
	;; [unrolled: 9-line block ×3, first 2 shown]
	s_waitcnt lgkmcnt(0)
	v_cndmask_b32_e32 v5, 0, v10, vcc
	v_add_u32_e32 v6, v6, v5
	v_mov_b32_e32 v5, 0
	s_branch .LBB260_51
.LBB260_50:                             ;   in Loop: Header=BB260_51 Depth=1
	s_or_b64 exec, exec, s[38:39]
	v_cmp_eq_u16_sdwa s[38:39], v7, v3 src0_sel:BYTE_0 src1_sel:DWORD
	v_and_b32_e32 v10, s39, v9
	v_or_b32_e32 v10, 0x80000000, v10
	ds_bpermute_b32 v60, v15, v6
	v_and_b32_e32 v11, s38, v8
	v_ffbl_b32_e32 v10, v10
	v_add_u32_e32 v10, 32, v10
	v_ffbl_b32_e32 v11, v11
	v_min_u32_e32 v10, v11, v10
	v_cmp_lt_u32_e32 vcc, v14, v10
	s_waitcnt lgkmcnt(0)
	v_cndmask_b32_e32 v11, 0, v60, vcc
	v_add_u32_e32 v6, v11, v6
	ds_bpermute_b32 v11, v16, v6
	v_cmp_le_u32_e32 vcc, v17, v10
	v_subrev_u32_e32 v4, 64, v4
	s_waitcnt lgkmcnt(0)
	v_cndmask_b32_e32 v11, 0, v11, vcc
	v_add_u32_e32 v6, v6, v11
	ds_bpermute_b32 v11, v18, v6
	v_cmp_le_u32_e32 vcc, v19, v10
	s_waitcnt lgkmcnt(0)
	v_cndmask_b32_e32 v11, 0, v11, vcc
	v_add_u32_e32 v6, v6, v11
	ds_bpermute_b32 v11, v53, v6
	v_cmp_le_u32_e32 vcc, v54, v10
	s_waitcnt lgkmcnt(0)
	v_cndmask_b32_e32 v11, 0, v11, vcc
	v_add_u32_e32 v6, v6, v11
	ds_bpermute_b32 v11, v56, v6
	v_cmp_le_u32_e32 vcc, v57, v10
	s_waitcnt lgkmcnt(0)
	v_cndmask_b32_e32 v11, 0, v11, vcc
	v_add_u32_e32 v6, v6, v11
	ds_bpermute_b32 v11, v58, v6
	v_cmp_le_u32_e32 vcc, v59, v10
	s_waitcnt lgkmcnt(0)
	v_cndmask_b32_e32 v10, 0, v11, vcc
	v_add3_u32 v6, v10, v55, v6
.LBB260_51:                             ; =>This Loop Header: Depth=1
                                        ;     Child Loop BB260_54 Depth 2
	v_cmp_ne_u16_sdwa s[38:39], v7, v3 src0_sel:BYTE_0 src1_sel:DWORD
	v_cndmask_b32_e64 v7, 0, 1, s[38:39]
	;;#ASMSTART
	;;#ASMEND
	v_cmp_ne_u32_e32 vcc, 0, v7
	s_cmp_lg_u64 vcc, exec
	v_mov_b32_e32 v55, v6
	s_cbranch_scc1 .LBB260_56
; %bb.52:                               ;   in Loop: Header=BB260_51 Depth=1
	v_lshlrev_b64 v[6:7], 3, v[4:5]
	v_mov_b32_e32 v11, s35
	v_add_co_u32_e32 v10, vcc, s34, v6
	v_addc_co_u32_e32 v11, vcc, v11, v7, vcc
	global_load_dwordx2 v[6:7], v[10:11], off glc
	s_waitcnt vmcnt(0)
	v_cmp_eq_u16_sdwa s[40:41], v7, v5 src0_sel:BYTE_0 src1_sel:DWORD
	s_and_saveexec_b64 s[38:39], s[40:41]
	s_cbranch_execz .LBB260_50
; %bb.53:                               ;   in Loop: Header=BB260_51 Depth=1
	s_mov_b64 s[40:41], 0
.LBB260_54:                             ;   Parent Loop BB260_51 Depth=1
                                        ; =>  This Inner Loop Header: Depth=2
	global_load_dwordx2 v[6:7], v[10:11], off glc
	s_waitcnt vmcnt(0)
	v_cmp_ne_u16_sdwa s[44:45], v7, v5 src0_sel:BYTE_0 src1_sel:DWORD
	s_or_b64 s[40:41], s[44:45], s[40:41]
	s_andn2_b64 exec, exec, s[40:41]
	s_cbranch_execnz .LBB260_54
; %bb.55:                               ;   in Loop: Header=BB260_51 Depth=1
	s_or_b64 exec, exec, s[40:41]
	s_branch .LBB260_50
.LBB260_56:                             ;   in Loop: Header=BB260_51 Depth=1
                                        ; implicit-def: $vgpr6
                                        ; implicit-def: $vgpr7
	s_cbranch_execz .LBB260_51
; %bb.57:
	s_and_saveexec_b64 s[38:39], s[16:17]
	s_cbranch_execz .LBB260_59
; %bb.58:
	s_add_i32 s6, s6, 64
	s_mov_b32 s7, 0
	s_lshl_b64 s[6:7], s[6:7], 3
	s_add_u32 s6, s34, s6
	v_add_u32_e32 v4, v55, v2
	v_mov_b32_e32 v5, 2
	s_addc_u32 s7, s35, s7
	v_mov_b32_e32 v3, 0
	global_store_dwordx2 v3, v[4:5], s[6:7]
	s_movk_i32 s6, 0x3400
	v_add_u32_e64 v3, s6, 0
	ds_write2_b32 v3, v2, v55 offset1:2
.LBB260_59:
	s_or_b64 exec, exec, s[38:39]
	v_cmp_eq_u32_e32 vcc, 0, v0
	s_and_b64 exec, exec, vcc
	s_cbranch_execz .LBB260_61
; %bb.60:
	v_mov_b32_e32 v2, 0
	ds_write_b32 v2, v55 offset:12
.LBB260_61:
	s_or_b64 exec, exec, s[36:37]
	v_mov_b32_e32 v2, 0
	s_waitcnt lgkmcnt(0)
	s_barrier
	ds_read_b32 v2, v2 offset:12
	v_cndmask_b32_e64 v3, v13, v12, s[16:17]
	v_cmp_ne_u32_e32 vcc, 0, v0
	v_cndmask_b32_e32 v3, 0, v3, vcc
	s_movk_i32 s6, 0x3400
	s_waitcnt lgkmcnt(0)
	v_add_u32_e32 v2, v2, v3
	v_add_u32_e32 v3, v2, v41
	;; [unrolled: 1-line block ×8, first 2 shown]
	v_add_u32_e64 v12, s6, 0
	v_add_u32_e32 v10, v9, v39
	s_barrier
	ds_read2_b32 v[18:19], v12 offset1:2
	v_add_u32_e32 v11, v10, v47
	v_add_u32_e32 v12, v11, v48
	;; [unrolled: 1-line block ×4, first 2 shown]
	s_branch .LBB260_72
.LBB260_62:
                                        ; implicit-def: $vgpr19
                                        ; implicit-def: $vgpr2_vgpr3_vgpr4_vgpr5_vgpr6_vgpr7_vgpr8_vgpr9_vgpr10_vgpr11_vgpr12_vgpr13_vgpr14_vgpr15_vgpr16_vgpr17
	s_cbranch_execz .LBB260_72
; %bb.63:
	s_nop 0
	v_mov_b32_dpp v2, v52 row_shr:1 row_mask:0xf bank_mask:0xf
	v_cndmask_b32_e64 v2, v2, 0, s[14:15]
	v_add_u32_e32 v2, v2, v52
	s_nop 1
	v_mov_b32_dpp v3, v2 row_shr:2 row_mask:0xf bank_mask:0xf
	v_cndmask_b32_e64 v3, 0, v3, s[12:13]
	v_add_u32_e32 v2, v2, v3
	;; [unrolled: 4-line block ×4, first 2 shown]
	s_nop 1
	v_mov_b32_dpp v3, v2 row_bcast:15 row_mask:0xf bank_mask:0xf
	v_cndmask_b32_e64 v3, v3, 0, s[18:19]
	v_add_u32_e32 v2, v2, v3
	s_nop 1
	v_mov_b32_dpp v3, v2 row_bcast:31 row_mask:0xf bank_mask:0xf
	v_cndmask_b32_e64 v3, 0, v3, s[2:3]
	v_add_u32_e32 v2, v2, v3
	s_and_saveexec_b64 s[2:3], s[4:5]
	s_cbranch_execz .LBB260_65
; %bb.64:
	v_lshlrev_b32_e32 v3, 2, v51
	ds_write_b32 v3, v2
.LBB260_65:
	s_or_b64 exec, exec, s[2:3]
	v_cmp_gt_u32_e32 vcc, 4, v0
	s_waitcnt lgkmcnt(0)
	s_barrier
	s_and_saveexec_b64 s[2:3], vcc
	s_cbranch_execz .LBB260_67
; %bb.66:
	ds_read_b32 v3, v1
	v_and_b32_e32 v4, 3, v50
	v_cmp_ne_u32_e32 vcc, 0, v4
	s_waitcnt lgkmcnt(0)
	v_mov_b32_dpp v5, v3 row_shr:1 row_mask:0xf bank_mask:0xf
	v_cndmask_b32_e32 v5, 0, v5, vcc
	v_add_u32_e32 v3, v5, v3
	v_cmp_lt_u32_e32 vcc, 1, v4
	s_nop 0
	v_mov_b32_dpp v5, v3 row_shr:2 row_mask:0xf bank_mask:0xf
	v_cndmask_b32_e32 v4, 0, v5, vcc
	v_add_u32_e32 v3, v3, v4
	ds_write_b32 v1, v3
.LBB260_67:
	s_or_b64 exec, exec, s[2:3]
	v_cmp_lt_u32_e32 vcc, 63, v0
	v_mov_b32_e32 v4, 0
	v_mov_b32_e32 v3, 0
	s_waitcnt lgkmcnt(0)
	s_barrier
	s_and_saveexec_b64 s[2:3], vcc
	s_cbranch_execz .LBB260_69
; %bb.68:
	v_lshl_add_u32 v3, v51, 2, -4
	ds_read_b32 v3, v3
.LBB260_69:
	s_or_b64 exec, exec, s[2:3]
	v_add_u32_e32 v5, -1, v50
	v_and_b32_e32 v6, 64, v50
	v_cmp_lt_i32_e32 vcc, v5, v6
	v_cndmask_b32_e32 v5, v5, v50, vcc
	s_waitcnt lgkmcnt(0)
	v_add_u32_e32 v2, v3, v2
	v_lshlrev_b32_e32 v5, 2, v5
	ds_bpermute_b32 v2, v5, v2
	ds_read_b32 v18, v4 offset:12
	v_cmp_eq_u32_e32 vcc, 0, v0
	s_and_saveexec_b64 s[2:3], vcc
	s_cbranch_execz .LBB260_71
; %bb.70:
	v_mov_b32_e32 v4, 0
	v_mov_b32_e32 v19, 2
	s_waitcnt lgkmcnt(0)
	global_store_dwordx2 v4, v[18:19], s[34:35] offset:512
.LBB260_71:
	s_or_b64 exec, exec, s[2:3]
	v_cmp_eq_u32_e64 s[2:3], 0, v50
	s_waitcnt lgkmcnt(1)
	v_cndmask_b32_e64 v2, v2, v3, s[2:3]
	v_cndmask_b32_e64 v2, v2, 0, vcc
	v_add_u32_e32 v3, v2, v41
	v_add_u32_e32 v4, v3, v42
	;; [unrolled: 1-line block ×11, first 2 shown]
	v_mov_b32_e32 v19, 0
	v_add_u32_e32 v14, v13, v38
	s_waitcnt lgkmcnt(0)
	s_barrier
.LBB260_72:
	s_waitcnt lgkmcnt(0)
	v_add_u32_e32 v33, v18, v33
	v_sub_u32_e32 v2, v2, v19
	v_and_b32_e32 v42, 1, v37
	v_sub_u32_e32 v41, v33, v2
	v_cmp_eq_u32_e32 vcc, 1, v42
	v_cndmask_b32_e32 v2, v41, v2, vcc
	v_lshlrev_b32_e32 v2, 2, v2
	v_lshrrev_b32_e32 v17, 8, v37
	ds_write_b32 v2, v30
	v_sub_u32_e32 v2, v3, v19
	v_sub_u32_e32 v3, v33, v2
	v_and_b32_e32 v17, 1, v17
	v_add_u32_e32 v3, 1, v3
	v_cmp_eq_u32_e32 vcc, 1, v17
	v_cndmask_b32_e32 v2, v3, v2, vcc
	v_lshlrev_b32_e32 v2, 2, v2
	ds_write_b32 v2, v31
	v_sub_u32_e32 v2, v4, v19
	v_mov_b32_e32 v4, 1
	v_sub_u32_e32 v3, v33, v2
	v_and_b32_sdwa v17, v4, v37 dst_sel:DWORD dst_unused:UNUSED_PAD src0_sel:DWORD src1_sel:WORD_1
	v_add_u32_e32 v3, 2, v3
	v_cmp_eq_u32_e32 vcc, 1, v17
	v_cndmask_b32_e32 v2, v3, v2, vcc
	v_lshlrev_b32_e32 v2, 2, v2
	ds_write_b32 v2, v28
	v_sub_u32_e32 v2, v5, v19
	v_sub_u32_e32 v3, v33, v2
	v_and_b32_e32 v5, 1, v40
	v_add_u32_e32 v3, 3, v3
	v_cmp_eq_u32_e32 vcc, 1, v5
	v_cndmask_b32_e32 v2, v3, v2, vcc
	v_lshlrev_b32_e32 v2, 2, v2
	ds_write_b32 v2, v29
	v_sub_u32_e32 v2, v6, v19
	v_sub_u32_e32 v3, v33, v2
	v_and_b32_e32 v5, 1, v36
	v_add_u32_e32 v3, 4, v3
	v_cmp_eq_u32_e32 vcc, 1, v5
	v_cndmask_b32_e32 v2, v3, v2, vcc
	v_lshlrev_b32_e32 v2, 2, v2
	v_lshrrev_b32_e32 v16, 8, v36
	ds_write_b32 v2, v26
	v_sub_u32_e32 v2, v7, v19
	v_sub_u32_e32 v3, v33, v2
	v_and_b32_e32 v5, 1, v16
	v_add_u32_e32 v3, 5, v3
	v_cmp_eq_u32_e32 vcc, 1, v5
	v_cndmask_b32_e32 v2, v3, v2, vcc
	v_lshlrev_b32_e32 v2, 2, v2
	ds_write_b32 v2, v27
	v_sub_u32_e32 v2, v8, v19
	v_sub_u32_e32 v3, v33, v2
	v_and_b32_sdwa v5, v4, v36 dst_sel:DWORD dst_unused:UNUSED_PAD src0_sel:DWORD src1_sel:WORD_1
	v_add_u32_e32 v3, 6, v3
	v_cmp_eq_u32_e32 vcc, 1, v5
	v_cndmask_b32_e32 v2, v3, v2, vcc
	v_lshlrev_b32_e32 v2, 2, v2
	ds_write_b32 v2, v24
	v_sub_u32_e32 v2, v9, v19
	v_sub_u32_e32 v3, v33, v2
	v_and_b32_e32 v5, 1, v39
	v_add_u32_e32 v3, 7, v3
	v_cmp_eq_u32_e32 vcc, 1, v5
	v_cndmask_b32_e32 v2, v3, v2, vcc
	v_lshlrev_b32_e32 v2, 2, v2
	ds_write_b32 v2, v25
	v_sub_u32_e32 v2, v10, v19
	v_sub_u32_e32 v3, v33, v2
	v_and_b32_e32 v5, 1, v35
	v_add_u32_e32 v3, 8, v3
	v_cmp_eq_u32_e32 vcc, 1, v5
	v_cndmask_b32_e32 v2, v3, v2, vcc
	v_lshlrev_b32_e32 v2, 2, v2
	v_lshrrev_b32_e32 v15, 8, v35
	ds_write_b32 v2, v22
	v_sub_u32_e32 v2, v11, v19
	v_sub_u32_e32 v3, v33, v2
	v_and_b32_e32 v5, 1, v15
	v_add_u32_e32 v3, 9, v3
	v_cmp_eq_u32_e32 vcc, 1, v5
	v_cndmask_b32_e32 v2, v3, v2, vcc
	v_lshlrev_b32_e32 v2, 2, v2
	ds_write_b32 v2, v23
	v_sub_u32_e32 v2, v12, v19
	v_sub_u32_e32 v3, v33, v2
	v_and_b32_sdwa v4, v4, v35 dst_sel:DWORD dst_unused:UNUSED_PAD src0_sel:DWORD src1_sel:WORD_1
	v_add_u32_e32 v3, 10, v3
	v_cmp_eq_u32_e32 vcc, 1, v4
	v_cndmask_b32_e32 v2, v3, v2, vcc
	v_lshlrev_b32_e32 v2, 2, v2
	ds_write_b32 v2, v20
	v_sub_u32_e32 v2, v13, v19
	v_sub_u32_e32 v3, v33, v2
	v_and_b32_e32 v4, 1, v38
	v_add_u32_e32 v3, 11, v3
	v_cmp_eq_u32_e32 vcc, 1, v4
	v_cndmask_b32_e32 v2, v3, v2, vcc
	v_lshlrev_b32_e32 v2, 2, v2
	ds_write_b32 v2, v21
	v_sub_u32_e32 v2, v14, v19
	v_sub_u32_e32 v3, v33, v2
	v_and_b32_e32 v4, 1, v34
	v_add_u32_e32 v3, 12, v3
	v_cmp_eq_u32_e32 vcc, 1, v4
	v_cndmask_b32_e32 v2, v3, v2, vcc
	s_add_u32 s2, s28, s42
	v_lshlrev_b32_e32 v2, 2, v2
	s_addc_u32 s3, s29, 0
	ds_write_b32 v2, v32
	s_waitcnt lgkmcnt(0)
	s_barrier
	ds_read2st64_b32 v[12:13], v1 offset1:4
	ds_read2st64_b32 v[10:11], v1 offset0:8 offset1:12
	ds_read2st64_b32 v[8:9], v1 offset0:16 offset1:20
	;; [unrolled: 1-line block ×5, first 2 shown]
	ds_read_b32 v17, v1 offset:12288
	v_mov_b32_e32 v14, s31
	v_add_co_u32_e32 v1, vcc, s30, v19
	s_sub_u32 s2, s26, s2
	v_addc_co_u32_e32 v16, vcc, 0, v14, vcc
	s_subb_u32 s3, s27, s3
	v_mov_b32_e32 v14, s3
	v_add_co_u32_e32 v15, vcc, s2, v18
	v_addc_co_u32_e32 v14, vcc, 0, v14, vcc
	s_and_b64 vcc, exec, s[0:1]
	v_add_co_u32_e64 v19, s[0:1], v15, v1
	v_or_b32_e32 v32, 0x100, v0
	v_or_b32_e32 v31, 0x200, v0
	;; [unrolled: 1-line block ×12, first 2 shown]
	v_addc_co_u32_e64 v21, s[0:1], v14, v16, s[0:1]
	s_cbranch_vccnz .LBB260_126
; %bb.73:
	v_cmp_ge_u32_e32 vcc, v0, v18
                                        ; implicit-def: $vgpr14_vgpr15
	s_and_saveexec_b64 s[0:1], vcc
	s_xor_b64 s[0:1], exec, s[0:1]
; %bb.74:
	v_not_b32_e32 v14, v0
	v_ashrrev_i32_e32 v15, 31, v14
	v_add_co_u32_e32 v14, vcc, v19, v14
	v_addc_co_u32_e32 v15, vcc, v21, v15, vcc
; %bb.75:
	s_andn2_saveexec_b64 s[0:1], s[0:1]
; %bb.76:
	v_add_co_u32_e32 v14, vcc, v1, v0
	v_addc_co_u32_e32 v15, vcc, 0, v16, vcc
; %bb.77:
	s_or_b64 exec, exec, s[0:1]
	v_lshlrev_b64 v[14:15], 2, v[14:15]
	v_mov_b32_e32 v33, s25
	v_add_co_u32_e32 v14, vcc, s24, v14
	v_addc_co_u32_e32 v15, vcc, v33, v15, vcc
	v_cmp_ge_u32_e32 vcc, v32, v18
	s_waitcnt lgkmcnt(6)
	global_store_dword v[14:15], v12, off
                                        ; implicit-def: $vgpr14_vgpr15
	s_and_saveexec_b64 s[0:1], vcc
	s_xor_b64 s[0:1], exec, s[0:1]
; %bb.78:
	v_xor_b32_e32 v14, 0xfffffeff, v0
	v_ashrrev_i32_e32 v15, 31, v14
	v_add_co_u32_e32 v14, vcc, v19, v14
	v_addc_co_u32_e32 v15, vcc, v21, v15, vcc
; %bb.79:
	s_andn2_saveexec_b64 s[0:1], s[0:1]
; %bb.80:
	v_add_co_u32_e32 v14, vcc, v1, v32
	v_addc_co_u32_e32 v15, vcc, 0, v16, vcc
; %bb.81:
	s_or_b64 exec, exec, s[0:1]
	v_lshlrev_b64 v[14:15], 2, v[14:15]
	v_mov_b32_e32 v33, s25
	v_add_co_u32_e32 v14, vcc, s24, v14
	v_addc_co_u32_e32 v15, vcc, v33, v15, vcc
	v_cmp_ge_u32_e32 vcc, v31, v18
	global_store_dword v[14:15], v13, off
                                        ; implicit-def: $vgpr14_vgpr15
	s_and_saveexec_b64 s[0:1], vcc
	s_xor_b64 s[0:1], exec, s[0:1]
; %bb.82:
	v_xor_b32_e32 v14, 0xfffffdff, v0
	v_ashrrev_i32_e32 v15, 31, v14
	v_add_co_u32_e32 v14, vcc, v19, v14
	v_addc_co_u32_e32 v15, vcc, v21, v15, vcc
; %bb.83:
	s_andn2_saveexec_b64 s[0:1], s[0:1]
; %bb.84:
	v_add_co_u32_e32 v14, vcc, v1, v31
	v_addc_co_u32_e32 v15, vcc, 0, v16, vcc
; %bb.85:
	s_or_b64 exec, exec, s[0:1]
	v_lshlrev_b64 v[14:15], 2, v[14:15]
	v_mov_b32_e32 v33, s25
	v_add_co_u32_e32 v14, vcc, s24, v14
	v_addc_co_u32_e32 v15, vcc, v33, v15, vcc
	v_cmp_ge_u32_e32 vcc, v30, v18
	s_waitcnt lgkmcnt(5)
	global_store_dword v[14:15], v10, off
                                        ; implicit-def: $vgpr14_vgpr15
	s_and_saveexec_b64 s[0:1], vcc
	s_xor_b64 s[0:1], exec, s[0:1]
; %bb.86:
	v_xor_b32_e32 v14, 0xfffffcff, v0
	v_ashrrev_i32_e32 v15, 31, v14
	v_add_co_u32_e32 v14, vcc, v19, v14
	v_addc_co_u32_e32 v15, vcc, v21, v15, vcc
; %bb.87:
	s_andn2_saveexec_b64 s[0:1], s[0:1]
; %bb.88:
	v_add_co_u32_e32 v14, vcc, v1, v30
	v_addc_co_u32_e32 v15, vcc, 0, v16, vcc
; %bb.89:
	s_or_b64 exec, exec, s[0:1]
	v_lshlrev_b64 v[14:15], 2, v[14:15]
	v_mov_b32_e32 v33, s25
	v_add_co_u32_e32 v14, vcc, s24, v14
	v_addc_co_u32_e32 v15, vcc, v33, v15, vcc
	v_cmp_ge_u32_e32 vcc, v29, v18
	global_store_dword v[14:15], v11, off
                                        ; implicit-def: $vgpr14_vgpr15
	s_and_saveexec_b64 s[0:1], vcc
	s_xor_b64 s[0:1], exec, s[0:1]
; %bb.90:
	v_xor_b32_e32 v14, 0xfffffbff, v0
	;; [unrolled: 43-line block ×6, first 2 shown]
	v_ashrrev_i32_e32 v15, 31, v14
	v_add_co_u32_e32 v14, vcc, v19, v14
	v_addc_co_u32_e32 v15, vcc, v21, v15, vcc
; %bb.123:
	s_andn2_saveexec_b64 s[0:1], s[0:1]
; %bb.124:
	v_add_co_u32_e32 v14, vcc, v1, v20
	v_addc_co_u32_e32 v15, vcc, 0, v16, vcc
; %bb.125:
	s_or_b64 exec, exec, s[0:1]
	s_mov_b64 s[0:1], -1
	s_branch .LBB260_206
.LBB260_126:
	s_mov_b64 s[0:1], 0
                                        ; implicit-def: $vgpr14_vgpr15
	s_cbranch_execz .LBB260_206
; %bb.127:
	v_cmp_gt_u32_e32 vcc, s33, v0
	s_and_saveexec_b64 s[2:3], vcc
	s_cbranch_execz .LBB260_163
; %bb.128:
	v_cmp_ge_u32_e32 vcc, v0, v18
                                        ; implicit-def: $vgpr14_vgpr15
	s_and_saveexec_b64 s[4:5], vcc
	s_xor_b64 s[4:5], exec, s[4:5]
; %bb.129:
	v_not_b32_e32 v14, v0
	v_ashrrev_i32_e32 v15, 31, v14
	v_add_co_u32_e32 v14, vcc, v19, v14
	v_addc_co_u32_e32 v15, vcc, v21, v15, vcc
; %bb.130:
	s_andn2_saveexec_b64 s[4:5], s[4:5]
; %bb.131:
	v_add_co_u32_e32 v14, vcc, v1, v0
	v_addc_co_u32_e32 v15, vcc, 0, v16, vcc
; %bb.132:
	s_or_b64 exec, exec, s[4:5]
	v_lshlrev_b64 v[14:15], 2, v[14:15]
	v_mov_b32_e32 v33, s25
	v_add_co_u32_e32 v14, vcc, s24, v14
	v_addc_co_u32_e32 v15, vcc, v33, v15, vcc
	s_waitcnt lgkmcnt(6)
	global_store_dword v[14:15], v12, off
	s_or_b64 exec, exec, s[2:3]
	v_cmp_gt_u32_e32 vcc, s33, v32
	s_and_saveexec_b64 s[2:3], vcc
	s_cbranch_execnz .LBB260_164
.LBB260_133:
	s_or_b64 exec, exec, s[2:3]
	v_cmp_gt_u32_e32 vcc, s33, v31
	s_and_saveexec_b64 s[2:3], vcc
	s_cbranch_execz .LBB260_169
.LBB260_134:
	v_cmp_ge_u32_e32 vcc, v31, v18
                                        ; implicit-def: $vgpr12_vgpr13
	s_and_saveexec_b64 s[4:5], vcc
	s_xor_b64 s[4:5], exec, s[4:5]
	s_cbranch_execz .LBB260_136
; %bb.135:
	s_waitcnt lgkmcnt(6)
	v_xor_b32_e32 v12, 0xfffffdff, v0
	v_ashrrev_i32_e32 v13, 31, v12
	v_add_co_u32_e32 v12, vcc, v19, v12
	v_addc_co_u32_e32 v13, vcc, v21, v13, vcc
                                        ; implicit-def: $vgpr31
.LBB260_136:
	s_andn2_saveexec_b64 s[4:5], s[4:5]
	s_cbranch_execz .LBB260_138
; %bb.137:
	s_waitcnt lgkmcnt(6)
	v_add_co_u32_e32 v12, vcc, v1, v31
	v_addc_co_u32_e32 v13, vcc, 0, v16, vcc
.LBB260_138:
	s_or_b64 exec, exec, s[4:5]
	s_waitcnt lgkmcnt(6)
	v_lshlrev_b64 v[12:13], 2, v[12:13]
	v_mov_b32_e32 v14, s25
	v_add_co_u32_e32 v12, vcc, s24, v12
	v_addc_co_u32_e32 v13, vcc, v14, v13, vcc
	s_waitcnt lgkmcnt(5)
	global_store_dword v[12:13], v10, off
	s_or_b64 exec, exec, s[2:3]
	v_cmp_gt_u32_e32 vcc, s33, v30
	s_and_saveexec_b64 s[2:3], vcc
	s_cbranch_execnz .LBB260_170
.LBB260_139:
	s_or_b64 exec, exec, s[2:3]
	v_cmp_gt_u32_e32 vcc, s33, v29
	s_and_saveexec_b64 s[2:3], vcc
	s_cbranch_execz .LBB260_175
.LBB260_140:
	v_cmp_ge_u32_e32 vcc, v29, v18
                                        ; implicit-def: $vgpr10_vgpr11
	s_and_saveexec_b64 s[4:5], vcc
	s_xor_b64 s[4:5], exec, s[4:5]
	s_cbranch_execz .LBB260_142
; %bb.141:
	s_waitcnt lgkmcnt(5)
	v_xor_b32_e32 v10, 0xfffffbff, v0
	v_ashrrev_i32_e32 v11, 31, v10
	v_add_co_u32_e32 v10, vcc, v19, v10
	v_addc_co_u32_e32 v11, vcc, v21, v11, vcc
                                        ; implicit-def: $vgpr29
.LBB260_142:
	s_andn2_saveexec_b64 s[4:5], s[4:5]
	s_cbranch_execz .LBB260_144
; %bb.143:
	s_waitcnt lgkmcnt(5)
	v_add_co_u32_e32 v10, vcc, v1, v29
	v_addc_co_u32_e32 v11, vcc, 0, v16, vcc
.LBB260_144:
	s_or_b64 exec, exec, s[4:5]
	s_waitcnt lgkmcnt(5)
	v_lshlrev_b64 v[10:11], 2, v[10:11]
	v_mov_b32_e32 v12, s25
	v_add_co_u32_e32 v10, vcc, s24, v10
	v_addc_co_u32_e32 v11, vcc, v12, v11, vcc
	s_waitcnt lgkmcnt(4)
	global_store_dword v[10:11], v8, off
	s_or_b64 exec, exec, s[2:3]
	v_cmp_gt_u32_e32 vcc, s33, v28
	s_and_saveexec_b64 s[2:3], vcc
	s_cbranch_execnz .LBB260_176
.LBB260_145:
	s_or_b64 exec, exec, s[2:3]
	v_cmp_gt_u32_e32 vcc, s33, v27
	s_and_saveexec_b64 s[2:3], vcc
	s_cbranch_execz .LBB260_181
.LBB260_146:
	v_cmp_ge_u32_e32 vcc, v27, v18
                                        ; implicit-def: $vgpr8_vgpr9
	s_and_saveexec_b64 s[4:5], vcc
	s_xor_b64 s[4:5], exec, s[4:5]
	s_cbranch_execz .LBB260_148
; %bb.147:
	s_waitcnt lgkmcnt(4)
	v_xor_b32_e32 v8, 0xfffff9ff, v0
	v_ashrrev_i32_e32 v9, 31, v8
	v_add_co_u32_e32 v8, vcc, v19, v8
	v_addc_co_u32_e32 v9, vcc, v21, v9, vcc
                                        ; implicit-def: $vgpr27
.LBB260_148:
	s_andn2_saveexec_b64 s[4:5], s[4:5]
	s_cbranch_execz .LBB260_150
; %bb.149:
	s_waitcnt lgkmcnt(4)
	v_add_co_u32_e32 v8, vcc, v1, v27
	v_addc_co_u32_e32 v9, vcc, 0, v16, vcc
.LBB260_150:
	s_or_b64 exec, exec, s[4:5]
	s_waitcnt lgkmcnt(4)
	v_lshlrev_b64 v[8:9], 2, v[8:9]
	v_mov_b32_e32 v10, s25
	v_add_co_u32_e32 v8, vcc, s24, v8
	v_addc_co_u32_e32 v9, vcc, v10, v9, vcc
	s_waitcnt lgkmcnt(3)
	global_store_dword v[8:9], v6, off
	s_or_b64 exec, exec, s[2:3]
	v_cmp_gt_u32_e32 vcc, s33, v26
	s_and_saveexec_b64 s[2:3], vcc
	s_cbranch_execnz .LBB260_182
.LBB260_151:
	s_or_b64 exec, exec, s[2:3]
	v_cmp_gt_u32_e32 vcc, s33, v25
	s_and_saveexec_b64 s[2:3], vcc
	s_cbranch_execz .LBB260_187
.LBB260_152:
	v_cmp_ge_u32_e32 vcc, v25, v18
                                        ; implicit-def: $vgpr6_vgpr7
	s_and_saveexec_b64 s[4:5], vcc
	s_xor_b64 s[4:5], exec, s[4:5]
	s_cbranch_execz .LBB260_154
; %bb.153:
	s_waitcnt lgkmcnt(3)
	v_xor_b32_e32 v6, 0xfffff7ff, v0
	v_ashrrev_i32_e32 v7, 31, v6
	v_add_co_u32_e32 v6, vcc, v19, v6
	v_addc_co_u32_e32 v7, vcc, v21, v7, vcc
                                        ; implicit-def: $vgpr25
.LBB260_154:
	s_andn2_saveexec_b64 s[4:5], s[4:5]
	s_cbranch_execz .LBB260_156
; %bb.155:
	s_waitcnt lgkmcnt(3)
	v_add_co_u32_e32 v6, vcc, v1, v25
	v_addc_co_u32_e32 v7, vcc, 0, v16, vcc
.LBB260_156:
	s_or_b64 exec, exec, s[4:5]
	s_waitcnt lgkmcnt(3)
	v_lshlrev_b64 v[6:7], 2, v[6:7]
	v_mov_b32_e32 v8, s25
	v_add_co_u32_e32 v6, vcc, s24, v6
	v_addc_co_u32_e32 v7, vcc, v8, v7, vcc
	s_waitcnt lgkmcnt(2)
	global_store_dword v[6:7], v4, off
	s_or_b64 exec, exec, s[2:3]
	v_cmp_gt_u32_e32 vcc, s33, v24
	s_and_saveexec_b64 s[2:3], vcc
	s_cbranch_execnz .LBB260_188
.LBB260_157:
	s_or_b64 exec, exec, s[2:3]
	v_cmp_gt_u32_e32 vcc, s33, v23
	s_and_saveexec_b64 s[2:3], vcc
	s_cbranch_execz .LBB260_193
.LBB260_158:
	v_cmp_ge_u32_e32 vcc, v23, v18
                                        ; implicit-def: $vgpr4_vgpr5
	s_and_saveexec_b64 s[4:5], vcc
	s_xor_b64 s[4:5], exec, s[4:5]
	s_cbranch_execz .LBB260_160
; %bb.159:
	s_waitcnt lgkmcnt(2)
	v_xor_b32_e32 v4, 0xfffff5ff, v0
	v_ashrrev_i32_e32 v5, 31, v4
	v_add_co_u32_e32 v4, vcc, v19, v4
	v_addc_co_u32_e32 v5, vcc, v21, v5, vcc
                                        ; implicit-def: $vgpr23
.LBB260_160:
	s_andn2_saveexec_b64 s[4:5], s[4:5]
	s_cbranch_execz .LBB260_162
; %bb.161:
	s_waitcnt lgkmcnt(2)
	v_add_co_u32_e32 v4, vcc, v1, v23
	v_addc_co_u32_e32 v5, vcc, 0, v16, vcc
.LBB260_162:
	s_or_b64 exec, exec, s[4:5]
	s_waitcnt lgkmcnt(2)
	v_lshlrev_b64 v[4:5], 2, v[4:5]
	v_mov_b32_e32 v6, s25
	v_add_co_u32_e32 v4, vcc, s24, v4
	v_addc_co_u32_e32 v5, vcc, v6, v5, vcc
	s_waitcnt lgkmcnt(1)
	global_store_dword v[4:5], v2, off
	s_or_b64 exec, exec, s[2:3]
	v_cmp_gt_u32_e32 vcc, s33, v22
	s_and_saveexec_b64 s[2:3], vcc
	s_cbranch_execz .LBB260_199
	s_branch .LBB260_194
.LBB260_163:
	s_or_b64 exec, exec, s[2:3]
	v_cmp_gt_u32_e32 vcc, s33, v32
	s_and_saveexec_b64 s[2:3], vcc
	s_cbranch_execz .LBB260_133
.LBB260_164:
	v_cmp_ge_u32_e32 vcc, v32, v18
                                        ; implicit-def: $vgpr14_vgpr15
	s_and_saveexec_b64 s[4:5], vcc
	s_xor_b64 s[4:5], exec, s[4:5]
	s_cbranch_execz .LBB260_166
; %bb.165:
	s_waitcnt lgkmcnt(6)
	v_xor_b32_e32 v12, 0xfffffeff, v0
	v_ashrrev_i32_e32 v15, 31, v12
	v_add_co_u32_e32 v14, vcc, v19, v12
	v_addc_co_u32_e32 v15, vcc, v21, v15, vcc
                                        ; implicit-def: $vgpr32
.LBB260_166:
	s_andn2_saveexec_b64 s[4:5], s[4:5]
; %bb.167:
	v_add_co_u32_e32 v14, vcc, v1, v32
	v_addc_co_u32_e32 v15, vcc, 0, v16, vcc
; %bb.168:
	s_or_b64 exec, exec, s[4:5]
	v_lshlrev_b64 v[14:15], 2, v[14:15]
	s_waitcnt lgkmcnt(6)
	v_mov_b32_e32 v12, s25
	v_add_co_u32_e32 v14, vcc, s24, v14
	v_addc_co_u32_e32 v15, vcc, v12, v15, vcc
	global_store_dword v[14:15], v13, off
	s_or_b64 exec, exec, s[2:3]
	v_cmp_gt_u32_e32 vcc, s33, v31
	s_and_saveexec_b64 s[2:3], vcc
	s_cbranch_execnz .LBB260_134
.LBB260_169:
	s_or_b64 exec, exec, s[2:3]
	v_cmp_gt_u32_e32 vcc, s33, v30
	s_and_saveexec_b64 s[2:3], vcc
	s_cbranch_execz .LBB260_139
.LBB260_170:
	v_cmp_ge_u32_e32 vcc, v30, v18
                                        ; implicit-def: $vgpr12_vgpr13
	s_and_saveexec_b64 s[4:5], vcc
	s_xor_b64 s[4:5], exec, s[4:5]
	s_cbranch_execz .LBB260_172
; %bb.171:
	s_waitcnt lgkmcnt(5)
	v_xor_b32_e32 v10, 0xfffffcff, v0
	v_ashrrev_i32_e32 v13, 31, v10
	v_add_co_u32_e32 v12, vcc, v19, v10
	v_addc_co_u32_e32 v13, vcc, v21, v13, vcc
                                        ; implicit-def: $vgpr30
.LBB260_172:
	s_andn2_saveexec_b64 s[4:5], s[4:5]
	s_cbranch_execz .LBB260_174
; %bb.173:
	s_waitcnt lgkmcnt(6)
	v_add_co_u32_e32 v12, vcc, v1, v30
	v_addc_co_u32_e32 v13, vcc, 0, v16, vcc
.LBB260_174:
	s_or_b64 exec, exec, s[4:5]
	s_waitcnt lgkmcnt(6)
	v_lshlrev_b64 v[12:13], 2, v[12:13]
	s_waitcnt lgkmcnt(5)
	v_mov_b32_e32 v10, s25
	v_add_co_u32_e32 v12, vcc, s24, v12
	v_addc_co_u32_e32 v13, vcc, v10, v13, vcc
	global_store_dword v[12:13], v11, off
	s_or_b64 exec, exec, s[2:3]
	v_cmp_gt_u32_e32 vcc, s33, v29
	s_and_saveexec_b64 s[2:3], vcc
	s_cbranch_execnz .LBB260_140
.LBB260_175:
	s_or_b64 exec, exec, s[2:3]
	v_cmp_gt_u32_e32 vcc, s33, v28
	s_and_saveexec_b64 s[2:3], vcc
	s_cbranch_execz .LBB260_145
.LBB260_176:
	v_cmp_ge_u32_e32 vcc, v28, v18
                                        ; implicit-def: $vgpr10_vgpr11
	s_and_saveexec_b64 s[4:5], vcc
	s_xor_b64 s[4:5], exec, s[4:5]
	s_cbranch_execz .LBB260_178
; %bb.177:
	s_waitcnt lgkmcnt(4)
	v_xor_b32_e32 v8, 0xfffffaff, v0
	v_ashrrev_i32_e32 v11, 31, v8
	v_add_co_u32_e32 v10, vcc, v19, v8
	v_addc_co_u32_e32 v11, vcc, v21, v11, vcc
                                        ; implicit-def: $vgpr28
.LBB260_178:
	s_andn2_saveexec_b64 s[4:5], s[4:5]
	s_cbranch_execz .LBB260_180
; %bb.179:
	s_waitcnt lgkmcnt(5)
	v_add_co_u32_e32 v10, vcc, v1, v28
	v_addc_co_u32_e32 v11, vcc, 0, v16, vcc
.LBB260_180:
	s_or_b64 exec, exec, s[4:5]
	s_waitcnt lgkmcnt(5)
	v_lshlrev_b64 v[10:11], 2, v[10:11]
	s_waitcnt lgkmcnt(4)
	v_mov_b32_e32 v8, s25
	v_add_co_u32_e32 v10, vcc, s24, v10
	v_addc_co_u32_e32 v11, vcc, v8, v11, vcc
	global_store_dword v[10:11], v9, off
	s_or_b64 exec, exec, s[2:3]
	v_cmp_gt_u32_e32 vcc, s33, v27
	s_and_saveexec_b64 s[2:3], vcc
	s_cbranch_execnz .LBB260_146
.LBB260_181:
	s_or_b64 exec, exec, s[2:3]
	v_cmp_gt_u32_e32 vcc, s33, v26
	s_and_saveexec_b64 s[2:3], vcc
	s_cbranch_execz .LBB260_151
.LBB260_182:
	v_cmp_ge_u32_e32 vcc, v26, v18
                                        ; implicit-def: $vgpr8_vgpr9
	s_and_saveexec_b64 s[4:5], vcc
	s_xor_b64 s[4:5], exec, s[4:5]
	s_cbranch_execz .LBB260_184
; %bb.183:
	s_waitcnt lgkmcnt(3)
	v_xor_b32_e32 v6, 0xfffff8ff, v0
	v_ashrrev_i32_e32 v9, 31, v6
	v_add_co_u32_e32 v8, vcc, v19, v6
	v_addc_co_u32_e32 v9, vcc, v21, v9, vcc
                                        ; implicit-def: $vgpr26
.LBB260_184:
	s_andn2_saveexec_b64 s[4:5], s[4:5]
	s_cbranch_execz .LBB260_186
; %bb.185:
	s_waitcnt lgkmcnt(4)
	v_add_co_u32_e32 v8, vcc, v1, v26
	v_addc_co_u32_e32 v9, vcc, 0, v16, vcc
.LBB260_186:
	s_or_b64 exec, exec, s[4:5]
	s_waitcnt lgkmcnt(4)
	v_lshlrev_b64 v[8:9], 2, v[8:9]
	s_waitcnt lgkmcnt(3)
	v_mov_b32_e32 v6, s25
	v_add_co_u32_e32 v8, vcc, s24, v8
	v_addc_co_u32_e32 v9, vcc, v6, v9, vcc
	global_store_dword v[8:9], v7, off
	s_or_b64 exec, exec, s[2:3]
	v_cmp_gt_u32_e32 vcc, s33, v25
	s_and_saveexec_b64 s[2:3], vcc
	s_cbranch_execnz .LBB260_152
.LBB260_187:
	s_or_b64 exec, exec, s[2:3]
	v_cmp_gt_u32_e32 vcc, s33, v24
	s_and_saveexec_b64 s[2:3], vcc
	s_cbranch_execz .LBB260_157
.LBB260_188:
	v_cmp_ge_u32_e32 vcc, v24, v18
                                        ; implicit-def: $vgpr6_vgpr7
	s_and_saveexec_b64 s[4:5], vcc
	s_xor_b64 s[4:5], exec, s[4:5]
	s_cbranch_execz .LBB260_190
; %bb.189:
	s_waitcnt lgkmcnt(2)
	v_xor_b32_e32 v4, 0xfffff6ff, v0
	v_ashrrev_i32_e32 v7, 31, v4
	v_add_co_u32_e32 v6, vcc, v19, v4
	v_addc_co_u32_e32 v7, vcc, v21, v7, vcc
                                        ; implicit-def: $vgpr24
.LBB260_190:
	s_andn2_saveexec_b64 s[4:5], s[4:5]
	s_cbranch_execz .LBB260_192
; %bb.191:
	s_waitcnt lgkmcnt(3)
	v_add_co_u32_e32 v6, vcc, v1, v24
	v_addc_co_u32_e32 v7, vcc, 0, v16, vcc
.LBB260_192:
	s_or_b64 exec, exec, s[4:5]
	s_waitcnt lgkmcnt(3)
	v_lshlrev_b64 v[6:7], 2, v[6:7]
	s_waitcnt lgkmcnt(2)
	v_mov_b32_e32 v4, s25
	v_add_co_u32_e32 v6, vcc, s24, v6
	v_addc_co_u32_e32 v7, vcc, v4, v7, vcc
	global_store_dword v[6:7], v5, off
	s_or_b64 exec, exec, s[2:3]
	v_cmp_gt_u32_e32 vcc, s33, v23
	s_and_saveexec_b64 s[2:3], vcc
	s_cbranch_execnz .LBB260_158
.LBB260_193:
	s_or_b64 exec, exec, s[2:3]
	v_cmp_gt_u32_e32 vcc, s33, v22
	s_and_saveexec_b64 s[2:3], vcc
	s_cbranch_execz .LBB260_199
.LBB260_194:
	v_cmp_ge_u32_e32 vcc, v22, v18
                                        ; implicit-def: $vgpr4_vgpr5
	s_and_saveexec_b64 s[4:5], vcc
	s_xor_b64 s[4:5], exec, s[4:5]
	s_cbranch_execz .LBB260_196
; %bb.195:
	s_waitcnt lgkmcnt(1)
	v_xor_b32_e32 v2, 0xfffff4ff, v0
	v_ashrrev_i32_e32 v5, 31, v2
	v_add_co_u32_e32 v4, vcc, v19, v2
	v_addc_co_u32_e32 v5, vcc, v21, v5, vcc
                                        ; implicit-def: $vgpr22
.LBB260_196:
	s_andn2_saveexec_b64 s[4:5], s[4:5]
	s_cbranch_execz .LBB260_198
; %bb.197:
	s_waitcnt lgkmcnt(2)
	v_add_co_u32_e32 v4, vcc, v1, v22
	v_addc_co_u32_e32 v5, vcc, 0, v16, vcc
.LBB260_198:
	s_or_b64 exec, exec, s[4:5]
	s_waitcnt lgkmcnt(2)
	v_lshlrev_b64 v[4:5], 2, v[4:5]
	s_waitcnt lgkmcnt(1)
	v_mov_b32_e32 v2, s25
	v_add_co_u32_e32 v4, vcc, s24, v4
	v_addc_co_u32_e32 v5, vcc, v2, v5, vcc
	global_store_dword v[4:5], v3, off
.LBB260_199:
	s_or_b64 exec, exec, s[2:3]
	v_cmp_gt_u32_e32 vcc, s33, v20
                                        ; implicit-def: $vgpr14_vgpr15
	s_and_saveexec_b64 s[2:3], vcc
	s_cbranch_execz .LBB260_205
; %bb.200:
	v_cmp_ge_u32_e32 vcc, v20, v18
                                        ; implicit-def: $vgpr14_vgpr15
	s_and_saveexec_b64 s[4:5], vcc
	s_xor_b64 s[4:5], exec, s[4:5]
	s_cbranch_execz .LBB260_202
; %bb.201:
	s_waitcnt lgkmcnt(1)
	v_xor_b32_e32 v2, 0xfffff3ff, v0
	v_ashrrev_i32_e32 v3, 31, v2
	v_add_co_u32_e32 v14, vcc, v19, v2
	v_addc_co_u32_e32 v15, vcc, v21, v3, vcc
                                        ; implicit-def: $vgpr20
.LBB260_202:
	s_andn2_saveexec_b64 s[4:5], s[4:5]
; %bb.203:
	v_add_co_u32_e32 v14, vcc, v1, v20
	v_addc_co_u32_e32 v15, vcc, 0, v16, vcc
; %bb.204:
	s_or_b64 exec, exec, s[4:5]
	s_or_b64 s[0:1], s[0:1], exec
.LBB260_205:
	s_or_b64 exec, exec, s[2:3]
.LBB260_206:
	s_and_saveexec_b64 s[2:3], s[0:1]
	s_cbranch_execz .LBB260_208
; %bb.207:
	s_waitcnt lgkmcnt(1)
	v_lshlrev_b64 v[2:3], 2, v[14:15]
	v_mov_b32_e32 v4, s25
	v_add_co_u32_e32 v2, vcc, s24, v2
	v_addc_co_u32_e32 v3, vcc, v4, v3, vcc
	s_waitcnt lgkmcnt(0)
	global_store_dword v[2:3], v17, off
.LBB260_208:
	s_or_b64 exec, exec, s[2:3]
	v_cmp_eq_u32_e32 vcc, 0, v0
	s_and_b64 s[0:1], vcc, s[22:23]
	s_and_saveexec_b64 s[2:3], s[0:1]
	s_cbranch_execz .LBB260_210
; %bb.209:
	v_add_co_u32_e32 v0, vcc, v1, v18
	s_waitcnt lgkmcnt(1)
	v_mov_b32_e32 v2, 0
	v_addc_co_u32_e32 v1, vcc, 0, v16, vcc
	global_store_dwordx2 v2, v[0:1], s[20:21]
.LBB260_210:
	s_endpgm
	.section	.rodata,"a",@progbits
	.p2align	6, 0x0
	.amdhsa_kernel _ZN7rocprim17ROCPRIM_400000_NS6detail17trampoline_kernelINS0_13select_configILj256ELj13ELNS0_17block_load_methodE3ELS4_3ELS4_3ELNS0_20block_scan_algorithmE0ELj4294967295EEENS1_25partition_config_selectorILNS1_17partition_subalgoE3EjNS0_10empty_typeEbEEZZNS1_14partition_implILS8_3ELb0ES6_jNS0_17counting_iteratorIjlEEPS9_SE_NS0_5tupleIJPjSE_EEENSF_IJSE_SE_EEES9_SG_JZNS1_25segmented_radix_sort_implINS0_14default_configELb1EPKaPaPKlPlN2at6native12_GLOBAL__N_18offset_tEEE10hipError_tPvRmT1_PNSt15iterator_traitsISY_E10value_typeET2_T3_PNSZ_IS14_E10value_typeET4_jRbjT5_S1A_jjP12ihipStream_tbEUljE_EEESV_SW_SX_S14_S18_S1A_T6_T7_T9_mT8_S1C_bDpT10_ENKUlT_T0_E_clISt17integral_constantIbLb0EES1P_EEDaS1K_S1L_EUlS1K_E_NS1_11comp_targetILNS1_3genE4ELNS1_11target_archE910ELNS1_3gpuE8ELNS1_3repE0EEENS1_30default_config_static_selectorELNS0_4arch9wavefront6targetE1EEEvSY_
		.amdhsa_group_segment_fixed_size 13324
		.amdhsa_private_segment_fixed_size 0
		.amdhsa_kernarg_size 144
		.amdhsa_user_sgpr_count 6
		.amdhsa_user_sgpr_private_segment_buffer 1
		.amdhsa_user_sgpr_dispatch_ptr 0
		.amdhsa_user_sgpr_queue_ptr 0
		.amdhsa_user_sgpr_kernarg_segment_ptr 1
		.amdhsa_user_sgpr_dispatch_id 0
		.amdhsa_user_sgpr_flat_scratch_init 0
		.amdhsa_user_sgpr_kernarg_preload_length 0
		.amdhsa_user_sgpr_kernarg_preload_offset 0
		.amdhsa_user_sgpr_private_segment_size 0
		.amdhsa_uses_dynamic_stack 0
		.amdhsa_system_sgpr_private_segment_wavefront_offset 0
		.amdhsa_system_sgpr_workgroup_id_x 1
		.amdhsa_system_sgpr_workgroup_id_y 0
		.amdhsa_system_sgpr_workgroup_id_z 0
		.amdhsa_system_sgpr_workgroup_info 0
		.amdhsa_system_vgpr_workitem_id 0
		.amdhsa_next_free_vgpr 61
		.amdhsa_next_free_sgpr 46
		.amdhsa_accum_offset 64
		.amdhsa_reserve_vcc 1
		.amdhsa_reserve_flat_scratch 0
		.amdhsa_float_round_mode_32 0
		.amdhsa_float_round_mode_16_64 0
		.amdhsa_float_denorm_mode_32 3
		.amdhsa_float_denorm_mode_16_64 3
		.amdhsa_dx10_clamp 1
		.amdhsa_ieee_mode 1
		.amdhsa_fp16_overflow 0
		.amdhsa_tg_split 0
		.amdhsa_exception_fp_ieee_invalid_op 0
		.amdhsa_exception_fp_denorm_src 0
		.amdhsa_exception_fp_ieee_div_zero 0
		.amdhsa_exception_fp_ieee_overflow 0
		.amdhsa_exception_fp_ieee_underflow 0
		.amdhsa_exception_fp_ieee_inexact 0
		.amdhsa_exception_int_div_zero 0
	.end_amdhsa_kernel
	.section	.text._ZN7rocprim17ROCPRIM_400000_NS6detail17trampoline_kernelINS0_13select_configILj256ELj13ELNS0_17block_load_methodE3ELS4_3ELS4_3ELNS0_20block_scan_algorithmE0ELj4294967295EEENS1_25partition_config_selectorILNS1_17partition_subalgoE3EjNS0_10empty_typeEbEEZZNS1_14partition_implILS8_3ELb0ES6_jNS0_17counting_iteratorIjlEEPS9_SE_NS0_5tupleIJPjSE_EEENSF_IJSE_SE_EEES9_SG_JZNS1_25segmented_radix_sort_implINS0_14default_configELb1EPKaPaPKlPlN2at6native12_GLOBAL__N_18offset_tEEE10hipError_tPvRmT1_PNSt15iterator_traitsISY_E10value_typeET2_T3_PNSZ_IS14_E10value_typeET4_jRbjT5_S1A_jjP12ihipStream_tbEUljE_EEESV_SW_SX_S14_S18_S1A_T6_T7_T9_mT8_S1C_bDpT10_ENKUlT_T0_E_clISt17integral_constantIbLb0EES1P_EEDaS1K_S1L_EUlS1K_E_NS1_11comp_targetILNS1_3genE4ELNS1_11target_archE910ELNS1_3gpuE8ELNS1_3repE0EEENS1_30default_config_static_selectorELNS0_4arch9wavefront6targetE1EEEvSY_,"axG",@progbits,_ZN7rocprim17ROCPRIM_400000_NS6detail17trampoline_kernelINS0_13select_configILj256ELj13ELNS0_17block_load_methodE3ELS4_3ELS4_3ELNS0_20block_scan_algorithmE0ELj4294967295EEENS1_25partition_config_selectorILNS1_17partition_subalgoE3EjNS0_10empty_typeEbEEZZNS1_14partition_implILS8_3ELb0ES6_jNS0_17counting_iteratorIjlEEPS9_SE_NS0_5tupleIJPjSE_EEENSF_IJSE_SE_EEES9_SG_JZNS1_25segmented_radix_sort_implINS0_14default_configELb1EPKaPaPKlPlN2at6native12_GLOBAL__N_18offset_tEEE10hipError_tPvRmT1_PNSt15iterator_traitsISY_E10value_typeET2_T3_PNSZ_IS14_E10value_typeET4_jRbjT5_S1A_jjP12ihipStream_tbEUljE_EEESV_SW_SX_S14_S18_S1A_T6_T7_T9_mT8_S1C_bDpT10_ENKUlT_T0_E_clISt17integral_constantIbLb0EES1P_EEDaS1K_S1L_EUlS1K_E_NS1_11comp_targetILNS1_3genE4ELNS1_11target_archE910ELNS1_3gpuE8ELNS1_3repE0EEENS1_30default_config_static_selectorELNS0_4arch9wavefront6targetE1EEEvSY_,comdat
.Lfunc_end260:
	.size	_ZN7rocprim17ROCPRIM_400000_NS6detail17trampoline_kernelINS0_13select_configILj256ELj13ELNS0_17block_load_methodE3ELS4_3ELS4_3ELNS0_20block_scan_algorithmE0ELj4294967295EEENS1_25partition_config_selectorILNS1_17partition_subalgoE3EjNS0_10empty_typeEbEEZZNS1_14partition_implILS8_3ELb0ES6_jNS0_17counting_iteratorIjlEEPS9_SE_NS0_5tupleIJPjSE_EEENSF_IJSE_SE_EEES9_SG_JZNS1_25segmented_radix_sort_implINS0_14default_configELb1EPKaPaPKlPlN2at6native12_GLOBAL__N_18offset_tEEE10hipError_tPvRmT1_PNSt15iterator_traitsISY_E10value_typeET2_T3_PNSZ_IS14_E10value_typeET4_jRbjT5_S1A_jjP12ihipStream_tbEUljE_EEESV_SW_SX_S14_S18_S1A_T6_T7_T9_mT8_S1C_bDpT10_ENKUlT_T0_E_clISt17integral_constantIbLb0EES1P_EEDaS1K_S1L_EUlS1K_E_NS1_11comp_targetILNS1_3genE4ELNS1_11target_archE910ELNS1_3gpuE8ELNS1_3repE0EEENS1_30default_config_static_selectorELNS0_4arch9wavefront6targetE1EEEvSY_, .Lfunc_end260-_ZN7rocprim17ROCPRIM_400000_NS6detail17trampoline_kernelINS0_13select_configILj256ELj13ELNS0_17block_load_methodE3ELS4_3ELS4_3ELNS0_20block_scan_algorithmE0ELj4294967295EEENS1_25partition_config_selectorILNS1_17partition_subalgoE3EjNS0_10empty_typeEbEEZZNS1_14partition_implILS8_3ELb0ES6_jNS0_17counting_iteratorIjlEEPS9_SE_NS0_5tupleIJPjSE_EEENSF_IJSE_SE_EEES9_SG_JZNS1_25segmented_radix_sort_implINS0_14default_configELb1EPKaPaPKlPlN2at6native12_GLOBAL__N_18offset_tEEE10hipError_tPvRmT1_PNSt15iterator_traitsISY_E10value_typeET2_T3_PNSZ_IS14_E10value_typeET4_jRbjT5_S1A_jjP12ihipStream_tbEUljE_EEESV_SW_SX_S14_S18_S1A_T6_T7_T9_mT8_S1C_bDpT10_ENKUlT_T0_E_clISt17integral_constantIbLb0EES1P_EEDaS1K_S1L_EUlS1K_E_NS1_11comp_targetILNS1_3genE4ELNS1_11target_archE910ELNS1_3gpuE8ELNS1_3repE0EEENS1_30default_config_static_selectorELNS0_4arch9wavefront6targetE1EEEvSY_
                                        ; -- End function
	.section	.AMDGPU.csdata,"",@progbits
; Kernel info:
; codeLenInByte = 7676
; NumSgprs: 50
; NumVgprs: 61
; NumAgprs: 0
; TotalNumVgprs: 61
; ScratchSize: 0
; MemoryBound: 0
; FloatMode: 240
; IeeeMode: 1
; LDSByteSize: 13324 bytes/workgroup (compile time only)
; SGPRBlocks: 6
; VGPRBlocks: 7
; NumSGPRsForWavesPerEU: 50
; NumVGPRsForWavesPerEU: 61
; AccumOffset: 64
; Occupancy: 4
; WaveLimiterHint : 0
; COMPUTE_PGM_RSRC2:SCRATCH_EN: 0
; COMPUTE_PGM_RSRC2:USER_SGPR: 6
; COMPUTE_PGM_RSRC2:TRAP_HANDLER: 0
; COMPUTE_PGM_RSRC2:TGID_X_EN: 1
; COMPUTE_PGM_RSRC2:TGID_Y_EN: 0
; COMPUTE_PGM_RSRC2:TGID_Z_EN: 0
; COMPUTE_PGM_RSRC2:TIDIG_COMP_CNT: 0
; COMPUTE_PGM_RSRC3_GFX90A:ACCUM_OFFSET: 15
; COMPUTE_PGM_RSRC3_GFX90A:TG_SPLIT: 0
	.section	.text._ZN7rocprim17ROCPRIM_400000_NS6detail17trampoline_kernelINS0_13select_configILj256ELj13ELNS0_17block_load_methodE3ELS4_3ELS4_3ELNS0_20block_scan_algorithmE0ELj4294967295EEENS1_25partition_config_selectorILNS1_17partition_subalgoE3EjNS0_10empty_typeEbEEZZNS1_14partition_implILS8_3ELb0ES6_jNS0_17counting_iteratorIjlEEPS9_SE_NS0_5tupleIJPjSE_EEENSF_IJSE_SE_EEES9_SG_JZNS1_25segmented_radix_sort_implINS0_14default_configELb1EPKaPaPKlPlN2at6native12_GLOBAL__N_18offset_tEEE10hipError_tPvRmT1_PNSt15iterator_traitsISY_E10value_typeET2_T3_PNSZ_IS14_E10value_typeET4_jRbjT5_S1A_jjP12ihipStream_tbEUljE_EEESV_SW_SX_S14_S18_S1A_T6_T7_T9_mT8_S1C_bDpT10_ENKUlT_T0_E_clISt17integral_constantIbLb0EES1P_EEDaS1K_S1L_EUlS1K_E_NS1_11comp_targetILNS1_3genE3ELNS1_11target_archE908ELNS1_3gpuE7ELNS1_3repE0EEENS1_30default_config_static_selectorELNS0_4arch9wavefront6targetE1EEEvSY_,"axG",@progbits,_ZN7rocprim17ROCPRIM_400000_NS6detail17trampoline_kernelINS0_13select_configILj256ELj13ELNS0_17block_load_methodE3ELS4_3ELS4_3ELNS0_20block_scan_algorithmE0ELj4294967295EEENS1_25partition_config_selectorILNS1_17partition_subalgoE3EjNS0_10empty_typeEbEEZZNS1_14partition_implILS8_3ELb0ES6_jNS0_17counting_iteratorIjlEEPS9_SE_NS0_5tupleIJPjSE_EEENSF_IJSE_SE_EEES9_SG_JZNS1_25segmented_radix_sort_implINS0_14default_configELb1EPKaPaPKlPlN2at6native12_GLOBAL__N_18offset_tEEE10hipError_tPvRmT1_PNSt15iterator_traitsISY_E10value_typeET2_T3_PNSZ_IS14_E10value_typeET4_jRbjT5_S1A_jjP12ihipStream_tbEUljE_EEESV_SW_SX_S14_S18_S1A_T6_T7_T9_mT8_S1C_bDpT10_ENKUlT_T0_E_clISt17integral_constantIbLb0EES1P_EEDaS1K_S1L_EUlS1K_E_NS1_11comp_targetILNS1_3genE3ELNS1_11target_archE908ELNS1_3gpuE7ELNS1_3repE0EEENS1_30default_config_static_selectorELNS0_4arch9wavefront6targetE1EEEvSY_,comdat
	.globl	_ZN7rocprim17ROCPRIM_400000_NS6detail17trampoline_kernelINS0_13select_configILj256ELj13ELNS0_17block_load_methodE3ELS4_3ELS4_3ELNS0_20block_scan_algorithmE0ELj4294967295EEENS1_25partition_config_selectorILNS1_17partition_subalgoE3EjNS0_10empty_typeEbEEZZNS1_14partition_implILS8_3ELb0ES6_jNS0_17counting_iteratorIjlEEPS9_SE_NS0_5tupleIJPjSE_EEENSF_IJSE_SE_EEES9_SG_JZNS1_25segmented_radix_sort_implINS0_14default_configELb1EPKaPaPKlPlN2at6native12_GLOBAL__N_18offset_tEEE10hipError_tPvRmT1_PNSt15iterator_traitsISY_E10value_typeET2_T3_PNSZ_IS14_E10value_typeET4_jRbjT5_S1A_jjP12ihipStream_tbEUljE_EEESV_SW_SX_S14_S18_S1A_T6_T7_T9_mT8_S1C_bDpT10_ENKUlT_T0_E_clISt17integral_constantIbLb0EES1P_EEDaS1K_S1L_EUlS1K_E_NS1_11comp_targetILNS1_3genE3ELNS1_11target_archE908ELNS1_3gpuE7ELNS1_3repE0EEENS1_30default_config_static_selectorELNS0_4arch9wavefront6targetE1EEEvSY_ ; -- Begin function _ZN7rocprim17ROCPRIM_400000_NS6detail17trampoline_kernelINS0_13select_configILj256ELj13ELNS0_17block_load_methodE3ELS4_3ELS4_3ELNS0_20block_scan_algorithmE0ELj4294967295EEENS1_25partition_config_selectorILNS1_17partition_subalgoE3EjNS0_10empty_typeEbEEZZNS1_14partition_implILS8_3ELb0ES6_jNS0_17counting_iteratorIjlEEPS9_SE_NS0_5tupleIJPjSE_EEENSF_IJSE_SE_EEES9_SG_JZNS1_25segmented_radix_sort_implINS0_14default_configELb1EPKaPaPKlPlN2at6native12_GLOBAL__N_18offset_tEEE10hipError_tPvRmT1_PNSt15iterator_traitsISY_E10value_typeET2_T3_PNSZ_IS14_E10value_typeET4_jRbjT5_S1A_jjP12ihipStream_tbEUljE_EEESV_SW_SX_S14_S18_S1A_T6_T7_T9_mT8_S1C_bDpT10_ENKUlT_T0_E_clISt17integral_constantIbLb0EES1P_EEDaS1K_S1L_EUlS1K_E_NS1_11comp_targetILNS1_3genE3ELNS1_11target_archE908ELNS1_3gpuE7ELNS1_3repE0EEENS1_30default_config_static_selectorELNS0_4arch9wavefront6targetE1EEEvSY_
	.p2align	8
	.type	_ZN7rocprim17ROCPRIM_400000_NS6detail17trampoline_kernelINS0_13select_configILj256ELj13ELNS0_17block_load_methodE3ELS4_3ELS4_3ELNS0_20block_scan_algorithmE0ELj4294967295EEENS1_25partition_config_selectorILNS1_17partition_subalgoE3EjNS0_10empty_typeEbEEZZNS1_14partition_implILS8_3ELb0ES6_jNS0_17counting_iteratorIjlEEPS9_SE_NS0_5tupleIJPjSE_EEENSF_IJSE_SE_EEES9_SG_JZNS1_25segmented_radix_sort_implINS0_14default_configELb1EPKaPaPKlPlN2at6native12_GLOBAL__N_18offset_tEEE10hipError_tPvRmT1_PNSt15iterator_traitsISY_E10value_typeET2_T3_PNSZ_IS14_E10value_typeET4_jRbjT5_S1A_jjP12ihipStream_tbEUljE_EEESV_SW_SX_S14_S18_S1A_T6_T7_T9_mT8_S1C_bDpT10_ENKUlT_T0_E_clISt17integral_constantIbLb0EES1P_EEDaS1K_S1L_EUlS1K_E_NS1_11comp_targetILNS1_3genE3ELNS1_11target_archE908ELNS1_3gpuE7ELNS1_3repE0EEENS1_30default_config_static_selectorELNS0_4arch9wavefront6targetE1EEEvSY_,@function
_ZN7rocprim17ROCPRIM_400000_NS6detail17trampoline_kernelINS0_13select_configILj256ELj13ELNS0_17block_load_methodE3ELS4_3ELS4_3ELNS0_20block_scan_algorithmE0ELj4294967295EEENS1_25partition_config_selectorILNS1_17partition_subalgoE3EjNS0_10empty_typeEbEEZZNS1_14partition_implILS8_3ELb0ES6_jNS0_17counting_iteratorIjlEEPS9_SE_NS0_5tupleIJPjSE_EEENSF_IJSE_SE_EEES9_SG_JZNS1_25segmented_radix_sort_implINS0_14default_configELb1EPKaPaPKlPlN2at6native12_GLOBAL__N_18offset_tEEE10hipError_tPvRmT1_PNSt15iterator_traitsISY_E10value_typeET2_T3_PNSZ_IS14_E10value_typeET4_jRbjT5_S1A_jjP12ihipStream_tbEUljE_EEESV_SW_SX_S14_S18_S1A_T6_T7_T9_mT8_S1C_bDpT10_ENKUlT_T0_E_clISt17integral_constantIbLb0EES1P_EEDaS1K_S1L_EUlS1K_E_NS1_11comp_targetILNS1_3genE3ELNS1_11target_archE908ELNS1_3gpuE7ELNS1_3repE0EEENS1_30default_config_static_selectorELNS0_4arch9wavefront6targetE1EEEvSY_: ; @_ZN7rocprim17ROCPRIM_400000_NS6detail17trampoline_kernelINS0_13select_configILj256ELj13ELNS0_17block_load_methodE3ELS4_3ELS4_3ELNS0_20block_scan_algorithmE0ELj4294967295EEENS1_25partition_config_selectorILNS1_17partition_subalgoE3EjNS0_10empty_typeEbEEZZNS1_14partition_implILS8_3ELb0ES6_jNS0_17counting_iteratorIjlEEPS9_SE_NS0_5tupleIJPjSE_EEENSF_IJSE_SE_EEES9_SG_JZNS1_25segmented_radix_sort_implINS0_14default_configELb1EPKaPaPKlPlN2at6native12_GLOBAL__N_18offset_tEEE10hipError_tPvRmT1_PNSt15iterator_traitsISY_E10value_typeET2_T3_PNSZ_IS14_E10value_typeET4_jRbjT5_S1A_jjP12ihipStream_tbEUljE_EEESV_SW_SX_S14_S18_S1A_T6_T7_T9_mT8_S1C_bDpT10_ENKUlT_T0_E_clISt17integral_constantIbLb0EES1P_EEDaS1K_S1L_EUlS1K_E_NS1_11comp_targetILNS1_3genE3ELNS1_11target_archE908ELNS1_3gpuE7ELNS1_3repE0EEENS1_30default_config_static_selectorELNS0_4arch9wavefront6targetE1EEEvSY_
; %bb.0:
	.section	.rodata,"a",@progbits
	.p2align	6, 0x0
	.amdhsa_kernel _ZN7rocprim17ROCPRIM_400000_NS6detail17trampoline_kernelINS0_13select_configILj256ELj13ELNS0_17block_load_methodE3ELS4_3ELS4_3ELNS0_20block_scan_algorithmE0ELj4294967295EEENS1_25partition_config_selectorILNS1_17partition_subalgoE3EjNS0_10empty_typeEbEEZZNS1_14partition_implILS8_3ELb0ES6_jNS0_17counting_iteratorIjlEEPS9_SE_NS0_5tupleIJPjSE_EEENSF_IJSE_SE_EEES9_SG_JZNS1_25segmented_radix_sort_implINS0_14default_configELb1EPKaPaPKlPlN2at6native12_GLOBAL__N_18offset_tEEE10hipError_tPvRmT1_PNSt15iterator_traitsISY_E10value_typeET2_T3_PNSZ_IS14_E10value_typeET4_jRbjT5_S1A_jjP12ihipStream_tbEUljE_EEESV_SW_SX_S14_S18_S1A_T6_T7_T9_mT8_S1C_bDpT10_ENKUlT_T0_E_clISt17integral_constantIbLb0EES1P_EEDaS1K_S1L_EUlS1K_E_NS1_11comp_targetILNS1_3genE3ELNS1_11target_archE908ELNS1_3gpuE7ELNS1_3repE0EEENS1_30default_config_static_selectorELNS0_4arch9wavefront6targetE1EEEvSY_
		.amdhsa_group_segment_fixed_size 0
		.amdhsa_private_segment_fixed_size 0
		.amdhsa_kernarg_size 144
		.amdhsa_user_sgpr_count 6
		.amdhsa_user_sgpr_private_segment_buffer 1
		.amdhsa_user_sgpr_dispatch_ptr 0
		.amdhsa_user_sgpr_queue_ptr 0
		.amdhsa_user_sgpr_kernarg_segment_ptr 1
		.amdhsa_user_sgpr_dispatch_id 0
		.amdhsa_user_sgpr_flat_scratch_init 0
		.amdhsa_user_sgpr_kernarg_preload_length 0
		.amdhsa_user_sgpr_kernarg_preload_offset 0
		.amdhsa_user_sgpr_private_segment_size 0
		.amdhsa_uses_dynamic_stack 0
		.amdhsa_system_sgpr_private_segment_wavefront_offset 0
		.amdhsa_system_sgpr_workgroup_id_x 1
		.amdhsa_system_sgpr_workgroup_id_y 0
		.amdhsa_system_sgpr_workgroup_id_z 0
		.amdhsa_system_sgpr_workgroup_info 0
		.amdhsa_system_vgpr_workitem_id 0
		.amdhsa_next_free_vgpr 1
		.amdhsa_next_free_sgpr 0
		.amdhsa_accum_offset 4
		.amdhsa_reserve_vcc 0
		.amdhsa_reserve_flat_scratch 0
		.amdhsa_float_round_mode_32 0
		.amdhsa_float_round_mode_16_64 0
		.amdhsa_float_denorm_mode_32 3
		.amdhsa_float_denorm_mode_16_64 3
		.amdhsa_dx10_clamp 1
		.amdhsa_ieee_mode 1
		.amdhsa_fp16_overflow 0
		.amdhsa_tg_split 0
		.amdhsa_exception_fp_ieee_invalid_op 0
		.amdhsa_exception_fp_denorm_src 0
		.amdhsa_exception_fp_ieee_div_zero 0
		.amdhsa_exception_fp_ieee_overflow 0
		.amdhsa_exception_fp_ieee_underflow 0
		.amdhsa_exception_fp_ieee_inexact 0
		.amdhsa_exception_int_div_zero 0
	.end_amdhsa_kernel
	.section	.text._ZN7rocprim17ROCPRIM_400000_NS6detail17trampoline_kernelINS0_13select_configILj256ELj13ELNS0_17block_load_methodE3ELS4_3ELS4_3ELNS0_20block_scan_algorithmE0ELj4294967295EEENS1_25partition_config_selectorILNS1_17partition_subalgoE3EjNS0_10empty_typeEbEEZZNS1_14partition_implILS8_3ELb0ES6_jNS0_17counting_iteratorIjlEEPS9_SE_NS0_5tupleIJPjSE_EEENSF_IJSE_SE_EEES9_SG_JZNS1_25segmented_radix_sort_implINS0_14default_configELb1EPKaPaPKlPlN2at6native12_GLOBAL__N_18offset_tEEE10hipError_tPvRmT1_PNSt15iterator_traitsISY_E10value_typeET2_T3_PNSZ_IS14_E10value_typeET4_jRbjT5_S1A_jjP12ihipStream_tbEUljE_EEESV_SW_SX_S14_S18_S1A_T6_T7_T9_mT8_S1C_bDpT10_ENKUlT_T0_E_clISt17integral_constantIbLb0EES1P_EEDaS1K_S1L_EUlS1K_E_NS1_11comp_targetILNS1_3genE3ELNS1_11target_archE908ELNS1_3gpuE7ELNS1_3repE0EEENS1_30default_config_static_selectorELNS0_4arch9wavefront6targetE1EEEvSY_,"axG",@progbits,_ZN7rocprim17ROCPRIM_400000_NS6detail17trampoline_kernelINS0_13select_configILj256ELj13ELNS0_17block_load_methodE3ELS4_3ELS4_3ELNS0_20block_scan_algorithmE0ELj4294967295EEENS1_25partition_config_selectorILNS1_17partition_subalgoE3EjNS0_10empty_typeEbEEZZNS1_14partition_implILS8_3ELb0ES6_jNS0_17counting_iteratorIjlEEPS9_SE_NS0_5tupleIJPjSE_EEENSF_IJSE_SE_EEES9_SG_JZNS1_25segmented_radix_sort_implINS0_14default_configELb1EPKaPaPKlPlN2at6native12_GLOBAL__N_18offset_tEEE10hipError_tPvRmT1_PNSt15iterator_traitsISY_E10value_typeET2_T3_PNSZ_IS14_E10value_typeET4_jRbjT5_S1A_jjP12ihipStream_tbEUljE_EEESV_SW_SX_S14_S18_S1A_T6_T7_T9_mT8_S1C_bDpT10_ENKUlT_T0_E_clISt17integral_constantIbLb0EES1P_EEDaS1K_S1L_EUlS1K_E_NS1_11comp_targetILNS1_3genE3ELNS1_11target_archE908ELNS1_3gpuE7ELNS1_3repE0EEENS1_30default_config_static_selectorELNS0_4arch9wavefront6targetE1EEEvSY_,comdat
.Lfunc_end261:
	.size	_ZN7rocprim17ROCPRIM_400000_NS6detail17trampoline_kernelINS0_13select_configILj256ELj13ELNS0_17block_load_methodE3ELS4_3ELS4_3ELNS0_20block_scan_algorithmE0ELj4294967295EEENS1_25partition_config_selectorILNS1_17partition_subalgoE3EjNS0_10empty_typeEbEEZZNS1_14partition_implILS8_3ELb0ES6_jNS0_17counting_iteratorIjlEEPS9_SE_NS0_5tupleIJPjSE_EEENSF_IJSE_SE_EEES9_SG_JZNS1_25segmented_radix_sort_implINS0_14default_configELb1EPKaPaPKlPlN2at6native12_GLOBAL__N_18offset_tEEE10hipError_tPvRmT1_PNSt15iterator_traitsISY_E10value_typeET2_T3_PNSZ_IS14_E10value_typeET4_jRbjT5_S1A_jjP12ihipStream_tbEUljE_EEESV_SW_SX_S14_S18_S1A_T6_T7_T9_mT8_S1C_bDpT10_ENKUlT_T0_E_clISt17integral_constantIbLb0EES1P_EEDaS1K_S1L_EUlS1K_E_NS1_11comp_targetILNS1_3genE3ELNS1_11target_archE908ELNS1_3gpuE7ELNS1_3repE0EEENS1_30default_config_static_selectorELNS0_4arch9wavefront6targetE1EEEvSY_, .Lfunc_end261-_ZN7rocprim17ROCPRIM_400000_NS6detail17trampoline_kernelINS0_13select_configILj256ELj13ELNS0_17block_load_methodE3ELS4_3ELS4_3ELNS0_20block_scan_algorithmE0ELj4294967295EEENS1_25partition_config_selectorILNS1_17partition_subalgoE3EjNS0_10empty_typeEbEEZZNS1_14partition_implILS8_3ELb0ES6_jNS0_17counting_iteratorIjlEEPS9_SE_NS0_5tupleIJPjSE_EEENSF_IJSE_SE_EEES9_SG_JZNS1_25segmented_radix_sort_implINS0_14default_configELb1EPKaPaPKlPlN2at6native12_GLOBAL__N_18offset_tEEE10hipError_tPvRmT1_PNSt15iterator_traitsISY_E10value_typeET2_T3_PNSZ_IS14_E10value_typeET4_jRbjT5_S1A_jjP12ihipStream_tbEUljE_EEESV_SW_SX_S14_S18_S1A_T6_T7_T9_mT8_S1C_bDpT10_ENKUlT_T0_E_clISt17integral_constantIbLb0EES1P_EEDaS1K_S1L_EUlS1K_E_NS1_11comp_targetILNS1_3genE3ELNS1_11target_archE908ELNS1_3gpuE7ELNS1_3repE0EEENS1_30default_config_static_selectorELNS0_4arch9wavefront6targetE1EEEvSY_
                                        ; -- End function
	.section	.AMDGPU.csdata,"",@progbits
; Kernel info:
; codeLenInByte = 0
; NumSgprs: 4
; NumVgprs: 0
; NumAgprs: 0
; TotalNumVgprs: 0
; ScratchSize: 0
; MemoryBound: 0
; FloatMode: 240
; IeeeMode: 1
; LDSByteSize: 0 bytes/workgroup (compile time only)
; SGPRBlocks: 0
; VGPRBlocks: 0
; NumSGPRsForWavesPerEU: 4
; NumVGPRsForWavesPerEU: 1
; AccumOffset: 4
; Occupancy: 8
; WaveLimiterHint : 0
; COMPUTE_PGM_RSRC2:SCRATCH_EN: 0
; COMPUTE_PGM_RSRC2:USER_SGPR: 6
; COMPUTE_PGM_RSRC2:TRAP_HANDLER: 0
; COMPUTE_PGM_RSRC2:TGID_X_EN: 1
; COMPUTE_PGM_RSRC2:TGID_Y_EN: 0
; COMPUTE_PGM_RSRC2:TGID_Z_EN: 0
; COMPUTE_PGM_RSRC2:TIDIG_COMP_CNT: 0
; COMPUTE_PGM_RSRC3_GFX90A:ACCUM_OFFSET: 0
; COMPUTE_PGM_RSRC3_GFX90A:TG_SPLIT: 0
	.section	.text._ZN7rocprim17ROCPRIM_400000_NS6detail17trampoline_kernelINS0_13select_configILj256ELj13ELNS0_17block_load_methodE3ELS4_3ELS4_3ELNS0_20block_scan_algorithmE0ELj4294967295EEENS1_25partition_config_selectorILNS1_17partition_subalgoE3EjNS0_10empty_typeEbEEZZNS1_14partition_implILS8_3ELb0ES6_jNS0_17counting_iteratorIjlEEPS9_SE_NS0_5tupleIJPjSE_EEENSF_IJSE_SE_EEES9_SG_JZNS1_25segmented_radix_sort_implINS0_14default_configELb1EPKaPaPKlPlN2at6native12_GLOBAL__N_18offset_tEEE10hipError_tPvRmT1_PNSt15iterator_traitsISY_E10value_typeET2_T3_PNSZ_IS14_E10value_typeET4_jRbjT5_S1A_jjP12ihipStream_tbEUljE_EEESV_SW_SX_S14_S18_S1A_T6_T7_T9_mT8_S1C_bDpT10_ENKUlT_T0_E_clISt17integral_constantIbLb0EES1P_EEDaS1K_S1L_EUlS1K_E_NS1_11comp_targetILNS1_3genE2ELNS1_11target_archE906ELNS1_3gpuE6ELNS1_3repE0EEENS1_30default_config_static_selectorELNS0_4arch9wavefront6targetE1EEEvSY_,"axG",@progbits,_ZN7rocprim17ROCPRIM_400000_NS6detail17trampoline_kernelINS0_13select_configILj256ELj13ELNS0_17block_load_methodE3ELS4_3ELS4_3ELNS0_20block_scan_algorithmE0ELj4294967295EEENS1_25partition_config_selectorILNS1_17partition_subalgoE3EjNS0_10empty_typeEbEEZZNS1_14partition_implILS8_3ELb0ES6_jNS0_17counting_iteratorIjlEEPS9_SE_NS0_5tupleIJPjSE_EEENSF_IJSE_SE_EEES9_SG_JZNS1_25segmented_radix_sort_implINS0_14default_configELb1EPKaPaPKlPlN2at6native12_GLOBAL__N_18offset_tEEE10hipError_tPvRmT1_PNSt15iterator_traitsISY_E10value_typeET2_T3_PNSZ_IS14_E10value_typeET4_jRbjT5_S1A_jjP12ihipStream_tbEUljE_EEESV_SW_SX_S14_S18_S1A_T6_T7_T9_mT8_S1C_bDpT10_ENKUlT_T0_E_clISt17integral_constantIbLb0EES1P_EEDaS1K_S1L_EUlS1K_E_NS1_11comp_targetILNS1_3genE2ELNS1_11target_archE906ELNS1_3gpuE6ELNS1_3repE0EEENS1_30default_config_static_selectorELNS0_4arch9wavefront6targetE1EEEvSY_,comdat
	.globl	_ZN7rocprim17ROCPRIM_400000_NS6detail17trampoline_kernelINS0_13select_configILj256ELj13ELNS0_17block_load_methodE3ELS4_3ELS4_3ELNS0_20block_scan_algorithmE0ELj4294967295EEENS1_25partition_config_selectorILNS1_17partition_subalgoE3EjNS0_10empty_typeEbEEZZNS1_14partition_implILS8_3ELb0ES6_jNS0_17counting_iteratorIjlEEPS9_SE_NS0_5tupleIJPjSE_EEENSF_IJSE_SE_EEES9_SG_JZNS1_25segmented_radix_sort_implINS0_14default_configELb1EPKaPaPKlPlN2at6native12_GLOBAL__N_18offset_tEEE10hipError_tPvRmT1_PNSt15iterator_traitsISY_E10value_typeET2_T3_PNSZ_IS14_E10value_typeET4_jRbjT5_S1A_jjP12ihipStream_tbEUljE_EEESV_SW_SX_S14_S18_S1A_T6_T7_T9_mT8_S1C_bDpT10_ENKUlT_T0_E_clISt17integral_constantIbLb0EES1P_EEDaS1K_S1L_EUlS1K_E_NS1_11comp_targetILNS1_3genE2ELNS1_11target_archE906ELNS1_3gpuE6ELNS1_3repE0EEENS1_30default_config_static_selectorELNS0_4arch9wavefront6targetE1EEEvSY_ ; -- Begin function _ZN7rocprim17ROCPRIM_400000_NS6detail17trampoline_kernelINS0_13select_configILj256ELj13ELNS0_17block_load_methodE3ELS4_3ELS4_3ELNS0_20block_scan_algorithmE0ELj4294967295EEENS1_25partition_config_selectorILNS1_17partition_subalgoE3EjNS0_10empty_typeEbEEZZNS1_14partition_implILS8_3ELb0ES6_jNS0_17counting_iteratorIjlEEPS9_SE_NS0_5tupleIJPjSE_EEENSF_IJSE_SE_EEES9_SG_JZNS1_25segmented_radix_sort_implINS0_14default_configELb1EPKaPaPKlPlN2at6native12_GLOBAL__N_18offset_tEEE10hipError_tPvRmT1_PNSt15iterator_traitsISY_E10value_typeET2_T3_PNSZ_IS14_E10value_typeET4_jRbjT5_S1A_jjP12ihipStream_tbEUljE_EEESV_SW_SX_S14_S18_S1A_T6_T7_T9_mT8_S1C_bDpT10_ENKUlT_T0_E_clISt17integral_constantIbLb0EES1P_EEDaS1K_S1L_EUlS1K_E_NS1_11comp_targetILNS1_3genE2ELNS1_11target_archE906ELNS1_3gpuE6ELNS1_3repE0EEENS1_30default_config_static_selectorELNS0_4arch9wavefront6targetE1EEEvSY_
	.p2align	8
	.type	_ZN7rocprim17ROCPRIM_400000_NS6detail17trampoline_kernelINS0_13select_configILj256ELj13ELNS0_17block_load_methodE3ELS4_3ELS4_3ELNS0_20block_scan_algorithmE0ELj4294967295EEENS1_25partition_config_selectorILNS1_17partition_subalgoE3EjNS0_10empty_typeEbEEZZNS1_14partition_implILS8_3ELb0ES6_jNS0_17counting_iteratorIjlEEPS9_SE_NS0_5tupleIJPjSE_EEENSF_IJSE_SE_EEES9_SG_JZNS1_25segmented_radix_sort_implINS0_14default_configELb1EPKaPaPKlPlN2at6native12_GLOBAL__N_18offset_tEEE10hipError_tPvRmT1_PNSt15iterator_traitsISY_E10value_typeET2_T3_PNSZ_IS14_E10value_typeET4_jRbjT5_S1A_jjP12ihipStream_tbEUljE_EEESV_SW_SX_S14_S18_S1A_T6_T7_T9_mT8_S1C_bDpT10_ENKUlT_T0_E_clISt17integral_constantIbLb0EES1P_EEDaS1K_S1L_EUlS1K_E_NS1_11comp_targetILNS1_3genE2ELNS1_11target_archE906ELNS1_3gpuE6ELNS1_3repE0EEENS1_30default_config_static_selectorELNS0_4arch9wavefront6targetE1EEEvSY_,@function
_ZN7rocprim17ROCPRIM_400000_NS6detail17trampoline_kernelINS0_13select_configILj256ELj13ELNS0_17block_load_methodE3ELS4_3ELS4_3ELNS0_20block_scan_algorithmE0ELj4294967295EEENS1_25partition_config_selectorILNS1_17partition_subalgoE3EjNS0_10empty_typeEbEEZZNS1_14partition_implILS8_3ELb0ES6_jNS0_17counting_iteratorIjlEEPS9_SE_NS0_5tupleIJPjSE_EEENSF_IJSE_SE_EEES9_SG_JZNS1_25segmented_radix_sort_implINS0_14default_configELb1EPKaPaPKlPlN2at6native12_GLOBAL__N_18offset_tEEE10hipError_tPvRmT1_PNSt15iterator_traitsISY_E10value_typeET2_T3_PNSZ_IS14_E10value_typeET4_jRbjT5_S1A_jjP12ihipStream_tbEUljE_EEESV_SW_SX_S14_S18_S1A_T6_T7_T9_mT8_S1C_bDpT10_ENKUlT_T0_E_clISt17integral_constantIbLb0EES1P_EEDaS1K_S1L_EUlS1K_E_NS1_11comp_targetILNS1_3genE2ELNS1_11target_archE906ELNS1_3gpuE6ELNS1_3repE0EEENS1_30default_config_static_selectorELNS0_4arch9wavefront6targetE1EEEvSY_: ; @_ZN7rocprim17ROCPRIM_400000_NS6detail17trampoline_kernelINS0_13select_configILj256ELj13ELNS0_17block_load_methodE3ELS4_3ELS4_3ELNS0_20block_scan_algorithmE0ELj4294967295EEENS1_25partition_config_selectorILNS1_17partition_subalgoE3EjNS0_10empty_typeEbEEZZNS1_14partition_implILS8_3ELb0ES6_jNS0_17counting_iteratorIjlEEPS9_SE_NS0_5tupleIJPjSE_EEENSF_IJSE_SE_EEES9_SG_JZNS1_25segmented_radix_sort_implINS0_14default_configELb1EPKaPaPKlPlN2at6native12_GLOBAL__N_18offset_tEEE10hipError_tPvRmT1_PNSt15iterator_traitsISY_E10value_typeET2_T3_PNSZ_IS14_E10value_typeET4_jRbjT5_S1A_jjP12ihipStream_tbEUljE_EEESV_SW_SX_S14_S18_S1A_T6_T7_T9_mT8_S1C_bDpT10_ENKUlT_T0_E_clISt17integral_constantIbLb0EES1P_EEDaS1K_S1L_EUlS1K_E_NS1_11comp_targetILNS1_3genE2ELNS1_11target_archE906ELNS1_3gpuE6ELNS1_3repE0EEENS1_30default_config_static_selectorELNS0_4arch9wavefront6targetE1EEEvSY_
; %bb.0:
	.section	.rodata,"a",@progbits
	.p2align	6, 0x0
	.amdhsa_kernel _ZN7rocprim17ROCPRIM_400000_NS6detail17trampoline_kernelINS0_13select_configILj256ELj13ELNS0_17block_load_methodE3ELS4_3ELS4_3ELNS0_20block_scan_algorithmE0ELj4294967295EEENS1_25partition_config_selectorILNS1_17partition_subalgoE3EjNS0_10empty_typeEbEEZZNS1_14partition_implILS8_3ELb0ES6_jNS0_17counting_iteratorIjlEEPS9_SE_NS0_5tupleIJPjSE_EEENSF_IJSE_SE_EEES9_SG_JZNS1_25segmented_radix_sort_implINS0_14default_configELb1EPKaPaPKlPlN2at6native12_GLOBAL__N_18offset_tEEE10hipError_tPvRmT1_PNSt15iterator_traitsISY_E10value_typeET2_T3_PNSZ_IS14_E10value_typeET4_jRbjT5_S1A_jjP12ihipStream_tbEUljE_EEESV_SW_SX_S14_S18_S1A_T6_T7_T9_mT8_S1C_bDpT10_ENKUlT_T0_E_clISt17integral_constantIbLb0EES1P_EEDaS1K_S1L_EUlS1K_E_NS1_11comp_targetILNS1_3genE2ELNS1_11target_archE906ELNS1_3gpuE6ELNS1_3repE0EEENS1_30default_config_static_selectorELNS0_4arch9wavefront6targetE1EEEvSY_
		.amdhsa_group_segment_fixed_size 0
		.amdhsa_private_segment_fixed_size 0
		.amdhsa_kernarg_size 144
		.amdhsa_user_sgpr_count 6
		.amdhsa_user_sgpr_private_segment_buffer 1
		.amdhsa_user_sgpr_dispatch_ptr 0
		.amdhsa_user_sgpr_queue_ptr 0
		.amdhsa_user_sgpr_kernarg_segment_ptr 1
		.amdhsa_user_sgpr_dispatch_id 0
		.amdhsa_user_sgpr_flat_scratch_init 0
		.amdhsa_user_sgpr_kernarg_preload_length 0
		.amdhsa_user_sgpr_kernarg_preload_offset 0
		.amdhsa_user_sgpr_private_segment_size 0
		.amdhsa_uses_dynamic_stack 0
		.amdhsa_system_sgpr_private_segment_wavefront_offset 0
		.amdhsa_system_sgpr_workgroup_id_x 1
		.amdhsa_system_sgpr_workgroup_id_y 0
		.amdhsa_system_sgpr_workgroup_id_z 0
		.amdhsa_system_sgpr_workgroup_info 0
		.amdhsa_system_vgpr_workitem_id 0
		.amdhsa_next_free_vgpr 1
		.amdhsa_next_free_sgpr 0
		.amdhsa_accum_offset 4
		.amdhsa_reserve_vcc 0
		.amdhsa_reserve_flat_scratch 0
		.amdhsa_float_round_mode_32 0
		.amdhsa_float_round_mode_16_64 0
		.amdhsa_float_denorm_mode_32 3
		.amdhsa_float_denorm_mode_16_64 3
		.amdhsa_dx10_clamp 1
		.amdhsa_ieee_mode 1
		.amdhsa_fp16_overflow 0
		.amdhsa_tg_split 0
		.amdhsa_exception_fp_ieee_invalid_op 0
		.amdhsa_exception_fp_denorm_src 0
		.amdhsa_exception_fp_ieee_div_zero 0
		.amdhsa_exception_fp_ieee_overflow 0
		.amdhsa_exception_fp_ieee_underflow 0
		.amdhsa_exception_fp_ieee_inexact 0
		.amdhsa_exception_int_div_zero 0
	.end_amdhsa_kernel
	.section	.text._ZN7rocprim17ROCPRIM_400000_NS6detail17trampoline_kernelINS0_13select_configILj256ELj13ELNS0_17block_load_methodE3ELS4_3ELS4_3ELNS0_20block_scan_algorithmE0ELj4294967295EEENS1_25partition_config_selectorILNS1_17partition_subalgoE3EjNS0_10empty_typeEbEEZZNS1_14partition_implILS8_3ELb0ES6_jNS0_17counting_iteratorIjlEEPS9_SE_NS0_5tupleIJPjSE_EEENSF_IJSE_SE_EEES9_SG_JZNS1_25segmented_radix_sort_implINS0_14default_configELb1EPKaPaPKlPlN2at6native12_GLOBAL__N_18offset_tEEE10hipError_tPvRmT1_PNSt15iterator_traitsISY_E10value_typeET2_T3_PNSZ_IS14_E10value_typeET4_jRbjT5_S1A_jjP12ihipStream_tbEUljE_EEESV_SW_SX_S14_S18_S1A_T6_T7_T9_mT8_S1C_bDpT10_ENKUlT_T0_E_clISt17integral_constantIbLb0EES1P_EEDaS1K_S1L_EUlS1K_E_NS1_11comp_targetILNS1_3genE2ELNS1_11target_archE906ELNS1_3gpuE6ELNS1_3repE0EEENS1_30default_config_static_selectorELNS0_4arch9wavefront6targetE1EEEvSY_,"axG",@progbits,_ZN7rocprim17ROCPRIM_400000_NS6detail17trampoline_kernelINS0_13select_configILj256ELj13ELNS0_17block_load_methodE3ELS4_3ELS4_3ELNS0_20block_scan_algorithmE0ELj4294967295EEENS1_25partition_config_selectorILNS1_17partition_subalgoE3EjNS0_10empty_typeEbEEZZNS1_14partition_implILS8_3ELb0ES6_jNS0_17counting_iteratorIjlEEPS9_SE_NS0_5tupleIJPjSE_EEENSF_IJSE_SE_EEES9_SG_JZNS1_25segmented_radix_sort_implINS0_14default_configELb1EPKaPaPKlPlN2at6native12_GLOBAL__N_18offset_tEEE10hipError_tPvRmT1_PNSt15iterator_traitsISY_E10value_typeET2_T3_PNSZ_IS14_E10value_typeET4_jRbjT5_S1A_jjP12ihipStream_tbEUljE_EEESV_SW_SX_S14_S18_S1A_T6_T7_T9_mT8_S1C_bDpT10_ENKUlT_T0_E_clISt17integral_constantIbLb0EES1P_EEDaS1K_S1L_EUlS1K_E_NS1_11comp_targetILNS1_3genE2ELNS1_11target_archE906ELNS1_3gpuE6ELNS1_3repE0EEENS1_30default_config_static_selectorELNS0_4arch9wavefront6targetE1EEEvSY_,comdat
.Lfunc_end262:
	.size	_ZN7rocprim17ROCPRIM_400000_NS6detail17trampoline_kernelINS0_13select_configILj256ELj13ELNS0_17block_load_methodE3ELS4_3ELS4_3ELNS0_20block_scan_algorithmE0ELj4294967295EEENS1_25partition_config_selectorILNS1_17partition_subalgoE3EjNS0_10empty_typeEbEEZZNS1_14partition_implILS8_3ELb0ES6_jNS0_17counting_iteratorIjlEEPS9_SE_NS0_5tupleIJPjSE_EEENSF_IJSE_SE_EEES9_SG_JZNS1_25segmented_radix_sort_implINS0_14default_configELb1EPKaPaPKlPlN2at6native12_GLOBAL__N_18offset_tEEE10hipError_tPvRmT1_PNSt15iterator_traitsISY_E10value_typeET2_T3_PNSZ_IS14_E10value_typeET4_jRbjT5_S1A_jjP12ihipStream_tbEUljE_EEESV_SW_SX_S14_S18_S1A_T6_T7_T9_mT8_S1C_bDpT10_ENKUlT_T0_E_clISt17integral_constantIbLb0EES1P_EEDaS1K_S1L_EUlS1K_E_NS1_11comp_targetILNS1_3genE2ELNS1_11target_archE906ELNS1_3gpuE6ELNS1_3repE0EEENS1_30default_config_static_selectorELNS0_4arch9wavefront6targetE1EEEvSY_, .Lfunc_end262-_ZN7rocprim17ROCPRIM_400000_NS6detail17trampoline_kernelINS0_13select_configILj256ELj13ELNS0_17block_load_methodE3ELS4_3ELS4_3ELNS0_20block_scan_algorithmE0ELj4294967295EEENS1_25partition_config_selectorILNS1_17partition_subalgoE3EjNS0_10empty_typeEbEEZZNS1_14partition_implILS8_3ELb0ES6_jNS0_17counting_iteratorIjlEEPS9_SE_NS0_5tupleIJPjSE_EEENSF_IJSE_SE_EEES9_SG_JZNS1_25segmented_radix_sort_implINS0_14default_configELb1EPKaPaPKlPlN2at6native12_GLOBAL__N_18offset_tEEE10hipError_tPvRmT1_PNSt15iterator_traitsISY_E10value_typeET2_T3_PNSZ_IS14_E10value_typeET4_jRbjT5_S1A_jjP12ihipStream_tbEUljE_EEESV_SW_SX_S14_S18_S1A_T6_T7_T9_mT8_S1C_bDpT10_ENKUlT_T0_E_clISt17integral_constantIbLb0EES1P_EEDaS1K_S1L_EUlS1K_E_NS1_11comp_targetILNS1_3genE2ELNS1_11target_archE906ELNS1_3gpuE6ELNS1_3repE0EEENS1_30default_config_static_selectorELNS0_4arch9wavefront6targetE1EEEvSY_
                                        ; -- End function
	.section	.AMDGPU.csdata,"",@progbits
; Kernel info:
; codeLenInByte = 0
; NumSgprs: 4
; NumVgprs: 0
; NumAgprs: 0
; TotalNumVgprs: 0
; ScratchSize: 0
; MemoryBound: 0
; FloatMode: 240
; IeeeMode: 1
; LDSByteSize: 0 bytes/workgroup (compile time only)
; SGPRBlocks: 0
; VGPRBlocks: 0
; NumSGPRsForWavesPerEU: 4
; NumVGPRsForWavesPerEU: 1
; AccumOffset: 4
; Occupancy: 8
; WaveLimiterHint : 0
; COMPUTE_PGM_RSRC2:SCRATCH_EN: 0
; COMPUTE_PGM_RSRC2:USER_SGPR: 6
; COMPUTE_PGM_RSRC2:TRAP_HANDLER: 0
; COMPUTE_PGM_RSRC2:TGID_X_EN: 1
; COMPUTE_PGM_RSRC2:TGID_Y_EN: 0
; COMPUTE_PGM_RSRC2:TGID_Z_EN: 0
; COMPUTE_PGM_RSRC2:TIDIG_COMP_CNT: 0
; COMPUTE_PGM_RSRC3_GFX90A:ACCUM_OFFSET: 0
; COMPUTE_PGM_RSRC3_GFX90A:TG_SPLIT: 0
	.section	.text._ZN7rocprim17ROCPRIM_400000_NS6detail17trampoline_kernelINS0_13select_configILj256ELj13ELNS0_17block_load_methodE3ELS4_3ELS4_3ELNS0_20block_scan_algorithmE0ELj4294967295EEENS1_25partition_config_selectorILNS1_17partition_subalgoE3EjNS0_10empty_typeEbEEZZNS1_14partition_implILS8_3ELb0ES6_jNS0_17counting_iteratorIjlEEPS9_SE_NS0_5tupleIJPjSE_EEENSF_IJSE_SE_EEES9_SG_JZNS1_25segmented_radix_sort_implINS0_14default_configELb1EPKaPaPKlPlN2at6native12_GLOBAL__N_18offset_tEEE10hipError_tPvRmT1_PNSt15iterator_traitsISY_E10value_typeET2_T3_PNSZ_IS14_E10value_typeET4_jRbjT5_S1A_jjP12ihipStream_tbEUljE_EEESV_SW_SX_S14_S18_S1A_T6_T7_T9_mT8_S1C_bDpT10_ENKUlT_T0_E_clISt17integral_constantIbLb0EES1P_EEDaS1K_S1L_EUlS1K_E_NS1_11comp_targetILNS1_3genE10ELNS1_11target_archE1200ELNS1_3gpuE4ELNS1_3repE0EEENS1_30default_config_static_selectorELNS0_4arch9wavefront6targetE1EEEvSY_,"axG",@progbits,_ZN7rocprim17ROCPRIM_400000_NS6detail17trampoline_kernelINS0_13select_configILj256ELj13ELNS0_17block_load_methodE3ELS4_3ELS4_3ELNS0_20block_scan_algorithmE0ELj4294967295EEENS1_25partition_config_selectorILNS1_17partition_subalgoE3EjNS0_10empty_typeEbEEZZNS1_14partition_implILS8_3ELb0ES6_jNS0_17counting_iteratorIjlEEPS9_SE_NS0_5tupleIJPjSE_EEENSF_IJSE_SE_EEES9_SG_JZNS1_25segmented_radix_sort_implINS0_14default_configELb1EPKaPaPKlPlN2at6native12_GLOBAL__N_18offset_tEEE10hipError_tPvRmT1_PNSt15iterator_traitsISY_E10value_typeET2_T3_PNSZ_IS14_E10value_typeET4_jRbjT5_S1A_jjP12ihipStream_tbEUljE_EEESV_SW_SX_S14_S18_S1A_T6_T7_T9_mT8_S1C_bDpT10_ENKUlT_T0_E_clISt17integral_constantIbLb0EES1P_EEDaS1K_S1L_EUlS1K_E_NS1_11comp_targetILNS1_3genE10ELNS1_11target_archE1200ELNS1_3gpuE4ELNS1_3repE0EEENS1_30default_config_static_selectorELNS0_4arch9wavefront6targetE1EEEvSY_,comdat
	.globl	_ZN7rocprim17ROCPRIM_400000_NS6detail17trampoline_kernelINS0_13select_configILj256ELj13ELNS0_17block_load_methodE3ELS4_3ELS4_3ELNS0_20block_scan_algorithmE0ELj4294967295EEENS1_25partition_config_selectorILNS1_17partition_subalgoE3EjNS0_10empty_typeEbEEZZNS1_14partition_implILS8_3ELb0ES6_jNS0_17counting_iteratorIjlEEPS9_SE_NS0_5tupleIJPjSE_EEENSF_IJSE_SE_EEES9_SG_JZNS1_25segmented_radix_sort_implINS0_14default_configELb1EPKaPaPKlPlN2at6native12_GLOBAL__N_18offset_tEEE10hipError_tPvRmT1_PNSt15iterator_traitsISY_E10value_typeET2_T3_PNSZ_IS14_E10value_typeET4_jRbjT5_S1A_jjP12ihipStream_tbEUljE_EEESV_SW_SX_S14_S18_S1A_T6_T7_T9_mT8_S1C_bDpT10_ENKUlT_T0_E_clISt17integral_constantIbLb0EES1P_EEDaS1K_S1L_EUlS1K_E_NS1_11comp_targetILNS1_3genE10ELNS1_11target_archE1200ELNS1_3gpuE4ELNS1_3repE0EEENS1_30default_config_static_selectorELNS0_4arch9wavefront6targetE1EEEvSY_ ; -- Begin function _ZN7rocprim17ROCPRIM_400000_NS6detail17trampoline_kernelINS0_13select_configILj256ELj13ELNS0_17block_load_methodE3ELS4_3ELS4_3ELNS0_20block_scan_algorithmE0ELj4294967295EEENS1_25partition_config_selectorILNS1_17partition_subalgoE3EjNS0_10empty_typeEbEEZZNS1_14partition_implILS8_3ELb0ES6_jNS0_17counting_iteratorIjlEEPS9_SE_NS0_5tupleIJPjSE_EEENSF_IJSE_SE_EEES9_SG_JZNS1_25segmented_radix_sort_implINS0_14default_configELb1EPKaPaPKlPlN2at6native12_GLOBAL__N_18offset_tEEE10hipError_tPvRmT1_PNSt15iterator_traitsISY_E10value_typeET2_T3_PNSZ_IS14_E10value_typeET4_jRbjT5_S1A_jjP12ihipStream_tbEUljE_EEESV_SW_SX_S14_S18_S1A_T6_T7_T9_mT8_S1C_bDpT10_ENKUlT_T0_E_clISt17integral_constantIbLb0EES1P_EEDaS1K_S1L_EUlS1K_E_NS1_11comp_targetILNS1_3genE10ELNS1_11target_archE1200ELNS1_3gpuE4ELNS1_3repE0EEENS1_30default_config_static_selectorELNS0_4arch9wavefront6targetE1EEEvSY_
	.p2align	8
	.type	_ZN7rocprim17ROCPRIM_400000_NS6detail17trampoline_kernelINS0_13select_configILj256ELj13ELNS0_17block_load_methodE3ELS4_3ELS4_3ELNS0_20block_scan_algorithmE0ELj4294967295EEENS1_25partition_config_selectorILNS1_17partition_subalgoE3EjNS0_10empty_typeEbEEZZNS1_14partition_implILS8_3ELb0ES6_jNS0_17counting_iteratorIjlEEPS9_SE_NS0_5tupleIJPjSE_EEENSF_IJSE_SE_EEES9_SG_JZNS1_25segmented_radix_sort_implINS0_14default_configELb1EPKaPaPKlPlN2at6native12_GLOBAL__N_18offset_tEEE10hipError_tPvRmT1_PNSt15iterator_traitsISY_E10value_typeET2_T3_PNSZ_IS14_E10value_typeET4_jRbjT5_S1A_jjP12ihipStream_tbEUljE_EEESV_SW_SX_S14_S18_S1A_T6_T7_T9_mT8_S1C_bDpT10_ENKUlT_T0_E_clISt17integral_constantIbLb0EES1P_EEDaS1K_S1L_EUlS1K_E_NS1_11comp_targetILNS1_3genE10ELNS1_11target_archE1200ELNS1_3gpuE4ELNS1_3repE0EEENS1_30default_config_static_selectorELNS0_4arch9wavefront6targetE1EEEvSY_,@function
_ZN7rocprim17ROCPRIM_400000_NS6detail17trampoline_kernelINS0_13select_configILj256ELj13ELNS0_17block_load_methodE3ELS4_3ELS4_3ELNS0_20block_scan_algorithmE0ELj4294967295EEENS1_25partition_config_selectorILNS1_17partition_subalgoE3EjNS0_10empty_typeEbEEZZNS1_14partition_implILS8_3ELb0ES6_jNS0_17counting_iteratorIjlEEPS9_SE_NS0_5tupleIJPjSE_EEENSF_IJSE_SE_EEES9_SG_JZNS1_25segmented_radix_sort_implINS0_14default_configELb1EPKaPaPKlPlN2at6native12_GLOBAL__N_18offset_tEEE10hipError_tPvRmT1_PNSt15iterator_traitsISY_E10value_typeET2_T3_PNSZ_IS14_E10value_typeET4_jRbjT5_S1A_jjP12ihipStream_tbEUljE_EEESV_SW_SX_S14_S18_S1A_T6_T7_T9_mT8_S1C_bDpT10_ENKUlT_T0_E_clISt17integral_constantIbLb0EES1P_EEDaS1K_S1L_EUlS1K_E_NS1_11comp_targetILNS1_3genE10ELNS1_11target_archE1200ELNS1_3gpuE4ELNS1_3repE0EEENS1_30default_config_static_selectorELNS0_4arch9wavefront6targetE1EEEvSY_: ; @_ZN7rocprim17ROCPRIM_400000_NS6detail17trampoline_kernelINS0_13select_configILj256ELj13ELNS0_17block_load_methodE3ELS4_3ELS4_3ELNS0_20block_scan_algorithmE0ELj4294967295EEENS1_25partition_config_selectorILNS1_17partition_subalgoE3EjNS0_10empty_typeEbEEZZNS1_14partition_implILS8_3ELb0ES6_jNS0_17counting_iteratorIjlEEPS9_SE_NS0_5tupleIJPjSE_EEENSF_IJSE_SE_EEES9_SG_JZNS1_25segmented_radix_sort_implINS0_14default_configELb1EPKaPaPKlPlN2at6native12_GLOBAL__N_18offset_tEEE10hipError_tPvRmT1_PNSt15iterator_traitsISY_E10value_typeET2_T3_PNSZ_IS14_E10value_typeET4_jRbjT5_S1A_jjP12ihipStream_tbEUljE_EEESV_SW_SX_S14_S18_S1A_T6_T7_T9_mT8_S1C_bDpT10_ENKUlT_T0_E_clISt17integral_constantIbLb0EES1P_EEDaS1K_S1L_EUlS1K_E_NS1_11comp_targetILNS1_3genE10ELNS1_11target_archE1200ELNS1_3gpuE4ELNS1_3repE0EEENS1_30default_config_static_selectorELNS0_4arch9wavefront6targetE1EEEvSY_
; %bb.0:
	.section	.rodata,"a",@progbits
	.p2align	6, 0x0
	.amdhsa_kernel _ZN7rocprim17ROCPRIM_400000_NS6detail17trampoline_kernelINS0_13select_configILj256ELj13ELNS0_17block_load_methodE3ELS4_3ELS4_3ELNS0_20block_scan_algorithmE0ELj4294967295EEENS1_25partition_config_selectorILNS1_17partition_subalgoE3EjNS0_10empty_typeEbEEZZNS1_14partition_implILS8_3ELb0ES6_jNS0_17counting_iteratorIjlEEPS9_SE_NS0_5tupleIJPjSE_EEENSF_IJSE_SE_EEES9_SG_JZNS1_25segmented_radix_sort_implINS0_14default_configELb1EPKaPaPKlPlN2at6native12_GLOBAL__N_18offset_tEEE10hipError_tPvRmT1_PNSt15iterator_traitsISY_E10value_typeET2_T3_PNSZ_IS14_E10value_typeET4_jRbjT5_S1A_jjP12ihipStream_tbEUljE_EEESV_SW_SX_S14_S18_S1A_T6_T7_T9_mT8_S1C_bDpT10_ENKUlT_T0_E_clISt17integral_constantIbLb0EES1P_EEDaS1K_S1L_EUlS1K_E_NS1_11comp_targetILNS1_3genE10ELNS1_11target_archE1200ELNS1_3gpuE4ELNS1_3repE0EEENS1_30default_config_static_selectorELNS0_4arch9wavefront6targetE1EEEvSY_
		.amdhsa_group_segment_fixed_size 0
		.amdhsa_private_segment_fixed_size 0
		.amdhsa_kernarg_size 144
		.amdhsa_user_sgpr_count 6
		.amdhsa_user_sgpr_private_segment_buffer 1
		.amdhsa_user_sgpr_dispatch_ptr 0
		.amdhsa_user_sgpr_queue_ptr 0
		.amdhsa_user_sgpr_kernarg_segment_ptr 1
		.amdhsa_user_sgpr_dispatch_id 0
		.amdhsa_user_sgpr_flat_scratch_init 0
		.amdhsa_user_sgpr_kernarg_preload_length 0
		.amdhsa_user_sgpr_kernarg_preload_offset 0
		.amdhsa_user_sgpr_private_segment_size 0
		.amdhsa_uses_dynamic_stack 0
		.amdhsa_system_sgpr_private_segment_wavefront_offset 0
		.amdhsa_system_sgpr_workgroup_id_x 1
		.amdhsa_system_sgpr_workgroup_id_y 0
		.amdhsa_system_sgpr_workgroup_id_z 0
		.amdhsa_system_sgpr_workgroup_info 0
		.amdhsa_system_vgpr_workitem_id 0
		.amdhsa_next_free_vgpr 1
		.amdhsa_next_free_sgpr 0
		.amdhsa_accum_offset 4
		.amdhsa_reserve_vcc 0
		.amdhsa_reserve_flat_scratch 0
		.amdhsa_float_round_mode_32 0
		.amdhsa_float_round_mode_16_64 0
		.amdhsa_float_denorm_mode_32 3
		.amdhsa_float_denorm_mode_16_64 3
		.amdhsa_dx10_clamp 1
		.amdhsa_ieee_mode 1
		.amdhsa_fp16_overflow 0
		.amdhsa_tg_split 0
		.amdhsa_exception_fp_ieee_invalid_op 0
		.amdhsa_exception_fp_denorm_src 0
		.amdhsa_exception_fp_ieee_div_zero 0
		.amdhsa_exception_fp_ieee_overflow 0
		.amdhsa_exception_fp_ieee_underflow 0
		.amdhsa_exception_fp_ieee_inexact 0
		.amdhsa_exception_int_div_zero 0
	.end_amdhsa_kernel
	.section	.text._ZN7rocprim17ROCPRIM_400000_NS6detail17trampoline_kernelINS0_13select_configILj256ELj13ELNS0_17block_load_methodE3ELS4_3ELS4_3ELNS0_20block_scan_algorithmE0ELj4294967295EEENS1_25partition_config_selectorILNS1_17partition_subalgoE3EjNS0_10empty_typeEbEEZZNS1_14partition_implILS8_3ELb0ES6_jNS0_17counting_iteratorIjlEEPS9_SE_NS0_5tupleIJPjSE_EEENSF_IJSE_SE_EEES9_SG_JZNS1_25segmented_radix_sort_implINS0_14default_configELb1EPKaPaPKlPlN2at6native12_GLOBAL__N_18offset_tEEE10hipError_tPvRmT1_PNSt15iterator_traitsISY_E10value_typeET2_T3_PNSZ_IS14_E10value_typeET4_jRbjT5_S1A_jjP12ihipStream_tbEUljE_EEESV_SW_SX_S14_S18_S1A_T6_T7_T9_mT8_S1C_bDpT10_ENKUlT_T0_E_clISt17integral_constantIbLb0EES1P_EEDaS1K_S1L_EUlS1K_E_NS1_11comp_targetILNS1_3genE10ELNS1_11target_archE1200ELNS1_3gpuE4ELNS1_3repE0EEENS1_30default_config_static_selectorELNS0_4arch9wavefront6targetE1EEEvSY_,"axG",@progbits,_ZN7rocprim17ROCPRIM_400000_NS6detail17trampoline_kernelINS0_13select_configILj256ELj13ELNS0_17block_load_methodE3ELS4_3ELS4_3ELNS0_20block_scan_algorithmE0ELj4294967295EEENS1_25partition_config_selectorILNS1_17partition_subalgoE3EjNS0_10empty_typeEbEEZZNS1_14partition_implILS8_3ELb0ES6_jNS0_17counting_iteratorIjlEEPS9_SE_NS0_5tupleIJPjSE_EEENSF_IJSE_SE_EEES9_SG_JZNS1_25segmented_radix_sort_implINS0_14default_configELb1EPKaPaPKlPlN2at6native12_GLOBAL__N_18offset_tEEE10hipError_tPvRmT1_PNSt15iterator_traitsISY_E10value_typeET2_T3_PNSZ_IS14_E10value_typeET4_jRbjT5_S1A_jjP12ihipStream_tbEUljE_EEESV_SW_SX_S14_S18_S1A_T6_T7_T9_mT8_S1C_bDpT10_ENKUlT_T0_E_clISt17integral_constantIbLb0EES1P_EEDaS1K_S1L_EUlS1K_E_NS1_11comp_targetILNS1_3genE10ELNS1_11target_archE1200ELNS1_3gpuE4ELNS1_3repE0EEENS1_30default_config_static_selectorELNS0_4arch9wavefront6targetE1EEEvSY_,comdat
.Lfunc_end263:
	.size	_ZN7rocprim17ROCPRIM_400000_NS6detail17trampoline_kernelINS0_13select_configILj256ELj13ELNS0_17block_load_methodE3ELS4_3ELS4_3ELNS0_20block_scan_algorithmE0ELj4294967295EEENS1_25partition_config_selectorILNS1_17partition_subalgoE3EjNS0_10empty_typeEbEEZZNS1_14partition_implILS8_3ELb0ES6_jNS0_17counting_iteratorIjlEEPS9_SE_NS0_5tupleIJPjSE_EEENSF_IJSE_SE_EEES9_SG_JZNS1_25segmented_radix_sort_implINS0_14default_configELb1EPKaPaPKlPlN2at6native12_GLOBAL__N_18offset_tEEE10hipError_tPvRmT1_PNSt15iterator_traitsISY_E10value_typeET2_T3_PNSZ_IS14_E10value_typeET4_jRbjT5_S1A_jjP12ihipStream_tbEUljE_EEESV_SW_SX_S14_S18_S1A_T6_T7_T9_mT8_S1C_bDpT10_ENKUlT_T0_E_clISt17integral_constantIbLb0EES1P_EEDaS1K_S1L_EUlS1K_E_NS1_11comp_targetILNS1_3genE10ELNS1_11target_archE1200ELNS1_3gpuE4ELNS1_3repE0EEENS1_30default_config_static_selectorELNS0_4arch9wavefront6targetE1EEEvSY_, .Lfunc_end263-_ZN7rocprim17ROCPRIM_400000_NS6detail17trampoline_kernelINS0_13select_configILj256ELj13ELNS0_17block_load_methodE3ELS4_3ELS4_3ELNS0_20block_scan_algorithmE0ELj4294967295EEENS1_25partition_config_selectorILNS1_17partition_subalgoE3EjNS0_10empty_typeEbEEZZNS1_14partition_implILS8_3ELb0ES6_jNS0_17counting_iteratorIjlEEPS9_SE_NS0_5tupleIJPjSE_EEENSF_IJSE_SE_EEES9_SG_JZNS1_25segmented_radix_sort_implINS0_14default_configELb1EPKaPaPKlPlN2at6native12_GLOBAL__N_18offset_tEEE10hipError_tPvRmT1_PNSt15iterator_traitsISY_E10value_typeET2_T3_PNSZ_IS14_E10value_typeET4_jRbjT5_S1A_jjP12ihipStream_tbEUljE_EEESV_SW_SX_S14_S18_S1A_T6_T7_T9_mT8_S1C_bDpT10_ENKUlT_T0_E_clISt17integral_constantIbLb0EES1P_EEDaS1K_S1L_EUlS1K_E_NS1_11comp_targetILNS1_3genE10ELNS1_11target_archE1200ELNS1_3gpuE4ELNS1_3repE0EEENS1_30default_config_static_selectorELNS0_4arch9wavefront6targetE1EEEvSY_
                                        ; -- End function
	.section	.AMDGPU.csdata,"",@progbits
; Kernel info:
; codeLenInByte = 0
; NumSgprs: 4
; NumVgprs: 0
; NumAgprs: 0
; TotalNumVgprs: 0
; ScratchSize: 0
; MemoryBound: 0
; FloatMode: 240
; IeeeMode: 1
; LDSByteSize: 0 bytes/workgroup (compile time only)
; SGPRBlocks: 0
; VGPRBlocks: 0
; NumSGPRsForWavesPerEU: 4
; NumVGPRsForWavesPerEU: 1
; AccumOffset: 4
; Occupancy: 8
; WaveLimiterHint : 0
; COMPUTE_PGM_RSRC2:SCRATCH_EN: 0
; COMPUTE_PGM_RSRC2:USER_SGPR: 6
; COMPUTE_PGM_RSRC2:TRAP_HANDLER: 0
; COMPUTE_PGM_RSRC2:TGID_X_EN: 1
; COMPUTE_PGM_RSRC2:TGID_Y_EN: 0
; COMPUTE_PGM_RSRC2:TGID_Z_EN: 0
; COMPUTE_PGM_RSRC2:TIDIG_COMP_CNT: 0
; COMPUTE_PGM_RSRC3_GFX90A:ACCUM_OFFSET: 0
; COMPUTE_PGM_RSRC3_GFX90A:TG_SPLIT: 0
	.section	.text._ZN7rocprim17ROCPRIM_400000_NS6detail17trampoline_kernelINS0_13select_configILj256ELj13ELNS0_17block_load_methodE3ELS4_3ELS4_3ELNS0_20block_scan_algorithmE0ELj4294967295EEENS1_25partition_config_selectorILNS1_17partition_subalgoE3EjNS0_10empty_typeEbEEZZNS1_14partition_implILS8_3ELb0ES6_jNS0_17counting_iteratorIjlEEPS9_SE_NS0_5tupleIJPjSE_EEENSF_IJSE_SE_EEES9_SG_JZNS1_25segmented_radix_sort_implINS0_14default_configELb1EPKaPaPKlPlN2at6native12_GLOBAL__N_18offset_tEEE10hipError_tPvRmT1_PNSt15iterator_traitsISY_E10value_typeET2_T3_PNSZ_IS14_E10value_typeET4_jRbjT5_S1A_jjP12ihipStream_tbEUljE_EEESV_SW_SX_S14_S18_S1A_T6_T7_T9_mT8_S1C_bDpT10_ENKUlT_T0_E_clISt17integral_constantIbLb0EES1P_EEDaS1K_S1L_EUlS1K_E_NS1_11comp_targetILNS1_3genE9ELNS1_11target_archE1100ELNS1_3gpuE3ELNS1_3repE0EEENS1_30default_config_static_selectorELNS0_4arch9wavefront6targetE1EEEvSY_,"axG",@progbits,_ZN7rocprim17ROCPRIM_400000_NS6detail17trampoline_kernelINS0_13select_configILj256ELj13ELNS0_17block_load_methodE3ELS4_3ELS4_3ELNS0_20block_scan_algorithmE0ELj4294967295EEENS1_25partition_config_selectorILNS1_17partition_subalgoE3EjNS0_10empty_typeEbEEZZNS1_14partition_implILS8_3ELb0ES6_jNS0_17counting_iteratorIjlEEPS9_SE_NS0_5tupleIJPjSE_EEENSF_IJSE_SE_EEES9_SG_JZNS1_25segmented_radix_sort_implINS0_14default_configELb1EPKaPaPKlPlN2at6native12_GLOBAL__N_18offset_tEEE10hipError_tPvRmT1_PNSt15iterator_traitsISY_E10value_typeET2_T3_PNSZ_IS14_E10value_typeET4_jRbjT5_S1A_jjP12ihipStream_tbEUljE_EEESV_SW_SX_S14_S18_S1A_T6_T7_T9_mT8_S1C_bDpT10_ENKUlT_T0_E_clISt17integral_constantIbLb0EES1P_EEDaS1K_S1L_EUlS1K_E_NS1_11comp_targetILNS1_3genE9ELNS1_11target_archE1100ELNS1_3gpuE3ELNS1_3repE0EEENS1_30default_config_static_selectorELNS0_4arch9wavefront6targetE1EEEvSY_,comdat
	.globl	_ZN7rocprim17ROCPRIM_400000_NS6detail17trampoline_kernelINS0_13select_configILj256ELj13ELNS0_17block_load_methodE3ELS4_3ELS4_3ELNS0_20block_scan_algorithmE0ELj4294967295EEENS1_25partition_config_selectorILNS1_17partition_subalgoE3EjNS0_10empty_typeEbEEZZNS1_14partition_implILS8_3ELb0ES6_jNS0_17counting_iteratorIjlEEPS9_SE_NS0_5tupleIJPjSE_EEENSF_IJSE_SE_EEES9_SG_JZNS1_25segmented_radix_sort_implINS0_14default_configELb1EPKaPaPKlPlN2at6native12_GLOBAL__N_18offset_tEEE10hipError_tPvRmT1_PNSt15iterator_traitsISY_E10value_typeET2_T3_PNSZ_IS14_E10value_typeET4_jRbjT5_S1A_jjP12ihipStream_tbEUljE_EEESV_SW_SX_S14_S18_S1A_T6_T7_T9_mT8_S1C_bDpT10_ENKUlT_T0_E_clISt17integral_constantIbLb0EES1P_EEDaS1K_S1L_EUlS1K_E_NS1_11comp_targetILNS1_3genE9ELNS1_11target_archE1100ELNS1_3gpuE3ELNS1_3repE0EEENS1_30default_config_static_selectorELNS0_4arch9wavefront6targetE1EEEvSY_ ; -- Begin function _ZN7rocprim17ROCPRIM_400000_NS6detail17trampoline_kernelINS0_13select_configILj256ELj13ELNS0_17block_load_methodE3ELS4_3ELS4_3ELNS0_20block_scan_algorithmE0ELj4294967295EEENS1_25partition_config_selectorILNS1_17partition_subalgoE3EjNS0_10empty_typeEbEEZZNS1_14partition_implILS8_3ELb0ES6_jNS0_17counting_iteratorIjlEEPS9_SE_NS0_5tupleIJPjSE_EEENSF_IJSE_SE_EEES9_SG_JZNS1_25segmented_radix_sort_implINS0_14default_configELb1EPKaPaPKlPlN2at6native12_GLOBAL__N_18offset_tEEE10hipError_tPvRmT1_PNSt15iterator_traitsISY_E10value_typeET2_T3_PNSZ_IS14_E10value_typeET4_jRbjT5_S1A_jjP12ihipStream_tbEUljE_EEESV_SW_SX_S14_S18_S1A_T6_T7_T9_mT8_S1C_bDpT10_ENKUlT_T0_E_clISt17integral_constantIbLb0EES1P_EEDaS1K_S1L_EUlS1K_E_NS1_11comp_targetILNS1_3genE9ELNS1_11target_archE1100ELNS1_3gpuE3ELNS1_3repE0EEENS1_30default_config_static_selectorELNS0_4arch9wavefront6targetE1EEEvSY_
	.p2align	8
	.type	_ZN7rocprim17ROCPRIM_400000_NS6detail17trampoline_kernelINS0_13select_configILj256ELj13ELNS0_17block_load_methodE3ELS4_3ELS4_3ELNS0_20block_scan_algorithmE0ELj4294967295EEENS1_25partition_config_selectorILNS1_17partition_subalgoE3EjNS0_10empty_typeEbEEZZNS1_14partition_implILS8_3ELb0ES6_jNS0_17counting_iteratorIjlEEPS9_SE_NS0_5tupleIJPjSE_EEENSF_IJSE_SE_EEES9_SG_JZNS1_25segmented_radix_sort_implINS0_14default_configELb1EPKaPaPKlPlN2at6native12_GLOBAL__N_18offset_tEEE10hipError_tPvRmT1_PNSt15iterator_traitsISY_E10value_typeET2_T3_PNSZ_IS14_E10value_typeET4_jRbjT5_S1A_jjP12ihipStream_tbEUljE_EEESV_SW_SX_S14_S18_S1A_T6_T7_T9_mT8_S1C_bDpT10_ENKUlT_T0_E_clISt17integral_constantIbLb0EES1P_EEDaS1K_S1L_EUlS1K_E_NS1_11comp_targetILNS1_3genE9ELNS1_11target_archE1100ELNS1_3gpuE3ELNS1_3repE0EEENS1_30default_config_static_selectorELNS0_4arch9wavefront6targetE1EEEvSY_,@function
_ZN7rocprim17ROCPRIM_400000_NS6detail17trampoline_kernelINS0_13select_configILj256ELj13ELNS0_17block_load_methodE3ELS4_3ELS4_3ELNS0_20block_scan_algorithmE0ELj4294967295EEENS1_25partition_config_selectorILNS1_17partition_subalgoE3EjNS0_10empty_typeEbEEZZNS1_14partition_implILS8_3ELb0ES6_jNS0_17counting_iteratorIjlEEPS9_SE_NS0_5tupleIJPjSE_EEENSF_IJSE_SE_EEES9_SG_JZNS1_25segmented_radix_sort_implINS0_14default_configELb1EPKaPaPKlPlN2at6native12_GLOBAL__N_18offset_tEEE10hipError_tPvRmT1_PNSt15iterator_traitsISY_E10value_typeET2_T3_PNSZ_IS14_E10value_typeET4_jRbjT5_S1A_jjP12ihipStream_tbEUljE_EEESV_SW_SX_S14_S18_S1A_T6_T7_T9_mT8_S1C_bDpT10_ENKUlT_T0_E_clISt17integral_constantIbLb0EES1P_EEDaS1K_S1L_EUlS1K_E_NS1_11comp_targetILNS1_3genE9ELNS1_11target_archE1100ELNS1_3gpuE3ELNS1_3repE0EEENS1_30default_config_static_selectorELNS0_4arch9wavefront6targetE1EEEvSY_: ; @_ZN7rocprim17ROCPRIM_400000_NS6detail17trampoline_kernelINS0_13select_configILj256ELj13ELNS0_17block_load_methodE3ELS4_3ELS4_3ELNS0_20block_scan_algorithmE0ELj4294967295EEENS1_25partition_config_selectorILNS1_17partition_subalgoE3EjNS0_10empty_typeEbEEZZNS1_14partition_implILS8_3ELb0ES6_jNS0_17counting_iteratorIjlEEPS9_SE_NS0_5tupleIJPjSE_EEENSF_IJSE_SE_EEES9_SG_JZNS1_25segmented_radix_sort_implINS0_14default_configELb1EPKaPaPKlPlN2at6native12_GLOBAL__N_18offset_tEEE10hipError_tPvRmT1_PNSt15iterator_traitsISY_E10value_typeET2_T3_PNSZ_IS14_E10value_typeET4_jRbjT5_S1A_jjP12ihipStream_tbEUljE_EEESV_SW_SX_S14_S18_S1A_T6_T7_T9_mT8_S1C_bDpT10_ENKUlT_T0_E_clISt17integral_constantIbLb0EES1P_EEDaS1K_S1L_EUlS1K_E_NS1_11comp_targetILNS1_3genE9ELNS1_11target_archE1100ELNS1_3gpuE3ELNS1_3repE0EEENS1_30default_config_static_selectorELNS0_4arch9wavefront6targetE1EEEvSY_
; %bb.0:
	.section	.rodata,"a",@progbits
	.p2align	6, 0x0
	.amdhsa_kernel _ZN7rocprim17ROCPRIM_400000_NS6detail17trampoline_kernelINS0_13select_configILj256ELj13ELNS0_17block_load_methodE3ELS4_3ELS4_3ELNS0_20block_scan_algorithmE0ELj4294967295EEENS1_25partition_config_selectorILNS1_17partition_subalgoE3EjNS0_10empty_typeEbEEZZNS1_14partition_implILS8_3ELb0ES6_jNS0_17counting_iteratorIjlEEPS9_SE_NS0_5tupleIJPjSE_EEENSF_IJSE_SE_EEES9_SG_JZNS1_25segmented_radix_sort_implINS0_14default_configELb1EPKaPaPKlPlN2at6native12_GLOBAL__N_18offset_tEEE10hipError_tPvRmT1_PNSt15iterator_traitsISY_E10value_typeET2_T3_PNSZ_IS14_E10value_typeET4_jRbjT5_S1A_jjP12ihipStream_tbEUljE_EEESV_SW_SX_S14_S18_S1A_T6_T7_T9_mT8_S1C_bDpT10_ENKUlT_T0_E_clISt17integral_constantIbLb0EES1P_EEDaS1K_S1L_EUlS1K_E_NS1_11comp_targetILNS1_3genE9ELNS1_11target_archE1100ELNS1_3gpuE3ELNS1_3repE0EEENS1_30default_config_static_selectorELNS0_4arch9wavefront6targetE1EEEvSY_
		.amdhsa_group_segment_fixed_size 0
		.amdhsa_private_segment_fixed_size 0
		.amdhsa_kernarg_size 144
		.amdhsa_user_sgpr_count 6
		.amdhsa_user_sgpr_private_segment_buffer 1
		.amdhsa_user_sgpr_dispatch_ptr 0
		.amdhsa_user_sgpr_queue_ptr 0
		.amdhsa_user_sgpr_kernarg_segment_ptr 1
		.amdhsa_user_sgpr_dispatch_id 0
		.amdhsa_user_sgpr_flat_scratch_init 0
		.amdhsa_user_sgpr_kernarg_preload_length 0
		.amdhsa_user_sgpr_kernarg_preload_offset 0
		.amdhsa_user_sgpr_private_segment_size 0
		.amdhsa_uses_dynamic_stack 0
		.amdhsa_system_sgpr_private_segment_wavefront_offset 0
		.amdhsa_system_sgpr_workgroup_id_x 1
		.amdhsa_system_sgpr_workgroup_id_y 0
		.amdhsa_system_sgpr_workgroup_id_z 0
		.amdhsa_system_sgpr_workgroup_info 0
		.amdhsa_system_vgpr_workitem_id 0
		.amdhsa_next_free_vgpr 1
		.amdhsa_next_free_sgpr 0
		.amdhsa_accum_offset 4
		.amdhsa_reserve_vcc 0
		.amdhsa_reserve_flat_scratch 0
		.amdhsa_float_round_mode_32 0
		.amdhsa_float_round_mode_16_64 0
		.amdhsa_float_denorm_mode_32 3
		.amdhsa_float_denorm_mode_16_64 3
		.amdhsa_dx10_clamp 1
		.amdhsa_ieee_mode 1
		.amdhsa_fp16_overflow 0
		.amdhsa_tg_split 0
		.amdhsa_exception_fp_ieee_invalid_op 0
		.amdhsa_exception_fp_denorm_src 0
		.amdhsa_exception_fp_ieee_div_zero 0
		.amdhsa_exception_fp_ieee_overflow 0
		.amdhsa_exception_fp_ieee_underflow 0
		.amdhsa_exception_fp_ieee_inexact 0
		.amdhsa_exception_int_div_zero 0
	.end_amdhsa_kernel
	.section	.text._ZN7rocprim17ROCPRIM_400000_NS6detail17trampoline_kernelINS0_13select_configILj256ELj13ELNS0_17block_load_methodE3ELS4_3ELS4_3ELNS0_20block_scan_algorithmE0ELj4294967295EEENS1_25partition_config_selectorILNS1_17partition_subalgoE3EjNS0_10empty_typeEbEEZZNS1_14partition_implILS8_3ELb0ES6_jNS0_17counting_iteratorIjlEEPS9_SE_NS0_5tupleIJPjSE_EEENSF_IJSE_SE_EEES9_SG_JZNS1_25segmented_radix_sort_implINS0_14default_configELb1EPKaPaPKlPlN2at6native12_GLOBAL__N_18offset_tEEE10hipError_tPvRmT1_PNSt15iterator_traitsISY_E10value_typeET2_T3_PNSZ_IS14_E10value_typeET4_jRbjT5_S1A_jjP12ihipStream_tbEUljE_EEESV_SW_SX_S14_S18_S1A_T6_T7_T9_mT8_S1C_bDpT10_ENKUlT_T0_E_clISt17integral_constantIbLb0EES1P_EEDaS1K_S1L_EUlS1K_E_NS1_11comp_targetILNS1_3genE9ELNS1_11target_archE1100ELNS1_3gpuE3ELNS1_3repE0EEENS1_30default_config_static_selectorELNS0_4arch9wavefront6targetE1EEEvSY_,"axG",@progbits,_ZN7rocprim17ROCPRIM_400000_NS6detail17trampoline_kernelINS0_13select_configILj256ELj13ELNS0_17block_load_methodE3ELS4_3ELS4_3ELNS0_20block_scan_algorithmE0ELj4294967295EEENS1_25partition_config_selectorILNS1_17partition_subalgoE3EjNS0_10empty_typeEbEEZZNS1_14partition_implILS8_3ELb0ES6_jNS0_17counting_iteratorIjlEEPS9_SE_NS0_5tupleIJPjSE_EEENSF_IJSE_SE_EEES9_SG_JZNS1_25segmented_radix_sort_implINS0_14default_configELb1EPKaPaPKlPlN2at6native12_GLOBAL__N_18offset_tEEE10hipError_tPvRmT1_PNSt15iterator_traitsISY_E10value_typeET2_T3_PNSZ_IS14_E10value_typeET4_jRbjT5_S1A_jjP12ihipStream_tbEUljE_EEESV_SW_SX_S14_S18_S1A_T6_T7_T9_mT8_S1C_bDpT10_ENKUlT_T0_E_clISt17integral_constantIbLb0EES1P_EEDaS1K_S1L_EUlS1K_E_NS1_11comp_targetILNS1_3genE9ELNS1_11target_archE1100ELNS1_3gpuE3ELNS1_3repE0EEENS1_30default_config_static_selectorELNS0_4arch9wavefront6targetE1EEEvSY_,comdat
.Lfunc_end264:
	.size	_ZN7rocprim17ROCPRIM_400000_NS6detail17trampoline_kernelINS0_13select_configILj256ELj13ELNS0_17block_load_methodE3ELS4_3ELS4_3ELNS0_20block_scan_algorithmE0ELj4294967295EEENS1_25partition_config_selectorILNS1_17partition_subalgoE3EjNS0_10empty_typeEbEEZZNS1_14partition_implILS8_3ELb0ES6_jNS0_17counting_iteratorIjlEEPS9_SE_NS0_5tupleIJPjSE_EEENSF_IJSE_SE_EEES9_SG_JZNS1_25segmented_radix_sort_implINS0_14default_configELb1EPKaPaPKlPlN2at6native12_GLOBAL__N_18offset_tEEE10hipError_tPvRmT1_PNSt15iterator_traitsISY_E10value_typeET2_T3_PNSZ_IS14_E10value_typeET4_jRbjT5_S1A_jjP12ihipStream_tbEUljE_EEESV_SW_SX_S14_S18_S1A_T6_T7_T9_mT8_S1C_bDpT10_ENKUlT_T0_E_clISt17integral_constantIbLb0EES1P_EEDaS1K_S1L_EUlS1K_E_NS1_11comp_targetILNS1_3genE9ELNS1_11target_archE1100ELNS1_3gpuE3ELNS1_3repE0EEENS1_30default_config_static_selectorELNS0_4arch9wavefront6targetE1EEEvSY_, .Lfunc_end264-_ZN7rocprim17ROCPRIM_400000_NS6detail17trampoline_kernelINS0_13select_configILj256ELj13ELNS0_17block_load_methodE3ELS4_3ELS4_3ELNS0_20block_scan_algorithmE0ELj4294967295EEENS1_25partition_config_selectorILNS1_17partition_subalgoE3EjNS0_10empty_typeEbEEZZNS1_14partition_implILS8_3ELb0ES6_jNS0_17counting_iteratorIjlEEPS9_SE_NS0_5tupleIJPjSE_EEENSF_IJSE_SE_EEES9_SG_JZNS1_25segmented_radix_sort_implINS0_14default_configELb1EPKaPaPKlPlN2at6native12_GLOBAL__N_18offset_tEEE10hipError_tPvRmT1_PNSt15iterator_traitsISY_E10value_typeET2_T3_PNSZ_IS14_E10value_typeET4_jRbjT5_S1A_jjP12ihipStream_tbEUljE_EEESV_SW_SX_S14_S18_S1A_T6_T7_T9_mT8_S1C_bDpT10_ENKUlT_T0_E_clISt17integral_constantIbLb0EES1P_EEDaS1K_S1L_EUlS1K_E_NS1_11comp_targetILNS1_3genE9ELNS1_11target_archE1100ELNS1_3gpuE3ELNS1_3repE0EEENS1_30default_config_static_selectorELNS0_4arch9wavefront6targetE1EEEvSY_
                                        ; -- End function
	.section	.AMDGPU.csdata,"",@progbits
; Kernel info:
; codeLenInByte = 0
; NumSgprs: 4
; NumVgprs: 0
; NumAgprs: 0
; TotalNumVgprs: 0
; ScratchSize: 0
; MemoryBound: 0
; FloatMode: 240
; IeeeMode: 1
; LDSByteSize: 0 bytes/workgroup (compile time only)
; SGPRBlocks: 0
; VGPRBlocks: 0
; NumSGPRsForWavesPerEU: 4
; NumVGPRsForWavesPerEU: 1
; AccumOffset: 4
; Occupancy: 8
; WaveLimiterHint : 0
; COMPUTE_PGM_RSRC2:SCRATCH_EN: 0
; COMPUTE_PGM_RSRC2:USER_SGPR: 6
; COMPUTE_PGM_RSRC2:TRAP_HANDLER: 0
; COMPUTE_PGM_RSRC2:TGID_X_EN: 1
; COMPUTE_PGM_RSRC2:TGID_Y_EN: 0
; COMPUTE_PGM_RSRC2:TGID_Z_EN: 0
; COMPUTE_PGM_RSRC2:TIDIG_COMP_CNT: 0
; COMPUTE_PGM_RSRC3_GFX90A:ACCUM_OFFSET: 0
; COMPUTE_PGM_RSRC3_GFX90A:TG_SPLIT: 0
	.section	.text._ZN7rocprim17ROCPRIM_400000_NS6detail17trampoline_kernelINS0_13select_configILj256ELj13ELNS0_17block_load_methodE3ELS4_3ELS4_3ELNS0_20block_scan_algorithmE0ELj4294967295EEENS1_25partition_config_selectorILNS1_17partition_subalgoE3EjNS0_10empty_typeEbEEZZNS1_14partition_implILS8_3ELb0ES6_jNS0_17counting_iteratorIjlEEPS9_SE_NS0_5tupleIJPjSE_EEENSF_IJSE_SE_EEES9_SG_JZNS1_25segmented_radix_sort_implINS0_14default_configELb1EPKaPaPKlPlN2at6native12_GLOBAL__N_18offset_tEEE10hipError_tPvRmT1_PNSt15iterator_traitsISY_E10value_typeET2_T3_PNSZ_IS14_E10value_typeET4_jRbjT5_S1A_jjP12ihipStream_tbEUljE_EEESV_SW_SX_S14_S18_S1A_T6_T7_T9_mT8_S1C_bDpT10_ENKUlT_T0_E_clISt17integral_constantIbLb0EES1P_EEDaS1K_S1L_EUlS1K_E_NS1_11comp_targetILNS1_3genE8ELNS1_11target_archE1030ELNS1_3gpuE2ELNS1_3repE0EEENS1_30default_config_static_selectorELNS0_4arch9wavefront6targetE1EEEvSY_,"axG",@progbits,_ZN7rocprim17ROCPRIM_400000_NS6detail17trampoline_kernelINS0_13select_configILj256ELj13ELNS0_17block_load_methodE3ELS4_3ELS4_3ELNS0_20block_scan_algorithmE0ELj4294967295EEENS1_25partition_config_selectorILNS1_17partition_subalgoE3EjNS0_10empty_typeEbEEZZNS1_14partition_implILS8_3ELb0ES6_jNS0_17counting_iteratorIjlEEPS9_SE_NS0_5tupleIJPjSE_EEENSF_IJSE_SE_EEES9_SG_JZNS1_25segmented_radix_sort_implINS0_14default_configELb1EPKaPaPKlPlN2at6native12_GLOBAL__N_18offset_tEEE10hipError_tPvRmT1_PNSt15iterator_traitsISY_E10value_typeET2_T3_PNSZ_IS14_E10value_typeET4_jRbjT5_S1A_jjP12ihipStream_tbEUljE_EEESV_SW_SX_S14_S18_S1A_T6_T7_T9_mT8_S1C_bDpT10_ENKUlT_T0_E_clISt17integral_constantIbLb0EES1P_EEDaS1K_S1L_EUlS1K_E_NS1_11comp_targetILNS1_3genE8ELNS1_11target_archE1030ELNS1_3gpuE2ELNS1_3repE0EEENS1_30default_config_static_selectorELNS0_4arch9wavefront6targetE1EEEvSY_,comdat
	.globl	_ZN7rocprim17ROCPRIM_400000_NS6detail17trampoline_kernelINS0_13select_configILj256ELj13ELNS0_17block_load_methodE3ELS4_3ELS4_3ELNS0_20block_scan_algorithmE0ELj4294967295EEENS1_25partition_config_selectorILNS1_17partition_subalgoE3EjNS0_10empty_typeEbEEZZNS1_14partition_implILS8_3ELb0ES6_jNS0_17counting_iteratorIjlEEPS9_SE_NS0_5tupleIJPjSE_EEENSF_IJSE_SE_EEES9_SG_JZNS1_25segmented_radix_sort_implINS0_14default_configELb1EPKaPaPKlPlN2at6native12_GLOBAL__N_18offset_tEEE10hipError_tPvRmT1_PNSt15iterator_traitsISY_E10value_typeET2_T3_PNSZ_IS14_E10value_typeET4_jRbjT5_S1A_jjP12ihipStream_tbEUljE_EEESV_SW_SX_S14_S18_S1A_T6_T7_T9_mT8_S1C_bDpT10_ENKUlT_T0_E_clISt17integral_constantIbLb0EES1P_EEDaS1K_S1L_EUlS1K_E_NS1_11comp_targetILNS1_3genE8ELNS1_11target_archE1030ELNS1_3gpuE2ELNS1_3repE0EEENS1_30default_config_static_selectorELNS0_4arch9wavefront6targetE1EEEvSY_ ; -- Begin function _ZN7rocprim17ROCPRIM_400000_NS6detail17trampoline_kernelINS0_13select_configILj256ELj13ELNS0_17block_load_methodE3ELS4_3ELS4_3ELNS0_20block_scan_algorithmE0ELj4294967295EEENS1_25partition_config_selectorILNS1_17partition_subalgoE3EjNS0_10empty_typeEbEEZZNS1_14partition_implILS8_3ELb0ES6_jNS0_17counting_iteratorIjlEEPS9_SE_NS0_5tupleIJPjSE_EEENSF_IJSE_SE_EEES9_SG_JZNS1_25segmented_radix_sort_implINS0_14default_configELb1EPKaPaPKlPlN2at6native12_GLOBAL__N_18offset_tEEE10hipError_tPvRmT1_PNSt15iterator_traitsISY_E10value_typeET2_T3_PNSZ_IS14_E10value_typeET4_jRbjT5_S1A_jjP12ihipStream_tbEUljE_EEESV_SW_SX_S14_S18_S1A_T6_T7_T9_mT8_S1C_bDpT10_ENKUlT_T0_E_clISt17integral_constantIbLb0EES1P_EEDaS1K_S1L_EUlS1K_E_NS1_11comp_targetILNS1_3genE8ELNS1_11target_archE1030ELNS1_3gpuE2ELNS1_3repE0EEENS1_30default_config_static_selectorELNS0_4arch9wavefront6targetE1EEEvSY_
	.p2align	8
	.type	_ZN7rocprim17ROCPRIM_400000_NS6detail17trampoline_kernelINS0_13select_configILj256ELj13ELNS0_17block_load_methodE3ELS4_3ELS4_3ELNS0_20block_scan_algorithmE0ELj4294967295EEENS1_25partition_config_selectorILNS1_17partition_subalgoE3EjNS0_10empty_typeEbEEZZNS1_14partition_implILS8_3ELb0ES6_jNS0_17counting_iteratorIjlEEPS9_SE_NS0_5tupleIJPjSE_EEENSF_IJSE_SE_EEES9_SG_JZNS1_25segmented_radix_sort_implINS0_14default_configELb1EPKaPaPKlPlN2at6native12_GLOBAL__N_18offset_tEEE10hipError_tPvRmT1_PNSt15iterator_traitsISY_E10value_typeET2_T3_PNSZ_IS14_E10value_typeET4_jRbjT5_S1A_jjP12ihipStream_tbEUljE_EEESV_SW_SX_S14_S18_S1A_T6_T7_T9_mT8_S1C_bDpT10_ENKUlT_T0_E_clISt17integral_constantIbLb0EES1P_EEDaS1K_S1L_EUlS1K_E_NS1_11comp_targetILNS1_3genE8ELNS1_11target_archE1030ELNS1_3gpuE2ELNS1_3repE0EEENS1_30default_config_static_selectorELNS0_4arch9wavefront6targetE1EEEvSY_,@function
_ZN7rocprim17ROCPRIM_400000_NS6detail17trampoline_kernelINS0_13select_configILj256ELj13ELNS0_17block_load_methodE3ELS4_3ELS4_3ELNS0_20block_scan_algorithmE0ELj4294967295EEENS1_25partition_config_selectorILNS1_17partition_subalgoE3EjNS0_10empty_typeEbEEZZNS1_14partition_implILS8_3ELb0ES6_jNS0_17counting_iteratorIjlEEPS9_SE_NS0_5tupleIJPjSE_EEENSF_IJSE_SE_EEES9_SG_JZNS1_25segmented_radix_sort_implINS0_14default_configELb1EPKaPaPKlPlN2at6native12_GLOBAL__N_18offset_tEEE10hipError_tPvRmT1_PNSt15iterator_traitsISY_E10value_typeET2_T3_PNSZ_IS14_E10value_typeET4_jRbjT5_S1A_jjP12ihipStream_tbEUljE_EEESV_SW_SX_S14_S18_S1A_T6_T7_T9_mT8_S1C_bDpT10_ENKUlT_T0_E_clISt17integral_constantIbLb0EES1P_EEDaS1K_S1L_EUlS1K_E_NS1_11comp_targetILNS1_3genE8ELNS1_11target_archE1030ELNS1_3gpuE2ELNS1_3repE0EEENS1_30default_config_static_selectorELNS0_4arch9wavefront6targetE1EEEvSY_: ; @_ZN7rocprim17ROCPRIM_400000_NS6detail17trampoline_kernelINS0_13select_configILj256ELj13ELNS0_17block_load_methodE3ELS4_3ELS4_3ELNS0_20block_scan_algorithmE0ELj4294967295EEENS1_25partition_config_selectorILNS1_17partition_subalgoE3EjNS0_10empty_typeEbEEZZNS1_14partition_implILS8_3ELb0ES6_jNS0_17counting_iteratorIjlEEPS9_SE_NS0_5tupleIJPjSE_EEENSF_IJSE_SE_EEES9_SG_JZNS1_25segmented_radix_sort_implINS0_14default_configELb1EPKaPaPKlPlN2at6native12_GLOBAL__N_18offset_tEEE10hipError_tPvRmT1_PNSt15iterator_traitsISY_E10value_typeET2_T3_PNSZ_IS14_E10value_typeET4_jRbjT5_S1A_jjP12ihipStream_tbEUljE_EEESV_SW_SX_S14_S18_S1A_T6_T7_T9_mT8_S1C_bDpT10_ENKUlT_T0_E_clISt17integral_constantIbLb0EES1P_EEDaS1K_S1L_EUlS1K_E_NS1_11comp_targetILNS1_3genE8ELNS1_11target_archE1030ELNS1_3gpuE2ELNS1_3repE0EEENS1_30default_config_static_selectorELNS0_4arch9wavefront6targetE1EEEvSY_
; %bb.0:
	.section	.rodata,"a",@progbits
	.p2align	6, 0x0
	.amdhsa_kernel _ZN7rocprim17ROCPRIM_400000_NS6detail17trampoline_kernelINS0_13select_configILj256ELj13ELNS0_17block_load_methodE3ELS4_3ELS4_3ELNS0_20block_scan_algorithmE0ELj4294967295EEENS1_25partition_config_selectorILNS1_17partition_subalgoE3EjNS0_10empty_typeEbEEZZNS1_14partition_implILS8_3ELb0ES6_jNS0_17counting_iteratorIjlEEPS9_SE_NS0_5tupleIJPjSE_EEENSF_IJSE_SE_EEES9_SG_JZNS1_25segmented_radix_sort_implINS0_14default_configELb1EPKaPaPKlPlN2at6native12_GLOBAL__N_18offset_tEEE10hipError_tPvRmT1_PNSt15iterator_traitsISY_E10value_typeET2_T3_PNSZ_IS14_E10value_typeET4_jRbjT5_S1A_jjP12ihipStream_tbEUljE_EEESV_SW_SX_S14_S18_S1A_T6_T7_T9_mT8_S1C_bDpT10_ENKUlT_T0_E_clISt17integral_constantIbLb0EES1P_EEDaS1K_S1L_EUlS1K_E_NS1_11comp_targetILNS1_3genE8ELNS1_11target_archE1030ELNS1_3gpuE2ELNS1_3repE0EEENS1_30default_config_static_selectorELNS0_4arch9wavefront6targetE1EEEvSY_
		.amdhsa_group_segment_fixed_size 0
		.amdhsa_private_segment_fixed_size 0
		.amdhsa_kernarg_size 144
		.amdhsa_user_sgpr_count 6
		.amdhsa_user_sgpr_private_segment_buffer 1
		.amdhsa_user_sgpr_dispatch_ptr 0
		.amdhsa_user_sgpr_queue_ptr 0
		.amdhsa_user_sgpr_kernarg_segment_ptr 1
		.amdhsa_user_sgpr_dispatch_id 0
		.amdhsa_user_sgpr_flat_scratch_init 0
		.amdhsa_user_sgpr_kernarg_preload_length 0
		.amdhsa_user_sgpr_kernarg_preload_offset 0
		.amdhsa_user_sgpr_private_segment_size 0
		.amdhsa_uses_dynamic_stack 0
		.amdhsa_system_sgpr_private_segment_wavefront_offset 0
		.amdhsa_system_sgpr_workgroup_id_x 1
		.amdhsa_system_sgpr_workgroup_id_y 0
		.amdhsa_system_sgpr_workgroup_id_z 0
		.amdhsa_system_sgpr_workgroup_info 0
		.amdhsa_system_vgpr_workitem_id 0
		.amdhsa_next_free_vgpr 1
		.amdhsa_next_free_sgpr 0
		.amdhsa_accum_offset 4
		.amdhsa_reserve_vcc 0
		.amdhsa_reserve_flat_scratch 0
		.amdhsa_float_round_mode_32 0
		.amdhsa_float_round_mode_16_64 0
		.amdhsa_float_denorm_mode_32 3
		.amdhsa_float_denorm_mode_16_64 3
		.amdhsa_dx10_clamp 1
		.amdhsa_ieee_mode 1
		.amdhsa_fp16_overflow 0
		.amdhsa_tg_split 0
		.amdhsa_exception_fp_ieee_invalid_op 0
		.amdhsa_exception_fp_denorm_src 0
		.amdhsa_exception_fp_ieee_div_zero 0
		.amdhsa_exception_fp_ieee_overflow 0
		.amdhsa_exception_fp_ieee_underflow 0
		.amdhsa_exception_fp_ieee_inexact 0
		.amdhsa_exception_int_div_zero 0
	.end_amdhsa_kernel
	.section	.text._ZN7rocprim17ROCPRIM_400000_NS6detail17trampoline_kernelINS0_13select_configILj256ELj13ELNS0_17block_load_methodE3ELS4_3ELS4_3ELNS0_20block_scan_algorithmE0ELj4294967295EEENS1_25partition_config_selectorILNS1_17partition_subalgoE3EjNS0_10empty_typeEbEEZZNS1_14partition_implILS8_3ELb0ES6_jNS0_17counting_iteratorIjlEEPS9_SE_NS0_5tupleIJPjSE_EEENSF_IJSE_SE_EEES9_SG_JZNS1_25segmented_radix_sort_implINS0_14default_configELb1EPKaPaPKlPlN2at6native12_GLOBAL__N_18offset_tEEE10hipError_tPvRmT1_PNSt15iterator_traitsISY_E10value_typeET2_T3_PNSZ_IS14_E10value_typeET4_jRbjT5_S1A_jjP12ihipStream_tbEUljE_EEESV_SW_SX_S14_S18_S1A_T6_T7_T9_mT8_S1C_bDpT10_ENKUlT_T0_E_clISt17integral_constantIbLb0EES1P_EEDaS1K_S1L_EUlS1K_E_NS1_11comp_targetILNS1_3genE8ELNS1_11target_archE1030ELNS1_3gpuE2ELNS1_3repE0EEENS1_30default_config_static_selectorELNS0_4arch9wavefront6targetE1EEEvSY_,"axG",@progbits,_ZN7rocprim17ROCPRIM_400000_NS6detail17trampoline_kernelINS0_13select_configILj256ELj13ELNS0_17block_load_methodE3ELS4_3ELS4_3ELNS0_20block_scan_algorithmE0ELj4294967295EEENS1_25partition_config_selectorILNS1_17partition_subalgoE3EjNS0_10empty_typeEbEEZZNS1_14partition_implILS8_3ELb0ES6_jNS0_17counting_iteratorIjlEEPS9_SE_NS0_5tupleIJPjSE_EEENSF_IJSE_SE_EEES9_SG_JZNS1_25segmented_radix_sort_implINS0_14default_configELb1EPKaPaPKlPlN2at6native12_GLOBAL__N_18offset_tEEE10hipError_tPvRmT1_PNSt15iterator_traitsISY_E10value_typeET2_T3_PNSZ_IS14_E10value_typeET4_jRbjT5_S1A_jjP12ihipStream_tbEUljE_EEESV_SW_SX_S14_S18_S1A_T6_T7_T9_mT8_S1C_bDpT10_ENKUlT_T0_E_clISt17integral_constantIbLb0EES1P_EEDaS1K_S1L_EUlS1K_E_NS1_11comp_targetILNS1_3genE8ELNS1_11target_archE1030ELNS1_3gpuE2ELNS1_3repE0EEENS1_30default_config_static_selectorELNS0_4arch9wavefront6targetE1EEEvSY_,comdat
.Lfunc_end265:
	.size	_ZN7rocprim17ROCPRIM_400000_NS6detail17trampoline_kernelINS0_13select_configILj256ELj13ELNS0_17block_load_methodE3ELS4_3ELS4_3ELNS0_20block_scan_algorithmE0ELj4294967295EEENS1_25partition_config_selectorILNS1_17partition_subalgoE3EjNS0_10empty_typeEbEEZZNS1_14partition_implILS8_3ELb0ES6_jNS0_17counting_iteratorIjlEEPS9_SE_NS0_5tupleIJPjSE_EEENSF_IJSE_SE_EEES9_SG_JZNS1_25segmented_radix_sort_implINS0_14default_configELb1EPKaPaPKlPlN2at6native12_GLOBAL__N_18offset_tEEE10hipError_tPvRmT1_PNSt15iterator_traitsISY_E10value_typeET2_T3_PNSZ_IS14_E10value_typeET4_jRbjT5_S1A_jjP12ihipStream_tbEUljE_EEESV_SW_SX_S14_S18_S1A_T6_T7_T9_mT8_S1C_bDpT10_ENKUlT_T0_E_clISt17integral_constantIbLb0EES1P_EEDaS1K_S1L_EUlS1K_E_NS1_11comp_targetILNS1_3genE8ELNS1_11target_archE1030ELNS1_3gpuE2ELNS1_3repE0EEENS1_30default_config_static_selectorELNS0_4arch9wavefront6targetE1EEEvSY_, .Lfunc_end265-_ZN7rocprim17ROCPRIM_400000_NS6detail17trampoline_kernelINS0_13select_configILj256ELj13ELNS0_17block_load_methodE3ELS4_3ELS4_3ELNS0_20block_scan_algorithmE0ELj4294967295EEENS1_25partition_config_selectorILNS1_17partition_subalgoE3EjNS0_10empty_typeEbEEZZNS1_14partition_implILS8_3ELb0ES6_jNS0_17counting_iteratorIjlEEPS9_SE_NS0_5tupleIJPjSE_EEENSF_IJSE_SE_EEES9_SG_JZNS1_25segmented_radix_sort_implINS0_14default_configELb1EPKaPaPKlPlN2at6native12_GLOBAL__N_18offset_tEEE10hipError_tPvRmT1_PNSt15iterator_traitsISY_E10value_typeET2_T3_PNSZ_IS14_E10value_typeET4_jRbjT5_S1A_jjP12ihipStream_tbEUljE_EEESV_SW_SX_S14_S18_S1A_T6_T7_T9_mT8_S1C_bDpT10_ENKUlT_T0_E_clISt17integral_constantIbLb0EES1P_EEDaS1K_S1L_EUlS1K_E_NS1_11comp_targetILNS1_3genE8ELNS1_11target_archE1030ELNS1_3gpuE2ELNS1_3repE0EEENS1_30default_config_static_selectorELNS0_4arch9wavefront6targetE1EEEvSY_
                                        ; -- End function
	.section	.AMDGPU.csdata,"",@progbits
; Kernel info:
; codeLenInByte = 0
; NumSgprs: 4
; NumVgprs: 0
; NumAgprs: 0
; TotalNumVgprs: 0
; ScratchSize: 0
; MemoryBound: 0
; FloatMode: 240
; IeeeMode: 1
; LDSByteSize: 0 bytes/workgroup (compile time only)
; SGPRBlocks: 0
; VGPRBlocks: 0
; NumSGPRsForWavesPerEU: 4
; NumVGPRsForWavesPerEU: 1
; AccumOffset: 4
; Occupancy: 8
; WaveLimiterHint : 0
; COMPUTE_PGM_RSRC2:SCRATCH_EN: 0
; COMPUTE_PGM_RSRC2:USER_SGPR: 6
; COMPUTE_PGM_RSRC2:TRAP_HANDLER: 0
; COMPUTE_PGM_RSRC2:TGID_X_EN: 1
; COMPUTE_PGM_RSRC2:TGID_Y_EN: 0
; COMPUTE_PGM_RSRC2:TGID_Z_EN: 0
; COMPUTE_PGM_RSRC2:TIDIG_COMP_CNT: 0
; COMPUTE_PGM_RSRC3_GFX90A:ACCUM_OFFSET: 0
; COMPUTE_PGM_RSRC3_GFX90A:TG_SPLIT: 0
	.section	.text._ZN7rocprim17ROCPRIM_400000_NS6detail17trampoline_kernelINS0_13select_configILj256ELj13ELNS0_17block_load_methodE3ELS4_3ELS4_3ELNS0_20block_scan_algorithmE0ELj4294967295EEENS1_25partition_config_selectorILNS1_17partition_subalgoE3EjNS0_10empty_typeEbEEZZNS1_14partition_implILS8_3ELb0ES6_jNS0_17counting_iteratorIjlEEPS9_SE_NS0_5tupleIJPjSE_EEENSF_IJSE_SE_EEES9_SG_JZNS1_25segmented_radix_sort_implINS0_14default_configELb1EPKaPaPKlPlN2at6native12_GLOBAL__N_18offset_tEEE10hipError_tPvRmT1_PNSt15iterator_traitsISY_E10value_typeET2_T3_PNSZ_IS14_E10value_typeET4_jRbjT5_S1A_jjP12ihipStream_tbEUljE_EEESV_SW_SX_S14_S18_S1A_T6_T7_T9_mT8_S1C_bDpT10_ENKUlT_T0_E_clISt17integral_constantIbLb1EES1P_EEDaS1K_S1L_EUlS1K_E_NS1_11comp_targetILNS1_3genE0ELNS1_11target_archE4294967295ELNS1_3gpuE0ELNS1_3repE0EEENS1_30default_config_static_selectorELNS0_4arch9wavefront6targetE1EEEvSY_,"axG",@progbits,_ZN7rocprim17ROCPRIM_400000_NS6detail17trampoline_kernelINS0_13select_configILj256ELj13ELNS0_17block_load_methodE3ELS4_3ELS4_3ELNS0_20block_scan_algorithmE0ELj4294967295EEENS1_25partition_config_selectorILNS1_17partition_subalgoE3EjNS0_10empty_typeEbEEZZNS1_14partition_implILS8_3ELb0ES6_jNS0_17counting_iteratorIjlEEPS9_SE_NS0_5tupleIJPjSE_EEENSF_IJSE_SE_EEES9_SG_JZNS1_25segmented_radix_sort_implINS0_14default_configELb1EPKaPaPKlPlN2at6native12_GLOBAL__N_18offset_tEEE10hipError_tPvRmT1_PNSt15iterator_traitsISY_E10value_typeET2_T3_PNSZ_IS14_E10value_typeET4_jRbjT5_S1A_jjP12ihipStream_tbEUljE_EEESV_SW_SX_S14_S18_S1A_T6_T7_T9_mT8_S1C_bDpT10_ENKUlT_T0_E_clISt17integral_constantIbLb1EES1P_EEDaS1K_S1L_EUlS1K_E_NS1_11comp_targetILNS1_3genE0ELNS1_11target_archE4294967295ELNS1_3gpuE0ELNS1_3repE0EEENS1_30default_config_static_selectorELNS0_4arch9wavefront6targetE1EEEvSY_,comdat
	.globl	_ZN7rocprim17ROCPRIM_400000_NS6detail17trampoline_kernelINS0_13select_configILj256ELj13ELNS0_17block_load_methodE3ELS4_3ELS4_3ELNS0_20block_scan_algorithmE0ELj4294967295EEENS1_25partition_config_selectorILNS1_17partition_subalgoE3EjNS0_10empty_typeEbEEZZNS1_14partition_implILS8_3ELb0ES6_jNS0_17counting_iteratorIjlEEPS9_SE_NS0_5tupleIJPjSE_EEENSF_IJSE_SE_EEES9_SG_JZNS1_25segmented_radix_sort_implINS0_14default_configELb1EPKaPaPKlPlN2at6native12_GLOBAL__N_18offset_tEEE10hipError_tPvRmT1_PNSt15iterator_traitsISY_E10value_typeET2_T3_PNSZ_IS14_E10value_typeET4_jRbjT5_S1A_jjP12ihipStream_tbEUljE_EEESV_SW_SX_S14_S18_S1A_T6_T7_T9_mT8_S1C_bDpT10_ENKUlT_T0_E_clISt17integral_constantIbLb1EES1P_EEDaS1K_S1L_EUlS1K_E_NS1_11comp_targetILNS1_3genE0ELNS1_11target_archE4294967295ELNS1_3gpuE0ELNS1_3repE0EEENS1_30default_config_static_selectorELNS0_4arch9wavefront6targetE1EEEvSY_ ; -- Begin function _ZN7rocprim17ROCPRIM_400000_NS6detail17trampoline_kernelINS0_13select_configILj256ELj13ELNS0_17block_load_methodE3ELS4_3ELS4_3ELNS0_20block_scan_algorithmE0ELj4294967295EEENS1_25partition_config_selectorILNS1_17partition_subalgoE3EjNS0_10empty_typeEbEEZZNS1_14partition_implILS8_3ELb0ES6_jNS0_17counting_iteratorIjlEEPS9_SE_NS0_5tupleIJPjSE_EEENSF_IJSE_SE_EEES9_SG_JZNS1_25segmented_radix_sort_implINS0_14default_configELb1EPKaPaPKlPlN2at6native12_GLOBAL__N_18offset_tEEE10hipError_tPvRmT1_PNSt15iterator_traitsISY_E10value_typeET2_T3_PNSZ_IS14_E10value_typeET4_jRbjT5_S1A_jjP12ihipStream_tbEUljE_EEESV_SW_SX_S14_S18_S1A_T6_T7_T9_mT8_S1C_bDpT10_ENKUlT_T0_E_clISt17integral_constantIbLb1EES1P_EEDaS1K_S1L_EUlS1K_E_NS1_11comp_targetILNS1_3genE0ELNS1_11target_archE4294967295ELNS1_3gpuE0ELNS1_3repE0EEENS1_30default_config_static_selectorELNS0_4arch9wavefront6targetE1EEEvSY_
	.p2align	8
	.type	_ZN7rocprim17ROCPRIM_400000_NS6detail17trampoline_kernelINS0_13select_configILj256ELj13ELNS0_17block_load_methodE3ELS4_3ELS4_3ELNS0_20block_scan_algorithmE0ELj4294967295EEENS1_25partition_config_selectorILNS1_17partition_subalgoE3EjNS0_10empty_typeEbEEZZNS1_14partition_implILS8_3ELb0ES6_jNS0_17counting_iteratorIjlEEPS9_SE_NS0_5tupleIJPjSE_EEENSF_IJSE_SE_EEES9_SG_JZNS1_25segmented_radix_sort_implINS0_14default_configELb1EPKaPaPKlPlN2at6native12_GLOBAL__N_18offset_tEEE10hipError_tPvRmT1_PNSt15iterator_traitsISY_E10value_typeET2_T3_PNSZ_IS14_E10value_typeET4_jRbjT5_S1A_jjP12ihipStream_tbEUljE_EEESV_SW_SX_S14_S18_S1A_T6_T7_T9_mT8_S1C_bDpT10_ENKUlT_T0_E_clISt17integral_constantIbLb1EES1P_EEDaS1K_S1L_EUlS1K_E_NS1_11comp_targetILNS1_3genE0ELNS1_11target_archE4294967295ELNS1_3gpuE0ELNS1_3repE0EEENS1_30default_config_static_selectorELNS0_4arch9wavefront6targetE1EEEvSY_,@function
_ZN7rocprim17ROCPRIM_400000_NS6detail17trampoline_kernelINS0_13select_configILj256ELj13ELNS0_17block_load_methodE3ELS4_3ELS4_3ELNS0_20block_scan_algorithmE0ELj4294967295EEENS1_25partition_config_selectorILNS1_17partition_subalgoE3EjNS0_10empty_typeEbEEZZNS1_14partition_implILS8_3ELb0ES6_jNS0_17counting_iteratorIjlEEPS9_SE_NS0_5tupleIJPjSE_EEENSF_IJSE_SE_EEES9_SG_JZNS1_25segmented_radix_sort_implINS0_14default_configELb1EPKaPaPKlPlN2at6native12_GLOBAL__N_18offset_tEEE10hipError_tPvRmT1_PNSt15iterator_traitsISY_E10value_typeET2_T3_PNSZ_IS14_E10value_typeET4_jRbjT5_S1A_jjP12ihipStream_tbEUljE_EEESV_SW_SX_S14_S18_S1A_T6_T7_T9_mT8_S1C_bDpT10_ENKUlT_T0_E_clISt17integral_constantIbLb1EES1P_EEDaS1K_S1L_EUlS1K_E_NS1_11comp_targetILNS1_3genE0ELNS1_11target_archE4294967295ELNS1_3gpuE0ELNS1_3repE0EEENS1_30default_config_static_selectorELNS0_4arch9wavefront6targetE1EEEvSY_: ; @_ZN7rocprim17ROCPRIM_400000_NS6detail17trampoline_kernelINS0_13select_configILj256ELj13ELNS0_17block_load_methodE3ELS4_3ELS4_3ELNS0_20block_scan_algorithmE0ELj4294967295EEENS1_25partition_config_selectorILNS1_17partition_subalgoE3EjNS0_10empty_typeEbEEZZNS1_14partition_implILS8_3ELb0ES6_jNS0_17counting_iteratorIjlEEPS9_SE_NS0_5tupleIJPjSE_EEENSF_IJSE_SE_EEES9_SG_JZNS1_25segmented_radix_sort_implINS0_14default_configELb1EPKaPaPKlPlN2at6native12_GLOBAL__N_18offset_tEEE10hipError_tPvRmT1_PNSt15iterator_traitsISY_E10value_typeET2_T3_PNSZ_IS14_E10value_typeET4_jRbjT5_S1A_jjP12ihipStream_tbEUljE_EEESV_SW_SX_S14_S18_S1A_T6_T7_T9_mT8_S1C_bDpT10_ENKUlT_T0_E_clISt17integral_constantIbLb1EES1P_EEDaS1K_S1L_EUlS1K_E_NS1_11comp_targetILNS1_3genE0ELNS1_11target_archE4294967295ELNS1_3gpuE0ELNS1_3repE0EEENS1_30default_config_static_selectorELNS0_4arch9wavefront6targetE1EEEvSY_
; %bb.0:
	.section	.rodata,"a",@progbits
	.p2align	6, 0x0
	.amdhsa_kernel _ZN7rocprim17ROCPRIM_400000_NS6detail17trampoline_kernelINS0_13select_configILj256ELj13ELNS0_17block_load_methodE3ELS4_3ELS4_3ELNS0_20block_scan_algorithmE0ELj4294967295EEENS1_25partition_config_selectorILNS1_17partition_subalgoE3EjNS0_10empty_typeEbEEZZNS1_14partition_implILS8_3ELb0ES6_jNS0_17counting_iteratorIjlEEPS9_SE_NS0_5tupleIJPjSE_EEENSF_IJSE_SE_EEES9_SG_JZNS1_25segmented_radix_sort_implINS0_14default_configELb1EPKaPaPKlPlN2at6native12_GLOBAL__N_18offset_tEEE10hipError_tPvRmT1_PNSt15iterator_traitsISY_E10value_typeET2_T3_PNSZ_IS14_E10value_typeET4_jRbjT5_S1A_jjP12ihipStream_tbEUljE_EEESV_SW_SX_S14_S18_S1A_T6_T7_T9_mT8_S1C_bDpT10_ENKUlT_T0_E_clISt17integral_constantIbLb1EES1P_EEDaS1K_S1L_EUlS1K_E_NS1_11comp_targetILNS1_3genE0ELNS1_11target_archE4294967295ELNS1_3gpuE0ELNS1_3repE0EEENS1_30default_config_static_selectorELNS0_4arch9wavefront6targetE1EEEvSY_
		.amdhsa_group_segment_fixed_size 0
		.amdhsa_private_segment_fixed_size 0
		.amdhsa_kernarg_size 152
		.amdhsa_user_sgpr_count 6
		.amdhsa_user_sgpr_private_segment_buffer 1
		.amdhsa_user_sgpr_dispatch_ptr 0
		.amdhsa_user_sgpr_queue_ptr 0
		.amdhsa_user_sgpr_kernarg_segment_ptr 1
		.amdhsa_user_sgpr_dispatch_id 0
		.amdhsa_user_sgpr_flat_scratch_init 0
		.amdhsa_user_sgpr_kernarg_preload_length 0
		.amdhsa_user_sgpr_kernarg_preload_offset 0
		.amdhsa_user_sgpr_private_segment_size 0
		.amdhsa_uses_dynamic_stack 0
		.amdhsa_system_sgpr_private_segment_wavefront_offset 0
		.amdhsa_system_sgpr_workgroup_id_x 1
		.amdhsa_system_sgpr_workgroup_id_y 0
		.amdhsa_system_sgpr_workgroup_id_z 0
		.amdhsa_system_sgpr_workgroup_info 0
		.amdhsa_system_vgpr_workitem_id 0
		.amdhsa_next_free_vgpr 1
		.amdhsa_next_free_sgpr 0
		.amdhsa_accum_offset 4
		.amdhsa_reserve_vcc 0
		.amdhsa_reserve_flat_scratch 0
		.amdhsa_float_round_mode_32 0
		.amdhsa_float_round_mode_16_64 0
		.amdhsa_float_denorm_mode_32 3
		.amdhsa_float_denorm_mode_16_64 3
		.amdhsa_dx10_clamp 1
		.amdhsa_ieee_mode 1
		.amdhsa_fp16_overflow 0
		.amdhsa_tg_split 0
		.amdhsa_exception_fp_ieee_invalid_op 0
		.amdhsa_exception_fp_denorm_src 0
		.amdhsa_exception_fp_ieee_div_zero 0
		.amdhsa_exception_fp_ieee_overflow 0
		.amdhsa_exception_fp_ieee_underflow 0
		.amdhsa_exception_fp_ieee_inexact 0
		.amdhsa_exception_int_div_zero 0
	.end_amdhsa_kernel
	.section	.text._ZN7rocprim17ROCPRIM_400000_NS6detail17trampoline_kernelINS0_13select_configILj256ELj13ELNS0_17block_load_methodE3ELS4_3ELS4_3ELNS0_20block_scan_algorithmE0ELj4294967295EEENS1_25partition_config_selectorILNS1_17partition_subalgoE3EjNS0_10empty_typeEbEEZZNS1_14partition_implILS8_3ELb0ES6_jNS0_17counting_iteratorIjlEEPS9_SE_NS0_5tupleIJPjSE_EEENSF_IJSE_SE_EEES9_SG_JZNS1_25segmented_radix_sort_implINS0_14default_configELb1EPKaPaPKlPlN2at6native12_GLOBAL__N_18offset_tEEE10hipError_tPvRmT1_PNSt15iterator_traitsISY_E10value_typeET2_T3_PNSZ_IS14_E10value_typeET4_jRbjT5_S1A_jjP12ihipStream_tbEUljE_EEESV_SW_SX_S14_S18_S1A_T6_T7_T9_mT8_S1C_bDpT10_ENKUlT_T0_E_clISt17integral_constantIbLb1EES1P_EEDaS1K_S1L_EUlS1K_E_NS1_11comp_targetILNS1_3genE0ELNS1_11target_archE4294967295ELNS1_3gpuE0ELNS1_3repE0EEENS1_30default_config_static_selectorELNS0_4arch9wavefront6targetE1EEEvSY_,"axG",@progbits,_ZN7rocprim17ROCPRIM_400000_NS6detail17trampoline_kernelINS0_13select_configILj256ELj13ELNS0_17block_load_methodE3ELS4_3ELS4_3ELNS0_20block_scan_algorithmE0ELj4294967295EEENS1_25partition_config_selectorILNS1_17partition_subalgoE3EjNS0_10empty_typeEbEEZZNS1_14partition_implILS8_3ELb0ES6_jNS0_17counting_iteratorIjlEEPS9_SE_NS0_5tupleIJPjSE_EEENSF_IJSE_SE_EEES9_SG_JZNS1_25segmented_radix_sort_implINS0_14default_configELb1EPKaPaPKlPlN2at6native12_GLOBAL__N_18offset_tEEE10hipError_tPvRmT1_PNSt15iterator_traitsISY_E10value_typeET2_T3_PNSZ_IS14_E10value_typeET4_jRbjT5_S1A_jjP12ihipStream_tbEUljE_EEESV_SW_SX_S14_S18_S1A_T6_T7_T9_mT8_S1C_bDpT10_ENKUlT_T0_E_clISt17integral_constantIbLb1EES1P_EEDaS1K_S1L_EUlS1K_E_NS1_11comp_targetILNS1_3genE0ELNS1_11target_archE4294967295ELNS1_3gpuE0ELNS1_3repE0EEENS1_30default_config_static_selectorELNS0_4arch9wavefront6targetE1EEEvSY_,comdat
.Lfunc_end266:
	.size	_ZN7rocprim17ROCPRIM_400000_NS6detail17trampoline_kernelINS0_13select_configILj256ELj13ELNS0_17block_load_methodE3ELS4_3ELS4_3ELNS0_20block_scan_algorithmE0ELj4294967295EEENS1_25partition_config_selectorILNS1_17partition_subalgoE3EjNS0_10empty_typeEbEEZZNS1_14partition_implILS8_3ELb0ES6_jNS0_17counting_iteratorIjlEEPS9_SE_NS0_5tupleIJPjSE_EEENSF_IJSE_SE_EEES9_SG_JZNS1_25segmented_radix_sort_implINS0_14default_configELb1EPKaPaPKlPlN2at6native12_GLOBAL__N_18offset_tEEE10hipError_tPvRmT1_PNSt15iterator_traitsISY_E10value_typeET2_T3_PNSZ_IS14_E10value_typeET4_jRbjT5_S1A_jjP12ihipStream_tbEUljE_EEESV_SW_SX_S14_S18_S1A_T6_T7_T9_mT8_S1C_bDpT10_ENKUlT_T0_E_clISt17integral_constantIbLb1EES1P_EEDaS1K_S1L_EUlS1K_E_NS1_11comp_targetILNS1_3genE0ELNS1_11target_archE4294967295ELNS1_3gpuE0ELNS1_3repE0EEENS1_30default_config_static_selectorELNS0_4arch9wavefront6targetE1EEEvSY_, .Lfunc_end266-_ZN7rocprim17ROCPRIM_400000_NS6detail17trampoline_kernelINS0_13select_configILj256ELj13ELNS0_17block_load_methodE3ELS4_3ELS4_3ELNS0_20block_scan_algorithmE0ELj4294967295EEENS1_25partition_config_selectorILNS1_17partition_subalgoE3EjNS0_10empty_typeEbEEZZNS1_14partition_implILS8_3ELb0ES6_jNS0_17counting_iteratorIjlEEPS9_SE_NS0_5tupleIJPjSE_EEENSF_IJSE_SE_EEES9_SG_JZNS1_25segmented_radix_sort_implINS0_14default_configELb1EPKaPaPKlPlN2at6native12_GLOBAL__N_18offset_tEEE10hipError_tPvRmT1_PNSt15iterator_traitsISY_E10value_typeET2_T3_PNSZ_IS14_E10value_typeET4_jRbjT5_S1A_jjP12ihipStream_tbEUljE_EEESV_SW_SX_S14_S18_S1A_T6_T7_T9_mT8_S1C_bDpT10_ENKUlT_T0_E_clISt17integral_constantIbLb1EES1P_EEDaS1K_S1L_EUlS1K_E_NS1_11comp_targetILNS1_3genE0ELNS1_11target_archE4294967295ELNS1_3gpuE0ELNS1_3repE0EEENS1_30default_config_static_selectorELNS0_4arch9wavefront6targetE1EEEvSY_
                                        ; -- End function
	.section	.AMDGPU.csdata,"",@progbits
; Kernel info:
; codeLenInByte = 0
; NumSgprs: 4
; NumVgprs: 0
; NumAgprs: 0
; TotalNumVgprs: 0
; ScratchSize: 0
; MemoryBound: 0
; FloatMode: 240
; IeeeMode: 1
; LDSByteSize: 0 bytes/workgroup (compile time only)
; SGPRBlocks: 0
; VGPRBlocks: 0
; NumSGPRsForWavesPerEU: 4
; NumVGPRsForWavesPerEU: 1
; AccumOffset: 4
; Occupancy: 8
; WaveLimiterHint : 0
; COMPUTE_PGM_RSRC2:SCRATCH_EN: 0
; COMPUTE_PGM_RSRC2:USER_SGPR: 6
; COMPUTE_PGM_RSRC2:TRAP_HANDLER: 0
; COMPUTE_PGM_RSRC2:TGID_X_EN: 1
; COMPUTE_PGM_RSRC2:TGID_Y_EN: 0
; COMPUTE_PGM_RSRC2:TGID_Z_EN: 0
; COMPUTE_PGM_RSRC2:TIDIG_COMP_CNT: 0
; COMPUTE_PGM_RSRC3_GFX90A:ACCUM_OFFSET: 0
; COMPUTE_PGM_RSRC3_GFX90A:TG_SPLIT: 0
	.section	.text._ZN7rocprim17ROCPRIM_400000_NS6detail17trampoline_kernelINS0_13select_configILj256ELj13ELNS0_17block_load_methodE3ELS4_3ELS4_3ELNS0_20block_scan_algorithmE0ELj4294967295EEENS1_25partition_config_selectorILNS1_17partition_subalgoE3EjNS0_10empty_typeEbEEZZNS1_14partition_implILS8_3ELb0ES6_jNS0_17counting_iteratorIjlEEPS9_SE_NS0_5tupleIJPjSE_EEENSF_IJSE_SE_EEES9_SG_JZNS1_25segmented_radix_sort_implINS0_14default_configELb1EPKaPaPKlPlN2at6native12_GLOBAL__N_18offset_tEEE10hipError_tPvRmT1_PNSt15iterator_traitsISY_E10value_typeET2_T3_PNSZ_IS14_E10value_typeET4_jRbjT5_S1A_jjP12ihipStream_tbEUljE_EEESV_SW_SX_S14_S18_S1A_T6_T7_T9_mT8_S1C_bDpT10_ENKUlT_T0_E_clISt17integral_constantIbLb1EES1P_EEDaS1K_S1L_EUlS1K_E_NS1_11comp_targetILNS1_3genE5ELNS1_11target_archE942ELNS1_3gpuE9ELNS1_3repE0EEENS1_30default_config_static_selectorELNS0_4arch9wavefront6targetE1EEEvSY_,"axG",@progbits,_ZN7rocprim17ROCPRIM_400000_NS6detail17trampoline_kernelINS0_13select_configILj256ELj13ELNS0_17block_load_methodE3ELS4_3ELS4_3ELNS0_20block_scan_algorithmE0ELj4294967295EEENS1_25partition_config_selectorILNS1_17partition_subalgoE3EjNS0_10empty_typeEbEEZZNS1_14partition_implILS8_3ELb0ES6_jNS0_17counting_iteratorIjlEEPS9_SE_NS0_5tupleIJPjSE_EEENSF_IJSE_SE_EEES9_SG_JZNS1_25segmented_radix_sort_implINS0_14default_configELb1EPKaPaPKlPlN2at6native12_GLOBAL__N_18offset_tEEE10hipError_tPvRmT1_PNSt15iterator_traitsISY_E10value_typeET2_T3_PNSZ_IS14_E10value_typeET4_jRbjT5_S1A_jjP12ihipStream_tbEUljE_EEESV_SW_SX_S14_S18_S1A_T6_T7_T9_mT8_S1C_bDpT10_ENKUlT_T0_E_clISt17integral_constantIbLb1EES1P_EEDaS1K_S1L_EUlS1K_E_NS1_11comp_targetILNS1_3genE5ELNS1_11target_archE942ELNS1_3gpuE9ELNS1_3repE0EEENS1_30default_config_static_selectorELNS0_4arch9wavefront6targetE1EEEvSY_,comdat
	.globl	_ZN7rocprim17ROCPRIM_400000_NS6detail17trampoline_kernelINS0_13select_configILj256ELj13ELNS0_17block_load_methodE3ELS4_3ELS4_3ELNS0_20block_scan_algorithmE0ELj4294967295EEENS1_25partition_config_selectorILNS1_17partition_subalgoE3EjNS0_10empty_typeEbEEZZNS1_14partition_implILS8_3ELb0ES6_jNS0_17counting_iteratorIjlEEPS9_SE_NS0_5tupleIJPjSE_EEENSF_IJSE_SE_EEES9_SG_JZNS1_25segmented_radix_sort_implINS0_14default_configELb1EPKaPaPKlPlN2at6native12_GLOBAL__N_18offset_tEEE10hipError_tPvRmT1_PNSt15iterator_traitsISY_E10value_typeET2_T3_PNSZ_IS14_E10value_typeET4_jRbjT5_S1A_jjP12ihipStream_tbEUljE_EEESV_SW_SX_S14_S18_S1A_T6_T7_T9_mT8_S1C_bDpT10_ENKUlT_T0_E_clISt17integral_constantIbLb1EES1P_EEDaS1K_S1L_EUlS1K_E_NS1_11comp_targetILNS1_3genE5ELNS1_11target_archE942ELNS1_3gpuE9ELNS1_3repE0EEENS1_30default_config_static_selectorELNS0_4arch9wavefront6targetE1EEEvSY_ ; -- Begin function _ZN7rocprim17ROCPRIM_400000_NS6detail17trampoline_kernelINS0_13select_configILj256ELj13ELNS0_17block_load_methodE3ELS4_3ELS4_3ELNS0_20block_scan_algorithmE0ELj4294967295EEENS1_25partition_config_selectorILNS1_17partition_subalgoE3EjNS0_10empty_typeEbEEZZNS1_14partition_implILS8_3ELb0ES6_jNS0_17counting_iteratorIjlEEPS9_SE_NS0_5tupleIJPjSE_EEENSF_IJSE_SE_EEES9_SG_JZNS1_25segmented_radix_sort_implINS0_14default_configELb1EPKaPaPKlPlN2at6native12_GLOBAL__N_18offset_tEEE10hipError_tPvRmT1_PNSt15iterator_traitsISY_E10value_typeET2_T3_PNSZ_IS14_E10value_typeET4_jRbjT5_S1A_jjP12ihipStream_tbEUljE_EEESV_SW_SX_S14_S18_S1A_T6_T7_T9_mT8_S1C_bDpT10_ENKUlT_T0_E_clISt17integral_constantIbLb1EES1P_EEDaS1K_S1L_EUlS1K_E_NS1_11comp_targetILNS1_3genE5ELNS1_11target_archE942ELNS1_3gpuE9ELNS1_3repE0EEENS1_30default_config_static_selectorELNS0_4arch9wavefront6targetE1EEEvSY_
	.p2align	8
	.type	_ZN7rocprim17ROCPRIM_400000_NS6detail17trampoline_kernelINS0_13select_configILj256ELj13ELNS0_17block_load_methodE3ELS4_3ELS4_3ELNS0_20block_scan_algorithmE0ELj4294967295EEENS1_25partition_config_selectorILNS1_17partition_subalgoE3EjNS0_10empty_typeEbEEZZNS1_14partition_implILS8_3ELb0ES6_jNS0_17counting_iteratorIjlEEPS9_SE_NS0_5tupleIJPjSE_EEENSF_IJSE_SE_EEES9_SG_JZNS1_25segmented_radix_sort_implINS0_14default_configELb1EPKaPaPKlPlN2at6native12_GLOBAL__N_18offset_tEEE10hipError_tPvRmT1_PNSt15iterator_traitsISY_E10value_typeET2_T3_PNSZ_IS14_E10value_typeET4_jRbjT5_S1A_jjP12ihipStream_tbEUljE_EEESV_SW_SX_S14_S18_S1A_T6_T7_T9_mT8_S1C_bDpT10_ENKUlT_T0_E_clISt17integral_constantIbLb1EES1P_EEDaS1K_S1L_EUlS1K_E_NS1_11comp_targetILNS1_3genE5ELNS1_11target_archE942ELNS1_3gpuE9ELNS1_3repE0EEENS1_30default_config_static_selectorELNS0_4arch9wavefront6targetE1EEEvSY_,@function
_ZN7rocprim17ROCPRIM_400000_NS6detail17trampoline_kernelINS0_13select_configILj256ELj13ELNS0_17block_load_methodE3ELS4_3ELS4_3ELNS0_20block_scan_algorithmE0ELj4294967295EEENS1_25partition_config_selectorILNS1_17partition_subalgoE3EjNS0_10empty_typeEbEEZZNS1_14partition_implILS8_3ELb0ES6_jNS0_17counting_iteratorIjlEEPS9_SE_NS0_5tupleIJPjSE_EEENSF_IJSE_SE_EEES9_SG_JZNS1_25segmented_radix_sort_implINS0_14default_configELb1EPKaPaPKlPlN2at6native12_GLOBAL__N_18offset_tEEE10hipError_tPvRmT1_PNSt15iterator_traitsISY_E10value_typeET2_T3_PNSZ_IS14_E10value_typeET4_jRbjT5_S1A_jjP12ihipStream_tbEUljE_EEESV_SW_SX_S14_S18_S1A_T6_T7_T9_mT8_S1C_bDpT10_ENKUlT_T0_E_clISt17integral_constantIbLb1EES1P_EEDaS1K_S1L_EUlS1K_E_NS1_11comp_targetILNS1_3genE5ELNS1_11target_archE942ELNS1_3gpuE9ELNS1_3repE0EEENS1_30default_config_static_selectorELNS0_4arch9wavefront6targetE1EEEvSY_: ; @_ZN7rocprim17ROCPRIM_400000_NS6detail17trampoline_kernelINS0_13select_configILj256ELj13ELNS0_17block_load_methodE3ELS4_3ELS4_3ELNS0_20block_scan_algorithmE0ELj4294967295EEENS1_25partition_config_selectorILNS1_17partition_subalgoE3EjNS0_10empty_typeEbEEZZNS1_14partition_implILS8_3ELb0ES6_jNS0_17counting_iteratorIjlEEPS9_SE_NS0_5tupleIJPjSE_EEENSF_IJSE_SE_EEES9_SG_JZNS1_25segmented_radix_sort_implINS0_14default_configELb1EPKaPaPKlPlN2at6native12_GLOBAL__N_18offset_tEEE10hipError_tPvRmT1_PNSt15iterator_traitsISY_E10value_typeET2_T3_PNSZ_IS14_E10value_typeET4_jRbjT5_S1A_jjP12ihipStream_tbEUljE_EEESV_SW_SX_S14_S18_S1A_T6_T7_T9_mT8_S1C_bDpT10_ENKUlT_T0_E_clISt17integral_constantIbLb1EES1P_EEDaS1K_S1L_EUlS1K_E_NS1_11comp_targetILNS1_3genE5ELNS1_11target_archE942ELNS1_3gpuE9ELNS1_3repE0EEENS1_30default_config_static_selectorELNS0_4arch9wavefront6targetE1EEEvSY_
; %bb.0:
	.section	.rodata,"a",@progbits
	.p2align	6, 0x0
	.amdhsa_kernel _ZN7rocprim17ROCPRIM_400000_NS6detail17trampoline_kernelINS0_13select_configILj256ELj13ELNS0_17block_load_methodE3ELS4_3ELS4_3ELNS0_20block_scan_algorithmE0ELj4294967295EEENS1_25partition_config_selectorILNS1_17partition_subalgoE3EjNS0_10empty_typeEbEEZZNS1_14partition_implILS8_3ELb0ES6_jNS0_17counting_iteratorIjlEEPS9_SE_NS0_5tupleIJPjSE_EEENSF_IJSE_SE_EEES9_SG_JZNS1_25segmented_radix_sort_implINS0_14default_configELb1EPKaPaPKlPlN2at6native12_GLOBAL__N_18offset_tEEE10hipError_tPvRmT1_PNSt15iterator_traitsISY_E10value_typeET2_T3_PNSZ_IS14_E10value_typeET4_jRbjT5_S1A_jjP12ihipStream_tbEUljE_EEESV_SW_SX_S14_S18_S1A_T6_T7_T9_mT8_S1C_bDpT10_ENKUlT_T0_E_clISt17integral_constantIbLb1EES1P_EEDaS1K_S1L_EUlS1K_E_NS1_11comp_targetILNS1_3genE5ELNS1_11target_archE942ELNS1_3gpuE9ELNS1_3repE0EEENS1_30default_config_static_selectorELNS0_4arch9wavefront6targetE1EEEvSY_
		.amdhsa_group_segment_fixed_size 0
		.amdhsa_private_segment_fixed_size 0
		.amdhsa_kernarg_size 152
		.amdhsa_user_sgpr_count 6
		.amdhsa_user_sgpr_private_segment_buffer 1
		.amdhsa_user_sgpr_dispatch_ptr 0
		.amdhsa_user_sgpr_queue_ptr 0
		.amdhsa_user_sgpr_kernarg_segment_ptr 1
		.amdhsa_user_sgpr_dispatch_id 0
		.amdhsa_user_sgpr_flat_scratch_init 0
		.amdhsa_user_sgpr_kernarg_preload_length 0
		.amdhsa_user_sgpr_kernarg_preload_offset 0
		.amdhsa_user_sgpr_private_segment_size 0
		.amdhsa_uses_dynamic_stack 0
		.amdhsa_system_sgpr_private_segment_wavefront_offset 0
		.amdhsa_system_sgpr_workgroup_id_x 1
		.amdhsa_system_sgpr_workgroup_id_y 0
		.amdhsa_system_sgpr_workgroup_id_z 0
		.amdhsa_system_sgpr_workgroup_info 0
		.amdhsa_system_vgpr_workitem_id 0
		.amdhsa_next_free_vgpr 1
		.amdhsa_next_free_sgpr 0
		.amdhsa_accum_offset 4
		.amdhsa_reserve_vcc 0
		.amdhsa_reserve_flat_scratch 0
		.amdhsa_float_round_mode_32 0
		.amdhsa_float_round_mode_16_64 0
		.amdhsa_float_denorm_mode_32 3
		.amdhsa_float_denorm_mode_16_64 3
		.amdhsa_dx10_clamp 1
		.amdhsa_ieee_mode 1
		.amdhsa_fp16_overflow 0
		.amdhsa_tg_split 0
		.amdhsa_exception_fp_ieee_invalid_op 0
		.amdhsa_exception_fp_denorm_src 0
		.amdhsa_exception_fp_ieee_div_zero 0
		.amdhsa_exception_fp_ieee_overflow 0
		.amdhsa_exception_fp_ieee_underflow 0
		.amdhsa_exception_fp_ieee_inexact 0
		.amdhsa_exception_int_div_zero 0
	.end_amdhsa_kernel
	.section	.text._ZN7rocprim17ROCPRIM_400000_NS6detail17trampoline_kernelINS0_13select_configILj256ELj13ELNS0_17block_load_methodE3ELS4_3ELS4_3ELNS0_20block_scan_algorithmE0ELj4294967295EEENS1_25partition_config_selectorILNS1_17partition_subalgoE3EjNS0_10empty_typeEbEEZZNS1_14partition_implILS8_3ELb0ES6_jNS0_17counting_iteratorIjlEEPS9_SE_NS0_5tupleIJPjSE_EEENSF_IJSE_SE_EEES9_SG_JZNS1_25segmented_radix_sort_implINS0_14default_configELb1EPKaPaPKlPlN2at6native12_GLOBAL__N_18offset_tEEE10hipError_tPvRmT1_PNSt15iterator_traitsISY_E10value_typeET2_T3_PNSZ_IS14_E10value_typeET4_jRbjT5_S1A_jjP12ihipStream_tbEUljE_EEESV_SW_SX_S14_S18_S1A_T6_T7_T9_mT8_S1C_bDpT10_ENKUlT_T0_E_clISt17integral_constantIbLb1EES1P_EEDaS1K_S1L_EUlS1K_E_NS1_11comp_targetILNS1_3genE5ELNS1_11target_archE942ELNS1_3gpuE9ELNS1_3repE0EEENS1_30default_config_static_selectorELNS0_4arch9wavefront6targetE1EEEvSY_,"axG",@progbits,_ZN7rocprim17ROCPRIM_400000_NS6detail17trampoline_kernelINS0_13select_configILj256ELj13ELNS0_17block_load_methodE3ELS4_3ELS4_3ELNS0_20block_scan_algorithmE0ELj4294967295EEENS1_25partition_config_selectorILNS1_17partition_subalgoE3EjNS0_10empty_typeEbEEZZNS1_14partition_implILS8_3ELb0ES6_jNS0_17counting_iteratorIjlEEPS9_SE_NS0_5tupleIJPjSE_EEENSF_IJSE_SE_EEES9_SG_JZNS1_25segmented_radix_sort_implINS0_14default_configELb1EPKaPaPKlPlN2at6native12_GLOBAL__N_18offset_tEEE10hipError_tPvRmT1_PNSt15iterator_traitsISY_E10value_typeET2_T3_PNSZ_IS14_E10value_typeET4_jRbjT5_S1A_jjP12ihipStream_tbEUljE_EEESV_SW_SX_S14_S18_S1A_T6_T7_T9_mT8_S1C_bDpT10_ENKUlT_T0_E_clISt17integral_constantIbLb1EES1P_EEDaS1K_S1L_EUlS1K_E_NS1_11comp_targetILNS1_3genE5ELNS1_11target_archE942ELNS1_3gpuE9ELNS1_3repE0EEENS1_30default_config_static_selectorELNS0_4arch9wavefront6targetE1EEEvSY_,comdat
.Lfunc_end267:
	.size	_ZN7rocprim17ROCPRIM_400000_NS6detail17trampoline_kernelINS0_13select_configILj256ELj13ELNS0_17block_load_methodE3ELS4_3ELS4_3ELNS0_20block_scan_algorithmE0ELj4294967295EEENS1_25partition_config_selectorILNS1_17partition_subalgoE3EjNS0_10empty_typeEbEEZZNS1_14partition_implILS8_3ELb0ES6_jNS0_17counting_iteratorIjlEEPS9_SE_NS0_5tupleIJPjSE_EEENSF_IJSE_SE_EEES9_SG_JZNS1_25segmented_radix_sort_implINS0_14default_configELb1EPKaPaPKlPlN2at6native12_GLOBAL__N_18offset_tEEE10hipError_tPvRmT1_PNSt15iterator_traitsISY_E10value_typeET2_T3_PNSZ_IS14_E10value_typeET4_jRbjT5_S1A_jjP12ihipStream_tbEUljE_EEESV_SW_SX_S14_S18_S1A_T6_T7_T9_mT8_S1C_bDpT10_ENKUlT_T0_E_clISt17integral_constantIbLb1EES1P_EEDaS1K_S1L_EUlS1K_E_NS1_11comp_targetILNS1_3genE5ELNS1_11target_archE942ELNS1_3gpuE9ELNS1_3repE0EEENS1_30default_config_static_selectorELNS0_4arch9wavefront6targetE1EEEvSY_, .Lfunc_end267-_ZN7rocprim17ROCPRIM_400000_NS6detail17trampoline_kernelINS0_13select_configILj256ELj13ELNS0_17block_load_methodE3ELS4_3ELS4_3ELNS0_20block_scan_algorithmE0ELj4294967295EEENS1_25partition_config_selectorILNS1_17partition_subalgoE3EjNS0_10empty_typeEbEEZZNS1_14partition_implILS8_3ELb0ES6_jNS0_17counting_iteratorIjlEEPS9_SE_NS0_5tupleIJPjSE_EEENSF_IJSE_SE_EEES9_SG_JZNS1_25segmented_radix_sort_implINS0_14default_configELb1EPKaPaPKlPlN2at6native12_GLOBAL__N_18offset_tEEE10hipError_tPvRmT1_PNSt15iterator_traitsISY_E10value_typeET2_T3_PNSZ_IS14_E10value_typeET4_jRbjT5_S1A_jjP12ihipStream_tbEUljE_EEESV_SW_SX_S14_S18_S1A_T6_T7_T9_mT8_S1C_bDpT10_ENKUlT_T0_E_clISt17integral_constantIbLb1EES1P_EEDaS1K_S1L_EUlS1K_E_NS1_11comp_targetILNS1_3genE5ELNS1_11target_archE942ELNS1_3gpuE9ELNS1_3repE0EEENS1_30default_config_static_selectorELNS0_4arch9wavefront6targetE1EEEvSY_
                                        ; -- End function
	.section	.AMDGPU.csdata,"",@progbits
; Kernel info:
; codeLenInByte = 0
; NumSgprs: 4
; NumVgprs: 0
; NumAgprs: 0
; TotalNumVgprs: 0
; ScratchSize: 0
; MemoryBound: 0
; FloatMode: 240
; IeeeMode: 1
; LDSByteSize: 0 bytes/workgroup (compile time only)
; SGPRBlocks: 0
; VGPRBlocks: 0
; NumSGPRsForWavesPerEU: 4
; NumVGPRsForWavesPerEU: 1
; AccumOffset: 4
; Occupancy: 8
; WaveLimiterHint : 0
; COMPUTE_PGM_RSRC2:SCRATCH_EN: 0
; COMPUTE_PGM_RSRC2:USER_SGPR: 6
; COMPUTE_PGM_RSRC2:TRAP_HANDLER: 0
; COMPUTE_PGM_RSRC2:TGID_X_EN: 1
; COMPUTE_PGM_RSRC2:TGID_Y_EN: 0
; COMPUTE_PGM_RSRC2:TGID_Z_EN: 0
; COMPUTE_PGM_RSRC2:TIDIG_COMP_CNT: 0
; COMPUTE_PGM_RSRC3_GFX90A:ACCUM_OFFSET: 0
; COMPUTE_PGM_RSRC3_GFX90A:TG_SPLIT: 0
	.section	.text._ZN7rocprim17ROCPRIM_400000_NS6detail17trampoline_kernelINS0_13select_configILj256ELj13ELNS0_17block_load_methodE3ELS4_3ELS4_3ELNS0_20block_scan_algorithmE0ELj4294967295EEENS1_25partition_config_selectorILNS1_17partition_subalgoE3EjNS0_10empty_typeEbEEZZNS1_14partition_implILS8_3ELb0ES6_jNS0_17counting_iteratorIjlEEPS9_SE_NS0_5tupleIJPjSE_EEENSF_IJSE_SE_EEES9_SG_JZNS1_25segmented_radix_sort_implINS0_14default_configELb1EPKaPaPKlPlN2at6native12_GLOBAL__N_18offset_tEEE10hipError_tPvRmT1_PNSt15iterator_traitsISY_E10value_typeET2_T3_PNSZ_IS14_E10value_typeET4_jRbjT5_S1A_jjP12ihipStream_tbEUljE_EEESV_SW_SX_S14_S18_S1A_T6_T7_T9_mT8_S1C_bDpT10_ENKUlT_T0_E_clISt17integral_constantIbLb1EES1P_EEDaS1K_S1L_EUlS1K_E_NS1_11comp_targetILNS1_3genE4ELNS1_11target_archE910ELNS1_3gpuE8ELNS1_3repE0EEENS1_30default_config_static_selectorELNS0_4arch9wavefront6targetE1EEEvSY_,"axG",@progbits,_ZN7rocprim17ROCPRIM_400000_NS6detail17trampoline_kernelINS0_13select_configILj256ELj13ELNS0_17block_load_methodE3ELS4_3ELS4_3ELNS0_20block_scan_algorithmE0ELj4294967295EEENS1_25partition_config_selectorILNS1_17partition_subalgoE3EjNS0_10empty_typeEbEEZZNS1_14partition_implILS8_3ELb0ES6_jNS0_17counting_iteratorIjlEEPS9_SE_NS0_5tupleIJPjSE_EEENSF_IJSE_SE_EEES9_SG_JZNS1_25segmented_radix_sort_implINS0_14default_configELb1EPKaPaPKlPlN2at6native12_GLOBAL__N_18offset_tEEE10hipError_tPvRmT1_PNSt15iterator_traitsISY_E10value_typeET2_T3_PNSZ_IS14_E10value_typeET4_jRbjT5_S1A_jjP12ihipStream_tbEUljE_EEESV_SW_SX_S14_S18_S1A_T6_T7_T9_mT8_S1C_bDpT10_ENKUlT_T0_E_clISt17integral_constantIbLb1EES1P_EEDaS1K_S1L_EUlS1K_E_NS1_11comp_targetILNS1_3genE4ELNS1_11target_archE910ELNS1_3gpuE8ELNS1_3repE0EEENS1_30default_config_static_selectorELNS0_4arch9wavefront6targetE1EEEvSY_,comdat
	.globl	_ZN7rocprim17ROCPRIM_400000_NS6detail17trampoline_kernelINS0_13select_configILj256ELj13ELNS0_17block_load_methodE3ELS4_3ELS4_3ELNS0_20block_scan_algorithmE0ELj4294967295EEENS1_25partition_config_selectorILNS1_17partition_subalgoE3EjNS0_10empty_typeEbEEZZNS1_14partition_implILS8_3ELb0ES6_jNS0_17counting_iteratorIjlEEPS9_SE_NS0_5tupleIJPjSE_EEENSF_IJSE_SE_EEES9_SG_JZNS1_25segmented_radix_sort_implINS0_14default_configELb1EPKaPaPKlPlN2at6native12_GLOBAL__N_18offset_tEEE10hipError_tPvRmT1_PNSt15iterator_traitsISY_E10value_typeET2_T3_PNSZ_IS14_E10value_typeET4_jRbjT5_S1A_jjP12ihipStream_tbEUljE_EEESV_SW_SX_S14_S18_S1A_T6_T7_T9_mT8_S1C_bDpT10_ENKUlT_T0_E_clISt17integral_constantIbLb1EES1P_EEDaS1K_S1L_EUlS1K_E_NS1_11comp_targetILNS1_3genE4ELNS1_11target_archE910ELNS1_3gpuE8ELNS1_3repE0EEENS1_30default_config_static_selectorELNS0_4arch9wavefront6targetE1EEEvSY_ ; -- Begin function _ZN7rocprim17ROCPRIM_400000_NS6detail17trampoline_kernelINS0_13select_configILj256ELj13ELNS0_17block_load_methodE3ELS4_3ELS4_3ELNS0_20block_scan_algorithmE0ELj4294967295EEENS1_25partition_config_selectorILNS1_17partition_subalgoE3EjNS0_10empty_typeEbEEZZNS1_14partition_implILS8_3ELb0ES6_jNS0_17counting_iteratorIjlEEPS9_SE_NS0_5tupleIJPjSE_EEENSF_IJSE_SE_EEES9_SG_JZNS1_25segmented_radix_sort_implINS0_14default_configELb1EPKaPaPKlPlN2at6native12_GLOBAL__N_18offset_tEEE10hipError_tPvRmT1_PNSt15iterator_traitsISY_E10value_typeET2_T3_PNSZ_IS14_E10value_typeET4_jRbjT5_S1A_jjP12ihipStream_tbEUljE_EEESV_SW_SX_S14_S18_S1A_T6_T7_T9_mT8_S1C_bDpT10_ENKUlT_T0_E_clISt17integral_constantIbLb1EES1P_EEDaS1K_S1L_EUlS1K_E_NS1_11comp_targetILNS1_3genE4ELNS1_11target_archE910ELNS1_3gpuE8ELNS1_3repE0EEENS1_30default_config_static_selectorELNS0_4arch9wavefront6targetE1EEEvSY_
	.p2align	8
	.type	_ZN7rocprim17ROCPRIM_400000_NS6detail17trampoline_kernelINS0_13select_configILj256ELj13ELNS0_17block_load_methodE3ELS4_3ELS4_3ELNS0_20block_scan_algorithmE0ELj4294967295EEENS1_25partition_config_selectorILNS1_17partition_subalgoE3EjNS0_10empty_typeEbEEZZNS1_14partition_implILS8_3ELb0ES6_jNS0_17counting_iteratorIjlEEPS9_SE_NS0_5tupleIJPjSE_EEENSF_IJSE_SE_EEES9_SG_JZNS1_25segmented_radix_sort_implINS0_14default_configELb1EPKaPaPKlPlN2at6native12_GLOBAL__N_18offset_tEEE10hipError_tPvRmT1_PNSt15iterator_traitsISY_E10value_typeET2_T3_PNSZ_IS14_E10value_typeET4_jRbjT5_S1A_jjP12ihipStream_tbEUljE_EEESV_SW_SX_S14_S18_S1A_T6_T7_T9_mT8_S1C_bDpT10_ENKUlT_T0_E_clISt17integral_constantIbLb1EES1P_EEDaS1K_S1L_EUlS1K_E_NS1_11comp_targetILNS1_3genE4ELNS1_11target_archE910ELNS1_3gpuE8ELNS1_3repE0EEENS1_30default_config_static_selectorELNS0_4arch9wavefront6targetE1EEEvSY_,@function
_ZN7rocprim17ROCPRIM_400000_NS6detail17trampoline_kernelINS0_13select_configILj256ELj13ELNS0_17block_load_methodE3ELS4_3ELS4_3ELNS0_20block_scan_algorithmE0ELj4294967295EEENS1_25partition_config_selectorILNS1_17partition_subalgoE3EjNS0_10empty_typeEbEEZZNS1_14partition_implILS8_3ELb0ES6_jNS0_17counting_iteratorIjlEEPS9_SE_NS0_5tupleIJPjSE_EEENSF_IJSE_SE_EEES9_SG_JZNS1_25segmented_radix_sort_implINS0_14default_configELb1EPKaPaPKlPlN2at6native12_GLOBAL__N_18offset_tEEE10hipError_tPvRmT1_PNSt15iterator_traitsISY_E10value_typeET2_T3_PNSZ_IS14_E10value_typeET4_jRbjT5_S1A_jjP12ihipStream_tbEUljE_EEESV_SW_SX_S14_S18_S1A_T6_T7_T9_mT8_S1C_bDpT10_ENKUlT_T0_E_clISt17integral_constantIbLb1EES1P_EEDaS1K_S1L_EUlS1K_E_NS1_11comp_targetILNS1_3genE4ELNS1_11target_archE910ELNS1_3gpuE8ELNS1_3repE0EEENS1_30default_config_static_selectorELNS0_4arch9wavefront6targetE1EEEvSY_: ; @_ZN7rocprim17ROCPRIM_400000_NS6detail17trampoline_kernelINS0_13select_configILj256ELj13ELNS0_17block_load_methodE3ELS4_3ELS4_3ELNS0_20block_scan_algorithmE0ELj4294967295EEENS1_25partition_config_selectorILNS1_17partition_subalgoE3EjNS0_10empty_typeEbEEZZNS1_14partition_implILS8_3ELb0ES6_jNS0_17counting_iteratorIjlEEPS9_SE_NS0_5tupleIJPjSE_EEENSF_IJSE_SE_EEES9_SG_JZNS1_25segmented_radix_sort_implINS0_14default_configELb1EPKaPaPKlPlN2at6native12_GLOBAL__N_18offset_tEEE10hipError_tPvRmT1_PNSt15iterator_traitsISY_E10value_typeET2_T3_PNSZ_IS14_E10value_typeET4_jRbjT5_S1A_jjP12ihipStream_tbEUljE_EEESV_SW_SX_S14_S18_S1A_T6_T7_T9_mT8_S1C_bDpT10_ENKUlT_T0_E_clISt17integral_constantIbLb1EES1P_EEDaS1K_S1L_EUlS1K_E_NS1_11comp_targetILNS1_3genE4ELNS1_11target_archE910ELNS1_3gpuE8ELNS1_3repE0EEENS1_30default_config_static_selectorELNS0_4arch9wavefront6targetE1EEEvSY_
; %bb.0:
	s_load_dwordx2 s[28:29], s[4:5], 0x10
	s_load_dwordx2 s[24:25], s[4:5], 0x28
	;; [unrolled: 1-line block ×3, first 2 shown]
	s_load_dwordx4 s[20:23], s[4:5], 0x48
	s_load_dword s14, s[4:5], 0x90
	s_load_dwordx2 s[30:31], s[4:5], 0x68
	s_load_dwordx4 s[8:11], s[4:5], 0x80
	v_cmp_eq_u32_e64 s[0:1], 0, v0
	s_and_saveexec_b64 s[2:3], s[0:1]
	s_cbranch_execz .LBB268_4
; %bb.1:
	s_mov_b64 s[12:13], exec
	v_mbcnt_lo_u32_b32 v1, s12, 0
	v_mbcnt_hi_u32_b32 v1, s13, v1
	v_cmp_eq_u32_e32 vcc, 0, v1
                                        ; implicit-def: $vgpr2
	s_and_saveexec_b64 s[6:7], vcc
	s_cbranch_execz .LBB268_3
; %bb.2:
	s_load_dwordx2 s[16:17], s[4:5], 0x78
	s_bcnt1_i32_b64 s12, s[12:13]
	v_mov_b32_e32 v2, 0
	v_mov_b32_e32 v3, s12
	s_waitcnt lgkmcnt(0)
	global_atomic_add v2, v2, v3, s[16:17] glc
.LBB268_3:
	s_or_b64 exec, exec, s[6:7]
	s_waitcnt vmcnt(0)
	v_readfirstlane_b32 s6, v2
	v_add_u32_e32 v1, s6, v1
	v_mov_b32_e32 v2, 0
	ds_write_b32 v2, v1
.LBB268_4:
	s_or_b64 exec, exec, s[2:3]
	v_mov_b32_e32 v1, 0
	s_load_dword s2, s[4:5], 0x8
	s_load_dword s6, s[4:5], 0x70
	s_waitcnt lgkmcnt(0)
	s_barrier
	ds_read_b32 v2, v1
	s_waitcnt lgkmcnt(0)
	s_barrier
	global_load_dwordx2 v[20:21], v1, s[22:23]
	s_add_i32 s7, s2, s28
	s_movk_i32 s2, 0xd00
	s_add_i32 s4, s6, -1
	s_mulk_i32 s6, 0xd00
	v_mul_lo_u32 v1, v2, s2
	s_add_u32 s2, s28, s6
	v_readfirstlane_b32 s40, v2
	s_addc_u32 s3, s29, 0
	s_cmp_eq_u32 s40, s4
	v_pk_mov_b32 v[2:3], s[26:27], s[26:27] op_sel:[0,1]
	s_cselect_b64 s[22:23], -1, 0
	s_cmp_lg_u32 s40, s4
	v_cmp_lt_u64_e32 vcc, s[2:3], v[2:3]
	s_cselect_b64 s[2:3], -1, 0
	s_or_b64 s[4:5], vcc, s[2:3]
	v_add_u32_e32 v2, s7, v1
	s_mov_b64 s[2:3], -1
	s_and_b64 vcc, exec, s[4:5]
	v_add_u32_e32 v2, v2, v0
	v_lshlrev_b32_e32 v34, 2, v0
	s_cbranch_vccz .LBB268_6
; %bb.5:
	v_add_u32_e32 v3, 0x100, v2
	v_add_u32_e32 v4, 0x200, v2
	;; [unrolled: 1-line block ×12, first 2 shown]
	ds_write2st64_b32 v34, v2, v3 offset1:4
	ds_write2st64_b32 v34, v4, v5 offset0:8 offset1:12
	ds_write2st64_b32 v34, v6, v7 offset0:16 offset1:20
	;; [unrolled: 1-line block ×5, first 2 shown]
	ds_write_b32 v34, v14 offset:12288
	s_waitcnt lgkmcnt(0)
	s_barrier
	s_mov_b64 s[2:3], 0
.LBB268_6:
	s_andn2_b64 vcc, exec, s[2:3]
	s_add_i32 s6, s6, s28
	s_cbranch_vccnz .LBB268_8
; %bb.7:
	v_add_u32_e32 v3, 0x100, v2
	v_add_u32_e32 v4, 0x200, v2
	;; [unrolled: 1-line block ×12, first 2 shown]
	ds_write2st64_b32 v34, v2, v3 offset1:4
	ds_write2st64_b32 v34, v4, v5 offset0:8 offset1:12
	ds_write2st64_b32 v34, v6, v7 offset0:16 offset1:20
	;; [unrolled: 1-line block ×5, first 2 shown]
	ds_write_b32 v34, v14 offset:12288
	s_waitcnt lgkmcnt(0)
	s_barrier
.LBB268_8:
	v_mul_u32_u24_e32 v36, 13, v0
	v_lshlrev_b32_e32 v2, 2, v36
	ds_read2_b32 v[32:33], v2 offset1:1
	ds_read2_b32 v[30:31], v2 offset0:2 offset1:3
	ds_read2_b32 v[28:29], v2 offset0:4 offset1:5
	;; [unrolled: 1-line block ×5, first 2 shown]
	ds_read_b32 v35, v2 offset:48
	v_cndmask_b32_e64 v2, 0, 1, s[4:5]
	s_sub_i32 s33, s26, s6
	v_cmp_ne_u32_e64 s[2:3], 1, v2
	s_andn2_b64 vcc, exec, s[4:5]
	s_waitcnt lgkmcnt(0)
	s_barrier
	s_cbranch_vccnz .LBB268_10
; %bb.9:
	v_add_u32_e32 v2, s9, v32
	v_add_u32_e32 v3, s11, v32
	v_mul_lo_u32 v2, v2, s8
	v_mul_lo_u32 v3, v3, s10
	v_sub_u32_e32 v2, v2, v3
	v_add_u32_e32 v3, s9, v33
	v_add_u32_e32 v4, s11, v33
	v_mul_lo_u32 v3, v3, s8
	v_mul_lo_u32 v4, v4, s10
	v_sub_u32_e32 v3, v3, v4
	;; [unrolled: 5-line block ×6, first 2 shown]
	v_add_u32_e32 v8, s9, v26
	v_add_u32_e32 v9, s11, v26
	v_mul_lo_u32 v8, v8, s8
	v_mul_lo_u32 v9, v9, s10
	v_cmp_lt_u32_e32 vcc, s14, v2
	v_sub_u32_e32 v8, v8, v9
	v_add_u32_e32 v9, s9, v27
	v_add_u32_e32 v10, s11, v27
	v_cndmask_b32_e64 v2, 0, 1, vcc
	v_cmp_lt_u32_e32 vcc, s14, v3
	v_mul_lo_u32 v9, v9, s8
	v_mul_lo_u32 v10, v10, s10
	v_cndmask_b32_e64 v3, 0, 1, vcc
	v_cmp_lt_u32_e32 vcc, s14, v4
	v_sub_u32_e32 v9, v9, v10
	v_add_u32_e32 v10, s9, v24
	v_add_u32_e32 v11, s11, v24
	v_cndmask_b32_e64 v4, 0, 1, vcc
	v_cmp_lt_u32_e32 vcc, s14, v5
	v_mul_lo_u32 v10, v10, s8
	v_mul_lo_u32 v11, v11, s10
	v_cndmask_b32_e64 v5, 0, 1, vcc
	;; [unrolled: 9-line block ×4, first 2 shown]
	v_cmp_lt_u32_e32 vcc, s14, v10
	v_sub_u32_e32 v12, v12, v13
	v_add_u32_e32 v13, s9, v23
	v_add_u32_e32 v14, s11, v23
	v_lshlrev_b16_e32 v3, 8, v3
	v_cndmask_b32_e64 v10, 0, 1, vcc
	v_cmp_lt_u32_e32 vcc, s14, v11
	v_mul_lo_u32 v13, v13, s8
	v_mul_lo_u32 v14, v14, s10
	v_or_b32_e32 v2, v2, v3
	v_lshlrev_b16_e32 v3, 8, v5
	v_cndmask_b32_e64 v11, 0, 1, vcc
	v_cmp_lt_u32_e32 vcc, s14, v12
	v_sub_u32_e32 v13, v13, v14
	v_or_b32_sdwa v3, v4, v3 dst_sel:WORD_1 dst_unused:UNUSED_PAD src0_sel:DWORD src1_sel:DWORD
	v_cndmask_b32_e64 v12, 0, 1, vcc
	v_cmp_lt_u32_e32 vcc, s14, v13
	v_add_u32_e32 v14, s9, v35
	v_add_u32_e32 v15, s11, v35
	v_or_b32_sdwa v40, v2, v3 dst_sel:DWORD dst_unused:UNUSED_PAD src0_sel:WORD_0 src1_sel:DWORD
	v_lshlrev_b16_e32 v2, 8, v7
	v_lshlrev_b16_e32 v3, 8, v9
	v_cndmask_b32_e64 v13, 0, 1, vcc
	v_mul_lo_u32 v14, v14, s8
	v_mul_lo_u32 v15, v15, s10
	v_or_b32_e32 v2, v6, v2
	v_or_b32_sdwa v3, v8, v3 dst_sel:WORD_1 dst_unused:UNUSED_PAD src0_sel:DWORD src1_sel:DWORD
	v_sub_u32_e32 v14, v14, v15
	v_or_b32_sdwa v39, v2, v3 dst_sel:DWORD dst_unused:UNUSED_PAD src0_sel:WORD_0 src1_sel:DWORD
	v_lshlrev_b16_e32 v2, 8, v11
	v_lshlrev_b16_e32 v3, 8, v13
	v_cmp_lt_u32_e32 vcc, s14, v14
	v_or_b32_e32 v2, v10, v2
	v_or_b32_sdwa v3, v12, v3 dst_sel:WORD_1 dst_unused:UNUSED_PAD src0_sel:DWORD src1_sel:DWORD
	v_cndmask_b32_e64 v37, 0, 1, vcc
	v_or_b32_sdwa v38, v2, v3 dst_sel:DWORD dst_unused:UNUSED_PAD src0_sel:WORD_0 src1_sel:DWORD
	s_addk_i32 s33, 0xd00
	s_cbranch_execz .LBB268_11
	s_branch .LBB268_38
.LBB268_10:
                                        ; implicit-def: $vgpr37
                                        ; implicit-def: $vgpr38
                                        ; implicit-def: $vgpr39
                                        ; implicit-def: $vgpr40
	s_addk_i32 s33, 0xd00
.LBB268_11:
	v_cmp_gt_u32_e32 vcc, s33, v36
	v_mov_b32_e32 v3, 0
	v_mov_b32_e32 v2, 0
	s_and_saveexec_b64 s[4:5], vcc
; %bb.12:
	v_add_u32_e32 v2, s9, v32
	v_add_u32_e32 v4, s11, v32
	v_mul_lo_u32 v2, v2, s8
	v_mul_lo_u32 v4, v4, s10
	v_sub_u32_e32 v2, v2, v4
	v_cmp_lt_u32_e32 vcc, s14, v2
	v_cndmask_b32_e64 v2, 0, 1, vcc
; %bb.13:
	s_or_b64 exec, exec, s[4:5]
	v_add_u32_e32 v4, 1, v36
	v_cmp_gt_u32_e32 vcc, s33, v4
	s_and_saveexec_b64 s[4:5], vcc
; %bb.14:
	v_add_u32_e32 v3, s9, v33
	v_add_u32_e32 v4, s11, v33
	v_mul_lo_u32 v3, v3, s8
	v_mul_lo_u32 v4, v4, s10
	v_sub_u32_e32 v3, v3, v4
	v_cmp_lt_u32_e32 vcc, s14, v3
	v_cndmask_b32_e64 v3, 0, 1, vcc
; %bb.15:
	s_or_b64 exec, exec, s[4:5]
	v_add_u32_e32 v4, 2, v36
	v_cmp_gt_u32_e32 vcc, s33, v4
	v_mov_b32_e32 v5, 0
	v_mov_b32_e32 v4, 0
	s_and_saveexec_b64 s[4:5], vcc
; %bb.16:
	v_add_u32_e32 v4, s9, v30
	v_add_u32_e32 v6, s11, v30
	v_mul_lo_u32 v4, v4, s8
	v_mul_lo_u32 v6, v6, s10
	v_sub_u32_e32 v4, v4, v6
	v_cmp_lt_u32_e32 vcc, s14, v4
	v_cndmask_b32_e64 v4, 0, 1, vcc
; %bb.17:
	s_or_b64 exec, exec, s[4:5]
	v_add_u32_e32 v6, 3, v36
	v_cmp_gt_u32_e32 vcc, s33, v6
	s_and_saveexec_b64 s[4:5], vcc
; %bb.18:
	v_add_u32_e32 v5, s9, v31
	v_add_u32_e32 v6, s11, v31
	v_mul_lo_u32 v5, v5, s8
	v_mul_lo_u32 v6, v6, s10
	v_sub_u32_e32 v5, v5, v6
	v_cmp_lt_u32_e32 vcc, s14, v5
	v_cndmask_b32_e64 v5, 0, 1, vcc
; %bb.19:
	s_or_b64 exec, exec, s[4:5]
	v_add_u32_e32 v6, 4, v36
	;; [unrolled: 28-line block ×6, first 2 shown]
	v_cmp_gt_u32_e32 vcc, s33, v14
	v_mov_b32_e32 v37, 0
	s_and_saveexec_b64 s[4:5], vcc
; %bb.36:
	v_add_u32_e32 v14, s9, v35
	v_add_u32_e32 v15, s11, v35
	v_mul_lo_u32 v14, v14, s8
	v_mul_lo_u32 v15, v15, s10
	v_sub_u32_e32 v14, v14, v15
	v_cmp_lt_u32_e32 vcc, s14, v14
	v_cndmask_b32_e64 v37, 0, 1, vcc
; %bb.37:
	s_or_b64 exec, exec, s[4:5]
	v_lshlrev_b16_e32 v3, 8, v3
	v_or_b32_e32 v2, v2, v3
	v_lshlrev_b16_e32 v3, 8, v5
	v_or_b32_sdwa v3, v4, v3 dst_sel:WORD_1 dst_unused:UNUSED_PAD src0_sel:DWORD src1_sel:DWORD
	v_or_b32_sdwa v40, v2, v3 dst_sel:DWORD dst_unused:UNUSED_PAD src0_sel:WORD_0 src1_sel:DWORD
	v_lshlrev_b16_e32 v2, 8, v7
	v_lshlrev_b16_e32 v3, 8, v9
	v_or_b32_e32 v2, v6, v2
	v_or_b32_sdwa v3, v8, v3 dst_sel:WORD_1 dst_unused:UNUSED_PAD src0_sel:DWORD src1_sel:DWORD
	v_or_b32_sdwa v39, v2, v3 dst_sel:DWORD dst_unused:UNUSED_PAD src0_sel:WORD_0 src1_sel:DWORD
	v_lshlrev_b16_e32 v2, 8, v11
	v_lshlrev_b16_e32 v3, 8, v13
	v_or_b32_e32 v2, v10, v2
	v_or_b32_sdwa v3, v12, v3 dst_sel:WORD_1 dst_unused:UNUSED_PAD src0_sel:DWORD src1_sel:DWORD
	v_or_b32_sdwa v38, v2, v3 dst_sel:DWORD dst_unused:UNUSED_PAD src0_sel:WORD_0 src1_sel:DWORD
.LBB268_38:
	v_and_b32_e32 v44, 0xff, v40
	v_bfe_u32 v45, v40, 8, 8
	v_bfe_u32 v46, v40, 16, 8
	v_lshrrev_b32_e32 v43, 24, v40
	v_and_b32_e32 v47, 0xff, v39
	v_add3_u32 v3, v45, v44, v46
	v_bfe_u32 v48, v39, 8, 8
	v_bfe_u32 v49, v39, 16, 8
	v_add3_u32 v3, v3, v43, v47
	v_lshrrev_b32_e32 v42, 24, v39
	v_and_b32_e32 v50, 0xff, v38
	v_add3_u32 v3, v3, v48, v49
	v_bfe_u32 v51, v38, 8, 8
	v_bfe_u32 v52, v38, 16, 8
	v_add3_u32 v3, v3, v42, v50
	v_lshrrev_b32_e32 v41, 24, v38
	v_and_b32_e32 v2, 0xff, v37
	v_add3_u32 v3, v3, v51, v52
	v_add3_u32 v55, v3, v41, v2
	v_mbcnt_lo_u32_b32 v2, -1, 0
	v_mbcnt_hi_u32_b32 v53, -1, v2
	v_and_b32_e32 v2, 15, v53
	v_cmp_eq_u32_e64 s[16:17], 0, v2
	v_cmp_lt_u32_e64 s[14:15], 1, v2
	v_cmp_lt_u32_e64 s[12:13], 3, v2
	;; [unrolled: 1-line block ×3, first 2 shown]
	v_and_b32_e32 v2, 16, v53
	v_cmp_eq_u32_e64 s[8:9], 0, v2
	v_or_b32_e32 v2, 63, v0
	s_cmp_lg_u32 s40, 0
	v_cmp_lt_u32_e64 s[4:5], 31, v53
	v_lshrrev_b32_e32 v54, 6, v0
	v_cmp_eq_u32_e64 s[6:7], v2, v0
	s_cbranch_scc0 .LBB268_69
; %bb.39:
	v_mov_b32_dpp v2, v55 row_shr:1 row_mask:0xf bank_mask:0xf
	v_cndmask_b32_e64 v2, v2, 0, s[16:17]
	v_add_u32_e32 v2, v2, v55
	s_nop 1
	v_mov_b32_dpp v3, v2 row_shr:2 row_mask:0xf bank_mask:0xf
	v_cndmask_b32_e64 v3, 0, v3, s[14:15]
	v_add_u32_e32 v2, v2, v3
	s_nop 1
	v_mov_b32_dpp v3, v2 row_shr:4 row_mask:0xf bank_mask:0xf
	v_cndmask_b32_e64 v3, 0, v3, s[12:13]
	v_add_u32_e32 v2, v2, v3
	s_nop 1
	v_mov_b32_dpp v3, v2 row_shr:8 row_mask:0xf bank_mask:0xf
	v_cndmask_b32_e64 v3, 0, v3, s[10:11]
	v_add_u32_e32 v2, v2, v3
	s_nop 1
	v_mov_b32_dpp v3, v2 row_bcast:15 row_mask:0xf bank_mask:0xf
	v_cndmask_b32_e64 v3, v3, 0, s[8:9]
	v_add_u32_e32 v2, v2, v3
	s_nop 1
	v_mov_b32_dpp v3, v2 row_bcast:31 row_mask:0xf bank_mask:0xf
	v_cndmask_b32_e64 v3, 0, v3, s[4:5]
	v_add_u32_e32 v2, v2, v3
	s_and_saveexec_b64 s[18:19], s[6:7]
	s_cbranch_execz .LBB268_41
; %bb.40:
	v_lshlrev_b32_e32 v3, 2, v54
	ds_write_b32 v3, v2
.LBB268_41:
	s_or_b64 exec, exec, s[18:19]
	v_cmp_gt_u32_e32 vcc, 4, v0
	s_waitcnt lgkmcnt(0)
	s_barrier
	s_and_saveexec_b64 s[18:19], vcc
	s_cbranch_execz .LBB268_43
; %bb.42:
	ds_read_b32 v3, v34
	v_and_b32_e32 v4, 3, v53
	v_cmp_ne_u32_e32 vcc, 0, v4
	s_waitcnt lgkmcnt(0)
	v_mov_b32_dpp v5, v3 row_shr:1 row_mask:0xf bank_mask:0xf
	v_cndmask_b32_e32 v5, 0, v5, vcc
	v_add_u32_e32 v3, v5, v3
	v_cmp_lt_u32_e32 vcc, 1, v4
	s_nop 0
	v_mov_b32_dpp v5, v3 row_shr:2 row_mask:0xf bank_mask:0xf
	v_cndmask_b32_e32 v4, 0, v5, vcc
	v_add_u32_e32 v3, v3, v4
	ds_write_b32 v34, v3
.LBB268_43:
	s_or_b64 exec, exec, s[18:19]
	v_cmp_gt_u32_e32 vcc, 64, v0
	v_cmp_lt_u32_e64 s[18:19], 63, v0
	s_waitcnt lgkmcnt(0)
	s_barrier
	s_waitcnt lgkmcnt(0)
                                        ; implicit-def: $vgpr12
	s_and_saveexec_b64 s[34:35], s[18:19]
	s_cbranch_execz .LBB268_45
; %bb.44:
	v_lshl_add_u32 v3, v54, 2, -4
	ds_read_b32 v12, v3
	s_waitcnt lgkmcnt(0)
	v_add_u32_e32 v2, v12, v2
.LBB268_45:
	s_or_b64 exec, exec, s[34:35]
	v_add_u32_e32 v3, -1, v53
	v_and_b32_e32 v4, 64, v53
	v_cmp_lt_i32_e64 s[18:19], v3, v4
	v_cndmask_b32_e64 v3, v3, v53, s[18:19]
	v_lshlrev_b32_e32 v3, 2, v3
	ds_bpermute_b32 v13, v3, v2
	v_cmp_eq_u32_e64 s[18:19], 0, v53
	s_and_saveexec_b64 s[34:35], vcc
	s_cbranch_execz .LBB268_68
; %bb.46:
	v_mov_b32_e32 v11, 0
	ds_read_b32 v2, v11 offset:12
	s_and_saveexec_b64 s[36:37], s[18:19]
	s_cbranch_execz .LBB268_48
; %bb.47:
	s_add_i32 s38, s40, 64
	s_mov_b32 s39, 0
	s_lshl_b64 s[38:39], s[38:39], 3
	s_add_u32 s38, s30, s38
	v_mov_b32_e32 v3, 1
	s_addc_u32 s39, s31, s39
	s_waitcnt lgkmcnt(0)
	global_store_dwordx2 v11, v[2:3], s[38:39]
.LBB268_48:
	s_or_b64 exec, exec, s[36:37]
	v_xad_u32 v4, v53, -1, s40
	v_add_u32_e32 v10, 64, v4
	v_lshlrev_b64 v[6:7], 3, v[10:11]
	v_mov_b32_e32 v3, s31
	v_add_co_u32_e32 v6, vcc, s30, v6
	v_addc_co_u32_e32 v7, vcc, v3, v7, vcc
	global_load_dwordx2 v[8:9], v[6:7], off glc
	s_waitcnt vmcnt(0)
	v_cmp_eq_u16_sdwa s[38:39], v9, v11 src0_sel:BYTE_0 src1_sel:DWORD
	s_and_saveexec_b64 s[36:37], s[38:39]
	s_cbranch_execz .LBB268_54
; %bb.49:
	s_mov_b32 s41, 1
	s_mov_b64 s[38:39], 0
	v_mov_b32_e32 v3, 0
.LBB268_50:                             ; =>This Loop Header: Depth=1
                                        ;     Child Loop BB268_51 Depth 2
	s_max_u32 s42, s41, 1
.LBB268_51:                             ;   Parent Loop BB268_50 Depth=1
                                        ; =>  This Inner Loop Header: Depth=2
	s_add_i32 s42, s42, -1
	s_cmp_eq_u32 s42, 0
	s_sleep 1
	s_cbranch_scc0 .LBB268_51
; %bb.52:                               ;   in Loop: Header=BB268_50 Depth=1
	global_load_dwordx2 v[8:9], v[6:7], off glc
	s_cmp_lt_u32 s41, 32
	s_cselect_b64 s[42:43], -1, 0
	s_cmp_lg_u64 s[42:43], 0
	s_addc_u32 s41, s41, 0
	s_waitcnt vmcnt(0)
	v_cmp_ne_u16_sdwa s[42:43], v9, v3 src0_sel:BYTE_0 src1_sel:DWORD
	s_or_b64 s[38:39], s[42:43], s[38:39]
	s_andn2_b64 exec, exec, s[38:39]
	s_cbranch_execnz .LBB268_50
; %bb.53:
	s_or_b64 exec, exec, s[38:39]
.LBB268_54:
	s_or_b64 exec, exec, s[36:37]
	v_and_b32_e32 v14, 63, v53
	v_mov_b32_e32 v3, 2
	v_cmp_ne_u32_e32 vcc, 63, v14
	v_cmp_eq_u16_sdwa s[36:37], v9, v3 src0_sel:BYTE_0 src1_sel:DWORD
	v_lshlrev_b64 v[6:7], v53, -1
	v_addc_co_u32_e32 v11, vcc, 0, v53, vcc
	v_and_b32_e32 v5, s37, v7
	v_lshlrev_b32_e32 v15, 2, v11
	v_or_b32_e32 v5, 0x80000000, v5
	ds_bpermute_b32 v11, v15, v8
	v_and_b32_e32 v10, s36, v6
	v_ffbl_b32_e32 v5, v5
	v_add_u32_e32 v5, 32, v5
	v_ffbl_b32_e32 v10, v10
	v_min_u32_e32 v5, v10, v5
	v_cmp_lt_u32_e32 vcc, v14, v5
	s_waitcnt lgkmcnt(0)
	v_cndmask_b32_e32 v10, 0, v11, vcc
	v_cmp_gt_u32_e32 vcc, 62, v14
	v_add_u32_e32 v8, v10, v8
	v_cndmask_b32_e64 v10, 0, 1, vcc
	v_lshlrev_b32_e32 v10, 1, v10
	v_add_lshl_u32 v16, v10, v53, 2
	ds_bpermute_b32 v10, v16, v8
	v_add_u32_e32 v17, 2, v14
	v_cmp_le_u32_e32 vcc, v17, v5
	v_add_u32_e32 v19, 4, v14
	v_add_u32_e32 v57, 8, v14
	s_waitcnt lgkmcnt(0)
	v_cndmask_b32_e32 v10, 0, v10, vcc
	v_cmp_gt_u32_e32 vcc, 60, v14
	v_add_u32_e32 v8, v8, v10
	v_cndmask_b32_e64 v10, 0, 1, vcc
	v_lshlrev_b32_e32 v10, 2, v10
	v_add_lshl_u32 v18, v10, v53, 2
	ds_bpermute_b32 v10, v18, v8
	v_cmp_le_u32_e32 vcc, v19, v5
	v_add_u32_e32 v60, 16, v14
	v_add_u32_e32 v62, 32, v14
	s_waitcnt lgkmcnt(0)
	v_cndmask_b32_e32 v10, 0, v10, vcc
	v_cmp_gt_u32_e32 vcc, 56, v14
	v_add_u32_e32 v8, v8, v10
	v_cndmask_b32_e64 v10, 0, 1, vcc
	v_lshlrev_b32_e32 v10, 3, v10
	v_add_lshl_u32 v56, v10, v53, 2
	ds_bpermute_b32 v10, v56, v8
	v_cmp_le_u32_e32 vcc, v57, v5
	s_waitcnt lgkmcnt(0)
	v_cndmask_b32_e32 v10, 0, v10, vcc
	v_cmp_gt_u32_e32 vcc, 48, v14
	v_add_u32_e32 v8, v8, v10
	v_cndmask_b32_e64 v10, 0, 1, vcc
	v_lshlrev_b32_e32 v10, 4, v10
	v_add_lshl_u32 v59, v10, v53, 2
	ds_bpermute_b32 v10, v59, v8
	v_cmp_le_u32_e32 vcc, v60, v5
	;; [unrolled: 9-line block ×3, first 2 shown]
	s_waitcnt lgkmcnt(0)
	v_cndmask_b32_e32 v5, 0, v10, vcc
	v_add_u32_e32 v8, v8, v5
	v_mov_b32_e32 v5, 0
	s_branch .LBB268_56
.LBB268_55:                             ;   in Loop: Header=BB268_56 Depth=1
	s_or_b64 exec, exec, s[36:37]
	v_cmp_eq_u16_sdwa s[36:37], v9, v3 src0_sel:BYTE_0 src1_sel:DWORD
	v_and_b32_e32 v10, s37, v7
	v_or_b32_e32 v10, 0x80000000, v10
	ds_bpermute_b32 v63, v15, v8
	v_and_b32_e32 v11, s36, v6
	v_ffbl_b32_e32 v10, v10
	v_add_u32_e32 v10, 32, v10
	v_ffbl_b32_e32 v11, v11
	v_min_u32_e32 v10, v11, v10
	v_cmp_lt_u32_e32 vcc, v14, v10
	s_waitcnt lgkmcnt(0)
	v_cndmask_b32_e32 v11, 0, v63, vcc
	v_add_u32_e32 v8, v11, v8
	ds_bpermute_b32 v11, v16, v8
	v_cmp_le_u32_e32 vcc, v17, v10
	v_subrev_u32_e32 v4, 64, v4
	s_waitcnt lgkmcnt(0)
	v_cndmask_b32_e32 v11, 0, v11, vcc
	v_add_u32_e32 v8, v8, v11
	ds_bpermute_b32 v11, v18, v8
	v_cmp_le_u32_e32 vcc, v19, v10
	s_waitcnt lgkmcnt(0)
	v_cndmask_b32_e32 v11, 0, v11, vcc
	v_add_u32_e32 v8, v8, v11
	ds_bpermute_b32 v11, v56, v8
	v_cmp_le_u32_e32 vcc, v57, v10
	;; [unrolled: 5-line block ×4, first 2 shown]
	s_waitcnt lgkmcnt(0)
	v_cndmask_b32_e32 v10, 0, v11, vcc
	v_add3_u32 v8, v10, v58, v8
.LBB268_56:                             ; =>This Loop Header: Depth=1
                                        ;     Child Loop BB268_59 Depth 2
                                        ;       Child Loop BB268_60 Depth 3
	v_cmp_ne_u16_sdwa s[36:37], v9, v3 src0_sel:BYTE_0 src1_sel:DWORD
	v_cndmask_b32_e64 v9, 0, 1, s[36:37]
	;;#ASMSTART
	;;#ASMEND
	v_cmp_ne_u32_e32 vcc, 0, v9
	s_cmp_lg_u64 vcc, exec
	v_mov_b32_e32 v58, v8
	s_cbranch_scc1 .LBB268_63
; %bb.57:                               ;   in Loop: Header=BB268_56 Depth=1
	v_lshlrev_b64 v[8:9], 3, v[4:5]
	v_mov_b32_e32 v11, s31
	v_add_co_u32_e32 v10, vcc, s30, v8
	v_addc_co_u32_e32 v11, vcc, v11, v9, vcc
	global_load_dwordx2 v[8:9], v[10:11], off glc
	s_waitcnt vmcnt(0)
	v_cmp_eq_u16_sdwa s[38:39], v9, v5 src0_sel:BYTE_0 src1_sel:DWORD
	s_and_saveexec_b64 s[36:37], s[38:39]
	s_cbranch_execz .LBB268_55
; %bb.58:                               ;   in Loop: Header=BB268_56 Depth=1
	s_mov_b32 s41, 1
	s_mov_b64 s[38:39], 0
.LBB268_59:                             ;   Parent Loop BB268_56 Depth=1
                                        ; =>  This Loop Header: Depth=2
                                        ;       Child Loop BB268_60 Depth 3
	s_max_u32 s42, s41, 1
.LBB268_60:                             ;   Parent Loop BB268_56 Depth=1
                                        ;     Parent Loop BB268_59 Depth=2
                                        ; =>    This Inner Loop Header: Depth=3
	s_add_i32 s42, s42, -1
	s_cmp_eq_u32 s42, 0
	s_sleep 1
	s_cbranch_scc0 .LBB268_60
; %bb.61:                               ;   in Loop: Header=BB268_59 Depth=2
	global_load_dwordx2 v[8:9], v[10:11], off glc
	s_cmp_lt_u32 s41, 32
	s_cselect_b64 s[42:43], -1, 0
	s_cmp_lg_u64 s[42:43], 0
	s_addc_u32 s41, s41, 0
	s_waitcnt vmcnt(0)
	v_cmp_ne_u16_sdwa s[42:43], v9, v5 src0_sel:BYTE_0 src1_sel:DWORD
	s_or_b64 s[38:39], s[42:43], s[38:39]
	s_andn2_b64 exec, exec, s[38:39]
	s_cbranch_execnz .LBB268_59
; %bb.62:                               ;   in Loop: Header=BB268_56 Depth=1
	s_or_b64 exec, exec, s[38:39]
	s_branch .LBB268_55
.LBB268_63:                             ;   in Loop: Header=BB268_56 Depth=1
                                        ; implicit-def: $vgpr8
                                        ; implicit-def: $vgpr9
	s_cbranch_execz .LBB268_56
; %bb.64:
	s_and_saveexec_b64 s[36:37], s[18:19]
	s_cbranch_execz .LBB268_66
; %bb.65:
	s_add_i32 s38, s40, 64
	s_mov_b32 s39, 0
	s_lshl_b64 s[38:39], s[38:39], 3
	s_add_u32 s38, s30, s38
	v_add_u32_e32 v4, v58, v2
	v_mov_b32_e32 v5, 2
	s_addc_u32 s39, s31, s39
	v_mov_b32_e32 v3, 0
	global_store_dwordx2 v3, v[4:5], s[38:39]
	s_movk_i32 s38, 0x3400
	v_add_u32_e64 v3, s38, 0
	ds_write2_b32 v3, v2, v58 offset1:2
.LBB268_66:
	s_or_b64 exec, exec, s[36:37]
	s_and_b64 exec, exec, s[0:1]
	s_cbranch_execz .LBB268_68
; %bb.67:
	v_mov_b32_e32 v2, 0
	ds_write_b32 v2, v58 offset:12
.LBB268_68:
	s_or_b64 exec, exec, s[34:35]
	v_mov_b32_e32 v2, 0
	s_waitcnt lgkmcnt(0)
	s_barrier
	ds_read_b32 v2, v2 offset:12
	v_cndmask_b32_e64 v3, v13, v12, s[18:19]
	v_cndmask_b32_e64 v3, v3, 0, s[0:1]
	s_movk_i32 s18, 0x3400
	v_add_u32_e64 v12, s18, 0
	s_waitcnt lgkmcnt(0)
	v_add_u32_e32 v2, v2, v3
	v_add_u32_e32 v3, v2, v44
	;; [unrolled: 1-line block ×9, first 2 shown]
	s_barrier
	ds_read2_b32 v[18:19], v12 offset1:2
	v_add_u32_e32 v11, v10, v50
	v_add_u32_e32 v12, v11, v51
	;; [unrolled: 1-line block ×4, first 2 shown]
	s_branch .LBB268_79
.LBB268_69:
                                        ; implicit-def: $vgpr19
                                        ; implicit-def: $vgpr2_vgpr3_vgpr4_vgpr5_vgpr6_vgpr7_vgpr8_vgpr9_vgpr10_vgpr11_vgpr12_vgpr13_vgpr14_vgpr15_vgpr16_vgpr17
	s_cbranch_execz .LBB268_79
; %bb.70:
	s_nop 0
	v_mov_b32_dpp v2, v55 row_shr:1 row_mask:0xf bank_mask:0xf
	v_cndmask_b32_e64 v2, v2, 0, s[16:17]
	v_add_u32_e32 v2, v2, v55
	s_nop 1
	v_mov_b32_dpp v3, v2 row_shr:2 row_mask:0xf bank_mask:0xf
	v_cndmask_b32_e64 v3, 0, v3, s[14:15]
	v_add_u32_e32 v2, v2, v3
	;; [unrolled: 4-line block ×4, first 2 shown]
	s_nop 1
	v_mov_b32_dpp v3, v2 row_bcast:15 row_mask:0xf bank_mask:0xf
	v_cndmask_b32_e64 v3, v3, 0, s[8:9]
	v_add_u32_e32 v2, v2, v3
	s_nop 1
	v_mov_b32_dpp v3, v2 row_bcast:31 row_mask:0xf bank_mask:0xf
	v_cndmask_b32_e64 v3, 0, v3, s[4:5]
	v_add_u32_e32 v2, v2, v3
	s_and_saveexec_b64 s[4:5], s[6:7]
	s_cbranch_execz .LBB268_72
; %bb.71:
	v_lshlrev_b32_e32 v3, 2, v54
	ds_write_b32 v3, v2
.LBB268_72:
	s_or_b64 exec, exec, s[4:5]
	v_cmp_gt_u32_e32 vcc, 4, v0
	s_waitcnt lgkmcnt(0)
	s_barrier
	s_and_saveexec_b64 s[4:5], vcc
	s_cbranch_execz .LBB268_74
; %bb.73:
	ds_read_b32 v3, v34
	v_and_b32_e32 v4, 3, v53
	v_cmp_ne_u32_e32 vcc, 0, v4
	s_waitcnt lgkmcnt(0)
	v_mov_b32_dpp v5, v3 row_shr:1 row_mask:0xf bank_mask:0xf
	v_cndmask_b32_e32 v5, 0, v5, vcc
	v_add_u32_e32 v3, v5, v3
	v_cmp_lt_u32_e32 vcc, 1, v4
	s_nop 0
	v_mov_b32_dpp v5, v3 row_shr:2 row_mask:0xf bank_mask:0xf
	v_cndmask_b32_e32 v4, 0, v5, vcc
	v_add_u32_e32 v3, v3, v4
	ds_write_b32 v34, v3
.LBB268_74:
	s_or_b64 exec, exec, s[4:5]
	v_cmp_lt_u32_e32 vcc, 63, v0
	v_mov_b32_e32 v4, 0
	v_mov_b32_e32 v3, 0
	s_waitcnt lgkmcnt(0)
	s_barrier
	s_and_saveexec_b64 s[4:5], vcc
	s_cbranch_execz .LBB268_76
; %bb.75:
	v_lshl_add_u32 v3, v54, 2, -4
	ds_read_b32 v3, v3
.LBB268_76:
	s_or_b64 exec, exec, s[4:5]
	v_add_u32_e32 v5, -1, v53
	v_and_b32_e32 v6, 64, v53
	v_cmp_lt_i32_e32 vcc, v5, v6
	v_cndmask_b32_e32 v5, v5, v53, vcc
	s_waitcnt lgkmcnt(0)
	v_add_u32_e32 v2, v3, v2
	v_lshlrev_b32_e32 v5, 2, v5
	ds_bpermute_b32 v2, v5, v2
	ds_read_b32 v18, v4 offset:12
	s_and_saveexec_b64 s[4:5], s[0:1]
	s_cbranch_execz .LBB268_78
; %bb.77:
	v_mov_b32_e32 v4, 0
	v_mov_b32_e32 v19, 2
	s_waitcnt lgkmcnt(0)
	global_store_dwordx2 v4, v[18:19], s[30:31] offset:512
.LBB268_78:
	s_or_b64 exec, exec, s[4:5]
	v_cmp_eq_u32_e32 vcc, 0, v53
	s_waitcnt lgkmcnt(1)
	v_cndmask_b32_e32 v2, v2, v3, vcc
	v_cndmask_b32_e64 v2, v2, 0, s[0:1]
	v_add_u32_e32 v3, v2, v44
	v_add_u32_e32 v4, v3, v45
	;; [unrolled: 1-line block ×11, first 2 shown]
	v_mov_b32_e32 v19, 0
	v_add_u32_e32 v14, v13, v41
	s_waitcnt lgkmcnt(0)
	s_barrier
.LBB268_79:
	s_waitcnt lgkmcnt(0)
	v_add_u32_e32 v36, v18, v36
	v_sub_u32_e32 v2, v2, v19
	v_and_b32_e32 v45, 1, v40
	v_sub_u32_e32 v44, v36, v2
	v_cmp_eq_u32_e32 vcc, 1, v45
	v_cndmask_b32_e32 v2, v44, v2, vcc
	v_lshlrev_b32_e32 v2, 2, v2
	v_lshrrev_b32_e32 v17, 8, v40
	ds_write_b32 v2, v32
	v_sub_u32_e32 v2, v3, v19
	v_sub_u32_e32 v3, v36, v2
	v_and_b32_e32 v17, 1, v17
	v_add_u32_e32 v3, 1, v3
	v_cmp_eq_u32_e32 vcc, 1, v17
	v_cndmask_b32_e32 v2, v3, v2, vcc
	v_lshlrev_b32_e32 v2, 2, v2
	ds_write_b32 v2, v33
	v_sub_u32_e32 v2, v4, v19
	v_mov_b32_e32 v4, 1
	v_sub_u32_e32 v3, v36, v2
	v_and_b32_sdwa v17, v4, v40 dst_sel:DWORD dst_unused:UNUSED_PAD src0_sel:DWORD src1_sel:WORD_1
	v_add_u32_e32 v3, 2, v3
	v_cmp_eq_u32_e32 vcc, 1, v17
	v_cndmask_b32_e32 v2, v3, v2, vcc
	v_lshlrev_b32_e32 v2, 2, v2
	ds_write_b32 v2, v30
	v_sub_u32_e32 v2, v5, v19
	v_sub_u32_e32 v3, v36, v2
	v_and_b32_e32 v5, 1, v43
	v_add_u32_e32 v3, 3, v3
	v_cmp_eq_u32_e32 vcc, 1, v5
	v_cndmask_b32_e32 v2, v3, v2, vcc
	v_lshlrev_b32_e32 v2, 2, v2
	ds_write_b32 v2, v31
	v_sub_u32_e32 v2, v6, v19
	v_sub_u32_e32 v3, v36, v2
	v_and_b32_e32 v5, 1, v39
	v_add_u32_e32 v3, 4, v3
	v_cmp_eq_u32_e32 vcc, 1, v5
	v_cndmask_b32_e32 v2, v3, v2, vcc
	v_lshlrev_b32_e32 v2, 2, v2
	v_lshrrev_b32_e32 v16, 8, v39
	ds_write_b32 v2, v28
	v_sub_u32_e32 v2, v7, v19
	v_sub_u32_e32 v3, v36, v2
	v_and_b32_e32 v5, 1, v16
	v_add_u32_e32 v3, 5, v3
	v_cmp_eq_u32_e32 vcc, 1, v5
	v_cndmask_b32_e32 v2, v3, v2, vcc
	v_lshlrev_b32_e32 v2, 2, v2
	ds_write_b32 v2, v29
	v_sub_u32_e32 v2, v8, v19
	v_sub_u32_e32 v3, v36, v2
	v_and_b32_sdwa v5, v4, v39 dst_sel:DWORD dst_unused:UNUSED_PAD src0_sel:DWORD src1_sel:WORD_1
	v_add_u32_e32 v3, 6, v3
	v_cmp_eq_u32_e32 vcc, 1, v5
	v_cndmask_b32_e32 v2, v3, v2, vcc
	v_lshlrev_b32_e32 v2, 2, v2
	ds_write_b32 v2, v26
	v_sub_u32_e32 v2, v9, v19
	v_sub_u32_e32 v3, v36, v2
	v_and_b32_e32 v5, 1, v42
	v_add_u32_e32 v3, 7, v3
	v_cmp_eq_u32_e32 vcc, 1, v5
	v_cndmask_b32_e32 v2, v3, v2, vcc
	v_lshlrev_b32_e32 v2, 2, v2
	ds_write_b32 v2, v27
	v_sub_u32_e32 v2, v10, v19
	v_sub_u32_e32 v3, v36, v2
	v_and_b32_e32 v5, 1, v38
	v_add_u32_e32 v3, 8, v3
	v_cmp_eq_u32_e32 vcc, 1, v5
	v_cndmask_b32_e32 v2, v3, v2, vcc
	v_lshlrev_b32_e32 v2, 2, v2
	v_lshrrev_b32_e32 v15, 8, v38
	ds_write_b32 v2, v24
	v_sub_u32_e32 v2, v11, v19
	v_sub_u32_e32 v3, v36, v2
	v_and_b32_e32 v5, 1, v15
	v_add_u32_e32 v3, 9, v3
	v_cmp_eq_u32_e32 vcc, 1, v5
	v_cndmask_b32_e32 v2, v3, v2, vcc
	v_lshlrev_b32_e32 v2, 2, v2
	ds_write_b32 v2, v25
	v_sub_u32_e32 v2, v12, v19
	v_sub_u32_e32 v3, v36, v2
	v_and_b32_sdwa v4, v4, v38 dst_sel:DWORD dst_unused:UNUSED_PAD src0_sel:DWORD src1_sel:WORD_1
	v_add_u32_e32 v3, 10, v3
	v_cmp_eq_u32_e32 vcc, 1, v4
	v_cndmask_b32_e32 v2, v3, v2, vcc
	v_lshlrev_b32_e32 v2, 2, v2
	ds_write_b32 v2, v22
	v_sub_u32_e32 v2, v13, v19
	v_sub_u32_e32 v3, v36, v2
	v_and_b32_e32 v4, 1, v41
	v_add_u32_e32 v3, 11, v3
	v_cmp_eq_u32_e32 vcc, 1, v4
	v_cndmask_b32_e32 v2, v3, v2, vcc
	v_lshlrev_b32_e32 v2, 2, v2
	ds_write_b32 v2, v23
	v_sub_u32_e32 v2, v14, v19
	v_sub_u32_e32 v3, v36, v2
	v_and_b32_e32 v4, 1, v37
	v_add_u32_e32 v3, 12, v3
	v_cmp_eq_u32_e32 vcc, 1, v4
	v_cndmask_b32_e32 v2, v3, v2, vcc
	s_waitcnt vmcnt(0)
	v_add_co_u32_e32 v16, vcc, v20, v19
	v_addc_co_u32_e32 v17, vcc, 0, v21, vcc
	v_mov_b32_e32 v14, s29
	v_add_co_u32_e32 v1, vcc, s28, v1
	v_addc_co_u32_e32 v14, vcc, 0, v14, vcc
	v_lshlrev_b32_e32 v2, 2, v2
	v_mov_b32_e32 v15, s27
	v_sub_co_u32_e32 v1, vcc, s26, v1
	ds_write_b32 v2, v35
	s_waitcnt lgkmcnt(0)
	s_barrier
	ds_read2st64_b32 v[12:13], v34 offset1:4
	ds_read2st64_b32 v[10:11], v34 offset0:8 offset1:12
	ds_read2st64_b32 v[8:9], v34 offset0:16 offset1:20
	;; [unrolled: 1-line block ×5, first 2 shown]
	ds_read_b32 v22, v34 offset:12288
	v_subb_co_u32_e32 v14, vcc, v15, v14, vcc
	v_add_co_u32_e32 v1, vcc, v1, v18
	v_addc_co_u32_e32 v14, vcc, 0, v14, vcc
	s_and_b64 vcc, exec, s[2:3]
	v_add_co_u32_e64 v1, s[2:3], v1, v16
	v_or_b32_e32 v35, 0x100, v0
	v_or_b32_e32 v33, 0x200, v0
	;; [unrolled: 1-line block ×12, first 2 shown]
	v_addc_co_u32_e64 v19, s[2:3], v14, v17, s[2:3]
	s_cbranch_vccnz .LBB268_136
; %bb.80:
	v_cmp_ge_u32_e32 vcc, v0, v18
                                        ; implicit-def: $vgpr14_vgpr15
	s_and_saveexec_b64 s[2:3], vcc
	s_xor_b64 s[2:3], exec, s[2:3]
; %bb.81:
	v_not_b32_e32 v14, v0
	v_ashrrev_i32_e32 v15, 31, v14
	v_add_co_u32_e32 v14, vcc, v1, v14
	v_addc_co_u32_e32 v15, vcc, v19, v15, vcc
; %bb.82:
	s_andn2_saveexec_b64 s[2:3], s[2:3]
; %bb.83:
	v_add_co_u32_e32 v14, vcc, v16, v0
	v_addc_co_u32_e32 v15, vcc, 0, v17, vcc
; %bb.84:
	s_or_b64 exec, exec, s[2:3]
	v_lshlrev_b64 v[14:15], 2, v[14:15]
	v_mov_b32_e32 v20, s25
	v_add_co_u32_e32 v14, vcc, s24, v14
	v_addc_co_u32_e32 v15, vcc, v20, v15, vcc
	v_cmp_ge_u32_e32 vcc, v35, v18
	s_waitcnt lgkmcnt(6)
	global_store_dword v[14:15], v12, off
                                        ; implicit-def: $vgpr14_vgpr15
	s_and_saveexec_b64 s[2:3], vcc
	s_xor_b64 s[2:3], exec, s[2:3]
; %bb.85:
	v_xor_b32_e32 v14, 0xfffffeff, v0
	v_ashrrev_i32_e32 v15, 31, v14
	v_add_co_u32_e32 v14, vcc, v1, v14
	v_addc_co_u32_e32 v15, vcc, v19, v15, vcc
; %bb.86:
	s_andn2_saveexec_b64 s[2:3], s[2:3]
; %bb.87:
	v_add_co_u32_e32 v14, vcc, v16, v35
	v_addc_co_u32_e32 v15, vcc, 0, v17, vcc
; %bb.88:
	s_or_b64 exec, exec, s[2:3]
	v_lshlrev_b64 v[14:15], 2, v[14:15]
	v_mov_b32_e32 v20, s25
	v_add_co_u32_e32 v14, vcc, s24, v14
	v_addc_co_u32_e32 v15, vcc, v20, v15, vcc
	v_cmp_ge_u32_e32 vcc, v33, v18
	global_store_dword v[14:15], v13, off
                                        ; implicit-def: $vgpr14_vgpr15
	s_and_saveexec_b64 s[2:3], vcc
	s_xor_b64 s[2:3], exec, s[2:3]
; %bb.89:
	v_xor_b32_e32 v14, 0xfffffdff, v0
	v_ashrrev_i32_e32 v15, 31, v14
	v_add_co_u32_e32 v14, vcc, v1, v14
	v_addc_co_u32_e32 v15, vcc, v19, v15, vcc
; %bb.90:
	s_andn2_saveexec_b64 s[2:3], s[2:3]
; %bb.91:
	v_add_co_u32_e32 v14, vcc, v16, v33
	v_addc_co_u32_e32 v15, vcc, 0, v17, vcc
; %bb.92:
	s_or_b64 exec, exec, s[2:3]
	v_lshlrev_b64 v[14:15], 2, v[14:15]
	v_mov_b32_e32 v20, s25
	v_add_co_u32_e32 v14, vcc, s24, v14
	v_addc_co_u32_e32 v15, vcc, v20, v15, vcc
	v_cmp_ge_u32_e32 vcc, v32, v18
	s_waitcnt lgkmcnt(5)
	global_store_dword v[14:15], v10, off
                                        ; implicit-def: $vgpr14_vgpr15
	s_and_saveexec_b64 s[2:3], vcc
	s_xor_b64 s[2:3], exec, s[2:3]
; %bb.93:
	v_xor_b32_e32 v14, 0xfffffcff, v0
	v_ashrrev_i32_e32 v15, 31, v14
	v_add_co_u32_e32 v14, vcc, v1, v14
	v_addc_co_u32_e32 v15, vcc, v19, v15, vcc
; %bb.94:
	s_andn2_saveexec_b64 s[2:3], s[2:3]
; %bb.95:
	v_add_co_u32_e32 v14, vcc, v16, v32
	v_addc_co_u32_e32 v15, vcc, 0, v17, vcc
; %bb.96:
	s_or_b64 exec, exec, s[2:3]
	v_lshlrev_b64 v[14:15], 2, v[14:15]
	v_mov_b32_e32 v20, s25
	v_add_co_u32_e32 v14, vcc, s24, v14
	v_addc_co_u32_e32 v15, vcc, v20, v15, vcc
	v_cmp_ge_u32_e32 vcc, v31, v18
	global_store_dword v[14:15], v11, off
                                        ; implicit-def: $vgpr14_vgpr15
	s_and_saveexec_b64 s[2:3], vcc
	s_xor_b64 s[2:3], exec, s[2:3]
; %bb.97:
	v_xor_b32_e32 v14, 0xfffffbff, v0
	;; [unrolled: 43-line block ×6, first 2 shown]
	v_ashrrev_i32_e32 v15, 31, v14
	v_add_co_u32_e32 v14, vcc, v1, v14
	v_addc_co_u32_e32 v15, vcc, v19, v15, vcc
; %bb.130:
	s_andn2_saveexec_b64 s[2:3], s[2:3]
; %bb.131:
	v_add_co_u32_e32 v14, vcc, v16, v23
	v_addc_co_u32_e32 v15, vcc, 0, v17, vcc
; %bb.132:
	s_or_b64 exec, exec, s[2:3]
	s_mov_b64 s[2:3], -1
.LBB268_133:
	s_and_saveexec_b64 s[4:5], s[2:3]
	s_cbranch_execz .LBB268_216
.LBB268_134:
	v_lshlrev_b64 v[0:1], 2, v[14:15]
	s_waitcnt lgkmcnt(1)
	v_mov_b32_e32 v2, s25
	v_add_co_u32_e32 v0, vcc, s24, v0
	v_addc_co_u32_e32 v1, vcc, v2, v1, vcc
	s_waitcnt lgkmcnt(0)
	global_store_dword v[0:1], v22, off
	s_or_b64 exec, exec, s[4:5]
	s_and_b64 s[0:1], s[0:1], s[22:23]
	s_and_saveexec_b64 s[2:3], s[0:1]
	s_cbranch_execnz .LBB268_217
.LBB268_135:
	s_endpgm
.LBB268_136:
	s_mov_b64 s[2:3], 0
                                        ; implicit-def: $vgpr14_vgpr15
	s_cbranch_execz .LBB268_133
; %bb.137:
	v_cmp_gt_u32_e32 vcc, s33, v0
	s_and_saveexec_b64 s[4:5], vcc
	s_cbranch_execz .LBB268_173
; %bb.138:
	v_cmp_ge_u32_e32 vcc, v0, v18
                                        ; implicit-def: $vgpr14_vgpr15
	s_and_saveexec_b64 s[6:7], vcc
	s_xor_b64 s[6:7], exec, s[6:7]
; %bb.139:
	v_not_b32_e32 v14, v0
	v_ashrrev_i32_e32 v15, 31, v14
	v_add_co_u32_e32 v14, vcc, v1, v14
	v_addc_co_u32_e32 v15, vcc, v19, v15, vcc
; %bb.140:
	s_andn2_saveexec_b64 s[6:7], s[6:7]
; %bb.141:
	v_add_co_u32_e32 v14, vcc, v16, v0
	v_addc_co_u32_e32 v15, vcc, 0, v17, vcc
; %bb.142:
	s_or_b64 exec, exec, s[6:7]
	v_lshlrev_b64 v[14:15], 2, v[14:15]
	v_mov_b32_e32 v20, s25
	v_add_co_u32_e32 v14, vcc, s24, v14
	v_addc_co_u32_e32 v15, vcc, v20, v15, vcc
	s_waitcnt lgkmcnt(6)
	global_store_dword v[14:15], v12, off
	s_or_b64 exec, exec, s[4:5]
	v_cmp_gt_u32_e32 vcc, s33, v35
	s_and_saveexec_b64 s[4:5], vcc
	s_cbranch_execnz .LBB268_174
.LBB268_143:
	s_or_b64 exec, exec, s[4:5]
	v_cmp_gt_u32_e32 vcc, s33, v33
	s_and_saveexec_b64 s[4:5], vcc
	s_cbranch_execz .LBB268_179
.LBB268_144:
	v_cmp_ge_u32_e32 vcc, v33, v18
                                        ; implicit-def: $vgpr12_vgpr13
	s_and_saveexec_b64 s[6:7], vcc
	s_xor_b64 s[6:7], exec, s[6:7]
	s_cbranch_execz .LBB268_146
; %bb.145:
	s_waitcnt lgkmcnt(6)
	v_xor_b32_e32 v12, 0xfffffdff, v0
	v_ashrrev_i32_e32 v13, 31, v12
	v_add_co_u32_e32 v12, vcc, v1, v12
	v_addc_co_u32_e32 v13, vcc, v19, v13, vcc
                                        ; implicit-def: $vgpr33
.LBB268_146:
	s_andn2_saveexec_b64 s[6:7], s[6:7]
	s_cbranch_execz .LBB268_148
; %bb.147:
	s_waitcnt lgkmcnt(6)
	v_add_co_u32_e32 v12, vcc, v16, v33
	v_addc_co_u32_e32 v13, vcc, 0, v17, vcc
.LBB268_148:
	s_or_b64 exec, exec, s[6:7]
	s_waitcnt lgkmcnt(6)
	v_lshlrev_b64 v[12:13], 2, v[12:13]
	v_mov_b32_e32 v14, s25
	v_add_co_u32_e32 v12, vcc, s24, v12
	v_addc_co_u32_e32 v13, vcc, v14, v13, vcc
	s_waitcnt lgkmcnt(5)
	global_store_dword v[12:13], v10, off
	s_or_b64 exec, exec, s[4:5]
	v_cmp_gt_u32_e32 vcc, s33, v32
	s_and_saveexec_b64 s[4:5], vcc
	s_cbranch_execnz .LBB268_180
.LBB268_149:
	s_or_b64 exec, exec, s[4:5]
	v_cmp_gt_u32_e32 vcc, s33, v31
	s_and_saveexec_b64 s[4:5], vcc
	s_cbranch_execz .LBB268_185
.LBB268_150:
	v_cmp_ge_u32_e32 vcc, v31, v18
                                        ; implicit-def: $vgpr10_vgpr11
	s_and_saveexec_b64 s[6:7], vcc
	s_xor_b64 s[6:7], exec, s[6:7]
	s_cbranch_execz .LBB268_152
; %bb.151:
	s_waitcnt lgkmcnt(5)
	v_xor_b32_e32 v10, 0xfffffbff, v0
	v_ashrrev_i32_e32 v11, 31, v10
	v_add_co_u32_e32 v10, vcc, v1, v10
	v_addc_co_u32_e32 v11, vcc, v19, v11, vcc
                                        ; implicit-def: $vgpr31
.LBB268_152:
	s_andn2_saveexec_b64 s[6:7], s[6:7]
	s_cbranch_execz .LBB268_154
; %bb.153:
	s_waitcnt lgkmcnt(5)
	v_add_co_u32_e32 v10, vcc, v16, v31
	v_addc_co_u32_e32 v11, vcc, 0, v17, vcc
.LBB268_154:
	s_or_b64 exec, exec, s[6:7]
	s_waitcnt lgkmcnt(5)
	v_lshlrev_b64 v[10:11], 2, v[10:11]
	v_mov_b32_e32 v12, s25
	v_add_co_u32_e32 v10, vcc, s24, v10
	v_addc_co_u32_e32 v11, vcc, v12, v11, vcc
	s_waitcnt lgkmcnt(4)
	global_store_dword v[10:11], v8, off
	s_or_b64 exec, exec, s[4:5]
	v_cmp_gt_u32_e32 vcc, s33, v30
	s_and_saveexec_b64 s[4:5], vcc
	s_cbranch_execnz .LBB268_186
.LBB268_155:
	s_or_b64 exec, exec, s[4:5]
	v_cmp_gt_u32_e32 vcc, s33, v29
	s_and_saveexec_b64 s[4:5], vcc
	s_cbranch_execz .LBB268_191
.LBB268_156:
	v_cmp_ge_u32_e32 vcc, v29, v18
                                        ; implicit-def: $vgpr8_vgpr9
	s_and_saveexec_b64 s[6:7], vcc
	s_xor_b64 s[6:7], exec, s[6:7]
	s_cbranch_execz .LBB268_158
; %bb.157:
	s_waitcnt lgkmcnt(4)
	v_xor_b32_e32 v8, 0xfffff9ff, v0
	v_ashrrev_i32_e32 v9, 31, v8
	v_add_co_u32_e32 v8, vcc, v1, v8
	v_addc_co_u32_e32 v9, vcc, v19, v9, vcc
                                        ; implicit-def: $vgpr29
.LBB268_158:
	s_andn2_saveexec_b64 s[6:7], s[6:7]
	s_cbranch_execz .LBB268_160
; %bb.159:
	s_waitcnt lgkmcnt(4)
	v_add_co_u32_e32 v8, vcc, v16, v29
	v_addc_co_u32_e32 v9, vcc, 0, v17, vcc
.LBB268_160:
	s_or_b64 exec, exec, s[6:7]
	s_waitcnt lgkmcnt(4)
	v_lshlrev_b64 v[8:9], 2, v[8:9]
	v_mov_b32_e32 v10, s25
	v_add_co_u32_e32 v8, vcc, s24, v8
	v_addc_co_u32_e32 v9, vcc, v10, v9, vcc
	s_waitcnt lgkmcnt(3)
	global_store_dword v[8:9], v6, off
	s_or_b64 exec, exec, s[4:5]
	v_cmp_gt_u32_e32 vcc, s33, v28
	s_and_saveexec_b64 s[4:5], vcc
	s_cbranch_execnz .LBB268_192
.LBB268_161:
	s_or_b64 exec, exec, s[4:5]
	v_cmp_gt_u32_e32 vcc, s33, v27
	s_and_saveexec_b64 s[4:5], vcc
	s_cbranch_execz .LBB268_197
.LBB268_162:
	v_cmp_ge_u32_e32 vcc, v27, v18
                                        ; implicit-def: $vgpr6_vgpr7
	s_and_saveexec_b64 s[6:7], vcc
	s_xor_b64 s[6:7], exec, s[6:7]
	s_cbranch_execz .LBB268_164
; %bb.163:
	s_waitcnt lgkmcnt(3)
	v_xor_b32_e32 v6, 0xfffff7ff, v0
	v_ashrrev_i32_e32 v7, 31, v6
	v_add_co_u32_e32 v6, vcc, v1, v6
	v_addc_co_u32_e32 v7, vcc, v19, v7, vcc
                                        ; implicit-def: $vgpr27
.LBB268_164:
	s_andn2_saveexec_b64 s[6:7], s[6:7]
	s_cbranch_execz .LBB268_166
; %bb.165:
	s_waitcnt lgkmcnt(3)
	v_add_co_u32_e32 v6, vcc, v16, v27
	v_addc_co_u32_e32 v7, vcc, 0, v17, vcc
.LBB268_166:
	s_or_b64 exec, exec, s[6:7]
	s_waitcnt lgkmcnt(3)
	v_lshlrev_b64 v[6:7], 2, v[6:7]
	v_mov_b32_e32 v8, s25
	v_add_co_u32_e32 v6, vcc, s24, v6
	v_addc_co_u32_e32 v7, vcc, v8, v7, vcc
	s_waitcnt lgkmcnt(2)
	global_store_dword v[6:7], v4, off
	s_or_b64 exec, exec, s[4:5]
	v_cmp_gt_u32_e32 vcc, s33, v26
	s_and_saveexec_b64 s[4:5], vcc
	s_cbranch_execnz .LBB268_198
.LBB268_167:
	s_or_b64 exec, exec, s[4:5]
	v_cmp_gt_u32_e32 vcc, s33, v25
	s_and_saveexec_b64 s[4:5], vcc
	s_cbranch_execz .LBB268_203
.LBB268_168:
	v_cmp_ge_u32_e32 vcc, v25, v18
                                        ; implicit-def: $vgpr4_vgpr5
	s_and_saveexec_b64 s[6:7], vcc
	s_xor_b64 s[6:7], exec, s[6:7]
	s_cbranch_execz .LBB268_170
; %bb.169:
	s_waitcnt lgkmcnt(2)
	v_xor_b32_e32 v4, 0xfffff5ff, v0
	v_ashrrev_i32_e32 v5, 31, v4
	v_add_co_u32_e32 v4, vcc, v1, v4
	v_addc_co_u32_e32 v5, vcc, v19, v5, vcc
                                        ; implicit-def: $vgpr25
.LBB268_170:
	s_andn2_saveexec_b64 s[6:7], s[6:7]
	s_cbranch_execz .LBB268_172
; %bb.171:
	s_waitcnt lgkmcnt(2)
	v_add_co_u32_e32 v4, vcc, v16, v25
	v_addc_co_u32_e32 v5, vcc, 0, v17, vcc
.LBB268_172:
	s_or_b64 exec, exec, s[6:7]
	s_waitcnt lgkmcnt(2)
	v_lshlrev_b64 v[4:5], 2, v[4:5]
	v_mov_b32_e32 v6, s25
	v_add_co_u32_e32 v4, vcc, s24, v4
	v_addc_co_u32_e32 v5, vcc, v6, v5, vcc
	s_waitcnt lgkmcnt(1)
	global_store_dword v[4:5], v2, off
	s_or_b64 exec, exec, s[4:5]
	v_cmp_gt_u32_e32 vcc, s33, v24
	s_and_saveexec_b64 s[4:5], vcc
	s_cbranch_execz .LBB268_209
	s_branch .LBB268_204
.LBB268_173:
	s_or_b64 exec, exec, s[4:5]
	v_cmp_gt_u32_e32 vcc, s33, v35
	s_and_saveexec_b64 s[4:5], vcc
	s_cbranch_execz .LBB268_143
.LBB268_174:
	v_cmp_ge_u32_e32 vcc, v35, v18
                                        ; implicit-def: $vgpr14_vgpr15
	s_and_saveexec_b64 s[6:7], vcc
	s_xor_b64 s[6:7], exec, s[6:7]
	s_cbranch_execz .LBB268_176
; %bb.175:
	s_waitcnt lgkmcnt(6)
	v_xor_b32_e32 v12, 0xfffffeff, v0
	v_ashrrev_i32_e32 v15, 31, v12
	v_add_co_u32_e32 v14, vcc, v1, v12
	v_addc_co_u32_e32 v15, vcc, v19, v15, vcc
                                        ; implicit-def: $vgpr35
.LBB268_176:
	s_andn2_saveexec_b64 s[6:7], s[6:7]
; %bb.177:
	v_add_co_u32_e32 v14, vcc, v16, v35
	v_addc_co_u32_e32 v15, vcc, 0, v17, vcc
; %bb.178:
	s_or_b64 exec, exec, s[6:7]
	v_lshlrev_b64 v[14:15], 2, v[14:15]
	s_waitcnt lgkmcnt(6)
	v_mov_b32_e32 v12, s25
	v_add_co_u32_e32 v14, vcc, s24, v14
	v_addc_co_u32_e32 v15, vcc, v12, v15, vcc
	global_store_dword v[14:15], v13, off
	s_or_b64 exec, exec, s[4:5]
	v_cmp_gt_u32_e32 vcc, s33, v33
	s_and_saveexec_b64 s[4:5], vcc
	s_cbranch_execnz .LBB268_144
.LBB268_179:
	s_or_b64 exec, exec, s[4:5]
	v_cmp_gt_u32_e32 vcc, s33, v32
	s_and_saveexec_b64 s[4:5], vcc
	s_cbranch_execz .LBB268_149
.LBB268_180:
	v_cmp_ge_u32_e32 vcc, v32, v18
                                        ; implicit-def: $vgpr12_vgpr13
	s_and_saveexec_b64 s[6:7], vcc
	s_xor_b64 s[6:7], exec, s[6:7]
	s_cbranch_execz .LBB268_182
; %bb.181:
	s_waitcnt lgkmcnt(5)
	v_xor_b32_e32 v10, 0xfffffcff, v0
	v_ashrrev_i32_e32 v13, 31, v10
	v_add_co_u32_e32 v12, vcc, v1, v10
	v_addc_co_u32_e32 v13, vcc, v19, v13, vcc
                                        ; implicit-def: $vgpr32
.LBB268_182:
	s_andn2_saveexec_b64 s[6:7], s[6:7]
	s_cbranch_execz .LBB268_184
; %bb.183:
	s_waitcnt lgkmcnt(6)
	v_add_co_u32_e32 v12, vcc, v16, v32
	v_addc_co_u32_e32 v13, vcc, 0, v17, vcc
.LBB268_184:
	s_or_b64 exec, exec, s[6:7]
	s_waitcnt lgkmcnt(6)
	v_lshlrev_b64 v[12:13], 2, v[12:13]
	s_waitcnt lgkmcnt(5)
	v_mov_b32_e32 v10, s25
	v_add_co_u32_e32 v12, vcc, s24, v12
	v_addc_co_u32_e32 v13, vcc, v10, v13, vcc
	global_store_dword v[12:13], v11, off
	s_or_b64 exec, exec, s[4:5]
	v_cmp_gt_u32_e32 vcc, s33, v31
	s_and_saveexec_b64 s[4:5], vcc
	s_cbranch_execnz .LBB268_150
.LBB268_185:
	s_or_b64 exec, exec, s[4:5]
	v_cmp_gt_u32_e32 vcc, s33, v30
	s_and_saveexec_b64 s[4:5], vcc
	s_cbranch_execz .LBB268_155
.LBB268_186:
	v_cmp_ge_u32_e32 vcc, v30, v18
                                        ; implicit-def: $vgpr10_vgpr11
	s_and_saveexec_b64 s[6:7], vcc
	s_xor_b64 s[6:7], exec, s[6:7]
	s_cbranch_execz .LBB268_188
; %bb.187:
	s_waitcnt lgkmcnt(4)
	v_xor_b32_e32 v8, 0xfffffaff, v0
	v_ashrrev_i32_e32 v11, 31, v8
	v_add_co_u32_e32 v10, vcc, v1, v8
	v_addc_co_u32_e32 v11, vcc, v19, v11, vcc
                                        ; implicit-def: $vgpr30
.LBB268_188:
	s_andn2_saveexec_b64 s[6:7], s[6:7]
	s_cbranch_execz .LBB268_190
; %bb.189:
	s_waitcnt lgkmcnt(5)
	v_add_co_u32_e32 v10, vcc, v16, v30
	v_addc_co_u32_e32 v11, vcc, 0, v17, vcc
.LBB268_190:
	s_or_b64 exec, exec, s[6:7]
	s_waitcnt lgkmcnt(5)
	v_lshlrev_b64 v[10:11], 2, v[10:11]
	s_waitcnt lgkmcnt(4)
	v_mov_b32_e32 v8, s25
	v_add_co_u32_e32 v10, vcc, s24, v10
	v_addc_co_u32_e32 v11, vcc, v8, v11, vcc
	global_store_dword v[10:11], v9, off
	s_or_b64 exec, exec, s[4:5]
	v_cmp_gt_u32_e32 vcc, s33, v29
	s_and_saveexec_b64 s[4:5], vcc
	s_cbranch_execnz .LBB268_156
.LBB268_191:
	s_or_b64 exec, exec, s[4:5]
	v_cmp_gt_u32_e32 vcc, s33, v28
	s_and_saveexec_b64 s[4:5], vcc
	s_cbranch_execz .LBB268_161
.LBB268_192:
	v_cmp_ge_u32_e32 vcc, v28, v18
                                        ; implicit-def: $vgpr8_vgpr9
	s_and_saveexec_b64 s[6:7], vcc
	s_xor_b64 s[6:7], exec, s[6:7]
	s_cbranch_execz .LBB268_194
; %bb.193:
	s_waitcnt lgkmcnt(3)
	v_xor_b32_e32 v6, 0xfffff8ff, v0
	v_ashrrev_i32_e32 v9, 31, v6
	v_add_co_u32_e32 v8, vcc, v1, v6
	v_addc_co_u32_e32 v9, vcc, v19, v9, vcc
                                        ; implicit-def: $vgpr28
.LBB268_194:
	s_andn2_saveexec_b64 s[6:7], s[6:7]
	s_cbranch_execz .LBB268_196
; %bb.195:
	s_waitcnt lgkmcnt(4)
	v_add_co_u32_e32 v8, vcc, v16, v28
	v_addc_co_u32_e32 v9, vcc, 0, v17, vcc
.LBB268_196:
	s_or_b64 exec, exec, s[6:7]
	s_waitcnt lgkmcnt(4)
	v_lshlrev_b64 v[8:9], 2, v[8:9]
	s_waitcnt lgkmcnt(3)
	v_mov_b32_e32 v6, s25
	v_add_co_u32_e32 v8, vcc, s24, v8
	v_addc_co_u32_e32 v9, vcc, v6, v9, vcc
	global_store_dword v[8:9], v7, off
	s_or_b64 exec, exec, s[4:5]
	v_cmp_gt_u32_e32 vcc, s33, v27
	s_and_saveexec_b64 s[4:5], vcc
	s_cbranch_execnz .LBB268_162
.LBB268_197:
	s_or_b64 exec, exec, s[4:5]
	v_cmp_gt_u32_e32 vcc, s33, v26
	s_and_saveexec_b64 s[4:5], vcc
	s_cbranch_execz .LBB268_167
.LBB268_198:
	v_cmp_ge_u32_e32 vcc, v26, v18
                                        ; implicit-def: $vgpr6_vgpr7
	s_and_saveexec_b64 s[6:7], vcc
	s_xor_b64 s[6:7], exec, s[6:7]
	s_cbranch_execz .LBB268_200
; %bb.199:
	s_waitcnt lgkmcnt(2)
	v_xor_b32_e32 v4, 0xfffff6ff, v0
	v_ashrrev_i32_e32 v7, 31, v4
	v_add_co_u32_e32 v6, vcc, v1, v4
	v_addc_co_u32_e32 v7, vcc, v19, v7, vcc
                                        ; implicit-def: $vgpr26
.LBB268_200:
	s_andn2_saveexec_b64 s[6:7], s[6:7]
	s_cbranch_execz .LBB268_202
; %bb.201:
	s_waitcnt lgkmcnt(3)
	v_add_co_u32_e32 v6, vcc, v16, v26
	v_addc_co_u32_e32 v7, vcc, 0, v17, vcc
.LBB268_202:
	s_or_b64 exec, exec, s[6:7]
	s_waitcnt lgkmcnt(3)
	v_lshlrev_b64 v[6:7], 2, v[6:7]
	s_waitcnt lgkmcnt(2)
	v_mov_b32_e32 v4, s25
	v_add_co_u32_e32 v6, vcc, s24, v6
	v_addc_co_u32_e32 v7, vcc, v4, v7, vcc
	global_store_dword v[6:7], v5, off
	s_or_b64 exec, exec, s[4:5]
	v_cmp_gt_u32_e32 vcc, s33, v25
	s_and_saveexec_b64 s[4:5], vcc
	s_cbranch_execnz .LBB268_168
.LBB268_203:
	s_or_b64 exec, exec, s[4:5]
	v_cmp_gt_u32_e32 vcc, s33, v24
	s_and_saveexec_b64 s[4:5], vcc
	s_cbranch_execz .LBB268_209
.LBB268_204:
	v_cmp_ge_u32_e32 vcc, v24, v18
                                        ; implicit-def: $vgpr4_vgpr5
	s_and_saveexec_b64 s[6:7], vcc
	s_xor_b64 s[6:7], exec, s[6:7]
	s_cbranch_execz .LBB268_206
; %bb.205:
	s_waitcnt lgkmcnt(1)
	v_xor_b32_e32 v2, 0xfffff4ff, v0
	v_ashrrev_i32_e32 v5, 31, v2
	v_add_co_u32_e32 v4, vcc, v1, v2
	v_addc_co_u32_e32 v5, vcc, v19, v5, vcc
                                        ; implicit-def: $vgpr24
.LBB268_206:
	s_andn2_saveexec_b64 s[6:7], s[6:7]
	s_cbranch_execz .LBB268_208
; %bb.207:
	s_waitcnt lgkmcnt(2)
	v_add_co_u32_e32 v4, vcc, v16, v24
	v_addc_co_u32_e32 v5, vcc, 0, v17, vcc
.LBB268_208:
	s_or_b64 exec, exec, s[6:7]
	s_waitcnt lgkmcnt(2)
	v_lshlrev_b64 v[4:5], 2, v[4:5]
	s_waitcnt lgkmcnt(1)
	v_mov_b32_e32 v2, s25
	v_add_co_u32_e32 v4, vcc, s24, v4
	v_addc_co_u32_e32 v5, vcc, v2, v5, vcc
	global_store_dword v[4:5], v3, off
.LBB268_209:
	s_or_b64 exec, exec, s[4:5]
	v_cmp_gt_u32_e32 vcc, s33, v23
                                        ; implicit-def: $vgpr14_vgpr15
	s_and_saveexec_b64 s[4:5], vcc
	s_cbranch_execz .LBB268_215
; %bb.210:
	v_cmp_ge_u32_e32 vcc, v23, v18
                                        ; implicit-def: $vgpr14_vgpr15
	s_and_saveexec_b64 s[6:7], vcc
	s_xor_b64 s[6:7], exec, s[6:7]
	s_cbranch_execz .LBB268_212
; %bb.211:
	v_xor_b32_e32 v0, 0xfffff3ff, v0
	s_waitcnt lgkmcnt(1)
	v_ashrrev_i32_e32 v2, 31, v0
	v_add_co_u32_e32 v14, vcc, v1, v0
	v_addc_co_u32_e32 v15, vcc, v19, v2, vcc
                                        ; implicit-def: $vgpr23
.LBB268_212:
	s_andn2_saveexec_b64 s[6:7], s[6:7]
; %bb.213:
	v_add_co_u32_e32 v14, vcc, v16, v23
	v_addc_co_u32_e32 v15, vcc, 0, v17, vcc
; %bb.214:
	s_or_b64 exec, exec, s[6:7]
	s_or_b64 s[2:3], s[2:3], exec
.LBB268_215:
	s_or_b64 exec, exec, s[4:5]
	s_and_saveexec_b64 s[4:5], s[2:3]
	s_cbranch_execnz .LBB268_134
.LBB268_216:
	s_or_b64 exec, exec, s[4:5]
	s_and_b64 s[0:1], s[0:1], s[22:23]
	s_and_saveexec_b64 s[2:3], s[0:1]
	s_cbranch_execz .LBB268_135
.LBB268_217:
	v_add_co_u32_e32 v0, vcc, v16, v18
	s_waitcnt lgkmcnt(1)
	v_mov_b32_e32 v2, 0
	v_addc_co_u32_e32 v1, vcc, 0, v17, vcc
	global_store_dwordx2 v2, v[0:1], s[20:21]
	s_endpgm
	.section	.rodata,"a",@progbits
	.p2align	6, 0x0
	.amdhsa_kernel _ZN7rocprim17ROCPRIM_400000_NS6detail17trampoline_kernelINS0_13select_configILj256ELj13ELNS0_17block_load_methodE3ELS4_3ELS4_3ELNS0_20block_scan_algorithmE0ELj4294967295EEENS1_25partition_config_selectorILNS1_17partition_subalgoE3EjNS0_10empty_typeEbEEZZNS1_14partition_implILS8_3ELb0ES6_jNS0_17counting_iteratorIjlEEPS9_SE_NS0_5tupleIJPjSE_EEENSF_IJSE_SE_EEES9_SG_JZNS1_25segmented_radix_sort_implINS0_14default_configELb1EPKaPaPKlPlN2at6native12_GLOBAL__N_18offset_tEEE10hipError_tPvRmT1_PNSt15iterator_traitsISY_E10value_typeET2_T3_PNSZ_IS14_E10value_typeET4_jRbjT5_S1A_jjP12ihipStream_tbEUljE_EEESV_SW_SX_S14_S18_S1A_T6_T7_T9_mT8_S1C_bDpT10_ENKUlT_T0_E_clISt17integral_constantIbLb1EES1P_EEDaS1K_S1L_EUlS1K_E_NS1_11comp_targetILNS1_3genE4ELNS1_11target_archE910ELNS1_3gpuE8ELNS1_3repE0EEENS1_30default_config_static_selectorELNS0_4arch9wavefront6targetE1EEEvSY_
		.amdhsa_group_segment_fixed_size 13324
		.amdhsa_private_segment_fixed_size 0
		.amdhsa_kernarg_size 152
		.amdhsa_user_sgpr_count 6
		.amdhsa_user_sgpr_private_segment_buffer 1
		.amdhsa_user_sgpr_dispatch_ptr 0
		.amdhsa_user_sgpr_queue_ptr 0
		.amdhsa_user_sgpr_kernarg_segment_ptr 1
		.amdhsa_user_sgpr_dispatch_id 0
		.amdhsa_user_sgpr_flat_scratch_init 0
		.amdhsa_user_sgpr_kernarg_preload_length 0
		.amdhsa_user_sgpr_kernarg_preload_offset 0
		.amdhsa_user_sgpr_private_segment_size 0
		.amdhsa_uses_dynamic_stack 0
		.amdhsa_system_sgpr_private_segment_wavefront_offset 0
		.amdhsa_system_sgpr_workgroup_id_x 1
		.amdhsa_system_sgpr_workgroup_id_y 0
		.amdhsa_system_sgpr_workgroup_id_z 0
		.amdhsa_system_sgpr_workgroup_info 0
		.amdhsa_system_vgpr_workitem_id 0
		.amdhsa_next_free_vgpr 64
		.amdhsa_next_free_sgpr 44
		.amdhsa_accum_offset 64
		.amdhsa_reserve_vcc 1
		.amdhsa_reserve_flat_scratch 0
		.amdhsa_float_round_mode_32 0
		.amdhsa_float_round_mode_16_64 0
		.amdhsa_float_denorm_mode_32 3
		.amdhsa_float_denorm_mode_16_64 3
		.amdhsa_dx10_clamp 1
		.amdhsa_ieee_mode 1
		.amdhsa_fp16_overflow 0
		.amdhsa_tg_split 0
		.amdhsa_exception_fp_ieee_invalid_op 0
		.amdhsa_exception_fp_denorm_src 0
		.amdhsa_exception_fp_ieee_div_zero 0
		.amdhsa_exception_fp_ieee_overflow 0
		.amdhsa_exception_fp_ieee_underflow 0
		.amdhsa_exception_fp_ieee_inexact 0
		.amdhsa_exception_int_div_zero 0
	.end_amdhsa_kernel
	.section	.text._ZN7rocprim17ROCPRIM_400000_NS6detail17trampoline_kernelINS0_13select_configILj256ELj13ELNS0_17block_load_methodE3ELS4_3ELS4_3ELNS0_20block_scan_algorithmE0ELj4294967295EEENS1_25partition_config_selectorILNS1_17partition_subalgoE3EjNS0_10empty_typeEbEEZZNS1_14partition_implILS8_3ELb0ES6_jNS0_17counting_iteratorIjlEEPS9_SE_NS0_5tupleIJPjSE_EEENSF_IJSE_SE_EEES9_SG_JZNS1_25segmented_radix_sort_implINS0_14default_configELb1EPKaPaPKlPlN2at6native12_GLOBAL__N_18offset_tEEE10hipError_tPvRmT1_PNSt15iterator_traitsISY_E10value_typeET2_T3_PNSZ_IS14_E10value_typeET4_jRbjT5_S1A_jjP12ihipStream_tbEUljE_EEESV_SW_SX_S14_S18_S1A_T6_T7_T9_mT8_S1C_bDpT10_ENKUlT_T0_E_clISt17integral_constantIbLb1EES1P_EEDaS1K_S1L_EUlS1K_E_NS1_11comp_targetILNS1_3genE4ELNS1_11target_archE910ELNS1_3gpuE8ELNS1_3repE0EEENS1_30default_config_static_selectorELNS0_4arch9wavefront6targetE1EEEvSY_,"axG",@progbits,_ZN7rocprim17ROCPRIM_400000_NS6detail17trampoline_kernelINS0_13select_configILj256ELj13ELNS0_17block_load_methodE3ELS4_3ELS4_3ELNS0_20block_scan_algorithmE0ELj4294967295EEENS1_25partition_config_selectorILNS1_17partition_subalgoE3EjNS0_10empty_typeEbEEZZNS1_14partition_implILS8_3ELb0ES6_jNS0_17counting_iteratorIjlEEPS9_SE_NS0_5tupleIJPjSE_EEENSF_IJSE_SE_EEES9_SG_JZNS1_25segmented_radix_sort_implINS0_14default_configELb1EPKaPaPKlPlN2at6native12_GLOBAL__N_18offset_tEEE10hipError_tPvRmT1_PNSt15iterator_traitsISY_E10value_typeET2_T3_PNSZ_IS14_E10value_typeET4_jRbjT5_S1A_jjP12ihipStream_tbEUljE_EEESV_SW_SX_S14_S18_S1A_T6_T7_T9_mT8_S1C_bDpT10_ENKUlT_T0_E_clISt17integral_constantIbLb1EES1P_EEDaS1K_S1L_EUlS1K_E_NS1_11comp_targetILNS1_3genE4ELNS1_11target_archE910ELNS1_3gpuE8ELNS1_3repE0EEENS1_30default_config_static_selectorELNS0_4arch9wavefront6targetE1EEEvSY_,comdat
.Lfunc_end268:
	.size	_ZN7rocprim17ROCPRIM_400000_NS6detail17trampoline_kernelINS0_13select_configILj256ELj13ELNS0_17block_load_methodE3ELS4_3ELS4_3ELNS0_20block_scan_algorithmE0ELj4294967295EEENS1_25partition_config_selectorILNS1_17partition_subalgoE3EjNS0_10empty_typeEbEEZZNS1_14partition_implILS8_3ELb0ES6_jNS0_17counting_iteratorIjlEEPS9_SE_NS0_5tupleIJPjSE_EEENSF_IJSE_SE_EEES9_SG_JZNS1_25segmented_radix_sort_implINS0_14default_configELb1EPKaPaPKlPlN2at6native12_GLOBAL__N_18offset_tEEE10hipError_tPvRmT1_PNSt15iterator_traitsISY_E10value_typeET2_T3_PNSZ_IS14_E10value_typeET4_jRbjT5_S1A_jjP12ihipStream_tbEUljE_EEESV_SW_SX_S14_S18_S1A_T6_T7_T9_mT8_S1C_bDpT10_ENKUlT_T0_E_clISt17integral_constantIbLb1EES1P_EEDaS1K_S1L_EUlS1K_E_NS1_11comp_targetILNS1_3genE4ELNS1_11target_archE910ELNS1_3gpuE8ELNS1_3repE0EEENS1_30default_config_static_selectorELNS0_4arch9wavefront6targetE1EEEvSY_, .Lfunc_end268-_ZN7rocprim17ROCPRIM_400000_NS6detail17trampoline_kernelINS0_13select_configILj256ELj13ELNS0_17block_load_methodE3ELS4_3ELS4_3ELNS0_20block_scan_algorithmE0ELj4294967295EEENS1_25partition_config_selectorILNS1_17partition_subalgoE3EjNS0_10empty_typeEbEEZZNS1_14partition_implILS8_3ELb0ES6_jNS0_17counting_iteratorIjlEEPS9_SE_NS0_5tupleIJPjSE_EEENSF_IJSE_SE_EEES9_SG_JZNS1_25segmented_radix_sort_implINS0_14default_configELb1EPKaPaPKlPlN2at6native12_GLOBAL__N_18offset_tEEE10hipError_tPvRmT1_PNSt15iterator_traitsISY_E10value_typeET2_T3_PNSZ_IS14_E10value_typeET4_jRbjT5_S1A_jjP12ihipStream_tbEUljE_EEESV_SW_SX_S14_S18_S1A_T6_T7_T9_mT8_S1C_bDpT10_ENKUlT_T0_E_clISt17integral_constantIbLb1EES1P_EEDaS1K_S1L_EUlS1K_E_NS1_11comp_targetILNS1_3genE4ELNS1_11target_archE910ELNS1_3gpuE8ELNS1_3repE0EEENS1_30default_config_static_selectorELNS0_4arch9wavefront6targetE1EEEvSY_
                                        ; -- End function
	.section	.AMDGPU.csdata,"",@progbits
; Kernel info:
; codeLenInByte = 7896
; NumSgprs: 48
; NumVgprs: 64
; NumAgprs: 0
; TotalNumVgprs: 64
; ScratchSize: 0
; MemoryBound: 0
; FloatMode: 240
; IeeeMode: 1
; LDSByteSize: 13324 bytes/workgroup (compile time only)
; SGPRBlocks: 5
; VGPRBlocks: 7
; NumSGPRsForWavesPerEU: 48
; NumVGPRsForWavesPerEU: 64
; AccumOffset: 64
; Occupancy: 4
; WaveLimiterHint : 0
; COMPUTE_PGM_RSRC2:SCRATCH_EN: 0
; COMPUTE_PGM_RSRC2:USER_SGPR: 6
; COMPUTE_PGM_RSRC2:TRAP_HANDLER: 0
; COMPUTE_PGM_RSRC2:TGID_X_EN: 1
; COMPUTE_PGM_RSRC2:TGID_Y_EN: 0
; COMPUTE_PGM_RSRC2:TGID_Z_EN: 0
; COMPUTE_PGM_RSRC2:TIDIG_COMP_CNT: 0
; COMPUTE_PGM_RSRC3_GFX90A:ACCUM_OFFSET: 15
; COMPUTE_PGM_RSRC3_GFX90A:TG_SPLIT: 0
	.section	.text._ZN7rocprim17ROCPRIM_400000_NS6detail17trampoline_kernelINS0_13select_configILj256ELj13ELNS0_17block_load_methodE3ELS4_3ELS4_3ELNS0_20block_scan_algorithmE0ELj4294967295EEENS1_25partition_config_selectorILNS1_17partition_subalgoE3EjNS0_10empty_typeEbEEZZNS1_14partition_implILS8_3ELb0ES6_jNS0_17counting_iteratorIjlEEPS9_SE_NS0_5tupleIJPjSE_EEENSF_IJSE_SE_EEES9_SG_JZNS1_25segmented_radix_sort_implINS0_14default_configELb1EPKaPaPKlPlN2at6native12_GLOBAL__N_18offset_tEEE10hipError_tPvRmT1_PNSt15iterator_traitsISY_E10value_typeET2_T3_PNSZ_IS14_E10value_typeET4_jRbjT5_S1A_jjP12ihipStream_tbEUljE_EEESV_SW_SX_S14_S18_S1A_T6_T7_T9_mT8_S1C_bDpT10_ENKUlT_T0_E_clISt17integral_constantIbLb1EES1P_EEDaS1K_S1L_EUlS1K_E_NS1_11comp_targetILNS1_3genE3ELNS1_11target_archE908ELNS1_3gpuE7ELNS1_3repE0EEENS1_30default_config_static_selectorELNS0_4arch9wavefront6targetE1EEEvSY_,"axG",@progbits,_ZN7rocprim17ROCPRIM_400000_NS6detail17trampoline_kernelINS0_13select_configILj256ELj13ELNS0_17block_load_methodE3ELS4_3ELS4_3ELNS0_20block_scan_algorithmE0ELj4294967295EEENS1_25partition_config_selectorILNS1_17partition_subalgoE3EjNS0_10empty_typeEbEEZZNS1_14partition_implILS8_3ELb0ES6_jNS0_17counting_iteratorIjlEEPS9_SE_NS0_5tupleIJPjSE_EEENSF_IJSE_SE_EEES9_SG_JZNS1_25segmented_radix_sort_implINS0_14default_configELb1EPKaPaPKlPlN2at6native12_GLOBAL__N_18offset_tEEE10hipError_tPvRmT1_PNSt15iterator_traitsISY_E10value_typeET2_T3_PNSZ_IS14_E10value_typeET4_jRbjT5_S1A_jjP12ihipStream_tbEUljE_EEESV_SW_SX_S14_S18_S1A_T6_T7_T9_mT8_S1C_bDpT10_ENKUlT_T0_E_clISt17integral_constantIbLb1EES1P_EEDaS1K_S1L_EUlS1K_E_NS1_11comp_targetILNS1_3genE3ELNS1_11target_archE908ELNS1_3gpuE7ELNS1_3repE0EEENS1_30default_config_static_selectorELNS0_4arch9wavefront6targetE1EEEvSY_,comdat
	.globl	_ZN7rocprim17ROCPRIM_400000_NS6detail17trampoline_kernelINS0_13select_configILj256ELj13ELNS0_17block_load_methodE3ELS4_3ELS4_3ELNS0_20block_scan_algorithmE0ELj4294967295EEENS1_25partition_config_selectorILNS1_17partition_subalgoE3EjNS0_10empty_typeEbEEZZNS1_14partition_implILS8_3ELb0ES6_jNS0_17counting_iteratorIjlEEPS9_SE_NS0_5tupleIJPjSE_EEENSF_IJSE_SE_EEES9_SG_JZNS1_25segmented_radix_sort_implINS0_14default_configELb1EPKaPaPKlPlN2at6native12_GLOBAL__N_18offset_tEEE10hipError_tPvRmT1_PNSt15iterator_traitsISY_E10value_typeET2_T3_PNSZ_IS14_E10value_typeET4_jRbjT5_S1A_jjP12ihipStream_tbEUljE_EEESV_SW_SX_S14_S18_S1A_T6_T7_T9_mT8_S1C_bDpT10_ENKUlT_T0_E_clISt17integral_constantIbLb1EES1P_EEDaS1K_S1L_EUlS1K_E_NS1_11comp_targetILNS1_3genE3ELNS1_11target_archE908ELNS1_3gpuE7ELNS1_3repE0EEENS1_30default_config_static_selectorELNS0_4arch9wavefront6targetE1EEEvSY_ ; -- Begin function _ZN7rocprim17ROCPRIM_400000_NS6detail17trampoline_kernelINS0_13select_configILj256ELj13ELNS0_17block_load_methodE3ELS4_3ELS4_3ELNS0_20block_scan_algorithmE0ELj4294967295EEENS1_25partition_config_selectorILNS1_17partition_subalgoE3EjNS0_10empty_typeEbEEZZNS1_14partition_implILS8_3ELb0ES6_jNS0_17counting_iteratorIjlEEPS9_SE_NS0_5tupleIJPjSE_EEENSF_IJSE_SE_EEES9_SG_JZNS1_25segmented_radix_sort_implINS0_14default_configELb1EPKaPaPKlPlN2at6native12_GLOBAL__N_18offset_tEEE10hipError_tPvRmT1_PNSt15iterator_traitsISY_E10value_typeET2_T3_PNSZ_IS14_E10value_typeET4_jRbjT5_S1A_jjP12ihipStream_tbEUljE_EEESV_SW_SX_S14_S18_S1A_T6_T7_T9_mT8_S1C_bDpT10_ENKUlT_T0_E_clISt17integral_constantIbLb1EES1P_EEDaS1K_S1L_EUlS1K_E_NS1_11comp_targetILNS1_3genE3ELNS1_11target_archE908ELNS1_3gpuE7ELNS1_3repE0EEENS1_30default_config_static_selectorELNS0_4arch9wavefront6targetE1EEEvSY_
	.p2align	8
	.type	_ZN7rocprim17ROCPRIM_400000_NS6detail17trampoline_kernelINS0_13select_configILj256ELj13ELNS0_17block_load_methodE3ELS4_3ELS4_3ELNS0_20block_scan_algorithmE0ELj4294967295EEENS1_25partition_config_selectorILNS1_17partition_subalgoE3EjNS0_10empty_typeEbEEZZNS1_14partition_implILS8_3ELb0ES6_jNS0_17counting_iteratorIjlEEPS9_SE_NS0_5tupleIJPjSE_EEENSF_IJSE_SE_EEES9_SG_JZNS1_25segmented_radix_sort_implINS0_14default_configELb1EPKaPaPKlPlN2at6native12_GLOBAL__N_18offset_tEEE10hipError_tPvRmT1_PNSt15iterator_traitsISY_E10value_typeET2_T3_PNSZ_IS14_E10value_typeET4_jRbjT5_S1A_jjP12ihipStream_tbEUljE_EEESV_SW_SX_S14_S18_S1A_T6_T7_T9_mT8_S1C_bDpT10_ENKUlT_T0_E_clISt17integral_constantIbLb1EES1P_EEDaS1K_S1L_EUlS1K_E_NS1_11comp_targetILNS1_3genE3ELNS1_11target_archE908ELNS1_3gpuE7ELNS1_3repE0EEENS1_30default_config_static_selectorELNS0_4arch9wavefront6targetE1EEEvSY_,@function
_ZN7rocprim17ROCPRIM_400000_NS6detail17trampoline_kernelINS0_13select_configILj256ELj13ELNS0_17block_load_methodE3ELS4_3ELS4_3ELNS0_20block_scan_algorithmE0ELj4294967295EEENS1_25partition_config_selectorILNS1_17partition_subalgoE3EjNS0_10empty_typeEbEEZZNS1_14partition_implILS8_3ELb0ES6_jNS0_17counting_iteratorIjlEEPS9_SE_NS0_5tupleIJPjSE_EEENSF_IJSE_SE_EEES9_SG_JZNS1_25segmented_radix_sort_implINS0_14default_configELb1EPKaPaPKlPlN2at6native12_GLOBAL__N_18offset_tEEE10hipError_tPvRmT1_PNSt15iterator_traitsISY_E10value_typeET2_T3_PNSZ_IS14_E10value_typeET4_jRbjT5_S1A_jjP12ihipStream_tbEUljE_EEESV_SW_SX_S14_S18_S1A_T6_T7_T9_mT8_S1C_bDpT10_ENKUlT_T0_E_clISt17integral_constantIbLb1EES1P_EEDaS1K_S1L_EUlS1K_E_NS1_11comp_targetILNS1_3genE3ELNS1_11target_archE908ELNS1_3gpuE7ELNS1_3repE0EEENS1_30default_config_static_selectorELNS0_4arch9wavefront6targetE1EEEvSY_: ; @_ZN7rocprim17ROCPRIM_400000_NS6detail17trampoline_kernelINS0_13select_configILj256ELj13ELNS0_17block_load_methodE3ELS4_3ELS4_3ELNS0_20block_scan_algorithmE0ELj4294967295EEENS1_25partition_config_selectorILNS1_17partition_subalgoE3EjNS0_10empty_typeEbEEZZNS1_14partition_implILS8_3ELb0ES6_jNS0_17counting_iteratorIjlEEPS9_SE_NS0_5tupleIJPjSE_EEENSF_IJSE_SE_EEES9_SG_JZNS1_25segmented_radix_sort_implINS0_14default_configELb1EPKaPaPKlPlN2at6native12_GLOBAL__N_18offset_tEEE10hipError_tPvRmT1_PNSt15iterator_traitsISY_E10value_typeET2_T3_PNSZ_IS14_E10value_typeET4_jRbjT5_S1A_jjP12ihipStream_tbEUljE_EEESV_SW_SX_S14_S18_S1A_T6_T7_T9_mT8_S1C_bDpT10_ENKUlT_T0_E_clISt17integral_constantIbLb1EES1P_EEDaS1K_S1L_EUlS1K_E_NS1_11comp_targetILNS1_3genE3ELNS1_11target_archE908ELNS1_3gpuE7ELNS1_3repE0EEENS1_30default_config_static_selectorELNS0_4arch9wavefront6targetE1EEEvSY_
; %bb.0:
	.section	.rodata,"a",@progbits
	.p2align	6, 0x0
	.amdhsa_kernel _ZN7rocprim17ROCPRIM_400000_NS6detail17trampoline_kernelINS0_13select_configILj256ELj13ELNS0_17block_load_methodE3ELS4_3ELS4_3ELNS0_20block_scan_algorithmE0ELj4294967295EEENS1_25partition_config_selectorILNS1_17partition_subalgoE3EjNS0_10empty_typeEbEEZZNS1_14partition_implILS8_3ELb0ES6_jNS0_17counting_iteratorIjlEEPS9_SE_NS0_5tupleIJPjSE_EEENSF_IJSE_SE_EEES9_SG_JZNS1_25segmented_radix_sort_implINS0_14default_configELb1EPKaPaPKlPlN2at6native12_GLOBAL__N_18offset_tEEE10hipError_tPvRmT1_PNSt15iterator_traitsISY_E10value_typeET2_T3_PNSZ_IS14_E10value_typeET4_jRbjT5_S1A_jjP12ihipStream_tbEUljE_EEESV_SW_SX_S14_S18_S1A_T6_T7_T9_mT8_S1C_bDpT10_ENKUlT_T0_E_clISt17integral_constantIbLb1EES1P_EEDaS1K_S1L_EUlS1K_E_NS1_11comp_targetILNS1_3genE3ELNS1_11target_archE908ELNS1_3gpuE7ELNS1_3repE0EEENS1_30default_config_static_selectorELNS0_4arch9wavefront6targetE1EEEvSY_
		.amdhsa_group_segment_fixed_size 0
		.amdhsa_private_segment_fixed_size 0
		.amdhsa_kernarg_size 152
		.amdhsa_user_sgpr_count 6
		.amdhsa_user_sgpr_private_segment_buffer 1
		.amdhsa_user_sgpr_dispatch_ptr 0
		.amdhsa_user_sgpr_queue_ptr 0
		.amdhsa_user_sgpr_kernarg_segment_ptr 1
		.amdhsa_user_sgpr_dispatch_id 0
		.amdhsa_user_sgpr_flat_scratch_init 0
		.amdhsa_user_sgpr_kernarg_preload_length 0
		.amdhsa_user_sgpr_kernarg_preload_offset 0
		.amdhsa_user_sgpr_private_segment_size 0
		.amdhsa_uses_dynamic_stack 0
		.amdhsa_system_sgpr_private_segment_wavefront_offset 0
		.amdhsa_system_sgpr_workgroup_id_x 1
		.amdhsa_system_sgpr_workgroup_id_y 0
		.amdhsa_system_sgpr_workgroup_id_z 0
		.amdhsa_system_sgpr_workgroup_info 0
		.amdhsa_system_vgpr_workitem_id 0
		.amdhsa_next_free_vgpr 1
		.amdhsa_next_free_sgpr 0
		.amdhsa_accum_offset 4
		.amdhsa_reserve_vcc 0
		.amdhsa_reserve_flat_scratch 0
		.amdhsa_float_round_mode_32 0
		.amdhsa_float_round_mode_16_64 0
		.amdhsa_float_denorm_mode_32 3
		.amdhsa_float_denorm_mode_16_64 3
		.amdhsa_dx10_clamp 1
		.amdhsa_ieee_mode 1
		.amdhsa_fp16_overflow 0
		.amdhsa_tg_split 0
		.amdhsa_exception_fp_ieee_invalid_op 0
		.amdhsa_exception_fp_denorm_src 0
		.amdhsa_exception_fp_ieee_div_zero 0
		.amdhsa_exception_fp_ieee_overflow 0
		.amdhsa_exception_fp_ieee_underflow 0
		.amdhsa_exception_fp_ieee_inexact 0
		.amdhsa_exception_int_div_zero 0
	.end_amdhsa_kernel
	.section	.text._ZN7rocprim17ROCPRIM_400000_NS6detail17trampoline_kernelINS0_13select_configILj256ELj13ELNS0_17block_load_methodE3ELS4_3ELS4_3ELNS0_20block_scan_algorithmE0ELj4294967295EEENS1_25partition_config_selectorILNS1_17partition_subalgoE3EjNS0_10empty_typeEbEEZZNS1_14partition_implILS8_3ELb0ES6_jNS0_17counting_iteratorIjlEEPS9_SE_NS0_5tupleIJPjSE_EEENSF_IJSE_SE_EEES9_SG_JZNS1_25segmented_radix_sort_implINS0_14default_configELb1EPKaPaPKlPlN2at6native12_GLOBAL__N_18offset_tEEE10hipError_tPvRmT1_PNSt15iterator_traitsISY_E10value_typeET2_T3_PNSZ_IS14_E10value_typeET4_jRbjT5_S1A_jjP12ihipStream_tbEUljE_EEESV_SW_SX_S14_S18_S1A_T6_T7_T9_mT8_S1C_bDpT10_ENKUlT_T0_E_clISt17integral_constantIbLb1EES1P_EEDaS1K_S1L_EUlS1K_E_NS1_11comp_targetILNS1_3genE3ELNS1_11target_archE908ELNS1_3gpuE7ELNS1_3repE0EEENS1_30default_config_static_selectorELNS0_4arch9wavefront6targetE1EEEvSY_,"axG",@progbits,_ZN7rocprim17ROCPRIM_400000_NS6detail17trampoline_kernelINS0_13select_configILj256ELj13ELNS0_17block_load_methodE3ELS4_3ELS4_3ELNS0_20block_scan_algorithmE0ELj4294967295EEENS1_25partition_config_selectorILNS1_17partition_subalgoE3EjNS0_10empty_typeEbEEZZNS1_14partition_implILS8_3ELb0ES6_jNS0_17counting_iteratorIjlEEPS9_SE_NS0_5tupleIJPjSE_EEENSF_IJSE_SE_EEES9_SG_JZNS1_25segmented_radix_sort_implINS0_14default_configELb1EPKaPaPKlPlN2at6native12_GLOBAL__N_18offset_tEEE10hipError_tPvRmT1_PNSt15iterator_traitsISY_E10value_typeET2_T3_PNSZ_IS14_E10value_typeET4_jRbjT5_S1A_jjP12ihipStream_tbEUljE_EEESV_SW_SX_S14_S18_S1A_T6_T7_T9_mT8_S1C_bDpT10_ENKUlT_T0_E_clISt17integral_constantIbLb1EES1P_EEDaS1K_S1L_EUlS1K_E_NS1_11comp_targetILNS1_3genE3ELNS1_11target_archE908ELNS1_3gpuE7ELNS1_3repE0EEENS1_30default_config_static_selectorELNS0_4arch9wavefront6targetE1EEEvSY_,comdat
.Lfunc_end269:
	.size	_ZN7rocprim17ROCPRIM_400000_NS6detail17trampoline_kernelINS0_13select_configILj256ELj13ELNS0_17block_load_methodE3ELS4_3ELS4_3ELNS0_20block_scan_algorithmE0ELj4294967295EEENS1_25partition_config_selectorILNS1_17partition_subalgoE3EjNS0_10empty_typeEbEEZZNS1_14partition_implILS8_3ELb0ES6_jNS0_17counting_iteratorIjlEEPS9_SE_NS0_5tupleIJPjSE_EEENSF_IJSE_SE_EEES9_SG_JZNS1_25segmented_radix_sort_implINS0_14default_configELb1EPKaPaPKlPlN2at6native12_GLOBAL__N_18offset_tEEE10hipError_tPvRmT1_PNSt15iterator_traitsISY_E10value_typeET2_T3_PNSZ_IS14_E10value_typeET4_jRbjT5_S1A_jjP12ihipStream_tbEUljE_EEESV_SW_SX_S14_S18_S1A_T6_T7_T9_mT8_S1C_bDpT10_ENKUlT_T0_E_clISt17integral_constantIbLb1EES1P_EEDaS1K_S1L_EUlS1K_E_NS1_11comp_targetILNS1_3genE3ELNS1_11target_archE908ELNS1_3gpuE7ELNS1_3repE0EEENS1_30default_config_static_selectorELNS0_4arch9wavefront6targetE1EEEvSY_, .Lfunc_end269-_ZN7rocprim17ROCPRIM_400000_NS6detail17trampoline_kernelINS0_13select_configILj256ELj13ELNS0_17block_load_methodE3ELS4_3ELS4_3ELNS0_20block_scan_algorithmE0ELj4294967295EEENS1_25partition_config_selectorILNS1_17partition_subalgoE3EjNS0_10empty_typeEbEEZZNS1_14partition_implILS8_3ELb0ES6_jNS0_17counting_iteratorIjlEEPS9_SE_NS0_5tupleIJPjSE_EEENSF_IJSE_SE_EEES9_SG_JZNS1_25segmented_radix_sort_implINS0_14default_configELb1EPKaPaPKlPlN2at6native12_GLOBAL__N_18offset_tEEE10hipError_tPvRmT1_PNSt15iterator_traitsISY_E10value_typeET2_T3_PNSZ_IS14_E10value_typeET4_jRbjT5_S1A_jjP12ihipStream_tbEUljE_EEESV_SW_SX_S14_S18_S1A_T6_T7_T9_mT8_S1C_bDpT10_ENKUlT_T0_E_clISt17integral_constantIbLb1EES1P_EEDaS1K_S1L_EUlS1K_E_NS1_11comp_targetILNS1_3genE3ELNS1_11target_archE908ELNS1_3gpuE7ELNS1_3repE0EEENS1_30default_config_static_selectorELNS0_4arch9wavefront6targetE1EEEvSY_
                                        ; -- End function
	.section	.AMDGPU.csdata,"",@progbits
; Kernel info:
; codeLenInByte = 0
; NumSgprs: 4
; NumVgprs: 0
; NumAgprs: 0
; TotalNumVgprs: 0
; ScratchSize: 0
; MemoryBound: 0
; FloatMode: 240
; IeeeMode: 1
; LDSByteSize: 0 bytes/workgroup (compile time only)
; SGPRBlocks: 0
; VGPRBlocks: 0
; NumSGPRsForWavesPerEU: 4
; NumVGPRsForWavesPerEU: 1
; AccumOffset: 4
; Occupancy: 8
; WaveLimiterHint : 0
; COMPUTE_PGM_RSRC2:SCRATCH_EN: 0
; COMPUTE_PGM_RSRC2:USER_SGPR: 6
; COMPUTE_PGM_RSRC2:TRAP_HANDLER: 0
; COMPUTE_PGM_RSRC2:TGID_X_EN: 1
; COMPUTE_PGM_RSRC2:TGID_Y_EN: 0
; COMPUTE_PGM_RSRC2:TGID_Z_EN: 0
; COMPUTE_PGM_RSRC2:TIDIG_COMP_CNT: 0
; COMPUTE_PGM_RSRC3_GFX90A:ACCUM_OFFSET: 0
; COMPUTE_PGM_RSRC3_GFX90A:TG_SPLIT: 0
	.section	.text._ZN7rocprim17ROCPRIM_400000_NS6detail17trampoline_kernelINS0_13select_configILj256ELj13ELNS0_17block_load_methodE3ELS4_3ELS4_3ELNS0_20block_scan_algorithmE0ELj4294967295EEENS1_25partition_config_selectorILNS1_17partition_subalgoE3EjNS0_10empty_typeEbEEZZNS1_14partition_implILS8_3ELb0ES6_jNS0_17counting_iteratorIjlEEPS9_SE_NS0_5tupleIJPjSE_EEENSF_IJSE_SE_EEES9_SG_JZNS1_25segmented_radix_sort_implINS0_14default_configELb1EPKaPaPKlPlN2at6native12_GLOBAL__N_18offset_tEEE10hipError_tPvRmT1_PNSt15iterator_traitsISY_E10value_typeET2_T3_PNSZ_IS14_E10value_typeET4_jRbjT5_S1A_jjP12ihipStream_tbEUljE_EEESV_SW_SX_S14_S18_S1A_T6_T7_T9_mT8_S1C_bDpT10_ENKUlT_T0_E_clISt17integral_constantIbLb1EES1P_EEDaS1K_S1L_EUlS1K_E_NS1_11comp_targetILNS1_3genE2ELNS1_11target_archE906ELNS1_3gpuE6ELNS1_3repE0EEENS1_30default_config_static_selectorELNS0_4arch9wavefront6targetE1EEEvSY_,"axG",@progbits,_ZN7rocprim17ROCPRIM_400000_NS6detail17trampoline_kernelINS0_13select_configILj256ELj13ELNS0_17block_load_methodE3ELS4_3ELS4_3ELNS0_20block_scan_algorithmE0ELj4294967295EEENS1_25partition_config_selectorILNS1_17partition_subalgoE3EjNS0_10empty_typeEbEEZZNS1_14partition_implILS8_3ELb0ES6_jNS0_17counting_iteratorIjlEEPS9_SE_NS0_5tupleIJPjSE_EEENSF_IJSE_SE_EEES9_SG_JZNS1_25segmented_radix_sort_implINS0_14default_configELb1EPKaPaPKlPlN2at6native12_GLOBAL__N_18offset_tEEE10hipError_tPvRmT1_PNSt15iterator_traitsISY_E10value_typeET2_T3_PNSZ_IS14_E10value_typeET4_jRbjT5_S1A_jjP12ihipStream_tbEUljE_EEESV_SW_SX_S14_S18_S1A_T6_T7_T9_mT8_S1C_bDpT10_ENKUlT_T0_E_clISt17integral_constantIbLb1EES1P_EEDaS1K_S1L_EUlS1K_E_NS1_11comp_targetILNS1_3genE2ELNS1_11target_archE906ELNS1_3gpuE6ELNS1_3repE0EEENS1_30default_config_static_selectorELNS0_4arch9wavefront6targetE1EEEvSY_,comdat
	.globl	_ZN7rocprim17ROCPRIM_400000_NS6detail17trampoline_kernelINS0_13select_configILj256ELj13ELNS0_17block_load_methodE3ELS4_3ELS4_3ELNS0_20block_scan_algorithmE0ELj4294967295EEENS1_25partition_config_selectorILNS1_17partition_subalgoE3EjNS0_10empty_typeEbEEZZNS1_14partition_implILS8_3ELb0ES6_jNS0_17counting_iteratorIjlEEPS9_SE_NS0_5tupleIJPjSE_EEENSF_IJSE_SE_EEES9_SG_JZNS1_25segmented_radix_sort_implINS0_14default_configELb1EPKaPaPKlPlN2at6native12_GLOBAL__N_18offset_tEEE10hipError_tPvRmT1_PNSt15iterator_traitsISY_E10value_typeET2_T3_PNSZ_IS14_E10value_typeET4_jRbjT5_S1A_jjP12ihipStream_tbEUljE_EEESV_SW_SX_S14_S18_S1A_T6_T7_T9_mT8_S1C_bDpT10_ENKUlT_T0_E_clISt17integral_constantIbLb1EES1P_EEDaS1K_S1L_EUlS1K_E_NS1_11comp_targetILNS1_3genE2ELNS1_11target_archE906ELNS1_3gpuE6ELNS1_3repE0EEENS1_30default_config_static_selectorELNS0_4arch9wavefront6targetE1EEEvSY_ ; -- Begin function _ZN7rocprim17ROCPRIM_400000_NS6detail17trampoline_kernelINS0_13select_configILj256ELj13ELNS0_17block_load_methodE3ELS4_3ELS4_3ELNS0_20block_scan_algorithmE0ELj4294967295EEENS1_25partition_config_selectorILNS1_17partition_subalgoE3EjNS0_10empty_typeEbEEZZNS1_14partition_implILS8_3ELb0ES6_jNS0_17counting_iteratorIjlEEPS9_SE_NS0_5tupleIJPjSE_EEENSF_IJSE_SE_EEES9_SG_JZNS1_25segmented_radix_sort_implINS0_14default_configELb1EPKaPaPKlPlN2at6native12_GLOBAL__N_18offset_tEEE10hipError_tPvRmT1_PNSt15iterator_traitsISY_E10value_typeET2_T3_PNSZ_IS14_E10value_typeET4_jRbjT5_S1A_jjP12ihipStream_tbEUljE_EEESV_SW_SX_S14_S18_S1A_T6_T7_T9_mT8_S1C_bDpT10_ENKUlT_T0_E_clISt17integral_constantIbLb1EES1P_EEDaS1K_S1L_EUlS1K_E_NS1_11comp_targetILNS1_3genE2ELNS1_11target_archE906ELNS1_3gpuE6ELNS1_3repE0EEENS1_30default_config_static_selectorELNS0_4arch9wavefront6targetE1EEEvSY_
	.p2align	8
	.type	_ZN7rocprim17ROCPRIM_400000_NS6detail17trampoline_kernelINS0_13select_configILj256ELj13ELNS0_17block_load_methodE3ELS4_3ELS4_3ELNS0_20block_scan_algorithmE0ELj4294967295EEENS1_25partition_config_selectorILNS1_17partition_subalgoE3EjNS0_10empty_typeEbEEZZNS1_14partition_implILS8_3ELb0ES6_jNS0_17counting_iteratorIjlEEPS9_SE_NS0_5tupleIJPjSE_EEENSF_IJSE_SE_EEES9_SG_JZNS1_25segmented_radix_sort_implINS0_14default_configELb1EPKaPaPKlPlN2at6native12_GLOBAL__N_18offset_tEEE10hipError_tPvRmT1_PNSt15iterator_traitsISY_E10value_typeET2_T3_PNSZ_IS14_E10value_typeET4_jRbjT5_S1A_jjP12ihipStream_tbEUljE_EEESV_SW_SX_S14_S18_S1A_T6_T7_T9_mT8_S1C_bDpT10_ENKUlT_T0_E_clISt17integral_constantIbLb1EES1P_EEDaS1K_S1L_EUlS1K_E_NS1_11comp_targetILNS1_3genE2ELNS1_11target_archE906ELNS1_3gpuE6ELNS1_3repE0EEENS1_30default_config_static_selectorELNS0_4arch9wavefront6targetE1EEEvSY_,@function
_ZN7rocprim17ROCPRIM_400000_NS6detail17trampoline_kernelINS0_13select_configILj256ELj13ELNS0_17block_load_methodE3ELS4_3ELS4_3ELNS0_20block_scan_algorithmE0ELj4294967295EEENS1_25partition_config_selectorILNS1_17partition_subalgoE3EjNS0_10empty_typeEbEEZZNS1_14partition_implILS8_3ELb0ES6_jNS0_17counting_iteratorIjlEEPS9_SE_NS0_5tupleIJPjSE_EEENSF_IJSE_SE_EEES9_SG_JZNS1_25segmented_radix_sort_implINS0_14default_configELb1EPKaPaPKlPlN2at6native12_GLOBAL__N_18offset_tEEE10hipError_tPvRmT1_PNSt15iterator_traitsISY_E10value_typeET2_T3_PNSZ_IS14_E10value_typeET4_jRbjT5_S1A_jjP12ihipStream_tbEUljE_EEESV_SW_SX_S14_S18_S1A_T6_T7_T9_mT8_S1C_bDpT10_ENKUlT_T0_E_clISt17integral_constantIbLb1EES1P_EEDaS1K_S1L_EUlS1K_E_NS1_11comp_targetILNS1_3genE2ELNS1_11target_archE906ELNS1_3gpuE6ELNS1_3repE0EEENS1_30default_config_static_selectorELNS0_4arch9wavefront6targetE1EEEvSY_: ; @_ZN7rocprim17ROCPRIM_400000_NS6detail17trampoline_kernelINS0_13select_configILj256ELj13ELNS0_17block_load_methodE3ELS4_3ELS4_3ELNS0_20block_scan_algorithmE0ELj4294967295EEENS1_25partition_config_selectorILNS1_17partition_subalgoE3EjNS0_10empty_typeEbEEZZNS1_14partition_implILS8_3ELb0ES6_jNS0_17counting_iteratorIjlEEPS9_SE_NS0_5tupleIJPjSE_EEENSF_IJSE_SE_EEES9_SG_JZNS1_25segmented_radix_sort_implINS0_14default_configELb1EPKaPaPKlPlN2at6native12_GLOBAL__N_18offset_tEEE10hipError_tPvRmT1_PNSt15iterator_traitsISY_E10value_typeET2_T3_PNSZ_IS14_E10value_typeET4_jRbjT5_S1A_jjP12ihipStream_tbEUljE_EEESV_SW_SX_S14_S18_S1A_T6_T7_T9_mT8_S1C_bDpT10_ENKUlT_T0_E_clISt17integral_constantIbLb1EES1P_EEDaS1K_S1L_EUlS1K_E_NS1_11comp_targetILNS1_3genE2ELNS1_11target_archE906ELNS1_3gpuE6ELNS1_3repE0EEENS1_30default_config_static_selectorELNS0_4arch9wavefront6targetE1EEEvSY_
; %bb.0:
	.section	.rodata,"a",@progbits
	.p2align	6, 0x0
	.amdhsa_kernel _ZN7rocprim17ROCPRIM_400000_NS6detail17trampoline_kernelINS0_13select_configILj256ELj13ELNS0_17block_load_methodE3ELS4_3ELS4_3ELNS0_20block_scan_algorithmE0ELj4294967295EEENS1_25partition_config_selectorILNS1_17partition_subalgoE3EjNS0_10empty_typeEbEEZZNS1_14partition_implILS8_3ELb0ES6_jNS0_17counting_iteratorIjlEEPS9_SE_NS0_5tupleIJPjSE_EEENSF_IJSE_SE_EEES9_SG_JZNS1_25segmented_radix_sort_implINS0_14default_configELb1EPKaPaPKlPlN2at6native12_GLOBAL__N_18offset_tEEE10hipError_tPvRmT1_PNSt15iterator_traitsISY_E10value_typeET2_T3_PNSZ_IS14_E10value_typeET4_jRbjT5_S1A_jjP12ihipStream_tbEUljE_EEESV_SW_SX_S14_S18_S1A_T6_T7_T9_mT8_S1C_bDpT10_ENKUlT_T0_E_clISt17integral_constantIbLb1EES1P_EEDaS1K_S1L_EUlS1K_E_NS1_11comp_targetILNS1_3genE2ELNS1_11target_archE906ELNS1_3gpuE6ELNS1_3repE0EEENS1_30default_config_static_selectorELNS0_4arch9wavefront6targetE1EEEvSY_
		.amdhsa_group_segment_fixed_size 0
		.amdhsa_private_segment_fixed_size 0
		.amdhsa_kernarg_size 152
		.amdhsa_user_sgpr_count 6
		.amdhsa_user_sgpr_private_segment_buffer 1
		.amdhsa_user_sgpr_dispatch_ptr 0
		.amdhsa_user_sgpr_queue_ptr 0
		.amdhsa_user_sgpr_kernarg_segment_ptr 1
		.amdhsa_user_sgpr_dispatch_id 0
		.amdhsa_user_sgpr_flat_scratch_init 0
		.amdhsa_user_sgpr_kernarg_preload_length 0
		.amdhsa_user_sgpr_kernarg_preload_offset 0
		.amdhsa_user_sgpr_private_segment_size 0
		.amdhsa_uses_dynamic_stack 0
		.amdhsa_system_sgpr_private_segment_wavefront_offset 0
		.amdhsa_system_sgpr_workgroup_id_x 1
		.amdhsa_system_sgpr_workgroup_id_y 0
		.amdhsa_system_sgpr_workgroup_id_z 0
		.amdhsa_system_sgpr_workgroup_info 0
		.amdhsa_system_vgpr_workitem_id 0
		.amdhsa_next_free_vgpr 1
		.amdhsa_next_free_sgpr 0
		.amdhsa_accum_offset 4
		.amdhsa_reserve_vcc 0
		.amdhsa_reserve_flat_scratch 0
		.amdhsa_float_round_mode_32 0
		.amdhsa_float_round_mode_16_64 0
		.amdhsa_float_denorm_mode_32 3
		.amdhsa_float_denorm_mode_16_64 3
		.amdhsa_dx10_clamp 1
		.amdhsa_ieee_mode 1
		.amdhsa_fp16_overflow 0
		.amdhsa_tg_split 0
		.amdhsa_exception_fp_ieee_invalid_op 0
		.amdhsa_exception_fp_denorm_src 0
		.amdhsa_exception_fp_ieee_div_zero 0
		.amdhsa_exception_fp_ieee_overflow 0
		.amdhsa_exception_fp_ieee_underflow 0
		.amdhsa_exception_fp_ieee_inexact 0
		.amdhsa_exception_int_div_zero 0
	.end_amdhsa_kernel
	.section	.text._ZN7rocprim17ROCPRIM_400000_NS6detail17trampoline_kernelINS0_13select_configILj256ELj13ELNS0_17block_load_methodE3ELS4_3ELS4_3ELNS0_20block_scan_algorithmE0ELj4294967295EEENS1_25partition_config_selectorILNS1_17partition_subalgoE3EjNS0_10empty_typeEbEEZZNS1_14partition_implILS8_3ELb0ES6_jNS0_17counting_iteratorIjlEEPS9_SE_NS0_5tupleIJPjSE_EEENSF_IJSE_SE_EEES9_SG_JZNS1_25segmented_radix_sort_implINS0_14default_configELb1EPKaPaPKlPlN2at6native12_GLOBAL__N_18offset_tEEE10hipError_tPvRmT1_PNSt15iterator_traitsISY_E10value_typeET2_T3_PNSZ_IS14_E10value_typeET4_jRbjT5_S1A_jjP12ihipStream_tbEUljE_EEESV_SW_SX_S14_S18_S1A_T6_T7_T9_mT8_S1C_bDpT10_ENKUlT_T0_E_clISt17integral_constantIbLb1EES1P_EEDaS1K_S1L_EUlS1K_E_NS1_11comp_targetILNS1_3genE2ELNS1_11target_archE906ELNS1_3gpuE6ELNS1_3repE0EEENS1_30default_config_static_selectorELNS0_4arch9wavefront6targetE1EEEvSY_,"axG",@progbits,_ZN7rocprim17ROCPRIM_400000_NS6detail17trampoline_kernelINS0_13select_configILj256ELj13ELNS0_17block_load_methodE3ELS4_3ELS4_3ELNS0_20block_scan_algorithmE0ELj4294967295EEENS1_25partition_config_selectorILNS1_17partition_subalgoE3EjNS0_10empty_typeEbEEZZNS1_14partition_implILS8_3ELb0ES6_jNS0_17counting_iteratorIjlEEPS9_SE_NS0_5tupleIJPjSE_EEENSF_IJSE_SE_EEES9_SG_JZNS1_25segmented_radix_sort_implINS0_14default_configELb1EPKaPaPKlPlN2at6native12_GLOBAL__N_18offset_tEEE10hipError_tPvRmT1_PNSt15iterator_traitsISY_E10value_typeET2_T3_PNSZ_IS14_E10value_typeET4_jRbjT5_S1A_jjP12ihipStream_tbEUljE_EEESV_SW_SX_S14_S18_S1A_T6_T7_T9_mT8_S1C_bDpT10_ENKUlT_T0_E_clISt17integral_constantIbLb1EES1P_EEDaS1K_S1L_EUlS1K_E_NS1_11comp_targetILNS1_3genE2ELNS1_11target_archE906ELNS1_3gpuE6ELNS1_3repE0EEENS1_30default_config_static_selectorELNS0_4arch9wavefront6targetE1EEEvSY_,comdat
.Lfunc_end270:
	.size	_ZN7rocprim17ROCPRIM_400000_NS6detail17trampoline_kernelINS0_13select_configILj256ELj13ELNS0_17block_load_methodE3ELS4_3ELS4_3ELNS0_20block_scan_algorithmE0ELj4294967295EEENS1_25partition_config_selectorILNS1_17partition_subalgoE3EjNS0_10empty_typeEbEEZZNS1_14partition_implILS8_3ELb0ES6_jNS0_17counting_iteratorIjlEEPS9_SE_NS0_5tupleIJPjSE_EEENSF_IJSE_SE_EEES9_SG_JZNS1_25segmented_radix_sort_implINS0_14default_configELb1EPKaPaPKlPlN2at6native12_GLOBAL__N_18offset_tEEE10hipError_tPvRmT1_PNSt15iterator_traitsISY_E10value_typeET2_T3_PNSZ_IS14_E10value_typeET4_jRbjT5_S1A_jjP12ihipStream_tbEUljE_EEESV_SW_SX_S14_S18_S1A_T6_T7_T9_mT8_S1C_bDpT10_ENKUlT_T0_E_clISt17integral_constantIbLb1EES1P_EEDaS1K_S1L_EUlS1K_E_NS1_11comp_targetILNS1_3genE2ELNS1_11target_archE906ELNS1_3gpuE6ELNS1_3repE0EEENS1_30default_config_static_selectorELNS0_4arch9wavefront6targetE1EEEvSY_, .Lfunc_end270-_ZN7rocprim17ROCPRIM_400000_NS6detail17trampoline_kernelINS0_13select_configILj256ELj13ELNS0_17block_load_methodE3ELS4_3ELS4_3ELNS0_20block_scan_algorithmE0ELj4294967295EEENS1_25partition_config_selectorILNS1_17partition_subalgoE3EjNS0_10empty_typeEbEEZZNS1_14partition_implILS8_3ELb0ES6_jNS0_17counting_iteratorIjlEEPS9_SE_NS0_5tupleIJPjSE_EEENSF_IJSE_SE_EEES9_SG_JZNS1_25segmented_radix_sort_implINS0_14default_configELb1EPKaPaPKlPlN2at6native12_GLOBAL__N_18offset_tEEE10hipError_tPvRmT1_PNSt15iterator_traitsISY_E10value_typeET2_T3_PNSZ_IS14_E10value_typeET4_jRbjT5_S1A_jjP12ihipStream_tbEUljE_EEESV_SW_SX_S14_S18_S1A_T6_T7_T9_mT8_S1C_bDpT10_ENKUlT_T0_E_clISt17integral_constantIbLb1EES1P_EEDaS1K_S1L_EUlS1K_E_NS1_11comp_targetILNS1_3genE2ELNS1_11target_archE906ELNS1_3gpuE6ELNS1_3repE0EEENS1_30default_config_static_selectorELNS0_4arch9wavefront6targetE1EEEvSY_
                                        ; -- End function
	.section	.AMDGPU.csdata,"",@progbits
; Kernel info:
; codeLenInByte = 0
; NumSgprs: 4
; NumVgprs: 0
; NumAgprs: 0
; TotalNumVgprs: 0
; ScratchSize: 0
; MemoryBound: 0
; FloatMode: 240
; IeeeMode: 1
; LDSByteSize: 0 bytes/workgroup (compile time only)
; SGPRBlocks: 0
; VGPRBlocks: 0
; NumSGPRsForWavesPerEU: 4
; NumVGPRsForWavesPerEU: 1
; AccumOffset: 4
; Occupancy: 8
; WaveLimiterHint : 0
; COMPUTE_PGM_RSRC2:SCRATCH_EN: 0
; COMPUTE_PGM_RSRC2:USER_SGPR: 6
; COMPUTE_PGM_RSRC2:TRAP_HANDLER: 0
; COMPUTE_PGM_RSRC2:TGID_X_EN: 1
; COMPUTE_PGM_RSRC2:TGID_Y_EN: 0
; COMPUTE_PGM_RSRC2:TGID_Z_EN: 0
; COMPUTE_PGM_RSRC2:TIDIG_COMP_CNT: 0
; COMPUTE_PGM_RSRC3_GFX90A:ACCUM_OFFSET: 0
; COMPUTE_PGM_RSRC3_GFX90A:TG_SPLIT: 0
	.section	.text._ZN7rocprim17ROCPRIM_400000_NS6detail17trampoline_kernelINS0_13select_configILj256ELj13ELNS0_17block_load_methodE3ELS4_3ELS4_3ELNS0_20block_scan_algorithmE0ELj4294967295EEENS1_25partition_config_selectorILNS1_17partition_subalgoE3EjNS0_10empty_typeEbEEZZNS1_14partition_implILS8_3ELb0ES6_jNS0_17counting_iteratorIjlEEPS9_SE_NS0_5tupleIJPjSE_EEENSF_IJSE_SE_EEES9_SG_JZNS1_25segmented_radix_sort_implINS0_14default_configELb1EPKaPaPKlPlN2at6native12_GLOBAL__N_18offset_tEEE10hipError_tPvRmT1_PNSt15iterator_traitsISY_E10value_typeET2_T3_PNSZ_IS14_E10value_typeET4_jRbjT5_S1A_jjP12ihipStream_tbEUljE_EEESV_SW_SX_S14_S18_S1A_T6_T7_T9_mT8_S1C_bDpT10_ENKUlT_T0_E_clISt17integral_constantIbLb1EES1P_EEDaS1K_S1L_EUlS1K_E_NS1_11comp_targetILNS1_3genE10ELNS1_11target_archE1200ELNS1_3gpuE4ELNS1_3repE0EEENS1_30default_config_static_selectorELNS0_4arch9wavefront6targetE1EEEvSY_,"axG",@progbits,_ZN7rocprim17ROCPRIM_400000_NS6detail17trampoline_kernelINS0_13select_configILj256ELj13ELNS0_17block_load_methodE3ELS4_3ELS4_3ELNS0_20block_scan_algorithmE0ELj4294967295EEENS1_25partition_config_selectorILNS1_17partition_subalgoE3EjNS0_10empty_typeEbEEZZNS1_14partition_implILS8_3ELb0ES6_jNS0_17counting_iteratorIjlEEPS9_SE_NS0_5tupleIJPjSE_EEENSF_IJSE_SE_EEES9_SG_JZNS1_25segmented_radix_sort_implINS0_14default_configELb1EPKaPaPKlPlN2at6native12_GLOBAL__N_18offset_tEEE10hipError_tPvRmT1_PNSt15iterator_traitsISY_E10value_typeET2_T3_PNSZ_IS14_E10value_typeET4_jRbjT5_S1A_jjP12ihipStream_tbEUljE_EEESV_SW_SX_S14_S18_S1A_T6_T7_T9_mT8_S1C_bDpT10_ENKUlT_T0_E_clISt17integral_constantIbLb1EES1P_EEDaS1K_S1L_EUlS1K_E_NS1_11comp_targetILNS1_3genE10ELNS1_11target_archE1200ELNS1_3gpuE4ELNS1_3repE0EEENS1_30default_config_static_selectorELNS0_4arch9wavefront6targetE1EEEvSY_,comdat
	.globl	_ZN7rocprim17ROCPRIM_400000_NS6detail17trampoline_kernelINS0_13select_configILj256ELj13ELNS0_17block_load_methodE3ELS4_3ELS4_3ELNS0_20block_scan_algorithmE0ELj4294967295EEENS1_25partition_config_selectorILNS1_17partition_subalgoE3EjNS0_10empty_typeEbEEZZNS1_14partition_implILS8_3ELb0ES6_jNS0_17counting_iteratorIjlEEPS9_SE_NS0_5tupleIJPjSE_EEENSF_IJSE_SE_EEES9_SG_JZNS1_25segmented_radix_sort_implINS0_14default_configELb1EPKaPaPKlPlN2at6native12_GLOBAL__N_18offset_tEEE10hipError_tPvRmT1_PNSt15iterator_traitsISY_E10value_typeET2_T3_PNSZ_IS14_E10value_typeET4_jRbjT5_S1A_jjP12ihipStream_tbEUljE_EEESV_SW_SX_S14_S18_S1A_T6_T7_T9_mT8_S1C_bDpT10_ENKUlT_T0_E_clISt17integral_constantIbLb1EES1P_EEDaS1K_S1L_EUlS1K_E_NS1_11comp_targetILNS1_3genE10ELNS1_11target_archE1200ELNS1_3gpuE4ELNS1_3repE0EEENS1_30default_config_static_selectorELNS0_4arch9wavefront6targetE1EEEvSY_ ; -- Begin function _ZN7rocprim17ROCPRIM_400000_NS6detail17trampoline_kernelINS0_13select_configILj256ELj13ELNS0_17block_load_methodE3ELS4_3ELS4_3ELNS0_20block_scan_algorithmE0ELj4294967295EEENS1_25partition_config_selectorILNS1_17partition_subalgoE3EjNS0_10empty_typeEbEEZZNS1_14partition_implILS8_3ELb0ES6_jNS0_17counting_iteratorIjlEEPS9_SE_NS0_5tupleIJPjSE_EEENSF_IJSE_SE_EEES9_SG_JZNS1_25segmented_radix_sort_implINS0_14default_configELb1EPKaPaPKlPlN2at6native12_GLOBAL__N_18offset_tEEE10hipError_tPvRmT1_PNSt15iterator_traitsISY_E10value_typeET2_T3_PNSZ_IS14_E10value_typeET4_jRbjT5_S1A_jjP12ihipStream_tbEUljE_EEESV_SW_SX_S14_S18_S1A_T6_T7_T9_mT8_S1C_bDpT10_ENKUlT_T0_E_clISt17integral_constantIbLb1EES1P_EEDaS1K_S1L_EUlS1K_E_NS1_11comp_targetILNS1_3genE10ELNS1_11target_archE1200ELNS1_3gpuE4ELNS1_3repE0EEENS1_30default_config_static_selectorELNS0_4arch9wavefront6targetE1EEEvSY_
	.p2align	8
	.type	_ZN7rocprim17ROCPRIM_400000_NS6detail17trampoline_kernelINS0_13select_configILj256ELj13ELNS0_17block_load_methodE3ELS4_3ELS4_3ELNS0_20block_scan_algorithmE0ELj4294967295EEENS1_25partition_config_selectorILNS1_17partition_subalgoE3EjNS0_10empty_typeEbEEZZNS1_14partition_implILS8_3ELb0ES6_jNS0_17counting_iteratorIjlEEPS9_SE_NS0_5tupleIJPjSE_EEENSF_IJSE_SE_EEES9_SG_JZNS1_25segmented_radix_sort_implINS0_14default_configELb1EPKaPaPKlPlN2at6native12_GLOBAL__N_18offset_tEEE10hipError_tPvRmT1_PNSt15iterator_traitsISY_E10value_typeET2_T3_PNSZ_IS14_E10value_typeET4_jRbjT5_S1A_jjP12ihipStream_tbEUljE_EEESV_SW_SX_S14_S18_S1A_T6_T7_T9_mT8_S1C_bDpT10_ENKUlT_T0_E_clISt17integral_constantIbLb1EES1P_EEDaS1K_S1L_EUlS1K_E_NS1_11comp_targetILNS1_3genE10ELNS1_11target_archE1200ELNS1_3gpuE4ELNS1_3repE0EEENS1_30default_config_static_selectorELNS0_4arch9wavefront6targetE1EEEvSY_,@function
_ZN7rocprim17ROCPRIM_400000_NS6detail17trampoline_kernelINS0_13select_configILj256ELj13ELNS0_17block_load_methodE3ELS4_3ELS4_3ELNS0_20block_scan_algorithmE0ELj4294967295EEENS1_25partition_config_selectorILNS1_17partition_subalgoE3EjNS0_10empty_typeEbEEZZNS1_14partition_implILS8_3ELb0ES6_jNS0_17counting_iteratorIjlEEPS9_SE_NS0_5tupleIJPjSE_EEENSF_IJSE_SE_EEES9_SG_JZNS1_25segmented_radix_sort_implINS0_14default_configELb1EPKaPaPKlPlN2at6native12_GLOBAL__N_18offset_tEEE10hipError_tPvRmT1_PNSt15iterator_traitsISY_E10value_typeET2_T3_PNSZ_IS14_E10value_typeET4_jRbjT5_S1A_jjP12ihipStream_tbEUljE_EEESV_SW_SX_S14_S18_S1A_T6_T7_T9_mT8_S1C_bDpT10_ENKUlT_T0_E_clISt17integral_constantIbLb1EES1P_EEDaS1K_S1L_EUlS1K_E_NS1_11comp_targetILNS1_3genE10ELNS1_11target_archE1200ELNS1_3gpuE4ELNS1_3repE0EEENS1_30default_config_static_selectorELNS0_4arch9wavefront6targetE1EEEvSY_: ; @_ZN7rocprim17ROCPRIM_400000_NS6detail17trampoline_kernelINS0_13select_configILj256ELj13ELNS0_17block_load_methodE3ELS4_3ELS4_3ELNS0_20block_scan_algorithmE0ELj4294967295EEENS1_25partition_config_selectorILNS1_17partition_subalgoE3EjNS0_10empty_typeEbEEZZNS1_14partition_implILS8_3ELb0ES6_jNS0_17counting_iteratorIjlEEPS9_SE_NS0_5tupleIJPjSE_EEENSF_IJSE_SE_EEES9_SG_JZNS1_25segmented_radix_sort_implINS0_14default_configELb1EPKaPaPKlPlN2at6native12_GLOBAL__N_18offset_tEEE10hipError_tPvRmT1_PNSt15iterator_traitsISY_E10value_typeET2_T3_PNSZ_IS14_E10value_typeET4_jRbjT5_S1A_jjP12ihipStream_tbEUljE_EEESV_SW_SX_S14_S18_S1A_T6_T7_T9_mT8_S1C_bDpT10_ENKUlT_T0_E_clISt17integral_constantIbLb1EES1P_EEDaS1K_S1L_EUlS1K_E_NS1_11comp_targetILNS1_3genE10ELNS1_11target_archE1200ELNS1_3gpuE4ELNS1_3repE0EEENS1_30default_config_static_selectorELNS0_4arch9wavefront6targetE1EEEvSY_
; %bb.0:
	.section	.rodata,"a",@progbits
	.p2align	6, 0x0
	.amdhsa_kernel _ZN7rocprim17ROCPRIM_400000_NS6detail17trampoline_kernelINS0_13select_configILj256ELj13ELNS0_17block_load_methodE3ELS4_3ELS4_3ELNS0_20block_scan_algorithmE0ELj4294967295EEENS1_25partition_config_selectorILNS1_17partition_subalgoE3EjNS0_10empty_typeEbEEZZNS1_14partition_implILS8_3ELb0ES6_jNS0_17counting_iteratorIjlEEPS9_SE_NS0_5tupleIJPjSE_EEENSF_IJSE_SE_EEES9_SG_JZNS1_25segmented_radix_sort_implINS0_14default_configELb1EPKaPaPKlPlN2at6native12_GLOBAL__N_18offset_tEEE10hipError_tPvRmT1_PNSt15iterator_traitsISY_E10value_typeET2_T3_PNSZ_IS14_E10value_typeET4_jRbjT5_S1A_jjP12ihipStream_tbEUljE_EEESV_SW_SX_S14_S18_S1A_T6_T7_T9_mT8_S1C_bDpT10_ENKUlT_T0_E_clISt17integral_constantIbLb1EES1P_EEDaS1K_S1L_EUlS1K_E_NS1_11comp_targetILNS1_3genE10ELNS1_11target_archE1200ELNS1_3gpuE4ELNS1_3repE0EEENS1_30default_config_static_selectorELNS0_4arch9wavefront6targetE1EEEvSY_
		.amdhsa_group_segment_fixed_size 0
		.amdhsa_private_segment_fixed_size 0
		.amdhsa_kernarg_size 152
		.amdhsa_user_sgpr_count 6
		.amdhsa_user_sgpr_private_segment_buffer 1
		.amdhsa_user_sgpr_dispatch_ptr 0
		.amdhsa_user_sgpr_queue_ptr 0
		.amdhsa_user_sgpr_kernarg_segment_ptr 1
		.amdhsa_user_sgpr_dispatch_id 0
		.amdhsa_user_sgpr_flat_scratch_init 0
		.amdhsa_user_sgpr_kernarg_preload_length 0
		.amdhsa_user_sgpr_kernarg_preload_offset 0
		.amdhsa_user_sgpr_private_segment_size 0
		.amdhsa_uses_dynamic_stack 0
		.amdhsa_system_sgpr_private_segment_wavefront_offset 0
		.amdhsa_system_sgpr_workgroup_id_x 1
		.amdhsa_system_sgpr_workgroup_id_y 0
		.amdhsa_system_sgpr_workgroup_id_z 0
		.amdhsa_system_sgpr_workgroup_info 0
		.amdhsa_system_vgpr_workitem_id 0
		.amdhsa_next_free_vgpr 1
		.amdhsa_next_free_sgpr 0
		.amdhsa_accum_offset 4
		.amdhsa_reserve_vcc 0
		.amdhsa_reserve_flat_scratch 0
		.amdhsa_float_round_mode_32 0
		.amdhsa_float_round_mode_16_64 0
		.amdhsa_float_denorm_mode_32 3
		.amdhsa_float_denorm_mode_16_64 3
		.amdhsa_dx10_clamp 1
		.amdhsa_ieee_mode 1
		.amdhsa_fp16_overflow 0
		.amdhsa_tg_split 0
		.amdhsa_exception_fp_ieee_invalid_op 0
		.amdhsa_exception_fp_denorm_src 0
		.amdhsa_exception_fp_ieee_div_zero 0
		.amdhsa_exception_fp_ieee_overflow 0
		.amdhsa_exception_fp_ieee_underflow 0
		.amdhsa_exception_fp_ieee_inexact 0
		.amdhsa_exception_int_div_zero 0
	.end_amdhsa_kernel
	.section	.text._ZN7rocprim17ROCPRIM_400000_NS6detail17trampoline_kernelINS0_13select_configILj256ELj13ELNS0_17block_load_methodE3ELS4_3ELS4_3ELNS0_20block_scan_algorithmE0ELj4294967295EEENS1_25partition_config_selectorILNS1_17partition_subalgoE3EjNS0_10empty_typeEbEEZZNS1_14partition_implILS8_3ELb0ES6_jNS0_17counting_iteratorIjlEEPS9_SE_NS0_5tupleIJPjSE_EEENSF_IJSE_SE_EEES9_SG_JZNS1_25segmented_radix_sort_implINS0_14default_configELb1EPKaPaPKlPlN2at6native12_GLOBAL__N_18offset_tEEE10hipError_tPvRmT1_PNSt15iterator_traitsISY_E10value_typeET2_T3_PNSZ_IS14_E10value_typeET4_jRbjT5_S1A_jjP12ihipStream_tbEUljE_EEESV_SW_SX_S14_S18_S1A_T6_T7_T9_mT8_S1C_bDpT10_ENKUlT_T0_E_clISt17integral_constantIbLb1EES1P_EEDaS1K_S1L_EUlS1K_E_NS1_11comp_targetILNS1_3genE10ELNS1_11target_archE1200ELNS1_3gpuE4ELNS1_3repE0EEENS1_30default_config_static_selectorELNS0_4arch9wavefront6targetE1EEEvSY_,"axG",@progbits,_ZN7rocprim17ROCPRIM_400000_NS6detail17trampoline_kernelINS0_13select_configILj256ELj13ELNS0_17block_load_methodE3ELS4_3ELS4_3ELNS0_20block_scan_algorithmE0ELj4294967295EEENS1_25partition_config_selectorILNS1_17partition_subalgoE3EjNS0_10empty_typeEbEEZZNS1_14partition_implILS8_3ELb0ES6_jNS0_17counting_iteratorIjlEEPS9_SE_NS0_5tupleIJPjSE_EEENSF_IJSE_SE_EEES9_SG_JZNS1_25segmented_radix_sort_implINS0_14default_configELb1EPKaPaPKlPlN2at6native12_GLOBAL__N_18offset_tEEE10hipError_tPvRmT1_PNSt15iterator_traitsISY_E10value_typeET2_T3_PNSZ_IS14_E10value_typeET4_jRbjT5_S1A_jjP12ihipStream_tbEUljE_EEESV_SW_SX_S14_S18_S1A_T6_T7_T9_mT8_S1C_bDpT10_ENKUlT_T0_E_clISt17integral_constantIbLb1EES1P_EEDaS1K_S1L_EUlS1K_E_NS1_11comp_targetILNS1_3genE10ELNS1_11target_archE1200ELNS1_3gpuE4ELNS1_3repE0EEENS1_30default_config_static_selectorELNS0_4arch9wavefront6targetE1EEEvSY_,comdat
.Lfunc_end271:
	.size	_ZN7rocprim17ROCPRIM_400000_NS6detail17trampoline_kernelINS0_13select_configILj256ELj13ELNS0_17block_load_methodE3ELS4_3ELS4_3ELNS0_20block_scan_algorithmE0ELj4294967295EEENS1_25partition_config_selectorILNS1_17partition_subalgoE3EjNS0_10empty_typeEbEEZZNS1_14partition_implILS8_3ELb0ES6_jNS0_17counting_iteratorIjlEEPS9_SE_NS0_5tupleIJPjSE_EEENSF_IJSE_SE_EEES9_SG_JZNS1_25segmented_radix_sort_implINS0_14default_configELb1EPKaPaPKlPlN2at6native12_GLOBAL__N_18offset_tEEE10hipError_tPvRmT1_PNSt15iterator_traitsISY_E10value_typeET2_T3_PNSZ_IS14_E10value_typeET4_jRbjT5_S1A_jjP12ihipStream_tbEUljE_EEESV_SW_SX_S14_S18_S1A_T6_T7_T9_mT8_S1C_bDpT10_ENKUlT_T0_E_clISt17integral_constantIbLb1EES1P_EEDaS1K_S1L_EUlS1K_E_NS1_11comp_targetILNS1_3genE10ELNS1_11target_archE1200ELNS1_3gpuE4ELNS1_3repE0EEENS1_30default_config_static_selectorELNS0_4arch9wavefront6targetE1EEEvSY_, .Lfunc_end271-_ZN7rocprim17ROCPRIM_400000_NS6detail17trampoline_kernelINS0_13select_configILj256ELj13ELNS0_17block_load_methodE3ELS4_3ELS4_3ELNS0_20block_scan_algorithmE0ELj4294967295EEENS1_25partition_config_selectorILNS1_17partition_subalgoE3EjNS0_10empty_typeEbEEZZNS1_14partition_implILS8_3ELb0ES6_jNS0_17counting_iteratorIjlEEPS9_SE_NS0_5tupleIJPjSE_EEENSF_IJSE_SE_EEES9_SG_JZNS1_25segmented_radix_sort_implINS0_14default_configELb1EPKaPaPKlPlN2at6native12_GLOBAL__N_18offset_tEEE10hipError_tPvRmT1_PNSt15iterator_traitsISY_E10value_typeET2_T3_PNSZ_IS14_E10value_typeET4_jRbjT5_S1A_jjP12ihipStream_tbEUljE_EEESV_SW_SX_S14_S18_S1A_T6_T7_T9_mT8_S1C_bDpT10_ENKUlT_T0_E_clISt17integral_constantIbLb1EES1P_EEDaS1K_S1L_EUlS1K_E_NS1_11comp_targetILNS1_3genE10ELNS1_11target_archE1200ELNS1_3gpuE4ELNS1_3repE0EEENS1_30default_config_static_selectorELNS0_4arch9wavefront6targetE1EEEvSY_
                                        ; -- End function
	.section	.AMDGPU.csdata,"",@progbits
; Kernel info:
; codeLenInByte = 0
; NumSgprs: 4
; NumVgprs: 0
; NumAgprs: 0
; TotalNumVgprs: 0
; ScratchSize: 0
; MemoryBound: 0
; FloatMode: 240
; IeeeMode: 1
; LDSByteSize: 0 bytes/workgroup (compile time only)
; SGPRBlocks: 0
; VGPRBlocks: 0
; NumSGPRsForWavesPerEU: 4
; NumVGPRsForWavesPerEU: 1
; AccumOffset: 4
; Occupancy: 8
; WaveLimiterHint : 0
; COMPUTE_PGM_RSRC2:SCRATCH_EN: 0
; COMPUTE_PGM_RSRC2:USER_SGPR: 6
; COMPUTE_PGM_RSRC2:TRAP_HANDLER: 0
; COMPUTE_PGM_RSRC2:TGID_X_EN: 1
; COMPUTE_PGM_RSRC2:TGID_Y_EN: 0
; COMPUTE_PGM_RSRC2:TGID_Z_EN: 0
; COMPUTE_PGM_RSRC2:TIDIG_COMP_CNT: 0
; COMPUTE_PGM_RSRC3_GFX90A:ACCUM_OFFSET: 0
; COMPUTE_PGM_RSRC3_GFX90A:TG_SPLIT: 0
	.section	.text._ZN7rocprim17ROCPRIM_400000_NS6detail17trampoline_kernelINS0_13select_configILj256ELj13ELNS0_17block_load_methodE3ELS4_3ELS4_3ELNS0_20block_scan_algorithmE0ELj4294967295EEENS1_25partition_config_selectorILNS1_17partition_subalgoE3EjNS0_10empty_typeEbEEZZNS1_14partition_implILS8_3ELb0ES6_jNS0_17counting_iteratorIjlEEPS9_SE_NS0_5tupleIJPjSE_EEENSF_IJSE_SE_EEES9_SG_JZNS1_25segmented_radix_sort_implINS0_14default_configELb1EPKaPaPKlPlN2at6native12_GLOBAL__N_18offset_tEEE10hipError_tPvRmT1_PNSt15iterator_traitsISY_E10value_typeET2_T3_PNSZ_IS14_E10value_typeET4_jRbjT5_S1A_jjP12ihipStream_tbEUljE_EEESV_SW_SX_S14_S18_S1A_T6_T7_T9_mT8_S1C_bDpT10_ENKUlT_T0_E_clISt17integral_constantIbLb1EES1P_EEDaS1K_S1L_EUlS1K_E_NS1_11comp_targetILNS1_3genE9ELNS1_11target_archE1100ELNS1_3gpuE3ELNS1_3repE0EEENS1_30default_config_static_selectorELNS0_4arch9wavefront6targetE1EEEvSY_,"axG",@progbits,_ZN7rocprim17ROCPRIM_400000_NS6detail17trampoline_kernelINS0_13select_configILj256ELj13ELNS0_17block_load_methodE3ELS4_3ELS4_3ELNS0_20block_scan_algorithmE0ELj4294967295EEENS1_25partition_config_selectorILNS1_17partition_subalgoE3EjNS0_10empty_typeEbEEZZNS1_14partition_implILS8_3ELb0ES6_jNS0_17counting_iteratorIjlEEPS9_SE_NS0_5tupleIJPjSE_EEENSF_IJSE_SE_EEES9_SG_JZNS1_25segmented_radix_sort_implINS0_14default_configELb1EPKaPaPKlPlN2at6native12_GLOBAL__N_18offset_tEEE10hipError_tPvRmT1_PNSt15iterator_traitsISY_E10value_typeET2_T3_PNSZ_IS14_E10value_typeET4_jRbjT5_S1A_jjP12ihipStream_tbEUljE_EEESV_SW_SX_S14_S18_S1A_T6_T7_T9_mT8_S1C_bDpT10_ENKUlT_T0_E_clISt17integral_constantIbLb1EES1P_EEDaS1K_S1L_EUlS1K_E_NS1_11comp_targetILNS1_3genE9ELNS1_11target_archE1100ELNS1_3gpuE3ELNS1_3repE0EEENS1_30default_config_static_selectorELNS0_4arch9wavefront6targetE1EEEvSY_,comdat
	.globl	_ZN7rocprim17ROCPRIM_400000_NS6detail17trampoline_kernelINS0_13select_configILj256ELj13ELNS0_17block_load_methodE3ELS4_3ELS4_3ELNS0_20block_scan_algorithmE0ELj4294967295EEENS1_25partition_config_selectorILNS1_17partition_subalgoE3EjNS0_10empty_typeEbEEZZNS1_14partition_implILS8_3ELb0ES6_jNS0_17counting_iteratorIjlEEPS9_SE_NS0_5tupleIJPjSE_EEENSF_IJSE_SE_EEES9_SG_JZNS1_25segmented_radix_sort_implINS0_14default_configELb1EPKaPaPKlPlN2at6native12_GLOBAL__N_18offset_tEEE10hipError_tPvRmT1_PNSt15iterator_traitsISY_E10value_typeET2_T3_PNSZ_IS14_E10value_typeET4_jRbjT5_S1A_jjP12ihipStream_tbEUljE_EEESV_SW_SX_S14_S18_S1A_T6_T7_T9_mT8_S1C_bDpT10_ENKUlT_T0_E_clISt17integral_constantIbLb1EES1P_EEDaS1K_S1L_EUlS1K_E_NS1_11comp_targetILNS1_3genE9ELNS1_11target_archE1100ELNS1_3gpuE3ELNS1_3repE0EEENS1_30default_config_static_selectorELNS0_4arch9wavefront6targetE1EEEvSY_ ; -- Begin function _ZN7rocprim17ROCPRIM_400000_NS6detail17trampoline_kernelINS0_13select_configILj256ELj13ELNS0_17block_load_methodE3ELS4_3ELS4_3ELNS0_20block_scan_algorithmE0ELj4294967295EEENS1_25partition_config_selectorILNS1_17partition_subalgoE3EjNS0_10empty_typeEbEEZZNS1_14partition_implILS8_3ELb0ES6_jNS0_17counting_iteratorIjlEEPS9_SE_NS0_5tupleIJPjSE_EEENSF_IJSE_SE_EEES9_SG_JZNS1_25segmented_radix_sort_implINS0_14default_configELb1EPKaPaPKlPlN2at6native12_GLOBAL__N_18offset_tEEE10hipError_tPvRmT1_PNSt15iterator_traitsISY_E10value_typeET2_T3_PNSZ_IS14_E10value_typeET4_jRbjT5_S1A_jjP12ihipStream_tbEUljE_EEESV_SW_SX_S14_S18_S1A_T6_T7_T9_mT8_S1C_bDpT10_ENKUlT_T0_E_clISt17integral_constantIbLb1EES1P_EEDaS1K_S1L_EUlS1K_E_NS1_11comp_targetILNS1_3genE9ELNS1_11target_archE1100ELNS1_3gpuE3ELNS1_3repE0EEENS1_30default_config_static_selectorELNS0_4arch9wavefront6targetE1EEEvSY_
	.p2align	8
	.type	_ZN7rocprim17ROCPRIM_400000_NS6detail17trampoline_kernelINS0_13select_configILj256ELj13ELNS0_17block_load_methodE3ELS4_3ELS4_3ELNS0_20block_scan_algorithmE0ELj4294967295EEENS1_25partition_config_selectorILNS1_17partition_subalgoE3EjNS0_10empty_typeEbEEZZNS1_14partition_implILS8_3ELb0ES6_jNS0_17counting_iteratorIjlEEPS9_SE_NS0_5tupleIJPjSE_EEENSF_IJSE_SE_EEES9_SG_JZNS1_25segmented_radix_sort_implINS0_14default_configELb1EPKaPaPKlPlN2at6native12_GLOBAL__N_18offset_tEEE10hipError_tPvRmT1_PNSt15iterator_traitsISY_E10value_typeET2_T3_PNSZ_IS14_E10value_typeET4_jRbjT5_S1A_jjP12ihipStream_tbEUljE_EEESV_SW_SX_S14_S18_S1A_T6_T7_T9_mT8_S1C_bDpT10_ENKUlT_T0_E_clISt17integral_constantIbLb1EES1P_EEDaS1K_S1L_EUlS1K_E_NS1_11comp_targetILNS1_3genE9ELNS1_11target_archE1100ELNS1_3gpuE3ELNS1_3repE0EEENS1_30default_config_static_selectorELNS0_4arch9wavefront6targetE1EEEvSY_,@function
_ZN7rocprim17ROCPRIM_400000_NS6detail17trampoline_kernelINS0_13select_configILj256ELj13ELNS0_17block_load_methodE3ELS4_3ELS4_3ELNS0_20block_scan_algorithmE0ELj4294967295EEENS1_25partition_config_selectorILNS1_17partition_subalgoE3EjNS0_10empty_typeEbEEZZNS1_14partition_implILS8_3ELb0ES6_jNS0_17counting_iteratorIjlEEPS9_SE_NS0_5tupleIJPjSE_EEENSF_IJSE_SE_EEES9_SG_JZNS1_25segmented_radix_sort_implINS0_14default_configELb1EPKaPaPKlPlN2at6native12_GLOBAL__N_18offset_tEEE10hipError_tPvRmT1_PNSt15iterator_traitsISY_E10value_typeET2_T3_PNSZ_IS14_E10value_typeET4_jRbjT5_S1A_jjP12ihipStream_tbEUljE_EEESV_SW_SX_S14_S18_S1A_T6_T7_T9_mT8_S1C_bDpT10_ENKUlT_T0_E_clISt17integral_constantIbLb1EES1P_EEDaS1K_S1L_EUlS1K_E_NS1_11comp_targetILNS1_3genE9ELNS1_11target_archE1100ELNS1_3gpuE3ELNS1_3repE0EEENS1_30default_config_static_selectorELNS0_4arch9wavefront6targetE1EEEvSY_: ; @_ZN7rocprim17ROCPRIM_400000_NS6detail17trampoline_kernelINS0_13select_configILj256ELj13ELNS0_17block_load_methodE3ELS4_3ELS4_3ELNS0_20block_scan_algorithmE0ELj4294967295EEENS1_25partition_config_selectorILNS1_17partition_subalgoE3EjNS0_10empty_typeEbEEZZNS1_14partition_implILS8_3ELb0ES6_jNS0_17counting_iteratorIjlEEPS9_SE_NS0_5tupleIJPjSE_EEENSF_IJSE_SE_EEES9_SG_JZNS1_25segmented_radix_sort_implINS0_14default_configELb1EPKaPaPKlPlN2at6native12_GLOBAL__N_18offset_tEEE10hipError_tPvRmT1_PNSt15iterator_traitsISY_E10value_typeET2_T3_PNSZ_IS14_E10value_typeET4_jRbjT5_S1A_jjP12ihipStream_tbEUljE_EEESV_SW_SX_S14_S18_S1A_T6_T7_T9_mT8_S1C_bDpT10_ENKUlT_T0_E_clISt17integral_constantIbLb1EES1P_EEDaS1K_S1L_EUlS1K_E_NS1_11comp_targetILNS1_3genE9ELNS1_11target_archE1100ELNS1_3gpuE3ELNS1_3repE0EEENS1_30default_config_static_selectorELNS0_4arch9wavefront6targetE1EEEvSY_
; %bb.0:
	.section	.rodata,"a",@progbits
	.p2align	6, 0x0
	.amdhsa_kernel _ZN7rocprim17ROCPRIM_400000_NS6detail17trampoline_kernelINS0_13select_configILj256ELj13ELNS0_17block_load_methodE3ELS4_3ELS4_3ELNS0_20block_scan_algorithmE0ELj4294967295EEENS1_25partition_config_selectorILNS1_17partition_subalgoE3EjNS0_10empty_typeEbEEZZNS1_14partition_implILS8_3ELb0ES6_jNS0_17counting_iteratorIjlEEPS9_SE_NS0_5tupleIJPjSE_EEENSF_IJSE_SE_EEES9_SG_JZNS1_25segmented_radix_sort_implINS0_14default_configELb1EPKaPaPKlPlN2at6native12_GLOBAL__N_18offset_tEEE10hipError_tPvRmT1_PNSt15iterator_traitsISY_E10value_typeET2_T3_PNSZ_IS14_E10value_typeET4_jRbjT5_S1A_jjP12ihipStream_tbEUljE_EEESV_SW_SX_S14_S18_S1A_T6_T7_T9_mT8_S1C_bDpT10_ENKUlT_T0_E_clISt17integral_constantIbLb1EES1P_EEDaS1K_S1L_EUlS1K_E_NS1_11comp_targetILNS1_3genE9ELNS1_11target_archE1100ELNS1_3gpuE3ELNS1_3repE0EEENS1_30default_config_static_selectorELNS0_4arch9wavefront6targetE1EEEvSY_
		.amdhsa_group_segment_fixed_size 0
		.amdhsa_private_segment_fixed_size 0
		.amdhsa_kernarg_size 152
		.amdhsa_user_sgpr_count 6
		.amdhsa_user_sgpr_private_segment_buffer 1
		.amdhsa_user_sgpr_dispatch_ptr 0
		.amdhsa_user_sgpr_queue_ptr 0
		.amdhsa_user_sgpr_kernarg_segment_ptr 1
		.amdhsa_user_sgpr_dispatch_id 0
		.amdhsa_user_sgpr_flat_scratch_init 0
		.amdhsa_user_sgpr_kernarg_preload_length 0
		.amdhsa_user_sgpr_kernarg_preload_offset 0
		.amdhsa_user_sgpr_private_segment_size 0
		.amdhsa_uses_dynamic_stack 0
		.amdhsa_system_sgpr_private_segment_wavefront_offset 0
		.amdhsa_system_sgpr_workgroup_id_x 1
		.amdhsa_system_sgpr_workgroup_id_y 0
		.amdhsa_system_sgpr_workgroup_id_z 0
		.amdhsa_system_sgpr_workgroup_info 0
		.amdhsa_system_vgpr_workitem_id 0
		.amdhsa_next_free_vgpr 1
		.amdhsa_next_free_sgpr 0
		.amdhsa_accum_offset 4
		.amdhsa_reserve_vcc 0
		.amdhsa_reserve_flat_scratch 0
		.amdhsa_float_round_mode_32 0
		.amdhsa_float_round_mode_16_64 0
		.amdhsa_float_denorm_mode_32 3
		.amdhsa_float_denorm_mode_16_64 3
		.amdhsa_dx10_clamp 1
		.amdhsa_ieee_mode 1
		.amdhsa_fp16_overflow 0
		.amdhsa_tg_split 0
		.amdhsa_exception_fp_ieee_invalid_op 0
		.amdhsa_exception_fp_denorm_src 0
		.amdhsa_exception_fp_ieee_div_zero 0
		.amdhsa_exception_fp_ieee_overflow 0
		.amdhsa_exception_fp_ieee_underflow 0
		.amdhsa_exception_fp_ieee_inexact 0
		.amdhsa_exception_int_div_zero 0
	.end_amdhsa_kernel
	.section	.text._ZN7rocprim17ROCPRIM_400000_NS6detail17trampoline_kernelINS0_13select_configILj256ELj13ELNS0_17block_load_methodE3ELS4_3ELS4_3ELNS0_20block_scan_algorithmE0ELj4294967295EEENS1_25partition_config_selectorILNS1_17partition_subalgoE3EjNS0_10empty_typeEbEEZZNS1_14partition_implILS8_3ELb0ES6_jNS0_17counting_iteratorIjlEEPS9_SE_NS0_5tupleIJPjSE_EEENSF_IJSE_SE_EEES9_SG_JZNS1_25segmented_radix_sort_implINS0_14default_configELb1EPKaPaPKlPlN2at6native12_GLOBAL__N_18offset_tEEE10hipError_tPvRmT1_PNSt15iterator_traitsISY_E10value_typeET2_T3_PNSZ_IS14_E10value_typeET4_jRbjT5_S1A_jjP12ihipStream_tbEUljE_EEESV_SW_SX_S14_S18_S1A_T6_T7_T9_mT8_S1C_bDpT10_ENKUlT_T0_E_clISt17integral_constantIbLb1EES1P_EEDaS1K_S1L_EUlS1K_E_NS1_11comp_targetILNS1_3genE9ELNS1_11target_archE1100ELNS1_3gpuE3ELNS1_3repE0EEENS1_30default_config_static_selectorELNS0_4arch9wavefront6targetE1EEEvSY_,"axG",@progbits,_ZN7rocprim17ROCPRIM_400000_NS6detail17trampoline_kernelINS0_13select_configILj256ELj13ELNS0_17block_load_methodE3ELS4_3ELS4_3ELNS0_20block_scan_algorithmE0ELj4294967295EEENS1_25partition_config_selectorILNS1_17partition_subalgoE3EjNS0_10empty_typeEbEEZZNS1_14partition_implILS8_3ELb0ES6_jNS0_17counting_iteratorIjlEEPS9_SE_NS0_5tupleIJPjSE_EEENSF_IJSE_SE_EEES9_SG_JZNS1_25segmented_radix_sort_implINS0_14default_configELb1EPKaPaPKlPlN2at6native12_GLOBAL__N_18offset_tEEE10hipError_tPvRmT1_PNSt15iterator_traitsISY_E10value_typeET2_T3_PNSZ_IS14_E10value_typeET4_jRbjT5_S1A_jjP12ihipStream_tbEUljE_EEESV_SW_SX_S14_S18_S1A_T6_T7_T9_mT8_S1C_bDpT10_ENKUlT_T0_E_clISt17integral_constantIbLb1EES1P_EEDaS1K_S1L_EUlS1K_E_NS1_11comp_targetILNS1_3genE9ELNS1_11target_archE1100ELNS1_3gpuE3ELNS1_3repE0EEENS1_30default_config_static_selectorELNS0_4arch9wavefront6targetE1EEEvSY_,comdat
.Lfunc_end272:
	.size	_ZN7rocprim17ROCPRIM_400000_NS6detail17trampoline_kernelINS0_13select_configILj256ELj13ELNS0_17block_load_methodE3ELS4_3ELS4_3ELNS0_20block_scan_algorithmE0ELj4294967295EEENS1_25partition_config_selectorILNS1_17partition_subalgoE3EjNS0_10empty_typeEbEEZZNS1_14partition_implILS8_3ELb0ES6_jNS0_17counting_iteratorIjlEEPS9_SE_NS0_5tupleIJPjSE_EEENSF_IJSE_SE_EEES9_SG_JZNS1_25segmented_radix_sort_implINS0_14default_configELb1EPKaPaPKlPlN2at6native12_GLOBAL__N_18offset_tEEE10hipError_tPvRmT1_PNSt15iterator_traitsISY_E10value_typeET2_T3_PNSZ_IS14_E10value_typeET4_jRbjT5_S1A_jjP12ihipStream_tbEUljE_EEESV_SW_SX_S14_S18_S1A_T6_T7_T9_mT8_S1C_bDpT10_ENKUlT_T0_E_clISt17integral_constantIbLb1EES1P_EEDaS1K_S1L_EUlS1K_E_NS1_11comp_targetILNS1_3genE9ELNS1_11target_archE1100ELNS1_3gpuE3ELNS1_3repE0EEENS1_30default_config_static_selectorELNS0_4arch9wavefront6targetE1EEEvSY_, .Lfunc_end272-_ZN7rocprim17ROCPRIM_400000_NS6detail17trampoline_kernelINS0_13select_configILj256ELj13ELNS0_17block_load_methodE3ELS4_3ELS4_3ELNS0_20block_scan_algorithmE0ELj4294967295EEENS1_25partition_config_selectorILNS1_17partition_subalgoE3EjNS0_10empty_typeEbEEZZNS1_14partition_implILS8_3ELb0ES6_jNS0_17counting_iteratorIjlEEPS9_SE_NS0_5tupleIJPjSE_EEENSF_IJSE_SE_EEES9_SG_JZNS1_25segmented_radix_sort_implINS0_14default_configELb1EPKaPaPKlPlN2at6native12_GLOBAL__N_18offset_tEEE10hipError_tPvRmT1_PNSt15iterator_traitsISY_E10value_typeET2_T3_PNSZ_IS14_E10value_typeET4_jRbjT5_S1A_jjP12ihipStream_tbEUljE_EEESV_SW_SX_S14_S18_S1A_T6_T7_T9_mT8_S1C_bDpT10_ENKUlT_T0_E_clISt17integral_constantIbLb1EES1P_EEDaS1K_S1L_EUlS1K_E_NS1_11comp_targetILNS1_3genE9ELNS1_11target_archE1100ELNS1_3gpuE3ELNS1_3repE0EEENS1_30default_config_static_selectorELNS0_4arch9wavefront6targetE1EEEvSY_
                                        ; -- End function
	.section	.AMDGPU.csdata,"",@progbits
; Kernel info:
; codeLenInByte = 0
; NumSgprs: 4
; NumVgprs: 0
; NumAgprs: 0
; TotalNumVgprs: 0
; ScratchSize: 0
; MemoryBound: 0
; FloatMode: 240
; IeeeMode: 1
; LDSByteSize: 0 bytes/workgroup (compile time only)
; SGPRBlocks: 0
; VGPRBlocks: 0
; NumSGPRsForWavesPerEU: 4
; NumVGPRsForWavesPerEU: 1
; AccumOffset: 4
; Occupancy: 8
; WaveLimiterHint : 0
; COMPUTE_PGM_RSRC2:SCRATCH_EN: 0
; COMPUTE_PGM_RSRC2:USER_SGPR: 6
; COMPUTE_PGM_RSRC2:TRAP_HANDLER: 0
; COMPUTE_PGM_RSRC2:TGID_X_EN: 1
; COMPUTE_PGM_RSRC2:TGID_Y_EN: 0
; COMPUTE_PGM_RSRC2:TGID_Z_EN: 0
; COMPUTE_PGM_RSRC2:TIDIG_COMP_CNT: 0
; COMPUTE_PGM_RSRC3_GFX90A:ACCUM_OFFSET: 0
; COMPUTE_PGM_RSRC3_GFX90A:TG_SPLIT: 0
	.section	.text._ZN7rocprim17ROCPRIM_400000_NS6detail17trampoline_kernelINS0_13select_configILj256ELj13ELNS0_17block_load_methodE3ELS4_3ELS4_3ELNS0_20block_scan_algorithmE0ELj4294967295EEENS1_25partition_config_selectorILNS1_17partition_subalgoE3EjNS0_10empty_typeEbEEZZNS1_14partition_implILS8_3ELb0ES6_jNS0_17counting_iteratorIjlEEPS9_SE_NS0_5tupleIJPjSE_EEENSF_IJSE_SE_EEES9_SG_JZNS1_25segmented_radix_sort_implINS0_14default_configELb1EPKaPaPKlPlN2at6native12_GLOBAL__N_18offset_tEEE10hipError_tPvRmT1_PNSt15iterator_traitsISY_E10value_typeET2_T3_PNSZ_IS14_E10value_typeET4_jRbjT5_S1A_jjP12ihipStream_tbEUljE_EEESV_SW_SX_S14_S18_S1A_T6_T7_T9_mT8_S1C_bDpT10_ENKUlT_T0_E_clISt17integral_constantIbLb1EES1P_EEDaS1K_S1L_EUlS1K_E_NS1_11comp_targetILNS1_3genE8ELNS1_11target_archE1030ELNS1_3gpuE2ELNS1_3repE0EEENS1_30default_config_static_selectorELNS0_4arch9wavefront6targetE1EEEvSY_,"axG",@progbits,_ZN7rocprim17ROCPRIM_400000_NS6detail17trampoline_kernelINS0_13select_configILj256ELj13ELNS0_17block_load_methodE3ELS4_3ELS4_3ELNS0_20block_scan_algorithmE0ELj4294967295EEENS1_25partition_config_selectorILNS1_17partition_subalgoE3EjNS0_10empty_typeEbEEZZNS1_14partition_implILS8_3ELb0ES6_jNS0_17counting_iteratorIjlEEPS9_SE_NS0_5tupleIJPjSE_EEENSF_IJSE_SE_EEES9_SG_JZNS1_25segmented_radix_sort_implINS0_14default_configELb1EPKaPaPKlPlN2at6native12_GLOBAL__N_18offset_tEEE10hipError_tPvRmT1_PNSt15iterator_traitsISY_E10value_typeET2_T3_PNSZ_IS14_E10value_typeET4_jRbjT5_S1A_jjP12ihipStream_tbEUljE_EEESV_SW_SX_S14_S18_S1A_T6_T7_T9_mT8_S1C_bDpT10_ENKUlT_T0_E_clISt17integral_constantIbLb1EES1P_EEDaS1K_S1L_EUlS1K_E_NS1_11comp_targetILNS1_3genE8ELNS1_11target_archE1030ELNS1_3gpuE2ELNS1_3repE0EEENS1_30default_config_static_selectorELNS0_4arch9wavefront6targetE1EEEvSY_,comdat
	.globl	_ZN7rocprim17ROCPRIM_400000_NS6detail17trampoline_kernelINS0_13select_configILj256ELj13ELNS0_17block_load_methodE3ELS4_3ELS4_3ELNS0_20block_scan_algorithmE0ELj4294967295EEENS1_25partition_config_selectorILNS1_17partition_subalgoE3EjNS0_10empty_typeEbEEZZNS1_14partition_implILS8_3ELb0ES6_jNS0_17counting_iteratorIjlEEPS9_SE_NS0_5tupleIJPjSE_EEENSF_IJSE_SE_EEES9_SG_JZNS1_25segmented_radix_sort_implINS0_14default_configELb1EPKaPaPKlPlN2at6native12_GLOBAL__N_18offset_tEEE10hipError_tPvRmT1_PNSt15iterator_traitsISY_E10value_typeET2_T3_PNSZ_IS14_E10value_typeET4_jRbjT5_S1A_jjP12ihipStream_tbEUljE_EEESV_SW_SX_S14_S18_S1A_T6_T7_T9_mT8_S1C_bDpT10_ENKUlT_T0_E_clISt17integral_constantIbLb1EES1P_EEDaS1K_S1L_EUlS1K_E_NS1_11comp_targetILNS1_3genE8ELNS1_11target_archE1030ELNS1_3gpuE2ELNS1_3repE0EEENS1_30default_config_static_selectorELNS0_4arch9wavefront6targetE1EEEvSY_ ; -- Begin function _ZN7rocprim17ROCPRIM_400000_NS6detail17trampoline_kernelINS0_13select_configILj256ELj13ELNS0_17block_load_methodE3ELS4_3ELS4_3ELNS0_20block_scan_algorithmE0ELj4294967295EEENS1_25partition_config_selectorILNS1_17partition_subalgoE3EjNS0_10empty_typeEbEEZZNS1_14partition_implILS8_3ELb0ES6_jNS0_17counting_iteratorIjlEEPS9_SE_NS0_5tupleIJPjSE_EEENSF_IJSE_SE_EEES9_SG_JZNS1_25segmented_radix_sort_implINS0_14default_configELb1EPKaPaPKlPlN2at6native12_GLOBAL__N_18offset_tEEE10hipError_tPvRmT1_PNSt15iterator_traitsISY_E10value_typeET2_T3_PNSZ_IS14_E10value_typeET4_jRbjT5_S1A_jjP12ihipStream_tbEUljE_EEESV_SW_SX_S14_S18_S1A_T6_T7_T9_mT8_S1C_bDpT10_ENKUlT_T0_E_clISt17integral_constantIbLb1EES1P_EEDaS1K_S1L_EUlS1K_E_NS1_11comp_targetILNS1_3genE8ELNS1_11target_archE1030ELNS1_3gpuE2ELNS1_3repE0EEENS1_30default_config_static_selectorELNS0_4arch9wavefront6targetE1EEEvSY_
	.p2align	8
	.type	_ZN7rocprim17ROCPRIM_400000_NS6detail17trampoline_kernelINS0_13select_configILj256ELj13ELNS0_17block_load_methodE3ELS4_3ELS4_3ELNS0_20block_scan_algorithmE0ELj4294967295EEENS1_25partition_config_selectorILNS1_17partition_subalgoE3EjNS0_10empty_typeEbEEZZNS1_14partition_implILS8_3ELb0ES6_jNS0_17counting_iteratorIjlEEPS9_SE_NS0_5tupleIJPjSE_EEENSF_IJSE_SE_EEES9_SG_JZNS1_25segmented_radix_sort_implINS0_14default_configELb1EPKaPaPKlPlN2at6native12_GLOBAL__N_18offset_tEEE10hipError_tPvRmT1_PNSt15iterator_traitsISY_E10value_typeET2_T3_PNSZ_IS14_E10value_typeET4_jRbjT5_S1A_jjP12ihipStream_tbEUljE_EEESV_SW_SX_S14_S18_S1A_T6_T7_T9_mT8_S1C_bDpT10_ENKUlT_T0_E_clISt17integral_constantIbLb1EES1P_EEDaS1K_S1L_EUlS1K_E_NS1_11comp_targetILNS1_3genE8ELNS1_11target_archE1030ELNS1_3gpuE2ELNS1_3repE0EEENS1_30default_config_static_selectorELNS0_4arch9wavefront6targetE1EEEvSY_,@function
_ZN7rocprim17ROCPRIM_400000_NS6detail17trampoline_kernelINS0_13select_configILj256ELj13ELNS0_17block_load_methodE3ELS4_3ELS4_3ELNS0_20block_scan_algorithmE0ELj4294967295EEENS1_25partition_config_selectorILNS1_17partition_subalgoE3EjNS0_10empty_typeEbEEZZNS1_14partition_implILS8_3ELb0ES6_jNS0_17counting_iteratorIjlEEPS9_SE_NS0_5tupleIJPjSE_EEENSF_IJSE_SE_EEES9_SG_JZNS1_25segmented_radix_sort_implINS0_14default_configELb1EPKaPaPKlPlN2at6native12_GLOBAL__N_18offset_tEEE10hipError_tPvRmT1_PNSt15iterator_traitsISY_E10value_typeET2_T3_PNSZ_IS14_E10value_typeET4_jRbjT5_S1A_jjP12ihipStream_tbEUljE_EEESV_SW_SX_S14_S18_S1A_T6_T7_T9_mT8_S1C_bDpT10_ENKUlT_T0_E_clISt17integral_constantIbLb1EES1P_EEDaS1K_S1L_EUlS1K_E_NS1_11comp_targetILNS1_3genE8ELNS1_11target_archE1030ELNS1_3gpuE2ELNS1_3repE0EEENS1_30default_config_static_selectorELNS0_4arch9wavefront6targetE1EEEvSY_: ; @_ZN7rocprim17ROCPRIM_400000_NS6detail17trampoline_kernelINS0_13select_configILj256ELj13ELNS0_17block_load_methodE3ELS4_3ELS4_3ELNS0_20block_scan_algorithmE0ELj4294967295EEENS1_25partition_config_selectorILNS1_17partition_subalgoE3EjNS0_10empty_typeEbEEZZNS1_14partition_implILS8_3ELb0ES6_jNS0_17counting_iteratorIjlEEPS9_SE_NS0_5tupleIJPjSE_EEENSF_IJSE_SE_EEES9_SG_JZNS1_25segmented_radix_sort_implINS0_14default_configELb1EPKaPaPKlPlN2at6native12_GLOBAL__N_18offset_tEEE10hipError_tPvRmT1_PNSt15iterator_traitsISY_E10value_typeET2_T3_PNSZ_IS14_E10value_typeET4_jRbjT5_S1A_jjP12ihipStream_tbEUljE_EEESV_SW_SX_S14_S18_S1A_T6_T7_T9_mT8_S1C_bDpT10_ENKUlT_T0_E_clISt17integral_constantIbLb1EES1P_EEDaS1K_S1L_EUlS1K_E_NS1_11comp_targetILNS1_3genE8ELNS1_11target_archE1030ELNS1_3gpuE2ELNS1_3repE0EEENS1_30default_config_static_selectorELNS0_4arch9wavefront6targetE1EEEvSY_
; %bb.0:
	.section	.rodata,"a",@progbits
	.p2align	6, 0x0
	.amdhsa_kernel _ZN7rocprim17ROCPRIM_400000_NS6detail17trampoline_kernelINS0_13select_configILj256ELj13ELNS0_17block_load_methodE3ELS4_3ELS4_3ELNS0_20block_scan_algorithmE0ELj4294967295EEENS1_25partition_config_selectorILNS1_17partition_subalgoE3EjNS0_10empty_typeEbEEZZNS1_14partition_implILS8_3ELb0ES6_jNS0_17counting_iteratorIjlEEPS9_SE_NS0_5tupleIJPjSE_EEENSF_IJSE_SE_EEES9_SG_JZNS1_25segmented_radix_sort_implINS0_14default_configELb1EPKaPaPKlPlN2at6native12_GLOBAL__N_18offset_tEEE10hipError_tPvRmT1_PNSt15iterator_traitsISY_E10value_typeET2_T3_PNSZ_IS14_E10value_typeET4_jRbjT5_S1A_jjP12ihipStream_tbEUljE_EEESV_SW_SX_S14_S18_S1A_T6_T7_T9_mT8_S1C_bDpT10_ENKUlT_T0_E_clISt17integral_constantIbLb1EES1P_EEDaS1K_S1L_EUlS1K_E_NS1_11comp_targetILNS1_3genE8ELNS1_11target_archE1030ELNS1_3gpuE2ELNS1_3repE0EEENS1_30default_config_static_selectorELNS0_4arch9wavefront6targetE1EEEvSY_
		.amdhsa_group_segment_fixed_size 0
		.amdhsa_private_segment_fixed_size 0
		.amdhsa_kernarg_size 152
		.amdhsa_user_sgpr_count 6
		.amdhsa_user_sgpr_private_segment_buffer 1
		.amdhsa_user_sgpr_dispatch_ptr 0
		.amdhsa_user_sgpr_queue_ptr 0
		.amdhsa_user_sgpr_kernarg_segment_ptr 1
		.amdhsa_user_sgpr_dispatch_id 0
		.amdhsa_user_sgpr_flat_scratch_init 0
		.amdhsa_user_sgpr_kernarg_preload_length 0
		.amdhsa_user_sgpr_kernarg_preload_offset 0
		.amdhsa_user_sgpr_private_segment_size 0
		.amdhsa_uses_dynamic_stack 0
		.amdhsa_system_sgpr_private_segment_wavefront_offset 0
		.amdhsa_system_sgpr_workgroup_id_x 1
		.amdhsa_system_sgpr_workgroup_id_y 0
		.amdhsa_system_sgpr_workgroup_id_z 0
		.amdhsa_system_sgpr_workgroup_info 0
		.amdhsa_system_vgpr_workitem_id 0
		.amdhsa_next_free_vgpr 1
		.amdhsa_next_free_sgpr 0
		.amdhsa_accum_offset 4
		.amdhsa_reserve_vcc 0
		.amdhsa_reserve_flat_scratch 0
		.amdhsa_float_round_mode_32 0
		.amdhsa_float_round_mode_16_64 0
		.amdhsa_float_denorm_mode_32 3
		.amdhsa_float_denorm_mode_16_64 3
		.amdhsa_dx10_clamp 1
		.amdhsa_ieee_mode 1
		.amdhsa_fp16_overflow 0
		.amdhsa_tg_split 0
		.amdhsa_exception_fp_ieee_invalid_op 0
		.amdhsa_exception_fp_denorm_src 0
		.amdhsa_exception_fp_ieee_div_zero 0
		.amdhsa_exception_fp_ieee_overflow 0
		.amdhsa_exception_fp_ieee_underflow 0
		.amdhsa_exception_fp_ieee_inexact 0
		.amdhsa_exception_int_div_zero 0
	.end_amdhsa_kernel
	.section	.text._ZN7rocprim17ROCPRIM_400000_NS6detail17trampoline_kernelINS0_13select_configILj256ELj13ELNS0_17block_load_methodE3ELS4_3ELS4_3ELNS0_20block_scan_algorithmE0ELj4294967295EEENS1_25partition_config_selectorILNS1_17partition_subalgoE3EjNS0_10empty_typeEbEEZZNS1_14partition_implILS8_3ELb0ES6_jNS0_17counting_iteratorIjlEEPS9_SE_NS0_5tupleIJPjSE_EEENSF_IJSE_SE_EEES9_SG_JZNS1_25segmented_radix_sort_implINS0_14default_configELb1EPKaPaPKlPlN2at6native12_GLOBAL__N_18offset_tEEE10hipError_tPvRmT1_PNSt15iterator_traitsISY_E10value_typeET2_T3_PNSZ_IS14_E10value_typeET4_jRbjT5_S1A_jjP12ihipStream_tbEUljE_EEESV_SW_SX_S14_S18_S1A_T6_T7_T9_mT8_S1C_bDpT10_ENKUlT_T0_E_clISt17integral_constantIbLb1EES1P_EEDaS1K_S1L_EUlS1K_E_NS1_11comp_targetILNS1_3genE8ELNS1_11target_archE1030ELNS1_3gpuE2ELNS1_3repE0EEENS1_30default_config_static_selectorELNS0_4arch9wavefront6targetE1EEEvSY_,"axG",@progbits,_ZN7rocprim17ROCPRIM_400000_NS6detail17trampoline_kernelINS0_13select_configILj256ELj13ELNS0_17block_load_methodE3ELS4_3ELS4_3ELNS0_20block_scan_algorithmE0ELj4294967295EEENS1_25partition_config_selectorILNS1_17partition_subalgoE3EjNS0_10empty_typeEbEEZZNS1_14partition_implILS8_3ELb0ES6_jNS0_17counting_iteratorIjlEEPS9_SE_NS0_5tupleIJPjSE_EEENSF_IJSE_SE_EEES9_SG_JZNS1_25segmented_radix_sort_implINS0_14default_configELb1EPKaPaPKlPlN2at6native12_GLOBAL__N_18offset_tEEE10hipError_tPvRmT1_PNSt15iterator_traitsISY_E10value_typeET2_T3_PNSZ_IS14_E10value_typeET4_jRbjT5_S1A_jjP12ihipStream_tbEUljE_EEESV_SW_SX_S14_S18_S1A_T6_T7_T9_mT8_S1C_bDpT10_ENKUlT_T0_E_clISt17integral_constantIbLb1EES1P_EEDaS1K_S1L_EUlS1K_E_NS1_11comp_targetILNS1_3genE8ELNS1_11target_archE1030ELNS1_3gpuE2ELNS1_3repE0EEENS1_30default_config_static_selectorELNS0_4arch9wavefront6targetE1EEEvSY_,comdat
.Lfunc_end273:
	.size	_ZN7rocprim17ROCPRIM_400000_NS6detail17trampoline_kernelINS0_13select_configILj256ELj13ELNS0_17block_load_methodE3ELS4_3ELS4_3ELNS0_20block_scan_algorithmE0ELj4294967295EEENS1_25partition_config_selectorILNS1_17partition_subalgoE3EjNS0_10empty_typeEbEEZZNS1_14partition_implILS8_3ELb0ES6_jNS0_17counting_iteratorIjlEEPS9_SE_NS0_5tupleIJPjSE_EEENSF_IJSE_SE_EEES9_SG_JZNS1_25segmented_radix_sort_implINS0_14default_configELb1EPKaPaPKlPlN2at6native12_GLOBAL__N_18offset_tEEE10hipError_tPvRmT1_PNSt15iterator_traitsISY_E10value_typeET2_T3_PNSZ_IS14_E10value_typeET4_jRbjT5_S1A_jjP12ihipStream_tbEUljE_EEESV_SW_SX_S14_S18_S1A_T6_T7_T9_mT8_S1C_bDpT10_ENKUlT_T0_E_clISt17integral_constantIbLb1EES1P_EEDaS1K_S1L_EUlS1K_E_NS1_11comp_targetILNS1_3genE8ELNS1_11target_archE1030ELNS1_3gpuE2ELNS1_3repE0EEENS1_30default_config_static_selectorELNS0_4arch9wavefront6targetE1EEEvSY_, .Lfunc_end273-_ZN7rocprim17ROCPRIM_400000_NS6detail17trampoline_kernelINS0_13select_configILj256ELj13ELNS0_17block_load_methodE3ELS4_3ELS4_3ELNS0_20block_scan_algorithmE0ELj4294967295EEENS1_25partition_config_selectorILNS1_17partition_subalgoE3EjNS0_10empty_typeEbEEZZNS1_14partition_implILS8_3ELb0ES6_jNS0_17counting_iteratorIjlEEPS9_SE_NS0_5tupleIJPjSE_EEENSF_IJSE_SE_EEES9_SG_JZNS1_25segmented_radix_sort_implINS0_14default_configELb1EPKaPaPKlPlN2at6native12_GLOBAL__N_18offset_tEEE10hipError_tPvRmT1_PNSt15iterator_traitsISY_E10value_typeET2_T3_PNSZ_IS14_E10value_typeET4_jRbjT5_S1A_jjP12ihipStream_tbEUljE_EEESV_SW_SX_S14_S18_S1A_T6_T7_T9_mT8_S1C_bDpT10_ENKUlT_T0_E_clISt17integral_constantIbLb1EES1P_EEDaS1K_S1L_EUlS1K_E_NS1_11comp_targetILNS1_3genE8ELNS1_11target_archE1030ELNS1_3gpuE2ELNS1_3repE0EEENS1_30default_config_static_selectorELNS0_4arch9wavefront6targetE1EEEvSY_
                                        ; -- End function
	.section	.AMDGPU.csdata,"",@progbits
; Kernel info:
; codeLenInByte = 0
; NumSgprs: 4
; NumVgprs: 0
; NumAgprs: 0
; TotalNumVgprs: 0
; ScratchSize: 0
; MemoryBound: 0
; FloatMode: 240
; IeeeMode: 1
; LDSByteSize: 0 bytes/workgroup (compile time only)
; SGPRBlocks: 0
; VGPRBlocks: 0
; NumSGPRsForWavesPerEU: 4
; NumVGPRsForWavesPerEU: 1
; AccumOffset: 4
; Occupancy: 8
; WaveLimiterHint : 0
; COMPUTE_PGM_RSRC2:SCRATCH_EN: 0
; COMPUTE_PGM_RSRC2:USER_SGPR: 6
; COMPUTE_PGM_RSRC2:TRAP_HANDLER: 0
; COMPUTE_PGM_RSRC2:TGID_X_EN: 1
; COMPUTE_PGM_RSRC2:TGID_Y_EN: 0
; COMPUTE_PGM_RSRC2:TGID_Z_EN: 0
; COMPUTE_PGM_RSRC2:TIDIG_COMP_CNT: 0
; COMPUTE_PGM_RSRC3_GFX90A:ACCUM_OFFSET: 0
; COMPUTE_PGM_RSRC3_GFX90A:TG_SPLIT: 0
	.section	.text._ZN7rocprim17ROCPRIM_400000_NS6detail17trampoline_kernelINS0_13select_configILj256ELj13ELNS0_17block_load_methodE3ELS4_3ELS4_3ELNS0_20block_scan_algorithmE0ELj4294967295EEENS1_25partition_config_selectorILNS1_17partition_subalgoE3EjNS0_10empty_typeEbEEZZNS1_14partition_implILS8_3ELb0ES6_jNS0_17counting_iteratorIjlEEPS9_SE_NS0_5tupleIJPjSE_EEENSF_IJSE_SE_EEES9_SG_JZNS1_25segmented_radix_sort_implINS0_14default_configELb1EPKaPaPKlPlN2at6native12_GLOBAL__N_18offset_tEEE10hipError_tPvRmT1_PNSt15iterator_traitsISY_E10value_typeET2_T3_PNSZ_IS14_E10value_typeET4_jRbjT5_S1A_jjP12ihipStream_tbEUljE_EEESV_SW_SX_S14_S18_S1A_T6_T7_T9_mT8_S1C_bDpT10_ENKUlT_T0_E_clISt17integral_constantIbLb1EES1O_IbLb0EEEEDaS1K_S1L_EUlS1K_E_NS1_11comp_targetILNS1_3genE0ELNS1_11target_archE4294967295ELNS1_3gpuE0ELNS1_3repE0EEENS1_30default_config_static_selectorELNS0_4arch9wavefront6targetE1EEEvSY_,"axG",@progbits,_ZN7rocprim17ROCPRIM_400000_NS6detail17trampoline_kernelINS0_13select_configILj256ELj13ELNS0_17block_load_methodE3ELS4_3ELS4_3ELNS0_20block_scan_algorithmE0ELj4294967295EEENS1_25partition_config_selectorILNS1_17partition_subalgoE3EjNS0_10empty_typeEbEEZZNS1_14partition_implILS8_3ELb0ES6_jNS0_17counting_iteratorIjlEEPS9_SE_NS0_5tupleIJPjSE_EEENSF_IJSE_SE_EEES9_SG_JZNS1_25segmented_radix_sort_implINS0_14default_configELb1EPKaPaPKlPlN2at6native12_GLOBAL__N_18offset_tEEE10hipError_tPvRmT1_PNSt15iterator_traitsISY_E10value_typeET2_T3_PNSZ_IS14_E10value_typeET4_jRbjT5_S1A_jjP12ihipStream_tbEUljE_EEESV_SW_SX_S14_S18_S1A_T6_T7_T9_mT8_S1C_bDpT10_ENKUlT_T0_E_clISt17integral_constantIbLb1EES1O_IbLb0EEEEDaS1K_S1L_EUlS1K_E_NS1_11comp_targetILNS1_3genE0ELNS1_11target_archE4294967295ELNS1_3gpuE0ELNS1_3repE0EEENS1_30default_config_static_selectorELNS0_4arch9wavefront6targetE1EEEvSY_,comdat
	.globl	_ZN7rocprim17ROCPRIM_400000_NS6detail17trampoline_kernelINS0_13select_configILj256ELj13ELNS0_17block_load_methodE3ELS4_3ELS4_3ELNS0_20block_scan_algorithmE0ELj4294967295EEENS1_25partition_config_selectorILNS1_17partition_subalgoE3EjNS0_10empty_typeEbEEZZNS1_14partition_implILS8_3ELb0ES6_jNS0_17counting_iteratorIjlEEPS9_SE_NS0_5tupleIJPjSE_EEENSF_IJSE_SE_EEES9_SG_JZNS1_25segmented_radix_sort_implINS0_14default_configELb1EPKaPaPKlPlN2at6native12_GLOBAL__N_18offset_tEEE10hipError_tPvRmT1_PNSt15iterator_traitsISY_E10value_typeET2_T3_PNSZ_IS14_E10value_typeET4_jRbjT5_S1A_jjP12ihipStream_tbEUljE_EEESV_SW_SX_S14_S18_S1A_T6_T7_T9_mT8_S1C_bDpT10_ENKUlT_T0_E_clISt17integral_constantIbLb1EES1O_IbLb0EEEEDaS1K_S1L_EUlS1K_E_NS1_11comp_targetILNS1_3genE0ELNS1_11target_archE4294967295ELNS1_3gpuE0ELNS1_3repE0EEENS1_30default_config_static_selectorELNS0_4arch9wavefront6targetE1EEEvSY_ ; -- Begin function _ZN7rocprim17ROCPRIM_400000_NS6detail17trampoline_kernelINS0_13select_configILj256ELj13ELNS0_17block_load_methodE3ELS4_3ELS4_3ELNS0_20block_scan_algorithmE0ELj4294967295EEENS1_25partition_config_selectorILNS1_17partition_subalgoE3EjNS0_10empty_typeEbEEZZNS1_14partition_implILS8_3ELb0ES6_jNS0_17counting_iteratorIjlEEPS9_SE_NS0_5tupleIJPjSE_EEENSF_IJSE_SE_EEES9_SG_JZNS1_25segmented_radix_sort_implINS0_14default_configELb1EPKaPaPKlPlN2at6native12_GLOBAL__N_18offset_tEEE10hipError_tPvRmT1_PNSt15iterator_traitsISY_E10value_typeET2_T3_PNSZ_IS14_E10value_typeET4_jRbjT5_S1A_jjP12ihipStream_tbEUljE_EEESV_SW_SX_S14_S18_S1A_T6_T7_T9_mT8_S1C_bDpT10_ENKUlT_T0_E_clISt17integral_constantIbLb1EES1O_IbLb0EEEEDaS1K_S1L_EUlS1K_E_NS1_11comp_targetILNS1_3genE0ELNS1_11target_archE4294967295ELNS1_3gpuE0ELNS1_3repE0EEENS1_30default_config_static_selectorELNS0_4arch9wavefront6targetE1EEEvSY_
	.p2align	8
	.type	_ZN7rocprim17ROCPRIM_400000_NS6detail17trampoline_kernelINS0_13select_configILj256ELj13ELNS0_17block_load_methodE3ELS4_3ELS4_3ELNS0_20block_scan_algorithmE0ELj4294967295EEENS1_25partition_config_selectorILNS1_17partition_subalgoE3EjNS0_10empty_typeEbEEZZNS1_14partition_implILS8_3ELb0ES6_jNS0_17counting_iteratorIjlEEPS9_SE_NS0_5tupleIJPjSE_EEENSF_IJSE_SE_EEES9_SG_JZNS1_25segmented_radix_sort_implINS0_14default_configELb1EPKaPaPKlPlN2at6native12_GLOBAL__N_18offset_tEEE10hipError_tPvRmT1_PNSt15iterator_traitsISY_E10value_typeET2_T3_PNSZ_IS14_E10value_typeET4_jRbjT5_S1A_jjP12ihipStream_tbEUljE_EEESV_SW_SX_S14_S18_S1A_T6_T7_T9_mT8_S1C_bDpT10_ENKUlT_T0_E_clISt17integral_constantIbLb1EES1O_IbLb0EEEEDaS1K_S1L_EUlS1K_E_NS1_11comp_targetILNS1_3genE0ELNS1_11target_archE4294967295ELNS1_3gpuE0ELNS1_3repE0EEENS1_30default_config_static_selectorELNS0_4arch9wavefront6targetE1EEEvSY_,@function
_ZN7rocprim17ROCPRIM_400000_NS6detail17trampoline_kernelINS0_13select_configILj256ELj13ELNS0_17block_load_methodE3ELS4_3ELS4_3ELNS0_20block_scan_algorithmE0ELj4294967295EEENS1_25partition_config_selectorILNS1_17partition_subalgoE3EjNS0_10empty_typeEbEEZZNS1_14partition_implILS8_3ELb0ES6_jNS0_17counting_iteratorIjlEEPS9_SE_NS0_5tupleIJPjSE_EEENSF_IJSE_SE_EEES9_SG_JZNS1_25segmented_radix_sort_implINS0_14default_configELb1EPKaPaPKlPlN2at6native12_GLOBAL__N_18offset_tEEE10hipError_tPvRmT1_PNSt15iterator_traitsISY_E10value_typeET2_T3_PNSZ_IS14_E10value_typeET4_jRbjT5_S1A_jjP12ihipStream_tbEUljE_EEESV_SW_SX_S14_S18_S1A_T6_T7_T9_mT8_S1C_bDpT10_ENKUlT_T0_E_clISt17integral_constantIbLb1EES1O_IbLb0EEEEDaS1K_S1L_EUlS1K_E_NS1_11comp_targetILNS1_3genE0ELNS1_11target_archE4294967295ELNS1_3gpuE0ELNS1_3repE0EEENS1_30default_config_static_selectorELNS0_4arch9wavefront6targetE1EEEvSY_: ; @_ZN7rocprim17ROCPRIM_400000_NS6detail17trampoline_kernelINS0_13select_configILj256ELj13ELNS0_17block_load_methodE3ELS4_3ELS4_3ELNS0_20block_scan_algorithmE0ELj4294967295EEENS1_25partition_config_selectorILNS1_17partition_subalgoE3EjNS0_10empty_typeEbEEZZNS1_14partition_implILS8_3ELb0ES6_jNS0_17counting_iteratorIjlEEPS9_SE_NS0_5tupleIJPjSE_EEENSF_IJSE_SE_EEES9_SG_JZNS1_25segmented_radix_sort_implINS0_14default_configELb1EPKaPaPKlPlN2at6native12_GLOBAL__N_18offset_tEEE10hipError_tPvRmT1_PNSt15iterator_traitsISY_E10value_typeET2_T3_PNSZ_IS14_E10value_typeET4_jRbjT5_S1A_jjP12ihipStream_tbEUljE_EEESV_SW_SX_S14_S18_S1A_T6_T7_T9_mT8_S1C_bDpT10_ENKUlT_T0_E_clISt17integral_constantIbLb1EES1O_IbLb0EEEEDaS1K_S1L_EUlS1K_E_NS1_11comp_targetILNS1_3genE0ELNS1_11target_archE4294967295ELNS1_3gpuE0ELNS1_3repE0EEENS1_30default_config_static_selectorELNS0_4arch9wavefront6targetE1EEEvSY_
; %bb.0:
	.section	.rodata,"a",@progbits
	.p2align	6, 0x0
	.amdhsa_kernel _ZN7rocprim17ROCPRIM_400000_NS6detail17trampoline_kernelINS0_13select_configILj256ELj13ELNS0_17block_load_methodE3ELS4_3ELS4_3ELNS0_20block_scan_algorithmE0ELj4294967295EEENS1_25partition_config_selectorILNS1_17partition_subalgoE3EjNS0_10empty_typeEbEEZZNS1_14partition_implILS8_3ELb0ES6_jNS0_17counting_iteratorIjlEEPS9_SE_NS0_5tupleIJPjSE_EEENSF_IJSE_SE_EEES9_SG_JZNS1_25segmented_radix_sort_implINS0_14default_configELb1EPKaPaPKlPlN2at6native12_GLOBAL__N_18offset_tEEE10hipError_tPvRmT1_PNSt15iterator_traitsISY_E10value_typeET2_T3_PNSZ_IS14_E10value_typeET4_jRbjT5_S1A_jjP12ihipStream_tbEUljE_EEESV_SW_SX_S14_S18_S1A_T6_T7_T9_mT8_S1C_bDpT10_ENKUlT_T0_E_clISt17integral_constantIbLb1EES1O_IbLb0EEEEDaS1K_S1L_EUlS1K_E_NS1_11comp_targetILNS1_3genE0ELNS1_11target_archE4294967295ELNS1_3gpuE0ELNS1_3repE0EEENS1_30default_config_static_selectorELNS0_4arch9wavefront6targetE1EEEvSY_
		.amdhsa_group_segment_fixed_size 0
		.amdhsa_private_segment_fixed_size 0
		.amdhsa_kernarg_size 144
		.amdhsa_user_sgpr_count 6
		.amdhsa_user_sgpr_private_segment_buffer 1
		.amdhsa_user_sgpr_dispatch_ptr 0
		.amdhsa_user_sgpr_queue_ptr 0
		.amdhsa_user_sgpr_kernarg_segment_ptr 1
		.amdhsa_user_sgpr_dispatch_id 0
		.amdhsa_user_sgpr_flat_scratch_init 0
		.amdhsa_user_sgpr_kernarg_preload_length 0
		.amdhsa_user_sgpr_kernarg_preload_offset 0
		.amdhsa_user_sgpr_private_segment_size 0
		.amdhsa_uses_dynamic_stack 0
		.amdhsa_system_sgpr_private_segment_wavefront_offset 0
		.amdhsa_system_sgpr_workgroup_id_x 1
		.amdhsa_system_sgpr_workgroup_id_y 0
		.amdhsa_system_sgpr_workgroup_id_z 0
		.amdhsa_system_sgpr_workgroup_info 0
		.amdhsa_system_vgpr_workitem_id 0
		.amdhsa_next_free_vgpr 1
		.amdhsa_next_free_sgpr 0
		.amdhsa_accum_offset 4
		.amdhsa_reserve_vcc 0
		.amdhsa_reserve_flat_scratch 0
		.amdhsa_float_round_mode_32 0
		.amdhsa_float_round_mode_16_64 0
		.amdhsa_float_denorm_mode_32 3
		.amdhsa_float_denorm_mode_16_64 3
		.amdhsa_dx10_clamp 1
		.amdhsa_ieee_mode 1
		.amdhsa_fp16_overflow 0
		.amdhsa_tg_split 0
		.amdhsa_exception_fp_ieee_invalid_op 0
		.amdhsa_exception_fp_denorm_src 0
		.amdhsa_exception_fp_ieee_div_zero 0
		.amdhsa_exception_fp_ieee_overflow 0
		.amdhsa_exception_fp_ieee_underflow 0
		.amdhsa_exception_fp_ieee_inexact 0
		.amdhsa_exception_int_div_zero 0
	.end_amdhsa_kernel
	.section	.text._ZN7rocprim17ROCPRIM_400000_NS6detail17trampoline_kernelINS0_13select_configILj256ELj13ELNS0_17block_load_methodE3ELS4_3ELS4_3ELNS0_20block_scan_algorithmE0ELj4294967295EEENS1_25partition_config_selectorILNS1_17partition_subalgoE3EjNS0_10empty_typeEbEEZZNS1_14partition_implILS8_3ELb0ES6_jNS0_17counting_iteratorIjlEEPS9_SE_NS0_5tupleIJPjSE_EEENSF_IJSE_SE_EEES9_SG_JZNS1_25segmented_radix_sort_implINS0_14default_configELb1EPKaPaPKlPlN2at6native12_GLOBAL__N_18offset_tEEE10hipError_tPvRmT1_PNSt15iterator_traitsISY_E10value_typeET2_T3_PNSZ_IS14_E10value_typeET4_jRbjT5_S1A_jjP12ihipStream_tbEUljE_EEESV_SW_SX_S14_S18_S1A_T6_T7_T9_mT8_S1C_bDpT10_ENKUlT_T0_E_clISt17integral_constantIbLb1EES1O_IbLb0EEEEDaS1K_S1L_EUlS1K_E_NS1_11comp_targetILNS1_3genE0ELNS1_11target_archE4294967295ELNS1_3gpuE0ELNS1_3repE0EEENS1_30default_config_static_selectorELNS0_4arch9wavefront6targetE1EEEvSY_,"axG",@progbits,_ZN7rocprim17ROCPRIM_400000_NS6detail17trampoline_kernelINS0_13select_configILj256ELj13ELNS0_17block_load_methodE3ELS4_3ELS4_3ELNS0_20block_scan_algorithmE0ELj4294967295EEENS1_25partition_config_selectorILNS1_17partition_subalgoE3EjNS0_10empty_typeEbEEZZNS1_14partition_implILS8_3ELb0ES6_jNS0_17counting_iteratorIjlEEPS9_SE_NS0_5tupleIJPjSE_EEENSF_IJSE_SE_EEES9_SG_JZNS1_25segmented_radix_sort_implINS0_14default_configELb1EPKaPaPKlPlN2at6native12_GLOBAL__N_18offset_tEEE10hipError_tPvRmT1_PNSt15iterator_traitsISY_E10value_typeET2_T3_PNSZ_IS14_E10value_typeET4_jRbjT5_S1A_jjP12ihipStream_tbEUljE_EEESV_SW_SX_S14_S18_S1A_T6_T7_T9_mT8_S1C_bDpT10_ENKUlT_T0_E_clISt17integral_constantIbLb1EES1O_IbLb0EEEEDaS1K_S1L_EUlS1K_E_NS1_11comp_targetILNS1_3genE0ELNS1_11target_archE4294967295ELNS1_3gpuE0ELNS1_3repE0EEENS1_30default_config_static_selectorELNS0_4arch9wavefront6targetE1EEEvSY_,comdat
.Lfunc_end274:
	.size	_ZN7rocprim17ROCPRIM_400000_NS6detail17trampoline_kernelINS0_13select_configILj256ELj13ELNS0_17block_load_methodE3ELS4_3ELS4_3ELNS0_20block_scan_algorithmE0ELj4294967295EEENS1_25partition_config_selectorILNS1_17partition_subalgoE3EjNS0_10empty_typeEbEEZZNS1_14partition_implILS8_3ELb0ES6_jNS0_17counting_iteratorIjlEEPS9_SE_NS0_5tupleIJPjSE_EEENSF_IJSE_SE_EEES9_SG_JZNS1_25segmented_radix_sort_implINS0_14default_configELb1EPKaPaPKlPlN2at6native12_GLOBAL__N_18offset_tEEE10hipError_tPvRmT1_PNSt15iterator_traitsISY_E10value_typeET2_T3_PNSZ_IS14_E10value_typeET4_jRbjT5_S1A_jjP12ihipStream_tbEUljE_EEESV_SW_SX_S14_S18_S1A_T6_T7_T9_mT8_S1C_bDpT10_ENKUlT_T0_E_clISt17integral_constantIbLb1EES1O_IbLb0EEEEDaS1K_S1L_EUlS1K_E_NS1_11comp_targetILNS1_3genE0ELNS1_11target_archE4294967295ELNS1_3gpuE0ELNS1_3repE0EEENS1_30default_config_static_selectorELNS0_4arch9wavefront6targetE1EEEvSY_, .Lfunc_end274-_ZN7rocprim17ROCPRIM_400000_NS6detail17trampoline_kernelINS0_13select_configILj256ELj13ELNS0_17block_load_methodE3ELS4_3ELS4_3ELNS0_20block_scan_algorithmE0ELj4294967295EEENS1_25partition_config_selectorILNS1_17partition_subalgoE3EjNS0_10empty_typeEbEEZZNS1_14partition_implILS8_3ELb0ES6_jNS0_17counting_iteratorIjlEEPS9_SE_NS0_5tupleIJPjSE_EEENSF_IJSE_SE_EEES9_SG_JZNS1_25segmented_radix_sort_implINS0_14default_configELb1EPKaPaPKlPlN2at6native12_GLOBAL__N_18offset_tEEE10hipError_tPvRmT1_PNSt15iterator_traitsISY_E10value_typeET2_T3_PNSZ_IS14_E10value_typeET4_jRbjT5_S1A_jjP12ihipStream_tbEUljE_EEESV_SW_SX_S14_S18_S1A_T6_T7_T9_mT8_S1C_bDpT10_ENKUlT_T0_E_clISt17integral_constantIbLb1EES1O_IbLb0EEEEDaS1K_S1L_EUlS1K_E_NS1_11comp_targetILNS1_3genE0ELNS1_11target_archE4294967295ELNS1_3gpuE0ELNS1_3repE0EEENS1_30default_config_static_selectorELNS0_4arch9wavefront6targetE1EEEvSY_
                                        ; -- End function
	.section	.AMDGPU.csdata,"",@progbits
; Kernel info:
; codeLenInByte = 0
; NumSgprs: 4
; NumVgprs: 0
; NumAgprs: 0
; TotalNumVgprs: 0
; ScratchSize: 0
; MemoryBound: 0
; FloatMode: 240
; IeeeMode: 1
; LDSByteSize: 0 bytes/workgroup (compile time only)
; SGPRBlocks: 0
; VGPRBlocks: 0
; NumSGPRsForWavesPerEU: 4
; NumVGPRsForWavesPerEU: 1
; AccumOffset: 4
; Occupancy: 8
; WaveLimiterHint : 0
; COMPUTE_PGM_RSRC2:SCRATCH_EN: 0
; COMPUTE_PGM_RSRC2:USER_SGPR: 6
; COMPUTE_PGM_RSRC2:TRAP_HANDLER: 0
; COMPUTE_PGM_RSRC2:TGID_X_EN: 1
; COMPUTE_PGM_RSRC2:TGID_Y_EN: 0
; COMPUTE_PGM_RSRC2:TGID_Z_EN: 0
; COMPUTE_PGM_RSRC2:TIDIG_COMP_CNT: 0
; COMPUTE_PGM_RSRC3_GFX90A:ACCUM_OFFSET: 0
; COMPUTE_PGM_RSRC3_GFX90A:TG_SPLIT: 0
	.section	.text._ZN7rocprim17ROCPRIM_400000_NS6detail17trampoline_kernelINS0_13select_configILj256ELj13ELNS0_17block_load_methodE3ELS4_3ELS4_3ELNS0_20block_scan_algorithmE0ELj4294967295EEENS1_25partition_config_selectorILNS1_17partition_subalgoE3EjNS0_10empty_typeEbEEZZNS1_14partition_implILS8_3ELb0ES6_jNS0_17counting_iteratorIjlEEPS9_SE_NS0_5tupleIJPjSE_EEENSF_IJSE_SE_EEES9_SG_JZNS1_25segmented_radix_sort_implINS0_14default_configELb1EPKaPaPKlPlN2at6native12_GLOBAL__N_18offset_tEEE10hipError_tPvRmT1_PNSt15iterator_traitsISY_E10value_typeET2_T3_PNSZ_IS14_E10value_typeET4_jRbjT5_S1A_jjP12ihipStream_tbEUljE_EEESV_SW_SX_S14_S18_S1A_T6_T7_T9_mT8_S1C_bDpT10_ENKUlT_T0_E_clISt17integral_constantIbLb1EES1O_IbLb0EEEEDaS1K_S1L_EUlS1K_E_NS1_11comp_targetILNS1_3genE5ELNS1_11target_archE942ELNS1_3gpuE9ELNS1_3repE0EEENS1_30default_config_static_selectorELNS0_4arch9wavefront6targetE1EEEvSY_,"axG",@progbits,_ZN7rocprim17ROCPRIM_400000_NS6detail17trampoline_kernelINS0_13select_configILj256ELj13ELNS0_17block_load_methodE3ELS4_3ELS4_3ELNS0_20block_scan_algorithmE0ELj4294967295EEENS1_25partition_config_selectorILNS1_17partition_subalgoE3EjNS0_10empty_typeEbEEZZNS1_14partition_implILS8_3ELb0ES6_jNS0_17counting_iteratorIjlEEPS9_SE_NS0_5tupleIJPjSE_EEENSF_IJSE_SE_EEES9_SG_JZNS1_25segmented_radix_sort_implINS0_14default_configELb1EPKaPaPKlPlN2at6native12_GLOBAL__N_18offset_tEEE10hipError_tPvRmT1_PNSt15iterator_traitsISY_E10value_typeET2_T3_PNSZ_IS14_E10value_typeET4_jRbjT5_S1A_jjP12ihipStream_tbEUljE_EEESV_SW_SX_S14_S18_S1A_T6_T7_T9_mT8_S1C_bDpT10_ENKUlT_T0_E_clISt17integral_constantIbLb1EES1O_IbLb0EEEEDaS1K_S1L_EUlS1K_E_NS1_11comp_targetILNS1_3genE5ELNS1_11target_archE942ELNS1_3gpuE9ELNS1_3repE0EEENS1_30default_config_static_selectorELNS0_4arch9wavefront6targetE1EEEvSY_,comdat
	.globl	_ZN7rocprim17ROCPRIM_400000_NS6detail17trampoline_kernelINS0_13select_configILj256ELj13ELNS0_17block_load_methodE3ELS4_3ELS4_3ELNS0_20block_scan_algorithmE0ELj4294967295EEENS1_25partition_config_selectorILNS1_17partition_subalgoE3EjNS0_10empty_typeEbEEZZNS1_14partition_implILS8_3ELb0ES6_jNS0_17counting_iteratorIjlEEPS9_SE_NS0_5tupleIJPjSE_EEENSF_IJSE_SE_EEES9_SG_JZNS1_25segmented_radix_sort_implINS0_14default_configELb1EPKaPaPKlPlN2at6native12_GLOBAL__N_18offset_tEEE10hipError_tPvRmT1_PNSt15iterator_traitsISY_E10value_typeET2_T3_PNSZ_IS14_E10value_typeET4_jRbjT5_S1A_jjP12ihipStream_tbEUljE_EEESV_SW_SX_S14_S18_S1A_T6_T7_T9_mT8_S1C_bDpT10_ENKUlT_T0_E_clISt17integral_constantIbLb1EES1O_IbLb0EEEEDaS1K_S1L_EUlS1K_E_NS1_11comp_targetILNS1_3genE5ELNS1_11target_archE942ELNS1_3gpuE9ELNS1_3repE0EEENS1_30default_config_static_selectorELNS0_4arch9wavefront6targetE1EEEvSY_ ; -- Begin function _ZN7rocprim17ROCPRIM_400000_NS6detail17trampoline_kernelINS0_13select_configILj256ELj13ELNS0_17block_load_methodE3ELS4_3ELS4_3ELNS0_20block_scan_algorithmE0ELj4294967295EEENS1_25partition_config_selectorILNS1_17partition_subalgoE3EjNS0_10empty_typeEbEEZZNS1_14partition_implILS8_3ELb0ES6_jNS0_17counting_iteratorIjlEEPS9_SE_NS0_5tupleIJPjSE_EEENSF_IJSE_SE_EEES9_SG_JZNS1_25segmented_radix_sort_implINS0_14default_configELb1EPKaPaPKlPlN2at6native12_GLOBAL__N_18offset_tEEE10hipError_tPvRmT1_PNSt15iterator_traitsISY_E10value_typeET2_T3_PNSZ_IS14_E10value_typeET4_jRbjT5_S1A_jjP12ihipStream_tbEUljE_EEESV_SW_SX_S14_S18_S1A_T6_T7_T9_mT8_S1C_bDpT10_ENKUlT_T0_E_clISt17integral_constantIbLb1EES1O_IbLb0EEEEDaS1K_S1L_EUlS1K_E_NS1_11comp_targetILNS1_3genE5ELNS1_11target_archE942ELNS1_3gpuE9ELNS1_3repE0EEENS1_30default_config_static_selectorELNS0_4arch9wavefront6targetE1EEEvSY_
	.p2align	8
	.type	_ZN7rocprim17ROCPRIM_400000_NS6detail17trampoline_kernelINS0_13select_configILj256ELj13ELNS0_17block_load_methodE3ELS4_3ELS4_3ELNS0_20block_scan_algorithmE0ELj4294967295EEENS1_25partition_config_selectorILNS1_17partition_subalgoE3EjNS0_10empty_typeEbEEZZNS1_14partition_implILS8_3ELb0ES6_jNS0_17counting_iteratorIjlEEPS9_SE_NS0_5tupleIJPjSE_EEENSF_IJSE_SE_EEES9_SG_JZNS1_25segmented_radix_sort_implINS0_14default_configELb1EPKaPaPKlPlN2at6native12_GLOBAL__N_18offset_tEEE10hipError_tPvRmT1_PNSt15iterator_traitsISY_E10value_typeET2_T3_PNSZ_IS14_E10value_typeET4_jRbjT5_S1A_jjP12ihipStream_tbEUljE_EEESV_SW_SX_S14_S18_S1A_T6_T7_T9_mT8_S1C_bDpT10_ENKUlT_T0_E_clISt17integral_constantIbLb1EES1O_IbLb0EEEEDaS1K_S1L_EUlS1K_E_NS1_11comp_targetILNS1_3genE5ELNS1_11target_archE942ELNS1_3gpuE9ELNS1_3repE0EEENS1_30default_config_static_selectorELNS0_4arch9wavefront6targetE1EEEvSY_,@function
_ZN7rocprim17ROCPRIM_400000_NS6detail17trampoline_kernelINS0_13select_configILj256ELj13ELNS0_17block_load_methodE3ELS4_3ELS4_3ELNS0_20block_scan_algorithmE0ELj4294967295EEENS1_25partition_config_selectorILNS1_17partition_subalgoE3EjNS0_10empty_typeEbEEZZNS1_14partition_implILS8_3ELb0ES6_jNS0_17counting_iteratorIjlEEPS9_SE_NS0_5tupleIJPjSE_EEENSF_IJSE_SE_EEES9_SG_JZNS1_25segmented_radix_sort_implINS0_14default_configELb1EPKaPaPKlPlN2at6native12_GLOBAL__N_18offset_tEEE10hipError_tPvRmT1_PNSt15iterator_traitsISY_E10value_typeET2_T3_PNSZ_IS14_E10value_typeET4_jRbjT5_S1A_jjP12ihipStream_tbEUljE_EEESV_SW_SX_S14_S18_S1A_T6_T7_T9_mT8_S1C_bDpT10_ENKUlT_T0_E_clISt17integral_constantIbLb1EES1O_IbLb0EEEEDaS1K_S1L_EUlS1K_E_NS1_11comp_targetILNS1_3genE5ELNS1_11target_archE942ELNS1_3gpuE9ELNS1_3repE0EEENS1_30default_config_static_selectorELNS0_4arch9wavefront6targetE1EEEvSY_: ; @_ZN7rocprim17ROCPRIM_400000_NS6detail17trampoline_kernelINS0_13select_configILj256ELj13ELNS0_17block_load_methodE3ELS4_3ELS4_3ELNS0_20block_scan_algorithmE0ELj4294967295EEENS1_25partition_config_selectorILNS1_17partition_subalgoE3EjNS0_10empty_typeEbEEZZNS1_14partition_implILS8_3ELb0ES6_jNS0_17counting_iteratorIjlEEPS9_SE_NS0_5tupleIJPjSE_EEENSF_IJSE_SE_EEES9_SG_JZNS1_25segmented_radix_sort_implINS0_14default_configELb1EPKaPaPKlPlN2at6native12_GLOBAL__N_18offset_tEEE10hipError_tPvRmT1_PNSt15iterator_traitsISY_E10value_typeET2_T3_PNSZ_IS14_E10value_typeET4_jRbjT5_S1A_jjP12ihipStream_tbEUljE_EEESV_SW_SX_S14_S18_S1A_T6_T7_T9_mT8_S1C_bDpT10_ENKUlT_T0_E_clISt17integral_constantIbLb1EES1O_IbLb0EEEEDaS1K_S1L_EUlS1K_E_NS1_11comp_targetILNS1_3genE5ELNS1_11target_archE942ELNS1_3gpuE9ELNS1_3repE0EEENS1_30default_config_static_selectorELNS0_4arch9wavefront6targetE1EEEvSY_
; %bb.0:
	.section	.rodata,"a",@progbits
	.p2align	6, 0x0
	.amdhsa_kernel _ZN7rocprim17ROCPRIM_400000_NS6detail17trampoline_kernelINS0_13select_configILj256ELj13ELNS0_17block_load_methodE3ELS4_3ELS4_3ELNS0_20block_scan_algorithmE0ELj4294967295EEENS1_25partition_config_selectorILNS1_17partition_subalgoE3EjNS0_10empty_typeEbEEZZNS1_14partition_implILS8_3ELb0ES6_jNS0_17counting_iteratorIjlEEPS9_SE_NS0_5tupleIJPjSE_EEENSF_IJSE_SE_EEES9_SG_JZNS1_25segmented_radix_sort_implINS0_14default_configELb1EPKaPaPKlPlN2at6native12_GLOBAL__N_18offset_tEEE10hipError_tPvRmT1_PNSt15iterator_traitsISY_E10value_typeET2_T3_PNSZ_IS14_E10value_typeET4_jRbjT5_S1A_jjP12ihipStream_tbEUljE_EEESV_SW_SX_S14_S18_S1A_T6_T7_T9_mT8_S1C_bDpT10_ENKUlT_T0_E_clISt17integral_constantIbLb1EES1O_IbLb0EEEEDaS1K_S1L_EUlS1K_E_NS1_11comp_targetILNS1_3genE5ELNS1_11target_archE942ELNS1_3gpuE9ELNS1_3repE0EEENS1_30default_config_static_selectorELNS0_4arch9wavefront6targetE1EEEvSY_
		.amdhsa_group_segment_fixed_size 0
		.amdhsa_private_segment_fixed_size 0
		.amdhsa_kernarg_size 144
		.amdhsa_user_sgpr_count 6
		.amdhsa_user_sgpr_private_segment_buffer 1
		.amdhsa_user_sgpr_dispatch_ptr 0
		.amdhsa_user_sgpr_queue_ptr 0
		.amdhsa_user_sgpr_kernarg_segment_ptr 1
		.amdhsa_user_sgpr_dispatch_id 0
		.amdhsa_user_sgpr_flat_scratch_init 0
		.amdhsa_user_sgpr_kernarg_preload_length 0
		.amdhsa_user_sgpr_kernarg_preload_offset 0
		.amdhsa_user_sgpr_private_segment_size 0
		.amdhsa_uses_dynamic_stack 0
		.amdhsa_system_sgpr_private_segment_wavefront_offset 0
		.amdhsa_system_sgpr_workgroup_id_x 1
		.amdhsa_system_sgpr_workgroup_id_y 0
		.amdhsa_system_sgpr_workgroup_id_z 0
		.amdhsa_system_sgpr_workgroup_info 0
		.amdhsa_system_vgpr_workitem_id 0
		.amdhsa_next_free_vgpr 1
		.amdhsa_next_free_sgpr 0
		.amdhsa_accum_offset 4
		.amdhsa_reserve_vcc 0
		.amdhsa_reserve_flat_scratch 0
		.amdhsa_float_round_mode_32 0
		.amdhsa_float_round_mode_16_64 0
		.amdhsa_float_denorm_mode_32 3
		.amdhsa_float_denorm_mode_16_64 3
		.amdhsa_dx10_clamp 1
		.amdhsa_ieee_mode 1
		.amdhsa_fp16_overflow 0
		.amdhsa_tg_split 0
		.amdhsa_exception_fp_ieee_invalid_op 0
		.amdhsa_exception_fp_denorm_src 0
		.amdhsa_exception_fp_ieee_div_zero 0
		.amdhsa_exception_fp_ieee_overflow 0
		.amdhsa_exception_fp_ieee_underflow 0
		.amdhsa_exception_fp_ieee_inexact 0
		.amdhsa_exception_int_div_zero 0
	.end_amdhsa_kernel
	.section	.text._ZN7rocprim17ROCPRIM_400000_NS6detail17trampoline_kernelINS0_13select_configILj256ELj13ELNS0_17block_load_methodE3ELS4_3ELS4_3ELNS0_20block_scan_algorithmE0ELj4294967295EEENS1_25partition_config_selectorILNS1_17partition_subalgoE3EjNS0_10empty_typeEbEEZZNS1_14partition_implILS8_3ELb0ES6_jNS0_17counting_iteratorIjlEEPS9_SE_NS0_5tupleIJPjSE_EEENSF_IJSE_SE_EEES9_SG_JZNS1_25segmented_radix_sort_implINS0_14default_configELb1EPKaPaPKlPlN2at6native12_GLOBAL__N_18offset_tEEE10hipError_tPvRmT1_PNSt15iterator_traitsISY_E10value_typeET2_T3_PNSZ_IS14_E10value_typeET4_jRbjT5_S1A_jjP12ihipStream_tbEUljE_EEESV_SW_SX_S14_S18_S1A_T6_T7_T9_mT8_S1C_bDpT10_ENKUlT_T0_E_clISt17integral_constantIbLb1EES1O_IbLb0EEEEDaS1K_S1L_EUlS1K_E_NS1_11comp_targetILNS1_3genE5ELNS1_11target_archE942ELNS1_3gpuE9ELNS1_3repE0EEENS1_30default_config_static_selectorELNS0_4arch9wavefront6targetE1EEEvSY_,"axG",@progbits,_ZN7rocprim17ROCPRIM_400000_NS6detail17trampoline_kernelINS0_13select_configILj256ELj13ELNS0_17block_load_methodE3ELS4_3ELS4_3ELNS0_20block_scan_algorithmE0ELj4294967295EEENS1_25partition_config_selectorILNS1_17partition_subalgoE3EjNS0_10empty_typeEbEEZZNS1_14partition_implILS8_3ELb0ES6_jNS0_17counting_iteratorIjlEEPS9_SE_NS0_5tupleIJPjSE_EEENSF_IJSE_SE_EEES9_SG_JZNS1_25segmented_radix_sort_implINS0_14default_configELb1EPKaPaPKlPlN2at6native12_GLOBAL__N_18offset_tEEE10hipError_tPvRmT1_PNSt15iterator_traitsISY_E10value_typeET2_T3_PNSZ_IS14_E10value_typeET4_jRbjT5_S1A_jjP12ihipStream_tbEUljE_EEESV_SW_SX_S14_S18_S1A_T6_T7_T9_mT8_S1C_bDpT10_ENKUlT_T0_E_clISt17integral_constantIbLb1EES1O_IbLb0EEEEDaS1K_S1L_EUlS1K_E_NS1_11comp_targetILNS1_3genE5ELNS1_11target_archE942ELNS1_3gpuE9ELNS1_3repE0EEENS1_30default_config_static_selectorELNS0_4arch9wavefront6targetE1EEEvSY_,comdat
.Lfunc_end275:
	.size	_ZN7rocprim17ROCPRIM_400000_NS6detail17trampoline_kernelINS0_13select_configILj256ELj13ELNS0_17block_load_methodE3ELS4_3ELS4_3ELNS0_20block_scan_algorithmE0ELj4294967295EEENS1_25partition_config_selectorILNS1_17partition_subalgoE3EjNS0_10empty_typeEbEEZZNS1_14partition_implILS8_3ELb0ES6_jNS0_17counting_iteratorIjlEEPS9_SE_NS0_5tupleIJPjSE_EEENSF_IJSE_SE_EEES9_SG_JZNS1_25segmented_radix_sort_implINS0_14default_configELb1EPKaPaPKlPlN2at6native12_GLOBAL__N_18offset_tEEE10hipError_tPvRmT1_PNSt15iterator_traitsISY_E10value_typeET2_T3_PNSZ_IS14_E10value_typeET4_jRbjT5_S1A_jjP12ihipStream_tbEUljE_EEESV_SW_SX_S14_S18_S1A_T6_T7_T9_mT8_S1C_bDpT10_ENKUlT_T0_E_clISt17integral_constantIbLb1EES1O_IbLb0EEEEDaS1K_S1L_EUlS1K_E_NS1_11comp_targetILNS1_3genE5ELNS1_11target_archE942ELNS1_3gpuE9ELNS1_3repE0EEENS1_30default_config_static_selectorELNS0_4arch9wavefront6targetE1EEEvSY_, .Lfunc_end275-_ZN7rocprim17ROCPRIM_400000_NS6detail17trampoline_kernelINS0_13select_configILj256ELj13ELNS0_17block_load_methodE3ELS4_3ELS4_3ELNS0_20block_scan_algorithmE0ELj4294967295EEENS1_25partition_config_selectorILNS1_17partition_subalgoE3EjNS0_10empty_typeEbEEZZNS1_14partition_implILS8_3ELb0ES6_jNS0_17counting_iteratorIjlEEPS9_SE_NS0_5tupleIJPjSE_EEENSF_IJSE_SE_EEES9_SG_JZNS1_25segmented_radix_sort_implINS0_14default_configELb1EPKaPaPKlPlN2at6native12_GLOBAL__N_18offset_tEEE10hipError_tPvRmT1_PNSt15iterator_traitsISY_E10value_typeET2_T3_PNSZ_IS14_E10value_typeET4_jRbjT5_S1A_jjP12ihipStream_tbEUljE_EEESV_SW_SX_S14_S18_S1A_T6_T7_T9_mT8_S1C_bDpT10_ENKUlT_T0_E_clISt17integral_constantIbLb1EES1O_IbLb0EEEEDaS1K_S1L_EUlS1K_E_NS1_11comp_targetILNS1_3genE5ELNS1_11target_archE942ELNS1_3gpuE9ELNS1_3repE0EEENS1_30default_config_static_selectorELNS0_4arch9wavefront6targetE1EEEvSY_
                                        ; -- End function
	.section	.AMDGPU.csdata,"",@progbits
; Kernel info:
; codeLenInByte = 0
; NumSgprs: 4
; NumVgprs: 0
; NumAgprs: 0
; TotalNumVgprs: 0
; ScratchSize: 0
; MemoryBound: 0
; FloatMode: 240
; IeeeMode: 1
; LDSByteSize: 0 bytes/workgroup (compile time only)
; SGPRBlocks: 0
; VGPRBlocks: 0
; NumSGPRsForWavesPerEU: 4
; NumVGPRsForWavesPerEU: 1
; AccumOffset: 4
; Occupancy: 8
; WaveLimiterHint : 0
; COMPUTE_PGM_RSRC2:SCRATCH_EN: 0
; COMPUTE_PGM_RSRC2:USER_SGPR: 6
; COMPUTE_PGM_RSRC2:TRAP_HANDLER: 0
; COMPUTE_PGM_RSRC2:TGID_X_EN: 1
; COMPUTE_PGM_RSRC2:TGID_Y_EN: 0
; COMPUTE_PGM_RSRC2:TGID_Z_EN: 0
; COMPUTE_PGM_RSRC2:TIDIG_COMP_CNT: 0
; COMPUTE_PGM_RSRC3_GFX90A:ACCUM_OFFSET: 0
; COMPUTE_PGM_RSRC3_GFX90A:TG_SPLIT: 0
	.section	.text._ZN7rocprim17ROCPRIM_400000_NS6detail17trampoline_kernelINS0_13select_configILj256ELj13ELNS0_17block_load_methodE3ELS4_3ELS4_3ELNS0_20block_scan_algorithmE0ELj4294967295EEENS1_25partition_config_selectorILNS1_17partition_subalgoE3EjNS0_10empty_typeEbEEZZNS1_14partition_implILS8_3ELb0ES6_jNS0_17counting_iteratorIjlEEPS9_SE_NS0_5tupleIJPjSE_EEENSF_IJSE_SE_EEES9_SG_JZNS1_25segmented_radix_sort_implINS0_14default_configELb1EPKaPaPKlPlN2at6native12_GLOBAL__N_18offset_tEEE10hipError_tPvRmT1_PNSt15iterator_traitsISY_E10value_typeET2_T3_PNSZ_IS14_E10value_typeET4_jRbjT5_S1A_jjP12ihipStream_tbEUljE_EEESV_SW_SX_S14_S18_S1A_T6_T7_T9_mT8_S1C_bDpT10_ENKUlT_T0_E_clISt17integral_constantIbLb1EES1O_IbLb0EEEEDaS1K_S1L_EUlS1K_E_NS1_11comp_targetILNS1_3genE4ELNS1_11target_archE910ELNS1_3gpuE8ELNS1_3repE0EEENS1_30default_config_static_selectorELNS0_4arch9wavefront6targetE1EEEvSY_,"axG",@progbits,_ZN7rocprim17ROCPRIM_400000_NS6detail17trampoline_kernelINS0_13select_configILj256ELj13ELNS0_17block_load_methodE3ELS4_3ELS4_3ELNS0_20block_scan_algorithmE0ELj4294967295EEENS1_25partition_config_selectorILNS1_17partition_subalgoE3EjNS0_10empty_typeEbEEZZNS1_14partition_implILS8_3ELb0ES6_jNS0_17counting_iteratorIjlEEPS9_SE_NS0_5tupleIJPjSE_EEENSF_IJSE_SE_EEES9_SG_JZNS1_25segmented_radix_sort_implINS0_14default_configELb1EPKaPaPKlPlN2at6native12_GLOBAL__N_18offset_tEEE10hipError_tPvRmT1_PNSt15iterator_traitsISY_E10value_typeET2_T3_PNSZ_IS14_E10value_typeET4_jRbjT5_S1A_jjP12ihipStream_tbEUljE_EEESV_SW_SX_S14_S18_S1A_T6_T7_T9_mT8_S1C_bDpT10_ENKUlT_T0_E_clISt17integral_constantIbLb1EES1O_IbLb0EEEEDaS1K_S1L_EUlS1K_E_NS1_11comp_targetILNS1_3genE4ELNS1_11target_archE910ELNS1_3gpuE8ELNS1_3repE0EEENS1_30default_config_static_selectorELNS0_4arch9wavefront6targetE1EEEvSY_,comdat
	.globl	_ZN7rocprim17ROCPRIM_400000_NS6detail17trampoline_kernelINS0_13select_configILj256ELj13ELNS0_17block_load_methodE3ELS4_3ELS4_3ELNS0_20block_scan_algorithmE0ELj4294967295EEENS1_25partition_config_selectorILNS1_17partition_subalgoE3EjNS0_10empty_typeEbEEZZNS1_14partition_implILS8_3ELb0ES6_jNS0_17counting_iteratorIjlEEPS9_SE_NS0_5tupleIJPjSE_EEENSF_IJSE_SE_EEES9_SG_JZNS1_25segmented_radix_sort_implINS0_14default_configELb1EPKaPaPKlPlN2at6native12_GLOBAL__N_18offset_tEEE10hipError_tPvRmT1_PNSt15iterator_traitsISY_E10value_typeET2_T3_PNSZ_IS14_E10value_typeET4_jRbjT5_S1A_jjP12ihipStream_tbEUljE_EEESV_SW_SX_S14_S18_S1A_T6_T7_T9_mT8_S1C_bDpT10_ENKUlT_T0_E_clISt17integral_constantIbLb1EES1O_IbLb0EEEEDaS1K_S1L_EUlS1K_E_NS1_11comp_targetILNS1_3genE4ELNS1_11target_archE910ELNS1_3gpuE8ELNS1_3repE0EEENS1_30default_config_static_selectorELNS0_4arch9wavefront6targetE1EEEvSY_ ; -- Begin function _ZN7rocprim17ROCPRIM_400000_NS6detail17trampoline_kernelINS0_13select_configILj256ELj13ELNS0_17block_load_methodE3ELS4_3ELS4_3ELNS0_20block_scan_algorithmE0ELj4294967295EEENS1_25partition_config_selectorILNS1_17partition_subalgoE3EjNS0_10empty_typeEbEEZZNS1_14partition_implILS8_3ELb0ES6_jNS0_17counting_iteratorIjlEEPS9_SE_NS0_5tupleIJPjSE_EEENSF_IJSE_SE_EEES9_SG_JZNS1_25segmented_radix_sort_implINS0_14default_configELb1EPKaPaPKlPlN2at6native12_GLOBAL__N_18offset_tEEE10hipError_tPvRmT1_PNSt15iterator_traitsISY_E10value_typeET2_T3_PNSZ_IS14_E10value_typeET4_jRbjT5_S1A_jjP12ihipStream_tbEUljE_EEESV_SW_SX_S14_S18_S1A_T6_T7_T9_mT8_S1C_bDpT10_ENKUlT_T0_E_clISt17integral_constantIbLb1EES1O_IbLb0EEEEDaS1K_S1L_EUlS1K_E_NS1_11comp_targetILNS1_3genE4ELNS1_11target_archE910ELNS1_3gpuE8ELNS1_3repE0EEENS1_30default_config_static_selectorELNS0_4arch9wavefront6targetE1EEEvSY_
	.p2align	8
	.type	_ZN7rocprim17ROCPRIM_400000_NS6detail17trampoline_kernelINS0_13select_configILj256ELj13ELNS0_17block_load_methodE3ELS4_3ELS4_3ELNS0_20block_scan_algorithmE0ELj4294967295EEENS1_25partition_config_selectorILNS1_17partition_subalgoE3EjNS0_10empty_typeEbEEZZNS1_14partition_implILS8_3ELb0ES6_jNS0_17counting_iteratorIjlEEPS9_SE_NS0_5tupleIJPjSE_EEENSF_IJSE_SE_EEES9_SG_JZNS1_25segmented_radix_sort_implINS0_14default_configELb1EPKaPaPKlPlN2at6native12_GLOBAL__N_18offset_tEEE10hipError_tPvRmT1_PNSt15iterator_traitsISY_E10value_typeET2_T3_PNSZ_IS14_E10value_typeET4_jRbjT5_S1A_jjP12ihipStream_tbEUljE_EEESV_SW_SX_S14_S18_S1A_T6_T7_T9_mT8_S1C_bDpT10_ENKUlT_T0_E_clISt17integral_constantIbLb1EES1O_IbLb0EEEEDaS1K_S1L_EUlS1K_E_NS1_11comp_targetILNS1_3genE4ELNS1_11target_archE910ELNS1_3gpuE8ELNS1_3repE0EEENS1_30default_config_static_selectorELNS0_4arch9wavefront6targetE1EEEvSY_,@function
_ZN7rocprim17ROCPRIM_400000_NS6detail17trampoline_kernelINS0_13select_configILj256ELj13ELNS0_17block_load_methodE3ELS4_3ELS4_3ELNS0_20block_scan_algorithmE0ELj4294967295EEENS1_25partition_config_selectorILNS1_17partition_subalgoE3EjNS0_10empty_typeEbEEZZNS1_14partition_implILS8_3ELb0ES6_jNS0_17counting_iteratorIjlEEPS9_SE_NS0_5tupleIJPjSE_EEENSF_IJSE_SE_EEES9_SG_JZNS1_25segmented_radix_sort_implINS0_14default_configELb1EPKaPaPKlPlN2at6native12_GLOBAL__N_18offset_tEEE10hipError_tPvRmT1_PNSt15iterator_traitsISY_E10value_typeET2_T3_PNSZ_IS14_E10value_typeET4_jRbjT5_S1A_jjP12ihipStream_tbEUljE_EEESV_SW_SX_S14_S18_S1A_T6_T7_T9_mT8_S1C_bDpT10_ENKUlT_T0_E_clISt17integral_constantIbLb1EES1O_IbLb0EEEEDaS1K_S1L_EUlS1K_E_NS1_11comp_targetILNS1_3genE4ELNS1_11target_archE910ELNS1_3gpuE8ELNS1_3repE0EEENS1_30default_config_static_selectorELNS0_4arch9wavefront6targetE1EEEvSY_: ; @_ZN7rocprim17ROCPRIM_400000_NS6detail17trampoline_kernelINS0_13select_configILj256ELj13ELNS0_17block_load_methodE3ELS4_3ELS4_3ELNS0_20block_scan_algorithmE0ELj4294967295EEENS1_25partition_config_selectorILNS1_17partition_subalgoE3EjNS0_10empty_typeEbEEZZNS1_14partition_implILS8_3ELb0ES6_jNS0_17counting_iteratorIjlEEPS9_SE_NS0_5tupleIJPjSE_EEENSF_IJSE_SE_EEES9_SG_JZNS1_25segmented_radix_sort_implINS0_14default_configELb1EPKaPaPKlPlN2at6native12_GLOBAL__N_18offset_tEEE10hipError_tPvRmT1_PNSt15iterator_traitsISY_E10value_typeET2_T3_PNSZ_IS14_E10value_typeET4_jRbjT5_S1A_jjP12ihipStream_tbEUljE_EEESV_SW_SX_S14_S18_S1A_T6_T7_T9_mT8_S1C_bDpT10_ENKUlT_T0_E_clISt17integral_constantIbLb1EES1O_IbLb0EEEEDaS1K_S1L_EUlS1K_E_NS1_11comp_targetILNS1_3genE4ELNS1_11target_archE910ELNS1_3gpuE8ELNS1_3repE0EEENS1_30default_config_static_selectorELNS0_4arch9wavefront6targetE1EEEvSY_
; %bb.0:
	s_load_dwordx2 s[26:27], s[4:5], 0x58
	s_load_dwordx4 s[20:23], s[4:5], 0x48
	s_load_dword s13, s[4:5], 0x8
	s_load_dwordx2 s[28:29], s[4:5], 0x10
	s_load_dword s12, s[4:5], 0x70
	s_load_dword s7, s[4:5], 0x88
	s_load_dwordx4 s[8:11], s[4:5], 0x78
	s_waitcnt lgkmcnt(0)
	s_load_dwordx2 s[30:31], s[22:23], 0x0
	v_pk_mov_b32 v[2:3], s[26:27], s[26:27] op_sel:[0,1]
	s_add_i32 s2, s12, -1
	s_mulk_i32 s12, 0xd00
	s_add_u32 s0, s28, s12
	s_addc_u32 s1, s29, 0
	s_cmp_eq_u32 s6, s2
	s_cselect_b64 s[22:23], -1, 0
	s_cmp_lg_u32 s6, s2
	s_mul_i32 s42, s6, 0xd00
	v_cmp_lt_u64_e32 vcc, s[0:1], v[2:3]
	s_cselect_b64 s[0:1], -1, 0
	s_or_b64 s[2:3], s[0:1], vcc
	s_add_i32 s0, s13, s42
	s_add_i32 s0, s0, s28
	v_add_u32_e32 v2, s0, v0
	s_mov_b64 s[0:1], -1
	s_and_b64 vcc, exec, s[2:3]
	v_lshlrev_b32_e32 v1, 2, v0
	s_cbranch_vccz .LBB276_2
; %bb.1:
	v_add_u32_e32 v3, 0x100, v2
	v_add_u32_e32 v4, 0x200, v2
	;; [unrolled: 1-line block ×12, first 2 shown]
	ds_write2st64_b32 v1, v2, v3 offset1:4
	ds_write2st64_b32 v1, v4, v5 offset0:8 offset1:12
	ds_write2st64_b32 v1, v6, v7 offset0:16 offset1:20
	;; [unrolled: 1-line block ×5, first 2 shown]
	ds_write_b32 v1, v14 offset:12288
	s_waitcnt lgkmcnt(0)
	s_barrier
	s_mov_b64 s[0:1], 0
.LBB276_2:
	s_andn2_b64 vcc, exec, s[0:1]
	s_add_i32 s12, s12, s28
	s_cbranch_vccnz .LBB276_4
; %bb.3:
	v_add_u32_e32 v3, 0x100, v2
	v_add_u32_e32 v4, 0x200, v2
	;; [unrolled: 1-line block ×12, first 2 shown]
	ds_write2st64_b32 v1, v2, v3 offset1:4
	ds_write2st64_b32 v1, v4, v5 offset0:8 offset1:12
	ds_write2st64_b32 v1, v6, v7 offset0:16 offset1:20
	;; [unrolled: 1-line block ×5, first 2 shown]
	ds_write_b32 v1, v14 offset:12288
	s_waitcnt lgkmcnt(0)
	s_barrier
.LBB276_4:
	v_mul_u32_u24_e32 v33, 13, v0
	v_lshlrev_b32_e32 v2, 2, v33
	s_waitcnt lgkmcnt(0)
	ds_read2_b32 v[30:31], v2 offset1:1
	ds_read2_b32 v[28:29], v2 offset0:2 offset1:3
	ds_read2_b32 v[26:27], v2 offset0:4 offset1:5
	;; [unrolled: 1-line block ×5, first 2 shown]
	ds_read_b32 v32, v2 offset:48
	v_cndmask_b32_e64 v2, 0, 1, s[2:3]
	s_sub_i32 s33, s26, s12
	v_cmp_ne_u32_e64 s[0:1], 1, v2
	s_andn2_b64 vcc, exec, s[2:3]
	s_waitcnt lgkmcnt(0)
	s_barrier
	s_cbranch_vccnz .LBB276_6
; %bb.5:
	v_add_u32_e32 v2, s9, v30
	v_add_u32_e32 v3, s11, v30
	v_mul_lo_u32 v2, v2, s8
	v_mul_lo_u32 v3, v3, s10
	v_sub_u32_e32 v2, v2, v3
	v_add_u32_e32 v3, s9, v31
	v_add_u32_e32 v4, s11, v31
	v_mul_lo_u32 v3, v3, s8
	v_mul_lo_u32 v4, v4, s10
	v_sub_u32_e32 v3, v3, v4
	;; [unrolled: 5-line block ×6, first 2 shown]
	v_add_u32_e32 v8, s9, v24
	v_add_u32_e32 v9, s11, v24
	v_mul_lo_u32 v8, v8, s8
	v_mul_lo_u32 v9, v9, s10
	v_cmp_lt_u32_e32 vcc, s7, v2
	v_sub_u32_e32 v8, v8, v9
	v_add_u32_e32 v9, s9, v25
	v_add_u32_e32 v10, s11, v25
	v_cndmask_b32_e64 v2, 0, 1, vcc
	v_cmp_lt_u32_e32 vcc, s7, v3
	v_mul_lo_u32 v9, v9, s8
	v_mul_lo_u32 v10, v10, s10
	v_cndmask_b32_e64 v3, 0, 1, vcc
	v_cmp_lt_u32_e32 vcc, s7, v4
	v_sub_u32_e32 v9, v9, v10
	v_add_u32_e32 v10, s9, v22
	v_add_u32_e32 v11, s11, v22
	v_cndmask_b32_e64 v4, 0, 1, vcc
	v_cmp_lt_u32_e32 vcc, s7, v5
	v_mul_lo_u32 v10, v10, s8
	v_mul_lo_u32 v11, v11, s10
	v_cndmask_b32_e64 v5, 0, 1, vcc
	;; [unrolled: 9-line block ×4, first 2 shown]
	v_cmp_lt_u32_e32 vcc, s7, v10
	v_sub_u32_e32 v12, v12, v13
	v_add_u32_e32 v13, s9, v21
	v_add_u32_e32 v14, s11, v21
	v_lshlrev_b16_e32 v3, 8, v3
	v_cndmask_b32_e64 v10, 0, 1, vcc
	v_cmp_lt_u32_e32 vcc, s7, v11
	v_mul_lo_u32 v13, v13, s8
	v_mul_lo_u32 v14, v14, s10
	v_or_b32_e32 v2, v2, v3
	v_lshlrev_b16_e32 v3, 8, v5
	v_cndmask_b32_e64 v11, 0, 1, vcc
	v_cmp_lt_u32_e32 vcc, s7, v12
	v_sub_u32_e32 v13, v13, v14
	v_or_b32_sdwa v3, v4, v3 dst_sel:WORD_1 dst_unused:UNUSED_PAD src0_sel:DWORD src1_sel:DWORD
	v_cndmask_b32_e64 v12, 0, 1, vcc
	v_cmp_lt_u32_e32 vcc, s7, v13
	v_add_u32_e32 v14, s9, v32
	v_add_u32_e32 v15, s11, v32
	v_or_b32_sdwa v37, v2, v3 dst_sel:DWORD dst_unused:UNUSED_PAD src0_sel:WORD_0 src1_sel:DWORD
	v_lshlrev_b16_e32 v2, 8, v7
	v_lshlrev_b16_e32 v3, 8, v9
	v_cndmask_b32_e64 v13, 0, 1, vcc
	v_mul_lo_u32 v14, v14, s8
	v_mul_lo_u32 v15, v15, s10
	v_or_b32_e32 v2, v6, v2
	v_or_b32_sdwa v3, v8, v3 dst_sel:WORD_1 dst_unused:UNUSED_PAD src0_sel:DWORD src1_sel:DWORD
	v_sub_u32_e32 v14, v14, v15
	v_or_b32_sdwa v36, v2, v3 dst_sel:DWORD dst_unused:UNUSED_PAD src0_sel:WORD_0 src1_sel:DWORD
	v_lshlrev_b16_e32 v2, 8, v11
	v_lshlrev_b16_e32 v3, 8, v13
	v_cmp_lt_u32_e32 vcc, s7, v14
	v_or_b32_e32 v2, v10, v2
	v_or_b32_sdwa v3, v12, v3 dst_sel:WORD_1 dst_unused:UNUSED_PAD src0_sel:DWORD src1_sel:DWORD
	v_cndmask_b32_e64 v34, 0, 1, vcc
	v_or_b32_sdwa v35, v2, v3 dst_sel:DWORD dst_unused:UNUSED_PAD src0_sel:WORD_0 src1_sel:DWORD
	s_mov_b64 s[2:3], 0
	s_branch .LBB276_7
.LBB276_6:
	s_mov_b64 s[2:3], -1
                                        ; implicit-def: $vgpr34
                                        ; implicit-def: $vgpr35
                                        ; implicit-def: $vgpr36
                                        ; implicit-def: $vgpr37
.LBB276_7:
	s_load_dwordx2 s[24:25], s[4:5], 0x28
	s_load_dwordx2 s[34:35], s[4:5], 0x68
	s_andn2_b64 vcc, exec, s[2:3]
	s_addk_i32 s33, 0xd00
	s_cbranch_vccnz .LBB276_35
; %bb.8:
	v_cmp_gt_u32_e32 vcc, s33, v33
	v_mov_b32_e32 v3, 0
	v_mov_b32_e32 v2, 0
	s_and_saveexec_b64 s[2:3], vcc
; %bb.9:
	v_add_u32_e32 v2, s9, v30
	v_add_u32_e32 v4, s11, v30
	v_mul_lo_u32 v2, v2, s8
	v_mul_lo_u32 v4, v4, s10
	v_sub_u32_e32 v2, v2, v4
	v_cmp_lt_u32_e32 vcc, s7, v2
	v_cndmask_b32_e64 v2, 0, 1, vcc
; %bb.10:
	s_or_b64 exec, exec, s[2:3]
	v_add_u32_e32 v4, 1, v33
	v_cmp_gt_u32_e32 vcc, s33, v4
	s_and_saveexec_b64 s[2:3], vcc
; %bb.11:
	v_add_u32_e32 v3, s9, v31
	v_add_u32_e32 v4, s11, v31
	v_mul_lo_u32 v3, v3, s8
	v_mul_lo_u32 v4, v4, s10
	v_sub_u32_e32 v3, v3, v4
	v_cmp_lt_u32_e32 vcc, s7, v3
	v_cndmask_b32_e64 v3, 0, 1, vcc
; %bb.12:
	s_or_b64 exec, exec, s[2:3]
	v_add_u32_e32 v4, 2, v33
	v_cmp_gt_u32_e32 vcc, s33, v4
	v_mov_b32_e32 v5, 0
	v_mov_b32_e32 v4, 0
	s_and_saveexec_b64 s[2:3], vcc
; %bb.13:
	v_add_u32_e32 v4, s9, v28
	v_add_u32_e32 v6, s11, v28
	v_mul_lo_u32 v4, v4, s8
	v_mul_lo_u32 v6, v6, s10
	v_sub_u32_e32 v4, v4, v6
	v_cmp_lt_u32_e32 vcc, s7, v4
	v_cndmask_b32_e64 v4, 0, 1, vcc
; %bb.14:
	s_or_b64 exec, exec, s[2:3]
	v_add_u32_e32 v6, 3, v33
	v_cmp_gt_u32_e32 vcc, s33, v6
	s_and_saveexec_b64 s[2:3], vcc
; %bb.15:
	v_add_u32_e32 v5, s9, v29
	v_add_u32_e32 v6, s11, v29
	v_mul_lo_u32 v5, v5, s8
	v_mul_lo_u32 v6, v6, s10
	v_sub_u32_e32 v5, v5, v6
	v_cmp_lt_u32_e32 vcc, s7, v5
	v_cndmask_b32_e64 v5, 0, 1, vcc
; %bb.16:
	s_or_b64 exec, exec, s[2:3]
	v_add_u32_e32 v6, 4, v33
	;; [unrolled: 28-line block ×6, first 2 shown]
	v_cmp_gt_u32_e32 vcc, s33, v14
	v_mov_b32_e32 v34, 0
	s_and_saveexec_b64 s[2:3], vcc
; %bb.33:
	v_add_u32_e32 v14, s9, v32
	v_add_u32_e32 v15, s11, v32
	v_mul_lo_u32 v14, v14, s8
	v_mul_lo_u32 v15, v15, s10
	v_sub_u32_e32 v14, v14, v15
	v_cmp_lt_u32_e32 vcc, s7, v14
	v_cndmask_b32_e64 v34, 0, 1, vcc
; %bb.34:
	s_or_b64 exec, exec, s[2:3]
	v_lshlrev_b16_e32 v3, 8, v3
	v_or_b32_e32 v2, v2, v3
	v_lshlrev_b16_e32 v3, 8, v5
	v_or_b32_sdwa v3, v4, v3 dst_sel:WORD_1 dst_unused:UNUSED_PAD src0_sel:DWORD src1_sel:DWORD
	v_or_b32_sdwa v37, v2, v3 dst_sel:DWORD dst_unused:UNUSED_PAD src0_sel:WORD_0 src1_sel:DWORD
	v_lshlrev_b16_e32 v2, 8, v7
	v_lshlrev_b16_e32 v3, 8, v9
	v_or_b32_e32 v2, v6, v2
	v_or_b32_sdwa v3, v8, v3 dst_sel:WORD_1 dst_unused:UNUSED_PAD src0_sel:DWORD src1_sel:DWORD
	v_or_b32_sdwa v36, v2, v3 dst_sel:DWORD dst_unused:UNUSED_PAD src0_sel:WORD_0 src1_sel:DWORD
	v_lshlrev_b16_e32 v2, 8, v11
	v_lshlrev_b16_e32 v3, 8, v13
	v_or_b32_e32 v2, v10, v2
	v_or_b32_sdwa v3, v12, v3 dst_sel:WORD_1 dst_unused:UNUSED_PAD src0_sel:DWORD src1_sel:DWORD
	v_or_b32_sdwa v35, v2, v3 dst_sel:DWORD dst_unused:UNUSED_PAD src0_sel:WORD_0 src1_sel:DWORD
.LBB276_35:
	v_and_b32_e32 v41, 0xff, v37
	v_bfe_u32 v42, v37, 8, 8
	v_bfe_u32 v43, v37, 16, 8
	v_lshrrev_b32_e32 v40, 24, v37
	v_and_b32_e32 v44, 0xff, v36
	v_add3_u32 v3, v42, v41, v43
	v_bfe_u32 v45, v36, 8, 8
	v_bfe_u32 v46, v36, 16, 8
	v_add3_u32 v3, v3, v40, v44
	v_lshrrev_b32_e32 v39, 24, v36
	v_and_b32_e32 v47, 0xff, v35
	v_add3_u32 v3, v3, v45, v46
	v_bfe_u32 v48, v35, 8, 8
	v_bfe_u32 v49, v35, 16, 8
	v_add3_u32 v3, v3, v39, v47
	v_lshrrev_b32_e32 v38, 24, v35
	v_and_b32_e32 v2, 0xff, v34
	v_add3_u32 v3, v3, v48, v49
	v_add3_u32 v52, v3, v38, v2
	v_mbcnt_lo_u32_b32 v2, -1, 0
	v_mbcnt_hi_u32_b32 v50, -1, v2
	v_and_b32_e32 v2, 15, v50
	v_cmp_eq_u32_e64 s[14:15], 0, v2
	v_cmp_lt_u32_e64 s[12:13], 1, v2
	v_cmp_lt_u32_e64 s[10:11], 3, v2
	;; [unrolled: 1-line block ×3, first 2 shown]
	v_and_b32_e32 v2, 16, v50
	v_cmp_eq_u32_e64 s[18:19], 0, v2
	v_or_b32_e32 v2, 63, v0
	s_cmp_lg_u32 s6, 0
	v_cmp_lt_u32_e64 s[2:3], 31, v50
	v_lshrrev_b32_e32 v51, 6, v0
	v_cmp_eq_u32_e64 s[4:5], v2, v0
	s_cbranch_scc0 .LBB276_66
; %bb.36:
	v_mov_b32_dpp v2, v52 row_shr:1 row_mask:0xf bank_mask:0xf
	v_cndmask_b32_e64 v2, v2, 0, s[14:15]
	v_add_u32_e32 v2, v2, v52
	s_nop 1
	v_mov_b32_dpp v3, v2 row_shr:2 row_mask:0xf bank_mask:0xf
	v_cndmask_b32_e64 v3, 0, v3, s[12:13]
	v_add_u32_e32 v2, v2, v3
	s_nop 1
	;; [unrolled: 4-line block ×4, first 2 shown]
	v_mov_b32_dpp v3, v2 row_bcast:15 row_mask:0xf bank_mask:0xf
	v_cndmask_b32_e64 v3, v3, 0, s[18:19]
	v_add_u32_e32 v2, v2, v3
	s_nop 1
	v_mov_b32_dpp v3, v2 row_bcast:31 row_mask:0xf bank_mask:0xf
	v_cndmask_b32_e64 v3, 0, v3, s[2:3]
	v_add_u32_e32 v2, v2, v3
	s_and_saveexec_b64 s[16:17], s[4:5]
	s_cbranch_execz .LBB276_38
; %bb.37:
	v_lshlrev_b32_e32 v3, 2, v51
	ds_write_b32 v3, v2
.LBB276_38:
	s_or_b64 exec, exec, s[16:17]
	v_cmp_gt_u32_e32 vcc, 4, v0
	s_waitcnt lgkmcnt(0)
	s_barrier
	s_and_saveexec_b64 s[16:17], vcc
	s_cbranch_execz .LBB276_40
; %bb.39:
	ds_read_b32 v3, v1
	v_and_b32_e32 v4, 3, v50
	v_cmp_ne_u32_e32 vcc, 0, v4
	s_waitcnt lgkmcnt(0)
	v_mov_b32_dpp v5, v3 row_shr:1 row_mask:0xf bank_mask:0xf
	v_cndmask_b32_e32 v5, 0, v5, vcc
	v_add_u32_e32 v3, v5, v3
	v_cmp_lt_u32_e32 vcc, 1, v4
	s_nop 0
	v_mov_b32_dpp v5, v3 row_shr:2 row_mask:0xf bank_mask:0xf
	v_cndmask_b32_e32 v4, 0, v5, vcc
	v_add_u32_e32 v3, v3, v4
	ds_write_b32 v1, v3
.LBB276_40:
	s_or_b64 exec, exec, s[16:17]
	v_cmp_gt_u32_e32 vcc, 64, v0
	v_cmp_lt_u32_e64 s[16:17], 63, v0
	s_waitcnt lgkmcnt(0)
	s_barrier
	s_waitcnt lgkmcnt(0)
                                        ; implicit-def: $vgpr12
	s_and_saveexec_b64 s[36:37], s[16:17]
	s_cbranch_execz .LBB276_42
; %bb.41:
	v_lshl_add_u32 v3, v51, 2, -4
	ds_read_b32 v12, v3
	s_waitcnt lgkmcnt(0)
	v_add_u32_e32 v2, v12, v2
.LBB276_42:
	s_or_b64 exec, exec, s[36:37]
	v_add_u32_e32 v3, -1, v50
	v_and_b32_e32 v4, 64, v50
	v_cmp_lt_i32_e64 s[16:17], v3, v4
	v_cndmask_b32_e64 v3, v3, v50, s[16:17]
	v_lshlrev_b32_e32 v3, 2, v3
	ds_bpermute_b32 v13, v3, v2
	v_cmp_eq_u32_e64 s[16:17], 0, v50
	s_and_saveexec_b64 s[36:37], vcc
	s_cbranch_execz .LBB276_65
; %bb.43:
	v_mov_b32_e32 v11, 0
	ds_read_b32 v2, v11 offset:12
	s_and_saveexec_b64 s[38:39], s[16:17]
	s_cbranch_execz .LBB276_45
; %bb.44:
	s_add_i32 s40, s6, 64
	s_mov_b32 s41, 0
	s_lshl_b64 s[40:41], s[40:41], 3
	s_add_u32 s40, s34, s40
	v_mov_b32_e32 v3, 1
	s_addc_u32 s41, s35, s41
	s_waitcnt lgkmcnt(0)
	global_store_dwordx2 v11, v[2:3], s[40:41]
.LBB276_45:
	s_or_b64 exec, exec, s[38:39]
	v_xad_u32 v4, v50, -1, s6
	v_add_u32_e32 v10, 64, v4
	v_lshlrev_b64 v[6:7], 3, v[10:11]
	v_mov_b32_e32 v3, s35
	v_add_co_u32_e32 v6, vcc, s34, v6
	v_addc_co_u32_e32 v7, vcc, v3, v7, vcc
	global_load_dwordx2 v[8:9], v[6:7], off glc
	s_waitcnt vmcnt(0)
	v_cmp_eq_u16_sdwa s[40:41], v9, v11 src0_sel:BYTE_0 src1_sel:DWORD
	s_and_saveexec_b64 s[38:39], s[40:41]
	s_cbranch_execz .LBB276_51
; %bb.46:
	s_mov_b32 s7, 1
	s_mov_b64 s[40:41], 0
	v_mov_b32_e32 v3, 0
.LBB276_47:                             ; =>This Loop Header: Depth=1
                                        ;     Child Loop BB276_48 Depth 2
	s_max_u32 s43, s7, 1
.LBB276_48:                             ;   Parent Loop BB276_47 Depth=1
                                        ; =>  This Inner Loop Header: Depth=2
	s_add_i32 s43, s43, -1
	s_cmp_eq_u32 s43, 0
	s_sleep 1
	s_cbranch_scc0 .LBB276_48
; %bb.49:                               ;   in Loop: Header=BB276_47 Depth=1
	global_load_dwordx2 v[8:9], v[6:7], off glc
	s_cmp_lt_u32 s7, 32
	s_cselect_b64 s[44:45], -1, 0
	s_cmp_lg_u64 s[44:45], 0
	s_addc_u32 s7, s7, 0
	s_waitcnt vmcnt(0)
	v_cmp_ne_u16_sdwa s[44:45], v9, v3 src0_sel:BYTE_0 src1_sel:DWORD
	s_or_b64 s[40:41], s[44:45], s[40:41]
	s_andn2_b64 exec, exec, s[40:41]
	s_cbranch_execnz .LBB276_47
; %bb.50:
	s_or_b64 exec, exec, s[40:41]
.LBB276_51:
	s_or_b64 exec, exec, s[38:39]
	v_and_b32_e32 v14, 63, v50
	v_mov_b32_e32 v3, 2
	v_cmp_ne_u32_e32 vcc, 63, v14
	v_cmp_eq_u16_sdwa s[38:39], v9, v3 src0_sel:BYTE_0 src1_sel:DWORD
	v_lshlrev_b64 v[6:7], v50, -1
	v_addc_co_u32_e32 v11, vcc, 0, v50, vcc
	v_and_b32_e32 v5, s39, v7
	v_lshlrev_b32_e32 v15, 2, v11
	v_or_b32_e32 v5, 0x80000000, v5
	ds_bpermute_b32 v11, v15, v8
	v_and_b32_e32 v10, s38, v6
	v_ffbl_b32_e32 v5, v5
	v_add_u32_e32 v5, 32, v5
	v_ffbl_b32_e32 v10, v10
	v_min_u32_e32 v5, v10, v5
	v_cmp_lt_u32_e32 vcc, v14, v5
	s_waitcnt lgkmcnt(0)
	v_cndmask_b32_e32 v10, 0, v11, vcc
	v_cmp_gt_u32_e32 vcc, 62, v14
	v_add_u32_e32 v8, v10, v8
	v_cndmask_b32_e64 v10, 0, 1, vcc
	v_lshlrev_b32_e32 v10, 1, v10
	v_add_lshl_u32 v16, v10, v50, 2
	ds_bpermute_b32 v10, v16, v8
	v_add_u32_e32 v17, 2, v14
	v_cmp_le_u32_e32 vcc, v17, v5
	v_add_u32_e32 v19, 4, v14
	v_add_u32_e32 v54, 8, v14
	s_waitcnt lgkmcnt(0)
	v_cndmask_b32_e32 v10, 0, v10, vcc
	v_cmp_gt_u32_e32 vcc, 60, v14
	v_add_u32_e32 v8, v8, v10
	v_cndmask_b32_e64 v10, 0, 1, vcc
	v_lshlrev_b32_e32 v10, 2, v10
	v_add_lshl_u32 v18, v10, v50, 2
	ds_bpermute_b32 v10, v18, v8
	v_cmp_le_u32_e32 vcc, v19, v5
	v_add_u32_e32 v57, 16, v14
	v_add_u32_e32 v59, 32, v14
	s_waitcnt lgkmcnt(0)
	v_cndmask_b32_e32 v10, 0, v10, vcc
	v_cmp_gt_u32_e32 vcc, 56, v14
	v_add_u32_e32 v8, v8, v10
	v_cndmask_b32_e64 v10, 0, 1, vcc
	v_lshlrev_b32_e32 v10, 3, v10
	v_add_lshl_u32 v53, v10, v50, 2
	ds_bpermute_b32 v10, v53, v8
	v_cmp_le_u32_e32 vcc, v54, v5
	s_waitcnt lgkmcnt(0)
	v_cndmask_b32_e32 v10, 0, v10, vcc
	v_cmp_gt_u32_e32 vcc, 48, v14
	v_add_u32_e32 v8, v8, v10
	v_cndmask_b32_e64 v10, 0, 1, vcc
	v_lshlrev_b32_e32 v10, 4, v10
	v_add_lshl_u32 v56, v10, v50, 2
	ds_bpermute_b32 v10, v56, v8
	v_cmp_le_u32_e32 vcc, v57, v5
	;; [unrolled: 9-line block ×3, first 2 shown]
	s_waitcnt lgkmcnt(0)
	v_cndmask_b32_e32 v5, 0, v10, vcc
	v_add_u32_e32 v8, v8, v5
	v_mov_b32_e32 v5, 0
	s_branch .LBB276_53
.LBB276_52:                             ;   in Loop: Header=BB276_53 Depth=1
	s_or_b64 exec, exec, s[38:39]
	v_cmp_eq_u16_sdwa s[38:39], v9, v3 src0_sel:BYTE_0 src1_sel:DWORD
	v_and_b32_e32 v10, s39, v7
	v_or_b32_e32 v10, 0x80000000, v10
	ds_bpermute_b32 v60, v15, v8
	v_and_b32_e32 v11, s38, v6
	v_ffbl_b32_e32 v10, v10
	v_add_u32_e32 v10, 32, v10
	v_ffbl_b32_e32 v11, v11
	v_min_u32_e32 v10, v11, v10
	v_cmp_lt_u32_e32 vcc, v14, v10
	s_waitcnt lgkmcnt(0)
	v_cndmask_b32_e32 v11, 0, v60, vcc
	v_add_u32_e32 v8, v11, v8
	ds_bpermute_b32 v11, v16, v8
	v_cmp_le_u32_e32 vcc, v17, v10
	v_subrev_u32_e32 v4, 64, v4
	s_waitcnt lgkmcnt(0)
	v_cndmask_b32_e32 v11, 0, v11, vcc
	v_add_u32_e32 v8, v8, v11
	ds_bpermute_b32 v11, v18, v8
	v_cmp_le_u32_e32 vcc, v19, v10
	s_waitcnt lgkmcnt(0)
	v_cndmask_b32_e32 v11, 0, v11, vcc
	v_add_u32_e32 v8, v8, v11
	ds_bpermute_b32 v11, v53, v8
	v_cmp_le_u32_e32 vcc, v54, v10
	;; [unrolled: 5-line block ×4, first 2 shown]
	s_waitcnt lgkmcnt(0)
	v_cndmask_b32_e32 v10, 0, v11, vcc
	v_add3_u32 v8, v10, v55, v8
.LBB276_53:                             ; =>This Loop Header: Depth=1
                                        ;     Child Loop BB276_56 Depth 2
                                        ;       Child Loop BB276_57 Depth 3
	v_cmp_ne_u16_sdwa s[38:39], v9, v3 src0_sel:BYTE_0 src1_sel:DWORD
	v_cndmask_b32_e64 v9, 0, 1, s[38:39]
	;;#ASMSTART
	;;#ASMEND
	v_cmp_ne_u32_e32 vcc, 0, v9
	s_cmp_lg_u64 vcc, exec
	v_mov_b32_e32 v55, v8
	s_cbranch_scc1 .LBB276_60
; %bb.54:                               ;   in Loop: Header=BB276_53 Depth=1
	v_lshlrev_b64 v[8:9], 3, v[4:5]
	v_mov_b32_e32 v11, s35
	v_add_co_u32_e32 v10, vcc, s34, v8
	v_addc_co_u32_e32 v11, vcc, v11, v9, vcc
	global_load_dwordx2 v[8:9], v[10:11], off glc
	s_waitcnt vmcnt(0)
	v_cmp_eq_u16_sdwa s[40:41], v9, v5 src0_sel:BYTE_0 src1_sel:DWORD
	s_and_saveexec_b64 s[38:39], s[40:41]
	s_cbranch_execz .LBB276_52
; %bb.55:                               ;   in Loop: Header=BB276_53 Depth=1
	s_mov_b32 s7, 1
	s_mov_b64 s[40:41], 0
.LBB276_56:                             ;   Parent Loop BB276_53 Depth=1
                                        ; =>  This Loop Header: Depth=2
                                        ;       Child Loop BB276_57 Depth 3
	s_max_u32 s43, s7, 1
.LBB276_57:                             ;   Parent Loop BB276_53 Depth=1
                                        ;     Parent Loop BB276_56 Depth=2
                                        ; =>    This Inner Loop Header: Depth=3
	s_add_i32 s43, s43, -1
	s_cmp_eq_u32 s43, 0
	s_sleep 1
	s_cbranch_scc0 .LBB276_57
; %bb.58:                               ;   in Loop: Header=BB276_56 Depth=2
	global_load_dwordx2 v[8:9], v[10:11], off glc
	s_cmp_lt_u32 s7, 32
	s_cselect_b64 s[44:45], -1, 0
	s_cmp_lg_u64 s[44:45], 0
	s_addc_u32 s7, s7, 0
	s_waitcnt vmcnt(0)
	v_cmp_ne_u16_sdwa s[44:45], v9, v5 src0_sel:BYTE_0 src1_sel:DWORD
	s_or_b64 s[40:41], s[44:45], s[40:41]
	s_andn2_b64 exec, exec, s[40:41]
	s_cbranch_execnz .LBB276_56
; %bb.59:                               ;   in Loop: Header=BB276_53 Depth=1
	s_or_b64 exec, exec, s[40:41]
	s_branch .LBB276_52
.LBB276_60:                             ;   in Loop: Header=BB276_53 Depth=1
                                        ; implicit-def: $vgpr8
                                        ; implicit-def: $vgpr9
	s_cbranch_execz .LBB276_53
; %bb.61:
	s_and_saveexec_b64 s[38:39], s[16:17]
	s_cbranch_execz .LBB276_63
; %bb.62:
	s_add_i32 s6, s6, 64
	s_mov_b32 s7, 0
	s_lshl_b64 s[6:7], s[6:7], 3
	s_add_u32 s6, s34, s6
	v_add_u32_e32 v4, v55, v2
	v_mov_b32_e32 v5, 2
	s_addc_u32 s7, s35, s7
	v_mov_b32_e32 v3, 0
	global_store_dwordx2 v3, v[4:5], s[6:7]
	s_movk_i32 s6, 0x3400
	v_add_u32_e64 v3, s6, 0
	ds_write2_b32 v3, v2, v55 offset1:2
.LBB276_63:
	s_or_b64 exec, exec, s[38:39]
	v_cmp_eq_u32_e32 vcc, 0, v0
	s_and_b64 exec, exec, vcc
	s_cbranch_execz .LBB276_65
; %bb.64:
	v_mov_b32_e32 v2, 0
	ds_write_b32 v2, v55 offset:12
.LBB276_65:
	s_or_b64 exec, exec, s[36:37]
	v_mov_b32_e32 v2, 0
	s_waitcnt lgkmcnt(0)
	s_barrier
	ds_read_b32 v2, v2 offset:12
	v_cndmask_b32_e64 v3, v13, v12, s[16:17]
	v_cmp_ne_u32_e32 vcc, 0, v0
	v_cndmask_b32_e32 v3, 0, v3, vcc
	s_movk_i32 s6, 0x3400
	s_waitcnt lgkmcnt(0)
	v_add_u32_e32 v2, v2, v3
	v_add_u32_e32 v3, v2, v41
	;; [unrolled: 1-line block ×8, first 2 shown]
	v_add_u32_e64 v12, s6, 0
	v_add_u32_e32 v10, v9, v39
	s_barrier
	ds_read2_b32 v[18:19], v12 offset1:2
	v_add_u32_e32 v11, v10, v47
	v_add_u32_e32 v12, v11, v48
	;; [unrolled: 1-line block ×4, first 2 shown]
	s_branch .LBB276_76
.LBB276_66:
                                        ; implicit-def: $vgpr19
                                        ; implicit-def: $vgpr2_vgpr3_vgpr4_vgpr5_vgpr6_vgpr7_vgpr8_vgpr9_vgpr10_vgpr11_vgpr12_vgpr13_vgpr14_vgpr15_vgpr16_vgpr17
	s_cbranch_execz .LBB276_76
; %bb.67:
	s_nop 0
	v_mov_b32_dpp v2, v52 row_shr:1 row_mask:0xf bank_mask:0xf
	v_cndmask_b32_e64 v2, v2, 0, s[14:15]
	v_add_u32_e32 v2, v2, v52
	s_nop 1
	v_mov_b32_dpp v3, v2 row_shr:2 row_mask:0xf bank_mask:0xf
	v_cndmask_b32_e64 v3, 0, v3, s[12:13]
	v_add_u32_e32 v2, v2, v3
	;; [unrolled: 4-line block ×4, first 2 shown]
	s_nop 1
	v_mov_b32_dpp v3, v2 row_bcast:15 row_mask:0xf bank_mask:0xf
	v_cndmask_b32_e64 v3, v3, 0, s[18:19]
	v_add_u32_e32 v2, v2, v3
	s_nop 1
	v_mov_b32_dpp v3, v2 row_bcast:31 row_mask:0xf bank_mask:0xf
	v_cndmask_b32_e64 v3, 0, v3, s[2:3]
	v_add_u32_e32 v2, v2, v3
	s_and_saveexec_b64 s[2:3], s[4:5]
	s_cbranch_execz .LBB276_69
; %bb.68:
	v_lshlrev_b32_e32 v3, 2, v51
	ds_write_b32 v3, v2
.LBB276_69:
	s_or_b64 exec, exec, s[2:3]
	v_cmp_gt_u32_e32 vcc, 4, v0
	s_waitcnt lgkmcnt(0)
	s_barrier
	s_and_saveexec_b64 s[2:3], vcc
	s_cbranch_execz .LBB276_71
; %bb.70:
	ds_read_b32 v3, v1
	v_and_b32_e32 v4, 3, v50
	v_cmp_ne_u32_e32 vcc, 0, v4
	s_waitcnt lgkmcnt(0)
	v_mov_b32_dpp v5, v3 row_shr:1 row_mask:0xf bank_mask:0xf
	v_cndmask_b32_e32 v5, 0, v5, vcc
	v_add_u32_e32 v3, v5, v3
	v_cmp_lt_u32_e32 vcc, 1, v4
	s_nop 0
	v_mov_b32_dpp v5, v3 row_shr:2 row_mask:0xf bank_mask:0xf
	v_cndmask_b32_e32 v4, 0, v5, vcc
	v_add_u32_e32 v3, v3, v4
	ds_write_b32 v1, v3
.LBB276_71:
	s_or_b64 exec, exec, s[2:3]
	v_cmp_lt_u32_e32 vcc, 63, v0
	v_mov_b32_e32 v4, 0
	v_mov_b32_e32 v3, 0
	s_waitcnt lgkmcnt(0)
	s_barrier
	s_and_saveexec_b64 s[2:3], vcc
	s_cbranch_execz .LBB276_73
; %bb.72:
	v_lshl_add_u32 v3, v51, 2, -4
	ds_read_b32 v3, v3
.LBB276_73:
	s_or_b64 exec, exec, s[2:3]
	v_add_u32_e32 v5, -1, v50
	v_and_b32_e32 v6, 64, v50
	v_cmp_lt_i32_e32 vcc, v5, v6
	v_cndmask_b32_e32 v5, v5, v50, vcc
	s_waitcnt lgkmcnt(0)
	v_add_u32_e32 v2, v3, v2
	v_lshlrev_b32_e32 v5, 2, v5
	ds_bpermute_b32 v2, v5, v2
	ds_read_b32 v18, v4 offset:12
	v_cmp_eq_u32_e32 vcc, 0, v0
	s_and_saveexec_b64 s[2:3], vcc
	s_cbranch_execz .LBB276_75
; %bb.74:
	v_mov_b32_e32 v4, 0
	v_mov_b32_e32 v19, 2
	s_waitcnt lgkmcnt(0)
	global_store_dwordx2 v4, v[18:19], s[34:35] offset:512
.LBB276_75:
	s_or_b64 exec, exec, s[2:3]
	v_cmp_eq_u32_e64 s[2:3], 0, v50
	s_waitcnt lgkmcnt(1)
	v_cndmask_b32_e64 v2, v2, v3, s[2:3]
	v_cndmask_b32_e64 v2, v2, 0, vcc
	v_add_u32_e32 v3, v2, v41
	v_add_u32_e32 v4, v3, v42
	;; [unrolled: 1-line block ×11, first 2 shown]
	v_mov_b32_e32 v19, 0
	v_add_u32_e32 v14, v13, v38
	s_waitcnt lgkmcnt(0)
	s_barrier
.LBB276_76:
	s_waitcnt lgkmcnt(0)
	v_add_u32_e32 v33, v18, v33
	v_sub_u32_e32 v2, v2, v19
	v_and_b32_e32 v42, 1, v37
	v_sub_u32_e32 v41, v33, v2
	v_cmp_eq_u32_e32 vcc, 1, v42
	v_cndmask_b32_e32 v2, v41, v2, vcc
	v_lshlrev_b32_e32 v2, 2, v2
	v_lshrrev_b32_e32 v17, 8, v37
	ds_write_b32 v2, v30
	v_sub_u32_e32 v2, v3, v19
	v_sub_u32_e32 v3, v33, v2
	v_and_b32_e32 v17, 1, v17
	v_add_u32_e32 v3, 1, v3
	v_cmp_eq_u32_e32 vcc, 1, v17
	v_cndmask_b32_e32 v2, v3, v2, vcc
	v_lshlrev_b32_e32 v2, 2, v2
	ds_write_b32 v2, v31
	v_sub_u32_e32 v2, v4, v19
	v_mov_b32_e32 v4, 1
	v_sub_u32_e32 v3, v33, v2
	v_and_b32_sdwa v17, v4, v37 dst_sel:DWORD dst_unused:UNUSED_PAD src0_sel:DWORD src1_sel:WORD_1
	v_add_u32_e32 v3, 2, v3
	v_cmp_eq_u32_e32 vcc, 1, v17
	v_cndmask_b32_e32 v2, v3, v2, vcc
	v_lshlrev_b32_e32 v2, 2, v2
	ds_write_b32 v2, v28
	v_sub_u32_e32 v2, v5, v19
	v_sub_u32_e32 v3, v33, v2
	v_and_b32_e32 v5, 1, v40
	v_add_u32_e32 v3, 3, v3
	v_cmp_eq_u32_e32 vcc, 1, v5
	v_cndmask_b32_e32 v2, v3, v2, vcc
	v_lshlrev_b32_e32 v2, 2, v2
	ds_write_b32 v2, v29
	v_sub_u32_e32 v2, v6, v19
	v_sub_u32_e32 v3, v33, v2
	v_and_b32_e32 v5, 1, v36
	v_add_u32_e32 v3, 4, v3
	v_cmp_eq_u32_e32 vcc, 1, v5
	v_cndmask_b32_e32 v2, v3, v2, vcc
	v_lshlrev_b32_e32 v2, 2, v2
	v_lshrrev_b32_e32 v16, 8, v36
	ds_write_b32 v2, v26
	v_sub_u32_e32 v2, v7, v19
	v_sub_u32_e32 v3, v33, v2
	v_and_b32_e32 v5, 1, v16
	v_add_u32_e32 v3, 5, v3
	v_cmp_eq_u32_e32 vcc, 1, v5
	v_cndmask_b32_e32 v2, v3, v2, vcc
	v_lshlrev_b32_e32 v2, 2, v2
	ds_write_b32 v2, v27
	v_sub_u32_e32 v2, v8, v19
	v_sub_u32_e32 v3, v33, v2
	v_and_b32_sdwa v5, v4, v36 dst_sel:DWORD dst_unused:UNUSED_PAD src0_sel:DWORD src1_sel:WORD_1
	v_add_u32_e32 v3, 6, v3
	v_cmp_eq_u32_e32 vcc, 1, v5
	v_cndmask_b32_e32 v2, v3, v2, vcc
	v_lshlrev_b32_e32 v2, 2, v2
	ds_write_b32 v2, v24
	v_sub_u32_e32 v2, v9, v19
	v_sub_u32_e32 v3, v33, v2
	v_and_b32_e32 v5, 1, v39
	v_add_u32_e32 v3, 7, v3
	v_cmp_eq_u32_e32 vcc, 1, v5
	v_cndmask_b32_e32 v2, v3, v2, vcc
	v_lshlrev_b32_e32 v2, 2, v2
	ds_write_b32 v2, v25
	v_sub_u32_e32 v2, v10, v19
	v_sub_u32_e32 v3, v33, v2
	v_and_b32_e32 v5, 1, v35
	v_add_u32_e32 v3, 8, v3
	v_cmp_eq_u32_e32 vcc, 1, v5
	v_cndmask_b32_e32 v2, v3, v2, vcc
	v_lshlrev_b32_e32 v2, 2, v2
	v_lshrrev_b32_e32 v15, 8, v35
	ds_write_b32 v2, v22
	v_sub_u32_e32 v2, v11, v19
	v_sub_u32_e32 v3, v33, v2
	v_and_b32_e32 v5, 1, v15
	v_add_u32_e32 v3, 9, v3
	v_cmp_eq_u32_e32 vcc, 1, v5
	v_cndmask_b32_e32 v2, v3, v2, vcc
	v_lshlrev_b32_e32 v2, 2, v2
	ds_write_b32 v2, v23
	v_sub_u32_e32 v2, v12, v19
	v_sub_u32_e32 v3, v33, v2
	v_and_b32_sdwa v4, v4, v35 dst_sel:DWORD dst_unused:UNUSED_PAD src0_sel:DWORD src1_sel:WORD_1
	v_add_u32_e32 v3, 10, v3
	v_cmp_eq_u32_e32 vcc, 1, v4
	v_cndmask_b32_e32 v2, v3, v2, vcc
	v_lshlrev_b32_e32 v2, 2, v2
	ds_write_b32 v2, v20
	v_sub_u32_e32 v2, v13, v19
	v_sub_u32_e32 v3, v33, v2
	v_and_b32_e32 v4, 1, v38
	v_add_u32_e32 v3, 11, v3
	v_cmp_eq_u32_e32 vcc, 1, v4
	v_cndmask_b32_e32 v2, v3, v2, vcc
	v_lshlrev_b32_e32 v2, 2, v2
	ds_write_b32 v2, v21
	v_sub_u32_e32 v2, v14, v19
	v_sub_u32_e32 v3, v33, v2
	v_and_b32_e32 v4, 1, v34
	v_add_u32_e32 v3, 12, v3
	v_cmp_eq_u32_e32 vcc, 1, v4
	v_cndmask_b32_e32 v2, v3, v2, vcc
	s_add_u32 s2, s28, s42
	v_lshlrev_b32_e32 v2, 2, v2
	s_addc_u32 s3, s29, 0
	ds_write_b32 v2, v32
	s_waitcnt lgkmcnt(0)
	s_barrier
	ds_read2st64_b32 v[12:13], v1 offset1:4
	ds_read2st64_b32 v[10:11], v1 offset0:8 offset1:12
	ds_read2st64_b32 v[8:9], v1 offset0:16 offset1:20
	;; [unrolled: 1-line block ×5, first 2 shown]
	ds_read_b32 v17, v1 offset:12288
	v_mov_b32_e32 v14, s31
	v_add_co_u32_e32 v1, vcc, s30, v19
	s_sub_u32 s2, s26, s2
	v_addc_co_u32_e32 v16, vcc, 0, v14, vcc
	s_subb_u32 s3, s27, s3
	v_mov_b32_e32 v14, s3
	v_add_co_u32_e32 v15, vcc, s2, v18
	v_addc_co_u32_e32 v14, vcc, 0, v14, vcc
	s_and_b64 vcc, exec, s[0:1]
	v_add_co_u32_e64 v19, s[0:1], v15, v1
	v_or_b32_e32 v32, 0x100, v0
	v_or_b32_e32 v31, 0x200, v0
	;; [unrolled: 1-line block ×12, first 2 shown]
	v_addc_co_u32_e64 v21, s[0:1], v14, v16, s[0:1]
	s_cbranch_vccnz .LBB276_130
; %bb.77:
	v_cmp_ge_u32_e32 vcc, v0, v18
                                        ; implicit-def: $vgpr14_vgpr15
	s_and_saveexec_b64 s[0:1], vcc
	s_xor_b64 s[0:1], exec, s[0:1]
; %bb.78:
	v_not_b32_e32 v14, v0
	v_ashrrev_i32_e32 v15, 31, v14
	v_add_co_u32_e32 v14, vcc, v19, v14
	v_addc_co_u32_e32 v15, vcc, v21, v15, vcc
; %bb.79:
	s_andn2_saveexec_b64 s[0:1], s[0:1]
; %bb.80:
	v_add_co_u32_e32 v14, vcc, v1, v0
	v_addc_co_u32_e32 v15, vcc, 0, v16, vcc
; %bb.81:
	s_or_b64 exec, exec, s[0:1]
	v_lshlrev_b64 v[14:15], 2, v[14:15]
	v_mov_b32_e32 v33, s25
	v_add_co_u32_e32 v14, vcc, s24, v14
	v_addc_co_u32_e32 v15, vcc, v33, v15, vcc
	v_cmp_ge_u32_e32 vcc, v32, v18
	s_waitcnt lgkmcnt(6)
	global_store_dword v[14:15], v12, off
                                        ; implicit-def: $vgpr14_vgpr15
	s_and_saveexec_b64 s[0:1], vcc
	s_xor_b64 s[0:1], exec, s[0:1]
; %bb.82:
	v_xor_b32_e32 v14, 0xfffffeff, v0
	v_ashrrev_i32_e32 v15, 31, v14
	v_add_co_u32_e32 v14, vcc, v19, v14
	v_addc_co_u32_e32 v15, vcc, v21, v15, vcc
; %bb.83:
	s_andn2_saveexec_b64 s[0:1], s[0:1]
; %bb.84:
	v_add_co_u32_e32 v14, vcc, v1, v32
	v_addc_co_u32_e32 v15, vcc, 0, v16, vcc
; %bb.85:
	s_or_b64 exec, exec, s[0:1]
	v_lshlrev_b64 v[14:15], 2, v[14:15]
	v_mov_b32_e32 v33, s25
	v_add_co_u32_e32 v14, vcc, s24, v14
	v_addc_co_u32_e32 v15, vcc, v33, v15, vcc
	v_cmp_ge_u32_e32 vcc, v31, v18
	global_store_dword v[14:15], v13, off
                                        ; implicit-def: $vgpr14_vgpr15
	s_and_saveexec_b64 s[0:1], vcc
	s_xor_b64 s[0:1], exec, s[0:1]
; %bb.86:
	v_xor_b32_e32 v14, 0xfffffdff, v0
	v_ashrrev_i32_e32 v15, 31, v14
	v_add_co_u32_e32 v14, vcc, v19, v14
	v_addc_co_u32_e32 v15, vcc, v21, v15, vcc
; %bb.87:
	s_andn2_saveexec_b64 s[0:1], s[0:1]
; %bb.88:
	v_add_co_u32_e32 v14, vcc, v1, v31
	v_addc_co_u32_e32 v15, vcc, 0, v16, vcc
; %bb.89:
	s_or_b64 exec, exec, s[0:1]
	v_lshlrev_b64 v[14:15], 2, v[14:15]
	v_mov_b32_e32 v33, s25
	v_add_co_u32_e32 v14, vcc, s24, v14
	v_addc_co_u32_e32 v15, vcc, v33, v15, vcc
	v_cmp_ge_u32_e32 vcc, v30, v18
	s_waitcnt lgkmcnt(5)
	global_store_dword v[14:15], v10, off
                                        ; implicit-def: $vgpr14_vgpr15
	s_and_saveexec_b64 s[0:1], vcc
	s_xor_b64 s[0:1], exec, s[0:1]
; %bb.90:
	v_xor_b32_e32 v14, 0xfffffcff, v0
	v_ashrrev_i32_e32 v15, 31, v14
	v_add_co_u32_e32 v14, vcc, v19, v14
	v_addc_co_u32_e32 v15, vcc, v21, v15, vcc
; %bb.91:
	s_andn2_saveexec_b64 s[0:1], s[0:1]
; %bb.92:
	v_add_co_u32_e32 v14, vcc, v1, v30
	v_addc_co_u32_e32 v15, vcc, 0, v16, vcc
; %bb.93:
	s_or_b64 exec, exec, s[0:1]
	v_lshlrev_b64 v[14:15], 2, v[14:15]
	v_mov_b32_e32 v33, s25
	v_add_co_u32_e32 v14, vcc, s24, v14
	v_addc_co_u32_e32 v15, vcc, v33, v15, vcc
	v_cmp_ge_u32_e32 vcc, v29, v18
	global_store_dword v[14:15], v11, off
                                        ; implicit-def: $vgpr14_vgpr15
	s_and_saveexec_b64 s[0:1], vcc
	s_xor_b64 s[0:1], exec, s[0:1]
; %bb.94:
	v_xor_b32_e32 v14, 0xfffffbff, v0
	;; [unrolled: 43-line block ×6, first 2 shown]
	v_ashrrev_i32_e32 v15, 31, v14
	v_add_co_u32_e32 v14, vcc, v19, v14
	v_addc_co_u32_e32 v15, vcc, v21, v15, vcc
; %bb.127:
	s_andn2_saveexec_b64 s[0:1], s[0:1]
; %bb.128:
	v_add_co_u32_e32 v14, vcc, v1, v20
	v_addc_co_u32_e32 v15, vcc, 0, v16, vcc
; %bb.129:
	s_or_b64 exec, exec, s[0:1]
	s_mov_b64 s[0:1], -1
	s_branch .LBB276_210
.LBB276_130:
	s_mov_b64 s[0:1], 0
                                        ; implicit-def: $vgpr14_vgpr15
	s_cbranch_execz .LBB276_210
; %bb.131:
	v_cmp_gt_u32_e32 vcc, s33, v0
	s_and_saveexec_b64 s[2:3], vcc
	s_cbranch_execz .LBB276_167
; %bb.132:
	v_cmp_ge_u32_e32 vcc, v0, v18
                                        ; implicit-def: $vgpr14_vgpr15
	s_and_saveexec_b64 s[4:5], vcc
	s_xor_b64 s[4:5], exec, s[4:5]
; %bb.133:
	v_not_b32_e32 v14, v0
	v_ashrrev_i32_e32 v15, 31, v14
	v_add_co_u32_e32 v14, vcc, v19, v14
	v_addc_co_u32_e32 v15, vcc, v21, v15, vcc
; %bb.134:
	s_andn2_saveexec_b64 s[4:5], s[4:5]
; %bb.135:
	v_add_co_u32_e32 v14, vcc, v1, v0
	v_addc_co_u32_e32 v15, vcc, 0, v16, vcc
; %bb.136:
	s_or_b64 exec, exec, s[4:5]
	v_lshlrev_b64 v[14:15], 2, v[14:15]
	v_mov_b32_e32 v33, s25
	v_add_co_u32_e32 v14, vcc, s24, v14
	v_addc_co_u32_e32 v15, vcc, v33, v15, vcc
	s_waitcnt lgkmcnt(6)
	global_store_dword v[14:15], v12, off
	s_or_b64 exec, exec, s[2:3]
	v_cmp_gt_u32_e32 vcc, s33, v32
	s_and_saveexec_b64 s[2:3], vcc
	s_cbranch_execnz .LBB276_168
.LBB276_137:
	s_or_b64 exec, exec, s[2:3]
	v_cmp_gt_u32_e32 vcc, s33, v31
	s_and_saveexec_b64 s[2:3], vcc
	s_cbranch_execz .LBB276_173
.LBB276_138:
	v_cmp_ge_u32_e32 vcc, v31, v18
                                        ; implicit-def: $vgpr12_vgpr13
	s_and_saveexec_b64 s[4:5], vcc
	s_xor_b64 s[4:5], exec, s[4:5]
	s_cbranch_execz .LBB276_140
; %bb.139:
	s_waitcnt lgkmcnt(6)
	v_xor_b32_e32 v12, 0xfffffdff, v0
	v_ashrrev_i32_e32 v13, 31, v12
	v_add_co_u32_e32 v12, vcc, v19, v12
	v_addc_co_u32_e32 v13, vcc, v21, v13, vcc
                                        ; implicit-def: $vgpr31
.LBB276_140:
	s_andn2_saveexec_b64 s[4:5], s[4:5]
	s_cbranch_execz .LBB276_142
; %bb.141:
	s_waitcnt lgkmcnt(6)
	v_add_co_u32_e32 v12, vcc, v1, v31
	v_addc_co_u32_e32 v13, vcc, 0, v16, vcc
.LBB276_142:
	s_or_b64 exec, exec, s[4:5]
	s_waitcnt lgkmcnt(6)
	v_lshlrev_b64 v[12:13], 2, v[12:13]
	v_mov_b32_e32 v14, s25
	v_add_co_u32_e32 v12, vcc, s24, v12
	v_addc_co_u32_e32 v13, vcc, v14, v13, vcc
	s_waitcnt lgkmcnt(5)
	global_store_dword v[12:13], v10, off
	s_or_b64 exec, exec, s[2:3]
	v_cmp_gt_u32_e32 vcc, s33, v30
	s_and_saveexec_b64 s[2:3], vcc
	s_cbranch_execnz .LBB276_174
.LBB276_143:
	s_or_b64 exec, exec, s[2:3]
	v_cmp_gt_u32_e32 vcc, s33, v29
	s_and_saveexec_b64 s[2:3], vcc
	s_cbranch_execz .LBB276_179
.LBB276_144:
	v_cmp_ge_u32_e32 vcc, v29, v18
                                        ; implicit-def: $vgpr10_vgpr11
	s_and_saveexec_b64 s[4:5], vcc
	s_xor_b64 s[4:5], exec, s[4:5]
	s_cbranch_execz .LBB276_146
; %bb.145:
	s_waitcnt lgkmcnt(5)
	v_xor_b32_e32 v10, 0xfffffbff, v0
	v_ashrrev_i32_e32 v11, 31, v10
	v_add_co_u32_e32 v10, vcc, v19, v10
	v_addc_co_u32_e32 v11, vcc, v21, v11, vcc
                                        ; implicit-def: $vgpr29
.LBB276_146:
	s_andn2_saveexec_b64 s[4:5], s[4:5]
	s_cbranch_execz .LBB276_148
; %bb.147:
	s_waitcnt lgkmcnt(5)
	v_add_co_u32_e32 v10, vcc, v1, v29
	v_addc_co_u32_e32 v11, vcc, 0, v16, vcc
.LBB276_148:
	s_or_b64 exec, exec, s[4:5]
	s_waitcnt lgkmcnt(5)
	v_lshlrev_b64 v[10:11], 2, v[10:11]
	v_mov_b32_e32 v12, s25
	v_add_co_u32_e32 v10, vcc, s24, v10
	v_addc_co_u32_e32 v11, vcc, v12, v11, vcc
	s_waitcnt lgkmcnt(4)
	global_store_dword v[10:11], v8, off
	s_or_b64 exec, exec, s[2:3]
	v_cmp_gt_u32_e32 vcc, s33, v28
	s_and_saveexec_b64 s[2:3], vcc
	s_cbranch_execnz .LBB276_180
.LBB276_149:
	s_or_b64 exec, exec, s[2:3]
	v_cmp_gt_u32_e32 vcc, s33, v27
	s_and_saveexec_b64 s[2:3], vcc
	s_cbranch_execz .LBB276_185
.LBB276_150:
	v_cmp_ge_u32_e32 vcc, v27, v18
                                        ; implicit-def: $vgpr8_vgpr9
	s_and_saveexec_b64 s[4:5], vcc
	s_xor_b64 s[4:5], exec, s[4:5]
	s_cbranch_execz .LBB276_152
; %bb.151:
	s_waitcnt lgkmcnt(4)
	v_xor_b32_e32 v8, 0xfffff9ff, v0
	v_ashrrev_i32_e32 v9, 31, v8
	v_add_co_u32_e32 v8, vcc, v19, v8
	v_addc_co_u32_e32 v9, vcc, v21, v9, vcc
                                        ; implicit-def: $vgpr27
.LBB276_152:
	s_andn2_saveexec_b64 s[4:5], s[4:5]
	s_cbranch_execz .LBB276_154
; %bb.153:
	s_waitcnt lgkmcnt(4)
	v_add_co_u32_e32 v8, vcc, v1, v27
	v_addc_co_u32_e32 v9, vcc, 0, v16, vcc
.LBB276_154:
	s_or_b64 exec, exec, s[4:5]
	s_waitcnt lgkmcnt(4)
	v_lshlrev_b64 v[8:9], 2, v[8:9]
	v_mov_b32_e32 v10, s25
	v_add_co_u32_e32 v8, vcc, s24, v8
	v_addc_co_u32_e32 v9, vcc, v10, v9, vcc
	s_waitcnt lgkmcnt(3)
	global_store_dword v[8:9], v6, off
	s_or_b64 exec, exec, s[2:3]
	v_cmp_gt_u32_e32 vcc, s33, v26
	s_and_saveexec_b64 s[2:3], vcc
	s_cbranch_execnz .LBB276_186
.LBB276_155:
	s_or_b64 exec, exec, s[2:3]
	v_cmp_gt_u32_e32 vcc, s33, v25
	s_and_saveexec_b64 s[2:3], vcc
	s_cbranch_execz .LBB276_191
.LBB276_156:
	v_cmp_ge_u32_e32 vcc, v25, v18
                                        ; implicit-def: $vgpr6_vgpr7
	s_and_saveexec_b64 s[4:5], vcc
	s_xor_b64 s[4:5], exec, s[4:5]
	s_cbranch_execz .LBB276_158
; %bb.157:
	s_waitcnt lgkmcnt(3)
	v_xor_b32_e32 v6, 0xfffff7ff, v0
	v_ashrrev_i32_e32 v7, 31, v6
	v_add_co_u32_e32 v6, vcc, v19, v6
	v_addc_co_u32_e32 v7, vcc, v21, v7, vcc
                                        ; implicit-def: $vgpr25
.LBB276_158:
	s_andn2_saveexec_b64 s[4:5], s[4:5]
	s_cbranch_execz .LBB276_160
; %bb.159:
	s_waitcnt lgkmcnt(3)
	v_add_co_u32_e32 v6, vcc, v1, v25
	v_addc_co_u32_e32 v7, vcc, 0, v16, vcc
.LBB276_160:
	s_or_b64 exec, exec, s[4:5]
	s_waitcnt lgkmcnt(3)
	v_lshlrev_b64 v[6:7], 2, v[6:7]
	v_mov_b32_e32 v8, s25
	v_add_co_u32_e32 v6, vcc, s24, v6
	v_addc_co_u32_e32 v7, vcc, v8, v7, vcc
	s_waitcnt lgkmcnt(2)
	global_store_dword v[6:7], v4, off
	s_or_b64 exec, exec, s[2:3]
	v_cmp_gt_u32_e32 vcc, s33, v24
	s_and_saveexec_b64 s[2:3], vcc
	s_cbranch_execnz .LBB276_192
.LBB276_161:
	s_or_b64 exec, exec, s[2:3]
	v_cmp_gt_u32_e32 vcc, s33, v23
	s_and_saveexec_b64 s[2:3], vcc
	s_cbranch_execz .LBB276_197
.LBB276_162:
	v_cmp_ge_u32_e32 vcc, v23, v18
                                        ; implicit-def: $vgpr4_vgpr5
	s_and_saveexec_b64 s[4:5], vcc
	s_xor_b64 s[4:5], exec, s[4:5]
	s_cbranch_execz .LBB276_164
; %bb.163:
	s_waitcnt lgkmcnt(2)
	v_xor_b32_e32 v4, 0xfffff5ff, v0
	v_ashrrev_i32_e32 v5, 31, v4
	v_add_co_u32_e32 v4, vcc, v19, v4
	v_addc_co_u32_e32 v5, vcc, v21, v5, vcc
                                        ; implicit-def: $vgpr23
.LBB276_164:
	s_andn2_saveexec_b64 s[4:5], s[4:5]
	s_cbranch_execz .LBB276_166
; %bb.165:
	s_waitcnt lgkmcnt(2)
	v_add_co_u32_e32 v4, vcc, v1, v23
	v_addc_co_u32_e32 v5, vcc, 0, v16, vcc
.LBB276_166:
	s_or_b64 exec, exec, s[4:5]
	s_waitcnt lgkmcnt(2)
	v_lshlrev_b64 v[4:5], 2, v[4:5]
	v_mov_b32_e32 v6, s25
	v_add_co_u32_e32 v4, vcc, s24, v4
	v_addc_co_u32_e32 v5, vcc, v6, v5, vcc
	s_waitcnt lgkmcnt(1)
	global_store_dword v[4:5], v2, off
	s_or_b64 exec, exec, s[2:3]
	v_cmp_gt_u32_e32 vcc, s33, v22
	s_and_saveexec_b64 s[2:3], vcc
	s_cbranch_execz .LBB276_203
	s_branch .LBB276_198
.LBB276_167:
	s_or_b64 exec, exec, s[2:3]
	v_cmp_gt_u32_e32 vcc, s33, v32
	s_and_saveexec_b64 s[2:3], vcc
	s_cbranch_execz .LBB276_137
.LBB276_168:
	v_cmp_ge_u32_e32 vcc, v32, v18
                                        ; implicit-def: $vgpr14_vgpr15
	s_and_saveexec_b64 s[4:5], vcc
	s_xor_b64 s[4:5], exec, s[4:5]
	s_cbranch_execz .LBB276_170
; %bb.169:
	s_waitcnt lgkmcnt(6)
	v_xor_b32_e32 v12, 0xfffffeff, v0
	v_ashrrev_i32_e32 v15, 31, v12
	v_add_co_u32_e32 v14, vcc, v19, v12
	v_addc_co_u32_e32 v15, vcc, v21, v15, vcc
                                        ; implicit-def: $vgpr32
.LBB276_170:
	s_andn2_saveexec_b64 s[4:5], s[4:5]
; %bb.171:
	v_add_co_u32_e32 v14, vcc, v1, v32
	v_addc_co_u32_e32 v15, vcc, 0, v16, vcc
; %bb.172:
	s_or_b64 exec, exec, s[4:5]
	v_lshlrev_b64 v[14:15], 2, v[14:15]
	s_waitcnt lgkmcnt(6)
	v_mov_b32_e32 v12, s25
	v_add_co_u32_e32 v14, vcc, s24, v14
	v_addc_co_u32_e32 v15, vcc, v12, v15, vcc
	global_store_dword v[14:15], v13, off
	s_or_b64 exec, exec, s[2:3]
	v_cmp_gt_u32_e32 vcc, s33, v31
	s_and_saveexec_b64 s[2:3], vcc
	s_cbranch_execnz .LBB276_138
.LBB276_173:
	s_or_b64 exec, exec, s[2:3]
	v_cmp_gt_u32_e32 vcc, s33, v30
	s_and_saveexec_b64 s[2:3], vcc
	s_cbranch_execz .LBB276_143
.LBB276_174:
	v_cmp_ge_u32_e32 vcc, v30, v18
                                        ; implicit-def: $vgpr12_vgpr13
	s_and_saveexec_b64 s[4:5], vcc
	s_xor_b64 s[4:5], exec, s[4:5]
	s_cbranch_execz .LBB276_176
; %bb.175:
	s_waitcnt lgkmcnt(5)
	v_xor_b32_e32 v10, 0xfffffcff, v0
	v_ashrrev_i32_e32 v13, 31, v10
	v_add_co_u32_e32 v12, vcc, v19, v10
	v_addc_co_u32_e32 v13, vcc, v21, v13, vcc
                                        ; implicit-def: $vgpr30
.LBB276_176:
	s_andn2_saveexec_b64 s[4:5], s[4:5]
	s_cbranch_execz .LBB276_178
; %bb.177:
	s_waitcnt lgkmcnt(6)
	v_add_co_u32_e32 v12, vcc, v1, v30
	v_addc_co_u32_e32 v13, vcc, 0, v16, vcc
.LBB276_178:
	s_or_b64 exec, exec, s[4:5]
	s_waitcnt lgkmcnt(6)
	v_lshlrev_b64 v[12:13], 2, v[12:13]
	s_waitcnt lgkmcnt(5)
	v_mov_b32_e32 v10, s25
	v_add_co_u32_e32 v12, vcc, s24, v12
	v_addc_co_u32_e32 v13, vcc, v10, v13, vcc
	global_store_dword v[12:13], v11, off
	s_or_b64 exec, exec, s[2:3]
	v_cmp_gt_u32_e32 vcc, s33, v29
	s_and_saveexec_b64 s[2:3], vcc
	s_cbranch_execnz .LBB276_144
.LBB276_179:
	s_or_b64 exec, exec, s[2:3]
	v_cmp_gt_u32_e32 vcc, s33, v28
	s_and_saveexec_b64 s[2:3], vcc
	s_cbranch_execz .LBB276_149
.LBB276_180:
	v_cmp_ge_u32_e32 vcc, v28, v18
                                        ; implicit-def: $vgpr10_vgpr11
	s_and_saveexec_b64 s[4:5], vcc
	s_xor_b64 s[4:5], exec, s[4:5]
	s_cbranch_execz .LBB276_182
; %bb.181:
	s_waitcnt lgkmcnt(4)
	v_xor_b32_e32 v8, 0xfffffaff, v0
	v_ashrrev_i32_e32 v11, 31, v8
	v_add_co_u32_e32 v10, vcc, v19, v8
	v_addc_co_u32_e32 v11, vcc, v21, v11, vcc
                                        ; implicit-def: $vgpr28
.LBB276_182:
	s_andn2_saveexec_b64 s[4:5], s[4:5]
	s_cbranch_execz .LBB276_184
; %bb.183:
	s_waitcnt lgkmcnt(5)
	v_add_co_u32_e32 v10, vcc, v1, v28
	v_addc_co_u32_e32 v11, vcc, 0, v16, vcc
.LBB276_184:
	s_or_b64 exec, exec, s[4:5]
	s_waitcnt lgkmcnt(5)
	v_lshlrev_b64 v[10:11], 2, v[10:11]
	s_waitcnt lgkmcnt(4)
	v_mov_b32_e32 v8, s25
	v_add_co_u32_e32 v10, vcc, s24, v10
	v_addc_co_u32_e32 v11, vcc, v8, v11, vcc
	global_store_dword v[10:11], v9, off
	s_or_b64 exec, exec, s[2:3]
	v_cmp_gt_u32_e32 vcc, s33, v27
	s_and_saveexec_b64 s[2:3], vcc
	s_cbranch_execnz .LBB276_150
.LBB276_185:
	s_or_b64 exec, exec, s[2:3]
	v_cmp_gt_u32_e32 vcc, s33, v26
	s_and_saveexec_b64 s[2:3], vcc
	s_cbranch_execz .LBB276_155
.LBB276_186:
	v_cmp_ge_u32_e32 vcc, v26, v18
                                        ; implicit-def: $vgpr8_vgpr9
	s_and_saveexec_b64 s[4:5], vcc
	s_xor_b64 s[4:5], exec, s[4:5]
	s_cbranch_execz .LBB276_188
; %bb.187:
	s_waitcnt lgkmcnt(3)
	v_xor_b32_e32 v6, 0xfffff8ff, v0
	v_ashrrev_i32_e32 v9, 31, v6
	v_add_co_u32_e32 v8, vcc, v19, v6
	v_addc_co_u32_e32 v9, vcc, v21, v9, vcc
                                        ; implicit-def: $vgpr26
.LBB276_188:
	s_andn2_saveexec_b64 s[4:5], s[4:5]
	s_cbranch_execz .LBB276_190
; %bb.189:
	s_waitcnt lgkmcnt(4)
	v_add_co_u32_e32 v8, vcc, v1, v26
	v_addc_co_u32_e32 v9, vcc, 0, v16, vcc
.LBB276_190:
	s_or_b64 exec, exec, s[4:5]
	s_waitcnt lgkmcnt(4)
	v_lshlrev_b64 v[8:9], 2, v[8:9]
	s_waitcnt lgkmcnt(3)
	v_mov_b32_e32 v6, s25
	v_add_co_u32_e32 v8, vcc, s24, v8
	v_addc_co_u32_e32 v9, vcc, v6, v9, vcc
	global_store_dword v[8:9], v7, off
	s_or_b64 exec, exec, s[2:3]
	v_cmp_gt_u32_e32 vcc, s33, v25
	s_and_saveexec_b64 s[2:3], vcc
	s_cbranch_execnz .LBB276_156
.LBB276_191:
	s_or_b64 exec, exec, s[2:3]
	v_cmp_gt_u32_e32 vcc, s33, v24
	s_and_saveexec_b64 s[2:3], vcc
	s_cbranch_execz .LBB276_161
.LBB276_192:
	v_cmp_ge_u32_e32 vcc, v24, v18
                                        ; implicit-def: $vgpr6_vgpr7
	s_and_saveexec_b64 s[4:5], vcc
	s_xor_b64 s[4:5], exec, s[4:5]
	s_cbranch_execz .LBB276_194
; %bb.193:
	s_waitcnt lgkmcnt(2)
	v_xor_b32_e32 v4, 0xfffff6ff, v0
	v_ashrrev_i32_e32 v7, 31, v4
	v_add_co_u32_e32 v6, vcc, v19, v4
	v_addc_co_u32_e32 v7, vcc, v21, v7, vcc
                                        ; implicit-def: $vgpr24
.LBB276_194:
	s_andn2_saveexec_b64 s[4:5], s[4:5]
	s_cbranch_execz .LBB276_196
; %bb.195:
	s_waitcnt lgkmcnt(3)
	v_add_co_u32_e32 v6, vcc, v1, v24
	v_addc_co_u32_e32 v7, vcc, 0, v16, vcc
.LBB276_196:
	s_or_b64 exec, exec, s[4:5]
	s_waitcnt lgkmcnt(3)
	v_lshlrev_b64 v[6:7], 2, v[6:7]
	s_waitcnt lgkmcnt(2)
	v_mov_b32_e32 v4, s25
	v_add_co_u32_e32 v6, vcc, s24, v6
	v_addc_co_u32_e32 v7, vcc, v4, v7, vcc
	global_store_dword v[6:7], v5, off
	s_or_b64 exec, exec, s[2:3]
	v_cmp_gt_u32_e32 vcc, s33, v23
	s_and_saveexec_b64 s[2:3], vcc
	s_cbranch_execnz .LBB276_162
.LBB276_197:
	s_or_b64 exec, exec, s[2:3]
	v_cmp_gt_u32_e32 vcc, s33, v22
	s_and_saveexec_b64 s[2:3], vcc
	s_cbranch_execz .LBB276_203
.LBB276_198:
	v_cmp_ge_u32_e32 vcc, v22, v18
                                        ; implicit-def: $vgpr4_vgpr5
	s_and_saveexec_b64 s[4:5], vcc
	s_xor_b64 s[4:5], exec, s[4:5]
	s_cbranch_execz .LBB276_200
; %bb.199:
	s_waitcnt lgkmcnt(1)
	v_xor_b32_e32 v2, 0xfffff4ff, v0
	v_ashrrev_i32_e32 v5, 31, v2
	v_add_co_u32_e32 v4, vcc, v19, v2
	v_addc_co_u32_e32 v5, vcc, v21, v5, vcc
                                        ; implicit-def: $vgpr22
.LBB276_200:
	s_andn2_saveexec_b64 s[4:5], s[4:5]
	s_cbranch_execz .LBB276_202
; %bb.201:
	s_waitcnt lgkmcnt(2)
	v_add_co_u32_e32 v4, vcc, v1, v22
	v_addc_co_u32_e32 v5, vcc, 0, v16, vcc
.LBB276_202:
	s_or_b64 exec, exec, s[4:5]
	s_waitcnt lgkmcnt(2)
	v_lshlrev_b64 v[4:5], 2, v[4:5]
	s_waitcnt lgkmcnt(1)
	v_mov_b32_e32 v2, s25
	v_add_co_u32_e32 v4, vcc, s24, v4
	v_addc_co_u32_e32 v5, vcc, v2, v5, vcc
	global_store_dword v[4:5], v3, off
.LBB276_203:
	s_or_b64 exec, exec, s[2:3]
	v_cmp_gt_u32_e32 vcc, s33, v20
                                        ; implicit-def: $vgpr14_vgpr15
	s_and_saveexec_b64 s[2:3], vcc
	s_cbranch_execz .LBB276_209
; %bb.204:
	v_cmp_ge_u32_e32 vcc, v20, v18
                                        ; implicit-def: $vgpr14_vgpr15
	s_and_saveexec_b64 s[4:5], vcc
	s_xor_b64 s[4:5], exec, s[4:5]
	s_cbranch_execz .LBB276_206
; %bb.205:
	s_waitcnt lgkmcnt(1)
	v_xor_b32_e32 v2, 0xfffff3ff, v0
	v_ashrrev_i32_e32 v3, 31, v2
	v_add_co_u32_e32 v14, vcc, v19, v2
	v_addc_co_u32_e32 v15, vcc, v21, v3, vcc
                                        ; implicit-def: $vgpr20
.LBB276_206:
	s_andn2_saveexec_b64 s[4:5], s[4:5]
; %bb.207:
	v_add_co_u32_e32 v14, vcc, v1, v20
	v_addc_co_u32_e32 v15, vcc, 0, v16, vcc
; %bb.208:
	s_or_b64 exec, exec, s[4:5]
	s_or_b64 s[0:1], s[0:1], exec
.LBB276_209:
	s_or_b64 exec, exec, s[2:3]
.LBB276_210:
	s_and_saveexec_b64 s[2:3], s[0:1]
	s_cbranch_execz .LBB276_212
; %bb.211:
	s_waitcnt lgkmcnt(1)
	v_lshlrev_b64 v[2:3], 2, v[14:15]
	v_mov_b32_e32 v4, s25
	v_add_co_u32_e32 v2, vcc, s24, v2
	v_addc_co_u32_e32 v3, vcc, v4, v3, vcc
	s_waitcnt lgkmcnt(0)
	global_store_dword v[2:3], v17, off
.LBB276_212:
	s_or_b64 exec, exec, s[2:3]
	v_cmp_eq_u32_e32 vcc, 0, v0
	s_and_b64 s[0:1], vcc, s[22:23]
	s_and_saveexec_b64 s[2:3], s[0:1]
	s_cbranch_execz .LBB276_214
; %bb.213:
	v_add_co_u32_e32 v0, vcc, v1, v18
	s_waitcnt lgkmcnt(1)
	v_mov_b32_e32 v2, 0
	v_addc_co_u32_e32 v1, vcc, 0, v16, vcc
	global_store_dwordx2 v2, v[0:1], s[20:21]
.LBB276_214:
	s_endpgm
	.section	.rodata,"a",@progbits
	.p2align	6, 0x0
	.amdhsa_kernel _ZN7rocprim17ROCPRIM_400000_NS6detail17trampoline_kernelINS0_13select_configILj256ELj13ELNS0_17block_load_methodE3ELS4_3ELS4_3ELNS0_20block_scan_algorithmE0ELj4294967295EEENS1_25partition_config_selectorILNS1_17partition_subalgoE3EjNS0_10empty_typeEbEEZZNS1_14partition_implILS8_3ELb0ES6_jNS0_17counting_iteratorIjlEEPS9_SE_NS0_5tupleIJPjSE_EEENSF_IJSE_SE_EEES9_SG_JZNS1_25segmented_radix_sort_implINS0_14default_configELb1EPKaPaPKlPlN2at6native12_GLOBAL__N_18offset_tEEE10hipError_tPvRmT1_PNSt15iterator_traitsISY_E10value_typeET2_T3_PNSZ_IS14_E10value_typeET4_jRbjT5_S1A_jjP12ihipStream_tbEUljE_EEESV_SW_SX_S14_S18_S1A_T6_T7_T9_mT8_S1C_bDpT10_ENKUlT_T0_E_clISt17integral_constantIbLb1EES1O_IbLb0EEEEDaS1K_S1L_EUlS1K_E_NS1_11comp_targetILNS1_3genE4ELNS1_11target_archE910ELNS1_3gpuE8ELNS1_3repE0EEENS1_30default_config_static_selectorELNS0_4arch9wavefront6targetE1EEEvSY_
		.amdhsa_group_segment_fixed_size 13324
		.amdhsa_private_segment_fixed_size 0
		.amdhsa_kernarg_size 144
		.amdhsa_user_sgpr_count 6
		.amdhsa_user_sgpr_private_segment_buffer 1
		.amdhsa_user_sgpr_dispatch_ptr 0
		.amdhsa_user_sgpr_queue_ptr 0
		.amdhsa_user_sgpr_kernarg_segment_ptr 1
		.amdhsa_user_sgpr_dispatch_id 0
		.amdhsa_user_sgpr_flat_scratch_init 0
		.amdhsa_user_sgpr_kernarg_preload_length 0
		.amdhsa_user_sgpr_kernarg_preload_offset 0
		.amdhsa_user_sgpr_private_segment_size 0
		.amdhsa_uses_dynamic_stack 0
		.amdhsa_system_sgpr_private_segment_wavefront_offset 0
		.amdhsa_system_sgpr_workgroup_id_x 1
		.amdhsa_system_sgpr_workgroup_id_y 0
		.amdhsa_system_sgpr_workgroup_id_z 0
		.amdhsa_system_sgpr_workgroup_info 0
		.amdhsa_system_vgpr_workitem_id 0
		.amdhsa_next_free_vgpr 61
		.amdhsa_next_free_sgpr 46
		.amdhsa_accum_offset 64
		.amdhsa_reserve_vcc 1
		.amdhsa_reserve_flat_scratch 0
		.amdhsa_float_round_mode_32 0
		.amdhsa_float_round_mode_16_64 0
		.amdhsa_float_denorm_mode_32 3
		.amdhsa_float_denorm_mode_16_64 3
		.amdhsa_dx10_clamp 1
		.amdhsa_ieee_mode 1
		.amdhsa_fp16_overflow 0
		.amdhsa_tg_split 0
		.amdhsa_exception_fp_ieee_invalid_op 0
		.amdhsa_exception_fp_denorm_src 0
		.amdhsa_exception_fp_ieee_div_zero 0
		.amdhsa_exception_fp_ieee_overflow 0
		.amdhsa_exception_fp_ieee_underflow 0
		.amdhsa_exception_fp_ieee_inexact 0
		.amdhsa_exception_int_div_zero 0
	.end_amdhsa_kernel
	.section	.text._ZN7rocprim17ROCPRIM_400000_NS6detail17trampoline_kernelINS0_13select_configILj256ELj13ELNS0_17block_load_methodE3ELS4_3ELS4_3ELNS0_20block_scan_algorithmE0ELj4294967295EEENS1_25partition_config_selectorILNS1_17partition_subalgoE3EjNS0_10empty_typeEbEEZZNS1_14partition_implILS8_3ELb0ES6_jNS0_17counting_iteratorIjlEEPS9_SE_NS0_5tupleIJPjSE_EEENSF_IJSE_SE_EEES9_SG_JZNS1_25segmented_radix_sort_implINS0_14default_configELb1EPKaPaPKlPlN2at6native12_GLOBAL__N_18offset_tEEE10hipError_tPvRmT1_PNSt15iterator_traitsISY_E10value_typeET2_T3_PNSZ_IS14_E10value_typeET4_jRbjT5_S1A_jjP12ihipStream_tbEUljE_EEESV_SW_SX_S14_S18_S1A_T6_T7_T9_mT8_S1C_bDpT10_ENKUlT_T0_E_clISt17integral_constantIbLb1EES1O_IbLb0EEEEDaS1K_S1L_EUlS1K_E_NS1_11comp_targetILNS1_3genE4ELNS1_11target_archE910ELNS1_3gpuE8ELNS1_3repE0EEENS1_30default_config_static_selectorELNS0_4arch9wavefront6targetE1EEEvSY_,"axG",@progbits,_ZN7rocprim17ROCPRIM_400000_NS6detail17trampoline_kernelINS0_13select_configILj256ELj13ELNS0_17block_load_methodE3ELS4_3ELS4_3ELNS0_20block_scan_algorithmE0ELj4294967295EEENS1_25partition_config_selectorILNS1_17partition_subalgoE3EjNS0_10empty_typeEbEEZZNS1_14partition_implILS8_3ELb0ES6_jNS0_17counting_iteratorIjlEEPS9_SE_NS0_5tupleIJPjSE_EEENSF_IJSE_SE_EEES9_SG_JZNS1_25segmented_radix_sort_implINS0_14default_configELb1EPKaPaPKlPlN2at6native12_GLOBAL__N_18offset_tEEE10hipError_tPvRmT1_PNSt15iterator_traitsISY_E10value_typeET2_T3_PNSZ_IS14_E10value_typeET4_jRbjT5_S1A_jjP12ihipStream_tbEUljE_EEESV_SW_SX_S14_S18_S1A_T6_T7_T9_mT8_S1C_bDpT10_ENKUlT_T0_E_clISt17integral_constantIbLb1EES1O_IbLb0EEEEDaS1K_S1L_EUlS1K_E_NS1_11comp_targetILNS1_3genE4ELNS1_11target_archE910ELNS1_3gpuE8ELNS1_3repE0EEENS1_30default_config_static_selectorELNS0_4arch9wavefront6targetE1EEEvSY_,comdat
.Lfunc_end276:
	.size	_ZN7rocprim17ROCPRIM_400000_NS6detail17trampoline_kernelINS0_13select_configILj256ELj13ELNS0_17block_load_methodE3ELS4_3ELS4_3ELNS0_20block_scan_algorithmE0ELj4294967295EEENS1_25partition_config_selectorILNS1_17partition_subalgoE3EjNS0_10empty_typeEbEEZZNS1_14partition_implILS8_3ELb0ES6_jNS0_17counting_iteratorIjlEEPS9_SE_NS0_5tupleIJPjSE_EEENSF_IJSE_SE_EEES9_SG_JZNS1_25segmented_radix_sort_implINS0_14default_configELb1EPKaPaPKlPlN2at6native12_GLOBAL__N_18offset_tEEE10hipError_tPvRmT1_PNSt15iterator_traitsISY_E10value_typeET2_T3_PNSZ_IS14_E10value_typeET4_jRbjT5_S1A_jjP12ihipStream_tbEUljE_EEESV_SW_SX_S14_S18_S1A_T6_T7_T9_mT8_S1C_bDpT10_ENKUlT_T0_E_clISt17integral_constantIbLb1EES1O_IbLb0EEEEDaS1K_S1L_EUlS1K_E_NS1_11comp_targetILNS1_3genE4ELNS1_11target_archE910ELNS1_3gpuE8ELNS1_3repE0EEENS1_30default_config_static_selectorELNS0_4arch9wavefront6targetE1EEEvSY_, .Lfunc_end276-_ZN7rocprim17ROCPRIM_400000_NS6detail17trampoline_kernelINS0_13select_configILj256ELj13ELNS0_17block_load_methodE3ELS4_3ELS4_3ELNS0_20block_scan_algorithmE0ELj4294967295EEENS1_25partition_config_selectorILNS1_17partition_subalgoE3EjNS0_10empty_typeEbEEZZNS1_14partition_implILS8_3ELb0ES6_jNS0_17counting_iteratorIjlEEPS9_SE_NS0_5tupleIJPjSE_EEENSF_IJSE_SE_EEES9_SG_JZNS1_25segmented_radix_sort_implINS0_14default_configELb1EPKaPaPKlPlN2at6native12_GLOBAL__N_18offset_tEEE10hipError_tPvRmT1_PNSt15iterator_traitsISY_E10value_typeET2_T3_PNSZ_IS14_E10value_typeET4_jRbjT5_S1A_jjP12ihipStream_tbEUljE_EEESV_SW_SX_S14_S18_S1A_T6_T7_T9_mT8_S1C_bDpT10_ENKUlT_T0_E_clISt17integral_constantIbLb1EES1O_IbLb0EEEEDaS1K_S1L_EUlS1K_E_NS1_11comp_targetILNS1_3genE4ELNS1_11target_archE910ELNS1_3gpuE8ELNS1_3repE0EEENS1_30default_config_static_selectorELNS0_4arch9wavefront6targetE1EEEvSY_
                                        ; -- End function
	.section	.AMDGPU.csdata,"",@progbits
; Kernel info:
; codeLenInByte = 7756
; NumSgprs: 50
; NumVgprs: 61
; NumAgprs: 0
; TotalNumVgprs: 61
; ScratchSize: 0
; MemoryBound: 0
; FloatMode: 240
; IeeeMode: 1
; LDSByteSize: 13324 bytes/workgroup (compile time only)
; SGPRBlocks: 6
; VGPRBlocks: 7
; NumSGPRsForWavesPerEU: 50
; NumVGPRsForWavesPerEU: 61
; AccumOffset: 64
; Occupancy: 4
; WaveLimiterHint : 0
; COMPUTE_PGM_RSRC2:SCRATCH_EN: 0
; COMPUTE_PGM_RSRC2:USER_SGPR: 6
; COMPUTE_PGM_RSRC2:TRAP_HANDLER: 0
; COMPUTE_PGM_RSRC2:TGID_X_EN: 1
; COMPUTE_PGM_RSRC2:TGID_Y_EN: 0
; COMPUTE_PGM_RSRC2:TGID_Z_EN: 0
; COMPUTE_PGM_RSRC2:TIDIG_COMP_CNT: 0
; COMPUTE_PGM_RSRC3_GFX90A:ACCUM_OFFSET: 15
; COMPUTE_PGM_RSRC3_GFX90A:TG_SPLIT: 0
	.section	.text._ZN7rocprim17ROCPRIM_400000_NS6detail17trampoline_kernelINS0_13select_configILj256ELj13ELNS0_17block_load_methodE3ELS4_3ELS4_3ELNS0_20block_scan_algorithmE0ELj4294967295EEENS1_25partition_config_selectorILNS1_17partition_subalgoE3EjNS0_10empty_typeEbEEZZNS1_14partition_implILS8_3ELb0ES6_jNS0_17counting_iteratorIjlEEPS9_SE_NS0_5tupleIJPjSE_EEENSF_IJSE_SE_EEES9_SG_JZNS1_25segmented_radix_sort_implINS0_14default_configELb1EPKaPaPKlPlN2at6native12_GLOBAL__N_18offset_tEEE10hipError_tPvRmT1_PNSt15iterator_traitsISY_E10value_typeET2_T3_PNSZ_IS14_E10value_typeET4_jRbjT5_S1A_jjP12ihipStream_tbEUljE_EEESV_SW_SX_S14_S18_S1A_T6_T7_T9_mT8_S1C_bDpT10_ENKUlT_T0_E_clISt17integral_constantIbLb1EES1O_IbLb0EEEEDaS1K_S1L_EUlS1K_E_NS1_11comp_targetILNS1_3genE3ELNS1_11target_archE908ELNS1_3gpuE7ELNS1_3repE0EEENS1_30default_config_static_selectorELNS0_4arch9wavefront6targetE1EEEvSY_,"axG",@progbits,_ZN7rocprim17ROCPRIM_400000_NS6detail17trampoline_kernelINS0_13select_configILj256ELj13ELNS0_17block_load_methodE3ELS4_3ELS4_3ELNS0_20block_scan_algorithmE0ELj4294967295EEENS1_25partition_config_selectorILNS1_17partition_subalgoE3EjNS0_10empty_typeEbEEZZNS1_14partition_implILS8_3ELb0ES6_jNS0_17counting_iteratorIjlEEPS9_SE_NS0_5tupleIJPjSE_EEENSF_IJSE_SE_EEES9_SG_JZNS1_25segmented_radix_sort_implINS0_14default_configELb1EPKaPaPKlPlN2at6native12_GLOBAL__N_18offset_tEEE10hipError_tPvRmT1_PNSt15iterator_traitsISY_E10value_typeET2_T3_PNSZ_IS14_E10value_typeET4_jRbjT5_S1A_jjP12ihipStream_tbEUljE_EEESV_SW_SX_S14_S18_S1A_T6_T7_T9_mT8_S1C_bDpT10_ENKUlT_T0_E_clISt17integral_constantIbLb1EES1O_IbLb0EEEEDaS1K_S1L_EUlS1K_E_NS1_11comp_targetILNS1_3genE3ELNS1_11target_archE908ELNS1_3gpuE7ELNS1_3repE0EEENS1_30default_config_static_selectorELNS0_4arch9wavefront6targetE1EEEvSY_,comdat
	.globl	_ZN7rocprim17ROCPRIM_400000_NS6detail17trampoline_kernelINS0_13select_configILj256ELj13ELNS0_17block_load_methodE3ELS4_3ELS4_3ELNS0_20block_scan_algorithmE0ELj4294967295EEENS1_25partition_config_selectorILNS1_17partition_subalgoE3EjNS0_10empty_typeEbEEZZNS1_14partition_implILS8_3ELb0ES6_jNS0_17counting_iteratorIjlEEPS9_SE_NS0_5tupleIJPjSE_EEENSF_IJSE_SE_EEES9_SG_JZNS1_25segmented_radix_sort_implINS0_14default_configELb1EPKaPaPKlPlN2at6native12_GLOBAL__N_18offset_tEEE10hipError_tPvRmT1_PNSt15iterator_traitsISY_E10value_typeET2_T3_PNSZ_IS14_E10value_typeET4_jRbjT5_S1A_jjP12ihipStream_tbEUljE_EEESV_SW_SX_S14_S18_S1A_T6_T7_T9_mT8_S1C_bDpT10_ENKUlT_T0_E_clISt17integral_constantIbLb1EES1O_IbLb0EEEEDaS1K_S1L_EUlS1K_E_NS1_11comp_targetILNS1_3genE3ELNS1_11target_archE908ELNS1_3gpuE7ELNS1_3repE0EEENS1_30default_config_static_selectorELNS0_4arch9wavefront6targetE1EEEvSY_ ; -- Begin function _ZN7rocprim17ROCPRIM_400000_NS6detail17trampoline_kernelINS0_13select_configILj256ELj13ELNS0_17block_load_methodE3ELS4_3ELS4_3ELNS0_20block_scan_algorithmE0ELj4294967295EEENS1_25partition_config_selectorILNS1_17partition_subalgoE3EjNS0_10empty_typeEbEEZZNS1_14partition_implILS8_3ELb0ES6_jNS0_17counting_iteratorIjlEEPS9_SE_NS0_5tupleIJPjSE_EEENSF_IJSE_SE_EEES9_SG_JZNS1_25segmented_radix_sort_implINS0_14default_configELb1EPKaPaPKlPlN2at6native12_GLOBAL__N_18offset_tEEE10hipError_tPvRmT1_PNSt15iterator_traitsISY_E10value_typeET2_T3_PNSZ_IS14_E10value_typeET4_jRbjT5_S1A_jjP12ihipStream_tbEUljE_EEESV_SW_SX_S14_S18_S1A_T6_T7_T9_mT8_S1C_bDpT10_ENKUlT_T0_E_clISt17integral_constantIbLb1EES1O_IbLb0EEEEDaS1K_S1L_EUlS1K_E_NS1_11comp_targetILNS1_3genE3ELNS1_11target_archE908ELNS1_3gpuE7ELNS1_3repE0EEENS1_30default_config_static_selectorELNS0_4arch9wavefront6targetE1EEEvSY_
	.p2align	8
	.type	_ZN7rocprim17ROCPRIM_400000_NS6detail17trampoline_kernelINS0_13select_configILj256ELj13ELNS0_17block_load_methodE3ELS4_3ELS4_3ELNS0_20block_scan_algorithmE0ELj4294967295EEENS1_25partition_config_selectorILNS1_17partition_subalgoE3EjNS0_10empty_typeEbEEZZNS1_14partition_implILS8_3ELb0ES6_jNS0_17counting_iteratorIjlEEPS9_SE_NS0_5tupleIJPjSE_EEENSF_IJSE_SE_EEES9_SG_JZNS1_25segmented_radix_sort_implINS0_14default_configELb1EPKaPaPKlPlN2at6native12_GLOBAL__N_18offset_tEEE10hipError_tPvRmT1_PNSt15iterator_traitsISY_E10value_typeET2_T3_PNSZ_IS14_E10value_typeET4_jRbjT5_S1A_jjP12ihipStream_tbEUljE_EEESV_SW_SX_S14_S18_S1A_T6_T7_T9_mT8_S1C_bDpT10_ENKUlT_T0_E_clISt17integral_constantIbLb1EES1O_IbLb0EEEEDaS1K_S1L_EUlS1K_E_NS1_11comp_targetILNS1_3genE3ELNS1_11target_archE908ELNS1_3gpuE7ELNS1_3repE0EEENS1_30default_config_static_selectorELNS0_4arch9wavefront6targetE1EEEvSY_,@function
_ZN7rocprim17ROCPRIM_400000_NS6detail17trampoline_kernelINS0_13select_configILj256ELj13ELNS0_17block_load_methodE3ELS4_3ELS4_3ELNS0_20block_scan_algorithmE0ELj4294967295EEENS1_25partition_config_selectorILNS1_17partition_subalgoE3EjNS0_10empty_typeEbEEZZNS1_14partition_implILS8_3ELb0ES6_jNS0_17counting_iteratorIjlEEPS9_SE_NS0_5tupleIJPjSE_EEENSF_IJSE_SE_EEES9_SG_JZNS1_25segmented_radix_sort_implINS0_14default_configELb1EPKaPaPKlPlN2at6native12_GLOBAL__N_18offset_tEEE10hipError_tPvRmT1_PNSt15iterator_traitsISY_E10value_typeET2_T3_PNSZ_IS14_E10value_typeET4_jRbjT5_S1A_jjP12ihipStream_tbEUljE_EEESV_SW_SX_S14_S18_S1A_T6_T7_T9_mT8_S1C_bDpT10_ENKUlT_T0_E_clISt17integral_constantIbLb1EES1O_IbLb0EEEEDaS1K_S1L_EUlS1K_E_NS1_11comp_targetILNS1_3genE3ELNS1_11target_archE908ELNS1_3gpuE7ELNS1_3repE0EEENS1_30default_config_static_selectorELNS0_4arch9wavefront6targetE1EEEvSY_: ; @_ZN7rocprim17ROCPRIM_400000_NS6detail17trampoline_kernelINS0_13select_configILj256ELj13ELNS0_17block_load_methodE3ELS4_3ELS4_3ELNS0_20block_scan_algorithmE0ELj4294967295EEENS1_25partition_config_selectorILNS1_17partition_subalgoE3EjNS0_10empty_typeEbEEZZNS1_14partition_implILS8_3ELb0ES6_jNS0_17counting_iteratorIjlEEPS9_SE_NS0_5tupleIJPjSE_EEENSF_IJSE_SE_EEES9_SG_JZNS1_25segmented_radix_sort_implINS0_14default_configELb1EPKaPaPKlPlN2at6native12_GLOBAL__N_18offset_tEEE10hipError_tPvRmT1_PNSt15iterator_traitsISY_E10value_typeET2_T3_PNSZ_IS14_E10value_typeET4_jRbjT5_S1A_jjP12ihipStream_tbEUljE_EEESV_SW_SX_S14_S18_S1A_T6_T7_T9_mT8_S1C_bDpT10_ENKUlT_T0_E_clISt17integral_constantIbLb1EES1O_IbLb0EEEEDaS1K_S1L_EUlS1K_E_NS1_11comp_targetILNS1_3genE3ELNS1_11target_archE908ELNS1_3gpuE7ELNS1_3repE0EEENS1_30default_config_static_selectorELNS0_4arch9wavefront6targetE1EEEvSY_
; %bb.0:
	.section	.rodata,"a",@progbits
	.p2align	6, 0x0
	.amdhsa_kernel _ZN7rocprim17ROCPRIM_400000_NS6detail17trampoline_kernelINS0_13select_configILj256ELj13ELNS0_17block_load_methodE3ELS4_3ELS4_3ELNS0_20block_scan_algorithmE0ELj4294967295EEENS1_25partition_config_selectorILNS1_17partition_subalgoE3EjNS0_10empty_typeEbEEZZNS1_14partition_implILS8_3ELb0ES6_jNS0_17counting_iteratorIjlEEPS9_SE_NS0_5tupleIJPjSE_EEENSF_IJSE_SE_EEES9_SG_JZNS1_25segmented_radix_sort_implINS0_14default_configELb1EPKaPaPKlPlN2at6native12_GLOBAL__N_18offset_tEEE10hipError_tPvRmT1_PNSt15iterator_traitsISY_E10value_typeET2_T3_PNSZ_IS14_E10value_typeET4_jRbjT5_S1A_jjP12ihipStream_tbEUljE_EEESV_SW_SX_S14_S18_S1A_T6_T7_T9_mT8_S1C_bDpT10_ENKUlT_T0_E_clISt17integral_constantIbLb1EES1O_IbLb0EEEEDaS1K_S1L_EUlS1K_E_NS1_11comp_targetILNS1_3genE3ELNS1_11target_archE908ELNS1_3gpuE7ELNS1_3repE0EEENS1_30default_config_static_selectorELNS0_4arch9wavefront6targetE1EEEvSY_
		.amdhsa_group_segment_fixed_size 0
		.amdhsa_private_segment_fixed_size 0
		.amdhsa_kernarg_size 144
		.amdhsa_user_sgpr_count 6
		.amdhsa_user_sgpr_private_segment_buffer 1
		.amdhsa_user_sgpr_dispatch_ptr 0
		.amdhsa_user_sgpr_queue_ptr 0
		.amdhsa_user_sgpr_kernarg_segment_ptr 1
		.amdhsa_user_sgpr_dispatch_id 0
		.amdhsa_user_sgpr_flat_scratch_init 0
		.amdhsa_user_sgpr_kernarg_preload_length 0
		.amdhsa_user_sgpr_kernarg_preload_offset 0
		.amdhsa_user_sgpr_private_segment_size 0
		.amdhsa_uses_dynamic_stack 0
		.amdhsa_system_sgpr_private_segment_wavefront_offset 0
		.amdhsa_system_sgpr_workgroup_id_x 1
		.amdhsa_system_sgpr_workgroup_id_y 0
		.amdhsa_system_sgpr_workgroup_id_z 0
		.amdhsa_system_sgpr_workgroup_info 0
		.amdhsa_system_vgpr_workitem_id 0
		.amdhsa_next_free_vgpr 1
		.amdhsa_next_free_sgpr 0
		.amdhsa_accum_offset 4
		.amdhsa_reserve_vcc 0
		.amdhsa_reserve_flat_scratch 0
		.amdhsa_float_round_mode_32 0
		.amdhsa_float_round_mode_16_64 0
		.amdhsa_float_denorm_mode_32 3
		.amdhsa_float_denorm_mode_16_64 3
		.amdhsa_dx10_clamp 1
		.amdhsa_ieee_mode 1
		.amdhsa_fp16_overflow 0
		.amdhsa_tg_split 0
		.amdhsa_exception_fp_ieee_invalid_op 0
		.amdhsa_exception_fp_denorm_src 0
		.amdhsa_exception_fp_ieee_div_zero 0
		.amdhsa_exception_fp_ieee_overflow 0
		.amdhsa_exception_fp_ieee_underflow 0
		.amdhsa_exception_fp_ieee_inexact 0
		.amdhsa_exception_int_div_zero 0
	.end_amdhsa_kernel
	.section	.text._ZN7rocprim17ROCPRIM_400000_NS6detail17trampoline_kernelINS0_13select_configILj256ELj13ELNS0_17block_load_methodE3ELS4_3ELS4_3ELNS0_20block_scan_algorithmE0ELj4294967295EEENS1_25partition_config_selectorILNS1_17partition_subalgoE3EjNS0_10empty_typeEbEEZZNS1_14partition_implILS8_3ELb0ES6_jNS0_17counting_iteratorIjlEEPS9_SE_NS0_5tupleIJPjSE_EEENSF_IJSE_SE_EEES9_SG_JZNS1_25segmented_radix_sort_implINS0_14default_configELb1EPKaPaPKlPlN2at6native12_GLOBAL__N_18offset_tEEE10hipError_tPvRmT1_PNSt15iterator_traitsISY_E10value_typeET2_T3_PNSZ_IS14_E10value_typeET4_jRbjT5_S1A_jjP12ihipStream_tbEUljE_EEESV_SW_SX_S14_S18_S1A_T6_T7_T9_mT8_S1C_bDpT10_ENKUlT_T0_E_clISt17integral_constantIbLb1EES1O_IbLb0EEEEDaS1K_S1L_EUlS1K_E_NS1_11comp_targetILNS1_3genE3ELNS1_11target_archE908ELNS1_3gpuE7ELNS1_3repE0EEENS1_30default_config_static_selectorELNS0_4arch9wavefront6targetE1EEEvSY_,"axG",@progbits,_ZN7rocprim17ROCPRIM_400000_NS6detail17trampoline_kernelINS0_13select_configILj256ELj13ELNS0_17block_load_methodE3ELS4_3ELS4_3ELNS0_20block_scan_algorithmE0ELj4294967295EEENS1_25partition_config_selectorILNS1_17partition_subalgoE3EjNS0_10empty_typeEbEEZZNS1_14partition_implILS8_3ELb0ES6_jNS0_17counting_iteratorIjlEEPS9_SE_NS0_5tupleIJPjSE_EEENSF_IJSE_SE_EEES9_SG_JZNS1_25segmented_radix_sort_implINS0_14default_configELb1EPKaPaPKlPlN2at6native12_GLOBAL__N_18offset_tEEE10hipError_tPvRmT1_PNSt15iterator_traitsISY_E10value_typeET2_T3_PNSZ_IS14_E10value_typeET4_jRbjT5_S1A_jjP12ihipStream_tbEUljE_EEESV_SW_SX_S14_S18_S1A_T6_T7_T9_mT8_S1C_bDpT10_ENKUlT_T0_E_clISt17integral_constantIbLb1EES1O_IbLb0EEEEDaS1K_S1L_EUlS1K_E_NS1_11comp_targetILNS1_3genE3ELNS1_11target_archE908ELNS1_3gpuE7ELNS1_3repE0EEENS1_30default_config_static_selectorELNS0_4arch9wavefront6targetE1EEEvSY_,comdat
.Lfunc_end277:
	.size	_ZN7rocprim17ROCPRIM_400000_NS6detail17trampoline_kernelINS0_13select_configILj256ELj13ELNS0_17block_load_methodE3ELS4_3ELS4_3ELNS0_20block_scan_algorithmE0ELj4294967295EEENS1_25partition_config_selectorILNS1_17partition_subalgoE3EjNS0_10empty_typeEbEEZZNS1_14partition_implILS8_3ELb0ES6_jNS0_17counting_iteratorIjlEEPS9_SE_NS0_5tupleIJPjSE_EEENSF_IJSE_SE_EEES9_SG_JZNS1_25segmented_radix_sort_implINS0_14default_configELb1EPKaPaPKlPlN2at6native12_GLOBAL__N_18offset_tEEE10hipError_tPvRmT1_PNSt15iterator_traitsISY_E10value_typeET2_T3_PNSZ_IS14_E10value_typeET4_jRbjT5_S1A_jjP12ihipStream_tbEUljE_EEESV_SW_SX_S14_S18_S1A_T6_T7_T9_mT8_S1C_bDpT10_ENKUlT_T0_E_clISt17integral_constantIbLb1EES1O_IbLb0EEEEDaS1K_S1L_EUlS1K_E_NS1_11comp_targetILNS1_3genE3ELNS1_11target_archE908ELNS1_3gpuE7ELNS1_3repE0EEENS1_30default_config_static_selectorELNS0_4arch9wavefront6targetE1EEEvSY_, .Lfunc_end277-_ZN7rocprim17ROCPRIM_400000_NS6detail17trampoline_kernelINS0_13select_configILj256ELj13ELNS0_17block_load_methodE3ELS4_3ELS4_3ELNS0_20block_scan_algorithmE0ELj4294967295EEENS1_25partition_config_selectorILNS1_17partition_subalgoE3EjNS0_10empty_typeEbEEZZNS1_14partition_implILS8_3ELb0ES6_jNS0_17counting_iteratorIjlEEPS9_SE_NS0_5tupleIJPjSE_EEENSF_IJSE_SE_EEES9_SG_JZNS1_25segmented_radix_sort_implINS0_14default_configELb1EPKaPaPKlPlN2at6native12_GLOBAL__N_18offset_tEEE10hipError_tPvRmT1_PNSt15iterator_traitsISY_E10value_typeET2_T3_PNSZ_IS14_E10value_typeET4_jRbjT5_S1A_jjP12ihipStream_tbEUljE_EEESV_SW_SX_S14_S18_S1A_T6_T7_T9_mT8_S1C_bDpT10_ENKUlT_T0_E_clISt17integral_constantIbLb1EES1O_IbLb0EEEEDaS1K_S1L_EUlS1K_E_NS1_11comp_targetILNS1_3genE3ELNS1_11target_archE908ELNS1_3gpuE7ELNS1_3repE0EEENS1_30default_config_static_selectorELNS0_4arch9wavefront6targetE1EEEvSY_
                                        ; -- End function
	.section	.AMDGPU.csdata,"",@progbits
; Kernel info:
; codeLenInByte = 0
; NumSgprs: 4
; NumVgprs: 0
; NumAgprs: 0
; TotalNumVgprs: 0
; ScratchSize: 0
; MemoryBound: 0
; FloatMode: 240
; IeeeMode: 1
; LDSByteSize: 0 bytes/workgroup (compile time only)
; SGPRBlocks: 0
; VGPRBlocks: 0
; NumSGPRsForWavesPerEU: 4
; NumVGPRsForWavesPerEU: 1
; AccumOffset: 4
; Occupancy: 8
; WaveLimiterHint : 0
; COMPUTE_PGM_RSRC2:SCRATCH_EN: 0
; COMPUTE_PGM_RSRC2:USER_SGPR: 6
; COMPUTE_PGM_RSRC2:TRAP_HANDLER: 0
; COMPUTE_PGM_RSRC2:TGID_X_EN: 1
; COMPUTE_PGM_RSRC2:TGID_Y_EN: 0
; COMPUTE_PGM_RSRC2:TGID_Z_EN: 0
; COMPUTE_PGM_RSRC2:TIDIG_COMP_CNT: 0
; COMPUTE_PGM_RSRC3_GFX90A:ACCUM_OFFSET: 0
; COMPUTE_PGM_RSRC3_GFX90A:TG_SPLIT: 0
	.section	.text._ZN7rocprim17ROCPRIM_400000_NS6detail17trampoline_kernelINS0_13select_configILj256ELj13ELNS0_17block_load_methodE3ELS4_3ELS4_3ELNS0_20block_scan_algorithmE0ELj4294967295EEENS1_25partition_config_selectorILNS1_17partition_subalgoE3EjNS0_10empty_typeEbEEZZNS1_14partition_implILS8_3ELb0ES6_jNS0_17counting_iteratorIjlEEPS9_SE_NS0_5tupleIJPjSE_EEENSF_IJSE_SE_EEES9_SG_JZNS1_25segmented_radix_sort_implINS0_14default_configELb1EPKaPaPKlPlN2at6native12_GLOBAL__N_18offset_tEEE10hipError_tPvRmT1_PNSt15iterator_traitsISY_E10value_typeET2_T3_PNSZ_IS14_E10value_typeET4_jRbjT5_S1A_jjP12ihipStream_tbEUljE_EEESV_SW_SX_S14_S18_S1A_T6_T7_T9_mT8_S1C_bDpT10_ENKUlT_T0_E_clISt17integral_constantIbLb1EES1O_IbLb0EEEEDaS1K_S1L_EUlS1K_E_NS1_11comp_targetILNS1_3genE2ELNS1_11target_archE906ELNS1_3gpuE6ELNS1_3repE0EEENS1_30default_config_static_selectorELNS0_4arch9wavefront6targetE1EEEvSY_,"axG",@progbits,_ZN7rocprim17ROCPRIM_400000_NS6detail17trampoline_kernelINS0_13select_configILj256ELj13ELNS0_17block_load_methodE3ELS4_3ELS4_3ELNS0_20block_scan_algorithmE0ELj4294967295EEENS1_25partition_config_selectorILNS1_17partition_subalgoE3EjNS0_10empty_typeEbEEZZNS1_14partition_implILS8_3ELb0ES6_jNS0_17counting_iteratorIjlEEPS9_SE_NS0_5tupleIJPjSE_EEENSF_IJSE_SE_EEES9_SG_JZNS1_25segmented_radix_sort_implINS0_14default_configELb1EPKaPaPKlPlN2at6native12_GLOBAL__N_18offset_tEEE10hipError_tPvRmT1_PNSt15iterator_traitsISY_E10value_typeET2_T3_PNSZ_IS14_E10value_typeET4_jRbjT5_S1A_jjP12ihipStream_tbEUljE_EEESV_SW_SX_S14_S18_S1A_T6_T7_T9_mT8_S1C_bDpT10_ENKUlT_T0_E_clISt17integral_constantIbLb1EES1O_IbLb0EEEEDaS1K_S1L_EUlS1K_E_NS1_11comp_targetILNS1_3genE2ELNS1_11target_archE906ELNS1_3gpuE6ELNS1_3repE0EEENS1_30default_config_static_selectorELNS0_4arch9wavefront6targetE1EEEvSY_,comdat
	.globl	_ZN7rocprim17ROCPRIM_400000_NS6detail17trampoline_kernelINS0_13select_configILj256ELj13ELNS0_17block_load_methodE3ELS4_3ELS4_3ELNS0_20block_scan_algorithmE0ELj4294967295EEENS1_25partition_config_selectorILNS1_17partition_subalgoE3EjNS0_10empty_typeEbEEZZNS1_14partition_implILS8_3ELb0ES6_jNS0_17counting_iteratorIjlEEPS9_SE_NS0_5tupleIJPjSE_EEENSF_IJSE_SE_EEES9_SG_JZNS1_25segmented_radix_sort_implINS0_14default_configELb1EPKaPaPKlPlN2at6native12_GLOBAL__N_18offset_tEEE10hipError_tPvRmT1_PNSt15iterator_traitsISY_E10value_typeET2_T3_PNSZ_IS14_E10value_typeET4_jRbjT5_S1A_jjP12ihipStream_tbEUljE_EEESV_SW_SX_S14_S18_S1A_T6_T7_T9_mT8_S1C_bDpT10_ENKUlT_T0_E_clISt17integral_constantIbLb1EES1O_IbLb0EEEEDaS1K_S1L_EUlS1K_E_NS1_11comp_targetILNS1_3genE2ELNS1_11target_archE906ELNS1_3gpuE6ELNS1_3repE0EEENS1_30default_config_static_selectorELNS0_4arch9wavefront6targetE1EEEvSY_ ; -- Begin function _ZN7rocprim17ROCPRIM_400000_NS6detail17trampoline_kernelINS0_13select_configILj256ELj13ELNS0_17block_load_methodE3ELS4_3ELS4_3ELNS0_20block_scan_algorithmE0ELj4294967295EEENS1_25partition_config_selectorILNS1_17partition_subalgoE3EjNS0_10empty_typeEbEEZZNS1_14partition_implILS8_3ELb0ES6_jNS0_17counting_iteratorIjlEEPS9_SE_NS0_5tupleIJPjSE_EEENSF_IJSE_SE_EEES9_SG_JZNS1_25segmented_radix_sort_implINS0_14default_configELb1EPKaPaPKlPlN2at6native12_GLOBAL__N_18offset_tEEE10hipError_tPvRmT1_PNSt15iterator_traitsISY_E10value_typeET2_T3_PNSZ_IS14_E10value_typeET4_jRbjT5_S1A_jjP12ihipStream_tbEUljE_EEESV_SW_SX_S14_S18_S1A_T6_T7_T9_mT8_S1C_bDpT10_ENKUlT_T0_E_clISt17integral_constantIbLb1EES1O_IbLb0EEEEDaS1K_S1L_EUlS1K_E_NS1_11comp_targetILNS1_3genE2ELNS1_11target_archE906ELNS1_3gpuE6ELNS1_3repE0EEENS1_30default_config_static_selectorELNS0_4arch9wavefront6targetE1EEEvSY_
	.p2align	8
	.type	_ZN7rocprim17ROCPRIM_400000_NS6detail17trampoline_kernelINS0_13select_configILj256ELj13ELNS0_17block_load_methodE3ELS4_3ELS4_3ELNS0_20block_scan_algorithmE0ELj4294967295EEENS1_25partition_config_selectorILNS1_17partition_subalgoE3EjNS0_10empty_typeEbEEZZNS1_14partition_implILS8_3ELb0ES6_jNS0_17counting_iteratorIjlEEPS9_SE_NS0_5tupleIJPjSE_EEENSF_IJSE_SE_EEES9_SG_JZNS1_25segmented_radix_sort_implINS0_14default_configELb1EPKaPaPKlPlN2at6native12_GLOBAL__N_18offset_tEEE10hipError_tPvRmT1_PNSt15iterator_traitsISY_E10value_typeET2_T3_PNSZ_IS14_E10value_typeET4_jRbjT5_S1A_jjP12ihipStream_tbEUljE_EEESV_SW_SX_S14_S18_S1A_T6_T7_T9_mT8_S1C_bDpT10_ENKUlT_T0_E_clISt17integral_constantIbLb1EES1O_IbLb0EEEEDaS1K_S1L_EUlS1K_E_NS1_11comp_targetILNS1_3genE2ELNS1_11target_archE906ELNS1_3gpuE6ELNS1_3repE0EEENS1_30default_config_static_selectorELNS0_4arch9wavefront6targetE1EEEvSY_,@function
_ZN7rocprim17ROCPRIM_400000_NS6detail17trampoline_kernelINS0_13select_configILj256ELj13ELNS0_17block_load_methodE3ELS4_3ELS4_3ELNS0_20block_scan_algorithmE0ELj4294967295EEENS1_25partition_config_selectorILNS1_17partition_subalgoE3EjNS0_10empty_typeEbEEZZNS1_14partition_implILS8_3ELb0ES6_jNS0_17counting_iteratorIjlEEPS9_SE_NS0_5tupleIJPjSE_EEENSF_IJSE_SE_EEES9_SG_JZNS1_25segmented_radix_sort_implINS0_14default_configELb1EPKaPaPKlPlN2at6native12_GLOBAL__N_18offset_tEEE10hipError_tPvRmT1_PNSt15iterator_traitsISY_E10value_typeET2_T3_PNSZ_IS14_E10value_typeET4_jRbjT5_S1A_jjP12ihipStream_tbEUljE_EEESV_SW_SX_S14_S18_S1A_T6_T7_T9_mT8_S1C_bDpT10_ENKUlT_T0_E_clISt17integral_constantIbLb1EES1O_IbLb0EEEEDaS1K_S1L_EUlS1K_E_NS1_11comp_targetILNS1_3genE2ELNS1_11target_archE906ELNS1_3gpuE6ELNS1_3repE0EEENS1_30default_config_static_selectorELNS0_4arch9wavefront6targetE1EEEvSY_: ; @_ZN7rocprim17ROCPRIM_400000_NS6detail17trampoline_kernelINS0_13select_configILj256ELj13ELNS0_17block_load_methodE3ELS4_3ELS4_3ELNS0_20block_scan_algorithmE0ELj4294967295EEENS1_25partition_config_selectorILNS1_17partition_subalgoE3EjNS0_10empty_typeEbEEZZNS1_14partition_implILS8_3ELb0ES6_jNS0_17counting_iteratorIjlEEPS9_SE_NS0_5tupleIJPjSE_EEENSF_IJSE_SE_EEES9_SG_JZNS1_25segmented_radix_sort_implINS0_14default_configELb1EPKaPaPKlPlN2at6native12_GLOBAL__N_18offset_tEEE10hipError_tPvRmT1_PNSt15iterator_traitsISY_E10value_typeET2_T3_PNSZ_IS14_E10value_typeET4_jRbjT5_S1A_jjP12ihipStream_tbEUljE_EEESV_SW_SX_S14_S18_S1A_T6_T7_T9_mT8_S1C_bDpT10_ENKUlT_T0_E_clISt17integral_constantIbLb1EES1O_IbLb0EEEEDaS1K_S1L_EUlS1K_E_NS1_11comp_targetILNS1_3genE2ELNS1_11target_archE906ELNS1_3gpuE6ELNS1_3repE0EEENS1_30default_config_static_selectorELNS0_4arch9wavefront6targetE1EEEvSY_
; %bb.0:
	.section	.rodata,"a",@progbits
	.p2align	6, 0x0
	.amdhsa_kernel _ZN7rocprim17ROCPRIM_400000_NS6detail17trampoline_kernelINS0_13select_configILj256ELj13ELNS0_17block_load_methodE3ELS4_3ELS4_3ELNS0_20block_scan_algorithmE0ELj4294967295EEENS1_25partition_config_selectorILNS1_17partition_subalgoE3EjNS0_10empty_typeEbEEZZNS1_14partition_implILS8_3ELb0ES6_jNS0_17counting_iteratorIjlEEPS9_SE_NS0_5tupleIJPjSE_EEENSF_IJSE_SE_EEES9_SG_JZNS1_25segmented_radix_sort_implINS0_14default_configELb1EPKaPaPKlPlN2at6native12_GLOBAL__N_18offset_tEEE10hipError_tPvRmT1_PNSt15iterator_traitsISY_E10value_typeET2_T3_PNSZ_IS14_E10value_typeET4_jRbjT5_S1A_jjP12ihipStream_tbEUljE_EEESV_SW_SX_S14_S18_S1A_T6_T7_T9_mT8_S1C_bDpT10_ENKUlT_T0_E_clISt17integral_constantIbLb1EES1O_IbLb0EEEEDaS1K_S1L_EUlS1K_E_NS1_11comp_targetILNS1_3genE2ELNS1_11target_archE906ELNS1_3gpuE6ELNS1_3repE0EEENS1_30default_config_static_selectorELNS0_4arch9wavefront6targetE1EEEvSY_
		.amdhsa_group_segment_fixed_size 0
		.amdhsa_private_segment_fixed_size 0
		.amdhsa_kernarg_size 144
		.amdhsa_user_sgpr_count 6
		.amdhsa_user_sgpr_private_segment_buffer 1
		.amdhsa_user_sgpr_dispatch_ptr 0
		.amdhsa_user_sgpr_queue_ptr 0
		.amdhsa_user_sgpr_kernarg_segment_ptr 1
		.amdhsa_user_sgpr_dispatch_id 0
		.amdhsa_user_sgpr_flat_scratch_init 0
		.amdhsa_user_sgpr_kernarg_preload_length 0
		.amdhsa_user_sgpr_kernarg_preload_offset 0
		.amdhsa_user_sgpr_private_segment_size 0
		.amdhsa_uses_dynamic_stack 0
		.amdhsa_system_sgpr_private_segment_wavefront_offset 0
		.amdhsa_system_sgpr_workgroup_id_x 1
		.amdhsa_system_sgpr_workgroup_id_y 0
		.amdhsa_system_sgpr_workgroup_id_z 0
		.amdhsa_system_sgpr_workgroup_info 0
		.amdhsa_system_vgpr_workitem_id 0
		.amdhsa_next_free_vgpr 1
		.amdhsa_next_free_sgpr 0
		.amdhsa_accum_offset 4
		.amdhsa_reserve_vcc 0
		.amdhsa_reserve_flat_scratch 0
		.amdhsa_float_round_mode_32 0
		.amdhsa_float_round_mode_16_64 0
		.amdhsa_float_denorm_mode_32 3
		.amdhsa_float_denorm_mode_16_64 3
		.amdhsa_dx10_clamp 1
		.amdhsa_ieee_mode 1
		.amdhsa_fp16_overflow 0
		.amdhsa_tg_split 0
		.amdhsa_exception_fp_ieee_invalid_op 0
		.amdhsa_exception_fp_denorm_src 0
		.amdhsa_exception_fp_ieee_div_zero 0
		.amdhsa_exception_fp_ieee_overflow 0
		.amdhsa_exception_fp_ieee_underflow 0
		.amdhsa_exception_fp_ieee_inexact 0
		.amdhsa_exception_int_div_zero 0
	.end_amdhsa_kernel
	.section	.text._ZN7rocprim17ROCPRIM_400000_NS6detail17trampoline_kernelINS0_13select_configILj256ELj13ELNS0_17block_load_methodE3ELS4_3ELS4_3ELNS0_20block_scan_algorithmE0ELj4294967295EEENS1_25partition_config_selectorILNS1_17partition_subalgoE3EjNS0_10empty_typeEbEEZZNS1_14partition_implILS8_3ELb0ES6_jNS0_17counting_iteratorIjlEEPS9_SE_NS0_5tupleIJPjSE_EEENSF_IJSE_SE_EEES9_SG_JZNS1_25segmented_radix_sort_implINS0_14default_configELb1EPKaPaPKlPlN2at6native12_GLOBAL__N_18offset_tEEE10hipError_tPvRmT1_PNSt15iterator_traitsISY_E10value_typeET2_T3_PNSZ_IS14_E10value_typeET4_jRbjT5_S1A_jjP12ihipStream_tbEUljE_EEESV_SW_SX_S14_S18_S1A_T6_T7_T9_mT8_S1C_bDpT10_ENKUlT_T0_E_clISt17integral_constantIbLb1EES1O_IbLb0EEEEDaS1K_S1L_EUlS1K_E_NS1_11comp_targetILNS1_3genE2ELNS1_11target_archE906ELNS1_3gpuE6ELNS1_3repE0EEENS1_30default_config_static_selectorELNS0_4arch9wavefront6targetE1EEEvSY_,"axG",@progbits,_ZN7rocprim17ROCPRIM_400000_NS6detail17trampoline_kernelINS0_13select_configILj256ELj13ELNS0_17block_load_methodE3ELS4_3ELS4_3ELNS0_20block_scan_algorithmE0ELj4294967295EEENS1_25partition_config_selectorILNS1_17partition_subalgoE3EjNS0_10empty_typeEbEEZZNS1_14partition_implILS8_3ELb0ES6_jNS0_17counting_iteratorIjlEEPS9_SE_NS0_5tupleIJPjSE_EEENSF_IJSE_SE_EEES9_SG_JZNS1_25segmented_radix_sort_implINS0_14default_configELb1EPKaPaPKlPlN2at6native12_GLOBAL__N_18offset_tEEE10hipError_tPvRmT1_PNSt15iterator_traitsISY_E10value_typeET2_T3_PNSZ_IS14_E10value_typeET4_jRbjT5_S1A_jjP12ihipStream_tbEUljE_EEESV_SW_SX_S14_S18_S1A_T6_T7_T9_mT8_S1C_bDpT10_ENKUlT_T0_E_clISt17integral_constantIbLb1EES1O_IbLb0EEEEDaS1K_S1L_EUlS1K_E_NS1_11comp_targetILNS1_3genE2ELNS1_11target_archE906ELNS1_3gpuE6ELNS1_3repE0EEENS1_30default_config_static_selectorELNS0_4arch9wavefront6targetE1EEEvSY_,comdat
.Lfunc_end278:
	.size	_ZN7rocprim17ROCPRIM_400000_NS6detail17trampoline_kernelINS0_13select_configILj256ELj13ELNS0_17block_load_methodE3ELS4_3ELS4_3ELNS0_20block_scan_algorithmE0ELj4294967295EEENS1_25partition_config_selectorILNS1_17partition_subalgoE3EjNS0_10empty_typeEbEEZZNS1_14partition_implILS8_3ELb0ES6_jNS0_17counting_iteratorIjlEEPS9_SE_NS0_5tupleIJPjSE_EEENSF_IJSE_SE_EEES9_SG_JZNS1_25segmented_radix_sort_implINS0_14default_configELb1EPKaPaPKlPlN2at6native12_GLOBAL__N_18offset_tEEE10hipError_tPvRmT1_PNSt15iterator_traitsISY_E10value_typeET2_T3_PNSZ_IS14_E10value_typeET4_jRbjT5_S1A_jjP12ihipStream_tbEUljE_EEESV_SW_SX_S14_S18_S1A_T6_T7_T9_mT8_S1C_bDpT10_ENKUlT_T0_E_clISt17integral_constantIbLb1EES1O_IbLb0EEEEDaS1K_S1L_EUlS1K_E_NS1_11comp_targetILNS1_3genE2ELNS1_11target_archE906ELNS1_3gpuE6ELNS1_3repE0EEENS1_30default_config_static_selectorELNS0_4arch9wavefront6targetE1EEEvSY_, .Lfunc_end278-_ZN7rocprim17ROCPRIM_400000_NS6detail17trampoline_kernelINS0_13select_configILj256ELj13ELNS0_17block_load_methodE3ELS4_3ELS4_3ELNS0_20block_scan_algorithmE0ELj4294967295EEENS1_25partition_config_selectorILNS1_17partition_subalgoE3EjNS0_10empty_typeEbEEZZNS1_14partition_implILS8_3ELb0ES6_jNS0_17counting_iteratorIjlEEPS9_SE_NS0_5tupleIJPjSE_EEENSF_IJSE_SE_EEES9_SG_JZNS1_25segmented_radix_sort_implINS0_14default_configELb1EPKaPaPKlPlN2at6native12_GLOBAL__N_18offset_tEEE10hipError_tPvRmT1_PNSt15iterator_traitsISY_E10value_typeET2_T3_PNSZ_IS14_E10value_typeET4_jRbjT5_S1A_jjP12ihipStream_tbEUljE_EEESV_SW_SX_S14_S18_S1A_T6_T7_T9_mT8_S1C_bDpT10_ENKUlT_T0_E_clISt17integral_constantIbLb1EES1O_IbLb0EEEEDaS1K_S1L_EUlS1K_E_NS1_11comp_targetILNS1_3genE2ELNS1_11target_archE906ELNS1_3gpuE6ELNS1_3repE0EEENS1_30default_config_static_selectorELNS0_4arch9wavefront6targetE1EEEvSY_
                                        ; -- End function
	.section	.AMDGPU.csdata,"",@progbits
; Kernel info:
; codeLenInByte = 0
; NumSgprs: 4
; NumVgprs: 0
; NumAgprs: 0
; TotalNumVgprs: 0
; ScratchSize: 0
; MemoryBound: 0
; FloatMode: 240
; IeeeMode: 1
; LDSByteSize: 0 bytes/workgroup (compile time only)
; SGPRBlocks: 0
; VGPRBlocks: 0
; NumSGPRsForWavesPerEU: 4
; NumVGPRsForWavesPerEU: 1
; AccumOffset: 4
; Occupancy: 8
; WaveLimiterHint : 0
; COMPUTE_PGM_RSRC2:SCRATCH_EN: 0
; COMPUTE_PGM_RSRC2:USER_SGPR: 6
; COMPUTE_PGM_RSRC2:TRAP_HANDLER: 0
; COMPUTE_PGM_RSRC2:TGID_X_EN: 1
; COMPUTE_PGM_RSRC2:TGID_Y_EN: 0
; COMPUTE_PGM_RSRC2:TGID_Z_EN: 0
; COMPUTE_PGM_RSRC2:TIDIG_COMP_CNT: 0
; COMPUTE_PGM_RSRC3_GFX90A:ACCUM_OFFSET: 0
; COMPUTE_PGM_RSRC3_GFX90A:TG_SPLIT: 0
	.section	.text._ZN7rocprim17ROCPRIM_400000_NS6detail17trampoline_kernelINS0_13select_configILj256ELj13ELNS0_17block_load_methodE3ELS4_3ELS4_3ELNS0_20block_scan_algorithmE0ELj4294967295EEENS1_25partition_config_selectorILNS1_17partition_subalgoE3EjNS0_10empty_typeEbEEZZNS1_14partition_implILS8_3ELb0ES6_jNS0_17counting_iteratorIjlEEPS9_SE_NS0_5tupleIJPjSE_EEENSF_IJSE_SE_EEES9_SG_JZNS1_25segmented_radix_sort_implINS0_14default_configELb1EPKaPaPKlPlN2at6native12_GLOBAL__N_18offset_tEEE10hipError_tPvRmT1_PNSt15iterator_traitsISY_E10value_typeET2_T3_PNSZ_IS14_E10value_typeET4_jRbjT5_S1A_jjP12ihipStream_tbEUljE_EEESV_SW_SX_S14_S18_S1A_T6_T7_T9_mT8_S1C_bDpT10_ENKUlT_T0_E_clISt17integral_constantIbLb1EES1O_IbLb0EEEEDaS1K_S1L_EUlS1K_E_NS1_11comp_targetILNS1_3genE10ELNS1_11target_archE1200ELNS1_3gpuE4ELNS1_3repE0EEENS1_30default_config_static_selectorELNS0_4arch9wavefront6targetE1EEEvSY_,"axG",@progbits,_ZN7rocprim17ROCPRIM_400000_NS6detail17trampoline_kernelINS0_13select_configILj256ELj13ELNS0_17block_load_methodE3ELS4_3ELS4_3ELNS0_20block_scan_algorithmE0ELj4294967295EEENS1_25partition_config_selectorILNS1_17partition_subalgoE3EjNS0_10empty_typeEbEEZZNS1_14partition_implILS8_3ELb0ES6_jNS0_17counting_iteratorIjlEEPS9_SE_NS0_5tupleIJPjSE_EEENSF_IJSE_SE_EEES9_SG_JZNS1_25segmented_radix_sort_implINS0_14default_configELb1EPKaPaPKlPlN2at6native12_GLOBAL__N_18offset_tEEE10hipError_tPvRmT1_PNSt15iterator_traitsISY_E10value_typeET2_T3_PNSZ_IS14_E10value_typeET4_jRbjT5_S1A_jjP12ihipStream_tbEUljE_EEESV_SW_SX_S14_S18_S1A_T6_T7_T9_mT8_S1C_bDpT10_ENKUlT_T0_E_clISt17integral_constantIbLb1EES1O_IbLb0EEEEDaS1K_S1L_EUlS1K_E_NS1_11comp_targetILNS1_3genE10ELNS1_11target_archE1200ELNS1_3gpuE4ELNS1_3repE0EEENS1_30default_config_static_selectorELNS0_4arch9wavefront6targetE1EEEvSY_,comdat
	.globl	_ZN7rocprim17ROCPRIM_400000_NS6detail17trampoline_kernelINS0_13select_configILj256ELj13ELNS0_17block_load_methodE3ELS4_3ELS4_3ELNS0_20block_scan_algorithmE0ELj4294967295EEENS1_25partition_config_selectorILNS1_17partition_subalgoE3EjNS0_10empty_typeEbEEZZNS1_14partition_implILS8_3ELb0ES6_jNS0_17counting_iteratorIjlEEPS9_SE_NS0_5tupleIJPjSE_EEENSF_IJSE_SE_EEES9_SG_JZNS1_25segmented_radix_sort_implINS0_14default_configELb1EPKaPaPKlPlN2at6native12_GLOBAL__N_18offset_tEEE10hipError_tPvRmT1_PNSt15iterator_traitsISY_E10value_typeET2_T3_PNSZ_IS14_E10value_typeET4_jRbjT5_S1A_jjP12ihipStream_tbEUljE_EEESV_SW_SX_S14_S18_S1A_T6_T7_T9_mT8_S1C_bDpT10_ENKUlT_T0_E_clISt17integral_constantIbLb1EES1O_IbLb0EEEEDaS1K_S1L_EUlS1K_E_NS1_11comp_targetILNS1_3genE10ELNS1_11target_archE1200ELNS1_3gpuE4ELNS1_3repE0EEENS1_30default_config_static_selectorELNS0_4arch9wavefront6targetE1EEEvSY_ ; -- Begin function _ZN7rocprim17ROCPRIM_400000_NS6detail17trampoline_kernelINS0_13select_configILj256ELj13ELNS0_17block_load_methodE3ELS4_3ELS4_3ELNS0_20block_scan_algorithmE0ELj4294967295EEENS1_25partition_config_selectorILNS1_17partition_subalgoE3EjNS0_10empty_typeEbEEZZNS1_14partition_implILS8_3ELb0ES6_jNS0_17counting_iteratorIjlEEPS9_SE_NS0_5tupleIJPjSE_EEENSF_IJSE_SE_EEES9_SG_JZNS1_25segmented_radix_sort_implINS0_14default_configELb1EPKaPaPKlPlN2at6native12_GLOBAL__N_18offset_tEEE10hipError_tPvRmT1_PNSt15iterator_traitsISY_E10value_typeET2_T3_PNSZ_IS14_E10value_typeET4_jRbjT5_S1A_jjP12ihipStream_tbEUljE_EEESV_SW_SX_S14_S18_S1A_T6_T7_T9_mT8_S1C_bDpT10_ENKUlT_T0_E_clISt17integral_constantIbLb1EES1O_IbLb0EEEEDaS1K_S1L_EUlS1K_E_NS1_11comp_targetILNS1_3genE10ELNS1_11target_archE1200ELNS1_3gpuE4ELNS1_3repE0EEENS1_30default_config_static_selectorELNS0_4arch9wavefront6targetE1EEEvSY_
	.p2align	8
	.type	_ZN7rocprim17ROCPRIM_400000_NS6detail17trampoline_kernelINS0_13select_configILj256ELj13ELNS0_17block_load_methodE3ELS4_3ELS4_3ELNS0_20block_scan_algorithmE0ELj4294967295EEENS1_25partition_config_selectorILNS1_17partition_subalgoE3EjNS0_10empty_typeEbEEZZNS1_14partition_implILS8_3ELb0ES6_jNS0_17counting_iteratorIjlEEPS9_SE_NS0_5tupleIJPjSE_EEENSF_IJSE_SE_EEES9_SG_JZNS1_25segmented_radix_sort_implINS0_14default_configELb1EPKaPaPKlPlN2at6native12_GLOBAL__N_18offset_tEEE10hipError_tPvRmT1_PNSt15iterator_traitsISY_E10value_typeET2_T3_PNSZ_IS14_E10value_typeET4_jRbjT5_S1A_jjP12ihipStream_tbEUljE_EEESV_SW_SX_S14_S18_S1A_T6_T7_T9_mT8_S1C_bDpT10_ENKUlT_T0_E_clISt17integral_constantIbLb1EES1O_IbLb0EEEEDaS1K_S1L_EUlS1K_E_NS1_11comp_targetILNS1_3genE10ELNS1_11target_archE1200ELNS1_3gpuE4ELNS1_3repE0EEENS1_30default_config_static_selectorELNS0_4arch9wavefront6targetE1EEEvSY_,@function
_ZN7rocprim17ROCPRIM_400000_NS6detail17trampoline_kernelINS0_13select_configILj256ELj13ELNS0_17block_load_methodE3ELS4_3ELS4_3ELNS0_20block_scan_algorithmE0ELj4294967295EEENS1_25partition_config_selectorILNS1_17partition_subalgoE3EjNS0_10empty_typeEbEEZZNS1_14partition_implILS8_3ELb0ES6_jNS0_17counting_iteratorIjlEEPS9_SE_NS0_5tupleIJPjSE_EEENSF_IJSE_SE_EEES9_SG_JZNS1_25segmented_radix_sort_implINS0_14default_configELb1EPKaPaPKlPlN2at6native12_GLOBAL__N_18offset_tEEE10hipError_tPvRmT1_PNSt15iterator_traitsISY_E10value_typeET2_T3_PNSZ_IS14_E10value_typeET4_jRbjT5_S1A_jjP12ihipStream_tbEUljE_EEESV_SW_SX_S14_S18_S1A_T6_T7_T9_mT8_S1C_bDpT10_ENKUlT_T0_E_clISt17integral_constantIbLb1EES1O_IbLb0EEEEDaS1K_S1L_EUlS1K_E_NS1_11comp_targetILNS1_3genE10ELNS1_11target_archE1200ELNS1_3gpuE4ELNS1_3repE0EEENS1_30default_config_static_selectorELNS0_4arch9wavefront6targetE1EEEvSY_: ; @_ZN7rocprim17ROCPRIM_400000_NS6detail17trampoline_kernelINS0_13select_configILj256ELj13ELNS0_17block_load_methodE3ELS4_3ELS4_3ELNS0_20block_scan_algorithmE0ELj4294967295EEENS1_25partition_config_selectorILNS1_17partition_subalgoE3EjNS0_10empty_typeEbEEZZNS1_14partition_implILS8_3ELb0ES6_jNS0_17counting_iteratorIjlEEPS9_SE_NS0_5tupleIJPjSE_EEENSF_IJSE_SE_EEES9_SG_JZNS1_25segmented_radix_sort_implINS0_14default_configELb1EPKaPaPKlPlN2at6native12_GLOBAL__N_18offset_tEEE10hipError_tPvRmT1_PNSt15iterator_traitsISY_E10value_typeET2_T3_PNSZ_IS14_E10value_typeET4_jRbjT5_S1A_jjP12ihipStream_tbEUljE_EEESV_SW_SX_S14_S18_S1A_T6_T7_T9_mT8_S1C_bDpT10_ENKUlT_T0_E_clISt17integral_constantIbLb1EES1O_IbLb0EEEEDaS1K_S1L_EUlS1K_E_NS1_11comp_targetILNS1_3genE10ELNS1_11target_archE1200ELNS1_3gpuE4ELNS1_3repE0EEENS1_30default_config_static_selectorELNS0_4arch9wavefront6targetE1EEEvSY_
; %bb.0:
	.section	.rodata,"a",@progbits
	.p2align	6, 0x0
	.amdhsa_kernel _ZN7rocprim17ROCPRIM_400000_NS6detail17trampoline_kernelINS0_13select_configILj256ELj13ELNS0_17block_load_methodE3ELS4_3ELS4_3ELNS0_20block_scan_algorithmE0ELj4294967295EEENS1_25partition_config_selectorILNS1_17partition_subalgoE3EjNS0_10empty_typeEbEEZZNS1_14partition_implILS8_3ELb0ES6_jNS0_17counting_iteratorIjlEEPS9_SE_NS0_5tupleIJPjSE_EEENSF_IJSE_SE_EEES9_SG_JZNS1_25segmented_radix_sort_implINS0_14default_configELb1EPKaPaPKlPlN2at6native12_GLOBAL__N_18offset_tEEE10hipError_tPvRmT1_PNSt15iterator_traitsISY_E10value_typeET2_T3_PNSZ_IS14_E10value_typeET4_jRbjT5_S1A_jjP12ihipStream_tbEUljE_EEESV_SW_SX_S14_S18_S1A_T6_T7_T9_mT8_S1C_bDpT10_ENKUlT_T0_E_clISt17integral_constantIbLb1EES1O_IbLb0EEEEDaS1K_S1L_EUlS1K_E_NS1_11comp_targetILNS1_3genE10ELNS1_11target_archE1200ELNS1_3gpuE4ELNS1_3repE0EEENS1_30default_config_static_selectorELNS0_4arch9wavefront6targetE1EEEvSY_
		.amdhsa_group_segment_fixed_size 0
		.amdhsa_private_segment_fixed_size 0
		.amdhsa_kernarg_size 144
		.amdhsa_user_sgpr_count 6
		.amdhsa_user_sgpr_private_segment_buffer 1
		.amdhsa_user_sgpr_dispatch_ptr 0
		.amdhsa_user_sgpr_queue_ptr 0
		.amdhsa_user_sgpr_kernarg_segment_ptr 1
		.amdhsa_user_sgpr_dispatch_id 0
		.amdhsa_user_sgpr_flat_scratch_init 0
		.amdhsa_user_sgpr_kernarg_preload_length 0
		.amdhsa_user_sgpr_kernarg_preload_offset 0
		.amdhsa_user_sgpr_private_segment_size 0
		.amdhsa_uses_dynamic_stack 0
		.amdhsa_system_sgpr_private_segment_wavefront_offset 0
		.amdhsa_system_sgpr_workgroup_id_x 1
		.amdhsa_system_sgpr_workgroup_id_y 0
		.amdhsa_system_sgpr_workgroup_id_z 0
		.amdhsa_system_sgpr_workgroup_info 0
		.amdhsa_system_vgpr_workitem_id 0
		.amdhsa_next_free_vgpr 1
		.amdhsa_next_free_sgpr 0
		.amdhsa_accum_offset 4
		.amdhsa_reserve_vcc 0
		.amdhsa_reserve_flat_scratch 0
		.amdhsa_float_round_mode_32 0
		.amdhsa_float_round_mode_16_64 0
		.amdhsa_float_denorm_mode_32 3
		.amdhsa_float_denorm_mode_16_64 3
		.amdhsa_dx10_clamp 1
		.amdhsa_ieee_mode 1
		.amdhsa_fp16_overflow 0
		.amdhsa_tg_split 0
		.amdhsa_exception_fp_ieee_invalid_op 0
		.amdhsa_exception_fp_denorm_src 0
		.amdhsa_exception_fp_ieee_div_zero 0
		.amdhsa_exception_fp_ieee_overflow 0
		.amdhsa_exception_fp_ieee_underflow 0
		.amdhsa_exception_fp_ieee_inexact 0
		.amdhsa_exception_int_div_zero 0
	.end_amdhsa_kernel
	.section	.text._ZN7rocprim17ROCPRIM_400000_NS6detail17trampoline_kernelINS0_13select_configILj256ELj13ELNS0_17block_load_methodE3ELS4_3ELS4_3ELNS0_20block_scan_algorithmE0ELj4294967295EEENS1_25partition_config_selectorILNS1_17partition_subalgoE3EjNS0_10empty_typeEbEEZZNS1_14partition_implILS8_3ELb0ES6_jNS0_17counting_iteratorIjlEEPS9_SE_NS0_5tupleIJPjSE_EEENSF_IJSE_SE_EEES9_SG_JZNS1_25segmented_radix_sort_implINS0_14default_configELb1EPKaPaPKlPlN2at6native12_GLOBAL__N_18offset_tEEE10hipError_tPvRmT1_PNSt15iterator_traitsISY_E10value_typeET2_T3_PNSZ_IS14_E10value_typeET4_jRbjT5_S1A_jjP12ihipStream_tbEUljE_EEESV_SW_SX_S14_S18_S1A_T6_T7_T9_mT8_S1C_bDpT10_ENKUlT_T0_E_clISt17integral_constantIbLb1EES1O_IbLb0EEEEDaS1K_S1L_EUlS1K_E_NS1_11comp_targetILNS1_3genE10ELNS1_11target_archE1200ELNS1_3gpuE4ELNS1_3repE0EEENS1_30default_config_static_selectorELNS0_4arch9wavefront6targetE1EEEvSY_,"axG",@progbits,_ZN7rocprim17ROCPRIM_400000_NS6detail17trampoline_kernelINS0_13select_configILj256ELj13ELNS0_17block_load_methodE3ELS4_3ELS4_3ELNS0_20block_scan_algorithmE0ELj4294967295EEENS1_25partition_config_selectorILNS1_17partition_subalgoE3EjNS0_10empty_typeEbEEZZNS1_14partition_implILS8_3ELb0ES6_jNS0_17counting_iteratorIjlEEPS9_SE_NS0_5tupleIJPjSE_EEENSF_IJSE_SE_EEES9_SG_JZNS1_25segmented_radix_sort_implINS0_14default_configELb1EPKaPaPKlPlN2at6native12_GLOBAL__N_18offset_tEEE10hipError_tPvRmT1_PNSt15iterator_traitsISY_E10value_typeET2_T3_PNSZ_IS14_E10value_typeET4_jRbjT5_S1A_jjP12ihipStream_tbEUljE_EEESV_SW_SX_S14_S18_S1A_T6_T7_T9_mT8_S1C_bDpT10_ENKUlT_T0_E_clISt17integral_constantIbLb1EES1O_IbLb0EEEEDaS1K_S1L_EUlS1K_E_NS1_11comp_targetILNS1_3genE10ELNS1_11target_archE1200ELNS1_3gpuE4ELNS1_3repE0EEENS1_30default_config_static_selectorELNS0_4arch9wavefront6targetE1EEEvSY_,comdat
.Lfunc_end279:
	.size	_ZN7rocprim17ROCPRIM_400000_NS6detail17trampoline_kernelINS0_13select_configILj256ELj13ELNS0_17block_load_methodE3ELS4_3ELS4_3ELNS0_20block_scan_algorithmE0ELj4294967295EEENS1_25partition_config_selectorILNS1_17partition_subalgoE3EjNS0_10empty_typeEbEEZZNS1_14partition_implILS8_3ELb0ES6_jNS0_17counting_iteratorIjlEEPS9_SE_NS0_5tupleIJPjSE_EEENSF_IJSE_SE_EEES9_SG_JZNS1_25segmented_radix_sort_implINS0_14default_configELb1EPKaPaPKlPlN2at6native12_GLOBAL__N_18offset_tEEE10hipError_tPvRmT1_PNSt15iterator_traitsISY_E10value_typeET2_T3_PNSZ_IS14_E10value_typeET4_jRbjT5_S1A_jjP12ihipStream_tbEUljE_EEESV_SW_SX_S14_S18_S1A_T6_T7_T9_mT8_S1C_bDpT10_ENKUlT_T0_E_clISt17integral_constantIbLb1EES1O_IbLb0EEEEDaS1K_S1L_EUlS1K_E_NS1_11comp_targetILNS1_3genE10ELNS1_11target_archE1200ELNS1_3gpuE4ELNS1_3repE0EEENS1_30default_config_static_selectorELNS0_4arch9wavefront6targetE1EEEvSY_, .Lfunc_end279-_ZN7rocprim17ROCPRIM_400000_NS6detail17trampoline_kernelINS0_13select_configILj256ELj13ELNS0_17block_load_methodE3ELS4_3ELS4_3ELNS0_20block_scan_algorithmE0ELj4294967295EEENS1_25partition_config_selectorILNS1_17partition_subalgoE3EjNS0_10empty_typeEbEEZZNS1_14partition_implILS8_3ELb0ES6_jNS0_17counting_iteratorIjlEEPS9_SE_NS0_5tupleIJPjSE_EEENSF_IJSE_SE_EEES9_SG_JZNS1_25segmented_radix_sort_implINS0_14default_configELb1EPKaPaPKlPlN2at6native12_GLOBAL__N_18offset_tEEE10hipError_tPvRmT1_PNSt15iterator_traitsISY_E10value_typeET2_T3_PNSZ_IS14_E10value_typeET4_jRbjT5_S1A_jjP12ihipStream_tbEUljE_EEESV_SW_SX_S14_S18_S1A_T6_T7_T9_mT8_S1C_bDpT10_ENKUlT_T0_E_clISt17integral_constantIbLb1EES1O_IbLb0EEEEDaS1K_S1L_EUlS1K_E_NS1_11comp_targetILNS1_3genE10ELNS1_11target_archE1200ELNS1_3gpuE4ELNS1_3repE0EEENS1_30default_config_static_selectorELNS0_4arch9wavefront6targetE1EEEvSY_
                                        ; -- End function
	.section	.AMDGPU.csdata,"",@progbits
; Kernel info:
; codeLenInByte = 0
; NumSgprs: 4
; NumVgprs: 0
; NumAgprs: 0
; TotalNumVgprs: 0
; ScratchSize: 0
; MemoryBound: 0
; FloatMode: 240
; IeeeMode: 1
; LDSByteSize: 0 bytes/workgroup (compile time only)
; SGPRBlocks: 0
; VGPRBlocks: 0
; NumSGPRsForWavesPerEU: 4
; NumVGPRsForWavesPerEU: 1
; AccumOffset: 4
; Occupancy: 8
; WaveLimiterHint : 0
; COMPUTE_PGM_RSRC2:SCRATCH_EN: 0
; COMPUTE_PGM_RSRC2:USER_SGPR: 6
; COMPUTE_PGM_RSRC2:TRAP_HANDLER: 0
; COMPUTE_PGM_RSRC2:TGID_X_EN: 1
; COMPUTE_PGM_RSRC2:TGID_Y_EN: 0
; COMPUTE_PGM_RSRC2:TGID_Z_EN: 0
; COMPUTE_PGM_RSRC2:TIDIG_COMP_CNT: 0
; COMPUTE_PGM_RSRC3_GFX90A:ACCUM_OFFSET: 0
; COMPUTE_PGM_RSRC3_GFX90A:TG_SPLIT: 0
	.section	.text._ZN7rocprim17ROCPRIM_400000_NS6detail17trampoline_kernelINS0_13select_configILj256ELj13ELNS0_17block_load_methodE3ELS4_3ELS4_3ELNS0_20block_scan_algorithmE0ELj4294967295EEENS1_25partition_config_selectorILNS1_17partition_subalgoE3EjNS0_10empty_typeEbEEZZNS1_14partition_implILS8_3ELb0ES6_jNS0_17counting_iteratorIjlEEPS9_SE_NS0_5tupleIJPjSE_EEENSF_IJSE_SE_EEES9_SG_JZNS1_25segmented_radix_sort_implINS0_14default_configELb1EPKaPaPKlPlN2at6native12_GLOBAL__N_18offset_tEEE10hipError_tPvRmT1_PNSt15iterator_traitsISY_E10value_typeET2_T3_PNSZ_IS14_E10value_typeET4_jRbjT5_S1A_jjP12ihipStream_tbEUljE_EEESV_SW_SX_S14_S18_S1A_T6_T7_T9_mT8_S1C_bDpT10_ENKUlT_T0_E_clISt17integral_constantIbLb1EES1O_IbLb0EEEEDaS1K_S1L_EUlS1K_E_NS1_11comp_targetILNS1_3genE9ELNS1_11target_archE1100ELNS1_3gpuE3ELNS1_3repE0EEENS1_30default_config_static_selectorELNS0_4arch9wavefront6targetE1EEEvSY_,"axG",@progbits,_ZN7rocprim17ROCPRIM_400000_NS6detail17trampoline_kernelINS0_13select_configILj256ELj13ELNS0_17block_load_methodE3ELS4_3ELS4_3ELNS0_20block_scan_algorithmE0ELj4294967295EEENS1_25partition_config_selectorILNS1_17partition_subalgoE3EjNS0_10empty_typeEbEEZZNS1_14partition_implILS8_3ELb0ES6_jNS0_17counting_iteratorIjlEEPS9_SE_NS0_5tupleIJPjSE_EEENSF_IJSE_SE_EEES9_SG_JZNS1_25segmented_radix_sort_implINS0_14default_configELb1EPKaPaPKlPlN2at6native12_GLOBAL__N_18offset_tEEE10hipError_tPvRmT1_PNSt15iterator_traitsISY_E10value_typeET2_T3_PNSZ_IS14_E10value_typeET4_jRbjT5_S1A_jjP12ihipStream_tbEUljE_EEESV_SW_SX_S14_S18_S1A_T6_T7_T9_mT8_S1C_bDpT10_ENKUlT_T0_E_clISt17integral_constantIbLb1EES1O_IbLb0EEEEDaS1K_S1L_EUlS1K_E_NS1_11comp_targetILNS1_3genE9ELNS1_11target_archE1100ELNS1_3gpuE3ELNS1_3repE0EEENS1_30default_config_static_selectorELNS0_4arch9wavefront6targetE1EEEvSY_,comdat
	.globl	_ZN7rocprim17ROCPRIM_400000_NS6detail17trampoline_kernelINS0_13select_configILj256ELj13ELNS0_17block_load_methodE3ELS4_3ELS4_3ELNS0_20block_scan_algorithmE0ELj4294967295EEENS1_25partition_config_selectorILNS1_17partition_subalgoE3EjNS0_10empty_typeEbEEZZNS1_14partition_implILS8_3ELb0ES6_jNS0_17counting_iteratorIjlEEPS9_SE_NS0_5tupleIJPjSE_EEENSF_IJSE_SE_EEES9_SG_JZNS1_25segmented_radix_sort_implINS0_14default_configELb1EPKaPaPKlPlN2at6native12_GLOBAL__N_18offset_tEEE10hipError_tPvRmT1_PNSt15iterator_traitsISY_E10value_typeET2_T3_PNSZ_IS14_E10value_typeET4_jRbjT5_S1A_jjP12ihipStream_tbEUljE_EEESV_SW_SX_S14_S18_S1A_T6_T7_T9_mT8_S1C_bDpT10_ENKUlT_T0_E_clISt17integral_constantIbLb1EES1O_IbLb0EEEEDaS1K_S1L_EUlS1K_E_NS1_11comp_targetILNS1_3genE9ELNS1_11target_archE1100ELNS1_3gpuE3ELNS1_3repE0EEENS1_30default_config_static_selectorELNS0_4arch9wavefront6targetE1EEEvSY_ ; -- Begin function _ZN7rocprim17ROCPRIM_400000_NS6detail17trampoline_kernelINS0_13select_configILj256ELj13ELNS0_17block_load_methodE3ELS4_3ELS4_3ELNS0_20block_scan_algorithmE0ELj4294967295EEENS1_25partition_config_selectorILNS1_17partition_subalgoE3EjNS0_10empty_typeEbEEZZNS1_14partition_implILS8_3ELb0ES6_jNS0_17counting_iteratorIjlEEPS9_SE_NS0_5tupleIJPjSE_EEENSF_IJSE_SE_EEES9_SG_JZNS1_25segmented_radix_sort_implINS0_14default_configELb1EPKaPaPKlPlN2at6native12_GLOBAL__N_18offset_tEEE10hipError_tPvRmT1_PNSt15iterator_traitsISY_E10value_typeET2_T3_PNSZ_IS14_E10value_typeET4_jRbjT5_S1A_jjP12ihipStream_tbEUljE_EEESV_SW_SX_S14_S18_S1A_T6_T7_T9_mT8_S1C_bDpT10_ENKUlT_T0_E_clISt17integral_constantIbLb1EES1O_IbLb0EEEEDaS1K_S1L_EUlS1K_E_NS1_11comp_targetILNS1_3genE9ELNS1_11target_archE1100ELNS1_3gpuE3ELNS1_3repE0EEENS1_30default_config_static_selectorELNS0_4arch9wavefront6targetE1EEEvSY_
	.p2align	8
	.type	_ZN7rocprim17ROCPRIM_400000_NS6detail17trampoline_kernelINS0_13select_configILj256ELj13ELNS0_17block_load_methodE3ELS4_3ELS4_3ELNS0_20block_scan_algorithmE0ELj4294967295EEENS1_25partition_config_selectorILNS1_17partition_subalgoE3EjNS0_10empty_typeEbEEZZNS1_14partition_implILS8_3ELb0ES6_jNS0_17counting_iteratorIjlEEPS9_SE_NS0_5tupleIJPjSE_EEENSF_IJSE_SE_EEES9_SG_JZNS1_25segmented_radix_sort_implINS0_14default_configELb1EPKaPaPKlPlN2at6native12_GLOBAL__N_18offset_tEEE10hipError_tPvRmT1_PNSt15iterator_traitsISY_E10value_typeET2_T3_PNSZ_IS14_E10value_typeET4_jRbjT5_S1A_jjP12ihipStream_tbEUljE_EEESV_SW_SX_S14_S18_S1A_T6_T7_T9_mT8_S1C_bDpT10_ENKUlT_T0_E_clISt17integral_constantIbLb1EES1O_IbLb0EEEEDaS1K_S1L_EUlS1K_E_NS1_11comp_targetILNS1_3genE9ELNS1_11target_archE1100ELNS1_3gpuE3ELNS1_3repE0EEENS1_30default_config_static_selectorELNS0_4arch9wavefront6targetE1EEEvSY_,@function
_ZN7rocprim17ROCPRIM_400000_NS6detail17trampoline_kernelINS0_13select_configILj256ELj13ELNS0_17block_load_methodE3ELS4_3ELS4_3ELNS0_20block_scan_algorithmE0ELj4294967295EEENS1_25partition_config_selectorILNS1_17partition_subalgoE3EjNS0_10empty_typeEbEEZZNS1_14partition_implILS8_3ELb0ES6_jNS0_17counting_iteratorIjlEEPS9_SE_NS0_5tupleIJPjSE_EEENSF_IJSE_SE_EEES9_SG_JZNS1_25segmented_radix_sort_implINS0_14default_configELb1EPKaPaPKlPlN2at6native12_GLOBAL__N_18offset_tEEE10hipError_tPvRmT1_PNSt15iterator_traitsISY_E10value_typeET2_T3_PNSZ_IS14_E10value_typeET4_jRbjT5_S1A_jjP12ihipStream_tbEUljE_EEESV_SW_SX_S14_S18_S1A_T6_T7_T9_mT8_S1C_bDpT10_ENKUlT_T0_E_clISt17integral_constantIbLb1EES1O_IbLb0EEEEDaS1K_S1L_EUlS1K_E_NS1_11comp_targetILNS1_3genE9ELNS1_11target_archE1100ELNS1_3gpuE3ELNS1_3repE0EEENS1_30default_config_static_selectorELNS0_4arch9wavefront6targetE1EEEvSY_: ; @_ZN7rocprim17ROCPRIM_400000_NS6detail17trampoline_kernelINS0_13select_configILj256ELj13ELNS0_17block_load_methodE3ELS4_3ELS4_3ELNS0_20block_scan_algorithmE0ELj4294967295EEENS1_25partition_config_selectorILNS1_17partition_subalgoE3EjNS0_10empty_typeEbEEZZNS1_14partition_implILS8_3ELb0ES6_jNS0_17counting_iteratorIjlEEPS9_SE_NS0_5tupleIJPjSE_EEENSF_IJSE_SE_EEES9_SG_JZNS1_25segmented_radix_sort_implINS0_14default_configELb1EPKaPaPKlPlN2at6native12_GLOBAL__N_18offset_tEEE10hipError_tPvRmT1_PNSt15iterator_traitsISY_E10value_typeET2_T3_PNSZ_IS14_E10value_typeET4_jRbjT5_S1A_jjP12ihipStream_tbEUljE_EEESV_SW_SX_S14_S18_S1A_T6_T7_T9_mT8_S1C_bDpT10_ENKUlT_T0_E_clISt17integral_constantIbLb1EES1O_IbLb0EEEEDaS1K_S1L_EUlS1K_E_NS1_11comp_targetILNS1_3genE9ELNS1_11target_archE1100ELNS1_3gpuE3ELNS1_3repE0EEENS1_30default_config_static_selectorELNS0_4arch9wavefront6targetE1EEEvSY_
; %bb.0:
	.section	.rodata,"a",@progbits
	.p2align	6, 0x0
	.amdhsa_kernel _ZN7rocprim17ROCPRIM_400000_NS6detail17trampoline_kernelINS0_13select_configILj256ELj13ELNS0_17block_load_methodE3ELS4_3ELS4_3ELNS0_20block_scan_algorithmE0ELj4294967295EEENS1_25partition_config_selectorILNS1_17partition_subalgoE3EjNS0_10empty_typeEbEEZZNS1_14partition_implILS8_3ELb0ES6_jNS0_17counting_iteratorIjlEEPS9_SE_NS0_5tupleIJPjSE_EEENSF_IJSE_SE_EEES9_SG_JZNS1_25segmented_radix_sort_implINS0_14default_configELb1EPKaPaPKlPlN2at6native12_GLOBAL__N_18offset_tEEE10hipError_tPvRmT1_PNSt15iterator_traitsISY_E10value_typeET2_T3_PNSZ_IS14_E10value_typeET4_jRbjT5_S1A_jjP12ihipStream_tbEUljE_EEESV_SW_SX_S14_S18_S1A_T6_T7_T9_mT8_S1C_bDpT10_ENKUlT_T0_E_clISt17integral_constantIbLb1EES1O_IbLb0EEEEDaS1K_S1L_EUlS1K_E_NS1_11comp_targetILNS1_3genE9ELNS1_11target_archE1100ELNS1_3gpuE3ELNS1_3repE0EEENS1_30default_config_static_selectorELNS0_4arch9wavefront6targetE1EEEvSY_
		.amdhsa_group_segment_fixed_size 0
		.amdhsa_private_segment_fixed_size 0
		.amdhsa_kernarg_size 144
		.amdhsa_user_sgpr_count 6
		.amdhsa_user_sgpr_private_segment_buffer 1
		.amdhsa_user_sgpr_dispatch_ptr 0
		.amdhsa_user_sgpr_queue_ptr 0
		.amdhsa_user_sgpr_kernarg_segment_ptr 1
		.amdhsa_user_sgpr_dispatch_id 0
		.amdhsa_user_sgpr_flat_scratch_init 0
		.amdhsa_user_sgpr_kernarg_preload_length 0
		.amdhsa_user_sgpr_kernarg_preload_offset 0
		.amdhsa_user_sgpr_private_segment_size 0
		.amdhsa_uses_dynamic_stack 0
		.amdhsa_system_sgpr_private_segment_wavefront_offset 0
		.amdhsa_system_sgpr_workgroup_id_x 1
		.amdhsa_system_sgpr_workgroup_id_y 0
		.amdhsa_system_sgpr_workgroup_id_z 0
		.amdhsa_system_sgpr_workgroup_info 0
		.amdhsa_system_vgpr_workitem_id 0
		.amdhsa_next_free_vgpr 1
		.amdhsa_next_free_sgpr 0
		.amdhsa_accum_offset 4
		.amdhsa_reserve_vcc 0
		.amdhsa_reserve_flat_scratch 0
		.amdhsa_float_round_mode_32 0
		.amdhsa_float_round_mode_16_64 0
		.amdhsa_float_denorm_mode_32 3
		.amdhsa_float_denorm_mode_16_64 3
		.amdhsa_dx10_clamp 1
		.amdhsa_ieee_mode 1
		.amdhsa_fp16_overflow 0
		.amdhsa_tg_split 0
		.amdhsa_exception_fp_ieee_invalid_op 0
		.amdhsa_exception_fp_denorm_src 0
		.amdhsa_exception_fp_ieee_div_zero 0
		.amdhsa_exception_fp_ieee_overflow 0
		.amdhsa_exception_fp_ieee_underflow 0
		.amdhsa_exception_fp_ieee_inexact 0
		.amdhsa_exception_int_div_zero 0
	.end_amdhsa_kernel
	.section	.text._ZN7rocprim17ROCPRIM_400000_NS6detail17trampoline_kernelINS0_13select_configILj256ELj13ELNS0_17block_load_methodE3ELS4_3ELS4_3ELNS0_20block_scan_algorithmE0ELj4294967295EEENS1_25partition_config_selectorILNS1_17partition_subalgoE3EjNS0_10empty_typeEbEEZZNS1_14partition_implILS8_3ELb0ES6_jNS0_17counting_iteratorIjlEEPS9_SE_NS0_5tupleIJPjSE_EEENSF_IJSE_SE_EEES9_SG_JZNS1_25segmented_radix_sort_implINS0_14default_configELb1EPKaPaPKlPlN2at6native12_GLOBAL__N_18offset_tEEE10hipError_tPvRmT1_PNSt15iterator_traitsISY_E10value_typeET2_T3_PNSZ_IS14_E10value_typeET4_jRbjT5_S1A_jjP12ihipStream_tbEUljE_EEESV_SW_SX_S14_S18_S1A_T6_T7_T9_mT8_S1C_bDpT10_ENKUlT_T0_E_clISt17integral_constantIbLb1EES1O_IbLb0EEEEDaS1K_S1L_EUlS1K_E_NS1_11comp_targetILNS1_3genE9ELNS1_11target_archE1100ELNS1_3gpuE3ELNS1_3repE0EEENS1_30default_config_static_selectorELNS0_4arch9wavefront6targetE1EEEvSY_,"axG",@progbits,_ZN7rocprim17ROCPRIM_400000_NS6detail17trampoline_kernelINS0_13select_configILj256ELj13ELNS0_17block_load_methodE3ELS4_3ELS4_3ELNS0_20block_scan_algorithmE0ELj4294967295EEENS1_25partition_config_selectorILNS1_17partition_subalgoE3EjNS0_10empty_typeEbEEZZNS1_14partition_implILS8_3ELb0ES6_jNS0_17counting_iteratorIjlEEPS9_SE_NS0_5tupleIJPjSE_EEENSF_IJSE_SE_EEES9_SG_JZNS1_25segmented_radix_sort_implINS0_14default_configELb1EPKaPaPKlPlN2at6native12_GLOBAL__N_18offset_tEEE10hipError_tPvRmT1_PNSt15iterator_traitsISY_E10value_typeET2_T3_PNSZ_IS14_E10value_typeET4_jRbjT5_S1A_jjP12ihipStream_tbEUljE_EEESV_SW_SX_S14_S18_S1A_T6_T7_T9_mT8_S1C_bDpT10_ENKUlT_T0_E_clISt17integral_constantIbLb1EES1O_IbLb0EEEEDaS1K_S1L_EUlS1K_E_NS1_11comp_targetILNS1_3genE9ELNS1_11target_archE1100ELNS1_3gpuE3ELNS1_3repE0EEENS1_30default_config_static_selectorELNS0_4arch9wavefront6targetE1EEEvSY_,comdat
.Lfunc_end280:
	.size	_ZN7rocprim17ROCPRIM_400000_NS6detail17trampoline_kernelINS0_13select_configILj256ELj13ELNS0_17block_load_methodE3ELS4_3ELS4_3ELNS0_20block_scan_algorithmE0ELj4294967295EEENS1_25partition_config_selectorILNS1_17partition_subalgoE3EjNS0_10empty_typeEbEEZZNS1_14partition_implILS8_3ELb0ES6_jNS0_17counting_iteratorIjlEEPS9_SE_NS0_5tupleIJPjSE_EEENSF_IJSE_SE_EEES9_SG_JZNS1_25segmented_radix_sort_implINS0_14default_configELb1EPKaPaPKlPlN2at6native12_GLOBAL__N_18offset_tEEE10hipError_tPvRmT1_PNSt15iterator_traitsISY_E10value_typeET2_T3_PNSZ_IS14_E10value_typeET4_jRbjT5_S1A_jjP12ihipStream_tbEUljE_EEESV_SW_SX_S14_S18_S1A_T6_T7_T9_mT8_S1C_bDpT10_ENKUlT_T0_E_clISt17integral_constantIbLb1EES1O_IbLb0EEEEDaS1K_S1L_EUlS1K_E_NS1_11comp_targetILNS1_3genE9ELNS1_11target_archE1100ELNS1_3gpuE3ELNS1_3repE0EEENS1_30default_config_static_selectorELNS0_4arch9wavefront6targetE1EEEvSY_, .Lfunc_end280-_ZN7rocprim17ROCPRIM_400000_NS6detail17trampoline_kernelINS0_13select_configILj256ELj13ELNS0_17block_load_methodE3ELS4_3ELS4_3ELNS0_20block_scan_algorithmE0ELj4294967295EEENS1_25partition_config_selectorILNS1_17partition_subalgoE3EjNS0_10empty_typeEbEEZZNS1_14partition_implILS8_3ELb0ES6_jNS0_17counting_iteratorIjlEEPS9_SE_NS0_5tupleIJPjSE_EEENSF_IJSE_SE_EEES9_SG_JZNS1_25segmented_radix_sort_implINS0_14default_configELb1EPKaPaPKlPlN2at6native12_GLOBAL__N_18offset_tEEE10hipError_tPvRmT1_PNSt15iterator_traitsISY_E10value_typeET2_T3_PNSZ_IS14_E10value_typeET4_jRbjT5_S1A_jjP12ihipStream_tbEUljE_EEESV_SW_SX_S14_S18_S1A_T6_T7_T9_mT8_S1C_bDpT10_ENKUlT_T0_E_clISt17integral_constantIbLb1EES1O_IbLb0EEEEDaS1K_S1L_EUlS1K_E_NS1_11comp_targetILNS1_3genE9ELNS1_11target_archE1100ELNS1_3gpuE3ELNS1_3repE0EEENS1_30default_config_static_selectorELNS0_4arch9wavefront6targetE1EEEvSY_
                                        ; -- End function
	.section	.AMDGPU.csdata,"",@progbits
; Kernel info:
; codeLenInByte = 0
; NumSgprs: 4
; NumVgprs: 0
; NumAgprs: 0
; TotalNumVgprs: 0
; ScratchSize: 0
; MemoryBound: 0
; FloatMode: 240
; IeeeMode: 1
; LDSByteSize: 0 bytes/workgroup (compile time only)
; SGPRBlocks: 0
; VGPRBlocks: 0
; NumSGPRsForWavesPerEU: 4
; NumVGPRsForWavesPerEU: 1
; AccumOffset: 4
; Occupancy: 8
; WaveLimiterHint : 0
; COMPUTE_PGM_RSRC2:SCRATCH_EN: 0
; COMPUTE_PGM_RSRC2:USER_SGPR: 6
; COMPUTE_PGM_RSRC2:TRAP_HANDLER: 0
; COMPUTE_PGM_RSRC2:TGID_X_EN: 1
; COMPUTE_PGM_RSRC2:TGID_Y_EN: 0
; COMPUTE_PGM_RSRC2:TGID_Z_EN: 0
; COMPUTE_PGM_RSRC2:TIDIG_COMP_CNT: 0
; COMPUTE_PGM_RSRC3_GFX90A:ACCUM_OFFSET: 0
; COMPUTE_PGM_RSRC3_GFX90A:TG_SPLIT: 0
	.section	.text._ZN7rocprim17ROCPRIM_400000_NS6detail17trampoline_kernelINS0_13select_configILj256ELj13ELNS0_17block_load_methodE3ELS4_3ELS4_3ELNS0_20block_scan_algorithmE0ELj4294967295EEENS1_25partition_config_selectorILNS1_17partition_subalgoE3EjNS0_10empty_typeEbEEZZNS1_14partition_implILS8_3ELb0ES6_jNS0_17counting_iteratorIjlEEPS9_SE_NS0_5tupleIJPjSE_EEENSF_IJSE_SE_EEES9_SG_JZNS1_25segmented_radix_sort_implINS0_14default_configELb1EPKaPaPKlPlN2at6native12_GLOBAL__N_18offset_tEEE10hipError_tPvRmT1_PNSt15iterator_traitsISY_E10value_typeET2_T3_PNSZ_IS14_E10value_typeET4_jRbjT5_S1A_jjP12ihipStream_tbEUljE_EEESV_SW_SX_S14_S18_S1A_T6_T7_T9_mT8_S1C_bDpT10_ENKUlT_T0_E_clISt17integral_constantIbLb1EES1O_IbLb0EEEEDaS1K_S1L_EUlS1K_E_NS1_11comp_targetILNS1_3genE8ELNS1_11target_archE1030ELNS1_3gpuE2ELNS1_3repE0EEENS1_30default_config_static_selectorELNS0_4arch9wavefront6targetE1EEEvSY_,"axG",@progbits,_ZN7rocprim17ROCPRIM_400000_NS6detail17trampoline_kernelINS0_13select_configILj256ELj13ELNS0_17block_load_methodE3ELS4_3ELS4_3ELNS0_20block_scan_algorithmE0ELj4294967295EEENS1_25partition_config_selectorILNS1_17partition_subalgoE3EjNS0_10empty_typeEbEEZZNS1_14partition_implILS8_3ELb0ES6_jNS0_17counting_iteratorIjlEEPS9_SE_NS0_5tupleIJPjSE_EEENSF_IJSE_SE_EEES9_SG_JZNS1_25segmented_radix_sort_implINS0_14default_configELb1EPKaPaPKlPlN2at6native12_GLOBAL__N_18offset_tEEE10hipError_tPvRmT1_PNSt15iterator_traitsISY_E10value_typeET2_T3_PNSZ_IS14_E10value_typeET4_jRbjT5_S1A_jjP12ihipStream_tbEUljE_EEESV_SW_SX_S14_S18_S1A_T6_T7_T9_mT8_S1C_bDpT10_ENKUlT_T0_E_clISt17integral_constantIbLb1EES1O_IbLb0EEEEDaS1K_S1L_EUlS1K_E_NS1_11comp_targetILNS1_3genE8ELNS1_11target_archE1030ELNS1_3gpuE2ELNS1_3repE0EEENS1_30default_config_static_selectorELNS0_4arch9wavefront6targetE1EEEvSY_,comdat
	.globl	_ZN7rocprim17ROCPRIM_400000_NS6detail17trampoline_kernelINS0_13select_configILj256ELj13ELNS0_17block_load_methodE3ELS4_3ELS4_3ELNS0_20block_scan_algorithmE0ELj4294967295EEENS1_25partition_config_selectorILNS1_17partition_subalgoE3EjNS0_10empty_typeEbEEZZNS1_14partition_implILS8_3ELb0ES6_jNS0_17counting_iteratorIjlEEPS9_SE_NS0_5tupleIJPjSE_EEENSF_IJSE_SE_EEES9_SG_JZNS1_25segmented_radix_sort_implINS0_14default_configELb1EPKaPaPKlPlN2at6native12_GLOBAL__N_18offset_tEEE10hipError_tPvRmT1_PNSt15iterator_traitsISY_E10value_typeET2_T3_PNSZ_IS14_E10value_typeET4_jRbjT5_S1A_jjP12ihipStream_tbEUljE_EEESV_SW_SX_S14_S18_S1A_T6_T7_T9_mT8_S1C_bDpT10_ENKUlT_T0_E_clISt17integral_constantIbLb1EES1O_IbLb0EEEEDaS1K_S1L_EUlS1K_E_NS1_11comp_targetILNS1_3genE8ELNS1_11target_archE1030ELNS1_3gpuE2ELNS1_3repE0EEENS1_30default_config_static_selectorELNS0_4arch9wavefront6targetE1EEEvSY_ ; -- Begin function _ZN7rocprim17ROCPRIM_400000_NS6detail17trampoline_kernelINS0_13select_configILj256ELj13ELNS0_17block_load_methodE3ELS4_3ELS4_3ELNS0_20block_scan_algorithmE0ELj4294967295EEENS1_25partition_config_selectorILNS1_17partition_subalgoE3EjNS0_10empty_typeEbEEZZNS1_14partition_implILS8_3ELb0ES6_jNS0_17counting_iteratorIjlEEPS9_SE_NS0_5tupleIJPjSE_EEENSF_IJSE_SE_EEES9_SG_JZNS1_25segmented_radix_sort_implINS0_14default_configELb1EPKaPaPKlPlN2at6native12_GLOBAL__N_18offset_tEEE10hipError_tPvRmT1_PNSt15iterator_traitsISY_E10value_typeET2_T3_PNSZ_IS14_E10value_typeET4_jRbjT5_S1A_jjP12ihipStream_tbEUljE_EEESV_SW_SX_S14_S18_S1A_T6_T7_T9_mT8_S1C_bDpT10_ENKUlT_T0_E_clISt17integral_constantIbLb1EES1O_IbLb0EEEEDaS1K_S1L_EUlS1K_E_NS1_11comp_targetILNS1_3genE8ELNS1_11target_archE1030ELNS1_3gpuE2ELNS1_3repE0EEENS1_30default_config_static_selectorELNS0_4arch9wavefront6targetE1EEEvSY_
	.p2align	8
	.type	_ZN7rocprim17ROCPRIM_400000_NS6detail17trampoline_kernelINS0_13select_configILj256ELj13ELNS0_17block_load_methodE3ELS4_3ELS4_3ELNS0_20block_scan_algorithmE0ELj4294967295EEENS1_25partition_config_selectorILNS1_17partition_subalgoE3EjNS0_10empty_typeEbEEZZNS1_14partition_implILS8_3ELb0ES6_jNS0_17counting_iteratorIjlEEPS9_SE_NS0_5tupleIJPjSE_EEENSF_IJSE_SE_EEES9_SG_JZNS1_25segmented_radix_sort_implINS0_14default_configELb1EPKaPaPKlPlN2at6native12_GLOBAL__N_18offset_tEEE10hipError_tPvRmT1_PNSt15iterator_traitsISY_E10value_typeET2_T3_PNSZ_IS14_E10value_typeET4_jRbjT5_S1A_jjP12ihipStream_tbEUljE_EEESV_SW_SX_S14_S18_S1A_T6_T7_T9_mT8_S1C_bDpT10_ENKUlT_T0_E_clISt17integral_constantIbLb1EES1O_IbLb0EEEEDaS1K_S1L_EUlS1K_E_NS1_11comp_targetILNS1_3genE8ELNS1_11target_archE1030ELNS1_3gpuE2ELNS1_3repE0EEENS1_30default_config_static_selectorELNS0_4arch9wavefront6targetE1EEEvSY_,@function
_ZN7rocprim17ROCPRIM_400000_NS6detail17trampoline_kernelINS0_13select_configILj256ELj13ELNS0_17block_load_methodE3ELS4_3ELS4_3ELNS0_20block_scan_algorithmE0ELj4294967295EEENS1_25partition_config_selectorILNS1_17partition_subalgoE3EjNS0_10empty_typeEbEEZZNS1_14partition_implILS8_3ELb0ES6_jNS0_17counting_iteratorIjlEEPS9_SE_NS0_5tupleIJPjSE_EEENSF_IJSE_SE_EEES9_SG_JZNS1_25segmented_radix_sort_implINS0_14default_configELb1EPKaPaPKlPlN2at6native12_GLOBAL__N_18offset_tEEE10hipError_tPvRmT1_PNSt15iterator_traitsISY_E10value_typeET2_T3_PNSZ_IS14_E10value_typeET4_jRbjT5_S1A_jjP12ihipStream_tbEUljE_EEESV_SW_SX_S14_S18_S1A_T6_T7_T9_mT8_S1C_bDpT10_ENKUlT_T0_E_clISt17integral_constantIbLb1EES1O_IbLb0EEEEDaS1K_S1L_EUlS1K_E_NS1_11comp_targetILNS1_3genE8ELNS1_11target_archE1030ELNS1_3gpuE2ELNS1_3repE0EEENS1_30default_config_static_selectorELNS0_4arch9wavefront6targetE1EEEvSY_: ; @_ZN7rocprim17ROCPRIM_400000_NS6detail17trampoline_kernelINS0_13select_configILj256ELj13ELNS0_17block_load_methodE3ELS4_3ELS4_3ELNS0_20block_scan_algorithmE0ELj4294967295EEENS1_25partition_config_selectorILNS1_17partition_subalgoE3EjNS0_10empty_typeEbEEZZNS1_14partition_implILS8_3ELb0ES6_jNS0_17counting_iteratorIjlEEPS9_SE_NS0_5tupleIJPjSE_EEENSF_IJSE_SE_EEES9_SG_JZNS1_25segmented_radix_sort_implINS0_14default_configELb1EPKaPaPKlPlN2at6native12_GLOBAL__N_18offset_tEEE10hipError_tPvRmT1_PNSt15iterator_traitsISY_E10value_typeET2_T3_PNSZ_IS14_E10value_typeET4_jRbjT5_S1A_jjP12ihipStream_tbEUljE_EEESV_SW_SX_S14_S18_S1A_T6_T7_T9_mT8_S1C_bDpT10_ENKUlT_T0_E_clISt17integral_constantIbLb1EES1O_IbLb0EEEEDaS1K_S1L_EUlS1K_E_NS1_11comp_targetILNS1_3genE8ELNS1_11target_archE1030ELNS1_3gpuE2ELNS1_3repE0EEENS1_30default_config_static_selectorELNS0_4arch9wavefront6targetE1EEEvSY_
; %bb.0:
	.section	.rodata,"a",@progbits
	.p2align	6, 0x0
	.amdhsa_kernel _ZN7rocprim17ROCPRIM_400000_NS6detail17trampoline_kernelINS0_13select_configILj256ELj13ELNS0_17block_load_methodE3ELS4_3ELS4_3ELNS0_20block_scan_algorithmE0ELj4294967295EEENS1_25partition_config_selectorILNS1_17partition_subalgoE3EjNS0_10empty_typeEbEEZZNS1_14partition_implILS8_3ELb0ES6_jNS0_17counting_iteratorIjlEEPS9_SE_NS0_5tupleIJPjSE_EEENSF_IJSE_SE_EEES9_SG_JZNS1_25segmented_radix_sort_implINS0_14default_configELb1EPKaPaPKlPlN2at6native12_GLOBAL__N_18offset_tEEE10hipError_tPvRmT1_PNSt15iterator_traitsISY_E10value_typeET2_T3_PNSZ_IS14_E10value_typeET4_jRbjT5_S1A_jjP12ihipStream_tbEUljE_EEESV_SW_SX_S14_S18_S1A_T6_T7_T9_mT8_S1C_bDpT10_ENKUlT_T0_E_clISt17integral_constantIbLb1EES1O_IbLb0EEEEDaS1K_S1L_EUlS1K_E_NS1_11comp_targetILNS1_3genE8ELNS1_11target_archE1030ELNS1_3gpuE2ELNS1_3repE0EEENS1_30default_config_static_selectorELNS0_4arch9wavefront6targetE1EEEvSY_
		.amdhsa_group_segment_fixed_size 0
		.amdhsa_private_segment_fixed_size 0
		.amdhsa_kernarg_size 144
		.amdhsa_user_sgpr_count 6
		.amdhsa_user_sgpr_private_segment_buffer 1
		.amdhsa_user_sgpr_dispatch_ptr 0
		.amdhsa_user_sgpr_queue_ptr 0
		.amdhsa_user_sgpr_kernarg_segment_ptr 1
		.amdhsa_user_sgpr_dispatch_id 0
		.amdhsa_user_sgpr_flat_scratch_init 0
		.amdhsa_user_sgpr_kernarg_preload_length 0
		.amdhsa_user_sgpr_kernarg_preload_offset 0
		.amdhsa_user_sgpr_private_segment_size 0
		.amdhsa_uses_dynamic_stack 0
		.amdhsa_system_sgpr_private_segment_wavefront_offset 0
		.amdhsa_system_sgpr_workgroup_id_x 1
		.amdhsa_system_sgpr_workgroup_id_y 0
		.amdhsa_system_sgpr_workgroup_id_z 0
		.amdhsa_system_sgpr_workgroup_info 0
		.amdhsa_system_vgpr_workitem_id 0
		.amdhsa_next_free_vgpr 1
		.amdhsa_next_free_sgpr 0
		.amdhsa_accum_offset 4
		.amdhsa_reserve_vcc 0
		.amdhsa_reserve_flat_scratch 0
		.amdhsa_float_round_mode_32 0
		.amdhsa_float_round_mode_16_64 0
		.amdhsa_float_denorm_mode_32 3
		.amdhsa_float_denorm_mode_16_64 3
		.amdhsa_dx10_clamp 1
		.amdhsa_ieee_mode 1
		.amdhsa_fp16_overflow 0
		.amdhsa_tg_split 0
		.amdhsa_exception_fp_ieee_invalid_op 0
		.amdhsa_exception_fp_denorm_src 0
		.amdhsa_exception_fp_ieee_div_zero 0
		.amdhsa_exception_fp_ieee_overflow 0
		.amdhsa_exception_fp_ieee_underflow 0
		.amdhsa_exception_fp_ieee_inexact 0
		.amdhsa_exception_int_div_zero 0
	.end_amdhsa_kernel
	.section	.text._ZN7rocprim17ROCPRIM_400000_NS6detail17trampoline_kernelINS0_13select_configILj256ELj13ELNS0_17block_load_methodE3ELS4_3ELS4_3ELNS0_20block_scan_algorithmE0ELj4294967295EEENS1_25partition_config_selectorILNS1_17partition_subalgoE3EjNS0_10empty_typeEbEEZZNS1_14partition_implILS8_3ELb0ES6_jNS0_17counting_iteratorIjlEEPS9_SE_NS0_5tupleIJPjSE_EEENSF_IJSE_SE_EEES9_SG_JZNS1_25segmented_radix_sort_implINS0_14default_configELb1EPKaPaPKlPlN2at6native12_GLOBAL__N_18offset_tEEE10hipError_tPvRmT1_PNSt15iterator_traitsISY_E10value_typeET2_T3_PNSZ_IS14_E10value_typeET4_jRbjT5_S1A_jjP12ihipStream_tbEUljE_EEESV_SW_SX_S14_S18_S1A_T6_T7_T9_mT8_S1C_bDpT10_ENKUlT_T0_E_clISt17integral_constantIbLb1EES1O_IbLb0EEEEDaS1K_S1L_EUlS1K_E_NS1_11comp_targetILNS1_3genE8ELNS1_11target_archE1030ELNS1_3gpuE2ELNS1_3repE0EEENS1_30default_config_static_selectorELNS0_4arch9wavefront6targetE1EEEvSY_,"axG",@progbits,_ZN7rocprim17ROCPRIM_400000_NS6detail17trampoline_kernelINS0_13select_configILj256ELj13ELNS0_17block_load_methodE3ELS4_3ELS4_3ELNS0_20block_scan_algorithmE0ELj4294967295EEENS1_25partition_config_selectorILNS1_17partition_subalgoE3EjNS0_10empty_typeEbEEZZNS1_14partition_implILS8_3ELb0ES6_jNS0_17counting_iteratorIjlEEPS9_SE_NS0_5tupleIJPjSE_EEENSF_IJSE_SE_EEES9_SG_JZNS1_25segmented_radix_sort_implINS0_14default_configELb1EPKaPaPKlPlN2at6native12_GLOBAL__N_18offset_tEEE10hipError_tPvRmT1_PNSt15iterator_traitsISY_E10value_typeET2_T3_PNSZ_IS14_E10value_typeET4_jRbjT5_S1A_jjP12ihipStream_tbEUljE_EEESV_SW_SX_S14_S18_S1A_T6_T7_T9_mT8_S1C_bDpT10_ENKUlT_T0_E_clISt17integral_constantIbLb1EES1O_IbLb0EEEEDaS1K_S1L_EUlS1K_E_NS1_11comp_targetILNS1_3genE8ELNS1_11target_archE1030ELNS1_3gpuE2ELNS1_3repE0EEENS1_30default_config_static_selectorELNS0_4arch9wavefront6targetE1EEEvSY_,comdat
.Lfunc_end281:
	.size	_ZN7rocprim17ROCPRIM_400000_NS6detail17trampoline_kernelINS0_13select_configILj256ELj13ELNS0_17block_load_methodE3ELS4_3ELS4_3ELNS0_20block_scan_algorithmE0ELj4294967295EEENS1_25partition_config_selectorILNS1_17partition_subalgoE3EjNS0_10empty_typeEbEEZZNS1_14partition_implILS8_3ELb0ES6_jNS0_17counting_iteratorIjlEEPS9_SE_NS0_5tupleIJPjSE_EEENSF_IJSE_SE_EEES9_SG_JZNS1_25segmented_radix_sort_implINS0_14default_configELb1EPKaPaPKlPlN2at6native12_GLOBAL__N_18offset_tEEE10hipError_tPvRmT1_PNSt15iterator_traitsISY_E10value_typeET2_T3_PNSZ_IS14_E10value_typeET4_jRbjT5_S1A_jjP12ihipStream_tbEUljE_EEESV_SW_SX_S14_S18_S1A_T6_T7_T9_mT8_S1C_bDpT10_ENKUlT_T0_E_clISt17integral_constantIbLb1EES1O_IbLb0EEEEDaS1K_S1L_EUlS1K_E_NS1_11comp_targetILNS1_3genE8ELNS1_11target_archE1030ELNS1_3gpuE2ELNS1_3repE0EEENS1_30default_config_static_selectorELNS0_4arch9wavefront6targetE1EEEvSY_, .Lfunc_end281-_ZN7rocprim17ROCPRIM_400000_NS6detail17trampoline_kernelINS0_13select_configILj256ELj13ELNS0_17block_load_methodE3ELS4_3ELS4_3ELNS0_20block_scan_algorithmE0ELj4294967295EEENS1_25partition_config_selectorILNS1_17partition_subalgoE3EjNS0_10empty_typeEbEEZZNS1_14partition_implILS8_3ELb0ES6_jNS0_17counting_iteratorIjlEEPS9_SE_NS0_5tupleIJPjSE_EEENSF_IJSE_SE_EEES9_SG_JZNS1_25segmented_radix_sort_implINS0_14default_configELb1EPKaPaPKlPlN2at6native12_GLOBAL__N_18offset_tEEE10hipError_tPvRmT1_PNSt15iterator_traitsISY_E10value_typeET2_T3_PNSZ_IS14_E10value_typeET4_jRbjT5_S1A_jjP12ihipStream_tbEUljE_EEESV_SW_SX_S14_S18_S1A_T6_T7_T9_mT8_S1C_bDpT10_ENKUlT_T0_E_clISt17integral_constantIbLb1EES1O_IbLb0EEEEDaS1K_S1L_EUlS1K_E_NS1_11comp_targetILNS1_3genE8ELNS1_11target_archE1030ELNS1_3gpuE2ELNS1_3repE0EEENS1_30default_config_static_selectorELNS0_4arch9wavefront6targetE1EEEvSY_
                                        ; -- End function
	.section	.AMDGPU.csdata,"",@progbits
; Kernel info:
; codeLenInByte = 0
; NumSgprs: 4
; NumVgprs: 0
; NumAgprs: 0
; TotalNumVgprs: 0
; ScratchSize: 0
; MemoryBound: 0
; FloatMode: 240
; IeeeMode: 1
; LDSByteSize: 0 bytes/workgroup (compile time only)
; SGPRBlocks: 0
; VGPRBlocks: 0
; NumSGPRsForWavesPerEU: 4
; NumVGPRsForWavesPerEU: 1
; AccumOffset: 4
; Occupancy: 8
; WaveLimiterHint : 0
; COMPUTE_PGM_RSRC2:SCRATCH_EN: 0
; COMPUTE_PGM_RSRC2:USER_SGPR: 6
; COMPUTE_PGM_RSRC2:TRAP_HANDLER: 0
; COMPUTE_PGM_RSRC2:TGID_X_EN: 1
; COMPUTE_PGM_RSRC2:TGID_Y_EN: 0
; COMPUTE_PGM_RSRC2:TGID_Z_EN: 0
; COMPUTE_PGM_RSRC2:TIDIG_COMP_CNT: 0
; COMPUTE_PGM_RSRC3_GFX90A:ACCUM_OFFSET: 0
; COMPUTE_PGM_RSRC3_GFX90A:TG_SPLIT: 0
	.section	.text._ZN7rocprim17ROCPRIM_400000_NS6detail17trampoline_kernelINS0_13select_configILj256ELj13ELNS0_17block_load_methodE3ELS4_3ELS4_3ELNS0_20block_scan_algorithmE0ELj4294967295EEENS1_25partition_config_selectorILNS1_17partition_subalgoE3EjNS0_10empty_typeEbEEZZNS1_14partition_implILS8_3ELb0ES6_jNS0_17counting_iteratorIjlEEPS9_SE_NS0_5tupleIJPjSE_EEENSF_IJSE_SE_EEES9_SG_JZNS1_25segmented_radix_sort_implINS0_14default_configELb1EPKaPaPKlPlN2at6native12_GLOBAL__N_18offset_tEEE10hipError_tPvRmT1_PNSt15iterator_traitsISY_E10value_typeET2_T3_PNSZ_IS14_E10value_typeET4_jRbjT5_S1A_jjP12ihipStream_tbEUljE_EEESV_SW_SX_S14_S18_S1A_T6_T7_T9_mT8_S1C_bDpT10_ENKUlT_T0_E_clISt17integral_constantIbLb0EES1O_IbLb1EEEEDaS1K_S1L_EUlS1K_E_NS1_11comp_targetILNS1_3genE0ELNS1_11target_archE4294967295ELNS1_3gpuE0ELNS1_3repE0EEENS1_30default_config_static_selectorELNS0_4arch9wavefront6targetE1EEEvSY_,"axG",@progbits,_ZN7rocprim17ROCPRIM_400000_NS6detail17trampoline_kernelINS0_13select_configILj256ELj13ELNS0_17block_load_methodE3ELS4_3ELS4_3ELNS0_20block_scan_algorithmE0ELj4294967295EEENS1_25partition_config_selectorILNS1_17partition_subalgoE3EjNS0_10empty_typeEbEEZZNS1_14partition_implILS8_3ELb0ES6_jNS0_17counting_iteratorIjlEEPS9_SE_NS0_5tupleIJPjSE_EEENSF_IJSE_SE_EEES9_SG_JZNS1_25segmented_radix_sort_implINS0_14default_configELb1EPKaPaPKlPlN2at6native12_GLOBAL__N_18offset_tEEE10hipError_tPvRmT1_PNSt15iterator_traitsISY_E10value_typeET2_T3_PNSZ_IS14_E10value_typeET4_jRbjT5_S1A_jjP12ihipStream_tbEUljE_EEESV_SW_SX_S14_S18_S1A_T6_T7_T9_mT8_S1C_bDpT10_ENKUlT_T0_E_clISt17integral_constantIbLb0EES1O_IbLb1EEEEDaS1K_S1L_EUlS1K_E_NS1_11comp_targetILNS1_3genE0ELNS1_11target_archE4294967295ELNS1_3gpuE0ELNS1_3repE0EEENS1_30default_config_static_selectorELNS0_4arch9wavefront6targetE1EEEvSY_,comdat
	.globl	_ZN7rocprim17ROCPRIM_400000_NS6detail17trampoline_kernelINS0_13select_configILj256ELj13ELNS0_17block_load_methodE3ELS4_3ELS4_3ELNS0_20block_scan_algorithmE0ELj4294967295EEENS1_25partition_config_selectorILNS1_17partition_subalgoE3EjNS0_10empty_typeEbEEZZNS1_14partition_implILS8_3ELb0ES6_jNS0_17counting_iteratorIjlEEPS9_SE_NS0_5tupleIJPjSE_EEENSF_IJSE_SE_EEES9_SG_JZNS1_25segmented_radix_sort_implINS0_14default_configELb1EPKaPaPKlPlN2at6native12_GLOBAL__N_18offset_tEEE10hipError_tPvRmT1_PNSt15iterator_traitsISY_E10value_typeET2_T3_PNSZ_IS14_E10value_typeET4_jRbjT5_S1A_jjP12ihipStream_tbEUljE_EEESV_SW_SX_S14_S18_S1A_T6_T7_T9_mT8_S1C_bDpT10_ENKUlT_T0_E_clISt17integral_constantIbLb0EES1O_IbLb1EEEEDaS1K_S1L_EUlS1K_E_NS1_11comp_targetILNS1_3genE0ELNS1_11target_archE4294967295ELNS1_3gpuE0ELNS1_3repE0EEENS1_30default_config_static_selectorELNS0_4arch9wavefront6targetE1EEEvSY_ ; -- Begin function _ZN7rocprim17ROCPRIM_400000_NS6detail17trampoline_kernelINS0_13select_configILj256ELj13ELNS0_17block_load_methodE3ELS4_3ELS4_3ELNS0_20block_scan_algorithmE0ELj4294967295EEENS1_25partition_config_selectorILNS1_17partition_subalgoE3EjNS0_10empty_typeEbEEZZNS1_14partition_implILS8_3ELb0ES6_jNS0_17counting_iteratorIjlEEPS9_SE_NS0_5tupleIJPjSE_EEENSF_IJSE_SE_EEES9_SG_JZNS1_25segmented_radix_sort_implINS0_14default_configELb1EPKaPaPKlPlN2at6native12_GLOBAL__N_18offset_tEEE10hipError_tPvRmT1_PNSt15iterator_traitsISY_E10value_typeET2_T3_PNSZ_IS14_E10value_typeET4_jRbjT5_S1A_jjP12ihipStream_tbEUljE_EEESV_SW_SX_S14_S18_S1A_T6_T7_T9_mT8_S1C_bDpT10_ENKUlT_T0_E_clISt17integral_constantIbLb0EES1O_IbLb1EEEEDaS1K_S1L_EUlS1K_E_NS1_11comp_targetILNS1_3genE0ELNS1_11target_archE4294967295ELNS1_3gpuE0ELNS1_3repE0EEENS1_30default_config_static_selectorELNS0_4arch9wavefront6targetE1EEEvSY_
	.p2align	8
	.type	_ZN7rocprim17ROCPRIM_400000_NS6detail17trampoline_kernelINS0_13select_configILj256ELj13ELNS0_17block_load_methodE3ELS4_3ELS4_3ELNS0_20block_scan_algorithmE0ELj4294967295EEENS1_25partition_config_selectorILNS1_17partition_subalgoE3EjNS0_10empty_typeEbEEZZNS1_14partition_implILS8_3ELb0ES6_jNS0_17counting_iteratorIjlEEPS9_SE_NS0_5tupleIJPjSE_EEENSF_IJSE_SE_EEES9_SG_JZNS1_25segmented_radix_sort_implINS0_14default_configELb1EPKaPaPKlPlN2at6native12_GLOBAL__N_18offset_tEEE10hipError_tPvRmT1_PNSt15iterator_traitsISY_E10value_typeET2_T3_PNSZ_IS14_E10value_typeET4_jRbjT5_S1A_jjP12ihipStream_tbEUljE_EEESV_SW_SX_S14_S18_S1A_T6_T7_T9_mT8_S1C_bDpT10_ENKUlT_T0_E_clISt17integral_constantIbLb0EES1O_IbLb1EEEEDaS1K_S1L_EUlS1K_E_NS1_11comp_targetILNS1_3genE0ELNS1_11target_archE4294967295ELNS1_3gpuE0ELNS1_3repE0EEENS1_30default_config_static_selectorELNS0_4arch9wavefront6targetE1EEEvSY_,@function
_ZN7rocprim17ROCPRIM_400000_NS6detail17trampoline_kernelINS0_13select_configILj256ELj13ELNS0_17block_load_methodE3ELS4_3ELS4_3ELNS0_20block_scan_algorithmE0ELj4294967295EEENS1_25partition_config_selectorILNS1_17partition_subalgoE3EjNS0_10empty_typeEbEEZZNS1_14partition_implILS8_3ELb0ES6_jNS0_17counting_iteratorIjlEEPS9_SE_NS0_5tupleIJPjSE_EEENSF_IJSE_SE_EEES9_SG_JZNS1_25segmented_radix_sort_implINS0_14default_configELb1EPKaPaPKlPlN2at6native12_GLOBAL__N_18offset_tEEE10hipError_tPvRmT1_PNSt15iterator_traitsISY_E10value_typeET2_T3_PNSZ_IS14_E10value_typeET4_jRbjT5_S1A_jjP12ihipStream_tbEUljE_EEESV_SW_SX_S14_S18_S1A_T6_T7_T9_mT8_S1C_bDpT10_ENKUlT_T0_E_clISt17integral_constantIbLb0EES1O_IbLb1EEEEDaS1K_S1L_EUlS1K_E_NS1_11comp_targetILNS1_3genE0ELNS1_11target_archE4294967295ELNS1_3gpuE0ELNS1_3repE0EEENS1_30default_config_static_selectorELNS0_4arch9wavefront6targetE1EEEvSY_: ; @_ZN7rocprim17ROCPRIM_400000_NS6detail17trampoline_kernelINS0_13select_configILj256ELj13ELNS0_17block_load_methodE3ELS4_3ELS4_3ELNS0_20block_scan_algorithmE0ELj4294967295EEENS1_25partition_config_selectorILNS1_17partition_subalgoE3EjNS0_10empty_typeEbEEZZNS1_14partition_implILS8_3ELb0ES6_jNS0_17counting_iteratorIjlEEPS9_SE_NS0_5tupleIJPjSE_EEENSF_IJSE_SE_EEES9_SG_JZNS1_25segmented_radix_sort_implINS0_14default_configELb1EPKaPaPKlPlN2at6native12_GLOBAL__N_18offset_tEEE10hipError_tPvRmT1_PNSt15iterator_traitsISY_E10value_typeET2_T3_PNSZ_IS14_E10value_typeET4_jRbjT5_S1A_jjP12ihipStream_tbEUljE_EEESV_SW_SX_S14_S18_S1A_T6_T7_T9_mT8_S1C_bDpT10_ENKUlT_T0_E_clISt17integral_constantIbLb0EES1O_IbLb1EEEEDaS1K_S1L_EUlS1K_E_NS1_11comp_targetILNS1_3genE0ELNS1_11target_archE4294967295ELNS1_3gpuE0ELNS1_3repE0EEENS1_30default_config_static_selectorELNS0_4arch9wavefront6targetE1EEEvSY_
; %bb.0:
	.section	.rodata,"a",@progbits
	.p2align	6, 0x0
	.amdhsa_kernel _ZN7rocprim17ROCPRIM_400000_NS6detail17trampoline_kernelINS0_13select_configILj256ELj13ELNS0_17block_load_methodE3ELS4_3ELS4_3ELNS0_20block_scan_algorithmE0ELj4294967295EEENS1_25partition_config_selectorILNS1_17partition_subalgoE3EjNS0_10empty_typeEbEEZZNS1_14partition_implILS8_3ELb0ES6_jNS0_17counting_iteratorIjlEEPS9_SE_NS0_5tupleIJPjSE_EEENSF_IJSE_SE_EEES9_SG_JZNS1_25segmented_radix_sort_implINS0_14default_configELb1EPKaPaPKlPlN2at6native12_GLOBAL__N_18offset_tEEE10hipError_tPvRmT1_PNSt15iterator_traitsISY_E10value_typeET2_T3_PNSZ_IS14_E10value_typeET4_jRbjT5_S1A_jjP12ihipStream_tbEUljE_EEESV_SW_SX_S14_S18_S1A_T6_T7_T9_mT8_S1C_bDpT10_ENKUlT_T0_E_clISt17integral_constantIbLb0EES1O_IbLb1EEEEDaS1K_S1L_EUlS1K_E_NS1_11comp_targetILNS1_3genE0ELNS1_11target_archE4294967295ELNS1_3gpuE0ELNS1_3repE0EEENS1_30default_config_static_selectorELNS0_4arch9wavefront6targetE1EEEvSY_
		.amdhsa_group_segment_fixed_size 0
		.amdhsa_private_segment_fixed_size 0
		.amdhsa_kernarg_size 152
		.amdhsa_user_sgpr_count 6
		.amdhsa_user_sgpr_private_segment_buffer 1
		.amdhsa_user_sgpr_dispatch_ptr 0
		.amdhsa_user_sgpr_queue_ptr 0
		.amdhsa_user_sgpr_kernarg_segment_ptr 1
		.amdhsa_user_sgpr_dispatch_id 0
		.amdhsa_user_sgpr_flat_scratch_init 0
		.amdhsa_user_sgpr_kernarg_preload_length 0
		.amdhsa_user_sgpr_kernarg_preload_offset 0
		.amdhsa_user_sgpr_private_segment_size 0
		.amdhsa_uses_dynamic_stack 0
		.amdhsa_system_sgpr_private_segment_wavefront_offset 0
		.amdhsa_system_sgpr_workgroup_id_x 1
		.amdhsa_system_sgpr_workgroup_id_y 0
		.amdhsa_system_sgpr_workgroup_id_z 0
		.amdhsa_system_sgpr_workgroup_info 0
		.amdhsa_system_vgpr_workitem_id 0
		.amdhsa_next_free_vgpr 1
		.amdhsa_next_free_sgpr 0
		.amdhsa_accum_offset 4
		.amdhsa_reserve_vcc 0
		.amdhsa_reserve_flat_scratch 0
		.amdhsa_float_round_mode_32 0
		.amdhsa_float_round_mode_16_64 0
		.amdhsa_float_denorm_mode_32 3
		.amdhsa_float_denorm_mode_16_64 3
		.amdhsa_dx10_clamp 1
		.amdhsa_ieee_mode 1
		.amdhsa_fp16_overflow 0
		.amdhsa_tg_split 0
		.amdhsa_exception_fp_ieee_invalid_op 0
		.amdhsa_exception_fp_denorm_src 0
		.amdhsa_exception_fp_ieee_div_zero 0
		.amdhsa_exception_fp_ieee_overflow 0
		.amdhsa_exception_fp_ieee_underflow 0
		.amdhsa_exception_fp_ieee_inexact 0
		.amdhsa_exception_int_div_zero 0
	.end_amdhsa_kernel
	.section	.text._ZN7rocprim17ROCPRIM_400000_NS6detail17trampoline_kernelINS0_13select_configILj256ELj13ELNS0_17block_load_methodE3ELS4_3ELS4_3ELNS0_20block_scan_algorithmE0ELj4294967295EEENS1_25partition_config_selectorILNS1_17partition_subalgoE3EjNS0_10empty_typeEbEEZZNS1_14partition_implILS8_3ELb0ES6_jNS0_17counting_iteratorIjlEEPS9_SE_NS0_5tupleIJPjSE_EEENSF_IJSE_SE_EEES9_SG_JZNS1_25segmented_radix_sort_implINS0_14default_configELb1EPKaPaPKlPlN2at6native12_GLOBAL__N_18offset_tEEE10hipError_tPvRmT1_PNSt15iterator_traitsISY_E10value_typeET2_T3_PNSZ_IS14_E10value_typeET4_jRbjT5_S1A_jjP12ihipStream_tbEUljE_EEESV_SW_SX_S14_S18_S1A_T6_T7_T9_mT8_S1C_bDpT10_ENKUlT_T0_E_clISt17integral_constantIbLb0EES1O_IbLb1EEEEDaS1K_S1L_EUlS1K_E_NS1_11comp_targetILNS1_3genE0ELNS1_11target_archE4294967295ELNS1_3gpuE0ELNS1_3repE0EEENS1_30default_config_static_selectorELNS0_4arch9wavefront6targetE1EEEvSY_,"axG",@progbits,_ZN7rocprim17ROCPRIM_400000_NS6detail17trampoline_kernelINS0_13select_configILj256ELj13ELNS0_17block_load_methodE3ELS4_3ELS4_3ELNS0_20block_scan_algorithmE0ELj4294967295EEENS1_25partition_config_selectorILNS1_17partition_subalgoE3EjNS0_10empty_typeEbEEZZNS1_14partition_implILS8_3ELb0ES6_jNS0_17counting_iteratorIjlEEPS9_SE_NS0_5tupleIJPjSE_EEENSF_IJSE_SE_EEES9_SG_JZNS1_25segmented_radix_sort_implINS0_14default_configELb1EPKaPaPKlPlN2at6native12_GLOBAL__N_18offset_tEEE10hipError_tPvRmT1_PNSt15iterator_traitsISY_E10value_typeET2_T3_PNSZ_IS14_E10value_typeET4_jRbjT5_S1A_jjP12ihipStream_tbEUljE_EEESV_SW_SX_S14_S18_S1A_T6_T7_T9_mT8_S1C_bDpT10_ENKUlT_T0_E_clISt17integral_constantIbLb0EES1O_IbLb1EEEEDaS1K_S1L_EUlS1K_E_NS1_11comp_targetILNS1_3genE0ELNS1_11target_archE4294967295ELNS1_3gpuE0ELNS1_3repE0EEENS1_30default_config_static_selectorELNS0_4arch9wavefront6targetE1EEEvSY_,comdat
.Lfunc_end282:
	.size	_ZN7rocprim17ROCPRIM_400000_NS6detail17trampoline_kernelINS0_13select_configILj256ELj13ELNS0_17block_load_methodE3ELS4_3ELS4_3ELNS0_20block_scan_algorithmE0ELj4294967295EEENS1_25partition_config_selectorILNS1_17partition_subalgoE3EjNS0_10empty_typeEbEEZZNS1_14partition_implILS8_3ELb0ES6_jNS0_17counting_iteratorIjlEEPS9_SE_NS0_5tupleIJPjSE_EEENSF_IJSE_SE_EEES9_SG_JZNS1_25segmented_radix_sort_implINS0_14default_configELb1EPKaPaPKlPlN2at6native12_GLOBAL__N_18offset_tEEE10hipError_tPvRmT1_PNSt15iterator_traitsISY_E10value_typeET2_T3_PNSZ_IS14_E10value_typeET4_jRbjT5_S1A_jjP12ihipStream_tbEUljE_EEESV_SW_SX_S14_S18_S1A_T6_T7_T9_mT8_S1C_bDpT10_ENKUlT_T0_E_clISt17integral_constantIbLb0EES1O_IbLb1EEEEDaS1K_S1L_EUlS1K_E_NS1_11comp_targetILNS1_3genE0ELNS1_11target_archE4294967295ELNS1_3gpuE0ELNS1_3repE0EEENS1_30default_config_static_selectorELNS0_4arch9wavefront6targetE1EEEvSY_, .Lfunc_end282-_ZN7rocprim17ROCPRIM_400000_NS6detail17trampoline_kernelINS0_13select_configILj256ELj13ELNS0_17block_load_methodE3ELS4_3ELS4_3ELNS0_20block_scan_algorithmE0ELj4294967295EEENS1_25partition_config_selectorILNS1_17partition_subalgoE3EjNS0_10empty_typeEbEEZZNS1_14partition_implILS8_3ELb0ES6_jNS0_17counting_iteratorIjlEEPS9_SE_NS0_5tupleIJPjSE_EEENSF_IJSE_SE_EEES9_SG_JZNS1_25segmented_radix_sort_implINS0_14default_configELb1EPKaPaPKlPlN2at6native12_GLOBAL__N_18offset_tEEE10hipError_tPvRmT1_PNSt15iterator_traitsISY_E10value_typeET2_T3_PNSZ_IS14_E10value_typeET4_jRbjT5_S1A_jjP12ihipStream_tbEUljE_EEESV_SW_SX_S14_S18_S1A_T6_T7_T9_mT8_S1C_bDpT10_ENKUlT_T0_E_clISt17integral_constantIbLb0EES1O_IbLb1EEEEDaS1K_S1L_EUlS1K_E_NS1_11comp_targetILNS1_3genE0ELNS1_11target_archE4294967295ELNS1_3gpuE0ELNS1_3repE0EEENS1_30default_config_static_selectorELNS0_4arch9wavefront6targetE1EEEvSY_
                                        ; -- End function
	.section	.AMDGPU.csdata,"",@progbits
; Kernel info:
; codeLenInByte = 0
; NumSgprs: 4
; NumVgprs: 0
; NumAgprs: 0
; TotalNumVgprs: 0
; ScratchSize: 0
; MemoryBound: 0
; FloatMode: 240
; IeeeMode: 1
; LDSByteSize: 0 bytes/workgroup (compile time only)
; SGPRBlocks: 0
; VGPRBlocks: 0
; NumSGPRsForWavesPerEU: 4
; NumVGPRsForWavesPerEU: 1
; AccumOffset: 4
; Occupancy: 8
; WaveLimiterHint : 0
; COMPUTE_PGM_RSRC2:SCRATCH_EN: 0
; COMPUTE_PGM_RSRC2:USER_SGPR: 6
; COMPUTE_PGM_RSRC2:TRAP_HANDLER: 0
; COMPUTE_PGM_RSRC2:TGID_X_EN: 1
; COMPUTE_PGM_RSRC2:TGID_Y_EN: 0
; COMPUTE_PGM_RSRC2:TGID_Z_EN: 0
; COMPUTE_PGM_RSRC2:TIDIG_COMP_CNT: 0
; COMPUTE_PGM_RSRC3_GFX90A:ACCUM_OFFSET: 0
; COMPUTE_PGM_RSRC3_GFX90A:TG_SPLIT: 0
	.section	.text._ZN7rocprim17ROCPRIM_400000_NS6detail17trampoline_kernelINS0_13select_configILj256ELj13ELNS0_17block_load_methodE3ELS4_3ELS4_3ELNS0_20block_scan_algorithmE0ELj4294967295EEENS1_25partition_config_selectorILNS1_17partition_subalgoE3EjNS0_10empty_typeEbEEZZNS1_14partition_implILS8_3ELb0ES6_jNS0_17counting_iteratorIjlEEPS9_SE_NS0_5tupleIJPjSE_EEENSF_IJSE_SE_EEES9_SG_JZNS1_25segmented_radix_sort_implINS0_14default_configELb1EPKaPaPKlPlN2at6native12_GLOBAL__N_18offset_tEEE10hipError_tPvRmT1_PNSt15iterator_traitsISY_E10value_typeET2_T3_PNSZ_IS14_E10value_typeET4_jRbjT5_S1A_jjP12ihipStream_tbEUljE_EEESV_SW_SX_S14_S18_S1A_T6_T7_T9_mT8_S1C_bDpT10_ENKUlT_T0_E_clISt17integral_constantIbLb0EES1O_IbLb1EEEEDaS1K_S1L_EUlS1K_E_NS1_11comp_targetILNS1_3genE5ELNS1_11target_archE942ELNS1_3gpuE9ELNS1_3repE0EEENS1_30default_config_static_selectorELNS0_4arch9wavefront6targetE1EEEvSY_,"axG",@progbits,_ZN7rocprim17ROCPRIM_400000_NS6detail17trampoline_kernelINS0_13select_configILj256ELj13ELNS0_17block_load_methodE3ELS4_3ELS4_3ELNS0_20block_scan_algorithmE0ELj4294967295EEENS1_25partition_config_selectorILNS1_17partition_subalgoE3EjNS0_10empty_typeEbEEZZNS1_14partition_implILS8_3ELb0ES6_jNS0_17counting_iteratorIjlEEPS9_SE_NS0_5tupleIJPjSE_EEENSF_IJSE_SE_EEES9_SG_JZNS1_25segmented_radix_sort_implINS0_14default_configELb1EPKaPaPKlPlN2at6native12_GLOBAL__N_18offset_tEEE10hipError_tPvRmT1_PNSt15iterator_traitsISY_E10value_typeET2_T3_PNSZ_IS14_E10value_typeET4_jRbjT5_S1A_jjP12ihipStream_tbEUljE_EEESV_SW_SX_S14_S18_S1A_T6_T7_T9_mT8_S1C_bDpT10_ENKUlT_T0_E_clISt17integral_constantIbLb0EES1O_IbLb1EEEEDaS1K_S1L_EUlS1K_E_NS1_11comp_targetILNS1_3genE5ELNS1_11target_archE942ELNS1_3gpuE9ELNS1_3repE0EEENS1_30default_config_static_selectorELNS0_4arch9wavefront6targetE1EEEvSY_,comdat
	.globl	_ZN7rocprim17ROCPRIM_400000_NS6detail17trampoline_kernelINS0_13select_configILj256ELj13ELNS0_17block_load_methodE3ELS4_3ELS4_3ELNS0_20block_scan_algorithmE0ELj4294967295EEENS1_25partition_config_selectorILNS1_17partition_subalgoE3EjNS0_10empty_typeEbEEZZNS1_14partition_implILS8_3ELb0ES6_jNS0_17counting_iteratorIjlEEPS9_SE_NS0_5tupleIJPjSE_EEENSF_IJSE_SE_EEES9_SG_JZNS1_25segmented_radix_sort_implINS0_14default_configELb1EPKaPaPKlPlN2at6native12_GLOBAL__N_18offset_tEEE10hipError_tPvRmT1_PNSt15iterator_traitsISY_E10value_typeET2_T3_PNSZ_IS14_E10value_typeET4_jRbjT5_S1A_jjP12ihipStream_tbEUljE_EEESV_SW_SX_S14_S18_S1A_T6_T7_T9_mT8_S1C_bDpT10_ENKUlT_T0_E_clISt17integral_constantIbLb0EES1O_IbLb1EEEEDaS1K_S1L_EUlS1K_E_NS1_11comp_targetILNS1_3genE5ELNS1_11target_archE942ELNS1_3gpuE9ELNS1_3repE0EEENS1_30default_config_static_selectorELNS0_4arch9wavefront6targetE1EEEvSY_ ; -- Begin function _ZN7rocprim17ROCPRIM_400000_NS6detail17trampoline_kernelINS0_13select_configILj256ELj13ELNS0_17block_load_methodE3ELS4_3ELS4_3ELNS0_20block_scan_algorithmE0ELj4294967295EEENS1_25partition_config_selectorILNS1_17partition_subalgoE3EjNS0_10empty_typeEbEEZZNS1_14partition_implILS8_3ELb0ES6_jNS0_17counting_iteratorIjlEEPS9_SE_NS0_5tupleIJPjSE_EEENSF_IJSE_SE_EEES9_SG_JZNS1_25segmented_radix_sort_implINS0_14default_configELb1EPKaPaPKlPlN2at6native12_GLOBAL__N_18offset_tEEE10hipError_tPvRmT1_PNSt15iterator_traitsISY_E10value_typeET2_T3_PNSZ_IS14_E10value_typeET4_jRbjT5_S1A_jjP12ihipStream_tbEUljE_EEESV_SW_SX_S14_S18_S1A_T6_T7_T9_mT8_S1C_bDpT10_ENKUlT_T0_E_clISt17integral_constantIbLb0EES1O_IbLb1EEEEDaS1K_S1L_EUlS1K_E_NS1_11comp_targetILNS1_3genE5ELNS1_11target_archE942ELNS1_3gpuE9ELNS1_3repE0EEENS1_30default_config_static_selectorELNS0_4arch9wavefront6targetE1EEEvSY_
	.p2align	8
	.type	_ZN7rocprim17ROCPRIM_400000_NS6detail17trampoline_kernelINS0_13select_configILj256ELj13ELNS0_17block_load_methodE3ELS4_3ELS4_3ELNS0_20block_scan_algorithmE0ELj4294967295EEENS1_25partition_config_selectorILNS1_17partition_subalgoE3EjNS0_10empty_typeEbEEZZNS1_14partition_implILS8_3ELb0ES6_jNS0_17counting_iteratorIjlEEPS9_SE_NS0_5tupleIJPjSE_EEENSF_IJSE_SE_EEES9_SG_JZNS1_25segmented_radix_sort_implINS0_14default_configELb1EPKaPaPKlPlN2at6native12_GLOBAL__N_18offset_tEEE10hipError_tPvRmT1_PNSt15iterator_traitsISY_E10value_typeET2_T3_PNSZ_IS14_E10value_typeET4_jRbjT5_S1A_jjP12ihipStream_tbEUljE_EEESV_SW_SX_S14_S18_S1A_T6_T7_T9_mT8_S1C_bDpT10_ENKUlT_T0_E_clISt17integral_constantIbLb0EES1O_IbLb1EEEEDaS1K_S1L_EUlS1K_E_NS1_11comp_targetILNS1_3genE5ELNS1_11target_archE942ELNS1_3gpuE9ELNS1_3repE0EEENS1_30default_config_static_selectorELNS0_4arch9wavefront6targetE1EEEvSY_,@function
_ZN7rocprim17ROCPRIM_400000_NS6detail17trampoline_kernelINS0_13select_configILj256ELj13ELNS0_17block_load_methodE3ELS4_3ELS4_3ELNS0_20block_scan_algorithmE0ELj4294967295EEENS1_25partition_config_selectorILNS1_17partition_subalgoE3EjNS0_10empty_typeEbEEZZNS1_14partition_implILS8_3ELb0ES6_jNS0_17counting_iteratorIjlEEPS9_SE_NS0_5tupleIJPjSE_EEENSF_IJSE_SE_EEES9_SG_JZNS1_25segmented_radix_sort_implINS0_14default_configELb1EPKaPaPKlPlN2at6native12_GLOBAL__N_18offset_tEEE10hipError_tPvRmT1_PNSt15iterator_traitsISY_E10value_typeET2_T3_PNSZ_IS14_E10value_typeET4_jRbjT5_S1A_jjP12ihipStream_tbEUljE_EEESV_SW_SX_S14_S18_S1A_T6_T7_T9_mT8_S1C_bDpT10_ENKUlT_T0_E_clISt17integral_constantIbLb0EES1O_IbLb1EEEEDaS1K_S1L_EUlS1K_E_NS1_11comp_targetILNS1_3genE5ELNS1_11target_archE942ELNS1_3gpuE9ELNS1_3repE0EEENS1_30default_config_static_selectorELNS0_4arch9wavefront6targetE1EEEvSY_: ; @_ZN7rocprim17ROCPRIM_400000_NS6detail17trampoline_kernelINS0_13select_configILj256ELj13ELNS0_17block_load_methodE3ELS4_3ELS4_3ELNS0_20block_scan_algorithmE0ELj4294967295EEENS1_25partition_config_selectorILNS1_17partition_subalgoE3EjNS0_10empty_typeEbEEZZNS1_14partition_implILS8_3ELb0ES6_jNS0_17counting_iteratorIjlEEPS9_SE_NS0_5tupleIJPjSE_EEENSF_IJSE_SE_EEES9_SG_JZNS1_25segmented_radix_sort_implINS0_14default_configELb1EPKaPaPKlPlN2at6native12_GLOBAL__N_18offset_tEEE10hipError_tPvRmT1_PNSt15iterator_traitsISY_E10value_typeET2_T3_PNSZ_IS14_E10value_typeET4_jRbjT5_S1A_jjP12ihipStream_tbEUljE_EEESV_SW_SX_S14_S18_S1A_T6_T7_T9_mT8_S1C_bDpT10_ENKUlT_T0_E_clISt17integral_constantIbLb0EES1O_IbLb1EEEEDaS1K_S1L_EUlS1K_E_NS1_11comp_targetILNS1_3genE5ELNS1_11target_archE942ELNS1_3gpuE9ELNS1_3repE0EEENS1_30default_config_static_selectorELNS0_4arch9wavefront6targetE1EEEvSY_
; %bb.0:
	.section	.rodata,"a",@progbits
	.p2align	6, 0x0
	.amdhsa_kernel _ZN7rocprim17ROCPRIM_400000_NS6detail17trampoline_kernelINS0_13select_configILj256ELj13ELNS0_17block_load_methodE3ELS4_3ELS4_3ELNS0_20block_scan_algorithmE0ELj4294967295EEENS1_25partition_config_selectorILNS1_17partition_subalgoE3EjNS0_10empty_typeEbEEZZNS1_14partition_implILS8_3ELb0ES6_jNS0_17counting_iteratorIjlEEPS9_SE_NS0_5tupleIJPjSE_EEENSF_IJSE_SE_EEES9_SG_JZNS1_25segmented_radix_sort_implINS0_14default_configELb1EPKaPaPKlPlN2at6native12_GLOBAL__N_18offset_tEEE10hipError_tPvRmT1_PNSt15iterator_traitsISY_E10value_typeET2_T3_PNSZ_IS14_E10value_typeET4_jRbjT5_S1A_jjP12ihipStream_tbEUljE_EEESV_SW_SX_S14_S18_S1A_T6_T7_T9_mT8_S1C_bDpT10_ENKUlT_T0_E_clISt17integral_constantIbLb0EES1O_IbLb1EEEEDaS1K_S1L_EUlS1K_E_NS1_11comp_targetILNS1_3genE5ELNS1_11target_archE942ELNS1_3gpuE9ELNS1_3repE0EEENS1_30default_config_static_selectorELNS0_4arch9wavefront6targetE1EEEvSY_
		.amdhsa_group_segment_fixed_size 0
		.amdhsa_private_segment_fixed_size 0
		.amdhsa_kernarg_size 152
		.amdhsa_user_sgpr_count 6
		.amdhsa_user_sgpr_private_segment_buffer 1
		.amdhsa_user_sgpr_dispatch_ptr 0
		.amdhsa_user_sgpr_queue_ptr 0
		.amdhsa_user_sgpr_kernarg_segment_ptr 1
		.amdhsa_user_sgpr_dispatch_id 0
		.amdhsa_user_sgpr_flat_scratch_init 0
		.amdhsa_user_sgpr_kernarg_preload_length 0
		.amdhsa_user_sgpr_kernarg_preload_offset 0
		.amdhsa_user_sgpr_private_segment_size 0
		.amdhsa_uses_dynamic_stack 0
		.amdhsa_system_sgpr_private_segment_wavefront_offset 0
		.amdhsa_system_sgpr_workgroup_id_x 1
		.amdhsa_system_sgpr_workgroup_id_y 0
		.amdhsa_system_sgpr_workgroup_id_z 0
		.amdhsa_system_sgpr_workgroup_info 0
		.amdhsa_system_vgpr_workitem_id 0
		.amdhsa_next_free_vgpr 1
		.amdhsa_next_free_sgpr 0
		.amdhsa_accum_offset 4
		.amdhsa_reserve_vcc 0
		.amdhsa_reserve_flat_scratch 0
		.amdhsa_float_round_mode_32 0
		.amdhsa_float_round_mode_16_64 0
		.amdhsa_float_denorm_mode_32 3
		.amdhsa_float_denorm_mode_16_64 3
		.amdhsa_dx10_clamp 1
		.amdhsa_ieee_mode 1
		.amdhsa_fp16_overflow 0
		.amdhsa_tg_split 0
		.amdhsa_exception_fp_ieee_invalid_op 0
		.amdhsa_exception_fp_denorm_src 0
		.amdhsa_exception_fp_ieee_div_zero 0
		.amdhsa_exception_fp_ieee_overflow 0
		.amdhsa_exception_fp_ieee_underflow 0
		.amdhsa_exception_fp_ieee_inexact 0
		.amdhsa_exception_int_div_zero 0
	.end_amdhsa_kernel
	.section	.text._ZN7rocprim17ROCPRIM_400000_NS6detail17trampoline_kernelINS0_13select_configILj256ELj13ELNS0_17block_load_methodE3ELS4_3ELS4_3ELNS0_20block_scan_algorithmE0ELj4294967295EEENS1_25partition_config_selectorILNS1_17partition_subalgoE3EjNS0_10empty_typeEbEEZZNS1_14partition_implILS8_3ELb0ES6_jNS0_17counting_iteratorIjlEEPS9_SE_NS0_5tupleIJPjSE_EEENSF_IJSE_SE_EEES9_SG_JZNS1_25segmented_radix_sort_implINS0_14default_configELb1EPKaPaPKlPlN2at6native12_GLOBAL__N_18offset_tEEE10hipError_tPvRmT1_PNSt15iterator_traitsISY_E10value_typeET2_T3_PNSZ_IS14_E10value_typeET4_jRbjT5_S1A_jjP12ihipStream_tbEUljE_EEESV_SW_SX_S14_S18_S1A_T6_T7_T9_mT8_S1C_bDpT10_ENKUlT_T0_E_clISt17integral_constantIbLb0EES1O_IbLb1EEEEDaS1K_S1L_EUlS1K_E_NS1_11comp_targetILNS1_3genE5ELNS1_11target_archE942ELNS1_3gpuE9ELNS1_3repE0EEENS1_30default_config_static_selectorELNS0_4arch9wavefront6targetE1EEEvSY_,"axG",@progbits,_ZN7rocprim17ROCPRIM_400000_NS6detail17trampoline_kernelINS0_13select_configILj256ELj13ELNS0_17block_load_methodE3ELS4_3ELS4_3ELNS0_20block_scan_algorithmE0ELj4294967295EEENS1_25partition_config_selectorILNS1_17partition_subalgoE3EjNS0_10empty_typeEbEEZZNS1_14partition_implILS8_3ELb0ES6_jNS0_17counting_iteratorIjlEEPS9_SE_NS0_5tupleIJPjSE_EEENSF_IJSE_SE_EEES9_SG_JZNS1_25segmented_radix_sort_implINS0_14default_configELb1EPKaPaPKlPlN2at6native12_GLOBAL__N_18offset_tEEE10hipError_tPvRmT1_PNSt15iterator_traitsISY_E10value_typeET2_T3_PNSZ_IS14_E10value_typeET4_jRbjT5_S1A_jjP12ihipStream_tbEUljE_EEESV_SW_SX_S14_S18_S1A_T6_T7_T9_mT8_S1C_bDpT10_ENKUlT_T0_E_clISt17integral_constantIbLb0EES1O_IbLb1EEEEDaS1K_S1L_EUlS1K_E_NS1_11comp_targetILNS1_3genE5ELNS1_11target_archE942ELNS1_3gpuE9ELNS1_3repE0EEENS1_30default_config_static_selectorELNS0_4arch9wavefront6targetE1EEEvSY_,comdat
.Lfunc_end283:
	.size	_ZN7rocprim17ROCPRIM_400000_NS6detail17trampoline_kernelINS0_13select_configILj256ELj13ELNS0_17block_load_methodE3ELS4_3ELS4_3ELNS0_20block_scan_algorithmE0ELj4294967295EEENS1_25partition_config_selectorILNS1_17partition_subalgoE3EjNS0_10empty_typeEbEEZZNS1_14partition_implILS8_3ELb0ES6_jNS0_17counting_iteratorIjlEEPS9_SE_NS0_5tupleIJPjSE_EEENSF_IJSE_SE_EEES9_SG_JZNS1_25segmented_radix_sort_implINS0_14default_configELb1EPKaPaPKlPlN2at6native12_GLOBAL__N_18offset_tEEE10hipError_tPvRmT1_PNSt15iterator_traitsISY_E10value_typeET2_T3_PNSZ_IS14_E10value_typeET4_jRbjT5_S1A_jjP12ihipStream_tbEUljE_EEESV_SW_SX_S14_S18_S1A_T6_T7_T9_mT8_S1C_bDpT10_ENKUlT_T0_E_clISt17integral_constantIbLb0EES1O_IbLb1EEEEDaS1K_S1L_EUlS1K_E_NS1_11comp_targetILNS1_3genE5ELNS1_11target_archE942ELNS1_3gpuE9ELNS1_3repE0EEENS1_30default_config_static_selectorELNS0_4arch9wavefront6targetE1EEEvSY_, .Lfunc_end283-_ZN7rocprim17ROCPRIM_400000_NS6detail17trampoline_kernelINS0_13select_configILj256ELj13ELNS0_17block_load_methodE3ELS4_3ELS4_3ELNS0_20block_scan_algorithmE0ELj4294967295EEENS1_25partition_config_selectorILNS1_17partition_subalgoE3EjNS0_10empty_typeEbEEZZNS1_14partition_implILS8_3ELb0ES6_jNS0_17counting_iteratorIjlEEPS9_SE_NS0_5tupleIJPjSE_EEENSF_IJSE_SE_EEES9_SG_JZNS1_25segmented_radix_sort_implINS0_14default_configELb1EPKaPaPKlPlN2at6native12_GLOBAL__N_18offset_tEEE10hipError_tPvRmT1_PNSt15iterator_traitsISY_E10value_typeET2_T3_PNSZ_IS14_E10value_typeET4_jRbjT5_S1A_jjP12ihipStream_tbEUljE_EEESV_SW_SX_S14_S18_S1A_T6_T7_T9_mT8_S1C_bDpT10_ENKUlT_T0_E_clISt17integral_constantIbLb0EES1O_IbLb1EEEEDaS1K_S1L_EUlS1K_E_NS1_11comp_targetILNS1_3genE5ELNS1_11target_archE942ELNS1_3gpuE9ELNS1_3repE0EEENS1_30default_config_static_selectorELNS0_4arch9wavefront6targetE1EEEvSY_
                                        ; -- End function
	.section	.AMDGPU.csdata,"",@progbits
; Kernel info:
; codeLenInByte = 0
; NumSgprs: 4
; NumVgprs: 0
; NumAgprs: 0
; TotalNumVgprs: 0
; ScratchSize: 0
; MemoryBound: 0
; FloatMode: 240
; IeeeMode: 1
; LDSByteSize: 0 bytes/workgroup (compile time only)
; SGPRBlocks: 0
; VGPRBlocks: 0
; NumSGPRsForWavesPerEU: 4
; NumVGPRsForWavesPerEU: 1
; AccumOffset: 4
; Occupancy: 8
; WaveLimiterHint : 0
; COMPUTE_PGM_RSRC2:SCRATCH_EN: 0
; COMPUTE_PGM_RSRC2:USER_SGPR: 6
; COMPUTE_PGM_RSRC2:TRAP_HANDLER: 0
; COMPUTE_PGM_RSRC2:TGID_X_EN: 1
; COMPUTE_PGM_RSRC2:TGID_Y_EN: 0
; COMPUTE_PGM_RSRC2:TGID_Z_EN: 0
; COMPUTE_PGM_RSRC2:TIDIG_COMP_CNT: 0
; COMPUTE_PGM_RSRC3_GFX90A:ACCUM_OFFSET: 0
; COMPUTE_PGM_RSRC3_GFX90A:TG_SPLIT: 0
	.section	.text._ZN7rocprim17ROCPRIM_400000_NS6detail17trampoline_kernelINS0_13select_configILj256ELj13ELNS0_17block_load_methodE3ELS4_3ELS4_3ELNS0_20block_scan_algorithmE0ELj4294967295EEENS1_25partition_config_selectorILNS1_17partition_subalgoE3EjNS0_10empty_typeEbEEZZNS1_14partition_implILS8_3ELb0ES6_jNS0_17counting_iteratorIjlEEPS9_SE_NS0_5tupleIJPjSE_EEENSF_IJSE_SE_EEES9_SG_JZNS1_25segmented_radix_sort_implINS0_14default_configELb1EPKaPaPKlPlN2at6native12_GLOBAL__N_18offset_tEEE10hipError_tPvRmT1_PNSt15iterator_traitsISY_E10value_typeET2_T3_PNSZ_IS14_E10value_typeET4_jRbjT5_S1A_jjP12ihipStream_tbEUljE_EEESV_SW_SX_S14_S18_S1A_T6_T7_T9_mT8_S1C_bDpT10_ENKUlT_T0_E_clISt17integral_constantIbLb0EES1O_IbLb1EEEEDaS1K_S1L_EUlS1K_E_NS1_11comp_targetILNS1_3genE4ELNS1_11target_archE910ELNS1_3gpuE8ELNS1_3repE0EEENS1_30default_config_static_selectorELNS0_4arch9wavefront6targetE1EEEvSY_,"axG",@progbits,_ZN7rocprim17ROCPRIM_400000_NS6detail17trampoline_kernelINS0_13select_configILj256ELj13ELNS0_17block_load_methodE3ELS4_3ELS4_3ELNS0_20block_scan_algorithmE0ELj4294967295EEENS1_25partition_config_selectorILNS1_17partition_subalgoE3EjNS0_10empty_typeEbEEZZNS1_14partition_implILS8_3ELb0ES6_jNS0_17counting_iteratorIjlEEPS9_SE_NS0_5tupleIJPjSE_EEENSF_IJSE_SE_EEES9_SG_JZNS1_25segmented_radix_sort_implINS0_14default_configELb1EPKaPaPKlPlN2at6native12_GLOBAL__N_18offset_tEEE10hipError_tPvRmT1_PNSt15iterator_traitsISY_E10value_typeET2_T3_PNSZ_IS14_E10value_typeET4_jRbjT5_S1A_jjP12ihipStream_tbEUljE_EEESV_SW_SX_S14_S18_S1A_T6_T7_T9_mT8_S1C_bDpT10_ENKUlT_T0_E_clISt17integral_constantIbLb0EES1O_IbLb1EEEEDaS1K_S1L_EUlS1K_E_NS1_11comp_targetILNS1_3genE4ELNS1_11target_archE910ELNS1_3gpuE8ELNS1_3repE0EEENS1_30default_config_static_selectorELNS0_4arch9wavefront6targetE1EEEvSY_,comdat
	.globl	_ZN7rocprim17ROCPRIM_400000_NS6detail17trampoline_kernelINS0_13select_configILj256ELj13ELNS0_17block_load_methodE3ELS4_3ELS4_3ELNS0_20block_scan_algorithmE0ELj4294967295EEENS1_25partition_config_selectorILNS1_17partition_subalgoE3EjNS0_10empty_typeEbEEZZNS1_14partition_implILS8_3ELb0ES6_jNS0_17counting_iteratorIjlEEPS9_SE_NS0_5tupleIJPjSE_EEENSF_IJSE_SE_EEES9_SG_JZNS1_25segmented_radix_sort_implINS0_14default_configELb1EPKaPaPKlPlN2at6native12_GLOBAL__N_18offset_tEEE10hipError_tPvRmT1_PNSt15iterator_traitsISY_E10value_typeET2_T3_PNSZ_IS14_E10value_typeET4_jRbjT5_S1A_jjP12ihipStream_tbEUljE_EEESV_SW_SX_S14_S18_S1A_T6_T7_T9_mT8_S1C_bDpT10_ENKUlT_T0_E_clISt17integral_constantIbLb0EES1O_IbLb1EEEEDaS1K_S1L_EUlS1K_E_NS1_11comp_targetILNS1_3genE4ELNS1_11target_archE910ELNS1_3gpuE8ELNS1_3repE0EEENS1_30default_config_static_selectorELNS0_4arch9wavefront6targetE1EEEvSY_ ; -- Begin function _ZN7rocprim17ROCPRIM_400000_NS6detail17trampoline_kernelINS0_13select_configILj256ELj13ELNS0_17block_load_methodE3ELS4_3ELS4_3ELNS0_20block_scan_algorithmE0ELj4294967295EEENS1_25partition_config_selectorILNS1_17partition_subalgoE3EjNS0_10empty_typeEbEEZZNS1_14partition_implILS8_3ELb0ES6_jNS0_17counting_iteratorIjlEEPS9_SE_NS0_5tupleIJPjSE_EEENSF_IJSE_SE_EEES9_SG_JZNS1_25segmented_radix_sort_implINS0_14default_configELb1EPKaPaPKlPlN2at6native12_GLOBAL__N_18offset_tEEE10hipError_tPvRmT1_PNSt15iterator_traitsISY_E10value_typeET2_T3_PNSZ_IS14_E10value_typeET4_jRbjT5_S1A_jjP12ihipStream_tbEUljE_EEESV_SW_SX_S14_S18_S1A_T6_T7_T9_mT8_S1C_bDpT10_ENKUlT_T0_E_clISt17integral_constantIbLb0EES1O_IbLb1EEEEDaS1K_S1L_EUlS1K_E_NS1_11comp_targetILNS1_3genE4ELNS1_11target_archE910ELNS1_3gpuE8ELNS1_3repE0EEENS1_30default_config_static_selectorELNS0_4arch9wavefront6targetE1EEEvSY_
	.p2align	8
	.type	_ZN7rocprim17ROCPRIM_400000_NS6detail17trampoline_kernelINS0_13select_configILj256ELj13ELNS0_17block_load_methodE3ELS4_3ELS4_3ELNS0_20block_scan_algorithmE0ELj4294967295EEENS1_25partition_config_selectorILNS1_17partition_subalgoE3EjNS0_10empty_typeEbEEZZNS1_14partition_implILS8_3ELb0ES6_jNS0_17counting_iteratorIjlEEPS9_SE_NS0_5tupleIJPjSE_EEENSF_IJSE_SE_EEES9_SG_JZNS1_25segmented_radix_sort_implINS0_14default_configELb1EPKaPaPKlPlN2at6native12_GLOBAL__N_18offset_tEEE10hipError_tPvRmT1_PNSt15iterator_traitsISY_E10value_typeET2_T3_PNSZ_IS14_E10value_typeET4_jRbjT5_S1A_jjP12ihipStream_tbEUljE_EEESV_SW_SX_S14_S18_S1A_T6_T7_T9_mT8_S1C_bDpT10_ENKUlT_T0_E_clISt17integral_constantIbLb0EES1O_IbLb1EEEEDaS1K_S1L_EUlS1K_E_NS1_11comp_targetILNS1_3genE4ELNS1_11target_archE910ELNS1_3gpuE8ELNS1_3repE0EEENS1_30default_config_static_selectorELNS0_4arch9wavefront6targetE1EEEvSY_,@function
_ZN7rocprim17ROCPRIM_400000_NS6detail17trampoline_kernelINS0_13select_configILj256ELj13ELNS0_17block_load_methodE3ELS4_3ELS4_3ELNS0_20block_scan_algorithmE0ELj4294967295EEENS1_25partition_config_selectorILNS1_17partition_subalgoE3EjNS0_10empty_typeEbEEZZNS1_14partition_implILS8_3ELb0ES6_jNS0_17counting_iteratorIjlEEPS9_SE_NS0_5tupleIJPjSE_EEENSF_IJSE_SE_EEES9_SG_JZNS1_25segmented_radix_sort_implINS0_14default_configELb1EPKaPaPKlPlN2at6native12_GLOBAL__N_18offset_tEEE10hipError_tPvRmT1_PNSt15iterator_traitsISY_E10value_typeET2_T3_PNSZ_IS14_E10value_typeET4_jRbjT5_S1A_jjP12ihipStream_tbEUljE_EEESV_SW_SX_S14_S18_S1A_T6_T7_T9_mT8_S1C_bDpT10_ENKUlT_T0_E_clISt17integral_constantIbLb0EES1O_IbLb1EEEEDaS1K_S1L_EUlS1K_E_NS1_11comp_targetILNS1_3genE4ELNS1_11target_archE910ELNS1_3gpuE8ELNS1_3repE0EEENS1_30default_config_static_selectorELNS0_4arch9wavefront6targetE1EEEvSY_: ; @_ZN7rocprim17ROCPRIM_400000_NS6detail17trampoline_kernelINS0_13select_configILj256ELj13ELNS0_17block_load_methodE3ELS4_3ELS4_3ELNS0_20block_scan_algorithmE0ELj4294967295EEENS1_25partition_config_selectorILNS1_17partition_subalgoE3EjNS0_10empty_typeEbEEZZNS1_14partition_implILS8_3ELb0ES6_jNS0_17counting_iteratorIjlEEPS9_SE_NS0_5tupleIJPjSE_EEENSF_IJSE_SE_EEES9_SG_JZNS1_25segmented_radix_sort_implINS0_14default_configELb1EPKaPaPKlPlN2at6native12_GLOBAL__N_18offset_tEEE10hipError_tPvRmT1_PNSt15iterator_traitsISY_E10value_typeET2_T3_PNSZ_IS14_E10value_typeET4_jRbjT5_S1A_jjP12ihipStream_tbEUljE_EEESV_SW_SX_S14_S18_S1A_T6_T7_T9_mT8_S1C_bDpT10_ENKUlT_T0_E_clISt17integral_constantIbLb0EES1O_IbLb1EEEEDaS1K_S1L_EUlS1K_E_NS1_11comp_targetILNS1_3genE4ELNS1_11target_archE910ELNS1_3gpuE8ELNS1_3repE0EEENS1_30default_config_static_selectorELNS0_4arch9wavefront6targetE1EEEvSY_
; %bb.0:
	s_load_dwordx2 s[28:29], s[4:5], 0x10
	s_load_dwordx2 s[24:25], s[4:5], 0x28
	;; [unrolled: 1-line block ×3, first 2 shown]
	s_load_dwordx4 s[20:23], s[4:5], 0x48
	s_load_dword s14, s[4:5], 0x90
	s_load_dwordx2 s[30:31], s[4:5], 0x68
	s_load_dwordx4 s[8:11], s[4:5], 0x80
	v_cmp_eq_u32_e64 s[0:1], 0, v0
	s_and_saveexec_b64 s[2:3], s[0:1]
	s_cbranch_execz .LBB284_4
; %bb.1:
	s_mov_b64 s[12:13], exec
	v_mbcnt_lo_u32_b32 v1, s12, 0
	v_mbcnt_hi_u32_b32 v1, s13, v1
	v_cmp_eq_u32_e32 vcc, 0, v1
                                        ; implicit-def: $vgpr2
	s_and_saveexec_b64 s[6:7], vcc
	s_cbranch_execz .LBB284_3
; %bb.2:
	s_load_dwordx2 s[16:17], s[4:5], 0x78
	s_bcnt1_i32_b64 s12, s[12:13]
	v_mov_b32_e32 v2, 0
	v_mov_b32_e32 v3, s12
	s_waitcnt lgkmcnt(0)
	global_atomic_add v2, v2, v3, s[16:17] glc
.LBB284_3:
	s_or_b64 exec, exec, s[6:7]
	s_waitcnt vmcnt(0)
	v_readfirstlane_b32 s6, v2
	v_add_u32_e32 v1, s6, v1
	v_mov_b32_e32 v2, 0
	ds_write_b32 v2, v1
.LBB284_4:
	s_or_b64 exec, exec, s[2:3]
	v_mov_b32_e32 v1, 0
	s_load_dword s2, s[4:5], 0x8
	s_load_dword s6, s[4:5], 0x70
	s_waitcnt lgkmcnt(0)
	s_barrier
	ds_read_b32 v2, v1
	s_waitcnt lgkmcnt(0)
	s_barrier
	global_load_dwordx2 v[20:21], v1, s[22:23]
	s_add_i32 s7, s2, s28
	s_movk_i32 s2, 0xd00
	s_add_i32 s4, s6, -1
	s_mulk_i32 s6, 0xd00
	v_mul_lo_u32 v34, v2, s2
	s_add_u32 s2, s28, s6
	v_readfirstlane_b32 s40, v2
	s_addc_u32 s3, s29, 0
	s_cmp_eq_u32 s40, s4
	v_pk_mov_b32 v[2:3], s[26:27], s[26:27] op_sel:[0,1]
	s_cselect_b64 s[22:23], -1, 0
	s_cmp_lg_u32 s40, s4
	v_cmp_lt_u64_e32 vcc, s[2:3], v[2:3]
	s_cselect_b64 s[2:3], -1, 0
	s_or_b64 s[4:5], vcc, s[2:3]
	v_add_u32_e32 v1, s7, v34
	s_mov_b64 s[2:3], -1
	s_and_b64 vcc, exec, s[4:5]
	v_add_u32_e32 v2, v1, v0
	v_lshlrev_b32_e32 v1, 2, v0
	s_cbranch_vccz .LBB284_6
; %bb.5:
	v_add_u32_e32 v3, 0x100, v2
	v_add_u32_e32 v4, 0x200, v2
	;; [unrolled: 1-line block ×12, first 2 shown]
	ds_write2st64_b32 v1, v2, v3 offset1:4
	ds_write2st64_b32 v1, v4, v5 offset0:8 offset1:12
	ds_write2st64_b32 v1, v6, v7 offset0:16 offset1:20
	;; [unrolled: 1-line block ×5, first 2 shown]
	ds_write_b32 v1, v14 offset:12288
	s_waitcnt lgkmcnt(0)
	s_barrier
	s_mov_b64 s[2:3], 0
.LBB284_6:
	s_andn2_b64 vcc, exec, s[2:3]
	s_add_i32 s6, s6, s28
	s_cbranch_vccnz .LBB284_8
; %bb.7:
	v_add_u32_e32 v3, 0x100, v2
	v_add_u32_e32 v4, 0x200, v2
	v_add_u32_e32 v5, 0x300, v2
	v_add_u32_e32 v6, 0x400, v2
	v_add_u32_e32 v7, 0x500, v2
	v_add_u32_e32 v8, 0x600, v2
	v_add_u32_e32 v9, 0x700, v2
	v_add_u32_e32 v10, 0x800, v2
	v_add_u32_e32 v11, 0x900, v2
	v_add_u32_e32 v12, 0xa00, v2
	v_add_u32_e32 v13, 0xb00, v2
	v_add_u32_e32 v14, 0xc00, v2
	ds_write2st64_b32 v1, v2, v3 offset1:4
	ds_write2st64_b32 v1, v4, v5 offset0:8 offset1:12
	ds_write2st64_b32 v1, v6, v7 offset0:16 offset1:20
	;; [unrolled: 1-line block ×5, first 2 shown]
	ds_write_b32 v1, v14 offset:12288
	s_waitcnt lgkmcnt(0)
	s_barrier
.LBB284_8:
	v_mul_u32_u24_e32 v36, 13, v0
	v_lshlrev_b32_e32 v2, 2, v36
	ds_read2_b32 v[32:33], v2 offset1:1
	ds_read2_b32 v[30:31], v2 offset0:2 offset1:3
	ds_read2_b32 v[28:29], v2 offset0:4 offset1:5
	;; [unrolled: 1-line block ×5, first 2 shown]
	ds_read_b32 v35, v2 offset:48
	v_cndmask_b32_e64 v2, 0, 1, s[4:5]
	s_sub_i32 s33, s26, s6
	v_cmp_ne_u32_e64 s[2:3], 1, v2
	s_andn2_b64 vcc, exec, s[4:5]
	s_waitcnt lgkmcnt(0)
	s_barrier
	s_cbranch_vccnz .LBB284_10
; %bb.9:
	v_add_u32_e32 v2, s9, v32
	v_add_u32_e32 v3, s11, v32
	v_mul_lo_u32 v2, v2, s8
	v_mul_lo_u32 v3, v3, s10
	v_sub_u32_e32 v2, v2, v3
	v_add_u32_e32 v3, s9, v33
	v_add_u32_e32 v4, s11, v33
	v_mul_lo_u32 v3, v3, s8
	v_mul_lo_u32 v4, v4, s10
	v_sub_u32_e32 v3, v3, v4
	;; [unrolled: 5-line block ×6, first 2 shown]
	v_add_u32_e32 v8, s9, v26
	v_add_u32_e32 v9, s11, v26
	v_mul_lo_u32 v8, v8, s8
	v_mul_lo_u32 v9, v9, s10
	v_cmp_lt_u32_e32 vcc, s14, v2
	v_sub_u32_e32 v8, v8, v9
	v_add_u32_e32 v9, s9, v27
	v_add_u32_e32 v10, s11, v27
	v_cndmask_b32_e64 v2, 0, 1, vcc
	v_cmp_lt_u32_e32 vcc, s14, v3
	v_mul_lo_u32 v9, v9, s8
	v_mul_lo_u32 v10, v10, s10
	v_cndmask_b32_e64 v3, 0, 1, vcc
	v_cmp_lt_u32_e32 vcc, s14, v4
	v_sub_u32_e32 v9, v9, v10
	v_add_u32_e32 v10, s9, v24
	v_add_u32_e32 v11, s11, v24
	v_cndmask_b32_e64 v4, 0, 1, vcc
	v_cmp_lt_u32_e32 vcc, s14, v5
	v_mul_lo_u32 v10, v10, s8
	v_mul_lo_u32 v11, v11, s10
	v_cndmask_b32_e64 v5, 0, 1, vcc
	;; [unrolled: 9-line block ×4, first 2 shown]
	v_cmp_lt_u32_e32 vcc, s14, v10
	v_sub_u32_e32 v12, v12, v13
	v_add_u32_e32 v13, s9, v23
	v_add_u32_e32 v14, s11, v23
	v_lshlrev_b16_e32 v3, 8, v3
	v_cndmask_b32_e64 v10, 0, 1, vcc
	v_cmp_lt_u32_e32 vcc, s14, v11
	v_mul_lo_u32 v13, v13, s8
	v_mul_lo_u32 v14, v14, s10
	v_or_b32_e32 v2, v2, v3
	v_lshlrev_b16_e32 v3, 8, v5
	v_cndmask_b32_e64 v11, 0, 1, vcc
	v_cmp_lt_u32_e32 vcc, s14, v12
	v_sub_u32_e32 v13, v13, v14
	v_or_b32_sdwa v3, v4, v3 dst_sel:WORD_1 dst_unused:UNUSED_PAD src0_sel:DWORD src1_sel:DWORD
	v_cndmask_b32_e64 v12, 0, 1, vcc
	v_cmp_lt_u32_e32 vcc, s14, v13
	v_add_u32_e32 v14, s9, v35
	v_add_u32_e32 v15, s11, v35
	v_or_b32_sdwa v40, v2, v3 dst_sel:DWORD dst_unused:UNUSED_PAD src0_sel:WORD_0 src1_sel:DWORD
	v_lshlrev_b16_e32 v2, 8, v7
	v_lshlrev_b16_e32 v3, 8, v9
	v_cndmask_b32_e64 v13, 0, 1, vcc
	v_mul_lo_u32 v14, v14, s8
	v_mul_lo_u32 v15, v15, s10
	v_or_b32_e32 v2, v6, v2
	v_or_b32_sdwa v3, v8, v3 dst_sel:WORD_1 dst_unused:UNUSED_PAD src0_sel:DWORD src1_sel:DWORD
	v_sub_u32_e32 v14, v14, v15
	v_or_b32_sdwa v39, v2, v3 dst_sel:DWORD dst_unused:UNUSED_PAD src0_sel:WORD_0 src1_sel:DWORD
	v_lshlrev_b16_e32 v2, 8, v11
	v_lshlrev_b16_e32 v3, 8, v13
	v_cmp_lt_u32_e32 vcc, s14, v14
	v_or_b32_e32 v2, v10, v2
	v_or_b32_sdwa v3, v12, v3 dst_sel:WORD_1 dst_unused:UNUSED_PAD src0_sel:DWORD src1_sel:DWORD
	v_cndmask_b32_e64 v37, 0, 1, vcc
	v_or_b32_sdwa v38, v2, v3 dst_sel:DWORD dst_unused:UNUSED_PAD src0_sel:WORD_0 src1_sel:DWORD
	s_addk_i32 s33, 0xd00
	s_cbranch_execz .LBB284_11
	s_branch .LBB284_38
.LBB284_10:
                                        ; implicit-def: $vgpr37
                                        ; implicit-def: $vgpr38
                                        ; implicit-def: $vgpr39
                                        ; implicit-def: $vgpr40
	s_addk_i32 s33, 0xd00
.LBB284_11:
	v_cmp_gt_u32_e32 vcc, s33, v36
	v_mov_b32_e32 v3, 0
	v_mov_b32_e32 v2, 0
	s_and_saveexec_b64 s[4:5], vcc
; %bb.12:
	v_add_u32_e32 v2, s9, v32
	v_add_u32_e32 v4, s11, v32
	v_mul_lo_u32 v2, v2, s8
	v_mul_lo_u32 v4, v4, s10
	v_sub_u32_e32 v2, v2, v4
	v_cmp_lt_u32_e32 vcc, s14, v2
	v_cndmask_b32_e64 v2, 0, 1, vcc
; %bb.13:
	s_or_b64 exec, exec, s[4:5]
	v_add_u32_e32 v4, 1, v36
	v_cmp_gt_u32_e32 vcc, s33, v4
	s_and_saveexec_b64 s[4:5], vcc
; %bb.14:
	v_add_u32_e32 v3, s9, v33
	v_add_u32_e32 v4, s11, v33
	v_mul_lo_u32 v3, v3, s8
	v_mul_lo_u32 v4, v4, s10
	v_sub_u32_e32 v3, v3, v4
	v_cmp_lt_u32_e32 vcc, s14, v3
	v_cndmask_b32_e64 v3, 0, 1, vcc
; %bb.15:
	s_or_b64 exec, exec, s[4:5]
	v_add_u32_e32 v4, 2, v36
	v_cmp_gt_u32_e32 vcc, s33, v4
	v_mov_b32_e32 v5, 0
	v_mov_b32_e32 v4, 0
	s_and_saveexec_b64 s[4:5], vcc
; %bb.16:
	v_add_u32_e32 v4, s9, v30
	v_add_u32_e32 v6, s11, v30
	v_mul_lo_u32 v4, v4, s8
	v_mul_lo_u32 v6, v6, s10
	v_sub_u32_e32 v4, v4, v6
	v_cmp_lt_u32_e32 vcc, s14, v4
	v_cndmask_b32_e64 v4, 0, 1, vcc
; %bb.17:
	s_or_b64 exec, exec, s[4:5]
	v_add_u32_e32 v6, 3, v36
	v_cmp_gt_u32_e32 vcc, s33, v6
	s_and_saveexec_b64 s[4:5], vcc
; %bb.18:
	v_add_u32_e32 v5, s9, v31
	v_add_u32_e32 v6, s11, v31
	v_mul_lo_u32 v5, v5, s8
	v_mul_lo_u32 v6, v6, s10
	v_sub_u32_e32 v5, v5, v6
	v_cmp_lt_u32_e32 vcc, s14, v5
	v_cndmask_b32_e64 v5, 0, 1, vcc
; %bb.19:
	s_or_b64 exec, exec, s[4:5]
	v_add_u32_e32 v6, 4, v36
	v_cmp_gt_u32_e32 vcc, s33, v6
	v_mov_b32_e32 v7, 0
	v_mov_b32_e32 v6, 0
	s_and_saveexec_b64 s[4:5], vcc
; %bb.20:
	v_add_u32_e32 v6, s9, v28
	v_add_u32_e32 v8, s11, v28
	v_mul_lo_u32 v6, v6, s8
	v_mul_lo_u32 v8, v8, s10
	v_sub_u32_e32 v6, v6, v8
	v_cmp_lt_u32_e32 vcc, s14, v6
	v_cndmask_b32_e64 v6, 0, 1, vcc
; %bb.21:
	s_or_b64 exec, exec, s[4:5]
	v_add_u32_e32 v8, 5, v36
	v_cmp_gt_u32_e32 vcc, s33, v8
	s_and_saveexec_b64 s[4:5], vcc
; %bb.22:
	v_add_u32_e32 v7, s9, v29
	v_add_u32_e32 v8, s11, v29
	v_mul_lo_u32 v7, v7, s8
	v_mul_lo_u32 v8, v8, s10
	v_sub_u32_e32 v7, v7, v8
	v_cmp_lt_u32_e32 vcc, s14, v7
	v_cndmask_b32_e64 v7, 0, 1, vcc
; %bb.23:
	s_or_b64 exec, exec, s[4:5]
	v_add_u32_e32 v8, 6, v36
	v_cmp_gt_u32_e32 vcc, s33, v8
	v_mov_b32_e32 v9, 0
	v_mov_b32_e32 v8, 0
	s_and_saveexec_b64 s[4:5], vcc
; %bb.24:
	v_add_u32_e32 v8, s9, v26
	v_add_u32_e32 v10, s11, v26
	v_mul_lo_u32 v8, v8, s8
	v_mul_lo_u32 v10, v10, s10
	v_sub_u32_e32 v8, v8, v10
	v_cmp_lt_u32_e32 vcc, s14, v8
	v_cndmask_b32_e64 v8, 0, 1, vcc
; %bb.25:
	s_or_b64 exec, exec, s[4:5]
	v_add_u32_e32 v10, 7, v36
	v_cmp_gt_u32_e32 vcc, s33, v10
	s_and_saveexec_b64 s[4:5], vcc
; %bb.26:
	v_add_u32_e32 v9, s9, v27
	v_add_u32_e32 v10, s11, v27
	v_mul_lo_u32 v9, v9, s8
	v_mul_lo_u32 v10, v10, s10
	v_sub_u32_e32 v9, v9, v10
	v_cmp_lt_u32_e32 vcc, s14, v9
	v_cndmask_b32_e64 v9, 0, 1, vcc
; %bb.27:
	s_or_b64 exec, exec, s[4:5]
	v_add_u32_e32 v10, 8, v36
	v_cmp_gt_u32_e32 vcc, s33, v10
	v_mov_b32_e32 v11, 0
	v_mov_b32_e32 v10, 0
	s_and_saveexec_b64 s[4:5], vcc
; %bb.28:
	v_add_u32_e32 v10, s9, v24
	v_add_u32_e32 v12, s11, v24
	v_mul_lo_u32 v10, v10, s8
	v_mul_lo_u32 v12, v12, s10
	v_sub_u32_e32 v10, v10, v12
	v_cmp_lt_u32_e32 vcc, s14, v10
	v_cndmask_b32_e64 v10, 0, 1, vcc
; %bb.29:
	s_or_b64 exec, exec, s[4:5]
	v_add_u32_e32 v12, 9, v36
	v_cmp_gt_u32_e32 vcc, s33, v12
	s_and_saveexec_b64 s[4:5], vcc
; %bb.30:
	v_add_u32_e32 v11, s9, v25
	v_add_u32_e32 v12, s11, v25
	v_mul_lo_u32 v11, v11, s8
	v_mul_lo_u32 v12, v12, s10
	v_sub_u32_e32 v11, v11, v12
	v_cmp_lt_u32_e32 vcc, s14, v11
	v_cndmask_b32_e64 v11, 0, 1, vcc
; %bb.31:
	s_or_b64 exec, exec, s[4:5]
	v_add_u32_e32 v12, 10, v36
	v_cmp_gt_u32_e32 vcc, s33, v12
	v_mov_b32_e32 v13, 0
	v_mov_b32_e32 v12, 0
	s_and_saveexec_b64 s[4:5], vcc
; %bb.32:
	v_add_u32_e32 v12, s9, v22
	v_add_u32_e32 v14, s11, v22
	v_mul_lo_u32 v12, v12, s8
	v_mul_lo_u32 v14, v14, s10
	v_sub_u32_e32 v12, v12, v14
	v_cmp_lt_u32_e32 vcc, s14, v12
	v_cndmask_b32_e64 v12, 0, 1, vcc
; %bb.33:
	s_or_b64 exec, exec, s[4:5]
	v_add_u32_e32 v14, 11, v36
	v_cmp_gt_u32_e32 vcc, s33, v14
	s_and_saveexec_b64 s[4:5], vcc
; %bb.34:
	v_add_u32_e32 v13, s9, v23
	v_add_u32_e32 v14, s11, v23
	v_mul_lo_u32 v13, v13, s8
	v_mul_lo_u32 v14, v14, s10
	v_sub_u32_e32 v13, v13, v14
	v_cmp_lt_u32_e32 vcc, s14, v13
	v_cndmask_b32_e64 v13, 0, 1, vcc
; %bb.35:
	s_or_b64 exec, exec, s[4:5]
	v_add_u32_e32 v14, 12, v36
	v_cmp_gt_u32_e32 vcc, s33, v14
	v_mov_b32_e32 v37, 0
	s_and_saveexec_b64 s[4:5], vcc
; %bb.36:
	v_add_u32_e32 v14, s9, v35
	v_add_u32_e32 v15, s11, v35
	v_mul_lo_u32 v14, v14, s8
	v_mul_lo_u32 v15, v15, s10
	v_sub_u32_e32 v14, v14, v15
	v_cmp_lt_u32_e32 vcc, s14, v14
	v_cndmask_b32_e64 v37, 0, 1, vcc
; %bb.37:
	s_or_b64 exec, exec, s[4:5]
	v_lshlrev_b16_e32 v3, 8, v3
	v_or_b32_e32 v2, v2, v3
	v_lshlrev_b16_e32 v3, 8, v5
	v_or_b32_sdwa v3, v4, v3 dst_sel:WORD_1 dst_unused:UNUSED_PAD src0_sel:DWORD src1_sel:DWORD
	v_or_b32_sdwa v40, v2, v3 dst_sel:DWORD dst_unused:UNUSED_PAD src0_sel:WORD_0 src1_sel:DWORD
	v_lshlrev_b16_e32 v2, 8, v7
	v_lshlrev_b16_e32 v3, 8, v9
	v_or_b32_e32 v2, v6, v2
	v_or_b32_sdwa v3, v8, v3 dst_sel:WORD_1 dst_unused:UNUSED_PAD src0_sel:DWORD src1_sel:DWORD
	v_or_b32_sdwa v39, v2, v3 dst_sel:DWORD dst_unused:UNUSED_PAD src0_sel:WORD_0 src1_sel:DWORD
	v_lshlrev_b16_e32 v2, 8, v11
	v_lshlrev_b16_e32 v3, 8, v13
	v_or_b32_e32 v2, v10, v2
	v_or_b32_sdwa v3, v12, v3 dst_sel:WORD_1 dst_unused:UNUSED_PAD src0_sel:DWORD src1_sel:DWORD
	v_or_b32_sdwa v38, v2, v3 dst_sel:DWORD dst_unused:UNUSED_PAD src0_sel:WORD_0 src1_sel:DWORD
.LBB284_38:
	v_and_b32_e32 v44, 0xff, v40
	v_bfe_u32 v45, v40, 8, 8
	v_bfe_u32 v46, v40, 16, 8
	v_lshrrev_b32_e32 v43, 24, v40
	v_and_b32_e32 v47, 0xff, v39
	v_add3_u32 v3, v45, v44, v46
	v_bfe_u32 v48, v39, 8, 8
	v_bfe_u32 v49, v39, 16, 8
	v_add3_u32 v3, v3, v43, v47
	v_lshrrev_b32_e32 v42, 24, v39
	v_and_b32_e32 v50, 0xff, v38
	v_add3_u32 v3, v3, v48, v49
	v_bfe_u32 v51, v38, 8, 8
	v_bfe_u32 v52, v38, 16, 8
	v_add3_u32 v3, v3, v42, v50
	v_lshrrev_b32_e32 v41, 24, v38
	v_and_b32_e32 v2, 0xff, v37
	v_add3_u32 v3, v3, v51, v52
	v_add3_u32 v55, v3, v41, v2
	v_mbcnt_lo_u32_b32 v2, -1, 0
	v_mbcnt_hi_u32_b32 v53, -1, v2
	v_and_b32_e32 v2, 15, v53
	v_cmp_eq_u32_e64 s[16:17], 0, v2
	v_cmp_lt_u32_e64 s[14:15], 1, v2
	v_cmp_lt_u32_e64 s[12:13], 3, v2
	;; [unrolled: 1-line block ×3, first 2 shown]
	v_and_b32_e32 v2, 16, v53
	v_cmp_eq_u32_e64 s[8:9], 0, v2
	v_or_b32_e32 v2, 63, v0
	s_cmp_lg_u32 s40, 0
	v_cmp_lt_u32_e64 s[4:5], 31, v53
	v_lshrrev_b32_e32 v54, 6, v0
	v_cmp_eq_u32_e64 s[6:7], v2, v0
	s_cbranch_scc0 .LBB284_65
; %bb.39:
	v_mov_b32_dpp v2, v55 row_shr:1 row_mask:0xf bank_mask:0xf
	v_cndmask_b32_e64 v2, v2, 0, s[16:17]
	v_add_u32_e32 v2, v2, v55
	s_nop 1
	v_mov_b32_dpp v3, v2 row_shr:2 row_mask:0xf bank_mask:0xf
	v_cndmask_b32_e64 v3, 0, v3, s[14:15]
	v_add_u32_e32 v2, v2, v3
	s_nop 1
	;; [unrolled: 4-line block ×4, first 2 shown]
	v_mov_b32_dpp v3, v2 row_bcast:15 row_mask:0xf bank_mask:0xf
	v_cndmask_b32_e64 v3, v3, 0, s[8:9]
	v_add_u32_e32 v2, v2, v3
	s_nop 1
	v_mov_b32_dpp v3, v2 row_bcast:31 row_mask:0xf bank_mask:0xf
	v_cndmask_b32_e64 v3, 0, v3, s[4:5]
	v_add_u32_e32 v2, v2, v3
	s_and_saveexec_b64 s[18:19], s[6:7]
	s_cbranch_execz .LBB284_41
; %bb.40:
	v_lshlrev_b32_e32 v3, 2, v54
	ds_write_b32 v3, v2
.LBB284_41:
	s_or_b64 exec, exec, s[18:19]
	v_cmp_gt_u32_e32 vcc, 4, v0
	s_waitcnt lgkmcnt(0)
	s_barrier
	s_and_saveexec_b64 s[18:19], vcc
	s_cbranch_execz .LBB284_43
; %bb.42:
	ds_read_b32 v3, v1
	v_and_b32_e32 v4, 3, v53
	v_cmp_ne_u32_e32 vcc, 0, v4
	s_waitcnt lgkmcnt(0)
	v_mov_b32_dpp v5, v3 row_shr:1 row_mask:0xf bank_mask:0xf
	v_cndmask_b32_e32 v5, 0, v5, vcc
	v_add_u32_e32 v3, v5, v3
	v_cmp_lt_u32_e32 vcc, 1, v4
	s_nop 0
	v_mov_b32_dpp v5, v3 row_shr:2 row_mask:0xf bank_mask:0xf
	v_cndmask_b32_e32 v4, 0, v5, vcc
	v_add_u32_e32 v3, v3, v4
	ds_write_b32 v1, v3
.LBB284_43:
	s_or_b64 exec, exec, s[18:19]
	v_cmp_gt_u32_e32 vcc, 64, v0
	v_cmp_lt_u32_e64 s[18:19], 63, v0
	s_waitcnt lgkmcnt(0)
	s_barrier
	s_waitcnt lgkmcnt(0)
                                        ; implicit-def: $vgpr12
	s_and_saveexec_b64 s[34:35], s[18:19]
	s_cbranch_execz .LBB284_45
; %bb.44:
	v_lshl_add_u32 v3, v54, 2, -4
	ds_read_b32 v12, v3
	s_waitcnt lgkmcnt(0)
	v_add_u32_e32 v2, v12, v2
.LBB284_45:
	s_or_b64 exec, exec, s[34:35]
	v_add_u32_e32 v3, -1, v53
	v_and_b32_e32 v4, 64, v53
	v_cmp_lt_i32_e64 s[18:19], v3, v4
	v_cndmask_b32_e64 v3, v3, v53, s[18:19]
	v_lshlrev_b32_e32 v3, 2, v3
	ds_bpermute_b32 v13, v3, v2
	v_cmp_eq_u32_e64 s[18:19], 0, v53
	s_and_saveexec_b64 s[34:35], vcc
	s_cbranch_execz .LBB284_64
; %bb.46:
	v_mov_b32_e32 v9, 0
	ds_read_b32 v2, v9 offset:12
	s_and_saveexec_b64 s[36:37], s[18:19]
	s_cbranch_execz .LBB284_48
; %bb.47:
	s_add_i32 s38, s40, 64
	s_mov_b32 s39, 0
	s_lshl_b64 s[38:39], s[38:39], 3
	s_add_u32 s38, s30, s38
	v_mov_b32_e32 v3, 1
	s_addc_u32 s39, s31, s39
	s_waitcnt lgkmcnt(0)
	global_store_dwordx2 v9, v[2:3], s[38:39]
.LBB284_48:
	s_or_b64 exec, exec, s[36:37]
	v_xad_u32 v4, v53, -1, s40
	v_add_u32_e32 v8, 64, v4
	v_lshlrev_b64 v[6:7], 3, v[8:9]
	v_mov_b32_e32 v3, s31
	v_add_co_u32_e32 v10, vcc, s30, v6
	v_addc_co_u32_e32 v11, vcc, v3, v7, vcc
	global_load_dwordx2 v[6:7], v[10:11], off glc
	s_waitcnt vmcnt(0)
	v_cmp_eq_u16_sdwa s[38:39], v7, v9 src0_sel:BYTE_0 src1_sel:DWORD
	s_and_saveexec_b64 s[36:37], s[38:39]
	s_cbranch_execz .LBB284_52
; %bb.49:
	s_mov_b64 s[38:39], 0
	v_mov_b32_e32 v3, 0
.LBB284_50:                             ; =>This Inner Loop Header: Depth=1
	global_load_dwordx2 v[6:7], v[10:11], off glc
	s_waitcnt vmcnt(0)
	v_cmp_ne_u16_sdwa s[42:43], v7, v3 src0_sel:BYTE_0 src1_sel:DWORD
	s_or_b64 s[38:39], s[42:43], s[38:39]
	s_andn2_b64 exec, exec, s[38:39]
	s_cbranch_execnz .LBB284_50
; %bb.51:
	s_or_b64 exec, exec, s[38:39]
.LBB284_52:
	s_or_b64 exec, exec, s[36:37]
	v_and_b32_e32 v14, 63, v53
	v_mov_b32_e32 v3, 2
	v_cmp_ne_u32_e32 vcc, 63, v14
	v_cmp_eq_u16_sdwa s[36:37], v7, v3 src0_sel:BYTE_0 src1_sel:DWORD
	v_lshlrev_b64 v[8:9], v53, -1
	v_addc_co_u32_e32 v11, vcc, 0, v53, vcc
	v_and_b32_e32 v5, s37, v9
	v_lshlrev_b32_e32 v15, 2, v11
	v_or_b32_e32 v5, 0x80000000, v5
	ds_bpermute_b32 v11, v15, v6
	v_and_b32_e32 v10, s36, v8
	v_ffbl_b32_e32 v5, v5
	v_add_u32_e32 v5, 32, v5
	v_ffbl_b32_e32 v10, v10
	v_min_u32_e32 v5, v10, v5
	v_cmp_lt_u32_e32 vcc, v14, v5
	s_waitcnt lgkmcnt(0)
	v_cndmask_b32_e32 v10, 0, v11, vcc
	v_cmp_gt_u32_e32 vcc, 62, v14
	v_add_u32_e32 v6, v10, v6
	v_cndmask_b32_e64 v10, 0, 1, vcc
	v_lshlrev_b32_e32 v10, 1, v10
	v_add_lshl_u32 v16, v10, v53, 2
	ds_bpermute_b32 v10, v16, v6
	v_add_u32_e32 v17, 2, v14
	v_cmp_le_u32_e32 vcc, v17, v5
	v_add_u32_e32 v19, 4, v14
	v_add_u32_e32 v57, 8, v14
	s_waitcnt lgkmcnt(0)
	v_cndmask_b32_e32 v10, 0, v10, vcc
	v_cmp_gt_u32_e32 vcc, 60, v14
	v_add_u32_e32 v6, v6, v10
	v_cndmask_b32_e64 v10, 0, 1, vcc
	v_lshlrev_b32_e32 v10, 2, v10
	v_add_lshl_u32 v18, v10, v53, 2
	ds_bpermute_b32 v10, v18, v6
	v_cmp_le_u32_e32 vcc, v19, v5
	v_add_u32_e32 v60, 16, v14
	v_add_u32_e32 v62, 32, v14
	s_waitcnt lgkmcnt(0)
	v_cndmask_b32_e32 v10, 0, v10, vcc
	v_cmp_gt_u32_e32 vcc, 56, v14
	v_add_u32_e32 v6, v6, v10
	v_cndmask_b32_e64 v10, 0, 1, vcc
	v_lshlrev_b32_e32 v10, 3, v10
	v_add_lshl_u32 v56, v10, v53, 2
	ds_bpermute_b32 v10, v56, v6
	v_cmp_le_u32_e32 vcc, v57, v5
	s_waitcnt lgkmcnt(0)
	v_cndmask_b32_e32 v10, 0, v10, vcc
	v_cmp_gt_u32_e32 vcc, 48, v14
	v_add_u32_e32 v6, v6, v10
	v_cndmask_b32_e64 v10, 0, 1, vcc
	v_lshlrev_b32_e32 v10, 4, v10
	v_add_lshl_u32 v59, v10, v53, 2
	ds_bpermute_b32 v10, v59, v6
	v_cmp_le_u32_e32 vcc, v60, v5
	;; [unrolled: 9-line block ×3, first 2 shown]
	s_waitcnt lgkmcnt(0)
	v_cndmask_b32_e32 v5, 0, v10, vcc
	v_add_u32_e32 v6, v6, v5
	v_mov_b32_e32 v5, 0
	s_branch .LBB284_54
.LBB284_53:                             ;   in Loop: Header=BB284_54 Depth=1
	s_or_b64 exec, exec, s[36:37]
	v_cmp_eq_u16_sdwa s[36:37], v7, v3 src0_sel:BYTE_0 src1_sel:DWORD
	v_and_b32_e32 v10, s37, v9
	v_or_b32_e32 v10, 0x80000000, v10
	ds_bpermute_b32 v63, v15, v6
	v_and_b32_e32 v11, s36, v8
	v_ffbl_b32_e32 v10, v10
	v_add_u32_e32 v10, 32, v10
	v_ffbl_b32_e32 v11, v11
	v_min_u32_e32 v10, v11, v10
	v_cmp_lt_u32_e32 vcc, v14, v10
	s_waitcnt lgkmcnt(0)
	v_cndmask_b32_e32 v11, 0, v63, vcc
	v_add_u32_e32 v6, v11, v6
	ds_bpermute_b32 v11, v16, v6
	v_cmp_le_u32_e32 vcc, v17, v10
	v_subrev_u32_e32 v4, 64, v4
	s_waitcnt lgkmcnt(0)
	v_cndmask_b32_e32 v11, 0, v11, vcc
	v_add_u32_e32 v6, v6, v11
	ds_bpermute_b32 v11, v18, v6
	v_cmp_le_u32_e32 vcc, v19, v10
	s_waitcnt lgkmcnt(0)
	v_cndmask_b32_e32 v11, 0, v11, vcc
	v_add_u32_e32 v6, v6, v11
	ds_bpermute_b32 v11, v56, v6
	v_cmp_le_u32_e32 vcc, v57, v10
	s_waitcnt lgkmcnt(0)
	v_cndmask_b32_e32 v11, 0, v11, vcc
	v_add_u32_e32 v6, v6, v11
	ds_bpermute_b32 v11, v59, v6
	v_cmp_le_u32_e32 vcc, v60, v10
	s_waitcnt lgkmcnt(0)
	v_cndmask_b32_e32 v11, 0, v11, vcc
	v_add_u32_e32 v6, v6, v11
	ds_bpermute_b32 v11, v61, v6
	v_cmp_le_u32_e32 vcc, v62, v10
	s_waitcnt lgkmcnt(0)
	v_cndmask_b32_e32 v10, 0, v11, vcc
	v_add3_u32 v6, v10, v58, v6
.LBB284_54:                             ; =>This Loop Header: Depth=1
                                        ;     Child Loop BB284_57 Depth 2
	v_cmp_ne_u16_sdwa s[36:37], v7, v3 src0_sel:BYTE_0 src1_sel:DWORD
	v_cndmask_b32_e64 v7, 0, 1, s[36:37]
	;;#ASMSTART
	;;#ASMEND
	v_cmp_ne_u32_e32 vcc, 0, v7
	s_cmp_lg_u64 vcc, exec
	v_mov_b32_e32 v58, v6
	s_cbranch_scc1 .LBB284_59
; %bb.55:                               ;   in Loop: Header=BB284_54 Depth=1
	v_lshlrev_b64 v[6:7], 3, v[4:5]
	v_mov_b32_e32 v11, s31
	v_add_co_u32_e32 v10, vcc, s30, v6
	v_addc_co_u32_e32 v11, vcc, v11, v7, vcc
	global_load_dwordx2 v[6:7], v[10:11], off glc
	s_waitcnt vmcnt(0)
	v_cmp_eq_u16_sdwa s[38:39], v7, v5 src0_sel:BYTE_0 src1_sel:DWORD
	s_and_saveexec_b64 s[36:37], s[38:39]
	s_cbranch_execz .LBB284_53
; %bb.56:                               ;   in Loop: Header=BB284_54 Depth=1
	s_mov_b64 s[38:39], 0
.LBB284_57:                             ;   Parent Loop BB284_54 Depth=1
                                        ; =>  This Inner Loop Header: Depth=2
	global_load_dwordx2 v[6:7], v[10:11], off glc
	s_waitcnt vmcnt(0)
	v_cmp_ne_u16_sdwa s[42:43], v7, v5 src0_sel:BYTE_0 src1_sel:DWORD
	s_or_b64 s[38:39], s[42:43], s[38:39]
	s_andn2_b64 exec, exec, s[38:39]
	s_cbranch_execnz .LBB284_57
; %bb.58:                               ;   in Loop: Header=BB284_54 Depth=1
	s_or_b64 exec, exec, s[38:39]
	s_branch .LBB284_53
.LBB284_59:                             ;   in Loop: Header=BB284_54 Depth=1
                                        ; implicit-def: $vgpr6
                                        ; implicit-def: $vgpr7
	s_cbranch_execz .LBB284_54
; %bb.60:
	s_and_saveexec_b64 s[36:37], s[18:19]
	s_cbranch_execz .LBB284_62
; %bb.61:
	s_add_i32 s38, s40, 64
	s_mov_b32 s39, 0
	s_lshl_b64 s[38:39], s[38:39], 3
	s_add_u32 s38, s30, s38
	v_add_u32_e32 v4, v58, v2
	v_mov_b32_e32 v5, 2
	s_addc_u32 s39, s31, s39
	v_mov_b32_e32 v3, 0
	global_store_dwordx2 v3, v[4:5], s[38:39]
	s_movk_i32 s38, 0x3400
	v_add_u32_e64 v3, s38, 0
	ds_write2_b32 v3, v2, v58 offset1:2
.LBB284_62:
	s_or_b64 exec, exec, s[36:37]
	s_and_b64 exec, exec, s[0:1]
	s_cbranch_execz .LBB284_64
; %bb.63:
	v_mov_b32_e32 v2, 0
	ds_write_b32 v2, v58 offset:12
.LBB284_64:
	s_or_b64 exec, exec, s[34:35]
	v_mov_b32_e32 v2, 0
	s_waitcnt lgkmcnt(0)
	s_barrier
	ds_read_b32 v2, v2 offset:12
	v_cndmask_b32_e64 v3, v13, v12, s[18:19]
	v_cndmask_b32_e64 v3, v3, 0, s[0:1]
	s_movk_i32 s18, 0x3400
	v_add_u32_e64 v12, s18, 0
	s_waitcnt lgkmcnt(0)
	v_add_u32_e32 v2, v2, v3
	v_add_u32_e32 v3, v2, v44
	;; [unrolled: 1-line block ×9, first 2 shown]
	s_barrier
	ds_read2_b32 v[18:19], v12 offset1:2
	v_add_u32_e32 v11, v10, v50
	v_add_u32_e32 v12, v11, v51
	;; [unrolled: 1-line block ×4, first 2 shown]
	s_branch .LBB284_75
.LBB284_65:
                                        ; implicit-def: $vgpr19
                                        ; implicit-def: $vgpr2_vgpr3_vgpr4_vgpr5_vgpr6_vgpr7_vgpr8_vgpr9_vgpr10_vgpr11_vgpr12_vgpr13_vgpr14_vgpr15_vgpr16_vgpr17
	s_cbranch_execz .LBB284_75
; %bb.66:
	s_nop 0
	v_mov_b32_dpp v2, v55 row_shr:1 row_mask:0xf bank_mask:0xf
	v_cndmask_b32_e64 v2, v2, 0, s[16:17]
	v_add_u32_e32 v2, v2, v55
	s_nop 1
	v_mov_b32_dpp v3, v2 row_shr:2 row_mask:0xf bank_mask:0xf
	v_cndmask_b32_e64 v3, 0, v3, s[14:15]
	v_add_u32_e32 v2, v2, v3
	;; [unrolled: 4-line block ×4, first 2 shown]
	s_nop 1
	v_mov_b32_dpp v3, v2 row_bcast:15 row_mask:0xf bank_mask:0xf
	v_cndmask_b32_e64 v3, v3, 0, s[8:9]
	v_add_u32_e32 v2, v2, v3
	s_nop 1
	v_mov_b32_dpp v3, v2 row_bcast:31 row_mask:0xf bank_mask:0xf
	v_cndmask_b32_e64 v3, 0, v3, s[4:5]
	v_add_u32_e32 v2, v2, v3
	s_and_saveexec_b64 s[4:5], s[6:7]
	s_cbranch_execz .LBB284_68
; %bb.67:
	v_lshlrev_b32_e32 v3, 2, v54
	ds_write_b32 v3, v2
.LBB284_68:
	s_or_b64 exec, exec, s[4:5]
	v_cmp_gt_u32_e32 vcc, 4, v0
	s_waitcnt lgkmcnt(0)
	s_barrier
	s_and_saveexec_b64 s[4:5], vcc
	s_cbranch_execz .LBB284_70
; %bb.69:
	ds_read_b32 v3, v1
	v_and_b32_e32 v4, 3, v53
	v_cmp_ne_u32_e32 vcc, 0, v4
	s_waitcnt lgkmcnt(0)
	v_mov_b32_dpp v5, v3 row_shr:1 row_mask:0xf bank_mask:0xf
	v_cndmask_b32_e32 v5, 0, v5, vcc
	v_add_u32_e32 v3, v5, v3
	v_cmp_lt_u32_e32 vcc, 1, v4
	s_nop 0
	v_mov_b32_dpp v5, v3 row_shr:2 row_mask:0xf bank_mask:0xf
	v_cndmask_b32_e32 v4, 0, v5, vcc
	v_add_u32_e32 v3, v3, v4
	ds_write_b32 v1, v3
.LBB284_70:
	s_or_b64 exec, exec, s[4:5]
	v_cmp_lt_u32_e32 vcc, 63, v0
	v_mov_b32_e32 v4, 0
	v_mov_b32_e32 v3, 0
	s_waitcnt lgkmcnt(0)
	s_barrier
	s_and_saveexec_b64 s[4:5], vcc
	s_cbranch_execz .LBB284_72
; %bb.71:
	v_lshl_add_u32 v3, v54, 2, -4
	ds_read_b32 v3, v3
.LBB284_72:
	s_or_b64 exec, exec, s[4:5]
	v_add_u32_e32 v5, -1, v53
	v_and_b32_e32 v6, 64, v53
	v_cmp_lt_i32_e32 vcc, v5, v6
	v_cndmask_b32_e32 v5, v5, v53, vcc
	s_waitcnt lgkmcnt(0)
	v_add_u32_e32 v2, v3, v2
	v_lshlrev_b32_e32 v5, 2, v5
	ds_bpermute_b32 v2, v5, v2
	ds_read_b32 v18, v4 offset:12
	s_and_saveexec_b64 s[4:5], s[0:1]
	s_cbranch_execz .LBB284_74
; %bb.73:
	v_mov_b32_e32 v4, 0
	v_mov_b32_e32 v19, 2
	s_waitcnt lgkmcnt(0)
	global_store_dwordx2 v4, v[18:19], s[30:31] offset:512
.LBB284_74:
	s_or_b64 exec, exec, s[4:5]
	v_cmp_eq_u32_e32 vcc, 0, v53
	s_waitcnt lgkmcnt(1)
	v_cndmask_b32_e32 v2, v2, v3, vcc
	v_cndmask_b32_e64 v2, v2, 0, s[0:1]
	v_add_u32_e32 v3, v2, v44
	v_add_u32_e32 v4, v3, v45
	;; [unrolled: 1-line block ×11, first 2 shown]
	v_mov_b32_e32 v19, 0
	v_add_u32_e32 v14, v13, v41
	s_waitcnt lgkmcnt(0)
	s_barrier
.LBB284_75:
	s_waitcnt lgkmcnt(0)
	v_add_u32_e32 v36, v18, v36
	v_sub_u32_e32 v2, v2, v19
	v_and_b32_e32 v45, 1, v40
	v_sub_u32_e32 v44, v36, v2
	v_cmp_eq_u32_e32 vcc, 1, v45
	v_cndmask_b32_e32 v2, v44, v2, vcc
	v_lshlrev_b32_e32 v2, 2, v2
	v_lshrrev_b32_e32 v17, 8, v40
	ds_write_b32 v2, v32
	v_sub_u32_e32 v2, v3, v19
	v_sub_u32_e32 v3, v36, v2
	v_and_b32_e32 v17, 1, v17
	v_add_u32_e32 v3, 1, v3
	v_cmp_eq_u32_e32 vcc, 1, v17
	v_cndmask_b32_e32 v2, v3, v2, vcc
	v_lshlrev_b32_e32 v2, 2, v2
	ds_write_b32 v2, v33
	v_sub_u32_e32 v2, v4, v19
	v_mov_b32_e32 v4, 1
	v_sub_u32_e32 v3, v36, v2
	v_and_b32_sdwa v17, v4, v40 dst_sel:DWORD dst_unused:UNUSED_PAD src0_sel:DWORD src1_sel:WORD_1
	v_add_u32_e32 v3, 2, v3
	v_cmp_eq_u32_e32 vcc, 1, v17
	v_cndmask_b32_e32 v2, v3, v2, vcc
	v_lshlrev_b32_e32 v2, 2, v2
	ds_write_b32 v2, v30
	v_sub_u32_e32 v2, v5, v19
	v_sub_u32_e32 v3, v36, v2
	v_and_b32_e32 v5, 1, v43
	v_add_u32_e32 v3, 3, v3
	v_cmp_eq_u32_e32 vcc, 1, v5
	v_cndmask_b32_e32 v2, v3, v2, vcc
	v_lshlrev_b32_e32 v2, 2, v2
	ds_write_b32 v2, v31
	v_sub_u32_e32 v2, v6, v19
	v_sub_u32_e32 v3, v36, v2
	v_and_b32_e32 v5, 1, v39
	v_add_u32_e32 v3, 4, v3
	v_cmp_eq_u32_e32 vcc, 1, v5
	v_cndmask_b32_e32 v2, v3, v2, vcc
	v_lshlrev_b32_e32 v2, 2, v2
	v_lshrrev_b32_e32 v16, 8, v39
	ds_write_b32 v2, v28
	v_sub_u32_e32 v2, v7, v19
	v_sub_u32_e32 v3, v36, v2
	v_and_b32_e32 v5, 1, v16
	v_add_u32_e32 v3, 5, v3
	v_cmp_eq_u32_e32 vcc, 1, v5
	v_cndmask_b32_e32 v2, v3, v2, vcc
	v_lshlrev_b32_e32 v2, 2, v2
	ds_write_b32 v2, v29
	v_sub_u32_e32 v2, v8, v19
	v_sub_u32_e32 v3, v36, v2
	v_and_b32_sdwa v5, v4, v39 dst_sel:DWORD dst_unused:UNUSED_PAD src0_sel:DWORD src1_sel:WORD_1
	v_add_u32_e32 v3, 6, v3
	v_cmp_eq_u32_e32 vcc, 1, v5
	v_cndmask_b32_e32 v2, v3, v2, vcc
	v_lshlrev_b32_e32 v2, 2, v2
	ds_write_b32 v2, v26
	v_sub_u32_e32 v2, v9, v19
	v_sub_u32_e32 v3, v36, v2
	v_and_b32_e32 v5, 1, v42
	v_add_u32_e32 v3, 7, v3
	v_cmp_eq_u32_e32 vcc, 1, v5
	v_cndmask_b32_e32 v2, v3, v2, vcc
	v_lshlrev_b32_e32 v2, 2, v2
	ds_write_b32 v2, v27
	v_sub_u32_e32 v2, v10, v19
	v_sub_u32_e32 v3, v36, v2
	v_and_b32_e32 v5, 1, v38
	v_add_u32_e32 v3, 8, v3
	v_cmp_eq_u32_e32 vcc, 1, v5
	v_cndmask_b32_e32 v2, v3, v2, vcc
	v_lshlrev_b32_e32 v2, 2, v2
	v_lshrrev_b32_e32 v15, 8, v38
	ds_write_b32 v2, v24
	v_sub_u32_e32 v2, v11, v19
	v_sub_u32_e32 v3, v36, v2
	v_and_b32_e32 v5, 1, v15
	v_add_u32_e32 v3, 9, v3
	v_cmp_eq_u32_e32 vcc, 1, v5
	v_cndmask_b32_e32 v2, v3, v2, vcc
	v_lshlrev_b32_e32 v2, 2, v2
	ds_write_b32 v2, v25
	v_sub_u32_e32 v2, v12, v19
	v_sub_u32_e32 v3, v36, v2
	v_and_b32_sdwa v4, v4, v38 dst_sel:DWORD dst_unused:UNUSED_PAD src0_sel:DWORD src1_sel:WORD_1
	v_add_u32_e32 v3, 10, v3
	v_cmp_eq_u32_e32 vcc, 1, v4
	v_cndmask_b32_e32 v2, v3, v2, vcc
	v_lshlrev_b32_e32 v2, 2, v2
	ds_write_b32 v2, v22
	v_sub_u32_e32 v2, v13, v19
	v_sub_u32_e32 v3, v36, v2
	v_and_b32_e32 v4, 1, v41
	v_add_u32_e32 v3, 11, v3
	v_cmp_eq_u32_e32 vcc, 1, v4
	v_cndmask_b32_e32 v2, v3, v2, vcc
	v_lshlrev_b32_e32 v2, 2, v2
	ds_write_b32 v2, v23
	v_sub_u32_e32 v2, v14, v19
	v_sub_u32_e32 v3, v36, v2
	v_and_b32_e32 v4, 1, v37
	v_add_u32_e32 v3, 12, v3
	v_cmp_eq_u32_e32 vcc, 1, v4
	v_cndmask_b32_e32 v2, v3, v2, vcc
	v_lshlrev_b32_e32 v2, 2, v2
	ds_write_b32 v2, v35
	s_waitcnt lgkmcnt(0)
	s_barrier
	ds_read2st64_b32 v[12:13], v1 offset1:4
	ds_read2st64_b32 v[10:11], v1 offset0:8 offset1:12
	ds_read2st64_b32 v[8:9], v1 offset0:16 offset1:20
	;; [unrolled: 1-line block ×5, first 2 shown]
	ds_read_b32 v17, v1 offset:12288
	s_waitcnt vmcnt(0)
	v_add_co_u32_e32 v1, vcc, v20, v19
	v_addc_co_u32_e32 v16, vcc, 0, v21, vcc
	v_mov_b32_e32 v14, s29
	v_add_co_u32_e32 v15, vcc, s28, v34
	v_addc_co_u32_e32 v14, vcc, 0, v14, vcc
	v_mov_b32_e32 v19, s27
	v_sub_co_u32_e32 v15, vcc, s26, v15
	v_subb_co_u32_e32 v14, vcc, v19, v14, vcc
	v_add_co_u32_e32 v15, vcc, v15, v18
	v_addc_co_u32_e32 v14, vcc, 0, v14, vcc
	s_and_b64 vcc, exec, s[2:3]
	v_add_co_u32_e64 v19, s[2:3], v15, v1
	v_or_b32_e32 v33, 0x100, v0
	v_or_b32_e32 v32, 0x200, v0
	;; [unrolled: 1-line block ×12, first 2 shown]
	v_addc_co_u32_e64 v20, s[2:3], v14, v16, s[2:3]
	s_cbranch_vccnz .LBB284_132
; %bb.76:
	v_cmp_ge_u32_e32 vcc, v0, v18
                                        ; implicit-def: $vgpr14_vgpr15
	s_and_saveexec_b64 s[2:3], vcc
	s_xor_b64 s[2:3], exec, s[2:3]
; %bb.77:
	v_not_b32_e32 v14, v0
	v_ashrrev_i32_e32 v15, 31, v14
	v_add_co_u32_e32 v14, vcc, v19, v14
	v_addc_co_u32_e32 v15, vcc, v20, v15, vcc
; %bb.78:
	s_andn2_saveexec_b64 s[2:3], s[2:3]
; %bb.79:
	v_add_co_u32_e32 v14, vcc, v1, v0
	v_addc_co_u32_e32 v15, vcc, 0, v16, vcc
; %bb.80:
	s_or_b64 exec, exec, s[2:3]
	v_lshlrev_b64 v[14:15], 2, v[14:15]
	v_mov_b32_e32 v21, s25
	v_add_co_u32_e32 v14, vcc, s24, v14
	v_addc_co_u32_e32 v15, vcc, v21, v15, vcc
	v_cmp_ge_u32_e32 vcc, v33, v18
	s_waitcnt lgkmcnt(6)
	global_store_dword v[14:15], v12, off
                                        ; implicit-def: $vgpr14_vgpr15
	s_and_saveexec_b64 s[2:3], vcc
	s_xor_b64 s[2:3], exec, s[2:3]
; %bb.81:
	v_xor_b32_e32 v14, 0xfffffeff, v0
	v_ashrrev_i32_e32 v15, 31, v14
	v_add_co_u32_e32 v14, vcc, v19, v14
	v_addc_co_u32_e32 v15, vcc, v20, v15, vcc
; %bb.82:
	s_andn2_saveexec_b64 s[2:3], s[2:3]
; %bb.83:
	v_add_co_u32_e32 v14, vcc, v1, v33
	v_addc_co_u32_e32 v15, vcc, 0, v16, vcc
; %bb.84:
	s_or_b64 exec, exec, s[2:3]
	v_lshlrev_b64 v[14:15], 2, v[14:15]
	v_mov_b32_e32 v21, s25
	v_add_co_u32_e32 v14, vcc, s24, v14
	v_addc_co_u32_e32 v15, vcc, v21, v15, vcc
	v_cmp_ge_u32_e32 vcc, v32, v18
	global_store_dword v[14:15], v13, off
                                        ; implicit-def: $vgpr14_vgpr15
	s_and_saveexec_b64 s[2:3], vcc
	s_xor_b64 s[2:3], exec, s[2:3]
; %bb.85:
	v_xor_b32_e32 v14, 0xfffffdff, v0
	v_ashrrev_i32_e32 v15, 31, v14
	v_add_co_u32_e32 v14, vcc, v19, v14
	v_addc_co_u32_e32 v15, vcc, v20, v15, vcc
; %bb.86:
	s_andn2_saveexec_b64 s[2:3], s[2:3]
; %bb.87:
	v_add_co_u32_e32 v14, vcc, v1, v32
	v_addc_co_u32_e32 v15, vcc, 0, v16, vcc
; %bb.88:
	s_or_b64 exec, exec, s[2:3]
	v_lshlrev_b64 v[14:15], 2, v[14:15]
	v_mov_b32_e32 v21, s25
	v_add_co_u32_e32 v14, vcc, s24, v14
	v_addc_co_u32_e32 v15, vcc, v21, v15, vcc
	v_cmp_ge_u32_e32 vcc, v31, v18
	s_waitcnt lgkmcnt(5)
	global_store_dword v[14:15], v10, off
                                        ; implicit-def: $vgpr14_vgpr15
	s_and_saveexec_b64 s[2:3], vcc
	s_xor_b64 s[2:3], exec, s[2:3]
; %bb.89:
	v_xor_b32_e32 v14, 0xfffffcff, v0
	v_ashrrev_i32_e32 v15, 31, v14
	v_add_co_u32_e32 v14, vcc, v19, v14
	v_addc_co_u32_e32 v15, vcc, v20, v15, vcc
; %bb.90:
	s_andn2_saveexec_b64 s[2:3], s[2:3]
; %bb.91:
	v_add_co_u32_e32 v14, vcc, v1, v31
	v_addc_co_u32_e32 v15, vcc, 0, v16, vcc
; %bb.92:
	s_or_b64 exec, exec, s[2:3]
	v_lshlrev_b64 v[14:15], 2, v[14:15]
	v_mov_b32_e32 v21, s25
	v_add_co_u32_e32 v14, vcc, s24, v14
	v_addc_co_u32_e32 v15, vcc, v21, v15, vcc
	v_cmp_ge_u32_e32 vcc, v30, v18
	global_store_dword v[14:15], v11, off
                                        ; implicit-def: $vgpr14_vgpr15
	s_and_saveexec_b64 s[2:3], vcc
	s_xor_b64 s[2:3], exec, s[2:3]
; %bb.93:
	v_xor_b32_e32 v14, 0xfffffbff, v0
	;; [unrolled: 43-line block ×6, first 2 shown]
	v_ashrrev_i32_e32 v15, 31, v14
	v_add_co_u32_e32 v14, vcc, v19, v14
	v_addc_co_u32_e32 v15, vcc, v20, v15, vcc
; %bb.126:
	s_andn2_saveexec_b64 s[2:3], s[2:3]
; %bb.127:
	v_add_co_u32_e32 v14, vcc, v1, v22
	v_addc_co_u32_e32 v15, vcc, 0, v16, vcc
; %bb.128:
	s_or_b64 exec, exec, s[2:3]
	s_mov_b64 s[2:3], -1
.LBB284_129:
	s_and_saveexec_b64 s[4:5], s[2:3]
	s_cbranch_execz .LBB284_212
.LBB284_130:
	s_waitcnt lgkmcnt(1)
	v_lshlrev_b64 v[2:3], 2, v[14:15]
	v_mov_b32_e32 v0, s25
	v_add_co_u32_e32 v2, vcc, s24, v2
	v_addc_co_u32_e32 v3, vcc, v0, v3, vcc
	s_waitcnt lgkmcnt(0)
	global_store_dword v[2:3], v17, off
	s_or_b64 exec, exec, s[4:5]
	s_and_b64 s[0:1], s[0:1], s[22:23]
	s_and_saveexec_b64 s[2:3], s[0:1]
	s_cbranch_execnz .LBB284_213
.LBB284_131:
	s_endpgm
.LBB284_132:
	s_mov_b64 s[2:3], 0
                                        ; implicit-def: $vgpr14_vgpr15
	s_cbranch_execz .LBB284_129
; %bb.133:
	v_cmp_gt_u32_e32 vcc, s33, v0
	s_and_saveexec_b64 s[4:5], vcc
	s_cbranch_execz .LBB284_169
; %bb.134:
	v_cmp_ge_u32_e32 vcc, v0, v18
                                        ; implicit-def: $vgpr14_vgpr15
	s_and_saveexec_b64 s[6:7], vcc
	s_xor_b64 s[6:7], exec, s[6:7]
; %bb.135:
	v_not_b32_e32 v14, v0
	v_ashrrev_i32_e32 v15, 31, v14
	v_add_co_u32_e32 v14, vcc, v19, v14
	v_addc_co_u32_e32 v15, vcc, v20, v15, vcc
; %bb.136:
	s_andn2_saveexec_b64 s[6:7], s[6:7]
; %bb.137:
	v_add_co_u32_e32 v14, vcc, v1, v0
	v_addc_co_u32_e32 v15, vcc, 0, v16, vcc
; %bb.138:
	s_or_b64 exec, exec, s[6:7]
	v_lshlrev_b64 v[14:15], 2, v[14:15]
	v_mov_b32_e32 v21, s25
	v_add_co_u32_e32 v14, vcc, s24, v14
	v_addc_co_u32_e32 v15, vcc, v21, v15, vcc
	s_waitcnt lgkmcnt(6)
	global_store_dword v[14:15], v12, off
	s_or_b64 exec, exec, s[4:5]
	v_cmp_gt_u32_e32 vcc, s33, v33
	s_and_saveexec_b64 s[4:5], vcc
	s_cbranch_execnz .LBB284_170
.LBB284_139:
	s_or_b64 exec, exec, s[4:5]
	v_cmp_gt_u32_e32 vcc, s33, v32
	s_and_saveexec_b64 s[4:5], vcc
	s_cbranch_execz .LBB284_175
.LBB284_140:
	v_cmp_ge_u32_e32 vcc, v32, v18
                                        ; implicit-def: $vgpr12_vgpr13
	s_and_saveexec_b64 s[6:7], vcc
	s_xor_b64 s[6:7], exec, s[6:7]
	s_cbranch_execz .LBB284_142
; %bb.141:
	s_waitcnt lgkmcnt(6)
	v_xor_b32_e32 v12, 0xfffffdff, v0
	v_ashrrev_i32_e32 v13, 31, v12
	v_add_co_u32_e32 v12, vcc, v19, v12
	v_addc_co_u32_e32 v13, vcc, v20, v13, vcc
                                        ; implicit-def: $vgpr32
.LBB284_142:
	s_andn2_saveexec_b64 s[6:7], s[6:7]
	s_cbranch_execz .LBB284_144
; %bb.143:
	s_waitcnt lgkmcnt(6)
	v_add_co_u32_e32 v12, vcc, v1, v32
	v_addc_co_u32_e32 v13, vcc, 0, v16, vcc
.LBB284_144:
	s_or_b64 exec, exec, s[6:7]
	s_waitcnt lgkmcnt(6)
	v_lshlrev_b64 v[12:13], 2, v[12:13]
	v_mov_b32_e32 v14, s25
	v_add_co_u32_e32 v12, vcc, s24, v12
	v_addc_co_u32_e32 v13, vcc, v14, v13, vcc
	s_waitcnt lgkmcnt(5)
	global_store_dword v[12:13], v10, off
	s_or_b64 exec, exec, s[4:5]
	v_cmp_gt_u32_e32 vcc, s33, v31
	s_and_saveexec_b64 s[4:5], vcc
	s_cbranch_execnz .LBB284_176
.LBB284_145:
	s_or_b64 exec, exec, s[4:5]
	v_cmp_gt_u32_e32 vcc, s33, v30
	s_and_saveexec_b64 s[4:5], vcc
	s_cbranch_execz .LBB284_181
.LBB284_146:
	v_cmp_ge_u32_e32 vcc, v30, v18
                                        ; implicit-def: $vgpr10_vgpr11
	s_and_saveexec_b64 s[6:7], vcc
	s_xor_b64 s[6:7], exec, s[6:7]
	s_cbranch_execz .LBB284_148
; %bb.147:
	s_waitcnt lgkmcnt(5)
	v_xor_b32_e32 v10, 0xfffffbff, v0
	v_ashrrev_i32_e32 v11, 31, v10
	v_add_co_u32_e32 v10, vcc, v19, v10
	v_addc_co_u32_e32 v11, vcc, v20, v11, vcc
                                        ; implicit-def: $vgpr30
.LBB284_148:
	s_andn2_saveexec_b64 s[6:7], s[6:7]
	s_cbranch_execz .LBB284_150
; %bb.149:
	s_waitcnt lgkmcnt(5)
	v_add_co_u32_e32 v10, vcc, v1, v30
	v_addc_co_u32_e32 v11, vcc, 0, v16, vcc
.LBB284_150:
	s_or_b64 exec, exec, s[6:7]
	s_waitcnt lgkmcnt(5)
	v_lshlrev_b64 v[10:11], 2, v[10:11]
	v_mov_b32_e32 v12, s25
	v_add_co_u32_e32 v10, vcc, s24, v10
	v_addc_co_u32_e32 v11, vcc, v12, v11, vcc
	s_waitcnt lgkmcnt(4)
	global_store_dword v[10:11], v8, off
	s_or_b64 exec, exec, s[4:5]
	v_cmp_gt_u32_e32 vcc, s33, v29
	s_and_saveexec_b64 s[4:5], vcc
	s_cbranch_execnz .LBB284_182
.LBB284_151:
	s_or_b64 exec, exec, s[4:5]
	v_cmp_gt_u32_e32 vcc, s33, v28
	s_and_saveexec_b64 s[4:5], vcc
	s_cbranch_execz .LBB284_187
.LBB284_152:
	v_cmp_ge_u32_e32 vcc, v28, v18
                                        ; implicit-def: $vgpr8_vgpr9
	s_and_saveexec_b64 s[6:7], vcc
	s_xor_b64 s[6:7], exec, s[6:7]
	s_cbranch_execz .LBB284_154
; %bb.153:
	s_waitcnt lgkmcnt(4)
	v_xor_b32_e32 v8, 0xfffff9ff, v0
	v_ashrrev_i32_e32 v9, 31, v8
	v_add_co_u32_e32 v8, vcc, v19, v8
	v_addc_co_u32_e32 v9, vcc, v20, v9, vcc
                                        ; implicit-def: $vgpr28
.LBB284_154:
	s_andn2_saveexec_b64 s[6:7], s[6:7]
	s_cbranch_execz .LBB284_156
; %bb.155:
	s_waitcnt lgkmcnt(4)
	v_add_co_u32_e32 v8, vcc, v1, v28
	v_addc_co_u32_e32 v9, vcc, 0, v16, vcc
.LBB284_156:
	s_or_b64 exec, exec, s[6:7]
	s_waitcnt lgkmcnt(4)
	v_lshlrev_b64 v[8:9], 2, v[8:9]
	v_mov_b32_e32 v10, s25
	v_add_co_u32_e32 v8, vcc, s24, v8
	v_addc_co_u32_e32 v9, vcc, v10, v9, vcc
	s_waitcnt lgkmcnt(3)
	global_store_dword v[8:9], v6, off
	s_or_b64 exec, exec, s[4:5]
	v_cmp_gt_u32_e32 vcc, s33, v27
	s_and_saveexec_b64 s[4:5], vcc
	s_cbranch_execnz .LBB284_188
.LBB284_157:
	s_or_b64 exec, exec, s[4:5]
	v_cmp_gt_u32_e32 vcc, s33, v26
	s_and_saveexec_b64 s[4:5], vcc
	s_cbranch_execz .LBB284_193
.LBB284_158:
	v_cmp_ge_u32_e32 vcc, v26, v18
                                        ; implicit-def: $vgpr6_vgpr7
	s_and_saveexec_b64 s[6:7], vcc
	s_xor_b64 s[6:7], exec, s[6:7]
	s_cbranch_execz .LBB284_160
; %bb.159:
	s_waitcnt lgkmcnt(3)
	v_xor_b32_e32 v6, 0xfffff7ff, v0
	v_ashrrev_i32_e32 v7, 31, v6
	v_add_co_u32_e32 v6, vcc, v19, v6
	v_addc_co_u32_e32 v7, vcc, v20, v7, vcc
                                        ; implicit-def: $vgpr26
.LBB284_160:
	s_andn2_saveexec_b64 s[6:7], s[6:7]
	s_cbranch_execz .LBB284_162
; %bb.161:
	s_waitcnt lgkmcnt(3)
	v_add_co_u32_e32 v6, vcc, v1, v26
	v_addc_co_u32_e32 v7, vcc, 0, v16, vcc
.LBB284_162:
	s_or_b64 exec, exec, s[6:7]
	s_waitcnt lgkmcnt(3)
	v_lshlrev_b64 v[6:7], 2, v[6:7]
	v_mov_b32_e32 v8, s25
	v_add_co_u32_e32 v6, vcc, s24, v6
	v_addc_co_u32_e32 v7, vcc, v8, v7, vcc
	s_waitcnt lgkmcnt(2)
	global_store_dword v[6:7], v4, off
	s_or_b64 exec, exec, s[4:5]
	v_cmp_gt_u32_e32 vcc, s33, v25
	s_and_saveexec_b64 s[4:5], vcc
	s_cbranch_execnz .LBB284_194
.LBB284_163:
	s_or_b64 exec, exec, s[4:5]
	v_cmp_gt_u32_e32 vcc, s33, v24
	s_and_saveexec_b64 s[4:5], vcc
	s_cbranch_execz .LBB284_199
.LBB284_164:
	v_cmp_ge_u32_e32 vcc, v24, v18
                                        ; implicit-def: $vgpr4_vgpr5
	s_and_saveexec_b64 s[6:7], vcc
	s_xor_b64 s[6:7], exec, s[6:7]
	s_cbranch_execz .LBB284_166
; %bb.165:
	s_waitcnt lgkmcnt(2)
	v_xor_b32_e32 v4, 0xfffff5ff, v0
	v_ashrrev_i32_e32 v5, 31, v4
	v_add_co_u32_e32 v4, vcc, v19, v4
	v_addc_co_u32_e32 v5, vcc, v20, v5, vcc
                                        ; implicit-def: $vgpr24
.LBB284_166:
	s_andn2_saveexec_b64 s[6:7], s[6:7]
	s_cbranch_execz .LBB284_168
; %bb.167:
	s_waitcnt lgkmcnt(2)
	v_add_co_u32_e32 v4, vcc, v1, v24
	v_addc_co_u32_e32 v5, vcc, 0, v16, vcc
.LBB284_168:
	s_or_b64 exec, exec, s[6:7]
	s_waitcnt lgkmcnt(2)
	v_lshlrev_b64 v[4:5], 2, v[4:5]
	v_mov_b32_e32 v6, s25
	v_add_co_u32_e32 v4, vcc, s24, v4
	v_addc_co_u32_e32 v5, vcc, v6, v5, vcc
	s_waitcnt lgkmcnt(1)
	global_store_dword v[4:5], v2, off
	s_or_b64 exec, exec, s[4:5]
	v_cmp_gt_u32_e32 vcc, s33, v23
	s_and_saveexec_b64 s[4:5], vcc
	s_cbranch_execz .LBB284_205
	s_branch .LBB284_200
.LBB284_169:
	s_or_b64 exec, exec, s[4:5]
	v_cmp_gt_u32_e32 vcc, s33, v33
	s_and_saveexec_b64 s[4:5], vcc
	s_cbranch_execz .LBB284_139
.LBB284_170:
	v_cmp_ge_u32_e32 vcc, v33, v18
                                        ; implicit-def: $vgpr14_vgpr15
	s_and_saveexec_b64 s[6:7], vcc
	s_xor_b64 s[6:7], exec, s[6:7]
	s_cbranch_execz .LBB284_172
; %bb.171:
	s_waitcnt lgkmcnt(6)
	v_xor_b32_e32 v12, 0xfffffeff, v0
	v_ashrrev_i32_e32 v15, 31, v12
	v_add_co_u32_e32 v14, vcc, v19, v12
	v_addc_co_u32_e32 v15, vcc, v20, v15, vcc
                                        ; implicit-def: $vgpr33
.LBB284_172:
	s_andn2_saveexec_b64 s[6:7], s[6:7]
; %bb.173:
	v_add_co_u32_e32 v14, vcc, v1, v33
	v_addc_co_u32_e32 v15, vcc, 0, v16, vcc
; %bb.174:
	s_or_b64 exec, exec, s[6:7]
	v_lshlrev_b64 v[14:15], 2, v[14:15]
	s_waitcnt lgkmcnt(6)
	v_mov_b32_e32 v12, s25
	v_add_co_u32_e32 v14, vcc, s24, v14
	v_addc_co_u32_e32 v15, vcc, v12, v15, vcc
	global_store_dword v[14:15], v13, off
	s_or_b64 exec, exec, s[4:5]
	v_cmp_gt_u32_e32 vcc, s33, v32
	s_and_saveexec_b64 s[4:5], vcc
	s_cbranch_execnz .LBB284_140
.LBB284_175:
	s_or_b64 exec, exec, s[4:5]
	v_cmp_gt_u32_e32 vcc, s33, v31
	s_and_saveexec_b64 s[4:5], vcc
	s_cbranch_execz .LBB284_145
.LBB284_176:
	v_cmp_ge_u32_e32 vcc, v31, v18
                                        ; implicit-def: $vgpr12_vgpr13
	s_and_saveexec_b64 s[6:7], vcc
	s_xor_b64 s[6:7], exec, s[6:7]
	s_cbranch_execz .LBB284_178
; %bb.177:
	s_waitcnt lgkmcnt(5)
	v_xor_b32_e32 v10, 0xfffffcff, v0
	v_ashrrev_i32_e32 v13, 31, v10
	v_add_co_u32_e32 v12, vcc, v19, v10
	v_addc_co_u32_e32 v13, vcc, v20, v13, vcc
                                        ; implicit-def: $vgpr31
.LBB284_178:
	s_andn2_saveexec_b64 s[6:7], s[6:7]
	s_cbranch_execz .LBB284_180
; %bb.179:
	s_waitcnt lgkmcnt(6)
	v_add_co_u32_e32 v12, vcc, v1, v31
	v_addc_co_u32_e32 v13, vcc, 0, v16, vcc
.LBB284_180:
	s_or_b64 exec, exec, s[6:7]
	s_waitcnt lgkmcnt(6)
	v_lshlrev_b64 v[12:13], 2, v[12:13]
	s_waitcnt lgkmcnt(5)
	v_mov_b32_e32 v10, s25
	v_add_co_u32_e32 v12, vcc, s24, v12
	v_addc_co_u32_e32 v13, vcc, v10, v13, vcc
	global_store_dword v[12:13], v11, off
	s_or_b64 exec, exec, s[4:5]
	v_cmp_gt_u32_e32 vcc, s33, v30
	s_and_saveexec_b64 s[4:5], vcc
	s_cbranch_execnz .LBB284_146
.LBB284_181:
	s_or_b64 exec, exec, s[4:5]
	v_cmp_gt_u32_e32 vcc, s33, v29
	s_and_saveexec_b64 s[4:5], vcc
	s_cbranch_execz .LBB284_151
.LBB284_182:
	v_cmp_ge_u32_e32 vcc, v29, v18
                                        ; implicit-def: $vgpr10_vgpr11
	s_and_saveexec_b64 s[6:7], vcc
	s_xor_b64 s[6:7], exec, s[6:7]
	s_cbranch_execz .LBB284_184
; %bb.183:
	s_waitcnt lgkmcnt(4)
	v_xor_b32_e32 v8, 0xfffffaff, v0
	v_ashrrev_i32_e32 v11, 31, v8
	v_add_co_u32_e32 v10, vcc, v19, v8
	v_addc_co_u32_e32 v11, vcc, v20, v11, vcc
                                        ; implicit-def: $vgpr29
.LBB284_184:
	s_andn2_saveexec_b64 s[6:7], s[6:7]
	s_cbranch_execz .LBB284_186
; %bb.185:
	s_waitcnt lgkmcnt(5)
	v_add_co_u32_e32 v10, vcc, v1, v29
	v_addc_co_u32_e32 v11, vcc, 0, v16, vcc
.LBB284_186:
	s_or_b64 exec, exec, s[6:7]
	s_waitcnt lgkmcnt(5)
	v_lshlrev_b64 v[10:11], 2, v[10:11]
	s_waitcnt lgkmcnt(4)
	v_mov_b32_e32 v8, s25
	v_add_co_u32_e32 v10, vcc, s24, v10
	v_addc_co_u32_e32 v11, vcc, v8, v11, vcc
	global_store_dword v[10:11], v9, off
	s_or_b64 exec, exec, s[4:5]
	v_cmp_gt_u32_e32 vcc, s33, v28
	s_and_saveexec_b64 s[4:5], vcc
	s_cbranch_execnz .LBB284_152
.LBB284_187:
	s_or_b64 exec, exec, s[4:5]
	v_cmp_gt_u32_e32 vcc, s33, v27
	s_and_saveexec_b64 s[4:5], vcc
	s_cbranch_execz .LBB284_157
.LBB284_188:
	v_cmp_ge_u32_e32 vcc, v27, v18
                                        ; implicit-def: $vgpr8_vgpr9
	s_and_saveexec_b64 s[6:7], vcc
	s_xor_b64 s[6:7], exec, s[6:7]
	s_cbranch_execz .LBB284_190
; %bb.189:
	s_waitcnt lgkmcnt(3)
	v_xor_b32_e32 v6, 0xfffff8ff, v0
	v_ashrrev_i32_e32 v9, 31, v6
	v_add_co_u32_e32 v8, vcc, v19, v6
	v_addc_co_u32_e32 v9, vcc, v20, v9, vcc
                                        ; implicit-def: $vgpr27
.LBB284_190:
	s_andn2_saveexec_b64 s[6:7], s[6:7]
	s_cbranch_execz .LBB284_192
; %bb.191:
	s_waitcnt lgkmcnt(4)
	v_add_co_u32_e32 v8, vcc, v1, v27
	v_addc_co_u32_e32 v9, vcc, 0, v16, vcc
.LBB284_192:
	s_or_b64 exec, exec, s[6:7]
	s_waitcnt lgkmcnt(4)
	v_lshlrev_b64 v[8:9], 2, v[8:9]
	s_waitcnt lgkmcnt(3)
	v_mov_b32_e32 v6, s25
	v_add_co_u32_e32 v8, vcc, s24, v8
	v_addc_co_u32_e32 v9, vcc, v6, v9, vcc
	global_store_dword v[8:9], v7, off
	s_or_b64 exec, exec, s[4:5]
	v_cmp_gt_u32_e32 vcc, s33, v26
	s_and_saveexec_b64 s[4:5], vcc
	s_cbranch_execnz .LBB284_158
.LBB284_193:
	s_or_b64 exec, exec, s[4:5]
	v_cmp_gt_u32_e32 vcc, s33, v25
	s_and_saveexec_b64 s[4:5], vcc
	s_cbranch_execz .LBB284_163
.LBB284_194:
	v_cmp_ge_u32_e32 vcc, v25, v18
                                        ; implicit-def: $vgpr6_vgpr7
	s_and_saveexec_b64 s[6:7], vcc
	s_xor_b64 s[6:7], exec, s[6:7]
	s_cbranch_execz .LBB284_196
; %bb.195:
	s_waitcnt lgkmcnt(2)
	v_xor_b32_e32 v4, 0xfffff6ff, v0
	v_ashrrev_i32_e32 v7, 31, v4
	v_add_co_u32_e32 v6, vcc, v19, v4
	v_addc_co_u32_e32 v7, vcc, v20, v7, vcc
                                        ; implicit-def: $vgpr25
.LBB284_196:
	s_andn2_saveexec_b64 s[6:7], s[6:7]
	s_cbranch_execz .LBB284_198
; %bb.197:
	s_waitcnt lgkmcnt(3)
	v_add_co_u32_e32 v6, vcc, v1, v25
	v_addc_co_u32_e32 v7, vcc, 0, v16, vcc
.LBB284_198:
	s_or_b64 exec, exec, s[6:7]
	s_waitcnt lgkmcnt(3)
	v_lshlrev_b64 v[6:7], 2, v[6:7]
	s_waitcnt lgkmcnt(2)
	v_mov_b32_e32 v4, s25
	v_add_co_u32_e32 v6, vcc, s24, v6
	v_addc_co_u32_e32 v7, vcc, v4, v7, vcc
	global_store_dword v[6:7], v5, off
	s_or_b64 exec, exec, s[4:5]
	v_cmp_gt_u32_e32 vcc, s33, v24
	s_and_saveexec_b64 s[4:5], vcc
	s_cbranch_execnz .LBB284_164
.LBB284_199:
	s_or_b64 exec, exec, s[4:5]
	v_cmp_gt_u32_e32 vcc, s33, v23
	s_and_saveexec_b64 s[4:5], vcc
	s_cbranch_execz .LBB284_205
.LBB284_200:
	v_cmp_ge_u32_e32 vcc, v23, v18
                                        ; implicit-def: $vgpr4_vgpr5
	s_and_saveexec_b64 s[6:7], vcc
	s_xor_b64 s[6:7], exec, s[6:7]
	s_cbranch_execz .LBB284_202
; %bb.201:
	s_waitcnt lgkmcnt(1)
	v_xor_b32_e32 v2, 0xfffff4ff, v0
	v_ashrrev_i32_e32 v5, 31, v2
	v_add_co_u32_e32 v4, vcc, v19, v2
	v_addc_co_u32_e32 v5, vcc, v20, v5, vcc
                                        ; implicit-def: $vgpr23
.LBB284_202:
	s_andn2_saveexec_b64 s[6:7], s[6:7]
	s_cbranch_execz .LBB284_204
; %bb.203:
	s_waitcnt lgkmcnt(2)
	v_add_co_u32_e32 v4, vcc, v1, v23
	v_addc_co_u32_e32 v5, vcc, 0, v16, vcc
.LBB284_204:
	s_or_b64 exec, exec, s[6:7]
	s_waitcnt lgkmcnt(2)
	v_lshlrev_b64 v[4:5], 2, v[4:5]
	s_waitcnt lgkmcnt(1)
	v_mov_b32_e32 v2, s25
	v_add_co_u32_e32 v4, vcc, s24, v4
	v_addc_co_u32_e32 v5, vcc, v2, v5, vcc
	global_store_dword v[4:5], v3, off
.LBB284_205:
	s_or_b64 exec, exec, s[4:5]
	v_cmp_gt_u32_e32 vcc, s33, v22
                                        ; implicit-def: $vgpr14_vgpr15
	s_and_saveexec_b64 s[4:5], vcc
	s_cbranch_execz .LBB284_211
; %bb.206:
	v_cmp_ge_u32_e32 vcc, v22, v18
                                        ; implicit-def: $vgpr14_vgpr15
	s_and_saveexec_b64 s[6:7], vcc
	s_xor_b64 s[6:7], exec, s[6:7]
	s_cbranch_execz .LBB284_208
; %bb.207:
	v_xor_b32_e32 v0, 0xfffff3ff, v0
	s_waitcnt lgkmcnt(1)
	v_ashrrev_i32_e32 v2, 31, v0
	v_add_co_u32_e32 v14, vcc, v19, v0
	v_addc_co_u32_e32 v15, vcc, v20, v2, vcc
                                        ; implicit-def: $vgpr22
.LBB284_208:
	s_andn2_saveexec_b64 s[6:7], s[6:7]
; %bb.209:
	v_add_co_u32_e32 v14, vcc, v1, v22
	v_addc_co_u32_e32 v15, vcc, 0, v16, vcc
; %bb.210:
	s_or_b64 exec, exec, s[6:7]
	s_or_b64 s[2:3], s[2:3], exec
.LBB284_211:
	s_or_b64 exec, exec, s[4:5]
	s_and_saveexec_b64 s[4:5], s[2:3]
	s_cbranch_execnz .LBB284_130
.LBB284_212:
	s_or_b64 exec, exec, s[4:5]
	s_and_b64 s[0:1], s[0:1], s[22:23]
	s_and_saveexec_b64 s[2:3], s[0:1]
	s_cbranch_execz .LBB284_131
.LBB284_213:
	v_add_co_u32_e32 v0, vcc, v1, v18
	s_waitcnt lgkmcnt(1)
	v_mov_b32_e32 v2, 0
	v_addc_co_u32_e32 v1, vcc, 0, v16, vcc
	global_store_dwordx2 v2, v[0:1], s[20:21]
	s_endpgm
	.section	.rodata,"a",@progbits
	.p2align	6, 0x0
	.amdhsa_kernel _ZN7rocprim17ROCPRIM_400000_NS6detail17trampoline_kernelINS0_13select_configILj256ELj13ELNS0_17block_load_methodE3ELS4_3ELS4_3ELNS0_20block_scan_algorithmE0ELj4294967295EEENS1_25partition_config_selectorILNS1_17partition_subalgoE3EjNS0_10empty_typeEbEEZZNS1_14partition_implILS8_3ELb0ES6_jNS0_17counting_iteratorIjlEEPS9_SE_NS0_5tupleIJPjSE_EEENSF_IJSE_SE_EEES9_SG_JZNS1_25segmented_radix_sort_implINS0_14default_configELb1EPKaPaPKlPlN2at6native12_GLOBAL__N_18offset_tEEE10hipError_tPvRmT1_PNSt15iterator_traitsISY_E10value_typeET2_T3_PNSZ_IS14_E10value_typeET4_jRbjT5_S1A_jjP12ihipStream_tbEUljE_EEESV_SW_SX_S14_S18_S1A_T6_T7_T9_mT8_S1C_bDpT10_ENKUlT_T0_E_clISt17integral_constantIbLb0EES1O_IbLb1EEEEDaS1K_S1L_EUlS1K_E_NS1_11comp_targetILNS1_3genE4ELNS1_11target_archE910ELNS1_3gpuE8ELNS1_3repE0EEENS1_30default_config_static_selectorELNS0_4arch9wavefront6targetE1EEEvSY_
		.amdhsa_group_segment_fixed_size 13324
		.amdhsa_private_segment_fixed_size 0
		.amdhsa_kernarg_size 152
		.amdhsa_user_sgpr_count 6
		.amdhsa_user_sgpr_private_segment_buffer 1
		.amdhsa_user_sgpr_dispatch_ptr 0
		.amdhsa_user_sgpr_queue_ptr 0
		.amdhsa_user_sgpr_kernarg_segment_ptr 1
		.amdhsa_user_sgpr_dispatch_id 0
		.amdhsa_user_sgpr_flat_scratch_init 0
		.amdhsa_user_sgpr_kernarg_preload_length 0
		.amdhsa_user_sgpr_kernarg_preload_offset 0
		.amdhsa_user_sgpr_private_segment_size 0
		.amdhsa_uses_dynamic_stack 0
		.amdhsa_system_sgpr_private_segment_wavefront_offset 0
		.amdhsa_system_sgpr_workgroup_id_x 1
		.amdhsa_system_sgpr_workgroup_id_y 0
		.amdhsa_system_sgpr_workgroup_id_z 0
		.amdhsa_system_sgpr_workgroup_info 0
		.amdhsa_system_vgpr_workitem_id 0
		.amdhsa_next_free_vgpr 64
		.amdhsa_next_free_sgpr 44
		.amdhsa_accum_offset 64
		.amdhsa_reserve_vcc 1
		.amdhsa_reserve_flat_scratch 0
		.amdhsa_float_round_mode_32 0
		.amdhsa_float_round_mode_16_64 0
		.amdhsa_float_denorm_mode_32 3
		.amdhsa_float_denorm_mode_16_64 3
		.amdhsa_dx10_clamp 1
		.amdhsa_ieee_mode 1
		.amdhsa_fp16_overflow 0
		.amdhsa_tg_split 0
		.amdhsa_exception_fp_ieee_invalid_op 0
		.amdhsa_exception_fp_denorm_src 0
		.amdhsa_exception_fp_ieee_div_zero 0
		.amdhsa_exception_fp_ieee_overflow 0
		.amdhsa_exception_fp_ieee_underflow 0
		.amdhsa_exception_fp_ieee_inexact 0
		.amdhsa_exception_int_div_zero 0
	.end_amdhsa_kernel
	.section	.text._ZN7rocprim17ROCPRIM_400000_NS6detail17trampoline_kernelINS0_13select_configILj256ELj13ELNS0_17block_load_methodE3ELS4_3ELS4_3ELNS0_20block_scan_algorithmE0ELj4294967295EEENS1_25partition_config_selectorILNS1_17partition_subalgoE3EjNS0_10empty_typeEbEEZZNS1_14partition_implILS8_3ELb0ES6_jNS0_17counting_iteratorIjlEEPS9_SE_NS0_5tupleIJPjSE_EEENSF_IJSE_SE_EEES9_SG_JZNS1_25segmented_radix_sort_implINS0_14default_configELb1EPKaPaPKlPlN2at6native12_GLOBAL__N_18offset_tEEE10hipError_tPvRmT1_PNSt15iterator_traitsISY_E10value_typeET2_T3_PNSZ_IS14_E10value_typeET4_jRbjT5_S1A_jjP12ihipStream_tbEUljE_EEESV_SW_SX_S14_S18_S1A_T6_T7_T9_mT8_S1C_bDpT10_ENKUlT_T0_E_clISt17integral_constantIbLb0EES1O_IbLb1EEEEDaS1K_S1L_EUlS1K_E_NS1_11comp_targetILNS1_3genE4ELNS1_11target_archE910ELNS1_3gpuE8ELNS1_3repE0EEENS1_30default_config_static_selectorELNS0_4arch9wavefront6targetE1EEEvSY_,"axG",@progbits,_ZN7rocprim17ROCPRIM_400000_NS6detail17trampoline_kernelINS0_13select_configILj256ELj13ELNS0_17block_load_methodE3ELS4_3ELS4_3ELNS0_20block_scan_algorithmE0ELj4294967295EEENS1_25partition_config_selectorILNS1_17partition_subalgoE3EjNS0_10empty_typeEbEEZZNS1_14partition_implILS8_3ELb0ES6_jNS0_17counting_iteratorIjlEEPS9_SE_NS0_5tupleIJPjSE_EEENSF_IJSE_SE_EEES9_SG_JZNS1_25segmented_radix_sort_implINS0_14default_configELb1EPKaPaPKlPlN2at6native12_GLOBAL__N_18offset_tEEE10hipError_tPvRmT1_PNSt15iterator_traitsISY_E10value_typeET2_T3_PNSZ_IS14_E10value_typeET4_jRbjT5_S1A_jjP12ihipStream_tbEUljE_EEESV_SW_SX_S14_S18_S1A_T6_T7_T9_mT8_S1C_bDpT10_ENKUlT_T0_E_clISt17integral_constantIbLb0EES1O_IbLb1EEEEDaS1K_S1L_EUlS1K_E_NS1_11comp_targetILNS1_3genE4ELNS1_11target_archE910ELNS1_3gpuE8ELNS1_3repE0EEENS1_30default_config_static_selectorELNS0_4arch9wavefront6targetE1EEEvSY_,comdat
.Lfunc_end284:
	.size	_ZN7rocprim17ROCPRIM_400000_NS6detail17trampoline_kernelINS0_13select_configILj256ELj13ELNS0_17block_load_methodE3ELS4_3ELS4_3ELNS0_20block_scan_algorithmE0ELj4294967295EEENS1_25partition_config_selectorILNS1_17partition_subalgoE3EjNS0_10empty_typeEbEEZZNS1_14partition_implILS8_3ELb0ES6_jNS0_17counting_iteratorIjlEEPS9_SE_NS0_5tupleIJPjSE_EEENSF_IJSE_SE_EEES9_SG_JZNS1_25segmented_radix_sort_implINS0_14default_configELb1EPKaPaPKlPlN2at6native12_GLOBAL__N_18offset_tEEE10hipError_tPvRmT1_PNSt15iterator_traitsISY_E10value_typeET2_T3_PNSZ_IS14_E10value_typeET4_jRbjT5_S1A_jjP12ihipStream_tbEUljE_EEESV_SW_SX_S14_S18_S1A_T6_T7_T9_mT8_S1C_bDpT10_ENKUlT_T0_E_clISt17integral_constantIbLb0EES1O_IbLb1EEEEDaS1K_S1L_EUlS1K_E_NS1_11comp_targetILNS1_3genE4ELNS1_11target_archE910ELNS1_3gpuE8ELNS1_3repE0EEENS1_30default_config_static_selectorELNS0_4arch9wavefront6targetE1EEEvSY_, .Lfunc_end284-_ZN7rocprim17ROCPRIM_400000_NS6detail17trampoline_kernelINS0_13select_configILj256ELj13ELNS0_17block_load_methodE3ELS4_3ELS4_3ELNS0_20block_scan_algorithmE0ELj4294967295EEENS1_25partition_config_selectorILNS1_17partition_subalgoE3EjNS0_10empty_typeEbEEZZNS1_14partition_implILS8_3ELb0ES6_jNS0_17counting_iteratorIjlEEPS9_SE_NS0_5tupleIJPjSE_EEENSF_IJSE_SE_EEES9_SG_JZNS1_25segmented_radix_sort_implINS0_14default_configELb1EPKaPaPKlPlN2at6native12_GLOBAL__N_18offset_tEEE10hipError_tPvRmT1_PNSt15iterator_traitsISY_E10value_typeET2_T3_PNSZ_IS14_E10value_typeET4_jRbjT5_S1A_jjP12ihipStream_tbEUljE_EEESV_SW_SX_S14_S18_S1A_T6_T7_T9_mT8_S1C_bDpT10_ENKUlT_T0_E_clISt17integral_constantIbLb0EES1O_IbLb1EEEEDaS1K_S1L_EUlS1K_E_NS1_11comp_targetILNS1_3genE4ELNS1_11target_archE910ELNS1_3gpuE8ELNS1_3repE0EEENS1_30default_config_static_selectorELNS0_4arch9wavefront6targetE1EEEvSY_
                                        ; -- End function
	.section	.AMDGPU.csdata,"",@progbits
; Kernel info:
; codeLenInByte = 7816
; NumSgprs: 48
; NumVgprs: 64
; NumAgprs: 0
; TotalNumVgprs: 64
; ScratchSize: 0
; MemoryBound: 0
; FloatMode: 240
; IeeeMode: 1
; LDSByteSize: 13324 bytes/workgroup (compile time only)
; SGPRBlocks: 5
; VGPRBlocks: 7
; NumSGPRsForWavesPerEU: 48
; NumVGPRsForWavesPerEU: 64
; AccumOffset: 64
; Occupancy: 4
; WaveLimiterHint : 0
; COMPUTE_PGM_RSRC2:SCRATCH_EN: 0
; COMPUTE_PGM_RSRC2:USER_SGPR: 6
; COMPUTE_PGM_RSRC2:TRAP_HANDLER: 0
; COMPUTE_PGM_RSRC2:TGID_X_EN: 1
; COMPUTE_PGM_RSRC2:TGID_Y_EN: 0
; COMPUTE_PGM_RSRC2:TGID_Z_EN: 0
; COMPUTE_PGM_RSRC2:TIDIG_COMP_CNT: 0
; COMPUTE_PGM_RSRC3_GFX90A:ACCUM_OFFSET: 15
; COMPUTE_PGM_RSRC3_GFX90A:TG_SPLIT: 0
	.section	.text._ZN7rocprim17ROCPRIM_400000_NS6detail17trampoline_kernelINS0_13select_configILj256ELj13ELNS0_17block_load_methodE3ELS4_3ELS4_3ELNS0_20block_scan_algorithmE0ELj4294967295EEENS1_25partition_config_selectorILNS1_17partition_subalgoE3EjNS0_10empty_typeEbEEZZNS1_14partition_implILS8_3ELb0ES6_jNS0_17counting_iteratorIjlEEPS9_SE_NS0_5tupleIJPjSE_EEENSF_IJSE_SE_EEES9_SG_JZNS1_25segmented_radix_sort_implINS0_14default_configELb1EPKaPaPKlPlN2at6native12_GLOBAL__N_18offset_tEEE10hipError_tPvRmT1_PNSt15iterator_traitsISY_E10value_typeET2_T3_PNSZ_IS14_E10value_typeET4_jRbjT5_S1A_jjP12ihipStream_tbEUljE_EEESV_SW_SX_S14_S18_S1A_T6_T7_T9_mT8_S1C_bDpT10_ENKUlT_T0_E_clISt17integral_constantIbLb0EES1O_IbLb1EEEEDaS1K_S1L_EUlS1K_E_NS1_11comp_targetILNS1_3genE3ELNS1_11target_archE908ELNS1_3gpuE7ELNS1_3repE0EEENS1_30default_config_static_selectorELNS0_4arch9wavefront6targetE1EEEvSY_,"axG",@progbits,_ZN7rocprim17ROCPRIM_400000_NS6detail17trampoline_kernelINS0_13select_configILj256ELj13ELNS0_17block_load_methodE3ELS4_3ELS4_3ELNS0_20block_scan_algorithmE0ELj4294967295EEENS1_25partition_config_selectorILNS1_17partition_subalgoE3EjNS0_10empty_typeEbEEZZNS1_14partition_implILS8_3ELb0ES6_jNS0_17counting_iteratorIjlEEPS9_SE_NS0_5tupleIJPjSE_EEENSF_IJSE_SE_EEES9_SG_JZNS1_25segmented_radix_sort_implINS0_14default_configELb1EPKaPaPKlPlN2at6native12_GLOBAL__N_18offset_tEEE10hipError_tPvRmT1_PNSt15iterator_traitsISY_E10value_typeET2_T3_PNSZ_IS14_E10value_typeET4_jRbjT5_S1A_jjP12ihipStream_tbEUljE_EEESV_SW_SX_S14_S18_S1A_T6_T7_T9_mT8_S1C_bDpT10_ENKUlT_T0_E_clISt17integral_constantIbLb0EES1O_IbLb1EEEEDaS1K_S1L_EUlS1K_E_NS1_11comp_targetILNS1_3genE3ELNS1_11target_archE908ELNS1_3gpuE7ELNS1_3repE0EEENS1_30default_config_static_selectorELNS0_4arch9wavefront6targetE1EEEvSY_,comdat
	.globl	_ZN7rocprim17ROCPRIM_400000_NS6detail17trampoline_kernelINS0_13select_configILj256ELj13ELNS0_17block_load_methodE3ELS4_3ELS4_3ELNS0_20block_scan_algorithmE0ELj4294967295EEENS1_25partition_config_selectorILNS1_17partition_subalgoE3EjNS0_10empty_typeEbEEZZNS1_14partition_implILS8_3ELb0ES6_jNS0_17counting_iteratorIjlEEPS9_SE_NS0_5tupleIJPjSE_EEENSF_IJSE_SE_EEES9_SG_JZNS1_25segmented_radix_sort_implINS0_14default_configELb1EPKaPaPKlPlN2at6native12_GLOBAL__N_18offset_tEEE10hipError_tPvRmT1_PNSt15iterator_traitsISY_E10value_typeET2_T3_PNSZ_IS14_E10value_typeET4_jRbjT5_S1A_jjP12ihipStream_tbEUljE_EEESV_SW_SX_S14_S18_S1A_T6_T7_T9_mT8_S1C_bDpT10_ENKUlT_T0_E_clISt17integral_constantIbLb0EES1O_IbLb1EEEEDaS1K_S1L_EUlS1K_E_NS1_11comp_targetILNS1_3genE3ELNS1_11target_archE908ELNS1_3gpuE7ELNS1_3repE0EEENS1_30default_config_static_selectorELNS0_4arch9wavefront6targetE1EEEvSY_ ; -- Begin function _ZN7rocprim17ROCPRIM_400000_NS6detail17trampoline_kernelINS0_13select_configILj256ELj13ELNS0_17block_load_methodE3ELS4_3ELS4_3ELNS0_20block_scan_algorithmE0ELj4294967295EEENS1_25partition_config_selectorILNS1_17partition_subalgoE3EjNS0_10empty_typeEbEEZZNS1_14partition_implILS8_3ELb0ES6_jNS0_17counting_iteratorIjlEEPS9_SE_NS0_5tupleIJPjSE_EEENSF_IJSE_SE_EEES9_SG_JZNS1_25segmented_radix_sort_implINS0_14default_configELb1EPKaPaPKlPlN2at6native12_GLOBAL__N_18offset_tEEE10hipError_tPvRmT1_PNSt15iterator_traitsISY_E10value_typeET2_T3_PNSZ_IS14_E10value_typeET4_jRbjT5_S1A_jjP12ihipStream_tbEUljE_EEESV_SW_SX_S14_S18_S1A_T6_T7_T9_mT8_S1C_bDpT10_ENKUlT_T0_E_clISt17integral_constantIbLb0EES1O_IbLb1EEEEDaS1K_S1L_EUlS1K_E_NS1_11comp_targetILNS1_3genE3ELNS1_11target_archE908ELNS1_3gpuE7ELNS1_3repE0EEENS1_30default_config_static_selectorELNS0_4arch9wavefront6targetE1EEEvSY_
	.p2align	8
	.type	_ZN7rocprim17ROCPRIM_400000_NS6detail17trampoline_kernelINS0_13select_configILj256ELj13ELNS0_17block_load_methodE3ELS4_3ELS4_3ELNS0_20block_scan_algorithmE0ELj4294967295EEENS1_25partition_config_selectorILNS1_17partition_subalgoE3EjNS0_10empty_typeEbEEZZNS1_14partition_implILS8_3ELb0ES6_jNS0_17counting_iteratorIjlEEPS9_SE_NS0_5tupleIJPjSE_EEENSF_IJSE_SE_EEES9_SG_JZNS1_25segmented_radix_sort_implINS0_14default_configELb1EPKaPaPKlPlN2at6native12_GLOBAL__N_18offset_tEEE10hipError_tPvRmT1_PNSt15iterator_traitsISY_E10value_typeET2_T3_PNSZ_IS14_E10value_typeET4_jRbjT5_S1A_jjP12ihipStream_tbEUljE_EEESV_SW_SX_S14_S18_S1A_T6_T7_T9_mT8_S1C_bDpT10_ENKUlT_T0_E_clISt17integral_constantIbLb0EES1O_IbLb1EEEEDaS1K_S1L_EUlS1K_E_NS1_11comp_targetILNS1_3genE3ELNS1_11target_archE908ELNS1_3gpuE7ELNS1_3repE0EEENS1_30default_config_static_selectorELNS0_4arch9wavefront6targetE1EEEvSY_,@function
_ZN7rocprim17ROCPRIM_400000_NS6detail17trampoline_kernelINS0_13select_configILj256ELj13ELNS0_17block_load_methodE3ELS4_3ELS4_3ELNS0_20block_scan_algorithmE0ELj4294967295EEENS1_25partition_config_selectorILNS1_17partition_subalgoE3EjNS0_10empty_typeEbEEZZNS1_14partition_implILS8_3ELb0ES6_jNS0_17counting_iteratorIjlEEPS9_SE_NS0_5tupleIJPjSE_EEENSF_IJSE_SE_EEES9_SG_JZNS1_25segmented_radix_sort_implINS0_14default_configELb1EPKaPaPKlPlN2at6native12_GLOBAL__N_18offset_tEEE10hipError_tPvRmT1_PNSt15iterator_traitsISY_E10value_typeET2_T3_PNSZ_IS14_E10value_typeET4_jRbjT5_S1A_jjP12ihipStream_tbEUljE_EEESV_SW_SX_S14_S18_S1A_T6_T7_T9_mT8_S1C_bDpT10_ENKUlT_T0_E_clISt17integral_constantIbLb0EES1O_IbLb1EEEEDaS1K_S1L_EUlS1K_E_NS1_11comp_targetILNS1_3genE3ELNS1_11target_archE908ELNS1_3gpuE7ELNS1_3repE0EEENS1_30default_config_static_selectorELNS0_4arch9wavefront6targetE1EEEvSY_: ; @_ZN7rocprim17ROCPRIM_400000_NS6detail17trampoline_kernelINS0_13select_configILj256ELj13ELNS0_17block_load_methodE3ELS4_3ELS4_3ELNS0_20block_scan_algorithmE0ELj4294967295EEENS1_25partition_config_selectorILNS1_17partition_subalgoE3EjNS0_10empty_typeEbEEZZNS1_14partition_implILS8_3ELb0ES6_jNS0_17counting_iteratorIjlEEPS9_SE_NS0_5tupleIJPjSE_EEENSF_IJSE_SE_EEES9_SG_JZNS1_25segmented_radix_sort_implINS0_14default_configELb1EPKaPaPKlPlN2at6native12_GLOBAL__N_18offset_tEEE10hipError_tPvRmT1_PNSt15iterator_traitsISY_E10value_typeET2_T3_PNSZ_IS14_E10value_typeET4_jRbjT5_S1A_jjP12ihipStream_tbEUljE_EEESV_SW_SX_S14_S18_S1A_T6_T7_T9_mT8_S1C_bDpT10_ENKUlT_T0_E_clISt17integral_constantIbLb0EES1O_IbLb1EEEEDaS1K_S1L_EUlS1K_E_NS1_11comp_targetILNS1_3genE3ELNS1_11target_archE908ELNS1_3gpuE7ELNS1_3repE0EEENS1_30default_config_static_selectorELNS0_4arch9wavefront6targetE1EEEvSY_
; %bb.0:
	.section	.rodata,"a",@progbits
	.p2align	6, 0x0
	.amdhsa_kernel _ZN7rocprim17ROCPRIM_400000_NS6detail17trampoline_kernelINS0_13select_configILj256ELj13ELNS0_17block_load_methodE3ELS4_3ELS4_3ELNS0_20block_scan_algorithmE0ELj4294967295EEENS1_25partition_config_selectorILNS1_17partition_subalgoE3EjNS0_10empty_typeEbEEZZNS1_14partition_implILS8_3ELb0ES6_jNS0_17counting_iteratorIjlEEPS9_SE_NS0_5tupleIJPjSE_EEENSF_IJSE_SE_EEES9_SG_JZNS1_25segmented_radix_sort_implINS0_14default_configELb1EPKaPaPKlPlN2at6native12_GLOBAL__N_18offset_tEEE10hipError_tPvRmT1_PNSt15iterator_traitsISY_E10value_typeET2_T3_PNSZ_IS14_E10value_typeET4_jRbjT5_S1A_jjP12ihipStream_tbEUljE_EEESV_SW_SX_S14_S18_S1A_T6_T7_T9_mT8_S1C_bDpT10_ENKUlT_T0_E_clISt17integral_constantIbLb0EES1O_IbLb1EEEEDaS1K_S1L_EUlS1K_E_NS1_11comp_targetILNS1_3genE3ELNS1_11target_archE908ELNS1_3gpuE7ELNS1_3repE0EEENS1_30default_config_static_selectorELNS0_4arch9wavefront6targetE1EEEvSY_
		.amdhsa_group_segment_fixed_size 0
		.amdhsa_private_segment_fixed_size 0
		.amdhsa_kernarg_size 152
		.amdhsa_user_sgpr_count 6
		.amdhsa_user_sgpr_private_segment_buffer 1
		.amdhsa_user_sgpr_dispatch_ptr 0
		.amdhsa_user_sgpr_queue_ptr 0
		.amdhsa_user_sgpr_kernarg_segment_ptr 1
		.amdhsa_user_sgpr_dispatch_id 0
		.amdhsa_user_sgpr_flat_scratch_init 0
		.amdhsa_user_sgpr_kernarg_preload_length 0
		.amdhsa_user_sgpr_kernarg_preload_offset 0
		.amdhsa_user_sgpr_private_segment_size 0
		.amdhsa_uses_dynamic_stack 0
		.amdhsa_system_sgpr_private_segment_wavefront_offset 0
		.amdhsa_system_sgpr_workgroup_id_x 1
		.amdhsa_system_sgpr_workgroup_id_y 0
		.amdhsa_system_sgpr_workgroup_id_z 0
		.amdhsa_system_sgpr_workgroup_info 0
		.amdhsa_system_vgpr_workitem_id 0
		.amdhsa_next_free_vgpr 1
		.amdhsa_next_free_sgpr 0
		.amdhsa_accum_offset 4
		.amdhsa_reserve_vcc 0
		.amdhsa_reserve_flat_scratch 0
		.amdhsa_float_round_mode_32 0
		.amdhsa_float_round_mode_16_64 0
		.amdhsa_float_denorm_mode_32 3
		.amdhsa_float_denorm_mode_16_64 3
		.amdhsa_dx10_clamp 1
		.amdhsa_ieee_mode 1
		.amdhsa_fp16_overflow 0
		.amdhsa_tg_split 0
		.amdhsa_exception_fp_ieee_invalid_op 0
		.amdhsa_exception_fp_denorm_src 0
		.amdhsa_exception_fp_ieee_div_zero 0
		.amdhsa_exception_fp_ieee_overflow 0
		.amdhsa_exception_fp_ieee_underflow 0
		.amdhsa_exception_fp_ieee_inexact 0
		.amdhsa_exception_int_div_zero 0
	.end_amdhsa_kernel
	.section	.text._ZN7rocprim17ROCPRIM_400000_NS6detail17trampoline_kernelINS0_13select_configILj256ELj13ELNS0_17block_load_methodE3ELS4_3ELS4_3ELNS0_20block_scan_algorithmE0ELj4294967295EEENS1_25partition_config_selectorILNS1_17partition_subalgoE3EjNS0_10empty_typeEbEEZZNS1_14partition_implILS8_3ELb0ES6_jNS0_17counting_iteratorIjlEEPS9_SE_NS0_5tupleIJPjSE_EEENSF_IJSE_SE_EEES9_SG_JZNS1_25segmented_radix_sort_implINS0_14default_configELb1EPKaPaPKlPlN2at6native12_GLOBAL__N_18offset_tEEE10hipError_tPvRmT1_PNSt15iterator_traitsISY_E10value_typeET2_T3_PNSZ_IS14_E10value_typeET4_jRbjT5_S1A_jjP12ihipStream_tbEUljE_EEESV_SW_SX_S14_S18_S1A_T6_T7_T9_mT8_S1C_bDpT10_ENKUlT_T0_E_clISt17integral_constantIbLb0EES1O_IbLb1EEEEDaS1K_S1L_EUlS1K_E_NS1_11comp_targetILNS1_3genE3ELNS1_11target_archE908ELNS1_3gpuE7ELNS1_3repE0EEENS1_30default_config_static_selectorELNS0_4arch9wavefront6targetE1EEEvSY_,"axG",@progbits,_ZN7rocprim17ROCPRIM_400000_NS6detail17trampoline_kernelINS0_13select_configILj256ELj13ELNS0_17block_load_methodE3ELS4_3ELS4_3ELNS0_20block_scan_algorithmE0ELj4294967295EEENS1_25partition_config_selectorILNS1_17partition_subalgoE3EjNS0_10empty_typeEbEEZZNS1_14partition_implILS8_3ELb0ES6_jNS0_17counting_iteratorIjlEEPS9_SE_NS0_5tupleIJPjSE_EEENSF_IJSE_SE_EEES9_SG_JZNS1_25segmented_radix_sort_implINS0_14default_configELb1EPKaPaPKlPlN2at6native12_GLOBAL__N_18offset_tEEE10hipError_tPvRmT1_PNSt15iterator_traitsISY_E10value_typeET2_T3_PNSZ_IS14_E10value_typeET4_jRbjT5_S1A_jjP12ihipStream_tbEUljE_EEESV_SW_SX_S14_S18_S1A_T6_T7_T9_mT8_S1C_bDpT10_ENKUlT_T0_E_clISt17integral_constantIbLb0EES1O_IbLb1EEEEDaS1K_S1L_EUlS1K_E_NS1_11comp_targetILNS1_3genE3ELNS1_11target_archE908ELNS1_3gpuE7ELNS1_3repE0EEENS1_30default_config_static_selectorELNS0_4arch9wavefront6targetE1EEEvSY_,comdat
.Lfunc_end285:
	.size	_ZN7rocprim17ROCPRIM_400000_NS6detail17trampoline_kernelINS0_13select_configILj256ELj13ELNS0_17block_load_methodE3ELS4_3ELS4_3ELNS0_20block_scan_algorithmE0ELj4294967295EEENS1_25partition_config_selectorILNS1_17partition_subalgoE3EjNS0_10empty_typeEbEEZZNS1_14partition_implILS8_3ELb0ES6_jNS0_17counting_iteratorIjlEEPS9_SE_NS0_5tupleIJPjSE_EEENSF_IJSE_SE_EEES9_SG_JZNS1_25segmented_radix_sort_implINS0_14default_configELb1EPKaPaPKlPlN2at6native12_GLOBAL__N_18offset_tEEE10hipError_tPvRmT1_PNSt15iterator_traitsISY_E10value_typeET2_T3_PNSZ_IS14_E10value_typeET4_jRbjT5_S1A_jjP12ihipStream_tbEUljE_EEESV_SW_SX_S14_S18_S1A_T6_T7_T9_mT8_S1C_bDpT10_ENKUlT_T0_E_clISt17integral_constantIbLb0EES1O_IbLb1EEEEDaS1K_S1L_EUlS1K_E_NS1_11comp_targetILNS1_3genE3ELNS1_11target_archE908ELNS1_3gpuE7ELNS1_3repE0EEENS1_30default_config_static_selectorELNS0_4arch9wavefront6targetE1EEEvSY_, .Lfunc_end285-_ZN7rocprim17ROCPRIM_400000_NS6detail17trampoline_kernelINS0_13select_configILj256ELj13ELNS0_17block_load_methodE3ELS4_3ELS4_3ELNS0_20block_scan_algorithmE0ELj4294967295EEENS1_25partition_config_selectorILNS1_17partition_subalgoE3EjNS0_10empty_typeEbEEZZNS1_14partition_implILS8_3ELb0ES6_jNS0_17counting_iteratorIjlEEPS9_SE_NS0_5tupleIJPjSE_EEENSF_IJSE_SE_EEES9_SG_JZNS1_25segmented_radix_sort_implINS0_14default_configELb1EPKaPaPKlPlN2at6native12_GLOBAL__N_18offset_tEEE10hipError_tPvRmT1_PNSt15iterator_traitsISY_E10value_typeET2_T3_PNSZ_IS14_E10value_typeET4_jRbjT5_S1A_jjP12ihipStream_tbEUljE_EEESV_SW_SX_S14_S18_S1A_T6_T7_T9_mT8_S1C_bDpT10_ENKUlT_T0_E_clISt17integral_constantIbLb0EES1O_IbLb1EEEEDaS1K_S1L_EUlS1K_E_NS1_11comp_targetILNS1_3genE3ELNS1_11target_archE908ELNS1_3gpuE7ELNS1_3repE0EEENS1_30default_config_static_selectorELNS0_4arch9wavefront6targetE1EEEvSY_
                                        ; -- End function
	.section	.AMDGPU.csdata,"",@progbits
; Kernel info:
; codeLenInByte = 0
; NumSgprs: 4
; NumVgprs: 0
; NumAgprs: 0
; TotalNumVgprs: 0
; ScratchSize: 0
; MemoryBound: 0
; FloatMode: 240
; IeeeMode: 1
; LDSByteSize: 0 bytes/workgroup (compile time only)
; SGPRBlocks: 0
; VGPRBlocks: 0
; NumSGPRsForWavesPerEU: 4
; NumVGPRsForWavesPerEU: 1
; AccumOffset: 4
; Occupancy: 8
; WaveLimiterHint : 0
; COMPUTE_PGM_RSRC2:SCRATCH_EN: 0
; COMPUTE_PGM_RSRC2:USER_SGPR: 6
; COMPUTE_PGM_RSRC2:TRAP_HANDLER: 0
; COMPUTE_PGM_RSRC2:TGID_X_EN: 1
; COMPUTE_PGM_RSRC2:TGID_Y_EN: 0
; COMPUTE_PGM_RSRC2:TGID_Z_EN: 0
; COMPUTE_PGM_RSRC2:TIDIG_COMP_CNT: 0
; COMPUTE_PGM_RSRC3_GFX90A:ACCUM_OFFSET: 0
; COMPUTE_PGM_RSRC3_GFX90A:TG_SPLIT: 0
	.section	.text._ZN7rocprim17ROCPRIM_400000_NS6detail17trampoline_kernelINS0_13select_configILj256ELj13ELNS0_17block_load_methodE3ELS4_3ELS4_3ELNS0_20block_scan_algorithmE0ELj4294967295EEENS1_25partition_config_selectorILNS1_17partition_subalgoE3EjNS0_10empty_typeEbEEZZNS1_14partition_implILS8_3ELb0ES6_jNS0_17counting_iteratorIjlEEPS9_SE_NS0_5tupleIJPjSE_EEENSF_IJSE_SE_EEES9_SG_JZNS1_25segmented_radix_sort_implINS0_14default_configELb1EPKaPaPKlPlN2at6native12_GLOBAL__N_18offset_tEEE10hipError_tPvRmT1_PNSt15iterator_traitsISY_E10value_typeET2_T3_PNSZ_IS14_E10value_typeET4_jRbjT5_S1A_jjP12ihipStream_tbEUljE_EEESV_SW_SX_S14_S18_S1A_T6_T7_T9_mT8_S1C_bDpT10_ENKUlT_T0_E_clISt17integral_constantIbLb0EES1O_IbLb1EEEEDaS1K_S1L_EUlS1K_E_NS1_11comp_targetILNS1_3genE2ELNS1_11target_archE906ELNS1_3gpuE6ELNS1_3repE0EEENS1_30default_config_static_selectorELNS0_4arch9wavefront6targetE1EEEvSY_,"axG",@progbits,_ZN7rocprim17ROCPRIM_400000_NS6detail17trampoline_kernelINS0_13select_configILj256ELj13ELNS0_17block_load_methodE3ELS4_3ELS4_3ELNS0_20block_scan_algorithmE0ELj4294967295EEENS1_25partition_config_selectorILNS1_17partition_subalgoE3EjNS0_10empty_typeEbEEZZNS1_14partition_implILS8_3ELb0ES6_jNS0_17counting_iteratorIjlEEPS9_SE_NS0_5tupleIJPjSE_EEENSF_IJSE_SE_EEES9_SG_JZNS1_25segmented_radix_sort_implINS0_14default_configELb1EPKaPaPKlPlN2at6native12_GLOBAL__N_18offset_tEEE10hipError_tPvRmT1_PNSt15iterator_traitsISY_E10value_typeET2_T3_PNSZ_IS14_E10value_typeET4_jRbjT5_S1A_jjP12ihipStream_tbEUljE_EEESV_SW_SX_S14_S18_S1A_T6_T7_T9_mT8_S1C_bDpT10_ENKUlT_T0_E_clISt17integral_constantIbLb0EES1O_IbLb1EEEEDaS1K_S1L_EUlS1K_E_NS1_11comp_targetILNS1_3genE2ELNS1_11target_archE906ELNS1_3gpuE6ELNS1_3repE0EEENS1_30default_config_static_selectorELNS0_4arch9wavefront6targetE1EEEvSY_,comdat
	.globl	_ZN7rocprim17ROCPRIM_400000_NS6detail17trampoline_kernelINS0_13select_configILj256ELj13ELNS0_17block_load_methodE3ELS4_3ELS4_3ELNS0_20block_scan_algorithmE0ELj4294967295EEENS1_25partition_config_selectorILNS1_17partition_subalgoE3EjNS0_10empty_typeEbEEZZNS1_14partition_implILS8_3ELb0ES6_jNS0_17counting_iteratorIjlEEPS9_SE_NS0_5tupleIJPjSE_EEENSF_IJSE_SE_EEES9_SG_JZNS1_25segmented_radix_sort_implINS0_14default_configELb1EPKaPaPKlPlN2at6native12_GLOBAL__N_18offset_tEEE10hipError_tPvRmT1_PNSt15iterator_traitsISY_E10value_typeET2_T3_PNSZ_IS14_E10value_typeET4_jRbjT5_S1A_jjP12ihipStream_tbEUljE_EEESV_SW_SX_S14_S18_S1A_T6_T7_T9_mT8_S1C_bDpT10_ENKUlT_T0_E_clISt17integral_constantIbLb0EES1O_IbLb1EEEEDaS1K_S1L_EUlS1K_E_NS1_11comp_targetILNS1_3genE2ELNS1_11target_archE906ELNS1_3gpuE6ELNS1_3repE0EEENS1_30default_config_static_selectorELNS0_4arch9wavefront6targetE1EEEvSY_ ; -- Begin function _ZN7rocprim17ROCPRIM_400000_NS6detail17trampoline_kernelINS0_13select_configILj256ELj13ELNS0_17block_load_methodE3ELS4_3ELS4_3ELNS0_20block_scan_algorithmE0ELj4294967295EEENS1_25partition_config_selectorILNS1_17partition_subalgoE3EjNS0_10empty_typeEbEEZZNS1_14partition_implILS8_3ELb0ES6_jNS0_17counting_iteratorIjlEEPS9_SE_NS0_5tupleIJPjSE_EEENSF_IJSE_SE_EEES9_SG_JZNS1_25segmented_radix_sort_implINS0_14default_configELb1EPKaPaPKlPlN2at6native12_GLOBAL__N_18offset_tEEE10hipError_tPvRmT1_PNSt15iterator_traitsISY_E10value_typeET2_T3_PNSZ_IS14_E10value_typeET4_jRbjT5_S1A_jjP12ihipStream_tbEUljE_EEESV_SW_SX_S14_S18_S1A_T6_T7_T9_mT8_S1C_bDpT10_ENKUlT_T0_E_clISt17integral_constantIbLb0EES1O_IbLb1EEEEDaS1K_S1L_EUlS1K_E_NS1_11comp_targetILNS1_3genE2ELNS1_11target_archE906ELNS1_3gpuE6ELNS1_3repE0EEENS1_30default_config_static_selectorELNS0_4arch9wavefront6targetE1EEEvSY_
	.p2align	8
	.type	_ZN7rocprim17ROCPRIM_400000_NS6detail17trampoline_kernelINS0_13select_configILj256ELj13ELNS0_17block_load_methodE3ELS4_3ELS4_3ELNS0_20block_scan_algorithmE0ELj4294967295EEENS1_25partition_config_selectorILNS1_17partition_subalgoE3EjNS0_10empty_typeEbEEZZNS1_14partition_implILS8_3ELb0ES6_jNS0_17counting_iteratorIjlEEPS9_SE_NS0_5tupleIJPjSE_EEENSF_IJSE_SE_EEES9_SG_JZNS1_25segmented_radix_sort_implINS0_14default_configELb1EPKaPaPKlPlN2at6native12_GLOBAL__N_18offset_tEEE10hipError_tPvRmT1_PNSt15iterator_traitsISY_E10value_typeET2_T3_PNSZ_IS14_E10value_typeET4_jRbjT5_S1A_jjP12ihipStream_tbEUljE_EEESV_SW_SX_S14_S18_S1A_T6_T7_T9_mT8_S1C_bDpT10_ENKUlT_T0_E_clISt17integral_constantIbLb0EES1O_IbLb1EEEEDaS1K_S1L_EUlS1K_E_NS1_11comp_targetILNS1_3genE2ELNS1_11target_archE906ELNS1_3gpuE6ELNS1_3repE0EEENS1_30default_config_static_selectorELNS0_4arch9wavefront6targetE1EEEvSY_,@function
_ZN7rocprim17ROCPRIM_400000_NS6detail17trampoline_kernelINS0_13select_configILj256ELj13ELNS0_17block_load_methodE3ELS4_3ELS4_3ELNS0_20block_scan_algorithmE0ELj4294967295EEENS1_25partition_config_selectorILNS1_17partition_subalgoE3EjNS0_10empty_typeEbEEZZNS1_14partition_implILS8_3ELb0ES6_jNS0_17counting_iteratorIjlEEPS9_SE_NS0_5tupleIJPjSE_EEENSF_IJSE_SE_EEES9_SG_JZNS1_25segmented_radix_sort_implINS0_14default_configELb1EPKaPaPKlPlN2at6native12_GLOBAL__N_18offset_tEEE10hipError_tPvRmT1_PNSt15iterator_traitsISY_E10value_typeET2_T3_PNSZ_IS14_E10value_typeET4_jRbjT5_S1A_jjP12ihipStream_tbEUljE_EEESV_SW_SX_S14_S18_S1A_T6_T7_T9_mT8_S1C_bDpT10_ENKUlT_T0_E_clISt17integral_constantIbLb0EES1O_IbLb1EEEEDaS1K_S1L_EUlS1K_E_NS1_11comp_targetILNS1_3genE2ELNS1_11target_archE906ELNS1_3gpuE6ELNS1_3repE0EEENS1_30default_config_static_selectorELNS0_4arch9wavefront6targetE1EEEvSY_: ; @_ZN7rocprim17ROCPRIM_400000_NS6detail17trampoline_kernelINS0_13select_configILj256ELj13ELNS0_17block_load_methodE3ELS4_3ELS4_3ELNS0_20block_scan_algorithmE0ELj4294967295EEENS1_25partition_config_selectorILNS1_17partition_subalgoE3EjNS0_10empty_typeEbEEZZNS1_14partition_implILS8_3ELb0ES6_jNS0_17counting_iteratorIjlEEPS9_SE_NS0_5tupleIJPjSE_EEENSF_IJSE_SE_EEES9_SG_JZNS1_25segmented_radix_sort_implINS0_14default_configELb1EPKaPaPKlPlN2at6native12_GLOBAL__N_18offset_tEEE10hipError_tPvRmT1_PNSt15iterator_traitsISY_E10value_typeET2_T3_PNSZ_IS14_E10value_typeET4_jRbjT5_S1A_jjP12ihipStream_tbEUljE_EEESV_SW_SX_S14_S18_S1A_T6_T7_T9_mT8_S1C_bDpT10_ENKUlT_T0_E_clISt17integral_constantIbLb0EES1O_IbLb1EEEEDaS1K_S1L_EUlS1K_E_NS1_11comp_targetILNS1_3genE2ELNS1_11target_archE906ELNS1_3gpuE6ELNS1_3repE0EEENS1_30default_config_static_selectorELNS0_4arch9wavefront6targetE1EEEvSY_
; %bb.0:
	.section	.rodata,"a",@progbits
	.p2align	6, 0x0
	.amdhsa_kernel _ZN7rocprim17ROCPRIM_400000_NS6detail17trampoline_kernelINS0_13select_configILj256ELj13ELNS0_17block_load_methodE3ELS4_3ELS4_3ELNS0_20block_scan_algorithmE0ELj4294967295EEENS1_25partition_config_selectorILNS1_17partition_subalgoE3EjNS0_10empty_typeEbEEZZNS1_14partition_implILS8_3ELb0ES6_jNS0_17counting_iteratorIjlEEPS9_SE_NS0_5tupleIJPjSE_EEENSF_IJSE_SE_EEES9_SG_JZNS1_25segmented_radix_sort_implINS0_14default_configELb1EPKaPaPKlPlN2at6native12_GLOBAL__N_18offset_tEEE10hipError_tPvRmT1_PNSt15iterator_traitsISY_E10value_typeET2_T3_PNSZ_IS14_E10value_typeET4_jRbjT5_S1A_jjP12ihipStream_tbEUljE_EEESV_SW_SX_S14_S18_S1A_T6_T7_T9_mT8_S1C_bDpT10_ENKUlT_T0_E_clISt17integral_constantIbLb0EES1O_IbLb1EEEEDaS1K_S1L_EUlS1K_E_NS1_11comp_targetILNS1_3genE2ELNS1_11target_archE906ELNS1_3gpuE6ELNS1_3repE0EEENS1_30default_config_static_selectorELNS0_4arch9wavefront6targetE1EEEvSY_
		.amdhsa_group_segment_fixed_size 0
		.amdhsa_private_segment_fixed_size 0
		.amdhsa_kernarg_size 152
		.amdhsa_user_sgpr_count 6
		.amdhsa_user_sgpr_private_segment_buffer 1
		.amdhsa_user_sgpr_dispatch_ptr 0
		.amdhsa_user_sgpr_queue_ptr 0
		.amdhsa_user_sgpr_kernarg_segment_ptr 1
		.amdhsa_user_sgpr_dispatch_id 0
		.amdhsa_user_sgpr_flat_scratch_init 0
		.amdhsa_user_sgpr_kernarg_preload_length 0
		.amdhsa_user_sgpr_kernarg_preload_offset 0
		.amdhsa_user_sgpr_private_segment_size 0
		.amdhsa_uses_dynamic_stack 0
		.amdhsa_system_sgpr_private_segment_wavefront_offset 0
		.amdhsa_system_sgpr_workgroup_id_x 1
		.amdhsa_system_sgpr_workgroup_id_y 0
		.amdhsa_system_sgpr_workgroup_id_z 0
		.amdhsa_system_sgpr_workgroup_info 0
		.amdhsa_system_vgpr_workitem_id 0
		.amdhsa_next_free_vgpr 1
		.amdhsa_next_free_sgpr 0
		.amdhsa_accum_offset 4
		.amdhsa_reserve_vcc 0
		.amdhsa_reserve_flat_scratch 0
		.amdhsa_float_round_mode_32 0
		.amdhsa_float_round_mode_16_64 0
		.amdhsa_float_denorm_mode_32 3
		.amdhsa_float_denorm_mode_16_64 3
		.amdhsa_dx10_clamp 1
		.amdhsa_ieee_mode 1
		.amdhsa_fp16_overflow 0
		.amdhsa_tg_split 0
		.amdhsa_exception_fp_ieee_invalid_op 0
		.amdhsa_exception_fp_denorm_src 0
		.amdhsa_exception_fp_ieee_div_zero 0
		.amdhsa_exception_fp_ieee_overflow 0
		.amdhsa_exception_fp_ieee_underflow 0
		.amdhsa_exception_fp_ieee_inexact 0
		.amdhsa_exception_int_div_zero 0
	.end_amdhsa_kernel
	.section	.text._ZN7rocprim17ROCPRIM_400000_NS6detail17trampoline_kernelINS0_13select_configILj256ELj13ELNS0_17block_load_methodE3ELS4_3ELS4_3ELNS0_20block_scan_algorithmE0ELj4294967295EEENS1_25partition_config_selectorILNS1_17partition_subalgoE3EjNS0_10empty_typeEbEEZZNS1_14partition_implILS8_3ELb0ES6_jNS0_17counting_iteratorIjlEEPS9_SE_NS0_5tupleIJPjSE_EEENSF_IJSE_SE_EEES9_SG_JZNS1_25segmented_radix_sort_implINS0_14default_configELb1EPKaPaPKlPlN2at6native12_GLOBAL__N_18offset_tEEE10hipError_tPvRmT1_PNSt15iterator_traitsISY_E10value_typeET2_T3_PNSZ_IS14_E10value_typeET4_jRbjT5_S1A_jjP12ihipStream_tbEUljE_EEESV_SW_SX_S14_S18_S1A_T6_T7_T9_mT8_S1C_bDpT10_ENKUlT_T0_E_clISt17integral_constantIbLb0EES1O_IbLb1EEEEDaS1K_S1L_EUlS1K_E_NS1_11comp_targetILNS1_3genE2ELNS1_11target_archE906ELNS1_3gpuE6ELNS1_3repE0EEENS1_30default_config_static_selectorELNS0_4arch9wavefront6targetE1EEEvSY_,"axG",@progbits,_ZN7rocprim17ROCPRIM_400000_NS6detail17trampoline_kernelINS0_13select_configILj256ELj13ELNS0_17block_load_methodE3ELS4_3ELS4_3ELNS0_20block_scan_algorithmE0ELj4294967295EEENS1_25partition_config_selectorILNS1_17partition_subalgoE3EjNS0_10empty_typeEbEEZZNS1_14partition_implILS8_3ELb0ES6_jNS0_17counting_iteratorIjlEEPS9_SE_NS0_5tupleIJPjSE_EEENSF_IJSE_SE_EEES9_SG_JZNS1_25segmented_radix_sort_implINS0_14default_configELb1EPKaPaPKlPlN2at6native12_GLOBAL__N_18offset_tEEE10hipError_tPvRmT1_PNSt15iterator_traitsISY_E10value_typeET2_T3_PNSZ_IS14_E10value_typeET4_jRbjT5_S1A_jjP12ihipStream_tbEUljE_EEESV_SW_SX_S14_S18_S1A_T6_T7_T9_mT8_S1C_bDpT10_ENKUlT_T0_E_clISt17integral_constantIbLb0EES1O_IbLb1EEEEDaS1K_S1L_EUlS1K_E_NS1_11comp_targetILNS1_3genE2ELNS1_11target_archE906ELNS1_3gpuE6ELNS1_3repE0EEENS1_30default_config_static_selectorELNS0_4arch9wavefront6targetE1EEEvSY_,comdat
.Lfunc_end286:
	.size	_ZN7rocprim17ROCPRIM_400000_NS6detail17trampoline_kernelINS0_13select_configILj256ELj13ELNS0_17block_load_methodE3ELS4_3ELS4_3ELNS0_20block_scan_algorithmE0ELj4294967295EEENS1_25partition_config_selectorILNS1_17partition_subalgoE3EjNS0_10empty_typeEbEEZZNS1_14partition_implILS8_3ELb0ES6_jNS0_17counting_iteratorIjlEEPS9_SE_NS0_5tupleIJPjSE_EEENSF_IJSE_SE_EEES9_SG_JZNS1_25segmented_radix_sort_implINS0_14default_configELb1EPKaPaPKlPlN2at6native12_GLOBAL__N_18offset_tEEE10hipError_tPvRmT1_PNSt15iterator_traitsISY_E10value_typeET2_T3_PNSZ_IS14_E10value_typeET4_jRbjT5_S1A_jjP12ihipStream_tbEUljE_EEESV_SW_SX_S14_S18_S1A_T6_T7_T9_mT8_S1C_bDpT10_ENKUlT_T0_E_clISt17integral_constantIbLb0EES1O_IbLb1EEEEDaS1K_S1L_EUlS1K_E_NS1_11comp_targetILNS1_3genE2ELNS1_11target_archE906ELNS1_3gpuE6ELNS1_3repE0EEENS1_30default_config_static_selectorELNS0_4arch9wavefront6targetE1EEEvSY_, .Lfunc_end286-_ZN7rocprim17ROCPRIM_400000_NS6detail17trampoline_kernelINS0_13select_configILj256ELj13ELNS0_17block_load_methodE3ELS4_3ELS4_3ELNS0_20block_scan_algorithmE0ELj4294967295EEENS1_25partition_config_selectorILNS1_17partition_subalgoE3EjNS0_10empty_typeEbEEZZNS1_14partition_implILS8_3ELb0ES6_jNS0_17counting_iteratorIjlEEPS9_SE_NS0_5tupleIJPjSE_EEENSF_IJSE_SE_EEES9_SG_JZNS1_25segmented_radix_sort_implINS0_14default_configELb1EPKaPaPKlPlN2at6native12_GLOBAL__N_18offset_tEEE10hipError_tPvRmT1_PNSt15iterator_traitsISY_E10value_typeET2_T3_PNSZ_IS14_E10value_typeET4_jRbjT5_S1A_jjP12ihipStream_tbEUljE_EEESV_SW_SX_S14_S18_S1A_T6_T7_T9_mT8_S1C_bDpT10_ENKUlT_T0_E_clISt17integral_constantIbLb0EES1O_IbLb1EEEEDaS1K_S1L_EUlS1K_E_NS1_11comp_targetILNS1_3genE2ELNS1_11target_archE906ELNS1_3gpuE6ELNS1_3repE0EEENS1_30default_config_static_selectorELNS0_4arch9wavefront6targetE1EEEvSY_
                                        ; -- End function
	.section	.AMDGPU.csdata,"",@progbits
; Kernel info:
; codeLenInByte = 0
; NumSgprs: 4
; NumVgprs: 0
; NumAgprs: 0
; TotalNumVgprs: 0
; ScratchSize: 0
; MemoryBound: 0
; FloatMode: 240
; IeeeMode: 1
; LDSByteSize: 0 bytes/workgroup (compile time only)
; SGPRBlocks: 0
; VGPRBlocks: 0
; NumSGPRsForWavesPerEU: 4
; NumVGPRsForWavesPerEU: 1
; AccumOffset: 4
; Occupancy: 8
; WaveLimiterHint : 0
; COMPUTE_PGM_RSRC2:SCRATCH_EN: 0
; COMPUTE_PGM_RSRC2:USER_SGPR: 6
; COMPUTE_PGM_RSRC2:TRAP_HANDLER: 0
; COMPUTE_PGM_RSRC2:TGID_X_EN: 1
; COMPUTE_PGM_RSRC2:TGID_Y_EN: 0
; COMPUTE_PGM_RSRC2:TGID_Z_EN: 0
; COMPUTE_PGM_RSRC2:TIDIG_COMP_CNT: 0
; COMPUTE_PGM_RSRC3_GFX90A:ACCUM_OFFSET: 0
; COMPUTE_PGM_RSRC3_GFX90A:TG_SPLIT: 0
	.section	.text._ZN7rocprim17ROCPRIM_400000_NS6detail17trampoline_kernelINS0_13select_configILj256ELj13ELNS0_17block_load_methodE3ELS4_3ELS4_3ELNS0_20block_scan_algorithmE0ELj4294967295EEENS1_25partition_config_selectorILNS1_17partition_subalgoE3EjNS0_10empty_typeEbEEZZNS1_14partition_implILS8_3ELb0ES6_jNS0_17counting_iteratorIjlEEPS9_SE_NS0_5tupleIJPjSE_EEENSF_IJSE_SE_EEES9_SG_JZNS1_25segmented_radix_sort_implINS0_14default_configELb1EPKaPaPKlPlN2at6native12_GLOBAL__N_18offset_tEEE10hipError_tPvRmT1_PNSt15iterator_traitsISY_E10value_typeET2_T3_PNSZ_IS14_E10value_typeET4_jRbjT5_S1A_jjP12ihipStream_tbEUljE_EEESV_SW_SX_S14_S18_S1A_T6_T7_T9_mT8_S1C_bDpT10_ENKUlT_T0_E_clISt17integral_constantIbLb0EES1O_IbLb1EEEEDaS1K_S1L_EUlS1K_E_NS1_11comp_targetILNS1_3genE10ELNS1_11target_archE1200ELNS1_3gpuE4ELNS1_3repE0EEENS1_30default_config_static_selectorELNS0_4arch9wavefront6targetE1EEEvSY_,"axG",@progbits,_ZN7rocprim17ROCPRIM_400000_NS6detail17trampoline_kernelINS0_13select_configILj256ELj13ELNS0_17block_load_methodE3ELS4_3ELS4_3ELNS0_20block_scan_algorithmE0ELj4294967295EEENS1_25partition_config_selectorILNS1_17partition_subalgoE3EjNS0_10empty_typeEbEEZZNS1_14partition_implILS8_3ELb0ES6_jNS0_17counting_iteratorIjlEEPS9_SE_NS0_5tupleIJPjSE_EEENSF_IJSE_SE_EEES9_SG_JZNS1_25segmented_radix_sort_implINS0_14default_configELb1EPKaPaPKlPlN2at6native12_GLOBAL__N_18offset_tEEE10hipError_tPvRmT1_PNSt15iterator_traitsISY_E10value_typeET2_T3_PNSZ_IS14_E10value_typeET4_jRbjT5_S1A_jjP12ihipStream_tbEUljE_EEESV_SW_SX_S14_S18_S1A_T6_T7_T9_mT8_S1C_bDpT10_ENKUlT_T0_E_clISt17integral_constantIbLb0EES1O_IbLb1EEEEDaS1K_S1L_EUlS1K_E_NS1_11comp_targetILNS1_3genE10ELNS1_11target_archE1200ELNS1_3gpuE4ELNS1_3repE0EEENS1_30default_config_static_selectorELNS0_4arch9wavefront6targetE1EEEvSY_,comdat
	.globl	_ZN7rocprim17ROCPRIM_400000_NS6detail17trampoline_kernelINS0_13select_configILj256ELj13ELNS0_17block_load_methodE3ELS4_3ELS4_3ELNS0_20block_scan_algorithmE0ELj4294967295EEENS1_25partition_config_selectorILNS1_17partition_subalgoE3EjNS0_10empty_typeEbEEZZNS1_14partition_implILS8_3ELb0ES6_jNS0_17counting_iteratorIjlEEPS9_SE_NS0_5tupleIJPjSE_EEENSF_IJSE_SE_EEES9_SG_JZNS1_25segmented_radix_sort_implINS0_14default_configELb1EPKaPaPKlPlN2at6native12_GLOBAL__N_18offset_tEEE10hipError_tPvRmT1_PNSt15iterator_traitsISY_E10value_typeET2_T3_PNSZ_IS14_E10value_typeET4_jRbjT5_S1A_jjP12ihipStream_tbEUljE_EEESV_SW_SX_S14_S18_S1A_T6_T7_T9_mT8_S1C_bDpT10_ENKUlT_T0_E_clISt17integral_constantIbLb0EES1O_IbLb1EEEEDaS1K_S1L_EUlS1K_E_NS1_11comp_targetILNS1_3genE10ELNS1_11target_archE1200ELNS1_3gpuE4ELNS1_3repE0EEENS1_30default_config_static_selectorELNS0_4arch9wavefront6targetE1EEEvSY_ ; -- Begin function _ZN7rocprim17ROCPRIM_400000_NS6detail17trampoline_kernelINS0_13select_configILj256ELj13ELNS0_17block_load_methodE3ELS4_3ELS4_3ELNS0_20block_scan_algorithmE0ELj4294967295EEENS1_25partition_config_selectorILNS1_17partition_subalgoE3EjNS0_10empty_typeEbEEZZNS1_14partition_implILS8_3ELb0ES6_jNS0_17counting_iteratorIjlEEPS9_SE_NS0_5tupleIJPjSE_EEENSF_IJSE_SE_EEES9_SG_JZNS1_25segmented_radix_sort_implINS0_14default_configELb1EPKaPaPKlPlN2at6native12_GLOBAL__N_18offset_tEEE10hipError_tPvRmT1_PNSt15iterator_traitsISY_E10value_typeET2_T3_PNSZ_IS14_E10value_typeET4_jRbjT5_S1A_jjP12ihipStream_tbEUljE_EEESV_SW_SX_S14_S18_S1A_T6_T7_T9_mT8_S1C_bDpT10_ENKUlT_T0_E_clISt17integral_constantIbLb0EES1O_IbLb1EEEEDaS1K_S1L_EUlS1K_E_NS1_11comp_targetILNS1_3genE10ELNS1_11target_archE1200ELNS1_3gpuE4ELNS1_3repE0EEENS1_30default_config_static_selectorELNS0_4arch9wavefront6targetE1EEEvSY_
	.p2align	8
	.type	_ZN7rocprim17ROCPRIM_400000_NS6detail17trampoline_kernelINS0_13select_configILj256ELj13ELNS0_17block_load_methodE3ELS4_3ELS4_3ELNS0_20block_scan_algorithmE0ELj4294967295EEENS1_25partition_config_selectorILNS1_17partition_subalgoE3EjNS0_10empty_typeEbEEZZNS1_14partition_implILS8_3ELb0ES6_jNS0_17counting_iteratorIjlEEPS9_SE_NS0_5tupleIJPjSE_EEENSF_IJSE_SE_EEES9_SG_JZNS1_25segmented_radix_sort_implINS0_14default_configELb1EPKaPaPKlPlN2at6native12_GLOBAL__N_18offset_tEEE10hipError_tPvRmT1_PNSt15iterator_traitsISY_E10value_typeET2_T3_PNSZ_IS14_E10value_typeET4_jRbjT5_S1A_jjP12ihipStream_tbEUljE_EEESV_SW_SX_S14_S18_S1A_T6_T7_T9_mT8_S1C_bDpT10_ENKUlT_T0_E_clISt17integral_constantIbLb0EES1O_IbLb1EEEEDaS1K_S1L_EUlS1K_E_NS1_11comp_targetILNS1_3genE10ELNS1_11target_archE1200ELNS1_3gpuE4ELNS1_3repE0EEENS1_30default_config_static_selectorELNS0_4arch9wavefront6targetE1EEEvSY_,@function
_ZN7rocprim17ROCPRIM_400000_NS6detail17trampoline_kernelINS0_13select_configILj256ELj13ELNS0_17block_load_methodE3ELS4_3ELS4_3ELNS0_20block_scan_algorithmE0ELj4294967295EEENS1_25partition_config_selectorILNS1_17partition_subalgoE3EjNS0_10empty_typeEbEEZZNS1_14partition_implILS8_3ELb0ES6_jNS0_17counting_iteratorIjlEEPS9_SE_NS0_5tupleIJPjSE_EEENSF_IJSE_SE_EEES9_SG_JZNS1_25segmented_radix_sort_implINS0_14default_configELb1EPKaPaPKlPlN2at6native12_GLOBAL__N_18offset_tEEE10hipError_tPvRmT1_PNSt15iterator_traitsISY_E10value_typeET2_T3_PNSZ_IS14_E10value_typeET4_jRbjT5_S1A_jjP12ihipStream_tbEUljE_EEESV_SW_SX_S14_S18_S1A_T6_T7_T9_mT8_S1C_bDpT10_ENKUlT_T0_E_clISt17integral_constantIbLb0EES1O_IbLb1EEEEDaS1K_S1L_EUlS1K_E_NS1_11comp_targetILNS1_3genE10ELNS1_11target_archE1200ELNS1_3gpuE4ELNS1_3repE0EEENS1_30default_config_static_selectorELNS0_4arch9wavefront6targetE1EEEvSY_: ; @_ZN7rocprim17ROCPRIM_400000_NS6detail17trampoline_kernelINS0_13select_configILj256ELj13ELNS0_17block_load_methodE3ELS4_3ELS4_3ELNS0_20block_scan_algorithmE0ELj4294967295EEENS1_25partition_config_selectorILNS1_17partition_subalgoE3EjNS0_10empty_typeEbEEZZNS1_14partition_implILS8_3ELb0ES6_jNS0_17counting_iteratorIjlEEPS9_SE_NS0_5tupleIJPjSE_EEENSF_IJSE_SE_EEES9_SG_JZNS1_25segmented_radix_sort_implINS0_14default_configELb1EPKaPaPKlPlN2at6native12_GLOBAL__N_18offset_tEEE10hipError_tPvRmT1_PNSt15iterator_traitsISY_E10value_typeET2_T3_PNSZ_IS14_E10value_typeET4_jRbjT5_S1A_jjP12ihipStream_tbEUljE_EEESV_SW_SX_S14_S18_S1A_T6_T7_T9_mT8_S1C_bDpT10_ENKUlT_T0_E_clISt17integral_constantIbLb0EES1O_IbLb1EEEEDaS1K_S1L_EUlS1K_E_NS1_11comp_targetILNS1_3genE10ELNS1_11target_archE1200ELNS1_3gpuE4ELNS1_3repE0EEENS1_30default_config_static_selectorELNS0_4arch9wavefront6targetE1EEEvSY_
; %bb.0:
	.section	.rodata,"a",@progbits
	.p2align	6, 0x0
	.amdhsa_kernel _ZN7rocprim17ROCPRIM_400000_NS6detail17trampoline_kernelINS0_13select_configILj256ELj13ELNS0_17block_load_methodE3ELS4_3ELS4_3ELNS0_20block_scan_algorithmE0ELj4294967295EEENS1_25partition_config_selectorILNS1_17partition_subalgoE3EjNS0_10empty_typeEbEEZZNS1_14partition_implILS8_3ELb0ES6_jNS0_17counting_iteratorIjlEEPS9_SE_NS0_5tupleIJPjSE_EEENSF_IJSE_SE_EEES9_SG_JZNS1_25segmented_radix_sort_implINS0_14default_configELb1EPKaPaPKlPlN2at6native12_GLOBAL__N_18offset_tEEE10hipError_tPvRmT1_PNSt15iterator_traitsISY_E10value_typeET2_T3_PNSZ_IS14_E10value_typeET4_jRbjT5_S1A_jjP12ihipStream_tbEUljE_EEESV_SW_SX_S14_S18_S1A_T6_T7_T9_mT8_S1C_bDpT10_ENKUlT_T0_E_clISt17integral_constantIbLb0EES1O_IbLb1EEEEDaS1K_S1L_EUlS1K_E_NS1_11comp_targetILNS1_3genE10ELNS1_11target_archE1200ELNS1_3gpuE4ELNS1_3repE0EEENS1_30default_config_static_selectorELNS0_4arch9wavefront6targetE1EEEvSY_
		.amdhsa_group_segment_fixed_size 0
		.amdhsa_private_segment_fixed_size 0
		.amdhsa_kernarg_size 152
		.amdhsa_user_sgpr_count 6
		.amdhsa_user_sgpr_private_segment_buffer 1
		.amdhsa_user_sgpr_dispatch_ptr 0
		.amdhsa_user_sgpr_queue_ptr 0
		.amdhsa_user_sgpr_kernarg_segment_ptr 1
		.amdhsa_user_sgpr_dispatch_id 0
		.amdhsa_user_sgpr_flat_scratch_init 0
		.amdhsa_user_sgpr_kernarg_preload_length 0
		.amdhsa_user_sgpr_kernarg_preload_offset 0
		.amdhsa_user_sgpr_private_segment_size 0
		.amdhsa_uses_dynamic_stack 0
		.amdhsa_system_sgpr_private_segment_wavefront_offset 0
		.amdhsa_system_sgpr_workgroup_id_x 1
		.amdhsa_system_sgpr_workgroup_id_y 0
		.amdhsa_system_sgpr_workgroup_id_z 0
		.amdhsa_system_sgpr_workgroup_info 0
		.amdhsa_system_vgpr_workitem_id 0
		.amdhsa_next_free_vgpr 1
		.amdhsa_next_free_sgpr 0
		.amdhsa_accum_offset 4
		.amdhsa_reserve_vcc 0
		.amdhsa_reserve_flat_scratch 0
		.amdhsa_float_round_mode_32 0
		.amdhsa_float_round_mode_16_64 0
		.amdhsa_float_denorm_mode_32 3
		.amdhsa_float_denorm_mode_16_64 3
		.amdhsa_dx10_clamp 1
		.amdhsa_ieee_mode 1
		.amdhsa_fp16_overflow 0
		.amdhsa_tg_split 0
		.amdhsa_exception_fp_ieee_invalid_op 0
		.amdhsa_exception_fp_denorm_src 0
		.amdhsa_exception_fp_ieee_div_zero 0
		.amdhsa_exception_fp_ieee_overflow 0
		.amdhsa_exception_fp_ieee_underflow 0
		.amdhsa_exception_fp_ieee_inexact 0
		.amdhsa_exception_int_div_zero 0
	.end_amdhsa_kernel
	.section	.text._ZN7rocprim17ROCPRIM_400000_NS6detail17trampoline_kernelINS0_13select_configILj256ELj13ELNS0_17block_load_methodE3ELS4_3ELS4_3ELNS0_20block_scan_algorithmE0ELj4294967295EEENS1_25partition_config_selectorILNS1_17partition_subalgoE3EjNS0_10empty_typeEbEEZZNS1_14partition_implILS8_3ELb0ES6_jNS0_17counting_iteratorIjlEEPS9_SE_NS0_5tupleIJPjSE_EEENSF_IJSE_SE_EEES9_SG_JZNS1_25segmented_radix_sort_implINS0_14default_configELb1EPKaPaPKlPlN2at6native12_GLOBAL__N_18offset_tEEE10hipError_tPvRmT1_PNSt15iterator_traitsISY_E10value_typeET2_T3_PNSZ_IS14_E10value_typeET4_jRbjT5_S1A_jjP12ihipStream_tbEUljE_EEESV_SW_SX_S14_S18_S1A_T6_T7_T9_mT8_S1C_bDpT10_ENKUlT_T0_E_clISt17integral_constantIbLb0EES1O_IbLb1EEEEDaS1K_S1L_EUlS1K_E_NS1_11comp_targetILNS1_3genE10ELNS1_11target_archE1200ELNS1_3gpuE4ELNS1_3repE0EEENS1_30default_config_static_selectorELNS0_4arch9wavefront6targetE1EEEvSY_,"axG",@progbits,_ZN7rocprim17ROCPRIM_400000_NS6detail17trampoline_kernelINS0_13select_configILj256ELj13ELNS0_17block_load_methodE3ELS4_3ELS4_3ELNS0_20block_scan_algorithmE0ELj4294967295EEENS1_25partition_config_selectorILNS1_17partition_subalgoE3EjNS0_10empty_typeEbEEZZNS1_14partition_implILS8_3ELb0ES6_jNS0_17counting_iteratorIjlEEPS9_SE_NS0_5tupleIJPjSE_EEENSF_IJSE_SE_EEES9_SG_JZNS1_25segmented_radix_sort_implINS0_14default_configELb1EPKaPaPKlPlN2at6native12_GLOBAL__N_18offset_tEEE10hipError_tPvRmT1_PNSt15iterator_traitsISY_E10value_typeET2_T3_PNSZ_IS14_E10value_typeET4_jRbjT5_S1A_jjP12ihipStream_tbEUljE_EEESV_SW_SX_S14_S18_S1A_T6_T7_T9_mT8_S1C_bDpT10_ENKUlT_T0_E_clISt17integral_constantIbLb0EES1O_IbLb1EEEEDaS1K_S1L_EUlS1K_E_NS1_11comp_targetILNS1_3genE10ELNS1_11target_archE1200ELNS1_3gpuE4ELNS1_3repE0EEENS1_30default_config_static_selectorELNS0_4arch9wavefront6targetE1EEEvSY_,comdat
.Lfunc_end287:
	.size	_ZN7rocprim17ROCPRIM_400000_NS6detail17trampoline_kernelINS0_13select_configILj256ELj13ELNS0_17block_load_methodE3ELS4_3ELS4_3ELNS0_20block_scan_algorithmE0ELj4294967295EEENS1_25partition_config_selectorILNS1_17partition_subalgoE3EjNS0_10empty_typeEbEEZZNS1_14partition_implILS8_3ELb0ES6_jNS0_17counting_iteratorIjlEEPS9_SE_NS0_5tupleIJPjSE_EEENSF_IJSE_SE_EEES9_SG_JZNS1_25segmented_radix_sort_implINS0_14default_configELb1EPKaPaPKlPlN2at6native12_GLOBAL__N_18offset_tEEE10hipError_tPvRmT1_PNSt15iterator_traitsISY_E10value_typeET2_T3_PNSZ_IS14_E10value_typeET4_jRbjT5_S1A_jjP12ihipStream_tbEUljE_EEESV_SW_SX_S14_S18_S1A_T6_T7_T9_mT8_S1C_bDpT10_ENKUlT_T0_E_clISt17integral_constantIbLb0EES1O_IbLb1EEEEDaS1K_S1L_EUlS1K_E_NS1_11comp_targetILNS1_3genE10ELNS1_11target_archE1200ELNS1_3gpuE4ELNS1_3repE0EEENS1_30default_config_static_selectorELNS0_4arch9wavefront6targetE1EEEvSY_, .Lfunc_end287-_ZN7rocprim17ROCPRIM_400000_NS6detail17trampoline_kernelINS0_13select_configILj256ELj13ELNS0_17block_load_methodE3ELS4_3ELS4_3ELNS0_20block_scan_algorithmE0ELj4294967295EEENS1_25partition_config_selectorILNS1_17partition_subalgoE3EjNS0_10empty_typeEbEEZZNS1_14partition_implILS8_3ELb0ES6_jNS0_17counting_iteratorIjlEEPS9_SE_NS0_5tupleIJPjSE_EEENSF_IJSE_SE_EEES9_SG_JZNS1_25segmented_radix_sort_implINS0_14default_configELb1EPKaPaPKlPlN2at6native12_GLOBAL__N_18offset_tEEE10hipError_tPvRmT1_PNSt15iterator_traitsISY_E10value_typeET2_T3_PNSZ_IS14_E10value_typeET4_jRbjT5_S1A_jjP12ihipStream_tbEUljE_EEESV_SW_SX_S14_S18_S1A_T6_T7_T9_mT8_S1C_bDpT10_ENKUlT_T0_E_clISt17integral_constantIbLb0EES1O_IbLb1EEEEDaS1K_S1L_EUlS1K_E_NS1_11comp_targetILNS1_3genE10ELNS1_11target_archE1200ELNS1_3gpuE4ELNS1_3repE0EEENS1_30default_config_static_selectorELNS0_4arch9wavefront6targetE1EEEvSY_
                                        ; -- End function
	.section	.AMDGPU.csdata,"",@progbits
; Kernel info:
; codeLenInByte = 0
; NumSgprs: 4
; NumVgprs: 0
; NumAgprs: 0
; TotalNumVgprs: 0
; ScratchSize: 0
; MemoryBound: 0
; FloatMode: 240
; IeeeMode: 1
; LDSByteSize: 0 bytes/workgroup (compile time only)
; SGPRBlocks: 0
; VGPRBlocks: 0
; NumSGPRsForWavesPerEU: 4
; NumVGPRsForWavesPerEU: 1
; AccumOffset: 4
; Occupancy: 8
; WaveLimiterHint : 0
; COMPUTE_PGM_RSRC2:SCRATCH_EN: 0
; COMPUTE_PGM_RSRC2:USER_SGPR: 6
; COMPUTE_PGM_RSRC2:TRAP_HANDLER: 0
; COMPUTE_PGM_RSRC2:TGID_X_EN: 1
; COMPUTE_PGM_RSRC2:TGID_Y_EN: 0
; COMPUTE_PGM_RSRC2:TGID_Z_EN: 0
; COMPUTE_PGM_RSRC2:TIDIG_COMP_CNT: 0
; COMPUTE_PGM_RSRC3_GFX90A:ACCUM_OFFSET: 0
; COMPUTE_PGM_RSRC3_GFX90A:TG_SPLIT: 0
	.section	.text._ZN7rocprim17ROCPRIM_400000_NS6detail17trampoline_kernelINS0_13select_configILj256ELj13ELNS0_17block_load_methodE3ELS4_3ELS4_3ELNS0_20block_scan_algorithmE0ELj4294967295EEENS1_25partition_config_selectorILNS1_17partition_subalgoE3EjNS0_10empty_typeEbEEZZNS1_14partition_implILS8_3ELb0ES6_jNS0_17counting_iteratorIjlEEPS9_SE_NS0_5tupleIJPjSE_EEENSF_IJSE_SE_EEES9_SG_JZNS1_25segmented_radix_sort_implINS0_14default_configELb1EPKaPaPKlPlN2at6native12_GLOBAL__N_18offset_tEEE10hipError_tPvRmT1_PNSt15iterator_traitsISY_E10value_typeET2_T3_PNSZ_IS14_E10value_typeET4_jRbjT5_S1A_jjP12ihipStream_tbEUljE_EEESV_SW_SX_S14_S18_S1A_T6_T7_T9_mT8_S1C_bDpT10_ENKUlT_T0_E_clISt17integral_constantIbLb0EES1O_IbLb1EEEEDaS1K_S1L_EUlS1K_E_NS1_11comp_targetILNS1_3genE9ELNS1_11target_archE1100ELNS1_3gpuE3ELNS1_3repE0EEENS1_30default_config_static_selectorELNS0_4arch9wavefront6targetE1EEEvSY_,"axG",@progbits,_ZN7rocprim17ROCPRIM_400000_NS6detail17trampoline_kernelINS0_13select_configILj256ELj13ELNS0_17block_load_methodE3ELS4_3ELS4_3ELNS0_20block_scan_algorithmE0ELj4294967295EEENS1_25partition_config_selectorILNS1_17partition_subalgoE3EjNS0_10empty_typeEbEEZZNS1_14partition_implILS8_3ELb0ES6_jNS0_17counting_iteratorIjlEEPS9_SE_NS0_5tupleIJPjSE_EEENSF_IJSE_SE_EEES9_SG_JZNS1_25segmented_radix_sort_implINS0_14default_configELb1EPKaPaPKlPlN2at6native12_GLOBAL__N_18offset_tEEE10hipError_tPvRmT1_PNSt15iterator_traitsISY_E10value_typeET2_T3_PNSZ_IS14_E10value_typeET4_jRbjT5_S1A_jjP12ihipStream_tbEUljE_EEESV_SW_SX_S14_S18_S1A_T6_T7_T9_mT8_S1C_bDpT10_ENKUlT_T0_E_clISt17integral_constantIbLb0EES1O_IbLb1EEEEDaS1K_S1L_EUlS1K_E_NS1_11comp_targetILNS1_3genE9ELNS1_11target_archE1100ELNS1_3gpuE3ELNS1_3repE0EEENS1_30default_config_static_selectorELNS0_4arch9wavefront6targetE1EEEvSY_,comdat
	.globl	_ZN7rocprim17ROCPRIM_400000_NS6detail17trampoline_kernelINS0_13select_configILj256ELj13ELNS0_17block_load_methodE3ELS4_3ELS4_3ELNS0_20block_scan_algorithmE0ELj4294967295EEENS1_25partition_config_selectorILNS1_17partition_subalgoE3EjNS0_10empty_typeEbEEZZNS1_14partition_implILS8_3ELb0ES6_jNS0_17counting_iteratorIjlEEPS9_SE_NS0_5tupleIJPjSE_EEENSF_IJSE_SE_EEES9_SG_JZNS1_25segmented_radix_sort_implINS0_14default_configELb1EPKaPaPKlPlN2at6native12_GLOBAL__N_18offset_tEEE10hipError_tPvRmT1_PNSt15iterator_traitsISY_E10value_typeET2_T3_PNSZ_IS14_E10value_typeET4_jRbjT5_S1A_jjP12ihipStream_tbEUljE_EEESV_SW_SX_S14_S18_S1A_T6_T7_T9_mT8_S1C_bDpT10_ENKUlT_T0_E_clISt17integral_constantIbLb0EES1O_IbLb1EEEEDaS1K_S1L_EUlS1K_E_NS1_11comp_targetILNS1_3genE9ELNS1_11target_archE1100ELNS1_3gpuE3ELNS1_3repE0EEENS1_30default_config_static_selectorELNS0_4arch9wavefront6targetE1EEEvSY_ ; -- Begin function _ZN7rocprim17ROCPRIM_400000_NS6detail17trampoline_kernelINS0_13select_configILj256ELj13ELNS0_17block_load_methodE3ELS4_3ELS4_3ELNS0_20block_scan_algorithmE0ELj4294967295EEENS1_25partition_config_selectorILNS1_17partition_subalgoE3EjNS0_10empty_typeEbEEZZNS1_14partition_implILS8_3ELb0ES6_jNS0_17counting_iteratorIjlEEPS9_SE_NS0_5tupleIJPjSE_EEENSF_IJSE_SE_EEES9_SG_JZNS1_25segmented_radix_sort_implINS0_14default_configELb1EPKaPaPKlPlN2at6native12_GLOBAL__N_18offset_tEEE10hipError_tPvRmT1_PNSt15iterator_traitsISY_E10value_typeET2_T3_PNSZ_IS14_E10value_typeET4_jRbjT5_S1A_jjP12ihipStream_tbEUljE_EEESV_SW_SX_S14_S18_S1A_T6_T7_T9_mT8_S1C_bDpT10_ENKUlT_T0_E_clISt17integral_constantIbLb0EES1O_IbLb1EEEEDaS1K_S1L_EUlS1K_E_NS1_11comp_targetILNS1_3genE9ELNS1_11target_archE1100ELNS1_3gpuE3ELNS1_3repE0EEENS1_30default_config_static_selectorELNS0_4arch9wavefront6targetE1EEEvSY_
	.p2align	8
	.type	_ZN7rocprim17ROCPRIM_400000_NS6detail17trampoline_kernelINS0_13select_configILj256ELj13ELNS0_17block_load_methodE3ELS4_3ELS4_3ELNS0_20block_scan_algorithmE0ELj4294967295EEENS1_25partition_config_selectorILNS1_17partition_subalgoE3EjNS0_10empty_typeEbEEZZNS1_14partition_implILS8_3ELb0ES6_jNS0_17counting_iteratorIjlEEPS9_SE_NS0_5tupleIJPjSE_EEENSF_IJSE_SE_EEES9_SG_JZNS1_25segmented_radix_sort_implINS0_14default_configELb1EPKaPaPKlPlN2at6native12_GLOBAL__N_18offset_tEEE10hipError_tPvRmT1_PNSt15iterator_traitsISY_E10value_typeET2_T3_PNSZ_IS14_E10value_typeET4_jRbjT5_S1A_jjP12ihipStream_tbEUljE_EEESV_SW_SX_S14_S18_S1A_T6_T7_T9_mT8_S1C_bDpT10_ENKUlT_T0_E_clISt17integral_constantIbLb0EES1O_IbLb1EEEEDaS1K_S1L_EUlS1K_E_NS1_11comp_targetILNS1_3genE9ELNS1_11target_archE1100ELNS1_3gpuE3ELNS1_3repE0EEENS1_30default_config_static_selectorELNS0_4arch9wavefront6targetE1EEEvSY_,@function
_ZN7rocprim17ROCPRIM_400000_NS6detail17trampoline_kernelINS0_13select_configILj256ELj13ELNS0_17block_load_methodE3ELS4_3ELS4_3ELNS0_20block_scan_algorithmE0ELj4294967295EEENS1_25partition_config_selectorILNS1_17partition_subalgoE3EjNS0_10empty_typeEbEEZZNS1_14partition_implILS8_3ELb0ES6_jNS0_17counting_iteratorIjlEEPS9_SE_NS0_5tupleIJPjSE_EEENSF_IJSE_SE_EEES9_SG_JZNS1_25segmented_radix_sort_implINS0_14default_configELb1EPKaPaPKlPlN2at6native12_GLOBAL__N_18offset_tEEE10hipError_tPvRmT1_PNSt15iterator_traitsISY_E10value_typeET2_T3_PNSZ_IS14_E10value_typeET4_jRbjT5_S1A_jjP12ihipStream_tbEUljE_EEESV_SW_SX_S14_S18_S1A_T6_T7_T9_mT8_S1C_bDpT10_ENKUlT_T0_E_clISt17integral_constantIbLb0EES1O_IbLb1EEEEDaS1K_S1L_EUlS1K_E_NS1_11comp_targetILNS1_3genE9ELNS1_11target_archE1100ELNS1_3gpuE3ELNS1_3repE0EEENS1_30default_config_static_selectorELNS0_4arch9wavefront6targetE1EEEvSY_: ; @_ZN7rocprim17ROCPRIM_400000_NS6detail17trampoline_kernelINS0_13select_configILj256ELj13ELNS0_17block_load_methodE3ELS4_3ELS4_3ELNS0_20block_scan_algorithmE0ELj4294967295EEENS1_25partition_config_selectorILNS1_17partition_subalgoE3EjNS0_10empty_typeEbEEZZNS1_14partition_implILS8_3ELb0ES6_jNS0_17counting_iteratorIjlEEPS9_SE_NS0_5tupleIJPjSE_EEENSF_IJSE_SE_EEES9_SG_JZNS1_25segmented_radix_sort_implINS0_14default_configELb1EPKaPaPKlPlN2at6native12_GLOBAL__N_18offset_tEEE10hipError_tPvRmT1_PNSt15iterator_traitsISY_E10value_typeET2_T3_PNSZ_IS14_E10value_typeET4_jRbjT5_S1A_jjP12ihipStream_tbEUljE_EEESV_SW_SX_S14_S18_S1A_T6_T7_T9_mT8_S1C_bDpT10_ENKUlT_T0_E_clISt17integral_constantIbLb0EES1O_IbLb1EEEEDaS1K_S1L_EUlS1K_E_NS1_11comp_targetILNS1_3genE9ELNS1_11target_archE1100ELNS1_3gpuE3ELNS1_3repE0EEENS1_30default_config_static_selectorELNS0_4arch9wavefront6targetE1EEEvSY_
; %bb.0:
	.section	.rodata,"a",@progbits
	.p2align	6, 0x0
	.amdhsa_kernel _ZN7rocprim17ROCPRIM_400000_NS6detail17trampoline_kernelINS0_13select_configILj256ELj13ELNS0_17block_load_methodE3ELS4_3ELS4_3ELNS0_20block_scan_algorithmE0ELj4294967295EEENS1_25partition_config_selectorILNS1_17partition_subalgoE3EjNS0_10empty_typeEbEEZZNS1_14partition_implILS8_3ELb0ES6_jNS0_17counting_iteratorIjlEEPS9_SE_NS0_5tupleIJPjSE_EEENSF_IJSE_SE_EEES9_SG_JZNS1_25segmented_radix_sort_implINS0_14default_configELb1EPKaPaPKlPlN2at6native12_GLOBAL__N_18offset_tEEE10hipError_tPvRmT1_PNSt15iterator_traitsISY_E10value_typeET2_T3_PNSZ_IS14_E10value_typeET4_jRbjT5_S1A_jjP12ihipStream_tbEUljE_EEESV_SW_SX_S14_S18_S1A_T6_T7_T9_mT8_S1C_bDpT10_ENKUlT_T0_E_clISt17integral_constantIbLb0EES1O_IbLb1EEEEDaS1K_S1L_EUlS1K_E_NS1_11comp_targetILNS1_3genE9ELNS1_11target_archE1100ELNS1_3gpuE3ELNS1_3repE0EEENS1_30default_config_static_selectorELNS0_4arch9wavefront6targetE1EEEvSY_
		.amdhsa_group_segment_fixed_size 0
		.amdhsa_private_segment_fixed_size 0
		.amdhsa_kernarg_size 152
		.amdhsa_user_sgpr_count 6
		.amdhsa_user_sgpr_private_segment_buffer 1
		.amdhsa_user_sgpr_dispatch_ptr 0
		.amdhsa_user_sgpr_queue_ptr 0
		.amdhsa_user_sgpr_kernarg_segment_ptr 1
		.amdhsa_user_sgpr_dispatch_id 0
		.amdhsa_user_sgpr_flat_scratch_init 0
		.amdhsa_user_sgpr_kernarg_preload_length 0
		.amdhsa_user_sgpr_kernarg_preload_offset 0
		.amdhsa_user_sgpr_private_segment_size 0
		.amdhsa_uses_dynamic_stack 0
		.amdhsa_system_sgpr_private_segment_wavefront_offset 0
		.amdhsa_system_sgpr_workgroup_id_x 1
		.amdhsa_system_sgpr_workgroup_id_y 0
		.amdhsa_system_sgpr_workgroup_id_z 0
		.amdhsa_system_sgpr_workgroup_info 0
		.amdhsa_system_vgpr_workitem_id 0
		.amdhsa_next_free_vgpr 1
		.amdhsa_next_free_sgpr 0
		.amdhsa_accum_offset 4
		.amdhsa_reserve_vcc 0
		.amdhsa_reserve_flat_scratch 0
		.amdhsa_float_round_mode_32 0
		.amdhsa_float_round_mode_16_64 0
		.amdhsa_float_denorm_mode_32 3
		.amdhsa_float_denorm_mode_16_64 3
		.amdhsa_dx10_clamp 1
		.amdhsa_ieee_mode 1
		.amdhsa_fp16_overflow 0
		.amdhsa_tg_split 0
		.amdhsa_exception_fp_ieee_invalid_op 0
		.amdhsa_exception_fp_denorm_src 0
		.amdhsa_exception_fp_ieee_div_zero 0
		.amdhsa_exception_fp_ieee_overflow 0
		.amdhsa_exception_fp_ieee_underflow 0
		.amdhsa_exception_fp_ieee_inexact 0
		.amdhsa_exception_int_div_zero 0
	.end_amdhsa_kernel
	.section	.text._ZN7rocprim17ROCPRIM_400000_NS6detail17trampoline_kernelINS0_13select_configILj256ELj13ELNS0_17block_load_methodE3ELS4_3ELS4_3ELNS0_20block_scan_algorithmE0ELj4294967295EEENS1_25partition_config_selectorILNS1_17partition_subalgoE3EjNS0_10empty_typeEbEEZZNS1_14partition_implILS8_3ELb0ES6_jNS0_17counting_iteratorIjlEEPS9_SE_NS0_5tupleIJPjSE_EEENSF_IJSE_SE_EEES9_SG_JZNS1_25segmented_radix_sort_implINS0_14default_configELb1EPKaPaPKlPlN2at6native12_GLOBAL__N_18offset_tEEE10hipError_tPvRmT1_PNSt15iterator_traitsISY_E10value_typeET2_T3_PNSZ_IS14_E10value_typeET4_jRbjT5_S1A_jjP12ihipStream_tbEUljE_EEESV_SW_SX_S14_S18_S1A_T6_T7_T9_mT8_S1C_bDpT10_ENKUlT_T0_E_clISt17integral_constantIbLb0EES1O_IbLb1EEEEDaS1K_S1L_EUlS1K_E_NS1_11comp_targetILNS1_3genE9ELNS1_11target_archE1100ELNS1_3gpuE3ELNS1_3repE0EEENS1_30default_config_static_selectorELNS0_4arch9wavefront6targetE1EEEvSY_,"axG",@progbits,_ZN7rocprim17ROCPRIM_400000_NS6detail17trampoline_kernelINS0_13select_configILj256ELj13ELNS0_17block_load_methodE3ELS4_3ELS4_3ELNS0_20block_scan_algorithmE0ELj4294967295EEENS1_25partition_config_selectorILNS1_17partition_subalgoE3EjNS0_10empty_typeEbEEZZNS1_14partition_implILS8_3ELb0ES6_jNS0_17counting_iteratorIjlEEPS9_SE_NS0_5tupleIJPjSE_EEENSF_IJSE_SE_EEES9_SG_JZNS1_25segmented_radix_sort_implINS0_14default_configELb1EPKaPaPKlPlN2at6native12_GLOBAL__N_18offset_tEEE10hipError_tPvRmT1_PNSt15iterator_traitsISY_E10value_typeET2_T3_PNSZ_IS14_E10value_typeET4_jRbjT5_S1A_jjP12ihipStream_tbEUljE_EEESV_SW_SX_S14_S18_S1A_T6_T7_T9_mT8_S1C_bDpT10_ENKUlT_T0_E_clISt17integral_constantIbLb0EES1O_IbLb1EEEEDaS1K_S1L_EUlS1K_E_NS1_11comp_targetILNS1_3genE9ELNS1_11target_archE1100ELNS1_3gpuE3ELNS1_3repE0EEENS1_30default_config_static_selectorELNS0_4arch9wavefront6targetE1EEEvSY_,comdat
.Lfunc_end288:
	.size	_ZN7rocprim17ROCPRIM_400000_NS6detail17trampoline_kernelINS0_13select_configILj256ELj13ELNS0_17block_load_methodE3ELS4_3ELS4_3ELNS0_20block_scan_algorithmE0ELj4294967295EEENS1_25partition_config_selectorILNS1_17partition_subalgoE3EjNS0_10empty_typeEbEEZZNS1_14partition_implILS8_3ELb0ES6_jNS0_17counting_iteratorIjlEEPS9_SE_NS0_5tupleIJPjSE_EEENSF_IJSE_SE_EEES9_SG_JZNS1_25segmented_radix_sort_implINS0_14default_configELb1EPKaPaPKlPlN2at6native12_GLOBAL__N_18offset_tEEE10hipError_tPvRmT1_PNSt15iterator_traitsISY_E10value_typeET2_T3_PNSZ_IS14_E10value_typeET4_jRbjT5_S1A_jjP12ihipStream_tbEUljE_EEESV_SW_SX_S14_S18_S1A_T6_T7_T9_mT8_S1C_bDpT10_ENKUlT_T0_E_clISt17integral_constantIbLb0EES1O_IbLb1EEEEDaS1K_S1L_EUlS1K_E_NS1_11comp_targetILNS1_3genE9ELNS1_11target_archE1100ELNS1_3gpuE3ELNS1_3repE0EEENS1_30default_config_static_selectorELNS0_4arch9wavefront6targetE1EEEvSY_, .Lfunc_end288-_ZN7rocprim17ROCPRIM_400000_NS6detail17trampoline_kernelINS0_13select_configILj256ELj13ELNS0_17block_load_methodE3ELS4_3ELS4_3ELNS0_20block_scan_algorithmE0ELj4294967295EEENS1_25partition_config_selectorILNS1_17partition_subalgoE3EjNS0_10empty_typeEbEEZZNS1_14partition_implILS8_3ELb0ES6_jNS0_17counting_iteratorIjlEEPS9_SE_NS0_5tupleIJPjSE_EEENSF_IJSE_SE_EEES9_SG_JZNS1_25segmented_radix_sort_implINS0_14default_configELb1EPKaPaPKlPlN2at6native12_GLOBAL__N_18offset_tEEE10hipError_tPvRmT1_PNSt15iterator_traitsISY_E10value_typeET2_T3_PNSZ_IS14_E10value_typeET4_jRbjT5_S1A_jjP12ihipStream_tbEUljE_EEESV_SW_SX_S14_S18_S1A_T6_T7_T9_mT8_S1C_bDpT10_ENKUlT_T0_E_clISt17integral_constantIbLb0EES1O_IbLb1EEEEDaS1K_S1L_EUlS1K_E_NS1_11comp_targetILNS1_3genE9ELNS1_11target_archE1100ELNS1_3gpuE3ELNS1_3repE0EEENS1_30default_config_static_selectorELNS0_4arch9wavefront6targetE1EEEvSY_
                                        ; -- End function
	.section	.AMDGPU.csdata,"",@progbits
; Kernel info:
; codeLenInByte = 0
; NumSgprs: 4
; NumVgprs: 0
; NumAgprs: 0
; TotalNumVgprs: 0
; ScratchSize: 0
; MemoryBound: 0
; FloatMode: 240
; IeeeMode: 1
; LDSByteSize: 0 bytes/workgroup (compile time only)
; SGPRBlocks: 0
; VGPRBlocks: 0
; NumSGPRsForWavesPerEU: 4
; NumVGPRsForWavesPerEU: 1
; AccumOffset: 4
; Occupancy: 8
; WaveLimiterHint : 0
; COMPUTE_PGM_RSRC2:SCRATCH_EN: 0
; COMPUTE_PGM_RSRC2:USER_SGPR: 6
; COMPUTE_PGM_RSRC2:TRAP_HANDLER: 0
; COMPUTE_PGM_RSRC2:TGID_X_EN: 1
; COMPUTE_PGM_RSRC2:TGID_Y_EN: 0
; COMPUTE_PGM_RSRC2:TGID_Z_EN: 0
; COMPUTE_PGM_RSRC2:TIDIG_COMP_CNT: 0
; COMPUTE_PGM_RSRC3_GFX90A:ACCUM_OFFSET: 0
; COMPUTE_PGM_RSRC3_GFX90A:TG_SPLIT: 0
	.section	.text._ZN7rocprim17ROCPRIM_400000_NS6detail17trampoline_kernelINS0_13select_configILj256ELj13ELNS0_17block_load_methodE3ELS4_3ELS4_3ELNS0_20block_scan_algorithmE0ELj4294967295EEENS1_25partition_config_selectorILNS1_17partition_subalgoE3EjNS0_10empty_typeEbEEZZNS1_14partition_implILS8_3ELb0ES6_jNS0_17counting_iteratorIjlEEPS9_SE_NS0_5tupleIJPjSE_EEENSF_IJSE_SE_EEES9_SG_JZNS1_25segmented_radix_sort_implINS0_14default_configELb1EPKaPaPKlPlN2at6native12_GLOBAL__N_18offset_tEEE10hipError_tPvRmT1_PNSt15iterator_traitsISY_E10value_typeET2_T3_PNSZ_IS14_E10value_typeET4_jRbjT5_S1A_jjP12ihipStream_tbEUljE_EEESV_SW_SX_S14_S18_S1A_T6_T7_T9_mT8_S1C_bDpT10_ENKUlT_T0_E_clISt17integral_constantIbLb0EES1O_IbLb1EEEEDaS1K_S1L_EUlS1K_E_NS1_11comp_targetILNS1_3genE8ELNS1_11target_archE1030ELNS1_3gpuE2ELNS1_3repE0EEENS1_30default_config_static_selectorELNS0_4arch9wavefront6targetE1EEEvSY_,"axG",@progbits,_ZN7rocprim17ROCPRIM_400000_NS6detail17trampoline_kernelINS0_13select_configILj256ELj13ELNS0_17block_load_methodE3ELS4_3ELS4_3ELNS0_20block_scan_algorithmE0ELj4294967295EEENS1_25partition_config_selectorILNS1_17partition_subalgoE3EjNS0_10empty_typeEbEEZZNS1_14partition_implILS8_3ELb0ES6_jNS0_17counting_iteratorIjlEEPS9_SE_NS0_5tupleIJPjSE_EEENSF_IJSE_SE_EEES9_SG_JZNS1_25segmented_radix_sort_implINS0_14default_configELb1EPKaPaPKlPlN2at6native12_GLOBAL__N_18offset_tEEE10hipError_tPvRmT1_PNSt15iterator_traitsISY_E10value_typeET2_T3_PNSZ_IS14_E10value_typeET4_jRbjT5_S1A_jjP12ihipStream_tbEUljE_EEESV_SW_SX_S14_S18_S1A_T6_T7_T9_mT8_S1C_bDpT10_ENKUlT_T0_E_clISt17integral_constantIbLb0EES1O_IbLb1EEEEDaS1K_S1L_EUlS1K_E_NS1_11comp_targetILNS1_3genE8ELNS1_11target_archE1030ELNS1_3gpuE2ELNS1_3repE0EEENS1_30default_config_static_selectorELNS0_4arch9wavefront6targetE1EEEvSY_,comdat
	.globl	_ZN7rocprim17ROCPRIM_400000_NS6detail17trampoline_kernelINS0_13select_configILj256ELj13ELNS0_17block_load_methodE3ELS4_3ELS4_3ELNS0_20block_scan_algorithmE0ELj4294967295EEENS1_25partition_config_selectorILNS1_17partition_subalgoE3EjNS0_10empty_typeEbEEZZNS1_14partition_implILS8_3ELb0ES6_jNS0_17counting_iteratorIjlEEPS9_SE_NS0_5tupleIJPjSE_EEENSF_IJSE_SE_EEES9_SG_JZNS1_25segmented_radix_sort_implINS0_14default_configELb1EPKaPaPKlPlN2at6native12_GLOBAL__N_18offset_tEEE10hipError_tPvRmT1_PNSt15iterator_traitsISY_E10value_typeET2_T3_PNSZ_IS14_E10value_typeET4_jRbjT5_S1A_jjP12ihipStream_tbEUljE_EEESV_SW_SX_S14_S18_S1A_T6_T7_T9_mT8_S1C_bDpT10_ENKUlT_T0_E_clISt17integral_constantIbLb0EES1O_IbLb1EEEEDaS1K_S1L_EUlS1K_E_NS1_11comp_targetILNS1_3genE8ELNS1_11target_archE1030ELNS1_3gpuE2ELNS1_3repE0EEENS1_30default_config_static_selectorELNS0_4arch9wavefront6targetE1EEEvSY_ ; -- Begin function _ZN7rocprim17ROCPRIM_400000_NS6detail17trampoline_kernelINS0_13select_configILj256ELj13ELNS0_17block_load_methodE3ELS4_3ELS4_3ELNS0_20block_scan_algorithmE0ELj4294967295EEENS1_25partition_config_selectorILNS1_17partition_subalgoE3EjNS0_10empty_typeEbEEZZNS1_14partition_implILS8_3ELb0ES6_jNS0_17counting_iteratorIjlEEPS9_SE_NS0_5tupleIJPjSE_EEENSF_IJSE_SE_EEES9_SG_JZNS1_25segmented_radix_sort_implINS0_14default_configELb1EPKaPaPKlPlN2at6native12_GLOBAL__N_18offset_tEEE10hipError_tPvRmT1_PNSt15iterator_traitsISY_E10value_typeET2_T3_PNSZ_IS14_E10value_typeET4_jRbjT5_S1A_jjP12ihipStream_tbEUljE_EEESV_SW_SX_S14_S18_S1A_T6_T7_T9_mT8_S1C_bDpT10_ENKUlT_T0_E_clISt17integral_constantIbLb0EES1O_IbLb1EEEEDaS1K_S1L_EUlS1K_E_NS1_11comp_targetILNS1_3genE8ELNS1_11target_archE1030ELNS1_3gpuE2ELNS1_3repE0EEENS1_30default_config_static_selectorELNS0_4arch9wavefront6targetE1EEEvSY_
	.p2align	8
	.type	_ZN7rocprim17ROCPRIM_400000_NS6detail17trampoline_kernelINS0_13select_configILj256ELj13ELNS0_17block_load_methodE3ELS4_3ELS4_3ELNS0_20block_scan_algorithmE0ELj4294967295EEENS1_25partition_config_selectorILNS1_17partition_subalgoE3EjNS0_10empty_typeEbEEZZNS1_14partition_implILS8_3ELb0ES6_jNS0_17counting_iteratorIjlEEPS9_SE_NS0_5tupleIJPjSE_EEENSF_IJSE_SE_EEES9_SG_JZNS1_25segmented_radix_sort_implINS0_14default_configELb1EPKaPaPKlPlN2at6native12_GLOBAL__N_18offset_tEEE10hipError_tPvRmT1_PNSt15iterator_traitsISY_E10value_typeET2_T3_PNSZ_IS14_E10value_typeET4_jRbjT5_S1A_jjP12ihipStream_tbEUljE_EEESV_SW_SX_S14_S18_S1A_T6_T7_T9_mT8_S1C_bDpT10_ENKUlT_T0_E_clISt17integral_constantIbLb0EES1O_IbLb1EEEEDaS1K_S1L_EUlS1K_E_NS1_11comp_targetILNS1_3genE8ELNS1_11target_archE1030ELNS1_3gpuE2ELNS1_3repE0EEENS1_30default_config_static_selectorELNS0_4arch9wavefront6targetE1EEEvSY_,@function
_ZN7rocprim17ROCPRIM_400000_NS6detail17trampoline_kernelINS0_13select_configILj256ELj13ELNS0_17block_load_methodE3ELS4_3ELS4_3ELNS0_20block_scan_algorithmE0ELj4294967295EEENS1_25partition_config_selectorILNS1_17partition_subalgoE3EjNS0_10empty_typeEbEEZZNS1_14partition_implILS8_3ELb0ES6_jNS0_17counting_iteratorIjlEEPS9_SE_NS0_5tupleIJPjSE_EEENSF_IJSE_SE_EEES9_SG_JZNS1_25segmented_radix_sort_implINS0_14default_configELb1EPKaPaPKlPlN2at6native12_GLOBAL__N_18offset_tEEE10hipError_tPvRmT1_PNSt15iterator_traitsISY_E10value_typeET2_T3_PNSZ_IS14_E10value_typeET4_jRbjT5_S1A_jjP12ihipStream_tbEUljE_EEESV_SW_SX_S14_S18_S1A_T6_T7_T9_mT8_S1C_bDpT10_ENKUlT_T0_E_clISt17integral_constantIbLb0EES1O_IbLb1EEEEDaS1K_S1L_EUlS1K_E_NS1_11comp_targetILNS1_3genE8ELNS1_11target_archE1030ELNS1_3gpuE2ELNS1_3repE0EEENS1_30default_config_static_selectorELNS0_4arch9wavefront6targetE1EEEvSY_: ; @_ZN7rocprim17ROCPRIM_400000_NS6detail17trampoline_kernelINS0_13select_configILj256ELj13ELNS0_17block_load_methodE3ELS4_3ELS4_3ELNS0_20block_scan_algorithmE0ELj4294967295EEENS1_25partition_config_selectorILNS1_17partition_subalgoE3EjNS0_10empty_typeEbEEZZNS1_14partition_implILS8_3ELb0ES6_jNS0_17counting_iteratorIjlEEPS9_SE_NS0_5tupleIJPjSE_EEENSF_IJSE_SE_EEES9_SG_JZNS1_25segmented_radix_sort_implINS0_14default_configELb1EPKaPaPKlPlN2at6native12_GLOBAL__N_18offset_tEEE10hipError_tPvRmT1_PNSt15iterator_traitsISY_E10value_typeET2_T3_PNSZ_IS14_E10value_typeET4_jRbjT5_S1A_jjP12ihipStream_tbEUljE_EEESV_SW_SX_S14_S18_S1A_T6_T7_T9_mT8_S1C_bDpT10_ENKUlT_T0_E_clISt17integral_constantIbLb0EES1O_IbLb1EEEEDaS1K_S1L_EUlS1K_E_NS1_11comp_targetILNS1_3genE8ELNS1_11target_archE1030ELNS1_3gpuE2ELNS1_3repE0EEENS1_30default_config_static_selectorELNS0_4arch9wavefront6targetE1EEEvSY_
; %bb.0:
	.section	.rodata,"a",@progbits
	.p2align	6, 0x0
	.amdhsa_kernel _ZN7rocprim17ROCPRIM_400000_NS6detail17trampoline_kernelINS0_13select_configILj256ELj13ELNS0_17block_load_methodE3ELS4_3ELS4_3ELNS0_20block_scan_algorithmE0ELj4294967295EEENS1_25partition_config_selectorILNS1_17partition_subalgoE3EjNS0_10empty_typeEbEEZZNS1_14partition_implILS8_3ELb0ES6_jNS0_17counting_iteratorIjlEEPS9_SE_NS0_5tupleIJPjSE_EEENSF_IJSE_SE_EEES9_SG_JZNS1_25segmented_radix_sort_implINS0_14default_configELb1EPKaPaPKlPlN2at6native12_GLOBAL__N_18offset_tEEE10hipError_tPvRmT1_PNSt15iterator_traitsISY_E10value_typeET2_T3_PNSZ_IS14_E10value_typeET4_jRbjT5_S1A_jjP12ihipStream_tbEUljE_EEESV_SW_SX_S14_S18_S1A_T6_T7_T9_mT8_S1C_bDpT10_ENKUlT_T0_E_clISt17integral_constantIbLb0EES1O_IbLb1EEEEDaS1K_S1L_EUlS1K_E_NS1_11comp_targetILNS1_3genE8ELNS1_11target_archE1030ELNS1_3gpuE2ELNS1_3repE0EEENS1_30default_config_static_selectorELNS0_4arch9wavefront6targetE1EEEvSY_
		.amdhsa_group_segment_fixed_size 0
		.amdhsa_private_segment_fixed_size 0
		.amdhsa_kernarg_size 152
		.amdhsa_user_sgpr_count 6
		.amdhsa_user_sgpr_private_segment_buffer 1
		.amdhsa_user_sgpr_dispatch_ptr 0
		.amdhsa_user_sgpr_queue_ptr 0
		.amdhsa_user_sgpr_kernarg_segment_ptr 1
		.amdhsa_user_sgpr_dispatch_id 0
		.amdhsa_user_sgpr_flat_scratch_init 0
		.amdhsa_user_sgpr_kernarg_preload_length 0
		.amdhsa_user_sgpr_kernarg_preload_offset 0
		.amdhsa_user_sgpr_private_segment_size 0
		.amdhsa_uses_dynamic_stack 0
		.amdhsa_system_sgpr_private_segment_wavefront_offset 0
		.amdhsa_system_sgpr_workgroup_id_x 1
		.amdhsa_system_sgpr_workgroup_id_y 0
		.amdhsa_system_sgpr_workgroup_id_z 0
		.amdhsa_system_sgpr_workgroup_info 0
		.amdhsa_system_vgpr_workitem_id 0
		.amdhsa_next_free_vgpr 1
		.amdhsa_next_free_sgpr 0
		.amdhsa_accum_offset 4
		.amdhsa_reserve_vcc 0
		.amdhsa_reserve_flat_scratch 0
		.amdhsa_float_round_mode_32 0
		.amdhsa_float_round_mode_16_64 0
		.amdhsa_float_denorm_mode_32 3
		.amdhsa_float_denorm_mode_16_64 3
		.amdhsa_dx10_clamp 1
		.amdhsa_ieee_mode 1
		.amdhsa_fp16_overflow 0
		.amdhsa_tg_split 0
		.amdhsa_exception_fp_ieee_invalid_op 0
		.amdhsa_exception_fp_denorm_src 0
		.amdhsa_exception_fp_ieee_div_zero 0
		.amdhsa_exception_fp_ieee_overflow 0
		.amdhsa_exception_fp_ieee_underflow 0
		.amdhsa_exception_fp_ieee_inexact 0
		.amdhsa_exception_int_div_zero 0
	.end_amdhsa_kernel
	.section	.text._ZN7rocprim17ROCPRIM_400000_NS6detail17trampoline_kernelINS0_13select_configILj256ELj13ELNS0_17block_load_methodE3ELS4_3ELS4_3ELNS0_20block_scan_algorithmE0ELj4294967295EEENS1_25partition_config_selectorILNS1_17partition_subalgoE3EjNS0_10empty_typeEbEEZZNS1_14partition_implILS8_3ELb0ES6_jNS0_17counting_iteratorIjlEEPS9_SE_NS0_5tupleIJPjSE_EEENSF_IJSE_SE_EEES9_SG_JZNS1_25segmented_radix_sort_implINS0_14default_configELb1EPKaPaPKlPlN2at6native12_GLOBAL__N_18offset_tEEE10hipError_tPvRmT1_PNSt15iterator_traitsISY_E10value_typeET2_T3_PNSZ_IS14_E10value_typeET4_jRbjT5_S1A_jjP12ihipStream_tbEUljE_EEESV_SW_SX_S14_S18_S1A_T6_T7_T9_mT8_S1C_bDpT10_ENKUlT_T0_E_clISt17integral_constantIbLb0EES1O_IbLb1EEEEDaS1K_S1L_EUlS1K_E_NS1_11comp_targetILNS1_3genE8ELNS1_11target_archE1030ELNS1_3gpuE2ELNS1_3repE0EEENS1_30default_config_static_selectorELNS0_4arch9wavefront6targetE1EEEvSY_,"axG",@progbits,_ZN7rocprim17ROCPRIM_400000_NS6detail17trampoline_kernelINS0_13select_configILj256ELj13ELNS0_17block_load_methodE3ELS4_3ELS4_3ELNS0_20block_scan_algorithmE0ELj4294967295EEENS1_25partition_config_selectorILNS1_17partition_subalgoE3EjNS0_10empty_typeEbEEZZNS1_14partition_implILS8_3ELb0ES6_jNS0_17counting_iteratorIjlEEPS9_SE_NS0_5tupleIJPjSE_EEENSF_IJSE_SE_EEES9_SG_JZNS1_25segmented_radix_sort_implINS0_14default_configELb1EPKaPaPKlPlN2at6native12_GLOBAL__N_18offset_tEEE10hipError_tPvRmT1_PNSt15iterator_traitsISY_E10value_typeET2_T3_PNSZ_IS14_E10value_typeET4_jRbjT5_S1A_jjP12ihipStream_tbEUljE_EEESV_SW_SX_S14_S18_S1A_T6_T7_T9_mT8_S1C_bDpT10_ENKUlT_T0_E_clISt17integral_constantIbLb0EES1O_IbLb1EEEEDaS1K_S1L_EUlS1K_E_NS1_11comp_targetILNS1_3genE8ELNS1_11target_archE1030ELNS1_3gpuE2ELNS1_3repE0EEENS1_30default_config_static_selectorELNS0_4arch9wavefront6targetE1EEEvSY_,comdat
.Lfunc_end289:
	.size	_ZN7rocprim17ROCPRIM_400000_NS6detail17trampoline_kernelINS0_13select_configILj256ELj13ELNS0_17block_load_methodE3ELS4_3ELS4_3ELNS0_20block_scan_algorithmE0ELj4294967295EEENS1_25partition_config_selectorILNS1_17partition_subalgoE3EjNS0_10empty_typeEbEEZZNS1_14partition_implILS8_3ELb0ES6_jNS0_17counting_iteratorIjlEEPS9_SE_NS0_5tupleIJPjSE_EEENSF_IJSE_SE_EEES9_SG_JZNS1_25segmented_radix_sort_implINS0_14default_configELb1EPKaPaPKlPlN2at6native12_GLOBAL__N_18offset_tEEE10hipError_tPvRmT1_PNSt15iterator_traitsISY_E10value_typeET2_T3_PNSZ_IS14_E10value_typeET4_jRbjT5_S1A_jjP12ihipStream_tbEUljE_EEESV_SW_SX_S14_S18_S1A_T6_T7_T9_mT8_S1C_bDpT10_ENKUlT_T0_E_clISt17integral_constantIbLb0EES1O_IbLb1EEEEDaS1K_S1L_EUlS1K_E_NS1_11comp_targetILNS1_3genE8ELNS1_11target_archE1030ELNS1_3gpuE2ELNS1_3repE0EEENS1_30default_config_static_selectorELNS0_4arch9wavefront6targetE1EEEvSY_, .Lfunc_end289-_ZN7rocprim17ROCPRIM_400000_NS6detail17trampoline_kernelINS0_13select_configILj256ELj13ELNS0_17block_load_methodE3ELS4_3ELS4_3ELNS0_20block_scan_algorithmE0ELj4294967295EEENS1_25partition_config_selectorILNS1_17partition_subalgoE3EjNS0_10empty_typeEbEEZZNS1_14partition_implILS8_3ELb0ES6_jNS0_17counting_iteratorIjlEEPS9_SE_NS0_5tupleIJPjSE_EEENSF_IJSE_SE_EEES9_SG_JZNS1_25segmented_radix_sort_implINS0_14default_configELb1EPKaPaPKlPlN2at6native12_GLOBAL__N_18offset_tEEE10hipError_tPvRmT1_PNSt15iterator_traitsISY_E10value_typeET2_T3_PNSZ_IS14_E10value_typeET4_jRbjT5_S1A_jjP12ihipStream_tbEUljE_EEESV_SW_SX_S14_S18_S1A_T6_T7_T9_mT8_S1C_bDpT10_ENKUlT_T0_E_clISt17integral_constantIbLb0EES1O_IbLb1EEEEDaS1K_S1L_EUlS1K_E_NS1_11comp_targetILNS1_3genE8ELNS1_11target_archE1030ELNS1_3gpuE2ELNS1_3repE0EEENS1_30default_config_static_selectorELNS0_4arch9wavefront6targetE1EEEvSY_
                                        ; -- End function
	.section	.AMDGPU.csdata,"",@progbits
; Kernel info:
; codeLenInByte = 0
; NumSgprs: 4
; NumVgprs: 0
; NumAgprs: 0
; TotalNumVgprs: 0
; ScratchSize: 0
; MemoryBound: 0
; FloatMode: 240
; IeeeMode: 1
; LDSByteSize: 0 bytes/workgroup (compile time only)
; SGPRBlocks: 0
; VGPRBlocks: 0
; NumSGPRsForWavesPerEU: 4
; NumVGPRsForWavesPerEU: 1
; AccumOffset: 4
; Occupancy: 8
; WaveLimiterHint : 0
; COMPUTE_PGM_RSRC2:SCRATCH_EN: 0
; COMPUTE_PGM_RSRC2:USER_SGPR: 6
; COMPUTE_PGM_RSRC2:TRAP_HANDLER: 0
; COMPUTE_PGM_RSRC2:TGID_X_EN: 1
; COMPUTE_PGM_RSRC2:TGID_Y_EN: 0
; COMPUTE_PGM_RSRC2:TGID_Z_EN: 0
; COMPUTE_PGM_RSRC2:TIDIG_COMP_CNT: 0
; COMPUTE_PGM_RSRC3_GFX90A:ACCUM_OFFSET: 0
; COMPUTE_PGM_RSRC3_GFX90A:TG_SPLIT: 0
	.section	.text._ZN7rocprim17ROCPRIM_400000_NS6detail17trampoline_kernelINS0_14default_configENS1_36segmented_radix_sort_config_selectorIalEEZNS1_25segmented_radix_sort_implIS3_Lb1EPKaPaPKlPlN2at6native12_GLOBAL__N_18offset_tEEE10hipError_tPvRmT1_PNSt15iterator_traitsISK_E10value_typeET2_T3_PNSL_ISQ_E10value_typeET4_jRbjT5_SW_jjP12ihipStream_tbEUlT_E_NS1_11comp_targetILNS1_3genE0ELNS1_11target_archE4294967295ELNS1_3gpuE0ELNS1_3repE0EEENS1_30default_config_static_selectorELNS0_4arch9wavefront6targetE1EEEvSK_,"axG",@progbits,_ZN7rocprim17ROCPRIM_400000_NS6detail17trampoline_kernelINS0_14default_configENS1_36segmented_radix_sort_config_selectorIalEEZNS1_25segmented_radix_sort_implIS3_Lb1EPKaPaPKlPlN2at6native12_GLOBAL__N_18offset_tEEE10hipError_tPvRmT1_PNSt15iterator_traitsISK_E10value_typeET2_T3_PNSL_ISQ_E10value_typeET4_jRbjT5_SW_jjP12ihipStream_tbEUlT_E_NS1_11comp_targetILNS1_3genE0ELNS1_11target_archE4294967295ELNS1_3gpuE0ELNS1_3repE0EEENS1_30default_config_static_selectorELNS0_4arch9wavefront6targetE1EEEvSK_,comdat
	.globl	_ZN7rocprim17ROCPRIM_400000_NS6detail17trampoline_kernelINS0_14default_configENS1_36segmented_radix_sort_config_selectorIalEEZNS1_25segmented_radix_sort_implIS3_Lb1EPKaPaPKlPlN2at6native12_GLOBAL__N_18offset_tEEE10hipError_tPvRmT1_PNSt15iterator_traitsISK_E10value_typeET2_T3_PNSL_ISQ_E10value_typeET4_jRbjT5_SW_jjP12ihipStream_tbEUlT_E_NS1_11comp_targetILNS1_3genE0ELNS1_11target_archE4294967295ELNS1_3gpuE0ELNS1_3repE0EEENS1_30default_config_static_selectorELNS0_4arch9wavefront6targetE1EEEvSK_ ; -- Begin function _ZN7rocprim17ROCPRIM_400000_NS6detail17trampoline_kernelINS0_14default_configENS1_36segmented_radix_sort_config_selectorIalEEZNS1_25segmented_radix_sort_implIS3_Lb1EPKaPaPKlPlN2at6native12_GLOBAL__N_18offset_tEEE10hipError_tPvRmT1_PNSt15iterator_traitsISK_E10value_typeET2_T3_PNSL_ISQ_E10value_typeET4_jRbjT5_SW_jjP12ihipStream_tbEUlT_E_NS1_11comp_targetILNS1_3genE0ELNS1_11target_archE4294967295ELNS1_3gpuE0ELNS1_3repE0EEENS1_30default_config_static_selectorELNS0_4arch9wavefront6targetE1EEEvSK_
	.p2align	8
	.type	_ZN7rocprim17ROCPRIM_400000_NS6detail17trampoline_kernelINS0_14default_configENS1_36segmented_radix_sort_config_selectorIalEEZNS1_25segmented_radix_sort_implIS3_Lb1EPKaPaPKlPlN2at6native12_GLOBAL__N_18offset_tEEE10hipError_tPvRmT1_PNSt15iterator_traitsISK_E10value_typeET2_T3_PNSL_ISQ_E10value_typeET4_jRbjT5_SW_jjP12ihipStream_tbEUlT_E_NS1_11comp_targetILNS1_3genE0ELNS1_11target_archE4294967295ELNS1_3gpuE0ELNS1_3repE0EEENS1_30default_config_static_selectorELNS0_4arch9wavefront6targetE1EEEvSK_,@function
_ZN7rocprim17ROCPRIM_400000_NS6detail17trampoline_kernelINS0_14default_configENS1_36segmented_radix_sort_config_selectorIalEEZNS1_25segmented_radix_sort_implIS3_Lb1EPKaPaPKlPlN2at6native12_GLOBAL__N_18offset_tEEE10hipError_tPvRmT1_PNSt15iterator_traitsISK_E10value_typeET2_T3_PNSL_ISQ_E10value_typeET4_jRbjT5_SW_jjP12ihipStream_tbEUlT_E_NS1_11comp_targetILNS1_3genE0ELNS1_11target_archE4294967295ELNS1_3gpuE0ELNS1_3repE0EEENS1_30default_config_static_selectorELNS0_4arch9wavefront6targetE1EEEvSK_: ; @_ZN7rocprim17ROCPRIM_400000_NS6detail17trampoline_kernelINS0_14default_configENS1_36segmented_radix_sort_config_selectorIalEEZNS1_25segmented_radix_sort_implIS3_Lb1EPKaPaPKlPlN2at6native12_GLOBAL__N_18offset_tEEE10hipError_tPvRmT1_PNSt15iterator_traitsISK_E10value_typeET2_T3_PNSL_ISQ_E10value_typeET4_jRbjT5_SW_jjP12ihipStream_tbEUlT_E_NS1_11comp_targetILNS1_3genE0ELNS1_11target_archE4294967295ELNS1_3gpuE0ELNS1_3repE0EEENS1_30default_config_static_selectorELNS0_4arch9wavefront6targetE1EEEvSK_
; %bb.0:
	.section	.rodata,"a",@progbits
	.p2align	6, 0x0
	.amdhsa_kernel _ZN7rocprim17ROCPRIM_400000_NS6detail17trampoline_kernelINS0_14default_configENS1_36segmented_radix_sort_config_selectorIalEEZNS1_25segmented_radix_sort_implIS3_Lb1EPKaPaPKlPlN2at6native12_GLOBAL__N_18offset_tEEE10hipError_tPvRmT1_PNSt15iterator_traitsISK_E10value_typeET2_T3_PNSL_ISQ_E10value_typeET4_jRbjT5_SW_jjP12ihipStream_tbEUlT_E_NS1_11comp_targetILNS1_3genE0ELNS1_11target_archE4294967295ELNS1_3gpuE0ELNS1_3repE0EEENS1_30default_config_static_selectorELNS0_4arch9wavefront6targetE1EEEvSK_
		.amdhsa_group_segment_fixed_size 0
		.amdhsa_private_segment_fixed_size 0
		.amdhsa_kernarg_size 96
		.amdhsa_user_sgpr_count 6
		.amdhsa_user_sgpr_private_segment_buffer 1
		.amdhsa_user_sgpr_dispatch_ptr 0
		.amdhsa_user_sgpr_queue_ptr 0
		.amdhsa_user_sgpr_kernarg_segment_ptr 1
		.amdhsa_user_sgpr_dispatch_id 0
		.amdhsa_user_sgpr_flat_scratch_init 0
		.amdhsa_user_sgpr_kernarg_preload_length 0
		.amdhsa_user_sgpr_kernarg_preload_offset 0
		.amdhsa_user_sgpr_private_segment_size 0
		.amdhsa_uses_dynamic_stack 0
		.amdhsa_system_sgpr_private_segment_wavefront_offset 0
		.amdhsa_system_sgpr_workgroup_id_x 1
		.amdhsa_system_sgpr_workgroup_id_y 0
		.amdhsa_system_sgpr_workgroup_id_z 0
		.amdhsa_system_sgpr_workgroup_info 0
		.amdhsa_system_vgpr_workitem_id 0
		.amdhsa_next_free_vgpr 1
		.amdhsa_next_free_sgpr 0
		.amdhsa_accum_offset 4
		.amdhsa_reserve_vcc 0
		.amdhsa_reserve_flat_scratch 0
		.amdhsa_float_round_mode_32 0
		.amdhsa_float_round_mode_16_64 0
		.amdhsa_float_denorm_mode_32 3
		.amdhsa_float_denorm_mode_16_64 3
		.amdhsa_dx10_clamp 1
		.amdhsa_ieee_mode 1
		.amdhsa_fp16_overflow 0
		.amdhsa_tg_split 0
		.amdhsa_exception_fp_ieee_invalid_op 0
		.amdhsa_exception_fp_denorm_src 0
		.amdhsa_exception_fp_ieee_div_zero 0
		.amdhsa_exception_fp_ieee_overflow 0
		.amdhsa_exception_fp_ieee_underflow 0
		.amdhsa_exception_fp_ieee_inexact 0
		.amdhsa_exception_int_div_zero 0
	.end_amdhsa_kernel
	.section	.text._ZN7rocprim17ROCPRIM_400000_NS6detail17trampoline_kernelINS0_14default_configENS1_36segmented_radix_sort_config_selectorIalEEZNS1_25segmented_radix_sort_implIS3_Lb1EPKaPaPKlPlN2at6native12_GLOBAL__N_18offset_tEEE10hipError_tPvRmT1_PNSt15iterator_traitsISK_E10value_typeET2_T3_PNSL_ISQ_E10value_typeET4_jRbjT5_SW_jjP12ihipStream_tbEUlT_E_NS1_11comp_targetILNS1_3genE0ELNS1_11target_archE4294967295ELNS1_3gpuE0ELNS1_3repE0EEENS1_30default_config_static_selectorELNS0_4arch9wavefront6targetE1EEEvSK_,"axG",@progbits,_ZN7rocprim17ROCPRIM_400000_NS6detail17trampoline_kernelINS0_14default_configENS1_36segmented_radix_sort_config_selectorIalEEZNS1_25segmented_radix_sort_implIS3_Lb1EPKaPaPKlPlN2at6native12_GLOBAL__N_18offset_tEEE10hipError_tPvRmT1_PNSt15iterator_traitsISK_E10value_typeET2_T3_PNSL_ISQ_E10value_typeET4_jRbjT5_SW_jjP12ihipStream_tbEUlT_E_NS1_11comp_targetILNS1_3genE0ELNS1_11target_archE4294967295ELNS1_3gpuE0ELNS1_3repE0EEENS1_30default_config_static_selectorELNS0_4arch9wavefront6targetE1EEEvSK_,comdat
.Lfunc_end290:
	.size	_ZN7rocprim17ROCPRIM_400000_NS6detail17trampoline_kernelINS0_14default_configENS1_36segmented_radix_sort_config_selectorIalEEZNS1_25segmented_radix_sort_implIS3_Lb1EPKaPaPKlPlN2at6native12_GLOBAL__N_18offset_tEEE10hipError_tPvRmT1_PNSt15iterator_traitsISK_E10value_typeET2_T3_PNSL_ISQ_E10value_typeET4_jRbjT5_SW_jjP12ihipStream_tbEUlT_E_NS1_11comp_targetILNS1_3genE0ELNS1_11target_archE4294967295ELNS1_3gpuE0ELNS1_3repE0EEENS1_30default_config_static_selectorELNS0_4arch9wavefront6targetE1EEEvSK_, .Lfunc_end290-_ZN7rocprim17ROCPRIM_400000_NS6detail17trampoline_kernelINS0_14default_configENS1_36segmented_radix_sort_config_selectorIalEEZNS1_25segmented_radix_sort_implIS3_Lb1EPKaPaPKlPlN2at6native12_GLOBAL__N_18offset_tEEE10hipError_tPvRmT1_PNSt15iterator_traitsISK_E10value_typeET2_T3_PNSL_ISQ_E10value_typeET4_jRbjT5_SW_jjP12ihipStream_tbEUlT_E_NS1_11comp_targetILNS1_3genE0ELNS1_11target_archE4294967295ELNS1_3gpuE0ELNS1_3repE0EEENS1_30default_config_static_selectorELNS0_4arch9wavefront6targetE1EEEvSK_
                                        ; -- End function
	.section	.AMDGPU.csdata,"",@progbits
; Kernel info:
; codeLenInByte = 0
; NumSgprs: 4
; NumVgprs: 0
; NumAgprs: 0
; TotalNumVgprs: 0
; ScratchSize: 0
; MemoryBound: 0
; FloatMode: 240
; IeeeMode: 1
; LDSByteSize: 0 bytes/workgroup (compile time only)
; SGPRBlocks: 0
; VGPRBlocks: 0
; NumSGPRsForWavesPerEU: 4
; NumVGPRsForWavesPerEU: 1
; AccumOffset: 4
; Occupancy: 8
; WaveLimiterHint : 0
; COMPUTE_PGM_RSRC2:SCRATCH_EN: 0
; COMPUTE_PGM_RSRC2:USER_SGPR: 6
; COMPUTE_PGM_RSRC2:TRAP_HANDLER: 0
; COMPUTE_PGM_RSRC2:TGID_X_EN: 1
; COMPUTE_PGM_RSRC2:TGID_Y_EN: 0
; COMPUTE_PGM_RSRC2:TGID_Z_EN: 0
; COMPUTE_PGM_RSRC2:TIDIG_COMP_CNT: 0
; COMPUTE_PGM_RSRC3_GFX90A:ACCUM_OFFSET: 0
; COMPUTE_PGM_RSRC3_GFX90A:TG_SPLIT: 0
	.section	.text._ZN7rocprim17ROCPRIM_400000_NS6detail17trampoline_kernelINS0_14default_configENS1_36segmented_radix_sort_config_selectorIalEEZNS1_25segmented_radix_sort_implIS3_Lb1EPKaPaPKlPlN2at6native12_GLOBAL__N_18offset_tEEE10hipError_tPvRmT1_PNSt15iterator_traitsISK_E10value_typeET2_T3_PNSL_ISQ_E10value_typeET4_jRbjT5_SW_jjP12ihipStream_tbEUlT_E_NS1_11comp_targetILNS1_3genE5ELNS1_11target_archE942ELNS1_3gpuE9ELNS1_3repE0EEENS1_30default_config_static_selectorELNS0_4arch9wavefront6targetE1EEEvSK_,"axG",@progbits,_ZN7rocprim17ROCPRIM_400000_NS6detail17trampoline_kernelINS0_14default_configENS1_36segmented_radix_sort_config_selectorIalEEZNS1_25segmented_radix_sort_implIS3_Lb1EPKaPaPKlPlN2at6native12_GLOBAL__N_18offset_tEEE10hipError_tPvRmT1_PNSt15iterator_traitsISK_E10value_typeET2_T3_PNSL_ISQ_E10value_typeET4_jRbjT5_SW_jjP12ihipStream_tbEUlT_E_NS1_11comp_targetILNS1_3genE5ELNS1_11target_archE942ELNS1_3gpuE9ELNS1_3repE0EEENS1_30default_config_static_selectorELNS0_4arch9wavefront6targetE1EEEvSK_,comdat
	.globl	_ZN7rocprim17ROCPRIM_400000_NS6detail17trampoline_kernelINS0_14default_configENS1_36segmented_radix_sort_config_selectorIalEEZNS1_25segmented_radix_sort_implIS3_Lb1EPKaPaPKlPlN2at6native12_GLOBAL__N_18offset_tEEE10hipError_tPvRmT1_PNSt15iterator_traitsISK_E10value_typeET2_T3_PNSL_ISQ_E10value_typeET4_jRbjT5_SW_jjP12ihipStream_tbEUlT_E_NS1_11comp_targetILNS1_3genE5ELNS1_11target_archE942ELNS1_3gpuE9ELNS1_3repE0EEENS1_30default_config_static_selectorELNS0_4arch9wavefront6targetE1EEEvSK_ ; -- Begin function _ZN7rocprim17ROCPRIM_400000_NS6detail17trampoline_kernelINS0_14default_configENS1_36segmented_radix_sort_config_selectorIalEEZNS1_25segmented_radix_sort_implIS3_Lb1EPKaPaPKlPlN2at6native12_GLOBAL__N_18offset_tEEE10hipError_tPvRmT1_PNSt15iterator_traitsISK_E10value_typeET2_T3_PNSL_ISQ_E10value_typeET4_jRbjT5_SW_jjP12ihipStream_tbEUlT_E_NS1_11comp_targetILNS1_3genE5ELNS1_11target_archE942ELNS1_3gpuE9ELNS1_3repE0EEENS1_30default_config_static_selectorELNS0_4arch9wavefront6targetE1EEEvSK_
	.p2align	8
	.type	_ZN7rocprim17ROCPRIM_400000_NS6detail17trampoline_kernelINS0_14default_configENS1_36segmented_radix_sort_config_selectorIalEEZNS1_25segmented_radix_sort_implIS3_Lb1EPKaPaPKlPlN2at6native12_GLOBAL__N_18offset_tEEE10hipError_tPvRmT1_PNSt15iterator_traitsISK_E10value_typeET2_T3_PNSL_ISQ_E10value_typeET4_jRbjT5_SW_jjP12ihipStream_tbEUlT_E_NS1_11comp_targetILNS1_3genE5ELNS1_11target_archE942ELNS1_3gpuE9ELNS1_3repE0EEENS1_30default_config_static_selectorELNS0_4arch9wavefront6targetE1EEEvSK_,@function
_ZN7rocprim17ROCPRIM_400000_NS6detail17trampoline_kernelINS0_14default_configENS1_36segmented_radix_sort_config_selectorIalEEZNS1_25segmented_radix_sort_implIS3_Lb1EPKaPaPKlPlN2at6native12_GLOBAL__N_18offset_tEEE10hipError_tPvRmT1_PNSt15iterator_traitsISK_E10value_typeET2_T3_PNSL_ISQ_E10value_typeET4_jRbjT5_SW_jjP12ihipStream_tbEUlT_E_NS1_11comp_targetILNS1_3genE5ELNS1_11target_archE942ELNS1_3gpuE9ELNS1_3repE0EEENS1_30default_config_static_selectorELNS0_4arch9wavefront6targetE1EEEvSK_: ; @_ZN7rocprim17ROCPRIM_400000_NS6detail17trampoline_kernelINS0_14default_configENS1_36segmented_radix_sort_config_selectorIalEEZNS1_25segmented_radix_sort_implIS3_Lb1EPKaPaPKlPlN2at6native12_GLOBAL__N_18offset_tEEE10hipError_tPvRmT1_PNSt15iterator_traitsISK_E10value_typeET2_T3_PNSL_ISQ_E10value_typeET4_jRbjT5_SW_jjP12ihipStream_tbEUlT_E_NS1_11comp_targetILNS1_3genE5ELNS1_11target_archE942ELNS1_3gpuE9ELNS1_3repE0EEENS1_30default_config_static_selectorELNS0_4arch9wavefront6targetE1EEEvSK_
; %bb.0:
	.section	.rodata,"a",@progbits
	.p2align	6, 0x0
	.amdhsa_kernel _ZN7rocprim17ROCPRIM_400000_NS6detail17trampoline_kernelINS0_14default_configENS1_36segmented_radix_sort_config_selectorIalEEZNS1_25segmented_radix_sort_implIS3_Lb1EPKaPaPKlPlN2at6native12_GLOBAL__N_18offset_tEEE10hipError_tPvRmT1_PNSt15iterator_traitsISK_E10value_typeET2_T3_PNSL_ISQ_E10value_typeET4_jRbjT5_SW_jjP12ihipStream_tbEUlT_E_NS1_11comp_targetILNS1_3genE5ELNS1_11target_archE942ELNS1_3gpuE9ELNS1_3repE0EEENS1_30default_config_static_selectorELNS0_4arch9wavefront6targetE1EEEvSK_
		.amdhsa_group_segment_fixed_size 0
		.amdhsa_private_segment_fixed_size 0
		.amdhsa_kernarg_size 96
		.amdhsa_user_sgpr_count 6
		.amdhsa_user_sgpr_private_segment_buffer 1
		.amdhsa_user_sgpr_dispatch_ptr 0
		.amdhsa_user_sgpr_queue_ptr 0
		.amdhsa_user_sgpr_kernarg_segment_ptr 1
		.amdhsa_user_sgpr_dispatch_id 0
		.amdhsa_user_sgpr_flat_scratch_init 0
		.amdhsa_user_sgpr_kernarg_preload_length 0
		.amdhsa_user_sgpr_kernarg_preload_offset 0
		.amdhsa_user_sgpr_private_segment_size 0
		.amdhsa_uses_dynamic_stack 0
		.amdhsa_system_sgpr_private_segment_wavefront_offset 0
		.amdhsa_system_sgpr_workgroup_id_x 1
		.amdhsa_system_sgpr_workgroup_id_y 0
		.amdhsa_system_sgpr_workgroup_id_z 0
		.amdhsa_system_sgpr_workgroup_info 0
		.amdhsa_system_vgpr_workitem_id 0
		.amdhsa_next_free_vgpr 1
		.amdhsa_next_free_sgpr 0
		.amdhsa_accum_offset 4
		.amdhsa_reserve_vcc 0
		.amdhsa_reserve_flat_scratch 0
		.amdhsa_float_round_mode_32 0
		.amdhsa_float_round_mode_16_64 0
		.amdhsa_float_denorm_mode_32 3
		.amdhsa_float_denorm_mode_16_64 3
		.amdhsa_dx10_clamp 1
		.amdhsa_ieee_mode 1
		.amdhsa_fp16_overflow 0
		.amdhsa_tg_split 0
		.amdhsa_exception_fp_ieee_invalid_op 0
		.amdhsa_exception_fp_denorm_src 0
		.amdhsa_exception_fp_ieee_div_zero 0
		.amdhsa_exception_fp_ieee_overflow 0
		.amdhsa_exception_fp_ieee_underflow 0
		.amdhsa_exception_fp_ieee_inexact 0
		.amdhsa_exception_int_div_zero 0
	.end_amdhsa_kernel
	.section	.text._ZN7rocprim17ROCPRIM_400000_NS6detail17trampoline_kernelINS0_14default_configENS1_36segmented_radix_sort_config_selectorIalEEZNS1_25segmented_radix_sort_implIS3_Lb1EPKaPaPKlPlN2at6native12_GLOBAL__N_18offset_tEEE10hipError_tPvRmT1_PNSt15iterator_traitsISK_E10value_typeET2_T3_PNSL_ISQ_E10value_typeET4_jRbjT5_SW_jjP12ihipStream_tbEUlT_E_NS1_11comp_targetILNS1_3genE5ELNS1_11target_archE942ELNS1_3gpuE9ELNS1_3repE0EEENS1_30default_config_static_selectorELNS0_4arch9wavefront6targetE1EEEvSK_,"axG",@progbits,_ZN7rocprim17ROCPRIM_400000_NS6detail17trampoline_kernelINS0_14default_configENS1_36segmented_radix_sort_config_selectorIalEEZNS1_25segmented_radix_sort_implIS3_Lb1EPKaPaPKlPlN2at6native12_GLOBAL__N_18offset_tEEE10hipError_tPvRmT1_PNSt15iterator_traitsISK_E10value_typeET2_T3_PNSL_ISQ_E10value_typeET4_jRbjT5_SW_jjP12ihipStream_tbEUlT_E_NS1_11comp_targetILNS1_3genE5ELNS1_11target_archE942ELNS1_3gpuE9ELNS1_3repE0EEENS1_30default_config_static_selectorELNS0_4arch9wavefront6targetE1EEEvSK_,comdat
.Lfunc_end291:
	.size	_ZN7rocprim17ROCPRIM_400000_NS6detail17trampoline_kernelINS0_14default_configENS1_36segmented_radix_sort_config_selectorIalEEZNS1_25segmented_radix_sort_implIS3_Lb1EPKaPaPKlPlN2at6native12_GLOBAL__N_18offset_tEEE10hipError_tPvRmT1_PNSt15iterator_traitsISK_E10value_typeET2_T3_PNSL_ISQ_E10value_typeET4_jRbjT5_SW_jjP12ihipStream_tbEUlT_E_NS1_11comp_targetILNS1_3genE5ELNS1_11target_archE942ELNS1_3gpuE9ELNS1_3repE0EEENS1_30default_config_static_selectorELNS0_4arch9wavefront6targetE1EEEvSK_, .Lfunc_end291-_ZN7rocprim17ROCPRIM_400000_NS6detail17trampoline_kernelINS0_14default_configENS1_36segmented_radix_sort_config_selectorIalEEZNS1_25segmented_radix_sort_implIS3_Lb1EPKaPaPKlPlN2at6native12_GLOBAL__N_18offset_tEEE10hipError_tPvRmT1_PNSt15iterator_traitsISK_E10value_typeET2_T3_PNSL_ISQ_E10value_typeET4_jRbjT5_SW_jjP12ihipStream_tbEUlT_E_NS1_11comp_targetILNS1_3genE5ELNS1_11target_archE942ELNS1_3gpuE9ELNS1_3repE0EEENS1_30default_config_static_selectorELNS0_4arch9wavefront6targetE1EEEvSK_
                                        ; -- End function
	.section	.AMDGPU.csdata,"",@progbits
; Kernel info:
; codeLenInByte = 0
; NumSgprs: 4
; NumVgprs: 0
; NumAgprs: 0
; TotalNumVgprs: 0
; ScratchSize: 0
; MemoryBound: 0
; FloatMode: 240
; IeeeMode: 1
; LDSByteSize: 0 bytes/workgroup (compile time only)
; SGPRBlocks: 0
; VGPRBlocks: 0
; NumSGPRsForWavesPerEU: 4
; NumVGPRsForWavesPerEU: 1
; AccumOffset: 4
; Occupancy: 8
; WaveLimiterHint : 0
; COMPUTE_PGM_RSRC2:SCRATCH_EN: 0
; COMPUTE_PGM_RSRC2:USER_SGPR: 6
; COMPUTE_PGM_RSRC2:TRAP_HANDLER: 0
; COMPUTE_PGM_RSRC2:TGID_X_EN: 1
; COMPUTE_PGM_RSRC2:TGID_Y_EN: 0
; COMPUTE_PGM_RSRC2:TGID_Z_EN: 0
; COMPUTE_PGM_RSRC2:TIDIG_COMP_CNT: 0
; COMPUTE_PGM_RSRC3_GFX90A:ACCUM_OFFSET: 0
; COMPUTE_PGM_RSRC3_GFX90A:TG_SPLIT: 0
	.text
	.p2align	2                               ; -- Begin function _ZN7rocprim17ROCPRIM_400000_NS6detail40segmented_radix_sort_single_block_helperIalLj256ELj8ELb1EE4sortIPKaPaPKlPlEEbT_T0_T1_T2_jjjjRNS3_12storage_typeE
	.type	_ZN7rocprim17ROCPRIM_400000_NS6detail40segmented_radix_sort_single_block_helperIalLj256ELj8ELb1EE4sortIPKaPaPKlPlEEbT_T0_T1_T2_jjjjRNS3_12storage_typeE,@function
_ZN7rocprim17ROCPRIM_400000_NS6detail40segmented_radix_sort_single_block_helperIalLj256ELj8ELb1EE4sortIPKaPaPKlPlEEbT_T0_T1_T2_jjjjRNS3_12storage_typeE: ; @_ZN7rocprim17ROCPRIM_400000_NS6detail40segmented_radix_sort_single_block_helperIalLj256ELj8ELb1EE4sortIPKaPaPKlPlEEbT_T0_T1_T2_jjjjRNS3_12storage_typeE
; %bb.0:
	s_waitcnt vmcnt(0) expcnt(0) lgkmcnt(0)
	s_or_saveexec_b64 s[4:5], -1
	buffer_store_dword v40, off, s[0:3], s32 ; 4-byte Folded Spill
	s_mov_b64 exec, s[4:5]
	v_writelane_b32 v40, s34, 0
	v_writelane_b32 v40, s35, 1
	;; [unrolled: 1-line block ×15, first 2 shown]
	v_sub_u32_e32 v103, v9, v8
	s_movk_i32 s4, 0x801
	v_cmp_gt_u32_e32 vcc, s4, v103
	s_and_saveexec_b64 s[38:39], vcc
	s_cbranch_execz .LBB292_199
; %bb.1:
	s_movk_i32 s4, 0x400
	v_cmp_lt_u32_e32 vcc, s4, v103
	v_bfe_u32 v18, v31, 10, 10
	v_bfe_u32 v19, v31, 20, 10
	v_mbcnt_lo_u32_b32 v14, -1, 0
	s_and_saveexec_b64 s[4:5], vcc
	s_xor_b64 s[40:41], exec, s[4:5]
	s_cbranch_execz .LBB292_79
; %bb.2:
	s_load_dwordx2 s[4:5], s[8:9], 0x0
	v_mov_b32_e32 v9, 0
	v_add_co_u32_e32 v0, vcc, v0, v8
	v_mbcnt_hi_u32_b32 v17, -1, v14
	s_waitcnt lgkmcnt(0)
	s_cmp_lt_u32 s12, s4
	s_cselect_b32 s6, 12, 18
	s_cmp_lt_u32 s13, s5
	s_cselect_b32 s4, 14, 20
	s_add_u32 s4, s8, s4
	s_addc_u32 s5, s9, 0
	s_add_u32 s6, s8, s6
	global_load_ushort v22, v9, s[4:5]
	s_addc_u32 s7, s9, 0
	global_load_ushort v23, v9, s[6:7]
	v_addc_co_u32_e32 v1, vcc, 0, v1, vcc
	v_and_b32_e32 v16, 63, v17
	v_and_b32_e32 v20, 0x3ff, v31
	v_mov_b32_e32 v21, 0x80
	v_add_co_u32_e32 v30, vcc, v0, v16
	v_addc_co_u32_e32 v31, vcc, 0, v1, vcc
	v_mov_b32_e32 v24, 0x80
	v_mov_b32_e32 v25, 0x80
	;; [unrolled: 1-line block ×7, first 2 shown]
	s_waitcnt vmcnt(1)
	v_mad_u32_u24 v0, v19, v22, v18
	s_waitcnt vmcnt(0)
	v_mad_u64_u32 v[0:1], s[4:5], v0, v23, v[20:21]
	v_lshlrev_b32_e32 v1, 3, v0
	v_and_b32_e32 v14, 0xfffffe00, v1
	v_add_co_u32_e32 v18, vcc, v30, v14
	v_addc_co_u32_e32 v19, vcc, 0, v31, vcc
	v_or_b32_e32 v22, v14, v16
	v_cmp_lt_u32_e32 vcc, v22, v103
	v_mov_b32_e32 v1, 0x80
	s_and_saveexec_b64 s[4:5], vcc
	s_cbranch_execz .LBB292_4
; %bb.3:
	flat_load_ubyte v21, v[18:19]
	v_mov_b32_e32 v25, 0x80
	v_mov_b32_e32 v26, 0x80
	;; [unrolled: 1-line block ×7, first 2 shown]
.LBB292_4:
	s_or_b64 exec, exec, s[4:5]
	v_or_b32_e32 v23, 64, v22
	v_cmp_lt_u32_e64 s[4:5], v23, v103
	s_and_saveexec_b64 s[6:7], s[4:5]
	s_cbranch_execz .LBB292_6
; %bb.5:
	flat_load_ubyte v25, v[18:19] offset:64
.LBB292_6:
	s_or_b64 exec, exec, s[6:7]
	v_or_b32_e32 v23, 0x80, v22
	v_cmp_lt_u32_e64 s[6:7], v23, v103
	s_and_saveexec_b64 s[10:11], s[6:7]
	s_cbranch_execz .LBB292_8
; %bb.7:
	flat_load_ubyte v26, v[18:19] offset:128
.LBB292_8:
	;; [unrolled: 8-line block ×7, first 2 shown]
	s_or_b64 exec, exec, s[22:23]
	v_lshlrev_b64 v[22:23], 3, v[8:9]
	v_add_co_u32_e64 v4, s[22:23], v4, v22
	v_addc_co_u32_e64 v5, s[22:23], v5, v23, s[22:23]
	v_lshlrev_b32_e32 v9, 3, v16
	v_add_co_u32_e64 v9, s[22:23], v4, v9
	v_addc_co_u32_e64 v18, s[22:23], 0, v5, s[22:23]
	v_lshlrev_b64 v[4:5], 3, v[14:15]
	v_add_co_u32_e64 v4, s[22:23], v9, v4
	v_addc_co_u32_e64 v5, s[22:23], v18, v5, s[22:23]
                                        ; implicit-def: $vgpr18_vgpr19
	s_and_saveexec_b64 s[22:23], vcc
	s_cbranch_execnz .LBB292_112
; %bb.19:
	s_or_b64 exec, exec, s[22:23]
                                        ; implicit-def: $vgpr70_vgpr71
	s_and_saveexec_b64 s[22:23], s[4:5]
	s_cbranch_execnz .LBB292_113
.LBB292_20:
	s_or_b64 exec, exec, s[22:23]
                                        ; implicit-def: $vgpr80_vgpr81
	s_and_saveexec_b64 s[4:5], s[6:7]
	s_cbranch_execnz .LBB292_114
.LBB292_21:
	s_or_b64 exec, exec, s[4:5]
                                        ; implicit-def: $vgpr82_vgpr83
	s_and_saveexec_b64 s[4:5], s[10:11]
	s_cbranch_execnz .LBB292_115
.LBB292_22:
	s_or_b64 exec, exec, s[4:5]
                                        ; implicit-def: $vgpr84_vgpr85
	s_and_saveexec_b64 s[4:5], s[20:21]
	s_cbranch_execnz .LBB292_116
.LBB292_23:
	s_or_b64 exec, exec, s[4:5]
                                        ; implicit-def: $vgpr100_vgpr101
	s_and_saveexec_b64 s[4:5], s[14:15]
	s_cbranch_execnz .LBB292_117
.LBB292_24:
	s_or_b64 exec, exec, s[4:5]
                                        ; implicit-def: $vgpr118_vgpr119
	s_and_saveexec_b64 s[4:5], s[16:17]
	s_cbranch_execnz .LBB292_118
.LBB292_25:
	s_or_b64 exec, exec, s[4:5]
                                        ; implicit-def: $vgpr146_vgpr147
	s_and_saveexec_b64 s[4:5], s[18:19]
	s_cbranch_execz .LBB292_27
.LBB292_26:
	flat_load_dwordx2 v[146:147], v[4:5] offset:3584
.LBB292_27:
	s_or_b64 exec, exec, s[4:5]
	s_waitcnt vmcnt(0) lgkmcnt(0)
	v_xor_b32_e32 v37, 0x7f, v1
	v_add_co_u32_e32 v1, vcc, 16, v12
	v_addc_co_u32_e32 v9, vcc, 0, v13, vcc
	v_lshlrev_b32_e32 v4, 4, v20
	s_movk_i32 s4, 0x7f
	v_add_co_u32_e32 v4, vcc, v12, v4
	v_xor_b32_sdwa v30, v25, s4 dst_sel:BYTE_1 dst_unused:UNUSED_PAD src0_sel:DWORD src1_sel:DWORD
	v_xor_b32_sdwa v34, v27, s4 dst_sel:BYTE_1 dst_unused:UNUSED_PAD src0_sel:DWORD src1_sel:DWORD
	;; [unrolled: 1-line block ×4, first 2 shown]
	s_getpc_b64 s[4:5]
	s_add_u32 s4, s4, _ZN7rocprim17ROCPRIM_400000_NS16block_radix_sortIaLj256ELj8ElLj1ELj1ELj8ELNS0_26block_radix_rank_algorithmE2ELNS0_18block_padding_hintE2ELNS0_4arch9wavefront6targetE1EE19radix_bits_per_passE@rel32@lo+4
	s_addc_u32 s5, s5, _ZN7rocprim17ROCPRIM_400000_NS16block_radix_sortIaLj256ELj8ElLj1ELj1ELj8ELNS0_26block_radix_rank_algorithmE2ELNS0_18block_padding_hintE2ELNS0_4arch9wavefront6targetE1EE19radix_bits_per_passE@rel32@hi+12
	v_addc_co_u32_e32 v5, vcc, 0, v13, vcc
	v_and_b32_e32 v24, 15, v17
	s_load_dword s46, s[4:5], 0x0
	v_cmp_eq_u32_e32 vcc, 0, v24
	v_cmp_lt_u32_e64 s[4:5], 1, v24
	v_cmp_lt_u32_e64 s[6:7], 3, v24
	;; [unrolled: 1-line block ×3, first 2 shown]
	v_and_b32_e32 v24, 16, v17
	v_cmp_eq_u32_e64 s[30:31], 0, v24
	v_and_b32_e32 v24, 0x3c0, v20
	v_min_u32_e32 v24, 0xc0, v24
	v_or_b32_e32 v24, 63, v24
	v_cmp_eq_u32_e64 s[16:17], v24, v20
	v_add_u32_e32 v24, -1, v17
	v_and_b32_e32 v25, 64, v17
	v_cmp_lt_i32_e64 s[22:23], v24, v25
	v_xor_b32_e32 v35, 0x7f, v28
	v_lshrrev_b32_e32 v28, 6, v20
	v_cndmask_b32_e64 v24, v24, v17, s[22:23]
	v_mov_b32_e32 v14, 0
	v_lshlrev_b32_e32 v113, 2, v24
	v_lshlrev_b32_e32 v24, 2, v28
	v_add_co_u32_e64 v24, s[26:27], v12, v24
	v_add_u32_e32 v28, -1, v28
	v_mov_b32_e32 v29, v14
	v_xor_b32_e32 v31, 0x7f, v26
	v_lshlrev_b32_e32 v26, 2, v20
	v_addc_co_u32_e64 v25, s[26:27], 0, v13, s[26:27]
	v_lshlrev_b64 v[28:29], 2, v[28:29]
	v_add_co_u32_e64 v26, s[26:27], v12, v26
	v_add_co_u32_e64 v32, s[34:35], v12, v28
	v_cmp_lt_u32_e64 s[14:15], 31, v17
	v_cmp_eq_u32_e64 s[22:23], 0, v17
	v_addc_co_u32_e64 v27, s[26:27], 0, v13, s[26:27]
	v_and_b32_e32 v17, 3, v17
	v_addc_co_u32_e64 v33, s[34:35], v13, v29, s[34:35]
	v_cmp_eq_u32_e64 s[26:27], 0, v17
	v_cmp_lt_u32_e64 s[28:29], 1, v17
	v_lshlrev_b32_e32 v17, 3, v20
	s_movk_i32 s34, 0x1e00
	v_and_or_b32 v16, v17, s34, v16
	v_add_co_u32_e64 v54, s[34:35], v12, v16
	v_xor_b32_e32 v15, 0x7f, v21
	v_addc_co_u32_e64 v55, s[34:35], 0, v13, s[34:35]
	v_mad_u64_u32 v[64:65], s[34:35], v16, 7, v[54:55]
	v_or_b32_sdwa v15, v15, v30 dst_sel:DWORD dst_unused:UNUSED_PAD src0_sel:BYTE_0 src1_sel:DWORD
	v_or_b32_sdwa v16, v31, v34 dst_sel:WORD_1 dst_unused:UNUSED_PAD src0_sel:BYTE_0 src1_sel:DWORD
	v_or_b32_sdwa v66, v15, v16 dst_sel:DWORD dst_unused:UNUSED_PAD src0_sel:WORD_0 src1_sel:DWORD
	v_or_b32_sdwa v15, v35, v36 dst_sel:DWORD dst_unused:UNUSED_PAD src0_sel:BYTE_0 src1_sel:DWORD
	v_or_b32_sdwa v16, v37, v38 dst_sel:WORD_1 dst_unused:UNUSED_PAD src0_sel:BYTE_0 src1_sel:DWORD
	v_lshrrev_b32_e32 v21, 6, v0
	v_cmp_gt_u32_e64 s[18:19], 4, v20
	v_cmp_lt_u32_e64 s[20:21], 63, v20
	v_cmp_eq_u32_e64 s[24:25], 0, v20
	v_or_b32_sdwa v67, v15, v16 dst_sel:DWORD dst_unused:UNUSED_PAD src0_sel:WORD_0 src1_sel:DWORD
	v_sub_u32_e32 v115, v11, v10
	s_mov_b64 s[42:43], 0
	s_waitcnt lgkmcnt(0)
	s_barrier
	s_branch .LBB292_29
.LBB292_28:                             ;   in Loop: Header=BB292_29 Depth=1
	s_or_b64 exec, exec, s[36:37]
	s_and_b64 s[34:35], exec, s[44:45]
	s_or_b64 s[42:43], s[34:35], s[42:43]
	s_andn2_b64 exec, exec, s[42:43]
	s_cbranch_execz .LBB292_53
.LBB292_29:                             ; =>This Inner Loop Header: Depth=1
	v_pk_mov_b32 v[52:53], v[18:19], v[18:19] op_sel:[0,1]
	v_min_u32_e32 v18, s46, v115
	v_mov_b32_e32 v15, v14
	v_mov_b32_e32 v16, v14
	;; [unrolled: 1-line block ×3, first 2 shown]
	flat_store_dwordx4 v[4:5], v[14:17] offset:16
	v_pk_mov_b32 v[50:51], v[70:71], v[70:71] op_sel:[0,1]
	v_lshlrev_b32_e64 v15, v18, -1
	v_not_b32_e32 v18, v15
	v_lshrrev_b32_sdwa v15, v10, v66 dst_sel:DWORD dst_unused:UNUSED_PAD src0_sel:DWORD src1_sel:BYTE_0
	v_and_b32_e32 v16, v15, v18
	v_lshlrev_b32_e32 v15, 2, v16
	v_add_lshl_u32 v15, v15, v21, 2
	v_add_co_u32_e64 v70, s[34:35], v1, v15
	v_addc_co_u32_e64 v71, s[34:35], 0, v9, s[34:35]
	v_and_b32_e32 v15, 1, v16
	v_add_co_u32_e64 v17, s[34:35], -1, v15
	v_addc_co_u32_e64 v19, s[34:35], 0, -1, s[34:35]
	v_cmp_ne_u32_e64 s[34:35], 0, v15
	v_xor_b32_e32 v15, s35, v19
	v_and_b32_e32 v19, exec_hi, v15
	v_lshlrev_b32_e32 v15, 30, v16
	v_xor_b32_e32 v17, s34, v17
	v_cmp_gt_i64_e64 s[34:35], 0, v[14:15]
	v_not_b32_e32 v15, v15
	v_ashrrev_i32_e32 v15, 31, v15
	v_and_b32_e32 v17, exec_lo, v17
	v_xor_b32_e32 v68, s35, v15
	v_xor_b32_e32 v15, s34, v15
	v_and_b32_e32 v17, v17, v15
	v_lshlrev_b32_e32 v15, 29, v16
	v_cmp_gt_i64_e64 s[34:35], 0, v[14:15]
	v_not_b32_e32 v15, v15
	v_ashrrev_i32_e32 v15, 31, v15
	v_and_b32_e32 v19, v19, v68
	v_xor_b32_e32 v68, s35, v15
	v_xor_b32_e32 v15, s34, v15
	v_and_b32_e32 v17, v17, v15
	v_lshlrev_b32_e32 v15, 28, v16
	v_cmp_gt_i64_e64 s[34:35], 0, v[14:15]
	v_not_b32_e32 v15, v15
	v_ashrrev_i32_e32 v15, 31, v15
	v_and_b32_e32 v19, v19, v68
	;; [unrolled: 8-line block ×5, first 2 shown]
	v_xor_b32_e32 v68, s35, v15
	v_xor_b32_e32 v15, s34, v15
	v_and_b32_e32 v19, v19, v68
	v_and_b32_e32 v68, v17, v15
	v_lshlrev_b32_e32 v15, 24, v16
	v_cmp_gt_i64_e64 s[34:35], 0, v[14:15]
	v_not_b32_e32 v15, v15
	v_ashrrev_i32_e32 v15, 31, v15
	v_xor_b32_e32 v16, s35, v15
	v_xor_b32_e32 v15, s34, v15
	v_and_b32_e32 v17, v19, v16
	v_and_b32_e32 v16, v68, v15
	v_mbcnt_lo_u32_b32 v15, v16, 0
	v_mbcnt_hi_u32_b32 v102, v17, v15
	v_cmp_eq_u32_e64 s[34:35], 0, v102
	v_cmp_ne_u64_e64 s[36:37], 0, v[16:17]
	v_pk_mov_b32 v[48:49], v[80:81], v[80:81] op_sel:[0,1]
	v_pk_mov_b32 v[38:39], v[82:83], v[82:83] op_sel:[0,1]
	;; [unrolled: 1-line block ×6, first 2 shown]
	s_and_b64 s[36:37], s[36:37], s[34:35]
	s_waitcnt lgkmcnt(0)
	s_barrier
	s_waitcnt lgkmcnt(0)
	; wave barrier
	s_and_saveexec_b64 s[34:35], s[36:37]
	s_cbranch_execz .LBB292_31
; %bb.30:                               ;   in Loop: Header=BB292_29 Depth=1
	v_bcnt_u32_b32 v15, v16, 0
	v_bcnt_u32_b32 v15, v17, v15
	flat_store_dword v[70:71], v15
.LBB292_31:                             ;   in Loop: Header=BB292_29 Depth=1
	s_or_b64 exec, exec, s[34:35]
	v_lshrrev_b32_sdwa v15, v10, v66 dst_sel:DWORD dst_unused:UNUSED_PAD src0_sel:DWORD src1_sel:BYTE_1
	v_and_b32_e32 v16, v15, v18
	v_lshlrev_b32_e32 v15, 2, v16
	v_add_lshl_u32 v15, v15, v21, 2
	v_add_co_u32_e64 v80, s[34:35], v1, v15
	v_addc_co_u32_e64 v81, s[34:35], 0, v9, s[34:35]
	; wave barrier
	flat_load_dword v112, v[80:81]
	v_and_b32_e32 v15, 1, v16
	v_add_co_u32_e64 v17, s[34:35], -1, v15
	v_addc_co_u32_e64 v19, s[34:35], 0, -1, s[34:35]
	v_cmp_ne_u32_e64 s[34:35], 0, v15
	v_xor_b32_e32 v15, s35, v19
	v_and_b32_e32 v19, exec_hi, v15
	v_lshlrev_b32_e32 v15, 30, v16
	v_xor_b32_e32 v17, s34, v17
	v_cmp_gt_i64_e64 s[34:35], 0, v[14:15]
	v_not_b32_e32 v15, v15
	v_pk_mov_b32 v[68:69], v[66:67], v[66:67] op_sel:[0,1]
	v_ashrrev_i32_e32 v15, 31, v15
	v_and_b32_e32 v17, exec_lo, v17
	v_xor_b32_e32 v68, s35, v15
	v_xor_b32_e32 v15, s34, v15
	v_and_b32_e32 v17, v17, v15
	v_lshlrev_b32_e32 v15, 29, v16
	v_cmp_gt_i64_e64 s[34:35], 0, v[14:15]
	v_not_b32_e32 v15, v15
	v_ashrrev_i32_e32 v15, 31, v15
	v_and_b32_e32 v19, v19, v68
	v_xor_b32_e32 v68, s35, v15
	v_xor_b32_e32 v15, s34, v15
	v_and_b32_e32 v17, v17, v15
	v_lshlrev_b32_e32 v15, 28, v16
	v_cmp_gt_i64_e64 s[34:35], 0, v[14:15]
	v_not_b32_e32 v15, v15
	v_ashrrev_i32_e32 v15, 31, v15
	v_and_b32_e32 v19, v19, v68
	;; [unrolled: 8-line block ×5, first 2 shown]
	v_xor_b32_e32 v68, s35, v15
	v_xor_b32_e32 v15, s34, v15
	v_and_b32_e32 v19, v19, v68
	v_and_b32_e32 v68, v17, v15
	v_lshlrev_b32_e32 v15, 24, v16
	v_cmp_gt_i64_e64 s[34:35], 0, v[14:15]
	v_not_b32_e32 v15, v15
	v_ashrrev_i32_e32 v15, 31, v15
	v_xor_b32_e32 v16, s35, v15
	v_xor_b32_e32 v15, s34, v15
	v_and_b32_e32 v17, v19, v16
	v_and_b32_e32 v16, v68, v15
	v_mbcnt_lo_u32_b32 v15, v16, 0
	v_mbcnt_hi_u32_b32 v68, v17, v15
	v_cmp_eq_u32_e64 s[34:35], 0, v68
	v_cmp_ne_u64_e64 s[36:37], 0, v[16:17]
	s_and_b64 s[36:37], s[36:37], s[34:35]
	; wave barrier
	s_and_saveexec_b64 s[34:35], s[36:37]
	s_cbranch_execz .LBB292_33
; %bb.32:                               ;   in Loop: Header=BB292_29 Depth=1
	v_bcnt_u32_b32 v15, v16, 0
	v_bcnt_u32_b32 v15, v17, v15
	s_waitcnt vmcnt(0) lgkmcnt(0)
	v_add_u32_e32 v15, v112, v15
	flat_store_dword v[80:81], v15
.LBB292_33:                             ;   in Loop: Header=BB292_29 Depth=1
	s_or_b64 exec, exec, s[34:35]
	v_lshrrev_b32_sdwa v15, v10, v66 dst_sel:DWORD dst_unused:UNUSED_PAD src0_sel:DWORD src1_sel:BYTE_2
	v_and_b32_e32 v16, v15, v18
	v_lshlrev_b32_e32 v15, 2, v16
	v_add_lshl_u32 v15, v15, v21, 2
	v_add_co_u32_e64 v82, s[34:35], v1, v15
	v_addc_co_u32_e64 v83, s[34:35], 0, v9, s[34:35]
	; wave barrier
	flat_load_dword v116, v[82:83]
	v_and_b32_e32 v15, 1, v16
	v_add_co_u32_e64 v17, s[34:35], -1, v15
	v_addc_co_u32_e64 v19, s[34:35], 0, -1, s[34:35]
	v_cmp_ne_u32_e64 s[34:35], 0, v15
	v_xor_b32_e32 v15, s35, v19
	v_and_b32_e32 v19, exec_hi, v15
	v_lshlrev_b32_e32 v15, 30, v16
	v_xor_b32_e32 v17, s34, v17
	v_cmp_gt_i64_e64 s[34:35], 0, v[14:15]
	v_not_b32_e32 v15, v15
	v_ashrrev_i32_e32 v15, 31, v15
	v_and_b32_e32 v17, exec_lo, v17
	v_xor_b32_e32 v84, s35, v15
	v_xor_b32_e32 v15, s34, v15
	v_and_b32_e32 v17, v17, v15
	v_lshlrev_b32_e32 v15, 29, v16
	v_cmp_gt_i64_e64 s[34:35], 0, v[14:15]
	v_not_b32_e32 v15, v15
	v_ashrrev_i32_e32 v15, 31, v15
	v_and_b32_e32 v19, v19, v84
	v_xor_b32_e32 v84, s35, v15
	v_xor_b32_e32 v15, s34, v15
	v_and_b32_e32 v17, v17, v15
	v_lshlrev_b32_e32 v15, 28, v16
	v_cmp_gt_i64_e64 s[34:35], 0, v[14:15]
	v_not_b32_e32 v15, v15
	v_ashrrev_i32_e32 v15, 31, v15
	v_and_b32_e32 v19, v19, v84
	;; [unrolled: 8-line block ×5, first 2 shown]
	v_xor_b32_e32 v84, s35, v15
	v_xor_b32_e32 v15, s34, v15
	v_and_b32_e32 v19, v19, v84
	v_and_b32_e32 v84, v17, v15
	v_lshlrev_b32_e32 v15, 24, v16
	v_cmp_gt_i64_e64 s[34:35], 0, v[14:15]
	v_not_b32_e32 v15, v15
	v_ashrrev_i32_e32 v15, 31, v15
	v_xor_b32_e32 v16, s35, v15
	v_xor_b32_e32 v15, s34, v15
	v_and_b32_e32 v17, v19, v16
	v_and_b32_e32 v16, v84, v15
	v_mbcnt_lo_u32_b32 v15, v16, 0
	v_mbcnt_hi_u32_b32 v117, v17, v15
	v_cmp_eq_u32_e64 s[34:35], 0, v117
	v_cmp_ne_u64_e64 s[36:37], 0, v[16:17]
	s_and_b64 s[36:37], s[36:37], s[34:35]
	; wave barrier
	s_and_saveexec_b64 s[34:35], s[36:37]
	s_cbranch_execz .LBB292_35
; %bb.34:                               ;   in Loop: Header=BB292_29 Depth=1
	v_bcnt_u32_b32 v15, v16, 0
	v_bcnt_u32_b32 v15, v17, v15
	s_waitcnt vmcnt(0) lgkmcnt(0)
	v_add_u32_e32 v15, v116, v15
	flat_store_dword v[82:83], v15
.LBB292_35:                             ;   in Loop: Header=BB292_29 Depth=1
	s_or_b64 exec, exec, s[34:35]
	v_alignbit_b32 v15, v67, v66, 24
	v_lshrrev_b32_sdwa v15, v10, v15 dst_sel:DWORD dst_unused:UNUSED_PAD src0_sel:DWORD src1_sel:BYTE_0
	v_and_b32_e32 v16, v15, v18
	v_lshlrev_b32_e32 v15, 2, v16
	v_add_lshl_u32 v15, v15, v21, 2
	v_add_co_u32_e64 v84, s[34:35], v1, v15
	v_addc_co_u32_e64 v85, s[34:35], 0, v9, s[34:35]
	; wave barrier
	flat_load_dword v118, v[84:85]
	v_and_b32_e32 v15, 1, v16
	v_add_co_u32_e64 v17, s[34:35], -1, v15
	v_addc_co_u32_e64 v19, s[34:35], 0, -1, s[34:35]
	v_cmp_ne_u32_e64 s[34:35], 0, v15
	v_xor_b32_e32 v15, s35, v19
	v_and_b32_e32 v19, exec_hi, v15
	v_lshlrev_b32_e32 v15, 30, v16
	v_xor_b32_e32 v17, s34, v17
	v_cmp_gt_i64_e64 s[34:35], 0, v[14:15]
	v_not_b32_e32 v15, v15
	v_ashrrev_i32_e32 v15, 31, v15
	v_and_b32_e32 v17, exec_lo, v17
	v_xor_b32_e32 v86, s35, v15
	v_xor_b32_e32 v15, s34, v15
	v_and_b32_e32 v17, v17, v15
	v_lshlrev_b32_e32 v15, 29, v16
	v_cmp_gt_i64_e64 s[34:35], 0, v[14:15]
	v_not_b32_e32 v15, v15
	v_ashrrev_i32_e32 v15, 31, v15
	v_and_b32_e32 v19, v19, v86
	v_xor_b32_e32 v86, s35, v15
	v_xor_b32_e32 v15, s34, v15
	v_and_b32_e32 v17, v17, v15
	v_lshlrev_b32_e32 v15, 28, v16
	v_cmp_gt_i64_e64 s[34:35], 0, v[14:15]
	v_not_b32_e32 v15, v15
	v_ashrrev_i32_e32 v15, 31, v15
	v_and_b32_e32 v19, v19, v86
	;; [unrolled: 8-line block ×5, first 2 shown]
	v_xor_b32_e32 v86, s35, v15
	v_xor_b32_e32 v15, s34, v15
	v_and_b32_e32 v19, v19, v86
	v_and_b32_e32 v86, v17, v15
	v_lshlrev_b32_e32 v15, 24, v16
	v_cmp_gt_i64_e64 s[34:35], 0, v[14:15]
	v_not_b32_e32 v15, v15
	v_ashrrev_i32_e32 v15, 31, v15
	v_xor_b32_e32 v16, s35, v15
	v_xor_b32_e32 v15, s34, v15
	v_and_b32_e32 v17, v19, v16
	v_and_b32_e32 v16, v86, v15
	v_mbcnt_lo_u32_b32 v15, v16, 0
	v_mbcnt_hi_u32_b32 v119, v17, v15
	v_cmp_eq_u32_e64 s[34:35], 0, v119
	v_cmp_ne_u64_e64 s[36:37], 0, v[16:17]
	s_and_b64 s[36:37], s[36:37], s[34:35]
	; wave barrier
	s_and_saveexec_b64 s[34:35], s[36:37]
	s_cbranch_execz .LBB292_37
; %bb.36:                               ;   in Loop: Header=BB292_29 Depth=1
	v_bcnt_u32_b32 v15, v16, 0
	v_bcnt_u32_b32 v15, v17, v15
	s_waitcnt vmcnt(0) lgkmcnt(0)
	v_add_u32_e32 v15, v118, v15
	flat_store_dword v[84:85], v15
.LBB292_37:                             ;   in Loop: Header=BB292_29 Depth=1
	s_or_b64 exec, exec, s[34:35]
	v_lshrrev_b32_sdwa v15, v10, v67 dst_sel:DWORD dst_unused:UNUSED_PAD src0_sel:DWORD src1_sel:BYTE_0
	v_and_b32_e32 v16, v15, v18
	v_lshlrev_b32_e32 v15, 2, v16
	v_add_lshl_u32 v15, v15, v21, 2
	v_add_co_u32_e64 v86, s[34:35], v1, v15
	v_addc_co_u32_e64 v87, s[34:35], 0, v9, s[34:35]
	; wave barrier
	flat_load_dword v128, v[86:87]
	v_and_b32_e32 v15, 1, v16
	v_add_co_u32_e64 v17, s[34:35], -1, v15
	v_addc_co_u32_e64 v19, s[34:35], 0, -1, s[34:35]
	v_cmp_ne_u32_e64 s[34:35], 0, v15
	v_xor_b32_e32 v15, s35, v19
	v_and_b32_e32 v19, exec_hi, v15
	v_lshlrev_b32_e32 v15, 30, v16
	v_xor_b32_e32 v17, s34, v17
	v_cmp_gt_i64_e64 s[34:35], 0, v[14:15]
	v_not_b32_e32 v15, v15
	v_ashrrev_i32_e32 v15, 31, v15
	v_and_b32_e32 v17, exec_lo, v17
	v_xor_b32_e32 v96, s35, v15
	v_xor_b32_e32 v15, s34, v15
	v_and_b32_e32 v17, v17, v15
	v_lshlrev_b32_e32 v15, 29, v16
	v_cmp_gt_i64_e64 s[34:35], 0, v[14:15]
	v_not_b32_e32 v15, v15
	v_ashrrev_i32_e32 v15, 31, v15
	v_and_b32_e32 v19, v19, v96
	v_xor_b32_e32 v96, s35, v15
	v_xor_b32_e32 v15, s34, v15
	v_and_b32_e32 v17, v17, v15
	v_lshlrev_b32_e32 v15, 28, v16
	v_cmp_gt_i64_e64 s[34:35], 0, v[14:15]
	v_not_b32_e32 v15, v15
	v_ashrrev_i32_e32 v15, 31, v15
	v_and_b32_e32 v19, v19, v96
	;; [unrolled: 8-line block ×5, first 2 shown]
	v_xor_b32_e32 v96, s35, v15
	v_xor_b32_e32 v15, s34, v15
	v_and_b32_e32 v19, v19, v96
	v_and_b32_e32 v96, v17, v15
	v_lshlrev_b32_e32 v15, 24, v16
	v_cmp_gt_i64_e64 s[34:35], 0, v[14:15]
	v_not_b32_e32 v15, v15
	v_ashrrev_i32_e32 v15, 31, v15
	v_xor_b32_e32 v16, s35, v15
	v_xor_b32_e32 v15, s34, v15
	v_and_b32_e32 v17, v19, v16
	v_and_b32_e32 v16, v96, v15
	v_mbcnt_lo_u32_b32 v15, v16, 0
	v_mbcnt_hi_u32_b32 v129, v17, v15
	v_cmp_eq_u32_e64 s[34:35], 0, v129
	v_cmp_ne_u64_e64 s[36:37], 0, v[16:17]
	s_and_b64 s[36:37], s[36:37], s[34:35]
	; wave barrier
	s_and_saveexec_b64 s[34:35], s[36:37]
	s_cbranch_execz .LBB292_39
; %bb.38:                               ;   in Loop: Header=BB292_29 Depth=1
	v_bcnt_u32_b32 v15, v16, 0
	v_bcnt_u32_b32 v15, v17, v15
	s_waitcnt vmcnt(0) lgkmcnt(0)
	v_add_u32_e32 v15, v128, v15
	flat_store_dword v[86:87], v15
.LBB292_39:                             ;   in Loop: Header=BB292_29 Depth=1
	s_or_b64 exec, exec, s[34:35]
	v_lshrrev_b32_sdwa v15, v10, v67 dst_sel:DWORD dst_unused:UNUSED_PAD src0_sel:DWORD src1_sel:BYTE_1
	v_and_b32_e32 v16, v15, v18
	v_lshlrev_b32_e32 v15, 2, v16
	v_add_lshl_u32 v15, v15, v21, 2
	v_add_co_u32_e64 v96, s[34:35], v1, v15
	v_addc_co_u32_e64 v97, s[34:35], 0, v9, s[34:35]
	; wave barrier
	flat_load_dword v130, v[96:97]
	v_and_b32_e32 v15, 1, v16
	v_add_co_u32_e64 v17, s[34:35], -1, v15
	v_addc_co_u32_e64 v19, s[34:35], 0, -1, s[34:35]
	v_cmp_ne_u32_e64 s[34:35], 0, v15
	v_xor_b32_e32 v15, s35, v19
	v_and_b32_e32 v19, exec_hi, v15
	v_lshlrev_b32_e32 v15, 30, v16
	v_xor_b32_e32 v17, s34, v17
	v_cmp_gt_i64_e64 s[34:35], 0, v[14:15]
	v_not_b32_e32 v15, v15
	v_ashrrev_i32_e32 v15, 31, v15
	v_and_b32_e32 v17, exec_lo, v17
	v_xor_b32_e32 v98, s35, v15
	v_xor_b32_e32 v15, s34, v15
	v_and_b32_e32 v17, v17, v15
	v_lshlrev_b32_e32 v15, 29, v16
	v_cmp_gt_i64_e64 s[34:35], 0, v[14:15]
	v_not_b32_e32 v15, v15
	v_ashrrev_i32_e32 v15, 31, v15
	v_and_b32_e32 v19, v19, v98
	v_xor_b32_e32 v98, s35, v15
	v_xor_b32_e32 v15, s34, v15
	v_and_b32_e32 v17, v17, v15
	v_lshlrev_b32_e32 v15, 28, v16
	v_cmp_gt_i64_e64 s[34:35], 0, v[14:15]
	v_not_b32_e32 v15, v15
	v_ashrrev_i32_e32 v15, 31, v15
	v_and_b32_e32 v19, v19, v98
	;; [unrolled: 8-line block ×5, first 2 shown]
	v_xor_b32_e32 v98, s35, v15
	v_xor_b32_e32 v15, s34, v15
	v_and_b32_e32 v19, v19, v98
	v_and_b32_e32 v98, v17, v15
	v_lshlrev_b32_e32 v15, 24, v16
	v_cmp_gt_i64_e64 s[34:35], 0, v[14:15]
	v_not_b32_e32 v15, v15
	v_ashrrev_i32_e32 v15, 31, v15
	v_xor_b32_e32 v16, s35, v15
	v_xor_b32_e32 v15, s34, v15
	v_and_b32_e32 v17, v19, v16
	v_and_b32_e32 v16, v98, v15
	v_mbcnt_lo_u32_b32 v15, v16, 0
	v_mbcnt_hi_u32_b32 v131, v17, v15
	v_cmp_eq_u32_e64 s[34:35], 0, v131
	v_cmp_ne_u64_e64 s[36:37], 0, v[16:17]
	s_and_b64 s[36:37], s[36:37], s[34:35]
	; wave barrier
	s_and_saveexec_b64 s[34:35], s[36:37]
	s_cbranch_execz .LBB292_41
; %bb.40:                               ;   in Loop: Header=BB292_29 Depth=1
	v_bcnt_u32_b32 v15, v16, 0
	v_bcnt_u32_b32 v15, v17, v15
	s_waitcnt vmcnt(0) lgkmcnt(0)
	v_add_u32_e32 v15, v130, v15
	flat_store_dword v[96:97], v15
.LBB292_41:                             ;   in Loop: Header=BB292_29 Depth=1
	s_or_b64 exec, exec, s[34:35]
	v_lshrrev_b32_sdwa v15, v10, v67 dst_sel:DWORD dst_unused:UNUSED_PAD src0_sel:DWORD src1_sel:BYTE_2
	v_and_b32_e32 v16, v15, v18
	v_lshlrev_b32_e32 v15, 2, v16
	v_add_lshl_u32 v15, v15, v21, 2
	v_add_co_u32_e64 v98, s[34:35], v1, v15
	v_addc_co_u32_e64 v99, s[34:35], 0, v9, s[34:35]
	; wave barrier
	flat_load_dword v134, v[98:99]
	v_and_b32_e32 v15, 1, v16
	v_add_co_u32_e64 v17, s[34:35], -1, v15
	v_addc_co_u32_e64 v19, s[34:35], 0, -1, s[34:35]
	v_cmp_ne_u32_e64 s[34:35], 0, v15
	v_xor_b32_e32 v15, s35, v19
	v_and_b32_e32 v19, exec_hi, v15
	v_lshlrev_b32_e32 v15, 30, v16
	v_xor_b32_e32 v17, s34, v17
	v_cmp_gt_i64_e64 s[34:35], 0, v[14:15]
	v_not_b32_e32 v15, v15
	v_ashrrev_i32_e32 v15, 31, v15
	v_and_b32_e32 v17, exec_lo, v17
	v_xor_b32_e32 v100, s35, v15
	v_xor_b32_e32 v15, s34, v15
	v_and_b32_e32 v17, v17, v15
	v_lshlrev_b32_e32 v15, 29, v16
	v_cmp_gt_i64_e64 s[34:35], 0, v[14:15]
	v_not_b32_e32 v15, v15
	v_ashrrev_i32_e32 v15, 31, v15
	v_and_b32_e32 v19, v19, v100
	v_xor_b32_e32 v100, s35, v15
	v_xor_b32_e32 v15, s34, v15
	v_and_b32_e32 v17, v17, v15
	v_lshlrev_b32_e32 v15, 28, v16
	v_cmp_gt_i64_e64 s[34:35], 0, v[14:15]
	v_not_b32_e32 v15, v15
	v_ashrrev_i32_e32 v15, 31, v15
	v_and_b32_e32 v19, v19, v100
	;; [unrolled: 8-line block ×5, first 2 shown]
	v_xor_b32_e32 v100, s35, v15
	v_xor_b32_e32 v15, s34, v15
	v_and_b32_e32 v19, v19, v100
	v_and_b32_e32 v100, v17, v15
	v_lshlrev_b32_e32 v15, 24, v16
	v_cmp_gt_i64_e64 s[34:35], 0, v[14:15]
	v_not_b32_e32 v15, v15
	v_ashrrev_i32_e32 v15, 31, v15
	v_xor_b32_e32 v16, s35, v15
	v_xor_b32_e32 v15, s34, v15
	v_and_b32_e32 v17, v19, v16
	v_and_b32_e32 v16, v100, v15
	v_mbcnt_lo_u32_b32 v15, v16, 0
	v_mbcnt_hi_u32_b32 v135, v17, v15
	v_cmp_eq_u32_e64 s[34:35], 0, v135
	v_cmp_ne_u64_e64 s[36:37], 0, v[16:17]
	s_and_b64 s[36:37], s[36:37], s[34:35]
	; wave barrier
	s_and_saveexec_b64 s[34:35], s[36:37]
	s_cbranch_execz .LBB292_43
; %bb.42:                               ;   in Loop: Header=BB292_29 Depth=1
	v_bcnt_u32_b32 v15, v16, 0
	v_bcnt_u32_b32 v15, v17, v15
	s_waitcnt vmcnt(0) lgkmcnt(0)
	v_add_u32_e32 v15, v134, v15
	flat_store_dword v[98:99], v15
.LBB292_43:                             ;   in Loop: Header=BB292_29 Depth=1
	s_or_b64 exec, exec, s[34:35]
	v_lshrrev_b32_e32 v162, 24, v67
	v_lshrrev_b32_e32 v15, v10, v162
	v_and_b32_e32 v16, v15, v18
	v_lshlrev_b32_e32 v15, 2, v16
	v_add_lshl_u32 v15, v15, v21, 2
	v_add_co_u32_e64 v100, s[34:35], v1, v15
	v_addc_co_u32_e64 v101, s[34:35], 0, v9, s[34:35]
	; wave barrier
	flat_load_dword v144, v[100:101]
	v_and_b32_e32 v15, 1, v16
	v_add_co_u32_e64 v17, s[34:35], -1, v15
	v_addc_co_u32_e64 v18, s[34:35], 0, -1, s[34:35]
	v_cmp_ne_u32_e64 s[34:35], 0, v15
	v_xor_b32_e32 v15, s35, v18
	v_and_b32_e32 v18, exec_hi, v15
	v_lshlrev_b32_e32 v15, 30, v16
	v_xor_b32_e32 v17, s34, v17
	v_cmp_gt_i64_e64 s[34:35], 0, v[14:15]
	v_not_b32_e32 v15, v15
	v_ashrrev_i32_e32 v15, 31, v15
	v_and_b32_e32 v17, exec_lo, v17
	v_xor_b32_e32 v19, s35, v15
	v_xor_b32_e32 v15, s34, v15
	v_and_b32_e32 v17, v17, v15
	v_lshlrev_b32_e32 v15, 29, v16
	v_cmp_gt_i64_e64 s[34:35], 0, v[14:15]
	v_not_b32_e32 v15, v15
	v_ashrrev_i32_e32 v15, 31, v15
	v_and_b32_e32 v18, v18, v19
	v_xor_b32_e32 v19, s35, v15
	v_xor_b32_e32 v15, s34, v15
	v_and_b32_e32 v17, v17, v15
	v_lshlrev_b32_e32 v15, 28, v16
	v_cmp_gt_i64_e64 s[34:35], 0, v[14:15]
	v_not_b32_e32 v15, v15
	v_ashrrev_i32_e32 v15, 31, v15
	v_and_b32_e32 v18, v18, v19
	;; [unrolled: 8-line block ×5, first 2 shown]
	v_xor_b32_e32 v19, s35, v15
	v_xor_b32_e32 v15, s34, v15
	v_and_b32_e32 v18, v18, v19
	v_and_b32_e32 v19, v17, v15
	v_lshlrev_b32_e32 v15, 24, v16
	v_cmp_gt_i64_e64 s[34:35], 0, v[14:15]
	v_not_b32_e32 v15, v15
	v_ashrrev_i32_e32 v15, 31, v15
	v_xor_b32_e32 v16, s35, v15
	v_xor_b32_e32 v15, s34, v15
	v_and_b32_e32 v17, v18, v16
	v_and_b32_e32 v16, v19, v15
	v_mbcnt_lo_u32_b32 v15, v16, 0
	v_mbcnt_hi_u32_b32 v145, v17, v15
	v_cmp_eq_u32_e64 s[34:35], 0, v145
	v_cmp_ne_u64_e64 s[36:37], 0, v[16:17]
	s_and_b64 s[36:37], s[36:37], s[34:35]
	; wave barrier
	s_and_saveexec_b64 s[34:35], s[36:37]
	s_cbranch_execz .LBB292_45
; %bb.44:                               ;   in Loop: Header=BB292_29 Depth=1
	v_bcnt_u32_b32 v15, v16, 0
	v_bcnt_u32_b32 v15, v17, v15
	s_waitcnt vmcnt(0) lgkmcnt(0)
	v_add_u32_e32 v15, v144, v15
	flat_store_dword v[100:101], v15
.LBB292_45:                             ;   in Loop: Header=BB292_29 Depth=1
	s_or_b64 exec, exec, s[34:35]
	; wave barrier
	s_waitcnt lgkmcnt(0)
	s_barrier
	flat_load_dwordx4 v[16:19], v[4:5] offset:16
	s_waitcnt vmcnt(0) lgkmcnt(0)
	v_add_u32_e32 v15, v17, v16
	v_add3_u32 v15, v15, v18, v19
	s_nop 1
	v_mov_b32_dpp v19, v15 row_shr:1 row_mask:0xf bank_mask:0xf
	v_cndmask_b32_e64 v19, v19, 0, vcc
	v_add_u32_e32 v15, v19, v15
	s_nop 1
	v_mov_b32_dpp v19, v15 row_shr:2 row_mask:0xf bank_mask:0xf
	v_cndmask_b32_e64 v19, 0, v19, s[4:5]
	v_add_u32_e32 v15, v15, v19
	s_nop 1
	v_mov_b32_dpp v19, v15 row_shr:4 row_mask:0xf bank_mask:0xf
	v_cndmask_b32_e64 v19, 0, v19, s[6:7]
	;; [unrolled: 4-line block ×3, first 2 shown]
	v_add_u32_e32 v15, v15, v19
	s_nop 1
	v_mov_b32_dpp v19, v15 row_bcast:15 row_mask:0xf bank_mask:0xf
	v_cndmask_b32_e64 v19, v19, 0, s[30:31]
	v_add_u32_e32 v15, v15, v19
	s_nop 1
	v_mov_b32_dpp v19, v15 row_bcast:31 row_mask:0xf bank_mask:0xf
	v_cndmask_b32_e64 v19, 0, v19, s[14:15]
	v_add_u32_e32 v15, v15, v19
	s_and_saveexec_b64 s[34:35], s[16:17]
	s_cbranch_execz .LBB292_47
; %bb.46:                               ;   in Loop: Header=BB292_29 Depth=1
	flat_store_dword v[24:25], v15
.LBB292_47:                             ;   in Loop: Header=BB292_29 Depth=1
	s_or_b64 exec, exec, s[34:35]
	s_waitcnt lgkmcnt(0)
	s_barrier
	s_and_saveexec_b64 s[34:35], s[18:19]
	s_cbranch_execz .LBB292_49
; %bb.48:                               ;   in Loop: Header=BB292_29 Depth=1
	flat_load_dword v19, v[26:27]
	s_waitcnt vmcnt(0) lgkmcnt(0)
	s_nop 0
	v_mov_b32_dpp v114, v19 row_shr:1 row_mask:0xf bank_mask:0xf
	v_cndmask_b32_e64 v114, v114, 0, s[26:27]
	v_add_u32_e32 v19, v114, v19
	s_nop 1
	v_mov_b32_dpp v114, v19 row_shr:2 row_mask:0xf bank_mask:0xf
	v_cndmask_b32_e64 v114, 0, v114, s[28:29]
	v_add_u32_e32 v19, v19, v114
	flat_store_dword v[26:27], v19
.LBB292_49:                             ;   in Loop: Header=BB292_29 Depth=1
	s_or_b64 exec, exec, s[34:35]
	v_mov_b32_e32 v19, 0
	s_waitcnt lgkmcnt(0)
	s_barrier
	s_and_saveexec_b64 s[34:35], s[20:21]
	s_cbranch_execz .LBB292_51
; %bb.50:                               ;   in Loop: Header=BB292_29 Depth=1
	flat_load_dword v19, v[32:33]
.LBB292_51:                             ;   in Loop: Header=BB292_29 Depth=1
	s_or_b64 exec, exec, s[34:35]
	s_waitcnt vmcnt(0) lgkmcnt(0)
	v_add_u32_e32 v15, v19, v15
	ds_bpermute_b32 v15, v113, v15
	v_add_u32_e32 v10, 8, v10
	v_lshrrev_b64 v[132:133], 24, v[66:67]
	v_cmp_lt_u32_e64 s[34:35], v10, v11
	s_mov_b64 s[44:45], -1
	s_waitcnt lgkmcnt(0)
	v_cndmask_b32_e64 v15, v15, v19, s[22:23]
	v_cndmask_b32_e64 v146, v15, 0, s[24:25]
	v_add_u32_e32 v147, v146, v16
	v_add_u32_e32 v148, v147, v17
	v_add_u32_e32 v149, v148, v18
	flat_store_dwordx4 v[4:5], v[146:149] offset:16
	s_waitcnt lgkmcnt(0)
	s_barrier
	flat_load_dword v16, v[70:71]
	flat_load_dword v18, v[80:81]
	;; [unrolled: 1-line block ×8, first 2 shown]
	v_mov_b32_e32 v87, v66
	v_lshrrev_b32_e32 v97, 8, v66
	v_lshrrev_b32_e32 v99, 16, v66
	;; [unrolled: 1-line block ×4, first 2 shown]
	s_waitcnt lgkmcnt(0)
                                        ; implicit-def: $vgpr70_vgpr71
                                        ; implicit-def: $vgpr80_vgpr81
                                        ; implicit-def: $vgpr82_vgpr83
                                        ; implicit-def: $vgpr84_vgpr85
                                        ; implicit-def: $vgpr100_vgpr101
	s_waitcnt vmcnt(0) lgkmcnt(0)
	v_add_u32_e32 v114, v16, v102
	v_add3_u32 v112, v68, v112, v18
	v_add3_u32 v102, v117, v116, v19
	v_add_co_u32_e64 v116, s[36:37], v12, v114
	v_addc_co_u32_e64 v117, s[36:37], 0, v13, s[36:37]
	v_add3_u32 v96, v129, v128, v147
	v_add_co_u32_e64 v128, s[36:37], v12, v112
	v_addc_co_u32_e64 v129, s[36:37], 0, v13, s[36:37]
	v_add3_u32 v86, v131, v130, v148
	v_add_co_u32_e64 v130, s[36:37], v12, v102
	v_add3_u32 v98, v119, v118, v146
	v_addc_co_u32_e64 v131, s[36:37], 0, v13, s[36:37]
	v_add3_u32 v68, v135, v134, v149
	v_add_co_u32_e64 v134, s[36:37], v12, v98
	v_addc_co_u32_e64 v135, s[36:37], 0, v13, s[36:37]
	v_add3_u32 v16, v145, v144, v150
	v_add_co_u32_e64 v144, s[36:37], v12, v96
	v_addc_co_u32_e64 v145, s[36:37], 0, v13, s[36:37]
	v_add_co_u32_e64 v148, s[36:37], v12, v86
	v_addc_co_u32_e64 v149, s[36:37], 0, v13, s[36:37]
	;; [unrolled: 2-line block ×4, first 2 shown]
                                        ; implicit-def: $vgpr18_vgpr19
                                        ; implicit-def: $vgpr118_vgpr119
                                        ; implicit-def: $vgpr146_vgpr147
	s_and_saveexec_b64 s[36:37], s[34:35]
	s_cbranch_execz .LBB292_28
; %bb.52:                               ;   in Loop: Header=BB292_29 Depth=1
	v_mad_u64_u32 v[18:19], s[34:35], v114, 7, v[116:117]
	s_barrier
	flat_store_byte v[116:117], v66
	flat_store_byte v[128:129], v97
	flat_store_byte v[130:131], v99
	flat_store_byte v[134:135], v132
	flat_store_byte v[144:145], v69
	flat_store_byte v[148:149], v15
	flat_store_byte v[150:151], v17
	flat_store_byte v[160:161], v162
	s_waitcnt lgkmcnt(0)
	s_barrier
	flat_load_ubyte v66, v[54:55]
	flat_load_ubyte v67, v[54:55] offset:64
	flat_load_ubyte v133, v[54:55] offset:128
	;; [unrolled: 1-line block ×7, first 2 shown]
	s_waitcnt lgkmcnt(0)
	s_barrier
	flat_store_dwordx2 v[18:19], v[52:53]
	v_mad_u64_u32 v[18:19], s[34:35], v112, 7, v[128:129]
	flat_store_dwordx2 v[18:19], v[50:51]
	v_mad_u64_u32 v[18:19], s[34:35], v102, 7, v[130:131]
	;; [unrolled: 2-line block ×7, first 2 shown]
	flat_store_dwordx2 v[18:19], v[28:29]
	s_waitcnt lgkmcnt(0)
	s_barrier
	flat_load_dwordx2 v[18:19], v[64:65]
	flat_load_dwordx2 v[70:71], v[64:65] offset:512
	flat_load_dwordx2 v[80:81], v[64:65] offset:1024
	;; [unrolled: 1-line block ×7, first 2 shown]
	v_add_u32_e32 v115, -8, v115
	s_xor_b64 s[44:45], exec, -1
	s_waitcnt lgkmcnt(0)
	s_barrier
	s_waitcnt vmcnt(0)
	v_lshlrev_b16_e32 v67, 8, v67
	v_or_b32_e32 v66, v66, v67
	v_lshlrev_b16_e32 v163, 8, v163
	v_or_b32_sdwa v67, v133, v163 dst_sel:WORD_1 dst_unused:UNUSED_PAD src0_sel:DWORD src1_sel:DWORD
	v_lshlrev_b16_e32 v165, 8, v165
	v_or_b32_e32 v133, v164, v165
	v_lshlrev_b16_e32 v167, 8, v167
	v_or_b32_sdwa v163, v166, v167 dst_sel:WORD_1 dst_unused:UNUSED_PAD src0_sel:DWORD src1_sel:DWORD
	v_or_b32_sdwa v66, v66, v67 dst_sel:DWORD dst_unused:UNUSED_PAD src0_sel:WORD_0 src1_sel:DWORD
	v_or_b32_sdwa v67, v133, v163 dst_sel:DWORD dst_unused:UNUSED_PAD src0_sel:WORD_0 src1_sel:DWORD
	s_branch .LBB292_28
.LBB292_53:
	s_or_b64 exec, exec, s[42:43]
	v_add_co_u32_e32 v4, vcc, v12, v20
	v_addc_co_u32_e32 v5, vcc, 0, v13, vcc
	v_mad_u64_u32 v[10:11], s[4:5], v114, 7, v[116:117]
	s_barrier
	flat_store_byte v[116:117], v87
	flat_store_byte v[128:129], v97
	;; [unrolled: 1-line block ×8, first 2 shown]
	s_waitcnt lgkmcnt(0)
	s_barrier
	flat_load_ubyte v65, v[4:5]
	flat_load_ubyte v64, v[4:5] offset:256
	flat_load_ubyte v55, v[4:5] offset:512
	;; [unrolled: 1-line block ×7, first 2 shown]
	s_waitcnt lgkmcnt(0)
	s_barrier
	flat_store_dwordx2 v[10:11], v[52:53]
	v_mad_u64_u32 v[10:11], s[4:5], v112, 7, v[128:129]
	flat_store_dwordx2 v[10:11], v[50:51]
	v_mad_u64_u32 v[10:11], s[4:5], v102, 7, v[130:131]
	;; [unrolled: 2-line block ×7, first 2 shown]
	v_mad_u64_u32 v[4:5], s[4:5], v20, 7, v[4:5]
	s_movk_i32 s4, 0x1000
	flat_store_dwordx2 v[10:11], v[28:29]
	v_add_co_u32_e32 v10, vcc, s4, v4
	v_mov_b32_e32 v1, 0x2000
	v_addc_co_u32_e32 v11, vcc, 0, v5, vcc
	v_lshl_or_b32 v1, v20, 3, v1
	v_add_co_u32_e32 v28, vcc, v12, v1
	s_movk_i32 s4, 0x2000
	v_addc_co_u32_e32 v29, vcc, 0, v13, vcc
	v_add_co_u32_e32 v30, vcc, s4, v4
	v_addc_co_u32_e32 v31, vcc, 0, v5, vcc
	s_movk_i32 s4, 0x3000
	v_add_co_u32_e32 v34, vcc, s4, v4
	s_waitcnt lgkmcnt(0)
	s_barrier
	flat_load_dwordx2 v[26:27], v[4:5]
	flat_load_dwordx2 v[24:25], v[4:5] offset:2048
	flat_load_dwordx2 v[18:19], v[10:11]
	flat_load_dwordx2 v[14:15], v[10:11] offset:2048
	v_addc_co_u32_e32 v35, vcc, 0, v5, vcc
	flat_load_dwordx2 v[16:17], v[28:29]
	flat_load_dwordx2 v[12:13], v[30:31] offset:2048
	flat_load_dwordx2 v[10:11], v[34:35]
	flat_load_dwordx2 v[4:5], v[34:35] offset:2048
	v_add_co_u32_e32 v2, vcc, v2, v8
	v_addc_co_u32_e32 v3, vcc, 0, v3, vcc
	v_add_co_u32_e32 v2, vcc, v2, v0
	v_addc_co_u32_e32 v3, vcc, 0, v3, vcc
	v_mov_b32_e32 v1, 0
	v_cmp_lt_u32_e32 vcc, v0, v103
	s_waitcnt lgkmcnt(0)
	s_barrier
	s_and_saveexec_b64 s[4:5], vcc
	s_cbranch_execz .LBB292_55
; %bb.54:
	s_waitcnt vmcnt(0)
	v_xor_b32_e32 v8, 0x7f, v65
	flat_store_byte v[2:3], v8
.LBB292_55:
	s_or_b64 exec, exec, s[4:5]
	v_add_u32_e32 v8, 0x100, v0
	v_cmp_lt_u32_e64 s[14:15], v8, v103
	s_and_saveexec_b64 s[4:5], s[14:15]
	s_cbranch_execz .LBB292_57
; %bb.56:
	s_waitcnt vmcnt(0)
	v_xor_b32_e32 v8, 0x7f, v64
	flat_store_byte v[2:3], v8 offset:256
.LBB292_57:
	s_or_b64 exec, exec, s[4:5]
	v_add_u32_e32 v8, 0x200, v0
	v_cmp_lt_u32_e64 s[18:19], v8, v103
	s_and_saveexec_b64 s[4:5], s[18:19]
	s_cbranch_execz .LBB292_59
; %bb.58:
	s_waitcnt vmcnt(0)
	v_xor_b32_e32 v8, 0x7f, v55
	flat_store_byte v[2:3], v8 offset:512
.LBB292_59:
	;; [unrolled: 10-line block ×7, first 2 shown]
	s_or_b64 exec, exec, s[22:23]
	v_add_co_u32_e64 v2, s[22:23], v6, v22
	v_addc_co_u32_e64 v3, s[22:23], v7, v23, s[22:23]
	v_lshlrev_b64 v[0:1], 3, v[0:1]
	v_add_co_u32_e64 v0, s[22:23], v2, v0
	v_addc_co_u32_e64 v1, s[22:23], v3, v1, s[22:23]
	s_and_saveexec_b64 s[22:23], vcc
	s_cbranch_execnz .LBB292_119
; %bb.70:
	s_or_b64 exec, exec, s[22:23]
	s_and_saveexec_b64 s[22:23], s[14:15]
	s_cbranch_execnz .LBB292_120
.LBB292_71:
	s_or_b64 exec, exec, s[22:23]
	s_and_saveexec_b64 s[14:15], s[18:19]
	s_cbranch_execnz .LBB292_121
.LBB292_72:
	s_or_b64 exec, exec, s[14:15]
	s_and_saveexec_b64 s[14:15], s[16:17]
	s_cbranch_execnz .LBB292_122
.LBB292_73:
	s_or_b64 exec, exec, s[14:15]
	s_and_saveexec_b64 s[14:15], s[20:21]
	s_cbranch_execnz .LBB292_123
.LBB292_74:
	s_or_b64 exec, exec, s[14:15]
	s_and_saveexec_b64 s[14:15], s[10:11]
	s_cbranch_execnz .LBB292_124
.LBB292_75:
	s_or_b64 exec, exec, s[14:15]
	s_and_saveexec_b64 s[10:11], s[6:7]
	s_cbranch_execnz .LBB292_125
.LBB292_76:
	s_or_b64 exec, exec, s[10:11]
	s_and_saveexec_b64 s[6:7], s[4:5]
	s_cbranch_execz .LBB292_78
.LBB292_77:
	v_add_co_u32_e32 v0, vcc, 0x3000, v0
	v_addc_co_u32_e32 v1, vcc, 0, v1, vcc
	s_waitcnt vmcnt(0)
	flat_store_dwordx2 v[0:1], v[4:5] offset:2048
.LBB292_78:
	s_or_b64 exec, exec, s[6:7]
                                        ; implicit-def: $vgpr103
                                        ; implicit-def: $vgpr0
                                        ; implicit-def: $vgpr1
                                        ; implicit-def: $vgpr2
                                        ; implicit-def: $vgpr3
                                        ; implicit-def: $vgpr4
                                        ; implicit-def: $vgpr5
                                        ; implicit-def: $vgpr6
                                        ; implicit-def: $vgpr7
                                        ; implicit-def: $vgpr8
                                        ; implicit-def: $vgpr10
                                        ; implicit-def: $vgpr11
                                        ; implicit-def: $vgpr12
                                        ; implicit-def: $vgpr13
                                        ; implicit-def: $vgpr31
                                        ; implicit-def: $vgpr18
                                        ; implicit-def: $vgpr19
                                        ; implicit-def: $vgpr14
.LBB292_79:
	s_andn2_saveexec_b64 s[4:5], s[40:41]
	s_cbranch_execz .LBB292_199
; %bb.80:
	s_movk_i32 s4, 0x200
	v_cmp_lt_u32_e32 vcc, s4, v103
	s_and_saveexec_b64 s[4:5], vcc
	s_xor_b64 s[40:41], exec, s[4:5]
	s_cbranch_execz .LBB292_140
; %bb.81:
	s_load_dwordx2 s[4:5], s[8:9], 0x0
	s_waitcnt vmcnt(0)
	v_mov_b32_e32 v9, 0
	v_add_co_u32_e32 v0, vcc, v0, v8
	v_mbcnt_hi_u32_b32 v15, -1, v14
	s_waitcnt lgkmcnt(0)
	s_cmp_lt_u32 s12, s4
	s_cselect_b32 s6, 12, 18
	s_cmp_lt_u32 s13, s5
	s_cselect_b32 s4, 14, 20
	s_add_u32 s4, s8, s4
	s_addc_u32 s5, s9, 0
	s_add_u32 s6, s8, s6
	global_load_ushort v16, v9, s[4:5]
	s_addc_u32 s7, s9, 0
	global_load_ushort v20, v9, s[6:7]
	v_addc_co_u32_e32 v1, vcc, 0, v1, vcc
	v_and_b32_e32 v14, 63, v15
	v_and_b32_e32 v22, 0x3ff, v31
	v_mov_b32_e32 v23, 0x80
	v_add_co_u32_e32 v21, vcc, v0, v14
	v_addc_co_u32_e32 v24, vcc, 0, v1, vcc
	v_mov_b32_e32 v26, 0x80
	v_mov_b32_e32 v27, 0x80
	v_mov_b32_e32 v17, v9
	s_waitcnt vmcnt(1)
	v_mad_u32_u24 v0, v19, v16, v18
	s_waitcnt vmcnt(0)
	v_mad_u64_u32 v[0:1], s[4:5], v0, v20, v[22:23]
	v_lshlrev_b32_e32 v1, 2, v0
	v_and_b32_e32 v16, 0xffffff00, v1
	v_add_co_u32_e32 v18, vcc, v21, v16
	v_addc_co_u32_e32 v19, vcc, 0, v24, vcc
	v_or_b32_e32 v20, v16, v14
	v_cmp_lt_u32_e32 vcc, v20, v103
	v_mov_b32_e32 v1, 0x80
	s_and_saveexec_b64 s[4:5], vcc
	s_cbranch_execz .LBB292_83
; %bb.82:
	flat_load_ubyte v23, v[18:19]
	v_mov_b32_e32 v27, 0x80
	v_mov_b32_e32 v1, 0x80
	v_mov_b32_e32 v26, 0x80
.LBB292_83:
	s_or_b64 exec, exec, s[4:5]
	v_or_b32_e32 v21, 64, v20
	v_cmp_lt_u32_e64 s[4:5], v21, v103
	s_and_saveexec_b64 s[6:7], s[4:5]
	s_cbranch_execz .LBB292_85
; %bb.84:
	flat_load_ubyte v27, v[18:19] offset:64
.LBB292_85:
	s_or_b64 exec, exec, s[6:7]
	v_or_b32_e32 v21, 0x80, v20
	v_cmp_lt_u32_e64 s[6:7], v21, v103
	s_and_saveexec_b64 s[10:11], s[6:7]
	s_cbranch_execz .LBB292_87
; %bb.86:
	flat_load_ubyte v1, v[18:19] offset:128
.LBB292_87:
	;; [unrolled: 8-line block ×3, first 2 shown]
	s_or_b64 exec, exec, s[14:15]
	v_lshlrev_b64 v[24:25], 3, v[8:9]
	v_add_co_u32_e64 v4, s[14:15], v4, v24
	v_addc_co_u32_e64 v5, s[14:15], v5, v25, s[14:15]
	v_lshlrev_b32_e32 v9, 3, v14
	v_add_co_u32_e64 v9, s[14:15], v4, v9
	v_addc_co_u32_e64 v18, s[14:15], 0, v5, s[14:15]
	v_lshlrev_b64 v[4:5], 3, v[16:17]
	v_add_co_u32_e64 v4, s[14:15], v9, v4
	v_addc_co_u32_e64 v5, s[14:15], v18, v5, s[14:15]
                                        ; implicit-def: $vgpr18_vgpr19
	s_and_saveexec_b64 s[14:15], vcc
	s_cbranch_execnz .LBB292_164
; %bb.90:
	s_or_b64 exec, exec, s[14:15]
                                        ; implicit-def: $vgpr20_vgpr21
	s_and_saveexec_b64 s[14:15], s[4:5]
	s_cbranch_execnz .LBB292_165
.LBB292_91:
	s_or_b64 exec, exec, s[14:15]
                                        ; implicit-def: $vgpr54_vgpr55
	s_and_saveexec_b64 s[4:5], s[6:7]
	s_cbranch_execnz .LBB292_166
.LBB292_92:
	s_or_b64 exec, exec, s[4:5]
                                        ; implicit-def: $vgpr64_vgpr65
	s_and_saveexec_b64 s[4:5], s[10:11]
	s_cbranch_execz .LBB292_94
.LBB292_93:
	flat_load_dwordx2 v[64:65], v[4:5] offset:1536
.LBB292_94:
	s_or_b64 exec, exec, s[4:5]
	s_movk_i32 s4, 0x7f
	s_waitcnt vmcnt(0) lgkmcnt(0)
	v_xor_b32_e32 v4, 0x7f, v23
	v_xor_b32_sdwa v5, v27, s4 dst_sel:BYTE_1 dst_unused:UNUSED_PAD src0_sel:DWORD src1_sel:DWORD
	v_xor_b32_e32 v1, 0x7f, v1
	v_xor_b32_sdwa v9, v26, s4 dst_sel:BYTE_1 dst_unused:UNUSED_PAD src0_sel:DWORD src1_sel:DWORD
	v_or_b32_sdwa v4, v4, v5 dst_sel:DWORD dst_unused:UNUSED_PAD src0_sel:BYTE_0 src1_sel:DWORD
	v_or_b32_sdwa v1, v1, v9 dst_sel:WORD_1 dst_unused:UNUSED_PAD src0_sel:BYTE_0 src1_sel:DWORD
	v_or_b32_sdwa v81, v4, v1 dst_sel:DWORD dst_unused:UNUSED_PAD src0_sel:WORD_0 src1_sel:DWORD
	v_add_co_u32_e32 v1, vcc, 16, v12
	v_and_b32_e32 v17, 0x3c0, v22
	v_addc_co_u32_e32 v9, vcc, 0, v13, vcc
	v_lshlrev_b32_e32 v16, 4, v22
	v_min_u32_e32 v17, 0xc0, v17
	v_add_co_u32_e32 v26, vcc, v12, v16
	v_or_b32_e32 v17, 63, v17
	s_getpc_b64 s[4:5]
	s_add_u32 s4, s4, _ZN7rocprim17ROCPRIM_400000_NS16block_radix_sortIaLj256ELj4ElLj1ELj1ELj8ELNS0_26block_radix_rank_algorithmE2ELNS0_18block_padding_hintE2ELNS0_4arch9wavefront6targetE1EE19radix_bits_per_passE@rel32@lo+4
	s_addc_u32 s5, s5, _ZN7rocprim17ROCPRIM_400000_NS16block_radix_sortIaLj256ELj4ElLj1ELj1ELj8ELNS0_26block_radix_rank_algorithmE2ELNS0_18block_padding_hintE2ELNS0_4arch9wavefront6targetE1EE19radix_bits_per_passE@rel32@hi+12
	v_addc_co_u32_e32 v27, vcc, 0, v13, vcc
	v_and_b32_e32 v16, 15, v15
	v_cmp_eq_u32_e64 s[16:17], v17, v22
	v_add_u32_e32 v17, -1, v15
	v_and_b32_e32 v28, 64, v15
	s_load_dword s46, s[4:5], 0x0
	v_cmp_eq_u32_e32 vcc, 0, v16
	v_cmp_lt_u32_e64 s[4:5], 1, v16
	v_cmp_lt_u32_e64 s[6:7], 3, v16
	;; [unrolled: 1-line block ×3, first 2 shown]
	v_and_b32_e32 v16, 16, v15
	v_cmp_lt_i32_e64 s[22:23], v17, v28
	v_cmp_eq_u32_e64 s[30:31], 0, v16
	v_lshrrev_b32_e32 v16, 6, v22
	v_cndmask_b32_e64 v17, v17, v15, s[22:23]
	v_mov_b32_e32 v4, 0
	v_lshlrev_b32_e32 v71, 2, v17
	v_lshlrev_b32_e32 v17, 2, v16
	v_add_co_u32_e64 v28, s[26:27], v12, v17
	v_add_u32_e32 v16, -1, v16
	v_mov_b32_e32 v17, v4
	v_lshlrev_b64 v[16:17], 2, v[16:17]
	v_add_co_u32_e64 v32, s[34:35], v12, v16
	v_addc_co_u32_e64 v33, s[34:35], v13, v17, s[34:35]
	v_lshlrev_b32_e32 v5, 2, v22
	v_addc_co_u32_e64 v29, s[26:27], 0, v13, s[26:27]
	s_movk_i32 s34, 0xf00
	v_add_co_u32_e64 v30, s[26:27], v12, v5
	v_and_or_b32 v5, v5, s34, v14
	v_add_co_u32_e64 v50, s[34:35], v12, v5
	v_cmp_lt_u32_e64 s[14:15], 31, v15
	v_cmp_eq_u32_e64 s[22:23], 0, v15
	v_addc_co_u32_e64 v31, s[26:27], 0, v13, s[26:27]
	v_and_b32_e32 v15, 3, v15
	v_addc_co_u32_e64 v51, s[34:35], 0, v13, s[34:35]
	v_lshrrev_b32_e32 v23, 6, v0
	v_cmp_gt_u32_e64 s[18:19], 4, v22
	v_cmp_lt_u32_e64 s[20:21], 63, v22
	v_cmp_eq_u32_e64 s[24:25], 0, v22
	v_cmp_eq_u32_e64 s[26:27], 0, v15
	v_cmp_lt_u32_e64 s[28:29], 1, v15
	v_mad_u64_u32 v[52:53], s[34:35], v5, 7, v[50:51]
	v_sub_u32_e32 v98, v11, v10
	s_mov_b64 s[42:43], 0
	v_mov_b32_e32 v14, 0
	v_mov_b32_e32 v15, v4
	;; [unrolled: 1-line block ×4, first 2 shown]
	s_waitcnt lgkmcnt(0)
	s_barrier
	s_branch .LBB292_96
.LBB292_95:                             ;   in Loop: Header=BB292_96 Depth=1
	s_or_b64 exec, exec, s[36:37]
	s_and_b64 s[34:35], exec, s[44:45]
	s_or_b64 s[42:43], s[34:35], s[42:43]
	s_andn2_b64 exec, exec, s[42:43]
	s_cbranch_execz .LBB292_126
.LBB292_96:                             ; =>This Inner Loop Header: Depth=1
	v_min_u32_e32 v5, s46, v98
	v_lshlrev_b32_e64 v5, v5, -1
	v_pk_mov_b32 v[38:39], v[20:21], v[20:21] op_sel:[0,1]
	v_not_b32_e32 v20, v5
	v_lshrrev_b32_sdwa v5, v10, v81 dst_sel:DWORD dst_unused:UNUSED_PAD src0_sel:DWORD src1_sel:BYTE_0
	v_pk_mov_b32 v[48:49], v[18:19], v[18:19] op_sel:[0,1]
	v_and_b32_e32 v18, v5, v20
	v_lshlrev_b32_e32 v5, 2, v18
	v_add_lshl_u32 v5, v5, v23, 2
	v_pk_mov_b32 v[36:37], v[54:55], v[54:55] op_sel:[0,1]
	v_add_co_u32_e64 v54, s[34:35], v1, v5
	v_addc_co_u32_e64 v55, s[34:35], 0, v9, s[34:35]
	v_and_b32_e32 v5, 1, v18
	v_add_co_u32_e64 v19, s[34:35], -1, v5
	v_addc_co_u32_e64 v21, s[34:35], 0, -1, s[34:35]
	v_cmp_ne_u32_e64 s[34:35], 0, v5
	v_xor_b32_e32 v5, s35, v21
	v_and_b32_e32 v21, exec_hi, v5
	v_lshlrev_b32_e32 v5, 30, v18
	v_xor_b32_e32 v19, s34, v19
	v_cmp_gt_i64_e64 s[34:35], 0, v[4:5]
	v_not_b32_e32 v5, v5
	v_ashrrev_i32_e32 v5, 31, v5
	v_pk_mov_b32 v[34:35], v[64:65], v[64:65] op_sel:[0,1]
	v_and_b32_e32 v19, exec_lo, v19
	v_xor_b32_e32 v64, s35, v5
	v_xor_b32_e32 v5, s34, v5
	v_and_b32_e32 v19, v19, v5
	v_lshlrev_b32_e32 v5, 29, v18
	v_cmp_gt_i64_e64 s[34:35], 0, v[4:5]
	v_not_b32_e32 v5, v5
	v_ashrrev_i32_e32 v5, 31, v5
	v_and_b32_e32 v21, v21, v64
	v_xor_b32_e32 v64, s35, v5
	v_xor_b32_e32 v5, s34, v5
	v_and_b32_e32 v19, v19, v5
	v_lshlrev_b32_e32 v5, 28, v18
	v_cmp_gt_i64_e64 s[34:35], 0, v[4:5]
	v_not_b32_e32 v5, v5
	v_ashrrev_i32_e32 v5, 31, v5
	v_and_b32_e32 v21, v21, v64
	v_xor_b32_e32 v64, s35, v5
	v_xor_b32_e32 v5, s34, v5
	v_and_b32_e32 v19, v19, v5
	v_lshlrev_b32_e32 v5, 27, v18
	v_cmp_gt_i64_e64 s[34:35], 0, v[4:5]
	v_not_b32_e32 v5, v5
	v_ashrrev_i32_e32 v5, 31, v5
	v_and_b32_e32 v21, v21, v64
	v_xor_b32_e32 v64, s35, v5
	v_xor_b32_e32 v5, s34, v5
	v_and_b32_e32 v19, v19, v5
	v_lshlrev_b32_e32 v5, 26, v18
	v_cmp_gt_i64_e64 s[34:35], 0, v[4:5]
	v_not_b32_e32 v5, v5
	v_ashrrev_i32_e32 v5, 31, v5
	v_and_b32_e32 v21, v21, v64
	v_xor_b32_e32 v64, s35, v5
	v_xor_b32_e32 v5, s34, v5
	v_and_b32_e32 v19, v19, v5
	v_lshlrev_b32_e32 v5, 25, v18
	v_cmp_gt_i64_e64 s[34:35], 0, v[4:5]
	v_not_b32_e32 v5, v5
	v_ashrrev_i32_e32 v5, 31, v5
	v_and_b32_e32 v21, v21, v64
	v_xor_b32_e32 v64, s35, v5
	v_xor_b32_e32 v5, s34, v5
	v_and_b32_e32 v21, v21, v64
	v_and_b32_e32 v64, v19, v5
	v_lshlrev_b32_e32 v5, 24, v18
	v_cmp_gt_i64_e64 s[34:35], 0, v[4:5]
	v_not_b32_e32 v5, v5
	v_ashrrev_i32_e32 v5, 31, v5
	v_xor_b32_e32 v18, s35, v5
	v_xor_b32_e32 v5, s34, v5
	v_and_b32_e32 v19, v21, v18
	v_and_b32_e32 v18, v64, v5
	v_mbcnt_lo_u32_b32 v5, v18, 0
	v_mbcnt_hi_u32_b32 v70, v19, v5
	v_cmp_eq_u32_e64 s[34:35], 0, v70
	v_cmp_ne_u64_e64 s[36:37], 0, v[18:19]
	s_and_b64 s[36:37], s[36:37], s[34:35]
	flat_store_dwordx4 v[26:27], v[14:17] offset:16
	s_waitcnt lgkmcnt(0)
	s_barrier
	s_waitcnt lgkmcnt(0)
	; wave barrier
	s_and_saveexec_b64 s[34:35], s[36:37]
	s_cbranch_execz .LBB292_98
; %bb.97:                               ;   in Loop: Header=BB292_96 Depth=1
	v_bcnt_u32_b32 v5, v18, 0
	v_bcnt_u32_b32 v5, v19, v5
	flat_store_dword v[54:55], v5
.LBB292_98:                             ;   in Loop: Header=BB292_96 Depth=1
	s_or_b64 exec, exec, s[34:35]
	v_lshrrev_b32_sdwa v5, v10, v81 dst_sel:DWORD dst_unused:UNUSED_PAD src0_sel:DWORD src1_sel:BYTE_1
	v_and_b32_e32 v18, v5, v20
	v_lshlrev_b32_e32 v5, 2, v18
	v_add_lshl_u32 v5, v5, v23, 2
	v_add_co_u32_e64 v64, s[34:35], v1, v5
	v_addc_co_u32_e64 v65, s[34:35], 0, v9, s[34:35]
	; wave barrier
	flat_load_dword v82, v[64:65]
	v_and_b32_e32 v5, 1, v18
	v_add_co_u32_e64 v19, s[34:35], -1, v5
	v_addc_co_u32_e64 v21, s[34:35], 0, -1, s[34:35]
	v_cmp_ne_u32_e64 s[34:35], 0, v5
	v_xor_b32_e32 v5, s35, v21
	v_and_b32_e32 v21, exec_hi, v5
	v_lshlrev_b32_e32 v5, 30, v18
	v_xor_b32_e32 v19, s34, v19
	v_cmp_gt_i64_e64 s[34:35], 0, v[4:5]
	v_not_b32_e32 v5, v5
	v_ashrrev_i32_e32 v5, 31, v5
	v_and_b32_e32 v19, exec_lo, v19
	v_xor_b32_e32 v66, s35, v5
	v_xor_b32_e32 v5, s34, v5
	v_and_b32_e32 v19, v19, v5
	v_lshlrev_b32_e32 v5, 29, v18
	v_cmp_gt_i64_e64 s[34:35], 0, v[4:5]
	v_not_b32_e32 v5, v5
	v_ashrrev_i32_e32 v5, 31, v5
	v_and_b32_e32 v21, v21, v66
	v_xor_b32_e32 v66, s35, v5
	v_xor_b32_e32 v5, s34, v5
	v_and_b32_e32 v19, v19, v5
	v_lshlrev_b32_e32 v5, 28, v18
	v_cmp_gt_i64_e64 s[34:35], 0, v[4:5]
	v_not_b32_e32 v5, v5
	v_ashrrev_i32_e32 v5, 31, v5
	v_and_b32_e32 v21, v21, v66
	v_xor_b32_e32 v66, s35, v5
	v_xor_b32_e32 v5, s34, v5
	v_and_b32_e32 v19, v19, v5
	v_lshlrev_b32_e32 v5, 27, v18
	v_cmp_gt_i64_e64 s[34:35], 0, v[4:5]
	v_not_b32_e32 v5, v5
	v_ashrrev_i32_e32 v5, 31, v5
	v_and_b32_e32 v21, v21, v66
	v_xor_b32_e32 v66, s35, v5
	v_xor_b32_e32 v5, s34, v5
	v_and_b32_e32 v19, v19, v5
	v_lshlrev_b32_e32 v5, 26, v18
	v_cmp_gt_i64_e64 s[34:35], 0, v[4:5]
	v_not_b32_e32 v5, v5
	v_ashrrev_i32_e32 v5, 31, v5
	v_and_b32_e32 v21, v21, v66
	v_xor_b32_e32 v66, s35, v5
	v_xor_b32_e32 v5, s34, v5
	v_and_b32_e32 v19, v19, v5
	v_lshlrev_b32_e32 v5, 25, v18
	v_cmp_gt_i64_e64 s[34:35], 0, v[4:5]
	v_not_b32_e32 v5, v5
	v_ashrrev_i32_e32 v5, 31, v5
	v_and_b32_e32 v21, v21, v66
	v_xor_b32_e32 v66, s35, v5
	v_xor_b32_e32 v5, s34, v5
	v_and_b32_e32 v21, v21, v66
	v_and_b32_e32 v66, v19, v5
	v_lshlrev_b32_e32 v5, 24, v18
	v_cmp_gt_i64_e64 s[34:35], 0, v[4:5]
	v_not_b32_e32 v5, v5
	v_ashrrev_i32_e32 v5, 31, v5
	v_xor_b32_e32 v18, s35, v5
	v_xor_b32_e32 v5, s34, v5
	v_and_b32_e32 v19, v21, v18
	v_and_b32_e32 v18, v66, v5
	v_mbcnt_lo_u32_b32 v5, v18, 0
	v_mbcnt_hi_u32_b32 v83, v19, v5
	v_cmp_eq_u32_e64 s[34:35], 0, v83
	v_cmp_ne_u64_e64 s[36:37], 0, v[18:19]
	s_and_b64 s[36:37], s[36:37], s[34:35]
	; wave barrier
	s_and_saveexec_b64 s[34:35], s[36:37]
	s_cbranch_execz .LBB292_100
; %bb.99:                               ;   in Loop: Header=BB292_96 Depth=1
	v_bcnt_u32_b32 v5, v18, 0
	v_bcnt_u32_b32 v5, v19, v5
	s_waitcnt vmcnt(0) lgkmcnt(0)
	v_add_u32_e32 v5, v82, v5
	flat_store_dword v[64:65], v5
.LBB292_100:                            ;   in Loop: Header=BB292_96 Depth=1
	s_or_b64 exec, exec, s[34:35]
	v_lshrrev_b32_sdwa v5, v10, v81 dst_sel:DWORD dst_unused:UNUSED_PAD src0_sel:DWORD src1_sel:BYTE_2
	v_and_b32_e32 v18, v5, v20
	v_lshlrev_b32_e32 v5, 2, v18
	v_add_lshl_u32 v5, v5, v23, 2
	v_add_co_u32_e64 v66, s[34:35], v1, v5
	v_addc_co_u32_e64 v67, s[34:35], 0, v9, s[34:35]
	; wave barrier
	flat_load_dword v84, v[66:67]
	v_and_b32_e32 v5, 1, v18
	v_add_co_u32_e64 v19, s[34:35], -1, v5
	v_addc_co_u32_e64 v21, s[34:35], 0, -1, s[34:35]
	v_cmp_ne_u32_e64 s[34:35], 0, v5
	v_xor_b32_e32 v5, s35, v21
	v_and_b32_e32 v21, exec_hi, v5
	v_lshlrev_b32_e32 v5, 30, v18
	v_xor_b32_e32 v19, s34, v19
	v_cmp_gt_i64_e64 s[34:35], 0, v[4:5]
	v_not_b32_e32 v5, v5
	v_ashrrev_i32_e32 v5, 31, v5
	v_and_b32_e32 v19, exec_lo, v19
	v_xor_b32_e32 v68, s35, v5
	v_xor_b32_e32 v5, s34, v5
	v_and_b32_e32 v19, v19, v5
	v_lshlrev_b32_e32 v5, 29, v18
	v_cmp_gt_i64_e64 s[34:35], 0, v[4:5]
	v_not_b32_e32 v5, v5
	v_ashrrev_i32_e32 v5, 31, v5
	v_and_b32_e32 v21, v21, v68
	v_xor_b32_e32 v68, s35, v5
	v_xor_b32_e32 v5, s34, v5
	v_and_b32_e32 v19, v19, v5
	v_lshlrev_b32_e32 v5, 28, v18
	v_cmp_gt_i64_e64 s[34:35], 0, v[4:5]
	v_not_b32_e32 v5, v5
	v_ashrrev_i32_e32 v5, 31, v5
	v_and_b32_e32 v21, v21, v68
	;; [unrolled: 8-line block ×5, first 2 shown]
	v_xor_b32_e32 v68, s35, v5
	v_xor_b32_e32 v5, s34, v5
	v_and_b32_e32 v21, v21, v68
	v_and_b32_e32 v68, v19, v5
	v_lshlrev_b32_e32 v5, 24, v18
	v_cmp_gt_i64_e64 s[34:35], 0, v[4:5]
	v_not_b32_e32 v5, v5
	v_ashrrev_i32_e32 v5, 31, v5
	v_xor_b32_e32 v18, s35, v5
	v_xor_b32_e32 v5, s34, v5
	v_and_b32_e32 v19, v21, v18
	v_and_b32_e32 v18, v68, v5
	v_mbcnt_lo_u32_b32 v5, v18, 0
	v_mbcnt_hi_u32_b32 v85, v19, v5
	v_cmp_eq_u32_e64 s[34:35], 0, v85
	v_cmp_ne_u64_e64 s[36:37], 0, v[18:19]
	s_and_b64 s[36:37], s[36:37], s[34:35]
	; wave barrier
	s_and_saveexec_b64 s[34:35], s[36:37]
	s_cbranch_execz .LBB292_102
; %bb.101:                              ;   in Loop: Header=BB292_96 Depth=1
	v_bcnt_u32_b32 v5, v18, 0
	v_bcnt_u32_b32 v5, v19, v5
	s_waitcnt vmcnt(0) lgkmcnt(0)
	v_add_u32_e32 v5, v84, v5
	flat_store_dword v[66:67], v5
.LBB292_102:                            ;   in Loop: Header=BB292_96 Depth=1
	s_or_b64 exec, exec, s[34:35]
	v_lshrrev_b32_e32 v99, 24, v81
	v_lshrrev_b32_e32 v5, v10, v99
	v_and_b32_e32 v18, v5, v20
	v_lshlrev_b32_e32 v5, 2, v18
	v_add_lshl_u32 v5, v5, v23, 2
	v_add_co_u32_e64 v68, s[34:35], v1, v5
	v_addc_co_u32_e64 v69, s[34:35], 0, v9, s[34:35]
	; wave barrier
	flat_load_dword v86, v[68:69]
	v_and_b32_e32 v5, 1, v18
	v_add_co_u32_e64 v19, s[34:35], -1, v5
	v_addc_co_u32_e64 v20, s[34:35], 0, -1, s[34:35]
	v_cmp_ne_u32_e64 s[34:35], 0, v5
	v_xor_b32_e32 v5, s35, v20
	v_and_b32_e32 v20, exec_hi, v5
	v_lshlrev_b32_e32 v5, 30, v18
	v_xor_b32_e32 v19, s34, v19
	v_cmp_gt_i64_e64 s[34:35], 0, v[4:5]
	v_not_b32_e32 v5, v5
	v_ashrrev_i32_e32 v5, 31, v5
	v_and_b32_e32 v19, exec_lo, v19
	v_xor_b32_e32 v21, s35, v5
	v_xor_b32_e32 v5, s34, v5
	v_and_b32_e32 v19, v19, v5
	v_lshlrev_b32_e32 v5, 29, v18
	v_cmp_gt_i64_e64 s[34:35], 0, v[4:5]
	v_not_b32_e32 v5, v5
	v_ashrrev_i32_e32 v5, 31, v5
	v_and_b32_e32 v20, v20, v21
	v_xor_b32_e32 v21, s35, v5
	v_xor_b32_e32 v5, s34, v5
	v_and_b32_e32 v19, v19, v5
	v_lshlrev_b32_e32 v5, 28, v18
	v_cmp_gt_i64_e64 s[34:35], 0, v[4:5]
	v_not_b32_e32 v5, v5
	v_ashrrev_i32_e32 v5, 31, v5
	v_and_b32_e32 v20, v20, v21
	;; [unrolled: 8-line block ×5, first 2 shown]
	v_xor_b32_e32 v21, s35, v5
	v_xor_b32_e32 v5, s34, v5
	v_and_b32_e32 v20, v20, v21
	v_and_b32_e32 v21, v19, v5
	v_lshlrev_b32_e32 v5, 24, v18
	v_cmp_gt_i64_e64 s[34:35], 0, v[4:5]
	v_not_b32_e32 v5, v5
	v_ashrrev_i32_e32 v5, 31, v5
	v_xor_b32_e32 v18, s35, v5
	v_xor_b32_e32 v5, s34, v5
	v_and_b32_e32 v19, v20, v18
	v_and_b32_e32 v18, v21, v5
	v_mbcnt_lo_u32_b32 v5, v18, 0
	v_mbcnt_hi_u32_b32 v87, v19, v5
	v_cmp_eq_u32_e64 s[34:35], 0, v87
	v_cmp_ne_u64_e64 s[36:37], 0, v[18:19]
	s_and_b64 s[36:37], s[36:37], s[34:35]
	; wave barrier
	s_and_saveexec_b64 s[34:35], s[36:37]
	s_cbranch_execz .LBB292_104
; %bb.103:                              ;   in Loop: Header=BB292_96 Depth=1
	v_bcnt_u32_b32 v5, v18, 0
	v_bcnt_u32_b32 v5, v19, v5
	s_waitcnt vmcnt(0) lgkmcnt(0)
	v_add_u32_e32 v5, v86, v5
	flat_store_dword v[68:69], v5
.LBB292_104:                            ;   in Loop: Header=BB292_96 Depth=1
	s_or_b64 exec, exec, s[34:35]
	; wave barrier
	s_waitcnt lgkmcnt(0)
	s_barrier
	flat_load_dwordx4 v[18:21], v[26:27] offset:16
	s_waitcnt vmcnt(0) lgkmcnt(0)
	v_add_u32_e32 v5, v19, v18
	v_add3_u32 v5, v5, v20, v21
	s_nop 1
	v_mov_b32_dpp v21, v5 row_shr:1 row_mask:0xf bank_mask:0xf
	v_cndmask_b32_e64 v21, v21, 0, vcc
	v_add_u32_e32 v5, v21, v5
	s_nop 1
	v_mov_b32_dpp v21, v5 row_shr:2 row_mask:0xf bank_mask:0xf
	v_cndmask_b32_e64 v21, 0, v21, s[4:5]
	v_add_u32_e32 v5, v5, v21
	s_nop 1
	v_mov_b32_dpp v21, v5 row_shr:4 row_mask:0xf bank_mask:0xf
	v_cndmask_b32_e64 v21, 0, v21, s[6:7]
	;; [unrolled: 4-line block ×3, first 2 shown]
	v_add_u32_e32 v5, v5, v21
	s_nop 1
	v_mov_b32_dpp v21, v5 row_bcast:15 row_mask:0xf bank_mask:0xf
	v_cndmask_b32_e64 v21, v21, 0, s[30:31]
	v_add_u32_e32 v5, v5, v21
	s_nop 1
	v_mov_b32_dpp v21, v5 row_bcast:31 row_mask:0xf bank_mask:0xf
	v_cndmask_b32_e64 v21, 0, v21, s[14:15]
	v_add_u32_e32 v5, v5, v21
	s_and_saveexec_b64 s[34:35], s[16:17]
	s_cbranch_execz .LBB292_106
; %bb.105:                              ;   in Loop: Header=BB292_96 Depth=1
	flat_store_dword v[28:29], v5
.LBB292_106:                            ;   in Loop: Header=BB292_96 Depth=1
	s_or_b64 exec, exec, s[34:35]
	s_waitcnt lgkmcnt(0)
	s_barrier
	s_and_saveexec_b64 s[34:35], s[18:19]
	s_cbranch_execz .LBB292_108
; %bb.107:                              ;   in Loop: Header=BB292_96 Depth=1
	flat_load_dword v21, v[30:31]
	s_waitcnt vmcnt(0) lgkmcnt(0)
	s_nop 0
	v_mov_b32_dpp v80, v21 row_shr:1 row_mask:0xf bank_mask:0xf
	v_cndmask_b32_e64 v80, v80, 0, s[26:27]
	v_add_u32_e32 v21, v80, v21
	s_nop 1
	v_mov_b32_dpp v80, v21 row_shr:2 row_mask:0xf bank_mask:0xf
	v_cndmask_b32_e64 v80, 0, v80, s[28:29]
	v_add_u32_e32 v21, v21, v80
	flat_store_dword v[30:31], v21
.LBB292_108:                            ;   in Loop: Header=BB292_96 Depth=1
	s_or_b64 exec, exec, s[34:35]
	v_mov_b32_e32 v21, 0
	s_waitcnt lgkmcnt(0)
	s_barrier
	s_and_saveexec_b64 s[34:35], s[20:21]
	s_cbranch_execz .LBB292_110
; %bb.109:                              ;   in Loop: Header=BB292_96 Depth=1
	flat_load_dword v21, v[32:33]
.LBB292_110:                            ;   in Loop: Header=BB292_96 Depth=1
	s_or_b64 exec, exec, s[34:35]
	s_waitcnt vmcnt(0) lgkmcnt(0)
	v_add_u32_e32 v5, v21, v5
	ds_bpermute_b32 v5, v71, v5
	v_add_u32_e32 v10, 8, v10
	v_cmp_lt_u32_e64 s[34:35], v10, v11
	s_mov_b64 s[44:45], -1
	s_waitcnt lgkmcnt(0)
	v_cndmask_b32_e64 v5, v5, v21, s[22:23]
	v_cndmask_b32_e64 v112, v5, 0, s[24:25]
	v_add_u32_e32 v113, v112, v18
	v_add_u32_e32 v114, v113, v19
	;; [unrolled: 1-line block ×3, first 2 shown]
	flat_store_dwordx4 v[26:27], v[112:115] offset:16
	s_waitcnt lgkmcnt(0)
	s_barrier
	flat_load_dword v18, v[54:55]
	flat_load_dword v19, v[64:65]
	;; [unrolled: 1-line block ×4, first 2 shown]
	v_mov_b32_e32 v5, v81
	v_lshrrev_b32_e32 v67, 8, v81
	v_lshrrev_b32_e32 v69, 16, v81
	s_waitcnt lgkmcnt(0)
                                        ; implicit-def: $vgpr54_vgpr55
                                        ; implicit-def: $vgpr64_vgpr65
	s_waitcnt vmcnt(0) lgkmcnt(0)
	v_add_u32_e32 v80, v18, v70
	v_add3_u32 v70, v83, v82, v19
	v_add_co_u32_e64 v82, s[36:37], v12, v80
	v_addc_co_u32_e64 v83, s[36:37], 0, v13, s[36:37]
	v_add3_u32 v68, v85, v84, v20
	v_add_co_u32_e64 v84, s[36:37], v12, v70
	v_addc_co_u32_e64 v85, s[36:37], 0, v13, s[36:37]
	;; [unrolled: 3-line block ×3, first 2 shown]
	v_add_co_u32_e64 v96, s[36:37], v12, v66
	v_addc_co_u32_e64 v97, s[36:37], 0, v13, s[36:37]
                                        ; implicit-def: $vgpr18_vgpr19
                                        ; implicit-def: $vgpr20_vgpr21
	s_and_saveexec_b64 s[36:37], s[34:35]
	s_cbranch_execz .LBB292_95
; %bb.111:                              ;   in Loop: Header=BB292_96 Depth=1
	v_mad_u64_u32 v[18:19], s[34:35], v80, 7, v[82:83]
	s_barrier
	flat_store_byte v[82:83], v81
	flat_store_byte v[84:85], v67
	;; [unrolled: 1-line block ×4, first 2 shown]
	s_waitcnt lgkmcnt(0)
	s_barrier
	flat_load_ubyte v81, v[50:51]
	flat_load_ubyte v100, v[50:51] offset:64
	flat_load_ubyte v101, v[50:51] offset:128
	;; [unrolled: 1-line block ×3, first 2 shown]
	s_waitcnt lgkmcnt(0)
	s_barrier
	flat_store_dwordx2 v[18:19], v[48:49]
	v_mad_u64_u32 v[18:19], s[34:35], v70, 7, v[84:85]
	flat_store_dwordx2 v[18:19], v[38:39]
	v_mad_u64_u32 v[18:19], s[34:35], v68, 7, v[86:87]
	;; [unrolled: 2-line block ×3, first 2 shown]
	flat_store_dwordx2 v[18:19], v[34:35]
	s_waitcnt lgkmcnt(0)
	s_barrier
	flat_load_dwordx2 v[18:19], v[52:53]
	flat_load_dwordx2 v[20:21], v[52:53] offset:512
	flat_load_dwordx2 v[54:55], v[52:53] offset:1024
	;; [unrolled: 1-line block ×3, first 2 shown]
	v_add_u32_e32 v98, -8, v98
	s_xor_b64 s[44:45], exec, -1
	s_waitcnt lgkmcnt(0)
	s_barrier
	s_waitcnt vmcnt(0)
	v_lshlrev_b16_e32 v100, 8, v100
	v_or_b32_e32 v81, v81, v100
	v_lshlrev_b16_e32 v102, 8, v102
	v_or_b32_sdwa v100, v101, v102 dst_sel:WORD_1 dst_unused:UNUSED_PAD src0_sel:DWORD src1_sel:DWORD
	v_or_b32_sdwa v81, v81, v100 dst_sel:DWORD dst_unused:UNUSED_PAD src0_sel:WORD_0 src1_sel:DWORD
	s_branch .LBB292_95
.LBB292_112:
	flat_load_dwordx2 v[18:19], v[4:5]
	s_or_b64 exec, exec, s[22:23]
                                        ; implicit-def: $vgpr70_vgpr71
	s_and_saveexec_b64 s[22:23], s[4:5]
	s_cbranch_execz .LBB292_20
.LBB292_113:
	flat_load_dwordx2 v[70:71], v[4:5] offset:512
	s_or_b64 exec, exec, s[22:23]
                                        ; implicit-def: $vgpr80_vgpr81
	s_and_saveexec_b64 s[4:5], s[6:7]
	s_cbranch_execz .LBB292_21
.LBB292_114:
	flat_load_dwordx2 v[80:81], v[4:5] offset:1024
	s_or_b64 exec, exec, s[4:5]
                                        ; implicit-def: $vgpr82_vgpr83
	s_and_saveexec_b64 s[4:5], s[10:11]
	s_cbranch_execz .LBB292_22
.LBB292_115:
	flat_load_dwordx2 v[82:83], v[4:5] offset:1536
	s_or_b64 exec, exec, s[4:5]
                                        ; implicit-def: $vgpr84_vgpr85
	s_and_saveexec_b64 s[4:5], s[20:21]
	s_cbranch_execz .LBB292_23
.LBB292_116:
	flat_load_dwordx2 v[84:85], v[4:5] offset:2048
	s_or_b64 exec, exec, s[4:5]
                                        ; implicit-def: $vgpr100_vgpr101
	s_and_saveexec_b64 s[4:5], s[14:15]
	s_cbranch_execz .LBB292_24
.LBB292_117:
	flat_load_dwordx2 v[100:101], v[4:5] offset:2560
	s_or_b64 exec, exec, s[4:5]
                                        ; implicit-def: $vgpr118_vgpr119
	s_and_saveexec_b64 s[4:5], s[16:17]
	s_cbranch_execz .LBB292_25
.LBB292_118:
	flat_load_dwordx2 v[118:119], v[4:5] offset:3072
	s_or_b64 exec, exec, s[4:5]
                                        ; implicit-def: $vgpr146_vgpr147
	s_and_saveexec_b64 s[4:5], s[18:19]
	s_cbranch_execnz .LBB292_26
	s_branch .LBB292_27
.LBB292_119:
	s_waitcnt vmcnt(0)
	flat_store_dwordx2 v[0:1], v[26:27]
	s_or_b64 exec, exec, s[22:23]
	s_and_saveexec_b64 s[22:23], s[14:15]
	s_cbranch_execz .LBB292_71
.LBB292_120:
	s_waitcnt vmcnt(0)
	flat_store_dwordx2 v[0:1], v[24:25] offset:2048
	s_or_b64 exec, exec, s[22:23]
	s_and_saveexec_b64 s[14:15], s[18:19]
	s_cbranch_execz .LBB292_72
.LBB292_121:
	v_add_co_u32_e32 v2, vcc, 0x1000, v0
	v_addc_co_u32_e32 v3, vcc, 0, v1, vcc
	s_waitcnt vmcnt(0)
	flat_store_dwordx2 v[2:3], v[18:19]
	s_or_b64 exec, exec, s[14:15]
	s_and_saveexec_b64 s[14:15], s[16:17]
	s_cbranch_execz .LBB292_73
.LBB292_122:
	v_add_co_u32_e32 v2, vcc, 0x1000, v0
	v_addc_co_u32_e32 v3, vcc, 0, v1, vcc
	s_waitcnt vmcnt(0)
	flat_store_dwordx2 v[2:3], v[14:15] offset:2048
	s_or_b64 exec, exec, s[14:15]
	s_and_saveexec_b64 s[14:15], s[20:21]
	s_cbranch_execz .LBB292_74
.LBB292_123:
	v_add_co_u32_e32 v2, vcc, 0x2000, v0
	v_addc_co_u32_e32 v3, vcc, 0, v1, vcc
	s_waitcnt vmcnt(0)
	flat_store_dwordx2 v[2:3], v[16:17]
	s_or_b64 exec, exec, s[14:15]
	s_and_saveexec_b64 s[14:15], s[10:11]
	s_cbranch_execz .LBB292_75
.LBB292_124:
	v_add_co_u32_e32 v2, vcc, 0x2000, v0
	v_addc_co_u32_e32 v3, vcc, 0, v1, vcc
	s_waitcnt vmcnt(0)
	flat_store_dwordx2 v[2:3], v[12:13] offset:2048
	s_or_b64 exec, exec, s[14:15]
	s_and_saveexec_b64 s[10:11], s[6:7]
	s_cbranch_execz .LBB292_76
.LBB292_125:
	v_add_co_u32_e32 v2, vcc, 0x3000, v0
	v_addc_co_u32_e32 v3, vcc, 0, v1, vcc
	s_waitcnt vmcnt(0)
	flat_store_dwordx2 v[2:3], v[10:11]
	s_or_b64 exec, exec, s[10:11]
	s_and_saveexec_b64 s[6:7], s[4:5]
	s_cbranch_execnz .LBB292_77
	s_branch .LBB292_78
.LBB292_126:
	s_or_b64 exec, exec, s[42:43]
	v_add_co_u32_e32 v4, vcc, v12, v22
	s_barrier
	flat_store_byte v[82:83], v5
	flat_store_byte v[84:85], v67
	;; [unrolled: 1-line block ×4, first 2 shown]
	v_addc_co_u32_e32 v5, vcc, 0, v13, vcc
	v_mad_u64_u32 v[10:11], s[4:5], v80, 7, v[82:83]
	s_waitcnt lgkmcnt(0)
	s_barrier
	flat_load_ubyte v18, v[4:5]
	flat_load_ubyte v17, v[4:5] offset:256
	flat_load_ubyte v16, v[4:5] offset:512
	;; [unrolled: 1-line block ×3, first 2 shown]
	s_waitcnt lgkmcnt(0)
	s_barrier
	flat_store_dwordx2 v[10:11], v[48:49]
	v_mad_u64_u32 v[10:11], s[4:5], v70, 7, v[84:85]
	flat_store_dwordx2 v[10:11], v[38:39]
	v_mad_u64_u32 v[10:11], s[4:5], v68, 7, v[86:87]
	;; [unrolled: 2-line block ×3, first 2 shown]
	v_mad_u64_u32 v[20:21], s[4:5], v22, 7, v[4:5]
	s_movk_i32 s4, 0x1000
	v_add_co_u32_e32 v22, vcc, s4, v20
	flat_store_dwordx2 v[10:11], v[34:35]
	s_waitcnt lgkmcnt(0)
	s_barrier
	v_addc_co_u32_e32 v23, vcc, 0, v21, vcc
	flat_load_dwordx2 v[14:15], v[20:21]
	flat_load_dwordx2 v[12:13], v[20:21] offset:2048
	flat_load_dwordx2 v[10:11], v[22:23]
	flat_load_dwordx2 v[4:5], v[22:23] offset:2048
	v_add_co_u32_e32 v2, vcc, v2, v8
	v_addc_co_u32_e32 v3, vcc, 0, v3, vcc
	v_add_co_u32_e32 v2, vcc, v2, v0
	v_addc_co_u32_e32 v3, vcc, 0, v3, vcc
	v_mov_b32_e32 v1, 0
	v_cmp_lt_u32_e32 vcc, v0, v103
	s_waitcnt lgkmcnt(0)
	s_barrier
	s_and_saveexec_b64 s[4:5], vcc
	s_cbranch_execz .LBB292_128
; %bb.127:
	s_waitcnt vmcnt(0)
	v_xor_b32_e32 v8, 0x7f, v18
	flat_store_byte v[2:3], v8
.LBB292_128:
	s_or_b64 exec, exec, s[4:5]
	v_add_u32_e32 v8, 0x100, v0
	v_cmp_lt_u32_e64 s[4:5], v8, v103
	s_and_saveexec_b64 s[6:7], s[4:5]
	s_cbranch_execz .LBB292_130
; %bb.129:
	s_waitcnt vmcnt(0)
	v_xor_b32_e32 v8, 0x7f, v17
	flat_store_byte v[2:3], v8 offset:256
.LBB292_130:
	s_or_b64 exec, exec, s[6:7]
	v_add_u32_e32 v8, 0x200, v0
	v_cmp_lt_u32_e64 s[10:11], v8, v103
	s_and_saveexec_b64 s[6:7], s[10:11]
	s_cbranch_execz .LBB292_132
; %bb.131:
	s_waitcnt vmcnt(0)
	v_xor_b32_e32 v8, 0x7f, v16
	flat_store_byte v[2:3], v8 offset:512
.LBB292_132:
	;; [unrolled: 10-line block ×3, first 2 shown]
	s_or_b64 exec, exec, s[14:15]
	v_add_co_u32_e64 v2, s[14:15], v6, v24
	v_addc_co_u32_e64 v3, s[14:15], v7, v25, s[14:15]
	v_lshlrev_b64 v[0:1], 3, v[0:1]
	v_add_co_u32_e64 v0, s[14:15], v2, v0
	v_addc_co_u32_e64 v1, s[14:15], v3, v1, s[14:15]
	s_and_saveexec_b64 s[14:15], vcc
	s_cbranch_execnz .LBB292_167
; %bb.135:
	s_or_b64 exec, exec, s[14:15]
	s_and_saveexec_b64 s[14:15], s[4:5]
	s_cbranch_execnz .LBB292_168
.LBB292_136:
	s_or_b64 exec, exec, s[14:15]
	s_and_saveexec_b64 s[4:5], s[10:11]
	s_cbranch_execnz .LBB292_169
.LBB292_137:
	s_or_b64 exec, exec, s[4:5]
	s_and_saveexec_b64 s[4:5], s[6:7]
	s_cbranch_execz .LBB292_139
.LBB292_138:
	v_add_co_u32_e32 v0, vcc, 0x1000, v0
	v_addc_co_u32_e32 v1, vcc, 0, v1, vcc
	s_waitcnt vmcnt(0)
	flat_store_dwordx2 v[0:1], v[4:5] offset:2048
.LBB292_139:
	s_or_b64 exec, exec, s[4:5]
                                        ; implicit-def: $vgpr103
                                        ; implicit-def: $vgpr0
                                        ; implicit-def: $vgpr1
                                        ; implicit-def: $vgpr2
                                        ; implicit-def: $vgpr3
                                        ; implicit-def: $vgpr4
                                        ; implicit-def: $vgpr5
                                        ; implicit-def: $vgpr6
                                        ; implicit-def: $vgpr7
                                        ; implicit-def: $vgpr8
                                        ; implicit-def: $vgpr10
                                        ; implicit-def: $vgpr11
                                        ; implicit-def: $vgpr12
                                        ; implicit-def: $vgpr13
                                        ; implicit-def: $vgpr31
                                        ; implicit-def: $vgpr18
                                        ; implicit-def: $vgpr19
                                        ; implicit-def: $vgpr14
.LBB292_140:
	s_andn2_saveexec_b64 s[4:5], s[40:41]
	s_cbranch_execz .LBB292_199
; %bb.141:
	s_load_dwordx2 s[4:5], s[8:9], 0x0
	s_waitcnt vmcnt(0)
	v_mov_b32_e32 v9, 0
	v_and_b32_e32 v24, 0x3ff, v31
	s_waitcnt lgkmcnt(0)
	s_cmp_lt_u32 s12, s4
	s_cselect_b32 s6, 12, 18
	s_cmp_lt_u32 s13, s5
	s_cselect_b32 s4, 14, 20
	s_add_u32 s4, s8, s4
	s_addc_u32 s5, s9, 0
	global_load_ushort v15, v9, s[4:5]
	s_add_u32 s4, s8, s6
	s_addc_u32 s5, s9, 0
	global_load_ushort v16, v9, s[4:5]
	s_movk_i32 s4, 0x100
	v_cmp_lt_u32_e32 vcc, s4, v103
	s_waitcnt vmcnt(1)
	v_mad_u32_u24 v15, v19, v15, v18
	s_waitcnt vmcnt(0)
	v_mad_u64_u32 v[22:23], s[4:5], v15, v16, v[24:25]
	s_and_saveexec_b64 s[4:5], vcc
	s_xor_b64 s[34:35], exec, s[4:5]
	s_cbranch_execz .LBB292_179
; %bb.142:
	v_add_co_u32_e32 v0, vcc, v0, v8
	v_mbcnt_hi_u32_b32 v15, -1, v14
	v_addc_co_u32_e32 v1, vcc, 0, v1, vcc
	v_and_b32_e32 v14, 63, v15
	v_lshlrev_b32_e32 v16, 1, v22
	v_add_co_u32_e32 v0, vcc, v0, v14
	v_and_b32_e32 v16, 0xffffff80, v16
	v_addc_co_u32_e32 v1, vcc, 0, v1, vcc
	v_add_co_u32_e32 v0, vcc, v0, v16
	v_addc_co_u32_e32 v1, vcc, 0, v1, vcc
	v_or_b32_e32 v18, v14, v16
	v_mov_b32_e32 v17, v9
	v_cmp_lt_u32_e32 vcc, v18, v103
	v_mov_b32_e32 v23, 0x80
	v_mov_b32_e32 v25, 0x80
	s_and_saveexec_b64 s[4:5], vcc
	s_cbranch_execz .LBB292_144
; %bb.143:
	flat_load_ubyte v23, v[0:1]
.LBB292_144:
	s_or_b64 exec, exec, s[4:5]
	v_or_b32_e32 v18, 64, v18
	v_cmp_lt_u32_e64 s[4:5], v18, v103
	s_and_saveexec_b64 s[6:7], s[4:5]
	s_cbranch_execz .LBB292_146
; %bb.145:
	flat_load_ubyte v25, v[0:1] offset:64
.LBB292_146:
	s_or_b64 exec, exec, s[6:7]
	v_lshlrev_b64 v[0:1], 3, v[8:9]
	v_add_co_u32_e64 v4, s[6:7], v4, v0
	v_addc_co_u32_e64 v5, s[6:7], v5, v1, s[6:7]
	v_lshlrev_b32_e32 v9, 3, v14
	v_add_co_u32_e64 v9, s[6:7], v4, v9
	v_addc_co_u32_e64 v18, s[6:7], 0, v5, s[6:7]
	v_lshlrev_b64 v[4:5], 3, v[16:17]
	v_add_co_u32_e64 v4, s[6:7], v9, v4
	v_addc_co_u32_e64 v5, s[6:7], v18, v5, s[6:7]
                                        ; implicit-def: $vgpr18_vgpr19
	s_and_saveexec_b64 s[6:7], vcc
	s_cbranch_execz .LBB292_148
; %bb.147:
	flat_load_dwordx2 v[18:19], v[4:5]
.LBB292_148:
	s_or_b64 exec, exec, s[6:7]
                                        ; implicit-def: $vgpr20_vgpr21
	s_and_saveexec_b64 s[6:7], s[4:5]
	s_cbranch_execz .LBB292_150
; %bb.149:
	flat_load_dwordx2 v[20:21], v[4:5] offset:512
.LBB292_150:
	s_or_b64 exec, exec, s[6:7]
	v_add_co_u32_e32 v9, vcc, 16, v12
	v_and_b32_e32 v17, 0x3c0, v24
	s_waitcnt vmcnt(0) lgkmcnt(0)
	v_xor_b32_e32 v4, 0x7f, v23
	v_addc_co_u32_e32 v23, vcc, 0, v13, vcc
	v_lshlrev_b32_e32 v16, 4, v24
	v_min_u32_e32 v17, 0xc0, v17
	s_movk_i32 s4, 0x7f
	v_add_co_u32_e32 v26, vcc, v12, v16
	v_or_b32_e32 v17, 63, v17
	v_xor_b32_sdwa v5, v25, s4 dst_sel:BYTE_1 dst_unused:UNUSED_PAD src0_sel:DWORD src1_sel:DWORD
	s_getpc_b64 s[4:5]
	s_add_u32 s4, s4, _ZN7rocprim17ROCPRIM_400000_NS16block_radix_sortIaLj256ELj2ElLj1ELj1ELj8ELNS0_26block_radix_rank_algorithmE2ELNS0_18block_padding_hintE2ELNS0_4arch9wavefront6targetE1EE19radix_bits_per_passE@rel32@lo+4
	s_addc_u32 s5, s5, _ZN7rocprim17ROCPRIM_400000_NS16block_radix_sortIaLj256ELj2ElLj1ELj1ELj8ELNS0_26block_radix_rank_algorithmE2ELNS0_18block_padding_hintE2ELNS0_4arch9wavefront6targetE1EE19radix_bits_per_passE@rel32@hi+12
	v_addc_co_u32_e32 v27, vcc, 0, v13, vcc
	v_and_b32_e32 v16, 15, v15
	v_cmp_eq_u32_e64 s[14:15], v17, v24
	v_add_u32_e32 v17, -1, v15
	v_and_b32_e32 v28, 64, v15
	s_load_dword s42, s[4:5], 0x0
	v_cmp_eq_u32_e32 vcc, 0, v16
	v_cmp_lt_u32_e64 s[4:5], 1, v16
	v_cmp_lt_u32_e64 s[6:7], 3, v16
	;; [unrolled: 1-line block ×3, first 2 shown]
	v_and_b32_e32 v16, 16, v15
	v_cmp_lt_i32_e64 s[20:21], v17, v28
	v_or_b32_sdwa v4, v4, v5 dst_sel:DWORD dst_unused:UNUSED_PAD src0_sel:BYTE_0 src1_sel:DWORD
	v_cmp_eq_u32_e64 s[10:11], 0, v16
	v_lshrrev_b32_e32 v16, 6, v24
	v_cndmask_b32_e64 v17, v17, v15, s[20:21]
	v_and_b32_e32 v66, 0xffff, v4
	v_mov_b32_e32 v4, 0
	v_lshlrev_b32_e32 v67, 2, v17
	v_lshlrev_b32_e32 v17, 2, v16
	v_add_co_u32_e64 v28, s[24:25], v12, v17
	v_add_u32_e32 v16, -1, v16
	v_mov_b32_e32 v17, v4
	v_lshlrev_b32_e32 v5, 2, v24
	v_addc_co_u32_e64 v29, s[24:25], 0, v13, s[24:25]
	v_lshlrev_b64 v[16:17], 2, v[16:17]
	v_add_co_u32_e64 v30, s[24:25], v12, v5
	v_add_co_u32_e64 v32, s[28:29], v12, v16
	v_addc_co_u32_e64 v31, s[24:25], 0, v13, s[24:25]
	v_and_b32_e32 v5, 3, v15
	v_addc_co_u32_e64 v33, s[28:29], v13, v17, s[28:29]
	v_cmp_eq_u32_e64 s[24:25], 0, v5
	v_cmp_lt_u32_e64 s[26:27], 1, v5
	v_lshlrev_b32_e32 v5, 1, v24
	s_movk_i32 s28, 0x780
	v_and_or_b32 v5, v5, s28, v14
	v_add_co_u32_e64 v38, s[28:29], v12, v5
	v_addc_co_u32_e64 v39, s[28:29], 0, v13, s[28:29]
	v_lshrrev_b32_e32 v25, 6, v22
	v_cmp_lt_u32_e64 s[12:13], 31, v15
	v_cmp_gt_u32_e64 s[16:17], 4, v24
	v_cmp_lt_u32_e64 s[18:19], 63, v24
	v_cmp_eq_u32_e64 s[20:21], 0, v15
	v_cmp_eq_u32_e64 s[22:23], 0, v24
	v_mad_u64_u32 v[48:49], s[28:29], v5, 7, v[38:39]
	v_sub_u32_e32 v68, v11, v10
	s_mov_b64 s[36:37], 0
	v_mov_b32_e32 v14, 0
	v_mov_b32_e32 v15, v4
	;; [unrolled: 1-line block ×4, first 2 shown]
	s_waitcnt lgkmcnt(0)
	s_barrier
	s_branch .LBB292_152
.LBB292_151:                            ;   in Loop: Header=BB292_152 Depth=1
	s_or_b64 exec, exec, s[30:31]
	s_and_b64 s[28:29], exec, s[40:41]
	s_or_b64 s[36:37], s[28:29], s[36:37]
	s_andn2_b64 exec, exec, s[36:37]
	s_cbranch_execz .LBB292_170
.LBB292_152:                            ; =>This Inner Loop Header: Depth=1
	v_min_u32_e32 v5, s42, v68
	v_lshlrev_b32_e64 v5, v5, -1
	v_pk_mov_b32 v[34:35], v[20:21], v[20:21] op_sel:[0,1]
	v_not_b32_e32 v20, v5
	v_lshrrev_b32_sdwa v5, v10, v66 dst_sel:DWORD dst_unused:UNUSED_PAD src0_sel:DWORD src1_sel:BYTE_0
	v_pk_mov_b32 v[36:37], v[18:19], v[18:19] op_sel:[0,1]
	v_and_b32_e32 v18, v5, v20
	v_lshlrev_b32_e32 v5, 2, v18
	v_add_lshl_u32 v5, v5, v25, 2
	v_add_co_u32_e64 v50, s[28:29], v9, v5
	v_addc_co_u32_e64 v51, s[28:29], 0, v23, s[28:29]
	v_and_b32_e32 v5, 1, v18
	v_add_co_u32_e64 v19, s[28:29], -1, v5
	v_addc_co_u32_e64 v21, s[28:29], 0, -1, s[28:29]
	v_cmp_ne_u32_e64 s[28:29], 0, v5
	v_xor_b32_e32 v5, s29, v21
	v_and_b32_e32 v21, exec_hi, v5
	v_lshlrev_b32_e32 v5, 30, v18
	v_xor_b32_e32 v19, s28, v19
	v_cmp_gt_i64_e64 s[28:29], 0, v[4:5]
	v_not_b32_e32 v5, v5
	v_ashrrev_i32_e32 v5, 31, v5
	v_and_b32_e32 v19, exec_lo, v19
	v_xor_b32_e32 v52, s29, v5
	v_xor_b32_e32 v5, s28, v5
	v_and_b32_e32 v19, v19, v5
	v_lshlrev_b32_e32 v5, 29, v18
	v_cmp_gt_i64_e64 s[28:29], 0, v[4:5]
	v_not_b32_e32 v5, v5
	v_ashrrev_i32_e32 v5, 31, v5
	v_and_b32_e32 v21, v21, v52
	v_xor_b32_e32 v52, s29, v5
	v_xor_b32_e32 v5, s28, v5
	v_and_b32_e32 v19, v19, v5
	v_lshlrev_b32_e32 v5, 28, v18
	v_cmp_gt_i64_e64 s[28:29], 0, v[4:5]
	v_not_b32_e32 v5, v5
	v_ashrrev_i32_e32 v5, 31, v5
	v_and_b32_e32 v21, v21, v52
	;; [unrolled: 8-line block ×5, first 2 shown]
	v_xor_b32_e32 v52, s29, v5
	v_xor_b32_e32 v5, s28, v5
	v_and_b32_e32 v21, v21, v52
	v_and_b32_e32 v52, v19, v5
	v_lshlrev_b32_e32 v5, 24, v18
	v_cmp_gt_i64_e64 s[28:29], 0, v[4:5]
	v_not_b32_e32 v5, v5
	v_ashrrev_i32_e32 v5, 31, v5
	v_xor_b32_e32 v18, s29, v5
	v_xor_b32_e32 v5, s28, v5
	v_and_b32_e32 v19, v21, v18
	v_and_b32_e32 v18, v52, v5
	v_mbcnt_lo_u32_b32 v5, v18, 0
	v_mbcnt_hi_u32_b32 v54, v19, v5
	v_cmp_eq_u32_e64 s[28:29], 0, v54
	v_cmp_ne_u64_e64 s[30:31], 0, v[18:19]
	s_and_b64 s[30:31], s[30:31], s[28:29]
	flat_store_dwordx4 v[26:27], v[14:17] offset:16
	s_waitcnt lgkmcnt(0)
	s_barrier
	s_waitcnt lgkmcnt(0)
	; wave barrier
	s_and_saveexec_b64 s[28:29], s[30:31]
	s_cbranch_execz .LBB292_154
; %bb.153:                              ;   in Loop: Header=BB292_152 Depth=1
	v_bcnt_u32_b32 v5, v18, 0
	v_bcnt_u32_b32 v5, v19, v5
	flat_store_dword v[50:51], v5
.LBB292_154:                            ;   in Loop: Header=BB292_152 Depth=1
	s_or_b64 exec, exec, s[28:29]
	v_lshrrev_b16_e32 v69, 8, v66
	v_lshrrev_b32_e32 v5, v10, v69
	v_and_b32_e32 v18, v5, v20
	v_lshlrev_b32_e32 v5, 2, v18
	v_add_lshl_u32 v5, v5, v25, 2
	v_add_co_u32_e64 v52, s[28:29], v9, v5
	v_addc_co_u32_e64 v53, s[28:29], 0, v23, s[28:29]
	; wave barrier
	flat_load_dword v55, v[52:53]
	v_and_b32_e32 v5, 1, v18
	v_add_co_u32_e64 v19, s[28:29], -1, v5
	v_addc_co_u32_e64 v20, s[28:29], 0, -1, s[28:29]
	v_cmp_ne_u32_e64 s[28:29], 0, v5
	v_xor_b32_e32 v5, s29, v20
	v_and_b32_e32 v20, exec_hi, v5
	v_lshlrev_b32_e32 v5, 30, v18
	v_xor_b32_e32 v19, s28, v19
	v_cmp_gt_i64_e64 s[28:29], 0, v[4:5]
	v_not_b32_e32 v5, v5
	v_ashrrev_i32_e32 v5, 31, v5
	v_and_b32_e32 v19, exec_lo, v19
	v_xor_b32_e32 v21, s29, v5
	v_xor_b32_e32 v5, s28, v5
	v_and_b32_e32 v19, v19, v5
	v_lshlrev_b32_e32 v5, 29, v18
	v_cmp_gt_i64_e64 s[28:29], 0, v[4:5]
	v_not_b32_e32 v5, v5
	v_ashrrev_i32_e32 v5, 31, v5
	v_and_b32_e32 v20, v20, v21
	v_xor_b32_e32 v21, s29, v5
	v_xor_b32_e32 v5, s28, v5
	v_and_b32_e32 v19, v19, v5
	v_lshlrev_b32_e32 v5, 28, v18
	v_cmp_gt_i64_e64 s[28:29], 0, v[4:5]
	v_not_b32_e32 v5, v5
	v_ashrrev_i32_e32 v5, 31, v5
	v_and_b32_e32 v20, v20, v21
	;; [unrolled: 8-line block ×5, first 2 shown]
	v_xor_b32_e32 v21, s29, v5
	v_xor_b32_e32 v5, s28, v5
	v_and_b32_e32 v20, v20, v21
	v_and_b32_e32 v21, v19, v5
	v_lshlrev_b32_e32 v5, 24, v18
	v_cmp_gt_i64_e64 s[28:29], 0, v[4:5]
	v_not_b32_e32 v5, v5
	v_ashrrev_i32_e32 v5, 31, v5
	v_xor_b32_e32 v18, s29, v5
	v_xor_b32_e32 v5, s28, v5
	v_and_b32_e32 v19, v20, v18
	v_and_b32_e32 v18, v21, v5
	v_mbcnt_lo_u32_b32 v5, v18, 0
	v_mbcnt_hi_u32_b32 v5, v19, v5
	v_cmp_eq_u32_e64 s[28:29], 0, v5
	v_cmp_ne_u64_e64 s[30:31], 0, v[18:19]
	s_and_b64 s[30:31], s[30:31], s[28:29]
	; wave barrier
	s_and_saveexec_b64 s[28:29], s[30:31]
	s_cbranch_execz .LBB292_156
; %bb.155:                              ;   in Loop: Header=BB292_152 Depth=1
	v_bcnt_u32_b32 v18, v18, 0
	v_bcnt_u32_b32 v18, v19, v18
	s_waitcnt vmcnt(0) lgkmcnt(0)
	v_add_u32_e32 v18, v55, v18
	flat_store_dword v[52:53], v18
.LBB292_156:                            ;   in Loop: Header=BB292_152 Depth=1
	s_or_b64 exec, exec, s[28:29]
	; wave barrier
	s_waitcnt lgkmcnt(0)
	s_barrier
	flat_load_dwordx4 v[18:21], v[26:27] offset:16
	s_waitcnt vmcnt(0) lgkmcnt(0)
	v_add_u32_e32 v64, v19, v18
	v_add3_u32 v21, v64, v20, v21
	s_nop 1
	v_mov_b32_dpp v64, v21 row_shr:1 row_mask:0xf bank_mask:0xf
	v_cndmask_b32_e64 v64, v64, 0, vcc
	v_add_u32_e32 v21, v64, v21
	s_nop 1
	v_mov_b32_dpp v64, v21 row_shr:2 row_mask:0xf bank_mask:0xf
	v_cndmask_b32_e64 v64, 0, v64, s[4:5]
	v_add_u32_e32 v21, v21, v64
	s_nop 1
	v_mov_b32_dpp v64, v21 row_shr:4 row_mask:0xf bank_mask:0xf
	v_cndmask_b32_e64 v64, 0, v64, s[6:7]
	v_add_u32_e32 v21, v21, v64
	s_nop 1
	v_mov_b32_dpp v64, v21 row_shr:8 row_mask:0xf bank_mask:0xf
	v_cndmask_b32_e64 v64, 0, v64, s[8:9]
	v_add_u32_e32 v21, v21, v64
	s_nop 1
	v_mov_b32_dpp v64, v21 row_bcast:15 row_mask:0xf bank_mask:0xf
	v_cndmask_b32_e64 v64, v64, 0, s[10:11]
	v_add_u32_e32 v21, v21, v64
	s_nop 1
	v_mov_b32_dpp v64, v21 row_bcast:31 row_mask:0xf bank_mask:0xf
	v_cndmask_b32_e64 v64, 0, v64, s[12:13]
	v_add_u32_e32 v21, v21, v64
	s_and_saveexec_b64 s[28:29], s[14:15]
	s_cbranch_execz .LBB292_158
; %bb.157:                              ;   in Loop: Header=BB292_152 Depth=1
	flat_store_dword v[28:29], v21
.LBB292_158:                            ;   in Loop: Header=BB292_152 Depth=1
	s_or_b64 exec, exec, s[28:29]
	s_waitcnt lgkmcnt(0)
	s_barrier
	s_and_saveexec_b64 s[28:29], s[16:17]
	s_cbranch_execz .LBB292_160
; %bb.159:                              ;   in Loop: Header=BB292_152 Depth=1
	flat_load_dword v64, v[30:31]
	s_waitcnt vmcnt(0) lgkmcnt(0)
	s_nop 0
	v_mov_b32_dpp v65, v64 row_shr:1 row_mask:0xf bank_mask:0xf
	v_cndmask_b32_e64 v65, v65, 0, s[24:25]
	v_add_u32_e32 v64, v65, v64
	s_nop 1
	v_mov_b32_dpp v65, v64 row_shr:2 row_mask:0xf bank_mask:0xf
	v_cndmask_b32_e64 v65, 0, v65, s[26:27]
	v_add_u32_e32 v64, v64, v65
	flat_store_dword v[30:31], v64
.LBB292_160:                            ;   in Loop: Header=BB292_152 Depth=1
	s_or_b64 exec, exec, s[28:29]
	v_mov_b32_e32 v64, 0
	s_waitcnt lgkmcnt(0)
	s_barrier
	s_and_saveexec_b64 s[28:29], s[18:19]
	s_cbranch_execz .LBB292_162
; %bb.161:                              ;   in Loop: Header=BB292_152 Depth=1
	flat_load_dword v64, v[32:33]
.LBB292_162:                            ;   in Loop: Header=BB292_152 Depth=1
	s_or_b64 exec, exec, s[28:29]
	s_waitcnt vmcnt(0) lgkmcnt(0)
	v_add_u32_e32 v21, v64, v21
	ds_bpermute_b32 v21, v67, v21
	v_add_u32_e32 v10, 8, v10
	v_cmp_lt_u32_e64 s[28:29], v10, v11
	s_mov_b64 s[40:41], -1
	s_waitcnt lgkmcnt(0)
	v_cndmask_b32_e64 v21, v21, v64, s[20:21]
	v_cndmask_b32_e64 v80, v21, 0, s[22:23]
	v_add_u32_e32 v81, v80, v18
	v_add_u32_e32 v82, v81, v19
	;; [unrolled: 1-line block ×3, first 2 shown]
	flat_store_dwordx4 v[26:27], v[80:83] offset:16
	s_waitcnt lgkmcnt(0)
	s_barrier
	flat_load_dword v18, v[50:51]
	flat_load_dword v19, v[52:53]
	v_mov_b32_e32 v51, v66
	s_waitcnt lgkmcnt(0)
                                        ; implicit-def: $vgpr20_vgpr21
	s_waitcnt vmcnt(0) lgkmcnt(0)
	v_add_u32_e32 v52, v18, v54
	v_add_co_u32_e64 v54, s[30:31], v12, v52
	v_add3_u32 v50, v5, v55, v19
	v_addc_co_u32_e64 v55, s[30:31], 0, v13, s[30:31]
	v_add_co_u32_e64 v64, s[30:31], v12, v50
	v_addc_co_u32_e64 v65, s[30:31], 0, v13, s[30:31]
                                        ; implicit-def: $vgpr18_vgpr19
	s_and_saveexec_b64 s[30:31], s[28:29]
	s_cbranch_execz .LBB292_151
; %bb.163:                              ;   in Loop: Header=BB292_152 Depth=1
	s_barrier
	flat_store_byte v[54:55], v66
	flat_store_byte v[64:65], v69
	s_waitcnt lgkmcnt(0)
	s_barrier
	flat_load_ubyte v5, v[38:39]
	flat_load_ubyte v53, v[38:39] offset:64
	v_mad_u64_u32 v[18:19], s[28:29], v52, 7, v[54:55]
	s_waitcnt lgkmcnt(0)
	s_barrier
	flat_store_dwordx2 v[18:19], v[36:37]
	v_mad_u64_u32 v[18:19], s[28:29], v50, 7, v[64:65]
	flat_store_dwordx2 v[18:19], v[34:35]
	s_waitcnt lgkmcnt(0)
	s_barrier
	flat_load_dwordx2 v[18:19], v[48:49]
	flat_load_dwordx2 v[20:21], v[48:49] offset:512
	v_add_u32_e32 v68, -8, v68
	s_xor_b64 s[40:41], exec, -1
	s_waitcnt lgkmcnt(0)
	s_barrier
	s_waitcnt vmcnt(0)
	v_lshlrev_b16_e32 v53, 8, v53
	v_or_b32_e32 v5, v5, v53
	v_and_b32_e32 v66, 0xffff, v5
	s_branch .LBB292_151
.LBB292_164:
	flat_load_dwordx2 v[18:19], v[4:5]
	s_or_b64 exec, exec, s[14:15]
                                        ; implicit-def: $vgpr20_vgpr21
	s_and_saveexec_b64 s[14:15], s[4:5]
	s_cbranch_execz .LBB292_91
.LBB292_165:
	flat_load_dwordx2 v[20:21], v[4:5] offset:512
	s_or_b64 exec, exec, s[14:15]
                                        ; implicit-def: $vgpr54_vgpr55
	s_and_saveexec_b64 s[4:5], s[6:7]
	s_cbranch_execz .LBB292_92
.LBB292_166:
	flat_load_dwordx2 v[54:55], v[4:5] offset:1024
	s_or_b64 exec, exec, s[4:5]
                                        ; implicit-def: $vgpr64_vgpr65
	s_and_saveexec_b64 s[4:5], s[10:11]
	s_cbranch_execnz .LBB292_93
	s_branch .LBB292_94
.LBB292_167:
	s_waitcnt vmcnt(0)
	flat_store_dwordx2 v[0:1], v[14:15]
	s_or_b64 exec, exec, s[14:15]
	s_and_saveexec_b64 s[14:15], s[4:5]
	s_cbranch_execz .LBB292_136
.LBB292_168:
	s_waitcnt vmcnt(0)
	flat_store_dwordx2 v[0:1], v[12:13] offset:2048
	s_or_b64 exec, exec, s[14:15]
	s_and_saveexec_b64 s[4:5], s[10:11]
	s_cbranch_execz .LBB292_137
.LBB292_169:
	v_add_co_u32_e32 v2, vcc, 0x1000, v0
	v_addc_co_u32_e32 v3, vcc, 0, v1, vcc
	s_waitcnt vmcnt(0)
	flat_store_dwordx2 v[2:3], v[10:11]
	s_or_b64 exec, exec, s[4:5]
	s_and_saveexec_b64 s[4:5], s[6:7]
	s_cbranch_execnz .LBB292_138
	s_branch .LBB292_139
.LBB292_170:
	s_or_b64 exec, exec, s[36:37]
	v_add_co_u32_e32 v4, vcc, v12, v24
	v_addc_co_u32_e32 v5, vcc, 0, v13, vcc
	v_mad_u64_u32 v[10:11], s[4:5], v52, 7, v[54:55]
	s_barrier
	flat_store_byte v[54:55], v51
	flat_store_byte v[64:65], v69
	s_waitcnt lgkmcnt(0)
	s_barrier
	flat_load_ubyte v12, v[4:5]
	flat_load_ubyte v9, v[4:5] offset:256
	s_waitcnt lgkmcnt(0)
	s_barrier
	flat_store_dwordx2 v[10:11], v[36:37]
	v_mad_u64_u32 v[10:11], s[4:5], v50, 7, v[64:65]
	v_mad_u64_u32 v[14:15], s[4:5], v24, 7, v[4:5]
	flat_store_dwordx2 v[10:11], v[34:35]
	s_waitcnt lgkmcnt(0)
	s_barrier
	flat_load_dwordx2 v[10:11], v[14:15]
	flat_load_dwordx2 v[4:5], v[14:15] offset:2048
	v_add_co_u32_e32 v2, vcc, v2, v8
	v_addc_co_u32_e32 v3, vcc, 0, v3, vcc
	v_add_co_u32_e32 v2, vcc, v2, v22
	v_addc_co_u32_e32 v3, vcc, 0, v3, vcc
	v_mov_b32_e32 v23, 0
	v_cmp_lt_u32_e32 vcc, v22, v103
	s_waitcnt lgkmcnt(0)
	s_barrier
	s_and_saveexec_b64 s[4:5], vcc
	s_cbranch_execz .LBB292_172
; %bb.171:
	s_waitcnt vmcnt(0)
	v_xor_b32_e32 v8, 0x7f, v12
	flat_store_byte v[2:3], v8
.LBB292_172:
	s_or_b64 exec, exec, s[4:5]
	v_add_u32_e32 v8, 0x100, v22
	v_cmp_lt_u32_e64 s[4:5], v8, v103
	s_and_saveexec_b64 s[6:7], s[4:5]
	s_cbranch_execz .LBB292_174
; %bb.173:
	s_waitcnt vmcnt(0)
	v_xor_b32_e32 v8, 0x7f, v9
	flat_store_byte v[2:3], v8 offset:256
.LBB292_174:
	s_or_b64 exec, exec, s[6:7]
	v_add_co_u32_e64 v2, s[6:7], v6, v0
	v_addc_co_u32_e64 v3, s[6:7], v7, v1, s[6:7]
	v_lshlrev_b64 v[0:1], 3, v[22:23]
	v_add_co_u32_e64 v0, s[6:7], v2, v0
	v_addc_co_u32_e64 v1, s[6:7], v3, v1, s[6:7]
	s_and_saveexec_b64 s[6:7], vcc
	s_cbranch_execz .LBB292_176
; %bb.175:
	s_waitcnt vmcnt(0)
	flat_store_dwordx2 v[0:1], v[10:11]
.LBB292_176:
	s_or_b64 exec, exec, s[6:7]
	s_and_saveexec_b64 s[6:7], s[4:5]
	s_cbranch_execz .LBB292_178
; %bb.177:
	s_waitcnt vmcnt(0)
	flat_store_dwordx2 v[0:1], v[4:5] offset:2048
.LBB292_178:
	s_or_b64 exec, exec, s[6:7]
                                        ; implicit-def: $vgpr24
                                        ; implicit-def: $vgpr22_vgpr23
                                        ; implicit-def: $vgpr8_vgpr9
                                        ; implicit-def: $vgpr103
                                        ; implicit-def: $vgpr0
                                        ; implicit-def: $vgpr1
                                        ; implicit-def: $vgpr2
                                        ; implicit-def: $vgpr3
                                        ; implicit-def: $vgpr4
                                        ; implicit-def: $vgpr5
                                        ; implicit-def: $vgpr6
                                        ; implicit-def: $vgpr7
                                        ; implicit-def: $vgpr10
                                        ; implicit-def: $vgpr11
                                        ; implicit-def: $vgpr12
                                        ; implicit-def: $vgpr13
                                        ; implicit-def: $vgpr14
.LBB292_179:
	s_andn2_saveexec_b64 s[4:5], s[34:35]
	s_cbranch_execz .LBB292_199
; %bb.180:
	v_mbcnt_hi_u32_b32 v17, -1, v14
	v_bfi_b32 v15, 63, v17, v22
	v_and_b32_e32 v16, 63, v17
	v_and_b32_e32 v14, 0xffffffc0, v22
	v_cmp_lt_u32_e32 vcc, v15, v103
	v_mov_b32_e32 v21, 0xff
	s_and_saveexec_b64 s[6:7], vcc
	s_cbranch_execz .LBB292_182
; %bb.181:
	v_add_co_u32_e64 v0, s[4:5], v0, v8
	v_addc_co_u32_e64 v1, s[4:5], 0, v1, s[4:5]
	v_add_co_u32_e64 v0, s[4:5], v0, v16
	v_addc_co_u32_e64 v1, s[4:5], 0, v1, s[4:5]
	;; [unrolled: 2-line block ×3, first 2 shown]
	flat_load_ubyte v0, v[0:1]
	s_waitcnt vmcnt(0) lgkmcnt(0)
	v_xor_b32_e32 v21, 0x7f, v0
.LBB292_182:
	s_or_b64 exec, exec, s[6:7]
	s_waitcnt vmcnt(0)
	v_lshlrev_b64 v[0:1], 3, v[8:9]
                                        ; implicit-def: $vgpr18_vgpr19
	s_and_saveexec_b64 s[4:5], vcc
	s_cbranch_execz .LBB292_184
; %bb.183:
	v_add_co_u32_e32 v4, vcc, v4, v0
	v_addc_co_u32_e32 v5, vcc, v5, v1, vcc
	v_lshlrev_b32_e32 v9, 3, v16
	v_mov_b32_e32 v15, 0
	v_add_co_u32_e32 v9, vcc, v4, v9
	v_addc_co_u32_e32 v18, vcc, 0, v5, vcc
	v_lshlrev_b64 v[4:5], 3, v[14:15]
	v_add_co_u32_e32 v4, vcc, v9, v4
	v_addc_co_u32_e32 v5, vcc, v18, v5, vcc
	flat_load_dwordx2 v[18:19], v[4:5]
.LBB292_184:
	s_or_b64 exec, exec, s[4:5]
	v_add_co_u32_e32 v9, vcc, 16, v12
	v_and_b32_e32 v20, 0x3c0, v24
	v_addc_co_u32_e32 v23, vcc, 0, v13, vcc
	v_lshlrev_b32_e32 v14, 4, v24
	v_min_u32_e32 v15, 0xc0, v20
	v_add_co_u32_e32 v26, vcc, v12, v14
	v_or_b32_e32 v15, 63, v15
	s_getpc_b64 s[4:5]
	s_add_u32 s4, s4, _ZN7rocprim17ROCPRIM_400000_NS16block_radix_sortIaLj256ELj1ElLj1ELj1ELj8ELNS0_26block_radix_rank_algorithmE2ELNS0_18block_padding_hintE2ELNS0_4arch9wavefront6targetE1EE19radix_bits_per_passE@rel32@lo+4
	s_addc_u32 s5, s5, _ZN7rocprim17ROCPRIM_400000_NS16block_radix_sortIaLj256ELj1ElLj1ELj1ELj8ELNS0_26block_radix_rank_algorithmE2ELNS0_18block_padding_hintE2ELNS0_4arch9wavefront6targetE1EE19radix_bits_per_passE@rel32@hi+12
	v_addc_co_u32_e32 v27, vcc, 0, v13, vcc
	v_and_b32_e32 v14, 15, v17
	v_cmp_eq_u32_e64 s[14:15], v15, v24
	v_add_u32_e32 v15, -1, v17
	v_and_b32_e32 v28, 64, v17
	s_load_dword s40, s[4:5], 0x0
	v_cmp_eq_u32_e32 vcc, 0, v14
	v_cmp_lt_u32_e64 s[4:5], 1, v14
	v_cmp_lt_u32_e64 s[6:7], 3, v14
	;; [unrolled: 1-line block ×3, first 2 shown]
	v_and_b32_e32 v14, 16, v17
	v_cmp_lt_i32_e64 s[20:21], v15, v28
	v_cmp_eq_u32_e64 s[10:11], 0, v14
	v_lshrrev_b32_e32 v14, 6, v24
	v_cndmask_b32_e64 v15, v15, v17, s[20:21]
	v_lshlrev_b32_e32 v50, 2, v15
	v_lshlrev_b32_e32 v15, 2, v14
	v_mov_b32_e32 v4, 0
	v_add_co_u32_e64 v28, s[24:25], v12, v15
	v_lshlrev_b32_e32 v5, 2, v24
	v_addc_co_u32_e64 v29, s[24:25], 0, v13, s[24:25]
	v_add_u32_e32 v14, -1, v14
	v_mov_b32_e32 v15, v4
	v_add_co_u32_e64 v30, s[24:25], v12, v5
	v_lshlrev_b64 v[14:15], 2, v[14:15]
	v_addc_co_u32_e64 v31, s[24:25], 0, v13, s[24:25]
	v_and_b32_e32 v5, 3, v17
	v_add_co_u32_e64 v32, s[28:29], v12, v14
	v_cmp_eq_u32_e64 s[24:25], 0, v5
	v_cmp_lt_u32_e64 s[26:27], 1, v5
	v_addc_co_u32_e64 v33, s[28:29], v13, v15, s[28:29]
	v_or_b32_e32 v5, v16, v20
	v_add_co_u32_e64 v36, s[28:29], v12, v5
	v_addc_co_u32_e64 v37, s[28:29], 0, v13, s[28:29]
	v_lshrrev_b32_e32 v25, 6, v22
	v_cmp_lt_u32_e64 s[12:13], 31, v17
	v_cmp_gt_u32_e64 s[16:17], 4, v24
	v_cmp_lt_u32_e64 s[18:19], 63, v24
	v_cmp_eq_u32_e64 s[20:21], 0, v17
	v_cmp_eq_u32_e64 s[22:23], 0, v24
	v_mad_u64_u32 v[38:39], s[28:29], v5, 7, v[36:37]
	v_sub_u32_e32 v51, v11, v10
	s_mov_b64 s[34:35], 0
	v_mov_b32_e32 v14, 0
	v_mov_b32_e32 v15, v4
	;; [unrolled: 1-line block ×4, first 2 shown]
	s_waitcnt lgkmcnt(0)
	s_barrier
	s_branch .LBB292_186
.LBB292_185:                            ;   in Loop: Header=BB292_186 Depth=1
	s_or_b64 exec, exec, s[30:31]
	s_and_b64 s[28:29], exec, s[36:37]
	s_or_b64 s[34:35], s[28:29], s[34:35]
	s_andn2_b64 exec, exec, s[34:35]
	s_cbranch_execz .LBB292_196
.LBB292_186:                            ; =>This Inner Loop Header: Depth=1
	s_waitcnt vmcnt(0)
	v_mov_b32_e32 v52, v21
	s_waitcnt vmcnt(0)
	v_pk_mov_b32 v[34:35], v[18:19], v[18:19] op_sel:[0,1]
	v_min_u32_e32 v5, s40, v51
	v_lshrrev_b32_sdwa v18, v10, v52 dst_sel:DWORD dst_unused:UNUSED_PAD src0_sel:DWORD src1_sel:BYTE_0
	v_bfe_u32 v18, v18, 0, v5
	v_lshlrev_b32_e32 v5, 2, v18
	v_add_lshl_u32 v5, v5, v25, 2
	v_add_co_u32_e64 v48, s[28:29], v9, v5
	v_addc_co_u32_e64 v49, s[28:29], 0, v23, s[28:29]
	v_and_b32_e32 v5, 1, v18
	v_add_co_u32_e64 v19, s[28:29], -1, v5
	v_addc_co_u32_e64 v20, s[28:29], 0, -1, s[28:29]
	v_cmp_ne_u32_e64 s[28:29], 0, v5
	v_xor_b32_e32 v5, s29, v20
	v_and_b32_e32 v20, exec_hi, v5
	v_lshlrev_b32_e32 v5, 30, v18
	v_xor_b32_e32 v19, s28, v19
	v_cmp_gt_i64_e64 s[28:29], 0, v[4:5]
	v_not_b32_e32 v5, v5
	v_ashrrev_i32_e32 v5, 31, v5
	v_and_b32_e32 v19, exec_lo, v19
	v_xor_b32_e32 v21, s29, v5
	v_xor_b32_e32 v5, s28, v5
	v_and_b32_e32 v19, v19, v5
	v_lshlrev_b32_e32 v5, 29, v18
	v_cmp_gt_i64_e64 s[28:29], 0, v[4:5]
	v_not_b32_e32 v5, v5
	v_ashrrev_i32_e32 v5, 31, v5
	v_and_b32_e32 v20, v20, v21
	v_xor_b32_e32 v21, s29, v5
	v_xor_b32_e32 v5, s28, v5
	v_and_b32_e32 v19, v19, v5
	v_lshlrev_b32_e32 v5, 28, v18
	v_cmp_gt_i64_e64 s[28:29], 0, v[4:5]
	v_not_b32_e32 v5, v5
	v_ashrrev_i32_e32 v5, 31, v5
	v_and_b32_e32 v20, v20, v21
	;; [unrolled: 8-line block ×5, first 2 shown]
	v_xor_b32_e32 v21, s29, v5
	v_xor_b32_e32 v5, s28, v5
	v_and_b32_e32 v20, v20, v21
	v_and_b32_e32 v21, v19, v5
	v_lshlrev_b32_e32 v5, 24, v18
	v_cmp_gt_i64_e64 s[28:29], 0, v[4:5]
	v_not_b32_e32 v5, v5
	v_ashrrev_i32_e32 v5, 31, v5
	v_xor_b32_e32 v18, s29, v5
	v_xor_b32_e32 v5, s28, v5
	v_and_b32_e32 v19, v20, v18
	v_and_b32_e32 v18, v21, v5
	v_mbcnt_lo_u32_b32 v5, v18, 0
	v_mbcnt_hi_u32_b32 v5, v19, v5
	v_cmp_eq_u32_e64 s[28:29], 0, v5
	v_cmp_ne_u64_e64 s[30:31], 0, v[18:19]
	s_and_b64 s[30:31], s[30:31], s[28:29]
	flat_store_dwordx4 v[26:27], v[14:17] offset:16
	s_waitcnt lgkmcnt(0)
	s_barrier
	s_waitcnt lgkmcnt(0)
	; wave barrier
	s_and_saveexec_b64 s[28:29], s[30:31]
	s_cbranch_execz .LBB292_188
; %bb.187:                              ;   in Loop: Header=BB292_186 Depth=1
	v_bcnt_u32_b32 v18, v18, 0
	v_bcnt_u32_b32 v18, v19, v18
	flat_store_dword v[48:49], v18
.LBB292_188:                            ;   in Loop: Header=BB292_186 Depth=1
	s_or_b64 exec, exec, s[28:29]
	; wave barrier
	s_waitcnt lgkmcnt(0)
	s_barrier
	flat_load_dwordx4 v[18:21], v[26:27] offset:16
	s_waitcnt vmcnt(0) lgkmcnt(0)
	v_add_u32_e32 v53, v19, v18
	v_add3_u32 v21, v53, v20, v21
	s_nop 1
	v_mov_b32_dpp v53, v21 row_shr:1 row_mask:0xf bank_mask:0xf
	v_cndmask_b32_e64 v53, v53, 0, vcc
	v_add_u32_e32 v21, v53, v21
	s_nop 1
	v_mov_b32_dpp v53, v21 row_shr:2 row_mask:0xf bank_mask:0xf
	v_cndmask_b32_e64 v53, 0, v53, s[4:5]
	v_add_u32_e32 v21, v21, v53
	s_nop 1
	v_mov_b32_dpp v53, v21 row_shr:4 row_mask:0xf bank_mask:0xf
	v_cndmask_b32_e64 v53, 0, v53, s[6:7]
	;; [unrolled: 4-line block ×3, first 2 shown]
	v_add_u32_e32 v21, v21, v53
	s_nop 1
	v_mov_b32_dpp v53, v21 row_bcast:15 row_mask:0xf bank_mask:0xf
	v_cndmask_b32_e64 v53, v53, 0, s[10:11]
	v_add_u32_e32 v21, v21, v53
	s_nop 1
	v_mov_b32_dpp v53, v21 row_bcast:31 row_mask:0xf bank_mask:0xf
	v_cndmask_b32_e64 v53, 0, v53, s[12:13]
	v_add_u32_e32 v21, v21, v53
	s_and_saveexec_b64 s[28:29], s[14:15]
	s_cbranch_execz .LBB292_190
; %bb.189:                              ;   in Loop: Header=BB292_186 Depth=1
	flat_store_dword v[28:29], v21
.LBB292_190:                            ;   in Loop: Header=BB292_186 Depth=1
	s_or_b64 exec, exec, s[28:29]
	s_waitcnt lgkmcnt(0)
	s_barrier
	s_and_saveexec_b64 s[28:29], s[16:17]
	s_cbranch_execz .LBB292_192
; %bb.191:                              ;   in Loop: Header=BB292_186 Depth=1
	flat_load_dword v53, v[30:31]
	s_waitcnt vmcnt(0) lgkmcnt(0)
	s_nop 0
	v_mov_b32_dpp v54, v53 row_shr:1 row_mask:0xf bank_mask:0xf
	v_cndmask_b32_e64 v54, v54, 0, s[24:25]
	v_add_u32_e32 v53, v54, v53
	s_nop 1
	v_mov_b32_dpp v54, v53 row_shr:2 row_mask:0xf bank_mask:0xf
	v_cndmask_b32_e64 v54, 0, v54, s[26:27]
	v_add_u32_e32 v53, v53, v54
	flat_store_dword v[30:31], v53
.LBB292_192:                            ;   in Loop: Header=BB292_186 Depth=1
	s_or_b64 exec, exec, s[28:29]
	v_mov_b32_e32 v53, 0
	s_waitcnt lgkmcnt(0)
	s_barrier
	s_and_saveexec_b64 s[28:29], s[18:19]
	s_cbranch_execz .LBB292_194
; %bb.193:                              ;   in Loop: Header=BB292_186 Depth=1
	flat_load_dword v53, v[32:33]
.LBB292_194:                            ;   in Loop: Header=BB292_186 Depth=1
	s_or_b64 exec, exec, s[28:29]
	s_waitcnt vmcnt(0) lgkmcnt(0)
	v_add_u32_e32 v21, v53, v21
	ds_bpermute_b32 v21, v50, v21
	v_add_u32_e32 v10, 8, v10
	v_cmp_lt_u32_e64 s[28:29], v10, v11
	s_mov_b64 s[36:37], -1
	s_waitcnt lgkmcnt(0)
	v_cndmask_b32_e64 v21, v21, v53, s[20:21]
	v_cndmask_b32_e64 v64, v21, 0, s[22:23]
	v_add_u32_e32 v65, v64, v18
	v_add_u32_e32 v66, v65, v19
	;; [unrolled: 1-line block ×3, first 2 shown]
	flat_store_dwordx4 v[26:27], v[64:67] offset:16
	s_waitcnt lgkmcnt(0)
	s_barrier
	flat_load_dword v18, v[48:49]
	s_waitcnt lgkmcnt(0)
                                        ; implicit-def: $vgpr21
	s_waitcnt vmcnt(0) lgkmcnt(0)
	v_add_u32_e32 v20, v18, v5
	v_add_co_u32_e64 v48, s[30:31], v12, v20
	v_addc_co_u32_e64 v49, s[30:31], 0, v13, s[30:31]
                                        ; implicit-def: $vgpr18_vgpr19
	s_and_saveexec_b64 s[30:31], s[28:29]
	s_cbranch_execz .LBB292_185
; %bb.195:                              ;   in Loop: Header=BB292_186 Depth=1
	v_mad_u64_u32 v[18:19], s[28:29], v20, 7, v[48:49]
	s_barrier
	flat_store_byte v[48:49], v52
	s_waitcnt lgkmcnt(0)
	s_barrier
	flat_load_ubyte v21, v[36:37]
	s_waitcnt lgkmcnt(0)
	s_barrier
	flat_store_dwordx2 v[18:19], v[34:35]
	s_waitcnt lgkmcnt(0)
	s_barrier
	flat_load_dwordx2 v[18:19], v[38:39]
	v_add_u32_e32 v51, -8, v51
	s_xor_b64 s[36:37], exec, -1
	s_waitcnt lgkmcnt(0)
	s_barrier
	s_branch .LBB292_185
.LBB292_196:
	s_or_b64 exec, exec, s[34:35]
	v_add_co_u32_e32 v4, vcc, v12, v24
	v_addc_co_u32_e32 v5, vcc, 0, v13, vcc
	s_barrier
	flat_store_byte v[48:49], v52
	s_waitcnt lgkmcnt(0)
	s_barrier
	flat_load_ubyte v9, v[4:5]
	v_mad_u64_u32 v[10:11], s[4:5], v20, 7, v[48:49]
	v_mad_u64_u32 v[4:5], s[4:5], v24, 7, v[4:5]
	s_waitcnt lgkmcnt(0)
	s_barrier
	flat_store_dwordx2 v[10:11], v[34:35]
	s_waitcnt lgkmcnt(0)
	s_barrier
	flat_load_dwordx2 v[4:5], v[4:5]
	v_cmp_lt_u32_e32 vcc, v22, v103
	s_waitcnt lgkmcnt(0)
	s_barrier
	s_and_saveexec_b64 s[4:5], vcc
	s_cbranch_execz .LBB292_198
; %bb.197:
	v_add_co_u32_e32 v6, vcc, v6, v0
	v_mov_b32_e32 v23, 0
	v_addc_co_u32_e32 v7, vcc, v7, v1, vcc
	v_lshlrev_b64 v[0:1], 3, v[22:23]
	v_add_co_u32_e32 v0, vcc, v6, v0
	v_addc_co_u32_e32 v1, vcc, v7, v1, vcc
	v_add_co_u32_e32 v2, vcc, v2, v8
	v_addc_co_u32_e32 v3, vcc, 0, v3, vcc
	v_add_co_u32_e32 v2, vcc, v2, v22
	s_waitcnt vmcnt(0)
	v_xor_b32_e32 v6, 0x7f, v9
	v_addc_co_u32_e32 v3, vcc, 0, v3, vcc
	flat_store_byte v[2:3], v6
	flat_store_dwordx2 v[0:1], v[4:5]
.LBB292_198:
	s_or_b64 exec, exec, s[4:5]
.LBB292_199:
	s_or_b64 exec, exec, s[38:39]
	v_readlane_b32 s30, v40, 13
	v_readlane_b32 s31, v40, 14
	;; [unrolled: 1-line block ×15, first 2 shown]
	s_or_saveexec_b64 s[4:5], -1
	buffer_load_dword v40, off, s[0:3], s32 ; 4-byte Folded Reload
	s_mov_b64 exec, s[4:5]
	s_waitcnt vmcnt(0) lgkmcnt(0)
	s_setpc_b64 s[30:31]
.Lfunc_end292:
	.size	_ZN7rocprim17ROCPRIM_400000_NS6detail40segmented_radix_sort_single_block_helperIalLj256ELj8ELb1EE4sortIPKaPaPKlPlEEbT_T0_T1_T2_jjjjRNS3_12storage_typeE, .Lfunc_end292-_ZN7rocprim17ROCPRIM_400000_NS6detail40segmented_radix_sort_single_block_helperIalLj256ELj8ELb1EE4sortIPKaPaPKlPlEEbT_T0_T1_T2_jjjjRNS3_12storage_typeE
                                        ; -- End function
	.section	.AMDGPU.csdata,"",@progbits
; Function info:
; codeLenInByte = 16088
; NumSgprs: 51
; NumVgprs: 168
; NumAgprs: 0
; TotalNumVgprs: 168
; ScratchSize: 8
; MemoryBound: 1
	.section	.text._ZN7rocprim17ROCPRIM_400000_NS6detail17trampoline_kernelINS0_14default_configENS1_36segmented_radix_sort_config_selectorIalEEZNS1_25segmented_radix_sort_implIS3_Lb1EPKaPaPKlPlN2at6native12_GLOBAL__N_18offset_tEEE10hipError_tPvRmT1_PNSt15iterator_traitsISK_E10value_typeET2_T3_PNSL_ISQ_E10value_typeET4_jRbjT5_SW_jjP12ihipStream_tbEUlT_E_NS1_11comp_targetILNS1_3genE4ELNS1_11target_archE910ELNS1_3gpuE8ELNS1_3repE0EEENS1_30default_config_static_selectorELNS0_4arch9wavefront6targetE1EEEvSK_,"axG",@progbits,_ZN7rocprim17ROCPRIM_400000_NS6detail17trampoline_kernelINS0_14default_configENS1_36segmented_radix_sort_config_selectorIalEEZNS1_25segmented_radix_sort_implIS3_Lb1EPKaPaPKlPlN2at6native12_GLOBAL__N_18offset_tEEE10hipError_tPvRmT1_PNSt15iterator_traitsISK_E10value_typeET2_T3_PNSL_ISQ_E10value_typeET4_jRbjT5_SW_jjP12ihipStream_tbEUlT_E_NS1_11comp_targetILNS1_3genE4ELNS1_11target_archE910ELNS1_3gpuE8ELNS1_3repE0EEENS1_30default_config_static_selectorELNS0_4arch9wavefront6targetE1EEEvSK_,comdat
	.globl	_ZN7rocprim17ROCPRIM_400000_NS6detail17trampoline_kernelINS0_14default_configENS1_36segmented_radix_sort_config_selectorIalEEZNS1_25segmented_radix_sort_implIS3_Lb1EPKaPaPKlPlN2at6native12_GLOBAL__N_18offset_tEEE10hipError_tPvRmT1_PNSt15iterator_traitsISK_E10value_typeET2_T3_PNSL_ISQ_E10value_typeET4_jRbjT5_SW_jjP12ihipStream_tbEUlT_E_NS1_11comp_targetILNS1_3genE4ELNS1_11target_archE910ELNS1_3gpuE8ELNS1_3repE0EEENS1_30default_config_static_selectorELNS0_4arch9wavefront6targetE1EEEvSK_ ; -- Begin function _ZN7rocprim17ROCPRIM_400000_NS6detail17trampoline_kernelINS0_14default_configENS1_36segmented_radix_sort_config_selectorIalEEZNS1_25segmented_radix_sort_implIS3_Lb1EPKaPaPKlPlN2at6native12_GLOBAL__N_18offset_tEEE10hipError_tPvRmT1_PNSt15iterator_traitsISK_E10value_typeET2_T3_PNSL_ISQ_E10value_typeET4_jRbjT5_SW_jjP12ihipStream_tbEUlT_E_NS1_11comp_targetILNS1_3genE4ELNS1_11target_archE910ELNS1_3gpuE8ELNS1_3repE0EEENS1_30default_config_static_selectorELNS0_4arch9wavefront6targetE1EEEvSK_
	.p2align	8
	.type	_ZN7rocprim17ROCPRIM_400000_NS6detail17trampoline_kernelINS0_14default_configENS1_36segmented_radix_sort_config_selectorIalEEZNS1_25segmented_radix_sort_implIS3_Lb1EPKaPaPKlPlN2at6native12_GLOBAL__N_18offset_tEEE10hipError_tPvRmT1_PNSt15iterator_traitsISK_E10value_typeET2_T3_PNSL_ISQ_E10value_typeET4_jRbjT5_SW_jjP12ihipStream_tbEUlT_E_NS1_11comp_targetILNS1_3genE4ELNS1_11target_archE910ELNS1_3gpuE8ELNS1_3repE0EEENS1_30default_config_static_selectorELNS0_4arch9wavefront6targetE1EEEvSK_,@function
_ZN7rocprim17ROCPRIM_400000_NS6detail17trampoline_kernelINS0_14default_configENS1_36segmented_radix_sort_config_selectorIalEEZNS1_25segmented_radix_sort_implIS3_Lb1EPKaPaPKlPlN2at6native12_GLOBAL__N_18offset_tEEE10hipError_tPvRmT1_PNSt15iterator_traitsISK_E10value_typeET2_T3_PNSL_ISQ_E10value_typeET4_jRbjT5_SW_jjP12ihipStream_tbEUlT_E_NS1_11comp_targetILNS1_3genE4ELNS1_11target_archE910ELNS1_3gpuE8ELNS1_3repE0EEENS1_30default_config_static_selectorELNS0_4arch9wavefront6targetE1EEEvSK_: ; @_ZN7rocprim17ROCPRIM_400000_NS6detail17trampoline_kernelINS0_14default_configENS1_36segmented_radix_sort_config_selectorIalEEZNS1_25segmented_radix_sort_implIS3_Lb1EPKaPaPKlPlN2at6native12_GLOBAL__N_18offset_tEEE10hipError_tPvRmT1_PNSt15iterator_traitsISK_E10value_typeET2_T3_PNSL_ISQ_E10value_typeET4_jRbjT5_SW_jjP12ihipStream_tbEUlT_E_NS1_11comp_targetILNS1_3genE4ELNS1_11target_archE910ELNS1_3gpuE8ELNS1_3repE0EEENS1_30default_config_static_selectorELNS0_4arch9wavefront6targetE1EEEvSK_
; %bb.0:
	s_add_u32 flat_scratch_lo, s6, s10
	s_addc_u32 flat_scratch_hi, s7, 0
	s_mov_b32 s33, s9
	s_mov_b64 s[48:49], s[4:5]
	s_mov_b32 s50, s8
	s_load_dwordx2 s[8:9], s[4:5], 0x38
	s_nop 0
	s_load_dwordx4 s[4:7], s[4:5], 0x40
	s_add_u32 s0, s0, s10
	s_mov_b32 s11, 0
	s_mov_b32 s10, s50
	s_addc_u32 s1, s1, 0
	s_lshl_b64 s[10:11], s[10:11], 2
	s_waitcnt lgkmcnt(0)
	s_add_u32 s8, s8, s10
	s_addc_u32 s9, s9, s11
	s_load_dword s8, s[8:9], 0x0
	s_mov_b32 s32, 0
	s_waitcnt lgkmcnt(0)
	s_add_i32 s51, s8, s5
	s_add_i32 s76, s8, s7
	s_mul_i32 s51, s51, s4
	s_mul_i32 s76, s76, s6
	s_cmp_le_u32 s76, s51
	s_cbranch_scc1 .LBB293_678
; %bb.1:
	s_load_dword s4, s[48:49], 0x30
	s_load_dwordx4 s[64:67], s[48:49], 0x20
	s_load_dwordx4 s[68:71], s[48:49], 0x50
	s_load_dwordx8 s[56:63], s[48:49], 0x0
	s_waitcnt lgkmcnt(0)
	s_bitcmp1_b32 s4, 0
	s_cselect_b64 s[54:55], -1, 0
	s_sub_i32 s71, s76, s51
	s_cmpk_lt_u32 s71, 0x801
	s_mov_b64 s[4:5], -1
	s_cbranch_scc0 .LBB293_7
; %bb.2:
	s_and_b32 s4, s68, 1
	v_cndmask_b32_e64 v1, 0, 1, s[54:55]
	v_cmp_ne_u32_e32 vcc, s4, v1
	s_mov_b64 s[4:5], -1
	s_cbranch_vccnz .LBB293_4
; %bb.3:
	s_add_u32 s8, s48, 0x60
	s_mov_b64 s[4:5], src_shared_base
	s_addc_u32 s9, s49, 0
	s_mov_b32 s12, s50
	s_mov_b32 s13, s33
	v_mov_b32_e32 v31, v0
	v_mov_b32_e32 v41, v0
	;; [unrolled: 1-line block ×16, first 2 shown]
	s_getpc_b64 s[6:7]
	s_add_u32 s6, s6, _ZN7rocprim17ROCPRIM_400000_NS6detail40segmented_radix_sort_single_block_helperIalLj256ELj8ELb1EE4sortIPKaPaPKlPlEEbT_T0_T1_T2_jjjjRNS3_12storage_typeE@rel32@lo+4
	s_addc_u32 s7, s7, _ZN7rocprim17ROCPRIM_400000_NS6detail40segmented_radix_sort_single_block_helperIalLj256ELj8ELb1EE4sortIPKaPaPKlPlEEbT_T0_T1_T2_jjjjRNS3_12storage_typeE@rel32@hi+12
	s_swappc_b64 s[30:31], s[6:7]
	v_mov_b32_e32 v0, v41
	s_mov_b64 s[4:5], 0
.LBB293_4:
	s_andn2_b64 vcc, exec, s[4:5]
	s_cbranch_vccnz .LBB293_6
; %bb.5:
	s_add_u32 s8, s48, 0x60
	s_mov_b64 s[4:5], src_shared_base
	s_addc_u32 s9, s49, 0
	s_mov_b32 s12, s50
	s_mov_b32 s13, s33
	v_mov_b32_e32 v31, v0
	v_mov_b32_e32 v41, v0
	;; [unrolled: 1-line block ×16, first 2 shown]
	s_getpc_b64 s[6:7]
	s_add_u32 s6, s6, _ZN7rocprim17ROCPRIM_400000_NS6detail40segmented_radix_sort_single_block_helperIalLj256ELj8ELb1EE4sortIPKaPaPKlPlEEbT_T0_T1_T2_jjjjRNS3_12storage_typeE@rel32@lo+4
	s_addc_u32 s7, s7, _ZN7rocprim17ROCPRIM_400000_NS6detail40segmented_radix_sort_single_block_helperIalLj256ELj8ELb1EE4sortIPKaPaPKlPlEEbT_T0_T1_T2_jjjjRNS3_12storage_typeE@rel32@hi+12
	s_swappc_b64 s[30:31], s[6:7]
	v_mov_b32_e32 v0, v41
.LBB293_6:
	s_mov_b64 s[4:5], 0
.LBB293_7:
	s_andn2_b64 vcc, exec, s[4:5]
	s_cbranch_vccnz .LBB293_678
; %bb.8:
	s_cmp_ge_u32 s69, s70
	s_cbranch_scc1 .LBB293_678
; %bb.9:
	v_and_b32_e32 v2, 0x3ff, v0
	v_mov_b32_e32 v1, s61
	v_add_co_u32_e32 v28, vcc, s60, v2
	v_addc_co_u32_e32 v29, vcc, 0, v1, vcc
	v_or_b32_e32 v1, 63, v2
	v_cmp_eq_u32_e64 s[6:7], v1, v2
	v_lshrrev_b32_e32 v1, 4, v2
	v_and_b32_e32 v35, 12, v1
	v_lshlrev_b32_e32 v1, 3, v2
	v_bfe_u32 v40, v0, 20, 10
	v_bfe_u32 v41, v0, 10, 10
	v_mul_u32_u24_e32 v0, 5, v2
	v_mov_b32_e32 v43, 0x410
	v_and_b32_e32 v39, 0x600, v1
	v_lshl_add_u32 v44, v0, 2, v43
	v_lshlrev_b32_e32 v0, 4, v2
	v_sub_u32_e32 v45, 0, v0
	v_lshlrev_b32_e32 v0, 3, v39
	v_mov_b32_e32 v1, s67
	v_add_co_u32_e32 v46, vcc, s66, v0
	v_addc_co_u32_e32 v47, vcc, 0, v1, vcc
	v_mov_b32_e32 v1, s61
	v_add_co_u32_e32 v48, vcc, s60, v39
	v_addc_co_u32_e32 v49, vcc, 0, v1, vcc
	;; [unrolled: 3-line block ×7, first 2 shown]
	v_lshlrev_b32_e32 v3, 2, v2
	v_mov_b32_e32 v0, s57
	v_add_co_u32_e32 v61, vcc, s56, v39
	s_movk_i32 s4, 0x100
	v_mad_u32_u24 v34, v2, 12, v3
	s_add_u32 s74, s48, 0x60
	s_movk_i32 s14, 0xff
	v_addc_co_u32_e32 v62, vcc, 0, v0, vcc
	v_mbcnt_lo_u32_b32 v0, -1, 0
	s_mov_b32 s73, 0
	v_mov_b32_e32 v4, 0
	v_or_b32_e32 v24, 0x100, v2
	v_or_b32_e32 v25, 0x200, v2
	;; [unrolled: 1-line block ×3, first 2 shown]
	v_and_b32_e32 v27, 3, v2
	v_or_b32_e32 v30, 0x400, v2
	v_or_b32_e32 v31, 0x500, v2
	;; [unrolled: 1-line block ×4, first 2 shown]
	v_cmp_gt_u32_e64 s[4:5], s4, v2
	v_or_b32_e32 v36, 0x4400, v35
	v_cmp_gt_u32_e64 s[8:9], 4, v2
	v_add_u32_e32 v37, 0x4400, v3
	v_cmp_lt_u32_e64 s[10:11], 63, v2
	v_add_u32_e32 v38, 0x43fc, v35
	s_addc_u32 s75, s49, 0
	v_add_u32_e32 v42, v34, v3
	v_cmp_eq_u32_e64 s[12:13], 0, v2
	v_cmp_ne_u32_e64 s[14:15], s14, v2
	v_mul_u32_u24_e32 v50, 7, v2
	v_mov_b32_e32 v63, 1
	v_mbcnt_hi_u32_b32 v64, -1, v0
	s_mov_b32 s68, s69
	s_branch .LBB293_12
.LBB293_10:                             ;   in Loop: Header=BB293_12 Depth=1
	s_waitcnt lgkmcnt(0)
	s_barrier
.LBB293_11:                             ;   in Loop: Header=BB293_12 Depth=1
	s_add_i32 s68, s68, 8
	s_cmp_ge_u32 s68, s70
	s_cbranch_scc1 .LBB293_678
.LBB293_12:                             ; =>This Loop Header: Depth=1
                                        ;     Child Loop BB293_16 Depth 2
                                        ;     Child Loop BB293_66 Depth 2
	;; [unrolled: 1-line block ×8, first 2 shown]
	s_sub_i32 s16, s70, s68
	s_min_u32 s16, s16, 8
	s_lshl_b32 s16, -1, s16
	s_xor_b64 s[54:55], s[54:55], -1
	s_not_b32 s77, s16
	s_cmp_lg_u32 s68, s69
	s_mov_b64 s[16:17], -1
	ds_write2st64_b32 v3, v4, v4 offset1:4
	ds_write2st64_b32 v3, v4, v4 offset0:8 offset1:12
	s_waitcnt lgkmcnt(0)
	s_cbranch_scc0 .LBB293_346
; %bb.13:                               ;   in Loop: Header=BB293_12 Depth=1
	s_and_b64 vcc, exec, s[54:55]
	s_cbranch_vccz .LBB293_179
; %bb.14:                               ;   in Loop: Header=BB293_12 Depth=1
	s_mov_b32 s20, s71
	s_mov_b32 s22, s51
	s_barrier
	s_waitcnt lgkmcnt(0)
                                        ; implicit-def: $vgpr5
                                        ; implicit-def: $vgpr6
                                        ; implicit-def: $vgpr7
                                        ; implicit-def: $vgpr8
                                        ; implicit-def: $vgpr9
                                        ; implicit-def: $vgpr10
                                        ; implicit-def: $vgpr11
                                        ; implicit-def: $vgpr12
	s_branch .LBB293_16
.LBB293_15:                             ;   in Loop: Header=BB293_16 Depth=2
	s_or_b64 exec, exec, s[16:17]
	s_addk_i32 s20, 0xf800
	s_cmp_ge_u32 s21, s76
	s_mov_b32 s22, s21
	s_cbranch_scc1 .LBB293_54
.LBB293_16:                             ;   Parent Loop BB293_12 Depth=1
                                        ; =>  This Inner Loop Header: Depth=2
	s_add_i32 s21, s22, 0x800
	s_cmp_gt_u32 s21, s76
	s_cbranch_scc1 .LBB293_19
; %bb.17:                               ;   in Loop: Header=BB293_16 Depth=2
	v_add_co_u32_e32 v0, vcc, s22, v28
	v_addc_co_u32_e32 v1, vcc, 0, v29, vcc
	global_load_ubyte v20, v[0:1], off offset:1536
	global_load_ubyte v19, v[0:1], off offset:1280
	;; [unrolled: 1-line block ×6, first 2 shown]
	global_load_ubyte v14, v[0:1], off
	v_add_co_u32_e32 v0, vcc, 0x700, v0
	v_addc_co_u32_e32 v1, vcc, 0, v1, vcc
	s_mov_b64 s[16:17], -1
	s_movk_i32 s25, 0x800
	s_cbranch_execz .LBB293_20
; %bb.18:                               ;   in Loop: Header=BB293_16 Depth=2
                                        ; implicit-def: $vgpr5
                                        ; implicit-def: $vgpr6
                                        ; implicit-def: $vgpr7
                                        ; implicit-def: $vgpr8
                                        ; implicit-def: $vgpr9
                                        ; implicit-def: $vgpr10
                                        ; implicit-def: $vgpr11
                                        ; implicit-def: $vgpr12
	v_mov_b32_e32 v13, s20
	s_and_saveexec_b64 s[18:19], s[16:17]
	s_cbranch_execnz .LBB293_31
	s_branch .LBB293_32
.LBB293_19:                             ;   in Loop: Header=BB293_16 Depth=2
	s_mov_b64 s[16:17], 0
                                        ; implicit-def: $sgpr25
                                        ; implicit-def: $vgpr14
                                        ; implicit-def: $vgpr15
                                        ; implicit-def: $vgpr16
                                        ; implicit-def: $vgpr17
                                        ; implicit-def: $vgpr18
                                        ; implicit-def: $vgpr19
                                        ; implicit-def: $vgpr20
                                        ; implicit-def: $vgpr0_vgpr1
.LBB293_20:                             ;   in Loop: Header=BB293_16 Depth=2
	s_add_u32 s23, s60, s22
	s_addc_u32 s24, s61, 0
	v_cmp_gt_u32_e32 vcc, s20, v2
	s_and_saveexec_b64 s[18:19], vcc
	s_cbranch_execz .LBB293_48
; %bb.21:                               ;   in Loop: Header=BB293_16 Depth=2
	v_mov_b32_e32 v1, s24
	v_add_co_u32_e32 v0, vcc, s23, v2
	v_addc_co_u32_e32 v1, vcc, 0, v1, vcc
	global_load_ubyte v5, v[0:1], off
	s_or_b64 exec, exec, s[18:19]
	v_cmp_gt_u32_e32 vcc, s20, v24
	s_and_saveexec_b64 s[18:19], vcc
	s_cbranch_execnz .LBB293_49
.LBB293_22:                             ;   in Loop: Header=BB293_16 Depth=2
	s_or_b64 exec, exec, s[18:19]
	v_cmp_gt_u32_e32 vcc, s20, v25
	s_and_saveexec_b64 s[18:19], vcc
	s_cbranch_execz .LBB293_50
.LBB293_23:                             ;   in Loop: Header=BB293_16 Depth=2
	v_mov_b32_e32 v1, s24
	v_add_co_u32_e32 v0, vcc, s23, v2
	v_addc_co_u32_e32 v1, vcc, 0, v1, vcc
	global_load_ubyte v7, v[0:1], off offset:512
	s_or_b64 exec, exec, s[18:19]
	v_cmp_gt_u32_e32 vcc, s20, v26
	s_and_saveexec_b64 s[18:19], vcc
	s_cbranch_execnz .LBB293_51
.LBB293_24:                             ;   in Loop: Header=BB293_16 Depth=2
	s_or_b64 exec, exec, s[18:19]
	v_cmp_gt_u32_e32 vcc, s20, v30
	s_and_saveexec_b64 s[18:19], vcc
	s_cbranch_execz .LBB293_52
.LBB293_25:                             ;   in Loop: Header=BB293_16 Depth=2
	v_mov_b32_e32 v1, s24
	v_add_co_u32_e32 v0, vcc, s23, v2
	v_addc_co_u32_e32 v1, vcc, 0, v1, vcc
	global_load_ubyte v9, v[0:1], off offset:1024
	s_or_b64 exec, exec, s[18:19]
	v_cmp_gt_u32_e32 vcc, s20, v31
	s_and_saveexec_b64 s[18:19], vcc
	s_cbranch_execnz .LBB293_53
.LBB293_26:                             ;   in Loop: Header=BB293_16 Depth=2
	s_or_b64 exec, exec, s[18:19]
	v_cmp_gt_u32_e32 vcc, s20, v32
	s_and_saveexec_b64 s[18:19], vcc
	s_cbranch_execz .LBB293_28
.LBB293_27:                             ;   in Loop: Header=BB293_16 Depth=2
	v_mov_b32_e32 v1, s24
	v_add_co_u32_e32 v0, vcc, s23, v2
	v_addc_co_u32_e32 v1, vcc, 0, v1, vcc
	global_load_ubyte v11, v[0:1], off offset:1536
.LBB293_28:                             ;   in Loop: Header=BB293_16 Depth=2
	s_or_b64 exec, exec, s[18:19]
	v_cmp_gt_u32_e32 vcc, s20, v33
                                        ; implicit-def: $sgpr25
                                        ; implicit-def: $vgpr0_vgpr1
	s_and_saveexec_b64 s[18:19], vcc
	s_cbranch_execz .LBB293_30
; %bb.29:                               ;   in Loop: Header=BB293_16 Depth=2
	v_mov_b32_e32 v0, s24
	v_add_co_u32_e32 v1, vcc, s23, v2
	s_waitcnt vmcnt(0)
	v_addc_co_u32_e32 v12, vcc, 0, v0, vcc
	v_add_co_u32_e32 v0, vcc, 0x700, v1
	s_sub_i32 s25, s76, s22
	v_addc_co_u32_e32 v1, vcc, 0, v12, vcc
	s_or_b64 s[16:17], s[16:17], exec
                                        ; implicit-def: $vgpr12
.LBB293_30:                             ;   in Loop: Header=BB293_16 Depth=2
	s_or_b64 exec, exec, s[18:19]
	s_waitcnt vmcnt(0)
	v_mov_b32_e32 v14, v5
	v_mov_b32_e32 v15, v6
	;; [unrolled: 1-line block ×8, first 2 shown]
	s_and_saveexec_b64 s[18:19], s[16:17]
	s_cbranch_execz .LBB293_32
.LBB293_31:                             ;   in Loop: Header=BB293_16 Depth=2
	global_load_ubyte v12, v[0:1], off
	v_mov_b32_e32 v13, s25
	s_waitcnt vmcnt(1)
	v_mov_b32_e32 v5, v14
	v_mov_b32_e32 v6, v15
	;; [unrolled: 1-line block ×7, first 2 shown]
.LBB293_32:                             ;   in Loop: Header=BB293_16 Depth=2
	s_or_b64 exec, exec, s[18:19]
	v_cmp_lt_u32_e32 vcc, v2, v13
	s_and_saveexec_b64 s[16:17], vcc
	s_cbranch_execz .LBB293_40
; %bb.33:                               ;   in Loop: Header=BB293_16 Depth=2
	v_xor_b32_e32 v0, 0x7f, v5
	v_lshrrev_b32_sdwa v0, s68, v0 dst_sel:DWORD dst_unused:UNUSED_PAD src0_sel:DWORD src1_sel:BYTE_0
	v_and_b32_e32 v0, s77, v0
	v_lshlrev_b32_e32 v1, 2, v27
	v_lshl_or_b32 v0, v0, 4, v1
	ds_add_u32 v0, v63
	s_or_b64 exec, exec, s[16:17]
	v_cmp_lt_u32_e32 vcc, v24, v13
	s_and_saveexec_b64 s[16:17], vcc
	s_cbranch_execnz .LBB293_41
.LBB293_34:                             ;   in Loop: Header=BB293_16 Depth=2
	s_or_b64 exec, exec, s[16:17]
	v_cmp_lt_u32_e32 vcc, v25, v13
	s_and_saveexec_b64 s[16:17], vcc
	s_cbranch_execz .LBB293_42
.LBB293_35:                             ;   in Loop: Header=BB293_16 Depth=2
	v_xor_b32_e32 v0, 0x7f, v7
	v_lshrrev_b32_sdwa v0, s68, v0 dst_sel:DWORD dst_unused:UNUSED_PAD src0_sel:DWORD src1_sel:BYTE_0
	v_and_b32_e32 v0, s77, v0
	v_lshlrev_b32_e32 v1, 2, v27
	v_lshl_or_b32 v0, v0, 4, v1
	ds_add_u32 v0, v63
	s_or_b64 exec, exec, s[16:17]
	v_cmp_lt_u32_e32 vcc, v26, v13
	s_and_saveexec_b64 s[16:17], vcc
	s_cbranch_execnz .LBB293_43
.LBB293_36:                             ;   in Loop: Header=BB293_16 Depth=2
	s_or_b64 exec, exec, s[16:17]
	v_cmp_lt_u32_e32 vcc, v30, v13
	s_and_saveexec_b64 s[16:17], vcc
	s_cbranch_execz .LBB293_44
.LBB293_37:                             ;   in Loop: Header=BB293_16 Depth=2
	v_xor_b32_e32 v0, 0x7f, v9
	v_lshrrev_b32_sdwa v0, s68, v0 dst_sel:DWORD dst_unused:UNUSED_PAD src0_sel:DWORD src1_sel:BYTE_0
	v_and_b32_e32 v0, s77, v0
	v_lshlrev_b32_e32 v1, 2, v27
	v_lshl_or_b32 v0, v0, 4, v1
	ds_add_u32 v0, v63
	s_or_b64 exec, exec, s[16:17]
	v_cmp_lt_u32_e32 vcc, v31, v13
	s_and_saveexec_b64 s[16:17], vcc
	s_cbranch_execnz .LBB293_45
.LBB293_38:                             ;   in Loop: Header=BB293_16 Depth=2
	s_or_b64 exec, exec, s[16:17]
	v_cmp_lt_u32_e32 vcc, v32, v13
	s_and_saveexec_b64 s[16:17], vcc
	s_cbranch_execz .LBB293_46
.LBB293_39:                             ;   in Loop: Header=BB293_16 Depth=2
	v_xor_b32_e32 v0, 0x7f, v11
	v_lshrrev_b32_sdwa v0, s68, v0 dst_sel:DWORD dst_unused:UNUSED_PAD src0_sel:DWORD src1_sel:BYTE_0
	v_and_b32_e32 v0, s77, v0
	v_lshlrev_b32_e32 v1, 2, v27
	v_lshl_or_b32 v0, v0, 4, v1
	ds_add_u32 v0, v63
	s_or_b64 exec, exec, s[16:17]
	v_cmp_lt_u32_e32 vcc, v33, v13
	s_and_saveexec_b64 s[16:17], vcc
	s_cbranch_execz .LBB293_15
	s_branch .LBB293_47
.LBB293_40:                             ;   in Loop: Header=BB293_16 Depth=2
	s_or_b64 exec, exec, s[16:17]
	v_cmp_lt_u32_e32 vcc, v24, v13
	s_and_saveexec_b64 s[16:17], vcc
	s_cbranch_execz .LBB293_34
.LBB293_41:                             ;   in Loop: Header=BB293_16 Depth=2
	v_xor_b32_e32 v0, 0x7f, v6
	v_lshrrev_b32_sdwa v0, s68, v0 dst_sel:DWORD dst_unused:UNUSED_PAD src0_sel:DWORD src1_sel:BYTE_0
	v_and_b32_e32 v0, s77, v0
	v_lshlrev_b32_e32 v1, 2, v27
	v_lshl_or_b32 v0, v0, 4, v1
	ds_add_u32 v0, v63
	s_or_b64 exec, exec, s[16:17]
	v_cmp_lt_u32_e32 vcc, v25, v13
	s_and_saveexec_b64 s[16:17], vcc
	s_cbranch_execnz .LBB293_35
.LBB293_42:                             ;   in Loop: Header=BB293_16 Depth=2
	s_or_b64 exec, exec, s[16:17]
	v_cmp_lt_u32_e32 vcc, v26, v13
	s_and_saveexec_b64 s[16:17], vcc
	s_cbranch_execz .LBB293_36
.LBB293_43:                             ;   in Loop: Header=BB293_16 Depth=2
	v_xor_b32_e32 v0, 0x7f, v8
	v_lshrrev_b32_sdwa v0, s68, v0 dst_sel:DWORD dst_unused:UNUSED_PAD src0_sel:DWORD src1_sel:BYTE_0
	v_and_b32_e32 v0, s77, v0
	v_lshlrev_b32_e32 v1, 2, v27
	v_lshl_or_b32 v0, v0, 4, v1
	ds_add_u32 v0, v63
	s_or_b64 exec, exec, s[16:17]
	v_cmp_lt_u32_e32 vcc, v30, v13
	s_and_saveexec_b64 s[16:17], vcc
	s_cbranch_execnz .LBB293_37
.LBB293_44:                             ;   in Loop: Header=BB293_16 Depth=2
	s_or_b64 exec, exec, s[16:17]
	v_cmp_lt_u32_e32 vcc, v31, v13
	s_and_saveexec_b64 s[16:17], vcc
	s_cbranch_execz .LBB293_38
.LBB293_45:                             ;   in Loop: Header=BB293_16 Depth=2
	v_xor_b32_e32 v0, 0x7f, v10
	v_lshrrev_b32_sdwa v0, s68, v0 dst_sel:DWORD dst_unused:UNUSED_PAD src0_sel:DWORD src1_sel:BYTE_0
	v_and_b32_e32 v0, s77, v0
	v_lshlrev_b32_e32 v1, 2, v27
	v_lshl_or_b32 v0, v0, 4, v1
	ds_add_u32 v0, v63
	s_or_b64 exec, exec, s[16:17]
	v_cmp_lt_u32_e32 vcc, v32, v13
	s_and_saveexec_b64 s[16:17], vcc
	s_cbranch_execnz .LBB293_39
.LBB293_46:                             ;   in Loop: Header=BB293_16 Depth=2
	s_or_b64 exec, exec, s[16:17]
	v_cmp_lt_u32_e32 vcc, v33, v13
	s_and_saveexec_b64 s[16:17], vcc
	s_cbranch_execz .LBB293_15
.LBB293_47:                             ;   in Loop: Header=BB293_16 Depth=2
	s_waitcnt vmcnt(0)
	v_xor_b32_e32 v0, 0x7f, v12
	v_lshrrev_b32_sdwa v0, s68, v0 dst_sel:DWORD dst_unused:UNUSED_PAD src0_sel:DWORD src1_sel:BYTE_0
	v_and_b32_e32 v0, s77, v0
	v_lshlrev_b32_e32 v1, 2, v27
	v_lshl_or_b32 v0, v0, 4, v1
	ds_add_u32 v0, v63
	s_branch .LBB293_15
.LBB293_48:                             ;   in Loop: Header=BB293_16 Depth=2
	s_or_b64 exec, exec, s[18:19]
	v_cmp_gt_u32_e32 vcc, s20, v24
	s_and_saveexec_b64 s[18:19], vcc
	s_cbranch_execz .LBB293_22
.LBB293_49:                             ;   in Loop: Header=BB293_16 Depth=2
	v_mov_b32_e32 v1, s24
	v_add_co_u32_e32 v0, vcc, s23, v2
	v_addc_co_u32_e32 v1, vcc, 0, v1, vcc
	global_load_ubyte v6, v[0:1], off offset:256
	s_or_b64 exec, exec, s[18:19]
	v_cmp_gt_u32_e32 vcc, s20, v25
	s_and_saveexec_b64 s[18:19], vcc
	s_cbranch_execnz .LBB293_23
.LBB293_50:                             ;   in Loop: Header=BB293_16 Depth=2
	s_or_b64 exec, exec, s[18:19]
	v_cmp_gt_u32_e32 vcc, s20, v26
	s_and_saveexec_b64 s[18:19], vcc
	s_cbranch_execz .LBB293_24
.LBB293_51:                             ;   in Loop: Header=BB293_16 Depth=2
	v_mov_b32_e32 v1, s24
	v_add_co_u32_e32 v0, vcc, s23, v2
	v_addc_co_u32_e32 v1, vcc, 0, v1, vcc
	global_load_ubyte v8, v[0:1], off offset:768
	s_or_b64 exec, exec, s[18:19]
	v_cmp_gt_u32_e32 vcc, s20, v30
	s_and_saveexec_b64 s[18:19], vcc
	s_cbranch_execnz .LBB293_25
.LBB293_52:                             ;   in Loop: Header=BB293_16 Depth=2
	s_or_b64 exec, exec, s[18:19]
	v_cmp_gt_u32_e32 vcc, s20, v31
	s_and_saveexec_b64 s[18:19], vcc
	s_cbranch_execz .LBB293_26
.LBB293_53:                             ;   in Loop: Header=BB293_16 Depth=2
	v_mov_b32_e32 v1, s24
	v_add_co_u32_e32 v0, vcc, s23, v2
	v_addc_co_u32_e32 v1, vcc, 0, v1, vcc
	global_load_ubyte v10, v[0:1], off offset:1280
	s_or_b64 exec, exec, s[18:19]
	v_cmp_gt_u32_e32 vcc, s20, v32
	s_and_saveexec_b64 s[18:19], vcc
	s_cbranch_execz .LBB293_28
	s_branch .LBB293_27
.LBB293_54:                             ;   in Loop: Header=BB293_12 Depth=1
	v_mov_b32_e32 v0, 0
	s_waitcnt lgkmcnt(0)
	s_barrier
	s_and_saveexec_b64 s[16:17], s[4:5]
	s_cbranch_execz .LBB293_56
; %bb.55:                               ;   in Loop: Header=BB293_12 Depth=1
	ds_read2_b64 v[6:9], v34 offset1:1
	s_waitcnt lgkmcnt(0)
	v_add_u32_e32 v0, v7, v6
	v_add3_u32 v0, v0, v8, v9
.LBB293_56:                             ;   in Loop: Header=BB293_12 Depth=1
	s_or_b64 exec, exec, s[16:17]
	v_and_b32_e32 v1, 15, v64
	v_mov_b32_dpp v5, v0 row_shr:1 row_mask:0xf bank_mask:0xf
	v_cmp_eq_u32_e64 s[16:17], 0, v1
	v_cndmask_b32_e64 v5, v5, 0, s[16:17]
	v_add_u32_e32 v0, v5, v0
	v_cmp_lt_u32_e64 s[18:19], 1, v1
	v_cmp_lt_u32_e64 s[20:21], 3, v1
	v_mov_b32_dpp v5, v0 row_shr:2 row_mask:0xf bank_mask:0xf
	v_cndmask_b32_e64 v5, 0, v5, s[18:19]
	v_add_u32_e32 v0, v0, v5
	v_cmp_lt_u32_e64 s[22:23], 7, v1
	v_cmp_lt_u32_e64 s[26:27], 31, v64
	v_mov_b32_dpp v5, v0 row_shr:4 row_mask:0xf bank_mask:0xf
	v_cndmask_b32_e64 v5, 0, v5, s[20:21]
	v_add_u32_e32 v0, v0, v5
	v_and_b32_e32 v6, 16, v64
	v_cmp_eq_u32_e64 s[24:25], 0, v6
	v_mov_b32_dpp v5, v0 row_shr:8 row_mask:0xf bank_mask:0xf
	v_cndmask_b32_e64 v1, 0, v5, s[22:23]
	v_add_u32_e32 v0, v0, v1
	v_bfe_i32 v5, v64, 4, 1
	s_nop 0
	v_mov_b32_dpp v1, v0 row_bcast:15 row_mask:0xf bank_mask:0xf
	v_and_b32_e32 v1, v5, v1
	v_add_u32_e32 v0, v0, v1
	s_nop 1
	v_mov_b32_dpp v1, v0 row_bcast:31 row_mask:0xf bank_mask:0xf
	v_cndmask_b32_e64 v1, 0, v1, s[26:27]
	v_add_u32_e32 v1, v0, v1
	s_and_saveexec_b64 s[28:29], s[6:7]
	s_cbranch_execz .LBB293_58
; %bb.57:                               ;   in Loop: Header=BB293_12 Depth=1
	ds_write_b32 v36, v1
.LBB293_58:                             ;   in Loop: Header=BB293_12 Depth=1
	s_or_b64 exec, exec, s[28:29]
	v_and_b32_e32 v0, 3, v64
	s_waitcnt lgkmcnt(0)
	s_barrier
	s_and_saveexec_b64 s[28:29], s[8:9]
	s_cbranch_execz .LBB293_60
; %bb.59:                               ;   in Loop: Header=BB293_12 Depth=1
	ds_read_b32 v5, v37
	v_cmp_ne_u32_e32 vcc, 0, v0
	s_waitcnt lgkmcnt(0)
	v_mov_b32_dpp v6, v5 row_shr:1 row_mask:0xf bank_mask:0xf
	v_cndmask_b32_e32 v6, 0, v6, vcc
	v_add_u32_e32 v5, v6, v5
	v_cmp_lt_u32_e32 vcc, 1, v0
	s_nop 0
	v_mov_b32_dpp v6, v5 row_shr:2 row_mask:0xf bank_mask:0xf
	v_cndmask_b32_e32 v6, 0, v6, vcc
	v_add_u32_e32 v5, v5, v6
	ds_write_b32 v37, v5
.LBB293_60:                             ;   in Loop: Header=BB293_12 Depth=1
	s_or_b64 exec, exec, s[28:29]
	v_mov_b32_e32 v5, 0
	s_waitcnt lgkmcnt(0)
	s_barrier
	s_and_saveexec_b64 s[28:29], s[10:11]
	s_cbranch_execz .LBB293_62
; %bb.61:                               ;   in Loop: Header=BB293_12 Depth=1
	ds_read_b32 v5, v38
.LBB293_62:                             ;   in Loop: Header=BB293_12 Depth=1
	s_or_b64 exec, exec, s[28:29]
	v_add_u32_e32 v6, -1, v64
	v_and_b32_e32 v7, 64, v64
	v_cmp_lt_i32_e32 vcc, v6, v7
	v_cndmask_b32_e32 v6, v6, v64, vcc
	s_waitcnt lgkmcnt(0)
	v_add_u32_e32 v1, v5, v1
	v_lshlrev_b32_e32 v65, 2, v6
	ds_bpermute_b32 v1, v65, v1
	v_cmp_eq_u32_e64 s[28:29], 0, v64
	s_waitcnt lgkmcnt(0)
	s_barrier
	s_and_saveexec_b64 s[30:31], s[4:5]
	s_cbranch_execz .LBB293_64
; %bb.63:                               ;   in Loop: Header=BB293_12 Depth=1
	v_cndmask_b32_e64 v1, v1, v5, s[28:29]
	v_add_u32_e32 v1, s51, v1
	ds_write_b32 v3, v1
.LBB293_64:                             ;   in Loop: Header=BB293_12 Depth=1
	s_or_b64 exec, exec, s[30:31]
	s_load_dword s30, s[74:75], 0x4
	s_load_dword s36, s[74:75], 0xc
	s_waitcnt vmcnt(6)
	v_and_b32_e32 v20, 63, v64
	v_add_co_u32_e32 v74, vcc, v48, v20
	s_waitcnt lgkmcnt(0)
	s_cmp_lt_u32 s33, s30
	s_cselect_b32 s30, 14, 20
	s_add_u32 s30, s74, s30
	s_addc_u32 s31, s75, 0
	global_load_ushort v5, v4, s[30:31]
	v_lshlrev_b32_e32 v21, 3, v20
	v_addc_co_u32_e32 v76, vcc, 0, v49, vcc
	v_add_co_u32_e32 v77, vcc, v46, v21
	v_addc_co_u32_e32 v78, vcc, 0, v47, vcc
	s_and_b32 s36, s36, 0xffff
	v_or_b32_e32 v72, v20, v39
	v_add_co_u32_e32 v86, vcc, 0x1c0, v74
	v_cmp_eq_u32_e64 s[30:31], 0, v0
	v_cmp_lt_u32_e64 s[34:35], 1, v0
	s_mov_b32 s78, s71
	v_or_b32_e32 v79, 64, v72
	v_or_b32_e32 v80, 0x80, v72
	;; [unrolled: 1-line block ×7, first 2 shown]
	v_addc_co_u32_e32 v87, vcc, 0, v76, vcc
	s_mov_b32 s72, s51
                                        ; implicit-def: $vgpr0_vgpr1
                                        ; implicit-def: $vgpr6_vgpr7
                                        ; implicit-def: $vgpr8_vgpr9
                                        ; implicit-def: $vgpr10_vgpr11
                                        ; implicit-def: $vgpr12_vgpr13
                                        ; implicit-def: $vgpr14_vgpr15
                                        ; implicit-def: $vgpr16_vgpr17
                                        ; implicit-def: $vgpr18_vgpr19
                                        ; implicit-def: $vgpr66
                                        ; implicit-def: $vgpr67
                                        ; implicit-def: $vgpr68
                                        ; implicit-def: $vgpr69
                                        ; implicit-def: $vgpr70
                                        ; implicit-def: $vgpr71
                                        ; implicit-def: $vgpr73
                                        ; implicit-def: $vgpr75
	s_waitcnt vmcnt(0)
	v_mad_u32_u24 v5, v40, v5, v41
	v_mad_u64_u32 v[20:21], s[36:37], v5, s36, v[2:3]
	v_lshrrev_b32_e32 v88, 6, v20
	s_branch .LBB293_66
.LBB293_65:                             ;   in Loop: Header=BB293_66 Depth=2
	s_or_b64 exec, exec, s[36:37]
	s_addk_i32 s78, 0xf800
	s_cmp_lt_u32 s79, s76
	s_mov_b32 s72, s79
	s_cbranch_scc0 .LBB293_178
.LBB293_66:                             ;   Parent Loop BB293_12 Depth=1
                                        ; =>  This Inner Loop Header: Depth=2
	s_add_i32 s79, s72, 0x800
	s_cmp_gt_u32 s79, s76
	s_cbranch_scc1 .LBB293_69
; %bb.67:                               ;   in Loop: Header=BB293_66 Depth=2
	v_add_co_u32_e32 v20, vcc, s72, v74
	v_addc_co_u32_e32 v21, vcc, 0, v76, vcc
	global_load_ubyte v23, v[20:21], off offset:384
	global_load_ubyte v91, v[20:21], off offset:320
	;; [unrolled: 1-line block ×6, first 2 shown]
	global_load_ubyte v5, v[20:21], off
	s_mov_b64 s[36:37], -1
	s_movk_i32 s40, 0x800
	s_cbranch_execz .LBB293_70
; %bb.68:                               ;   in Loop: Header=BB293_66 Depth=2
                                        ; implicit-def: $vgpr22
	v_mov_b32_e32 v89, s78
	s_and_saveexec_b64 s[38:39], s[36:37]
	s_cbranch_execnz .LBB293_79
	s_branch .LBB293_80
.LBB293_69:                             ;   in Loop: Header=BB293_66 Depth=2
	s_mov_b64 s[36:37], 0
                                        ; implicit-def: $sgpr40
                                        ; implicit-def: $vgpr5
                                        ; implicit-def: $vgpr94
                                        ; implicit-def: $vgpr99
                                        ; implicit-def: $vgpr101
                                        ; implicit-def: $vgpr96
                                        ; implicit-def: $vgpr91
                                        ; implicit-def: $vgpr23
.LBB293_70:                             ;   in Loop: Header=BB293_66 Depth=2
	v_add_co_u32_e32 v20, vcc, s72, v74
	v_addc_co_u32_e32 v21, vcc, 0, v76, vcc
	v_cmp_gt_u32_e32 vcc, s78, v72
	s_waitcnt vmcnt(0)
	v_mov_b32_e32 v5, 0x80
	v_mov_b32_e32 v22, 0x80
	;; [unrolled: 1-line block ×8, first 2 shown]
	s_and_saveexec_b64 s[36:37], vcc
	s_cbranch_execz .LBB293_172
; %bb.71:                               ;   in Loop: Header=BB293_66 Depth=2
	global_load_ubyte v5, v[20:21], off
	v_mov_b32_e32 v94, 0x80
	v_mov_b32_e32 v99, 0x80
	;; [unrolled: 1-line block ×7, first 2 shown]
	s_or_b64 exec, exec, s[36:37]
	v_cmp_gt_u32_e32 vcc, s78, v79
	s_and_saveexec_b64 s[36:37], vcc
	s_cbranch_execnz .LBB293_173
.LBB293_72:                             ;   in Loop: Header=BB293_66 Depth=2
	s_or_b64 exec, exec, s[36:37]
	v_cmp_gt_u32_e32 vcc, s78, v80
	s_and_saveexec_b64 s[36:37], vcc
	s_cbranch_execz .LBB293_174
.LBB293_73:                             ;   in Loop: Header=BB293_66 Depth=2
	global_load_ubyte v99, v[20:21], off offset:128
	s_or_b64 exec, exec, s[36:37]
	v_cmp_gt_u32_e32 vcc, s78, v81
	s_and_saveexec_b64 s[36:37], vcc
	s_cbranch_execnz .LBB293_175
.LBB293_74:                             ;   in Loop: Header=BB293_66 Depth=2
	s_or_b64 exec, exec, s[36:37]
	v_cmp_gt_u32_e32 vcc, s78, v82
	s_and_saveexec_b64 s[36:37], vcc
	s_cbranch_execz .LBB293_176
.LBB293_75:                             ;   in Loop: Header=BB293_66 Depth=2
	global_load_ubyte v96, v[20:21], off offset:256
	s_or_b64 exec, exec, s[36:37]
	v_cmp_gt_u32_e32 vcc, s78, v83
	s_and_saveexec_b64 s[36:37], vcc
	s_cbranch_execnz .LBB293_177
.LBB293_76:                             ;   in Loop: Header=BB293_66 Depth=2
	s_or_b64 exec, exec, s[36:37]
	v_cmp_gt_u32_e32 vcc, s78, v84
	s_and_saveexec_b64 s[36:37], vcc
	s_cbranch_execz .LBB293_78
.LBB293_77:                             ;   in Loop: Header=BB293_66 Depth=2
	global_load_ubyte v23, v[20:21], off offset:384
.LBB293_78:                             ;   in Loop: Header=BB293_66 Depth=2
	s_or_b64 exec, exec, s[36:37]
	s_sub_i32 s40, s76, s72
	v_cmp_gt_u32_e64 s[36:37], s78, v85
	v_mov_b32_e32 v89, s78
	s_and_saveexec_b64 s[38:39], s[36:37]
	s_cbranch_execz .LBB293_80
.LBB293_79:                             ;   in Loop: Header=BB293_66 Depth=2
	v_mov_b32_e32 v21, s73
	v_add_co_u32_e32 v20, vcc, s72, v86
	v_addc_co_u32_e32 v21, vcc, v87, v21, vcc
	global_load_ubyte v22, v[20:21], off
	v_mov_b32_e32 v89, s40
.LBB293_80:                             ;   in Loop: Header=BB293_66 Depth=2
	s_or_b64 exec, exec, s[38:39]
	s_waitcnt vmcnt(0)
	v_xor_b32_e32 v90, 0x7f, v5
	v_add_u32_e32 v5, 0x410, v42
	ds_write2_b32 v5, v4, v4 offset1:1
	ds_write2_b32 v44, v4, v4 offset0:2 offset1:3
	ds_write_b32 v44, v4 offset:16
	v_lshrrev_b32_sdwa v5, s68, v90 dst_sel:DWORD dst_unused:UNUSED_PAD src0_sel:DWORD src1_sel:BYTE_0
	v_and_b32_e32 v20, s77, v5
	v_mad_u32_u24 v5, v20, 5, v88
	v_lshl_add_u32 v92, v5, 2, v43
	v_and_b32_e32 v5, 1, v20
	v_add_co_u32_e32 v21, vcc, -1, v5
	v_addc_co_u32_e64 v93, s[36:37], 0, -1, vcc
	v_cmp_ne_u32_e32 vcc, 0, v5
	v_xor_b32_e32 v5, vcc_hi, v93
	v_and_b32_e32 v93, exec_hi, v5
	v_lshlrev_b32_e32 v5, 30, v20
	v_xor_b32_e32 v21, vcc_lo, v21
	v_cmp_gt_i64_e32 vcc, 0, v[4:5]
	v_not_b32_e32 v5, v5
	v_ashrrev_i32_e32 v5, 31, v5
	v_and_b32_e32 v21, exec_lo, v21
	v_xor_b32_e32 v95, vcc_hi, v5
	v_xor_b32_e32 v5, vcc_lo, v5
	v_and_b32_e32 v21, v21, v5
	v_lshlrev_b32_e32 v5, 29, v20
	v_cmp_gt_i64_e32 vcc, 0, v[4:5]
	v_not_b32_e32 v5, v5
	v_ashrrev_i32_e32 v5, 31, v5
	v_and_b32_e32 v93, v93, v95
	v_xor_b32_e32 v95, vcc_hi, v5
	v_xor_b32_e32 v5, vcc_lo, v5
	v_and_b32_e32 v21, v21, v5
	v_lshlrev_b32_e32 v5, 28, v20
	v_cmp_gt_i64_e32 vcc, 0, v[4:5]
	v_not_b32_e32 v5, v5
	v_ashrrev_i32_e32 v5, 31, v5
	v_and_b32_e32 v93, v93, v95
	;; [unrolled: 8-line block ×5, first 2 shown]
	v_xor_b32_e32 v95, vcc_hi, v5
	v_xor_b32_e32 v5, vcc_lo, v5
	v_and_b32_e32 v93, v93, v95
	v_and_b32_e32 v95, v21, v5
	v_lshlrev_b32_e32 v5, 24, v20
	v_cmp_gt_i64_e32 vcc, 0, v[4:5]
	v_not_b32_e32 v5, v5
	v_ashrrev_i32_e32 v5, 31, v5
	v_xor_b32_e32 v20, vcc_hi, v5
	v_xor_b32_e32 v5, vcc_lo, v5
	v_and_b32_e32 v21, v93, v20
	v_and_b32_e32 v20, v95, v5
	v_mbcnt_lo_u32_b32 v5, v20, 0
	v_mbcnt_hi_u32_b32 v93, v21, v5
	v_cmp_eq_u32_e32 vcc, 0, v93
	v_cmp_ne_u64_e64 s[36:37], 0, v[20:21]
	s_and_b64 s[38:39], s[36:37], vcc
	s_waitcnt lgkmcnt(0)
	s_barrier
	s_waitcnt lgkmcnt(0)
	; wave barrier
	s_and_saveexec_b64 s[36:37], s[38:39]
	s_cbranch_execz .LBB293_82
; %bb.81:                               ;   in Loop: Header=BB293_66 Depth=2
	v_bcnt_u32_b32 v5, v20, 0
	v_bcnt_u32_b32 v5, v21, v5
	ds_write_b32 v92, v5
.LBB293_82:                             ;   in Loop: Header=BB293_66 Depth=2
	s_or_b64 exec, exec, s[36:37]
	v_xor_b32_e32 v94, 0x7f, v94
	v_lshrrev_b32_sdwa v5, s68, v94 dst_sel:DWORD dst_unused:UNUSED_PAD src0_sel:DWORD src1_sel:BYTE_0
	v_and_b32_e32 v20, s77, v5
	v_mul_u32_u24_e32 v5, 5, v20
	v_add_lshl_u32 v5, v5, v88, 2
	; wave barrier
	v_add_u32_e32 v97, 0x410, v5
	ds_read_b32 v95, v5 offset:1040
	v_and_b32_e32 v5, 1, v20
	v_add_co_u32_e32 v21, vcc, -1, v5
	v_addc_co_u32_e64 v98, s[36:37], 0, -1, vcc
	v_cmp_ne_u32_e32 vcc, 0, v5
	v_xor_b32_e32 v5, vcc_hi, v98
	v_and_b32_e32 v98, exec_hi, v5
	v_lshlrev_b32_e32 v5, 30, v20
	v_xor_b32_e32 v21, vcc_lo, v21
	v_cmp_gt_i64_e32 vcc, 0, v[4:5]
	v_not_b32_e32 v5, v5
	v_ashrrev_i32_e32 v5, 31, v5
	v_and_b32_e32 v21, exec_lo, v21
	v_xor_b32_e32 v100, vcc_hi, v5
	v_xor_b32_e32 v5, vcc_lo, v5
	v_and_b32_e32 v21, v21, v5
	v_lshlrev_b32_e32 v5, 29, v20
	v_cmp_gt_i64_e32 vcc, 0, v[4:5]
	v_not_b32_e32 v5, v5
	v_ashrrev_i32_e32 v5, 31, v5
	v_and_b32_e32 v98, v98, v100
	v_xor_b32_e32 v100, vcc_hi, v5
	v_xor_b32_e32 v5, vcc_lo, v5
	v_and_b32_e32 v21, v21, v5
	v_lshlrev_b32_e32 v5, 28, v20
	v_cmp_gt_i64_e32 vcc, 0, v[4:5]
	v_not_b32_e32 v5, v5
	v_ashrrev_i32_e32 v5, 31, v5
	v_and_b32_e32 v98, v98, v100
	;; [unrolled: 8-line block ×5, first 2 shown]
	v_xor_b32_e32 v100, vcc_hi, v5
	v_xor_b32_e32 v5, vcc_lo, v5
	v_and_b32_e32 v98, v98, v100
	v_and_b32_e32 v100, v21, v5
	v_lshlrev_b32_e32 v5, 24, v20
	v_cmp_gt_i64_e32 vcc, 0, v[4:5]
	v_not_b32_e32 v5, v5
	v_ashrrev_i32_e32 v5, 31, v5
	v_xor_b32_e32 v20, vcc_hi, v5
	v_xor_b32_e32 v5, vcc_lo, v5
	v_and_b32_e32 v21, v98, v20
	v_and_b32_e32 v20, v100, v5
	v_mbcnt_lo_u32_b32 v5, v20, 0
	v_mbcnt_hi_u32_b32 v98, v21, v5
	v_cmp_eq_u32_e32 vcc, 0, v98
	v_cmp_ne_u64_e64 s[36:37], 0, v[20:21]
	s_and_b64 s[38:39], s[36:37], vcc
	; wave barrier
	s_and_saveexec_b64 s[36:37], s[38:39]
	s_cbranch_execz .LBB293_84
; %bb.83:                               ;   in Loop: Header=BB293_66 Depth=2
	v_bcnt_u32_b32 v5, v20, 0
	v_bcnt_u32_b32 v5, v21, v5
	s_waitcnt lgkmcnt(0)
	v_add_u32_e32 v5, v95, v5
	ds_write_b32 v97, v5
.LBB293_84:                             ;   in Loop: Header=BB293_66 Depth=2
	s_or_b64 exec, exec, s[36:37]
	v_xor_b32_e32 v99, 0x7f, v99
	v_lshrrev_b32_sdwa v5, s68, v99 dst_sel:DWORD dst_unused:UNUSED_PAD src0_sel:DWORD src1_sel:BYTE_0
	v_and_b32_e32 v20, s77, v5
	v_mul_u32_u24_e32 v5, 5, v20
	v_add_lshl_u32 v5, v5, v88, 2
	; wave barrier
	v_add_u32_e32 v102, 0x410, v5
	ds_read_b32 v100, v5 offset:1040
	v_and_b32_e32 v5, 1, v20
	v_add_co_u32_e32 v21, vcc, -1, v5
	v_addc_co_u32_e64 v103, s[36:37], 0, -1, vcc
	v_cmp_ne_u32_e32 vcc, 0, v5
	v_xor_b32_e32 v5, vcc_hi, v103
	v_and_b32_e32 v103, exec_hi, v5
	v_lshlrev_b32_e32 v5, 30, v20
	v_xor_b32_e32 v21, vcc_lo, v21
	v_cmp_gt_i64_e32 vcc, 0, v[4:5]
	v_not_b32_e32 v5, v5
	v_ashrrev_i32_e32 v5, 31, v5
	v_and_b32_e32 v21, exec_lo, v21
	v_xor_b32_e32 v104, vcc_hi, v5
	v_xor_b32_e32 v5, vcc_lo, v5
	v_and_b32_e32 v21, v21, v5
	v_lshlrev_b32_e32 v5, 29, v20
	v_cmp_gt_i64_e32 vcc, 0, v[4:5]
	v_not_b32_e32 v5, v5
	v_ashrrev_i32_e32 v5, 31, v5
	v_and_b32_e32 v103, v103, v104
	v_xor_b32_e32 v104, vcc_hi, v5
	v_xor_b32_e32 v5, vcc_lo, v5
	v_and_b32_e32 v21, v21, v5
	v_lshlrev_b32_e32 v5, 28, v20
	v_cmp_gt_i64_e32 vcc, 0, v[4:5]
	v_not_b32_e32 v5, v5
	v_ashrrev_i32_e32 v5, 31, v5
	v_and_b32_e32 v103, v103, v104
	;; [unrolled: 8-line block ×5, first 2 shown]
	v_xor_b32_e32 v104, vcc_hi, v5
	v_xor_b32_e32 v5, vcc_lo, v5
	v_and_b32_e32 v103, v103, v104
	v_and_b32_e32 v104, v21, v5
	v_lshlrev_b32_e32 v5, 24, v20
	v_cmp_gt_i64_e32 vcc, 0, v[4:5]
	v_not_b32_e32 v5, v5
	v_ashrrev_i32_e32 v5, 31, v5
	v_xor_b32_e32 v20, vcc_hi, v5
	v_xor_b32_e32 v5, vcc_lo, v5
	v_and_b32_e32 v21, v103, v20
	v_and_b32_e32 v20, v104, v5
	v_mbcnt_lo_u32_b32 v5, v20, 0
	v_mbcnt_hi_u32_b32 v103, v21, v5
	v_cmp_eq_u32_e32 vcc, 0, v103
	v_cmp_ne_u64_e64 s[36:37], 0, v[20:21]
	s_and_b64 s[38:39], s[36:37], vcc
	; wave barrier
	s_and_saveexec_b64 s[36:37], s[38:39]
	s_cbranch_execz .LBB293_86
; %bb.85:                               ;   in Loop: Header=BB293_66 Depth=2
	v_bcnt_u32_b32 v5, v20, 0
	v_bcnt_u32_b32 v5, v21, v5
	s_waitcnt lgkmcnt(0)
	v_add_u32_e32 v5, v100, v5
	ds_write_b32 v102, v5
.LBB293_86:                             ;   in Loop: Header=BB293_66 Depth=2
	s_or_b64 exec, exec, s[36:37]
	v_xor_b32_e32 v101, 0x7f, v101
	v_lshrrev_b32_sdwa v5, s68, v101 dst_sel:DWORD dst_unused:UNUSED_PAD src0_sel:DWORD src1_sel:BYTE_0
	v_and_b32_e32 v20, s77, v5
	v_mul_u32_u24_e32 v5, 5, v20
	v_add_lshl_u32 v5, v5, v88, 2
	; wave barrier
	v_add_u32_e32 v105, 0x410, v5
	ds_read_b32 v104, v5 offset:1040
	v_and_b32_e32 v5, 1, v20
	v_add_co_u32_e32 v21, vcc, -1, v5
	v_addc_co_u32_e64 v106, s[36:37], 0, -1, vcc
	v_cmp_ne_u32_e32 vcc, 0, v5
	v_xor_b32_e32 v5, vcc_hi, v106
	v_and_b32_e32 v106, exec_hi, v5
	v_lshlrev_b32_e32 v5, 30, v20
	v_xor_b32_e32 v21, vcc_lo, v21
	v_cmp_gt_i64_e32 vcc, 0, v[4:5]
	v_not_b32_e32 v5, v5
	v_ashrrev_i32_e32 v5, 31, v5
	v_and_b32_e32 v21, exec_lo, v21
	v_xor_b32_e32 v107, vcc_hi, v5
	v_xor_b32_e32 v5, vcc_lo, v5
	v_and_b32_e32 v21, v21, v5
	v_lshlrev_b32_e32 v5, 29, v20
	v_cmp_gt_i64_e32 vcc, 0, v[4:5]
	v_not_b32_e32 v5, v5
	v_ashrrev_i32_e32 v5, 31, v5
	v_and_b32_e32 v106, v106, v107
	v_xor_b32_e32 v107, vcc_hi, v5
	v_xor_b32_e32 v5, vcc_lo, v5
	v_and_b32_e32 v21, v21, v5
	v_lshlrev_b32_e32 v5, 28, v20
	v_cmp_gt_i64_e32 vcc, 0, v[4:5]
	v_not_b32_e32 v5, v5
	v_ashrrev_i32_e32 v5, 31, v5
	v_and_b32_e32 v106, v106, v107
	;; [unrolled: 8-line block ×5, first 2 shown]
	v_xor_b32_e32 v107, vcc_hi, v5
	v_xor_b32_e32 v5, vcc_lo, v5
	v_and_b32_e32 v106, v106, v107
	v_and_b32_e32 v107, v21, v5
	v_lshlrev_b32_e32 v5, 24, v20
	v_cmp_gt_i64_e32 vcc, 0, v[4:5]
	v_not_b32_e32 v5, v5
	v_ashrrev_i32_e32 v5, 31, v5
	v_xor_b32_e32 v20, vcc_hi, v5
	v_xor_b32_e32 v5, vcc_lo, v5
	v_and_b32_e32 v21, v106, v20
	v_and_b32_e32 v20, v107, v5
	v_mbcnt_lo_u32_b32 v5, v20, 0
	v_mbcnt_hi_u32_b32 v106, v21, v5
	v_cmp_eq_u32_e32 vcc, 0, v106
	v_cmp_ne_u64_e64 s[36:37], 0, v[20:21]
	s_and_b64 s[38:39], s[36:37], vcc
	; wave barrier
	s_and_saveexec_b64 s[36:37], s[38:39]
	s_cbranch_execz .LBB293_88
; %bb.87:                               ;   in Loop: Header=BB293_66 Depth=2
	v_bcnt_u32_b32 v5, v20, 0
	v_bcnt_u32_b32 v5, v21, v5
	s_waitcnt lgkmcnt(0)
	v_add_u32_e32 v5, v104, v5
	ds_write_b32 v105, v5
.LBB293_88:                             ;   in Loop: Header=BB293_66 Depth=2
	s_or_b64 exec, exec, s[36:37]
	v_xor_b32_e32 v96, 0x7f, v96
	v_lshrrev_b32_sdwa v5, s68, v96 dst_sel:DWORD dst_unused:UNUSED_PAD src0_sel:DWORD src1_sel:BYTE_0
	v_and_b32_e32 v20, s77, v5
	v_mul_u32_u24_e32 v5, 5, v20
	v_add_lshl_u32 v5, v5, v88, 2
	; wave barrier
	v_add_u32_e32 v108, 0x410, v5
	ds_read_b32 v107, v5 offset:1040
	v_and_b32_e32 v5, 1, v20
	v_add_co_u32_e32 v21, vcc, -1, v5
	v_addc_co_u32_e64 v109, s[36:37], 0, -1, vcc
	v_cmp_ne_u32_e32 vcc, 0, v5
	v_xor_b32_e32 v5, vcc_hi, v109
	v_and_b32_e32 v109, exec_hi, v5
	v_lshlrev_b32_e32 v5, 30, v20
	v_xor_b32_e32 v21, vcc_lo, v21
	v_cmp_gt_i64_e32 vcc, 0, v[4:5]
	v_not_b32_e32 v5, v5
	v_ashrrev_i32_e32 v5, 31, v5
	v_and_b32_e32 v21, exec_lo, v21
	v_xor_b32_e32 v110, vcc_hi, v5
	v_xor_b32_e32 v5, vcc_lo, v5
	v_and_b32_e32 v21, v21, v5
	v_lshlrev_b32_e32 v5, 29, v20
	v_cmp_gt_i64_e32 vcc, 0, v[4:5]
	v_not_b32_e32 v5, v5
	v_ashrrev_i32_e32 v5, 31, v5
	v_and_b32_e32 v109, v109, v110
	v_xor_b32_e32 v110, vcc_hi, v5
	v_xor_b32_e32 v5, vcc_lo, v5
	v_and_b32_e32 v21, v21, v5
	v_lshlrev_b32_e32 v5, 28, v20
	v_cmp_gt_i64_e32 vcc, 0, v[4:5]
	v_not_b32_e32 v5, v5
	v_ashrrev_i32_e32 v5, 31, v5
	v_and_b32_e32 v109, v109, v110
	;; [unrolled: 8-line block ×5, first 2 shown]
	v_xor_b32_e32 v110, vcc_hi, v5
	v_xor_b32_e32 v5, vcc_lo, v5
	v_and_b32_e32 v109, v109, v110
	v_and_b32_e32 v110, v21, v5
	v_lshlrev_b32_e32 v5, 24, v20
	v_cmp_gt_i64_e32 vcc, 0, v[4:5]
	v_not_b32_e32 v5, v5
	v_ashrrev_i32_e32 v5, 31, v5
	v_xor_b32_e32 v20, vcc_hi, v5
	v_xor_b32_e32 v5, vcc_lo, v5
	v_and_b32_e32 v21, v109, v20
	v_and_b32_e32 v20, v110, v5
	v_mbcnt_lo_u32_b32 v5, v20, 0
	v_mbcnt_hi_u32_b32 v109, v21, v5
	v_cmp_eq_u32_e32 vcc, 0, v109
	v_cmp_ne_u64_e64 s[36:37], 0, v[20:21]
	s_and_b64 s[38:39], s[36:37], vcc
	; wave barrier
	s_and_saveexec_b64 s[36:37], s[38:39]
	s_cbranch_execz .LBB293_90
; %bb.89:                               ;   in Loop: Header=BB293_66 Depth=2
	v_bcnt_u32_b32 v5, v20, 0
	v_bcnt_u32_b32 v5, v21, v5
	s_waitcnt lgkmcnt(0)
	v_add_u32_e32 v5, v107, v5
	ds_write_b32 v108, v5
.LBB293_90:                             ;   in Loop: Header=BB293_66 Depth=2
	s_or_b64 exec, exec, s[36:37]
	v_xor_b32_e32 v91, 0x7f, v91
	v_lshrrev_b32_sdwa v5, s68, v91 dst_sel:DWORD dst_unused:UNUSED_PAD src0_sel:DWORD src1_sel:BYTE_0
	v_and_b32_e32 v20, s77, v5
	v_mul_u32_u24_e32 v5, 5, v20
	v_add_lshl_u32 v5, v5, v88, 2
	; wave barrier
	v_add_u32_e32 v111, 0x410, v5
	ds_read_b32 v110, v5 offset:1040
	v_and_b32_e32 v5, 1, v20
	v_add_co_u32_e32 v21, vcc, -1, v5
	v_addc_co_u32_e64 v112, s[36:37], 0, -1, vcc
	v_cmp_ne_u32_e32 vcc, 0, v5
	v_xor_b32_e32 v5, vcc_hi, v112
	v_and_b32_e32 v112, exec_hi, v5
	v_lshlrev_b32_e32 v5, 30, v20
	v_xor_b32_e32 v21, vcc_lo, v21
	v_cmp_gt_i64_e32 vcc, 0, v[4:5]
	v_not_b32_e32 v5, v5
	v_ashrrev_i32_e32 v5, 31, v5
	v_and_b32_e32 v21, exec_lo, v21
	v_xor_b32_e32 v113, vcc_hi, v5
	v_xor_b32_e32 v5, vcc_lo, v5
	v_and_b32_e32 v21, v21, v5
	v_lshlrev_b32_e32 v5, 29, v20
	v_cmp_gt_i64_e32 vcc, 0, v[4:5]
	v_not_b32_e32 v5, v5
	v_ashrrev_i32_e32 v5, 31, v5
	v_and_b32_e32 v112, v112, v113
	v_xor_b32_e32 v113, vcc_hi, v5
	v_xor_b32_e32 v5, vcc_lo, v5
	v_and_b32_e32 v21, v21, v5
	v_lshlrev_b32_e32 v5, 28, v20
	v_cmp_gt_i64_e32 vcc, 0, v[4:5]
	v_not_b32_e32 v5, v5
	v_ashrrev_i32_e32 v5, 31, v5
	v_and_b32_e32 v112, v112, v113
	;; [unrolled: 8-line block ×5, first 2 shown]
	v_xor_b32_e32 v113, vcc_hi, v5
	v_xor_b32_e32 v5, vcc_lo, v5
	v_and_b32_e32 v112, v112, v113
	v_and_b32_e32 v113, v21, v5
	v_lshlrev_b32_e32 v5, 24, v20
	v_cmp_gt_i64_e32 vcc, 0, v[4:5]
	v_not_b32_e32 v5, v5
	v_ashrrev_i32_e32 v5, 31, v5
	v_xor_b32_e32 v20, vcc_hi, v5
	v_xor_b32_e32 v5, vcc_lo, v5
	v_and_b32_e32 v21, v112, v20
	v_and_b32_e32 v20, v113, v5
	v_mbcnt_lo_u32_b32 v5, v20, 0
	v_mbcnt_hi_u32_b32 v112, v21, v5
	v_cmp_eq_u32_e32 vcc, 0, v112
	v_cmp_ne_u64_e64 s[36:37], 0, v[20:21]
	s_and_b64 s[38:39], s[36:37], vcc
	; wave barrier
	s_and_saveexec_b64 s[36:37], s[38:39]
	s_cbranch_execz .LBB293_92
; %bb.91:                               ;   in Loop: Header=BB293_66 Depth=2
	v_bcnt_u32_b32 v5, v20, 0
	v_bcnt_u32_b32 v5, v21, v5
	s_waitcnt lgkmcnt(0)
	v_add_u32_e32 v5, v110, v5
	ds_write_b32 v111, v5
.LBB293_92:                             ;   in Loop: Header=BB293_66 Depth=2
	s_or_b64 exec, exec, s[36:37]
	v_xor_b32_e32 v113, 0x7f, v23
	v_lshrrev_b32_sdwa v5, s68, v113 dst_sel:DWORD dst_unused:UNUSED_PAD src0_sel:DWORD src1_sel:BYTE_0
	v_and_b32_e32 v20, s77, v5
	v_mul_u32_u24_e32 v5, 5, v20
	v_add_lshl_u32 v5, v5, v88, 2
	; wave barrier
	v_add_u32_e32 v115, 0x410, v5
	ds_read_b32 v114, v5 offset:1040
	v_and_b32_e32 v5, 1, v20
	v_add_co_u32_e32 v21, vcc, -1, v5
	v_addc_co_u32_e64 v23, s[36:37], 0, -1, vcc
	v_cmp_ne_u32_e32 vcc, 0, v5
	v_xor_b32_e32 v5, vcc_hi, v23
	v_and_b32_e32 v23, exec_hi, v5
	v_lshlrev_b32_e32 v5, 30, v20
	v_xor_b32_e32 v21, vcc_lo, v21
	v_cmp_gt_i64_e32 vcc, 0, v[4:5]
	v_not_b32_e32 v5, v5
	v_ashrrev_i32_e32 v5, 31, v5
	v_and_b32_e32 v21, exec_lo, v21
	v_xor_b32_e32 v116, vcc_hi, v5
	v_xor_b32_e32 v5, vcc_lo, v5
	v_and_b32_e32 v21, v21, v5
	v_lshlrev_b32_e32 v5, 29, v20
	v_cmp_gt_i64_e32 vcc, 0, v[4:5]
	v_not_b32_e32 v5, v5
	v_ashrrev_i32_e32 v5, 31, v5
	v_and_b32_e32 v23, v23, v116
	v_xor_b32_e32 v116, vcc_hi, v5
	v_xor_b32_e32 v5, vcc_lo, v5
	v_and_b32_e32 v21, v21, v5
	v_lshlrev_b32_e32 v5, 28, v20
	v_cmp_gt_i64_e32 vcc, 0, v[4:5]
	v_not_b32_e32 v5, v5
	v_ashrrev_i32_e32 v5, 31, v5
	v_and_b32_e32 v23, v23, v116
	;; [unrolled: 8-line block ×5, first 2 shown]
	v_xor_b32_e32 v116, vcc_hi, v5
	v_xor_b32_e32 v5, vcc_lo, v5
	v_and_b32_e32 v23, v23, v116
	v_and_b32_e32 v116, v21, v5
	v_lshlrev_b32_e32 v5, 24, v20
	v_cmp_gt_i64_e32 vcc, 0, v[4:5]
	v_not_b32_e32 v5, v5
	v_ashrrev_i32_e32 v5, 31, v5
	v_xor_b32_e32 v20, vcc_hi, v5
	v_xor_b32_e32 v5, vcc_lo, v5
	v_and_b32_e32 v21, v23, v20
	v_and_b32_e32 v20, v116, v5
	v_mbcnt_lo_u32_b32 v5, v20, 0
	v_mbcnt_hi_u32_b32 v116, v21, v5
	v_cmp_eq_u32_e32 vcc, 0, v116
	v_cmp_ne_u64_e64 s[36:37], 0, v[20:21]
	s_and_b64 s[38:39], s[36:37], vcc
	; wave barrier
	s_and_saveexec_b64 s[36:37], s[38:39]
	s_cbranch_execz .LBB293_94
; %bb.93:                               ;   in Loop: Header=BB293_66 Depth=2
	v_bcnt_u32_b32 v5, v20, 0
	v_bcnt_u32_b32 v5, v21, v5
	s_waitcnt lgkmcnt(0)
	v_add_u32_e32 v5, v114, v5
	ds_write_b32 v115, v5
.LBB293_94:                             ;   in Loop: Header=BB293_66 Depth=2
	s_or_b64 exec, exec, s[36:37]
	v_xor_b32_e32 v117, 0x7f, v22
	v_lshrrev_b32_sdwa v5, s68, v117 dst_sel:DWORD dst_unused:UNUSED_PAD src0_sel:DWORD src1_sel:BYTE_0
	v_and_b32_e32 v20, s77, v5
	v_mul_u32_u24_e32 v5, 5, v20
	v_add_lshl_u32 v5, v5, v88, 2
	; wave barrier
	v_add_u32_e32 v119, 0x410, v5
	ds_read_b32 v118, v5 offset:1040
	v_and_b32_e32 v5, 1, v20
	v_add_co_u32_e32 v21, vcc, -1, v5
	v_addc_co_u32_e64 v22, s[36:37], 0, -1, vcc
	v_cmp_ne_u32_e32 vcc, 0, v5
	v_xor_b32_e32 v5, vcc_hi, v22
	v_and_b32_e32 v22, exec_hi, v5
	v_lshlrev_b32_e32 v5, 30, v20
	v_xor_b32_e32 v21, vcc_lo, v21
	v_cmp_gt_i64_e32 vcc, 0, v[4:5]
	v_not_b32_e32 v5, v5
	v_ashrrev_i32_e32 v5, 31, v5
	v_and_b32_e32 v21, exec_lo, v21
	v_xor_b32_e32 v23, vcc_hi, v5
	v_xor_b32_e32 v5, vcc_lo, v5
	v_and_b32_e32 v21, v21, v5
	v_lshlrev_b32_e32 v5, 29, v20
	v_cmp_gt_i64_e32 vcc, 0, v[4:5]
	v_not_b32_e32 v5, v5
	v_ashrrev_i32_e32 v5, 31, v5
	v_and_b32_e32 v22, v22, v23
	v_xor_b32_e32 v23, vcc_hi, v5
	v_xor_b32_e32 v5, vcc_lo, v5
	v_and_b32_e32 v21, v21, v5
	v_lshlrev_b32_e32 v5, 28, v20
	v_cmp_gt_i64_e32 vcc, 0, v[4:5]
	v_not_b32_e32 v5, v5
	v_ashrrev_i32_e32 v5, 31, v5
	v_and_b32_e32 v22, v22, v23
	;; [unrolled: 8-line block ×5, first 2 shown]
	v_xor_b32_e32 v23, vcc_hi, v5
	v_xor_b32_e32 v5, vcc_lo, v5
	v_and_b32_e32 v22, v22, v23
	v_and_b32_e32 v23, v21, v5
	v_lshlrev_b32_e32 v5, 24, v20
	v_cmp_gt_i64_e32 vcc, 0, v[4:5]
	v_not_b32_e32 v5, v5
	v_ashrrev_i32_e32 v5, 31, v5
	v_xor_b32_e32 v20, vcc_hi, v5
	v_xor_b32_e32 v5, vcc_lo, v5
	v_and_b32_e32 v21, v22, v20
	v_and_b32_e32 v20, v23, v5
	v_mbcnt_lo_u32_b32 v5, v20, 0
	v_mbcnt_hi_u32_b32 v120, v21, v5
	v_cmp_eq_u32_e32 vcc, 0, v120
	v_cmp_ne_u64_e64 s[36:37], 0, v[20:21]
	s_and_b64 s[38:39], s[36:37], vcc
	; wave barrier
	s_and_saveexec_b64 s[36:37], s[38:39]
	s_cbranch_execz .LBB293_96
; %bb.95:                               ;   in Loop: Header=BB293_66 Depth=2
	v_bcnt_u32_b32 v5, v20, 0
	v_bcnt_u32_b32 v5, v21, v5
	s_waitcnt lgkmcnt(0)
	v_add_u32_e32 v5, v118, v5
	ds_write_b32 v119, v5
.LBB293_96:                             ;   in Loop: Header=BB293_66 Depth=2
	s_or_b64 exec, exec, s[36:37]
	; wave barrier
	s_waitcnt lgkmcnt(0)
	s_barrier
	ds_read_b32 v5, v42 offset:1040
	ds_read2_b32 v[22:23], v44 offset0:1 offset1:2
	ds_read2_b32 v[20:21], v44 offset0:3 offset1:4
	s_waitcnt lgkmcnt(1)
	v_add3_u32 v121, v22, v5, v23
	s_waitcnt lgkmcnt(0)
	v_add3_u32 v21, v121, v20, v21
	s_nop 1
	v_mov_b32_dpp v121, v21 row_shr:1 row_mask:0xf bank_mask:0xf
	v_cndmask_b32_e64 v121, v121, 0, s[16:17]
	v_add_u32_e32 v21, v121, v21
	s_nop 1
	v_mov_b32_dpp v121, v21 row_shr:2 row_mask:0xf bank_mask:0xf
	v_cndmask_b32_e64 v121, 0, v121, s[18:19]
	v_add_u32_e32 v21, v21, v121
	;; [unrolled: 4-line block ×4, first 2 shown]
	s_nop 1
	v_mov_b32_dpp v121, v21 row_bcast:15 row_mask:0xf bank_mask:0xf
	v_cndmask_b32_e64 v121, v121, 0, s[24:25]
	v_add_u32_e32 v21, v21, v121
	s_nop 1
	v_mov_b32_dpp v121, v21 row_bcast:31 row_mask:0xf bank_mask:0xf
	v_cndmask_b32_e64 v121, 0, v121, s[26:27]
	v_add_u32_e32 v21, v21, v121
	s_and_saveexec_b64 s[36:37], s[6:7]
	s_cbranch_execz .LBB293_98
; %bb.97:                               ;   in Loop: Header=BB293_66 Depth=2
	ds_write_b32 v35, v21 offset:1024
.LBB293_98:                             ;   in Loop: Header=BB293_66 Depth=2
	s_or_b64 exec, exec, s[36:37]
	s_waitcnt lgkmcnt(0)
	s_barrier
	s_and_saveexec_b64 s[36:37], s[8:9]
	s_cbranch_execz .LBB293_100
; %bb.99:                               ;   in Loop: Header=BB293_66 Depth=2
	v_add_u32_e32 v121, v42, v45
	ds_read_b32 v122, v121 offset:1024
	s_waitcnt lgkmcnt(0)
	s_nop 0
	v_mov_b32_dpp v123, v122 row_shr:1 row_mask:0xf bank_mask:0xf
	v_cndmask_b32_e64 v123, v123, 0, s[30:31]
	v_add_u32_e32 v122, v123, v122
	s_nop 1
	v_mov_b32_dpp v123, v122 row_shr:2 row_mask:0xf bank_mask:0xf
	v_cndmask_b32_e64 v123, 0, v123, s[34:35]
	v_add_u32_e32 v122, v122, v123
	ds_write_b32 v121, v122 offset:1024
.LBB293_100:                            ;   in Loop: Header=BB293_66 Depth=2
	s_or_b64 exec, exec, s[36:37]
	v_mov_b32_e32 v121, 0
	s_waitcnt lgkmcnt(0)
	s_barrier
	s_and_saveexec_b64 s[36:37], s[10:11]
	s_cbranch_execz .LBB293_102
; %bb.101:                              ;   in Loop: Header=BB293_66 Depth=2
	ds_read_b32 v121, v35 offset:1020
.LBB293_102:                            ;   in Loop: Header=BB293_66 Depth=2
	s_or_b64 exec, exec, s[36:37]
	s_waitcnt lgkmcnt(0)
	v_add_u32_e32 v21, v121, v21
	ds_bpermute_b32 v21, v65, v21
	s_waitcnt lgkmcnt(0)
	v_cndmask_b32_e64 v21, v21, v121, s[28:29]
	v_cndmask_b32_e64 v21, v21, 0, s[12:13]
	v_add_u32_e32 v5, v21, v5
	ds_write_b32 v42, v21 offset:1040
	v_add_u32_e32 v21, v5, v22
	v_add_u32_e32 v22, v21, v23
	ds_write2_b32 v44, v5, v21 offset0:1 offset1:2
	v_add_u32_e32 v5, v22, v20
	ds_write2_b32 v44, v22, v5 offset0:3 offset1:4
	s_waitcnt lgkmcnt(0)
	s_barrier
	ds_read_b32 v20, v97
	ds_read_b32 v21, v102
	;; [unrolled: 1-line block ×8, first 2 shown]
	ds_read_b32 v97, v42 offset:1040
	v_mov_b32_e32 v5, 0x800
	s_and_saveexec_b64 s[36:37], s[14:15]
	s_cbranch_execz .LBB293_104
; %bb.103:                              ;   in Loop: Header=BB293_66 Depth=2
	ds_read_b32 v5, v42 offset:1060
.LBB293_104:                            ;   in Loop: Header=BB293_66 Depth=2
	s_or_b64 exec, exec, s[36:37]
	s_waitcnt lgkmcnt(0)
	s_barrier
	s_and_saveexec_b64 s[36:37], s[4:5]
	s_cbranch_execz .LBB293_106
; %bb.105:                              ;   in Loop: Header=BB293_66 Depth=2
	ds_read_b32 v102, v3
	s_waitcnt lgkmcnt(0)
	v_sub_u32_e32 v97, v102, v97
	ds_write_b32 v3, v97
.LBB293_106:                            ;   in Loop: Header=BB293_66 Depth=2
	s_or_b64 exec, exec, s[36:37]
	v_add_u32_e32 v102, v92, v93
	v_add3_u32 v98, v98, v95, v20
	v_add3_u32 v97, v103, v100, v21
	v_add3_u32 v95, v106, v104, v22
	v_add3_u32 v93, v109, v107, v23
	v_add3_u32 v92, v112, v110, v105
	v_add3_u32 v23, v116, v114, v108
	v_add3_u32 v22, v120, v118, v111
	v_cmp_lt_u32_e64 s[48:49], v2, v89
	ds_write_b8 v102, v90 offset:1024
	ds_write_b8 v98, v94 offset:1024
	;; [unrolled: 1-line block ×8, first 2 shown]
	s_waitcnt lgkmcnt(0)
	s_barrier
	s_and_saveexec_b64 s[36:37], s[48:49]
	s_cbranch_execz .LBB293_114
; %bb.107:                              ;   in Loop: Header=BB293_66 Depth=2
	ds_read_u8 v20, v2 offset:1024
	s_waitcnt lgkmcnt(0)
	v_lshrrev_b32_sdwa v21, s68, v20 dst_sel:DWORD dst_unused:UNUSED_PAD src0_sel:DWORD src1_sel:BYTE_0
	v_and_b32_e32 v21, s77, v21
	v_lshlrev_b32_e32 v21, 2, v21
	ds_read_b32 v21, v21
	v_xor_b32_e32 v20, 0x7f, v20
	s_waitcnt lgkmcnt(0)
	v_add_u32_e32 v21, v21, v2
	global_store_byte v21, v20, s[58:59]
	s_or_b64 exec, exec, s[36:37]
	v_cmp_lt_u32_e64 s[46:47], v24, v89
	s_and_saveexec_b64 s[36:37], s[46:47]
	s_cbranch_execnz .LBB293_115
.LBB293_108:                            ;   in Loop: Header=BB293_66 Depth=2
	s_or_b64 exec, exec, s[36:37]
	v_cmp_lt_u32_e64 s[44:45], v25, v89
	s_and_saveexec_b64 s[36:37], s[44:45]
	s_cbranch_execz .LBB293_116
.LBB293_109:                            ;   in Loop: Header=BB293_66 Depth=2
	ds_read_u8 v20, v30 offset:512
	s_waitcnt lgkmcnt(0)
	v_lshrrev_b32_sdwa v21, s68, v20 dst_sel:DWORD dst_unused:UNUSED_PAD src0_sel:DWORD src1_sel:BYTE_0
	v_and_b32_e32 v21, s77, v21
	v_lshlrev_b32_e32 v21, 2, v21
	ds_read_b32 v21, v21
	v_xor_b32_e32 v20, 0x7f, v20
	s_waitcnt lgkmcnt(0)
	v_add_u32_e32 v21, v21, v25
	global_store_byte v21, v20, s[58:59]
	s_or_b64 exec, exec, s[36:37]
	v_cmp_lt_u32_e64 s[42:43], v26, v89
	s_and_saveexec_b64 s[36:37], s[42:43]
	s_cbranch_execnz .LBB293_117
.LBB293_110:                            ;   in Loop: Header=BB293_66 Depth=2
	s_or_b64 exec, exec, s[36:37]
	v_cmp_lt_u32_e64 s[40:41], v30, v89
	s_and_saveexec_b64 s[36:37], s[40:41]
	s_cbranch_execz .LBB293_118
.LBB293_111:                            ;   in Loop: Header=BB293_66 Depth=2
	ds_read_u8 v20, v30 offset:1024
	s_waitcnt lgkmcnt(0)
	v_lshrrev_b32_sdwa v21, s68, v20 dst_sel:DWORD dst_unused:UNUSED_PAD src0_sel:DWORD src1_sel:BYTE_0
	v_and_b32_e32 v21, s77, v21
	v_lshlrev_b32_e32 v21, 2, v21
	ds_read_b32 v21, v21
	v_xor_b32_e32 v20, 0x7f, v20
	s_waitcnt lgkmcnt(0)
	v_add_u32_e32 v21, v21, v30
	global_store_byte v21, v20, s[58:59]
	s_or_b64 exec, exec, s[36:37]
	v_cmp_lt_u32_e64 s[38:39], v31, v89
	s_and_saveexec_b64 s[36:37], s[38:39]
	s_cbranch_execnz .LBB293_119
.LBB293_112:                            ;   in Loop: Header=BB293_66 Depth=2
	s_or_b64 exec, exec, s[36:37]
	v_cmp_lt_u32_e64 s[36:37], v32, v89
	s_and_saveexec_b64 s[52:53], s[36:37]
	s_cbranch_execz .LBB293_120
.LBB293_113:                            ;   in Loop: Header=BB293_66 Depth=2
	ds_read_u8 v20, v30 offset:1536
	s_waitcnt lgkmcnt(0)
	v_lshrrev_b32_sdwa v21, s68, v20 dst_sel:DWORD dst_unused:UNUSED_PAD src0_sel:DWORD src1_sel:BYTE_0
	v_and_b32_e32 v21, s77, v21
	v_lshlrev_b32_e32 v21, 2, v21
	ds_read_b32 v21, v21
	v_xor_b32_e32 v20, 0x7f, v20
	s_waitcnt lgkmcnt(0)
	v_add_u32_e32 v21, v21, v32
	global_store_byte v21, v20, s[58:59]
	s_or_b64 exec, exec, s[52:53]
	v_cmp_lt_u32_e32 vcc, v33, v89
	s_and_saveexec_b64 s[52:53], vcc
	s_cbranch_execnz .LBB293_121
	s_branch .LBB293_122
.LBB293_114:                            ;   in Loop: Header=BB293_66 Depth=2
	s_or_b64 exec, exec, s[36:37]
	v_cmp_lt_u32_e64 s[46:47], v24, v89
	s_and_saveexec_b64 s[36:37], s[46:47]
	s_cbranch_execz .LBB293_108
.LBB293_115:                            ;   in Loop: Header=BB293_66 Depth=2
	ds_read_u8 v20, v30 offset:256
	s_waitcnt lgkmcnt(0)
	v_lshrrev_b32_sdwa v21, s68, v20 dst_sel:DWORD dst_unused:UNUSED_PAD src0_sel:DWORD src1_sel:BYTE_0
	v_and_b32_e32 v21, s77, v21
	v_lshlrev_b32_e32 v21, 2, v21
	ds_read_b32 v21, v21
	v_xor_b32_e32 v20, 0x7f, v20
	s_waitcnt lgkmcnt(0)
	v_add_u32_e32 v21, v21, v24
	global_store_byte v21, v20, s[58:59]
	s_or_b64 exec, exec, s[36:37]
	v_cmp_lt_u32_e64 s[44:45], v25, v89
	s_and_saveexec_b64 s[36:37], s[44:45]
	s_cbranch_execnz .LBB293_109
.LBB293_116:                            ;   in Loop: Header=BB293_66 Depth=2
	s_or_b64 exec, exec, s[36:37]
	v_cmp_lt_u32_e64 s[42:43], v26, v89
	s_and_saveexec_b64 s[36:37], s[42:43]
	s_cbranch_execz .LBB293_110
.LBB293_117:                            ;   in Loop: Header=BB293_66 Depth=2
	ds_read_u8 v20, v30 offset:768
	s_waitcnt lgkmcnt(0)
	v_lshrrev_b32_sdwa v21, s68, v20 dst_sel:DWORD dst_unused:UNUSED_PAD src0_sel:DWORD src1_sel:BYTE_0
	v_and_b32_e32 v21, s77, v21
	v_lshlrev_b32_e32 v21, 2, v21
	ds_read_b32 v21, v21
	v_xor_b32_e32 v20, 0x7f, v20
	s_waitcnt lgkmcnt(0)
	v_add_u32_e32 v21, v21, v26
	global_store_byte v21, v20, s[58:59]
	s_or_b64 exec, exec, s[36:37]
	v_cmp_lt_u32_e64 s[40:41], v30, v89
	s_and_saveexec_b64 s[36:37], s[40:41]
	s_cbranch_execnz .LBB293_111
.LBB293_118:                            ;   in Loop: Header=BB293_66 Depth=2
	s_or_b64 exec, exec, s[36:37]
	v_cmp_lt_u32_e64 s[38:39], v31, v89
	s_and_saveexec_b64 s[36:37], s[38:39]
	s_cbranch_execz .LBB293_112
.LBB293_119:                            ;   in Loop: Header=BB293_66 Depth=2
	ds_read_u8 v20, v30 offset:1280
	s_waitcnt lgkmcnt(0)
	v_lshrrev_b32_sdwa v21, s68, v20 dst_sel:DWORD dst_unused:UNUSED_PAD src0_sel:DWORD src1_sel:BYTE_0
	v_and_b32_e32 v21, s77, v21
	v_lshlrev_b32_e32 v21, 2, v21
	ds_read_b32 v21, v21
	v_xor_b32_e32 v20, 0x7f, v20
	s_waitcnt lgkmcnt(0)
	v_add_u32_e32 v21, v21, v31
	global_store_byte v21, v20, s[58:59]
	s_or_b64 exec, exec, s[36:37]
	v_cmp_lt_u32_e64 s[36:37], v32, v89
	s_and_saveexec_b64 s[52:53], s[36:37]
	s_cbranch_execnz .LBB293_113
.LBB293_120:                            ;   in Loop: Header=BB293_66 Depth=2
	s_or_b64 exec, exec, s[52:53]
	v_cmp_lt_u32_e32 vcc, v33, v89
	s_and_saveexec_b64 s[52:53], vcc
	s_cbranch_execz .LBB293_122
.LBB293_121:                            ;   in Loop: Header=BB293_66 Depth=2
	ds_read_u8 v20, v30 offset:1792
	s_waitcnt lgkmcnt(0)
	v_lshrrev_b32_sdwa v21, s68, v20 dst_sel:DWORD dst_unused:UNUSED_PAD src0_sel:DWORD src1_sel:BYTE_0
	v_and_b32_e32 v21, s77, v21
	v_lshlrev_b32_e32 v21, 2, v21
	ds_read_b32 v21, v21
	v_xor_b32_e32 v20, 0x7f, v20
	s_waitcnt lgkmcnt(0)
	v_add_u32_e32 v21, v21, v33
	global_store_byte v21, v20, s[58:59]
.LBB293_122:                            ;   in Loop: Header=BB293_66 Depth=2
	s_or_b64 exec, exec, s[52:53]
	s_lshl_b64 s[52:53], s[72:73], 3
	v_mov_b32_e32 v21, s53
	v_add_co_u32_e64 v20, s[52:53], s52, v77
	v_addc_co_u32_e64 v21, s[52:53], v78, v21, s[52:53]
	v_cmp_lt_u32_e64 s[52:53], v72, v89
	s_and_saveexec_b64 s[62:63], s[52:53]
	s_xor_b64 s[52:53], exec, s[62:63]
	s_cbranch_execz .LBB293_138
; %bb.123:                              ;   in Loop: Header=BB293_66 Depth=2
	global_load_dwordx2 v[18:19], v[20:21], off
	s_or_b64 exec, exec, s[52:53]
	v_cmp_lt_u32_e64 s[52:53], v79, v89
	s_and_saveexec_b64 s[62:63], s[52:53]
	s_cbranch_execnz .LBB293_139
.LBB293_124:                            ;   in Loop: Header=BB293_66 Depth=2
	s_or_b64 exec, exec, s[62:63]
	v_cmp_lt_u32_e64 s[52:53], v80, v89
	s_and_saveexec_b64 s[62:63], s[52:53]
	s_cbranch_execz .LBB293_140
.LBB293_125:                            ;   in Loop: Header=BB293_66 Depth=2
	global_load_dwordx2 v[14:15], v[20:21], off offset:1024
	s_or_b64 exec, exec, s[62:63]
	v_cmp_lt_u32_e64 s[52:53], v81, v89
	s_and_saveexec_b64 s[62:63], s[52:53]
	s_cbranch_execnz .LBB293_141
.LBB293_126:                            ;   in Loop: Header=BB293_66 Depth=2
	s_or_b64 exec, exec, s[62:63]
	v_cmp_lt_u32_e64 s[52:53], v82, v89
	s_and_saveexec_b64 s[62:63], s[52:53]
	s_cbranch_execz .LBB293_142
.LBB293_127:                            ;   in Loop: Header=BB293_66 Depth=2
	global_load_dwordx2 v[10:11], v[20:21], off offset:2048
	s_or_b64 exec, exec, s[62:63]
	v_cmp_lt_u32_e64 s[52:53], v83, v89
	s_and_saveexec_b64 s[62:63], s[52:53]
	s_cbranch_execnz .LBB293_143
.LBB293_128:                            ;   in Loop: Header=BB293_66 Depth=2
	s_or_b64 exec, exec, s[62:63]
	v_cmp_lt_u32_e64 s[52:53], v84, v89
	s_and_saveexec_b64 s[62:63], s[52:53]
	s_cbranch_execz .LBB293_144
.LBB293_129:                            ;   in Loop: Header=BB293_66 Depth=2
	global_load_dwordx2 v[6:7], v[20:21], off offset:3072
	s_or_b64 exec, exec, s[62:63]
	v_cmp_lt_u32_e64 s[52:53], v85, v89
	s_and_saveexec_b64 s[62:63], s[52:53]
	s_cbranch_execnz .LBB293_145
.LBB293_130:                            ;   in Loop: Header=BB293_66 Depth=2
	s_or_b64 exec, exec, s[62:63]
	s_and_saveexec_b64 s[52:53], s[48:49]
	s_cbranch_execz .LBB293_146
.LBB293_131:                            ;   in Loop: Header=BB293_66 Depth=2
	ds_read_u8 v20, v2 offset:1024
	s_waitcnt lgkmcnt(0)
	v_lshrrev_b32_e32 v20, s68, v20
	v_and_b32_e32 v75, s77, v20
	s_or_b64 exec, exec, s[52:53]
	s_and_saveexec_b64 s[52:53], s[46:47]
	s_cbranch_execnz .LBB293_147
.LBB293_132:                            ;   in Loop: Header=BB293_66 Depth=2
	s_or_b64 exec, exec, s[52:53]
	s_and_saveexec_b64 s[52:53], s[44:45]
	s_cbranch_execz .LBB293_148
.LBB293_133:                            ;   in Loop: Header=BB293_66 Depth=2
	ds_read_u8 v20, v30 offset:512
	s_waitcnt lgkmcnt(0)
	v_lshrrev_b32_e32 v20, s68, v20
	v_and_b32_e32 v71, s77, v20
	s_or_b64 exec, exec, s[52:53]
	s_and_saveexec_b64 s[52:53], s[42:43]
	s_cbranch_execnz .LBB293_149
.LBB293_134:                            ;   in Loop: Header=BB293_66 Depth=2
	s_or_b64 exec, exec, s[52:53]
	s_and_saveexec_b64 s[52:53], s[40:41]
	s_cbranch_execz .LBB293_150
.LBB293_135:                            ;   in Loop: Header=BB293_66 Depth=2
	ds_read_u8 v20, v30 offset:1024
	s_waitcnt lgkmcnt(0)
	v_lshrrev_b32_e32 v20, s68, v20
	v_and_b32_e32 v69, s77, v20
	s_or_b64 exec, exec, s[52:53]
	s_and_saveexec_b64 s[52:53], s[38:39]
	s_cbranch_execnz .LBB293_151
.LBB293_136:                            ;   in Loop: Header=BB293_66 Depth=2
	s_or_b64 exec, exec, s[52:53]
	s_and_saveexec_b64 s[52:53], s[36:37]
	s_cbranch_execz .LBB293_152
.LBB293_137:                            ;   in Loop: Header=BB293_66 Depth=2
	ds_read_u8 v20, v30 offset:1536
	s_waitcnt lgkmcnt(0)
	v_lshrrev_b32_e32 v20, s68, v20
	v_and_b32_e32 v67, s77, v20
	s_or_b64 exec, exec, s[52:53]
	s_and_saveexec_b64 s[52:53], vcc
	s_cbranch_execnz .LBB293_153
	s_branch .LBB293_154
.LBB293_138:                            ;   in Loop: Header=BB293_66 Depth=2
	s_or_b64 exec, exec, s[52:53]
	v_cmp_lt_u32_e64 s[52:53], v79, v89
	s_and_saveexec_b64 s[62:63], s[52:53]
	s_cbranch_execz .LBB293_124
.LBB293_139:                            ;   in Loop: Header=BB293_66 Depth=2
	global_load_dwordx2 v[16:17], v[20:21], off offset:512
	s_or_b64 exec, exec, s[62:63]
	v_cmp_lt_u32_e64 s[52:53], v80, v89
	s_and_saveexec_b64 s[62:63], s[52:53]
	s_cbranch_execnz .LBB293_125
.LBB293_140:                            ;   in Loop: Header=BB293_66 Depth=2
	s_or_b64 exec, exec, s[62:63]
	v_cmp_lt_u32_e64 s[52:53], v81, v89
	s_and_saveexec_b64 s[62:63], s[52:53]
	s_cbranch_execz .LBB293_126
.LBB293_141:                            ;   in Loop: Header=BB293_66 Depth=2
	global_load_dwordx2 v[12:13], v[20:21], off offset:1536
	s_or_b64 exec, exec, s[62:63]
	v_cmp_lt_u32_e64 s[52:53], v82, v89
	s_and_saveexec_b64 s[62:63], s[52:53]
	s_cbranch_execnz .LBB293_127
.LBB293_142:                            ;   in Loop: Header=BB293_66 Depth=2
	s_or_b64 exec, exec, s[62:63]
	v_cmp_lt_u32_e64 s[52:53], v83, v89
	s_and_saveexec_b64 s[62:63], s[52:53]
	s_cbranch_execz .LBB293_128
.LBB293_143:                            ;   in Loop: Header=BB293_66 Depth=2
	global_load_dwordx2 v[8:9], v[20:21], off offset:2560
	s_or_b64 exec, exec, s[62:63]
	v_cmp_lt_u32_e64 s[52:53], v84, v89
	s_and_saveexec_b64 s[62:63], s[52:53]
	s_cbranch_execnz .LBB293_129
.LBB293_144:                            ;   in Loop: Header=BB293_66 Depth=2
	s_or_b64 exec, exec, s[62:63]
	v_cmp_lt_u32_e64 s[52:53], v85, v89
	s_and_saveexec_b64 s[62:63], s[52:53]
	s_cbranch_execz .LBB293_130
.LBB293_145:                            ;   in Loop: Header=BB293_66 Depth=2
	global_load_dwordx2 v[0:1], v[20:21], off offset:3584
	s_or_b64 exec, exec, s[62:63]
	s_and_saveexec_b64 s[52:53], s[48:49]
	s_cbranch_execnz .LBB293_131
.LBB293_146:                            ;   in Loop: Header=BB293_66 Depth=2
	s_or_b64 exec, exec, s[52:53]
	s_and_saveexec_b64 s[52:53], s[46:47]
	s_cbranch_execz .LBB293_132
.LBB293_147:                            ;   in Loop: Header=BB293_66 Depth=2
	ds_read_u8 v20, v30 offset:256
	s_waitcnt lgkmcnt(0)
	v_lshrrev_b32_e32 v20, s68, v20
	v_and_b32_e32 v73, s77, v20
	s_or_b64 exec, exec, s[52:53]
	s_and_saveexec_b64 s[52:53], s[44:45]
	s_cbranch_execnz .LBB293_133
.LBB293_148:                            ;   in Loop: Header=BB293_66 Depth=2
	s_or_b64 exec, exec, s[52:53]
	s_and_saveexec_b64 s[52:53], s[42:43]
	s_cbranch_execz .LBB293_134
.LBB293_149:                            ;   in Loop: Header=BB293_66 Depth=2
	ds_read_u8 v20, v30 offset:768
	s_waitcnt lgkmcnt(0)
	v_lshrrev_b32_e32 v20, s68, v20
	v_and_b32_e32 v70, s77, v20
	s_or_b64 exec, exec, s[52:53]
	s_and_saveexec_b64 s[52:53], s[40:41]
	s_cbranch_execnz .LBB293_135
.LBB293_150:                            ;   in Loop: Header=BB293_66 Depth=2
	s_or_b64 exec, exec, s[52:53]
	s_and_saveexec_b64 s[52:53], s[38:39]
	s_cbranch_execz .LBB293_136
.LBB293_151:                            ;   in Loop: Header=BB293_66 Depth=2
	ds_read_u8 v20, v30 offset:1280
	s_waitcnt lgkmcnt(0)
	v_lshrrev_b32_e32 v20, s68, v20
	v_and_b32_e32 v68, s77, v20
	s_or_b64 exec, exec, s[52:53]
	s_and_saveexec_b64 s[52:53], s[36:37]
	s_cbranch_execnz .LBB293_137
.LBB293_152:                            ;   in Loop: Header=BB293_66 Depth=2
	s_or_b64 exec, exec, s[52:53]
	s_and_saveexec_b64 s[52:53], vcc
	s_cbranch_execz .LBB293_154
.LBB293_153:                            ;   in Loop: Header=BB293_66 Depth=2
	ds_read_u8 v20, v30 offset:1792
	s_waitcnt lgkmcnt(0)
	v_lshrrev_b32_e32 v20, s68, v20
	v_and_b32_e32 v66, s77, v20
.LBB293_154:                            ;   in Loop: Header=BB293_66 Depth=2
	s_or_b64 exec, exec, s[52:53]
	v_lshlrev_b32_e32 v20, 3, v102
	s_barrier
	s_waitcnt vmcnt(0)
	ds_write_b64 v20, v[18:19] offset:1024
	v_lshlrev_b32_e32 v20, 3, v98
	ds_write_b64 v20, v[16:17] offset:1024
	v_lshlrev_b32_e32 v20, 3, v97
	;; [unrolled: 2-line block ×7, first 2 shown]
	ds_write_b64 v20, v[0:1] offset:1024
	s_waitcnt lgkmcnt(0)
	s_barrier
	s_and_saveexec_b64 s[52:53], s[48:49]
	s_cbranch_execz .LBB293_162
; %bb.155:                              ;   in Loop: Header=BB293_66 Depth=2
	v_lshlrev_b32_e32 v20, 2, v75
	ds_read_b32 v22, v20
	v_add_u32_e32 v20, v2, v50
	ds_read_b64 v[20:21], v20 offset:1024
	v_mov_b32_e32 v23, v4
	v_mov_b32_e32 v89, s65
	s_waitcnt lgkmcnt(1)
	v_add_u32_e32 v22, v22, v2
	v_lshlrev_b64 v[22:23], 3, v[22:23]
	v_add_co_u32_e64 v22, s[48:49], s64, v22
	v_addc_co_u32_e64 v23, s[48:49], v89, v23, s[48:49]
	s_waitcnt lgkmcnt(0)
	global_store_dwordx2 v[22:23], v[20:21], off
	s_or_b64 exec, exec, s[52:53]
	s_and_saveexec_b64 s[48:49], s[46:47]
	s_cbranch_execnz .LBB293_163
.LBB293_156:                            ;   in Loop: Header=BB293_66 Depth=2
	s_or_b64 exec, exec, s[48:49]
	s_and_saveexec_b64 s[46:47], s[44:45]
	s_cbranch_execz .LBB293_164
.LBB293_157:                            ;   in Loop: Header=BB293_66 Depth=2
	v_lshlrev_b32_e32 v20, 2, v71
	ds_read_b32 v22, v20
	v_add_u32_e32 v20, v30, v50
	ds_read_b64 v[20:21], v20 offset:4096
	v_mov_b32_e32 v23, v4
	v_mov_b32_e32 v89, s65
	s_waitcnt lgkmcnt(1)
	v_add_u32_e32 v22, v22, v25
	v_lshlrev_b64 v[22:23], 3, v[22:23]
	v_add_co_u32_e64 v22, s[44:45], s64, v22
	v_addc_co_u32_e64 v23, s[44:45], v89, v23, s[44:45]
	s_waitcnt lgkmcnt(0)
	global_store_dwordx2 v[22:23], v[20:21], off
	s_or_b64 exec, exec, s[46:47]
	s_and_saveexec_b64 s[44:45], s[42:43]
	s_cbranch_execnz .LBB293_165
.LBB293_158:                            ;   in Loop: Header=BB293_66 Depth=2
	s_or_b64 exec, exec, s[44:45]
	s_and_saveexec_b64 s[42:43], s[40:41]
	s_cbranch_execz .LBB293_166
.LBB293_159:                            ;   in Loop: Header=BB293_66 Depth=2
	v_lshlrev_b32_e32 v20, 2, v69
	ds_read_b32 v22, v20
	v_add_u32_e32 v20, v30, v50
	ds_read_b64 v[20:21], v20 offset:8192
	v_mov_b32_e32 v23, v4
	v_mov_b32_e32 v89, s65
	s_waitcnt lgkmcnt(1)
	v_add_u32_e32 v22, v22, v30
	v_lshlrev_b64 v[22:23], 3, v[22:23]
	v_add_co_u32_e64 v22, s[40:41], s64, v22
	v_addc_co_u32_e64 v23, s[40:41], v89, v23, s[40:41]
	s_waitcnt lgkmcnt(0)
	global_store_dwordx2 v[22:23], v[20:21], off
	s_or_b64 exec, exec, s[42:43]
	s_and_saveexec_b64 s[40:41], s[38:39]
	s_cbranch_execnz .LBB293_167
.LBB293_160:                            ;   in Loop: Header=BB293_66 Depth=2
	s_or_b64 exec, exec, s[40:41]
	s_and_saveexec_b64 s[38:39], s[36:37]
	s_cbranch_execz .LBB293_168
.LBB293_161:                            ;   in Loop: Header=BB293_66 Depth=2
	v_lshlrev_b32_e32 v20, 2, v67
	ds_read_b32 v22, v20
	v_add_u32_e32 v20, v30, v50
	ds_read_b64 v[20:21], v20 offset:12288
	v_mov_b32_e32 v23, v4
	v_mov_b32_e32 v89, s65
	s_waitcnt lgkmcnt(1)
	v_add_u32_e32 v22, v22, v32
	v_lshlrev_b64 v[22:23], 3, v[22:23]
	v_add_co_u32_e64 v22, s[36:37], s64, v22
	v_addc_co_u32_e64 v23, s[36:37], v89, v23, s[36:37]
	s_waitcnt lgkmcnt(0)
	global_store_dwordx2 v[22:23], v[20:21], off
	s_or_b64 exec, exec, s[38:39]
	s_and_saveexec_b64 s[36:37], vcc
	s_cbranch_execnz .LBB293_169
	s_branch .LBB293_170
.LBB293_162:                            ;   in Loop: Header=BB293_66 Depth=2
	s_or_b64 exec, exec, s[52:53]
	s_and_saveexec_b64 s[48:49], s[46:47]
	s_cbranch_execz .LBB293_156
.LBB293_163:                            ;   in Loop: Header=BB293_66 Depth=2
	v_lshlrev_b32_e32 v20, 2, v73
	ds_read_b32 v22, v20
	v_add_u32_e32 v20, v30, v50
	ds_read_b64 v[20:21], v20 offset:2048
	v_mov_b32_e32 v23, v4
	v_mov_b32_e32 v89, s65
	s_waitcnt lgkmcnt(1)
	v_add_u32_e32 v22, v22, v24
	v_lshlrev_b64 v[22:23], 3, v[22:23]
	v_add_co_u32_e64 v22, s[46:47], s64, v22
	v_addc_co_u32_e64 v23, s[46:47], v89, v23, s[46:47]
	s_waitcnt lgkmcnt(0)
	global_store_dwordx2 v[22:23], v[20:21], off
	s_or_b64 exec, exec, s[48:49]
	s_and_saveexec_b64 s[46:47], s[44:45]
	s_cbranch_execnz .LBB293_157
.LBB293_164:                            ;   in Loop: Header=BB293_66 Depth=2
	s_or_b64 exec, exec, s[46:47]
	s_and_saveexec_b64 s[44:45], s[42:43]
	s_cbranch_execz .LBB293_158
.LBB293_165:                            ;   in Loop: Header=BB293_66 Depth=2
	v_lshlrev_b32_e32 v20, 2, v70
	ds_read_b32 v22, v20
	v_add_u32_e32 v20, v30, v50
	ds_read_b64 v[20:21], v20 offset:6144
	v_mov_b32_e32 v23, v4
	v_mov_b32_e32 v89, s65
	s_waitcnt lgkmcnt(1)
	v_add_u32_e32 v22, v22, v26
	v_lshlrev_b64 v[22:23], 3, v[22:23]
	v_add_co_u32_e64 v22, s[42:43], s64, v22
	v_addc_co_u32_e64 v23, s[42:43], v89, v23, s[42:43]
	s_waitcnt lgkmcnt(0)
	global_store_dwordx2 v[22:23], v[20:21], off
	s_or_b64 exec, exec, s[44:45]
	s_and_saveexec_b64 s[42:43], s[40:41]
	s_cbranch_execnz .LBB293_159
.LBB293_166:                            ;   in Loop: Header=BB293_66 Depth=2
	s_or_b64 exec, exec, s[42:43]
	s_and_saveexec_b64 s[40:41], s[38:39]
	s_cbranch_execz .LBB293_160
.LBB293_167:                            ;   in Loop: Header=BB293_66 Depth=2
	v_lshlrev_b32_e32 v20, 2, v68
	ds_read_b32 v22, v20
	v_add_u32_e32 v20, v30, v50
	ds_read_b64 v[20:21], v20 offset:10240
	v_mov_b32_e32 v23, v4
	v_mov_b32_e32 v89, s65
	s_waitcnt lgkmcnt(1)
	v_add_u32_e32 v22, v22, v31
	v_lshlrev_b64 v[22:23], 3, v[22:23]
	v_add_co_u32_e64 v22, s[38:39], s64, v22
	v_addc_co_u32_e64 v23, s[38:39], v89, v23, s[38:39]
	s_waitcnt lgkmcnt(0)
	global_store_dwordx2 v[22:23], v[20:21], off
	s_or_b64 exec, exec, s[40:41]
	s_and_saveexec_b64 s[38:39], s[36:37]
	s_cbranch_execnz .LBB293_161
.LBB293_168:                            ;   in Loop: Header=BB293_66 Depth=2
	s_or_b64 exec, exec, s[38:39]
	s_and_saveexec_b64 s[36:37], vcc
	s_cbranch_execz .LBB293_170
.LBB293_169:                            ;   in Loop: Header=BB293_66 Depth=2
	v_lshlrev_b32_e32 v20, 2, v66
	ds_read_b32 v22, v20
	v_add_u32_e32 v20, v30, v50
	ds_read_b64 v[20:21], v20 offset:14336
	v_mov_b32_e32 v23, v4
	v_mov_b32_e32 v89, s65
	s_waitcnt lgkmcnt(1)
	v_add_u32_e32 v22, v22, v33
	v_lshlrev_b64 v[22:23], 3, v[22:23]
	v_add_co_u32_e32 v22, vcc, s64, v22
	v_addc_co_u32_e32 v23, vcc, v89, v23, vcc
	s_waitcnt lgkmcnt(0)
	global_store_dwordx2 v[22:23], v[20:21], off
.LBB293_170:                            ;   in Loop: Header=BB293_66 Depth=2
	s_or_b64 exec, exec, s[36:37]
	s_barrier
	s_and_saveexec_b64 s[36:37], s[4:5]
	s_cbranch_execz .LBB293_65
; %bb.171:                              ;   in Loop: Header=BB293_66 Depth=2
	ds_read_b32 v20, v3
	s_waitcnt lgkmcnt(0)
	v_add_u32_e32 v5, v20, v5
	ds_write_b32 v3, v5
	s_branch .LBB293_65
.LBB293_172:                            ;   in Loop: Header=BB293_66 Depth=2
	s_or_b64 exec, exec, s[36:37]
	v_cmp_gt_u32_e32 vcc, s78, v79
	s_and_saveexec_b64 s[36:37], vcc
	s_cbranch_execz .LBB293_72
.LBB293_173:                            ;   in Loop: Header=BB293_66 Depth=2
	global_load_ubyte v94, v[20:21], off offset:64
	s_or_b64 exec, exec, s[36:37]
	v_cmp_gt_u32_e32 vcc, s78, v80
	s_and_saveexec_b64 s[36:37], vcc
	s_cbranch_execnz .LBB293_73
.LBB293_174:                            ;   in Loop: Header=BB293_66 Depth=2
	s_or_b64 exec, exec, s[36:37]
	v_cmp_gt_u32_e32 vcc, s78, v81
	s_and_saveexec_b64 s[36:37], vcc
	s_cbranch_execz .LBB293_74
.LBB293_175:                            ;   in Loop: Header=BB293_66 Depth=2
	global_load_ubyte v101, v[20:21], off offset:192
	s_or_b64 exec, exec, s[36:37]
	v_cmp_gt_u32_e32 vcc, s78, v82
	s_and_saveexec_b64 s[36:37], vcc
	s_cbranch_execnz .LBB293_75
.LBB293_176:                            ;   in Loop: Header=BB293_66 Depth=2
	s_or_b64 exec, exec, s[36:37]
	v_cmp_gt_u32_e32 vcc, s78, v83
	s_and_saveexec_b64 s[36:37], vcc
	s_cbranch_execz .LBB293_76
.LBB293_177:                            ;   in Loop: Header=BB293_66 Depth=2
	global_load_ubyte v91, v[20:21], off offset:320
	s_or_b64 exec, exec, s[36:37]
	v_cmp_gt_u32_e32 vcc, s78, v84
	s_and_saveexec_b64 s[36:37], vcc
	s_cbranch_execnz .LBB293_77
	s_branch .LBB293_78
.LBB293_178:                            ;   in Loop: Header=BB293_12 Depth=1
	s_waitcnt lgkmcnt(0)
	s_barrier
	s_mov_b64 s[16:17], 0
.LBB293_179:                            ;   in Loop: Header=BB293_12 Depth=1
	s_and_b64 vcc, exec, s[16:17]
	s_cbranch_vccz .LBB293_345
; %bb.180:                              ;   in Loop: Header=BB293_12 Depth=1
	s_mov_b32 s20, s71
	s_mov_b32 s22, s51
	s_barrier
	s_waitcnt lgkmcnt(0)
                                        ; implicit-def: $vgpr5
                                        ; implicit-def: $vgpr6
                                        ; implicit-def: $vgpr7
                                        ; implicit-def: $vgpr8
                                        ; implicit-def: $vgpr9
                                        ; implicit-def: $vgpr10
                                        ; implicit-def: $vgpr11
                                        ; implicit-def: $vgpr12
	s_branch .LBB293_182
.LBB293_181:                            ;   in Loop: Header=BB293_182 Depth=2
	s_or_b64 exec, exec, s[16:17]
	s_addk_i32 s20, 0xf800
	s_cmp_ge_u32 s21, s76
	s_mov_b32 s22, s21
	s_cbranch_scc1 .LBB293_220
.LBB293_182:                            ;   Parent Loop BB293_12 Depth=1
                                        ; =>  This Inner Loop Header: Depth=2
	s_add_i32 s21, s22, 0x800
	s_cmp_gt_u32 s21, s76
	s_cbranch_scc1 .LBB293_185
; %bb.183:                              ;   in Loop: Header=BB293_182 Depth=2
	v_add_co_u32_e32 v0, vcc, s22, v51
	v_addc_co_u32_e32 v1, vcc, 0, v52, vcc
	global_load_ubyte v20, v[0:1], off offset:1536
	global_load_ubyte v19, v[0:1], off offset:1280
	;; [unrolled: 1-line block ×6, first 2 shown]
	global_load_ubyte v14, v[0:1], off
	v_add_co_u32_e32 v0, vcc, 0x700, v0
	v_addc_co_u32_e32 v1, vcc, 0, v1, vcc
	s_mov_b64 s[16:17], -1
	s_movk_i32 s25, 0x800
	s_cbranch_execz .LBB293_186
; %bb.184:                              ;   in Loop: Header=BB293_182 Depth=2
                                        ; implicit-def: $vgpr5
                                        ; implicit-def: $vgpr6
                                        ; implicit-def: $vgpr7
                                        ; implicit-def: $vgpr8
                                        ; implicit-def: $vgpr9
                                        ; implicit-def: $vgpr10
                                        ; implicit-def: $vgpr11
                                        ; implicit-def: $vgpr12
	v_mov_b32_e32 v13, s20
	s_and_saveexec_b64 s[18:19], s[16:17]
	s_cbranch_execnz .LBB293_197
	s_branch .LBB293_198
.LBB293_185:                            ;   in Loop: Header=BB293_182 Depth=2
	s_mov_b64 s[16:17], 0
                                        ; implicit-def: $sgpr25
                                        ; implicit-def: $vgpr14
                                        ; implicit-def: $vgpr15
                                        ; implicit-def: $vgpr16
                                        ; implicit-def: $vgpr17
                                        ; implicit-def: $vgpr18
                                        ; implicit-def: $vgpr19
                                        ; implicit-def: $vgpr20
                                        ; implicit-def: $vgpr0_vgpr1
.LBB293_186:                            ;   in Loop: Header=BB293_182 Depth=2
	s_add_u32 s23, s58, s22
	s_addc_u32 s24, s59, 0
	v_cmp_gt_u32_e32 vcc, s20, v2
	s_and_saveexec_b64 s[18:19], vcc
	s_cbranch_execz .LBB293_214
; %bb.187:                              ;   in Loop: Header=BB293_182 Depth=2
	v_mov_b32_e32 v1, s24
	v_add_co_u32_e32 v0, vcc, s23, v2
	v_addc_co_u32_e32 v1, vcc, 0, v1, vcc
	global_load_ubyte v5, v[0:1], off
	s_or_b64 exec, exec, s[18:19]
	v_cmp_gt_u32_e32 vcc, s20, v24
	s_and_saveexec_b64 s[18:19], vcc
	s_cbranch_execnz .LBB293_215
.LBB293_188:                            ;   in Loop: Header=BB293_182 Depth=2
	s_or_b64 exec, exec, s[18:19]
	v_cmp_gt_u32_e32 vcc, s20, v25
	s_and_saveexec_b64 s[18:19], vcc
	s_cbranch_execz .LBB293_216
.LBB293_189:                            ;   in Loop: Header=BB293_182 Depth=2
	v_mov_b32_e32 v1, s24
	v_add_co_u32_e32 v0, vcc, s23, v2
	v_addc_co_u32_e32 v1, vcc, 0, v1, vcc
	global_load_ubyte v7, v[0:1], off offset:512
	s_or_b64 exec, exec, s[18:19]
	v_cmp_gt_u32_e32 vcc, s20, v26
	s_and_saveexec_b64 s[18:19], vcc
	s_cbranch_execnz .LBB293_217
.LBB293_190:                            ;   in Loop: Header=BB293_182 Depth=2
	s_or_b64 exec, exec, s[18:19]
	v_cmp_gt_u32_e32 vcc, s20, v30
	s_and_saveexec_b64 s[18:19], vcc
	s_cbranch_execz .LBB293_218
.LBB293_191:                            ;   in Loop: Header=BB293_182 Depth=2
	v_mov_b32_e32 v1, s24
	v_add_co_u32_e32 v0, vcc, s23, v2
	v_addc_co_u32_e32 v1, vcc, 0, v1, vcc
	global_load_ubyte v9, v[0:1], off offset:1024
	s_or_b64 exec, exec, s[18:19]
	v_cmp_gt_u32_e32 vcc, s20, v31
	s_and_saveexec_b64 s[18:19], vcc
	s_cbranch_execnz .LBB293_219
.LBB293_192:                            ;   in Loop: Header=BB293_182 Depth=2
	s_or_b64 exec, exec, s[18:19]
	v_cmp_gt_u32_e32 vcc, s20, v32
	s_and_saveexec_b64 s[18:19], vcc
	s_cbranch_execz .LBB293_194
.LBB293_193:                            ;   in Loop: Header=BB293_182 Depth=2
	v_mov_b32_e32 v1, s24
	v_add_co_u32_e32 v0, vcc, s23, v2
	v_addc_co_u32_e32 v1, vcc, 0, v1, vcc
	global_load_ubyte v11, v[0:1], off offset:1536
.LBB293_194:                            ;   in Loop: Header=BB293_182 Depth=2
	s_or_b64 exec, exec, s[18:19]
	v_cmp_gt_u32_e32 vcc, s20, v33
                                        ; implicit-def: $sgpr25
                                        ; implicit-def: $vgpr0_vgpr1
	s_and_saveexec_b64 s[18:19], vcc
	s_cbranch_execz .LBB293_196
; %bb.195:                              ;   in Loop: Header=BB293_182 Depth=2
	v_mov_b32_e32 v0, s24
	v_add_co_u32_e32 v1, vcc, s23, v2
	s_waitcnt vmcnt(0)
	v_addc_co_u32_e32 v12, vcc, 0, v0, vcc
	v_add_co_u32_e32 v0, vcc, 0x700, v1
	s_sub_i32 s25, s76, s22
	v_addc_co_u32_e32 v1, vcc, 0, v12, vcc
	s_or_b64 s[16:17], s[16:17], exec
                                        ; implicit-def: $vgpr12
.LBB293_196:                            ;   in Loop: Header=BB293_182 Depth=2
	s_or_b64 exec, exec, s[18:19]
	s_waitcnt vmcnt(0)
	v_mov_b32_e32 v14, v5
	v_mov_b32_e32 v15, v6
	v_mov_b32_e32 v16, v7
	v_mov_b32_e32 v17, v8
	v_mov_b32_e32 v18, v9
	v_mov_b32_e32 v19, v10
	v_mov_b32_e32 v20, v11
	v_mov_b32_e32 v13, s20
	s_and_saveexec_b64 s[18:19], s[16:17]
	s_cbranch_execz .LBB293_198
.LBB293_197:                            ;   in Loop: Header=BB293_182 Depth=2
	global_load_ubyte v12, v[0:1], off
	v_mov_b32_e32 v13, s25
	s_waitcnt vmcnt(1)
	v_mov_b32_e32 v5, v14
	v_mov_b32_e32 v6, v15
	;; [unrolled: 1-line block ×7, first 2 shown]
.LBB293_198:                            ;   in Loop: Header=BB293_182 Depth=2
	s_or_b64 exec, exec, s[18:19]
	v_cmp_lt_u32_e32 vcc, v2, v13
	s_and_saveexec_b64 s[16:17], vcc
	s_cbranch_execz .LBB293_206
; %bb.199:                              ;   in Loop: Header=BB293_182 Depth=2
	v_xor_b32_e32 v0, 0x7f, v5
	v_lshrrev_b32_sdwa v0, s68, v0 dst_sel:DWORD dst_unused:UNUSED_PAD src0_sel:DWORD src1_sel:BYTE_0
	v_and_b32_e32 v0, s77, v0
	v_lshlrev_b32_e32 v1, 2, v27
	v_lshl_or_b32 v0, v0, 4, v1
	ds_add_u32 v0, v63
	s_or_b64 exec, exec, s[16:17]
	v_cmp_lt_u32_e32 vcc, v24, v13
	s_and_saveexec_b64 s[16:17], vcc
	s_cbranch_execnz .LBB293_207
.LBB293_200:                            ;   in Loop: Header=BB293_182 Depth=2
	s_or_b64 exec, exec, s[16:17]
	v_cmp_lt_u32_e32 vcc, v25, v13
	s_and_saveexec_b64 s[16:17], vcc
	s_cbranch_execz .LBB293_208
.LBB293_201:                            ;   in Loop: Header=BB293_182 Depth=2
	v_xor_b32_e32 v0, 0x7f, v7
	v_lshrrev_b32_sdwa v0, s68, v0 dst_sel:DWORD dst_unused:UNUSED_PAD src0_sel:DWORD src1_sel:BYTE_0
	v_and_b32_e32 v0, s77, v0
	v_lshlrev_b32_e32 v1, 2, v27
	v_lshl_or_b32 v0, v0, 4, v1
	ds_add_u32 v0, v63
	s_or_b64 exec, exec, s[16:17]
	v_cmp_lt_u32_e32 vcc, v26, v13
	s_and_saveexec_b64 s[16:17], vcc
	s_cbranch_execnz .LBB293_209
.LBB293_202:                            ;   in Loop: Header=BB293_182 Depth=2
	s_or_b64 exec, exec, s[16:17]
	v_cmp_lt_u32_e32 vcc, v30, v13
	s_and_saveexec_b64 s[16:17], vcc
	s_cbranch_execz .LBB293_210
.LBB293_203:                            ;   in Loop: Header=BB293_182 Depth=2
	v_xor_b32_e32 v0, 0x7f, v9
	v_lshrrev_b32_sdwa v0, s68, v0 dst_sel:DWORD dst_unused:UNUSED_PAD src0_sel:DWORD src1_sel:BYTE_0
	v_and_b32_e32 v0, s77, v0
	v_lshlrev_b32_e32 v1, 2, v27
	v_lshl_or_b32 v0, v0, 4, v1
	ds_add_u32 v0, v63
	s_or_b64 exec, exec, s[16:17]
	v_cmp_lt_u32_e32 vcc, v31, v13
	s_and_saveexec_b64 s[16:17], vcc
	s_cbranch_execnz .LBB293_211
.LBB293_204:                            ;   in Loop: Header=BB293_182 Depth=2
	s_or_b64 exec, exec, s[16:17]
	v_cmp_lt_u32_e32 vcc, v32, v13
	s_and_saveexec_b64 s[16:17], vcc
	s_cbranch_execz .LBB293_212
.LBB293_205:                            ;   in Loop: Header=BB293_182 Depth=2
	v_xor_b32_e32 v0, 0x7f, v11
	v_lshrrev_b32_sdwa v0, s68, v0 dst_sel:DWORD dst_unused:UNUSED_PAD src0_sel:DWORD src1_sel:BYTE_0
	v_and_b32_e32 v0, s77, v0
	v_lshlrev_b32_e32 v1, 2, v27
	v_lshl_or_b32 v0, v0, 4, v1
	ds_add_u32 v0, v63
	s_or_b64 exec, exec, s[16:17]
	v_cmp_lt_u32_e32 vcc, v33, v13
	s_and_saveexec_b64 s[16:17], vcc
	s_cbranch_execz .LBB293_181
	s_branch .LBB293_213
.LBB293_206:                            ;   in Loop: Header=BB293_182 Depth=2
	s_or_b64 exec, exec, s[16:17]
	v_cmp_lt_u32_e32 vcc, v24, v13
	s_and_saveexec_b64 s[16:17], vcc
	s_cbranch_execz .LBB293_200
.LBB293_207:                            ;   in Loop: Header=BB293_182 Depth=2
	v_xor_b32_e32 v0, 0x7f, v6
	v_lshrrev_b32_sdwa v0, s68, v0 dst_sel:DWORD dst_unused:UNUSED_PAD src0_sel:DWORD src1_sel:BYTE_0
	v_and_b32_e32 v0, s77, v0
	v_lshlrev_b32_e32 v1, 2, v27
	v_lshl_or_b32 v0, v0, 4, v1
	ds_add_u32 v0, v63
	s_or_b64 exec, exec, s[16:17]
	v_cmp_lt_u32_e32 vcc, v25, v13
	s_and_saveexec_b64 s[16:17], vcc
	s_cbranch_execnz .LBB293_201
.LBB293_208:                            ;   in Loop: Header=BB293_182 Depth=2
	s_or_b64 exec, exec, s[16:17]
	v_cmp_lt_u32_e32 vcc, v26, v13
	s_and_saveexec_b64 s[16:17], vcc
	s_cbranch_execz .LBB293_202
.LBB293_209:                            ;   in Loop: Header=BB293_182 Depth=2
	v_xor_b32_e32 v0, 0x7f, v8
	v_lshrrev_b32_sdwa v0, s68, v0 dst_sel:DWORD dst_unused:UNUSED_PAD src0_sel:DWORD src1_sel:BYTE_0
	v_and_b32_e32 v0, s77, v0
	v_lshlrev_b32_e32 v1, 2, v27
	v_lshl_or_b32 v0, v0, 4, v1
	ds_add_u32 v0, v63
	s_or_b64 exec, exec, s[16:17]
	v_cmp_lt_u32_e32 vcc, v30, v13
	s_and_saveexec_b64 s[16:17], vcc
	s_cbranch_execnz .LBB293_203
.LBB293_210:                            ;   in Loop: Header=BB293_182 Depth=2
	s_or_b64 exec, exec, s[16:17]
	v_cmp_lt_u32_e32 vcc, v31, v13
	s_and_saveexec_b64 s[16:17], vcc
	s_cbranch_execz .LBB293_204
.LBB293_211:                            ;   in Loop: Header=BB293_182 Depth=2
	v_xor_b32_e32 v0, 0x7f, v10
	v_lshrrev_b32_sdwa v0, s68, v0 dst_sel:DWORD dst_unused:UNUSED_PAD src0_sel:DWORD src1_sel:BYTE_0
	v_and_b32_e32 v0, s77, v0
	v_lshlrev_b32_e32 v1, 2, v27
	v_lshl_or_b32 v0, v0, 4, v1
	ds_add_u32 v0, v63
	s_or_b64 exec, exec, s[16:17]
	v_cmp_lt_u32_e32 vcc, v32, v13
	s_and_saveexec_b64 s[16:17], vcc
	s_cbranch_execnz .LBB293_205
.LBB293_212:                            ;   in Loop: Header=BB293_182 Depth=2
	s_or_b64 exec, exec, s[16:17]
	v_cmp_lt_u32_e32 vcc, v33, v13
	s_and_saveexec_b64 s[16:17], vcc
	s_cbranch_execz .LBB293_181
.LBB293_213:                            ;   in Loop: Header=BB293_182 Depth=2
	s_waitcnt vmcnt(0)
	v_xor_b32_e32 v0, 0x7f, v12
	v_lshrrev_b32_sdwa v0, s68, v0 dst_sel:DWORD dst_unused:UNUSED_PAD src0_sel:DWORD src1_sel:BYTE_0
	v_and_b32_e32 v0, s77, v0
	v_lshlrev_b32_e32 v1, 2, v27
	v_lshl_or_b32 v0, v0, 4, v1
	ds_add_u32 v0, v63
	s_branch .LBB293_181
.LBB293_214:                            ;   in Loop: Header=BB293_182 Depth=2
	s_or_b64 exec, exec, s[18:19]
	v_cmp_gt_u32_e32 vcc, s20, v24
	s_and_saveexec_b64 s[18:19], vcc
	s_cbranch_execz .LBB293_188
.LBB293_215:                            ;   in Loop: Header=BB293_182 Depth=2
	v_mov_b32_e32 v1, s24
	v_add_co_u32_e32 v0, vcc, s23, v2
	v_addc_co_u32_e32 v1, vcc, 0, v1, vcc
	global_load_ubyte v6, v[0:1], off offset:256
	s_or_b64 exec, exec, s[18:19]
	v_cmp_gt_u32_e32 vcc, s20, v25
	s_and_saveexec_b64 s[18:19], vcc
	s_cbranch_execnz .LBB293_189
.LBB293_216:                            ;   in Loop: Header=BB293_182 Depth=2
	s_or_b64 exec, exec, s[18:19]
	v_cmp_gt_u32_e32 vcc, s20, v26
	s_and_saveexec_b64 s[18:19], vcc
	s_cbranch_execz .LBB293_190
.LBB293_217:                            ;   in Loop: Header=BB293_182 Depth=2
	v_mov_b32_e32 v1, s24
	v_add_co_u32_e32 v0, vcc, s23, v2
	v_addc_co_u32_e32 v1, vcc, 0, v1, vcc
	global_load_ubyte v8, v[0:1], off offset:768
	s_or_b64 exec, exec, s[18:19]
	v_cmp_gt_u32_e32 vcc, s20, v30
	s_and_saveexec_b64 s[18:19], vcc
	s_cbranch_execnz .LBB293_191
.LBB293_218:                            ;   in Loop: Header=BB293_182 Depth=2
	s_or_b64 exec, exec, s[18:19]
	v_cmp_gt_u32_e32 vcc, s20, v31
	s_and_saveexec_b64 s[18:19], vcc
	s_cbranch_execz .LBB293_192
.LBB293_219:                            ;   in Loop: Header=BB293_182 Depth=2
	v_mov_b32_e32 v1, s24
	v_add_co_u32_e32 v0, vcc, s23, v2
	v_addc_co_u32_e32 v1, vcc, 0, v1, vcc
	global_load_ubyte v10, v[0:1], off offset:1280
	s_or_b64 exec, exec, s[18:19]
	v_cmp_gt_u32_e32 vcc, s20, v32
	s_and_saveexec_b64 s[18:19], vcc
	s_cbranch_execz .LBB293_194
	s_branch .LBB293_193
.LBB293_220:                            ;   in Loop: Header=BB293_12 Depth=1
	v_mov_b32_e32 v0, 0
	s_waitcnt lgkmcnt(0)
	s_barrier
	s_and_saveexec_b64 s[16:17], s[4:5]
	s_cbranch_execz .LBB293_222
; %bb.221:                              ;   in Loop: Header=BB293_12 Depth=1
	ds_read2_b64 v[6:9], v34 offset1:1
	s_waitcnt lgkmcnt(0)
	v_add_u32_e32 v0, v7, v6
	v_add3_u32 v0, v0, v8, v9
.LBB293_222:                            ;   in Loop: Header=BB293_12 Depth=1
	s_or_b64 exec, exec, s[16:17]
	v_and_b32_e32 v1, 15, v64
	v_mov_b32_dpp v5, v0 row_shr:1 row_mask:0xf bank_mask:0xf
	v_cmp_eq_u32_e64 s[16:17], 0, v1
	v_cndmask_b32_e64 v5, v5, 0, s[16:17]
	v_add_u32_e32 v0, v5, v0
	v_cmp_lt_u32_e64 s[18:19], 1, v1
	v_cmp_lt_u32_e64 s[20:21], 3, v1
	v_mov_b32_dpp v5, v0 row_shr:2 row_mask:0xf bank_mask:0xf
	v_cndmask_b32_e64 v5, 0, v5, s[18:19]
	v_add_u32_e32 v0, v0, v5
	v_cmp_lt_u32_e64 s[22:23], 7, v1
	v_cmp_lt_u32_e64 s[26:27], 31, v64
	v_mov_b32_dpp v5, v0 row_shr:4 row_mask:0xf bank_mask:0xf
	v_cndmask_b32_e64 v5, 0, v5, s[20:21]
	v_add_u32_e32 v0, v0, v5
	v_and_b32_e32 v6, 16, v64
	v_cmp_eq_u32_e64 s[24:25], 0, v6
	v_mov_b32_dpp v5, v0 row_shr:8 row_mask:0xf bank_mask:0xf
	v_cndmask_b32_e64 v1, 0, v5, s[22:23]
	v_add_u32_e32 v0, v0, v1
	v_bfe_i32 v5, v64, 4, 1
	s_nop 0
	v_mov_b32_dpp v1, v0 row_bcast:15 row_mask:0xf bank_mask:0xf
	v_and_b32_e32 v1, v5, v1
	v_add_u32_e32 v0, v0, v1
	s_nop 1
	v_mov_b32_dpp v1, v0 row_bcast:31 row_mask:0xf bank_mask:0xf
	v_cndmask_b32_e64 v1, 0, v1, s[26:27]
	v_add_u32_e32 v1, v0, v1
	s_and_saveexec_b64 s[28:29], s[6:7]
	s_cbranch_execz .LBB293_224
; %bb.223:                              ;   in Loop: Header=BB293_12 Depth=1
	ds_write_b32 v36, v1
.LBB293_224:                            ;   in Loop: Header=BB293_12 Depth=1
	s_or_b64 exec, exec, s[28:29]
	v_and_b32_e32 v0, 3, v64
	s_waitcnt lgkmcnt(0)
	s_barrier
	s_and_saveexec_b64 s[28:29], s[8:9]
	s_cbranch_execz .LBB293_226
; %bb.225:                              ;   in Loop: Header=BB293_12 Depth=1
	ds_read_b32 v5, v37
	v_cmp_ne_u32_e32 vcc, 0, v0
	s_waitcnt lgkmcnt(0)
	v_mov_b32_dpp v6, v5 row_shr:1 row_mask:0xf bank_mask:0xf
	v_cndmask_b32_e32 v6, 0, v6, vcc
	v_add_u32_e32 v5, v6, v5
	v_cmp_lt_u32_e32 vcc, 1, v0
	s_nop 0
	v_mov_b32_dpp v6, v5 row_shr:2 row_mask:0xf bank_mask:0xf
	v_cndmask_b32_e32 v6, 0, v6, vcc
	v_add_u32_e32 v5, v5, v6
	ds_write_b32 v37, v5
.LBB293_226:                            ;   in Loop: Header=BB293_12 Depth=1
	s_or_b64 exec, exec, s[28:29]
	v_mov_b32_e32 v5, 0
	s_waitcnt lgkmcnt(0)
	s_barrier
	s_and_saveexec_b64 s[28:29], s[10:11]
	s_cbranch_execz .LBB293_228
; %bb.227:                              ;   in Loop: Header=BB293_12 Depth=1
	ds_read_b32 v5, v38
.LBB293_228:                            ;   in Loop: Header=BB293_12 Depth=1
	s_or_b64 exec, exec, s[28:29]
	v_add_u32_e32 v6, -1, v64
	v_and_b32_e32 v7, 64, v64
	v_cmp_lt_i32_e32 vcc, v6, v7
	v_cndmask_b32_e32 v6, v6, v64, vcc
	s_waitcnt lgkmcnt(0)
	v_add_u32_e32 v1, v5, v1
	v_lshlrev_b32_e32 v65, 2, v6
	ds_bpermute_b32 v1, v65, v1
	v_cmp_eq_u32_e64 s[28:29], 0, v64
	s_waitcnt lgkmcnt(0)
	s_barrier
	s_and_saveexec_b64 s[30:31], s[4:5]
	s_cbranch_execz .LBB293_230
; %bb.229:                              ;   in Loop: Header=BB293_12 Depth=1
	v_cndmask_b32_e64 v1, v1, v5, s[28:29]
	v_add_u32_e32 v1, s51, v1
	ds_write_b32 v3, v1
.LBB293_230:                            ;   in Loop: Header=BB293_12 Depth=1
	s_or_b64 exec, exec, s[30:31]
	s_load_dwordx2 s[30:31], s[74:75], 0x0
	v_and_b32_e32 v21, 63, v64
	v_add_co_u32_e32 v74, vcc, v55, v21
	v_lshlrev_b32_e32 v22, 3, v21
	s_waitcnt lgkmcnt(0)
	s_cmp_lt_u32 s50, s30
	s_cselect_b32 s34, 12, 18
	s_cmp_lt_u32 s33, s31
	s_cselect_b32 s30, 14, 20
	s_add_u32 s30, s74, s30
	s_addc_u32 s31, s75, 0
	s_add_u32 s34, s74, s34
	global_load_ushort v5, v4, s[30:31]
	s_addc_u32 s35, s75, 0
	global_load_ushort v20, v4, s[34:35]
	v_addc_co_u32_e32 v76, vcc, 0, v56, vcc
	v_add_co_u32_e32 v77, vcc, v53, v22
	v_addc_co_u32_e32 v78, vcc, 0, v54, vcc
	v_or_b32_e32 v72, v21, v39
	v_add_co_u32_e32 v86, vcc, 0x1c0, v74
	v_cmp_eq_u32_e64 s[30:31], 0, v0
	v_cmp_lt_u32_e64 s[34:35], 1, v0
	s_mov_b32 s78, s71
	v_or_b32_e32 v79, 64, v72
	v_or_b32_e32 v80, 0x80, v72
	;; [unrolled: 1-line block ×7, first 2 shown]
	v_addc_co_u32_e32 v87, vcc, 0, v76, vcc
	s_mov_b32 s72, s51
                                        ; implicit-def: $vgpr0_vgpr1
                                        ; implicit-def: $vgpr6_vgpr7
                                        ; implicit-def: $vgpr8_vgpr9
                                        ; implicit-def: $vgpr10_vgpr11
                                        ; implicit-def: $vgpr12_vgpr13
                                        ; implicit-def: $vgpr14_vgpr15
                                        ; implicit-def: $vgpr16_vgpr17
                                        ; implicit-def: $vgpr18_vgpr19
                                        ; implicit-def: $vgpr66
                                        ; implicit-def: $vgpr67
                                        ; implicit-def: $vgpr68
                                        ; implicit-def: $vgpr69
                                        ; implicit-def: $vgpr70
                                        ; implicit-def: $vgpr71
                                        ; implicit-def: $vgpr73
                                        ; implicit-def: $vgpr75
	s_waitcnt vmcnt(1)
	v_mad_u32_u24 v5, v40, v5, v41
	s_waitcnt vmcnt(0)
	v_mad_u64_u32 v[20:21], s[36:37], v5, v20, v[2:3]
	v_lshrrev_b32_e32 v88, 6, v20
	s_branch .LBB293_232
.LBB293_231:                            ;   in Loop: Header=BB293_232 Depth=2
	s_or_b64 exec, exec, s[36:37]
	s_addk_i32 s78, 0xf800
	s_cmp_lt_u32 s79, s76
	s_mov_b32 s72, s79
	s_cbranch_scc0 .LBB293_344
.LBB293_232:                            ;   Parent Loop BB293_12 Depth=1
                                        ; =>  This Inner Loop Header: Depth=2
	s_add_i32 s79, s72, 0x800
	s_cmp_gt_u32 s79, s76
	s_cbranch_scc1 .LBB293_235
; %bb.233:                              ;   in Loop: Header=BB293_232 Depth=2
	v_add_co_u32_e32 v20, vcc, s72, v74
	v_addc_co_u32_e32 v21, vcc, 0, v76, vcc
	global_load_ubyte v23, v[20:21], off offset:384
	global_load_ubyte v91, v[20:21], off offset:320
	;; [unrolled: 1-line block ×6, first 2 shown]
	global_load_ubyte v5, v[20:21], off
	s_mov_b64 s[36:37], -1
	s_movk_i32 s40, 0x800
	s_cbranch_execz .LBB293_236
; %bb.234:                              ;   in Loop: Header=BB293_232 Depth=2
                                        ; implicit-def: $vgpr22
	v_mov_b32_e32 v89, s78
	s_and_saveexec_b64 s[38:39], s[36:37]
	s_cbranch_execnz .LBB293_245
	s_branch .LBB293_246
.LBB293_235:                            ;   in Loop: Header=BB293_232 Depth=2
	s_mov_b64 s[36:37], 0
                                        ; implicit-def: $sgpr40
                                        ; implicit-def: $vgpr5
                                        ; implicit-def: $vgpr94
                                        ; implicit-def: $vgpr99
                                        ; implicit-def: $vgpr101
                                        ; implicit-def: $vgpr96
                                        ; implicit-def: $vgpr91
                                        ; implicit-def: $vgpr23
.LBB293_236:                            ;   in Loop: Header=BB293_232 Depth=2
	v_add_co_u32_e32 v20, vcc, s72, v74
	v_addc_co_u32_e32 v21, vcc, 0, v76, vcc
	v_cmp_gt_u32_e32 vcc, s78, v72
	s_waitcnt vmcnt(0)
	v_mov_b32_e32 v5, 0x80
	v_mov_b32_e32 v22, 0x80
	;; [unrolled: 1-line block ×8, first 2 shown]
	s_and_saveexec_b64 s[36:37], vcc
	s_cbranch_execz .LBB293_338
; %bb.237:                              ;   in Loop: Header=BB293_232 Depth=2
	global_load_ubyte v5, v[20:21], off
	v_mov_b32_e32 v94, 0x80
	v_mov_b32_e32 v99, 0x80
	;; [unrolled: 1-line block ×7, first 2 shown]
	s_or_b64 exec, exec, s[36:37]
	v_cmp_gt_u32_e32 vcc, s78, v79
	s_and_saveexec_b64 s[36:37], vcc
	s_cbranch_execnz .LBB293_339
.LBB293_238:                            ;   in Loop: Header=BB293_232 Depth=2
	s_or_b64 exec, exec, s[36:37]
	v_cmp_gt_u32_e32 vcc, s78, v80
	s_and_saveexec_b64 s[36:37], vcc
	s_cbranch_execz .LBB293_340
.LBB293_239:                            ;   in Loop: Header=BB293_232 Depth=2
	global_load_ubyte v99, v[20:21], off offset:128
	s_or_b64 exec, exec, s[36:37]
	v_cmp_gt_u32_e32 vcc, s78, v81
	s_and_saveexec_b64 s[36:37], vcc
	s_cbranch_execnz .LBB293_341
.LBB293_240:                            ;   in Loop: Header=BB293_232 Depth=2
	s_or_b64 exec, exec, s[36:37]
	v_cmp_gt_u32_e32 vcc, s78, v82
	s_and_saveexec_b64 s[36:37], vcc
	s_cbranch_execz .LBB293_342
.LBB293_241:                            ;   in Loop: Header=BB293_232 Depth=2
	global_load_ubyte v96, v[20:21], off offset:256
	s_or_b64 exec, exec, s[36:37]
	v_cmp_gt_u32_e32 vcc, s78, v83
	s_and_saveexec_b64 s[36:37], vcc
	s_cbranch_execnz .LBB293_343
.LBB293_242:                            ;   in Loop: Header=BB293_232 Depth=2
	s_or_b64 exec, exec, s[36:37]
	v_cmp_gt_u32_e32 vcc, s78, v84
	s_and_saveexec_b64 s[36:37], vcc
	s_cbranch_execz .LBB293_244
.LBB293_243:                            ;   in Loop: Header=BB293_232 Depth=2
	global_load_ubyte v23, v[20:21], off offset:384
.LBB293_244:                            ;   in Loop: Header=BB293_232 Depth=2
	s_or_b64 exec, exec, s[36:37]
	s_sub_i32 s40, s76, s72
	v_cmp_gt_u32_e64 s[36:37], s78, v85
	v_mov_b32_e32 v89, s78
	s_and_saveexec_b64 s[38:39], s[36:37]
	s_cbranch_execz .LBB293_246
.LBB293_245:                            ;   in Loop: Header=BB293_232 Depth=2
	v_mov_b32_e32 v21, s73
	v_add_co_u32_e32 v20, vcc, s72, v86
	v_addc_co_u32_e32 v21, vcc, v87, v21, vcc
	global_load_ubyte v22, v[20:21], off
	v_mov_b32_e32 v89, s40
.LBB293_246:                            ;   in Loop: Header=BB293_232 Depth=2
	s_or_b64 exec, exec, s[38:39]
	s_waitcnt vmcnt(0)
	v_xor_b32_e32 v90, 0x7f, v5
	v_add_u32_e32 v5, 0x410, v42
	ds_write2_b32 v5, v4, v4 offset1:1
	ds_write2_b32 v44, v4, v4 offset0:2 offset1:3
	ds_write_b32 v44, v4 offset:16
	v_lshrrev_b32_sdwa v5, s68, v90 dst_sel:DWORD dst_unused:UNUSED_PAD src0_sel:DWORD src1_sel:BYTE_0
	v_and_b32_e32 v20, s77, v5
	v_mad_u32_u24 v5, v20, 5, v88
	v_lshl_add_u32 v92, v5, 2, v43
	v_and_b32_e32 v5, 1, v20
	v_add_co_u32_e32 v21, vcc, -1, v5
	v_addc_co_u32_e64 v93, s[36:37], 0, -1, vcc
	v_cmp_ne_u32_e32 vcc, 0, v5
	v_xor_b32_e32 v5, vcc_hi, v93
	v_and_b32_e32 v93, exec_hi, v5
	v_lshlrev_b32_e32 v5, 30, v20
	v_xor_b32_e32 v21, vcc_lo, v21
	v_cmp_gt_i64_e32 vcc, 0, v[4:5]
	v_not_b32_e32 v5, v5
	v_ashrrev_i32_e32 v5, 31, v5
	v_and_b32_e32 v21, exec_lo, v21
	v_xor_b32_e32 v95, vcc_hi, v5
	v_xor_b32_e32 v5, vcc_lo, v5
	v_and_b32_e32 v21, v21, v5
	v_lshlrev_b32_e32 v5, 29, v20
	v_cmp_gt_i64_e32 vcc, 0, v[4:5]
	v_not_b32_e32 v5, v5
	v_ashrrev_i32_e32 v5, 31, v5
	v_and_b32_e32 v93, v93, v95
	v_xor_b32_e32 v95, vcc_hi, v5
	v_xor_b32_e32 v5, vcc_lo, v5
	v_and_b32_e32 v21, v21, v5
	v_lshlrev_b32_e32 v5, 28, v20
	v_cmp_gt_i64_e32 vcc, 0, v[4:5]
	v_not_b32_e32 v5, v5
	v_ashrrev_i32_e32 v5, 31, v5
	v_and_b32_e32 v93, v93, v95
	;; [unrolled: 8-line block ×5, first 2 shown]
	v_xor_b32_e32 v95, vcc_hi, v5
	v_xor_b32_e32 v5, vcc_lo, v5
	v_and_b32_e32 v93, v93, v95
	v_and_b32_e32 v95, v21, v5
	v_lshlrev_b32_e32 v5, 24, v20
	v_cmp_gt_i64_e32 vcc, 0, v[4:5]
	v_not_b32_e32 v5, v5
	v_ashrrev_i32_e32 v5, 31, v5
	v_xor_b32_e32 v20, vcc_hi, v5
	v_xor_b32_e32 v5, vcc_lo, v5
	v_and_b32_e32 v21, v93, v20
	v_and_b32_e32 v20, v95, v5
	v_mbcnt_lo_u32_b32 v5, v20, 0
	v_mbcnt_hi_u32_b32 v93, v21, v5
	v_cmp_eq_u32_e32 vcc, 0, v93
	v_cmp_ne_u64_e64 s[36:37], 0, v[20:21]
	s_and_b64 s[38:39], s[36:37], vcc
	s_waitcnt lgkmcnt(0)
	s_barrier
	s_waitcnt lgkmcnt(0)
	; wave barrier
	s_and_saveexec_b64 s[36:37], s[38:39]
	s_cbranch_execz .LBB293_248
; %bb.247:                              ;   in Loop: Header=BB293_232 Depth=2
	v_bcnt_u32_b32 v5, v20, 0
	v_bcnt_u32_b32 v5, v21, v5
	ds_write_b32 v92, v5
.LBB293_248:                            ;   in Loop: Header=BB293_232 Depth=2
	s_or_b64 exec, exec, s[36:37]
	v_xor_b32_e32 v94, 0x7f, v94
	v_lshrrev_b32_sdwa v5, s68, v94 dst_sel:DWORD dst_unused:UNUSED_PAD src0_sel:DWORD src1_sel:BYTE_0
	v_and_b32_e32 v20, s77, v5
	v_mul_u32_u24_e32 v5, 5, v20
	v_add_lshl_u32 v5, v5, v88, 2
	; wave barrier
	v_add_u32_e32 v97, 0x410, v5
	ds_read_b32 v95, v5 offset:1040
	v_and_b32_e32 v5, 1, v20
	v_add_co_u32_e32 v21, vcc, -1, v5
	v_addc_co_u32_e64 v98, s[36:37], 0, -1, vcc
	v_cmp_ne_u32_e32 vcc, 0, v5
	v_xor_b32_e32 v5, vcc_hi, v98
	v_and_b32_e32 v98, exec_hi, v5
	v_lshlrev_b32_e32 v5, 30, v20
	v_xor_b32_e32 v21, vcc_lo, v21
	v_cmp_gt_i64_e32 vcc, 0, v[4:5]
	v_not_b32_e32 v5, v5
	v_ashrrev_i32_e32 v5, 31, v5
	v_and_b32_e32 v21, exec_lo, v21
	v_xor_b32_e32 v100, vcc_hi, v5
	v_xor_b32_e32 v5, vcc_lo, v5
	v_and_b32_e32 v21, v21, v5
	v_lshlrev_b32_e32 v5, 29, v20
	v_cmp_gt_i64_e32 vcc, 0, v[4:5]
	v_not_b32_e32 v5, v5
	v_ashrrev_i32_e32 v5, 31, v5
	v_and_b32_e32 v98, v98, v100
	v_xor_b32_e32 v100, vcc_hi, v5
	v_xor_b32_e32 v5, vcc_lo, v5
	v_and_b32_e32 v21, v21, v5
	v_lshlrev_b32_e32 v5, 28, v20
	v_cmp_gt_i64_e32 vcc, 0, v[4:5]
	v_not_b32_e32 v5, v5
	v_ashrrev_i32_e32 v5, 31, v5
	v_and_b32_e32 v98, v98, v100
	;; [unrolled: 8-line block ×5, first 2 shown]
	v_xor_b32_e32 v100, vcc_hi, v5
	v_xor_b32_e32 v5, vcc_lo, v5
	v_and_b32_e32 v98, v98, v100
	v_and_b32_e32 v100, v21, v5
	v_lshlrev_b32_e32 v5, 24, v20
	v_cmp_gt_i64_e32 vcc, 0, v[4:5]
	v_not_b32_e32 v5, v5
	v_ashrrev_i32_e32 v5, 31, v5
	v_xor_b32_e32 v20, vcc_hi, v5
	v_xor_b32_e32 v5, vcc_lo, v5
	v_and_b32_e32 v21, v98, v20
	v_and_b32_e32 v20, v100, v5
	v_mbcnt_lo_u32_b32 v5, v20, 0
	v_mbcnt_hi_u32_b32 v98, v21, v5
	v_cmp_eq_u32_e32 vcc, 0, v98
	v_cmp_ne_u64_e64 s[36:37], 0, v[20:21]
	s_and_b64 s[38:39], s[36:37], vcc
	; wave barrier
	s_and_saveexec_b64 s[36:37], s[38:39]
	s_cbranch_execz .LBB293_250
; %bb.249:                              ;   in Loop: Header=BB293_232 Depth=2
	v_bcnt_u32_b32 v5, v20, 0
	v_bcnt_u32_b32 v5, v21, v5
	s_waitcnt lgkmcnt(0)
	v_add_u32_e32 v5, v95, v5
	ds_write_b32 v97, v5
.LBB293_250:                            ;   in Loop: Header=BB293_232 Depth=2
	s_or_b64 exec, exec, s[36:37]
	v_xor_b32_e32 v99, 0x7f, v99
	v_lshrrev_b32_sdwa v5, s68, v99 dst_sel:DWORD dst_unused:UNUSED_PAD src0_sel:DWORD src1_sel:BYTE_0
	v_and_b32_e32 v20, s77, v5
	v_mul_u32_u24_e32 v5, 5, v20
	v_add_lshl_u32 v5, v5, v88, 2
	; wave barrier
	v_add_u32_e32 v102, 0x410, v5
	ds_read_b32 v100, v5 offset:1040
	v_and_b32_e32 v5, 1, v20
	v_add_co_u32_e32 v21, vcc, -1, v5
	v_addc_co_u32_e64 v103, s[36:37], 0, -1, vcc
	v_cmp_ne_u32_e32 vcc, 0, v5
	v_xor_b32_e32 v5, vcc_hi, v103
	v_and_b32_e32 v103, exec_hi, v5
	v_lshlrev_b32_e32 v5, 30, v20
	v_xor_b32_e32 v21, vcc_lo, v21
	v_cmp_gt_i64_e32 vcc, 0, v[4:5]
	v_not_b32_e32 v5, v5
	v_ashrrev_i32_e32 v5, 31, v5
	v_and_b32_e32 v21, exec_lo, v21
	v_xor_b32_e32 v104, vcc_hi, v5
	v_xor_b32_e32 v5, vcc_lo, v5
	v_and_b32_e32 v21, v21, v5
	v_lshlrev_b32_e32 v5, 29, v20
	v_cmp_gt_i64_e32 vcc, 0, v[4:5]
	v_not_b32_e32 v5, v5
	v_ashrrev_i32_e32 v5, 31, v5
	v_and_b32_e32 v103, v103, v104
	v_xor_b32_e32 v104, vcc_hi, v5
	v_xor_b32_e32 v5, vcc_lo, v5
	v_and_b32_e32 v21, v21, v5
	v_lshlrev_b32_e32 v5, 28, v20
	v_cmp_gt_i64_e32 vcc, 0, v[4:5]
	v_not_b32_e32 v5, v5
	v_ashrrev_i32_e32 v5, 31, v5
	v_and_b32_e32 v103, v103, v104
	;; [unrolled: 8-line block ×5, first 2 shown]
	v_xor_b32_e32 v104, vcc_hi, v5
	v_xor_b32_e32 v5, vcc_lo, v5
	v_and_b32_e32 v103, v103, v104
	v_and_b32_e32 v104, v21, v5
	v_lshlrev_b32_e32 v5, 24, v20
	v_cmp_gt_i64_e32 vcc, 0, v[4:5]
	v_not_b32_e32 v5, v5
	v_ashrrev_i32_e32 v5, 31, v5
	v_xor_b32_e32 v20, vcc_hi, v5
	v_xor_b32_e32 v5, vcc_lo, v5
	v_and_b32_e32 v21, v103, v20
	v_and_b32_e32 v20, v104, v5
	v_mbcnt_lo_u32_b32 v5, v20, 0
	v_mbcnt_hi_u32_b32 v103, v21, v5
	v_cmp_eq_u32_e32 vcc, 0, v103
	v_cmp_ne_u64_e64 s[36:37], 0, v[20:21]
	s_and_b64 s[38:39], s[36:37], vcc
	; wave barrier
	s_and_saveexec_b64 s[36:37], s[38:39]
	s_cbranch_execz .LBB293_252
; %bb.251:                              ;   in Loop: Header=BB293_232 Depth=2
	v_bcnt_u32_b32 v5, v20, 0
	v_bcnt_u32_b32 v5, v21, v5
	s_waitcnt lgkmcnt(0)
	v_add_u32_e32 v5, v100, v5
	ds_write_b32 v102, v5
.LBB293_252:                            ;   in Loop: Header=BB293_232 Depth=2
	s_or_b64 exec, exec, s[36:37]
	v_xor_b32_e32 v101, 0x7f, v101
	v_lshrrev_b32_sdwa v5, s68, v101 dst_sel:DWORD dst_unused:UNUSED_PAD src0_sel:DWORD src1_sel:BYTE_0
	v_and_b32_e32 v20, s77, v5
	v_mul_u32_u24_e32 v5, 5, v20
	v_add_lshl_u32 v5, v5, v88, 2
	; wave barrier
	v_add_u32_e32 v105, 0x410, v5
	ds_read_b32 v104, v5 offset:1040
	v_and_b32_e32 v5, 1, v20
	v_add_co_u32_e32 v21, vcc, -1, v5
	v_addc_co_u32_e64 v106, s[36:37], 0, -1, vcc
	v_cmp_ne_u32_e32 vcc, 0, v5
	v_xor_b32_e32 v5, vcc_hi, v106
	v_and_b32_e32 v106, exec_hi, v5
	v_lshlrev_b32_e32 v5, 30, v20
	v_xor_b32_e32 v21, vcc_lo, v21
	v_cmp_gt_i64_e32 vcc, 0, v[4:5]
	v_not_b32_e32 v5, v5
	v_ashrrev_i32_e32 v5, 31, v5
	v_and_b32_e32 v21, exec_lo, v21
	v_xor_b32_e32 v107, vcc_hi, v5
	v_xor_b32_e32 v5, vcc_lo, v5
	v_and_b32_e32 v21, v21, v5
	v_lshlrev_b32_e32 v5, 29, v20
	v_cmp_gt_i64_e32 vcc, 0, v[4:5]
	v_not_b32_e32 v5, v5
	v_ashrrev_i32_e32 v5, 31, v5
	v_and_b32_e32 v106, v106, v107
	v_xor_b32_e32 v107, vcc_hi, v5
	v_xor_b32_e32 v5, vcc_lo, v5
	v_and_b32_e32 v21, v21, v5
	v_lshlrev_b32_e32 v5, 28, v20
	v_cmp_gt_i64_e32 vcc, 0, v[4:5]
	v_not_b32_e32 v5, v5
	v_ashrrev_i32_e32 v5, 31, v5
	v_and_b32_e32 v106, v106, v107
	;; [unrolled: 8-line block ×5, first 2 shown]
	v_xor_b32_e32 v107, vcc_hi, v5
	v_xor_b32_e32 v5, vcc_lo, v5
	v_and_b32_e32 v106, v106, v107
	v_and_b32_e32 v107, v21, v5
	v_lshlrev_b32_e32 v5, 24, v20
	v_cmp_gt_i64_e32 vcc, 0, v[4:5]
	v_not_b32_e32 v5, v5
	v_ashrrev_i32_e32 v5, 31, v5
	v_xor_b32_e32 v20, vcc_hi, v5
	v_xor_b32_e32 v5, vcc_lo, v5
	v_and_b32_e32 v21, v106, v20
	v_and_b32_e32 v20, v107, v5
	v_mbcnt_lo_u32_b32 v5, v20, 0
	v_mbcnt_hi_u32_b32 v106, v21, v5
	v_cmp_eq_u32_e32 vcc, 0, v106
	v_cmp_ne_u64_e64 s[36:37], 0, v[20:21]
	s_and_b64 s[38:39], s[36:37], vcc
	; wave barrier
	s_and_saveexec_b64 s[36:37], s[38:39]
	s_cbranch_execz .LBB293_254
; %bb.253:                              ;   in Loop: Header=BB293_232 Depth=2
	v_bcnt_u32_b32 v5, v20, 0
	v_bcnt_u32_b32 v5, v21, v5
	s_waitcnt lgkmcnt(0)
	v_add_u32_e32 v5, v104, v5
	ds_write_b32 v105, v5
.LBB293_254:                            ;   in Loop: Header=BB293_232 Depth=2
	s_or_b64 exec, exec, s[36:37]
	v_xor_b32_e32 v96, 0x7f, v96
	v_lshrrev_b32_sdwa v5, s68, v96 dst_sel:DWORD dst_unused:UNUSED_PAD src0_sel:DWORD src1_sel:BYTE_0
	v_and_b32_e32 v20, s77, v5
	v_mul_u32_u24_e32 v5, 5, v20
	v_add_lshl_u32 v5, v5, v88, 2
	; wave barrier
	v_add_u32_e32 v108, 0x410, v5
	ds_read_b32 v107, v5 offset:1040
	v_and_b32_e32 v5, 1, v20
	v_add_co_u32_e32 v21, vcc, -1, v5
	v_addc_co_u32_e64 v109, s[36:37], 0, -1, vcc
	v_cmp_ne_u32_e32 vcc, 0, v5
	v_xor_b32_e32 v5, vcc_hi, v109
	v_and_b32_e32 v109, exec_hi, v5
	v_lshlrev_b32_e32 v5, 30, v20
	v_xor_b32_e32 v21, vcc_lo, v21
	v_cmp_gt_i64_e32 vcc, 0, v[4:5]
	v_not_b32_e32 v5, v5
	v_ashrrev_i32_e32 v5, 31, v5
	v_and_b32_e32 v21, exec_lo, v21
	v_xor_b32_e32 v110, vcc_hi, v5
	v_xor_b32_e32 v5, vcc_lo, v5
	v_and_b32_e32 v21, v21, v5
	v_lshlrev_b32_e32 v5, 29, v20
	v_cmp_gt_i64_e32 vcc, 0, v[4:5]
	v_not_b32_e32 v5, v5
	v_ashrrev_i32_e32 v5, 31, v5
	v_and_b32_e32 v109, v109, v110
	v_xor_b32_e32 v110, vcc_hi, v5
	v_xor_b32_e32 v5, vcc_lo, v5
	v_and_b32_e32 v21, v21, v5
	v_lshlrev_b32_e32 v5, 28, v20
	v_cmp_gt_i64_e32 vcc, 0, v[4:5]
	v_not_b32_e32 v5, v5
	v_ashrrev_i32_e32 v5, 31, v5
	v_and_b32_e32 v109, v109, v110
	;; [unrolled: 8-line block ×5, first 2 shown]
	v_xor_b32_e32 v110, vcc_hi, v5
	v_xor_b32_e32 v5, vcc_lo, v5
	v_and_b32_e32 v109, v109, v110
	v_and_b32_e32 v110, v21, v5
	v_lshlrev_b32_e32 v5, 24, v20
	v_cmp_gt_i64_e32 vcc, 0, v[4:5]
	v_not_b32_e32 v5, v5
	v_ashrrev_i32_e32 v5, 31, v5
	v_xor_b32_e32 v20, vcc_hi, v5
	v_xor_b32_e32 v5, vcc_lo, v5
	v_and_b32_e32 v21, v109, v20
	v_and_b32_e32 v20, v110, v5
	v_mbcnt_lo_u32_b32 v5, v20, 0
	v_mbcnt_hi_u32_b32 v109, v21, v5
	v_cmp_eq_u32_e32 vcc, 0, v109
	v_cmp_ne_u64_e64 s[36:37], 0, v[20:21]
	s_and_b64 s[38:39], s[36:37], vcc
	; wave barrier
	s_and_saveexec_b64 s[36:37], s[38:39]
	s_cbranch_execz .LBB293_256
; %bb.255:                              ;   in Loop: Header=BB293_232 Depth=2
	v_bcnt_u32_b32 v5, v20, 0
	v_bcnt_u32_b32 v5, v21, v5
	s_waitcnt lgkmcnt(0)
	v_add_u32_e32 v5, v107, v5
	ds_write_b32 v108, v5
.LBB293_256:                            ;   in Loop: Header=BB293_232 Depth=2
	s_or_b64 exec, exec, s[36:37]
	v_xor_b32_e32 v91, 0x7f, v91
	v_lshrrev_b32_sdwa v5, s68, v91 dst_sel:DWORD dst_unused:UNUSED_PAD src0_sel:DWORD src1_sel:BYTE_0
	v_and_b32_e32 v20, s77, v5
	v_mul_u32_u24_e32 v5, 5, v20
	v_add_lshl_u32 v5, v5, v88, 2
	; wave barrier
	v_add_u32_e32 v111, 0x410, v5
	ds_read_b32 v110, v5 offset:1040
	v_and_b32_e32 v5, 1, v20
	v_add_co_u32_e32 v21, vcc, -1, v5
	v_addc_co_u32_e64 v112, s[36:37], 0, -1, vcc
	v_cmp_ne_u32_e32 vcc, 0, v5
	v_xor_b32_e32 v5, vcc_hi, v112
	v_and_b32_e32 v112, exec_hi, v5
	v_lshlrev_b32_e32 v5, 30, v20
	v_xor_b32_e32 v21, vcc_lo, v21
	v_cmp_gt_i64_e32 vcc, 0, v[4:5]
	v_not_b32_e32 v5, v5
	v_ashrrev_i32_e32 v5, 31, v5
	v_and_b32_e32 v21, exec_lo, v21
	v_xor_b32_e32 v113, vcc_hi, v5
	v_xor_b32_e32 v5, vcc_lo, v5
	v_and_b32_e32 v21, v21, v5
	v_lshlrev_b32_e32 v5, 29, v20
	v_cmp_gt_i64_e32 vcc, 0, v[4:5]
	v_not_b32_e32 v5, v5
	v_ashrrev_i32_e32 v5, 31, v5
	v_and_b32_e32 v112, v112, v113
	v_xor_b32_e32 v113, vcc_hi, v5
	v_xor_b32_e32 v5, vcc_lo, v5
	v_and_b32_e32 v21, v21, v5
	v_lshlrev_b32_e32 v5, 28, v20
	v_cmp_gt_i64_e32 vcc, 0, v[4:5]
	v_not_b32_e32 v5, v5
	v_ashrrev_i32_e32 v5, 31, v5
	v_and_b32_e32 v112, v112, v113
	;; [unrolled: 8-line block ×5, first 2 shown]
	v_xor_b32_e32 v113, vcc_hi, v5
	v_xor_b32_e32 v5, vcc_lo, v5
	v_and_b32_e32 v112, v112, v113
	v_and_b32_e32 v113, v21, v5
	v_lshlrev_b32_e32 v5, 24, v20
	v_cmp_gt_i64_e32 vcc, 0, v[4:5]
	v_not_b32_e32 v5, v5
	v_ashrrev_i32_e32 v5, 31, v5
	v_xor_b32_e32 v20, vcc_hi, v5
	v_xor_b32_e32 v5, vcc_lo, v5
	v_and_b32_e32 v21, v112, v20
	v_and_b32_e32 v20, v113, v5
	v_mbcnt_lo_u32_b32 v5, v20, 0
	v_mbcnt_hi_u32_b32 v112, v21, v5
	v_cmp_eq_u32_e32 vcc, 0, v112
	v_cmp_ne_u64_e64 s[36:37], 0, v[20:21]
	s_and_b64 s[38:39], s[36:37], vcc
	; wave barrier
	s_and_saveexec_b64 s[36:37], s[38:39]
	s_cbranch_execz .LBB293_258
; %bb.257:                              ;   in Loop: Header=BB293_232 Depth=2
	v_bcnt_u32_b32 v5, v20, 0
	v_bcnt_u32_b32 v5, v21, v5
	s_waitcnt lgkmcnt(0)
	v_add_u32_e32 v5, v110, v5
	ds_write_b32 v111, v5
.LBB293_258:                            ;   in Loop: Header=BB293_232 Depth=2
	s_or_b64 exec, exec, s[36:37]
	v_xor_b32_e32 v113, 0x7f, v23
	v_lshrrev_b32_sdwa v5, s68, v113 dst_sel:DWORD dst_unused:UNUSED_PAD src0_sel:DWORD src1_sel:BYTE_0
	v_and_b32_e32 v20, s77, v5
	v_mul_u32_u24_e32 v5, 5, v20
	v_add_lshl_u32 v5, v5, v88, 2
	; wave barrier
	v_add_u32_e32 v115, 0x410, v5
	ds_read_b32 v114, v5 offset:1040
	v_and_b32_e32 v5, 1, v20
	v_add_co_u32_e32 v21, vcc, -1, v5
	v_addc_co_u32_e64 v23, s[36:37], 0, -1, vcc
	v_cmp_ne_u32_e32 vcc, 0, v5
	v_xor_b32_e32 v5, vcc_hi, v23
	v_and_b32_e32 v23, exec_hi, v5
	v_lshlrev_b32_e32 v5, 30, v20
	v_xor_b32_e32 v21, vcc_lo, v21
	v_cmp_gt_i64_e32 vcc, 0, v[4:5]
	v_not_b32_e32 v5, v5
	v_ashrrev_i32_e32 v5, 31, v5
	v_and_b32_e32 v21, exec_lo, v21
	v_xor_b32_e32 v116, vcc_hi, v5
	v_xor_b32_e32 v5, vcc_lo, v5
	v_and_b32_e32 v21, v21, v5
	v_lshlrev_b32_e32 v5, 29, v20
	v_cmp_gt_i64_e32 vcc, 0, v[4:5]
	v_not_b32_e32 v5, v5
	v_ashrrev_i32_e32 v5, 31, v5
	v_and_b32_e32 v23, v23, v116
	v_xor_b32_e32 v116, vcc_hi, v5
	v_xor_b32_e32 v5, vcc_lo, v5
	v_and_b32_e32 v21, v21, v5
	v_lshlrev_b32_e32 v5, 28, v20
	v_cmp_gt_i64_e32 vcc, 0, v[4:5]
	v_not_b32_e32 v5, v5
	v_ashrrev_i32_e32 v5, 31, v5
	v_and_b32_e32 v23, v23, v116
	v_xor_b32_e32 v116, vcc_hi, v5
	v_xor_b32_e32 v5, vcc_lo, v5
	v_and_b32_e32 v21, v21, v5
	v_lshlrev_b32_e32 v5, 27, v20
	v_cmp_gt_i64_e32 vcc, 0, v[4:5]
	v_not_b32_e32 v5, v5
	v_ashrrev_i32_e32 v5, 31, v5
	v_and_b32_e32 v23, v23, v116
	v_xor_b32_e32 v116, vcc_hi, v5
	v_xor_b32_e32 v5, vcc_lo, v5
	v_and_b32_e32 v21, v21, v5
	v_lshlrev_b32_e32 v5, 26, v20
	v_cmp_gt_i64_e32 vcc, 0, v[4:5]
	v_not_b32_e32 v5, v5
	v_ashrrev_i32_e32 v5, 31, v5
	v_and_b32_e32 v23, v23, v116
	v_xor_b32_e32 v116, vcc_hi, v5
	v_xor_b32_e32 v5, vcc_lo, v5
	v_and_b32_e32 v21, v21, v5
	v_lshlrev_b32_e32 v5, 25, v20
	v_cmp_gt_i64_e32 vcc, 0, v[4:5]
	v_not_b32_e32 v5, v5
	v_ashrrev_i32_e32 v5, 31, v5
	v_and_b32_e32 v23, v23, v116
	v_xor_b32_e32 v116, vcc_hi, v5
	v_xor_b32_e32 v5, vcc_lo, v5
	v_and_b32_e32 v23, v23, v116
	v_and_b32_e32 v116, v21, v5
	v_lshlrev_b32_e32 v5, 24, v20
	v_cmp_gt_i64_e32 vcc, 0, v[4:5]
	v_not_b32_e32 v5, v5
	v_ashrrev_i32_e32 v5, 31, v5
	v_xor_b32_e32 v20, vcc_hi, v5
	v_xor_b32_e32 v5, vcc_lo, v5
	v_and_b32_e32 v21, v23, v20
	v_and_b32_e32 v20, v116, v5
	v_mbcnt_lo_u32_b32 v5, v20, 0
	v_mbcnt_hi_u32_b32 v116, v21, v5
	v_cmp_eq_u32_e32 vcc, 0, v116
	v_cmp_ne_u64_e64 s[36:37], 0, v[20:21]
	s_and_b64 s[38:39], s[36:37], vcc
	; wave barrier
	s_and_saveexec_b64 s[36:37], s[38:39]
	s_cbranch_execz .LBB293_260
; %bb.259:                              ;   in Loop: Header=BB293_232 Depth=2
	v_bcnt_u32_b32 v5, v20, 0
	v_bcnt_u32_b32 v5, v21, v5
	s_waitcnt lgkmcnt(0)
	v_add_u32_e32 v5, v114, v5
	ds_write_b32 v115, v5
.LBB293_260:                            ;   in Loop: Header=BB293_232 Depth=2
	s_or_b64 exec, exec, s[36:37]
	v_xor_b32_e32 v117, 0x7f, v22
	v_lshrrev_b32_sdwa v5, s68, v117 dst_sel:DWORD dst_unused:UNUSED_PAD src0_sel:DWORD src1_sel:BYTE_0
	v_and_b32_e32 v20, s77, v5
	v_mul_u32_u24_e32 v5, 5, v20
	v_add_lshl_u32 v5, v5, v88, 2
	; wave barrier
	v_add_u32_e32 v119, 0x410, v5
	ds_read_b32 v118, v5 offset:1040
	v_and_b32_e32 v5, 1, v20
	v_add_co_u32_e32 v21, vcc, -1, v5
	v_addc_co_u32_e64 v22, s[36:37], 0, -1, vcc
	v_cmp_ne_u32_e32 vcc, 0, v5
	v_xor_b32_e32 v5, vcc_hi, v22
	v_and_b32_e32 v22, exec_hi, v5
	v_lshlrev_b32_e32 v5, 30, v20
	v_xor_b32_e32 v21, vcc_lo, v21
	v_cmp_gt_i64_e32 vcc, 0, v[4:5]
	v_not_b32_e32 v5, v5
	v_ashrrev_i32_e32 v5, 31, v5
	v_and_b32_e32 v21, exec_lo, v21
	v_xor_b32_e32 v23, vcc_hi, v5
	v_xor_b32_e32 v5, vcc_lo, v5
	v_and_b32_e32 v21, v21, v5
	v_lshlrev_b32_e32 v5, 29, v20
	v_cmp_gt_i64_e32 vcc, 0, v[4:5]
	v_not_b32_e32 v5, v5
	v_ashrrev_i32_e32 v5, 31, v5
	v_and_b32_e32 v22, v22, v23
	v_xor_b32_e32 v23, vcc_hi, v5
	v_xor_b32_e32 v5, vcc_lo, v5
	v_and_b32_e32 v21, v21, v5
	v_lshlrev_b32_e32 v5, 28, v20
	v_cmp_gt_i64_e32 vcc, 0, v[4:5]
	v_not_b32_e32 v5, v5
	v_ashrrev_i32_e32 v5, 31, v5
	v_and_b32_e32 v22, v22, v23
	;; [unrolled: 8-line block ×5, first 2 shown]
	v_xor_b32_e32 v23, vcc_hi, v5
	v_xor_b32_e32 v5, vcc_lo, v5
	v_and_b32_e32 v22, v22, v23
	v_and_b32_e32 v23, v21, v5
	v_lshlrev_b32_e32 v5, 24, v20
	v_cmp_gt_i64_e32 vcc, 0, v[4:5]
	v_not_b32_e32 v5, v5
	v_ashrrev_i32_e32 v5, 31, v5
	v_xor_b32_e32 v20, vcc_hi, v5
	v_xor_b32_e32 v5, vcc_lo, v5
	v_and_b32_e32 v21, v22, v20
	v_and_b32_e32 v20, v23, v5
	v_mbcnt_lo_u32_b32 v5, v20, 0
	v_mbcnt_hi_u32_b32 v120, v21, v5
	v_cmp_eq_u32_e32 vcc, 0, v120
	v_cmp_ne_u64_e64 s[36:37], 0, v[20:21]
	s_and_b64 s[38:39], s[36:37], vcc
	; wave barrier
	s_and_saveexec_b64 s[36:37], s[38:39]
	s_cbranch_execz .LBB293_262
; %bb.261:                              ;   in Loop: Header=BB293_232 Depth=2
	v_bcnt_u32_b32 v5, v20, 0
	v_bcnt_u32_b32 v5, v21, v5
	s_waitcnt lgkmcnt(0)
	v_add_u32_e32 v5, v118, v5
	ds_write_b32 v119, v5
.LBB293_262:                            ;   in Loop: Header=BB293_232 Depth=2
	s_or_b64 exec, exec, s[36:37]
	; wave barrier
	s_waitcnt lgkmcnt(0)
	s_barrier
	ds_read_b32 v5, v42 offset:1040
	ds_read2_b32 v[22:23], v44 offset0:1 offset1:2
	ds_read2_b32 v[20:21], v44 offset0:3 offset1:4
	s_waitcnt lgkmcnt(1)
	v_add3_u32 v121, v22, v5, v23
	s_waitcnt lgkmcnt(0)
	v_add3_u32 v21, v121, v20, v21
	s_nop 1
	v_mov_b32_dpp v121, v21 row_shr:1 row_mask:0xf bank_mask:0xf
	v_cndmask_b32_e64 v121, v121, 0, s[16:17]
	v_add_u32_e32 v21, v121, v21
	s_nop 1
	v_mov_b32_dpp v121, v21 row_shr:2 row_mask:0xf bank_mask:0xf
	v_cndmask_b32_e64 v121, 0, v121, s[18:19]
	v_add_u32_e32 v21, v21, v121
	s_nop 1
	v_mov_b32_dpp v121, v21 row_shr:4 row_mask:0xf bank_mask:0xf
	v_cndmask_b32_e64 v121, 0, v121, s[20:21]
	v_add_u32_e32 v21, v21, v121
	s_nop 1
	v_mov_b32_dpp v121, v21 row_shr:8 row_mask:0xf bank_mask:0xf
	v_cndmask_b32_e64 v121, 0, v121, s[22:23]
	v_add_u32_e32 v21, v21, v121
	s_nop 1
	v_mov_b32_dpp v121, v21 row_bcast:15 row_mask:0xf bank_mask:0xf
	v_cndmask_b32_e64 v121, v121, 0, s[24:25]
	v_add_u32_e32 v21, v21, v121
	s_nop 1
	v_mov_b32_dpp v121, v21 row_bcast:31 row_mask:0xf bank_mask:0xf
	v_cndmask_b32_e64 v121, 0, v121, s[26:27]
	v_add_u32_e32 v21, v21, v121
	s_and_saveexec_b64 s[36:37], s[6:7]
	s_cbranch_execz .LBB293_264
; %bb.263:                              ;   in Loop: Header=BB293_232 Depth=2
	ds_write_b32 v35, v21 offset:1024
.LBB293_264:                            ;   in Loop: Header=BB293_232 Depth=2
	s_or_b64 exec, exec, s[36:37]
	s_waitcnt lgkmcnt(0)
	s_barrier
	s_and_saveexec_b64 s[36:37], s[8:9]
	s_cbranch_execz .LBB293_266
; %bb.265:                              ;   in Loop: Header=BB293_232 Depth=2
	v_add_u32_e32 v121, v42, v45
	ds_read_b32 v122, v121 offset:1024
	s_waitcnt lgkmcnt(0)
	s_nop 0
	v_mov_b32_dpp v123, v122 row_shr:1 row_mask:0xf bank_mask:0xf
	v_cndmask_b32_e64 v123, v123, 0, s[30:31]
	v_add_u32_e32 v122, v123, v122
	s_nop 1
	v_mov_b32_dpp v123, v122 row_shr:2 row_mask:0xf bank_mask:0xf
	v_cndmask_b32_e64 v123, 0, v123, s[34:35]
	v_add_u32_e32 v122, v122, v123
	ds_write_b32 v121, v122 offset:1024
.LBB293_266:                            ;   in Loop: Header=BB293_232 Depth=2
	s_or_b64 exec, exec, s[36:37]
	v_mov_b32_e32 v121, 0
	s_waitcnt lgkmcnt(0)
	s_barrier
	s_and_saveexec_b64 s[36:37], s[10:11]
	s_cbranch_execz .LBB293_268
; %bb.267:                              ;   in Loop: Header=BB293_232 Depth=2
	ds_read_b32 v121, v35 offset:1020
.LBB293_268:                            ;   in Loop: Header=BB293_232 Depth=2
	s_or_b64 exec, exec, s[36:37]
	s_waitcnt lgkmcnt(0)
	v_add_u32_e32 v21, v121, v21
	ds_bpermute_b32 v21, v65, v21
	s_waitcnt lgkmcnt(0)
	v_cndmask_b32_e64 v21, v21, v121, s[28:29]
	v_cndmask_b32_e64 v21, v21, 0, s[12:13]
	v_add_u32_e32 v5, v21, v5
	ds_write_b32 v42, v21 offset:1040
	v_add_u32_e32 v21, v5, v22
	v_add_u32_e32 v22, v21, v23
	ds_write2_b32 v44, v5, v21 offset0:1 offset1:2
	v_add_u32_e32 v5, v22, v20
	ds_write2_b32 v44, v22, v5 offset0:3 offset1:4
	s_waitcnt lgkmcnt(0)
	s_barrier
	ds_read_b32 v20, v97
	ds_read_b32 v21, v102
	;; [unrolled: 1-line block ×8, first 2 shown]
	ds_read_b32 v97, v42 offset:1040
	v_mov_b32_e32 v5, 0x800
	s_and_saveexec_b64 s[36:37], s[14:15]
	s_cbranch_execz .LBB293_270
; %bb.269:                              ;   in Loop: Header=BB293_232 Depth=2
	ds_read_b32 v5, v42 offset:1060
.LBB293_270:                            ;   in Loop: Header=BB293_232 Depth=2
	s_or_b64 exec, exec, s[36:37]
	s_waitcnt lgkmcnt(0)
	s_barrier
	s_and_saveexec_b64 s[36:37], s[4:5]
	s_cbranch_execz .LBB293_272
; %bb.271:                              ;   in Loop: Header=BB293_232 Depth=2
	ds_read_b32 v102, v3
	s_waitcnt lgkmcnt(0)
	v_sub_u32_e32 v97, v102, v97
	ds_write_b32 v3, v97
.LBB293_272:                            ;   in Loop: Header=BB293_232 Depth=2
	s_or_b64 exec, exec, s[36:37]
	v_add_u32_e32 v102, v92, v93
	v_add3_u32 v98, v98, v95, v20
	v_add3_u32 v97, v103, v100, v21
	;; [unrolled: 1-line block ×7, first 2 shown]
	v_cmp_lt_u32_e64 s[48:49], v2, v89
	ds_write_b8 v102, v90 offset:1024
	ds_write_b8 v98, v94 offset:1024
	;; [unrolled: 1-line block ×8, first 2 shown]
	s_waitcnt lgkmcnt(0)
	s_barrier
	s_and_saveexec_b64 s[36:37], s[48:49]
	s_cbranch_execz .LBB293_280
; %bb.273:                              ;   in Loop: Header=BB293_232 Depth=2
	ds_read_u8 v20, v2 offset:1024
	s_waitcnt lgkmcnt(0)
	v_lshrrev_b32_sdwa v21, s68, v20 dst_sel:DWORD dst_unused:UNUSED_PAD src0_sel:DWORD src1_sel:BYTE_0
	v_and_b32_e32 v21, s77, v21
	v_lshlrev_b32_e32 v21, 2, v21
	ds_read_b32 v21, v21
	v_xor_b32_e32 v20, 0x7f, v20
	s_waitcnt lgkmcnt(0)
	v_add_u32_e32 v21, v21, v2
	global_store_byte v21, v20, s[60:61]
	s_or_b64 exec, exec, s[36:37]
	v_cmp_lt_u32_e64 s[46:47], v24, v89
	s_and_saveexec_b64 s[36:37], s[46:47]
	s_cbranch_execnz .LBB293_281
.LBB293_274:                            ;   in Loop: Header=BB293_232 Depth=2
	s_or_b64 exec, exec, s[36:37]
	v_cmp_lt_u32_e64 s[44:45], v25, v89
	s_and_saveexec_b64 s[36:37], s[44:45]
	s_cbranch_execz .LBB293_282
.LBB293_275:                            ;   in Loop: Header=BB293_232 Depth=2
	ds_read_u8 v20, v30 offset:512
	s_waitcnt lgkmcnt(0)
	v_lshrrev_b32_sdwa v21, s68, v20 dst_sel:DWORD dst_unused:UNUSED_PAD src0_sel:DWORD src1_sel:BYTE_0
	v_and_b32_e32 v21, s77, v21
	v_lshlrev_b32_e32 v21, 2, v21
	ds_read_b32 v21, v21
	v_xor_b32_e32 v20, 0x7f, v20
	s_waitcnt lgkmcnt(0)
	v_add_u32_e32 v21, v21, v25
	global_store_byte v21, v20, s[60:61]
	s_or_b64 exec, exec, s[36:37]
	v_cmp_lt_u32_e64 s[42:43], v26, v89
	s_and_saveexec_b64 s[36:37], s[42:43]
	s_cbranch_execnz .LBB293_283
.LBB293_276:                            ;   in Loop: Header=BB293_232 Depth=2
	s_or_b64 exec, exec, s[36:37]
	v_cmp_lt_u32_e64 s[40:41], v30, v89
	s_and_saveexec_b64 s[36:37], s[40:41]
	s_cbranch_execz .LBB293_284
.LBB293_277:                            ;   in Loop: Header=BB293_232 Depth=2
	ds_read_u8 v20, v30 offset:1024
	s_waitcnt lgkmcnt(0)
	v_lshrrev_b32_sdwa v21, s68, v20 dst_sel:DWORD dst_unused:UNUSED_PAD src0_sel:DWORD src1_sel:BYTE_0
	v_and_b32_e32 v21, s77, v21
	v_lshlrev_b32_e32 v21, 2, v21
	ds_read_b32 v21, v21
	v_xor_b32_e32 v20, 0x7f, v20
	s_waitcnt lgkmcnt(0)
	v_add_u32_e32 v21, v21, v30
	global_store_byte v21, v20, s[60:61]
	s_or_b64 exec, exec, s[36:37]
	v_cmp_lt_u32_e64 s[38:39], v31, v89
	s_and_saveexec_b64 s[36:37], s[38:39]
	s_cbranch_execnz .LBB293_285
.LBB293_278:                            ;   in Loop: Header=BB293_232 Depth=2
	s_or_b64 exec, exec, s[36:37]
	v_cmp_lt_u32_e64 s[36:37], v32, v89
	s_and_saveexec_b64 s[52:53], s[36:37]
	s_cbranch_execz .LBB293_286
.LBB293_279:                            ;   in Loop: Header=BB293_232 Depth=2
	ds_read_u8 v20, v30 offset:1536
	s_waitcnt lgkmcnt(0)
	v_lshrrev_b32_sdwa v21, s68, v20 dst_sel:DWORD dst_unused:UNUSED_PAD src0_sel:DWORD src1_sel:BYTE_0
	v_and_b32_e32 v21, s77, v21
	v_lshlrev_b32_e32 v21, 2, v21
	ds_read_b32 v21, v21
	v_xor_b32_e32 v20, 0x7f, v20
	s_waitcnt lgkmcnt(0)
	v_add_u32_e32 v21, v21, v32
	global_store_byte v21, v20, s[60:61]
	s_or_b64 exec, exec, s[52:53]
	v_cmp_lt_u32_e32 vcc, v33, v89
	s_and_saveexec_b64 s[52:53], vcc
	s_cbranch_execnz .LBB293_287
	s_branch .LBB293_288
.LBB293_280:                            ;   in Loop: Header=BB293_232 Depth=2
	s_or_b64 exec, exec, s[36:37]
	v_cmp_lt_u32_e64 s[46:47], v24, v89
	s_and_saveexec_b64 s[36:37], s[46:47]
	s_cbranch_execz .LBB293_274
.LBB293_281:                            ;   in Loop: Header=BB293_232 Depth=2
	ds_read_u8 v20, v30 offset:256
	s_waitcnt lgkmcnt(0)
	v_lshrrev_b32_sdwa v21, s68, v20 dst_sel:DWORD dst_unused:UNUSED_PAD src0_sel:DWORD src1_sel:BYTE_0
	v_and_b32_e32 v21, s77, v21
	v_lshlrev_b32_e32 v21, 2, v21
	ds_read_b32 v21, v21
	v_xor_b32_e32 v20, 0x7f, v20
	s_waitcnt lgkmcnt(0)
	v_add_u32_e32 v21, v21, v24
	global_store_byte v21, v20, s[60:61]
	s_or_b64 exec, exec, s[36:37]
	v_cmp_lt_u32_e64 s[44:45], v25, v89
	s_and_saveexec_b64 s[36:37], s[44:45]
	s_cbranch_execnz .LBB293_275
.LBB293_282:                            ;   in Loop: Header=BB293_232 Depth=2
	s_or_b64 exec, exec, s[36:37]
	v_cmp_lt_u32_e64 s[42:43], v26, v89
	s_and_saveexec_b64 s[36:37], s[42:43]
	s_cbranch_execz .LBB293_276
.LBB293_283:                            ;   in Loop: Header=BB293_232 Depth=2
	ds_read_u8 v20, v30 offset:768
	s_waitcnt lgkmcnt(0)
	v_lshrrev_b32_sdwa v21, s68, v20 dst_sel:DWORD dst_unused:UNUSED_PAD src0_sel:DWORD src1_sel:BYTE_0
	v_and_b32_e32 v21, s77, v21
	v_lshlrev_b32_e32 v21, 2, v21
	ds_read_b32 v21, v21
	v_xor_b32_e32 v20, 0x7f, v20
	s_waitcnt lgkmcnt(0)
	v_add_u32_e32 v21, v21, v26
	global_store_byte v21, v20, s[60:61]
	s_or_b64 exec, exec, s[36:37]
	v_cmp_lt_u32_e64 s[40:41], v30, v89
	s_and_saveexec_b64 s[36:37], s[40:41]
	s_cbranch_execnz .LBB293_277
.LBB293_284:                            ;   in Loop: Header=BB293_232 Depth=2
	s_or_b64 exec, exec, s[36:37]
	v_cmp_lt_u32_e64 s[38:39], v31, v89
	s_and_saveexec_b64 s[36:37], s[38:39]
	s_cbranch_execz .LBB293_278
.LBB293_285:                            ;   in Loop: Header=BB293_232 Depth=2
	ds_read_u8 v20, v30 offset:1280
	s_waitcnt lgkmcnt(0)
	v_lshrrev_b32_sdwa v21, s68, v20 dst_sel:DWORD dst_unused:UNUSED_PAD src0_sel:DWORD src1_sel:BYTE_0
	v_and_b32_e32 v21, s77, v21
	v_lshlrev_b32_e32 v21, 2, v21
	ds_read_b32 v21, v21
	v_xor_b32_e32 v20, 0x7f, v20
	s_waitcnt lgkmcnt(0)
	v_add_u32_e32 v21, v21, v31
	global_store_byte v21, v20, s[60:61]
	s_or_b64 exec, exec, s[36:37]
	v_cmp_lt_u32_e64 s[36:37], v32, v89
	s_and_saveexec_b64 s[52:53], s[36:37]
	s_cbranch_execnz .LBB293_279
.LBB293_286:                            ;   in Loop: Header=BB293_232 Depth=2
	s_or_b64 exec, exec, s[52:53]
	v_cmp_lt_u32_e32 vcc, v33, v89
	s_and_saveexec_b64 s[52:53], vcc
	s_cbranch_execz .LBB293_288
.LBB293_287:                            ;   in Loop: Header=BB293_232 Depth=2
	ds_read_u8 v20, v30 offset:1792
	s_waitcnt lgkmcnt(0)
	v_lshrrev_b32_sdwa v21, s68, v20 dst_sel:DWORD dst_unused:UNUSED_PAD src0_sel:DWORD src1_sel:BYTE_0
	v_and_b32_e32 v21, s77, v21
	v_lshlrev_b32_e32 v21, 2, v21
	ds_read_b32 v21, v21
	v_xor_b32_e32 v20, 0x7f, v20
	s_waitcnt lgkmcnt(0)
	v_add_u32_e32 v21, v21, v33
	global_store_byte v21, v20, s[60:61]
.LBB293_288:                            ;   in Loop: Header=BB293_232 Depth=2
	s_or_b64 exec, exec, s[52:53]
	s_lshl_b64 s[52:53], s[72:73], 3
	v_mov_b32_e32 v21, s53
	v_add_co_u32_e64 v20, s[52:53], s52, v77
	v_addc_co_u32_e64 v21, s[52:53], v78, v21, s[52:53]
	v_cmp_lt_u32_e64 s[52:53], v72, v89
	s_and_saveexec_b64 s[62:63], s[52:53]
	s_xor_b64 s[52:53], exec, s[62:63]
	s_cbranch_execz .LBB293_304
; %bb.289:                              ;   in Loop: Header=BB293_232 Depth=2
	global_load_dwordx2 v[18:19], v[20:21], off
	s_or_b64 exec, exec, s[52:53]
	v_cmp_lt_u32_e64 s[52:53], v79, v89
	s_and_saveexec_b64 s[62:63], s[52:53]
	s_cbranch_execnz .LBB293_305
.LBB293_290:                            ;   in Loop: Header=BB293_232 Depth=2
	s_or_b64 exec, exec, s[62:63]
	v_cmp_lt_u32_e64 s[52:53], v80, v89
	s_and_saveexec_b64 s[62:63], s[52:53]
	s_cbranch_execz .LBB293_306
.LBB293_291:                            ;   in Loop: Header=BB293_232 Depth=2
	global_load_dwordx2 v[14:15], v[20:21], off offset:1024
	s_or_b64 exec, exec, s[62:63]
	v_cmp_lt_u32_e64 s[52:53], v81, v89
	s_and_saveexec_b64 s[62:63], s[52:53]
	s_cbranch_execnz .LBB293_307
.LBB293_292:                            ;   in Loop: Header=BB293_232 Depth=2
	s_or_b64 exec, exec, s[62:63]
	v_cmp_lt_u32_e64 s[52:53], v82, v89
	s_and_saveexec_b64 s[62:63], s[52:53]
	s_cbranch_execz .LBB293_308
.LBB293_293:                            ;   in Loop: Header=BB293_232 Depth=2
	global_load_dwordx2 v[10:11], v[20:21], off offset:2048
	s_or_b64 exec, exec, s[62:63]
	v_cmp_lt_u32_e64 s[52:53], v83, v89
	s_and_saveexec_b64 s[62:63], s[52:53]
	s_cbranch_execnz .LBB293_309
.LBB293_294:                            ;   in Loop: Header=BB293_232 Depth=2
	s_or_b64 exec, exec, s[62:63]
	v_cmp_lt_u32_e64 s[52:53], v84, v89
	s_and_saveexec_b64 s[62:63], s[52:53]
	s_cbranch_execz .LBB293_310
.LBB293_295:                            ;   in Loop: Header=BB293_232 Depth=2
	global_load_dwordx2 v[6:7], v[20:21], off offset:3072
	s_or_b64 exec, exec, s[62:63]
	v_cmp_lt_u32_e64 s[52:53], v85, v89
	s_and_saveexec_b64 s[62:63], s[52:53]
	s_cbranch_execnz .LBB293_311
.LBB293_296:                            ;   in Loop: Header=BB293_232 Depth=2
	s_or_b64 exec, exec, s[62:63]
	s_and_saveexec_b64 s[52:53], s[48:49]
	s_cbranch_execz .LBB293_312
.LBB293_297:                            ;   in Loop: Header=BB293_232 Depth=2
	ds_read_u8 v20, v2 offset:1024
	s_waitcnt lgkmcnt(0)
	v_lshrrev_b32_e32 v20, s68, v20
	v_and_b32_e32 v75, s77, v20
	s_or_b64 exec, exec, s[52:53]
	s_and_saveexec_b64 s[52:53], s[46:47]
	s_cbranch_execnz .LBB293_313
.LBB293_298:                            ;   in Loop: Header=BB293_232 Depth=2
	s_or_b64 exec, exec, s[52:53]
	s_and_saveexec_b64 s[52:53], s[44:45]
	s_cbranch_execz .LBB293_314
.LBB293_299:                            ;   in Loop: Header=BB293_232 Depth=2
	ds_read_u8 v20, v30 offset:512
	s_waitcnt lgkmcnt(0)
	v_lshrrev_b32_e32 v20, s68, v20
	v_and_b32_e32 v71, s77, v20
	s_or_b64 exec, exec, s[52:53]
	s_and_saveexec_b64 s[52:53], s[42:43]
	s_cbranch_execnz .LBB293_315
.LBB293_300:                            ;   in Loop: Header=BB293_232 Depth=2
	s_or_b64 exec, exec, s[52:53]
	s_and_saveexec_b64 s[52:53], s[40:41]
	s_cbranch_execz .LBB293_316
.LBB293_301:                            ;   in Loop: Header=BB293_232 Depth=2
	ds_read_u8 v20, v30 offset:1024
	s_waitcnt lgkmcnt(0)
	v_lshrrev_b32_e32 v20, s68, v20
	v_and_b32_e32 v69, s77, v20
	s_or_b64 exec, exec, s[52:53]
	s_and_saveexec_b64 s[52:53], s[38:39]
	s_cbranch_execnz .LBB293_317
.LBB293_302:                            ;   in Loop: Header=BB293_232 Depth=2
	s_or_b64 exec, exec, s[52:53]
	s_and_saveexec_b64 s[52:53], s[36:37]
	s_cbranch_execz .LBB293_318
.LBB293_303:                            ;   in Loop: Header=BB293_232 Depth=2
	ds_read_u8 v20, v30 offset:1536
	s_waitcnt lgkmcnt(0)
	v_lshrrev_b32_e32 v20, s68, v20
	v_and_b32_e32 v67, s77, v20
	s_or_b64 exec, exec, s[52:53]
	s_and_saveexec_b64 s[52:53], vcc
	s_cbranch_execnz .LBB293_319
	s_branch .LBB293_320
.LBB293_304:                            ;   in Loop: Header=BB293_232 Depth=2
	s_or_b64 exec, exec, s[52:53]
	v_cmp_lt_u32_e64 s[52:53], v79, v89
	s_and_saveexec_b64 s[62:63], s[52:53]
	s_cbranch_execz .LBB293_290
.LBB293_305:                            ;   in Loop: Header=BB293_232 Depth=2
	global_load_dwordx2 v[16:17], v[20:21], off offset:512
	s_or_b64 exec, exec, s[62:63]
	v_cmp_lt_u32_e64 s[52:53], v80, v89
	s_and_saveexec_b64 s[62:63], s[52:53]
	s_cbranch_execnz .LBB293_291
.LBB293_306:                            ;   in Loop: Header=BB293_232 Depth=2
	s_or_b64 exec, exec, s[62:63]
	v_cmp_lt_u32_e64 s[52:53], v81, v89
	s_and_saveexec_b64 s[62:63], s[52:53]
	s_cbranch_execz .LBB293_292
.LBB293_307:                            ;   in Loop: Header=BB293_232 Depth=2
	global_load_dwordx2 v[12:13], v[20:21], off offset:1536
	s_or_b64 exec, exec, s[62:63]
	v_cmp_lt_u32_e64 s[52:53], v82, v89
	s_and_saveexec_b64 s[62:63], s[52:53]
	s_cbranch_execnz .LBB293_293
.LBB293_308:                            ;   in Loop: Header=BB293_232 Depth=2
	s_or_b64 exec, exec, s[62:63]
	v_cmp_lt_u32_e64 s[52:53], v83, v89
	s_and_saveexec_b64 s[62:63], s[52:53]
	s_cbranch_execz .LBB293_294
.LBB293_309:                            ;   in Loop: Header=BB293_232 Depth=2
	global_load_dwordx2 v[8:9], v[20:21], off offset:2560
	s_or_b64 exec, exec, s[62:63]
	v_cmp_lt_u32_e64 s[52:53], v84, v89
	s_and_saveexec_b64 s[62:63], s[52:53]
	s_cbranch_execnz .LBB293_295
.LBB293_310:                            ;   in Loop: Header=BB293_232 Depth=2
	s_or_b64 exec, exec, s[62:63]
	v_cmp_lt_u32_e64 s[52:53], v85, v89
	s_and_saveexec_b64 s[62:63], s[52:53]
	s_cbranch_execz .LBB293_296
.LBB293_311:                            ;   in Loop: Header=BB293_232 Depth=2
	global_load_dwordx2 v[0:1], v[20:21], off offset:3584
	s_or_b64 exec, exec, s[62:63]
	s_and_saveexec_b64 s[52:53], s[48:49]
	s_cbranch_execnz .LBB293_297
.LBB293_312:                            ;   in Loop: Header=BB293_232 Depth=2
	s_or_b64 exec, exec, s[52:53]
	s_and_saveexec_b64 s[52:53], s[46:47]
	s_cbranch_execz .LBB293_298
.LBB293_313:                            ;   in Loop: Header=BB293_232 Depth=2
	ds_read_u8 v20, v30 offset:256
	s_waitcnt lgkmcnt(0)
	v_lshrrev_b32_e32 v20, s68, v20
	v_and_b32_e32 v73, s77, v20
	s_or_b64 exec, exec, s[52:53]
	s_and_saveexec_b64 s[52:53], s[44:45]
	s_cbranch_execnz .LBB293_299
.LBB293_314:                            ;   in Loop: Header=BB293_232 Depth=2
	s_or_b64 exec, exec, s[52:53]
	s_and_saveexec_b64 s[52:53], s[42:43]
	s_cbranch_execz .LBB293_300
.LBB293_315:                            ;   in Loop: Header=BB293_232 Depth=2
	ds_read_u8 v20, v30 offset:768
	s_waitcnt lgkmcnt(0)
	v_lshrrev_b32_e32 v20, s68, v20
	v_and_b32_e32 v70, s77, v20
	s_or_b64 exec, exec, s[52:53]
	s_and_saveexec_b64 s[52:53], s[40:41]
	s_cbranch_execnz .LBB293_301
.LBB293_316:                            ;   in Loop: Header=BB293_232 Depth=2
	s_or_b64 exec, exec, s[52:53]
	s_and_saveexec_b64 s[52:53], s[38:39]
	s_cbranch_execz .LBB293_302
.LBB293_317:                            ;   in Loop: Header=BB293_232 Depth=2
	ds_read_u8 v20, v30 offset:1280
	s_waitcnt lgkmcnt(0)
	v_lshrrev_b32_e32 v20, s68, v20
	v_and_b32_e32 v68, s77, v20
	s_or_b64 exec, exec, s[52:53]
	s_and_saveexec_b64 s[52:53], s[36:37]
	s_cbranch_execnz .LBB293_303
.LBB293_318:                            ;   in Loop: Header=BB293_232 Depth=2
	s_or_b64 exec, exec, s[52:53]
	s_and_saveexec_b64 s[52:53], vcc
	s_cbranch_execz .LBB293_320
.LBB293_319:                            ;   in Loop: Header=BB293_232 Depth=2
	ds_read_u8 v20, v30 offset:1792
	s_waitcnt lgkmcnt(0)
	v_lshrrev_b32_e32 v20, s68, v20
	v_and_b32_e32 v66, s77, v20
.LBB293_320:                            ;   in Loop: Header=BB293_232 Depth=2
	s_or_b64 exec, exec, s[52:53]
	v_lshlrev_b32_e32 v20, 3, v102
	s_barrier
	s_waitcnt vmcnt(0)
	ds_write_b64 v20, v[18:19] offset:1024
	v_lshlrev_b32_e32 v20, 3, v98
	ds_write_b64 v20, v[16:17] offset:1024
	v_lshlrev_b32_e32 v20, 3, v97
	ds_write_b64 v20, v[14:15] offset:1024
	v_lshlrev_b32_e32 v20, 3, v95
	ds_write_b64 v20, v[12:13] offset:1024
	v_lshlrev_b32_e32 v20, 3, v93
	ds_write_b64 v20, v[10:11] offset:1024
	v_lshlrev_b32_e32 v20, 3, v92
	ds_write_b64 v20, v[8:9] offset:1024
	v_lshlrev_b32_e32 v20, 3, v23
	ds_write_b64 v20, v[6:7] offset:1024
	v_lshlrev_b32_e32 v20, 3, v22
	ds_write_b64 v20, v[0:1] offset:1024
	s_waitcnt lgkmcnt(0)
	s_barrier
	s_and_saveexec_b64 s[52:53], s[48:49]
	s_cbranch_execz .LBB293_328
; %bb.321:                              ;   in Loop: Header=BB293_232 Depth=2
	v_lshlrev_b32_e32 v20, 2, v75
	ds_read_b32 v22, v20
	v_add_u32_e32 v20, v2, v50
	ds_read_b64 v[20:21], v20 offset:1024
	v_mov_b32_e32 v23, v4
	v_mov_b32_e32 v89, s67
	s_waitcnt lgkmcnt(1)
	v_add_u32_e32 v22, v22, v2
	v_lshlrev_b64 v[22:23], 3, v[22:23]
	v_add_co_u32_e64 v22, s[48:49], s66, v22
	v_addc_co_u32_e64 v23, s[48:49], v89, v23, s[48:49]
	s_waitcnt lgkmcnt(0)
	global_store_dwordx2 v[22:23], v[20:21], off
	s_or_b64 exec, exec, s[52:53]
	s_and_saveexec_b64 s[48:49], s[46:47]
	s_cbranch_execnz .LBB293_329
.LBB293_322:                            ;   in Loop: Header=BB293_232 Depth=2
	s_or_b64 exec, exec, s[48:49]
	s_and_saveexec_b64 s[46:47], s[44:45]
	s_cbranch_execz .LBB293_330
.LBB293_323:                            ;   in Loop: Header=BB293_232 Depth=2
	v_lshlrev_b32_e32 v20, 2, v71
	ds_read_b32 v22, v20
	v_add_u32_e32 v20, v30, v50
	ds_read_b64 v[20:21], v20 offset:4096
	v_mov_b32_e32 v23, v4
	v_mov_b32_e32 v89, s67
	s_waitcnt lgkmcnt(1)
	v_add_u32_e32 v22, v22, v25
	v_lshlrev_b64 v[22:23], 3, v[22:23]
	v_add_co_u32_e64 v22, s[44:45], s66, v22
	v_addc_co_u32_e64 v23, s[44:45], v89, v23, s[44:45]
	s_waitcnt lgkmcnt(0)
	global_store_dwordx2 v[22:23], v[20:21], off
	s_or_b64 exec, exec, s[46:47]
	s_and_saveexec_b64 s[44:45], s[42:43]
	s_cbranch_execnz .LBB293_331
.LBB293_324:                            ;   in Loop: Header=BB293_232 Depth=2
	s_or_b64 exec, exec, s[44:45]
	s_and_saveexec_b64 s[42:43], s[40:41]
	s_cbranch_execz .LBB293_332
.LBB293_325:                            ;   in Loop: Header=BB293_232 Depth=2
	v_lshlrev_b32_e32 v20, 2, v69
	ds_read_b32 v22, v20
	v_add_u32_e32 v20, v30, v50
	ds_read_b64 v[20:21], v20 offset:8192
	v_mov_b32_e32 v23, v4
	v_mov_b32_e32 v89, s67
	s_waitcnt lgkmcnt(1)
	v_add_u32_e32 v22, v22, v30
	v_lshlrev_b64 v[22:23], 3, v[22:23]
	v_add_co_u32_e64 v22, s[40:41], s66, v22
	v_addc_co_u32_e64 v23, s[40:41], v89, v23, s[40:41]
	s_waitcnt lgkmcnt(0)
	global_store_dwordx2 v[22:23], v[20:21], off
	s_or_b64 exec, exec, s[42:43]
	s_and_saveexec_b64 s[40:41], s[38:39]
	s_cbranch_execnz .LBB293_333
.LBB293_326:                            ;   in Loop: Header=BB293_232 Depth=2
	s_or_b64 exec, exec, s[40:41]
	s_and_saveexec_b64 s[38:39], s[36:37]
	s_cbranch_execz .LBB293_334
.LBB293_327:                            ;   in Loop: Header=BB293_232 Depth=2
	v_lshlrev_b32_e32 v20, 2, v67
	ds_read_b32 v22, v20
	v_add_u32_e32 v20, v30, v50
	ds_read_b64 v[20:21], v20 offset:12288
	v_mov_b32_e32 v23, v4
	v_mov_b32_e32 v89, s67
	s_waitcnt lgkmcnt(1)
	v_add_u32_e32 v22, v22, v32
	v_lshlrev_b64 v[22:23], 3, v[22:23]
	v_add_co_u32_e64 v22, s[36:37], s66, v22
	v_addc_co_u32_e64 v23, s[36:37], v89, v23, s[36:37]
	s_waitcnt lgkmcnt(0)
	global_store_dwordx2 v[22:23], v[20:21], off
	s_or_b64 exec, exec, s[38:39]
	s_and_saveexec_b64 s[36:37], vcc
	s_cbranch_execnz .LBB293_335
	s_branch .LBB293_336
.LBB293_328:                            ;   in Loop: Header=BB293_232 Depth=2
	s_or_b64 exec, exec, s[52:53]
	s_and_saveexec_b64 s[48:49], s[46:47]
	s_cbranch_execz .LBB293_322
.LBB293_329:                            ;   in Loop: Header=BB293_232 Depth=2
	v_lshlrev_b32_e32 v20, 2, v73
	ds_read_b32 v22, v20
	v_add_u32_e32 v20, v30, v50
	ds_read_b64 v[20:21], v20 offset:2048
	v_mov_b32_e32 v23, v4
	v_mov_b32_e32 v89, s67
	s_waitcnt lgkmcnt(1)
	v_add_u32_e32 v22, v22, v24
	v_lshlrev_b64 v[22:23], 3, v[22:23]
	v_add_co_u32_e64 v22, s[46:47], s66, v22
	v_addc_co_u32_e64 v23, s[46:47], v89, v23, s[46:47]
	s_waitcnt lgkmcnt(0)
	global_store_dwordx2 v[22:23], v[20:21], off
	s_or_b64 exec, exec, s[48:49]
	s_and_saveexec_b64 s[46:47], s[44:45]
	s_cbranch_execnz .LBB293_323
.LBB293_330:                            ;   in Loop: Header=BB293_232 Depth=2
	s_or_b64 exec, exec, s[46:47]
	s_and_saveexec_b64 s[44:45], s[42:43]
	s_cbranch_execz .LBB293_324
.LBB293_331:                            ;   in Loop: Header=BB293_232 Depth=2
	v_lshlrev_b32_e32 v20, 2, v70
	ds_read_b32 v22, v20
	v_add_u32_e32 v20, v30, v50
	ds_read_b64 v[20:21], v20 offset:6144
	v_mov_b32_e32 v23, v4
	v_mov_b32_e32 v89, s67
	s_waitcnt lgkmcnt(1)
	v_add_u32_e32 v22, v22, v26
	v_lshlrev_b64 v[22:23], 3, v[22:23]
	v_add_co_u32_e64 v22, s[42:43], s66, v22
	v_addc_co_u32_e64 v23, s[42:43], v89, v23, s[42:43]
	s_waitcnt lgkmcnt(0)
	global_store_dwordx2 v[22:23], v[20:21], off
	s_or_b64 exec, exec, s[44:45]
	s_and_saveexec_b64 s[42:43], s[40:41]
	s_cbranch_execnz .LBB293_325
.LBB293_332:                            ;   in Loop: Header=BB293_232 Depth=2
	s_or_b64 exec, exec, s[42:43]
	s_and_saveexec_b64 s[40:41], s[38:39]
	s_cbranch_execz .LBB293_326
.LBB293_333:                            ;   in Loop: Header=BB293_232 Depth=2
	v_lshlrev_b32_e32 v20, 2, v68
	ds_read_b32 v22, v20
	v_add_u32_e32 v20, v30, v50
	ds_read_b64 v[20:21], v20 offset:10240
	v_mov_b32_e32 v23, v4
	v_mov_b32_e32 v89, s67
	s_waitcnt lgkmcnt(1)
	v_add_u32_e32 v22, v22, v31
	v_lshlrev_b64 v[22:23], 3, v[22:23]
	v_add_co_u32_e64 v22, s[38:39], s66, v22
	v_addc_co_u32_e64 v23, s[38:39], v89, v23, s[38:39]
	s_waitcnt lgkmcnt(0)
	global_store_dwordx2 v[22:23], v[20:21], off
	s_or_b64 exec, exec, s[40:41]
	s_and_saveexec_b64 s[38:39], s[36:37]
	s_cbranch_execnz .LBB293_327
.LBB293_334:                            ;   in Loop: Header=BB293_232 Depth=2
	s_or_b64 exec, exec, s[38:39]
	s_and_saveexec_b64 s[36:37], vcc
	s_cbranch_execz .LBB293_336
.LBB293_335:                            ;   in Loop: Header=BB293_232 Depth=2
	v_lshlrev_b32_e32 v20, 2, v66
	ds_read_b32 v22, v20
	v_add_u32_e32 v20, v30, v50
	ds_read_b64 v[20:21], v20 offset:14336
	v_mov_b32_e32 v23, v4
	v_mov_b32_e32 v89, s67
	s_waitcnt lgkmcnt(1)
	v_add_u32_e32 v22, v22, v33
	v_lshlrev_b64 v[22:23], 3, v[22:23]
	v_add_co_u32_e32 v22, vcc, s66, v22
	v_addc_co_u32_e32 v23, vcc, v89, v23, vcc
	s_waitcnt lgkmcnt(0)
	global_store_dwordx2 v[22:23], v[20:21], off
.LBB293_336:                            ;   in Loop: Header=BB293_232 Depth=2
	s_or_b64 exec, exec, s[36:37]
	s_barrier
	s_and_saveexec_b64 s[36:37], s[4:5]
	s_cbranch_execz .LBB293_231
; %bb.337:                              ;   in Loop: Header=BB293_232 Depth=2
	ds_read_b32 v20, v3
	s_waitcnt lgkmcnt(0)
	v_add_u32_e32 v5, v20, v5
	ds_write_b32 v3, v5
	s_branch .LBB293_231
.LBB293_338:                            ;   in Loop: Header=BB293_232 Depth=2
	s_or_b64 exec, exec, s[36:37]
	v_cmp_gt_u32_e32 vcc, s78, v79
	s_and_saveexec_b64 s[36:37], vcc
	s_cbranch_execz .LBB293_238
.LBB293_339:                            ;   in Loop: Header=BB293_232 Depth=2
	global_load_ubyte v94, v[20:21], off offset:64
	s_or_b64 exec, exec, s[36:37]
	v_cmp_gt_u32_e32 vcc, s78, v80
	s_and_saveexec_b64 s[36:37], vcc
	s_cbranch_execnz .LBB293_239
.LBB293_340:                            ;   in Loop: Header=BB293_232 Depth=2
	s_or_b64 exec, exec, s[36:37]
	v_cmp_gt_u32_e32 vcc, s78, v81
	s_and_saveexec_b64 s[36:37], vcc
	s_cbranch_execz .LBB293_240
.LBB293_341:                            ;   in Loop: Header=BB293_232 Depth=2
	global_load_ubyte v101, v[20:21], off offset:192
	s_or_b64 exec, exec, s[36:37]
	v_cmp_gt_u32_e32 vcc, s78, v82
	s_and_saveexec_b64 s[36:37], vcc
	s_cbranch_execnz .LBB293_241
.LBB293_342:                            ;   in Loop: Header=BB293_232 Depth=2
	s_or_b64 exec, exec, s[36:37]
	v_cmp_gt_u32_e32 vcc, s78, v83
	s_and_saveexec_b64 s[36:37], vcc
	s_cbranch_execz .LBB293_242
.LBB293_343:                            ;   in Loop: Header=BB293_232 Depth=2
	global_load_ubyte v91, v[20:21], off offset:320
	s_or_b64 exec, exec, s[36:37]
	v_cmp_gt_u32_e32 vcc, s78, v84
	s_and_saveexec_b64 s[36:37], vcc
	s_cbranch_execnz .LBB293_243
	s_branch .LBB293_244
.LBB293_344:                            ;   in Loop: Header=BB293_12 Depth=1
	s_waitcnt lgkmcnt(0)
	s_barrier
.LBB293_345:                            ;   in Loop: Header=BB293_12 Depth=1
	s_mov_b64 s[16:17], 0
.LBB293_346:                            ;   in Loop: Header=BB293_12 Depth=1
	s_andn2_b64 vcc, exec, s[16:17]
	s_cbranch_vccnz .LBB293_11
; %bb.347:                              ;   in Loop: Header=BB293_12 Depth=1
	s_mov_b64 s[16:17], -1
	s_and_b64 vcc, exec, s[54:55]
	s_cbranch_vccz .LBB293_513
; %bb.348:                              ;   in Loop: Header=BB293_12 Depth=1
	s_mov_b32 s20, s71
	s_mov_b32 s22, s51
	s_barrier
	s_waitcnt lgkmcnt(0)
                                        ; implicit-def: $vgpr5
                                        ; implicit-def: $vgpr6
                                        ; implicit-def: $vgpr7
                                        ; implicit-def: $vgpr8
                                        ; implicit-def: $vgpr9
                                        ; implicit-def: $vgpr10
                                        ; implicit-def: $vgpr11
                                        ; implicit-def: $vgpr12
	s_branch .LBB293_350
.LBB293_349:                            ;   in Loop: Header=BB293_350 Depth=2
	s_or_b64 exec, exec, s[16:17]
	s_addk_i32 s20, 0xf800
	s_cmp_ge_u32 s21, s76
	s_mov_b32 s22, s21
	s_cbranch_scc1 .LBB293_388
.LBB293_350:                            ;   Parent Loop BB293_12 Depth=1
                                        ; =>  This Inner Loop Header: Depth=2
	s_add_i32 s21, s22, 0x800
	s_cmp_gt_u32 s21, s76
	s_cbranch_scc1 .LBB293_353
; %bb.351:                              ;   in Loop: Header=BB293_350 Depth=2
	v_add_co_u32_e32 v0, vcc, s22, v57
	v_addc_co_u32_e32 v1, vcc, 0, v58, vcc
	global_load_ubyte v20, v[0:1], off offset:1536
	global_load_ubyte v19, v[0:1], off offset:1280
	;; [unrolled: 1-line block ×6, first 2 shown]
	global_load_ubyte v14, v[0:1], off
	v_add_co_u32_e32 v0, vcc, 0x700, v0
	v_addc_co_u32_e32 v1, vcc, 0, v1, vcc
	s_mov_b64 s[16:17], -1
	s_movk_i32 s25, 0x800
	s_cbranch_execz .LBB293_354
; %bb.352:                              ;   in Loop: Header=BB293_350 Depth=2
                                        ; implicit-def: $vgpr5
                                        ; implicit-def: $vgpr6
                                        ; implicit-def: $vgpr7
                                        ; implicit-def: $vgpr8
                                        ; implicit-def: $vgpr9
                                        ; implicit-def: $vgpr10
                                        ; implicit-def: $vgpr11
                                        ; implicit-def: $vgpr12
	v_mov_b32_e32 v13, s20
	s_and_saveexec_b64 s[18:19], s[16:17]
	s_cbranch_execnz .LBB293_365
	s_branch .LBB293_366
.LBB293_353:                            ;   in Loop: Header=BB293_350 Depth=2
	s_mov_b64 s[16:17], 0
                                        ; implicit-def: $sgpr25
                                        ; implicit-def: $vgpr14
                                        ; implicit-def: $vgpr15
                                        ; implicit-def: $vgpr16
                                        ; implicit-def: $vgpr17
                                        ; implicit-def: $vgpr18
                                        ; implicit-def: $vgpr19
                                        ; implicit-def: $vgpr20
                                        ; implicit-def: $vgpr0_vgpr1
.LBB293_354:                            ;   in Loop: Header=BB293_350 Depth=2
	s_add_u32 s23, s56, s22
	s_addc_u32 s24, s57, 0
	v_cmp_gt_u32_e32 vcc, s20, v2
	s_and_saveexec_b64 s[18:19], vcc
	s_cbranch_execz .LBB293_382
; %bb.355:                              ;   in Loop: Header=BB293_350 Depth=2
	v_mov_b32_e32 v1, s24
	v_add_co_u32_e32 v0, vcc, s23, v2
	v_addc_co_u32_e32 v1, vcc, 0, v1, vcc
	global_load_ubyte v5, v[0:1], off
	s_or_b64 exec, exec, s[18:19]
	v_cmp_gt_u32_e32 vcc, s20, v24
	s_and_saveexec_b64 s[18:19], vcc
	s_cbranch_execnz .LBB293_383
.LBB293_356:                            ;   in Loop: Header=BB293_350 Depth=2
	s_or_b64 exec, exec, s[18:19]
	v_cmp_gt_u32_e32 vcc, s20, v25
	s_and_saveexec_b64 s[18:19], vcc
	s_cbranch_execz .LBB293_384
.LBB293_357:                            ;   in Loop: Header=BB293_350 Depth=2
	v_mov_b32_e32 v1, s24
	v_add_co_u32_e32 v0, vcc, s23, v2
	v_addc_co_u32_e32 v1, vcc, 0, v1, vcc
	global_load_ubyte v7, v[0:1], off offset:512
	s_or_b64 exec, exec, s[18:19]
	v_cmp_gt_u32_e32 vcc, s20, v26
	s_and_saveexec_b64 s[18:19], vcc
	s_cbranch_execnz .LBB293_385
.LBB293_358:                            ;   in Loop: Header=BB293_350 Depth=2
	s_or_b64 exec, exec, s[18:19]
	v_cmp_gt_u32_e32 vcc, s20, v30
	s_and_saveexec_b64 s[18:19], vcc
	s_cbranch_execz .LBB293_386
.LBB293_359:                            ;   in Loop: Header=BB293_350 Depth=2
	v_mov_b32_e32 v1, s24
	v_add_co_u32_e32 v0, vcc, s23, v2
	v_addc_co_u32_e32 v1, vcc, 0, v1, vcc
	global_load_ubyte v9, v[0:1], off offset:1024
	s_or_b64 exec, exec, s[18:19]
	v_cmp_gt_u32_e32 vcc, s20, v31
	s_and_saveexec_b64 s[18:19], vcc
	s_cbranch_execnz .LBB293_387
.LBB293_360:                            ;   in Loop: Header=BB293_350 Depth=2
	s_or_b64 exec, exec, s[18:19]
	v_cmp_gt_u32_e32 vcc, s20, v32
	s_and_saveexec_b64 s[18:19], vcc
	s_cbranch_execz .LBB293_362
.LBB293_361:                            ;   in Loop: Header=BB293_350 Depth=2
	v_mov_b32_e32 v1, s24
	v_add_co_u32_e32 v0, vcc, s23, v2
	v_addc_co_u32_e32 v1, vcc, 0, v1, vcc
	global_load_ubyte v11, v[0:1], off offset:1536
.LBB293_362:                            ;   in Loop: Header=BB293_350 Depth=2
	s_or_b64 exec, exec, s[18:19]
	v_cmp_gt_u32_e32 vcc, s20, v33
                                        ; implicit-def: $sgpr25
                                        ; implicit-def: $vgpr0_vgpr1
	s_and_saveexec_b64 s[18:19], vcc
	s_cbranch_execz .LBB293_364
; %bb.363:                              ;   in Loop: Header=BB293_350 Depth=2
	v_mov_b32_e32 v0, s24
	v_add_co_u32_e32 v1, vcc, s23, v2
	s_waitcnt vmcnt(0)
	v_addc_co_u32_e32 v12, vcc, 0, v0, vcc
	v_add_co_u32_e32 v0, vcc, 0x700, v1
	s_sub_i32 s25, s76, s22
	v_addc_co_u32_e32 v1, vcc, 0, v12, vcc
	s_or_b64 s[16:17], s[16:17], exec
                                        ; implicit-def: $vgpr12
.LBB293_364:                            ;   in Loop: Header=BB293_350 Depth=2
	s_or_b64 exec, exec, s[18:19]
	s_waitcnt vmcnt(0)
	v_mov_b32_e32 v14, v5
	v_mov_b32_e32 v15, v6
	;; [unrolled: 1-line block ×8, first 2 shown]
	s_and_saveexec_b64 s[18:19], s[16:17]
	s_cbranch_execz .LBB293_366
.LBB293_365:                            ;   in Loop: Header=BB293_350 Depth=2
	global_load_ubyte v12, v[0:1], off
	v_mov_b32_e32 v13, s25
	s_waitcnt vmcnt(1)
	v_mov_b32_e32 v5, v14
	v_mov_b32_e32 v6, v15
	v_mov_b32_e32 v7, v16
	v_mov_b32_e32 v8, v17
	v_mov_b32_e32 v9, v18
	v_mov_b32_e32 v10, v19
	v_mov_b32_e32 v11, v20
.LBB293_366:                            ;   in Loop: Header=BB293_350 Depth=2
	s_or_b64 exec, exec, s[18:19]
	v_cmp_lt_u32_e32 vcc, v2, v13
	s_and_saveexec_b64 s[16:17], vcc
	s_cbranch_execz .LBB293_374
; %bb.367:                              ;   in Loop: Header=BB293_350 Depth=2
	v_xor_b32_e32 v0, 0x7f, v5
	v_lshrrev_b32_sdwa v0, s69, v0 dst_sel:DWORD dst_unused:UNUSED_PAD src0_sel:DWORD src1_sel:BYTE_0
	v_and_b32_e32 v0, s77, v0
	v_lshlrev_b32_e32 v1, 2, v27
	v_lshl_or_b32 v0, v0, 4, v1
	ds_add_u32 v0, v63
	s_or_b64 exec, exec, s[16:17]
	v_cmp_lt_u32_e32 vcc, v24, v13
	s_and_saveexec_b64 s[16:17], vcc
	s_cbranch_execnz .LBB293_375
.LBB293_368:                            ;   in Loop: Header=BB293_350 Depth=2
	s_or_b64 exec, exec, s[16:17]
	v_cmp_lt_u32_e32 vcc, v25, v13
	s_and_saveexec_b64 s[16:17], vcc
	s_cbranch_execz .LBB293_376
.LBB293_369:                            ;   in Loop: Header=BB293_350 Depth=2
	v_xor_b32_e32 v0, 0x7f, v7
	v_lshrrev_b32_sdwa v0, s69, v0 dst_sel:DWORD dst_unused:UNUSED_PAD src0_sel:DWORD src1_sel:BYTE_0
	v_and_b32_e32 v0, s77, v0
	v_lshlrev_b32_e32 v1, 2, v27
	v_lshl_or_b32 v0, v0, 4, v1
	ds_add_u32 v0, v63
	s_or_b64 exec, exec, s[16:17]
	v_cmp_lt_u32_e32 vcc, v26, v13
	s_and_saveexec_b64 s[16:17], vcc
	s_cbranch_execnz .LBB293_377
.LBB293_370:                            ;   in Loop: Header=BB293_350 Depth=2
	s_or_b64 exec, exec, s[16:17]
	v_cmp_lt_u32_e32 vcc, v30, v13
	s_and_saveexec_b64 s[16:17], vcc
	s_cbranch_execz .LBB293_378
.LBB293_371:                            ;   in Loop: Header=BB293_350 Depth=2
	v_xor_b32_e32 v0, 0x7f, v9
	v_lshrrev_b32_sdwa v0, s69, v0 dst_sel:DWORD dst_unused:UNUSED_PAD src0_sel:DWORD src1_sel:BYTE_0
	v_and_b32_e32 v0, s77, v0
	v_lshlrev_b32_e32 v1, 2, v27
	v_lshl_or_b32 v0, v0, 4, v1
	ds_add_u32 v0, v63
	s_or_b64 exec, exec, s[16:17]
	v_cmp_lt_u32_e32 vcc, v31, v13
	s_and_saveexec_b64 s[16:17], vcc
	s_cbranch_execnz .LBB293_379
.LBB293_372:                            ;   in Loop: Header=BB293_350 Depth=2
	s_or_b64 exec, exec, s[16:17]
	v_cmp_lt_u32_e32 vcc, v32, v13
	s_and_saveexec_b64 s[16:17], vcc
	s_cbranch_execz .LBB293_380
.LBB293_373:                            ;   in Loop: Header=BB293_350 Depth=2
	v_xor_b32_e32 v0, 0x7f, v11
	v_lshrrev_b32_sdwa v0, s69, v0 dst_sel:DWORD dst_unused:UNUSED_PAD src0_sel:DWORD src1_sel:BYTE_0
	v_and_b32_e32 v0, s77, v0
	v_lshlrev_b32_e32 v1, 2, v27
	v_lshl_or_b32 v0, v0, 4, v1
	ds_add_u32 v0, v63
	s_or_b64 exec, exec, s[16:17]
	v_cmp_lt_u32_e32 vcc, v33, v13
	s_and_saveexec_b64 s[16:17], vcc
	s_cbranch_execz .LBB293_349
	s_branch .LBB293_381
.LBB293_374:                            ;   in Loop: Header=BB293_350 Depth=2
	s_or_b64 exec, exec, s[16:17]
	v_cmp_lt_u32_e32 vcc, v24, v13
	s_and_saveexec_b64 s[16:17], vcc
	s_cbranch_execz .LBB293_368
.LBB293_375:                            ;   in Loop: Header=BB293_350 Depth=2
	v_xor_b32_e32 v0, 0x7f, v6
	v_lshrrev_b32_sdwa v0, s69, v0 dst_sel:DWORD dst_unused:UNUSED_PAD src0_sel:DWORD src1_sel:BYTE_0
	v_and_b32_e32 v0, s77, v0
	v_lshlrev_b32_e32 v1, 2, v27
	v_lshl_or_b32 v0, v0, 4, v1
	ds_add_u32 v0, v63
	s_or_b64 exec, exec, s[16:17]
	v_cmp_lt_u32_e32 vcc, v25, v13
	s_and_saveexec_b64 s[16:17], vcc
	s_cbranch_execnz .LBB293_369
.LBB293_376:                            ;   in Loop: Header=BB293_350 Depth=2
	s_or_b64 exec, exec, s[16:17]
	v_cmp_lt_u32_e32 vcc, v26, v13
	s_and_saveexec_b64 s[16:17], vcc
	s_cbranch_execz .LBB293_370
.LBB293_377:                            ;   in Loop: Header=BB293_350 Depth=2
	v_xor_b32_e32 v0, 0x7f, v8
	v_lshrrev_b32_sdwa v0, s69, v0 dst_sel:DWORD dst_unused:UNUSED_PAD src0_sel:DWORD src1_sel:BYTE_0
	v_and_b32_e32 v0, s77, v0
	v_lshlrev_b32_e32 v1, 2, v27
	v_lshl_or_b32 v0, v0, 4, v1
	ds_add_u32 v0, v63
	s_or_b64 exec, exec, s[16:17]
	v_cmp_lt_u32_e32 vcc, v30, v13
	s_and_saveexec_b64 s[16:17], vcc
	s_cbranch_execnz .LBB293_371
.LBB293_378:                            ;   in Loop: Header=BB293_350 Depth=2
	s_or_b64 exec, exec, s[16:17]
	v_cmp_lt_u32_e32 vcc, v31, v13
	s_and_saveexec_b64 s[16:17], vcc
	s_cbranch_execz .LBB293_372
.LBB293_379:                            ;   in Loop: Header=BB293_350 Depth=2
	v_xor_b32_e32 v0, 0x7f, v10
	v_lshrrev_b32_sdwa v0, s69, v0 dst_sel:DWORD dst_unused:UNUSED_PAD src0_sel:DWORD src1_sel:BYTE_0
	v_and_b32_e32 v0, s77, v0
	v_lshlrev_b32_e32 v1, 2, v27
	v_lshl_or_b32 v0, v0, 4, v1
	ds_add_u32 v0, v63
	s_or_b64 exec, exec, s[16:17]
	v_cmp_lt_u32_e32 vcc, v32, v13
	s_and_saveexec_b64 s[16:17], vcc
	s_cbranch_execnz .LBB293_373
.LBB293_380:                            ;   in Loop: Header=BB293_350 Depth=2
	s_or_b64 exec, exec, s[16:17]
	v_cmp_lt_u32_e32 vcc, v33, v13
	s_and_saveexec_b64 s[16:17], vcc
	s_cbranch_execz .LBB293_349
.LBB293_381:                            ;   in Loop: Header=BB293_350 Depth=2
	s_waitcnt vmcnt(0)
	v_xor_b32_e32 v0, 0x7f, v12
	v_lshrrev_b32_sdwa v0, s69, v0 dst_sel:DWORD dst_unused:UNUSED_PAD src0_sel:DWORD src1_sel:BYTE_0
	v_and_b32_e32 v0, s77, v0
	v_lshlrev_b32_e32 v1, 2, v27
	v_lshl_or_b32 v0, v0, 4, v1
	ds_add_u32 v0, v63
	s_branch .LBB293_349
.LBB293_382:                            ;   in Loop: Header=BB293_350 Depth=2
	s_or_b64 exec, exec, s[18:19]
	v_cmp_gt_u32_e32 vcc, s20, v24
	s_and_saveexec_b64 s[18:19], vcc
	s_cbranch_execz .LBB293_356
.LBB293_383:                            ;   in Loop: Header=BB293_350 Depth=2
	v_mov_b32_e32 v1, s24
	v_add_co_u32_e32 v0, vcc, s23, v2
	v_addc_co_u32_e32 v1, vcc, 0, v1, vcc
	global_load_ubyte v6, v[0:1], off offset:256
	s_or_b64 exec, exec, s[18:19]
	v_cmp_gt_u32_e32 vcc, s20, v25
	s_and_saveexec_b64 s[18:19], vcc
	s_cbranch_execnz .LBB293_357
.LBB293_384:                            ;   in Loop: Header=BB293_350 Depth=2
	s_or_b64 exec, exec, s[18:19]
	v_cmp_gt_u32_e32 vcc, s20, v26
	s_and_saveexec_b64 s[18:19], vcc
	s_cbranch_execz .LBB293_358
.LBB293_385:                            ;   in Loop: Header=BB293_350 Depth=2
	v_mov_b32_e32 v1, s24
	v_add_co_u32_e32 v0, vcc, s23, v2
	v_addc_co_u32_e32 v1, vcc, 0, v1, vcc
	global_load_ubyte v8, v[0:1], off offset:768
	s_or_b64 exec, exec, s[18:19]
	v_cmp_gt_u32_e32 vcc, s20, v30
	s_and_saveexec_b64 s[18:19], vcc
	s_cbranch_execnz .LBB293_359
.LBB293_386:                            ;   in Loop: Header=BB293_350 Depth=2
	s_or_b64 exec, exec, s[18:19]
	v_cmp_gt_u32_e32 vcc, s20, v31
	s_and_saveexec_b64 s[18:19], vcc
	s_cbranch_execz .LBB293_360
.LBB293_387:                            ;   in Loop: Header=BB293_350 Depth=2
	v_mov_b32_e32 v1, s24
	v_add_co_u32_e32 v0, vcc, s23, v2
	v_addc_co_u32_e32 v1, vcc, 0, v1, vcc
	global_load_ubyte v10, v[0:1], off offset:1280
	s_or_b64 exec, exec, s[18:19]
	v_cmp_gt_u32_e32 vcc, s20, v32
	s_and_saveexec_b64 s[18:19], vcc
	s_cbranch_execz .LBB293_362
	s_branch .LBB293_361
.LBB293_388:                            ;   in Loop: Header=BB293_12 Depth=1
	v_mov_b32_e32 v0, 0
	s_waitcnt lgkmcnt(0)
	s_barrier
	s_and_saveexec_b64 s[16:17], s[4:5]
	s_cbranch_execz .LBB293_390
; %bb.389:                              ;   in Loop: Header=BB293_12 Depth=1
	ds_read2_b64 v[6:9], v34 offset1:1
	s_waitcnt lgkmcnt(0)
	v_add_u32_e32 v0, v7, v6
	v_add3_u32 v0, v0, v8, v9
.LBB293_390:                            ;   in Loop: Header=BB293_12 Depth=1
	s_or_b64 exec, exec, s[16:17]
	v_and_b32_e32 v1, 15, v64
	v_mov_b32_dpp v5, v0 row_shr:1 row_mask:0xf bank_mask:0xf
	v_cmp_eq_u32_e64 s[16:17], 0, v1
	v_cndmask_b32_e64 v5, v5, 0, s[16:17]
	v_add_u32_e32 v0, v5, v0
	v_cmp_lt_u32_e64 s[18:19], 1, v1
	v_cmp_lt_u32_e64 s[20:21], 3, v1
	v_mov_b32_dpp v5, v0 row_shr:2 row_mask:0xf bank_mask:0xf
	v_cndmask_b32_e64 v5, 0, v5, s[18:19]
	v_add_u32_e32 v0, v0, v5
	v_cmp_lt_u32_e64 s[22:23], 7, v1
	v_cmp_lt_u32_e64 s[26:27], 31, v64
	v_mov_b32_dpp v5, v0 row_shr:4 row_mask:0xf bank_mask:0xf
	v_cndmask_b32_e64 v5, 0, v5, s[20:21]
	v_add_u32_e32 v0, v0, v5
	v_and_b32_e32 v6, 16, v64
	v_cmp_eq_u32_e64 s[24:25], 0, v6
	v_mov_b32_dpp v5, v0 row_shr:8 row_mask:0xf bank_mask:0xf
	v_cndmask_b32_e64 v1, 0, v5, s[22:23]
	v_add_u32_e32 v0, v0, v1
	v_bfe_i32 v5, v64, 4, 1
	s_nop 0
	v_mov_b32_dpp v1, v0 row_bcast:15 row_mask:0xf bank_mask:0xf
	v_and_b32_e32 v1, v5, v1
	v_add_u32_e32 v0, v0, v1
	s_nop 1
	v_mov_b32_dpp v1, v0 row_bcast:31 row_mask:0xf bank_mask:0xf
	v_cndmask_b32_e64 v1, 0, v1, s[26:27]
	v_add_u32_e32 v1, v0, v1
	s_and_saveexec_b64 s[28:29], s[6:7]
	s_cbranch_execz .LBB293_392
; %bb.391:                              ;   in Loop: Header=BB293_12 Depth=1
	ds_write_b32 v36, v1
.LBB293_392:                            ;   in Loop: Header=BB293_12 Depth=1
	s_or_b64 exec, exec, s[28:29]
	v_and_b32_e32 v0, 3, v64
	s_waitcnt lgkmcnt(0)
	s_barrier
	s_and_saveexec_b64 s[28:29], s[8:9]
	s_cbranch_execz .LBB293_394
; %bb.393:                              ;   in Loop: Header=BB293_12 Depth=1
	ds_read_b32 v5, v37
	v_cmp_ne_u32_e32 vcc, 0, v0
	s_waitcnt lgkmcnt(0)
	v_mov_b32_dpp v6, v5 row_shr:1 row_mask:0xf bank_mask:0xf
	v_cndmask_b32_e32 v6, 0, v6, vcc
	v_add_u32_e32 v5, v6, v5
	v_cmp_lt_u32_e32 vcc, 1, v0
	s_nop 0
	v_mov_b32_dpp v6, v5 row_shr:2 row_mask:0xf bank_mask:0xf
	v_cndmask_b32_e32 v6, 0, v6, vcc
	v_add_u32_e32 v5, v5, v6
	ds_write_b32 v37, v5
.LBB293_394:                            ;   in Loop: Header=BB293_12 Depth=1
	s_or_b64 exec, exec, s[28:29]
	v_mov_b32_e32 v5, 0
	s_waitcnt lgkmcnt(0)
	s_barrier
	s_and_saveexec_b64 s[28:29], s[10:11]
	s_cbranch_execz .LBB293_396
; %bb.395:                              ;   in Loop: Header=BB293_12 Depth=1
	ds_read_b32 v5, v38
.LBB293_396:                            ;   in Loop: Header=BB293_12 Depth=1
	s_or_b64 exec, exec, s[28:29]
	v_add_u32_e32 v6, -1, v64
	v_and_b32_e32 v7, 64, v64
	v_cmp_lt_i32_e32 vcc, v6, v7
	v_cndmask_b32_e32 v6, v6, v64, vcc
	s_waitcnt lgkmcnt(0)
	v_add_u32_e32 v1, v5, v1
	v_lshlrev_b32_e32 v65, 2, v6
	ds_bpermute_b32 v1, v65, v1
	v_cmp_eq_u32_e64 s[28:29], 0, v64
	s_waitcnt lgkmcnt(0)
	s_barrier
	s_and_saveexec_b64 s[30:31], s[4:5]
	s_cbranch_execz .LBB293_398
; %bb.397:                              ;   in Loop: Header=BB293_12 Depth=1
	v_cndmask_b32_e64 v1, v1, v5, s[28:29]
	v_add_u32_e32 v1, s51, v1
	ds_write_b32 v3, v1
.LBB293_398:                            ;   in Loop: Header=BB293_12 Depth=1
	s_or_b64 exec, exec, s[30:31]
	s_load_dwordx2 s[30:31], s[74:75], 0x0
	v_and_b32_e32 v21, 63, v64
	v_add_co_u32_e32 v74, vcc, v61, v21
	v_lshlrev_b32_e32 v22, 3, v21
	s_waitcnt lgkmcnt(0)
	s_cmp_lt_u32 s50, s30
	s_cselect_b32 s34, 12, 18
	s_cmp_lt_u32 s33, s31
	s_cselect_b32 s30, 14, 20
	s_add_u32 s30, s74, s30
	s_addc_u32 s31, s75, 0
	s_add_u32 s34, s74, s34
	global_load_ushort v5, v4, s[30:31]
	s_addc_u32 s35, s75, 0
	global_load_ushort v20, v4, s[34:35]
	v_addc_co_u32_e32 v76, vcc, 0, v62, vcc
	v_add_co_u32_e32 v77, vcc, v59, v22
	v_addc_co_u32_e32 v78, vcc, 0, v60, vcc
	v_or_b32_e32 v72, v21, v39
	v_add_co_u32_e32 v86, vcc, 0x1c0, v74
	v_cmp_eq_u32_e64 s[30:31], 0, v0
	v_cmp_lt_u32_e64 s[34:35], 1, v0
	s_mov_b32 s78, s71
	v_or_b32_e32 v79, 64, v72
	v_or_b32_e32 v80, 0x80, v72
	;; [unrolled: 1-line block ×7, first 2 shown]
	v_addc_co_u32_e32 v87, vcc, 0, v76, vcc
	s_mov_b32 s72, s51
                                        ; implicit-def: $vgpr0_vgpr1
                                        ; implicit-def: $vgpr6_vgpr7
                                        ; implicit-def: $vgpr8_vgpr9
                                        ; implicit-def: $vgpr10_vgpr11
                                        ; implicit-def: $vgpr12_vgpr13
                                        ; implicit-def: $vgpr14_vgpr15
                                        ; implicit-def: $vgpr16_vgpr17
                                        ; implicit-def: $vgpr18_vgpr19
                                        ; implicit-def: $vgpr66
                                        ; implicit-def: $vgpr67
                                        ; implicit-def: $vgpr68
                                        ; implicit-def: $vgpr69
                                        ; implicit-def: $vgpr70
                                        ; implicit-def: $vgpr71
                                        ; implicit-def: $vgpr73
                                        ; implicit-def: $vgpr75
	s_waitcnt vmcnt(1)
	v_mad_u32_u24 v5, v40, v5, v41
	s_waitcnt vmcnt(0)
	v_mad_u64_u32 v[20:21], s[36:37], v5, v20, v[2:3]
	v_lshrrev_b32_e32 v88, 6, v20
	s_branch .LBB293_400
.LBB293_399:                            ;   in Loop: Header=BB293_400 Depth=2
	s_or_b64 exec, exec, s[36:37]
	s_addk_i32 s78, 0xf800
	s_cmp_lt_u32 s79, s76
	s_mov_b32 s72, s79
	s_cbranch_scc0 .LBB293_512
.LBB293_400:                            ;   Parent Loop BB293_12 Depth=1
                                        ; =>  This Inner Loop Header: Depth=2
	s_add_i32 s79, s72, 0x800
	s_cmp_gt_u32 s79, s76
	s_cbranch_scc1 .LBB293_403
; %bb.401:                              ;   in Loop: Header=BB293_400 Depth=2
	v_add_co_u32_e32 v20, vcc, s72, v74
	v_addc_co_u32_e32 v21, vcc, 0, v76, vcc
	global_load_ubyte v23, v[20:21], off offset:384
	global_load_ubyte v91, v[20:21], off offset:320
	;; [unrolled: 1-line block ×6, first 2 shown]
	global_load_ubyte v5, v[20:21], off
	s_mov_b64 s[36:37], -1
	s_movk_i32 s40, 0x800
	s_cbranch_execz .LBB293_404
; %bb.402:                              ;   in Loop: Header=BB293_400 Depth=2
                                        ; implicit-def: $vgpr22
	v_mov_b32_e32 v89, s78
	s_and_saveexec_b64 s[38:39], s[36:37]
	s_cbranch_execnz .LBB293_413
	s_branch .LBB293_414
.LBB293_403:                            ;   in Loop: Header=BB293_400 Depth=2
	s_mov_b64 s[36:37], 0
                                        ; implicit-def: $sgpr40
                                        ; implicit-def: $vgpr5
                                        ; implicit-def: $vgpr94
                                        ; implicit-def: $vgpr99
                                        ; implicit-def: $vgpr101
                                        ; implicit-def: $vgpr96
                                        ; implicit-def: $vgpr91
                                        ; implicit-def: $vgpr23
.LBB293_404:                            ;   in Loop: Header=BB293_400 Depth=2
	v_add_co_u32_e32 v20, vcc, s72, v74
	v_addc_co_u32_e32 v21, vcc, 0, v76, vcc
	v_cmp_gt_u32_e32 vcc, s78, v72
	s_waitcnt vmcnt(0)
	v_mov_b32_e32 v5, 0x80
	v_mov_b32_e32 v22, 0x80
	;; [unrolled: 1-line block ×8, first 2 shown]
	s_and_saveexec_b64 s[36:37], vcc
	s_cbranch_execz .LBB293_506
; %bb.405:                              ;   in Loop: Header=BB293_400 Depth=2
	global_load_ubyte v5, v[20:21], off
	v_mov_b32_e32 v94, 0x80
	v_mov_b32_e32 v99, 0x80
	;; [unrolled: 1-line block ×7, first 2 shown]
	s_or_b64 exec, exec, s[36:37]
	v_cmp_gt_u32_e32 vcc, s78, v79
	s_and_saveexec_b64 s[36:37], vcc
	s_cbranch_execnz .LBB293_507
.LBB293_406:                            ;   in Loop: Header=BB293_400 Depth=2
	s_or_b64 exec, exec, s[36:37]
	v_cmp_gt_u32_e32 vcc, s78, v80
	s_and_saveexec_b64 s[36:37], vcc
	s_cbranch_execz .LBB293_508
.LBB293_407:                            ;   in Loop: Header=BB293_400 Depth=2
	global_load_ubyte v99, v[20:21], off offset:128
	s_or_b64 exec, exec, s[36:37]
	v_cmp_gt_u32_e32 vcc, s78, v81
	s_and_saveexec_b64 s[36:37], vcc
	s_cbranch_execnz .LBB293_509
.LBB293_408:                            ;   in Loop: Header=BB293_400 Depth=2
	s_or_b64 exec, exec, s[36:37]
	v_cmp_gt_u32_e32 vcc, s78, v82
	s_and_saveexec_b64 s[36:37], vcc
	s_cbranch_execz .LBB293_510
.LBB293_409:                            ;   in Loop: Header=BB293_400 Depth=2
	global_load_ubyte v96, v[20:21], off offset:256
	s_or_b64 exec, exec, s[36:37]
	v_cmp_gt_u32_e32 vcc, s78, v83
	s_and_saveexec_b64 s[36:37], vcc
	s_cbranch_execnz .LBB293_511
.LBB293_410:                            ;   in Loop: Header=BB293_400 Depth=2
	s_or_b64 exec, exec, s[36:37]
	v_cmp_gt_u32_e32 vcc, s78, v84
	s_and_saveexec_b64 s[36:37], vcc
	s_cbranch_execz .LBB293_412
.LBB293_411:                            ;   in Loop: Header=BB293_400 Depth=2
	global_load_ubyte v23, v[20:21], off offset:384
.LBB293_412:                            ;   in Loop: Header=BB293_400 Depth=2
	s_or_b64 exec, exec, s[36:37]
	s_sub_i32 s40, s76, s72
	v_cmp_gt_u32_e64 s[36:37], s78, v85
	v_mov_b32_e32 v89, s78
	s_and_saveexec_b64 s[38:39], s[36:37]
	s_cbranch_execz .LBB293_414
.LBB293_413:                            ;   in Loop: Header=BB293_400 Depth=2
	v_mov_b32_e32 v21, s73
	v_add_co_u32_e32 v20, vcc, s72, v86
	v_addc_co_u32_e32 v21, vcc, v87, v21, vcc
	global_load_ubyte v22, v[20:21], off
	v_mov_b32_e32 v89, s40
.LBB293_414:                            ;   in Loop: Header=BB293_400 Depth=2
	s_or_b64 exec, exec, s[38:39]
	s_waitcnt vmcnt(0)
	v_xor_b32_e32 v90, 0x7f, v5
	v_add_u32_e32 v5, 0x410, v42
	ds_write2_b32 v5, v4, v4 offset1:1
	ds_write2_b32 v44, v4, v4 offset0:2 offset1:3
	ds_write_b32 v44, v4 offset:16
	v_lshrrev_b32_sdwa v5, s69, v90 dst_sel:DWORD dst_unused:UNUSED_PAD src0_sel:DWORD src1_sel:BYTE_0
	v_and_b32_e32 v20, s77, v5
	v_mad_u32_u24 v5, v20, 5, v88
	v_lshl_add_u32 v92, v5, 2, v43
	v_and_b32_e32 v5, 1, v20
	v_add_co_u32_e32 v21, vcc, -1, v5
	v_addc_co_u32_e64 v93, s[36:37], 0, -1, vcc
	v_cmp_ne_u32_e32 vcc, 0, v5
	v_xor_b32_e32 v5, vcc_hi, v93
	v_and_b32_e32 v93, exec_hi, v5
	v_lshlrev_b32_e32 v5, 30, v20
	v_xor_b32_e32 v21, vcc_lo, v21
	v_cmp_gt_i64_e32 vcc, 0, v[4:5]
	v_not_b32_e32 v5, v5
	v_ashrrev_i32_e32 v5, 31, v5
	v_and_b32_e32 v21, exec_lo, v21
	v_xor_b32_e32 v95, vcc_hi, v5
	v_xor_b32_e32 v5, vcc_lo, v5
	v_and_b32_e32 v21, v21, v5
	v_lshlrev_b32_e32 v5, 29, v20
	v_cmp_gt_i64_e32 vcc, 0, v[4:5]
	v_not_b32_e32 v5, v5
	v_ashrrev_i32_e32 v5, 31, v5
	v_and_b32_e32 v93, v93, v95
	v_xor_b32_e32 v95, vcc_hi, v5
	v_xor_b32_e32 v5, vcc_lo, v5
	v_and_b32_e32 v21, v21, v5
	v_lshlrev_b32_e32 v5, 28, v20
	v_cmp_gt_i64_e32 vcc, 0, v[4:5]
	v_not_b32_e32 v5, v5
	v_ashrrev_i32_e32 v5, 31, v5
	v_and_b32_e32 v93, v93, v95
	;; [unrolled: 8-line block ×5, first 2 shown]
	v_xor_b32_e32 v95, vcc_hi, v5
	v_xor_b32_e32 v5, vcc_lo, v5
	v_and_b32_e32 v93, v93, v95
	v_and_b32_e32 v95, v21, v5
	v_lshlrev_b32_e32 v5, 24, v20
	v_cmp_gt_i64_e32 vcc, 0, v[4:5]
	v_not_b32_e32 v5, v5
	v_ashrrev_i32_e32 v5, 31, v5
	v_xor_b32_e32 v20, vcc_hi, v5
	v_xor_b32_e32 v5, vcc_lo, v5
	v_and_b32_e32 v21, v93, v20
	v_and_b32_e32 v20, v95, v5
	v_mbcnt_lo_u32_b32 v5, v20, 0
	v_mbcnt_hi_u32_b32 v93, v21, v5
	v_cmp_eq_u32_e32 vcc, 0, v93
	v_cmp_ne_u64_e64 s[36:37], 0, v[20:21]
	s_and_b64 s[38:39], s[36:37], vcc
	s_waitcnt lgkmcnt(0)
	s_barrier
	s_waitcnt lgkmcnt(0)
	; wave barrier
	s_and_saveexec_b64 s[36:37], s[38:39]
	s_cbranch_execz .LBB293_416
; %bb.415:                              ;   in Loop: Header=BB293_400 Depth=2
	v_bcnt_u32_b32 v5, v20, 0
	v_bcnt_u32_b32 v5, v21, v5
	ds_write_b32 v92, v5
.LBB293_416:                            ;   in Loop: Header=BB293_400 Depth=2
	s_or_b64 exec, exec, s[36:37]
	v_xor_b32_e32 v94, 0x7f, v94
	v_lshrrev_b32_sdwa v5, s69, v94 dst_sel:DWORD dst_unused:UNUSED_PAD src0_sel:DWORD src1_sel:BYTE_0
	v_and_b32_e32 v20, s77, v5
	v_mul_u32_u24_e32 v5, 5, v20
	v_add_lshl_u32 v5, v5, v88, 2
	; wave barrier
	v_add_u32_e32 v97, 0x410, v5
	ds_read_b32 v95, v5 offset:1040
	v_and_b32_e32 v5, 1, v20
	v_add_co_u32_e32 v21, vcc, -1, v5
	v_addc_co_u32_e64 v98, s[36:37], 0, -1, vcc
	v_cmp_ne_u32_e32 vcc, 0, v5
	v_xor_b32_e32 v5, vcc_hi, v98
	v_and_b32_e32 v98, exec_hi, v5
	v_lshlrev_b32_e32 v5, 30, v20
	v_xor_b32_e32 v21, vcc_lo, v21
	v_cmp_gt_i64_e32 vcc, 0, v[4:5]
	v_not_b32_e32 v5, v5
	v_ashrrev_i32_e32 v5, 31, v5
	v_and_b32_e32 v21, exec_lo, v21
	v_xor_b32_e32 v100, vcc_hi, v5
	v_xor_b32_e32 v5, vcc_lo, v5
	v_and_b32_e32 v21, v21, v5
	v_lshlrev_b32_e32 v5, 29, v20
	v_cmp_gt_i64_e32 vcc, 0, v[4:5]
	v_not_b32_e32 v5, v5
	v_ashrrev_i32_e32 v5, 31, v5
	v_and_b32_e32 v98, v98, v100
	v_xor_b32_e32 v100, vcc_hi, v5
	v_xor_b32_e32 v5, vcc_lo, v5
	v_and_b32_e32 v21, v21, v5
	v_lshlrev_b32_e32 v5, 28, v20
	v_cmp_gt_i64_e32 vcc, 0, v[4:5]
	v_not_b32_e32 v5, v5
	v_ashrrev_i32_e32 v5, 31, v5
	v_and_b32_e32 v98, v98, v100
	;; [unrolled: 8-line block ×5, first 2 shown]
	v_xor_b32_e32 v100, vcc_hi, v5
	v_xor_b32_e32 v5, vcc_lo, v5
	v_and_b32_e32 v98, v98, v100
	v_and_b32_e32 v100, v21, v5
	v_lshlrev_b32_e32 v5, 24, v20
	v_cmp_gt_i64_e32 vcc, 0, v[4:5]
	v_not_b32_e32 v5, v5
	v_ashrrev_i32_e32 v5, 31, v5
	v_xor_b32_e32 v20, vcc_hi, v5
	v_xor_b32_e32 v5, vcc_lo, v5
	v_and_b32_e32 v21, v98, v20
	v_and_b32_e32 v20, v100, v5
	v_mbcnt_lo_u32_b32 v5, v20, 0
	v_mbcnt_hi_u32_b32 v98, v21, v5
	v_cmp_eq_u32_e32 vcc, 0, v98
	v_cmp_ne_u64_e64 s[36:37], 0, v[20:21]
	s_and_b64 s[38:39], s[36:37], vcc
	; wave barrier
	s_and_saveexec_b64 s[36:37], s[38:39]
	s_cbranch_execz .LBB293_418
; %bb.417:                              ;   in Loop: Header=BB293_400 Depth=2
	v_bcnt_u32_b32 v5, v20, 0
	v_bcnt_u32_b32 v5, v21, v5
	s_waitcnt lgkmcnt(0)
	v_add_u32_e32 v5, v95, v5
	ds_write_b32 v97, v5
.LBB293_418:                            ;   in Loop: Header=BB293_400 Depth=2
	s_or_b64 exec, exec, s[36:37]
	v_xor_b32_e32 v99, 0x7f, v99
	v_lshrrev_b32_sdwa v5, s69, v99 dst_sel:DWORD dst_unused:UNUSED_PAD src0_sel:DWORD src1_sel:BYTE_0
	v_and_b32_e32 v20, s77, v5
	v_mul_u32_u24_e32 v5, 5, v20
	v_add_lshl_u32 v5, v5, v88, 2
	; wave barrier
	v_add_u32_e32 v102, 0x410, v5
	ds_read_b32 v100, v5 offset:1040
	v_and_b32_e32 v5, 1, v20
	v_add_co_u32_e32 v21, vcc, -1, v5
	v_addc_co_u32_e64 v103, s[36:37], 0, -1, vcc
	v_cmp_ne_u32_e32 vcc, 0, v5
	v_xor_b32_e32 v5, vcc_hi, v103
	v_and_b32_e32 v103, exec_hi, v5
	v_lshlrev_b32_e32 v5, 30, v20
	v_xor_b32_e32 v21, vcc_lo, v21
	v_cmp_gt_i64_e32 vcc, 0, v[4:5]
	v_not_b32_e32 v5, v5
	v_ashrrev_i32_e32 v5, 31, v5
	v_and_b32_e32 v21, exec_lo, v21
	v_xor_b32_e32 v104, vcc_hi, v5
	v_xor_b32_e32 v5, vcc_lo, v5
	v_and_b32_e32 v21, v21, v5
	v_lshlrev_b32_e32 v5, 29, v20
	v_cmp_gt_i64_e32 vcc, 0, v[4:5]
	v_not_b32_e32 v5, v5
	v_ashrrev_i32_e32 v5, 31, v5
	v_and_b32_e32 v103, v103, v104
	v_xor_b32_e32 v104, vcc_hi, v5
	v_xor_b32_e32 v5, vcc_lo, v5
	v_and_b32_e32 v21, v21, v5
	v_lshlrev_b32_e32 v5, 28, v20
	v_cmp_gt_i64_e32 vcc, 0, v[4:5]
	v_not_b32_e32 v5, v5
	v_ashrrev_i32_e32 v5, 31, v5
	v_and_b32_e32 v103, v103, v104
	v_xor_b32_e32 v104, vcc_hi, v5
	v_xor_b32_e32 v5, vcc_lo, v5
	v_and_b32_e32 v21, v21, v5
	v_lshlrev_b32_e32 v5, 27, v20
	v_cmp_gt_i64_e32 vcc, 0, v[4:5]
	v_not_b32_e32 v5, v5
	v_ashrrev_i32_e32 v5, 31, v5
	v_and_b32_e32 v103, v103, v104
	v_xor_b32_e32 v104, vcc_hi, v5
	v_xor_b32_e32 v5, vcc_lo, v5
	v_and_b32_e32 v21, v21, v5
	v_lshlrev_b32_e32 v5, 26, v20
	v_cmp_gt_i64_e32 vcc, 0, v[4:5]
	v_not_b32_e32 v5, v5
	v_ashrrev_i32_e32 v5, 31, v5
	v_and_b32_e32 v103, v103, v104
	v_xor_b32_e32 v104, vcc_hi, v5
	v_xor_b32_e32 v5, vcc_lo, v5
	v_and_b32_e32 v21, v21, v5
	v_lshlrev_b32_e32 v5, 25, v20
	v_cmp_gt_i64_e32 vcc, 0, v[4:5]
	v_not_b32_e32 v5, v5
	v_ashrrev_i32_e32 v5, 31, v5
	v_and_b32_e32 v103, v103, v104
	v_xor_b32_e32 v104, vcc_hi, v5
	v_xor_b32_e32 v5, vcc_lo, v5
	v_and_b32_e32 v103, v103, v104
	v_and_b32_e32 v104, v21, v5
	v_lshlrev_b32_e32 v5, 24, v20
	v_cmp_gt_i64_e32 vcc, 0, v[4:5]
	v_not_b32_e32 v5, v5
	v_ashrrev_i32_e32 v5, 31, v5
	v_xor_b32_e32 v20, vcc_hi, v5
	v_xor_b32_e32 v5, vcc_lo, v5
	v_and_b32_e32 v21, v103, v20
	v_and_b32_e32 v20, v104, v5
	v_mbcnt_lo_u32_b32 v5, v20, 0
	v_mbcnt_hi_u32_b32 v103, v21, v5
	v_cmp_eq_u32_e32 vcc, 0, v103
	v_cmp_ne_u64_e64 s[36:37], 0, v[20:21]
	s_and_b64 s[38:39], s[36:37], vcc
	; wave barrier
	s_and_saveexec_b64 s[36:37], s[38:39]
	s_cbranch_execz .LBB293_420
; %bb.419:                              ;   in Loop: Header=BB293_400 Depth=2
	v_bcnt_u32_b32 v5, v20, 0
	v_bcnt_u32_b32 v5, v21, v5
	s_waitcnt lgkmcnt(0)
	v_add_u32_e32 v5, v100, v5
	ds_write_b32 v102, v5
.LBB293_420:                            ;   in Loop: Header=BB293_400 Depth=2
	s_or_b64 exec, exec, s[36:37]
	v_xor_b32_e32 v101, 0x7f, v101
	v_lshrrev_b32_sdwa v5, s69, v101 dst_sel:DWORD dst_unused:UNUSED_PAD src0_sel:DWORD src1_sel:BYTE_0
	v_and_b32_e32 v20, s77, v5
	v_mul_u32_u24_e32 v5, 5, v20
	v_add_lshl_u32 v5, v5, v88, 2
	; wave barrier
	v_add_u32_e32 v105, 0x410, v5
	ds_read_b32 v104, v5 offset:1040
	v_and_b32_e32 v5, 1, v20
	v_add_co_u32_e32 v21, vcc, -1, v5
	v_addc_co_u32_e64 v106, s[36:37], 0, -1, vcc
	v_cmp_ne_u32_e32 vcc, 0, v5
	v_xor_b32_e32 v5, vcc_hi, v106
	v_and_b32_e32 v106, exec_hi, v5
	v_lshlrev_b32_e32 v5, 30, v20
	v_xor_b32_e32 v21, vcc_lo, v21
	v_cmp_gt_i64_e32 vcc, 0, v[4:5]
	v_not_b32_e32 v5, v5
	v_ashrrev_i32_e32 v5, 31, v5
	v_and_b32_e32 v21, exec_lo, v21
	v_xor_b32_e32 v107, vcc_hi, v5
	v_xor_b32_e32 v5, vcc_lo, v5
	v_and_b32_e32 v21, v21, v5
	v_lshlrev_b32_e32 v5, 29, v20
	v_cmp_gt_i64_e32 vcc, 0, v[4:5]
	v_not_b32_e32 v5, v5
	v_ashrrev_i32_e32 v5, 31, v5
	v_and_b32_e32 v106, v106, v107
	v_xor_b32_e32 v107, vcc_hi, v5
	v_xor_b32_e32 v5, vcc_lo, v5
	v_and_b32_e32 v21, v21, v5
	v_lshlrev_b32_e32 v5, 28, v20
	v_cmp_gt_i64_e32 vcc, 0, v[4:5]
	v_not_b32_e32 v5, v5
	v_ashrrev_i32_e32 v5, 31, v5
	v_and_b32_e32 v106, v106, v107
	v_xor_b32_e32 v107, vcc_hi, v5
	v_xor_b32_e32 v5, vcc_lo, v5
	v_and_b32_e32 v21, v21, v5
	v_lshlrev_b32_e32 v5, 27, v20
	v_cmp_gt_i64_e32 vcc, 0, v[4:5]
	v_not_b32_e32 v5, v5
	v_ashrrev_i32_e32 v5, 31, v5
	v_and_b32_e32 v106, v106, v107
	v_xor_b32_e32 v107, vcc_hi, v5
	v_xor_b32_e32 v5, vcc_lo, v5
	v_and_b32_e32 v21, v21, v5
	v_lshlrev_b32_e32 v5, 26, v20
	v_cmp_gt_i64_e32 vcc, 0, v[4:5]
	v_not_b32_e32 v5, v5
	v_ashrrev_i32_e32 v5, 31, v5
	v_and_b32_e32 v106, v106, v107
	v_xor_b32_e32 v107, vcc_hi, v5
	v_xor_b32_e32 v5, vcc_lo, v5
	v_and_b32_e32 v21, v21, v5
	v_lshlrev_b32_e32 v5, 25, v20
	v_cmp_gt_i64_e32 vcc, 0, v[4:5]
	v_not_b32_e32 v5, v5
	v_ashrrev_i32_e32 v5, 31, v5
	v_and_b32_e32 v106, v106, v107
	v_xor_b32_e32 v107, vcc_hi, v5
	v_xor_b32_e32 v5, vcc_lo, v5
	v_and_b32_e32 v106, v106, v107
	v_and_b32_e32 v107, v21, v5
	v_lshlrev_b32_e32 v5, 24, v20
	v_cmp_gt_i64_e32 vcc, 0, v[4:5]
	v_not_b32_e32 v5, v5
	v_ashrrev_i32_e32 v5, 31, v5
	v_xor_b32_e32 v20, vcc_hi, v5
	v_xor_b32_e32 v5, vcc_lo, v5
	v_and_b32_e32 v21, v106, v20
	v_and_b32_e32 v20, v107, v5
	v_mbcnt_lo_u32_b32 v5, v20, 0
	v_mbcnt_hi_u32_b32 v106, v21, v5
	v_cmp_eq_u32_e32 vcc, 0, v106
	v_cmp_ne_u64_e64 s[36:37], 0, v[20:21]
	s_and_b64 s[38:39], s[36:37], vcc
	; wave barrier
	s_and_saveexec_b64 s[36:37], s[38:39]
	s_cbranch_execz .LBB293_422
; %bb.421:                              ;   in Loop: Header=BB293_400 Depth=2
	v_bcnt_u32_b32 v5, v20, 0
	v_bcnt_u32_b32 v5, v21, v5
	s_waitcnt lgkmcnt(0)
	v_add_u32_e32 v5, v104, v5
	ds_write_b32 v105, v5
.LBB293_422:                            ;   in Loop: Header=BB293_400 Depth=2
	s_or_b64 exec, exec, s[36:37]
	v_xor_b32_e32 v96, 0x7f, v96
	v_lshrrev_b32_sdwa v5, s69, v96 dst_sel:DWORD dst_unused:UNUSED_PAD src0_sel:DWORD src1_sel:BYTE_0
	v_and_b32_e32 v20, s77, v5
	v_mul_u32_u24_e32 v5, 5, v20
	v_add_lshl_u32 v5, v5, v88, 2
	; wave barrier
	v_add_u32_e32 v108, 0x410, v5
	ds_read_b32 v107, v5 offset:1040
	v_and_b32_e32 v5, 1, v20
	v_add_co_u32_e32 v21, vcc, -1, v5
	v_addc_co_u32_e64 v109, s[36:37], 0, -1, vcc
	v_cmp_ne_u32_e32 vcc, 0, v5
	v_xor_b32_e32 v5, vcc_hi, v109
	v_and_b32_e32 v109, exec_hi, v5
	v_lshlrev_b32_e32 v5, 30, v20
	v_xor_b32_e32 v21, vcc_lo, v21
	v_cmp_gt_i64_e32 vcc, 0, v[4:5]
	v_not_b32_e32 v5, v5
	v_ashrrev_i32_e32 v5, 31, v5
	v_and_b32_e32 v21, exec_lo, v21
	v_xor_b32_e32 v110, vcc_hi, v5
	v_xor_b32_e32 v5, vcc_lo, v5
	v_and_b32_e32 v21, v21, v5
	v_lshlrev_b32_e32 v5, 29, v20
	v_cmp_gt_i64_e32 vcc, 0, v[4:5]
	v_not_b32_e32 v5, v5
	v_ashrrev_i32_e32 v5, 31, v5
	v_and_b32_e32 v109, v109, v110
	v_xor_b32_e32 v110, vcc_hi, v5
	v_xor_b32_e32 v5, vcc_lo, v5
	v_and_b32_e32 v21, v21, v5
	v_lshlrev_b32_e32 v5, 28, v20
	v_cmp_gt_i64_e32 vcc, 0, v[4:5]
	v_not_b32_e32 v5, v5
	v_ashrrev_i32_e32 v5, 31, v5
	v_and_b32_e32 v109, v109, v110
	;; [unrolled: 8-line block ×5, first 2 shown]
	v_xor_b32_e32 v110, vcc_hi, v5
	v_xor_b32_e32 v5, vcc_lo, v5
	v_and_b32_e32 v109, v109, v110
	v_and_b32_e32 v110, v21, v5
	v_lshlrev_b32_e32 v5, 24, v20
	v_cmp_gt_i64_e32 vcc, 0, v[4:5]
	v_not_b32_e32 v5, v5
	v_ashrrev_i32_e32 v5, 31, v5
	v_xor_b32_e32 v20, vcc_hi, v5
	v_xor_b32_e32 v5, vcc_lo, v5
	v_and_b32_e32 v21, v109, v20
	v_and_b32_e32 v20, v110, v5
	v_mbcnt_lo_u32_b32 v5, v20, 0
	v_mbcnt_hi_u32_b32 v109, v21, v5
	v_cmp_eq_u32_e32 vcc, 0, v109
	v_cmp_ne_u64_e64 s[36:37], 0, v[20:21]
	s_and_b64 s[38:39], s[36:37], vcc
	; wave barrier
	s_and_saveexec_b64 s[36:37], s[38:39]
	s_cbranch_execz .LBB293_424
; %bb.423:                              ;   in Loop: Header=BB293_400 Depth=2
	v_bcnt_u32_b32 v5, v20, 0
	v_bcnt_u32_b32 v5, v21, v5
	s_waitcnt lgkmcnt(0)
	v_add_u32_e32 v5, v107, v5
	ds_write_b32 v108, v5
.LBB293_424:                            ;   in Loop: Header=BB293_400 Depth=2
	s_or_b64 exec, exec, s[36:37]
	v_xor_b32_e32 v91, 0x7f, v91
	v_lshrrev_b32_sdwa v5, s69, v91 dst_sel:DWORD dst_unused:UNUSED_PAD src0_sel:DWORD src1_sel:BYTE_0
	v_and_b32_e32 v20, s77, v5
	v_mul_u32_u24_e32 v5, 5, v20
	v_add_lshl_u32 v5, v5, v88, 2
	; wave barrier
	v_add_u32_e32 v111, 0x410, v5
	ds_read_b32 v110, v5 offset:1040
	v_and_b32_e32 v5, 1, v20
	v_add_co_u32_e32 v21, vcc, -1, v5
	v_addc_co_u32_e64 v112, s[36:37], 0, -1, vcc
	v_cmp_ne_u32_e32 vcc, 0, v5
	v_xor_b32_e32 v5, vcc_hi, v112
	v_and_b32_e32 v112, exec_hi, v5
	v_lshlrev_b32_e32 v5, 30, v20
	v_xor_b32_e32 v21, vcc_lo, v21
	v_cmp_gt_i64_e32 vcc, 0, v[4:5]
	v_not_b32_e32 v5, v5
	v_ashrrev_i32_e32 v5, 31, v5
	v_and_b32_e32 v21, exec_lo, v21
	v_xor_b32_e32 v113, vcc_hi, v5
	v_xor_b32_e32 v5, vcc_lo, v5
	v_and_b32_e32 v21, v21, v5
	v_lshlrev_b32_e32 v5, 29, v20
	v_cmp_gt_i64_e32 vcc, 0, v[4:5]
	v_not_b32_e32 v5, v5
	v_ashrrev_i32_e32 v5, 31, v5
	v_and_b32_e32 v112, v112, v113
	v_xor_b32_e32 v113, vcc_hi, v5
	v_xor_b32_e32 v5, vcc_lo, v5
	v_and_b32_e32 v21, v21, v5
	v_lshlrev_b32_e32 v5, 28, v20
	v_cmp_gt_i64_e32 vcc, 0, v[4:5]
	v_not_b32_e32 v5, v5
	v_ashrrev_i32_e32 v5, 31, v5
	v_and_b32_e32 v112, v112, v113
	;; [unrolled: 8-line block ×5, first 2 shown]
	v_xor_b32_e32 v113, vcc_hi, v5
	v_xor_b32_e32 v5, vcc_lo, v5
	v_and_b32_e32 v112, v112, v113
	v_and_b32_e32 v113, v21, v5
	v_lshlrev_b32_e32 v5, 24, v20
	v_cmp_gt_i64_e32 vcc, 0, v[4:5]
	v_not_b32_e32 v5, v5
	v_ashrrev_i32_e32 v5, 31, v5
	v_xor_b32_e32 v20, vcc_hi, v5
	v_xor_b32_e32 v5, vcc_lo, v5
	v_and_b32_e32 v21, v112, v20
	v_and_b32_e32 v20, v113, v5
	v_mbcnt_lo_u32_b32 v5, v20, 0
	v_mbcnt_hi_u32_b32 v112, v21, v5
	v_cmp_eq_u32_e32 vcc, 0, v112
	v_cmp_ne_u64_e64 s[36:37], 0, v[20:21]
	s_and_b64 s[38:39], s[36:37], vcc
	; wave barrier
	s_and_saveexec_b64 s[36:37], s[38:39]
	s_cbranch_execz .LBB293_426
; %bb.425:                              ;   in Loop: Header=BB293_400 Depth=2
	v_bcnt_u32_b32 v5, v20, 0
	v_bcnt_u32_b32 v5, v21, v5
	s_waitcnt lgkmcnt(0)
	v_add_u32_e32 v5, v110, v5
	ds_write_b32 v111, v5
.LBB293_426:                            ;   in Loop: Header=BB293_400 Depth=2
	s_or_b64 exec, exec, s[36:37]
	v_xor_b32_e32 v113, 0x7f, v23
	v_lshrrev_b32_sdwa v5, s69, v113 dst_sel:DWORD dst_unused:UNUSED_PAD src0_sel:DWORD src1_sel:BYTE_0
	v_and_b32_e32 v20, s77, v5
	v_mul_u32_u24_e32 v5, 5, v20
	v_add_lshl_u32 v5, v5, v88, 2
	; wave barrier
	v_add_u32_e32 v115, 0x410, v5
	ds_read_b32 v114, v5 offset:1040
	v_and_b32_e32 v5, 1, v20
	v_add_co_u32_e32 v21, vcc, -1, v5
	v_addc_co_u32_e64 v23, s[36:37], 0, -1, vcc
	v_cmp_ne_u32_e32 vcc, 0, v5
	v_xor_b32_e32 v5, vcc_hi, v23
	v_and_b32_e32 v23, exec_hi, v5
	v_lshlrev_b32_e32 v5, 30, v20
	v_xor_b32_e32 v21, vcc_lo, v21
	v_cmp_gt_i64_e32 vcc, 0, v[4:5]
	v_not_b32_e32 v5, v5
	v_ashrrev_i32_e32 v5, 31, v5
	v_and_b32_e32 v21, exec_lo, v21
	v_xor_b32_e32 v116, vcc_hi, v5
	v_xor_b32_e32 v5, vcc_lo, v5
	v_and_b32_e32 v21, v21, v5
	v_lshlrev_b32_e32 v5, 29, v20
	v_cmp_gt_i64_e32 vcc, 0, v[4:5]
	v_not_b32_e32 v5, v5
	v_ashrrev_i32_e32 v5, 31, v5
	v_and_b32_e32 v23, v23, v116
	v_xor_b32_e32 v116, vcc_hi, v5
	v_xor_b32_e32 v5, vcc_lo, v5
	v_and_b32_e32 v21, v21, v5
	v_lshlrev_b32_e32 v5, 28, v20
	v_cmp_gt_i64_e32 vcc, 0, v[4:5]
	v_not_b32_e32 v5, v5
	v_ashrrev_i32_e32 v5, 31, v5
	v_and_b32_e32 v23, v23, v116
	v_xor_b32_e32 v116, vcc_hi, v5
	v_xor_b32_e32 v5, vcc_lo, v5
	v_and_b32_e32 v21, v21, v5
	v_lshlrev_b32_e32 v5, 27, v20
	v_cmp_gt_i64_e32 vcc, 0, v[4:5]
	v_not_b32_e32 v5, v5
	v_ashrrev_i32_e32 v5, 31, v5
	v_and_b32_e32 v23, v23, v116
	v_xor_b32_e32 v116, vcc_hi, v5
	v_xor_b32_e32 v5, vcc_lo, v5
	v_and_b32_e32 v21, v21, v5
	v_lshlrev_b32_e32 v5, 26, v20
	v_cmp_gt_i64_e32 vcc, 0, v[4:5]
	v_not_b32_e32 v5, v5
	v_ashrrev_i32_e32 v5, 31, v5
	v_and_b32_e32 v23, v23, v116
	v_xor_b32_e32 v116, vcc_hi, v5
	v_xor_b32_e32 v5, vcc_lo, v5
	v_and_b32_e32 v21, v21, v5
	v_lshlrev_b32_e32 v5, 25, v20
	v_cmp_gt_i64_e32 vcc, 0, v[4:5]
	v_not_b32_e32 v5, v5
	v_ashrrev_i32_e32 v5, 31, v5
	v_and_b32_e32 v23, v23, v116
	v_xor_b32_e32 v116, vcc_hi, v5
	v_xor_b32_e32 v5, vcc_lo, v5
	v_and_b32_e32 v23, v23, v116
	v_and_b32_e32 v116, v21, v5
	v_lshlrev_b32_e32 v5, 24, v20
	v_cmp_gt_i64_e32 vcc, 0, v[4:5]
	v_not_b32_e32 v5, v5
	v_ashrrev_i32_e32 v5, 31, v5
	v_xor_b32_e32 v20, vcc_hi, v5
	v_xor_b32_e32 v5, vcc_lo, v5
	v_and_b32_e32 v21, v23, v20
	v_and_b32_e32 v20, v116, v5
	v_mbcnt_lo_u32_b32 v5, v20, 0
	v_mbcnt_hi_u32_b32 v116, v21, v5
	v_cmp_eq_u32_e32 vcc, 0, v116
	v_cmp_ne_u64_e64 s[36:37], 0, v[20:21]
	s_and_b64 s[38:39], s[36:37], vcc
	; wave barrier
	s_and_saveexec_b64 s[36:37], s[38:39]
	s_cbranch_execz .LBB293_428
; %bb.427:                              ;   in Loop: Header=BB293_400 Depth=2
	v_bcnt_u32_b32 v5, v20, 0
	v_bcnt_u32_b32 v5, v21, v5
	s_waitcnt lgkmcnt(0)
	v_add_u32_e32 v5, v114, v5
	ds_write_b32 v115, v5
.LBB293_428:                            ;   in Loop: Header=BB293_400 Depth=2
	s_or_b64 exec, exec, s[36:37]
	v_xor_b32_e32 v117, 0x7f, v22
	v_lshrrev_b32_sdwa v5, s69, v117 dst_sel:DWORD dst_unused:UNUSED_PAD src0_sel:DWORD src1_sel:BYTE_0
	v_and_b32_e32 v20, s77, v5
	v_mul_u32_u24_e32 v5, 5, v20
	v_add_lshl_u32 v5, v5, v88, 2
	; wave barrier
	v_add_u32_e32 v119, 0x410, v5
	ds_read_b32 v118, v5 offset:1040
	v_and_b32_e32 v5, 1, v20
	v_add_co_u32_e32 v21, vcc, -1, v5
	v_addc_co_u32_e64 v22, s[36:37], 0, -1, vcc
	v_cmp_ne_u32_e32 vcc, 0, v5
	v_xor_b32_e32 v5, vcc_hi, v22
	v_and_b32_e32 v22, exec_hi, v5
	v_lshlrev_b32_e32 v5, 30, v20
	v_xor_b32_e32 v21, vcc_lo, v21
	v_cmp_gt_i64_e32 vcc, 0, v[4:5]
	v_not_b32_e32 v5, v5
	v_ashrrev_i32_e32 v5, 31, v5
	v_and_b32_e32 v21, exec_lo, v21
	v_xor_b32_e32 v23, vcc_hi, v5
	v_xor_b32_e32 v5, vcc_lo, v5
	v_and_b32_e32 v21, v21, v5
	v_lshlrev_b32_e32 v5, 29, v20
	v_cmp_gt_i64_e32 vcc, 0, v[4:5]
	v_not_b32_e32 v5, v5
	v_ashrrev_i32_e32 v5, 31, v5
	v_and_b32_e32 v22, v22, v23
	v_xor_b32_e32 v23, vcc_hi, v5
	v_xor_b32_e32 v5, vcc_lo, v5
	v_and_b32_e32 v21, v21, v5
	v_lshlrev_b32_e32 v5, 28, v20
	v_cmp_gt_i64_e32 vcc, 0, v[4:5]
	v_not_b32_e32 v5, v5
	v_ashrrev_i32_e32 v5, 31, v5
	v_and_b32_e32 v22, v22, v23
	;; [unrolled: 8-line block ×5, first 2 shown]
	v_xor_b32_e32 v23, vcc_hi, v5
	v_xor_b32_e32 v5, vcc_lo, v5
	v_and_b32_e32 v22, v22, v23
	v_and_b32_e32 v23, v21, v5
	v_lshlrev_b32_e32 v5, 24, v20
	v_cmp_gt_i64_e32 vcc, 0, v[4:5]
	v_not_b32_e32 v5, v5
	v_ashrrev_i32_e32 v5, 31, v5
	v_xor_b32_e32 v20, vcc_hi, v5
	v_xor_b32_e32 v5, vcc_lo, v5
	v_and_b32_e32 v21, v22, v20
	v_and_b32_e32 v20, v23, v5
	v_mbcnt_lo_u32_b32 v5, v20, 0
	v_mbcnt_hi_u32_b32 v120, v21, v5
	v_cmp_eq_u32_e32 vcc, 0, v120
	v_cmp_ne_u64_e64 s[36:37], 0, v[20:21]
	s_and_b64 s[38:39], s[36:37], vcc
	; wave barrier
	s_and_saveexec_b64 s[36:37], s[38:39]
	s_cbranch_execz .LBB293_430
; %bb.429:                              ;   in Loop: Header=BB293_400 Depth=2
	v_bcnt_u32_b32 v5, v20, 0
	v_bcnt_u32_b32 v5, v21, v5
	s_waitcnt lgkmcnt(0)
	v_add_u32_e32 v5, v118, v5
	ds_write_b32 v119, v5
.LBB293_430:                            ;   in Loop: Header=BB293_400 Depth=2
	s_or_b64 exec, exec, s[36:37]
	; wave barrier
	s_waitcnt lgkmcnt(0)
	s_barrier
	ds_read_b32 v5, v42 offset:1040
	ds_read2_b32 v[22:23], v44 offset0:1 offset1:2
	ds_read2_b32 v[20:21], v44 offset0:3 offset1:4
	s_waitcnt lgkmcnt(1)
	v_add3_u32 v121, v22, v5, v23
	s_waitcnt lgkmcnt(0)
	v_add3_u32 v21, v121, v20, v21
	s_nop 1
	v_mov_b32_dpp v121, v21 row_shr:1 row_mask:0xf bank_mask:0xf
	v_cndmask_b32_e64 v121, v121, 0, s[16:17]
	v_add_u32_e32 v21, v121, v21
	s_nop 1
	v_mov_b32_dpp v121, v21 row_shr:2 row_mask:0xf bank_mask:0xf
	v_cndmask_b32_e64 v121, 0, v121, s[18:19]
	v_add_u32_e32 v21, v21, v121
	;; [unrolled: 4-line block ×4, first 2 shown]
	s_nop 1
	v_mov_b32_dpp v121, v21 row_bcast:15 row_mask:0xf bank_mask:0xf
	v_cndmask_b32_e64 v121, v121, 0, s[24:25]
	v_add_u32_e32 v21, v21, v121
	s_nop 1
	v_mov_b32_dpp v121, v21 row_bcast:31 row_mask:0xf bank_mask:0xf
	v_cndmask_b32_e64 v121, 0, v121, s[26:27]
	v_add_u32_e32 v21, v21, v121
	s_and_saveexec_b64 s[36:37], s[6:7]
	s_cbranch_execz .LBB293_432
; %bb.431:                              ;   in Loop: Header=BB293_400 Depth=2
	ds_write_b32 v35, v21 offset:1024
.LBB293_432:                            ;   in Loop: Header=BB293_400 Depth=2
	s_or_b64 exec, exec, s[36:37]
	s_waitcnt lgkmcnt(0)
	s_barrier
	s_and_saveexec_b64 s[36:37], s[8:9]
	s_cbranch_execz .LBB293_434
; %bb.433:                              ;   in Loop: Header=BB293_400 Depth=2
	v_add_u32_e32 v121, v42, v45
	ds_read_b32 v122, v121 offset:1024
	s_waitcnt lgkmcnt(0)
	s_nop 0
	v_mov_b32_dpp v123, v122 row_shr:1 row_mask:0xf bank_mask:0xf
	v_cndmask_b32_e64 v123, v123, 0, s[30:31]
	v_add_u32_e32 v122, v123, v122
	s_nop 1
	v_mov_b32_dpp v123, v122 row_shr:2 row_mask:0xf bank_mask:0xf
	v_cndmask_b32_e64 v123, 0, v123, s[34:35]
	v_add_u32_e32 v122, v122, v123
	ds_write_b32 v121, v122 offset:1024
.LBB293_434:                            ;   in Loop: Header=BB293_400 Depth=2
	s_or_b64 exec, exec, s[36:37]
	v_mov_b32_e32 v121, 0
	s_waitcnt lgkmcnt(0)
	s_barrier
	s_and_saveexec_b64 s[36:37], s[10:11]
	s_cbranch_execz .LBB293_436
; %bb.435:                              ;   in Loop: Header=BB293_400 Depth=2
	ds_read_b32 v121, v35 offset:1020
.LBB293_436:                            ;   in Loop: Header=BB293_400 Depth=2
	s_or_b64 exec, exec, s[36:37]
	s_waitcnt lgkmcnt(0)
	v_add_u32_e32 v21, v121, v21
	ds_bpermute_b32 v21, v65, v21
	s_waitcnt lgkmcnt(0)
	v_cndmask_b32_e64 v21, v21, v121, s[28:29]
	v_cndmask_b32_e64 v21, v21, 0, s[12:13]
	v_add_u32_e32 v5, v21, v5
	ds_write_b32 v42, v21 offset:1040
	v_add_u32_e32 v21, v5, v22
	v_add_u32_e32 v22, v21, v23
	ds_write2_b32 v44, v5, v21 offset0:1 offset1:2
	v_add_u32_e32 v5, v22, v20
	ds_write2_b32 v44, v22, v5 offset0:3 offset1:4
	s_waitcnt lgkmcnt(0)
	s_barrier
	ds_read_b32 v20, v97
	ds_read_b32 v21, v102
	;; [unrolled: 1-line block ×8, first 2 shown]
	ds_read_b32 v97, v42 offset:1040
	v_mov_b32_e32 v5, 0x800
	s_and_saveexec_b64 s[36:37], s[14:15]
	s_cbranch_execz .LBB293_438
; %bb.437:                              ;   in Loop: Header=BB293_400 Depth=2
	ds_read_b32 v5, v42 offset:1060
.LBB293_438:                            ;   in Loop: Header=BB293_400 Depth=2
	s_or_b64 exec, exec, s[36:37]
	s_waitcnt lgkmcnt(0)
	s_barrier
	s_and_saveexec_b64 s[36:37], s[4:5]
	s_cbranch_execz .LBB293_440
; %bb.439:                              ;   in Loop: Header=BB293_400 Depth=2
	ds_read_b32 v102, v3
	s_waitcnt lgkmcnt(0)
	v_sub_u32_e32 v97, v102, v97
	ds_write_b32 v3, v97
.LBB293_440:                            ;   in Loop: Header=BB293_400 Depth=2
	s_or_b64 exec, exec, s[36:37]
	v_add_u32_e32 v102, v92, v93
	v_add3_u32 v98, v98, v95, v20
	v_add3_u32 v97, v103, v100, v21
	;; [unrolled: 1-line block ×7, first 2 shown]
	v_cmp_lt_u32_e64 s[48:49], v2, v89
	ds_write_b8 v102, v90 offset:1024
	ds_write_b8 v98, v94 offset:1024
	;; [unrolled: 1-line block ×8, first 2 shown]
	s_waitcnt lgkmcnt(0)
	s_barrier
	s_and_saveexec_b64 s[36:37], s[48:49]
	s_cbranch_execz .LBB293_448
; %bb.441:                              ;   in Loop: Header=BB293_400 Depth=2
	ds_read_u8 v20, v2 offset:1024
	s_waitcnt lgkmcnt(0)
	v_lshrrev_b32_sdwa v21, s69, v20 dst_sel:DWORD dst_unused:UNUSED_PAD src0_sel:DWORD src1_sel:BYTE_0
	v_and_b32_e32 v21, s77, v21
	v_lshlrev_b32_e32 v21, 2, v21
	ds_read_b32 v21, v21
	v_xor_b32_e32 v20, 0x7f, v20
	s_waitcnt lgkmcnt(0)
	v_add_u32_e32 v21, v21, v2
	global_store_byte v21, v20, s[58:59]
	s_or_b64 exec, exec, s[36:37]
	v_cmp_lt_u32_e64 s[46:47], v24, v89
	s_and_saveexec_b64 s[36:37], s[46:47]
	s_cbranch_execnz .LBB293_449
.LBB293_442:                            ;   in Loop: Header=BB293_400 Depth=2
	s_or_b64 exec, exec, s[36:37]
	v_cmp_lt_u32_e64 s[44:45], v25, v89
	s_and_saveexec_b64 s[36:37], s[44:45]
	s_cbranch_execz .LBB293_450
.LBB293_443:                            ;   in Loop: Header=BB293_400 Depth=2
	ds_read_u8 v20, v30 offset:512
	s_waitcnt lgkmcnt(0)
	v_lshrrev_b32_sdwa v21, s69, v20 dst_sel:DWORD dst_unused:UNUSED_PAD src0_sel:DWORD src1_sel:BYTE_0
	v_and_b32_e32 v21, s77, v21
	v_lshlrev_b32_e32 v21, 2, v21
	ds_read_b32 v21, v21
	v_xor_b32_e32 v20, 0x7f, v20
	s_waitcnt lgkmcnt(0)
	v_add_u32_e32 v21, v21, v25
	global_store_byte v21, v20, s[58:59]
	s_or_b64 exec, exec, s[36:37]
	v_cmp_lt_u32_e64 s[42:43], v26, v89
	s_and_saveexec_b64 s[36:37], s[42:43]
	s_cbranch_execnz .LBB293_451
.LBB293_444:                            ;   in Loop: Header=BB293_400 Depth=2
	s_or_b64 exec, exec, s[36:37]
	v_cmp_lt_u32_e64 s[40:41], v30, v89
	s_and_saveexec_b64 s[36:37], s[40:41]
	s_cbranch_execz .LBB293_452
.LBB293_445:                            ;   in Loop: Header=BB293_400 Depth=2
	ds_read_u8 v20, v30 offset:1024
	s_waitcnt lgkmcnt(0)
	v_lshrrev_b32_sdwa v21, s69, v20 dst_sel:DWORD dst_unused:UNUSED_PAD src0_sel:DWORD src1_sel:BYTE_0
	v_and_b32_e32 v21, s77, v21
	v_lshlrev_b32_e32 v21, 2, v21
	ds_read_b32 v21, v21
	v_xor_b32_e32 v20, 0x7f, v20
	s_waitcnt lgkmcnt(0)
	v_add_u32_e32 v21, v21, v30
	global_store_byte v21, v20, s[58:59]
	s_or_b64 exec, exec, s[36:37]
	v_cmp_lt_u32_e64 s[38:39], v31, v89
	s_and_saveexec_b64 s[36:37], s[38:39]
	s_cbranch_execnz .LBB293_453
.LBB293_446:                            ;   in Loop: Header=BB293_400 Depth=2
	s_or_b64 exec, exec, s[36:37]
	v_cmp_lt_u32_e64 s[36:37], v32, v89
	s_and_saveexec_b64 s[52:53], s[36:37]
	s_cbranch_execz .LBB293_454
.LBB293_447:                            ;   in Loop: Header=BB293_400 Depth=2
	ds_read_u8 v20, v30 offset:1536
	s_waitcnt lgkmcnt(0)
	v_lshrrev_b32_sdwa v21, s69, v20 dst_sel:DWORD dst_unused:UNUSED_PAD src0_sel:DWORD src1_sel:BYTE_0
	v_and_b32_e32 v21, s77, v21
	v_lshlrev_b32_e32 v21, 2, v21
	ds_read_b32 v21, v21
	v_xor_b32_e32 v20, 0x7f, v20
	s_waitcnt lgkmcnt(0)
	v_add_u32_e32 v21, v21, v32
	global_store_byte v21, v20, s[58:59]
	s_or_b64 exec, exec, s[52:53]
	v_cmp_lt_u32_e32 vcc, v33, v89
	s_and_saveexec_b64 s[52:53], vcc
	s_cbranch_execnz .LBB293_455
	s_branch .LBB293_456
.LBB293_448:                            ;   in Loop: Header=BB293_400 Depth=2
	s_or_b64 exec, exec, s[36:37]
	v_cmp_lt_u32_e64 s[46:47], v24, v89
	s_and_saveexec_b64 s[36:37], s[46:47]
	s_cbranch_execz .LBB293_442
.LBB293_449:                            ;   in Loop: Header=BB293_400 Depth=2
	ds_read_u8 v20, v30 offset:256
	s_waitcnt lgkmcnt(0)
	v_lshrrev_b32_sdwa v21, s69, v20 dst_sel:DWORD dst_unused:UNUSED_PAD src0_sel:DWORD src1_sel:BYTE_0
	v_and_b32_e32 v21, s77, v21
	v_lshlrev_b32_e32 v21, 2, v21
	ds_read_b32 v21, v21
	v_xor_b32_e32 v20, 0x7f, v20
	s_waitcnt lgkmcnt(0)
	v_add_u32_e32 v21, v21, v24
	global_store_byte v21, v20, s[58:59]
	s_or_b64 exec, exec, s[36:37]
	v_cmp_lt_u32_e64 s[44:45], v25, v89
	s_and_saveexec_b64 s[36:37], s[44:45]
	s_cbranch_execnz .LBB293_443
.LBB293_450:                            ;   in Loop: Header=BB293_400 Depth=2
	s_or_b64 exec, exec, s[36:37]
	v_cmp_lt_u32_e64 s[42:43], v26, v89
	s_and_saveexec_b64 s[36:37], s[42:43]
	s_cbranch_execz .LBB293_444
.LBB293_451:                            ;   in Loop: Header=BB293_400 Depth=2
	ds_read_u8 v20, v30 offset:768
	s_waitcnt lgkmcnt(0)
	v_lshrrev_b32_sdwa v21, s69, v20 dst_sel:DWORD dst_unused:UNUSED_PAD src0_sel:DWORD src1_sel:BYTE_0
	v_and_b32_e32 v21, s77, v21
	v_lshlrev_b32_e32 v21, 2, v21
	ds_read_b32 v21, v21
	v_xor_b32_e32 v20, 0x7f, v20
	s_waitcnt lgkmcnt(0)
	v_add_u32_e32 v21, v21, v26
	global_store_byte v21, v20, s[58:59]
	s_or_b64 exec, exec, s[36:37]
	v_cmp_lt_u32_e64 s[40:41], v30, v89
	s_and_saveexec_b64 s[36:37], s[40:41]
	s_cbranch_execnz .LBB293_445
.LBB293_452:                            ;   in Loop: Header=BB293_400 Depth=2
	s_or_b64 exec, exec, s[36:37]
	v_cmp_lt_u32_e64 s[38:39], v31, v89
	s_and_saveexec_b64 s[36:37], s[38:39]
	s_cbranch_execz .LBB293_446
.LBB293_453:                            ;   in Loop: Header=BB293_400 Depth=2
	ds_read_u8 v20, v30 offset:1280
	s_waitcnt lgkmcnt(0)
	v_lshrrev_b32_sdwa v21, s69, v20 dst_sel:DWORD dst_unused:UNUSED_PAD src0_sel:DWORD src1_sel:BYTE_0
	v_and_b32_e32 v21, s77, v21
	v_lshlrev_b32_e32 v21, 2, v21
	ds_read_b32 v21, v21
	v_xor_b32_e32 v20, 0x7f, v20
	s_waitcnt lgkmcnt(0)
	v_add_u32_e32 v21, v21, v31
	global_store_byte v21, v20, s[58:59]
	s_or_b64 exec, exec, s[36:37]
	v_cmp_lt_u32_e64 s[36:37], v32, v89
	s_and_saveexec_b64 s[52:53], s[36:37]
	s_cbranch_execnz .LBB293_447
.LBB293_454:                            ;   in Loop: Header=BB293_400 Depth=2
	s_or_b64 exec, exec, s[52:53]
	v_cmp_lt_u32_e32 vcc, v33, v89
	s_and_saveexec_b64 s[52:53], vcc
	s_cbranch_execz .LBB293_456
.LBB293_455:                            ;   in Loop: Header=BB293_400 Depth=2
	ds_read_u8 v20, v30 offset:1792
	s_waitcnt lgkmcnt(0)
	v_lshrrev_b32_sdwa v21, s69, v20 dst_sel:DWORD dst_unused:UNUSED_PAD src0_sel:DWORD src1_sel:BYTE_0
	v_and_b32_e32 v21, s77, v21
	v_lshlrev_b32_e32 v21, 2, v21
	ds_read_b32 v21, v21
	v_xor_b32_e32 v20, 0x7f, v20
	s_waitcnt lgkmcnt(0)
	v_add_u32_e32 v21, v21, v33
	global_store_byte v21, v20, s[58:59]
.LBB293_456:                            ;   in Loop: Header=BB293_400 Depth=2
	s_or_b64 exec, exec, s[52:53]
	s_lshl_b64 s[52:53], s[72:73], 3
	v_mov_b32_e32 v21, s53
	v_add_co_u32_e64 v20, s[52:53], s52, v77
	v_addc_co_u32_e64 v21, s[52:53], v78, v21, s[52:53]
	v_cmp_lt_u32_e64 s[52:53], v72, v89
	s_and_saveexec_b64 s[62:63], s[52:53]
	s_xor_b64 s[52:53], exec, s[62:63]
	s_cbranch_execz .LBB293_472
; %bb.457:                              ;   in Loop: Header=BB293_400 Depth=2
	global_load_dwordx2 v[18:19], v[20:21], off
	s_or_b64 exec, exec, s[52:53]
	v_cmp_lt_u32_e64 s[52:53], v79, v89
	s_and_saveexec_b64 s[62:63], s[52:53]
	s_cbranch_execnz .LBB293_473
.LBB293_458:                            ;   in Loop: Header=BB293_400 Depth=2
	s_or_b64 exec, exec, s[62:63]
	v_cmp_lt_u32_e64 s[52:53], v80, v89
	s_and_saveexec_b64 s[62:63], s[52:53]
	s_cbranch_execz .LBB293_474
.LBB293_459:                            ;   in Loop: Header=BB293_400 Depth=2
	global_load_dwordx2 v[14:15], v[20:21], off offset:1024
	s_or_b64 exec, exec, s[62:63]
	v_cmp_lt_u32_e64 s[52:53], v81, v89
	s_and_saveexec_b64 s[62:63], s[52:53]
	s_cbranch_execnz .LBB293_475
.LBB293_460:                            ;   in Loop: Header=BB293_400 Depth=2
	s_or_b64 exec, exec, s[62:63]
	v_cmp_lt_u32_e64 s[52:53], v82, v89
	s_and_saveexec_b64 s[62:63], s[52:53]
	s_cbranch_execz .LBB293_476
.LBB293_461:                            ;   in Loop: Header=BB293_400 Depth=2
	global_load_dwordx2 v[10:11], v[20:21], off offset:2048
	s_or_b64 exec, exec, s[62:63]
	v_cmp_lt_u32_e64 s[52:53], v83, v89
	s_and_saveexec_b64 s[62:63], s[52:53]
	s_cbranch_execnz .LBB293_477
.LBB293_462:                            ;   in Loop: Header=BB293_400 Depth=2
	s_or_b64 exec, exec, s[62:63]
	v_cmp_lt_u32_e64 s[52:53], v84, v89
	s_and_saveexec_b64 s[62:63], s[52:53]
	s_cbranch_execz .LBB293_478
.LBB293_463:                            ;   in Loop: Header=BB293_400 Depth=2
	global_load_dwordx2 v[6:7], v[20:21], off offset:3072
	s_or_b64 exec, exec, s[62:63]
	v_cmp_lt_u32_e64 s[52:53], v85, v89
	s_and_saveexec_b64 s[62:63], s[52:53]
	s_cbranch_execnz .LBB293_479
.LBB293_464:                            ;   in Loop: Header=BB293_400 Depth=2
	s_or_b64 exec, exec, s[62:63]
	s_and_saveexec_b64 s[52:53], s[48:49]
	s_cbranch_execz .LBB293_480
.LBB293_465:                            ;   in Loop: Header=BB293_400 Depth=2
	ds_read_u8 v20, v2 offset:1024
	s_waitcnt lgkmcnt(0)
	v_lshrrev_b32_e32 v20, s69, v20
	v_and_b32_e32 v75, s77, v20
	s_or_b64 exec, exec, s[52:53]
	s_and_saveexec_b64 s[52:53], s[46:47]
	s_cbranch_execnz .LBB293_481
.LBB293_466:                            ;   in Loop: Header=BB293_400 Depth=2
	s_or_b64 exec, exec, s[52:53]
	s_and_saveexec_b64 s[52:53], s[44:45]
	s_cbranch_execz .LBB293_482
.LBB293_467:                            ;   in Loop: Header=BB293_400 Depth=2
	ds_read_u8 v20, v30 offset:512
	s_waitcnt lgkmcnt(0)
	v_lshrrev_b32_e32 v20, s69, v20
	v_and_b32_e32 v71, s77, v20
	s_or_b64 exec, exec, s[52:53]
	s_and_saveexec_b64 s[52:53], s[42:43]
	s_cbranch_execnz .LBB293_483
.LBB293_468:                            ;   in Loop: Header=BB293_400 Depth=2
	s_or_b64 exec, exec, s[52:53]
	s_and_saveexec_b64 s[52:53], s[40:41]
	s_cbranch_execz .LBB293_484
.LBB293_469:                            ;   in Loop: Header=BB293_400 Depth=2
	ds_read_u8 v20, v30 offset:1024
	s_waitcnt lgkmcnt(0)
	v_lshrrev_b32_e32 v20, s69, v20
	v_and_b32_e32 v69, s77, v20
	s_or_b64 exec, exec, s[52:53]
	s_and_saveexec_b64 s[52:53], s[38:39]
	s_cbranch_execnz .LBB293_485
.LBB293_470:                            ;   in Loop: Header=BB293_400 Depth=2
	s_or_b64 exec, exec, s[52:53]
	s_and_saveexec_b64 s[52:53], s[36:37]
	s_cbranch_execz .LBB293_486
.LBB293_471:                            ;   in Loop: Header=BB293_400 Depth=2
	ds_read_u8 v20, v30 offset:1536
	s_waitcnt lgkmcnt(0)
	v_lshrrev_b32_e32 v20, s69, v20
	v_and_b32_e32 v67, s77, v20
	s_or_b64 exec, exec, s[52:53]
	s_and_saveexec_b64 s[52:53], vcc
	s_cbranch_execnz .LBB293_487
	s_branch .LBB293_488
.LBB293_472:                            ;   in Loop: Header=BB293_400 Depth=2
	s_or_b64 exec, exec, s[52:53]
	v_cmp_lt_u32_e64 s[52:53], v79, v89
	s_and_saveexec_b64 s[62:63], s[52:53]
	s_cbranch_execz .LBB293_458
.LBB293_473:                            ;   in Loop: Header=BB293_400 Depth=2
	global_load_dwordx2 v[16:17], v[20:21], off offset:512
	s_or_b64 exec, exec, s[62:63]
	v_cmp_lt_u32_e64 s[52:53], v80, v89
	s_and_saveexec_b64 s[62:63], s[52:53]
	s_cbranch_execnz .LBB293_459
.LBB293_474:                            ;   in Loop: Header=BB293_400 Depth=2
	s_or_b64 exec, exec, s[62:63]
	v_cmp_lt_u32_e64 s[52:53], v81, v89
	s_and_saveexec_b64 s[62:63], s[52:53]
	s_cbranch_execz .LBB293_460
.LBB293_475:                            ;   in Loop: Header=BB293_400 Depth=2
	global_load_dwordx2 v[12:13], v[20:21], off offset:1536
	s_or_b64 exec, exec, s[62:63]
	v_cmp_lt_u32_e64 s[52:53], v82, v89
	s_and_saveexec_b64 s[62:63], s[52:53]
	s_cbranch_execnz .LBB293_461
.LBB293_476:                            ;   in Loop: Header=BB293_400 Depth=2
	s_or_b64 exec, exec, s[62:63]
	v_cmp_lt_u32_e64 s[52:53], v83, v89
	s_and_saveexec_b64 s[62:63], s[52:53]
	s_cbranch_execz .LBB293_462
.LBB293_477:                            ;   in Loop: Header=BB293_400 Depth=2
	global_load_dwordx2 v[8:9], v[20:21], off offset:2560
	s_or_b64 exec, exec, s[62:63]
	v_cmp_lt_u32_e64 s[52:53], v84, v89
	s_and_saveexec_b64 s[62:63], s[52:53]
	s_cbranch_execnz .LBB293_463
.LBB293_478:                            ;   in Loop: Header=BB293_400 Depth=2
	s_or_b64 exec, exec, s[62:63]
	v_cmp_lt_u32_e64 s[52:53], v85, v89
	s_and_saveexec_b64 s[62:63], s[52:53]
	s_cbranch_execz .LBB293_464
.LBB293_479:                            ;   in Loop: Header=BB293_400 Depth=2
	global_load_dwordx2 v[0:1], v[20:21], off offset:3584
	s_or_b64 exec, exec, s[62:63]
	s_and_saveexec_b64 s[52:53], s[48:49]
	s_cbranch_execnz .LBB293_465
.LBB293_480:                            ;   in Loop: Header=BB293_400 Depth=2
	s_or_b64 exec, exec, s[52:53]
	s_and_saveexec_b64 s[52:53], s[46:47]
	s_cbranch_execz .LBB293_466
.LBB293_481:                            ;   in Loop: Header=BB293_400 Depth=2
	ds_read_u8 v20, v30 offset:256
	s_waitcnt lgkmcnt(0)
	v_lshrrev_b32_e32 v20, s69, v20
	v_and_b32_e32 v73, s77, v20
	s_or_b64 exec, exec, s[52:53]
	s_and_saveexec_b64 s[52:53], s[44:45]
	s_cbranch_execnz .LBB293_467
.LBB293_482:                            ;   in Loop: Header=BB293_400 Depth=2
	s_or_b64 exec, exec, s[52:53]
	s_and_saveexec_b64 s[52:53], s[42:43]
	s_cbranch_execz .LBB293_468
.LBB293_483:                            ;   in Loop: Header=BB293_400 Depth=2
	ds_read_u8 v20, v30 offset:768
	s_waitcnt lgkmcnt(0)
	v_lshrrev_b32_e32 v20, s69, v20
	v_and_b32_e32 v70, s77, v20
	s_or_b64 exec, exec, s[52:53]
	s_and_saveexec_b64 s[52:53], s[40:41]
	s_cbranch_execnz .LBB293_469
.LBB293_484:                            ;   in Loop: Header=BB293_400 Depth=2
	s_or_b64 exec, exec, s[52:53]
	s_and_saveexec_b64 s[52:53], s[38:39]
	s_cbranch_execz .LBB293_470
.LBB293_485:                            ;   in Loop: Header=BB293_400 Depth=2
	ds_read_u8 v20, v30 offset:1280
	s_waitcnt lgkmcnt(0)
	v_lshrrev_b32_e32 v20, s69, v20
	v_and_b32_e32 v68, s77, v20
	s_or_b64 exec, exec, s[52:53]
	s_and_saveexec_b64 s[52:53], s[36:37]
	s_cbranch_execnz .LBB293_471
.LBB293_486:                            ;   in Loop: Header=BB293_400 Depth=2
	s_or_b64 exec, exec, s[52:53]
	s_and_saveexec_b64 s[52:53], vcc
	s_cbranch_execz .LBB293_488
.LBB293_487:                            ;   in Loop: Header=BB293_400 Depth=2
	ds_read_u8 v20, v30 offset:1792
	s_waitcnt lgkmcnt(0)
	v_lshrrev_b32_e32 v20, s69, v20
	v_and_b32_e32 v66, s77, v20
.LBB293_488:                            ;   in Loop: Header=BB293_400 Depth=2
	s_or_b64 exec, exec, s[52:53]
	v_lshlrev_b32_e32 v20, 3, v102
	s_barrier
	s_waitcnt vmcnt(0)
	ds_write_b64 v20, v[18:19] offset:1024
	v_lshlrev_b32_e32 v20, 3, v98
	ds_write_b64 v20, v[16:17] offset:1024
	v_lshlrev_b32_e32 v20, 3, v97
	;; [unrolled: 2-line block ×7, first 2 shown]
	ds_write_b64 v20, v[0:1] offset:1024
	s_waitcnt lgkmcnt(0)
	s_barrier
	s_and_saveexec_b64 s[52:53], s[48:49]
	s_cbranch_execz .LBB293_496
; %bb.489:                              ;   in Loop: Header=BB293_400 Depth=2
	v_lshlrev_b32_e32 v20, 2, v75
	ds_read_b32 v22, v20
	v_add_u32_e32 v20, v2, v50
	ds_read_b64 v[20:21], v20 offset:1024
	v_mov_b32_e32 v23, v4
	v_mov_b32_e32 v89, s65
	s_waitcnt lgkmcnt(1)
	v_add_u32_e32 v22, v22, v2
	v_lshlrev_b64 v[22:23], 3, v[22:23]
	v_add_co_u32_e64 v22, s[48:49], s64, v22
	v_addc_co_u32_e64 v23, s[48:49], v89, v23, s[48:49]
	s_waitcnt lgkmcnt(0)
	global_store_dwordx2 v[22:23], v[20:21], off
	s_or_b64 exec, exec, s[52:53]
	s_and_saveexec_b64 s[48:49], s[46:47]
	s_cbranch_execnz .LBB293_497
.LBB293_490:                            ;   in Loop: Header=BB293_400 Depth=2
	s_or_b64 exec, exec, s[48:49]
	s_and_saveexec_b64 s[46:47], s[44:45]
	s_cbranch_execz .LBB293_498
.LBB293_491:                            ;   in Loop: Header=BB293_400 Depth=2
	v_lshlrev_b32_e32 v20, 2, v71
	ds_read_b32 v22, v20
	v_add_u32_e32 v20, v30, v50
	ds_read_b64 v[20:21], v20 offset:4096
	v_mov_b32_e32 v23, v4
	v_mov_b32_e32 v89, s65
	s_waitcnt lgkmcnt(1)
	v_add_u32_e32 v22, v22, v25
	v_lshlrev_b64 v[22:23], 3, v[22:23]
	v_add_co_u32_e64 v22, s[44:45], s64, v22
	v_addc_co_u32_e64 v23, s[44:45], v89, v23, s[44:45]
	s_waitcnt lgkmcnt(0)
	global_store_dwordx2 v[22:23], v[20:21], off
	s_or_b64 exec, exec, s[46:47]
	s_and_saveexec_b64 s[44:45], s[42:43]
	s_cbranch_execnz .LBB293_499
.LBB293_492:                            ;   in Loop: Header=BB293_400 Depth=2
	s_or_b64 exec, exec, s[44:45]
	s_and_saveexec_b64 s[42:43], s[40:41]
	s_cbranch_execz .LBB293_500
.LBB293_493:                            ;   in Loop: Header=BB293_400 Depth=2
	v_lshlrev_b32_e32 v20, 2, v69
	ds_read_b32 v22, v20
	v_add_u32_e32 v20, v30, v50
	ds_read_b64 v[20:21], v20 offset:8192
	v_mov_b32_e32 v23, v4
	v_mov_b32_e32 v89, s65
	s_waitcnt lgkmcnt(1)
	v_add_u32_e32 v22, v22, v30
	v_lshlrev_b64 v[22:23], 3, v[22:23]
	v_add_co_u32_e64 v22, s[40:41], s64, v22
	v_addc_co_u32_e64 v23, s[40:41], v89, v23, s[40:41]
	s_waitcnt lgkmcnt(0)
	global_store_dwordx2 v[22:23], v[20:21], off
	s_or_b64 exec, exec, s[42:43]
	s_and_saveexec_b64 s[40:41], s[38:39]
	s_cbranch_execnz .LBB293_501
.LBB293_494:                            ;   in Loop: Header=BB293_400 Depth=2
	s_or_b64 exec, exec, s[40:41]
	s_and_saveexec_b64 s[38:39], s[36:37]
	s_cbranch_execz .LBB293_502
.LBB293_495:                            ;   in Loop: Header=BB293_400 Depth=2
	v_lshlrev_b32_e32 v20, 2, v67
	ds_read_b32 v22, v20
	v_add_u32_e32 v20, v30, v50
	ds_read_b64 v[20:21], v20 offset:12288
	v_mov_b32_e32 v23, v4
	v_mov_b32_e32 v89, s65
	s_waitcnt lgkmcnt(1)
	v_add_u32_e32 v22, v22, v32
	v_lshlrev_b64 v[22:23], 3, v[22:23]
	v_add_co_u32_e64 v22, s[36:37], s64, v22
	v_addc_co_u32_e64 v23, s[36:37], v89, v23, s[36:37]
	s_waitcnt lgkmcnt(0)
	global_store_dwordx2 v[22:23], v[20:21], off
	s_or_b64 exec, exec, s[38:39]
	s_and_saveexec_b64 s[36:37], vcc
	s_cbranch_execnz .LBB293_503
	s_branch .LBB293_504
.LBB293_496:                            ;   in Loop: Header=BB293_400 Depth=2
	s_or_b64 exec, exec, s[52:53]
	s_and_saveexec_b64 s[48:49], s[46:47]
	s_cbranch_execz .LBB293_490
.LBB293_497:                            ;   in Loop: Header=BB293_400 Depth=2
	v_lshlrev_b32_e32 v20, 2, v73
	ds_read_b32 v22, v20
	v_add_u32_e32 v20, v30, v50
	ds_read_b64 v[20:21], v20 offset:2048
	v_mov_b32_e32 v23, v4
	v_mov_b32_e32 v89, s65
	s_waitcnt lgkmcnt(1)
	v_add_u32_e32 v22, v22, v24
	v_lshlrev_b64 v[22:23], 3, v[22:23]
	v_add_co_u32_e64 v22, s[46:47], s64, v22
	v_addc_co_u32_e64 v23, s[46:47], v89, v23, s[46:47]
	s_waitcnt lgkmcnt(0)
	global_store_dwordx2 v[22:23], v[20:21], off
	s_or_b64 exec, exec, s[48:49]
	s_and_saveexec_b64 s[46:47], s[44:45]
	s_cbranch_execnz .LBB293_491
.LBB293_498:                            ;   in Loop: Header=BB293_400 Depth=2
	s_or_b64 exec, exec, s[46:47]
	s_and_saveexec_b64 s[44:45], s[42:43]
	s_cbranch_execz .LBB293_492
.LBB293_499:                            ;   in Loop: Header=BB293_400 Depth=2
	v_lshlrev_b32_e32 v20, 2, v70
	ds_read_b32 v22, v20
	v_add_u32_e32 v20, v30, v50
	ds_read_b64 v[20:21], v20 offset:6144
	v_mov_b32_e32 v23, v4
	v_mov_b32_e32 v89, s65
	s_waitcnt lgkmcnt(1)
	v_add_u32_e32 v22, v22, v26
	v_lshlrev_b64 v[22:23], 3, v[22:23]
	v_add_co_u32_e64 v22, s[42:43], s64, v22
	v_addc_co_u32_e64 v23, s[42:43], v89, v23, s[42:43]
	s_waitcnt lgkmcnt(0)
	global_store_dwordx2 v[22:23], v[20:21], off
	s_or_b64 exec, exec, s[44:45]
	s_and_saveexec_b64 s[42:43], s[40:41]
	s_cbranch_execnz .LBB293_493
.LBB293_500:                            ;   in Loop: Header=BB293_400 Depth=2
	s_or_b64 exec, exec, s[42:43]
	s_and_saveexec_b64 s[40:41], s[38:39]
	s_cbranch_execz .LBB293_494
.LBB293_501:                            ;   in Loop: Header=BB293_400 Depth=2
	v_lshlrev_b32_e32 v20, 2, v68
	ds_read_b32 v22, v20
	v_add_u32_e32 v20, v30, v50
	ds_read_b64 v[20:21], v20 offset:10240
	v_mov_b32_e32 v23, v4
	v_mov_b32_e32 v89, s65
	s_waitcnt lgkmcnt(1)
	v_add_u32_e32 v22, v22, v31
	v_lshlrev_b64 v[22:23], 3, v[22:23]
	v_add_co_u32_e64 v22, s[38:39], s64, v22
	v_addc_co_u32_e64 v23, s[38:39], v89, v23, s[38:39]
	s_waitcnt lgkmcnt(0)
	global_store_dwordx2 v[22:23], v[20:21], off
	s_or_b64 exec, exec, s[40:41]
	s_and_saveexec_b64 s[38:39], s[36:37]
	s_cbranch_execnz .LBB293_495
.LBB293_502:                            ;   in Loop: Header=BB293_400 Depth=2
	s_or_b64 exec, exec, s[38:39]
	s_and_saveexec_b64 s[36:37], vcc
	s_cbranch_execz .LBB293_504
.LBB293_503:                            ;   in Loop: Header=BB293_400 Depth=2
	v_lshlrev_b32_e32 v20, 2, v66
	ds_read_b32 v22, v20
	v_add_u32_e32 v20, v30, v50
	ds_read_b64 v[20:21], v20 offset:14336
	v_mov_b32_e32 v23, v4
	v_mov_b32_e32 v89, s65
	s_waitcnt lgkmcnt(1)
	v_add_u32_e32 v22, v22, v33
	v_lshlrev_b64 v[22:23], 3, v[22:23]
	v_add_co_u32_e32 v22, vcc, s64, v22
	v_addc_co_u32_e32 v23, vcc, v89, v23, vcc
	s_waitcnt lgkmcnt(0)
	global_store_dwordx2 v[22:23], v[20:21], off
.LBB293_504:                            ;   in Loop: Header=BB293_400 Depth=2
	s_or_b64 exec, exec, s[36:37]
	s_barrier
	s_and_saveexec_b64 s[36:37], s[4:5]
	s_cbranch_execz .LBB293_399
; %bb.505:                              ;   in Loop: Header=BB293_400 Depth=2
	ds_read_b32 v20, v3
	s_waitcnt lgkmcnt(0)
	v_add_u32_e32 v5, v20, v5
	ds_write_b32 v3, v5
	s_branch .LBB293_399
.LBB293_506:                            ;   in Loop: Header=BB293_400 Depth=2
	s_or_b64 exec, exec, s[36:37]
	v_cmp_gt_u32_e32 vcc, s78, v79
	s_and_saveexec_b64 s[36:37], vcc
	s_cbranch_execz .LBB293_406
.LBB293_507:                            ;   in Loop: Header=BB293_400 Depth=2
	global_load_ubyte v94, v[20:21], off offset:64
	s_or_b64 exec, exec, s[36:37]
	v_cmp_gt_u32_e32 vcc, s78, v80
	s_and_saveexec_b64 s[36:37], vcc
	s_cbranch_execnz .LBB293_407
.LBB293_508:                            ;   in Loop: Header=BB293_400 Depth=2
	s_or_b64 exec, exec, s[36:37]
	v_cmp_gt_u32_e32 vcc, s78, v81
	s_and_saveexec_b64 s[36:37], vcc
	s_cbranch_execz .LBB293_408
.LBB293_509:                            ;   in Loop: Header=BB293_400 Depth=2
	global_load_ubyte v101, v[20:21], off offset:192
	s_or_b64 exec, exec, s[36:37]
	v_cmp_gt_u32_e32 vcc, s78, v82
	s_and_saveexec_b64 s[36:37], vcc
	s_cbranch_execnz .LBB293_409
.LBB293_510:                            ;   in Loop: Header=BB293_400 Depth=2
	s_or_b64 exec, exec, s[36:37]
	v_cmp_gt_u32_e32 vcc, s78, v83
	s_and_saveexec_b64 s[36:37], vcc
	s_cbranch_execz .LBB293_410
.LBB293_511:                            ;   in Loop: Header=BB293_400 Depth=2
	global_load_ubyte v91, v[20:21], off offset:320
	s_or_b64 exec, exec, s[36:37]
	v_cmp_gt_u32_e32 vcc, s78, v84
	s_and_saveexec_b64 s[36:37], vcc
	s_cbranch_execnz .LBB293_411
	s_branch .LBB293_412
.LBB293_512:                            ;   in Loop: Header=BB293_12 Depth=1
	s_waitcnt lgkmcnt(0)
	s_barrier
	s_mov_b64 s[16:17], 0
.LBB293_513:                            ;   in Loop: Header=BB293_12 Depth=1
	s_and_b64 vcc, exec, s[16:17]
	s_cbranch_vccz .LBB293_11
; %bb.514:                              ;   in Loop: Header=BB293_12 Depth=1
	s_mov_b32 s20, s71
	s_mov_b32 s22, s51
	s_barrier
	s_waitcnt lgkmcnt(0)
                                        ; implicit-def: $vgpr5
                                        ; implicit-def: $vgpr6
                                        ; implicit-def: $vgpr7
                                        ; implicit-def: $vgpr8
                                        ; implicit-def: $vgpr9
                                        ; implicit-def: $vgpr10
                                        ; implicit-def: $vgpr11
                                        ; implicit-def: $vgpr12
	s_branch .LBB293_516
.LBB293_515:                            ;   in Loop: Header=BB293_516 Depth=2
	s_or_b64 exec, exec, s[16:17]
	s_addk_i32 s20, 0xf800
	s_cmp_ge_u32 s21, s76
	s_mov_b32 s22, s21
	s_cbranch_scc1 .LBB293_554
.LBB293_516:                            ;   Parent Loop BB293_12 Depth=1
                                        ; =>  This Inner Loop Header: Depth=2
	s_add_i32 s21, s22, 0x800
	s_cmp_gt_u32 s21, s76
	s_cbranch_scc1 .LBB293_519
; %bb.517:                              ;   in Loop: Header=BB293_516 Depth=2
	v_add_co_u32_e32 v0, vcc, s22, v57
	v_addc_co_u32_e32 v1, vcc, 0, v58, vcc
	global_load_ubyte v20, v[0:1], off offset:1536
	global_load_ubyte v19, v[0:1], off offset:1280
	;; [unrolled: 1-line block ×6, first 2 shown]
	global_load_ubyte v14, v[0:1], off
	v_add_co_u32_e32 v0, vcc, 0x700, v0
	v_addc_co_u32_e32 v1, vcc, 0, v1, vcc
	s_mov_b64 s[16:17], -1
	s_movk_i32 s25, 0x800
	s_cbranch_execz .LBB293_520
; %bb.518:                              ;   in Loop: Header=BB293_516 Depth=2
                                        ; implicit-def: $vgpr5
                                        ; implicit-def: $vgpr6
                                        ; implicit-def: $vgpr7
                                        ; implicit-def: $vgpr8
                                        ; implicit-def: $vgpr9
                                        ; implicit-def: $vgpr10
                                        ; implicit-def: $vgpr11
                                        ; implicit-def: $vgpr12
	v_mov_b32_e32 v13, s20
	s_and_saveexec_b64 s[18:19], s[16:17]
	s_cbranch_execnz .LBB293_531
	s_branch .LBB293_532
.LBB293_519:                            ;   in Loop: Header=BB293_516 Depth=2
	s_mov_b64 s[16:17], 0
                                        ; implicit-def: $sgpr25
                                        ; implicit-def: $vgpr14
                                        ; implicit-def: $vgpr15
                                        ; implicit-def: $vgpr16
                                        ; implicit-def: $vgpr17
                                        ; implicit-def: $vgpr18
                                        ; implicit-def: $vgpr19
                                        ; implicit-def: $vgpr20
                                        ; implicit-def: $vgpr0_vgpr1
.LBB293_520:                            ;   in Loop: Header=BB293_516 Depth=2
	s_add_u32 s23, s56, s22
	s_addc_u32 s24, s57, 0
	v_cmp_gt_u32_e32 vcc, s20, v2
	s_and_saveexec_b64 s[18:19], vcc
	s_cbranch_execz .LBB293_548
; %bb.521:                              ;   in Loop: Header=BB293_516 Depth=2
	v_mov_b32_e32 v1, s24
	v_add_co_u32_e32 v0, vcc, s23, v2
	v_addc_co_u32_e32 v1, vcc, 0, v1, vcc
	global_load_ubyte v5, v[0:1], off
	s_or_b64 exec, exec, s[18:19]
	v_cmp_gt_u32_e32 vcc, s20, v24
	s_and_saveexec_b64 s[18:19], vcc
	s_cbranch_execnz .LBB293_549
.LBB293_522:                            ;   in Loop: Header=BB293_516 Depth=2
	s_or_b64 exec, exec, s[18:19]
	v_cmp_gt_u32_e32 vcc, s20, v25
	s_and_saveexec_b64 s[18:19], vcc
	s_cbranch_execz .LBB293_550
.LBB293_523:                            ;   in Loop: Header=BB293_516 Depth=2
	v_mov_b32_e32 v1, s24
	v_add_co_u32_e32 v0, vcc, s23, v2
	v_addc_co_u32_e32 v1, vcc, 0, v1, vcc
	global_load_ubyte v7, v[0:1], off offset:512
	s_or_b64 exec, exec, s[18:19]
	v_cmp_gt_u32_e32 vcc, s20, v26
	s_and_saveexec_b64 s[18:19], vcc
	s_cbranch_execnz .LBB293_551
.LBB293_524:                            ;   in Loop: Header=BB293_516 Depth=2
	s_or_b64 exec, exec, s[18:19]
	v_cmp_gt_u32_e32 vcc, s20, v30
	s_and_saveexec_b64 s[18:19], vcc
	s_cbranch_execz .LBB293_552
.LBB293_525:                            ;   in Loop: Header=BB293_516 Depth=2
	v_mov_b32_e32 v1, s24
	v_add_co_u32_e32 v0, vcc, s23, v2
	v_addc_co_u32_e32 v1, vcc, 0, v1, vcc
	global_load_ubyte v9, v[0:1], off offset:1024
	s_or_b64 exec, exec, s[18:19]
	v_cmp_gt_u32_e32 vcc, s20, v31
	s_and_saveexec_b64 s[18:19], vcc
	s_cbranch_execnz .LBB293_553
.LBB293_526:                            ;   in Loop: Header=BB293_516 Depth=2
	s_or_b64 exec, exec, s[18:19]
	v_cmp_gt_u32_e32 vcc, s20, v32
	s_and_saveexec_b64 s[18:19], vcc
	s_cbranch_execz .LBB293_528
.LBB293_527:                            ;   in Loop: Header=BB293_516 Depth=2
	v_mov_b32_e32 v1, s24
	v_add_co_u32_e32 v0, vcc, s23, v2
	v_addc_co_u32_e32 v1, vcc, 0, v1, vcc
	global_load_ubyte v11, v[0:1], off offset:1536
.LBB293_528:                            ;   in Loop: Header=BB293_516 Depth=2
	s_or_b64 exec, exec, s[18:19]
	v_cmp_gt_u32_e32 vcc, s20, v33
                                        ; implicit-def: $sgpr25
                                        ; implicit-def: $vgpr0_vgpr1
	s_and_saveexec_b64 s[18:19], vcc
	s_cbranch_execz .LBB293_530
; %bb.529:                              ;   in Loop: Header=BB293_516 Depth=2
	v_mov_b32_e32 v0, s24
	v_add_co_u32_e32 v1, vcc, s23, v2
	s_waitcnt vmcnt(0)
	v_addc_co_u32_e32 v12, vcc, 0, v0, vcc
	v_add_co_u32_e32 v0, vcc, 0x700, v1
	s_sub_i32 s25, s76, s22
	v_addc_co_u32_e32 v1, vcc, 0, v12, vcc
	s_or_b64 s[16:17], s[16:17], exec
                                        ; implicit-def: $vgpr12
.LBB293_530:                            ;   in Loop: Header=BB293_516 Depth=2
	s_or_b64 exec, exec, s[18:19]
	s_waitcnt vmcnt(0)
	v_mov_b32_e32 v14, v5
	v_mov_b32_e32 v15, v6
	;; [unrolled: 1-line block ×8, first 2 shown]
	s_and_saveexec_b64 s[18:19], s[16:17]
	s_cbranch_execz .LBB293_532
.LBB293_531:                            ;   in Loop: Header=BB293_516 Depth=2
	global_load_ubyte v12, v[0:1], off
	v_mov_b32_e32 v13, s25
	s_waitcnt vmcnt(1)
	v_mov_b32_e32 v5, v14
	v_mov_b32_e32 v6, v15
	;; [unrolled: 1-line block ×7, first 2 shown]
.LBB293_532:                            ;   in Loop: Header=BB293_516 Depth=2
	s_or_b64 exec, exec, s[18:19]
	v_cmp_lt_u32_e32 vcc, v2, v13
	v_lshlrev_b32_e32 v0, 2, v27
	s_and_saveexec_b64 s[16:17], vcc
	s_cbranch_execz .LBB293_540
; %bb.533:                              ;   in Loop: Header=BB293_516 Depth=2
	v_xor_b32_e32 v1, 0x7f, v5
	v_lshrrev_b32_sdwa v1, s69, v1 dst_sel:DWORD dst_unused:UNUSED_PAD src0_sel:DWORD src1_sel:BYTE_0
	v_and_b32_e32 v1, s77, v1
	v_lshl_or_b32 v1, v1, 4, v0
	ds_add_u32 v1, v63
	s_or_b64 exec, exec, s[16:17]
	v_cmp_lt_u32_e32 vcc, v24, v13
	s_and_saveexec_b64 s[16:17], vcc
	s_cbranch_execnz .LBB293_541
.LBB293_534:                            ;   in Loop: Header=BB293_516 Depth=2
	s_or_b64 exec, exec, s[16:17]
	v_cmp_lt_u32_e32 vcc, v25, v13
	s_and_saveexec_b64 s[16:17], vcc
	s_cbranch_execz .LBB293_542
.LBB293_535:                            ;   in Loop: Header=BB293_516 Depth=2
	v_xor_b32_e32 v1, 0x7f, v7
	v_lshrrev_b32_sdwa v1, s69, v1 dst_sel:DWORD dst_unused:UNUSED_PAD src0_sel:DWORD src1_sel:BYTE_0
	v_and_b32_e32 v1, s77, v1
	v_lshl_or_b32 v1, v1, 4, v0
	ds_add_u32 v1, v63
	s_or_b64 exec, exec, s[16:17]
	v_cmp_lt_u32_e32 vcc, v26, v13
	s_and_saveexec_b64 s[16:17], vcc
	s_cbranch_execnz .LBB293_543
.LBB293_536:                            ;   in Loop: Header=BB293_516 Depth=2
	s_or_b64 exec, exec, s[16:17]
	v_cmp_lt_u32_e32 vcc, v30, v13
	s_and_saveexec_b64 s[16:17], vcc
	s_cbranch_execz .LBB293_544
.LBB293_537:                            ;   in Loop: Header=BB293_516 Depth=2
	v_xor_b32_e32 v1, 0x7f, v9
	v_lshrrev_b32_sdwa v1, s69, v1 dst_sel:DWORD dst_unused:UNUSED_PAD src0_sel:DWORD src1_sel:BYTE_0
	v_and_b32_e32 v1, s77, v1
	v_lshl_or_b32 v1, v1, 4, v0
	ds_add_u32 v1, v63
	s_or_b64 exec, exec, s[16:17]
	v_cmp_lt_u32_e32 vcc, v31, v13
	s_and_saveexec_b64 s[16:17], vcc
	s_cbranch_execnz .LBB293_545
.LBB293_538:                            ;   in Loop: Header=BB293_516 Depth=2
	s_or_b64 exec, exec, s[16:17]
	v_cmp_lt_u32_e32 vcc, v32, v13
	s_and_saveexec_b64 s[16:17], vcc
	s_cbranch_execz .LBB293_546
.LBB293_539:                            ;   in Loop: Header=BB293_516 Depth=2
	v_xor_b32_e32 v1, 0x7f, v11
	v_lshrrev_b32_sdwa v1, s69, v1 dst_sel:DWORD dst_unused:UNUSED_PAD src0_sel:DWORD src1_sel:BYTE_0
	v_and_b32_e32 v1, s77, v1
	v_lshl_or_b32 v1, v1, 4, v0
	ds_add_u32 v1, v63
	s_or_b64 exec, exec, s[16:17]
	v_cmp_lt_u32_e32 vcc, v33, v13
	s_and_saveexec_b64 s[16:17], vcc
	s_cbranch_execz .LBB293_515
	s_branch .LBB293_547
.LBB293_540:                            ;   in Loop: Header=BB293_516 Depth=2
	s_or_b64 exec, exec, s[16:17]
	v_cmp_lt_u32_e32 vcc, v24, v13
	s_and_saveexec_b64 s[16:17], vcc
	s_cbranch_execz .LBB293_534
.LBB293_541:                            ;   in Loop: Header=BB293_516 Depth=2
	v_xor_b32_e32 v1, 0x7f, v6
	v_lshrrev_b32_sdwa v1, s69, v1 dst_sel:DWORD dst_unused:UNUSED_PAD src0_sel:DWORD src1_sel:BYTE_0
	v_and_b32_e32 v1, s77, v1
	v_lshl_or_b32 v1, v1, 4, v0
	ds_add_u32 v1, v63
	s_or_b64 exec, exec, s[16:17]
	v_cmp_lt_u32_e32 vcc, v25, v13
	s_and_saveexec_b64 s[16:17], vcc
	s_cbranch_execnz .LBB293_535
.LBB293_542:                            ;   in Loop: Header=BB293_516 Depth=2
	s_or_b64 exec, exec, s[16:17]
	v_cmp_lt_u32_e32 vcc, v26, v13
	s_and_saveexec_b64 s[16:17], vcc
	s_cbranch_execz .LBB293_536
.LBB293_543:                            ;   in Loop: Header=BB293_516 Depth=2
	v_xor_b32_e32 v1, 0x7f, v8
	v_lshrrev_b32_sdwa v1, s69, v1 dst_sel:DWORD dst_unused:UNUSED_PAD src0_sel:DWORD src1_sel:BYTE_0
	v_and_b32_e32 v1, s77, v1
	v_lshl_or_b32 v1, v1, 4, v0
	ds_add_u32 v1, v63
	s_or_b64 exec, exec, s[16:17]
	v_cmp_lt_u32_e32 vcc, v30, v13
	s_and_saveexec_b64 s[16:17], vcc
	s_cbranch_execnz .LBB293_537
.LBB293_544:                            ;   in Loop: Header=BB293_516 Depth=2
	s_or_b64 exec, exec, s[16:17]
	v_cmp_lt_u32_e32 vcc, v31, v13
	s_and_saveexec_b64 s[16:17], vcc
	s_cbranch_execz .LBB293_538
.LBB293_545:                            ;   in Loop: Header=BB293_516 Depth=2
	v_xor_b32_e32 v1, 0x7f, v10
	v_lshrrev_b32_sdwa v1, s69, v1 dst_sel:DWORD dst_unused:UNUSED_PAD src0_sel:DWORD src1_sel:BYTE_0
	v_and_b32_e32 v1, s77, v1
	v_lshl_or_b32 v1, v1, 4, v0
	ds_add_u32 v1, v63
	s_or_b64 exec, exec, s[16:17]
	v_cmp_lt_u32_e32 vcc, v32, v13
	s_and_saveexec_b64 s[16:17], vcc
	s_cbranch_execnz .LBB293_539
.LBB293_546:                            ;   in Loop: Header=BB293_516 Depth=2
	s_or_b64 exec, exec, s[16:17]
	v_cmp_lt_u32_e32 vcc, v33, v13
	s_and_saveexec_b64 s[16:17], vcc
	s_cbranch_execz .LBB293_515
.LBB293_547:                            ;   in Loop: Header=BB293_516 Depth=2
	s_waitcnt vmcnt(0)
	v_xor_b32_e32 v1, 0x7f, v12
	v_lshrrev_b32_sdwa v1, s69, v1 dst_sel:DWORD dst_unused:UNUSED_PAD src0_sel:DWORD src1_sel:BYTE_0
	v_and_b32_e32 v1, s77, v1
	v_lshl_or_b32 v0, v1, 4, v0
	ds_add_u32 v0, v63
	s_branch .LBB293_515
.LBB293_548:                            ;   in Loop: Header=BB293_516 Depth=2
	s_or_b64 exec, exec, s[18:19]
	v_cmp_gt_u32_e32 vcc, s20, v24
	s_and_saveexec_b64 s[18:19], vcc
	s_cbranch_execz .LBB293_522
.LBB293_549:                            ;   in Loop: Header=BB293_516 Depth=2
	v_mov_b32_e32 v1, s24
	v_add_co_u32_e32 v0, vcc, s23, v2
	v_addc_co_u32_e32 v1, vcc, 0, v1, vcc
	global_load_ubyte v6, v[0:1], off offset:256
	s_or_b64 exec, exec, s[18:19]
	v_cmp_gt_u32_e32 vcc, s20, v25
	s_and_saveexec_b64 s[18:19], vcc
	s_cbranch_execnz .LBB293_523
.LBB293_550:                            ;   in Loop: Header=BB293_516 Depth=2
	s_or_b64 exec, exec, s[18:19]
	v_cmp_gt_u32_e32 vcc, s20, v26
	s_and_saveexec_b64 s[18:19], vcc
	s_cbranch_execz .LBB293_524
.LBB293_551:                            ;   in Loop: Header=BB293_516 Depth=2
	v_mov_b32_e32 v1, s24
	v_add_co_u32_e32 v0, vcc, s23, v2
	v_addc_co_u32_e32 v1, vcc, 0, v1, vcc
	global_load_ubyte v8, v[0:1], off offset:768
	s_or_b64 exec, exec, s[18:19]
	v_cmp_gt_u32_e32 vcc, s20, v30
	s_and_saveexec_b64 s[18:19], vcc
	s_cbranch_execnz .LBB293_525
.LBB293_552:                            ;   in Loop: Header=BB293_516 Depth=2
	s_or_b64 exec, exec, s[18:19]
	v_cmp_gt_u32_e32 vcc, s20, v31
	s_and_saveexec_b64 s[18:19], vcc
	s_cbranch_execz .LBB293_526
.LBB293_553:                            ;   in Loop: Header=BB293_516 Depth=2
	v_mov_b32_e32 v1, s24
	v_add_co_u32_e32 v0, vcc, s23, v2
	v_addc_co_u32_e32 v1, vcc, 0, v1, vcc
	global_load_ubyte v10, v[0:1], off offset:1280
	s_or_b64 exec, exec, s[18:19]
	v_cmp_gt_u32_e32 vcc, s20, v32
	s_and_saveexec_b64 s[18:19], vcc
	s_cbranch_execz .LBB293_528
	s_branch .LBB293_527
.LBB293_554:                            ;   in Loop: Header=BB293_12 Depth=1
	v_mov_b32_e32 v0, 0
	s_waitcnt lgkmcnt(0)
	s_barrier
	s_and_saveexec_b64 s[16:17], s[4:5]
	s_cbranch_execz .LBB293_556
; %bb.555:                              ;   in Loop: Header=BB293_12 Depth=1
	ds_read2_b64 v[6:9], v34 offset1:1
	s_waitcnt lgkmcnt(0)
	v_add_u32_e32 v0, v7, v6
	v_add3_u32 v0, v0, v8, v9
.LBB293_556:                            ;   in Loop: Header=BB293_12 Depth=1
	s_or_b64 exec, exec, s[16:17]
	v_and_b32_e32 v1, 15, v64
	v_mov_b32_dpp v5, v0 row_shr:1 row_mask:0xf bank_mask:0xf
	v_cmp_eq_u32_e64 s[16:17], 0, v1
	v_cndmask_b32_e64 v5, v5, 0, s[16:17]
	v_add_u32_e32 v0, v5, v0
	v_cmp_lt_u32_e64 s[18:19], 1, v1
	v_cmp_lt_u32_e64 s[20:21], 3, v1
	v_mov_b32_dpp v5, v0 row_shr:2 row_mask:0xf bank_mask:0xf
	v_cndmask_b32_e64 v5, 0, v5, s[18:19]
	v_add_u32_e32 v0, v0, v5
	v_cmp_lt_u32_e64 s[22:23], 7, v1
	v_cmp_lt_u32_e64 s[26:27], 31, v64
	v_mov_b32_dpp v5, v0 row_shr:4 row_mask:0xf bank_mask:0xf
	v_cndmask_b32_e64 v5, 0, v5, s[20:21]
	v_add_u32_e32 v0, v0, v5
	v_and_b32_e32 v6, 16, v64
	v_cmp_eq_u32_e64 s[24:25], 0, v6
	v_mov_b32_dpp v5, v0 row_shr:8 row_mask:0xf bank_mask:0xf
	v_cndmask_b32_e64 v1, 0, v5, s[22:23]
	v_add_u32_e32 v0, v0, v1
	v_bfe_i32 v5, v64, 4, 1
	s_nop 0
	v_mov_b32_dpp v1, v0 row_bcast:15 row_mask:0xf bank_mask:0xf
	v_and_b32_e32 v1, v5, v1
	v_add_u32_e32 v0, v0, v1
	s_nop 1
	v_mov_b32_dpp v1, v0 row_bcast:31 row_mask:0xf bank_mask:0xf
	v_cndmask_b32_e64 v1, 0, v1, s[26:27]
	v_add_u32_e32 v1, v0, v1
	s_and_saveexec_b64 s[28:29], s[6:7]
	s_cbranch_execz .LBB293_558
; %bb.557:                              ;   in Loop: Header=BB293_12 Depth=1
	ds_write_b32 v36, v1
.LBB293_558:                            ;   in Loop: Header=BB293_12 Depth=1
	s_or_b64 exec, exec, s[28:29]
	v_and_b32_e32 v0, 3, v64
	s_waitcnt lgkmcnt(0)
	s_barrier
	s_and_saveexec_b64 s[28:29], s[8:9]
	s_cbranch_execz .LBB293_560
; %bb.559:                              ;   in Loop: Header=BB293_12 Depth=1
	ds_read_b32 v5, v37
	v_cmp_ne_u32_e32 vcc, 0, v0
	s_waitcnt lgkmcnt(0)
	v_mov_b32_dpp v6, v5 row_shr:1 row_mask:0xf bank_mask:0xf
	v_cndmask_b32_e32 v6, 0, v6, vcc
	v_add_u32_e32 v5, v6, v5
	v_cmp_lt_u32_e32 vcc, 1, v0
	s_nop 0
	v_mov_b32_dpp v6, v5 row_shr:2 row_mask:0xf bank_mask:0xf
	v_cndmask_b32_e32 v6, 0, v6, vcc
	v_add_u32_e32 v5, v5, v6
	ds_write_b32 v37, v5
.LBB293_560:                            ;   in Loop: Header=BB293_12 Depth=1
	s_or_b64 exec, exec, s[28:29]
	v_mov_b32_e32 v5, 0
	s_waitcnt lgkmcnt(0)
	s_barrier
	s_and_saveexec_b64 s[28:29], s[10:11]
	s_cbranch_execz .LBB293_562
; %bb.561:                              ;   in Loop: Header=BB293_12 Depth=1
	ds_read_b32 v5, v38
.LBB293_562:                            ;   in Loop: Header=BB293_12 Depth=1
	s_or_b64 exec, exec, s[28:29]
	v_add_u32_e32 v6, -1, v64
	v_and_b32_e32 v7, 64, v64
	v_cmp_lt_i32_e32 vcc, v6, v7
	v_cndmask_b32_e32 v6, v6, v64, vcc
	s_waitcnt lgkmcnt(0)
	v_add_u32_e32 v1, v5, v1
	v_lshlrev_b32_e32 v65, 2, v6
	ds_bpermute_b32 v1, v65, v1
	v_cmp_eq_u32_e64 s[28:29], 0, v64
	s_waitcnt lgkmcnt(0)
	s_barrier
	s_and_saveexec_b64 s[30:31], s[4:5]
	s_cbranch_execz .LBB293_564
; %bb.563:                              ;   in Loop: Header=BB293_12 Depth=1
	v_cndmask_b32_e64 v1, v1, v5, s[28:29]
	v_add_u32_e32 v1, s51, v1
	ds_write_b32 v3, v1
.LBB293_564:                            ;   in Loop: Header=BB293_12 Depth=1
	s_or_b64 exec, exec, s[30:31]
	s_load_dwordx2 s[30:31], s[74:75], 0x0
	v_and_b32_e32 v21, 63, v64
	v_add_co_u32_e32 v74, vcc, v61, v21
	v_lshlrev_b32_e32 v22, 3, v21
	s_waitcnt lgkmcnt(0)
	s_cmp_lt_u32 s50, s30
	s_cselect_b32 s34, 12, 18
	s_cmp_lt_u32 s33, s31
	s_cselect_b32 s30, 14, 20
	s_add_u32 s30, s74, s30
	s_addc_u32 s31, s75, 0
	s_add_u32 s34, s74, s34
	global_load_ushort v5, v4, s[30:31]
	s_addc_u32 s35, s75, 0
	global_load_ushort v20, v4, s[34:35]
	v_addc_co_u32_e32 v76, vcc, 0, v62, vcc
	v_add_co_u32_e32 v77, vcc, v59, v22
	v_addc_co_u32_e32 v78, vcc, 0, v60, vcc
	v_or_b32_e32 v72, v21, v39
	v_add_co_u32_e32 v86, vcc, 0x1c0, v74
	v_cmp_eq_u32_e64 s[30:31], 0, v0
	v_cmp_lt_u32_e64 s[34:35], 1, v0
	s_mov_b32 s78, s71
	v_or_b32_e32 v79, 64, v72
	v_or_b32_e32 v80, 0x80, v72
	;; [unrolled: 1-line block ×7, first 2 shown]
	v_addc_co_u32_e32 v87, vcc, 0, v76, vcc
	s_mov_b32 s72, s51
                                        ; implicit-def: $vgpr0_vgpr1
                                        ; implicit-def: $vgpr6_vgpr7
                                        ; implicit-def: $vgpr8_vgpr9
                                        ; implicit-def: $vgpr10_vgpr11
                                        ; implicit-def: $vgpr12_vgpr13
                                        ; implicit-def: $vgpr14_vgpr15
                                        ; implicit-def: $vgpr16_vgpr17
                                        ; implicit-def: $vgpr18_vgpr19
                                        ; implicit-def: $vgpr66
                                        ; implicit-def: $vgpr67
                                        ; implicit-def: $vgpr68
                                        ; implicit-def: $vgpr69
                                        ; implicit-def: $vgpr70
                                        ; implicit-def: $vgpr71
                                        ; implicit-def: $vgpr73
                                        ; implicit-def: $vgpr75
	s_waitcnt vmcnt(1)
	v_mad_u32_u24 v5, v40, v5, v41
	s_waitcnt vmcnt(0)
	v_mad_u64_u32 v[20:21], s[36:37], v5, v20, v[2:3]
	v_lshrrev_b32_e32 v88, 6, v20
	s_branch .LBB293_566
.LBB293_565:                            ;   in Loop: Header=BB293_566 Depth=2
	s_or_b64 exec, exec, s[36:37]
	s_addk_i32 s78, 0xf800
	s_cmp_lt_u32 s79, s76
	s_mov_b32 s72, s79
	s_cbranch_scc0 .LBB293_10
.LBB293_566:                            ;   Parent Loop BB293_12 Depth=1
                                        ; =>  This Inner Loop Header: Depth=2
	s_add_i32 s79, s72, 0x800
	s_cmp_gt_u32 s79, s76
	s_cbranch_scc1 .LBB293_569
; %bb.567:                              ;   in Loop: Header=BB293_566 Depth=2
	v_add_co_u32_e32 v20, vcc, s72, v74
	v_addc_co_u32_e32 v21, vcc, 0, v76, vcc
	global_load_ubyte v23, v[20:21], off offset:384
	global_load_ubyte v91, v[20:21], off offset:320
	global_load_ubyte v96, v[20:21], off offset:256
	global_load_ubyte v101, v[20:21], off offset:192
	global_load_ubyte v99, v[20:21], off offset:128
	global_load_ubyte v94, v[20:21], off offset:64
	global_load_ubyte v5, v[20:21], off
	s_mov_b64 s[36:37], -1
	s_movk_i32 s40, 0x800
	s_cbranch_execz .LBB293_570
; %bb.568:                              ;   in Loop: Header=BB293_566 Depth=2
                                        ; implicit-def: $vgpr22
	v_mov_b32_e32 v89, s78
	s_and_saveexec_b64 s[38:39], s[36:37]
	s_cbranch_execnz .LBB293_579
	s_branch .LBB293_580
.LBB293_569:                            ;   in Loop: Header=BB293_566 Depth=2
	s_mov_b64 s[36:37], 0
                                        ; implicit-def: $sgpr40
                                        ; implicit-def: $vgpr5
                                        ; implicit-def: $vgpr94
                                        ; implicit-def: $vgpr99
                                        ; implicit-def: $vgpr101
                                        ; implicit-def: $vgpr96
                                        ; implicit-def: $vgpr91
                                        ; implicit-def: $vgpr23
.LBB293_570:                            ;   in Loop: Header=BB293_566 Depth=2
	v_add_co_u32_e32 v20, vcc, s72, v74
	v_addc_co_u32_e32 v21, vcc, 0, v76, vcc
	v_cmp_gt_u32_e32 vcc, s78, v72
	s_waitcnt vmcnt(0)
	v_mov_b32_e32 v5, 0x80
	v_mov_b32_e32 v22, 0x80
	;; [unrolled: 1-line block ×8, first 2 shown]
	s_and_saveexec_b64 s[36:37], vcc
	s_cbranch_execz .LBB293_672
; %bb.571:                              ;   in Loop: Header=BB293_566 Depth=2
	global_load_ubyte v5, v[20:21], off
	v_mov_b32_e32 v94, 0x80
	v_mov_b32_e32 v99, 0x80
	;; [unrolled: 1-line block ×7, first 2 shown]
	s_or_b64 exec, exec, s[36:37]
	v_cmp_gt_u32_e32 vcc, s78, v79
	s_and_saveexec_b64 s[36:37], vcc
	s_cbranch_execnz .LBB293_673
.LBB293_572:                            ;   in Loop: Header=BB293_566 Depth=2
	s_or_b64 exec, exec, s[36:37]
	v_cmp_gt_u32_e32 vcc, s78, v80
	s_and_saveexec_b64 s[36:37], vcc
	s_cbranch_execz .LBB293_674
.LBB293_573:                            ;   in Loop: Header=BB293_566 Depth=2
	global_load_ubyte v99, v[20:21], off offset:128
	s_or_b64 exec, exec, s[36:37]
	v_cmp_gt_u32_e32 vcc, s78, v81
	s_and_saveexec_b64 s[36:37], vcc
	s_cbranch_execnz .LBB293_675
.LBB293_574:                            ;   in Loop: Header=BB293_566 Depth=2
	s_or_b64 exec, exec, s[36:37]
	v_cmp_gt_u32_e32 vcc, s78, v82
	s_and_saveexec_b64 s[36:37], vcc
	s_cbranch_execz .LBB293_676
.LBB293_575:                            ;   in Loop: Header=BB293_566 Depth=2
	global_load_ubyte v96, v[20:21], off offset:256
	s_or_b64 exec, exec, s[36:37]
	v_cmp_gt_u32_e32 vcc, s78, v83
	s_and_saveexec_b64 s[36:37], vcc
	s_cbranch_execnz .LBB293_677
.LBB293_576:                            ;   in Loop: Header=BB293_566 Depth=2
	s_or_b64 exec, exec, s[36:37]
	v_cmp_gt_u32_e32 vcc, s78, v84
	s_and_saveexec_b64 s[36:37], vcc
	s_cbranch_execz .LBB293_578
.LBB293_577:                            ;   in Loop: Header=BB293_566 Depth=2
	global_load_ubyte v23, v[20:21], off offset:384
.LBB293_578:                            ;   in Loop: Header=BB293_566 Depth=2
	s_or_b64 exec, exec, s[36:37]
	s_sub_i32 s40, s76, s72
	v_cmp_gt_u32_e64 s[36:37], s78, v85
	v_mov_b32_e32 v89, s78
	s_and_saveexec_b64 s[38:39], s[36:37]
	s_cbranch_execz .LBB293_580
.LBB293_579:                            ;   in Loop: Header=BB293_566 Depth=2
	v_mov_b32_e32 v21, s73
	v_add_co_u32_e32 v20, vcc, s72, v86
	v_addc_co_u32_e32 v21, vcc, v87, v21, vcc
	global_load_ubyte v22, v[20:21], off
	v_mov_b32_e32 v89, s40
.LBB293_580:                            ;   in Loop: Header=BB293_566 Depth=2
	s_or_b64 exec, exec, s[38:39]
	s_waitcnt vmcnt(0)
	v_xor_b32_e32 v90, 0x7f, v5
	v_add_u32_e32 v5, 0x410, v42
	ds_write2_b32 v5, v4, v4 offset1:1
	ds_write2_b32 v44, v4, v4 offset0:2 offset1:3
	ds_write_b32 v44, v4 offset:16
	v_lshrrev_b32_sdwa v5, s69, v90 dst_sel:DWORD dst_unused:UNUSED_PAD src0_sel:DWORD src1_sel:BYTE_0
	v_and_b32_e32 v20, s77, v5
	v_mad_u32_u24 v5, v20, 5, v88
	v_lshl_add_u32 v92, v5, 2, v43
	v_and_b32_e32 v5, 1, v20
	v_add_co_u32_e32 v21, vcc, -1, v5
	v_addc_co_u32_e64 v93, s[36:37], 0, -1, vcc
	v_cmp_ne_u32_e32 vcc, 0, v5
	v_xor_b32_e32 v5, vcc_hi, v93
	v_and_b32_e32 v93, exec_hi, v5
	v_lshlrev_b32_e32 v5, 30, v20
	v_xor_b32_e32 v21, vcc_lo, v21
	v_cmp_gt_i64_e32 vcc, 0, v[4:5]
	v_not_b32_e32 v5, v5
	v_ashrrev_i32_e32 v5, 31, v5
	v_and_b32_e32 v21, exec_lo, v21
	v_xor_b32_e32 v95, vcc_hi, v5
	v_xor_b32_e32 v5, vcc_lo, v5
	v_and_b32_e32 v21, v21, v5
	v_lshlrev_b32_e32 v5, 29, v20
	v_cmp_gt_i64_e32 vcc, 0, v[4:5]
	v_not_b32_e32 v5, v5
	v_ashrrev_i32_e32 v5, 31, v5
	v_and_b32_e32 v93, v93, v95
	v_xor_b32_e32 v95, vcc_hi, v5
	v_xor_b32_e32 v5, vcc_lo, v5
	v_and_b32_e32 v21, v21, v5
	v_lshlrev_b32_e32 v5, 28, v20
	v_cmp_gt_i64_e32 vcc, 0, v[4:5]
	v_not_b32_e32 v5, v5
	v_ashrrev_i32_e32 v5, 31, v5
	v_and_b32_e32 v93, v93, v95
	;; [unrolled: 8-line block ×5, first 2 shown]
	v_xor_b32_e32 v95, vcc_hi, v5
	v_xor_b32_e32 v5, vcc_lo, v5
	v_and_b32_e32 v93, v93, v95
	v_and_b32_e32 v95, v21, v5
	v_lshlrev_b32_e32 v5, 24, v20
	v_cmp_gt_i64_e32 vcc, 0, v[4:5]
	v_not_b32_e32 v5, v5
	v_ashrrev_i32_e32 v5, 31, v5
	v_xor_b32_e32 v20, vcc_hi, v5
	v_xor_b32_e32 v5, vcc_lo, v5
	v_and_b32_e32 v21, v93, v20
	v_and_b32_e32 v20, v95, v5
	v_mbcnt_lo_u32_b32 v5, v20, 0
	v_mbcnt_hi_u32_b32 v93, v21, v5
	v_cmp_eq_u32_e32 vcc, 0, v93
	v_cmp_ne_u64_e64 s[36:37], 0, v[20:21]
	s_and_b64 s[38:39], s[36:37], vcc
	s_waitcnt lgkmcnt(0)
	s_barrier
	s_waitcnt lgkmcnt(0)
	; wave barrier
	s_and_saveexec_b64 s[36:37], s[38:39]
	s_cbranch_execz .LBB293_582
; %bb.581:                              ;   in Loop: Header=BB293_566 Depth=2
	v_bcnt_u32_b32 v5, v20, 0
	v_bcnt_u32_b32 v5, v21, v5
	ds_write_b32 v92, v5
.LBB293_582:                            ;   in Loop: Header=BB293_566 Depth=2
	s_or_b64 exec, exec, s[36:37]
	v_xor_b32_e32 v94, 0x7f, v94
	v_lshrrev_b32_sdwa v5, s69, v94 dst_sel:DWORD dst_unused:UNUSED_PAD src0_sel:DWORD src1_sel:BYTE_0
	v_and_b32_e32 v20, s77, v5
	v_mul_u32_u24_e32 v5, 5, v20
	v_add_lshl_u32 v5, v5, v88, 2
	; wave barrier
	v_add_u32_e32 v97, 0x410, v5
	ds_read_b32 v95, v5 offset:1040
	v_and_b32_e32 v5, 1, v20
	v_add_co_u32_e32 v21, vcc, -1, v5
	v_addc_co_u32_e64 v98, s[36:37], 0, -1, vcc
	v_cmp_ne_u32_e32 vcc, 0, v5
	v_xor_b32_e32 v5, vcc_hi, v98
	v_and_b32_e32 v98, exec_hi, v5
	v_lshlrev_b32_e32 v5, 30, v20
	v_xor_b32_e32 v21, vcc_lo, v21
	v_cmp_gt_i64_e32 vcc, 0, v[4:5]
	v_not_b32_e32 v5, v5
	v_ashrrev_i32_e32 v5, 31, v5
	v_and_b32_e32 v21, exec_lo, v21
	v_xor_b32_e32 v100, vcc_hi, v5
	v_xor_b32_e32 v5, vcc_lo, v5
	v_and_b32_e32 v21, v21, v5
	v_lshlrev_b32_e32 v5, 29, v20
	v_cmp_gt_i64_e32 vcc, 0, v[4:5]
	v_not_b32_e32 v5, v5
	v_ashrrev_i32_e32 v5, 31, v5
	v_and_b32_e32 v98, v98, v100
	v_xor_b32_e32 v100, vcc_hi, v5
	v_xor_b32_e32 v5, vcc_lo, v5
	v_and_b32_e32 v21, v21, v5
	v_lshlrev_b32_e32 v5, 28, v20
	v_cmp_gt_i64_e32 vcc, 0, v[4:5]
	v_not_b32_e32 v5, v5
	v_ashrrev_i32_e32 v5, 31, v5
	v_and_b32_e32 v98, v98, v100
	;; [unrolled: 8-line block ×5, first 2 shown]
	v_xor_b32_e32 v100, vcc_hi, v5
	v_xor_b32_e32 v5, vcc_lo, v5
	v_and_b32_e32 v98, v98, v100
	v_and_b32_e32 v100, v21, v5
	v_lshlrev_b32_e32 v5, 24, v20
	v_cmp_gt_i64_e32 vcc, 0, v[4:5]
	v_not_b32_e32 v5, v5
	v_ashrrev_i32_e32 v5, 31, v5
	v_xor_b32_e32 v20, vcc_hi, v5
	v_xor_b32_e32 v5, vcc_lo, v5
	v_and_b32_e32 v21, v98, v20
	v_and_b32_e32 v20, v100, v5
	v_mbcnt_lo_u32_b32 v5, v20, 0
	v_mbcnt_hi_u32_b32 v98, v21, v5
	v_cmp_eq_u32_e32 vcc, 0, v98
	v_cmp_ne_u64_e64 s[36:37], 0, v[20:21]
	s_and_b64 s[38:39], s[36:37], vcc
	; wave barrier
	s_and_saveexec_b64 s[36:37], s[38:39]
	s_cbranch_execz .LBB293_584
; %bb.583:                              ;   in Loop: Header=BB293_566 Depth=2
	v_bcnt_u32_b32 v5, v20, 0
	v_bcnt_u32_b32 v5, v21, v5
	s_waitcnt lgkmcnt(0)
	v_add_u32_e32 v5, v95, v5
	ds_write_b32 v97, v5
.LBB293_584:                            ;   in Loop: Header=BB293_566 Depth=2
	s_or_b64 exec, exec, s[36:37]
	v_xor_b32_e32 v99, 0x7f, v99
	v_lshrrev_b32_sdwa v5, s69, v99 dst_sel:DWORD dst_unused:UNUSED_PAD src0_sel:DWORD src1_sel:BYTE_0
	v_and_b32_e32 v20, s77, v5
	v_mul_u32_u24_e32 v5, 5, v20
	v_add_lshl_u32 v5, v5, v88, 2
	; wave barrier
	v_add_u32_e32 v102, 0x410, v5
	ds_read_b32 v100, v5 offset:1040
	v_and_b32_e32 v5, 1, v20
	v_add_co_u32_e32 v21, vcc, -1, v5
	v_addc_co_u32_e64 v103, s[36:37], 0, -1, vcc
	v_cmp_ne_u32_e32 vcc, 0, v5
	v_xor_b32_e32 v5, vcc_hi, v103
	v_and_b32_e32 v103, exec_hi, v5
	v_lshlrev_b32_e32 v5, 30, v20
	v_xor_b32_e32 v21, vcc_lo, v21
	v_cmp_gt_i64_e32 vcc, 0, v[4:5]
	v_not_b32_e32 v5, v5
	v_ashrrev_i32_e32 v5, 31, v5
	v_and_b32_e32 v21, exec_lo, v21
	v_xor_b32_e32 v104, vcc_hi, v5
	v_xor_b32_e32 v5, vcc_lo, v5
	v_and_b32_e32 v21, v21, v5
	v_lshlrev_b32_e32 v5, 29, v20
	v_cmp_gt_i64_e32 vcc, 0, v[4:5]
	v_not_b32_e32 v5, v5
	v_ashrrev_i32_e32 v5, 31, v5
	v_and_b32_e32 v103, v103, v104
	v_xor_b32_e32 v104, vcc_hi, v5
	v_xor_b32_e32 v5, vcc_lo, v5
	v_and_b32_e32 v21, v21, v5
	v_lshlrev_b32_e32 v5, 28, v20
	v_cmp_gt_i64_e32 vcc, 0, v[4:5]
	v_not_b32_e32 v5, v5
	v_ashrrev_i32_e32 v5, 31, v5
	v_and_b32_e32 v103, v103, v104
	;; [unrolled: 8-line block ×5, first 2 shown]
	v_xor_b32_e32 v104, vcc_hi, v5
	v_xor_b32_e32 v5, vcc_lo, v5
	v_and_b32_e32 v103, v103, v104
	v_and_b32_e32 v104, v21, v5
	v_lshlrev_b32_e32 v5, 24, v20
	v_cmp_gt_i64_e32 vcc, 0, v[4:5]
	v_not_b32_e32 v5, v5
	v_ashrrev_i32_e32 v5, 31, v5
	v_xor_b32_e32 v20, vcc_hi, v5
	v_xor_b32_e32 v5, vcc_lo, v5
	v_and_b32_e32 v21, v103, v20
	v_and_b32_e32 v20, v104, v5
	v_mbcnt_lo_u32_b32 v5, v20, 0
	v_mbcnt_hi_u32_b32 v103, v21, v5
	v_cmp_eq_u32_e32 vcc, 0, v103
	v_cmp_ne_u64_e64 s[36:37], 0, v[20:21]
	s_and_b64 s[38:39], s[36:37], vcc
	; wave barrier
	s_and_saveexec_b64 s[36:37], s[38:39]
	s_cbranch_execz .LBB293_586
; %bb.585:                              ;   in Loop: Header=BB293_566 Depth=2
	v_bcnt_u32_b32 v5, v20, 0
	v_bcnt_u32_b32 v5, v21, v5
	s_waitcnt lgkmcnt(0)
	v_add_u32_e32 v5, v100, v5
	ds_write_b32 v102, v5
.LBB293_586:                            ;   in Loop: Header=BB293_566 Depth=2
	s_or_b64 exec, exec, s[36:37]
	v_xor_b32_e32 v101, 0x7f, v101
	v_lshrrev_b32_sdwa v5, s69, v101 dst_sel:DWORD dst_unused:UNUSED_PAD src0_sel:DWORD src1_sel:BYTE_0
	v_and_b32_e32 v20, s77, v5
	v_mul_u32_u24_e32 v5, 5, v20
	v_add_lshl_u32 v5, v5, v88, 2
	; wave barrier
	v_add_u32_e32 v105, 0x410, v5
	ds_read_b32 v104, v5 offset:1040
	v_and_b32_e32 v5, 1, v20
	v_add_co_u32_e32 v21, vcc, -1, v5
	v_addc_co_u32_e64 v106, s[36:37], 0, -1, vcc
	v_cmp_ne_u32_e32 vcc, 0, v5
	v_xor_b32_e32 v5, vcc_hi, v106
	v_and_b32_e32 v106, exec_hi, v5
	v_lshlrev_b32_e32 v5, 30, v20
	v_xor_b32_e32 v21, vcc_lo, v21
	v_cmp_gt_i64_e32 vcc, 0, v[4:5]
	v_not_b32_e32 v5, v5
	v_ashrrev_i32_e32 v5, 31, v5
	v_and_b32_e32 v21, exec_lo, v21
	v_xor_b32_e32 v107, vcc_hi, v5
	v_xor_b32_e32 v5, vcc_lo, v5
	v_and_b32_e32 v21, v21, v5
	v_lshlrev_b32_e32 v5, 29, v20
	v_cmp_gt_i64_e32 vcc, 0, v[4:5]
	v_not_b32_e32 v5, v5
	v_ashrrev_i32_e32 v5, 31, v5
	v_and_b32_e32 v106, v106, v107
	v_xor_b32_e32 v107, vcc_hi, v5
	v_xor_b32_e32 v5, vcc_lo, v5
	v_and_b32_e32 v21, v21, v5
	v_lshlrev_b32_e32 v5, 28, v20
	v_cmp_gt_i64_e32 vcc, 0, v[4:5]
	v_not_b32_e32 v5, v5
	v_ashrrev_i32_e32 v5, 31, v5
	v_and_b32_e32 v106, v106, v107
	v_xor_b32_e32 v107, vcc_hi, v5
	v_xor_b32_e32 v5, vcc_lo, v5
	v_and_b32_e32 v21, v21, v5
	v_lshlrev_b32_e32 v5, 27, v20
	v_cmp_gt_i64_e32 vcc, 0, v[4:5]
	v_not_b32_e32 v5, v5
	v_ashrrev_i32_e32 v5, 31, v5
	v_and_b32_e32 v106, v106, v107
	v_xor_b32_e32 v107, vcc_hi, v5
	v_xor_b32_e32 v5, vcc_lo, v5
	v_and_b32_e32 v21, v21, v5
	v_lshlrev_b32_e32 v5, 26, v20
	v_cmp_gt_i64_e32 vcc, 0, v[4:5]
	v_not_b32_e32 v5, v5
	v_ashrrev_i32_e32 v5, 31, v5
	v_and_b32_e32 v106, v106, v107
	v_xor_b32_e32 v107, vcc_hi, v5
	v_xor_b32_e32 v5, vcc_lo, v5
	v_and_b32_e32 v21, v21, v5
	v_lshlrev_b32_e32 v5, 25, v20
	v_cmp_gt_i64_e32 vcc, 0, v[4:5]
	v_not_b32_e32 v5, v5
	v_ashrrev_i32_e32 v5, 31, v5
	v_and_b32_e32 v106, v106, v107
	v_xor_b32_e32 v107, vcc_hi, v5
	v_xor_b32_e32 v5, vcc_lo, v5
	v_and_b32_e32 v106, v106, v107
	v_and_b32_e32 v107, v21, v5
	v_lshlrev_b32_e32 v5, 24, v20
	v_cmp_gt_i64_e32 vcc, 0, v[4:5]
	v_not_b32_e32 v5, v5
	v_ashrrev_i32_e32 v5, 31, v5
	v_xor_b32_e32 v20, vcc_hi, v5
	v_xor_b32_e32 v5, vcc_lo, v5
	v_and_b32_e32 v21, v106, v20
	v_and_b32_e32 v20, v107, v5
	v_mbcnt_lo_u32_b32 v5, v20, 0
	v_mbcnt_hi_u32_b32 v106, v21, v5
	v_cmp_eq_u32_e32 vcc, 0, v106
	v_cmp_ne_u64_e64 s[36:37], 0, v[20:21]
	s_and_b64 s[38:39], s[36:37], vcc
	; wave barrier
	s_and_saveexec_b64 s[36:37], s[38:39]
	s_cbranch_execz .LBB293_588
; %bb.587:                              ;   in Loop: Header=BB293_566 Depth=2
	v_bcnt_u32_b32 v5, v20, 0
	v_bcnt_u32_b32 v5, v21, v5
	s_waitcnt lgkmcnt(0)
	v_add_u32_e32 v5, v104, v5
	ds_write_b32 v105, v5
.LBB293_588:                            ;   in Loop: Header=BB293_566 Depth=2
	s_or_b64 exec, exec, s[36:37]
	v_xor_b32_e32 v96, 0x7f, v96
	v_lshrrev_b32_sdwa v5, s69, v96 dst_sel:DWORD dst_unused:UNUSED_PAD src0_sel:DWORD src1_sel:BYTE_0
	v_and_b32_e32 v20, s77, v5
	v_mul_u32_u24_e32 v5, 5, v20
	v_add_lshl_u32 v5, v5, v88, 2
	; wave barrier
	v_add_u32_e32 v108, 0x410, v5
	ds_read_b32 v107, v5 offset:1040
	v_and_b32_e32 v5, 1, v20
	v_add_co_u32_e32 v21, vcc, -1, v5
	v_addc_co_u32_e64 v109, s[36:37], 0, -1, vcc
	v_cmp_ne_u32_e32 vcc, 0, v5
	v_xor_b32_e32 v5, vcc_hi, v109
	v_and_b32_e32 v109, exec_hi, v5
	v_lshlrev_b32_e32 v5, 30, v20
	v_xor_b32_e32 v21, vcc_lo, v21
	v_cmp_gt_i64_e32 vcc, 0, v[4:5]
	v_not_b32_e32 v5, v5
	v_ashrrev_i32_e32 v5, 31, v5
	v_and_b32_e32 v21, exec_lo, v21
	v_xor_b32_e32 v110, vcc_hi, v5
	v_xor_b32_e32 v5, vcc_lo, v5
	v_and_b32_e32 v21, v21, v5
	v_lshlrev_b32_e32 v5, 29, v20
	v_cmp_gt_i64_e32 vcc, 0, v[4:5]
	v_not_b32_e32 v5, v5
	v_ashrrev_i32_e32 v5, 31, v5
	v_and_b32_e32 v109, v109, v110
	v_xor_b32_e32 v110, vcc_hi, v5
	v_xor_b32_e32 v5, vcc_lo, v5
	v_and_b32_e32 v21, v21, v5
	v_lshlrev_b32_e32 v5, 28, v20
	v_cmp_gt_i64_e32 vcc, 0, v[4:5]
	v_not_b32_e32 v5, v5
	v_ashrrev_i32_e32 v5, 31, v5
	v_and_b32_e32 v109, v109, v110
	;; [unrolled: 8-line block ×5, first 2 shown]
	v_xor_b32_e32 v110, vcc_hi, v5
	v_xor_b32_e32 v5, vcc_lo, v5
	v_and_b32_e32 v109, v109, v110
	v_and_b32_e32 v110, v21, v5
	v_lshlrev_b32_e32 v5, 24, v20
	v_cmp_gt_i64_e32 vcc, 0, v[4:5]
	v_not_b32_e32 v5, v5
	v_ashrrev_i32_e32 v5, 31, v5
	v_xor_b32_e32 v20, vcc_hi, v5
	v_xor_b32_e32 v5, vcc_lo, v5
	v_and_b32_e32 v21, v109, v20
	v_and_b32_e32 v20, v110, v5
	v_mbcnt_lo_u32_b32 v5, v20, 0
	v_mbcnt_hi_u32_b32 v109, v21, v5
	v_cmp_eq_u32_e32 vcc, 0, v109
	v_cmp_ne_u64_e64 s[36:37], 0, v[20:21]
	s_and_b64 s[38:39], s[36:37], vcc
	; wave barrier
	s_and_saveexec_b64 s[36:37], s[38:39]
	s_cbranch_execz .LBB293_590
; %bb.589:                              ;   in Loop: Header=BB293_566 Depth=2
	v_bcnt_u32_b32 v5, v20, 0
	v_bcnt_u32_b32 v5, v21, v5
	s_waitcnt lgkmcnt(0)
	v_add_u32_e32 v5, v107, v5
	ds_write_b32 v108, v5
.LBB293_590:                            ;   in Loop: Header=BB293_566 Depth=2
	s_or_b64 exec, exec, s[36:37]
	v_xor_b32_e32 v91, 0x7f, v91
	v_lshrrev_b32_sdwa v5, s69, v91 dst_sel:DWORD dst_unused:UNUSED_PAD src0_sel:DWORD src1_sel:BYTE_0
	v_and_b32_e32 v20, s77, v5
	v_mul_u32_u24_e32 v5, 5, v20
	v_add_lshl_u32 v5, v5, v88, 2
	; wave barrier
	v_add_u32_e32 v111, 0x410, v5
	ds_read_b32 v110, v5 offset:1040
	v_and_b32_e32 v5, 1, v20
	v_add_co_u32_e32 v21, vcc, -1, v5
	v_addc_co_u32_e64 v112, s[36:37], 0, -1, vcc
	v_cmp_ne_u32_e32 vcc, 0, v5
	v_xor_b32_e32 v5, vcc_hi, v112
	v_and_b32_e32 v112, exec_hi, v5
	v_lshlrev_b32_e32 v5, 30, v20
	v_xor_b32_e32 v21, vcc_lo, v21
	v_cmp_gt_i64_e32 vcc, 0, v[4:5]
	v_not_b32_e32 v5, v5
	v_ashrrev_i32_e32 v5, 31, v5
	v_and_b32_e32 v21, exec_lo, v21
	v_xor_b32_e32 v113, vcc_hi, v5
	v_xor_b32_e32 v5, vcc_lo, v5
	v_and_b32_e32 v21, v21, v5
	v_lshlrev_b32_e32 v5, 29, v20
	v_cmp_gt_i64_e32 vcc, 0, v[4:5]
	v_not_b32_e32 v5, v5
	v_ashrrev_i32_e32 v5, 31, v5
	v_and_b32_e32 v112, v112, v113
	v_xor_b32_e32 v113, vcc_hi, v5
	v_xor_b32_e32 v5, vcc_lo, v5
	v_and_b32_e32 v21, v21, v5
	v_lshlrev_b32_e32 v5, 28, v20
	v_cmp_gt_i64_e32 vcc, 0, v[4:5]
	v_not_b32_e32 v5, v5
	v_ashrrev_i32_e32 v5, 31, v5
	v_and_b32_e32 v112, v112, v113
	;; [unrolled: 8-line block ×5, first 2 shown]
	v_xor_b32_e32 v113, vcc_hi, v5
	v_xor_b32_e32 v5, vcc_lo, v5
	v_and_b32_e32 v112, v112, v113
	v_and_b32_e32 v113, v21, v5
	v_lshlrev_b32_e32 v5, 24, v20
	v_cmp_gt_i64_e32 vcc, 0, v[4:5]
	v_not_b32_e32 v5, v5
	v_ashrrev_i32_e32 v5, 31, v5
	v_xor_b32_e32 v20, vcc_hi, v5
	v_xor_b32_e32 v5, vcc_lo, v5
	v_and_b32_e32 v21, v112, v20
	v_and_b32_e32 v20, v113, v5
	v_mbcnt_lo_u32_b32 v5, v20, 0
	v_mbcnt_hi_u32_b32 v112, v21, v5
	v_cmp_eq_u32_e32 vcc, 0, v112
	v_cmp_ne_u64_e64 s[36:37], 0, v[20:21]
	s_and_b64 s[38:39], s[36:37], vcc
	; wave barrier
	s_and_saveexec_b64 s[36:37], s[38:39]
	s_cbranch_execz .LBB293_592
; %bb.591:                              ;   in Loop: Header=BB293_566 Depth=2
	v_bcnt_u32_b32 v5, v20, 0
	v_bcnt_u32_b32 v5, v21, v5
	s_waitcnt lgkmcnt(0)
	v_add_u32_e32 v5, v110, v5
	ds_write_b32 v111, v5
.LBB293_592:                            ;   in Loop: Header=BB293_566 Depth=2
	s_or_b64 exec, exec, s[36:37]
	v_xor_b32_e32 v113, 0x7f, v23
	v_lshrrev_b32_sdwa v5, s69, v113 dst_sel:DWORD dst_unused:UNUSED_PAD src0_sel:DWORD src1_sel:BYTE_0
	v_and_b32_e32 v20, s77, v5
	v_mul_u32_u24_e32 v5, 5, v20
	v_add_lshl_u32 v5, v5, v88, 2
	; wave barrier
	v_add_u32_e32 v115, 0x410, v5
	ds_read_b32 v114, v5 offset:1040
	v_and_b32_e32 v5, 1, v20
	v_add_co_u32_e32 v21, vcc, -1, v5
	v_addc_co_u32_e64 v23, s[36:37], 0, -1, vcc
	v_cmp_ne_u32_e32 vcc, 0, v5
	v_xor_b32_e32 v5, vcc_hi, v23
	v_and_b32_e32 v23, exec_hi, v5
	v_lshlrev_b32_e32 v5, 30, v20
	v_xor_b32_e32 v21, vcc_lo, v21
	v_cmp_gt_i64_e32 vcc, 0, v[4:5]
	v_not_b32_e32 v5, v5
	v_ashrrev_i32_e32 v5, 31, v5
	v_and_b32_e32 v21, exec_lo, v21
	v_xor_b32_e32 v116, vcc_hi, v5
	v_xor_b32_e32 v5, vcc_lo, v5
	v_and_b32_e32 v21, v21, v5
	v_lshlrev_b32_e32 v5, 29, v20
	v_cmp_gt_i64_e32 vcc, 0, v[4:5]
	v_not_b32_e32 v5, v5
	v_ashrrev_i32_e32 v5, 31, v5
	v_and_b32_e32 v23, v23, v116
	v_xor_b32_e32 v116, vcc_hi, v5
	v_xor_b32_e32 v5, vcc_lo, v5
	v_and_b32_e32 v21, v21, v5
	v_lshlrev_b32_e32 v5, 28, v20
	v_cmp_gt_i64_e32 vcc, 0, v[4:5]
	v_not_b32_e32 v5, v5
	v_ashrrev_i32_e32 v5, 31, v5
	v_and_b32_e32 v23, v23, v116
	;; [unrolled: 8-line block ×5, first 2 shown]
	v_xor_b32_e32 v116, vcc_hi, v5
	v_xor_b32_e32 v5, vcc_lo, v5
	v_and_b32_e32 v23, v23, v116
	v_and_b32_e32 v116, v21, v5
	v_lshlrev_b32_e32 v5, 24, v20
	v_cmp_gt_i64_e32 vcc, 0, v[4:5]
	v_not_b32_e32 v5, v5
	v_ashrrev_i32_e32 v5, 31, v5
	v_xor_b32_e32 v20, vcc_hi, v5
	v_xor_b32_e32 v5, vcc_lo, v5
	v_and_b32_e32 v21, v23, v20
	v_and_b32_e32 v20, v116, v5
	v_mbcnt_lo_u32_b32 v5, v20, 0
	v_mbcnt_hi_u32_b32 v116, v21, v5
	v_cmp_eq_u32_e32 vcc, 0, v116
	v_cmp_ne_u64_e64 s[36:37], 0, v[20:21]
	s_and_b64 s[38:39], s[36:37], vcc
	; wave barrier
	s_and_saveexec_b64 s[36:37], s[38:39]
	s_cbranch_execz .LBB293_594
; %bb.593:                              ;   in Loop: Header=BB293_566 Depth=2
	v_bcnt_u32_b32 v5, v20, 0
	v_bcnt_u32_b32 v5, v21, v5
	s_waitcnt lgkmcnt(0)
	v_add_u32_e32 v5, v114, v5
	ds_write_b32 v115, v5
.LBB293_594:                            ;   in Loop: Header=BB293_566 Depth=2
	s_or_b64 exec, exec, s[36:37]
	v_xor_b32_e32 v117, 0x7f, v22
	v_lshrrev_b32_sdwa v5, s69, v117 dst_sel:DWORD dst_unused:UNUSED_PAD src0_sel:DWORD src1_sel:BYTE_0
	v_and_b32_e32 v20, s77, v5
	v_mul_u32_u24_e32 v5, 5, v20
	v_add_lshl_u32 v5, v5, v88, 2
	; wave barrier
	v_add_u32_e32 v119, 0x410, v5
	ds_read_b32 v118, v5 offset:1040
	v_and_b32_e32 v5, 1, v20
	v_add_co_u32_e32 v21, vcc, -1, v5
	v_addc_co_u32_e64 v22, s[36:37], 0, -1, vcc
	v_cmp_ne_u32_e32 vcc, 0, v5
	v_xor_b32_e32 v5, vcc_hi, v22
	v_and_b32_e32 v22, exec_hi, v5
	v_lshlrev_b32_e32 v5, 30, v20
	v_xor_b32_e32 v21, vcc_lo, v21
	v_cmp_gt_i64_e32 vcc, 0, v[4:5]
	v_not_b32_e32 v5, v5
	v_ashrrev_i32_e32 v5, 31, v5
	v_and_b32_e32 v21, exec_lo, v21
	v_xor_b32_e32 v23, vcc_hi, v5
	v_xor_b32_e32 v5, vcc_lo, v5
	v_and_b32_e32 v21, v21, v5
	v_lshlrev_b32_e32 v5, 29, v20
	v_cmp_gt_i64_e32 vcc, 0, v[4:5]
	v_not_b32_e32 v5, v5
	v_ashrrev_i32_e32 v5, 31, v5
	v_and_b32_e32 v22, v22, v23
	v_xor_b32_e32 v23, vcc_hi, v5
	v_xor_b32_e32 v5, vcc_lo, v5
	v_and_b32_e32 v21, v21, v5
	v_lshlrev_b32_e32 v5, 28, v20
	v_cmp_gt_i64_e32 vcc, 0, v[4:5]
	v_not_b32_e32 v5, v5
	v_ashrrev_i32_e32 v5, 31, v5
	v_and_b32_e32 v22, v22, v23
	;; [unrolled: 8-line block ×5, first 2 shown]
	v_xor_b32_e32 v23, vcc_hi, v5
	v_xor_b32_e32 v5, vcc_lo, v5
	v_and_b32_e32 v22, v22, v23
	v_and_b32_e32 v23, v21, v5
	v_lshlrev_b32_e32 v5, 24, v20
	v_cmp_gt_i64_e32 vcc, 0, v[4:5]
	v_not_b32_e32 v5, v5
	v_ashrrev_i32_e32 v5, 31, v5
	v_xor_b32_e32 v20, vcc_hi, v5
	v_xor_b32_e32 v5, vcc_lo, v5
	v_and_b32_e32 v21, v22, v20
	v_and_b32_e32 v20, v23, v5
	v_mbcnt_lo_u32_b32 v5, v20, 0
	v_mbcnt_hi_u32_b32 v120, v21, v5
	v_cmp_eq_u32_e32 vcc, 0, v120
	v_cmp_ne_u64_e64 s[36:37], 0, v[20:21]
	s_and_b64 s[38:39], s[36:37], vcc
	; wave barrier
	s_and_saveexec_b64 s[36:37], s[38:39]
	s_cbranch_execz .LBB293_596
; %bb.595:                              ;   in Loop: Header=BB293_566 Depth=2
	v_bcnt_u32_b32 v5, v20, 0
	v_bcnt_u32_b32 v5, v21, v5
	s_waitcnt lgkmcnt(0)
	v_add_u32_e32 v5, v118, v5
	ds_write_b32 v119, v5
.LBB293_596:                            ;   in Loop: Header=BB293_566 Depth=2
	s_or_b64 exec, exec, s[36:37]
	; wave barrier
	s_waitcnt lgkmcnt(0)
	s_barrier
	ds_read_b32 v5, v42 offset:1040
	ds_read2_b32 v[22:23], v44 offset0:1 offset1:2
	ds_read2_b32 v[20:21], v44 offset0:3 offset1:4
	s_waitcnt lgkmcnt(1)
	v_add3_u32 v121, v22, v5, v23
	s_waitcnt lgkmcnt(0)
	v_add3_u32 v21, v121, v20, v21
	s_nop 1
	v_mov_b32_dpp v121, v21 row_shr:1 row_mask:0xf bank_mask:0xf
	v_cndmask_b32_e64 v121, v121, 0, s[16:17]
	v_add_u32_e32 v21, v121, v21
	s_nop 1
	v_mov_b32_dpp v121, v21 row_shr:2 row_mask:0xf bank_mask:0xf
	v_cndmask_b32_e64 v121, 0, v121, s[18:19]
	v_add_u32_e32 v21, v21, v121
	;; [unrolled: 4-line block ×4, first 2 shown]
	s_nop 1
	v_mov_b32_dpp v121, v21 row_bcast:15 row_mask:0xf bank_mask:0xf
	v_cndmask_b32_e64 v121, v121, 0, s[24:25]
	v_add_u32_e32 v21, v21, v121
	s_nop 1
	v_mov_b32_dpp v121, v21 row_bcast:31 row_mask:0xf bank_mask:0xf
	v_cndmask_b32_e64 v121, 0, v121, s[26:27]
	v_add_u32_e32 v21, v21, v121
	s_and_saveexec_b64 s[36:37], s[6:7]
	s_cbranch_execz .LBB293_598
; %bb.597:                              ;   in Loop: Header=BB293_566 Depth=2
	ds_write_b32 v35, v21 offset:1024
.LBB293_598:                            ;   in Loop: Header=BB293_566 Depth=2
	s_or_b64 exec, exec, s[36:37]
	s_waitcnt lgkmcnt(0)
	s_barrier
	s_and_saveexec_b64 s[36:37], s[8:9]
	s_cbranch_execz .LBB293_600
; %bb.599:                              ;   in Loop: Header=BB293_566 Depth=2
	v_add_u32_e32 v121, v42, v45
	ds_read_b32 v122, v121 offset:1024
	s_waitcnt lgkmcnt(0)
	s_nop 0
	v_mov_b32_dpp v123, v122 row_shr:1 row_mask:0xf bank_mask:0xf
	v_cndmask_b32_e64 v123, v123, 0, s[30:31]
	v_add_u32_e32 v122, v123, v122
	s_nop 1
	v_mov_b32_dpp v123, v122 row_shr:2 row_mask:0xf bank_mask:0xf
	v_cndmask_b32_e64 v123, 0, v123, s[34:35]
	v_add_u32_e32 v122, v122, v123
	ds_write_b32 v121, v122 offset:1024
.LBB293_600:                            ;   in Loop: Header=BB293_566 Depth=2
	s_or_b64 exec, exec, s[36:37]
	v_mov_b32_e32 v121, 0
	s_waitcnt lgkmcnt(0)
	s_barrier
	s_and_saveexec_b64 s[36:37], s[10:11]
	s_cbranch_execz .LBB293_602
; %bb.601:                              ;   in Loop: Header=BB293_566 Depth=2
	ds_read_b32 v121, v35 offset:1020
.LBB293_602:                            ;   in Loop: Header=BB293_566 Depth=2
	s_or_b64 exec, exec, s[36:37]
	s_waitcnt lgkmcnt(0)
	v_add_u32_e32 v21, v121, v21
	ds_bpermute_b32 v21, v65, v21
	s_waitcnt lgkmcnt(0)
	v_cndmask_b32_e64 v21, v21, v121, s[28:29]
	v_cndmask_b32_e64 v21, v21, 0, s[12:13]
	v_add_u32_e32 v5, v21, v5
	ds_write_b32 v42, v21 offset:1040
	v_add_u32_e32 v21, v5, v22
	v_add_u32_e32 v22, v21, v23
	ds_write2_b32 v44, v5, v21 offset0:1 offset1:2
	v_add_u32_e32 v5, v22, v20
	ds_write2_b32 v44, v22, v5 offset0:3 offset1:4
	s_waitcnt lgkmcnt(0)
	s_barrier
	ds_read_b32 v20, v97
	ds_read_b32 v21, v102
	;; [unrolled: 1-line block ×8, first 2 shown]
	ds_read_b32 v97, v42 offset:1040
	v_mov_b32_e32 v5, 0x800
	s_and_saveexec_b64 s[36:37], s[14:15]
	s_cbranch_execz .LBB293_604
; %bb.603:                              ;   in Loop: Header=BB293_566 Depth=2
	ds_read_b32 v5, v42 offset:1060
.LBB293_604:                            ;   in Loop: Header=BB293_566 Depth=2
	s_or_b64 exec, exec, s[36:37]
	s_waitcnt lgkmcnt(0)
	s_barrier
	s_and_saveexec_b64 s[36:37], s[4:5]
	s_cbranch_execz .LBB293_606
; %bb.605:                              ;   in Loop: Header=BB293_566 Depth=2
	ds_read_b32 v102, v3
	s_waitcnt lgkmcnt(0)
	v_sub_u32_e32 v97, v102, v97
	ds_write_b32 v3, v97
.LBB293_606:                            ;   in Loop: Header=BB293_566 Depth=2
	s_or_b64 exec, exec, s[36:37]
	v_add_u32_e32 v102, v92, v93
	v_add3_u32 v98, v98, v95, v20
	v_add3_u32 v97, v103, v100, v21
	;; [unrolled: 1-line block ×7, first 2 shown]
	v_cmp_lt_u32_e64 s[48:49], v2, v89
	ds_write_b8 v102, v90 offset:1024
	ds_write_b8 v98, v94 offset:1024
	ds_write_b8 v97, v99 offset:1024
	ds_write_b8 v95, v101 offset:1024
	ds_write_b8 v93, v96 offset:1024
	ds_write_b8 v92, v91 offset:1024
	ds_write_b8 v23, v113 offset:1024
	ds_write_b8 v22, v117 offset:1024
	s_waitcnt lgkmcnt(0)
	s_barrier
	s_and_saveexec_b64 s[36:37], s[48:49]
	s_cbranch_execz .LBB293_614
; %bb.607:                              ;   in Loop: Header=BB293_566 Depth=2
	ds_read_u8 v20, v2 offset:1024
	s_waitcnt lgkmcnt(0)
	v_lshrrev_b32_sdwa v21, s69, v20 dst_sel:DWORD dst_unused:UNUSED_PAD src0_sel:DWORD src1_sel:BYTE_0
	v_and_b32_e32 v21, s77, v21
	v_lshlrev_b32_e32 v21, 2, v21
	ds_read_b32 v21, v21
	v_xor_b32_e32 v20, 0x7f, v20
	s_waitcnt lgkmcnt(0)
	v_add_u32_e32 v21, v21, v2
	global_store_byte v21, v20, s[60:61]
	s_or_b64 exec, exec, s[36:37]
	v_cmp_lt_u32_e64 s[46:47], v24, v89
	s_and_saveexec_b64 s[36:37], s[46:47]
	s_cbranch_execnz .LBB293_615
.LBB293_608:                            ;   in Loop: Header=BB293_566 Depth=2
	s_or_b64 exec, exec, s[36:37]
	v_cmp_lt_u32_e64 s[44:45], v25, v89
	s_and_saveexec_b64 s[36:37], s[44:45]
	s_cbranch_execz .LBB293_616
.LBB293_609:                            ;   in Loop: Header=BB293_566 Depth=2
	ds_read_u8 v20, v30 offset:512
	s_waitcnt lgkmcnt(0)
	v_lshrrev_b32_sdwa v21, s69, v20 dst_sel:DWORD dst_unused:UNUSED_PAD src0_sel:DWORD src1_sel:BYTE_0
	v_and_b32_e32 v21, s77, v21
	v_lshlrev_b32_e32 v21, 2, v21
	ds_read_b32 v21, v21
	v_xor_b32_e32 v20, 0x7f, v20
	s_waitcnt lgkmcnt(0)
	v_add_u32_e32 v21, v21, v25
	global_store_byte v21, v20, s[60:61]
	s_or_b64 exec, exec, s[36:37]
	v_cmp_lt_u32_e64 s[42:43], v26, v89
	s_and_saveexec_b64 s[36:37], s[42:43]
	s_cbranch_execnz .LBB293_617
.LBB293_610:                            ;   in Loop: Header=BB293_566 Depth=2
	s_or_b64 exec, exec, s[36:37]
	v_cmp_lt_u32_e64 s[40:41], v30, v89
	s_and_saveexec_b64 s[36:37], s[40:41]
	s_cbranch_execz .LBB293_618
.LBB293_611:                            ;   in Loop: Header=BB293_566 Depth=2
	ds_read_u8 v20, v30 offset:1024
	s_waitcnt lgkmcnt(0)
	v_lshrrev_b32_sdwa v21, s69, v20 dst_sel:DWORD dst_unused:UNUSED_PAD src0_sel:DWORD src1_sel:BYTE_0
	v_and_b32_e32 v21, s77, v21
	v_lshlrev_b32_e32 v21, 2, v21
	ds_read_b32 v21, v21
	v_xor_b32_e32 v20, 0x7f, v20
	s_waitcnt lgkmcnt(0)
	v_add_u32_e32 v21, v21, v30
	global_store_byte v21, v20, s[60:61]
	s_or_b64 exec, exec, s[36:37]
	v_cmp_lt_u32_e64 s[38:39], v31, v89
	s_and_saveexec_b64 s[36:37], s[38:39]
	s_cbranch_execnz .LBB293_619
.LBB293_612:                            ;   in Loop: Header=BB293_566 Depth=2
	s_or_b64 exec, exec, s[36:37]
	v_cmp_lt_u32_e64 s[36:37], v32, v89
	s_and_saveexec_b64 s[52:53], s[36:37]
	s_cbranch_execz .LBB293_620
.LBB293_613:                            ;   in Loop: Header=BB293_566 Depth=2
	ds_read_u8 v20, v30 offset:1536
	s_waitcnt lgkmcnt(0)
	v_lshrrev_b32_sdwa v21, s69, v20 dst_sel:DWORD dst_unused:UNUSED_PAD src0_sel:DWORD src1_sel:BYTE_0
	v_and_b32_e32 v21, s77, v21
	v_lshlrev_b32_e32 v21, 2, v21
	ds_read_b32 v21, v21
	v_xor_b32_e32 v20, 0x7f, v20
	s_waitcnt lgkmcnt(0)
	v_add_u32_e32 v21, v21, v32
	global_store_byte v21, v20, s[60:61]
	s_or_b64 exec, exec, s[52:53]
	v_cmp_lt_u32_e32 vcc, v33, v89
	s_and_saveexec_b64 s[52:53], vcc
	s_cbranch_execnz .LBB293_621
	s_branch .LBB293_622
.LBB293_614:                            ;   in Loop: Header=BB293_566 Depth=2
	s_or_b64 exec, exec, s[36:37]
	v_cmp_lt_u32_e64 s[46:47], v24, v89
	s_and_saveexec_b64 s[36:37], s[46:47]
	s_cbranch_execz .LBB293_608
.LBB293_615:                            ;   in Loop: Header=BB293_566 Depth=2
	ds_read_u8 v20, v30 offset:256
	s_waitcnt lgkmcnt(0)
	v_lshrrev_b32_sdwa v21, s69, v20 dst_sel:DWORD dst_unused:UNUSED_PAD src0_sel:DWORD src1_sel:BYTE_0
	v_and_b32_e32 v21, s77, v21
	v_lshlrev_b32_e32 v21, 2, v21
	ds_read_b32 v21, v21
	v_xor_b32_e32 v20, 0x7f, v20
	s_waitcnt lgkmcnt(0)
	v_add_u32_e32 v21, v21, v24
	global_store_byte v21, v20, s[60:61]
	s_or_b64 exec, exec, s[36:37]
	v_cmp_lt_u32_e64 s[44:45], v25, v89
	s_and_saveexec_b64 s[36:37], s[44:45]
	s_cbranch_execnz .LBB293_609
.LBB293_616:                            ;   in Loop: Header=BB293_566 Depth=2
	s_or_b64 exec, exec, s[36:37]
	v_cmp_lt_u32_e64 s[42:43], v26, v89
	s_and_saveexec_b64 s[36:37], s[42:43]
	s_cbranch_execz .LBB293_610
.LBB293_617:                            ;   in Loop: Header=BB293_566 Depth=2
	ds_read_u8 v20, v30 offset:768
	s_waitcnt lgkmcnt(0)
	v_lshrrev_b32_sdwa v21, s69, v20 dst_sel:DWORD dst_unused:UNUSED_PAD src0_sel:DWORD src1_sel:BYTE_0
	v_and_b32_e32 v21, s77, v21
	v_lshlrev_b32_e32 v21, 2, v21
	ds_read_b32 v21, v21
	v_xor_b32_e32 v20, 0x7f, v20
	s_waitcnt lgkmcnt(0)
	v_add_u32_e32 v21, v21, v26
	global_store_byte v21, v20, s[60:61]
	s_or_b64 exec, exec, s[36:37]
	v_cmp_lt_u32_e64 s[40:41], v30, v89
	s_and_saveexec_b64 s[36:37], s[40:41]
	s_cbranch_execnz .LBB293_611
.LBB293_618:                            ;   in Loop: Header=BB293_566 Depth=2
	s_or_b64 exec, exec, s[36:37]
	v_cmp_lt_u32_e64 s[38:39], v31, v89
	s_and_saveexec_b64 s[36:37], s[38:39]
	s_cbranch_execz .LBB293_612
.LBB293_619:                            ;   in Loop: Header=BB293_566 Depth=2
	ds_read_u8 v20, v30 offset:1280
	s_waitcnt lgkmcnt(0)
	v_lshrrev_b32_sdwa v21, s69, v20 dst_sel:DWORD dst_unused:UNUSED_PAD src0_sel:DWORD src1_sel:BYTE_0
	v_and_b32_e32 v21, s77, v21
	v_lshlrev_b32_e32 v21, 2, v21
	ds_read_b32 v21, v21
	v_xor_b32_e32 v20, 0x7f, v20
	s_waitcnt lgkmcnt(0)
	v_add_u32_e32 v21, v21, v31
	global_store_byte v21, v20, s[60:61]
	s_or_b64 exec, exec, s[36:37]
	v_cmp_lt_u32_e64 s[36:37], v32, v89
	s_and_saveexec_b64 s[52:53], s[36:37]
	s_cbranch_execnz .LBB293_613
.LBB293_620:                            ;   in Loop: Header=BB293_566 Depth=2
	s_or_b64 exec, exec, s[52:53]
	v_cmp_lt_u32_e32 vcc, v33, v89
	s_and_saveexec_b64 s[52:53], vcc
	s_cbranch_execz .LBB293_622
.LBB293_621:                            ;   in Loop: Header=BB293_566 Depth=2
	ds_read_u8 v20, v30 offset:1792
	s_waitcnt lgkmcnt(0)
	v_lshrrev_b32_sdwa v21, s69, v20 dst_sel:DWORD dst_unused:UNUSED_PAD src0_sel:DWORD src1_sel:BYTE_0
	v_and_b32_e32 v21, s77, v21
	v_lshlrev_b32_e32 v21, 2, v21
	ds_read_b32 v21, v21
	v_xor_b32_e32 v20, 0x7f, v20
	s_waitcnt lgkmcnt(0)
	v_add_u32_e32 v21, v21, v33
	global_store_byte v21, v20, s[60:61]
.LBB293_622:                            ;   in Loop: Header=BB293_566 Depth=2
	s_or_b64 exec, exec, s[52:53]
	s_lshl_b64 s[52:53], s[72:73], 3
	v_mov_b32_e32 v21, s53
	v_add_co_u32_e64 v20, s[52:53], s52, v77
	v_addc_co_u32_e64 v21, s[52:53], v78, v21, s[52:53]
	v_cmp_lt_u32_e64 s[52:53], v72, v89
	s_and_saveexec_b64 s[62:63], s[52:53]
	s_xor_b64 s[52:53], exec, s[62:63]
	s_cbranch_execz .LBB293_638
; %bb.623:                              ;   in Loop: Header=BB293_566 Depth=2
	global_load_dwordx2 v[18:19], v[20:21], off
	s_or_b64 exec, exec, s[52:53]
	v_cmp_lt_u32_e64 s[52:53], v79, v89
	s_and_saveexec_b64 s[62:63], s[52:53]
	s_cbranch_execnz .LBB293_639
.LBB293_624:                            ;   in Loop: Header=BB293_566 Depth=2
	s_or_b64 exec, exec, s[62:63]
	v_cmp_lt_u32_e64 s[52:53], v80, v89
	s_and_saveexec_b64 s[62:63], s[52:53]
	s_cbranch_execz .LBB293_640
.LBB293_625:                            ;   in Loop: Header=BB293_566 Depth=2
	global_load_dwordx2 v[14:15], v[20:21], off offset:1024
	s_or_b64 exec, exec, s[62:63]
	v_cmp_lt_u32_e64 s[52:53], v81, v89
	s_and_saveexec_b64 s[62:63], s[52:53]
	s_cbranch_execnz .LBB293_641
.LBB293_626:                            ;   in Loop: Header=BB293_566 Depth=2
	s_or_b64 exec, exec, s[62:63]
	v_cmp_lt_u32_e64 s[52:53], v82, v89
	s_and_saveexec_b64 s[62:63], s[52:53]
	s_cbranch_execz .LBB293_642
.LBB293_627:                            ;   in Loop: Header=BB293_566 Depth=2
	global_load_dwordx2 v[10:11], v[20:21], off offset:2048
	s_or_b64 exec, exec, s[62:63]
	v_cmp_lt_u32_e64 s[52:53], v83, v89
	s_and_saveexec_b64 s[62:63], s[52:53]
	s_cbranch_execnz .LBB293_643
.LBB293_628:                            ;   in Loop: Header=BB293_566 Depth=2
	s_or_b64 exec, exec, s[62:63]
	v_cmp_lt_u32_e64 s[52:53], v84, v89
	s_and_saveexec_b64 s[62:63], s[52:53]
	s_cbranch_execz .LBB293_644
.LBB293_629:                            ;   in Loop: Header=BB293_566 Depth=2
	global_load_dwordx2 v[6:7], v[20:21], off offset:3072
	s_or_b64 exec, exec, s[62:63]
	v_cmp_lt_u32_e64 s[52:53], v85, v89
	s_and_saveexec_b64 s[62:63], s[52:53]
	s_cbranch_execnz .LBB293_645
.LBB293_630:                            ;   in Loop: Header=BB293_566 Depth=2
	s_or_b64 exec, exec, s[62:63]
	s_and_saveexec_b64 s[52:53], s[48:49]
	s_cbranch_execz .LBB293_646
.LBB293_631:                            ;   in Loop: Header=BB293_566 Depth=2
	ds_read_u8 v20, v2 offset:1024
	s_waitcnt lgkmcnt(0)
	v_lshrrev_b32_e32 v20, s69, v20
	v_and_b32_e32 v75, s77, v20
	s_or_b64 exec, exec, s[52:53]
	s_and_saveexec_b64 s[52:53], s[46:47]
	s_cbranch_execnz .LBB293_647
.LBB293_632:                            ;   in Loop: Header=BB293_566 Depth=2
	s_or_b64 exec, exec, s[52:53]
	s_and_saveexec_b64 s[52:53], s[44:45]
	s_cbranch_execz .LBB293_648
.LBB293_633:                            ;   in Loop: Header=BB293_566 Depth=2
	ds_read_u8 v20, v30 offset:512
	s_waitcnt lgkmcnt(0)
	v_lshrrev_b32_e32 v20, s69, v20
	v_and_b32_e32 v71, s77, v20
	s_or_b64 exec, exec, s[52:53]
	s_and_saveexec_b64 s[52:53], s[42:43]
	s_cbranch_execnz .LBB293_649
.LBB293_634:                            ;   in Loop: Header=BB293_566 Depth=2
	s_or_b64 exec, exec, s[52:53]
	s_and_saveexec_b64 s[52:53], s[40:41]
	s_cbranch_execz .LBB293_650
.LBB293_635:                            ;   in Loop: Header=BB293_566 Depth=2
	ds_read_u8 v20, v30 offset:1024
	s_waitcnt lgkmcnt(0)
	v_lshrrev_b32_e32 v20, s69, v20
	v_and_b32_e32 v69, s77, v20
	s_or_b64 exec, exec, s[52:53]
	s_and_saveexec_b64 s[52:53], s[38:39]
	s_cbranch_execnz .LBB293_651
.LBB293_636:                            ;   in Loop: Header=BB293_566 Depth=2
	s_or_b64 exec, exec, s[52:53]
	s_and_saveexec_b64 s[52:53], s[36:37]
	s_cbranch_execz .LBB293_652
.LBB293_637:                            ;   in Loop: Header=BB293_566 Depth=2
	ds_read_u8 v20, v30 offset:1536
	s_waitcnt lgkmcnt(0)
	v_lshrrev_b32_e32 v20, s69, v20
	v_and_b32_e32 v67, s77, v20
	s_or_b64 exec, exec, s[52:53]
	s_and_saveexec_b64 s[52:53], vcc
	s_cbranch_execnz .LBB293_653
	s_branch .LBB293_654
.LBB293_638:                            ;   in Loop: Header=BB293_566 Depth=2
	s_or_b64 exec, exec, s[52:53]
	v_cmp_lt_u32_e64 s[52:53], v79, v89
	s_and_saveexec_b64 s[62:63], s[52:53]
	s_cbranch_execz .LBB293_624
.LBB293_639:                            ;   in Loop: Header=BB293_566 Depth=2
	global_load_dwordx2 v[16:17], v[20:21], off offset:512
	s_or_b64 exec, exec, s[62:63]
	v_cmp_lt_u32_e64 s[52:53], v80, v89
	s_and_saveexec_b64 s[62:63], s[52:53]
	s_cbranch_execnz .LBB293_625
.LBB293_640:                            ;   in Loop: Header=BB293_566 Depth=2
	s_or_b64 exec, exec, s[62:63]
	v_cmp_lt_u32_e64 s[52:53], v81, v89
	s_and_saveexec_b64 s[62:63], s[52:53]
	s_cbranch_execz .LBB293_626
.LBB293_641:                            ;   in Loop: Header=BB293_566 Depth=2
	global_load_dwordx2 v[12:13], v[20:21], off offset:1536
	s_or_b64 exec, exec, s[62:63]
	v_cmp_lt_u32_e64 s[52:53], v82, v89
	s_and_saveexec_b64 s[62:63], s[52:53]
	s_cbranch_execnz .LBB293_627
.LBB293_642:                            ;   in Loop: Header=BB293_566 Depth=2
	s_or_b64 exec, exec, s[62:63]
	v_cmp_lt_u32_e64 s[52:53], v83, v89
	s_and_saveexec_b64 s[62:63], s[52:53]
	s_cbranch_execz .LBB293_628
.LBB293_643:                            ;   in Loop: Header=BB293_566 Depth=2
	global_load_dwordx2 v[8:9], v[20:21], off offset:2560
	s_or_b64 exec, exec, s[62:63]
	v_cmp_lt_u32_e64 s[52:53], v84, v89
	s_and_saveexec_b64 s[62:63], s[52:53]
	s_cbranch_execnz .LBB293_629
.LBB293_644:                            ;   in Loop: Header=BB293_566 Depth=2
	s_or_b64 exec, exec, s[62:63]
	v_cmp_lt_u32_e64 s[52:53], v85, v89
	s_and_saveexec_b64 s[62:63], s[52:53]
	s_cbranch_execz .LBB293_630
.LBB293_645:                            ;   in Loop: Header=BB293_566 Depth=2
	global_load_dwordx2 v[0:1], v[20:21], off offset:3584
	s_or_b64 exec, exec, s[62:63]
	s_and_saveexec_b64 s[52:53], s[48:49]
	s_cbranch_execnz .LBB293_631
.LBB293_646:                            ;   in Loop: Header=BB293_566 Depth=2
	s_or_b64 exec, exec, s[52:53]
	s_and_saveexec_b64 s[52:53], s[46:47]
	s_cbranch_execz .LBB293_632
.LBB293_647:                            ;   in Loop: Header=BB293_566 Depth=2
	ds_read_u8 v20, v30 offset:256
	s_waitcnt lgkmcnt(0)
	v_lshrrev_b32_e32 v20, s69, v20
	v_and_b32_e32 v73, s77, v20
	s_or_b64 exec, exec, s[52:53]
	s_and_saveexec_b64 s[52:53], s[44:45]
	s_cbranch_execnz .LBB293_633
.LBB293_648:                            ;   in Loop: Header=BB293_566 Depth=2
	s_or_b64 exec, exec, s[52:53]
	s_and_saveexec_b64 s[52:53], s[42:43]
	s_cbranch_execz .LBB293_634
.LBB293_649:                            ;   in Loop: Header=BB293_566 Depth=2
	ds_read_u8 v20, v30 offset:768
	s_waitcnt lgkmcnt(0)
	v_lshrrev_b32_e32 v20, s69, v20
	v_and_b32_e32 v70, s77, v20
	s_or_b64 exec, exec, s[52:53]
	s_and_saveexec_b64 s[52:53], s[40:41]
	s_cbranch_execnz .LBB293_635
.LBB293_650:                            ;   in Loop: Header=BB293_566 Depth=2
	s_or_b64 exec, exec, s[52:53]
	s_and_saveexec_b64 s[52:53], s[38:39]
	s_cbranch_execz .LBB293_636
.LBB293_651:                            ;   in Loop: Header=BB293_566 Depth=2
	ds_read_u8 v20, v30 offset:1280
	s_waitcnt lgkmcnt(0)
	v_lshrrev_b32_e32 v20, s69, v20
	v_and_b32_e32 v68, s77, v20
	s_or_b64 exec, exec, s[52:53]
	s_and_saveexec_b64 s[52:53], s[36:37]
	s_cbranch_execnz .LBB293_637
.LBB293_652:                            ;   in Loop: Header=BB293_566 Depth=2
	s_or_b64 exec, exec, s[52:53]
	s_and_saveexec_b64 s[52:53], vcc
	s_cbranch_execz .LBB293_654
.LBB293_653:                            ;   in Loop: Header=BB293_566 Depth=2
	ds_read_u8 v20, v30 offset:1792
	s_waitcnt lgkmcnt(0)
	v_lshrrev_b32_e32 v20, s69, v20
	v_and_b32_e32 v66, s77, v20
.LBB293_654:                            ;   in Loop: Header=BB293_566 Depth=2
	s_or_b64 exec, exec, s[52:53]
	v_lshlrev_b32_e32 v20, 3, v102
	s_barrier
	s_waitcnt vmcnt(0)
	ds_write_b64 v20, v[18:19] offset:1024
	v_lshlrev_b32_e32 v20, 3, v98
	ds_write_b64 v20, v[16:17] offset:1024
	v_lshlrev_b32_e32 v20, 3, v97
	;; [unrolled: 2-line block ×7, first 2 shown]
	ds_write_b64 v20, v[0:1] offset:1024
	s_waitcnt lgkmcnt(0)
	s_barrier
	s_and_saveexec_b64 s[52:53], s[48:49]
	s_cbranch_execz .LBB293_662
; %bb.655:                              ;   in Loop: Header=BB293_566 Depth=2
	v_lshlrev_b32_e32 v20, 2, v75
	ds_read_b32 v22, v20
	v_add_u32_e32 v20, v2, v50
	ds_read_b64 v[20:21], v20 offset:1024
	v_mov_b32_e32 v23, v4
	v_mov_b32_e32 v89, s67
	s_waitcnt lgkmcnt(1)
	v_add_u32_e32 v22, v22, v2
	v_lshlrev_b64 v[22:23], 3, v[22:23]
	v_add_co_u32_e64 v22, s[48:49], s66, v22
	v_addc_co_u32_e64 v23, s[48:49], v89, v23, s[48:49]
	s_waitcnt lgkmcnt(0)
	global_store_dwordx2 v[22:23], v[20:21], off
	s_or_b64 exec, exec, s[52:53]
	v_add_u32_e32 v20, v30, v50
	s_and_saveexec_b64 s[48:49], s[46:47]
	s_cbranch_execnz .LBB293_663
.LBB293_656:                            ;   in Loop: Header=BB293_566 Depth=2
	s_or_b64 exec, exec, s[48:49]
	s_and_saveexec_b64 s[46:47], s[44:45]
	s_cbranch_execz .LBB293_664
.LBB293_657:                            ;   in Loop: Header=BB293_566 Depth=2
	v_lshlrev_b32_e32 v21, 2, v71
	ds_read_b32 v21, v21
	ds_read_b64 v[22:23], v20 offset:4096
	v_mov_b32_e32 v91, v4
	v_mov_b32_e32 v89, s67
	s_waitcnt lgkmcnt(1)
	v_add_u32_e32 v90, v21, v25
	v_lshlrev_b64 v[90:91], 3, v[90:91]
	v_add_co_u32_e64 v90, s[44:45], s66, v90
	v_addc_co_u32_e64 v91, s[44:45], v89, v91, s[44:45]
	s_waitcnt lgkmcnt(0)
	global_store_dwordx2 v[90:91], v[22:23], off
	s_or_b64 exec, exec, s[46:47]
	s_and_saveexec_b64 s[44:45], s[42:43]
	s_cbranch_execnz .LBB293_665
.LBB293_658:                            ;   in Loop: Header=BB293_566 Depth=2
	s_or_b64 exec, exec, s[44:45]
	s_and_saveexec_b64 s[42:43], s[40:41]
	s_cbranch_execz .LBB293_666
.LBB293_659:                            ;   in Loop: Header=BB293_566 Depth=2
	v_lshlrev_b32_e32 v21, 2, v69
	ds_read_b32 v21, v21
	ds_read_b64 v[22:23], v20 offset:8192
	v_mov_b32_e32 v91, v4
	v_mov_b32_e32 v89, s67
	s_waitcnt lgkmcnt(1)
	v_add_u32_e32 v90, v21, v30
	v_lshlrev_b64 v[90:91], 3, v[90:91]
	v_add_co_u32_e64 v90, s[40:41], s66, v90
	v_addc_co_u32_e64 v91, s[40:41], v89, v91, s[40:41]
	s_waitcnt lgkmcnt(0)
	global_store_dwordx2 v[90:91], v[22:23], off
	s_or_b64 exec, exec, s[42:43]
	s_and_saveexec_b64 s[40:41], s[38:39]
	s_cbranch_execnz .LBB293_667
.LBB293_660:                            ;   in Loop: Header=BB293_566 Depth=2
	s_or_b64 exec, exec, s[40:41]
	s_and_saveexec_b64 s[38:39], s[36:37]
	s_cbranch_execz .LBB293_668
.LBB293_661:                            ;   in Loop: Header=BB293_566 Depth=2
	v_lshlrev_b32_e32 v21, 2, v67
	ds_read_b32 v21, v21
	ds_read_b64 v[22:23], v20 offset:12288
	v_mov_b32_e32 v91, v4
	v_mov_b32_e32 v89, s67
	s_waitcnt lgkmcnt(1)
	v_add_u32_e32 v90, v21, v32
	v_lshlrev_b64 v[90:91], 3, v[90:91]
	v_add_co_u32_e64 v90, s[36:37], s66, v90
	v_addc_co_u32_e64 v91, s[36:37], v89, v91, s[36:37]
	s_waitcnt lgkmcnt(0)
	global_store_dwordx2 v[90:91], v[22:23], off
	s_or_b64 exec, exec, s[38:39]
	s_and_saveexec_b64 s[36:37], vcc
	s_cbranch_execnz .LBB293_669
	s_branch .LBB293_670
.LBB293_662:                            ;   in Loop: Header=BB293_566 Depth=2
	s_or_b64 exec, exec, s[52:53]
	v_add_u32_e32 v20, v30, v50
	s_and_saveexec_b64 s[48:49], s[46:47]
	s_cbranch_execz .LBB293_656
.LBB293_663:                            ;   in Loop: Header=BB293_566 Depth=2
	v_lshlrev_b32_e32 v21, 2, v73
	ds_read_b32 v21, v21
	ds_read_b64 v[22:23], v20 offset:2048
	v_mov_b32_e32 v91, v4
	v_mov_b32_e32 v89, s67
	s_waitcnt lgkmcnt(1)
	v_add_u32_e32 v90, v21, v24
	v_lshlrev_b64 v[90:91], 3, v[90:91]
	v_add_co_u32_e64 v90, s[46:47], s66, v90
	v_addc_co_u32_e64 v91, s[46:47], v89, v91, s[46:47]
	s_waitcnt lgkmcnt(0)
	global_store_dwordx2 v[90:91], v[22:23], off
	s_or_b64 exec, exec, s[48:49]
	s_and_saveexec_b64 s[46:47], s[44:45]
	s_cbranch_execnz .LBB293_657
.LBB293_664:                            ;   in Loop: Header=BB293_566 Depth=2
	s_or_b64 exec, exec, s[46:47]
	s_and_saveexec_b64 s[44:45], s[42:43]
	s_cbranch_execz .LBB293_658
.LBB293_665:                            ;   in Loop: Header=BB293_566 Depth=2
	v_lshlrev_b32_e32 v21, 2, v70
	ds_read_b32 v21, v21
	ds_read_b64 v[22:23], v20 offset:6144
	v_mov_b32_e32 v91, v4
	v_mov_b32_e32 v89, s67
	s_waitcnt lgkmcnt(1)
	v_add_u32_e32 v90, v21, v26
	v_lshlrev_b64 v[90:91], 3, v[90:91]
	v_add_co_u32_e64 v90, s[42:43], s66, v90
	v_addc_co_u32_e64 v91, s[42:43], v89, v91, s[42:43]
	s_waitcnt lgkmcnt(0)
	global_store_dwordx2 v[90:91], v[22:23], off
	s_or_b64 exec, exec, s[44:45]
	s_and_saveexec_b64 s[42:43], s[40:41]
	s_cbranch_execnz .LBB293_659
.LBB293_666:                            ;   in Loop: Header=BB293_566 Depth=2
	s_or_b64 exec, exec, s[42:43]
	s_and_saveexec_b64 s[40:41], s[38:39]
	s_cbranch_execz .LBB293_660
.LBB293_667:                            ;   in Loop: Header=BB293_566 Depth=2
	v_lshlrev_b32_e32 v21, 2, v68
	ds_read_b32 v21, v21
	ds_read_b64 v[22:23], v20 offset:10240
	v_mov_b32_e32 v91, v4
	v_mov_b32_e32 v89, s67
	s_waitcnt lgkmcnt(1)
	v_add_u32_e32 v90, v21, v31
	v_lshlrev_b64 v[90:91], 3, v[90:91]
	v_add_co_u32_e64 v90, s[38:39], s66, v90
	v_addc_co_u32_e64 v91, s[38:39], v89, v91, s[38:39]
	s_waitcnt lgkmcnt(0)
	global_store_dwordx2 v[90:91], v[22:23], off
	s_or_b64 exec, exec, s[40:41]
	s_and_saveexec_b64 s[38:39], s[36:37]
	s_cbranch_execnz .LBB293_661
.LBB293_668:                            ;   in Loop: Header=BB293_566 Depth=2
	s_or_b64 exec, exec, s[38:39]
	s_and_saveexec_b64 s[36:37], vcc
	s_cbranch_execz .LBB293_670
.LBB293_669:                            ;   in Loop: Header=BB293_566 Depth=2
	v_lshlrev_b32_e32 v21, 2, v66
	ds_read_b32 v22, v21
	ds_read_b64 v[20:21], v20 offset:14336
	v_mov_b32_e32 v23, v4
	v_mov_b32_e32 v89, s67
	s_waitcnt lgkmcnt(1)
	v_add_u32_e32 v22, v22, v33
	v_lshlrev_b64 v[22:23], 3, v[22:23]
	v_add_co_u32_e32 v22, vcc, s66, v22
	v_addc_co_u32_e32 v23, vcc, v89, v23, vcc
	s_waitcnt lgkmcnt(0)
	global_store_dwordx2 v[22:23], v[20:21], off
.LBB293_670:                            ;   in Loop: Header=BB293_566 Depth=2
	s_or_b64 exec, exec, s[36:37]
	s_barrier
	s_and_saveexec_b64 s[36:37], s[4:5]
	s_cbranch_execz .LBB293_565
; %bb.671:                              ;   in Loop: Header=BB293_566 Depth=2
	ds_read_b32 v20, v3
	s_waitcnt lgkmcnt(0)
	v_add_u32_e32 v5, v20, v5
	ds_write_b32 v3, v5
	s_branch .LBB293_565
.LBB293_672:                            ;   in Loop: Header=BB293_566 Depth=2
	s_or_b64 exec, exec, s[36:37]
	v_cmp_gt_u32_e32 vcc, s78, v79
	s_and_saveexec_b64 s[36:37], vcc
	s_cbranch_execz .LBB293_572
.LBB293_673:                            ;   in Loop: Header=BB293_566 Depth=2
	global_load_ubyte v94, v[20:21], off offset:64
	s_or_b64 exec, exec, s[36:37]
	v_cmp_gt_u32_e32 vcc, s78, v80
	s_and_saveexec_b64 s[36:37], vcc
	s_cbranch_execnz .LBB293_573
.LBB293_674:                            ;   in Loop: Header=BB293_566 Depth=2
	s_or_b64 exec, exec, s[36:37]
	v_cmp_gt_u32_e32 vcc, s78, v81
	s_and_saveexec_b64 s[36:37], vcc
	s_cbranch_execz .LBB293_574
.LBB293_675:                            ;   in Loop: Header=BB293_566 Depth=2
	global_load_ubyte v101, v[20:21], off offset:192
	s_or_b64 exec, exec, s[36:37]
	v_cmp_gt_u32_e32 vcc, s78, v82
	s_and_saveexec_b64 s[36:37], vcc
	s_cbranch_execnz .LBB293_575
.LBB293_676:                            ;   in Loop: Header=BB293_566 Depth=2
	s_or_b64 exec, exec, s[36:37]
	v_cmp_gt_u32_e32 vcc, s78, v83
	s_and_saveexec_b64 s[36:37], vcc
	s_cbranch_execz .LBB293_576
.LBB293_677:                            ;   in Loop: Header=BB293_566 Depth=2
	global_load_ubyte v91, v[20:21], off offset:320
	s_or_b64 exec, exec, s[36:37]
	v_cmp_gt_u32_e32 vcc, s78, v84
	s_and_saveexec_b64 s[36:37], vcc
	s_cbranch_execnz .LBB293_577
	s_branch .LBB293_578
.LBB293_678:
	s_endpgm
	.section	.rodata,"a",@progbits
	.p2align	6, 0x0
	.amdhsa_kernel _ZN7rocprim17ROCPRIM_400000_NS6detail17trampoline_kernelINS0_14default_configENS1_36segmented_radix_sort_config_selectorIalEEZNS1_25segmented_radix_sort_implIS3_Lb1EPKaPaPKlPlN2at6native12_GLOBAL__N_18offset_tEEE10hipError_tPvRmT1_PNSt15iterator_traitsISK_E10value_typeET2_T3_PNSL_ISQ_E10value_typeET4_jRbjT5_SW_jjP12ihipStream_tbEUlT_E_NS1_11comp_targetILNS1_3genE4ELNS1_11target_archE910ELNS1_3gpuE8ELNS1_3repE0EEENS1_30default_config_static_selectorELNS0_4arch9wavefront6targetE1EEEvSK_
		.amdhsa_group_segment_fixed_size 17424
		.amdhsa_private_segment_fixed_size 8
		.amdhsa_kernarg_size 352
		.amdhsa_user_sgpr_count 8
		.amdhsa_user_sgpr_private_segment_buffer 1
		.amdhsa_user_sgpr_dispatch_ptr 0
		.amdhsa_user_sgpr_queue_ptr 0
		.amdhsa_user_sgpr_kernarg_segment_ptr 1
		.amdhsa_user_sgpr_dispatch_id 0
		.amdhsa_user_sgpr_flat_scratch_init 1
		.amdhsa_user_sgpr_kernarg_preload_length 0
		.amdhsa_user_sgpr_kernarg_preload_offset 0
		.amdhsa_user_sgpr_private_segment_size 0
		.amdhsa_uses_dynamic_stack 0
		.amdhsa_system_sgpr_private_segment_wavefront_offset 1
		.amdhsa_system_sgpr_workgroup_id_x 1
		.amdhsa_system_sgpr_workgroup_id_y 1
		.amdhsa_system_sgpr_workgroup_id_z 0
		.amdhsa_system_sgpr_workgroup_info 0
		.amdhsa_system_vgpr_workitem_id 2
		.amdhsa_next_free_vgpr 168
		.amdhsa_next_free_sgpr 80
		.amdhsa_accum_offset 168
		.amdhsa_reserve_vcc 1
		.amdhsa_reserve_flat_scratch 1
		.amdhsa_float_round_mode_32 0
		.amdhsa_float_round_mode_16_64 0
		.amdhsa_float_denorm_mode_32 3
		.amdhsa_float_denorm_mode_16_64 3
		.amdhsa_dx10_clamp 1
		.amdhsa_ieee_mode 1
		.amdhsa_fp16_overflow 0
		.amdhsa_tg_split 0
		.amdhsa_exception_fp_ieee_invalid_op 0
		.amdhsa_exception_fp_denorm_src 0
		.amdhsa_exception_fp_ieee_div_zero 0
		.amdhsa_exception_fp_ieee_overflow 0
		.amdhsa_exception_fp_ieee_underflow 0
		.amdhsa_exception_fp_ieee_inexact 0
		.amdhsa_exception_int_div_zero 0
	.end_amdhsa_kernel
	.section	.text._ZN7rocprim17ROCPRIM_400000_NS6detail17trampoline_kernelINS0_14default_configENS1_36segmented_radix_sort_config_selectorIalEEZNS1_25segmented_radix_sort_implIS3_Lb1EPKaPaPKlPlN2at6native12_GLOBAL__N_18offset_tEEE10hipError_tPvRmT1_PNSt15iterator_traitsISK_E10value_typeET2_T3_PNSL_ISQ_E10value_typeET4_jRbjT5_SW_jjP12ihipStream_tbEUlT_E_NS1_11comp_targetILNS1_3genE4ELNS1_11target_archE910ELNS1_3gpuE8ELNS1_3repE0EEENS1_30default_config_static_selectorELNS0_4arch9wavefront6targetE1EEEvSK_,"axG",@progbits,_ZN7rocprim17ROCPRIM_400000_NS6detail17trampoline_kernelINS0_14default_configENS1_36segmented_radix_sort_config_selectorIalEEZNS1_25segmented_radix_sort_implIS3_Lb1EPKaPaPKlPlN2at6native12_GLOBAL__N_18offset_tEEE10hipError_tPvRmT1_PNSt15iterator_traitsISK_E10value_typeET2_T3_PNSL_ISQ_E10value_typeET4_jRbjT5_SW_jjP12ihipStream_tbEUlT_E_NS1_11comp_targetILNS1_3genE4ELNS1_11target_archE910ELNS1_3gpuE8ELNS1_3repE0EEENS1_30default_config_static_selectorELNS0_4arch9wavefront6targetE1EEEvSK_,comdat
.Lfunc_end293:
	.size	_ZN7rocprim17ROCPRIM_400000_NS6detail17trampoline_kernelINS0_14default_configENS1_36segmented_radix_sort_config_selectorIalEEZNS1_25segmented_radix_sort_implIS3_Lb1EPKaPaPKlPlN2at6native12_GLOBAL__N_18offset_tEEE10hipError_tPvRmT1_PNSt15iterator_traitsISK_E10value_typeET2_T3_PNSL_ISQ_E10value_typeET4_jRbjT5_SW_jjP12ihipStream_tbEUlT_E_NS1_11comp_targetILNS1_3genE4ELNS1_11target_archE910ELNS1_3gpuE8ELNS1_3repE0EEENS1_30default_config_static_selectorELNS0_4arch9wavefront6targetE1EEEvSK_, .Lfunc_end293-_ZN7rocprim17ROCPRIM_400000_NS6detail17trampoline_kernelINS0_14default_configENS1_36segmented_radix_sort_config_selectorIalEEZNS1_25segmented_radix_sort_implIS3_Lb1EPKaPaPKlPlN2at6native12_GLOBAL__N_18offset_tEEE10hipError_tPvRmT1_PNSt15iterator_traitsISK_E10value_typeET2_T3_PNSL_ISQ_E10value_typeET4_jRbjT5_SW_jjP12ihipStream_tbEUlT_E_NS1_11comp_targetILNS1_3genE4ELNS1_11target_archE910ELNS1_3gpuE8ELNS1_3repE0EEENS1_30default_config_static_selectorELNS0_4arch9wavefront6targetE1EEEvSK_
                                        ; -- End function
	.section	.AMDGPU.csdata,"",@progbits
; Kernel info:
; codeLenInByte = 35964
; NumSgprs: 86
; NumVgprs: 168
; NumAgprs: 0
; TotalNumVgprs: 168
; ScratchSize: 8
; MemoryBound: 0
; FloatMode: 240
; IeeeMode: 1
; LDSByteSize: 17424 bytes/workgroup (compile time only)
; SGPRBlocks: 10
; VGPRBlocks: 20
; NumSGPRsForWavesPerEU: 86
; NumVGPRsForWavesPerEU: 168
; AccumOffset: 168
; Occupancy: 3
; WaveLimiterHint : 1
; COMPUTE_PGM_RSRC2:SCRATCH_EN: 1
; COMPUTE_PGM_RSRC2:USER_SGPR: 8
; COMPUTE_PGM_RSRC2:TRAP_HANDLER: 0
; COMPUTE_PGM_RSRC2:TGID_X_EN: 1
; COMPUTE_PGM_RSRC2:TGID_Y_EN: 1
; COMPUTE_PGM_RSRC2:TGID_Z_EN: 0
; COMPUTE_PGM_RSRC2:TIDIG_COMP_CNT: 2
; COMPUTE_PGM_RSRC3_GFX90A:ACCUM_OFFSET: 41
; COMPUTE_PGM_RSRC3_GFX90A:TG_SPLIT: 0
	.section	.text._ZN7rocprim17ROCPRIM_400000_NS6detail17trampoline_kernelINS0_14default_configENS1_36segmented_radix_sort_config_selectorIalEEZNS1_25segmented_radix_sort_implIS3_Lb1EPKaPaPKlPlN2at6native12_GLOBAL__N_18offset_tEEE10hipError_tPvRmT1_PNSt15iterator_traitsISK_E10value_typeET2_T3_PNSL_ISQ_E10value_typeET4_jRbjT5_SW_jjP12ihipStream_tbEUlT_E_NS1_11comp_targetILNS1_3genE3ELNS1_11target_archE908ELNS1_3gpuE7ELNS1_3repE0EEENS1_30default_config_static_selectorELNS0_4arch9wavefront6targetE1EEEvSK_,"axG",@progbits,_ZN7rocprim17ROCPRIM_400000_NS6detail17trampoline_kernelINS0_14default_configENS1_36segmented_radix_sort_config_selectorIalEEZNS1_25segmented_radix_sort_implIS3_Lb1EPKaPaPKlPlN2at6native12_GLOBAL__N_18offset_tEEE10hipError_tPvRmT1_PNSt15iterator_traitsISK_E10value_typeET2_T3_PNSL_ISQ_E10value_typeET4_jRbjT5_SW_jjP12ihipStream_tbEUlT_E_NS1_11comp_targetILNS1_3genE3ELNS1_11target_archE908ELNS1_3gpuE7ELNS1_3repE0EEENS1_30default_config_static_selectorELNS0_4arch9wavefront6targetE1EEEvSK_,comdat
	.globl	_ZN7rocprim17ROCPRIM_400000_NS6detail17trampoline_kernelINS0_14default_configENS1_36segmented_radix_sort_config_selectorIalEEZNS1_25segmented_radix_sort_implIS3_Lb1EPKaPaPKlPlN2at6native12_GLOBAL__N_18offset_tEEE10hipError_tPvRmT1_PNSt15iterator_traitsISK_E10value_typeET2_T3_PNSL_ISQ_E10value_typeET4_jRbjT5_SW_jjP12ihipStream_tbEUlT_E_NS1_11comp_targetILNS1_3genE3ELNS1_11target_archE908ELNS1_3gpuE7ELNS1_3repE0EEENS1_30default_config_static_selectorELNS0_4arch9wavefront6targetE1EEEvSK_ ; -- Begin function _ZN7rocprim17ROCPRIM_400000_NS6detail17trampoline_kernelINS0_14default_configENS1_36segmented_radix_sort_config_selectorIalEEZNS1_25segmented_radix_sort_implIS3_Lb1EPKaPaPKlPlN2at6native12_GLOBAL__N_18offset_tEEE10hipError_tPvRmT1_PNSt15iterator_traitsISK_E10value_typeET2_T3_PNSL_ISQ_E10value_typeET4_jRbjT5_SW_jjP12ihipStream_tbEUlT_E_NS1_11comp_targetILNS1_3genE3ELNS1_11target_archE908ELNS1_3gpuE7ELNS1_3repE0EEENS1_30default_config_static_selectorELNS0_4arch9wavefront6targetE1EEEvSK_
	.p2align	8
	.type	_ZN7rocprim17ROCPRIM_400000_NS6detail17trampoline_kernelINS0_14default_configENS1_36segmented_radix_sort_config_selectorIalEEZNS1_25segmented_radix_sort_implIS3_Lb1EPKaPaPKlPlN2at6native12_GLOBAL__N_18offset_tEEE10hipError_tPvRmT1_PNSt15iterator_traitsISK_E10value_typeET2_T3_PNSL_ISQ_E10value_typeET4_jRbjT5_SW_jjP12ihipStream_tbEUlT_E_NS1_11comp_targetILNS1_3genE3ELNS1_11target_archE908ELNS1_3gpuE7ELNS1_3repE0EEENS1_30default_config_static_selectorELNS0_4arch9wavefront6targetE1EEEvSK_,@function
_ZN7rocprim17ROCPRIM_400000_NS6detail17trampoline_kernelINS0_14default_configENS1_36segmented_radix_sort_config_selectorIalEEZNS1_25segmented_radix_sort_implIS3_Lb1EPKaPaPKlPlN2at6native12_GLOBAL__N_18offset_tEEE10hipError_tPvRmT1_PNSt15iterator_traitsISK_E10value_typeET2_T3_PNSL_ISQ_E10value_typeET4_jRbjT5_SW_jjP12ihipStream_tbEUlT_E_NS1_11comp_targetILNS1_3genE3ELNS1_11target_archE908ELNS1_3gpuE7ELNS1_3repE0EEENS1_30default_config_static_selectorELNS0_4arch9wavefront6targetE1EEEvSK_: ; @_ZN7rocprim17ROCPRIM_400000_NS6detail17trampoline_kernelINS0_14default_configENS1_36segmented_radix_sort_config_selectorIalEEZNS1_25segmented_radix_sort_implIS3_Lb1EPKaPaPKlPlN2at6native12_GLOBAL__N_18offset_tEEE10hipError_tPvRmT1_PNSt15iterator_traitsISK_E10value_typeET2_T3_PNSL_ISQ_E10value_typeET4_jRbjT5_SW_jjP12ihipStream_tbEUlT_E_NS1_11comp_targetILNS1_3genE3ELNS1_11target_archE908ELNS1_3gpuE7ELNS1_3repE0EEENS1_30default_config_static_selectorELNS0_4arch9wavefront6targetE1EEEvSK_
; %bb.0:
	.section	.rodata,"a",@progbits
	.p2align	6, 0x0
	.amdhsa_kernel _ZN7rocprim17ROCPRIM_400000_NS6detail17trampoline_kernelINS0_14default_configENS1_36segmented_radix_sort_config_selectorIalEEZNS1_25segmented_radix_sort_implIS3_Lb1EPKaPaPKlPlN2at6native12_GLOBAL__N_18offset_tEEE10hipError_tPvRmT1_PNSt15iterator_traitsISK_E10value_typeET2_T3_PNSL_ISQ_E10value_typeET4_jRbjT5_SW_jjP12ihipStream_tbEUlT_E_NS1_11comp_targetILNS1_3genE3ELNS1_11target_archE908ELNS1_3gpuE7ELNS1_3repE0EEENS1_30default_config_static_selectorELNS0_4arch9wavefront6targetE1EEEvSK_
		.amdhsa_group_segment_fixed_size 0
		.amdhsa_private_segment_fixed_size 0
		.amdhsa_kernarg_size 96
		.amdhsa_user_sgpr_count 6
		.amdhsa_user_sgpr_private_segment_buffer 1
		.amdhsa_user_sgpr_dispatch_ptr 0
		.amdhsa_user_sgpr_queue_ptr 0
		.amdhsa_user_sgpr_kernarg_segment_ptr 1
		.amdhsa_user_sgpr_dispatch_id 0
		.amdhsa_user_sgpr_flat_scratch_init 0
		.amdhsa_user_sgpr_kernarg_preload_length 0
		.amdhsa_user_sgpr_kernarg_preload_offset 0
		.amdhsa_user_sgpr_private_segment_size 0
		.amdhsa_uses_dynamic_stack 0
		.amdhsa_system_sgpr_private_segment_wavefront_offset 0
		.amdhsa_system_sgpr_workgroup_id_x 1
		.amdhsa_system_sgpr_workgroup_id_y 0
		.amdhsa_system_sgpr_workgroup_id_z 0
		.amdhsa_system_sgpr_workgroup_info 0
		.amdhsa_system_vgpr_workitem_id 0
		.amdhsa_next_free_vgpr 1
		.amdhsa_next_free_sgpr 0
		.amdhsa_accum_offset 4
		.amdhsa_reserve_vcc 0
		.amdhsa_reserve_flat_scratch 0
		.amdhsa_float_round_mode_32 0
		.amdhsa_float_round_mode_16_64 0
		.amdhsa_float_denorm_mode_32 3
		.amdhsa_float_denorm_mode_16_64 3
		.amdhsa_dx10_clamp 1
		.amdhsa_ieee_mode 1
		.amdhsa_fp16_overflow 0
		.amdhsa_tg_split 0
		.amdhsa_exception_fp_ieee_invalid_op 0
		.amdhsa_exception_fp_denorm_src 0
		.amdhsa_exception_fp_ieee_div_zero 0
		.amdhsa_exception_fp_ieee_overflow 0
		.amdhsa_exception_fp_ieee_underflow 0
		.amdhsa_exception_fp_ieee_inexact 0
		.amdhsa_exception_int_div_zero 0
	.end_amdhsa_kernel
	.section	.text._ZN7rocprim17ROCPRIM_400000_NS6detail17trampoline_kernelINS0_14default_configENS1_36segmented_radix_sort_config_selectorIalEEZNS1_25segmented_radix_sort_implIS3_Lb1EPKaPaPKlPlN2at6native12_GLOBAL__N_18offset_tEEE10hipError_tPvRmT1_PNSt15iterator_traitsISK_E10value_typeET2_T3_PNSL_ISQ_E10value_typeET4_jRbjT5_SW_jjP12ihipStream_tbEUlT_E_NS1_11comp_targetILNS1_3genE3ELNS1_11target_archE908ELNS1_3gpuE7ELNS1_3repE0EEENS1_30default_config_static_selectorELNS0_4arch9wavefront6targetE1EEEvSK_,"axG",@progbits,_ZN7rocprim17ROCPRIM_400000_NS6detail17trampoline_kernelINS0_14default_configENS1_36segmented_radix_sort_config_selectorIalEEZNS1_25segmented_radix_sort_implIS3_Lb1EPKaPaPKlPlN2at6native12_GLOBAL__N_18offset_tEEE10hipError_tPvRmT1_PNSt15iterator_traitsISK_E10value_typeET2_T3_PNSL_ISQ_E10value_typeET4_jRbjT5_SW_jjP12ihipStream_tbEUlT_E_NS1_11comp_targetILNS1_3genE3ELNS1_11target_archE908ELNS1_3gpuE7ELNS1_3repE0EEENS1_30default_config_static_selectorELNS0_4arch9wavefront6targetE1EEEvSK_,comdat
.Lfunc_end294:
	.size	_ZN7rocprim17ROCPRIM_400000_NS6detail17trampoline_kernelINS0_14default_configENS1_36segmented_radix_sort_config_selectorIalEEZNS1_25segmented_radix_sort_implIS3_Lb1EPKaPaPKlPlN2at6native12_GLOBAL__N_18offset_tEEE10hipError_tPvRmT1_PNSt15iterator_traitsISK_E10value_typeET2_T3_PNSL_ISQ_E10value_typeET4_jRbjT5_SW_jjP12ihipStream_tbEUlT_E_NS1_11comp_targetILNS1_3genE3ELNS1_11target_archE908ELNS1_3gpuE7ELNS1_3repE0EEENS1_30default_config_static_selectorELNS0_4arch9wavefront6targetE1EEEvSK_, .Lfunc_end294-_ZN7rocprim17ROCPRIM_400000_NS6detail17trampoline_kernelINS0_14default_configENS1_36segmented_radix_sort_config_selectorIalEEZNS1_25segmented_radix_sort_implIS3_Lb1EPKaPaPKlPlN2at6native12_GLOBAL__N_18offset_tEEE10hipError_tPvRmT1_PNSt15iterator_traitsISK_E10value_typeET2_T3_PNSL_ISQ_E10value_typeET4_jRbjT5_SW_jjP12ihipStream_tbEUlT_E_NS1_11comp_targetILNS1_3genE3ELNS1_11target_archE908ELNS1_3gpuE7ELNS1_3repE0EEENS1_30default_config_static_selectorELNS0_4arch9wavefront6targetE1EEEvSK_
                                        ; -- End function
	.section	.AMDGPU.csdata,"",@progbits
; Kernel info:
; codeLenInByte = 0
; NumSgprs: 4
; NumVgprs: 0
; NumAgprs: 0
; TotalNumVgprs: 0
; ScratchSize: 0
; MemoryBound: 0
; FloatMode: 240
; IeeeMode: 1
; LDSByteSize: 0 bytes/workgroup (compile time only)
; SGPRBlocks: 0
; VGPRBlocks: 0
; NumSGPRsForWavesPerEU: 4
; NumVGPRsForWavesPerEU: 1
; AccumOffset: 4
; Occupancy: 8
; WaveLimiterHint : 0
; COMPUTE_PGM_RSRC2:SCRATCH_EN: 0
; COMPUTE_PGM_RSRC2:USER_SGPR: 6
; COMPUTE_PGM_RSRC2:TRAP_HANDLER: 0
; COMPUTE_PGM_RSRC2:TGID_X_EN: 1
; COMPUTE_PGM_RSRC2:TGID_Y_EN: 0
; COMPUTE_PGM_RSRC2:TGID_Z_EN: 0
; COMPUTE_PGM_RSRC2:TIDIG_COMP_CNT: 0
; COMPUTE_PGM_RSRC3_GFX90A:ACCUM_OFFSET: 0
; COMPUTE_PGM_RSRC3_GFX90A:TG_SPLIT: 0
	.section	.text._ZN7rocprim17ROCPRIM_400000_NS6detail17trampoline_kernelINS0_14default_configENS1_36segmented_radix_sort_config_selectorIalEEZNS1_25segmented_radix_sort_implIS3_Lb1EPKaPaPKlPlN2at6native12_GLOBAL__N_18offset_tEEE10hipError_tPvRmT1_PNSt15iterator_traitsISK_E10value_typeET2_T3_PNSL_ISQ_E10value_typeET4_jRbjT5_SW_jjP12ihipStream_tbEUlT_E_NS1_11comp_targetILNS1_3genE2ELNS1_11target_archE906ELNS1_3gpuE6ELNS1_3repE0EEENS1_30default_config_static_selectorELNS0_4arch9wavefront6targetE1EEEvSK_,"axG",@progbits,_ZN7rocprim17ROCPRIM_400000_NS6detail17trampoline_kernelINS0_14default_configENS1_36segmented_radix_sort_config_selectorIalEEZNS1_25segmented_radix_sort_implIS3_Lb1EPKaPaPKlPlN2at6native12_GLOBAL__N_18offset_tEEE10hipError_tPvRmT1_PNSt15iterator_traitsISK_E10value_typeET2_T3_PNSL_ISQ_E10value_typeET4_jRbjT5_SW_jjP12ihipStream_tbEUlT_E_NS1_11comp_targetILNS1_3genE2ELNS1_11target_archE906ELNS1_3gpuE6ELNS1_3repE0EEENS1_30default_config_static_selectorELNS0_4arch9wavefront6targetE1EEEvSK_,comdat
	.globl	_ZN7rocprim17ROCPRIM_400000_NS6detail17trampoline_kernelINS0_14default_configENS1_36segmented_radix_sort_config_selectorIalEEZNS1_25segmented_radix_sort_implIS3_Lb1EPKaPaPKlPlN2at6native12_GLOBAL__N_18offset_tEEE10hipError_tPvRmT1_PNSt15iterator_traitsISK_E10value_typeET2_T3_PNSL_ISQ_E10value_typeET4_jRbjT5_SW_jjP12ihipStream_tbEUlT_E_NS1_11comp_targetILNS1_3genE2ELNS1_11target_archE906ELNS1_3gpuE6ELNS1_3repE0EEENS1_30default_config_static_selectorELNS0_4arch9wavefront6targetE1EEEvSK_ ; -- Begin function _ZN7rocprim17ROCPRIM_400000_NS6detail17trampoline_kernelINS0_14default_configENS1_36segmented_radix_sort_config_selectorIalEEZNS1_25segmented_radix_sort_implIS3_Lb1EPKaPaPKlPlN2at6native12_GLOBAL__N_18offset_tEEE10hipError_tPvRmT1_PNSt15iterator_traitsISK_E10value_typeET2_T3_PNSL_ISQ_E10value_typeET4_jRbjT5_SW_jjP12ihipStream_tbEUlT_E_NS1_11comp_targetILNS1_3genE2ELNS1_11target_archE906ELNS1_3gpuE6ELNS1_3repE0EEENS1_30default_config_static_selectorELNS0_4arch9wavefront6targetE1EEEvSK_
	.p2align	8
	.type	_ZN7rocprim17ROCPRIM_400000_NS6detail17trampoline_kernelINS0_14default_configENS1_36segmented_radix_sort_config_selectorIalEEZNS1_25segmented_radix_sort_implIS3_Lb1EPKaPaPKlPlN2at6native12_GLOBAL__N_18offset_tEEE10hipError_tPvRmT1_PNSt15iterator_traitsISK_E10value_typeET2_T3_PNSL_ISQ_E10value_typeET4_jRbjT5_SW_jjP12ihipStream_tbEUlT_E_NS1_11comp_targetILNS1_3genE2ELNS1_11target_archE906ELNS1_3gpuE6ELNS1_3repE0EEENS1_30default_config_static_selectorELNS0_4arch9wavefront6targetE1EEEvSK_,@function
_ZN7rocprim17ROCPRIM_400000_NS6detail17trampoline_kernelINS0_14default_configENS1_36segmented_radix_sort_config_selectorIalEEZNS1_25segmented_radix_sort_implIS3_Lb1EPKaPaPKlPlN2at6native12_GLOBAL__N_18offset_tEEE10hipError_tPvRmT1_PNSt15iterator_traitsISK_E10value_typeET2_T3_PNSL_ISQ_E10value_typeET4_jRbjT5_SW_jjP12ihipStream_tbEUlT_E_NS1_11comp_targetILNS1_3genE2ELNS1_11target_archE906ELNS1_3gpuE6ELNS1_3repE0EEENS1_30default_config_static_selectorELNS0_4arch9wavefront6targetE1EEEvSK_: ; @_ZN7rocprim17ROCPRIM_400000_NS6detail17trampoline_kernelINS0_14default_configENS1_36segmented_radix_sort_config_selectorIalEEZNS1_25segmented_radix_sort_implIS3_Lb1EPKaPaPKlPlN2at6native12_GLOBAL__N_18offset_tEEE10hipError_tPvRmT1_PNSt15iterator_traitsISK_E10value_typeET2_T3_PNSL_ISQ_E10value_typeET4_jRbjT5_SW_jjP12ihipStream_tbEUlT_E_NS1_11comp_targetILNS1_3genE2ELNS1_11target_archE906ELNS1_3gpuE6ELNS1_3repE0EEENS1_30default_config_static_selectorELNS0_4arch9wavefront6targetE1EEEvSK_
; %bb.0:
	.section	.rodata,"a",@progbits
	.p2align	6, 0x0
	.amdhsa_kernel _ZN7rocprim17ROCPRIM_400000_NS6detail17trampoline_kernelINS0_14default_configENS1_36segmented_radix_sort_config_selectorIalEEZNS1_25segmented_radix_sort_implIS3_Lb1EPKaPaPKlPlN2at6native12_GLOBAL__N_18offset_tEEE10hipError_tPvRmT1_PNSt15iterator_traitsISK_E10value_typeET2_T3_PNSL_ISQ_E10value_typeET4_jRbjT5_SW_jjP12ihipStream_tbEUlT_E_NS1_11comp_targetILNS1_3genE2ELNS1_11target_archE906ELNS1_3gpuE6ELNS1_3repE0EEENS1_30default_config_static_selectorELNS0_4arch9wavefront6targetE1EEEvSK_
		.amdhsa_group_segment_fixed_size 0
		.amdhsa_private_segment_fixed_size 0
		.amdhsa_kernarg_size 96
		.amdhsa_user_sgpr_count 6
		.amdhsa_user_sgpr_private_segment_buffer 1
		.amdhsa_user_sgpr_dispatch_ptr 0
		.amdhsa_user_sgpr_queue_ptr 0
		.amdhsa_user_sgpr_kernarg_segment_ptr 1
		.amdhsa_user_sgpr_dispatch_id 0
		.amdhsa_user_sgpr_flat_scratch_init 0
		.amdhsa_user_sgpr_kernarg_preload_length 0
		.amdhsa_user_sgpr_kernarg_preload_offset 0
		.amdhsa_user_sgpr_private_segment_size 0
		.amdhsa_uses_dynamic_stack 0
		.amdhsa_system_sgpr_private_segment_wavefront_offset 0
		.amdhsa_system_sgpr_workgroup_id_x 1
		.amdhsa_system_sgpr_workgroup_id_y 0
		.amdhsa_system_sgpr_workgroup_id_z 0
		.amdhsa_system_sgpr_workgroup_info 0
		.amdhsa_system_vgpr_workitem_id 0
		.amdhsa_next_free_vgpr 1
		.amdhsa_next_free_sgpr 0
		.amdhsa_accum_offset 4
		.amdhsa_reserve_vcc 0
		.amdhsa_reserve_flat_scratch 0
		.amdhsa_float_round_mode_32 0
		.amdhsa_float_round_mode_16_64 0
		.amdhsa_float_denorm_mode_32 3
		.amdhsa_float_denorm_mode_16_64 3
		.amdhsa_dx10_clamp 1
		.amdhsa_ieee_mode 1
		.amdhsa_fp16_overflow 0
		.amdhsa_tg_split 0
		.amdhsa_exception_fp_ieee_invalid_op 0
		.amdhsa_exception_fp_denorm_src 0
		.amdhsa_exception_fp_ieee_div_zero 0
		.amdhsa_exception_fp_ieee_overflow 0
		.amdhsa_exception_fp_ieee_underflow 0
		.amdhsa_exception_fp_ieee_inexact 0
		.amdhsa_exception_int_div_zero 0
	.end_amdhsa_kernel
	.section	.text._ZN7rocprim17ROCPRIM_400000_NS6detail17trampoline_kernelINS0_14default_configENS1_36segmented_radix_sort_config_selectorIalEEZNS1_25segmented_radix_sort_implIS3_Lb1EPKaPaPKlPlN2at6native12_GLOBAL__N_18offset_tEEE10hipError_tPvRmT1_PNSt15iterator_traitsISK_E10value_typeET2_T3_PNSL_ISQ_E10value_typeET4_jRbjT5_SW_jjP12ihipStream_tbEUlT_E_NS1_11comp_targetILNS1_3genE2ELNS1_11target_archE906ELNS1_3gpuE6ELNS1_3repE0EEENS1_30default_config_static_selectorELNS0_4arch9wavefront6targetE1EEEvSK_,"axG",@progbits,_ZN7rocprim17ROCPRIM_400000_NS6detail17trampoline_kernelINS0_14default_configENS1_36segmented_radix_sort_config_selectorIalEEZNS1_25segmented_radix_sort_implIS3_Lb1EPKaPaPKlPlN2at6native12_GLOBAL__N_18offset_tEEE10hipError_tPvRmT1_PNSt15iterator_traitsISK_E10value_typeET2_T3_PNSL_ISQ_E10value_typeET4_jRbjT5_SW_jjP12ihipStream_tbEUlT_E_NS1_11comp_targetILNS1_3genE2ELNS1_11target_archE906ELNS1_3gpuE6ELNS1_3repE0EEENS1_30default_config_static_selectorELNS0_4arch9wavefront6targetE1EEEvSK_,comdat
.Lfunc_end295:
	.size	_ZN7rocprim17ROCPRIM_400000_NS6detail17trampoline_kernelINS0_14default_configENS1_36segmented_radix_sort_config_selectorIalEEZNS1_25segmented_radix_sort_implIS3_Lb1EPKaPaPKlPlN2at6native12_GLOBAL__N_18offset_tEEE10hipError_tPvRmT1_PNSt15iterator_traitsISK_E10value_typeET2_T3_PNSL_ISQ_E10value_typeET4_jRbjT5_SW_jjP12ihipStream_tbEUlT_E_NS1_11comp_targetILNS1_3genE2ELNS1_11target_archE906ELNS1_3gpuE6ELNS1_3repE0EEENS1_30default_config_static_selectorELNS0_4arch9wavefront6targetE1EEEvSK_, .Lfunc_end295-_ZN7rocprim17ROCPRIM_400000_NS6detail17trampoline_kernelINS0_14default_configENS1_36segmented_radix_sort_config_selectorIalEEZNS1_25segmented_radix_sort_implIS3_Lb1EPKaPaPKlPlN2at6native12_GLOBAL__N_18offset_tEEE10hipError_tPvRmT1_PNSt15iterator_traitsISK_E10value_typeET2_T3_PNSL_ISQ_E10value_typeET4_jRbjT5_SW_jjP12ihipStream_tbEUlT_E_NS1_11comp_targetILNS1_3genE2ELNS1_11target_archE906ELNS1_3gpuE6ELNS1_3repE0EEENS1_30default_config_static_selectorELNS0_4arch9wavefront6targetE1EEEvSK_
                                        ; -- End function
	.section	.AMDGPU.csdata,"",@progbits
; Kernel info:
; codeLenInByte = 0
; NumSgprs: 4
; NumVgprs: 0
; NumAgprs: 0
; TotalNumVgprs: 0
; ScratchSize: 0
; MemoryBound: 0
; FloatMode: 240
; IeeeMode: 1
; LDSByteSize: 0 bytes/workgroup (compile time only)
; SGPRBlocks: 0
; VGPRBlocks: 0
; NumSGPRsForWavesPerEU: 4
; NumVGPRsForWavesPerEU: 1
; AccumOffset: 4
; Occupancy: 8
; WaveLimiterHint : 0
; COMPUTE_PGM_RSRC2:SCRATCH_EN: 0
; COMPUTE_PGM_RSRC2:USER_SGPR: 6
; COMPUTE_PGM_RSRC2:TRAP_HANDLER: 0
; COMPUTE_PGM_RSRC2:TGID_X_EN: 1
; COMPUTE_PGM_RSRC2:TGID_Y_EN: 0
; COMPUTE_PGM_RSRC2:TGID_Z_EN: 0
; COMPUTE_PGM_RSRC2:TIDIG_COMP_CNT: 0
; COMPUTE_PGM_RSRC3_GFX90A:ACCUM_OFFSET: 0
; COMPUTE_PGM_RSRC3_GFX90A:TG_SPLIT: 0
	.section	.text._ZN7rocprim17ROCPRIM_400000_NS6detail17trampoline_kernelINS0_14default_configENS1_36segmented_radix_sort_config_selectorIalEEZNS1_25segmented_radix_sort_implIS3_Lb1EPKaPaPKlPlN2at6native12_GLOBAL__N_18offset_tEEE10hipError_tPvRmT1_PNSt15iterator_traitsISK_E10value_typeET2_T3_PNSL_ISQ_E10value_typeET4_jRbjT5_SW_jjP12ihipStream_tbEUlT_E_NS1_11comp_targetILNS1_3genE10ELNS1_11target_archE1201ELNS1_3gpuE5ELNS1_3repE0EEENS1_30default_config_static_selectorELNS0_4arch9wavefront6targetE1EEEvSK_,"axG",@progbits,_ZN7rocprim17ROCPRIM_400000_NS6detail17trampoline_kernelINS0_14default_configENS1_36segmented_radix_sort_config_selectorIalEEZNS1_25segmented_radix_sort_implIS3_Lb1EPKaPaPKlPlN2at6native12_GLOBAL__N_18offset_tEEE10hipError_tPvRmT1_PNSt15iterator_traitsISK_E10value_typeET2_T3_PNSL_ISQ_E10value_typeET4_jRbjT5_SW_jjP12ihipStream_tbEUlT_E_NS1_11comp_targetILNS1_3genE10ELNS1_11target_archE1201ELNS1_3gpuE5ELNS1_3repE0EEENS1_30default_config_static_selectorELNS0_4arch9wavefront6targetE1EEEvSK_,comdat
	.globl	_ZN7rocprim17ROCPRIM_400000_NS6detail17trampoline_kernelINS0_14default_configENS1_36segmented_radix_sort_config_selectorIalEEZNS1_25segmented_radix_sort_implIS3_Lb1EPKaPaPKlPlN2at6native12_GLOBAL__N_18offset_tEEE10hipError_tPvRmT1_PNSt15iterator_traitsISK_E10value_typeET2_T3_PNSL_ISQ_E10value_typeET4_jRbjT5_SW_jjP12ihipStream_tbEUlT_E_NS1_11comp_targetILNS1_3genE10ELNS1_11target_archE1201ELNS1_3gpuE5ELNS1_3repE0EEENS1_30default_config_static_selectorELNS0_4arch9wavefront6targetE1EEEvSK_ ; -- Begin function _ZN7rocprim17ROCPRIM_400000_NS6detail17trampoline_kernelINS0_14default_configENS1_36segmented_radix_sort_config_selectorIalEEZNS1_25segmented_radix_sort_implIS3_Lb1EPKaPaPKlPlN2at6native12_GLOBAL__N_18offset_tEEE10hipError_tPvRmT1_PNSt15iterator_traitsISK_E10value_typeET2_T3_PNSL_ISQ_E10value_typeET4_jRbjT5_SW_jjP12ihipStream_tbEUlT_E_NS1_11comp_targetILNS1_3genE10ELNS1_11target_archE1201ELNS1_3gpuE5ELNS1_3repE0EEENS1_30default_config_static_selectorELNS0_4arch9wavefront6targetE1EEEvSK_
	.p2align	8
	.type	_ZN7rocprim17ROCPRIM_400000_NS6detail17trampoline_kernelINS0_14default_configENS1_36segmented_radix_sort_config_selectorIalEEZNS1_25segmented_radix_sort_implIS3_Lb1EPKaPaPKlPlN2at6native12_GLOBAL__N_18offset_tEEE10hipError_tPvRmT1_PNSt15iterator_traitsISK_E10value_typeET2_T3_PNSL_ISQ_E10value_typeET4_jRbjT5_SW_jjP12ihipStream_tbEUlT_E_NS1_11comp_targetILNS1_3genE10ELNS1_11target_archE1201ELNS1_3gpuE5ELNS1_3repE0EEENS1_30default_config_static_selectorELNS0_4arch9wavefront6targetE1EEEvSK_,@function
_ZN7rocprim17ROCPRIM_400000_NS6detail17trampoline_kernelINS0_14default_configENS1_36segmented_radix_sort_config_selectorIalEEZNS1_25segmented_radix_sort_implIS3_Lb1EPKaPaPKlPlN2at6native12_GLOBAL__N_18offset_tEEE10hipError_tPvRmT1_PNSt15iterator_traitsISK_E10value_typeET2_T3_PNSL_ISQ_E10value_typeET4_jRbjT5_SW_jjP12ihipStream_tbEUlT_E_NS1_11comp_targetILNS1_3genE10ELNS1_11target_archE1201ELNS1_3gpuE5ELNS1_3repE0EEENS1_30default_config_static_selectorELNS0_4arch9wavefront6targetE1EEEvSK_: ; @_ZN7rocprim17ROCPRIM_400000_NS6detail17trampoline_kernelINS0_14default_configENS1_36segmented_radix_sort_config_selectorIalEEZNS1_25segmented_radix_sort_implIS3_Lb1EPKaPaPKlPlN2at6native12_GLOBAL__N_18offset_tEEE10hipError_tPvRmT1_PNSt15iterator_traitsISK_E10value_typeET2_T3_PNSL_ISQ_E10value_typeET4_jRbjT5_SW_jjP12ihipStream_tbEUlT_E_NS1_11comp_targetILNS1_3genE10ELNS1_11target_archE1201ELNS1_3gpuE5ELNS1_3repE0EEENS1_30default_config_static_selectorELNS0_4arch9wavefront6targetE1EEEvSK_
; %bb.0:
	.section	.rodata,"a",@progbits
	.p2align	6, 0x0
	.amdhsa_kernel _ZN7rocprim17ROCPRIM_400000_NS6detail17trampoline_kernelINS0_14default_configENS1_36segmented_radix_sort_config_selectorIalEEZNS1_25segmented_radix_sort_implIS3_Lb1EPKaPaPKlPlN2at6native12_GLOBAL__N_18offset_tEEE10hipError_tPvRmT1_PNSt15iterator_traitsISK_E10value_typeET2_T3_PNSL_ISQ_E10value_typeET4_jRbjT5_SW_jjP12ihipStream_tbEUlT_E_NS1_11comp_targetILNS1_3genE10ELNS1_11target_archE1201ELNS1_3gpuE5ELNS1_3repE0EEENS1_30default_config_static_selectorELNS0_4arch9wavefront6targetE1EEEvSK_
		.amdhsa_group_segment_fixed_size 0
		.amdhsa_private_segment_fixed_size 0
		.amdhsa_kernarg_size 96
		.amdhsa_user_sgpr_count 6
		.amdhsa_user_sgpr_private_segment_buffer 1
		.amdhsa_user_sgpr_dispatch_ptr 0
		.amdhsa_user_sgpr_queue_ptr 0
		.amdhsa_user_sgpr_kernarg_segment_ptr 1
		.amdhsa_user_sgpr_dispatch_id 0
		.amdhsa_user_sgpr_flat_scratch_init 0
		.amdhsa_user_sgpr_kernarg_preload_length 0
		.amdhsa_user_sgpr_kernarg_preload_offset 0
		.amdhsa_user_sgpr_private_segment_size 0
		.amdhsa_uses_dynamic_stack 0
		.amdhsa_system_sgpr_private_segment_wavefront_offset 0
		.amdhsa_system_sgpr_workgroup_id_x 1
		.amdhsa_system_sgpr_workgroup_id_y 0
		.amdhsa_system_sgpr_workgroup_id_z 0
		.amdhsa_system_sgpr_workgroup_info 0
		.amdhsa_system_vgpr_workitem_id 0
		.amdhsa_next_free_vgpr 1
		.amdhsa_next_free_sgpr 0
		.amdhsa_accum_offset 4
		.amdhsa_reserve_vcc 0
		.amdhsa_reserve_flat_scratch 0
		.amdhsa_float_round_mode_32 0
		.amdhsa_float_round_mode_16_64 0
		.amdhsa_float_denorm_mode_32 3
		.amdhsa_float_denorm_mode_16_64 3
		.amdhsa_dx10_clamp 1
		.amdhsa_ieee_mode 1
		.amdhsa_fp16_overflow 0
		.amdhsa_tg_split 0
		.amdhsa_exception_fp_ieee_invalid_op 0
		.amdhsa_exception_fp_denorm_src 0
		.amdhsa_exception_fp_ieee_div_zero 0
		.amdhsa_exception_fp_ieee_overflow 0
		.amdhsa_exception_fp_ieee_underflow 0
		.amdhsa_exception_fp_ieee_inexact 0
		.amdhsa_exception_int_div_zero 0
	.end_amdhsa_kernel
	.section	.text._ZN7rocprim17ROCPRIM_400000_NS6detail17trampoline_kernelINS0_14default_configENS1_36segmented_radix_sort_config_selectorIalEEZNS1_25segmented_radix_sort_implIS3_Lb1EPKaPaPKlPlN2at6native12_GLOBAL__N_18offset_tEEE10hipError_tPvRmT1_PNSt15iterator_traitsISK_E10value_typeET2_T3_PNSL_ISQ_E10value_typeET4_jRbjT5_SW_jjP12ihipStream_tbEUlT_E_NS1_11comp_targetILNS1_3genE10ELNS1_11target_archE1201ELNS1_3gpuE5ELNS1_3repE0EEENS1_30default_config_static_selectorELNS0_4arch9wavefront6targetE1EEEvSK_,"axG",@progbits,_ZN7rocprim17ROCPRIM_400000_NS6detail17trampoline_kernelINS0_14default_configENS1_36segmented_radix_sort_config_selectorIalEEZNS1_25segmented_radix_sort_implIS3_Lb1EPKaPaPKlPlN2at6native12_GLOBAL__N_18offset_tEEE10hipError_tPvRmT1_PNSt15iterator_traitsISK_E10value_typeET2_T3_PNSL_ISQ_E10value_typeET4_jRbjT5_SW_jjP12ihipStream_tbEUlT_E_NS1_11comp_targetILNS1_3genE10ELNS1_11target_archE1201ELNS1_3gpuE5ELNS1_3repE0EEENS1_30default_config_static_selectorELNS0_4arch9wavefront6targetE1EEEvSK_,comdat
.Lfunc_end296:
	.size	_ZN7rocprim17ROCPRIM_400000_NS6detail17trampoline_kernelINS0_14default_configENS1_36segmented_radix_sort_config_selectorIalEEZNS1_25segmented_radix_sort_implIS3_Lb1EPKaPaPKlPlN2at6native12_GLOBAL__N_18offset_tEEE10hipError_tPvRmT1_PNSt15iterator_traitsISK_E10value_typeET2_T3_PNSL_ISQ_E10value_typeET4_jRbjT5_SW_jjP12ihipStream_tbEUlT_E_NS1_11comp_targetILNS1_3genE10ELNS1_11target_archE1201ELNS1_3gpuE5ELNS1_3repE0EEENS1_30default_config_static_selectorELNS0_4arch9wavefront6targetE1EEEvSK_, .Lfunc_end296-_ZN7rocprim17ROCPRIM_400000_NS6detail17trampoline_kernelINS0_14default_configENS1_36segmented_radix_sort_config_selectorIalEEZNS1_25segmented_radix_sort_implIS3_Lb1EPKaPaPKlPlN2at6native12_GLOBAL__N_18offset_tEEE10hipError_tPvRmT1_PNSt15iterator_traitsISK_E10value_typeET2_T3_PNSL_ISQ_E10value_typeET4_jRbjT5_SW_jjP12ihipStream_tbEUlT_E_NS1_11comp_targetILNS1_3genE10ELNS1_11target_archE1201ELNS1_3gpuE5ELNS1_3repE0EEENS1_30default_config_static_selectorELNS0_4arch9wavefront6targetE1EEEvSK_
                                        ; -- End function
	.section	.AMDGPU.csdata,"",@progbits
; Kernel info:
; codeLenInByte = 0
; NumSgprs: 4
; NumVgprs: 0
; NumAgprs: 0
; TotalNumVgprs: 0
; ScratchSize: 0
; MemoryBound: 0
; FloatMode: 240
; IeeeMode: 1
; LDSByteSize: 0 bytes/workgroup (compile time only)
; SGPRBlocks: 0
; VGPRBlocks: 0
; NumSGPRsForWavesPerEU: 4
; NumVGPRsForWavesPerEU: 1
; AccumOffset: 4
; Occupancy: 8
; WaveLimiterHint : 0
; COMPUTE_PGM_RSRC2:SCRATCH_EN: 0
; COMPUTE_PGM_RSRC2:USER_SGPR: 6
; COMPUTE_PGM_RSRC2:TRAP_HANDLER: 0
; COMPUTE_PGM_RSRC2:TGID_X_EN: 1
; COMPUTE_PGM_RSRC2:TGID_Y_EN: 0
; COMPUTE_PGM_RSRC2:TGID_Z_EN: 0
; COMPUTE_PGM_RSRC2:TIDIG_COMP_CNT: 0
; COMPUTE_PGM_RSRC3_GFX90A:ACCUM_OFFSET: 0
; COMPUTE_PGM_RSRC3_GFX90A:TG_SPLIT: 0
	.section	.text._ZN7rocprim17ROCPRIM_400000_NS6detail17trampoline_kernelINS0_14default_configENS1_36segmented_radix_sort_config_selectorIalEEZNS1_25segmented_radix_sort_implIS3_Lb1EPKaPaPKlPlN2at6native12_GLOBAL__N_18offset_tEEE10hipError_tPvRmT1_PNSt15iterator_traitsISK_E10value_typeET2_T3_PNSL_ISQ_E10value_typeET4_jRbjT5_SW_jjP12ihipStream_tbEUlT_E_NS1_11comp_targetILNS1_3genE10ELNS1_11target_archE1200ELNS1_3gpuE4ELNS1_3repE0EEENS1_30default_config_static_selectorELNS0_4arch9wavefront6targetE1EEEvSK_,"axG",@progbits,_ZN7rocprim17ROCPRIM_400000_NS6detail17trampoline_kernelINS0_14default_configENS1_36segmented_radix_sort_config_selectorIalEEZNS1_25segmented_radix_sort_implIS3_Lb1EPKaPaPKlPlN2at6native12_GLOBAL__N_18offset_tEEE10hipError_tPvRmT1_PNSt15iterator_traitsISK_E10value_typeET2_T3_PNSL_ISQ_E10value_typeET4_jRbjT5_SW_jjP12ihipStream_tbEUlT_E_NS1_11comp_targetILNS1_3genE10ELNS1_11target_archE1200ELNS1_3gpuE4ELNS1_3repE0EEENS1_30default_config_static_selectorELNS0_4arch9wavefront6targetE1EEEvSK_,comdat
	.globl	_ZN7rocprim17ROCPRIM_400000_NS6detail17trampoline_kernelINS0_14default_configENS1_36segmented_radix_sort_config_selectorIalEEZNS1_25segmented_radix_sort_implIS3_Lb1EPKaPaPKlPlN2at6native12_GLOBAL__N_18offset_tEEE10hipError_tPvRmT1_PNSt15iterator_traitsISK_E10value_typeET2_T3_PNSL_ISQ_E10value_typeET4_jRbjT5_SW_jjP12ihipStream_tbEUlT_E_NS1_11comp_targetILNS1_3genE10ELNS1_11target_archE1200ELNS1_3gpuE4ELNS1_3repE0EEENS1_30default_config_static_selectorELNS0_4arch9wavefront6targetE1EEEvSK_ ; -- Begin function _ZN7rocprim17ROCPRIM_400000_NS6detail17trampoline_kernelINS0_14default_configENS1_36segmented_radix_sort_config_selectorIalEEZNS1_25segmented_radix_sort_implIS3_Lb1EPKaPaPKlPlN2at6native12_GLOBAL__N_18offset_tEEE10hipError_tPvRmT1_PNSt15iterator_traitsISK_E10value_typeET2_T3_PNSL_ISQ_E10value_typeET4_jRbjT5_SW_jjP12ihipStream_tbEUlT_E_NS1_11comp_targetILNS1_3genE10ELNS1_11target_archE1200ELNS1_3gpuE4ELNS1_3repE0EEENS1_30default_config_static_selectorELNS0_4arch9wavefront6targetE1EEEvSK_
	.p2align	8
	.type	_ZN7rocprim17ROCPRIM_400000_NS6detail17trampoline_kernelINS0_14default_configENS1_36segmented_radix_sort_config_selectorIalEEZNS1_25segmented_radix_sort_implIS3_Lb1EPKaPaPKlPlN2at6native12_GLOBAL__N_18offset_tEEE10hipError_tPvRmT1_PNSt15iterator_traitsISK_E10value_typeET2_T3_PNSL_ISQ_E10value_typeET4_jRbjT5_SW_jjP12ihipStream_tbEUlT_E_NS1_11comp_targetILNS1_3genE10ELNS1_11target_archE1200ELNS1_3gpuE4ELNS1_3repE0EEENS1_30default_config_static_selectorELNS0_4arch9wavefront6targetE1EEEvSK_,@function
_ZN7rocprim17ROCPRIM_400000_NS6detail17trampoline_kernelINS0_14default_configENS1_36segmented_radix_sort_config_selectorIalEEZNS1_25segmented_radix_sort_implIS3_Lb1EPKaPaPKlPlN2at6native12_GLOBAL__N_18offset_tEEE10hipError_tPvRmT1_PNSt15iterator_traitsISK_E10value_typeET2_T3_PNSL_ISQ_E10value_typeET4_jRbjT5_SW_jjP12ihipStream_tbEUlT_E_NS1_11comp_targetILNS1_3genE10ELNS1_11target_archE1200ELNS1_3gpuE4ELNS1_3repE0EEENS1_30default_config_static_selectorELNS0_4arch9wavefront6targetE1EEEvSK_: ; @_ZN7rocprim17ROCPRIM_400000_NS6detail17trampoline_kernelINS0_14default_configENS1_36segmented_radix_sort_config_selectorIalEEZNS1_25segmented_radix_sort_implIS3_Lb1EPKaPaPKlPlN2at6native12_GLOBAL__N_18offset_tEEE10hipError_tPvRmT1_PNSt15iterator_traitsISK_E10value_typeET2_T3_PNSL_ISQ_E10value_typeET4_jRbjT5_SW_jjP12ihipStream_tbEUlT_E_NS1_11comp_targetILNS1_3genE10ELNS1_11target_archE1200ELNS1_3gpuE4ELNS1_3repE0EEENS1_30default_config_static_selectorELNS0_4arch9wavefront6targetE1EEEvSK_
; %bb.0:
	.section	.rodata,"a",@progbits
	.p2align	6, 0x0
	.amdhsa_kernel _ZN7rocprim17ROCPRIM_400000_NS6detail17trampoline_kernelINS0_14default_configENS1_36segmented_radix_sort_config_selectorIalEEZNS1_25segmented_radix_sort_implIS3_Lb1EPKaPaPKlPlN2at6native12_GLOBAL__N_18offset_tEEE10hipError_tPvRmT1_PNSt15iterator_traitsISK_E10value_typeET2_T3_PNSL_ISQ_E10value_typeET4_jRbjT5_SW_jjP12ihipStream_tbEUlT_E_NS1_11comp_targetILNS1_3genE10ELNS1_11target_archE1200ELNS1_3gpuE4ELNS1_3repE0EEENS1_30default_config_static_selectorELNS0_4arch9wavefront6targetE1EEEvSK_
		.amdhsa_group_segment_fixed_size 0
		.amdhsa_private_segment_fixed_size 0
		.amdhsa_kernarg_size 96
		.amdhsa_user_sgpr_count 6
		.amdhsa_user_sgpr_private_segment_buffer 1
		.amdhsa_user_sgpr_dispatch_ptr 0
		.amdhsa_user_sgpr_queue_ptr 0
		.amdhsa_user_sgpr_kernarg_segment_ptr 1
		.amdhsa_user_sgpr_dispatch_id 0
		.amdhsa_user_sgpr_flat_scratch_init 0
		.amdhsa_user_sgpr_kernarg_preload_length 0
		.amdhsa_user_sgpr_kernarg_preload_offset 0
		.amdhsa_user_sgpr_private_segment_size 0
		.amdhsa_uses_dynamic_stack 0
		.amdhsa_system_sgpr_private_segment_wavefront_offset 0
		.amdhsa_system_sgpr_workgroup_id_x 1
		.amdhsa_system_sgpr_workgroup_id_y 0
		.amdhsa_system_sgpr_workgroup_id_z 0
		.amdhsa_system_sgpr_workgroup_info 0
		.amdhsa_system_vgpr_workitem_id 0
		.amdhsa_next_free_vgpr 1
		.amdhsa_next_free_sgpr 0
		.amdhsa_accum_offset 4
		.amdhsa_reserve_vcc 0
		.amdhsa_reserve_flat_scratch 0
		.amdhsa_float_round_mode_32 0
		.amdhsa_float_round_mode_16_64 0
		.amdhsa_float_denorm_mode_32 3
		.amdhsa_float_denorm_mode_16_64 3
		.amdhsa_dx10_clamp 1
		.amdhsa_ieee_mode 1
		.amdhsa_fp16_overflow 0
		.amdhsa_tg_split 0
		.amdhsa_exception_fp_ieee_invalid_op 0
		.amdhsa_exception_fp_denorm_src 0
		.amdhsa_exception_fp_ieee_div_zero 0
		.amdhsa_exception_fp_ieee_overflow 0
		.amdhsa_exception_fp_ieee_underflow 0
		.amdhsa_exception_fp_ieee_inexact 0
		.amdhsa_exception_int_div_zero 0
	.end_amdhsa_kernel
	.section	.text._ZN7rocprim17ROCPRIM_400000_NS6detail17trampoline_kernelINS0_14default_configENS1_36segmented_radix_sort_config_selectorIalEEZNS1_25segmented_radix_sort_implIS3_Lb1EPKaPaPKlPlN2at6native12_GLOBAL__N_18offset_tEEE10hipError_tPvRmT1_PNSt15iterator_traitsISK_E10value_typeET2_T3_PNSL_ISQ_E10value_typeET4_jRbjT5_SW_jjP12ihipStream_tbEUlT_E_NS1_11comp_targetILNS1_3genE10ELNS1_11target_archE1200ELNS1_3gpuE4ELNS1_3repE0EEENS1_30default_config_static_selectorELNS0_4arch9wavefront6targetE1EEEvSK_,"axG",@progbits,_ZN7rocprim17ROCPRIM_400000_NS6detail17trampoline_kernelINS0_14default_configENS1_36segmented_radix_sort_config_selectorIalEEZNS1_25segmented_radix_sort_implIS3_Lb1EPKaPaPKlPlN2at6native12_GLOBAL__N_18offset_tEEE10hipError_tPvRmT1_PNSt15iterator_traitsISK_E10value_typeET2_T3_PNSL_ISQ_E10value_typeET4_jRbjT5_SW_jjP12ihipStream_tbEUlT_E_NS1_11comp_targetILNS1_3genE10ELNS1_11target_archE1200ELNS1_3gpuE4ELNS1_3repE0EEENS1_30default_config_static_selectorELNS0_4arch9wavefront6targetE1EEEvSK_,comdat
.Lfunc_end297:
	.size	_ZN7rocprim17ROCPRIM_400000_NS6detail17trampoline_kernelINS0_14default_configENS1_36segmented_radix_sort_config_selectorIalEEZNS1_25segmented_radix_sort_implIS3_Lb1EPKaPaPKlPlN2at6native12_GLOBAL__N_18offset_tEEE10hipError_tPvRmT1_PNSt15iterator_traitsISK_E10value_typeET2_T3_PNSL_ISQ_E10value_typeET4_jRbjT5_SW_jjP12ihipStream_tbEUlT_E_NS1_11comp_targetILNS1_3genE10ELNS1_11target_archE1200ELNS1_3gpuE4ELNS1_3repE0EEENS1_30default_config_static_selectorELNS0_4arch9wavefront6targetE1EEEvSK_, .Lfunc_end297-_ZN7rocprim17ROCPRIM_400000_NS6detail17trampoline_kernelINS0_14default_configENS1_36segmented_radix_sort_config_selectorIalEEZNS1_25segmented_radix_sort_implIS3_Lb1EPKaPaPKlPlN2at6native12_GLOBAL__N_18offset_tEEE10hipError_tPvRmT1_PNSt15iterator_traitsISK_E10value_typeET2_T3_PNSL_ISQ_E10value_typeET4_jRbjT5_SW_jjP12ihipStream_tbEUlT_E_NS1_11comp_targetILNS1_3genE10ELNS1_11target_archE1200ELNS1_3gpuE4ELNS1_3repE0EEENS1_30default_config_static_selectorELNS0_4arch9wavefront6targetE1EEEvSK_
                                        ; -- End function
	.section	.AMDGPU.csdata,"",@progbits
; Kernel info:
; codeLenInByte = 0
; NumSgprs: 4
; NumVgprs: 0
; NumAgprs: 0
; TotalNumVgprs: 0
; ScratchSize: 0
; MemoryBound: 0
; FloatMode: 240
; IeeeMode: 1
; LDSByteSize: 0 bytes/workgroup (compile time only)
; SGPRBlocks: 0
; VGPRBlocks: 0
; NumSGPRsForWavesPerEU: 4
; NumVGPRsForWavesPerEU: 1
; AccumOffset: 4
; Occupancy: 8
; WaveLimiterHint : 0
; COMPUTE_PGM_RSRC2:SCRATCH_EN: 0
; COMPUTE_PGM_RSRC2:USER_SGPR: 6
; COMPUTE_PGM_RSRC2:TRAP_HANDLER: 0
; COMPUTE_PGM_RSRC2:TGID_X_EN: 1
; COMPUTE_PGM_RSRC2:TGID_Y_EN: 0
; COMPUTE_PGM_RSRC2:TGID_Z_EN: 0
; COMPUTE_PGM_RSRC2:TIDIG_COMP_CNT: 0
; COMPUTE_PGM_RSRC3_GFX90A:ACCUM_OFFSET: 0
; COMPUTE_PGM_RSRC3_GFX90A:TG_SPLIT: 0
	.section	.text._ZN7rocprim17ROCPRIM_400000_NS6detail17trampoline_kernelINS0_14default_configENS1_36segmented_radix_sort_config_selectorIalEEZNS1_25segmented_radix_sort_implIS3_Lb1EPKaPaPKlPlN2at6native12_GLOBAL__N_18offset_tEEE10hipError_tPvRmT1_PNSt15iterator_traitsISK_E10value_typeET2_T3_PNSL_ISQ_E10value_typeET4_jRbjT5_SW_jjP12ihipStream_tbEUlT_E_NS1_11comp_targetILNS1_3genE9ELNS1_11target_archE1100ELNS1_3gpuE3ELNS1_3repE0EEENS1_30default_config_static_selectorELNS0_4arch9wavefront6targetE1EEEvSK_,"axG",@progbits,_ZN7rocprim17ROCPRIM_400000_NS6detail17trampoline_kernelINS0_14default_configENS1_36segmented_radix_sort_config_selectorIalEEZNS1_25segmented_radix_sort_implIS3_Lb1EPKaPaPKlPlN2at6native12_GLOBAL__N_18offset_tEEE10hipError_tPvRmT1_PNSt15iterator_traitsISK_E10value_typeET2_T3_PNSL_ISQ_E10value_typeET4_jRbjT5_SW_jjP12ihipStream_tbEUlT_E_NS1_11comp_targetILNS1_3genE9ELNS1_11target_archE1100ELNS1_3gpuE3ELNS1_3repE0EEENS1_30default_config_static_selectorELNS0_4arch9wavefront6targetE1EEEvSK_,comdat
	.globl	_ZN7rocprim17ROCPRIM_400000_NS6detail17trampoline_kernelINS0_14default_configENS1_36segmented_radix_sort_config_selectorIalEEZNS1_25segmented_radix_sort_implIS3_Lb1EPKaPaPKlPlN2at6native12_GLOBAL__N_18offset_tEEE10hipError_tPvRmT1_PNSt15iterator_traitsISK_E10value_typeET2_T3_PNSL_ISQ_E10value_typeET4_jRbjT5_SW_jjP12ihipStream_tbEUlT_E_NS1_11comp_targetILNS1_3genE9ELNS1_11target_archE1100ELNS1_3gpuE3ELNS1_3repE0EEENS1_30default_config_static_selectorELNS0_4arch9wavefront6targetE1EEEvSK_ ; -- Begin function _ZN7rocprim17ROCPRIM_400000_NS6detail17trampoline_kernelINS0_14default_configENS1_36segmented_radix_sort_config_selectorIalEEZNS1_25segmented_radix_sort_implIS3_Lb1EPKaPaPKlPlN2at6native12_GLOBAL__N_18offset_tEEE10hipError_tPvRmT1_PNSt15iterator_traitsISK_E10value_typeET2_T3_PNSL_ISQ_E10value_typeET4_jRbjT5_SW_jjP12ihipStream_tbEUlT_E_NS1_11comp_targetILNS1_3genE9ELNS1_11target_archE1100ELNS1_3gpuE3ELNS1_3repE0EEENS1_30default_config_static_selectorELNS0_4arch9wavefront6targetE1EEEvSK_
	.p2align	8
	.type	_ZN7rocprim17ROCPRIM_400000_NS6detail17trampoline_kernelINS0_14default_configENS1_36segmented_radix_sort_config_selectorIalEEZNS1_25segmented_radix_sort_implIS3_Lb1EPKaPaPKlPlN2at6native12_GLOBAL__N_18offset_tEEE10hipError_tPvRmT1_PNSt15iterator_traitsISK_E10value_typeET2_T3_PNSL_ISQ_E10value_typeET4_jRbjT5_SW_jjP12ihipStream_tbEUlT_E_NS1_11comp_targetILNS1_3genE9ELNS1_11target_archE1100ELNS1_3gpuE3ELNS1_3repE0EEENS1_30default_config_static_selectorELNS0_4arch9wavefront6targetE1EEEvSK_,@function
_ZN7rocprim17ROCPRIM_400000_NS6detail17trampoline_kernelINS0_14default_configENS1_36segmented_radix_sort_config_selectorIalEEZNS1_25segmented_radix_sort_implIS3_Lb1EPKaPaPKlPlN2at6native12_GLOBAL__N_18offset_tEEE10hipError_tPvRmT1_PNSt15iterator_traitsISK_E10value_typeET2_T3_PNSL_ISQ_E10value_typeET4_jRbjT5_SW_jjP12ihipStream_tbEUlT_E_NS1_11comp_targetILNS1_3genE9ELNS1_11target_archE1100ELNS1_3gpuE3ELNS1_3repE0EEENS1_30default_config_static_selectorELNS0_4arch9wavefront6targetE1EEEvSK_: ; @_ZN7rocprim17ROCPRIM_400000_NS6detail17trampoline_kernelINS0_14default_configENS1_36segmented_radix_sort_config_selectorIalEEZNS1_25segmented_radix_sort_implIS3_Lb1EPKaPaPKlPlN2at6native12_GLOBAL__N_18offset_tEEE10hipError_tPvRmT1_PNSt15iterator_traitsISK_E10value_typeET2_T3_PNSL_ISQ_E10value_typeET4_jRbjT5_SW_jjP12ihipStream_tbEUlT_E_NS1_11comp_targetILNS1_3genE9ELNS1_11target_archE1100ELNS1_3gpuE3ELNS1_3repE0EEENS1_30default_config_static_selectorELNS0_4arch9wavefront6targetE1EEEvSK_
; %bb.0:
	.section	.rodata,"a",@progbits
	.p2align	6, 0x0
	.amdhsa_kernel _ZN7rocprim17ROCPRIM_400000_NS6detail17trampoline_kernelINS0_14default_configENS1_36segmented_radix_sort_config_selectorIalEEZNS1_25segmented_radix_sort_implIS3_Lb1EPKaPaPKlPlN2at6native12_GLOBAL__N_18offset_tEEE10hipError_tPvRmT1_PNSt15iterator_traitsISK_E10value_typeET2_T3_PNSL_ISQ_E10value_typeET4_jRbjT5_SW_jjP12ihipStream_tbEUlT_E_NS1_11comp_targetILNS1_3genE9ELNS1_11target_archE1100ELNS1_3gpuE3ELNS1_3repE0EEENS1_30default_config_static_selectorELNS0_4arch9wavefront6targetE1EEEvSK_
		.amdhsa_group_segment_fixed_size 0
		.amdhsa_private_segment_fixed_size 0
		.amdhsa_kernarg_size 96
		.amdhsa_user_sgpr_count 6
		.amdhsa_user_sgpr_private_segment_buffer 1
		.amdhsa_user_sgpr_dispatch_ptr 0
		.amdhsa_user_sgpr_queue_ptr 0
		.amdhsa_user_sgpr_kernarg_segment_ptr 1
		.amdhsa_user_sgpr_dispatch_id 0
		.amdhsa_user_sgpr_flat_scratch_init 0
		.amdhsa_user_sgpr_kernarg_preload_length 0
		.amdhsa_user_sgpr_kernarg_preload_offset 0
		.amdhsa_user_sgpr_private_segment_size 0
		.amdhsa_uses_dynamic_stack 0
		.amdhsa_system_sgpr_private_segment_wavefront_offset 0
		.amdhsa_system_sgpr_workgroup_id_x 1
		.amdhsa_system_sgpr_workgroup_id_y 0
		.amdhsa_system_sgpr_workgroup_id_z 0
		.amdhsa_system_sgpr_workgroup_info 0
		.amdhsa_system_vgpr_workitem_id 0
		.amdhsa_next_free_vgpr 1
		.amdhsa_next_free_sgpr 0
		.amdhsa_accum_offset 4
		.amdhsa_reserve_vcc 0
		.amdhsa_reserve_flat_scratch 0
		.amdhsa_float_round_mode_32 0
		.amdhsa_float_round_mode_16_64 0
		.amdhsa_float_denorm_mode_32 3
		.amdhsa_float_denorm_mode_16_64 3
		.amdhsa_dx10_clamp 1
		.amdhsa_ieee_mode 1
		.amdhsa_fp16_overflow 0
		.amdhsa_tg_split 0
		.amdhsa_exception_fp_ieee_invalid_op 0
		.amdhsa_exception_fp_denorm_src 0
		.amdhsa_exception_fp_ieee_div_zero 0
		.amdhsa_exception_fp_ieee_overflow 0
		.amdhsa_exception_fp_ieee_underflow 0
		.amdhsa_exception_fp_ieee_inexact 0
		.amdhsa_exception_int_div_zero 0
	.end_amdhsa_kernel
	.section	.text._ZN7rocprim17ROCPRIM_400000_NS6detail17trampoline_kernelINS0_14default_configENS1_36segmented_radix_sort_config_selectorIalEEZNS1_25segmented_radix_sort_implIS3_Lb1EPKaPaPKlPlN2at6native12_GLOBAL__N_18offset_tEEE10hipError_tPvRmT1_PNSt15iterator_traitsISK_E10value_typeET2_T3_PNSL_ISQ_E10value_typeET4_jRbjT5_SW_jjP12ihipStream_tbEUlT_E_NS1_11comp_targetILNS1_3genE9ELNS1_11target_archE1100ELNS1_3gpuE3ELNS1_3repE0EEENS1_30default_config_static_selectorELNS0_4arch9wavefront6targetE1EEEvSK_,"axG",@progbits,_ZN7rocprim17ROCPRIM_400000_NS6detail17trampoline_kernelINS0_14default_configENS1_36segmented_radix_sort_config_selectorIalEEZNS1_25segmented_radix_sort_implIS3_Lb1EPKaPaPKlPlN2at6native12_GLOBAL__N_18offset_tEEE10hipError_tPvRmT1_PNSt15iterator_traitsISK_E10value_typeET2_T3_PNSL_ISQ_E10value_typeET4_jRbjT5_SW_jjP12ihipStream_tbEUlT_E_NS1_11comp_targetILNS1_3genE9ELNS1_11target_archE1100ELNS1_3gpuE3ELNS1_3repE0EEENS1_30default_config_static_selectorELNS0_4arch9wavefront6targetE1EEEvSK_,comdat
.Lfunc_end298:
	.size	_ZN7rocprim17ROCPRIM_400000_NS6detail17trampoline_kernelINS0_14default_configENS1_36segmented_radix_sort_config_selectorIalEEZNS1_25segmented_radix_sort_implIS3_Lb1EPKaPaPKlPlN2at6native12_GLOBAL__N_18offset_tEEE10hipError_tPvRmT1_PNSt15iterator_traitsISK_E10value_typeET2_T3_PNSL_ISQ_E10value_typeET4_jRbjT5_SW_jjP12ihipStream_tbEUlT_E_NS1_11comp_targetILNS1_3genE9ELNS1_11target_archE1100ELNS1_3gpuE3ELNS1_3repE0EEENS1_30default_config_static_selectorELNS0_4arch9wavefront6targetE1EEEvSK_, .Lfunc_end298-_ZN7rocprim17ROCPRIM_400000_NS6detail17trampoline_kernelINS0_14default_configENS1_36segmented_radix_sort_config_selectorIalEEZNS1_25segmented_radix_sort_implIS3_Lb1EPKaPaPKlPlN2at6native12_GLOBAL__N_18offset_tEEE10hipError_tPvRmT1_PNSt15iterator_traitsISK_E10value_typeET2_T3_PNSL_ISQ_E10value_typeET4_jRbjT5_SW_jjP12ihipStream_tbEUlT_E_NS1_11comp_targetILNS1_3genE9ELNS1_11target_archE1100ELNS1_3gpuE3ELNS1_3repE0EEENS1_30default_config_static_selectorELNS0_4arch9wavefront6targetE1EEEvSK_
                                        ; -- End function
	.section	.AMDGPU.csdata,"",@progbits
; Kernel info:
; codeLenInByte = 0
; NumSgprs: 4
; NumVgprs: 0
; NumAgprs: 0
; TotalNumVgprs: 0
; ScratchSize: 0
; MemoryBound: 0
; FloatMode: 240
; IeeeMode: 1
; LDSByteSize: 0 bytes/workgroup (compile time only)
; SGPRBlocks: 0
; VGPRBlocks: 0
; NumSGPRsForWavesPerEU: 4
; NumVGPRsForWavesPerEU: 1
; AccumOffset: 4
; Occupancy: 8
; WaveLimiterHint : 0
; COMPUTE_PGM_RSRC2:SCRATCH_EN: 0
; COMPUTE_PGM_RSRC2:USER_SGPR: 6
; COMPUTE_PGM_RSRC2:TRAP_HANDLER: 0
; COMPUTE_PGM_RSRC2:TGID_X_EN: 1
; COMPUTE_PGM_RSRC2:TGID_Y_EN: 0
; COMPUTE_PGM_RSRC2:TGID_Z_EN: 0
; COMPUTE_PGM_RSRC2:TIDIG_COMP_CNT: 0
; COMPUTE_PGM_RSRC3_GFX90A:ACCUM_OFFSET: 0
; COMPUTE_PGM_RSRC3_GFX90A:TG_SPLIT: 0
	.section	.text._ZN7rocprim17ROCPRIM_400000_NS6detail17trampoline_kernelINS0_14default_configENS1_36segmented_radix_sort_config_selectorIalEEZNS1_25segmented_radix_sort_implIS3_Lb1EPKaPaPKlPlN2at6native12_GLOBAL__N_18offset_tEEE10hipError_tPvRmT1_PNSt15iterator_traitsISK_E10value_typeET2_T3_PNSL_ISQ_E10value_typeET4_jRbjT5_SW_jjP12ihipStream_tbEUlT_E_NS1_11comp_targetILNS1_3genE8ELNS1_11target_archE1030ELNS1_3gpuE2ELNS1_3repE0EEENS1_30default_config_static_selectorELNS0_4arch9wavefront6targetE1EEEvSK_,"axG",@progbits,_ZN7rocprim17ROCPRIM_400000_NS6detail17trampoline_kernelINS0_14default_configENS1_36segmented_radix_sort_config_selectorIalEEZNS1_25segmented_radix_sort_implIS3_Lb1EPKaPaPKlPlN2at6native12_GLOBAL__N_18offset_tEEE10hipError_tPvRmT1_PNSt15iterator_traitsISK_E10value_typeET2_T3_PNSL_ISQ_E10value_typeET4_jRbjT5_SW_jjP12ihipStream_tbEUlT_E_NS1_11comp_targetILNS1_3genE8ELNS1_11target_archE1030ELNS1_3gpuE2ELNS1_3repE0EEENS1_30default_config_static_selectorELNS0_4arch9wavefront6targetE1EEEvSK_,comdat
	.globl	_ZN7rocprim17ROCPRIM_400000_NS6detail17trampoline_kernelINS0_14default_configENS1_36segmented_radix_sort_config_selectorIalEEZNS1_25segmented_radix_sort_implIS3_Lb1EPKaPaPKlPlN2at6native12_GLOBAL__N_18offset_tEEE10hipError_tPvRmT1_PNSt15iterator_traitsISK_E10value_typeET2_T3_PNSL_ISQ_E10value_typeET4_jRbjT5_SW_jjP12ihipStream_tbEUlT_E_NS1_11comp_targetILNS1_3genE8ELNS1_11target_archE1030ELNS1_3gpuE2ELNS1_3repE0EEENS1_30default_config_static_selectorELNS0_4arch9wavefront6targetE1EEEvSK_ ; -- Begin function _ZN7rocprim17ROCPRIM_400000_NS6detail17trampoline_kernelINS0_14default_configENS1_36segmented_radix_sort_config_selectorIalEEZNS1_25segmented_radix_sort_implIS3_Lb1EPKaPaPKlPlN2at6native12_GLOBAL__N_18offset_tEEE10hipError_tPvRmT1_PNSt15iterator_traitsISK_E10value_typeET2_T3_PNSL_ISQ_E10value_typeET4_jRbjT5_SW_jjP12ihipStream_tbEUlT_E_NS1_11comp_targetILNS1_3genE8ELNS1_11target_archE1030ELNS1_3gpuE2ELNS1_3repE0EEENS1_30default_config_static_selectorELNS0_4arch9wavefront6targetE1EEEvSK_
	.p2align	8
	.type	_ZN7rocprim17ROCPRIM_400000_NS6detail17trampoline_kernelINS0_14default_configENS1_36segmented_radix_sort_config_selectorIalEEZNS1_25segmented_radix_sort_implIS3_Lb1EPKaPaPKlPlN2at6native12_GLOBAL__N_18offset_tEEE10hipError_tPvRmT1_PNSt15iterator_traitsISK_E10value_typeET2_T3_PNSL_ISQ_E10value_typeET4_jRbjT5_SW_jjP12ihipStream_tbEUlT_E_NS1_11comp_targetILNS1_3genE8ELNS1_11target_archE1030ELNS1_3gpuE2ELNS1_3repE0EEENS1_30default_config_static_selectorELNS0_4arch9wavefront6targetE1EEEvSK_,@function
_ZN7rocprim17ROCPRIM_400000_NS6detail17trampoline_kernelINS0_14default_configENS1_36segmented_radix_sort_config_selectorIalEEZNS1_25segmented_radix_sort_implIS3_Lb1EPKaPaPKlPlN2at6native12_GLOBAL__N_18offset_tEEE10hipError_tPvRmT1_PNSt15iterator_traitsISK_E10value_typeET2_T3_PNSL_ISQ_E10value_typeET4_jRbjT5_SW_jjP12ihipStream_tbEUlT_E_NS1_11comp_targetILNS1_3genE8ELNS1_11target_archE1030ELNS1_3gpuE2ELNS1_3repE0EEENS1_30default_config_static_selectorELNS0_4arch9wavefront6targetE1EEEvSK_: ; @_ZN7rocprim17ROCPRIM_400000_NS6detail17trampoline_kernelINS0_14default_configENS1_36segmented_radix_sort_config_selectorIalEEZNS1_25segmented_radix_sort_implIS3_Lb1EPKaPaPKlPlN2at6native12_GLOBAL__N_18offset_tEEE10hipError_tPvRmT1_PNSt15iterator_traitsISK_E10value_typeET2_T3_PNSL_ISQ_E10value_typeET4_jRbjT5_SW_jjP12ihipStream_tbEUlT_E_NS1_11comp_targetILNS1_3genE8ELNS1_11target_archE1030ELNS1_3gpuE2ELNS1_3repE0EEENS1_30default_config_static_selectorELNS0_4arch9wavefront6targetE1EEEvSK_
; %bb.0:
	.section	.rodata,"a",@progbits
	.p2align	6, 0x0
	.amdhsa_kernel _ZN7rocprim17ROCPRIM_400000_NS6detail17trampoline_kernelINS0_14default_configENS1_36segmented_radix_sort_config_selectorIalEEZNS1_25segmented_radix_sort_implIS3_Lb1EPKaPaPKlPlN2at6native12_GLOBAL__N_18offset_tEEE10hipError_tPvRmT1_PNSt15iterator_traitsISK_E10value_typeET2_T3_PNSL_ISQ_E10value_typeET4_jRbjT5_SW_jjP12ihipStream_tbEUlT_E_NS1_11comp_targetILNS1_3genE8ELNS1_11target_archE1030ELNS1_3gpuE2ELNS1_3repE0EEENS1_30default_config_static_selectorELNS0_4arch9wavefront6targetE1EEEvSK_
		.amdhsa_group_segment_fixed_size 0
		.amdhsa_private_segment_fixed_size 0
		.amdhsa_kernarg_size 96
		.amdhsa_user_sgpr_count 6
		.amdhsa_user_sgpr_private_segment_buffer 1
		.amdhsa_user_sgpr_dispatch_ptr 0
		.amdhsa_user_sgpr_queue_ptr 0
		.amdhsa_user_sgpr_kernarg_segment_ptr 1
		.amdhsa_user_sgpr_dispatch_id 0
		.amdhsa_user_sgpr_flat_scratch_init 0
		.amdhsa_user_sgpr_kernarg_preload_length 0
		.amdhsa_user_sgpr_kernarg_preload_offset 0
		.amdhsa_user_sgpr_private_segment_size 0
		.amdhsa_uses_dynamic_stack 0
		.amdhsa_system_sgpr_private_segment_wavefront_offset 0
		.amdhsa_system_sgpr_workgroup_id_x 1
		.amdhsa_system_sgpr_workgroup_id_y 0
		.amdhsa_system_sgpr_workgroup_id_z 0
		.amdhsa_system_sgpr_workgroup_info 0
		.amdhsa_system_vgpr_workitem_id 0
		.amdhsa_next_free_vgpr 1
		.amdhsa_next_free_sgpr 0
		.amdhsa_accum_offset 4
		.amdhsa_reserve_vcc 0
		.amdhsa_reserve_flat_scratch 0
		.amdhsa_float_round_mode_32 0
		.amdhsa_float_round_mode_16_64 0
		.amdhsa_float_denorm_mode_32 3
		.amdhsa_float_denorm_mode_16_64 3
		.amdhsa_dx10_clamp 1
		.amdhsa_ieee_mode 1
		.amdhsa_fp16_overflow 0
		.amdhsa_tg_split 0
		.amdhsa_exception_fp_ieee_invalid_op 0
		.amdhsa_exception_fp_denorm_src 0
		.amdhsa_exception_fp_ieee_div_zero 0
		.amdhsa_exception_fp_ieee_overflow 0
		.amdhsa_exception_fp_ieee_underflow 0
		.amdhsa_exception_fp_ieee_inexact 0
		.amdhsa_exception_int_div_zero 0
	.end_amdhsa_kernel
	.section	.text._ZN7rocprim17ROCPRIM_400000_NS6detail17trampoline_kernelINS0_14default_configENS1_36segmented_radix_sort_config_selectorIalEEZNS1_25segmented_radix_sort_implIS3_Lb1EPKaPaPKlPlN2at6native12_GLOBAL__N_18offset_tEEE10hipError_tPvRmT1_PNSt15iterator_traitsISK_E10value_typeET2_T3_PNSL_ISQ_E10value_typeET4_jRbjT5_SW_jjP12ihipStream_tbEUlT_E_NS1_11comp_targetILNS1_3genE8ELNS1_11target_archE1030ELNS1_3gpuE2ELNS1_3repE0EEENS1_30default_config_static_selectorELNS0_4arch9wavefront6targetE1EEEvSK_,"axG",@progbits,_ZN7rocprim17ROCPRIM_400000_NS6detail17trampoline_kernelINS0_14default_configENS1_36segmented_radix_sort_config_selectorIalEEZNS1_25segmented_radix_sort_implIS3_Lb1EPKaPaPKlPlN2at6native12_GLOBAL__N_18offset_tEEE10hipError_tPvRmT1_PNSt15iterator_traitsISK_E10value_typeET2_T3_PNSL_ISQ_E10value_typeET4_jRbjT5_SW_jjP12ihipStream_tbEUlT_E_NS1_11comp_targetILNS1_3genE8ELNS1_11target_archE1030ELNS1_3gpuE2ELNS1_3repE0EEENS1_30default_config_static_selectorELNS0_4arch9wavefront6targetE1EEEvSK_,comdat
.Lfunc_end299:
	.size	_ZN7rocprim17ROCPRIM_400000_NS6detail17trampoline_kernelINS0_14default_configENS1_36segmented_radix_sort_config_selectorIalEEZNS1_25segmented_radix_sort_implIS3_Lb1EPKaPaPKlPlN2at6native12_GLOBAL__N_18offset_tEEE10hipError_tPvRmT1_PNSt15iterator_traitsISK_E10value_typeET2_T3_PNSL_ISQ_E10value_typeET4_jRbjT5_SW_jjP12ihipStream_tbEUlT_E_NS1_11comp_targetILNS1_3genE8ELNS1_11target_archE1030ELNS1_3gpuE2ELNS1_3repE0EEENS1_30default_config_static_selectorELNS0_4arch9wavefront6targetE1EEEvSK_, .Lfunc_end299-_ZN7rocprim17ROCPRIM_400000_NS6detail17trampoline_kernelINS0_14default_configENS1_36segmented_radix_sort_config_selectorIalEEZNS1_25segmented_radix_sort_implIS3_Lb1EPKaPaPKlPlN2at6native12_GLOBAL__N_18offset_tEEE10hipError_tPvRmT1_PNSt15iterator_traitsISK_E10value_typeET2_T3_PNSL_ISQ_E10value_typeET4_jRbjT5_SW_jjP12ihipStream_tbEUlT_E_NS1_11comp_targetILNS1_3genE8ELNS1_11target_archE1030ELNS1_3gpuE2ELNS1_3repE0EEENS1_30default_config_static_selectorELNS0_4arch9wavefront6targetE1EEEvSK_
                                        ; -- End function
	.section	.AMDGPU.csdata,"",@progbits
; Kernel info:
; codeLenInByte = 0
; NumSgprs: 4
; NumVgprs: 0
; NumAgprs: 0
; TotalNumVgprs: 0
; ScratchSize: 0
; MemoryBound: 0
; FloatMode: 240
; IeeeMode: 1
; LDSByteSize: 0 bytes/workgroup (compile time only)
; SGPRBlocks: 0
; VGPRBlocks: 0
; NumSGPRsForWavesPerEU: 4
; NumVGPRsForWavesPerEU: 1
; AccumOffset: 4
; Occupancy: 8
; WaveLimiterHint : 0
; COMPUTE_PGM_RSRC2:SCRATCH_EN: 0
; COMPUTE_PGM_RSRC2:USER_SGPR: 6
; COMPUTE_PGM_RSRC2:TRAP_HANDLER: 0
; COMPUTE_PGM_RSRC2:TGID_X_EN: 1
; COMPUTE_PGM_RSRC2:TGID_Y_EN: 0
; COMPUTE_PGM_RSRC2:TGID_Z_EN: 0
; COMPUTE_PGM_RSRC2:TIDIG_COMP_CNT: 0
; COMPUTE_PGM_RSRC3_GFX90A:ACCUM_OFFSET: 0
; COMPUTE_PGM_RSRC3_GFX90A:TG_SPLIT: 0
	.section	.text._ZN7rocprim17ROCPRIM_400000_NS6detail17trampoline_kernelINS0_14default_configENS1_36segmented_radix_sort_config_selectorIalEEZNS1_25segmented_radix_sort_implIS3_Lb1EPKaPaPKlPlN2at6native12_GLOBAL__N_18offset_tEEE10hipError_tPvRmT1_PNSt15iterator_traitsISK_E10value_typeET2_T3_PNSL_ISQ_E10value_typeET4_jRbjT5_SW_jjP12ihipStream_tbEUlT_E0_NS1_11comp_targetILNS1_3genE0ELNS1_11target_archE4294967295ELNS1_3gpuE0ELNS1_3repE0EEENS1_60segmented_radix_sort_warp_sort_medium_config_static_selectorELNS0_4arch9wavefront6targetE1EEEvSK_,"axG",@progbits,_ZN7rocprim17ROCPRIM_400000_NS6detail17trampoline_kernelINS0_14default_configENS1_36segmented_radix_sort_config_selectorIalEEZNS1_25segmented_radix_sort_implIS3_Lb1EPKaPaPKlPlN2at6native12_GLOBAL__N_18offset_tEEE10hipError_tPvRmT1_PNSt15iterator_traitsISK_E10value_typeET2_T3_PNSL_ISQ_E10value_typeET4_jRbjT5_SW_jjP12ihipStream_tbEUlT_E0_NS1_11comp_targetILNS1_3genE0ELNS1_11target_archE4294967295ELNS1_3gpuE0ELNS1_3repE0EEENS1_60segmented_radix_sort_warp_sort_medium_config_static_selectorELNS0_4arch9wavefront6targetE1EEEvSK_,comdat
	.globl	_ZN7rocprim17ROCPRIM_400000_NS6detail17trampoline_kernelINS0_14default_configENS1_36segmented_radix_sort_config_selectorIalEEZNS1_25segmented_radix_sort_implIS3_Lb1EPKaPaPKlPlN2at6native12_GLOBAL__N_18offset_tEEE10hipError_tPvRmT1_PNSt15iterator_traitsISK_E10value_typeET2_T3_PNSL_ISQ_E10value_typeET4_jRbjT5_SW_jjP12ihipStream_tbEUlT_E0_NS1_11comp_targetILNS1_3genE0ELNS1_11target_archE4294967295ELNS1_3gpuE0ELNS1_3repE0EEENS1_60segmented_radix_sort_warp_sort_medium_config_static_selectorELNS0_4arch9wavefront6targetE1EEEvSK_ ; -- Begin function _ZN7rocprim17ROCPRIM_400000_NS6detail17trampoline_kernelINS0_14default_configENS1_36segmented_radix_sort_config_selectorIalEEZNS1_25segmented_radix_sort_implIS3_Lb1EPKaPaPKlPlN2at6native12_GLOBAL__N_18offset_tEEE10hipError_tPvRmT1_PNSt15iterator_traitsISK_E10value_typeET2_T3_PNSL_ISQ_E10value_typeET4_jRbjT5_SW_jjP12ihipStream_tbEUlT_E0_NS1_11comp_targetILNS1_3genE0ELNS1_11target_archE4294967295ELNS1_3gpuE0ELNS1_3repE0EEENS1_60segmented_radix_sort_warp_sort_medium_config_static_selectorELNS0_4arch9wavefront6targetE1EEEvSK_
	.p2align	8
	.type	_ZN7rocprim17ROCPRIM_400000_NS6detail17trampoline_kernelINS0_14default_configENS1_36segmented_radix_sort_config_selectorIalEEZNS1_25segmented_radix_sort_implIS3_Lb1EPKaPaPKlPlN2at6native12_GLOBAL__N_18offset_tEEE10hipError_tPvRmT1_PNSt15iterator_traitsISK_E10value_typeET2_T3_PNSL_ISQ_E10value_typeET4_jRbjT5_SW_jjP12ihipStream_tbEUlT_E0_NS1_11comp_targetILNS1_3genE0ELNS1_11target_archE4294967295ELNS1_3gpuE0ELNS1_3repE0EEENS1_60segmented_radix_sort_warp_sort_medium_config_static_selectorELNS0_4arch9wavefront6targetE1EEEvSK_,@function
_ZN7rocprim17ROCPRIM_400000_NS6detail17trampoline_kernelINS0_14default_configENS1_36segmented_radix_sort_config_selectorIalEEZNS1_25segmented_radix_sort_implIS3_Lb1EPKaPaPKlPlN2at6native12_GLOBAL__N_18offset_tEEE10hipError_tPvRmT1_PNSt15iterator_traitsISK_E10value_typeET2_T3_PNSL_ISQ_E10value_typeET4_jRbjT5_SW_jjP12ihipStream_tbEUlT_E0_NS1_11comp_targetILNS1_3genE0ELNS1_11target_archE4294967295ELNS1_3gpuE0ELNS1_3repE0EEENS1_60segmented_radix_sort_warp_sort_medium_config_static_selectorELNS0_4arch9wavefront6targetE1EEEvSK_: ; @_ZN7rocprim17ROCPRIM_400000_NS6detail17trampoline_kernelINS0_14default_configENS1_36segmented_radix_sort_config_selectorIalEEZNS1_25segmented_radix_sort_implIS3_Lb1EPKaPaPKlPlN2at6native12_GLOBAL__N_18offset_tEEE10hipError_tPvRmT1_PNSt15iterator_traitsISK_E10value_typeET2_T3_PNSL_ISQ_E10value_typeET4_jRbjT5_SW_jjP12ihipStream_tbEUlT_E0_NS1_11comp_targetILNS1_3genE0ELNS1_11target_archE4294967295ELNS1_3gpuE0ELNS1_3repE0EEENS1_60segmented_radix_sort_warp_sort_medium_config_static_selectorELNS0_4arch9wavefront6targetE1EEEvSK_
; %bb.0:
	.section	.rodata,"a",@progbits
	.p2align	6, 0x0
	.amdhsa_kernel _ZN7rocprim17ROCPRIM_400000_NS6detail17trampoline_kernelINS0_14default_configENS1_36segmented_radix_sort_config_selectorIalEEZNS1_25segmented_radix_sort_implIS3_Lb1EPKaPaPKlPlN2at6native12_GLOBAL__N_18offset_tEEE10hipError_tPvRmT1_PNSt15iterator_traitsISK_E10value_typeET2_T3_PNSL_ISQ_E10value_typeET4_jRbjT5_SW_jjP12ihipStream_tbEUlT_E0_NS1_11comp_targetILNS1_3genE0ELNS1_11target_archE4294967295ELNS1_3gpuE0ELNS1_3repE0EEENS1_60segmented_radix_sort_warp_sort_medium_config_static_selectorELNS0_4arch9wavefront6targetE1EEEvSK_
		.amdhsa_group_segment_fixed_size 0
		.amdhsa_private_segment_fixed_size 0
		.amdhsa_kernarg_size 88
		.amdhsa_user_sgpr_count 6
		.amdhsa_user_sgpr_private_segment_buffer 1
		.amdhsa_user_sgpr_dispatch_ptr 0
		.amdhsa_user_sgpr_queue_ptr 0
		.amdhsa_user_sgpr_kernarg_segment_ptr 1
		.amdhsa_user_sgpr_dispatch_id 0
		.amdhsa_user_sgpr_flat_scratch_init 0
		.amdhsa_user_sgpr_kernarg_preload_length 0
		.amdhsa_user_sgpr_kernarg_preload_offset 0
		.amdhsa_user_sgpr_private_segment_size 0
		.amdhsa_uses_dynamic_stack 0
		.amdhsa_system_sgpr_private_segment_wavefront_offset 0
		.amdhsa_system_sgpr_workgroup_id_x 1
		.amdhsa_system_sgpr_workgroup_id_y 0
		.amdhsa_system_sgpr_workgroup_id_z 0
		.amdhsa_system_sgpr_workgroup_info 0
		.amdhsa_system_vgpr_workitem_id 0
		.amdhsa_next_free_vgpr 1
		.amdhsa_next_free_sgpr 0
		.amdhsa_accum_offset 4
		.amdhsa_reserve_vcc 0
		.amdhsa_reserve_flat_scratch 0
		.amdhsa_float_round_mode_32 0
		.amdhsa_float_round_mode_16_64 0
		.amdhsa_float_denorm_mode_32 3
		.amdhsa_float_denorm_mode_16_64 3
		.amdhsa_dx10_clamp 1
		.amdhsa_ieee_mode 1
		.amdhsa_fp16_overflow 0
		.amdhsa_tg_split 0
		.amdhsa_exception_fp_ieee_invalid_op 0
		.amdhsa_exception_fp_denorm_src 0
		.amdhsa_exception_fp_ieee_div_zero 0
		.amdhsa_exception_fp_ieee_overflow 0
		.amdhsa_exception_fp_ieee_underflow 0
		.amdhsa_exception_fp_ieee_inexact 0
		.amdhsa_exception_int_div_zero 0
	.end_amdhsa_kernel
	.section	.text._ZN7rocprim17ROCPRIM_400000_NS6detail17trampoline_kernelINS0_14default_configENS1_36segmented_radix_sort_config_selectorIalEEZNS1_25segmented_radix_sort_implIS3_Lb1EPKaPaPKlPlN2at6native12_GLOBAL__N_18offset_tEEE10hipError_tPvRmT1_PNSt15iterator_traitsISK_E10value_typeET2_T3_PNSL_ISQ_E10value_typeET4_jRbjT5_SW_jjP12ihipStream_tbEUlT_E0_NS1_11comp_targetILNS1_3genE0ELNS1_11target_archE4294967295ELNS1_3gpuE0ELNS1_3repE0EEENS1_60segmented_radix_sort_warp_sort_medium_config_static_selectorELNS0_4arch9wavefront6targetE1EEEvSK_,"axG",@progbits,_ZN7rocprim17ROCPRIM_400000_NS6detail17trampoline_kernelINS0_14default_configENS1_36segmented_radix_sort_config_selectorIalEEZNS1_25segmented_radix_sort_implIS3_Lb1EPKaPaPKlPlN2at6native12_GLOBAL__N_18offset_tEEE10hipError_tPvRmT1_PNSt15iterator_traitsISK_E10value_typeET2_T3_PNSL_ISQ_E10value_typeET4_jRbjT5_SW_jjP12ihipStream_tbEUlT_E0_NS1_11comp_targetILNS1_3genE0ELNS1_11target_archE4294967295ELNS1_3gpuE0ELNS1_3repE0EEENS1_60segmented_radix_sort_warp_sort_medium_config_static_selectorELNS0_4arch9wavefront6targetE1EEEvSK_,comdat
.Lfunc_end300:
	.size	_ZN7rocprim17ROCPRIM_400000_NS6detail17trampoline_kernelINS0_14default_configENS1_36segmented_radix_sort_config_selectorIalEEZNS1_25segmented_radix_sort_implIS3_Lb1EPKaPaPKlPlN2at6native12_GLOBAL__N_18offset_tEEE10hipError_tPvRmT1_PNSt15iterator_traitsISK_E10value_typeET2_T3_PNSL_ISQ_E10value_typeET4_jRbjT5_SW_jjP12ihipStream_tbEUlT_E0_NS1_11comp_targetILNS1_3genE0ELNS1_11target_archE4294967295ELNS1_3gpuE0ELNS1_3repE0EEENS1_60segmented_radix_sort_warp_sort_medium_config_static_selectorELNS0_4arch9wavefront6targetE1EEEvSK_, .Lfunc_end300-_ZN7rocprim17ROCPRIM_400000_NS6detail17trampoline_kernelINS0_14default_configENS1_36segmented_radix_sort_config_selectorIalEEZNS1_25segmented_radix_sort_implIS3_Lb1EPKaPaPKlPlN2at6native12_GLOBAL__N_18offset_tEEE10hipError_tPvRmT1_PNSt15iterator_traitsISK_E10value_typeET2_T3_PNSL_ISQ_E10value_typeET4_jRbjT5_SW_jjP12ihipStream_tbEUlT_E0_NS1_11comp_targetILNS1_3genE0ELNS1_11target_archE4294967295ELNS1_3gpuE0ELNS1_3repE0EEENS1_60segmented_radix_sort_warp_sort_medium_config_static_selectorELNS0_4arch9wavefront6targetE1EEEvSK_
                                        ; -- End function
	.section	.AMDGPU.csdata,"",@progbits
; Kernel info:
; codeLenInByte = 0
; NumSgprs: 4
; NumVgprs: 0
; NumAgprs: 0
; TotalNumVgprs: 0
; ScratchSize: 0
; MemoryBound: 0
; FloatMode: 240
; IeeeMode: 1
; LDSByteSize: 0 bytes/workgroup (compile time only)
; SGPRBlocks: 0
; VGPRBlocks: 0
; NumSGPRsForWavesPerEU: 4
; NumVGPRsForWavesPerEU: 1
; AccumOffset: 4
; Occupancy: 8
; WaveLimiterHint : 0
; COMPUTE_PGM_RSRC2:SCRATCH_EN: 0
; COMPUTE_PGM_RSRC2:USER_SGPR: 6
; COMPUTE_PGM_RSRC2:TRAP_HANDLER: 0
; COMPUTE_PGM_RSRC2:TGID_X_EN: 1
; COMPUTE_PGM_RSRC2:TGID_Y_EN: 0
; COMPUTE_PGM_RSRC2:TGID_Z_EN: 0
; COMPUTE_PGM_RSRC2:TIDIG_COMP_CNT: 0
; COMPUTE_PGM_RSRC3_GFX90A:ACCUM_OFFSET: 0
; COMPUTE_PGM_RSRC3_GFX90A:TG_SPLIT: 0
	.section	.text._ZN7rocprim17ROCPRIM_400000_NS6detail17trampoline_kernelINS0_14default_configENS1_36segmented_radix_sort_config_selectorIalEEZNS1_25segmented_radix_sort_implIS3_Lb1EPKaPaPKlPlN2at6native12_GLOBAL__N_18offset_tEEE10hipError_tPvRmT1_PNSt15iterator_traitsISK_E10value_typeET2_T3_PNSL_ISQ_E10value_typeET4_jRbjT5_SW_jjP12ihipStream_tbEUlT_E0_NS1_11comp_targetILNS1_3genE5ELNS1_11target_archE942ELNS1_3gpuE9ELNS1_3repE0EEENS1_60segmented_radix_sort_warp_sort_medium_config_static_selectorELNS0_4arch9wavefront6targetE1EEEvSK_,"axG",@progbits,_ZN7rocprim17ROCPRIM_400000_NS6detail17trampoline_kernelINS0_14default_configENS1_36segmented_radix_sort_config_selectorIalEEZNS1_25segmented_radix_sort_implIS3_Lb1EPKaPaPKlPlN2at6native12_GLOBAL__N_18offset_tEEE10hipError_tPvRmT1_PNSt15iterator_traitsISK_E10value_typeET2_T3_PNSL_ISQ_E10value_typeET4_jRbjT5_SW_jjP12ihipStream_tbEUlT_E0_NS1_11comp_targetILNS1_3genE5ELNS1_11target_archE942ELNS1_3gpuE9ELNS1_3repE0EEENS1_60segmented_radix_sort_warp_sort_medium_config_static_selectorELNS0_4arch9wavefront6targetE1EEEvSK_,comdat
	.globl	_ZN7rocprim17ROCPRIM_400000_NS6detail17trampoline_kernelINS0_14default_configENS1_36segmented_radix_sort_config_selectorIalEEZNS1_25segmented_radix_sort_implIS3_Lb1EPKaPaPKlPlN2at6native12_GLOBAL__N_18offset_tEEE10hipError_tPvRmT1_PNSt15iterator_traitsISK_E10value_typeET2_T3_PNSL_ISQ_E10value_typeET4_jRbjT5_SW_jjP12ihipStream_tbEUlT_E0_NS1_11comp_targetILNS1_3genE5ELNS1_11target_archE942ELNS1_3gpuE9ELNS1_3repE0EEENS1_60segmented_radix_sort_warp_sort_medium_config_static_selectorELNS0_4arch9wavefront6targetE1EEEvSK_ ; -- Begin function _ZN7rocprim17ROCPRIM_400000_NS6detail17trampoline_kernelINS0_14default_configENS1_36segmented_radix_sort_config_selectorIalEEZNS1_25segmented_radix_sort_implIS3_Lb1EPKaPaPKlPlN2at6native12_GLOBAL__N_18offset_tEEE10hipError_tPvRmT1_PNSt15iterator_traitsISK_E10value_typeET2_T3_PNSL_ISQ_E10value_typeET4_jRbjT5_SW_jjP12ihipStream_tbEUlT_E0_NS1_11comp_targetILNS1_3genE5ELNS1_11target_archE942ELNS1_3gpuE9ELNS1_3repE0EEENS1_60segmented_radix_sort_warp_sort_medium_config_static_selectorELNS0_4arch9wavefront6targetE1EEEvSK_
	.p2align	8
	.type	_ZN7rocprim17ROCPRIM_400000_NS6detail17trampoline_kernelINS0_14default_configENS1_36segmented_radix_sort_config_selectorIalEEZNS1_25segmented_radix_sort_implIS3_Lb1EPKaPaPKlPlN2at6native12_GLOBAL__N_18offset_tEEE10hipError_tPvRmT1_PNSt15iterator_traitsISK_E10value_typeET2_T3_PNSL_ISQ_E10value_typeET4_jRbjT5_SW_jjP12ihipStream_tbEUlT_E0_NS1_11comp_targetILNS1_3genE5ELNS1_11target_archE942ELNS1_3gpuE9ELNS1_3repE0EEENS1_60segmented_radix_sort_warp_sort_medium_config_static_selectorELNS0_4arch9wavefront6targetE1EEEvSK_,@function
_ZN7rocprim17ROCPRIM_400000_NS6detail17trampoline_kernelINS0_14default_configENS1_36segmented_radix_sort_config_selectorIalEEZNS1_25segmented_radix_sort_implIS3_Lb1EPKaPaPKlPlN2at6native12_GLOBAL__N_18offset_tEEE10hipError_tPvRmT1_PNSt15iterator_traitsISK_E10value_typeET2_T3_PNSL_ISQ_E10value_typeET4_jRbjT5_SW_jjP12ihipStream_tbEUlT_E0_NS1_11comp_targetILNS1_3genE5ELNS1_11target_archE942ELNS1_3gpuE9ELNS1_3repE0EEENS1_60segmented_radix_sort_warp_sort_medium_config_static_selectorELNS0_4arch9wavefront6targetE1EEEvSK_: ; @_ZN7rocprim17ROCPRIM_400000_NS6detail17trampoline_kernelINS0_14default_configENS1_36segmented_radix_sort_config_selectorIalEEZNS1_25segmented_radix_sort_implIS3_Lb1EPKaPaPKlPlN2at6native12_GLOBAL__N_18offset_tEEE10hipError_tPvRmT1_PNSt15iterator_traitsISK_E10value_typeET2_T3_PNSL_ISQ_E10value_typeET4_jRbjT5_SW_jjP12ihipStream_tbEUlT_E0_NS1_11comp_targetILNS1_3genE5ELNS1_11target_archE942ELNS1_3gpuE9ELNS1_3repE0EEENS1_60segmented_radix_sort_warp_sort_medium_config_static_selectorELNS0_4arch9wavefront6targetE1EEEvSK_
; %bb.0:
	.section	.rodata,"a",@progbits
	.p2align	6, 0x0
	.amdhsa_kernel _ZN7rocprim17ROCPRIM_400000_NS6detail17trampoline_kernelINS0_14default_configENS1_36segmented_radix_sort_config_selectorIalEEZNS1_25segmented_radix_sort_implIS3_Lb1EPKaPaPKlPlN2at6native12_GLOBAL__N_18offset_tEEE10hipError_tPvRmT1_PNSt15iterator_traitsISK_E10value_typeET2_T3_PNSL_ISQ_E10value_typeET4_jRbjT5_SW_jjP12ihipStream_tbEUlT_E0_NS1_11comp_targetILNS1_3genE5ELNS1_11target_archE942ELNS1_3gpuE9ELNS1_3repE0EEENS1_60segmented_radix_sort_warp_sort_medium_config_static_selectorELNS0_4arch9wavefront6targetE1EEEvSK_
		.amdhsa_group_segment_fixed_size 0
		.amdhsa_private_segment_fixed_size 0
		.amdhsa_kernarg_size 88
		.amdhsa_user_sgpr_count 6
		.amdhsa_user_sgpr_private_segment_buffer 1
		.amdhsa_user_sgpr_dispatch_ptr 0
		.amdhsa_user_sgpr_queue_ptr 0
		.amdhsa_user_sgpr_kernarg_segment_ptr 1
		.amdhsa_user_sgpr_dispatch_id 0
		.amdhsa_user_sgpr_flat_scratch_init 0
		.amdhsa_user_sgpr_kernarg_preload_length 0
		.amdhsa_user_sgpr_kernarg_preload_offset 0
		.amdhsa_user_sgpr_private_segment_size 0
		.amdhsa_uses_dynamic_stack 0
		.amdhsa_system_sgpr_private_segment_wavefront_offset 0
		.amdhsa_system_sgpr_workgroup_id_x 1
		.amdhsa_system_sgpr_workgroup_id_y 0
		.amdhsa_system_sgpr_workgroup_id_z 0
		.amdhsa_system_sgpr_workgroup_info 0
		.amdhsa_system_vgpr_workitem_id 0
		.amdhsa_next_free_vgpr 1
		.amdhsa_next_free_sgpr 0
		.amdhsa_accum_offset 4
		.amdhsa_reserve_vcc 0
		.amdhsa_reserve_flat_scratch 0
		.amdhsa_float_round_mode_32 0
		.amdhsa_float_round_mode_16_64 0
		.amdhsa_float_denorm_mode_32 3
		.amdhsa_float_denorm_mode_16_64 3
		.amdhsa_dx10_clamp 1
		.amdhsa_ieee_mode 1
		.amdhsa_fp16_overflow 0
		.amdhsa_tg_split 0
		.amdhsa_exception_fp_ieee_invalid_op 0
		.amdhsa_exception_fp_denorm_src 0
		.amdhsa_exception_fp_ieee_div_zero 0
		.amdhsa_exception_fp_ieee_overflow 0
		.amdhsa_exception_fp_ieee_underflow 0
		.amdhsa_exception_fp_ieee_inexact 0
		.amdhsa_exception_int_div_zero 0
	.end_amdhsa_kernel
	.section	.text._ZN7rocprim17ROCPRIM_400000_NS6detail17trampoline_kernelINS0_14default_configENS1_36segmented_radix_sort_config_selectorIalEEZNS1_25segmented_radix_sort_implIS3_Lb1EPKaPaPKlPlN2at6native12_GLOBAL__N_18offset_tEEE10hipError_tPvRmT1_PNSt15iterator_traitsISK_E10value_typeET2_T3_PNSL_ISQ_E10value_typeET4_jRbjT5_SW_jjP12ihipStream_tbEUlT_E0_NS1_11comp_targetILNS1_3genE5ELNS1_11target_archE942ELNS1_3gpuE9ELNS1_3repE0EEENS1_60segmented_radix_sort_warp_sort_medium_config_static_selectorELNS0_4arch9wavefront6targetE1EEEvSK_,"axG",@progbits,_ZN7rocprim17ROCPRIM_400000_NS6detail17trampoline_kernelINS0_14default_configENS1_36segmented_radix_sort_config_selectorIalEEZNS1_25segmented_radix_sort_implIS3_Lb1EPKaPaPKlPlN2at6native12_GLOBAL__N_18offset_tEEE10hipError_tPvRmT1_PNSt15iterator_traitsISK_E10value_typeET2_T3_PNSL_ISQ_E10value_typeET4_jRbjT5_SW_jjP12ihipStream_tbEUlT_E0_NS1_11comp_targetILNS1_3genE5ELNS1_11target_archE942ELNS1_3gpuE9ELNS1_3repE0EEENS1_60segmented_radix_sort_warp_sort_medium_config_static_selectorELNS0_4arch9wavefront6targetE1EEEvSK_,comdat
.Lfunc_end301:
	.size	_ZN7rocprim17ROCPRIM_400000_NS6detail17trampoline_kernelINS0_14default_configENS1_36segmented_radix_sort_config_selectorIalEEZNS1_25segmented_radix_sort_implIS3_Lb1EPKaPaPKlPlN2at6native12_GLOBAL__N_18offset_tEEE10hipError_tPvRmT1_PNSt15iterator_traitsISK_E10value_typeET2_T3_PNSL_ISQ_E10value_typeET4_jRbjT5_SW_jjP12ihipStream_tbEUlT_E0_NS1_11comp_targetILNS1_3genE5ELNS1_11target_archE942ELNS1_3gpuE9ELNS1_3repE0EEENS1_60segmented_radix_sort_warp_sort_medium_config_static_selectorELNS0_4arch9wavefront6targetE1EEEvSK_, .Lfunc_end301-_ZN7rocprim17ROCPRIM_400000_NS6detail17trampoline_kernelINS0_14default_configENS1_36segmented_radix_sort_config_selectorIalEEZNS1_25segmented_radix_sort_implIS3_Lb1EPKaPaPKlPlN2at6native12_GLOBAL__N_18offset_tEEE10hipError_tPvRmT1_PNSt15iterator_traitsISK_E10value_typeET2_T3_PNSL_ISQ_E10value_typeET4_jRbjT5_SW_jjP12ihipStream_tbEUlT_E0_NS1_11comp_targetILNS1_3genE5ELNS1_11target_archE942ELNS1_3gpuE9ELNS1_3repE0EEENS1_60segmented_radix_sort_warp_sort_medium_config_static_selectorELNS0_4arch9wavefront6targetE1EEEvSK_
                                        ; -- End function
	.section	.AMDGPU.csdata,"",@progbits
; Kernel info:
; codeLenInByte = 0
; NumSgprs: 4
; NumVgprs: 0
; NumAgprs: 0
; TotalNumVgprs: 0
; ScratchSize: 0
; MemoryBound: 0
; FloatMode: 240
; IeeeMode: 1
; LDSByteSize: 0 bytes/workgroup (compile time only)
; SGPRBlocks: 0
; VGPRBlocks: 0
; NumSGPRsForWavesPerEU: 4
; NumVGPRsForWavesPerEU: 1
; AccumOffset: 4
; Occupancy: 8
; WaveLimiterHint : 0
; COMPUTE_PGM_RSRC2:SCRATCH_EN: 0
; COMPUTE_PGM_RSRC2:USER_SGPR: 6
; COMPUTE_PGM_RSRC2:TRAP_HANDLER: 0
; COMPUTE_PGM_RSRC2:TGID_X_EN: 1
; COMPUTE_PGM_RSRC2:TGID_Y_EN: 0
; COMPUTE_PGM_RSRC2:TGID_Z_EN: 0
; COMPUTE_PGM_RSRC2:TIDIG_COMP_CNT: 0
; COMPUTE_PGM_RSRC3_GFX90A:ACCUM_OFFSET: 0
; COMPUTE_PGM_RSRC3_GFX90A:TG_SPLIT: 0
	.text
	.p2align	2                               ; -- Begin function _ZN7rocprim17ROCPRIM_400000_NS6detail26segmented_warp_sort_helperINS1_20WarpSortHelperConfigILj16ELj8ELj256EEEalLi256ELb1EvE4sortIPKaPaPKlPlEEvT_T0_T1_T2_jjjjRNS5_12storage_typeE
	.type	_ZN7rocprim17ROCPRIM_400000_NS6detail26segmented_warp_sort_helperINS1_20WarpSortHelperConfigILj16ELj8ELj256EEEalLi256ELb1EvE4sortIPKaPaPKlPlEEvT_T0_T1_T2_jjjjRNS5_12storage_typeE,@function
_ZN7rocprim17ROCPRIM_400000_NS6detail26segmented_warp_sort_helperINS1_20WarpSortHelperConfigILj16ELj8ELj256EEEalLi256ELb1EvE4sortIPKaPaPKlPlEEvT_T0_T1_T2_jjjjRNS5_12storage_typeE: ; @_ZN7rocprim17ROCPRIM_400000_NS6detail26segmented_warp_sort_helperINS1_20WarpSortHelperConfigILj16ELj8ELj256EEEalLi256ELb1EvE4sortIPKaPaPKlPlEEvT_T0_T1_T2_jjjjRNS5_12storage_typeE
; %bb.0:
	s_waitcnt vmcnt(0) expcnt(0) lgkmcnt(0)
	s_or_saveexec_b64 s[4:5], -1
	buffer_store_dword v40, off, s[0:3], s32 ; 4-byte Folded Spill
	s_mov_b64 exec, s[4:5]
	v_writelane_b32 v40, s34, 0
	v_writelane_b32 v40, s35, 1
	;; [unrolled: 1-line block ×14, first 2 shown]
	v_add_co_u32_e32 v12, vcc, v0, v8
	v_mbcnt_lo_u32_b32 v0, -1, 0
	v_mbcnt_hi_u32_b32 v0, -1, v0
	v_addc_co_u32_e32 v13, vcc, 0, v1, vcc
	v_lshlrev_b32_e32 v1, 3, v0
	v_and_b32_e32 v0, 0x78, v1
	v_add_co_u32_e32 v12, vcc, v12, v0
	v_sub_u32_e32 v14, v9, v8
	v_addc_co_u32_e32 v13, vcc, 0, v13, vcc
	v_mov_b32_e32 v22, 0x80
	v_mov_b32_e32 v9, 0
	v_cmp_lt_u32_e32 vcc, v0, v14
	v_mov_b32_e32 v36, 0x80
	v_mov_b32_e32 v30, 0x80
	;; [unrolled: 1-line block ×7, first 2 shown]
	s_and_saveexec_b64 s[4:5], vcc
	s_cbranch_execz .LBB302_2
; %bb.1:
	flat_load_ubyte v22, v[12:13]
	v_mov_b32_e32 v30, 0x80
	v_mov_b32_e32 v27, 0x80
	;; [unrolled: 1-line block ×7, first 2 shown]
.LBB302_2:
	s_or_b64 exec, exec, s[4:5]
	v_or_b32_e32 v15, 1, v0
	v_cmp_lt_u32_e64 s[4:5], v15, v14
	s_and_saveexec_b64 s[6:7], s[4:5]
	s_cbranch_execz .LBB302_4
; %bb.3:
	flat_load_ubyte v30, v[12:13] offset:1
.LBB302_4:
	s_or_b64 exec, exec, s[6:7]
	v_or_b32_e32 v15, 2, v0
	v_cmp_lt_u32_e64 s[6:7], v15, v14
	s_and_saveexec_b64 s[10:11], s[6:7]
	s_cbranch_execz .LBB302_6
; %bb.5:
	flat_load_ubyte v27, v[12:13] offset:2
.LBB302_6:
	;; [unrolled: 8-line block ×7, first 2 shown]
	s_or_b64 exec, exec, s[20:21]
	v_lshlrev_b64 v[12:13], 3, v[8:9]
	v_add_co_u32_e64 v4, s[20:21], v4, v12
	v_addc_co_u32_e64 v5, s[20:21], v5, v13, s[20:21]
	v_lshlrev_b32_e32 v9, 3, v0
	v_add_co_u32_e64 v34, s[20:21], v4, v9
	v_addc_co_u32_e64 v35, s[20:21], 0, v5, s[20:21]
	; wave barrier
                                        ; implicit-def: $vgpr4_vgpr5
	s_and_saveexec_b64 s[20:21], vcc
	s_cbranch_execnz .LBB302_136
; %bb.17:
	s_or_b64 exec, exec, s[20:21]
                                        ; implicit-def: $vgpr14_vgpr15
	s_and_saveexec_b64 s[20:21], s[4:5]
	s_cbranch_execnz .LBB302_137
.LBB302_18:
	s_or_b64 exec, exec, s[20:21]
                                        ; implicit-def: $vgpr16_vgpr17
	s_and_saveexec_b64 s[20:21], s[6:7]
	s_cbranch_execnz .LBB302_138
.LBB302_19:
	s_or_b64 exec, exec, s[20:21]
                                        ; implicit-def: $vgpr18_vgpr19
	s_and_saveexec_b64 s[20:21], s[18:19]
	s_cbranch_execnz .LBB302_139
.LBB302_20:
	s_or_b64 exec, exec, s[20:21]
                                        ; implicit-def: $vgpr24_vgpr25
	s_and_saveexec_b64 s[20:21], s[10:11]
	s_cbranch_execnz .LBB302_140
.LBB302_21:
	s_or_b64 exec, exec, s[20:21]
                                        ; implicit-def: $vgpr20_vgpr21
	s_and_saveexec_b64 s[20:21], s[26:27]
	s_cbranch_execnz .LBB302_141
.LBB302_22:
	s_or_b64 exec, exec, s[20:21]
                                        ; implicit-def: $vgpr28_vgpr29
	s_and_saveexec_b64 s[20:21], s[14:15]
	s_cbranch_execnz .LBB302_142
.LBB302_23:
	s_or_b64 exec, exec, s[20:21]
                                        ; implicit-def: $vgpr32_vgpr33
	s_and_saveexec_b64 s[20:21], s[16:17]
	s_cbranch_execz .LBB302_25
.LBB302_24:
	flat_load_dwordx2 v[32:33], v[34:35] offset:56
.LBB302_25:
	s_or_b64 exec, exec, s[20:21]
	v_cmp_ne_u32_e64 s[20:21], 0, v10
	v_cmp_ne_u32_e64 s[22:23], 8, v11
	s_or_b64 s[20:21], s[20:21], s[22:23]
	v_bfe_u32 v34, v31, 10, 10
	v_bfe_u32 v35, v31, 20, 10
	; wave barrier
	s_and_saveexec_b64 s[22:23], s[20:21]
	s_xor_b64 s[40:41], exec, s[22:23]
	s_cbranch_execz .LBB302_71
; %bb.26:
	s_load_dwordx2 s[20:21], s[8:9], 0x0
	v_mov_b32_e32 v39, 0
	v_lshlrev_b32_e64 v11, v11, -1
	v_lshlrev_b32_e64 v10, v10, -1
	s_movk_i32 s24, 0x800
	s_waitcnt lgkmcnt(0)
	s_cmp_lt_u32 s12, s20
	s_cselect_b32 s22, 12, 18
	s_cmp_lt_u32 s13, s21
	s_cselect_b32 s20, 14, 20
	s_add_u32 s20, s8, s20
	s_addc_u32 s21, s9, 0
	s_add_u32 s22, s8, s22
	s_addc_u32 s23, s9, 0
	global_load_ushort v48, v39, s[20:21]
	global_load_ushort v49, v39, s[22:23]
	v_and_b32_e32 v39, 0x3ff, v31
	v_xor_b32_e32 v31, v11, v10
	s_waitcnt vmcnt(0)
	v_mad_u32_u24 v10, v35, v48, v34
	v_mul_lo_u32 v10, v10, v49
	v_add_lshl_u32 v34, v10, v39, 3
	v_cmp_gt_u32_e64 s[20:21], s24, v34
	s_and_saveexec_b64 s[22:23], s[20:21]
	s_cbranch_execz .LBB302_30
; %bb.27:
	v_lshlrev_b16_e32 v10, 8, v38
	v_or_b32_sdwa v10, v23, v10 dst_sel:DWORD dst_unused:UNUSED_PAD src0_sel:BYTE_0 src1_sel:DWORD
	v_lshlrev_b16_e32 v23, 8, v30
	v_lshlrev_b16_e32 v11, 8, v36
	v_or_b32_sdwa v23, v22, v23 dst_sel:DWORD dst_unused:UNUSED_PAD src0_sel:BYTE_0 src1_sel:DWORD
	v_and_b32_e32 v36, v22, v31
	v_lshlrev_b16_e32 v22, 8, v22
	v_lshlrev_b16_e32 v26, 8, v26
	v_and_b32_e32 v35, v30, v31
	v_or_b32_sdwa v22, v30, v22 dst_sel:DWORD dst_unused:UNUSED_PAD src0_sel:BYTE_0 src1_sel:DWORD
	v_or_b32_sdwa v26, v27, v26 dst_sel:WORD_1 dst_unused:UNUSED_PAD src0_sel:BYTE_0 src1_sel:DWORD
	v_or_b32_sdwa v22, v22, v26 dst_sel:DWORD dst_unused:UNUSED_PAD src0_sel:WORD_0 src1_sel:DWORD
	v_or_b32_sdwa v23, v23, v26 dst_sel:DWORD dst_unused:UNUSED_PAD src0_sel:WORD_0 src1_sel:DWORD
	v_cmp_gt_i16_sdwa s[20:21], sext(v35), sext(v36) src0_sel:BYTE_0 src1_sel:BYTE_0
	v_cndmask_b32_e64 v26, v14, v4, s[20:21]
	v_cndmask_b32_e64 v4, v4, v14, s[20:21]
	;; [unrolled: 1-line block ×5, first 2 shown]
	v_lshrrev_b32_e32 v15, 16, v14
	s_mov_b32 s30, 0xc0c0001
	v_or_b32_sdwa v11, v37, v11 dst_sel:WORD_1 dst_unused:UNUSED_PAD src0_sel:BYTE_0 src1_sel:DWORD
	v_perm_b32 v22, 0, v15, s30
	v_and_b32_sdwa v23, v14, v31 dst_sel:DWORD dst_unused:UNUSED_PAD src0_sel:BYTE_3 src1_sel:DWORD
	v_and_b32_e32 v15, v15, v31
	v_or_b32_sdwa v11, v10, v11 dst_sel:DWORD dst_unused:UNUSED_PAD src0_sel:WORD_0 src1_sel:DWORD
	v_cmp_gt_i16_sdwa s[20:21], sext(v23), sext(v15) src0_sel:BYTE_0 src1_sel:BYTE_0
	s_mov_b32 s25, 0xffff
	v_lshlrev_b32_e32 v22, 16, v22
	v_cndmask_b32_e64 v23, v19, v17, s[20:21]
	v_cndmask_b32_e64 v17, v17, v19, s[20:21]
	v_lshrrev_b32_e32 v19, 8, v11
	v_and_or_b32 v22, v14, s25, v22
	s_mov_b32 s35, 0x7060405
	v_and_b32_e32 v19, v19, v31
	v_and_b32_e32 v10, v10, v31
	v_cndmask_b32_e64 v15, v18, v16, s[20:21]
	v_cndmask_b32_e64 v16, v16, v18, s[20:21]
	;; [unrolled: 1-line block ×3, first 2 shown]
	v_perm_b32 v18, v11, v11, s35
	v_cmp_gt_i16_sdwa s[20:21], sext(v19), sext(v10) src0_sel:BYTE_0 src1_sel:BYTE_0
	v_cndmask_b32_e64 v11, v11, v18, s[20:21]
	v_and_b32_sdwa v18, v11, v31 dst_sel:DWORD dst_unused:UNUSED_PAD src0_sel:BYTE_3 src1_sel:DWORD
	v_and_b32_sdwa v22, v11, v31 dst_sel:DWORD dst_unused:UNUSED_PAD src0_sel:WORD_1 src1_sel:DWORD
	s_mov_b32 s31, 0x6070504
	v_cndmask_b32_e64 v10, v24, v20, s[20:21]
	v_cndmask_b32_e64 v19, v25, v21, s[20:21]
	;; [unrolled: 1-line block ×4, first 2 shown]
	v_perm_b32 v24, v11, v11, s31
	v_cmp_gt_i16_sdwa s[20:21], sext(v18), sext(v22) src0_sel:BYTE_0 src1_sel:BYTE_0
	v_cndmask_b32_e64 v11, v11, v24, s[20:21]
	v_lshrrev_b32_e32 v24, 8, v14
	v_cndmask_b32_e64 v22, v29, v33, s[20:21]
	v_cndmask_b32_e64 v25, v33, v29, s[20:21]
	v_and_b32_sdwa v29, v14, v31 dst_sel:DWORD dst_unused:UNUSED_PAD src0_sel:WORD_1 src1_sel:DWORD
	v_and_b32_e32 v24, v24, v31
	s_mov_b32 s29, 0x7050604
	v_cndmask_b32_e64 v18, v28, v32, s[20:21]
	v_cndmask_b32_e64 v28, v32, v28, s[20:21]
	v_perm_b32 v30, v14, v14, s29
	v_cmp_gt_i16_sdwa s[20:21], sext(v29), sext(v24) src0_sel:BYTE_0 src1_sel:BYTE_0
	s_movk_i32 s28, 0xff
	v_cndmask_b32_e64 v14, v14, v30, s[20:21]
	v_cndmask_b32_e64 v24, v17, v27, s[20:21]
	;; [unrolled: 1-line block ×3, first 2 shown]
	v_and_b32_sdwa v27, v14, s28 dst_sel:DWORD dst_unused:UNUSED_PAD src0_sel:WORD_1 src1_sel:DWORD
	v_lshlrev_b16_e32 v30, 8, v11
	s_mov_b32 s34, 0x3020107
	v_or_b32_sdwa v27, v27, v30 dst_sel:WORD_1 dst_unused:UNUSED_PAD src0_sel:DWORD src1_sel:DWORD
	v_and_b32_e32 v30, v11, v31
	v_and_b32_sdwa v32, v14, v31 dst_sel:DWORD dst_unused:UNUSED_PAD src0_sel:BYTE_3 src1_sel:DWORD
	v_cndmask_b32_e64 v29, v16, v26, s[20:21]
	v_cndmask_b32_e64 v16, v26, v16, s[20:21]
	v_perm_b32 v26, v14, v11, s34
	v_cmp_gt_i16_sdwa s[20:21], sext(v30), sext(v32) src0_sel:BYTE_0 src1_sel:BYTE_0
	v_cndmask_b32_e64 v11, v11, v26, s[20:21]
	v_cndmask_b32_e64 v32, v15, v10, s[20:21]
	;; [unrolled: 1-line block ×3, first 2 shown]
	v_lshrrev_b32_e32 v15, 8, v11
	v_and_or_b32 v27, v14, s25, v27
	v_cndmask_b32_e64 v30, v23, v19, s[20:21]
	v_cndmask_b32_e64 v19, v19, v23, s[20:21]
	v_and_b32_sdwa v23, v11, v31 dst_sel:DWORD dst_unused:UNUSED_PAD src0_sel:WORD_1 src1_sel:DWORD
	v_and_b32_e32 v15, v15, v31
	v_cndmask_b32_e64 v14, v14, v27, s[20:21]
	v_cmp_gt_i16_sdwa s[20:21], sext(v23), sext(v15) src0_sel:BYTE_0 src1_sel:BYTE_0
	v_perm_b32 v26, v11, v11, s29
	v_cndmask_b32_e64 v15, v21, v22, s[20:21]
	v_cndmask_b32_e64 v21, v22, v21, s[20:21]
	v_lshrrev_b32_e32 v22, 8, v14
	v_cndmask_b32_e64 v23, v20, v18, s[20:21]
	v_cndmask_b32_e64 v18, v18, v20, s[20:21]
	;; [unrolled: 1-line block ×3, first 2 shown]
	v_perm_b32 v20, 0, v14, s30
	s_mov_b32 s36, 0xffff0000
	v_and_b32_e32 v22, v22, v31
	v_and_b32_e32 v26, v14, v31
	v_and_or_b32 v20, v14, s36, v20
	v_cmp_gt_i16_sdwa s[20:21], sext(v22), sext(v26) src0_sel:BYTE_0 src1_sel:BYTE_0
	v_cndmask_b32_e64 v14, v14, v20, s[20:21]
	v_cndmask_b32_e64 v22, v16, v4, s[20:21]
	;; [unrolled: 1-line block ×3, first 2 shown]
	v_lshrrev_b32_e32 v16, 16, v14
	v_cndmask_b32_e64 v26, v17, v5, s[20:21]
	v_cndmask_b32_e64 v5, v5, v17, s[20:21]
	v_perm_b32 v17, 0, v16, s30
	v_and_b32_sdwa v20, v14, v31 dst_sel:DWORD dst_unused:UNUSED_PAD src0_sel:BYTE_3 src1_sel:DWORD
	v_and_b32_e32 v16, v16, v31
	v_cmp_gt_i16_sdwa s[20:21], sext(v20), sext(v16) src0_sel:BYTE_0 src1_sel:BYTE_0
	v_lshlrev_b32_e32 v17, 16, v17
	v_cndmask_b32_e64 v16, v32, v29, s[20:21]
	v_cndmask_b32_e64 v27, v29, v32, s[20:21]
	v_lshrrev_b32_e32 v29, 8, v11
	v_and_or_b32 v17, v14, s25, v17
	v_cndmask_b32_e64 v20, v30, v24, s[20:21]
	v_cndmask_b32_e64 v24, v24, v30, s[20:21]
	v_and_b32_e32 v29, v29, v31
	v_and_b32_e32 v30, v11, v31
	v_cndmask_b32_e64 v14, v14, v17, s[20:21]
	v_perm_b32 v17, v11, v11, s35
	v_cmp_gt_i16_sdwa s[20:21], sext(v29), sext(v30) src0_sel:BYTE_0 src1_sel:BYTE_0
	v_cndmask_b32_e64 v11, v11, v17, s[20:21]
	v_cndmask_b32_e64 v30, v19, v15, s[20:21]
	v_cndmask_b32_e64 v15, v15, v19, s[20:21]
	v_and_b32_sdwa v17, v11, v31 dst_sel:DWORD dst_unused:UNUSED_PAD src0_sel:BYTE_3 src1_sel:DWORD
	v_and_b32_sdwa v19, v11, v31 dst_sel:DWORD dst_unused:UNUSED_PAD src0_sel:WORD_1 src1_sel:DWORD
	v_cndmask_b32_e64 v29, v10, v23, s[20:21]
	v_cndmask_b32_e64 v10, v23, v10, s[20:21]
	v_perm_b32 v23, v11, v11, s31
	v_cmp_gt_i16_sdwa s[20:21], sext(v17), sext(v19) src0_sel:BYTE_0 src1_sel:BYTE_0
	v_cndmask_b32_e64 v11, v11, v23, s[20:21]
	v_lshrrev_b32_e32 v23, 8, v14
	v_cndmask_b32_e64 v19, v21, v25, s[20:21]
	v_cndmask_b32_e64 v21, v25, v21, s[20:21]
	v_and_b32_sdwa v25, v14, v31 dst_sel:DWORD dst_unused:UNUSED_PAD src0_sel:WORD_1 src1_sel:DWORD
	v_and_b32_e32 v23, v23, v31
	v_cndmask_b32_e64 v17, v18, v28, s[20:21]
	v_cndmask_b32_e64 v18, v28, v18, s[20:21]
	v_perm_b32 v28, v14, v14, s29
	v_cmp_gt_i16_sdwa s[20:21], sext(v25), sext(v23) src0_sel:BYTE_0 src1_sel:BYTE_0
	v_cndmask_b32_e64 v14, v14, v28, s[20:21]
	v_cndmask_b32_e64 v25, v27, v22, s[20:21]
	;; [unrolled: 1-line block ×3, first 2 shown]
	v_and_b32_sdwa v27, v14, s28 dst_sel:DWORD dst_unused:UNUSED_PAD src0_sel:WORD_1 src1_sel:DWORD
	v_lshlrev_b16_e32 v28, 8, v11
	v_or_b32_sdwa v27, v27, v28 dst_sel:WORD_1 dst_unused:UNUSED_PAD src0_sel:DWORD src1_sel:DWORD
	v_and_b32_e32 v28, v11, v31
	v_and_b32_sdwa v32, v14, v31 dst_sel:DWORD dst_unused:UNUSED_PAD src0_sel:BYTE_3 src1_sel:DWORD
	v_cndmask_b32_e64 v23, v24, v26, s[20:21]
	v_cndmask_b32_e64 v24, v26, v24, s[20:21]
	v_perm_b32 v26, v14, v11, s34
	v_cmp_gt_i16_sdwa s[20:21], sext(v28), sext(v32) src0_sel:BYTE_0 src1_sel:BYTE_0
	v_cndmask_b32_e64 v11, v11, v26, s[20:21]
	v_and_or_b32 v27, v14, s25, v27
	v_lshrrev_b32_e32 v26, 8, v11
	v_cndmask_b32_e64 v14, v14, v27, s[20:21]
	v_and_b32_sdwa v27, v11, v31 dst_sel:DWORD dst_unused:UNUSED_PAD src0_sel:WORD_1 src1_sel:DWORD
	v_and_b32_e32 v26, v26, v31
	v_cndmask_b32_e64 v28, v20, v30, s[20:21]
	v_cndmask_b32_e64 v32, v16, v29, s[20:21]
	;; [unrolled: 1-line block ×4, first 2 shown]
	v_cmp_gt_i16_sdwa s[20:21], sext(v27), sext(v26) src0_sel:BYTE_0 src1_sel:BYTE_0
	v_perm_b32 v29, v11, v11, s29
	v_cndmask_b32_e64 v26, v15, v19, s[20:21]
	v_cndmask_b32_e64 v15, v19, v15, s[20:21]
	v_lshrrev_b32_e32 v19, 8, v14
	v_cndmask_b32_e64 v27, v10, v17, s[20:21]
	v_cndmask_b32_e64 v10, v17, v10, s[20:21]
	v_cndmask_b32_e64 v11, v11, v29, s[20:21]
	v_perm_b32 v17, 0, v14, s30
	v_and_b32_e32 v19, v19, v31
	v_and_b32_e32 v29, v14, v31
	v_and_or_b32 v17, v14, s36, v17
	v_cmp_gt_i16_sdwa s[20:21], sext(v19), sext(v29) src0_sel:BYTE_0 src1_sel:BYTE_0
	v_cndmask_b32_e64 v14, v14, v17, s[20:21]
	v_lshrrev_b32_e32 v17, 16, v14
	v_cndmask_b32_e64 v19, v22, v4, s[20:21]
	v_cndmask_b32_e64 v29, v24, v5, s[20:21]
	;; [unrolled: 1-line block ×4, first 2 shown]
	v_perm_b32 v22, 0, v17, s30
	v_and_b32_sdwa v24, v14, v31 dst_sel:DWORD dst_unused:UNUSED_PAD src0_sel:BYTE_3 src1_sel:DWORD
	v_and_b32_e32 v17, v17, v31
	v_cmp_gt_i16_sdwa s[20:21], sext(v24), sext(v17) src0_sel:BYTE_0 src1_sel:BYTE_0
	v_lshlrev_b32_e32 v22, 16, v22
	v_cndmask_b32_e64 v24, v28, v23, s[20:21]
	v_cndmask_b32_e64 v23, v23, v28, s[20:21]
	v_lshrrev_b32_e32 v28, 8, v11
	v_and_or_b32 v22, v14, s25, v22
	v_and_b32_e32 v28, v28, v31
	v_and_b32_e32 v30, v11, v31
	v_cndmask_b32_e64 v17, v32, v25, s[20:21]
	v_cndmask_b32_e64 v25, v25, v32, s[20:21]
	;; [unrolled: 1-line block ×3, first 2 shown]
	v_perm_b32 v22, v11, v11, s35
	v_cmp_gt_i16_sdwa s[20:21], sext(v28), sext(v30) src0_sel:BYTE_0 src1_sel:BYTE_0
	v_cndmask_b32_e64 v11, v11, v22, s[20:21]
	v_cndmask_b32_e64 v30, v20, v26, s[20:21]
	;; [unrolled: 1-line block ×3, first 2 shown]
	v_and_b32_sdwa v22, v11, v31 dst_sel:DWORD dst_unused:UNUSED_PAD src0_sel:BYTE_3 src1_sel:DWORD
	v_and_b32_sdwa v26, v11, v31 dst_sel:DWORD dst_unused:UNUSED_PAD src0_sel:WORD_1 src1_sel:DWORD
	v_cndmask_b32_e64 v28, v16, v27, s[20:21]
	v_cndmask_b32_e64 v16, v27, v16, s[20:21]
	v_perm_b32 v27, v11, v11, s31
	v_cmp_gt_i16_sdwa s[20:21], sext(v22), sext(v26) src0_sel:BYTE_0 src1_sel:BYTE_0
	v_cndmask_b32_e64 v22, v10, v18, s[20:21]
	v_cndmask_b32_e64 v18, v18, v10, s[20:21]
	;; [unrolled: 1-line block ×3, first 2 shown]
	v_lshrrev_b32_e32 v11, 8, v14
	v_cndmask_b32_e64 v26, v15, v21, s[20:21]
	v_cndmask_b32_e64 v15, v21, v15, s[20:21]
	v_and_b32_sdwa v21, v14, v31 dst_sel:DWORD dst_unused:UNUSED_PAD src0_sel:WORD_1 src1_sel:DWORD
	v_and_b32_e32 v11, v11, v31
	v_perm_b32 v27, v14, v14, s29
	v_cmp_gt_i16_sdwa s[20:21], sext(v21), sext(v11) src0_sel:BYTE_0 src1_sel:BYTE_0
	v_cndmask_b32_e64 v14, v14, v27, s[20:21]
	v_cndmask_b32_e64 v11, v23, v29, s[20:21]
	;; [unrolled: 1-line block ×3, first 2 shown]
	v_and_b32_sdwa v27, v14, s28 dst_sel:DWORD dst_unused:UNUSED_PAD src0_sel:WORD_1 src1_sel:DWORD
	v_lshlrev_b16_e32 v29, 8, v10
	v_or_b32_sdwa v27, v27, v29 dst_sel:WORD_1 dst_unused:UNUSED_PAD src0_sel:DWORD src1_sel:DWORD
	v_and_b32_e32 v29, v10, v31
	v_and_b32_sdwa v32, v14, v31 dst_sel:DWORD dst_unused:UNUSED_PAD src0_sel:BYTE_3 src1_sel:DWORD
	v_cndmask_b32_e64 v21, v25, v19, s[20:21]
	v_cndmask_b32_e64 v19, v19, v25, s[20:21]
	v_perm_b32 v25, v14, v10, s34
	v_cmp_gt_i16_sdwa s[20:21], sext(v29), sext(v32) src0_sel:BYTE_0 src1_sel:BYTE_0
	v_cndmask_b32_e64 v10, v10, v25, s[20:21]
	v_and_or_b32 v27, v14, s25, v27
	v_lshrrev_b32_e32 v25, 8, v10
	v_cndmask_b32_e64 v14, v14, v27, s[20:21]
	v_and_b32_sdwa v27, v10, v31 dst_sel:DWORD dst_unused:UNUSED_PAD src0_sel:WORD_1 src1_sel:DWORD
	v_and_b32_e32 v25, v25, v31
	v_cndmask_b32_e64 v29, v24, v30, s[20:21]
	v_cndmask_b32_e64 v32, v17, v28, s[20:21]
	;; [unrolled: 1-line block ×4, first 2 shown]
	v_cmp_gt_i16_sdwa s[20:21], sext(v27), sext(v25) src0_sel:BYTE_0 src1_sel:BYTE_0
	v_perm_b32 v28, v10, v10, s29
	v_cndmask_b32_e64 v25, v20, v26, s[20:21]
	v_cndmask_b32_e64 v27, v16, v22, s[20:21]
	v_cndmask_b32_e64 v16, v22, v16, s[20:21]
	v_cndmask_b32_e64 v22, v26, v20, s[20:21]
	v_lshrrev_b32_e32 v26, 8, v14
	v_cndmask_b32_e64 v10, v10, v28, s[20:21]
	v_perm_b32 v20, 0, v14, s30
	v_and_b32_e32 v26, v26, v31
	v_and_b32_e32 v28, v14, v31
	v_and_or_b32 v20, v14, s36, v20
	v_cmp_gt_i16_sdwa s[20:21], sext(v26), sext(v28) src0_sel:BYTE_0 src1_sel:BYTE_0
	v_cndmask_b32_e64 v14, v14, v20, s[20:21]
	v_cndmask_b32_e64 v26, v19, v4, s[20:21]
	;; [unrolled: 1-line block ×3, first 2 shown]
	v_lshrrev_b32_e32 v19, 16, v14
	v_perm_b32 v20, 0, v19, s30
	v_cndmask_b32_e64 v28, v23, v5, s[20:21]
	v_cndmask_b32_e64 v5, v5, v23, s[20:21]
	v_and_b32_sdwa v23, v14, v31 dst_sel:DWORD dst_unused:UNUSED_PAD src0_sel:BYTE_3 src1_sel:DWORD
	v_and_b32_e32 v19, v19, v31
	v_lshlrev_b32_e32 v20, 16, v20
	v_and_or_b32 v20, v14, s25, v20
	v_cmp_gt_i16_sdwa s[20:21], sext(v23), sext(v19) src0_sel:BYTE_0 src1_sel:BYTE_0
	v_cndmask_b32_e64 v35, v14, v20, s[20:21]
	v_lshrrev_b32_e32 v14, 8, v10
	v_and_b32_e32 v14, v14, v31
	v_and_b32_e32 v20, v10, v31
	v_cndmask_b32_e64 v23, v32, v21, s[20:21]
	v_cndmask_b32_e64 v30, v29, v11, s[20:21]
	;; [unrolled: 1-line block ×4, first 2 shown]
	v_perm_b32 v11, v10, v10, s35
	v_cmp_gt_i16_sdwa s[20:21], sext(v14), sext(v20) src0_sel:BYTE_0 src1_sel:BYTE_0
	v_cndmask_b32_e64 v14, v10, v11, s[20:21]
	v_and_b32_sdwa v10, v14, v31 dst_sel:DWORD dst_unused:UNUSED_PAD src0_sel:BYTE_3 src1_sel:DWORD
	v_and_b32_sdwa v11, v14, v31 dst_sel:DWORD dst_unused:UNUSED_PAD src0_sel:WORD_1 src1_sel:DWORD
	v_cndmask_b32_e64 v36, v17, v27, s[20:21]
	v_cndmask_b32_e64 v37, v24, v25, s[20:21]
	;; [unrolled: 1-line block ×4, first 2 shown]
	v_perm_b32 v17, v14, v14, s31
	v_cmp_gt_i16_sdwa s[20:21], sext(v10), sext(v11) src0_sel:BYTE_0 src1_sel:BYTE_0
	v_cndmask_b32_e64 v11, v22, v15, s[20:21]
	v_cndmask_b32_e64 v33, v15, v22, s[20:21]
	;; [unrolled: 1-line block ×3, first 2 shown]
	v_lshrrev_b32_e32 v14, 8, v35
	v_and_b32_sdwa v15, v35, v31 dst_sel:DWORD dst_unused:UNUSED_PAD src0_sel:WORD_1 src1_sel:DWORD
	v_and_b32_e32 v14, v14, v31
	v_cndmask_b32_e64 v10, v16, v18, s[20:21]
	v_cndmask_b32_e64 v32, v18, v16, s[20:21]
	v_perm_b32 v18, v35, v35, s29
	v_cmp_gt_i16_sdwa s[20:21], sext(v15), sext(v14) src0_sel:BYTE_0 src1_sel:BYTE_0
	v_cndmask_b32_e64 v16, v19, v26, s[20:21]
	v_cndmask_b32_e64 v14, v26, v19, s[20:21]
	;; [unrolled: 1-line block ×3, first 2 shown]
	v_and_b32_sdwa v18, v26, s28 dst_sel:DWORD dst_unused:UNUSED_PAD src0_sel:WORD_1 src1_sel:DWORD
	v_lshlrev_b16_e32 v19, 8, v22
	v_or_b32_sdwa v18, v18, v19 dst_sel:WORD_1 dst_unused:UNUSED_PAD src0_sel:DWORD src1_sel:DWORD
	v_and_b32_e32 v19, v22, v31
	v_and_b32_sdwa v24, v26, v31 dst_sel:DWORD dst_unused:UNUSED_PAD src0_sel:BYTE_3 src1_sel:DWORD
	v_cndmask_b32_e64 v17, v29, v28, s[20:21]
	v_cndmask_b32_e64 v15, v28, v29, s[20:21]
	v_perm_b32 v27, v26, v22, s34
	v_cmp_gt_i16_sdwa s[20:21], sext(v19), sext(v24) src0_sel:BYTE_0 src1_sel:BYTE_0
	v_and_or_b32 v28, v26, s25, v18
	v_cndmask_b32_e64 v18, v23, v36, s[20:21]
	v_cndmask_b32_e64 v24, v36, v23, s[20:21]
	;; [unrolled: 1-line block ×6, first 2 shown]
	v_lshrrev_b32_e32 v38, 8, v23
	v_lshrrev_b32_e32 v37, 16, v23
	v_lshrrev_b64 v[26:27], 24, v[22:23]
	v_and_b32_e32 v28, v37, v31
	v_and_b32_e32 v29, v38, v31
	v_lshrrev_b32_e32 v36, 24, v23
	v_lshrrev_b32_e32 v27, 16, v22
	;; [unrolled: 1-line block ×3, first 2 shown]
	v_cmp_gt_i16_sdwa s[28:29], sext(v28), sext(v29) src0_sel:BYTE_0 src1_sel:BYTE_0
	v_pk_mov_b32 v[28:29], v[10:11], v[10:11] op_sel:[0,1]
	s_and_saveexec_b64 s[20:21], s[28:29]
; %bb.28:
	v_lshrrev_b32_e32 v36, 24, v23
	v_lshrrev_b32_e32 v37, 8, v23
	;; [unrolled: 1-line block ×5, first 2 shown]
	v_pk_mov_b32 v[28:29], v[20:21], v[20:21] op_sel:[0,1]
	v_pk_mov_b32 v[20:21], v[10:11], v[10:11] op_sel:[0,1]
; %bb.29:
	s_or_b64 exec, exec, s[20:21]
.LBB302_30:
	s_or_b64 exec, exec, s[22:23]
	v_and_b32_e32 v11, 0xfffffe00, v34
	v_sub_u32_e64 v34, s24, v11 clamp
	v_or_b32_e32 v48, 8, v1
	v_min_u32_e32 v49, v34, v48
	v_add_u32_e32 v48, 8, v49
	v_and_b32_e32 v51, 0x3f0, v1
	v_min_u32_e32 v50, v34, v48
	v_and_b32_e32 v48, 8, v1
	v_min_u32_e32 v52, v34, v48
	v_sub_u32_e32 v48, v49, v51
	v_sub_u32_e32 v53, v50, v49
	v_lshlrev_b32_e32 v10, 3, v11
	v_sub_u32_e64 v53, v52, v53 clamp
	v_min_u32_e32 v48, v52, v48
	v_add_u32_e32 v35, v11, v1
	v_lshl_add_u32 v39, v1, 3, v10
	v_cmp_lt_u32_e64 s[20:21], v53, v48
	ds_write_b8 v35, v22
	ds_write_b64 v39, v[4:5] offset:2048
	ds_write_b8 v35, v30 offset:1
	ds_write_b64 v39, v[14:15] offset:2056
	ds_write_b8 v35, v27 offset:2
	;; [unrolled: 2-line block ×7, first 2 shown]
	ds_write_b64 v39, v[32:33] offset:2104
	; wave barrier
	s_and_saveexec_b64 s[22:23], s[20:21]
	s_cbranch_execz .LBB302_34
; %bb.31:
	v_add_u32_e32 v54, v11, v51
	v_add3_u32 v55, v11, v49, v52
	s_mov_b64 s[24:25], 0
.LBB302_32:                             ; =>This Inner Loop Header: Depth=1
	v_add_u32_e32 v64, v48, v53
	v_lshrrev_b32_e32 v64, 1, v64
	v_add_u32_e32 v65, v54, v64
	v_xad_u32 v66, v64, -1, v55
	ds_read_u8 v66, v66
	ds_read_u8 v65, v65
	v_add_u32_e32 v67, 1, v64
	s_waitcnt lgkmcnt(1)
	v_and_b32_e32 v66, v66, v31
	s_waitcnt lgkmcnt(0)
	v_and_b32_e32 v65, v65, v31
	v_cmp_gt_i16_sdwa s[20:21], sext(v66), sext(v65) src0_sel:BYTE_0 src1_sel:BYTE_0
	v_cndmask_b32_e64 v48, v48, v64, s[20:21]
	v_cndmask_b32_e64 v53, v67, v53, s[20:21]
	v_cmp_ge_u32_e64 s[20:21], v53, v48
	s_or_b64 s[24:25], s[20:21], s[24:25]
	s_andn2_b64 exec, exec, s[24:25]
	s_cbranch_execnz .LBB302_32
; %bb.33:
	s_or_b64 exec, exec, s[24:25]
.LBB302_34:
	s_or_b64 exec, exec, s[22:23]
	v_add_u32_e32 v52, v49, v52
	v_add_u32_e32 v51, v53, v51
	v_sub_u32_e32 v52, v52, v53
	v_cmp_le_u32_e64 s[20:21], v51, v49
	v_cmp_le_u32_e64 s[22:23], v52, v50
	v_add_u32_e32 v48, 0x800, v39
	s_or_b64 s[20:21], s[20:21], s[22:23]
	s_and_saveexec_b64 s[42:43], s[20:21]
	s_cbranch_execz .LBB302_40
; %bb.35:
	v_cmp_lt_u32_e64 s[20:21], v51, v49
                                        ; implicit-def: $vgpr22
	s_and_saveexec_b64 s[22:23], s[20:21]
	s_cbranch_execz .LBB302_37
; %bb.36:
	v_add_u32_e32 v4, v11, v51
	ds_read_u8 v22, v4
.LBB302_37:
	s_or_b64 exec, exec, s[22:23]
	v_cmp_ge_u32_e64 s[22:23], v52, v50
	v_cmp_lt_u32_e64 s[24:25], v52, v50
                                        ; implicit-def: $vgpr23
	s_and_saveexec_b64 s[28:29], s[24:25]
	s_cbranch_execz .LBB302_39
; %bb.38:
	v_add_u32_e32 v4, v11, v52
	ds_read_u8 v23, v4
.LBB302_39:
	s_or_b64 exec, exec, s[28:29]
	s_waitcnt lgkmcnt(0)
	v_and_b32_e32 v4, v23, v31
	v_and_b32_e32 v5, v22, v31
	v_cmp_le_i16_sdwa s[24:25], sext(v4), sext(v5) src0_sel:BYTE_0 src1_sel:BYTE_0
	s_and_b64 s[20:21], s[20:21], s[24:25]
	s_or_b64 s[20:21], s[22:23], s[20:21]
	v_cndmask_b32_e64 v4, v52, v51, s[20:21]
	v_cndmask_b32_e64 v5, v50, v49, s[20:21]
	v_add_u32_e32 v14, 1, v4
	v_add_u32_e32 v5, -1, v5
	v_min_u32_e32 v5, v14, v5
	v_add_u32_e32 v5, v11, v5
	ds_read_u8 v5, v5
	v_lshl_add_u32 v4, v4, 3, v10
	s_waitcnt lgkmcnt(0)
	v_cndmask_b32_e64 v26, v5, v23, s[20:21]
	v_cndmask_b32_e64 v27, v22, v5, s[20:21]
	;; [unrolled: 1-line block ×4, first 2 shown]
	v_and_b32_e32 v15, v26, v31
	v_and_b32_e32 v16, v27, v31
	v_cmp_lt_u32_e64 s[24:25], v14, v49
	v_cmp_le_i16_sdwa s[28:29], sext(v15), sext(v16) src0_sel:BYTE_0 src1_sel:BYTE_0
	v_cmp_ge_u32_e64 s[22:23], v5, v50
	s_and_b64 s[24:25], s[24:25], s[28:29]
	s_or_b64 s[22:23], s[22:23], s[24:25]
	v_cndmask_b32_e64 v15, v5, v14, s[22:23]
	v_cndmask_b32_e64 v16, v50, v49, s[22:23]
	v_add_u32_e32 v17, 1, v15
	v_add_u32_e32 v16, -1, v16
	v_min_u32_e32 v16, v17, v16
	v_add_u32_e32 v16, v11, v16
	ds_read_u8 v16, v16
	v_cndmask_b32_e64 v5, v17, v5, s[22:23]
	v_cndmask_b32_e64 v14, v14, v17, s[22:23]
	v_cmp_lt_u32_e64 s[28:29], v14, v49
	v_cmp_ge_u32_e64 s[24:25], v5, v50
	s_waitcnt lgkmcnt(0)
	v_cndmask_b32_e64 v32, v16, v26, s[22:23]
	v_cndmask_b32_e64 v33, v27, v16, s[22:23]
	v_and_b32_e32 v16, v32, v31
	v_and_b32_e32 v17, v33, v31
	v_cmp_le_i16_sdwa s[30:31], sext(v16), sext(v17) src0_sel:BYTE_0 src1_sel:BYTE_0
	s_and_b64 s[28:29], s[28:29], s[30:31]
	s_or_b64 s[24:25], s[24:25], s[28:29]
	v_cndmask_b32_e64 v16, v5, v14, s[24:25]
	v_cndmask_b32_e64 v17, v50, v49, s[24:25]
	v_add_u32_e32 v18, 1, v16
	v_add_u32_e32 v17, -1, v17
	v_min_u32_e32 v17, v18, v17
	v_add_u32_e32 v17, v11, v17
	ds_read_u8 v17, v17
	v_lshl_add_u32 v16, v16, 3, v10
	v_cndmask_b32_e64 v22, v23, v22, s[20:21]
	s_waitcnt lgkmcnt(0)
	v_cndmask_b32_e64 v36, v17, v32, s[24:25]
	v_cndmask_b32_e64 v37, v33, v17, s[24:25]
	;; [unrolled: 1-line block ×4, first 2 shown]
	v_and_b32_e32 v5, v36, v31
	v_and_b32_e32 v14, v37, v31
	v_cmp_lt_u32_e64 s[30:31], v18, v49
	v_cmp_le_i16_sdwa s[34:35], sext(v5), sext(v14) src0_sel:BYTE_0 src1_sel:BYTE_0
	v_cmp_ge_u32_e64 s[28:29], v17, v50
	s_and_b64 s[30:31], s[30:31], s[34:35]
	s_or_b64 s[28:29], s[28:29], s[30:31]
	v_cndmask_b32_e64 v19, v17, v18, s[28:29]
	v_cndmask_b32_e64 v5, v50, v49, s[28:29]
	v_add_u32_e32 v20, 1, v19
	v_add_u32_e32 v5, -1, v5
	v_min_u32_e32 v5, v20, v5
	v_add_u32_e32 v5, v11, v5
	ds_read_u8 v21, v5
	v_lshl_add_u32 v14, v15, 3, v10
	ds_read_b64 v[4:5], v4 offset:2048
	ds_read_b64 v[14:15], v14 offset:2048
	s_waitcnt lgkmcnt(2)
	v_cndmask_b32_e64 v38, v21, v36, s[28:29]
	v_cndmask_b32_e64 v51, v37, v21, s[28:29]
	;; [unrolled: 1-line block ×4, first 2 shown]
	v_and_b32_e32 v17, v38, v31
	v_and_b32_e32 v18, v51, v31
	v_cmp_lt_u32_e64 s[34:35], v20, v49
	v_cmp_le_i16_sdwa s[36:37], sext(v17), sext(v18) src0_sel:BYTE_0 src1_sel:BYTE_0
	v_cmp_ge_u32_e64 s[30:31], v21, v50
	s_and_b64 s[34:35], s[34:35], s[36:37]
	s_or_b64 s[30:31], s[30:31], s[34:35]
	v_cndmask_b32_e64 v24, v21, v20, s[30:31]
	v_cndmask_b32_e64 v17, v50, v49, s[30:31]
	v_add_u32_e32 v25, 1, v24
	v_add_u32_e32 v17, -1, v17
	v_min_u32_e32 v17, v25, v17
	v_add_u32_e32 v17, v11, v17
	ds_read_u8 v28, v17
	ds_read_b64 v[16:17], v16 offset:2048
	v_cndmask_b32_e64 v29, v20, v25, s[30:31]
	v_cmp_lt_u32_e64 s[36:37], v29, v49
	v_lshl_add_u32 v18, v19, 3, v10
	ds_read_b64 v[18:19], v18 offset:2048
	s_waitcnt lgkmcnt(2)
	v_cndmask_b32_e64 v52, v28, v38, s[30:31]
	v_cndmask_b32_e64 v53, v51, v28, s[30:31]
	;; [unrolled: 1-line block ×3, first 2 shown]
	v_and_b32_e32 v20, v52, v31
	v_and_b32_e32 v21, v53, v31
	v_cmp_le_i16_sdwa s[38:39], sext(v20), sext(v21) src0_sel:BYTE_0 src1_sel:BYTE_0
	v_cmp_ge_u32_e64 s[34:35], v28, v50
	s_and_b64 s[36:37], s[36:37], s[38:39]
	s_or_b64 s[34:35], s[34:35], s[36:37]
	v_cndmask_b32_e64 v20, v28, v29, s[34:35]
	v_cndmask_b32_e64 v21, v50, v49, s[34:35]
	v_add_u32_e32 v30, 1, v20
	v_add_u32_e32 v21, -1, v21
	v_min_u32_e32 v21, v30, v21
	v_add_u32_e32 v21, v11, v21
	ds_read_u8 v54, v21
	v_cndmask_b32_e64 v64, v30, v28, s[34:35]
	v_cndmask_b32_e64 v65, v29, v30, s[34:35]
	v_cmp_lt_u32_e64 s[38:39], v65, v49
	v_cmp_ge_u32_e64 s[36:37], v64, v50
	s_waitcnt lgkmcnt(0)
	v_cndmask_b32_e64 v55, v54, v52, s[34:35]
	v_cndmask_b32_e64 v54, v53, v54, s[34:35]
	v_and_b32_e32 v28, v55, v31
	v_and_b32_e32 v29, v54, v31
	v_cmp_le_i16_sdwa s[44:45], sext(v28), sext(v29) src0_sel:BYTE_0 src1_sel:BYTE_0
	s_and_b64 s[38:39], s[38:39], s[44:45]
	s_or_b64 s[36:37], s[36:37], s[38:39]
	v_cndmask_b32_e64 v28, v64, v65, s[36:37]
	v_cndmask_b32_e64 v29, v50, v49, s[36:37]
	v_lshl_add_u32 v30, v28, 3, v10
	v_add_u32_e32 v66, 1, v28
	v_add_u32_e32 v28, -1, v29
	v_min_u32_e32 v28, v66, v28
	v_lshl_add_u32 v21, v24, 3, v10
	v_lshl_add_u32 v20, v20, 3, v10
	v_add_u32_e32 v67, v11, v28
	ds_read_b64 v[24:25], v21 offset:2048
	ds_read_b64 v[20:21], v20 offset:2048
	;; [unrolled: 1-line block ×3, first 2 shown]
	ds_read_u8 v67, v67
	v_cndmask_b32_e64 v30, v26, v27, s[22:23]
	v_cndmask_b32_e64 v26, v36, v37, s[28:29]
	;; [unrolled: 1-line block ×4, first 2 shown]
	s_waitcnt lgkmcnt(0)
	v_cndmask_b32_e64 v36, v67, v55, s[36:37]
	v_cndmask_b32_e64 v67, v54, v67, s[36:37]
	v_and_b32_e32 v33, v36, v31
	v_and_b32_e32 v37, v67, v31
	v_cndmask_b32_e64 v23, v66, v64, s[36:37]
	v_cmp_lt_u32_e64 s[22:23], v32, v49
	v_cmp_le_i16_sdwa s[24:25], sext(v33), sext(v37) src0_sel:BYTE_0 src1_sel:BYTE_0
	v_cmp_ge_u32_e64 s[20:21], v23, v50
	s_and_b64 s[22:23], s[22:23], s[24:25]
	s_or_b64 s[20:21], s[20:21], s[22:23]
	v_cndmask_b32_e64 v23, v23, v32, s[20:21]
	v_lshl_add_u32 v23, v23, 3, v10
	ds_read_b64 v[32:33], v23 offset:2048
	v_cndmask_b32_e64 v23, v38, v51, s[30:31]
	v_cndmask_b32_e64 v38, v52, v53, s[34:35]
	;; [unrolled: 1-line block ×4, first 2 shown]
.LBB302_40:
	s_or_b64 exec, exec, s[42:43]
	v_and_b32_e32 v51, 0x3e0, v1
	v_or_b32_e32 v49, 16, v51
	v_min_u32_e32 v49, v34, v49
	v_add_u32_e32 v50, 16, v49
	v_min_u32_e32 v50, v34, v50
	v_and_b32_e32 v52, 24, v1
	v_min_u32_e32 v52, v34, v52
	v_sub_u32_e32 v54, v49, v51
	v_sub_u32_e32 v53, v50, v49
	v_sub_u32_e64 v53, v52, v53 clamp
	v_min_u32_e32 v54, v52, v54
	v_cmp_lt_u32_e64 s[20:21], v53, v54
	; wave barrier
	ds_write_b8 v35, v22
	ds_write_b64 v39, v[4:5] offset:2048
	ds_write_b8 v35, v30 offset:1
	ds_write_b64 v48, v[14:15] offset:8
	ds_write_b8 v35, v27 offset:2
	;; [unrolled: 2-line block ×7, first 2 shown]
	s_waitcnt lgkmcnt(14)
	ds_write_b64 v48, v[32:33] offset:56
	; wave barrier
	s_and_saveexec_b64 s[22:23], s[20:21]
	s_cbranch_execz .LBB302_44
; %bb.41:
	v_add_u32_e32 v55, v11, v51
	v_add3_u32 v64, v11, v49, v52
	s_mov_b64 s[24:25], 0
.LBB302_42:                             ; =>This Inner Loop Header: Depth=1
	v_add_u32_e32 v65, v54, v53
	v_lshrrev_b32_e32 v65, 1, v65
	v_add_u32_e32 v66, v55, v65
	v_xad_u32 v67, v65, -1, v64
	ds_read_u8 v67, v67
	ds_read_u8 v66, v66
	v_add_u32_e32 v68, 1, v65
	s_waitcnt lgkmcnt(1)
	v_and_b32_e32 v67, v67, v31
	s_waitcnt lgkmcnt(0)
	v_and_b32_e32 v66, v66, v31
	v_cmp_gt_i16_sdwa s[20:21], sext(v67), sext(v66) src0_sel:BYTE_0 src1_sel:BYTE_0
	v_cndmask_b32_e64 v54, v54, v65, s[20:21]
	v_cndmask_b32_e64 v53, v68, v53, s[20:21]
	v_cmp_ge_u32_e64 s[20:21], v53, v54
	s_or_b64 s[24:25], s[20:21], s[24:25]
	s_andn2_b64 exec, exec, s[24:25]
	s_cbranch_execnz .LBB302_42
; %bb.43:
	s_or_b64 exec, exec, s[24:25]
.LBB302_44:
	s_or_b64 exec, exec, s[22:23]
	v_add_u32_e32 v52, v49, v52
	v_add_u32_e32 v51, v53, v51
	v_sub_u32_e32 v52, v52, v53
	v_cmp_le_u32_e64 s[20:21], v51, v49
	v_cmp_le_u32_e64 s[22:23], v52, v50
	s_or_b64 s[20:21], s[20:21], s[22:23]
	s_and_saveexec_b64 s[42:43], s[20:21]
	s_cbranch_execz .LBB302_50
; %bb.45:
	v_cmp_lt_u32_e64 s[20:21], v51, v49
                                        ; implicit-def: $vgpr22
	s_and_saveexec_b64 s[22:23], s[20:21]
	s_cbranch_execz .LBB302_47
; %bb.46:
	v_add_u32_e32 v4, v11, v51
	ds_read_u8 v22, v4
.LBB302_47:
	s_or_b64 exec, exec, s[22:23]
	v_cmp_ge_u32_e64 s[22:23], v52, v50
	v_cmp_lt_u32_e64 s[24:25], v52, v50
                                        ; implicit-def: $vgpr23
	s_and_saveexec_b64 s[28:29], s[24:25]
	s_cbranch_execz .LBB302_49
; %bb.48:
	v_add_u32_e32 v4, v11, v52
	ds_read_u8 v23, v4
.LBB302_49:
	s_or_b64 exec, exec, s[28:29]
	s_waitcnt lgkmcnt(0)
	v_and_b32_e32 v4, v23, v31
	v_and_b32_e32 v5, v22, v31
	v_cmp_le_i16_sdwa s[24:25], sext(v4), sext(v5) src0_sel:BYTE_0 src1_sel:BYTE_0
	s_and_b64 s[20:21], s[20:21], s[24:25]
	s_or_b64 s[20:21], s[22:23], s[20:21]
	v_cndmask_b32_e64 v4, v52, v51, s[20:21]
	v_cndmask_b32_e64 v5, v50, v49, s[20:21]
	v_add_u32_e32 v14, 1, v4
	v_add_u32_e32 v5, -1, v5
	v_min_u32_e32 v5, v14, v5
	v_add_u32_e32 v5, v11, v5
	ds_read_u8 v5, v5
	v_lshl_add_u32 v4, v4, 3, v10
	s_waitcnt lgkmcnt(0)
	v_cndmask_b32_e64 v26, v5, v23, s[20:21]
	v_cndmask_b32_e64 v27, v22, v5, s[20:21]
	;; [unrolled: 1-line block ×4, first 2 shown]
	v_and_b32_e32 v15, v26, v31
	v_and_b32_e32 v16, v27, v31
	v_cmp_lt_u32_e64 s[24:25], v14, v49
	v_cmp_le_i16_sdwa s[28:29], sext(v15), sext(v16) src0_sel:BYTE_0 src1_sel:BYTE_0
	v_cmp_ge_u32_e64 s[22:23], v5, v50
	s_and_b64 s[24:25], s[24:25], s[28:29]
	s_or_b64 s[22:23], s[22:23], s[24:25]
	v_cndmask_b32_e64 v15, v5, v14, s[22:23]
	v_cndmask_b32_e64 v16, v50, v49, s[22:23]
	v_add_u32_e32 v17, 1, v15
	v_add_u32_e32 v16, -1, v16
	v_min_u32_e32 v16, v17, v16
	v_add_u32_e32 v16, v11, v16
	ds_read_u8 v16, v16
	v_cndmask_b32_e64 v5, v17, v5, s[22:23]
	v_cndmask_b32_e64 v14, v14, v17, s[22:23]
	v_cmp_lt_u32_e64 s[28:29], v14, v49
	v_cmp_ge_u32_e64 s[24:25], v5, v50
	s_waitcnt lgkmcnt(0)
	v_cndmask_b32_e64 v32, v16, v26, s[22:23]
	v_cndmask_b32_e64 v33, v27, v16, s[22:23]
	v_and_b32_e32 v16, v32, v31
	v_and_b32_e32 v17, v33, v31
	v_cmp_le_i16_sdwa s[30:31], sext(v16), sext(v17) src0_sel:BYTE_0 src1_sel:BYTE_0
	s_and_b64 s[28:29], s[28:29], s[30:31]
	s_or_b64 s[24:25], s[24:25], s[28:29]
	v_cndmask_b32_e64 v16, v5, v14, s[24:25]
	v_cndmask_b32_e64 v17, v50, v49, s[24:25]
	v_add_u32_e32 v18, 1, v16
	v_add_u32_e32 v17, -1, v17
	v_min_u32_e32 v17, v18, v17
	v_add_u32_e32 v17, v11, v17
	ds_read_u8 v17, v17
	v_lshl_add_u32 v16, v16, 3, v10
	v_cndmask_b32_e64 v22, v23, v22, s[20:21]
	s_waitcnt lgkmcnt(0)
	v_cndmask_b32_e64 v36, v17, v32, s[24:25]
	v_cndmask_b32_e64 v37, v33, v17, s[24:25]
	;; [unrolled: 1-line block ×4, first 2 shown]
	v_and_b32_e32 v5, v36, v31
	v_and_b32_e32 v14, v37, v31
	v_cmp_lt_u32_e64 s[30:31], v18, v49
	v_cmp_le_i16_sdwa s[34:35], sext(v5), sext(v14) src0_sel:BYTE_0 src1_sel:BYTE_0
	v_cmp_ge_u32_e64 s[28:29], v17, v50
	s_and_b64 s[30:31], s[30:31], s[34:35]
	s_or_b64 s[28:29], s[28:29], s[30:31]
	v_cndmask_b32_e64 v19, v17, v18, s[28:29]
	v_cndmask_b32_e64 v5, v50, v49, s[28:29]
	v_add_u32_e32 v20, 1, v19
	v_add_u32_e32 v5, -1, v5
	v_min_u32_e32 v5, v20, v5
	v_add_u32_e32 v5, v11, v5
	ds_read_u8 v21, v5
	v_lshl_add_u32 v14, v15, 3, v10
	ds_read_b64 v[4:5], v4 offset:2048
	ds_read_b64 v[14:15], v14 offset:2048
	s_waitcnt lgkmcnt(2)
	v_cndmask_b32_e64 v38, v21, v36, s[28:29]
	v_cndmask_b32_e64 v51, v37, v21, s[28:29]
	;; [unrolled: 1-line block ×4, first 2 shown]
	v_and_b32_e32 v17, v38, v31
	v_and_b32_e32 v18, v51, v31
	v_cmp_lt_u32_e64 s[34:35], v20, v49
	v_cmp_le_i16_sdwa s[36:37], sext(v17), sext(v18) src0_sel:BYTE_0 src1_sel:BYTE_0
	v_cmp_ge_u32_e64 s[30:31], v21, v50
	s_and_b64 s[34:35], s[34:35], s[36:37]
	s_or_b64 s[30:31], s[30:31], s[34:35]
	v_cndmask_b32_e64 v24, v21, v20, s[30:31]
	v_cndmask_b32_e64 v17, v50, v49, s[30:31]
	v_add_u32_e32 v25, 1, v24
	v_add_u32_e32 v17, -1, v17
	v_min_u32_e32 v17, v25, v17
	v_add_u32_e32 v17, v11, v17
	ds_read_u8 v28, v17
	ds_read_b64 v[16:17], v16 offset:2048
	v_cndmask_b32_e64 v29, v20, v25, s[30:31]
	v_cmp_lt_u32_e64 s[36:37], v29, v49
	v_lshl_add_u32 v18, v19, 3, v10
	ds_read_b64 v[18:19], v18 offset:2048
	s_waitcnt lgkmcnt(2)
	v_cndmask_b32_e64 v52, v28, v38, s[30:31]
	v_cndmask_b32_e64 v53, v51, v28, s[30:31]
	;; [unrolled: 1-line block ×3, first 2 shown]
	v_and_b32_e32 v20, v52, v31
	v_and_b32_e32 v21, v53, v31
	v_cmp_le_i16_sdwa s[38:39], sext(v20), sext(v21) src0_sel:BYTE_0 src1_sel:BYTE_0
	v_cmp_ge_u32_e64 s[34:35], v28, v50
	s_and_b64 s[36:37], s[36:37], s[38:39]
	s_or_b64 s[34:35], s[34:35], s[36:37]
	v_cndmask_b32_e64 v20, v28, v29, s[34:35]
	v_cndmask_b32_e64 v21, v50, v49, s[34:35]
	v_add_u32_e32 v30, 1, v20
	v_add_u32_e32 v21, -1, v21
	v_min_u32_e32 v21, v30, v21
	v_add_u32_e32 v21, v11, v21
	ds_read_u8 v54, v21
	v_cndmask_b32_e64 v64, v30, v28, s[34:35]
	v_cndmask_b32_e64 v65, v29, v30, s[34:35]
	v_cmp_lt_u32_e64 s[38:39], v65, v49
	v_cmp_ge_u32_e64 s[36:37], v64, v50
	s_waitcnt lgkmcnt(0)
	v_cndmask_b32_e64 v55, v54, v52, s[34:35]
	v_cndmask_b32_e64 v54, v53, v54, s[34:35]
	v_and_b32_e32 v28, v55, v31
	v_and_b32_e32 v29, v54, v31
	v_cmp_le_i16_sdwa s[44:45], sext(v28), sext(v29) src0_sel:BYTE_0 src1_sel:BYTE_0
	s_and_b64 s[38:39], s[38:39], s[44:45]
	s_or_b64 s[36:37], s[36:37], s[38:39]
	v_cndmask_b32_e64 v28, v64, v65, s[36:37]
	v_cndmask_b32_e64 v29, v50, v49, s[36:37]
	v_lshl_add_u32 v30, v28, 3, v10
	v_add_u32_e32 v66, 1, v28
	v_add_u32_e32 v28, -1, v29
	v_min_u32_e32 v28, v66, v28
	v_lshl_add_u32 v21, v24, 3, v10
	v_lshl_add_u32 v20, v20, 3, v10
	v_add_u32_e32 v67, v11, v28
	ds_read_b64 v[24:25], v21 offset:2048
	ds_read_b64 v[20:21], v20 offset:2048
	;; [unrolled: 1-line block ×3, first 2 shown]
	ds_read_u8 v67, v67
	v_cndmask_b32_e64 v30, v26, v27, s[22:23]
	v_cndmask_b32_e64 v26, v36, v37, s[28:29]
	;; [unrolled: 1-line block ×4, first 2 shown]
	s_waitcnt lgkmcnt(0)
	v_cndmask_b32_e64 v36, v67, v55, s[36:37]
	v_cndmask_b32_e64 v67, v54, v67, s[36:37]
	v_and_b32_e32 v33, v36, v31
	v_and_b32_e32 v37, v67, v31
	v_cndmask_b32_e64 v23, v66, v64, s[36:37]
	v_cmp_lt_u32_e64 s[22:23], v32, v49
	v_cmp_le_i16_sdwa s[24:25], sext(v33), sext(v37) src0_sel:BYTE_0 src1_sel:BYTE_0
	v_cmp_ge_u32_e64 s[20:21], v23, v50
	s_and_b64 s[22:23], s[22:23], s[24:25]
	s_or_b64 s[20:21], s[20:21], s[22:23]
	v_cndmask_b32_e64 v23, v23, v32, s[20:21]
	v_lshl_add_u32 v23, v23, 3, v10
	ds_read_b64 v[32:33], v23 offset:2048
	v_cndmask_b32_e64 v23, v38, v51, s[30:31]
	v_cndmask_b32_e64 v38, v52, v53, s[34:35]
	;; [unrolled: 1-line block ×4, first 2 shown]
.LBB302_50:
	s_or_b64 exec, exec, s[42:43]
	v_and_b32_e32 v51, 0x3c0, v1
	v_or_b32_e32 v49, 32, v51
	v_min_u32_e32 v49, v34, v49
	v_add_u32_e32 v50, 32, v49
	v_min_u32_e32 v50, v34, v50
	v_and_b32_e32 v52, 56, v1
	v_min_u32_e32 v52, v34, v52
	v_sub_u32_e32 v54, v49, v51
	v_sub_u32_e32 v53, v50, v49
	v_sub_u32_e64 v53, v52, v53 clamp
	v_min_u32_e32 v54, v52, v54
	v_cmp_lt_u32_e64 s[20:21], v53, v54
	; wave barrier
	ds_write_b8 v35, v22
	ds_write_b64 v39, v[4:5] offset:2048
	ds_write_b8 v35, v30 offset:1
	ds_write_b64 v48, v[14:15] offset:8
	ds_write_b8 v35, v27 offset:2
	;; [unrolled: 2-line block ×7, first 2 shown]
	s_waitcnt lgkmcnt(14)
	ds_write_b64 v48, v[32:33] offset:56
	; wave barrier
	s_and_saveexec_b64 s[22:23], s[20:21]
	s_cbranch_execz .LBB302_54
; %bb.51:
	v_add_u32_e32 v55, v11, v51
	v_add3_u32 v64, v11, v49, v52
	s_mov_b64 s[24:25], 0
.LBB302_52:                             ; =>This Inner Loop Header: Depth=1
	v_add_u32_e32 v65, v54, v53
	v_lshrrev_b32_e32 v65, 1, v65
	v_add_u32_e32 v66, v55, v65
	v_xad_u32 v67, v65, -1, v64
	ds_read_u8 v67, v67
	ds_read_u8 v66, v66
	v_add_u32_e32 v68, 1, v65
	s_waitcnt lgkmcnt(1)
	v_and_b32_e32 v67, v67, v31
	s_waitcnt lgkmcnt(0)
	v_and_b32_e32 v66, v66, v31
	v_cmp_gt_i16_sdwa s[20:21], sext(v67), sext(v66) src0_sel:BYTE_0 src1_sel:BYTE_0
	v_cndmask_b32_e64 v54, v54, v65, s[20:21]
	v_cndmask_b32_e64 v53, v68, v53, s[20:21]
	v_cmp_ge_u32_e64 s[20:21], v53, v54
	s_or_b64 s[24:25], s[20:21], s[24:25]
	s_andn2_b64 exec, exec, s[24:25]
	s_cbranch_execnz .LBB302_52
; %bb.53:
	s_or_b64 exec, exec, s[24:25]
.LBB302_54:
	s_or_b64 exec, exec, s[22:23]
	v_add_u32_e32 v52, v49, v52
	v_add_u32_e32 v51, v53, v51
	v_sub_u32_e32 v52, v52, v53
	v_cmp_le_u32_e64 s[20:21], v51, v49
	v_cmp_le_u32_e64 s[22:23], v52, v50
	s_or_b64 s[20:21], s[20:21], s[22:23]
	s_and_saveexec_b64 s[42:43], s[20:21]
	s_cbranch_execz .LBB302_60
; %bb.55:
	v_cmp_lt_u32_e64 s[20:21], v51, v49
                                        ; implicit-def: $vgpr22
	s_and_saveexec_b64 s[22:23], s[20:21]
	s_cbranch_execz .LBB302_57
; %bb.56:
	v_add_u32_e32 v4, v11, v51
	ds_read_u8 v22, v4
.LBB302_57:
	s_or_b64 exec, exec, s[22:23]
	v_cmp_ge_u32_e64 s[22:23], v52, v50
	v_cmp_lt_u32_e64 s[24:25], v52, v50
                                        ; implicit-def: $vgpr23
	s_and_saveexec_b64 s[28:29], s[24:25]
	s_cbranch_execz .LBB302_59
; %bb.58:
	v_add_u32_e32 v4, v11, v52
	ds_read_u8 v23, v4
.LBB302_59:
	s_or_b64 exec, exec, s[28:29]
	s_waitcnt lgkmcnt(0)
	v_and_b32_e32 v4, v23, v31
	v_and_b32_e32 v5, v22, v31
	v_cmp_le_i16_sdwa s[24:25], sext(v4), sext(v5) src0_sel:BYTE_0 src1_sel:BYTE_0
	s_and_b64 s[20:21], s[20:21], s[24:25]
	s_or_b64 s[20:21], s[22:23], s[20:21]
	v_cndmask_b32_e64 v4, v52, v51, s[20:21]
	v_cndmask_b32_e64 v5, v50, v49, s[20:21]
	v_add_u32_e32 v14, 1, v4
	v_add_u32_e32 v5, -1, v5
	v_min_u32_e32 v5, v14, v5
	v_add_u32_e32 v5, v11, v5
	ds_read_u8 v5, v5
	v_lshl_add_u32 v4, v4, 3, v10
	s_waitcnt lgkmcnt(0)
	v_cndmask_b32_e64 v26, v5, v23, s[20:21]
	v_cndmask_b32_e64 v27, v22, v5, s[20:21]
	;; [unrolled: 1-line block ×4, first 2 shown]
	v_and_b32_e32 v15, v26, v31
	v_and_b32_e32 v16, v27, v31
	v_cmp_lt_u32_e64 s[24:25], v14, v49
	v_cmp_le_i16_sdwa s[28:29], sext(v15), sext(v16) src0_sel:BYTE_0 src1_sel:BYTE_0
	v_cmp_ge_u32_e64 s[22:23], v5, v50
	s_and_b64 s[24:25], s[24:25], s[28:29]
	s_or_b64 s[22:23], s[22:23], s[24:25]
	v_cndmask_b32_e64 v15, v5, v14, s[22:23]
	v_cndmask_b32_e64 v16, v50, v49, s[22:23]
	v_add_u32_e32 v17, 1, v15
	v_add_u32_e32 v16, -1, v16
	v_min_u32_e32 v16, v17, v16
	v_add_u32_e32 v16, v11, v16
	ds_read_u8 v16, v16
	v_cndmask_b32_e64 v5, v17, v5, s[22:23]
	v_cndmask_b32_e64 v14, v14, v17, s[22:23]
	v_cmp_lt_u32_e64 s[28:29], v14, v49
	v_cmp_ge_u32_e64 s[24:25], v5, v50
	s_waitcnt lgkmcnt(0)
	v_cndmask_b32_e64 v32, v16, v26, s[22:23]
	v_cndmask_b32_e64 v33, v27, v16, s[22:23]
	v_and_b32_e32 v16, v32, v31
	v_and_b32_e32 v17, v33, v31
	v_cmp_le_i16_sdwa s[30:31], sext(v16), sext(v17) src0_sel:BYTE_0 src1_sel:BYTE_0
	s_and_b64 s[28:29], s[28:29], s[30:31]
	s_or_b64 s[24:25], s[24:25], s[28:29]
	v_cndmask_b32_e64 v16, v5, v14, s[24:25]
	v_cndmask_b32_e64 v17, v50, v49, s[24:25]
	v_add_u32_e32 v18, 1, v16
	v_add_u32_e32 v17, -1, v17
	v_min_u32_e32 v17, v18, v17
	v_add_u32_e32 v17, v11, v17
	ds_read_u8 v17, v17
	v_lshl_add_u32 v16, v16, 3, v10
	v_cndmask_b32_e64 v22, v23, v22, s[20:21]
	s_waitcnt lgkmcnt(0)
	v_cndmask_b32_e64 v36, v17, v32, s[24:25]
	v_cndmask_b32_e64 v37, v33, v17, s[24:25]
	;; [unrolled: 1-line block ×4, first 2 shown]
	v_and_b32_e32 v5, v36, v31
	v_and_b32_e32 v14, v37, v31
	v_cmp_lt_u32_e64 s[30:31], v18, v49
	v_cmp_le_i16_sdwa s[34:35], sext(v5), sext(v14) src0_sel:BYTE_0 src1_sel:BYTE_0
	v_cmp_ge_u32_e64 s[28:29], v17, v50
	s_and_b64 s[30:31], s[30:31], s[34:35]
	s_or_b64 s[28:29], s[28:29], s[30:31]
	v_cndmask_b32_e64 v19, v17, v18, s[28:29]
	v_cndmask_b32_e64 v5, v50, v49, s[28:29]
	v_add_u32_e32 v20, 1, v19
	v_add_u32_e32 v5, -1, v5
	v_min_u32_e32 v5, v20, v5
	v_add_u32_e32 v5, v11, v5
	ds_read_u8 v21, v5
	v_lshl_add_u32 v14, v15, 3, v10
	ds_read_b64 v[4:5], v4 offset:2048
	ds_read_b64 v[14:15], v14 offset:2048
	s_waitcnt lgkmcnt(2)
	v_cndmask_b32_e64 v38, v21, v36, s[28:29]
	v_cndmask_b32_e64 v51, v37, v21, s[28:29]
	;; [unrolled: 1-line block ×4, first 2 shown]
	v_and_b32_e32 v17, v38, v31
	v_and_b32_e32 v18, v51, v31
	v_cmp_lt_u32_e64 s[34:35], v20, v49
	v_cmp_le_i16_sdwa s[36:37], sext(v17), sext(v18) src0_sel:BYTE_0 src1_sel:BYTE_0
	v_cmp_ge_u32_e64 s[30:31], v21, v50
	s_and_b64 s[34:35], s[34:35], s[36:37]
	s_or_b64 s[30:31], s[30:31], s[34:35]
	v_cndmask_b32_e64 v24, v21, v20, s[30:31]
	v_cndmask_b32_e64 v17, v50, v49, s[30:31]
	v_add_u32_e32 v25, 1, v24
	v_add_u32_e32 v17, -1, v17
	v_min_u32_e32 v17, v25, v17
	v_add_u32_e32 v17, v11, v17
	ds_read_u8 v28, v17
	ds_read_b64 v[16:17], v16 offset:2048
	v_cndmask_b32_e64 v29, v20, v25, s[30:31]
	v_cmp_lt_u32_e64 s[36:37], v29, v49
	v_lshl_add_u32 v18, v19, 3, v10
	ds_read_b64 v[18:19], v18 offset:2048
	s_waitcnt lgkmcnt(2)
	v_cndmask_b32_e64 v52, v28, v38, s[30:31]
	v_cndmask_b32_e64 v53, v51, v28, s[30:31]
	;; [unrolled: 1-line block ×3, first 2 shown]
	v_and_b32_e32 v20, v52, v31
	v_and_b32_e32 v21, v53, v31
	v_cmp_le_i16_sdwa s[38:39], sext(v20), sext(v21) src0_sel:BYTE_0 src1_sel:BYTE_0
	v_cmp_ge_u32_e64 s[34:35], v28, v50
	s_and_b64 s[36:37], s[36:37], s[38:39]
	s_or_b64 s[34:35], s[34:35], s[36:37]
	v_cndmask_b32_e64 v20, v28, v29, s[34:35]
	v_cndmask_b32_e64 v21, v50, v49, s[34:35]
	v_add_u32_e32 v30, 1, v20
	v_add_u32_e32 v21, -1, v21
	v_min_u32_e32 v21, v30, v21
	v_add_u32_e32 v21, v11, v21
	ds_read_u8 v54, v21
	v_cndmask_b32_e64 v64, v30, v28, s[34:35]
	v_cndmask_b32_e64 v65, v29, v30, s[34:35]
	v_cmp_lt_u32_e64 s[38:39], v65, v49
	v_cmp_ge_u32_e64 s[36:37], v64, v50
	s_waitcnt lgkmcnt(0)
	v_cndmask_b32_e64 v55, v54, v52, s[34:35]
	v_cndmask_b32_e64 v54, v53, v54, s[34:35]
	v_and_b32_e32 v28, v55, v31
	v_and_b32_e32 v29, v54, v31
	v_cmp_le_i16_sdwa s[44:45], sext(v28), sext(v29) src0_sel:BYTE_0 src1_sel:BYTE_0
	s_and_b64 s[38:39], s[38:39], s[44:45]
	s_or_b64 s[36:37], s[36:37], s[38:39]
	v_cndmask_b32_e64 v28, v64, v65, s[36:37]
	v_cndmask_b32_e64 v29, v50, v49, s[36:37]
	v_lshl_add_u32 v30, v28, 3, v10
	v_add_u32_e32 v66, 1, v28
	v_add_u32_e32 v28, -1, v29
	v_min_u32_e32 v28, v66, v28
	v_lshl_add_u32 v21, v24, 3, v10
	v_lshl_add_u32 v20, v20, 3, v10
	v_add_u32_e32 v67, v11, v28
	ds_read_b64 v[24:25], v21 offset:2048
	ds_read_b64 v[20:21], v20 offset:2048
	;; [unrolled: 1-line block ×3, first 2 shown]
	ds_read_u8 v67, v67
	v_cndmask_b32_e64 v30, v26, v27, s[22:23]
	v_cndmask_b32_e64 v26, v36, v37, s[28:29]
	;; [unrolled: 1-line block ×4, first 2 shown]
	s_waitcnt lgkmcnt(0)
	v_cndmask_b32_e64 v36, v67, v55, s[36:37]
	v_cndmask_b32_e64 v67, v54, v67, s[36:37]
	v_and_b32_e32 v33, v36, v31
	v_and_b32_e32 v37, v67, v31
	v_cndmask_b32_e64 v23, v66, v64, s[36:37]
	v_cmp_lt_u32_e64 s[22:23], v32, v49
	v_cmp_le_i16_sdwa s[24:25], sext(v33), sext(v37) src0_sel:BYTE_0 src1_sel:BYTE_0
	v_cmp_ge_u32_e64 s[20:21], v23, v50
	s_and_b64 s[22:23], s[22:23], s[24:25]
	s_or_b64 s[20:21], s[20:21], s[22:23]
	v_cndmask_b32_e64 v23, v23, v32, s[20:21]
	v_lshl_add_u32 v23, v23, 3, v10
	ds_read_b64 v[32:33], v23 offset:2048
	v_cndmask_b32_e64 v23, v38, v51, s[30:31]
	v_cndmask_b32_e64 v38, v52, v53, s[34:35]
	;; [unrolled: 1-line block ×4, first 2 shown]
.LBB302_60:
	s_or_b64 exec, exec, s[42:43]
	; wave barrier
	ds_write_b8 v35, v22
	ds_write_b64 v39, v[4:5] offset:2048
	ds_write_b8 v35, v30 offset:1
	ds_write_b64 v48, v[14:15] offset:8
	ds_write_b8 v35, v27 offset:2
	;; [unrolled: 2-line block ×7, first 2 shown]
	s_waitcnt lgkmcnt(14)
	ds_write_b64 v48, v[32:33] offset:56
	v_and_b32_e32 v39, 0x380, v1
	v_or_b32_e32 v1, 64, v39
	v_min_u32_e32 v1, v34, v1
	v_add_u32_e32 v35, 64, v1
	v_min_u32_e32 v35, v34, v35
	v_min_u32_e32 v48, v34, v0
	v_sub_u32_e32 v34, v1, v39
	v_sub_u32_e32 v49, v35, v1
	v_sub_u32_e64 v49, v48, v49 clamp
	v_min_u32_e32 v34, v48, v34
	v_cmp_lt_u32_e64 s[20:21], v49, v34
	; wave barrier
	s_and_saveexec_b64 s[22:23], s[20:21]
	s_cbranch_execz .LBB302_64
; %bb.61:
	v_add_u32_e32 v50, v11, v39
	v_add3_u32 v51, v11, v1, v48
	s_mov_b64 s[24:25], 0
.LBB302_62:                             ; =>This Inner Loop Header: Depth=1
	v_add_u32_e32 v52, v34, v49
	v_lshrrev_b32_e32 v52, 1, v52
	v_add_u32_e32 v53, v50, v52
	v_xad_u32 v54, v52, -1, v51
	ds_read_u8 v54, v54
	ds_read_u8 v53, v53
	v_add_u32_e32 v55, 1, v52
	s_waitcnt lgkmcnt(1)
	v_and_b32_e32 v54, v54, v31
	s_waitcnt lgkmcnt(0)
	v_and_b32_e32 v53, v53, v31
	v_cmp_gt_i16_sdwa s[20:21], sext(v54), sext(v53) src0_sel:BYTE_0 src1_sel:BYTE_0
	v_cndmask_b32_e64 v34, v34, v52, s[20:21]
	v_cndmask_b32_e64 v49, v55, v49, s[20:21]
	v_cmp_ge_u32_e64 s[20:21], v49, v34
	s_or_b64 s[24:25], s[20:21], s[24:25]
	s_andn2_b64 exec, exec, s[24:25]
	s_cbranch_execnz .LBB302_62
; %bb.63:
	s_or_b64 exec, exec, s[24:25]
.LBB302_64:
	s_or_b64 exec, exec, s[22:23]
	v_add_u32_e32 v34, v49, v39
	v_add_u32_e32 v39, v1, v48
	v_sub_u32_e32 v39, v39, v49
	v_cmp_le_u32_e64 s[20:21], v34, v1
	v_cmp_le_u32_e64 s[22:23], v39, v35
	s_or_b64 s[20:21], s[20:21], s[22:23]
	s_and_saveexec_b64 s[42:43], s[20:21]
	s_cbranch_execz .LBB302_70
; %bb.65:
	v_cmp_lt_u32_e64 s[20:21], v34, v1
                                        ; implicit-def: $vgpr22
	s_and_saveexec_b64 s[22:23], s[20:21]
	s_cbranch_execz .LBB302_67
; %bb.66:
	v_add_u32_e32 v4, v11, v34
	ds_read_u8 v22, v4
.LBB302_67:
	s_or_b64 exec, exec, s[22:23]
	v_cmp_ge_u32_e64 s[22:23], v39, v35
	v_cmp_lt_u32_e64 s[24:25], v39, v35
                                        ; implicit-def: $vgpr23
	s_and_saveexec_b64 s[28:29], s[24:25]
	s_cbranch_execz .LBB302_69
; %bb.68:
	v_add_u32_e32 v4, v11, v39
	ds_read_u8 v23, v4
.LBB302_69:
	s_or_b64 exec, exec, s[28:29]
	s_waitcnt lgkmcnt(0)
	v_and_b32_e32 v4, v23, v31
	v_and_b32_e32 v5, v22, v31
	v_cmp_le_i16_sdwa s[24:25], sext(v4), sext(v5) src0_sel:BYTE_0 src1_sel:BYTE_0
	s_and_b64 s[20:21], s[20:21], s[24:25]
	s_or_b64 s[20:21], s[22:23], s[20:21]
	v_cndmask_b32_e64 v4, v39, v34, s[20:21]
	v_cndmask_b32_e64 v5, v35, v1, s[20:21]
	v_add_u32_e32 v14, 1, v4
	v_add_u32_e32 v5, -1, v5
	v_min_u32_e32 v5, v14, v5
	v_add_u32_e32 v5, v11, v5
	ds_read_u8 v5, v5
	v_lshl_add_u32 v4, v4, 3, v10
	s_waitcnt lgkmcnt(0)
	v_cndmask_b32_e64 v26, v5, v23, s[20:21]
	v_cndmask_b32_e64 v27, v22, v5, s[20:21]
	;; [unrolled: 1-line block ×4, first 2 shown]
	v_and_b32_e32 v15, v26, v31
	v_and_b32_e32 v16, v27, v31
	v_cmp_lt_u32_e64 s[24:25], v14, v1
	v_cmp_le_i16_sdwa s[28:29], sext(v15), sext(v16) src0_sel:BYTE_0 src1_sel:BYTE_0
	v_cmp_ge_u32_e64 s[22:23], v5, v35
	s_and_b64 s[24:25], s[24:25], s[28:29]
	s_or_b64 s[22:23], s[22:23], s[24:25]
	v_cndmask_b32_e64 v15, v5, v14, s[22:23]
	v_cndmask_b32_e64 v16, v35, v1, s[22:23]
	v_add_u32_e32 v17, 1, v15
	v_add_u32_e32 v16, -1, v16
	v_min_u32_e32 v16, v17, v16
	v_add_u32_e32 v16, v11, v16
	ds_read_u8 v16, v16
	v_cndmask_b32_e64 v5, v17, v5, s[22:23]
	v_cndmask_b32_e64 v14, v14, v17, s[22:23]
	v_cmp_lt_u32_e64 s[28:29], v14, v1
	v_cmp_ge_u32_e64 s[24:25], v5, v35
	s_waitcnt lgkmcnt(0)
	v_cndmask_b32_e64 v32, v16, v26, s[22:23]
	v_cndmask_b32_e64 v33, v27, v16, s[22:23]
	v_and_b32_e32 v16, v32, v31
	v_and_b32_e32 v17, v33, v31
	v_cmp_le_i16_sdwa s[30:31], sext(v16), sext(v17) src0_sel:BYTE_0 src1_sel:BYTE_0
	s_and_b64 s[28:29], s[28:29], s[30:31]
	s_or_b64 s[24:25], s[24:25], s[28:29]
	v_cndmask_b32_e64 v16, v5, v14, s[24:25]
	v_cndmask_b32_e64 v17, v35, v1, s[24:25]
	v_add_u32_e32 v18, 1, v16
	v_add_u32_e32 v17, -1, v17
	v_min_u32_e32 v17, v18, v17
	v_add_u32_e32 v17, v11, v17
	ds_read_u8 v17, v17
	v_lshl_add_u32 v16, v16, 3, v10
	v_cndmask_b32_e64 v22, v23, v22, s[20:21]
	s_waitcnt lgkmcnt(0)
	v_cndmask_b32_e64 v34, v17, v32, s[24:25]
	v_cndmask_b32_e64 v36, v33, v17, s[24:25]
	;; [unrolled: 1-line block ×4, first 2 shown]
	v_and_b32_e32 v5, v34, v31
	v_and_b32_e32 v14, v36, v31
	v_cmp_lt_u32_e64 s[30:31], v18, v1
	v_cmp_le_i16_sdwa s[34:35], sext(v5), sext(v14) src0_sel:BYTE_0 src1_sel:BYTE_0
	v_cmp_ge_u32_e64 s[28:29], v17, v35
	s_and_b64 s[30:31], s[30:31], s[34:35]
	s_or_b64 s[28:29], s[28:29], s[30:31]
	v_cndmask_b32_e64 v19, v17, v18, s[28:29]
	v_cndmask_b32_e64 v5, v35, v1, s[28:29]
	v_add_u32_e32 v20, 1, v19
	v_add_u32_e32 v5, -1, v5
	v_min_u32_e32 v5, v20, v5
	v_add_u32_e32 v5, v11, v5
	ds_read_u8 v21, v5
	v_lshl_add_u32 v14, v15, 3, v10
	ds_read_b64 v[4:5], v4 offset:2048
	ds_read_b64 v[14:15], v14 offset:2048
	s_waitcnt lgkmcnt(2)
	v_cndmask_b32_e64 v37, v21, v34, s[28:29]
	v_cndmask_b32_e64 v38, v36, v21, s[28:29]
	;; [unrolled: 1-line block ×4, first 2 shown]
	v_and_b32_e32 v17, v37, v31
	v_and_b32_e32 v18, v38, v31
	v_cmp_lt_u32_e64 s[34:35], v20, v1
	v_cmp_le_i16_sdwa s[36:37], sext(v17), sext(v18) src0_sel:BYTE_0 src1_sel:BYTE_0
	v_cmp_ge_u32_e64 s[30:31], v21, v35
	s_and_b64 s[34:35], s[34:35], s[36:37]
	s_or_b64 s[30:31], s[30:31], s[34:35]
	v_cndmask_b32_e64 v24, v21, v20, s[30:31]
	v_cndmask_b32_e64 v17, v35, v1, s[30:31]
	v_add_u32_e32 v25, 1, v24
	v_add_u32_e32 v17, -1, v17
	v_min_u32_e32 v17, v25, v17
	v_add_u32_e32 v17, v11, v17
	ds_read_u8 v28, v17
	ds_read_b64 v[16:17], v16 offset:2048
	v_cndmask_b32_e64 v29, v20, v25, s[30:31]
	v_cmp_lt_u32_e64 s[36:37], v29, v1
	v_lshl_add_u32 v18, v19, 3, v10
	ds_read_b64 v[18:19], v18 offset:2048
	s_waitcnt lgkmcnt(2)
	v_cndmask_b32_e64 v39, v28, v37, s[30:31]
	v_cndmask_b32_e64 v48, v38, v28, s[30:31]
	;; [unrolled: 1-line block ×3, first 2 shown]
	v_and_b32_e32 v20, v39, v31
	v_and_b32_e32 v21, v48, v31
	v_cmp_le_i16_sdwa s[38:39], sext(v20), sext(v21) src0_sel:BYTE_0 src1_sel:BYTE_0
	v_cmp_ge_u32_e64 s[34:35], v28, v35
	s_and_b64 s[36:37], s[36:37], s[38:39]
	s_or_b64 s[34:35], s[34:35], s[36:37]
	v_cndmask_b32_e64 v20, v28, v29, s[34:35]
	v_cndmask_b32_e64 v21, v35, v1, s[34:35]
	v_add_u32_e32 v30, 1, v20
	v_add_u32_e32 v21, -1, v21
	v_min_u32_e32 v21, v30, v21
	v_add_u32_e32 v21, v11, v21
	ds_read_u8 v49, v21
	v_cndmask_b32_e64 v51, v30, v28, s[34:35]
	v_cndmask_b32_e64 v52, v29, v30, s[34:35]
	v_cmp_lt_u32_e64 s[38:39], v52, v1
	v_cmp_ge_u32_e64 s[36:37], v51, v35
	s_waitcnt lgkmcnt(0)
	v_cndmask_b32_e64 v50, v49, v39, s[34:35]
	v_cndmask_b32_e64 v49, v48, v49, s[34:35]
	v_and_b32_e32 v28, v50, v31
	v_and_b32_e32 v29, v49, v31
	v_cmp_le_i16_sdwa s[44:45], sext(v28), sext(v29) src0_sel:BYTE_0 src1_sel:BYTE_0
	s_and_b64 s[38:39], s[38:39], s[44:45]
	s_or_b64 s[36:37], s[36:37], s[38:39]
	v_cndmask_b32_e64 v28, v51, v52, s[36:37]
	v_cndmask_b32_e64 v29, v35, v1, s[36:37]
	v_lshl_add_u32 v30, v28, 3, v10
	v_add_u32_e32 v53, 1, v28
	v_add_u32_e32 v28, -1, v29
	v_min_u32_e32 v28, v53, v28
	v_lshl_add_u32 v21, v24, 3, v10
	v_lshl_add_u32 v20, v20, 3, v10
	v_add_u32_e32 v11, v11, v28
	ds_read_b64 v[24:25], v21 offset:2048
	ds_read_b64 v[20:21], v20 offset:2048
	;; [unrolled: 1-line block ×3, first 2 shown]
	ds_read_u8 v11, v11
	v_cndmask_b32_e64 v30, v26, v27, s[22:23]
	v_cndmask_b32_e64 v27, v32, v33, s[24:25]
	;; [unrolled: 1-line block ×4, first 2 shown]
	s_waitcnt lgkmcnt(0)
	v_cndmask_b32_e64 v34, v11, v50, s[36:37]
	v_cndmask_b32_e64 v11, v49, v11, s[36:37]
	v_cmp_lt_u32_e64 s[22:23], v32, v1
	v_and_b32_e32 v1, v34, v31
	v_and_b32_e32 v31, v11, v31
	v_cndmask_b32_e64 v23, v53, v51, s[36:37]
	v_cmp_le_i16_sdwa s[24:25], sext(v1), sext(v31) src0_sel:BYTE_0 src1_sel:BYTE_0
	v_cmp_ge_u32_e64 s[20:21], v23, v35
	s_and_b64 s[22:23], s[22:23], s[24:25]
	s_or_b64 s[20:21], s[20:21], s[22:23]
	v_cndmask_b32_e64 v1, v23, v32, s[20:21]
	v_lshl_add_u32 v1, v1, 3, v10
	ds_read_b64 v[32:33], v1 offset:2048
	v_cndmask_b32_e64 v23, v37, v38, s[30:31]
	v_cndmask_b32_e64 v38, v39, v48, s[34:35]
	;; [unrolled: 1-line block ×4, first 2 shown]
.LBB302_70:
	s_or_b64 exec, exec, s[42:43]
	; wave barrier
	s_waitcnt lgkmcnt(0)
	s_barrier
                                        ; implicit-def: $vgpr1
                                        ; implicit-def: $vgpr31
                                        ; implicit-def: $vgpr34
                                        ; implicit-def: $vgpr35
.LBB302_71:
	s_andn2_saveexec_b64 s[36:37], s[40:41]
	s_cbranch_execz .LBB302_117
; %bb.72:
	s_load_dwordx2 s[20:21], s[8:9], 0x0
	v_mov_b32_e32 v10, 0
	s_waitcnt lgkmcnt(0)
	s_cmp_lt_u32 s12, s20
	s_cselect_b32 s20, 12, 18
	s_cmp_lt_u32 s13, s21
	s_cselect_b32 s12, 14, 20
	s_add_u32 s12, s8, s12
	s_addc_u32 s13, s9, 0
	s_add_u32 s8, s8, s20
	s_addc_u32 s9, s9, 0
	global_load_ushort v11, v10, s[12:13]
	global_load_ushort v39, v10, s[8:9]
	v_and_b32_e32 v10, 0x3ff, v31
	s_movk_i32 s20, 0x800
	s_waitcnt vmcnt(0)
	v_mad_u32_u24 v11, v35, v11, v34
	v_mul_lo_u32 v11, v11, v39
	v_add_lshl_u32 v31, v11, v10, 3
	v_cmp_gt_u32_e64 s[8:9], s20, v31
	s_and_saveexec_b64 s[12:13], s[8:9]
	s_cbranch_execz .LBB302_76
; %bb.73:
	v_lshlrev_b16_e32 v10, 8, v38
	v_or_b32_sdwa v10, v23, v10 dst_sel:DWORD dst_unused:UNUSED_PAD src0_sel:BYTE_0 src1_sel:DWORD
	v_lshlrev_b16_e32 v23, 8, v30
	v_lshlrev_b16_e32 v34, 8, v22
	;; [unrolled: 1-line block ×3, first 2 shown]
	v_or_b32_sdwa v23, v22, v23 dst_sel:DWORD dst_unused:UNUSED_PAD src0_sel:BYTE_0 src1_sel:DWORD
	v_or_b32_sdwa v34, v30, v34 dst_sel:DWORD dst_unused:UNUSED_PAD src0_sel:BYTE_0 src1_sel:DWORD
	v_or_b32_sdwa v26, v27, v26 dst_sel:WORD_1 dst_unused:UNUSED_PAD src0_sel:BYTE_0 src1_sel:DWORD
	v_or_b32_sdwa v27, v34, v26 dst_sel:DWORD dst_unused:UNUSED_PAD src0_sel:WORD_0 src1_sel:DWORD
	v_or_b32_sdwa v23, v23, v26 dst_sel:DWORD dst_unused:UNUSED_PAD src0_sel:WORD_0 src1_sel:DWORD
	v_cmp_gt_i16_sdwa s[8:9], sext(v30), sext(v22) src0_sel:BYTE_0 src1_sel:BYTE_0
	v_cndmask_b32_e64 v22, v14, v4, s[8:9]
	v_cndmask_b32_e64 v4, v4, v14, s[8:9]
	;; [unrolled: 1-line block ×3, first 2 shown]
	v_lshlrev_b16_e32 v11, 8, v36
	v_cndmask_b32_e64 v26, v15, v5, s[8:9]
	v_cndmask_b32_e64 v5, v5, v15, s[8:9]
	v_lshrrev_b32_e32 v15, 16, v14
	s_mov_b32 s24, 0xc0c0001
	v_or_b32_sdwa v11, v37, v11 dst_sel:WORD_1 dst_unused:UNUSED_PAD src0_sel:BYTE_0 src1_sel:DWORD
	v_perm_b32 v23, 0, v15, s24
	v_lshrrev_b32_e32 v27, 24, v14
	s_mov_b32 s21, 0xffff
	v_or_b32_sdwa v11, v10, v11 dst_sel:DWORD dst_unused:UNUSED_PAD src0_sel:WORD_0 src1_sel:DWORD
	v_lshlrev_b32_e32 v23, 16, v23
	v_cmp_gt_i16_sdwa s[8:9], sext(v27), sext(v15) src0_sel:BYTE_0 src1_sel:BYTE_0
	v_and_or_b32 v23, v14, s21, v23
	v_cndmask_b32_e64 v27, v19, v17, s[8:9]
	v_cndmask_b32_e64 v17, v17, v19, s[8:9]
	s_mov_b32 s29, 0x7060405
	v_lshrrev_b32_e32 v19, 8, v11
	v_cndmask_b32_e64 v15, v18, v16, s[8:9]
	v_cndmask_b32_e64 v16, v16, v18, s[8:9]
	;; [unrolled: 1-line block ×3, first 2 shown]
	v_perm_b32 v18, v11, v11, s29
	v_cmp_gt_i16_sdwa s[8:9], sext(v19), sext(v10) src0_sel:BYTE_0 src1_sel:BYTE_0
	v_cndmask_b32_e64 v11, v11, v18, s[8:9]
	v_lshrrev_b32_e32 v18, 24, v11
	v_lshrrev_b32_e32 v23, 16, v11
	s_mov_b32 s25, 0x6070504
	v_cndmask_b32_e64 v10, v24, v20, s[8:9]
	v_cndmask_b32_e64 v19, v25, v21, s[8:9]
	;; [unrolled: 1-line block ×4, first 2 shown]
	v_perm_b32 v24, v11, v11, s25
	v_cmp_gt_i16_sdwa s[8:9], sext(v18), sext(v23) src0_sel:BYTE_0 src1_sel:BYTE_0
	v_cndmask_b32_e64 v23, v29, v33, s[8:9]
	v_cndmask_b32_e64 v25, v33, v29, s[8:9]
	;; [unrolled: 1-line block ×3, first 2 shown]
	v_lshrrev_b32_e32 v24, 16, v14
	v_lshrrev_b32_e32 v29, 8, v14
	s_mov_b32 s23, 0x7050604
	v_cndmask_b32_e64 v18, v28, v32, s[8:9]
	v_cndmask_b32_e64 v28, v32, v28, s[8:9]
	v_perm_b32 v30, v14, v14, s23
	v_cmp_gt_i16_sdwa s[8:9], sext(v24), sext(v29) src0_sel:BYTE_0 src1_sel:BYTE_0
	s_movk_i32 s22, 0xff
	v_cndmask_b32_e64 v14, v14, v30, s[8:9]
	v_cndmask_b32_e64 v24, v17, v26, s[8:9]
	;; [unrolled: 1-line block ×3, first 2 shown]
	v_and_b32_sdwa v26, v14, s22 dst_sel:DWORD dst_unused:UNUSED_PAD src0_sel:WORD_1 src1_sel:DWORD
	v_lshlrev_b16_e32 v30, 8, v11
	s_mov_b32 s28, 0x3020107
	v_or_b32_sdwa v26, v26, v30 dst_sel:WORD_1 dst_unused:UNUSED_PAD src0_sel:DWORD src1_sel:DWORD
	v_lshrrev_b32_e32 v30, 24, v14
	v_cndmask_b32_e64 v29, v16, v22, s[8:9]
	v_cndmask_b32_e64 v16, v22, v16, s[8:9]
	v_perm_b32 v22, v14, v11, s28
	v_cmp_gt_i16_sdwa s[8:9], sext(v11), sext(v30) src0_sel:BYTE_0 src1_sel:BYTE_0
	v_cndmask_b32_e64 v11, v11, v22, s[8:9]
	v_and_or_b32 v26, v14, s21, v26
	v_cndmask_b32_e64 v32, v15, v10, s[8:9]
	v_cndmask_b32_e64 v10, v10, v15, s[8:9]
	v_lshrrev_b32_e32 v15, 16, v11
	v_lshrrev_b32_e32 v22, 8, v11
	v_cndmask_b32_e64 v30, v27, v19, s[8:9]
	v_cndmask_b32_e64 v19, v19, v27, s[8:9]
	;; [unrolled: 1-line block ×3, first 2 shown]
	v_cmp_gt_i16_sdwa s[8:9], sext(v15), sext(v22) src0_sel:BYTE_0 src1_sel:BYTE_0
	v_perm_b32 v26, v11, v11, s23
	v_cndmask_b32_e64 v15, v21, v23, s[8:9]
	v_cndmask_b32_e64 v22, v20, v18, s[8:9]
	;; [unrolled: 1-line block ×4, first 2 shown]
	v_perm_b32 v20, 0, v14, s24
	s_mov_b32 s30, 0xffff0000
	v_lshrrev_b32_e32 v23, 8, v14
	v_cndmask_b32_e64 v11, v11, v26, s[8:9]
	v_and_or_b32 v20, v14, s30, v20
	v_cmp_gt_i16_sdwa s[8:9], sext(v23), sext(v14) src0_sel:BYTE_0 src1_sel:BYTE_0
	v_cndmask_b32_e64 v14, v14, v20, s[8:9]
	v_cndmask_b32_e64 v23, v16, v4, s[8:9]
	;; [unrolled: 1-line block ×3, first 2 shown]
	v_lshrrev_b32_e32 v16, 16, v14
	v_cndmask_b32_e64 v26, v17, v5, s[8:9]
	v_cndmask_b32_e64 v5, v5, v17, s[8:9]
	v_perm_b32 v17, 0, v16, s24
	v_lshrrev_b32_e32 v20, 24, v14
	v_lshlrev_b32_e32 v17, 16, v17
	v_cmp_gt_i16_sdwa s[8:9], sext(v20), sext(v16) src0_sel:BYTE_0 src1_sel:BYTE_0
	v_and_or_b32 v17, v14, s21, v17
	v_cndmask_b32_e64 v16, v32, v29, s[8:9]
	v_cndmask_b32_e64 v27, v29, v32, s[8:9]
	v_lshrrev_b32_e32 v29, 8, v11
	v_cndmask_b32_e64 v20, v30, v24, s[8:9]
	v_cndmask_b32_e64 v24, v24, v30, s[8:9]
	;; [unrolled: 1-line block ×3, first 2 shown]
	v_perm_b32 v17, v11, v11, s29
	v_cmp_gt_i16_sdwa s[8:9], sext(v29), sext(v11) src0_sel:BYTE_0 src1_sel:BYTE_0
	v_cndmask_b32_e64 v11, v11, v17, s[8:9]
	v_cndmask_b32_e64 v30, v19, v15, s[8:9]
	;; [unrolled: 1-line block ×3, first 2 shown]
	v_lshrrev_b32_e32 v17, 24, v11
	v_lshrrev_b32_e32 v19, 16, v11
	v_cndmask_b32_e64 v29, v10, v22, s[8:9]
	v_cndmask_b32_e64 v10, v22, v10, s[8:9]
	v_perm_b32 v22, v11, v11, s25
	v_cmp_gt_i16_sdwa s[8:9], sext(v17), sext(v19) src0_sel:BYTE_0 src1_sel:BYTE_0
	v_cndmask_b32_e64 v19, v21, v25, s[8:9]
	v_cndmask_b32_e64 v21, v25, v21, s[8:9]
	;; [unrolled: 1-line block ×3, first 2 shown]
	v_lshrrev_b32_e32 v22, 16, v14
	v_lshrrev_b32_e32 v25, 8, v14
	v_cndmask_b32_e64 v17, v18, v28, s[8:9]
	v_cndmask_b32_e64 v18, v28, v18, s[8:9]
	v_perm_b32 v28, v14, v14, s23
	v_cmp_gt_i16_sdwa s[8:9], sext(v22), sext(v25) src0_sel:BYTE_0 src1_sel:BYTE_0
	v_cndmask_b32_e64 v14, v14, v28, s[8:9]
	v_cndmask_b32_e64 v25, v27, v23, s[8:9]
	v_cndmask_b32_e64 v23, v23, v27, s[8:9]
	v_and_b32_sdwa v27, v14, s22 dst_sel:DWORD dst_unused:UNUSED_PAD src0_sel:WORD_1 src1_sel:DWORD
	v_lshlrev_b16_e32 v28, 8, v11
	v_or_b32_sdwa v27, v27, v28 dst_sel:WORD_1 dst_unused:UNUSED_PAD src0_sel:DWORD src1_sel:DWORD
	v_lshrrev_b32_e32 v28, 24, v14
	v_cndmask_b32_e64 v22, v24, v26, s[8:9]
	v_cndmask_b32_e64 v24, v26, v24, s[8:9]
	v_perm_b32 v26, v14, v11, s28
	v_cmp_gt_i16_sdwa s[8:9], sext(v11), sext(v28) src0_sel:BYTE_0 src1_sel:BYTE_0
	v_and_or_b32 v27, v14, s21, v27
	v_cndmask_b32_e64 v11, v11, v26, s[8:9]
	v_cndmask_b32_e64 v14, v14, v27, s[8:9]
	v_lshrrev_b32_e32 v26, 16, v11
	v_lshrrev_b32_e32 v27, 8, v11
	v_cndmask_b32_e64 v28, v20, v30, s[8:9]
	v_cndmask_b32_e64 v32, v16, v29, s[8:9]
	;; [unrolled: 1-line block ×4, first 2 shown]
	v_cmp_gt_i16_sdwa s[8:9], sext(v26), sext(v27) src0_sel:BYTE_0 src1_sel:BYTE_0
	v_perm_b32 v29, v11, v11, s23
	v_cndmask_b32_e64 v26, v15, v19, s[8:9]
	v_cndmask_b32_e64 v27, v10, v17, s[8:9]
	;; [unrolled: 1-line block ×4, first 2 shown]
	v_perm_b32 v17, 0, v14, s24
	v_lshrrev_b32_e32 v19, 8, v14
	v_cndmask_b32_e64 v11, v11, v29, s[8:9]
	v_and_or_b32 v17, v14, s30, v17
	v_cmp_gt_i16_sdwa s[8:9], sext(v19), sext(v14) src0_sel:BYTE_0 src1_sel:BYTE_0
	v_cndmask_b32_e64 v14, v14, v17, s[8:9]
	v_lshrrev_b32_e32 v17, 16, v14
	v_cndmask_b32_e64 v19, v23, v4, s[8:9]
	v_cndmask_b32_e64 v29, v24, v5, s[8:9]
	;; [unrolled: 1-line block ×4, first 2 shown]
	v_perm_b32 v23, 0, v17, s24
	v_lshrrev_b32_e32 v24, 24, v14
	v_lshlrev_b32_e32 v23, 16, v23
	v_cmp_gt_i16_sdwa s[8:9], sext(v24), sext(v17) src0_sel:BYTE_0 src1_sel:BYTE_0
	v_and_or_b32 v23, v14, s21, v23
	v_cndmask_b32_e64 v24, v28, v22, s[8:9]
	v_cndmask_b32_e64 v22, v22, v28, s[8:9]
	v_lshrrev_b32_e32 v28, 8, v11
	v_cndmask_b32_e64 v17, v32, v25, s[8:9]
	v_cndmask_b32_e64 v25, v25, v32, s[8:9]
	;; [unrolled: 1-line block ×3, first 2 shown]
	v_perm_b32 v23, v11, v11, s29
	v_cmp_gt_i16_sdwa s[8:9], sext(v28), sext(v11) src0_sel:BYTE_0 src1_sel:BYTE_0
	v_cndmask_b32_e64 v11, v11, v23, s[8:9]
	v_cndmask_b32_e64 v30, v20, v26, s[8:9]
	;; [unrolled: 1-line block ×3, first 2 shown]
	v_lshrrev_b32_e32 v23, 24, v11
	v_lshrrev_b32_e32 v26, 16, v11
	v_cndmask_b32_e64 v28, v16, v27, s[8:9]
	v_cndmask_b32_e64 v16, v27, v16, s[8:9]
	v_perm_b32 v27, v11, v11, s25
	v_cmp_gt_i16_sdwa s[8:9], sext(v23), sext(v26) src0_sel:BYTE_0 src1_sel:BYTE_0
	v_cndmask_b32_e64 v23, v10, v18, s[8:9]
	v_cndmask_b32_e64 v26, v15, v21, s[8:9]
	;; [unrolled: 1-line block ×5, first 2 shown]
	v_lshrrev_b32_e32 v11, 16, v14
	v_lshrrev_b32_e32 v21, 8, v14
	v_perm_b32 v27, v14, v14, s23
	v_cmp_gt_i16_sdwa s[8:9], sext(v11), sext(v21) src0_sel:BYTE_0 src1_sel:BYTE_0
	v_cndmask_b32_e64 v14, v14, v27, s[8:9]
	v_cndmask_b32_e64 v11, v22, v29, s[8:9]
	;; [unrolled: 1-line block ×3, first 2 shown]
	v_and_b32_sdwa v27, v14, s22 dst_sel:DWORD dst_unused:UNUSED_PAD src0_sel:WORD_1 src1_sel:DWORD
	v_lshlrev_b16_e32 v29, 8, v10
	v_or_b32_sdwa v27, v27, v29 dst_sel:WORD_1 dst_unused:UNUSED_PAD src0_sel:DWORD src1_sel:DWORD
	v_lshrrev_b32_e32 v29, 24, v14
	v_cndmask_b32_e64 v21, v25, v19, s[8:9]
	v_cndmask_b32_e64 v19, v19, v25, s[8:9]
	v_perm_b32 v25, v14, v10, s28
	v_cmp_gt_i16_sdwa s[8:9], sext(v10), sext(v29) src0_sel:BYTE_0 src1_sel:BYTE_0
	v_and_or_b32 v27, v14, s21, v27
	v_cndmask_b32_e64 v10, v10, v25, s[8:9]
	v_cndmask_b32_e64 v14, v14, v27, s[8:9]
	v_lshrrev_b32_e32 v25, 16, v10
	v_lshrrev_b32_e32 v27, 8, v10
	v_cndmask_b32_e64 v29, v24, v30, s[8:9]
	v_cndmask_b32_e64 v32, v17, v28, s[8:9]
	;; [unrolled: 1-line block ×4, first 2 shown]
	v_cmp_gt_i16_sdwa s[8:9], sext(v25), sext(v27) src0_sel:BYTE_0 src1_sel:BYTE_0
	v_perm_b32 v28, v10, v10, s23
	v_cndmask_b32_e64 v25, v20, v26, s[8:9]
	v_cndmask_b32_e64 v27, v16, v23, s[8:9]
	;; [unrolled: 1-line block ×4, first 2 shown]
	v_perm_b32 v20, 0, v14, s24
	v_lshrrev_b32_e32 v26, 8, v14
	v_cndmask_b32_e64 v10, v10, v28, s[8:9]
	v_and_or_b32 v20, v14, s30, v20
	v_cmp_gt_i16_sdwa s[8:9], sext(v26), sext(v14) src0_sel:BYTE_0 src1_sel:BYTE_0
	v_cndmask_b32_e64 v14, v14, v20, s[8:9]
	v_cndmask_b32_e64 v26, v19, v4, s[8:9]
	;; [unrolled: 1-line block ×3, first 2 shown]
	v_lshrrev_b32_e32 v19, 16, v14
	v_perm_b32 v20, 0, v19, s24
	v_cndmask_b32_e64 v28, v22, v5, s[8:9]
	v_cndmask_b32_e64 v5, v5, v22, s[8:9]
	v_lshrrev_b32_e32 v22, 24, v14
	v_lshlrev_b32_e32 v20, 16, v20
	v_and_or_b32 v20, v14, s21, v20
	v_cmp_gt_i16_sdwa s[8:9], sext(v22), sext(v19) src0_sel:BYTE_0 src1_sel:BYTE_0
	v_cndmask_b32_e64 v34, v14, v20, s[8:9]
	v_lshrrev_b32_e32 v14, 8, v10
	v_cndmask_b32_e64 v22, v32, v21, s[8:9]
	v_cndmask_b32_e64 v30, v29, v11, s[8:9]
	v_cndmask_b32_e64 v19, v21, v32, s[8:9]
	v_cndmask_b32_e64 v29, v11, v29, s[8:9]
	v_perm_b32 v11, v10, v10, s29
	v_cmp_gt_i16_sdwa s[8:9], sext(v14), sext(v10) src0_sel:BYTE_0 src1_sel:BYTE_0
	v_cndmask_b32_e64 v14, v10, v11, s[8:9]
	v_lshrrev_b32_e32 v10, 24, v14
	v_lshrrev_b32_e32 v11, 16, v14
	v_cndmask_b32_e64 v35, v17, v27, s[8:9]
	v_cndmask_b32_e64 v36, v24, v25, s[8:9]
	;; [unrolled: 1-line block ×4, first 2 shown]
	v_perm_b32 v17, v14, v14, s25
	v_cmp_gt_i16_sdwa s[8:9], sext(v10), sext(v11) src0_sel:BYTE_0 src1_sel:BYTE_0
	v_cndmask_b32_e64 v11, v23, v15, s[8:9]
	v_cndmask_b32_e64 v33, v15, v23, s[8:9]
	;; [unrolled: 1-line block ×3, first 2 shown]
	v_lshrrev_b32_e32 v14, 16, v34
	v_lshrrev_b32_e32 v15, 8, v34
	v_cndmask_b32_e64 v10, v16, v18, s[8:9]
	v_cndmask_b32_e64 v32, v18, v16, s[8:9]
	v_perm_b32 v18, v34, v34, s23
	v_cmp_gt_i16_sdwa s[8:9], sext(v14), sext(v15) src0_sel:BYTE_0 src1_sel:BYTE_0
	v_cndmask_b32_e64 v16, v19, v26, s[8:9]
	v_cndmask_b32_e64 v14, v26, v19, s[8:9]
	;; [unrolled: 1-line block ×3, first 2 shown]
	v_and_b32_sdwa v18, v26, s22 dst_sel:DWORD dst_unused:UNUSED_PAD src0_sel:WORD_1 src1_sel:DWORD
	v_lshlrev_b16_e32 v19, 8, v23
	v_or_b32_sdwa v18, v18, v19 dst_sel:WORD_1 dst_unused:UNUSED_PAD src0_sel:DWORD src1_sel:DWORD
	v_lshrrev_b32_e32 v19, 24, v26
	v_cndmask_b32_e64 v17, v29, v28, s[8:9]
	v_cndmask_b32_e64 v15, v28, v29, s[8:9]
	v_perm_b32 v27, v26, v23, s28
	v_and_or_b32 v28, v26, s21, v18
	v_cmp_gt_i16_sdwa s[8:9], sext(v23), sext(v19) src0_sel:BYTE_0 src1_sel:BYTE_0
	v_cndmask_b32_e64 v18, v22, v35, s[8:9]
	v_cndmask_b32_e64 v24, v35, v22, s[8:9]
	;; [unrolled: 1-line block ×4, first 2 shown]
	v_lshrrev_b64 v[26:27], 24, v[22:23]
	v_lshrrev_b32_e32 v38, 8, v23
	v_lshrrev_b32_e32 v37, 16, v23
	v_cndmask_b32_e64 v19, v30, v36, s[8:9]
	v_cndmask_b32_e64 v25, v36, v30, s[8:9]
	v_lshrrev_b32_e32 v36, 24, v23
	v_lshrrev_b32_e32 v27, 16, v22
	;; [unrolled: 1-line block ×3, first 2 shown]
	v_cmp_gt_i16_sdwa s[22:23], sext(v37), sext(v38) src0_sel:BYTE_0 src1_sel:BYTE_0
	v_pk_mov_b32 v[28:29], v[10:11], v[10:11] op_sel:[0,1]
	s_and_saveexec_b64 s[8:9], s[22:23]
; %bb.74:
	v_lshrrev_b32_e32 v36, 24, v23
	v_lshrrev_b32_e32 v37, 8, v23
	;; [unrolled: 1-line block ×5, first 2 shown]
	v_pk_mov_b32 v[28:29], v[20:21], v[20:21] op_sel:[0,1]
	v_pk_mov_b32 v[20:21], v[10:11], v[10:11] op_sel:[0,1]
; %bb.75:
	s_or_b64 exec, exec, s[8:9]
.LBB302_76:
	s_or_b64 exec, exec, s[12:13]
	v_and_b32_e32 v11, 0xfffffe00, v31
	v_sub_u32_e64 v31, s20, v11 clamp
	v_or_b32_e32 v39, 8, v1
	v_min_u32_e32 v48, v31, v39
	v_add_u32_e32 v39, 8, v48
	v_and_b32_e32 v50, 0x3f0, v1
	v_min_u32_e32 v49, v31, v39
	v_and_b32_e32 v39, 8, v1
	v_min_u32_e32 v51, v31, v39
	v_sub_u32_e32 v39, v48, v50
	v_sub_u32_e32 v52, v49, v48
	v_lshlrev_b32_e32 v10, 3, v11
	v_sub_u32_e64 v52, v51, v52 clamp
	v_min_u32_e32 v39, v51, v39
	v_add_u32_e32 v34, v11, v1
	v_lshl_add_u32 v35, v1, 3, v10
	v_cmp_lt_u32_e64 s[8:9], v52, v39
	ds_write_b8 v34, v22
	ds_write_b64 v35, v[4:5] offset:2048
	ds_write_b8 v34, v30 offset:1
	ds_write_b64 v35, v[14:15] offset:2056
	ds_write_b8 v34, v27 offset:2
	;; [unrolled: 2-line block ×7, first 2 shown]
	ds_write_b64 v35, v[32:33] offset:2104
	; wave barrier
	s_and_saveexec_b64 s[12:13], s[8:9]
	s_cbranch_execz .LBB302_80
; %bb.77:
	v_add_u32_e32 v53, v11, v50
	v_add3_u32 v54, v11, v48, v51
	s_mov_b64 s[20:21], 0
.LBB302_78:                             ; =>This Inner Loop Header: Depth=1
	v_add_u32_e32 v55, v39, v52
	v_lshrrev_b32_e32 v55, 1, v55
	v_add_u32_e32 v64, v53, v55
	v_xad_u32 v65, v55, -1, v54
	ds_read_i8 v64, v64
	ds_read_i8 v65, v65
	v_add_u32_e32 v66, 1, v55
	s_waitcnt lgkmcnt(0)
	v_cmp_gt_i16_e64 s[8:9], v65, v64
	v_cndmask_b32_e64 v39, v39, v55, s[8:9]
	v_cndmask_b32_e64 v52, v66, v52, s[8:9]
	v_cmp_ge_u32_e64 s[8:9], v52, v39
	s_or_b64 s[20:21], s[8:9], s[20:21]
	s_andn2_b64 exec, exec, s[20:21]
	s_cbranch_execnz .LBB302_78
; %bb.79:
	s_or_b64 exec, exec, s[20:21]
.LBB302_80:
	s_or_b64 exec, exec, s[12:13]
	v_add_u32_e32 v51, v48, v51
	v_add_u32_e32 v50, v52, v50
	v_sub_u32_e32 v51, v51, v52
	v_cmp_le_u32_e64 s[8:9], v50, v48
	v_cmp_le_u32_e64 s[12:13], v51, v49
	v_add_u32_e32 v39, 0x800, v35
	s_or_b64 s[8:9], s[8:9], s[12:13]
	s_and_saveexec_b64 s[38:39], s[8:9]
	s_cbranch_execz .LBB302_86
; %bb.81:
	v_cmp_lt_u32_e64 s[8:9], v50, v48
                                        ; implicit-def: $vgpr22
	s_and_saveexec_b64 s[12:13], s[8:9]
	s_cbranch_execz .LBB302_83
; %bb.82:
	v_add_u32_e32 v4, v11, v50
	ds_read_u8 v22, v4
.LBB302_83:
	s_or_b64 exec, exec, s[12:13]
	v_cmp_ge_u32_e64 s[20:21], v51, v49
	v_cmp_lt_u32_e64 s[12:13], v51, v49
                                        ; implicit-def: $vgpr23
	s_and_saveexec_b64 s[22:23], s[12:13]
	s_cbranch_execz .LBB302_85
; %bb.84:
	v_add_u32_e32 v4, v11, v51
	ds_read_u8 v23, v4
.LBB302_85:
	s_or_b64 exec, exec, s[22:23]
	s_waitcnt lgkmcnt(0)
	v_cmp_le_i16_sdwa s[12:13], sext(v23), sext(v22) src0_sel:BYTE_0 src1_sel:BYTE_0
	s_and_b64 s[8:9], s[8:9], s[12:13]
	s_or_b64 s[8:9], s[20:21], s[8:9]
	v_cndmask_b32_e64 v4, v51, v50, s[8:9]
	v_cndmask_b32_e64 v5, v49, v48, s[8:9]
	v_add_u32_e32 v14, 1, v4
	v_add_u32_e32 v5, -1, v5
	v_min_u32_e32 v5, v14, v5
	v_add_u32_e32 v5, v11, v5
	ds_read_u8 v5, v5
	v_cndmask_b32_e64 v15, v14, v51, s[8:9]
	v_cmp_ge_u32_e64 s[12:13], v15, v49
	v_lshl_add_u32 v4, v4, 3, v10
	s_waitcnt lgkmcnt(0)
	v_cndmask_b32_e64 v26, v5, v23, s[8:9]
	v_cndmask_b32_e64 v27, v22, v5, s[8:9]
	;; [unrolled: 1-line block ×3, first 2 shown]
	v_cmp_lt_u32_e64 s[20:21], v5, v48
	v_cmp_le_i16_sdwa s[22:23], sext(v26), sext(v27) src0_sel:BYTE_0 src1_sel:BYTE_0
	s_and_b64 s[20:21], s[20:21], s[22:23]
	s_or_b64 s[20:21], s[12:13], s[20:21]
	v_cndmask_b32_e64 v14, v15, v5, s[20:21]
	v_cndmask_b32_e64 v16, v49, v48, s[20:21]
	v_add_u32_e32 v17, 1, v14
	v_add_u32_e32 v16, -1, v16
	v_min_u32_e32 v16, v17, v16
	v_add_u32_e32 v16, v11, v16
	ds_read_u8 v16, v16
	v_cndmask_b32_e64 v5, v5, v17, s[20:21]
	v_cndmask_b32_e64 v15, v17, v15, s[20:21]
	v_cmp_lt_u32_e64 s[22:23], v5, v48
	v_cmp_ge_u32_e64 s[12:13], v15, v49
	s_waitcnt lgkmcnt(0)
	v_cndmask_b32_e64 v32, v16, v26, s[20:21]
	v_cndmask_b32_e64 v33, v27, v16, s[20:21]
	v_cmp_le_i16_sdwa s[24:25], sext(v32), sext(v33) src0_sel:BYTE_0 src1_sel:BYTE_0
	s_and_b64 s[22:23], s[22:23], s[24:25]
	s_or_b64 s[22:23], s[12:13], s[22:23]
	v_cndmask_b32_e64 v16, v15, v5, s[22:23]
	v_cndmask_b32_e64 v17, v49, v48, s[22:23]
	v_add_u32_e32 v18, 1, v16
	v_add_u32_e32 v17, -1, v17
	v_min_u32_e32 v17, v18, v17
	v_add_u32_e32 v17, v11, v17
	ds_read_u8 v17, v17
	v_lshl_add_u32 v14, v14, 3, v10
	v_lshl_add_u32 v16, v16, 3, v10
	v_cndmask_b32_e64 v22, v23, v22, s[8:9]
	s_waitcnt lgkmcnt(0)
	v_cndmask_b32_e64 v36, v17, v32, s[22:23]
	v_cndmask_b32_e64 v37, v33, v17, s[22:23]
	;; [unrolled: 1-line block ×4, first 2 shown]
	v_cmp_lt_u32_e64 s[24:25], v18, v48
	v_cmp_le_i16_sdwa s[28:29], sext(v36), sext(v37) src0_sel:BYTE_0 src1_sel:BYTE_0
	v_cmp_ge_u32_e64 s[12:13], v17, v49
	s_and_b64 s[24:25], s[24:25], s[28:29]
	s_or_b64 s[12:13], s[12:13], s[24:25]
	v_cndmask_b32_e64 v19, v17, v18, s[12:13]
	v_cndmask_b32_e64 v5, v49, v48, s[12:13]
	v_add_u32_e32 v20, 1, v19
	v_add_u32_e32 v5, -1, v5
	v_min_u32_e32 v5, v20, v5
	v_add_u32_e32 v5, v11, v5
	ds_read_u8 v21, v5
	ds_read_b64 v[4:5], v4 offset:2048
	ds_read_b64 v[14:15], v14 offset:2048
	s_waitcnt lgkmcnt(2)
	v_cndmask_b32_e64 v38, v21, v36, s[12:13]
	v_cndmask_b32_e64 v50, v37, v21, s[12:13]
	;; [unrolled: 1-line block ×4, first 2 shown]
	v_cmp_lt_u32_e64 s[28:29], v20, v48
	v_cmp_le_i16_sdwa s[30:31], sext(v38), sext(v50) src0_sel:BYTE_0 src1_sel:BYTE_0
	v_cmp_ge_u32_e64 s[24:25], v21, v49
	s_and_b64 s[28:29], s[28:29], s[30:31]
	s_or_b64 s[24:25], s[24:25], s[28:29]
	v_cndmask_b32_e64 v24, v21, v20, s[24:25]
	v_cndmask_b32_e64 v17, v49, v48, s[24:25]
	v_add_u32_e32 v25, 1, v24
	v_add_u32_e32 v17, -1, v17
	v_min_u32_e32 v17, v25, v17
	v_add_u32_e32 v17, v11, v17
	ds_read_u8 v28, v17
	ds_read_b64 v[16:17], v16 offset:2048
	v_cndmask_b32_e64 v29, v20, v25, s[24:25]
	v_cmp_lt_u32_e64 s[30:31], v29, v48
	v_lshl_add_u32 v18, v19, 3, v10
	ds_read_b64 v[18:19], v18 offset:2048
	s_waitcnt lgkmcnt(2)
	v_cndmask_b32_e64 v51, v28, v38, s[24:25]
	v_cndmask_b32_e64 v52, v50, v28, s[24:25]
	;; [unrolled: 1-line block ×3, first 2 shown]
	v_cmp_le_i16_sdwa s[34:35], sext(v51), sext(v52) src0_sel:BYTE_0 src1_sel:BYTE_0
	v_cmp_ge_u32_e64 s[28:29], v28, v49
	s_and_b64 s[30:31], s[30:31], s[34:35]
	s_or_b64 s[28:29], s[28:29], s[30:31]
	v_cndmask_b32_e64 v20, v28, v29, s[28:29]
	v_cndmask_b32_e64 v21, v49, v48, s[28:29]
	v_add_u32_e32 v30, 1, v20
	v_add_u32_e32 v21, -1, v21
	v_min_u32_e32 v21, v30, v21
	v_add_u32_e32 v21, v11, v21
	ds_read_u8 v53, v21
	v_cndmask_b32_e64 v64, v29, v30, s[28:29]
	v_cndmask_b32_e64 v55, v30, v28, s[28:29]
	v_cmp_lt_u32_e64 s[34:35], v64, v48
	v_cmp_ge_u32_e64 s[30:31], v55, v49
	s_waitcnt lgkmcnt(0)
	v_cndmask_b32_e64 v54, v53, v51, s[28:29]
	v_cndmask_b32_e64 v53, v52, v53, s[28:29]
	v_cmp_le_i16_sdwa s[40:41], sext(v54), sext(v53) src0_sel:BYTE_0 src1_sel:BYTE_0
	s_and_b64 s[34:35], s[34:35], s[40:41]
	s_or_b64 s[30:31], s[30:31], s[34:35]
	v_cndmask_b32_e64 v28, v55, v64, s[30:31]
	v_cndmask_b32_e64 v29, v49, v48, s[30:31]
	v_lshl_add_u32 v30, v28, 3, v10
	v_add_u32_e32 v65, 1, v28
	v_add_u32_e32 v28, -1, v29
	v_min_u32_e32 v28, v65, v28
	v_lshl_add_u32 v21, v24, 3, v10
	v_lshl_add_u32 v20, v20, 3, v10
	v_add_u32_e32 v66, v11, v28
	ds_read_b64 v[24:25], v21 offset:2048
	ds_read_b64 v[20:21], v20 offset:2048
	;; [unrolled: 1-line block ×3, first 2 shown]
	ds_read_u8 v66, v66
	v_cndmask_b32_e64 v30, v26, v27, s[20:21]
	v_cndmask_b32_e64 v27, v32, v33, s[22:23]
	;; [unrolled: 1-line block ×4, first 2 shown]
	s_waitcnt lgkmcnt(0)
	v_cndmask_b32_e64 v36, v66, v54, s[30:31]
	v_cndmask_b32_e64 v66, v53, v66, s[30:31]
	;; [unrolled: 1-line block ×3, first 2 shown]
	v_cmp_lt_u32_e64 s[12:13], v32, v48
	v_cmp_le_i16_sdwa s[20:21], sext(v36), sext(v66) src0_sel:BYTE_0 src1_sel:BYTE_0
	v_cmp_ge_u32_e64 s[8:9], v23, v49
	s_and_b64 s[12:13], s[12:13], s[20:21]
	s_or_b64 s[8:9], s[8:9], s[12:13]
	v_cndmask_b32_e64 v23, v23, v32, s[8:9]
	v_lshl_add_u32 v23, v23, 3, v10
	ds_read_b64 v[32:33], v23 offset:2048
	v_cndmask_b32_e64 v23, v38, v50, s[24:25]
	v_cndmask_b32_e64 v38, v51, v52, s[28:29]
	;; [unrolled: 1-line block ×4, first 2 shown]
.LBB302_86:
	s_or_b64 exec, exec, s[38:39]
	v_and_b32_e32 v50, 0x3e0, v1
	v_or_b32_e32 v48, 16, v50
	v_min_u32_e32 v48, v31, v48
	v_add_u32_e32 v49, 16, v48
	v_min_u32_e32 v49, v31, v49
	v_and_b32_e32 v51, 24, v1
	v_min_u32_e32 v51, v31, v51
	v_sub_u32_e32 v53, v48, v50
	v_sub_u32_e32 v52, v49, v48
	v_sub_u32_e64 v52, v51, v52 clamp
	v_min_u32_e32 v53, v51, v53
	v_cmp_lt_u32_e64 s[8:9], v52, v53
	; wave barrier
	ds_write_b8 v34, v22
	ds_write_b64 v35, v[4:5] offset:2048
	ds_write_b8 v34, v30 offset:1
	ds_write_b64 v39, v[14:15] offset:8
	ds_write_b8 v34, v27 offset:2
	;; [unrolled: 2-line block ×7, first 2 shown]
	s_waitcnt lgkmcnt(14)
	ds_write_b64 v39, v[32:33] offset:56
	; wave barrier
	s_and_saveexec_b64 s[12:13], s[8:9]
	s_cbranch_execz .LBB302_90
; %bb.87:
	v_add_u32_e32 v54, v11, v50
	v_add3_u32 v55, v11, v48, v51
	s_mov_b64 s[20:21], 0
.LBB302_88:                             ; =>This Inner Loop Header: Depth=1
	v_add_u32_e32 v64, v53, v52
	v_lshrrev_b32_e32 v64, 1, v64
	v_add_u32_e32 v65, v54, v64
	v_xad_u32 v66, v64, -1, v55
	ds_read_i8 v65, v65
	ds_read_i8 v66, v66
	v_add_u32_e32 v67, 1, v64
	s_waitcnt lgkmcnt(0)
	v_cmp_gt_i16_e64 s[8:9], v66, v65
	v_cndmask_b32_e64 v53, v53, v64, s[8:9]
	v_cndmask_b32_e64 v52, v67, v52, s[8:9]
	v_cmp_ge_u32_e64 s[8:9], v52, v53
	s_or_b64 s[20:21], s[8:9], s[20:21]
	s_andn2_b64 exec, exec, s[20:21]
	s_cbranch_execnz .LBB302_88
; %bb.89:
	s_or_b64 exec, exec, s[20:21]
.LBB302_90:
	s_or_b64 exec, exec, s[12:13]
	v_add_u32_e32 v51, v48, v51
	v_add_u32_e32 v50, v52, v50
	v_sub_u32_e32 v51, v51, v52
	v_cmp_le_u32_e64 s[8:9], v50, v48
	v_cmp_le_u32_e64 s[12:13], v51, v49
	s_or_b64 s[8:9], s[8:9], s[12:13]
	s_and_saveexec_b64 s[38:39], s[8:9]
	s_cbranch_execz .LBB302_96
; %bb.91:
	v_cmp_lt_u32_e64 s[8:9], v50, v48
                                        ; implicit-def: $vgpr22
	s_and_saveexec_b64 s[12:13], s[8:9]
	s_cbranch_execz .LBB302_93
; %bb.92:
	v_add_u32_e32 v4, v11, v50
	ds_read_u8 v22, v4
.LBB302_93:
	s_or_b64 exec, exec, s[12:13]
	v_cmp_ge_u32_e64 s[20:21], v51, v49
	v_cmp_lt_u32_e64 s[12:13], v51, v49
                                        ; implicit-def: $vgpr23
	s_and_saveexec_b64 s[22:23], s[12:13]
	s_cbranch_execz .LBB302_95
; %bb.94:
	v_add_u32_e32 v4, v11, v51
	ds_read_u8 v23, v4
.LBB302_95:
	s_or_b64 exec, exec, s[22:23]
	s_waitcnt lgkmcnt(0)
	v_cmp_le_i16_sdwa s[12:13], sext(v23), sext(v22) src0_sel:BYTE_0 src1_sel:BYTE_0
	s_and_b64 s[8:9], s[8:9], s[12:13]
	s_or_b64 s[8:9], s[20:21], s[8:9]
	v_cndmask_b32_e64 v4, v51, v50, s[8:9]
	v_cndmask_b32_e64 v5, v49, v48, s[8:9]
	v_add_u32_e32 v14, 1, v4
	v_add_u32_e32 v5, -1, v5
	v_min_u32_e32 v5, v14, v5
	v_add_u32_e32 v5, v11, v5
	ds_read_u8 v5, v5
	v_cndmask_b32_e64 v15, v14, v51, s[8:9]
	v_cmp_ge_u32_e64 s[12:13], v15, v49
	v_lshl_add_u32 v4, v4, 3, v10
	s_waitcnt lgkmcnt(0)
	v_cndmask_b32_e64 v26, v5, v23, s[8:9]
	v_cndmask_b32_e64 v27, v22, v5, s[8:9]
	;; [unrolled: 1-line block ×3, first 2 shown]
	v_cmp_lt_u32_e64 s[20:21], v5, v48
	v_cmp_le_i16_sdwa s[22:23], sext(v26), sext(v27) src0_sel:BYTE_0 src1_sel:BYTE_0
	s_and_b64 s[20:21], s[20:21], s[22:23]
	s_or_b64 s[20:21], s[12:13], s[20:21]
	v_cndmask_b32_e64 v14, v15, v5, s[20:21]
	v_cndmask_b32_e64 v16, v49, v48, s[20:21]
	v_add_u32_e32 v17, 1, v14
	v_add_u32_e32 v16, -1, v16
	v_min_u32_e32 v16, v17, v16
	v_add_u32_e32 v16, v11, v16
	ds_read_u8 v16, v16
	v_cndmask_b32_e64 v5, v5, v17, s[20:21]
	v_cndmask_b32_e64 v15, v17, v15, s[20:21]
	v_cmp_lt_u32_e64 s[22:23], v5, v48
	v_cmp_ge_u32_e64 s[12:13], v15, v49
	s_waitcnt lgkmcnt(0)
	v_cndmask_b32_e64 v32, v16, v26, s[20:21]
	v_cndmask_b32_e64 v33, v27, v16, s[20:21]
	v_cmp_le_i16_sdwa s[24:25], sext(v32), sext(v33) src0_sel:BYTE_0 src1_sel:BYTE_0
	s_and_b64 s[22:23], s[22:23], s[24:25]
	s_or_b64 s[22:23], s[12:13], s[22:23]
	v_cndmask_b32_e64 v16, v15, v5, s[22:23]
	v_cndmask_b32_e64 v17, v49, v48, s[22:23]
	v_add_u32_e32 v18, 1, v16
	v_add_u32_e32 v17, -1, v17
	v_min_u32_e32 v17, v18, v17
	v_add_u32_e32 v17, v11, v17
	ds_read_u8 v17, v17
	v_lshl_add_u32 v14, v14, 3, v10
	v_lshl_add_u32 v16, v16, 3, v10
	v_cndmask_b32_e64 v22, v23, v22, s[8:9]
	s_waitcnt lgkmcnt(0)
	v_cndmask_b32_e64 v36, v17, v32, s[22:23]
	v_cndmask_b32_e64 v37, v33, v17, s[22:23]
	;; [unrolled: 1-line block ×4, first 2 shown]
	v_cmp_lt_u32_e64 s[24:25], v18, v48
	v_cmp_le_i16_sdwa s[28:29], sext(v36), sext(v37) src0_sel:BYTE_0 src1_sel:BYTE_0
	v_cmp_ge_u32_e64 s[12:13], v17, v49
	s_and_b64 s[24:25], s[24:25], s[28:29]
	s_or_b64 s[12:13], s[12:13], s[24:25]
	v_cndmask_b32_e64 v19, v17, v18, s[12:13]
	v_cndmask_b32_e64 v5, v49, v48, s[12:13]
	v_add_u32_e32 v20, 1, v19
	v_add_u32_e32 v5, -1, v5
	v_min_u32_e32 v5, v20, v5
	v_add_u32_e32 v5, v11, v5
	ds_read_u8 v21, v5
	ds_read_b64 v[4:5], v4 offset:2048
	ds_read_b64 v[14:15], v14 offset:2048
	s_waitcnt lgkmcnt(2)
	v_cndmask_b32_e64 v38, v21, v36, s[12:13]
	v_cndmask_b32_e64 v50, v37, v21, s[12:13]
	;; [unrolled: 1-line block ×4, first 2 shown]
	v_cmp_lt_u32_e64 s[28:29], v20, v48
	v_cmp_le_i16_sdwa s[30:31], sext(v38), sext(v50) src0_sel:BYTE_0 src1_sel:BYTE_0
	v_cmp_ge_u32_e64 s[24:25], v21, v49
	s_and_b64 s[28:29], s[28:29], s[30:31]
	s_or_b64 s[24:25], s[24:25], s[28:29]
	v_cndmask_b32_e64 v24, v21, v20, s[24:25]
	v_cndmask_b32_e64 v17, v49, v48, s[24:25]
	v_add_u32_e32 v25, 1, v24
	v_add_u32_e32 v17, -1, v17
	v_min_u32_e32 v17, v25, v17
	v_add_u32_e32 v17, v11, v17
	ds_read_u8 v28, v17
	ds_read_b64 v[16:17], v16 offset:2048
	v_cndmask_b32_e64 v29, v20, v25, s[24:25]
	v_cmp_lt_u32_e64 s[30:31], v29, v48
	v_lshl_add_u32 v18, v19, 3, v10
	ds_read_b64 v[18:19], v18 offset:2048
	s_waitcnt lgkmcnt(2)
	v_cndmask_b32_e64 v51, v28, v38, s[24:25]
	v_cndmask_b32_e64 v52, v50, v28, s[24:25]
	;; [unrolled: 1-line block ×3, first 2 shown]
	v_cmp_le_i16_sdwa s[34:35], sext(v51), sext(v52) src0_sel:BYTE_0 src1_sel:BYTE_0
	v_cmp_ge_u32_e64 s[28:29], v28, v49
	s_and_b64 s[30:31], s[30:31], s[34:35]
	s_or_b64 s[28:29], s[28:29], s[30:31]
	v_cndmask_b32_e64 v20, v28, v29, s[28:29]
	v_cndmask_b32_e64 v21, v49, v48, s[28:29]
	v_add_u32_e32 v30, 1, v20
	v_add_u32_e32 v21, -1, v21
	v_min_u32_e32 v21, v30, v21
	v_add_u32_e32 v21, v11, v21
	ds_read_u8 v53, v21
	v_cndmask_b32_e64 v64, v29, v30, s[28:29]
	v_cndmask_b32_e64 v55, v30, v28, s[28:29]
	v_cmp_lt_u32_e64 s[34:35], v64, v48
	v_cmp_ge_u32_e64 s[30:31], v55, v49
	s_waitcnt lgkmcnt(0)
	v_cndmask_b32_e64 v54, v53, v51, s[28:29]
	v_cndmask_b32_e64 v53, v52, v53, s[28:29]
	v_cmp_le_i16_sdwa s[40:41], sext(v54), sext(v53) src0_sel:BYTE_0 src1_sel:BYTE_0
	s_and_b64 s[34:35], s[34:35], s[40:41]
	s_or_b64 s[30:31], s[30:31], s[34:35]
	v_cndmask_b32_e64 v28, v55, v64, s[30:31]
	v_cndmask_b32_e64 v29, v49, v48, s[30:31]
	v_lshl_add_u32 v30, v28, 3, v10
	v_add_u32_e32 v65, 1, v28
	v_add_u32_e32 v28, -1, v29
	v_min_u32_e32 v28, v65, v28
	v_lshl_add_u32 v21, v24, 3, v10
	v_lshl_add_u32 v20, v20, 3, v10
	v_add_u32_e32 v66, v11, v28
	ds_read_b64 v[24:25], v21 offset:2048
	ds_read_b64 v[20:21], v20 offset:2048
	;; [unrolled: 1-line block ×3, first 2 shown]
	ds_read_u8 v66, v66
	v_cndmask_b32_e64 v30, v26, v27, s[20:21]
	v_cndmask_b32_e64 v27, v32, v33, s[22:23]
	;; [unrolled: 1-line block ×4, first 2 shown]
	s_waitcnt lgkmcnt(0)
	v_cndmask_b32_e64 v36, v66, v54, s[30:31]
	v_cndmask_b32_e64 v66, v53, v66, s[30:31]
	;; [unrolled: 1-line block ×3, first 2 shown]
	v_cmp_lt_u32_e64 s[12:13], v32, v48
	v_cmp_le_i16_sdwa s[20:21], sext(v36), sext(v66) src0_sel:BYTE_0 src1_sel:BYTE_0
	v_cmp_ge_u32_e64 s[8:9], v23, v49
	s_and_b64 s[12:13], s[12:13], s[20:21]
	s_or_b64 s[8:9], s[8:9], s[12:13]
	v_cndmask_b32_e64 v23, v23, v32, s[8:9]
	v_lshl_add_u32 v23, v23, 3, v10
	ds_read_b64 v[32:33], v23 offset:2048
	v_cndmask_b32_e64 v23, v38, v50, s[24:25]
	v_cndmask_b32_e64 v38, v51, v52, s[28:29]
	;; [unrolled: 1-line block ×4, first 2 shown]
.LBB302_96:
	s_or_b64 exec, exec, s[38:39]
	v_and_b32_e32 v50, 0x3c0, v1
	v_or_b32_e32 v48, 32, v50
	v_min_u32_e32 v48, v31, v48
	v_add_u32_e32 v49, 32, v48
	v_min_u32_e32 v49, v31, v49
	v_and_b32_e32 v51, 56, v1
	v_min_u32_e32 v51, v31, v51
	v_sub_u32_e32 v53, v48, v50
	v_sub_u32_e32 v52, v49, v48
	v_sub_u32_e64 v52, v51, v52 clamp
	v_min_u32_e32 v53, v51, v53
	v_cmp_lt_u32_e64 s[8:9], v52, v53
	; wave barrier
	ds_write_b8 v34, v22
	ds_write_b64 v35, v[4:5] offset:2048
	ds_write_b8 v34, v30 offset:1
	ds_write_b64 v39, v[14:15] offset:8
	ds_write_b8 v34, v27 offset:2
	ds_write_b64 v39, v[16:17] offset:16
	ds_write_b8 v34, v26 offset:3
	ds_write_b64 v39, v[18:19] offset:24
	ds_write_b8 v34, v23 offset:4
	ds_write_b64 v39, v[24:25] offset:32
	ds_write_b8 v34, v38 offset:5
	ds_write_b64 v39, v[20:21] offset:40
	ds_write_b8 v34, v37 offset:6
	ds_write_b64 v39, v[28:29] offset:48
	ds_write_b8 v34, v36 offset:7
	s_waitcnt lgkmcnt(14)
	ds_write_b64 v39, v[32:33] offset:56
	; wave barrier
	s_and_saveexec_b64 s[12:13], s[8:9]
	s_cbranch_execz .LBB302_100
; %bb.97:
	v_add_u32_e32 v54, v11, v50
	v_add3_u32 v55, v11, v48, v51
	s_mov_b64 s[20:21], 0
.LBB302_98:                             ; =>This Inner Loop Header: Depth=1
	v_add_u32_e32 v64, v53, v52
	v_lshrrev_b32_e32 v64, 1, v64
	v_add_u32_e32 v65, v54, v64
	v_xad_u32 v66, v64, -1, v55
	ds_read_i8 v65, v65
	ds_read_i8 v66, v66
	v_add_u32_e32 v67, 1, v64
	s_waitcnt lgkmcnt(0)
	v_cmp_gt_i16_e64 s[8:9], v66, v65
	v_cndmask_b32_e64 v53, v53, v64, s[8:9]
	v_cndmask_b32_e64 v52, v67, v52, s[8:9]
	v_cmp_ge_u32_e64 s[8:9], v52, v53
	s_or_b64 s[20:21], s[8:9], s[20:21]
	s_andn2_b64 exec, exec, s[20:21]
	s_cbranch_execnz .LBB302_98
; %bb.99:
	s_or_b64 exec, exec, s[20:21]
.LBB302_100:
	s_or_b64 exec, exec, s[12:13]
	v_add_u32_e32 v51, v48, v51
	v_add_u32_e32 v50, v52, v50
	v_sub_u32_e32 v51, v51, v52
	v_cmp_le_u32_e64 s[8:9], v50, v48
	v_cmp_le_u32_e64 s[12:13], v51, v49
	s_or_b64 s[8:9], s[8:9], s[12:13]
	s_and_saveexec_b64 s[38:39], s[8:9]
	s_cbranch_execz .LBB302_106
; %bb.101:
	v_cmp_lt_u32_e64 s[8:9], v50, v48
                                        ; implicit-def: $vgpr22
	s_and_saveexec_b64 s[12:13], s[8:9]
	s_cbranch_execz .LBB302_103
; %bb.102:
	v_add_u32_e32 v4, v11, v50
	ds_read_u8 v22, v4
.LBB302_103:
	s_or_b64 exec, exec, s[12:13]
	v_cmp_ge_u32_e64 s[20:21], v51, v49
	v_cmp_lt_u32_e64 s[12:13], v51, v49
                                        ; implicit-def: $vgpr23
	s_and_saveexec_b64 s[22:23], s[12:13]
	s_cbranch_execz .LBB302_105
; %bb.104:
	v_add_u32_e32 v4, v11, v51
	ds_read_u8 v23, v4
.LBB302_105:
	s_or_b64 exec, exec, s[22:23]
	s_waitcnt lgkmcnt(0)
	v_cmp_le_i16_sdwa s[12:13], sext(v23), sext(v22) src0_sel:BYTE_0 src1_sel:BYTE_0
	s_and_b64 s[8:9], s[8:9], s[12:13]
	s_or_b64 s[8:9], s[20:21], s[8:9]
	v_cndmask_b32_e64 v4, v51, v50, s[8:9]
	v_cndmask_b32_e64 v5, v49, v48, s[8:9]
	v_add_u32_e32 v14, 1, v4
	v_add_u32_e32 v5, -1, v5
	v_min_u32_e32 v5, v14, v5
	v_add_u32_e32 v5, v11, v5
	ds_read_u8 v5, v5
	v_cndmask_b32_e64 v15, v14, v51, s[8:9]
	v_cmp_ge_u32_e64 s[12:13], v15, v49
	v_lshl_add_u32 v4, v4, 3, v10
	s_waitcnt lgkmcnt(0)
	v_cndmask_b32_e64 v26, v5, v23, s[8:9]
	v_cndmask_b32_e64 v27, v22, v5, s[8:9]
	v_cndmask_b32_e64 v5, v50, v14, s[8:9]
	v_cmp_lt_u32_e64 s[20:21], v5, v48
	v_cmp_le_i16_sdwa s[22:23], sext(v26), sext(v27) src0_sel:BYTE_0 src1_sel:BYTE_0
	s_and_b64 s[20:21], s[20:21], s[22:23]
	s_or_b64 s[20:21], s[12:13], s[20:21]
	v_cndmask_b32_e64 v14, v15, v5, s[20:21]
	v_cndmask_b32_e64 v16, v49, v48, s[20:21]
	v_add_u32_e32 v17, 1, v14
	v_add_u32_e32 v16, -1, v16
	v_min_u32_e32 v16, v17, v16
	v_add_u32_e32 v16, v11, v16
	ds_read_u8 v16, v16
	v_cndmask_b32_e64 v5, v5, v17, s[20:21]
	v_cndmask_b32_e64 v15, v17, v15, s[20:21]
	v_cmp_lt_u32_e64 s[22:23], v5, v48
	v_cmp_ge_u32_e64 s[12:13], v15, v49
	s_waitcnt lgkmcnt(0)
	v_cndmask_b32_e64 v32, v16, v26, s[20:21]
	v_cndmask_b32_e64 v33, v27, v16, s[20:21]
	v_cmp_le_i16_sdwa s[24:25], sext(v32), sext(v33) src0_sel:BYTE_0 src1_sel:BYTE_0
	s_and_b64 s[22:23], s[22:23], s[24:25]
	s_or_b64 s[22:23], s[12:13], s[22:23]
	v_cndmask_b32_e64 v16, v15, v5, s[22:23]
	v_cndmask_b32_e64 v17, v49, v48, s[22:23]
	v_add_u32_e32 v18, 1, v16
	v_add_u32_e32 v17, -1, v17
	v_min_u32_e32 v17, v18, v17
	v_add_u32_e32 v17, v11, v17
	ds_read_u8 v17, v17
	v_lshl_add_u32 v14, v14, 3, v10
	v_lshl_add_u32 v16, v16, 3, v10
	v_cndmask_b32_e64 v22, v23, v22, s[8:9]
	s_waitcnt lgkmcnt(0)
	v_cndmask_b32_e64 v36, v17, v32, s[22:23]
	v_cndmask_b32_e64 v37, v33, v17, s[22:23]
	;; [unrolled: 1-line block ×4, first 2 shown]
	v_cmp_lt_u32_e64 s[24:25], v18, v48
	v_cmp_le_i16_sdwa s[28:29], sext(v36), sext(v37) src0_sel:BYTE_0 src1_sel:BYTE_0
	v_cmp_ge_u32_e64 s[12:13], v17, v49
	s_and_b64 s[24:25], s[24:25], s[28:29]
	s_or_b64 s[12:13], s[12:13], s[24:25]
	v_cndmask_b32_e64 v19, v17, v18, s[12:13]
	v_cndmask_b32_e64 v5, v49, v48, s[12:13]
	v_add_u32_e32 v20, 1, v19
	v_add_u32_e32 v5, -1, v5
	v_min_u32_e32 v5, v20, v5
	v_add_u32_e32 v5, v11, v5
	ds_read_u8 v21, v5
	ds_read_b64 v[4:5], v4 offset:2048
	ds_read_b64 v[14:15], v14 offset:2048
	s_waitcnt lgkmcnt(2)
	v_cndmask_b32_e64 v38, v21, v36, s[12:13]
	v_cndmask_b32_e64 v50, v37, v21, s[12:13]
	;; [unrolled: 1-line block ×4, first 2 shown]
	v_cmp_lt_u32_e64 s[28:29], v20, v48
	v_cmp_le_i16_sdwa s[30:31], sext(v38), sext(v50) src0_sel:BYTE_0 src1_sel:BYTE_0
	v_cmp_ge_u32_e64 s[24:25], v21, v49
	s_and_b64 s[28:29], s[28:29], s[30:31]
	s_or_b64 s[24:25], s[24:25], s[28:29]
	v_cndmask_b32_e64 v24, v21, v20, s[24:25]
	v_cndmask_b32_e64 v17, v49, v48, s[24:25]
	v_add_u32_e32 v25, 1, v24
	v_add_u32_e32 v17, -1, v17
	v_min_u32_e32 v17, v25, v17
	v_add_u32_e32 v17, v11, v17
	ds_read_u8 v28, v17
	ds_read_b64 v[16:17], v16 offset:2048
	v_cndmask_b32_e64 v29, v20, v25, s[24:25]
	v_cmp_lt_u32_e64 s[30:31], v29, v48
	v_lshl_add_u32 v18, v19, 3, v10
	ds_read_b64 v[18:19], v18 offset:2048
	s_waitcnt lgkmcnt(2)
	v_cndmask_b32_e64 v51, v28, v38, s[24:25]
	v_cndmask_b32_e64 v52, v50, v28, s[24:25]
	v_cndmask_b32_e64 v28, v25, v21, s[24:25]
	v_cmp_le_i16_sdwa s[34:35], sext(v51), sext(v52) src0_sel:BYTE_0 src1_sel:BYTE_0
	v_cmp_ge_u32_e64 s[28:29], v28, v49
	s_and_b64 s[30:31], s[30:31], s[34:35]
	s_or_b64 s[28:29], s[28:29], s[30:31]
	v_cndmask_b32_e64 v20, v28, v29, s[28:29]
	v_cndmask_b32_e64 v21, v49, v48, s[28:29]
	v_add_u32_e32 v30, 1, v20
	v_add_u32_e32 v21, -1, v21
	v_min_u32_e32 v21, v30, v21
	v_add_u32_e32 v21, v11, v21
	ds_read_u8 v53, v21
	v_cndmask_b32_e64 v64, v29, v30, s[28:29]
	v_cndmask_b32_e64 v55, v30, v28, s[28:29]
	v_cmp_lt_u32_e64 s[34:35], v64, v48
	v_cmp_ge_u32_e64 s[30:31], v55, v49
	s_waitcnt lgkmcnt(0)
	v_cndmask_b32_e64 v54, v53, v51, s[28:29]
	v_cndmask_b32_e64 v53, v52, v53, s[28:29]
	v_cmp_le_i16_sdwa s[40:41], sext(v54), sext(v53) src0_sel:BYTE_0 src1_sel:BYTE_0
	s_and_b64 s[34:35], s[34:35], s[40:41]
	s_or_b64 s[30:31], s[30:31], s[34:35]
	v_cndmask_b32_e64 v28, v55, v64, s[30:31]
	v_cndmask_b32_e64 v29, v49, v48, s[30:31]
	v_lshl_add_u32 v30, v28, 3, v10
	v_add_u32_e32 v65, 1, v28
	v_add_u32_e32 v28, -1, v29
	v_min_u32_e32 v28, v65, v28
	v_lshl_add_u32 v21, v24, 3, v10
	v_lshl_add_u32 v20, v20, 3, v10
	v_add_u32_e32 v66, v11, v28
	ds_read_b64 v[24:25], v21 offset:2048
	ds_read_b64 v[20:21], v20 offset:2048
	;; [unrolled: 1-line block ×3, first 2 shown]
	ds_read_u8 v66, v66
	v_cndmask_b32_e64 v30, v26, v27, s[20:21]
	v_cndmask_b32_e64 v27, v32, v33, s[22:23]
	;; [unrolled: 1-line block ×4, first 2 shown]
	s_waitcnt lgkmcnt(0)
	v_cndmask_b32_e64 v36, v66, v54, s[30:31]
	v_cndmask_b32_e64 v66, v53, v66, s[30:31]
	;; [unrolled: 1-line block ×3, first 2 shown]
	v_cmp_lt_u32_e64 s[12:13], v32, v48
	v_cmp_le_i16_sdwa s[20:21], sext(v36), sext(v66) src0_sel:BYTE_0 src1_sel:BYTE_0
	v_cmp_ge_u32_e64 s[8:9], v23, v49
	s_and_b64 s[12:13], s[12:13], s[20:21]
	s_or_b64 s[8:9], s[8:9], s[12:13]
	v_cndmask_b32_e64 v23, v23, v32, s[8:9]
	v_lshl_add_u32 v23, v23, 3, v10
	ds_read_b64 v[32:33], v23 offset:2048
	v_cndmask_b32_e64 v23, v38, v50, s[24:25]
	v_cndmask_b32_e64 v38, v51, v52, s[28:29]
	;; [unrolled: 1-line block ×4, first 2 shown]
.LBB302_106:
	s_or_b64 exec, exec, s[38:39]
	; wave barrier
	ds_write_b8 v34, v22
	ds_write_b64 v35, v[4:5] offset:2048
	ds_write_b8 v34, v30 offset:1
	ds_write_b64 v39, v[14:15] offset:8
	ds_write_b8 v34, v27 offset:2
	ds_write_b64 v39, v[16:17] offset:16
	ds_write_b8 v34, v26 offset:3
	ds_write_b64 v39, v[18:19] offset:24
	ds_write_b8 v34, v23 offset:4
	ds_write_b64 v39, v[24:25] offset:32
	ds_write_b8 v34, v38 offset:5
	ds_write_b64 v39, v[20:21] offset:40
	ds_write_b8 v34, v37 offset:6
	ds_write_b64 v39, v[28:29] offset:48
	ds_write_b8 v34, v36 offset:7
	s_waitcnt lgkmcnt(14)
	ds_write_b64 v39, v[32:33] offset:56
	v_and_b32_e32 v35, 0x380, v1
	v_or_b32_e32 v1, 64, v35
	v_min_u32_e32 v1, v31, v1
	v_add_u32_e32 v34, 64, v1
	v_min_u32_e32 v34, v31, v34
	v_min_u32_e32 v39, v31, v0
	v_sub_u32_e32 v31, v1, v35
	v_sub_u32_e32 v48, v34, v1
	v_sub_u32_e64 v48, v39, v48 clamp
	v_min_u32_e32 v31, v39, v31
	v_cmp_lt_u32_e64 s[8:9], v48, v31
	; wave barrier
	s_and_saveexec_b64 s[12:13], s[8:9]
	s_cbranch_execz .LBB302_110
; %bb.107:
	v_add_u32_e32 v49, v11, v35
	v_add3_u32 v50, v11, v1, v39
	s_mov_b64 s[20:21], 0
.LBB302_108:                            ; =>This Inner Loop Header: Depth=1
	v_add_u32_e32 v51, v31, v48
	v_lshrrev_b32_e32 v51, 1, v51
	v_add_u32_e32 v52, v49, v51
	v_xad_u32 v53, v51, -1, v50
	ds_read_i8 v52, v52
	ds_read_i8 v53, v53
	v_add_u32_e32 v54, 1, v51
	s_waitcnt lgkmcnt(0)
	v_cmp_gt_i16_e64 s[8:9], v53, v52
	v_cndmask_b32_e64 v31, v31, v51, s[8:9]
	v_cndmask_b32_e64 v48, v54, v48, s[8:9]
	v_cmp_ge_u32_e64 s[8:9], v48, v31
	s_or_b64 s[20:21], s[8:9], s[20:21]
	s_andn2_b64 exec, exec, s[20:21]
	s_cbranch_execnz .LBB302_108
; %bb.109:
	s_or_b64 exec, exec, s[20:21]
.LBB302_110:
	s_or_b64 exec, exec, s[12:13]
	v_add_u32_e32 v31, v48, v35
	v_add_u32_e32 v35, v1, v39
	v_sub_u32_e32 v35, v35, v48
	v_cmp_le_u32_e64 s[8:9], v31, v1
	v_cmp_le_u32_e64 s[12:13], v35, v34
	s_or_b64 s[8:9], s[8:9], s[12:13]
	s_and_saveexec_b64 s[38:39], s[8:9]
	s_cbranch_execz .LBB302_116
; %bb.111:
	v_cmp_lt_u32_e64 s[8:9], v31, v1
                                        ; implicit-def: $vgpr22
	s_and_saveexec_b64 s[12:13], s[8:9]
	s_cbranch_execz .LBB302_113
; %bb.112:
	v_add_u32_e32 v4, v11, v31
	ds_read_u8 v22, v4
.LBB302_113:
	s_or_b64 exec, exec, s[12:13]
	v_cmp_ge_u32_e64 s[20:21], v35, v34
	v_cmp_lt_u32_e64 s[12:13], v35, v34
                                        ; implicit-def: $vgpr23
	s_and_saveexec_b64 s[22:23], s[12:13]
	s_cbranch_execz .LBB302_115
; %bb.114:
	v_add_u32_e32 v4, v11, v35
	ds_read_u8 v23, v4
.LBB302_115:
	s_or_b64 exec, exec, s[22:23]
	s_waitcnt lgkmcnt(0)
	v_cmp_le_i16_sdwa s[12:13], sext(v23), sext(v22) src0_sel:BYTE_0 src1_sel:BYTE_0
	s_and_b64 s[8:9], s[8:9], s[12:13]
	s_or_b64 s[8:9], s[20:21], s[8:9]
	v_cndmask_b32_e64 v4, v35, v31, s[8:9]
	v_cndmask_b32_e64 v5, v34, v1, s[8:9]
	v_add_u32_e32 v14, 1, v4
	v_add_u32_e32 v5, -1, v5
	v_min_u32_e32 v5, v14, v5
	v_add_u32_e32 v5, v11, v5
	ds_read_u8 v5, v5
	v_cndmask_b32_e64 v15, v14, v35, s[8:9]
	v_cmp_ge_u32_e64 s[12:13], v15, v34
	v_lshl_add_u32 v4, v4, 3, v10
	s_waitcnt lgkmcnt(0)
	v_cndmask_b32_e64 v26, v5, v23, s[8:9]
	v_cndmask_b32_e64 v27, v22, v5, s[8:9]
	;; [unrolled: 1-line block ×3, first 2 shown]
	v_cmp_lt_u32_e64 s[20:21], v5, v1
	v_cmp_le_i16_sdwa s[22:23], sext(v26), sext(v27) src0_sel:BYTE_0 src1_sel:BYTE_0
	s_and_b64 s[20:21], s[20:21], s[22:23]
	s_or_b64 s[20:21], s[12:13], s[20:21]
	v_cndmask_b32_e64 v14, v15, v5, s[20:21]
	v_cndmask_b32_e64 v16, v34, v1, s[20:21]
	v_add_u32_e32 v17, 1, v14
	v_add_u32_e32 v16, -1, v16
	v_min_u32_e32 v16, v17, v16
	v_add_u32_e32 v16, v11, v16
	ds_read_u8 v16, v16
	v_cndmask_b32_e64 v5, v5, v17, s[20:21]
	v_cndmask_b32_e64 v15, v17, v15, s[20:21]
	v_cmp_lt_u32_e64 s[22:23], v5, v1
	v_cmp_ge_u32_e64 s[12:13], v15, v34
	s_waitcnt lgkmcnt(0)
	v_cndmask_b32_e64 v31, v16, v26, s[20:21]
	v_cndmask_b32_e64 v32, v27, v16, s[20:21]
	v_cmp_le_i16_sdwa s[24:25], sext(v31), sext(v32) src0_sel:BYTE_0 src1_sel:BYTE_0
	s_and_b64 s[22:23], s[22:23], s[24:25]
	s_or_b64 s[22:23], s[12:13], s[22:23]
	v_cndmask_b32_e64 v16, v15, v5, s[22:23]
	v_cndmask_b32_e64 v17, v34, v1, s[22:23]
	v_add_u32_e32 v18, 1, v16
	v_add_u32_e32 v17, -1, v17
	v_min_u32_e32 v17, v18, v17
	v_add_u32_e32 v17, v11, v17
	ds_read_u8 v17, v17
	v_lshl_add_u32 v14, v14, 3, v10
	v_lshl_add_u32 v16, v16, 3, v10
	v_cndmask_b32_e64 v22, v23, v22, s[8:9]
	s_waitcnt lgkmcnt(0)
	v_cndmask_b32_e64 v33, v17, v31, s[22:23]
	v_cndmask_b32_e64 v35, v32, v17, s[22:23]
	;; [unrolled: 1-line block ×4, first 2 shown]
	v_cmp_lt_u32_e64 s[24:25], v18, v1
	v_cmp_le_i16_sdwa s[28:29], sext(v33), sext(v35) src0_sel:BYTE_0 src1_sel:BYTE_0
	v_cmp_ge_u32_e64 s[12:13], v17, v34
	s_and_b64 s[24:25], s[24:25], s[28:29]
	s_or_b64 s[12:13], s[12:13], s[24:25]
	v_cndmask_b32_e64 v19, v17, v18, s[12:13]
	v_cndmask_b32_e64 v5, v34, v1, s[12:13]
	v_add_u32_e32 v20, 1, v19
	v_add_u32_e32 v5, -1, v5
	v_min_u32_e32 v5, v20, v5
	v_add_u32_e32 v5, v11, v5
	ds_read_u8 v21, v5
	ds_read_b64 v[4:5], v4 offset:2048
	ds_read_b64 v[14:15], v14 offset:2048
	s_waitcnt lgkmcnt(2)
	v_cndmask_b32_e64 v36, v21, v33, s[12:13]
	v_cndmask_b32_e64 v37, v35, v21, s[12:13]
	;; [unrolled: 1-line block ×4, first 2 shown]
	v_cmp_lt_u32_e64 s[28:29], v20, v1
	v_cmp_le_i16_sdwa s[30:31], sext(v36), sext(v37) src0_sel:BYTE_0 src1_sel:BYTE_0
	v_cmp_ge_u32_e64 s[24:25], v21, v34
	s_and_b64 s[28:29], s[28:29], s[30:31]
	s_or_b64 s[24:25], s[24:25], s[28:29]
	v_cndmask_b32_e64 v24, v21, v20, s[24:25]
	v_cndmask_b32_e64 v17, v34, v1, s[24:25]
	v_add_u32_e32 v25, 1, v24
	v_add_u32_e32 v17, -1, v17
	v_min_u32_e32 v17, v25, v17
	v_add_u32_e32 v17, v11, v17
	ds_read_u8 v28, v17
	ds_read_b64 v[16:17], v16 offset:2048
	v_cndmask_b32_e64 v29, v20, v25, s[24:25]
	v_cmp_lt_u32_e64 s[30:31], v29, v1
	v_lshl_add_u32 v18, v19, 3, v10
	ds_read_b64 v[18:19], v18 offset:2048
	s_waitcnt lgkmcnt(2)
	v_cndmask_b32_e64 v38, v28, v36, s[24:25]
	v_cndmask_b32_e64 v39, v37, v28, s[24:25]
	;; [unrolled: 1-line block ×3, first 2 shown]
	v_cmp_le_i16_sdwa s[34:35], sext(v38), sext(v39) src0_sel:BYTE_0 src1_sel:BYTE_0
	v_cmp_ge_u32_e64 s[28:29], v28, v34
	s_and_b64 s[30:31], s[30:31], s[34:35]
	s_or_b64 s[28:29], s[28:29], s[30:31]
	v_cndmask_b32_e64 v20, v28, v29, s[28:29]
	v_cndmask_b32_e64 v21, v34, v1, s[28:29]
	v_add_u32_e32 v30, 1, v20
	v_add_u32_e32 v21, -1, v21
	v_min_u32_e32 v21, v30, v21
	v_add_u32_e32 v21, v11, v21
	ds_read_u8 v48, v21
	v_cndmask_b32_e64 v51, v29, v30, s[28:29]
	v_cndmask_b32_e64 v50, v30, v28, s[28:29]
	v_cmp_lt_u32_e64 s[34:35], v51, v1
	v_cmp_ge_u32_e64 s[30:31], v50, v34
	s_waitcnt lgkmcnt(0)
	v_cndmask_b32_e64 v49, v48, v38, s[28:29]
	v_cndmask_b32_e64 v48, v39, v48, s[28:29]
	v_cmp_le_i16_sdwa s[40:41], sext(v49), sext(v48) src0_sel:BYTE_0 src1_sel:BYTE_0
	s_and_b64 s[34:35], s[34:35], s[40:41]
	s_or_b64 s[30:31], s[30:31], s[34:35]
	v_cndmask_b32_e64 v28, v50, v51, s[30:31]
	v_cndmask_b32_e64 v29, v34, v1, s[30:31]
	v_lshl_add_u32 v30, v28, 3, v10
	v_add_u32_e32 v52, 1, v28
	v_add_u32_e32 v28, -1, v29
	v_min_u32_e32 v28, v52, v28
	v_lshl_add_u32 v21, v24, 3, v10
	v_lshl_add_u32 v20, v20, 3, v10
	v_add_u32_e32 v11, v11, v28
	ds_read_b64 v[24:25], v21 offset:2048
	ds_read_b64 v[20:21], v20 offset:2048
	;; [unrolled: 1-line block ×3, first 2 shown]
	ds_read_u8 v11, v11
	v_cndmask_b32_e64 v30, v26, v27, s[20:21]
	v_cndmask_b32_e64 v27, v31, v32, s[22:23]
	;; [unrolled: 1-line block ×4, first 2 shown]
	s_waitcnt lgkmcnt(0)
	v_cndmask_b32_e64 v31, v11, v49, s[30:31]
	v_cndmask_b32_e64 v11, v48, v11, s[30:31]
	;; [unrolled: 1-line block ×3, first 2 shown]
	v_cmp_lt_u32_e64 s[12:13], v32, v1
	v_cmp_le_i16_sdwa s[20:21], sext(v31), sext(v11) src0_sel:BYTE_0 src1_sel:BYTE_0
	v_cmp_ge_u32_e64 s[8:9], v23, v34
	s_and_b64 s[12:13], s[12:13], s[20:21]
	s_or_b64 s[8:9], s[8:9], s[12:13]
	v_cndmask_b32_e64 v1, v23, v32, s[8:9]
	v_lshl_add_u32 v1, v1, 3, v10
	ds_read_b64 v[32:33], v1 offset:2048
	v_cndmask_b32_e64 v23, v36, v37, s[24:25]
	v_cndmask_b32_e64 v38, v38, v39, s[28:29]
	;; [unrolled: 1-line block ×4, first 2 shown]
.LBB302_116:
	s_or_b64 exec, exec, s[38:39]
	; wave barrier
	s_waitcnt lgkmcnt(0)
	s_barrier
.LBB302_117:
	s_or_b64 exec, exec, s[36:37]
	v_add_co_u32_e64 v1, s[8:9], v2, v8
	v_addc_co_u32_e64 v2, s[8:9], 0, v3, s[8:9]
	v_add_co_u32_e64 v0, s[8:9], v1, v0
	v_addc_co_u32_e64 v1, s[8:9], 0, v2, s[8:9]
	s_waitcnt lgkmcnt(0)
	; wave barrier
	s_and_saveexec_b64 s[8:9], vcc
	s_cbranch_execnz .LBB302_143
; %bb.118:
	s_or_b64 exec, exec, s[8:9]
	s_and_saveexec_b64 s[8:9], s[4:5]
	s_cbranch_execnz .LBB302_144
.LBB302_119:
	s_or_b64 exec, exec, s[8:9]
	s_and_saveexec_b64 s[8:9], s[6:7]
	s_cbranch_execnz .LBB302_145
.LBB302_120:
	s_or_b64 exec, exec, s[8:9]
	s_and_saveexec_b64 s[8:9], s[18:19]
	s_cbranch_execnz .LBB302_146
.LBB302_121:
	s_or_b64 exec, exec, s[8:9]
	s_and_saveexec_b64 s[8:9], s[10:11]
	s_cbranch_execnz .LBB302_147
.LBB302_122:
	s_or_b64 exec, exec, s[8:9]
	s_and_saveexec_b64 s[8:9], s[26:27]
	s_cbranch_execnz .LBB302_148
.LBB302_123:
	s_or_b64 exec, exec, s[8:9]
	s_and_saveexec_b64 s[8:9], s[14:15]
	s_cbranch_execnz .LBB302_149
.LBB302_124:
	s_or_b64 exec, exec, s[8:9]
	s_and_saveexec_b64 s[8:9], s[16:17]
	s_cbranch_execz .LBB302_126
.LBB302_125:
	s_waitcnt vmcnt(0) lgkmcnt(0)
	flat_store_byte v[0:1], v36 offset:7
.LBB302_126:
	s_or_b64 exec, exec, s[8:9]
	v_add_co_u32_e64 v0, s[8:9], v6, v12
	v_addc_co_u32_e64 v1, s[8:9], v7, v13, s[8:9]
	v_add_co_u32_e64 v0, s[8:9], v0, v9
	v_addc_co_u32_e64 v1, s[8:9], 0, v1, s[8:9]
	; wave barrier
	s_and_saveexec_b64 s[8:9], vcc
	s_cbranch_execnz .LBB302_150
; %bb.127:
	s_or_b64 exec, exec, s[8:9]
	s_and_saveexec_b64 s[8:9], s[4:5]
	s_cbranch_execnz .LBB302_151
.LBB302_128:
	s_or_b64 exec, exec, s[8:9]
	s_and_saveexec_b64 s[4:5], s[6:7]
	s_cbranch_execnz .LBB302_152
.LBB302_129:
	s_or_b64 exec, exec, s[4:5]
	s_and_saveexec_b64 s[4:5], s[18:19]
	s_cbranch_execnz .LBB302_153
.LBB302_130:
	s_or_b64 exec, exec, s[4:5]
	s_and_saveexec_b64 s[4:5], s[10:11]
	s_cbranch_execnz .LBB302_154
.LBB302_131:
	s_or_b64 exec, exec, s[4:5]
	s_and_saveexec_b64 s[4:5], s[26:27]
	s_cbranch_execnz .LBB302_155
.LBB302_132:
	s_or_b64 exec, exec, s[4:5]
	s_and_saveexec_b64 s[4:5], s[14:15]
	s_cbranch_execnz .LBB302_156
.LBB302_133:
	s_or_b64 exec, exec, s[4:5]
	s_and_saveexec_b64 s[4:5], s[16:17]
	s_cbranch_execz .LBB302_135
.LBB302_134:
	s_waitcnt vmcnt(0) lgkmcnt(0)
	flat_store_dwordx2 v[0:1], v[32:33] offset:56
.LBB302_135:
	s_or_b64 exec, exec, s[4:5]
	v_readlane_b32 s30, v40, 12
	v_readlane_b32 s31, v40, 13
	v_readlane_b32 s45, v40, 11
	v_readlane_b32 s44, v40, 10
	v_readlane_b32 s43, v40, 9
	v_readlane_b32 s42, v40, 8
	v_readlane_b32 s41, v40, 7
	v_readlane_b32 s40, v40, 6
	v_readlane_b32 s39, v40, 5
	v_readlane_b32 s38, v40, 4
	v_readlane_b32 s37, v40, 3
	v_readlane_b32 s36, v40, 2
	v_readlane_b32 s35, v40, 1
	v_readlane_b32 s34, v40, 0
	s_or_saveexec_b64 s[4:5], -1
	buffer_load_dword v40, off, s[0:3], s32 ; 4-byte Folded Reload
	s_mov_b64 exec, s[4:5]
	s_waitcnt vmcnt(0) lgkmcnt(0)
	s_setpc_b64 s[30:31]
.LBB302_136:
	flat_load_dwordx2 v[4:5], v[34:35]
	s_or_b64 exec, exec, s[20:21]
                                        ; implicit-def: $vgpr14_vgpr15
	s_and_saveexec_b64 s[20:21], s[4:5]
	s_cbranch_execz .LBB302_18
.LBB302_137:
	flat_load_dwordx2 v[14:15], v[34:35] offset:8
	s_or_b64 exec, exec, s[20:21]
                                        ; implicit-def: $vgpr16_vgpr17
	s_and_saveexec_b64 s[20:21], s[6:7]
	s_cbranch_execz .LBB302_19
.LBB302_138:
	flat_load_dwordx2 v[16:17], v[34:35] offset:16
	s_or_b64 exec, exec, s[20:21]
                                        ; implicit-def: $vgpr18_vgpr19
	s_and_saveexec_b64 s[20:21], s[18:19]
	s_cbranch_execz .LBB302_20
.LBB302_139:
	flat_load_dwordx2 v[18:19], v[34:35] offset:24
	s_or_b64 exec, exec, s[20:21]
                                        ; implicit-def: $vgpr24_vgpr25
	s_and_saveexec_b64 s[20:21], s[10:11]
	s_cbranch_execz .LBB302_21
.LBB302_140:
	flat_load_dwordx2 v[24:25], v[34:35] offset:32
	s_or_b64 exec, exec, s[20:21]
                                        ; implicit-def: $vgpr20_vgpr21
	s_and_saveexec_b64 s[20:21], s[26:27]
	s_cbranch_execz .LBB302_22
.LBB302_141:
	flat_load_dwordx2 v[20:21], v[34:35] offset:40
	s_or_b64 exec, exec, s[20:21]
                                        ; implicit-def: $vgpr28_vgpr29
	s_and_saveexec_b64 s[20:21], s[14:15]
	s_cbranch_execz .LBB302_23
.LBB302_142:
	flat_load_dwordx2 v[28:29], v[34:35] offset:48
	s_or_b64 exec, exec, s[20:21]
                                        ; implicit-def: $vgpr32_vgpr33
	s_and_saveexec_b64 s[20:21], s[16:17]
	s_cbranch_execnz .LBB302_24
	s_branch .LBB302_25
.LBB302_143:
	s_waitcnt vmcnt(0) lgkmcnt(0)
	flat_store_byte v[0:1], v22
	s_or_b64 exec, exec, s[8:9]
	s_and_saveexec_b64 s[8:9], s[4:5]
	s_cbranch_execz .LBB302_119
.LBB302_144:
	s_waitcnt vmcnt(0) lgkmcnt(0)
	flat_store_byte v[0:1], v30 offset:1
	s_or_b64 exec, exec, s[8:9]
	s_and_saveexec_b64 s[8:9], s[6:7]
	s_cbranch_execz .LBB302_120
.LBB302_145:
	s_waitcnt vmcnt(0) lgkmcnt(0)
	flat_store_byte v[0:1], v27 offset:2
	s_or_b64 exec, exec, s[8:9]
	s_and_saveexec_b64 s[8:9], s[18:19]
	s_cbranch_execz .LBB302_121
.LBB302_146:
	s_waitcnt vmcnt(0) lgkmcnt(0)
	flat_store_byte v[0:1], v26 offset:3
	s_or_b64 exec, exec, s[8:9]
	s_and_saveexec_b64 s[8:9], s[10:11]
	s_cbranch_execz .LBB302_122
.LBB302_147:
	s_waitcnt vmcnt(0) lgkmcnt(0)
	flat_store_byte v[0:1], v23 offset:4
	s_or_b64 exec, exec, s[8:9]
	s_and_saveexec_b64 s[8:9], s[26:27]
	s_cbranch_execz .LBB302_123
.LBB302_148:
	s_waitcnt vmcnt(0) lgkmcnt(0)
	flat_store_byte v[0:1], v38 offset:5
	s_or_b64 exec, exec, s[8:9]
	s_and_saveexec_b64 s[8:9], s[14:15]
	s_cbranch_execz .LBB302_124
.LBB302_149:
	s_waitcnt vmcnt(0) lgkmcnt(0)
	flat_store_byte v[0:1], v37 offset:6
	s_or_b64 exec, exec, s[8:9]
	s_and_saveexec_b64 s[8:9], s[16:17]
	s_cbranch_execnz .LBB302_125
	s_branch .LBB302_126
.LBB302_150:
	s_waitcnt vmcnt(0) lgkmcnt(0)
	flat_store_dwordx2 v[0:1], v[4:5]
	s_or_b64 exec, exec, s[8:9]
	s_and_saveexec_b64 s[8:9], s[4:5]
	s_cbranch_execz .LBB302_128
.LBB302_151:
	s_waitcnt vmcnt(0) lgkmcnt(0)
	flat_store_dwordx2 v[0:1], v[14:15] offset:8
	s_or_b64 exec, exec, s[8:9]
	s_and_saveexec_b64 s[4:5], s[6:7]
	s_cbranch_execz .LBB302_129
.LBB302_152:
	s_waitcnt vmcnt(0) lgkmcnt(0)
	flat_store_dwordx2 v[0:1], v[16:17] offset:16
	s_or_b64 exec, exec, s[4:5]
	s_and_saveexec_b64 s[4:5], s[18:19]
	s_cbranch_execz .LBB302_130
.LBB302_153:
	s_waitcnt vmcnt(0) lgkmcnt(0)
	flat_store_dwordx2 v[0:1], v[18:19] offset:24
	s_or_b64 exec, exec, s[4:5]
	s_and_saveexec_b64 s[4:5], s[10:11]
	s_cbranch_execz .LBB302_131
.LBB302_154:
	s_waitcnt vmcnt(0) lgkmcnt(0)
	flat_store_dwordx2 v[0:1], v[24:25] offset:32
	s_or_b64 exec, exec, s[4:5]
	s_and_saveexec_b64 s[4:5], s[26:27]
	s_cbranch_execz .LBB302_132
.LBB302_155:
	s_waitcnt vmcnt(0) lgkmcnt(0)
	flat_store_dwordx2 v[0:1], v[20:21] offset:40
	s_or_b64 exec, exec, s[4:5]
	s_and_saveexec_b64 s[4:5], s[14:15]
	s_cbranch_execz .LBB302_133
.LBB302_156:
	s_waitcnt vmcnt(0) lgkmcnt(0)
	flat_store_dwordx2 v[0:1], v[28:29] offset:48
	s_or_b64 exec, exec, s[4:5]
	s_and_saveexec_b64 s[4:5], s[16:17]
	s_cbranch_execnz .LBB302_134
	s_branch .LBB302_135
.Lfunc_end302:
	.size	_ZN7rocprim17ROCPRIM_400000_NS6detail26segmented_warp_sort_helperINS1_20WarpSortHelperConfigILj16ELj8ELj256EEEalLi256ELb1EvE4sortIPKaPaPKlPlEEvT_T0_T1_T2_jjjjRNS5_12storage_typeE, .Lfunc_end302-_ZN7rocprim17ROCPRIM_400000_NS6detail26segmented_warp_sort_helperINS1_20WarpSortHelperConfigILj16ELj8ELj256EEEalLi256ELb1EvE4sortIPKaPaPKlPlEEvT_T0_T1_T2_jjjjRNS5_12storage_typeE
                                        ; -- End function
	.section	.AMDGPU.csdata,"",@progbits
; Function info:
; codeLenInByte = 17992
; NumSgprs: 50
; NumVgprs: 69
; NumAgprs: 0
; TotalNumVgprs: 69
; ScratchSize: 8
; MemoryBound: 0
	.section	.text._ZN7rocprim17ROCPRIM_400000_NS6detail17trampoline_kernelINS0_14default_configENS1_36segmented_radix_sort_config_selectorIalEEZNS1_25segmented_radix_sort_implIS3_Lb1EPKaPaPKlPlN2at6native12_GLOBAL__N_18offset_tEEE10hipError_tPvRmT1_PNSt15iterator_traitsISK_E10value_typeET2_T3_PNSL_ISQ_E10value_typeET4_jRbjT5_SW_jjP12ihipStream_tbEUlT_E0_NS1_11comp_targetILNS1_3genE4ELNS1_11target_archE910ELNS1_3gpuE8ELNS1_3repE0EEENS1_60segmented_radix_sort_warp_sort_medium_config_static_selectorELNS0_4arch9wavefront6targetE1EEEvSK_,"axG",@progbits,_ZN7rocprim17ROCPRIM_400000_NS6detail17trampoline_kernelINS0_14default_configENS1_36segmented_radix_sort_config_selectorIalEEZNS1_25segmented_radix_sort_implIS3_Lb1EPKaPaPKlPlN2at6native12_GLOBAL__N_18offset_tEEE10hipError_tPvRmT1_PNSt15iterator_traitsISK_E10value_typeET2_T3_PNSL_ISQ_E10value_typeET4_jRbjT5_SW_jjP12ihipStream_tbEUlT_E0_NS1_11comp_targetILNS1_3genE4ELNS1_11target_archE910ELNS1_3gpuE8ELNS1_3repE0EEENS1_60segmented_radix_sort_warp_sort_medium_config_static_selectorELNS0_4arch9wavefront6targetE1EEEvSK_,comdat
	.globl	_ZN7rocprim17ROCPRIM_400000_NS6detail17trampoline_kernelINS0_14default_configENS1_36segmented_radix_sort_config_selectorIalEEZNS1_25segmented_radix_sort_implIS3_Lb1EPKaPaPKlPlN2at6native12_GLOBAL__N_18offset_tEEE10hipError_tPvRmT1_PNSt15iterator_traitsISK_E10value_typeET2_T3_PNSL_ISQ_E10value_typeET4_jRbjT5_SW_jjP12ihipStream_tbEUlT_E0_NS1_11comp_targetILNS1_3genE4ELNS1_11target_archE910ELNS1_3gpuE8ELNS1_3repE0EEENS1_60segmented_radix_sort_warp_sort_medium_config_static_selectorELNS0_4arch9wavefront6targetE1EEEvSK_ ; -- Begin function _ZN7rocprim17ROCPRIM_400000_NS6detail17trampoline_kernelINS0_14default_configENS1_36segmented_radix_sort_config_selectorIalEEZNS1_25segmented_radix_sort_implIS3_Lb1EPKaPaPKlPlN2at6native12_GLOBAL__N_18offset_tEEE10hipError_tPvRmT1_PNSt15iterator_traitsISK_E10value_typeET2_T3_PNSL_ISQ_E10value_typeET4_jRbjT5_SW_jjP12ihipStream_tbEUlT_E0_NS1_11comp_targetILNS1_3genE4ELNS1_11target_archE910ELNS1_3gpuE8ELNS1_3repE0EEENS1_60segmented_radix_sort_warp_sort_medium_config_static_selectorELNS0_4arch9wavefront6targetE1EEEvSK_
	.p2align	8
	.type	_ZN7rocprim17ROCPRIM_400000_NS6detail17trampoline_kernelINS0_14default_configENS1_36segmented_radix_sort_config_selectorIalEEZNS1_25segmented_radix_sort_implIS3_Lb1EPKaPaPKlPlN2at6native12_GLOBAL__N_18offset_tEEE10hipError_tPvRmT1_PNSt15iterator_traitsISK_E10value_typeET2_T3_PNSL_ISQ_E10value_typeET4_jRbjT5_SW_jjP12ihipStream_tbEUlT_E0_NS1_11comp_targetILNS1_3genE4ELNS1_11target_archE910ELNS1_3gpuE8ELNS1_3repE0EEENS1_60segmented_radix_sort_warp_sort_medium_config_static_selectorELNS0_4arch9wavefront6targetE1EEEvSK_,@function
_ZN7rocprim17ROCPRIM_400000_NS6detail17trampoline_kernelINS0_14default_configENS1_36segmented_radix_sort_config_selectorIalEEZNS1_25segmented_radix_sort_implIS3_Lb1EPKaPaPKlPlN2at6native12_GLOBAL__N_18offset_tEEE10hipError_tPvRmT1_PNSt15iterator_traitsISK_E10value_typeET2_T3_PNSL_ISQ_E10value_typeET4_jRbjT5_SW_jjP12ihipStream_tbEUlT_E0_NS1_11comp_targetILNS1_3genE4ELNS1_11target_archE910ELNS1_3gpuE8ELNS1_3repE0EEENS1_60segmented_radix_sort_warp_sort_medium_config_static_selectorELNS0_4arch9wavefront6targetE1EEEvSK_: ; @_ZN7rocprim17ROCPRIM_400000_NS6detail17trampoline_kernelINS0_14default_configENS1_36segmented_radix_sort_config_selectorIalEEZNS1_25segmented_radix_sort_implIS3_Lb1EPKaPaPKlPlN2at6native12_GLOBAL__N_18offset_tEEE10hipError_tPvRmT1_PNSt15iterator_traitsISK_E10value_typeET2_T3_PNSL_ISQ_E10value_typeET4_jRbjT5_SW_jjP12ihipStream_tbEUlT_E0_NS1_11comp_targetILNS1_3genE4ELNS1_11target_archE910ELNS1_3gpuE8ELNS1_3repE0EEENS1_60segmented_radix_sort_warp_sort_medium_config_static_selectorELNS0_4arch9wavefront6targetE1EEEvSK_
; %bb.0:
	s_add_u32 flat_scratch_lo, s6, s10
	s_addc_u32 flat_scratch_hi, s7, 0
	s_add_u32 s0, s0, s10
	s_load_dword s6, s[4:5], 0x64
	s_load_dword s10, s[4:5], 0x34
	s_addc_u32 s1, s1, 0
	v_bfe_u32 v1, v0, 10, 10
	v_bfe_u32 v2, v0, 20, 10
	s_waitcnt lgkmcnt(0)
	s_lshr_b32 s7, s6, 16
	s_and_b32 s6, s6, 0xffff
	v_mad_u32_u24 v1, v2, s7, v1
	v_and_b32_e32 v2, 0x3ff, v0
	v_mad_u64_u32 v[2:3], s[6:7], v1, s6, v[2:3]
	v_lshrrev_b32_e32 v1, 4, v2
	v_lshl_add_u32 v2, s8, 4, v1
	v_cmp_gt_u32_e32 vcc, s10, v2
	s_mov_b32 s32, 0
	s_and_saveexec_b64 s[6:7], vcc
	s_cbranch_execz .LBB303_6
; %bb.1:
	s_load_dwordx2 s[6:7], s[4:5], 0x38
	s_load_dwordx4 s[12:15], s[4:5], 0x40
	v_mov_b32_e32 v3, 0
	v_lshlrev_b64 v[2:3], 2, v[2:3]
	s_waitcnt lgkmcnt(0)
	v_mov_b32_e32 v1, s7
	v_add_co_u32_e32 v2, vcc, s6, v2
	v_addc_co_u32_e32 v3, vcc, v1, v3, vcc
	global_load_dword v1, v[2:3], off
	s_waitcnt vmcnt(0)
	v_add_u32_e32 v2, s13, v1
	v_add_u32_e32 v1, s15, v1
	v_mul_lo_u32 v8, v2, s12
	v_mul_lo_u32 v41, v1, s14
	v_cmp_gt_u32_e32 vcc, v41, v8
	s_and_b64 exec, exec, vcc
	s_cbranch_execz .LBB303_6
; %bb.2:
	s_load_dwordx4 s[56:59], s[4:5], 0x20
	s_load_dword s6, s[4:5], 0x30
	s_load_dwordx8 s[48:55], s[4:5], 0x0
	s_load_dwordx2 s[60:61], s[4:5], 0x50
	s_mov_b32 s46, s8
	s_mov_b32 s33, s9
	s_waitcnt lgkmcnt(0)
	s_bitcmp0_b32 s6, 0
	s_mov_b64 s[6:7], -1
	s_cbranch_scc0 .LBB303_4
; %bb.3:
	s_add_u32 s8, s4, 0x58
	s_addc_u32 s9, s5, 0
	s_mov_b32 s12, s46
	s_mov_b32 s13, s33
	v_mov_b32_e32 v31, v0
	v_mov_b32_e32 v42, v0
	;; [unrolled: 1-line block ×13, first 2 shown]
	s_getpc_b64 s[6:7]
	s_add_u32 s6, s6, _ZN7rocprim17ROCPRIM_400000_NS6detail26segmented_warp_sort_helperINS1_20WarpSortHelperConfigILj16ELj8ELj256EEEalLi256ELb1EvE4sortIPKaPaPKlPlEEvT_T0_T1_T2_jjjjRNS5_12storage_typeE@rel32@lo+4
	s_addc_u32 s7, s7, _ZN7rocprim17ROCPRIM_400000_NS6detail26segmented_warp_sort_helperINS1_20WarpSortHelperConfigILj16ELj8ELj256EEEalLi256ELb1EvE4sortIPKaPaPKlPlEEvT_T0_T1_T2_jjjjRNS5_12storage_typeE@rel32@hi+12
	s_mov_b64 s[50:51], s[4:5]
	s_swappc_b64 s[30:31], s[6:7]
	v_mov_b32_e32 v0, v42
	s_mov_b64 s[4:5], s[50:51]
	s_mov_b64 s[6:7], 0
.LBB303_4:
	s_andn2_b64 vcc, exec, s[6:7]
	s_cbranch_vccnz .LBB303_6
; %bb.5:
	s_add_u32 s8, s4, 0x58
	s_addc_u32 s9, s5, 0
	s_mov_b32 s12, s46
	s_mov_b32 s13, s33
	v_mov_b32_e32 v31, v0
	v_mov_b32_e32 v0, s48
	;; [unrolled: 1-line block ×12, first 2 shown]
	s_getpc_b64 s[4:5]
	s_add_u32 s4, s4, _ZN7rocprim17ROCPRIM_400000_NS6detail26segmented_warp_sort_helperINS1_20WarpSortHelperConfigILj16ELj8ELj256EEEalLi256ELb1EvE4sortIPKaPaPKlPlEEvT_T0_T1_T2_jjjjRNS5_12storage_typeE@rel32@lo+4
	s_addc_u32 s5, s5, _ZN7rocprim17ROCPRIM_400000_NS6detail26segmented_warp_sort_helperINS1_20WarpSortHelperConfigILj16ELj8ELj256EEEalLi256ELb1EvE4sortIPKaPaPKlPlEEvT_T0_T1_T2_jjjjRNS5_12storage_typeE@rel32@hi+12
	s_swappc_b64 s[30:31], s[4:5]
.LBB303_6:
	s_endpgm
	.section	.rodata,"a",@progbits
	.p2align	6, 0x0
	.amdhsa_kernel _ZN7rocprim17ROCPRIM_400000_NS6detail17trampoline_kernelINS0_14default_configENS1_36segmented_radix_sort_config_selectorIalEEZNS1_25segmented_radix_sort_implIS3_Lb1EPKaPaPKlPlN2at6native12_GLOBAL__N_18offset_tEEE10hipError_tPvRmT1_PNSt15iterator_traitsISK_E10value_typeET2_T3_PNSL_ISQ_E10value_typeET4_jRbjT5_SW_jjP12ihipStream_tbEUlT_E0_NS1_11comp_targetILNS1_3genE4ELNS1_11target_archE910ELNS1_3gpuE8ELNS1_3repE0EEENS1_60segmented_radix_sort_warp_sort_medium_config_static_selectorELNS0_4arch9wavefront6targetE1EEEvSK_
		.amdhsa_group_segment_fixed_size 18432
		.amdhsa_private_segment_fixed_size 8
		.amdhsa_kernarg_size 344
		.amdhsa_user_sgpr_count 8
		.amdhsa_user_sgpr_private_segment_buffer 1
		.amdhsa_user_sgpr_dispatch_ptr 0
		.amdhsa_user_sgpr_queue_ptr 0
		.amdhsa_user_sgpr_kernarg_segment_ptr 1
		.amdhsa_user_sgpr_dispatch_id 0
		.amdhsa_user_sgpr_flat_scratch_init 1
		.amdhsa_user_sgpr_kernarg_preload_length 0
		.amdhsa_user_sgpr_kernarg_preload_offset 0
		.amdhsa_user_sgpr_private_segment_size 0
		.amdhsa_uses_dynamic_stack 0
		.amdhsa_system_sgpr_private_segment_wavefront_offset 1
		.amdhsa_system_sgpr_workgroup_id_x 1
		.amdhsa_system_sgpr_workgroup_id_y 1
		.amdhsa_system_sgpr_workgroup_id_z 0
		.amdhsa_system_sgpr_workgroup_info 0
		.amdhsa_system_vgpr_workitem_id 2
		.amdhsa_next_free_vgpr 69
		.amdhsa_next_free_sgpr 62
		.amdhsa_accum_offset 72
		.amdhsa_reserve_vcc 1
		.amdhsa_reserve_flat_scratch 1
		.amdhsa_float_round_mode_32 0
		.amdhsa_float_round_mode_16_64 0
		.amdhsa_float_denorm_mode_32 3
		.amdhsa_float_denorm_mode_16_64 3
		.amdhsa_dx10_clamp 1
		.amdhsa_ieee_mode 1
		.amdhsa_fp16_overflow 0
		.amdhsa_tg_split 0
		.amdhsa_exception_fp_ieee_invalid_op 0
		.amdhsa_exception_fp_denorm_src 0
		.amdhsa_exception_fp_ieee_div_zero 0
		.amdhsa_exception_fp_ieee_overflow 0
		.amdhsa_exception_fp_ieee_underflow 0
		.amdhsa_exception_fp_ieee_inexact 0
		.amdhsa_exception_int_div_zero 0
	.end_amdhsa_kernel
	.section	.text._ZN7rocprim17ROCPRIM_400000_NS6detail17trampoline_kernelINS0_14default_configENS1_36segmented_radix_sort_config_selectorIalEEZNS1_25segmented_radix_sort_implIS3_Lb1EPKaPaPKlPlN2at6native12_GLOBAL__N_18offset_tEEE10hipError_tPvRmT1_PNSt15iterator_traitsISK_E10value_typeET2_T3_PNSL_ISQ_E10value_typeET4_jRbjT5_SW_jjP12ihipStream_tbEUlT_E0_NS1_11comp_targetILNS1_3genE4ELNS1_11target_archE910ELNS1_3gpuE8ELNS1_3repE0EEENS1_60segmented_radix_sort_warp_sort_medium_config_static_selectorELNS0_4arch9wavefront6targetE1EEEvSK_,"axG",@progbits,_ZN7rocprim17ROCPRIM_400000_NS6detail17trampoline_kernelINS0_14default_configENS1_36segmented_radix_sort_config_selectorIalEEZNS1_25segmented_radix_sort_implIS3_Lb1EPKaPaPKlPlN2at6native12_GLOBAL__N_18offset_tEEE10hipError_tPvRmT1_PNSt15iterator_traitsISK_E10value_typeET2_T3_PNSL_ISQ_E10value_typeET4_jRbjT5_SW_jjP12ihipStream_tbEUlT_E0_NS1_11comp_targetILNS1_3genE4ELNS1_11target_archE910ELNS1_3gpuE8ELNS1_3repE0EEENS1_60segmented_radix_sort_warp_sort_medium_config_static_selectorELNS0_4arch9wavefront6targetE1EEEvSK_,comdat
.Lfunc_end303:
	.size	_ZN7rocprim17ROCPRIM_400000_NS6detail17trampoline_kernelINS0_14default_configENS1_36segmented_radix_sort_config_selectorIalEEZNS1_25segmented_radix_sort_implIS3_Lb1EPKaPaPKlPlN2at6native12_GLOBAL__N_18offset_tEEE10hipError_tPvRmT1_PNSt15iterator_traitsISK_E10value_typeET2_T3_PNSL_ISQ_E10value_typeET4_jRbjT5_SW_jjP12ihipStream_tbEUlT_E0_NS1_11comp_targetILNS1_3genE4ELNS1_11target_archE910ELNS1_3gpuE8ELNS1_3repE0EEENS1_60segmented_radix_sort_warp_sort_medium_config_static_selectorELNS0_4arch9wavefront6targetE1EEEvSK_, .Lfunc_end303-_ZN7rocprim17ROCPRIM_400000_NS6detail17trampoline_kernelINS0_14default_configENS1_36segmented_radix_sort_config_selectorIalEEZNS1_25segmented_radix_sort_implIS3_Lb1EPKaPaPKlPlN2at6native12_GLOBAL__N_18offset_tEEE10hipError_tPvRmT1_PNSt15iterator_traitsISK_E10value_typeET2_T3_PNSL_ISQ_E10value_typeET4_jRbjT5_SW_jjP12ihipStream_tbEUlT_E0_NS1_11comp_targetILNS1_3genE4ELNS1_11target_archE910ELNS1_3gpuE8ELNS1_3repE0EEENS1_60segmented_radix_sort_warp_sort_medium_config_static_selectorELNS0_4arch9wavefront6targetE1EEEvSK_
                                        ; -- End function
	.section	.AMDGPU.csdata,"",@progbits
; Kernel info:
; codeLenInByte = 480
; NumSgprs: 68
; NumVgprs: 69
; NumAgprs: 0
; TotalNumVgprs: 69
; ScratchSize: 8
; MemoryBound: 0
; FloatMode: 240
; IeeeMode: 1
; LDSByteSize: 18432 bytes/workgroup (compile time only)
; SGPRBlocks: 8
; VGPRBlocks: 8
; NumSGPRsForWavesPerEU: 68
; NumVGPRsForWavesPerEU: 69
; AccumOffset: 72
; Occupancy: 3
; WaveLimiterHint : 0
; COMPUTE_PGM_RSRC2:SCRATCH_EN: 1
; COMPUTE_PGM_RSRC2:USER_SGPR: 8
; COMPUTE_PGM_RSRC2:TRAP_HANDLER: 0
; COMPUTE_PGM_RSRC2:TGID_X_EN: 1
; COMPUTE_PGM_RSRC2:TGID_Y_EN: 1
; COMPUTE_PGM_RSRC2:TGID_Z_EN: 0
; COMPUTE_PGM_RSRC2:TIDIG_COMP_CNT: 2
; COMPUTE_PGM_RSRC3_GFX90A:ACCUM_OFFSET: 17
; COMPUTE_PGM_RSRC3_GFX90A:TG_SPLIT: 0
	.section	.text._ZN7rocprim17ROCPRIM_400000_NS6detail17trampoline_kernelINS0_14default_configENS1_36segmented_radix_sort_config_selectorIalEEZNS1_25segmented_radix_sort_implIS3_Lb1EPKaPaPKlPlN2at6native12_GLOBAL__N_18offset_tEEE10hipError_tPvRmT1_PNSt15iterator_traitsISK_E10value_typeET2_T3_PNSL_ISQ_E10value_typeET4_jRbjT5_SW_jjP12ihipStream_tbEUlT_E0_NS1_11comp_targetILNS1_3genE3ELNS1_11target_archE908ELNS1_3gpuE7ELNS1_3repE0EEENS1_60segmented_radix_sort_warp_sort_medium_config_static_selectorELNS0_4arch9wavefront6targetE1EEEvSK_,"axG",@progbits,_ZN7rocprim17ROCPRIM_400000_NS6detail17trampoline_kernelINS0_14default_configENS1_36segmented_radix_sort_config_selectorIalEEZNS1_25segmented_radix_sort_implIS3_Lb1EPKaPaPKlPlN2at6native12_GLOBAL__N_18offset_tEEE10hipError_tPvRmT1_PNSt15iterator_traitsISK_E10value_typeET2_T3_PNSL_ISQ_E10value_typeET4_jRbjT5_SW_jjP12ihipStream_tbEUlT_E0_NS1_11comp_targetILNS1_3genE3ELNS1_11target_archE908ELNS1_3gpuE7ELNS1_3repE0EEENS1_60segmented_radix_sort_warp_sort_medium_config_static_selectorELNS0_4arch9wavefront6targetE1EEEvSK_,comdat
	.globl	_ZN7rocprim17ROCPRIM_400000_NS6detail17trampoline_kernelINS0_14default_configENS1_36segmented_radix_sort_config_selectorIalEEZNS1_25segmented_radix_sort_implIS3_Lb1EPKaPaPKlPlN2at6native12_GLOBAL__N_18offset_tEEE10hipError_tPvRmT1_PNSt15iterator_traitsISK_E10value_typeET2_T3_PNSL_ISQ_E10value_typeET4_jRbjT5_SW_jjP12ihipStream_tbEUlT_E0_NS1_11comp_targetILNS1_3genE3ELNS1_11target_archE908ELNS1_3gpuE7ELNS1_3repE0EEENS1_60segmented_radix_sort_warp_sort_medium_config_static_selectorELNS0_4arch9wavefront6targetE1EEEvSK_ ; -- Begin function _ZN7rocprim17ROCPRIM_400000_NS6detail17trampoline_kernelINS0_14default_configENS1_36segmented_radix_sort_config_selectorIalEEZNS1_25segmented_radix_sort_implIS3_Lb1EPKaPaPKlPlN2at6native12_GLOBAL__N_18offset_tEEE10hipError_tPvRmT1_PNSt15iterator_traitsISK_E10value_typeET2_T3_PNSL_ISQ_E10value_typeET4_jRbjT5_SW_jjP12ihipStream_tbEUlT_E0_NS1_11comp_targetILNS1_3genE3ELNS1_11target_archE908ELNS1_3gpuE7ELNS1_3repE0EEENS1_60segmented_radix_sort_warp_sort_medium_config_static_selectorELNS0_4arch9wavefront6targetE1EEEvSK_
	.p2align	8
	.type	_ZN7rocprim17ROCPRIM_400000_NS6detail17trampoline_kernelINS0_14default_configENS1_36segmented_radix_sort_config_selectorIalEEZNS1_25segmented_radix_sort_implIS3_Lb1EPKaPaPKlPlN2at6native12_GLOBAL__N_18offset_tEEE10hipError_tPvRmT1_PNSt15iterator_traitsISK_E10value_typeET2_T3_PNSL_ISQ_E10value_typeET4_jRbjT5_SW_jjP12ihipStream_tbEUlT_E0_NS1_11comp_targetILNS1_3genE3ELNS1_11target_archE908ELNS1_3gpuE7ELNS1_3repE0EEENS1_60segmented_radix_sort_warp_sort_medium_config_static_selectorELNS0_4arch9wavefront6targetE1EEEvSK_,@function
_ZN7rocprim17ROCPRIM_400000_NS6detail17trampoline_kernelINS0_14default_configENS1_36segmented_radix_sort_config_selectorIalEEZNS1_25segmented_radix_sort_implIS3_Lb1EPKaPaPKlPlN2at6native12_GLOBAL__N_18offset_tEEE10hipError_tPvRmT1_PNSt15iterator_traitsISK_E10value_typeET2_T3_PNSL_ISQ_E10value_typeET4_jRbjT5_SW_jjP12ihipStream_tbEUlT_E0_NS1_11comp_targetILNS1_3genE3ELNS1_11target_archE908ELNS1_3gpuE7ELNS1_3repE0EEENS1_60segmented_radix_sort_warp_sort_medium_config_static_selectorELNS0_4arch9wavefront6targetE1EEEvSK_: ; @_ZN7rocprim17ROCPRIM_400000_NS6detail17trampoline_kernelINS0_14default_configENS1_36segmented_radix_sort_config_selectorIalEEZNS1_25segmented_radix_sort_implIS3_Lb1EPKaPaPKlPlN2at6native12_GLOBAL__N_18offset_tEEE10hipError_tPvRmT1_PNSt15iterator_traitsISK_E10value_typeET2_T3_PNSL_ISQ_E10value_typeET4_jRbjT5_SW_jjP12ihipStream_tbEUlT_E0_NS1_11comp_targetILNS1_3genE3ELNS1_11target_archE908ELNS1_3gpuE7ELNS1_3repE0EEENS1_60segmented_radix_sort_warp_sort_medium_config_static_selectorELNS0_4arch9wavefront6targetE1EEEvSK_
; %bb.0:
	.section	.rodata,"a",@progbits
	.p2align	6, 0x0
	.amdhsa_kernel _ZN7rocprim17ROCPRIM_400000_NS6detail17trampoline_kernelINS0_14default_configENS1_36segmented_radix_sort_config_selectorIalEEZNS1_25segmented_radix_sort_implIS3_Lb1EPKaPaPKlPlN2at6native12_GLOBAL__N_18offset_tEEE10hipError_tPvRmT1_PNSt15iterator_traitsISK_E10value_typeET2_T3_PNSL_ISQ_E10value_typeET4_jRbjT5_SW_jjP12ihipStream_tbEUlT_E0_NS1_11comp_targetILNS1_3genE3ELNS1_11target_archE908ELNS1_3gpuE7ELNS1_3repE0EEENS1_60segmented_radix_sort_warp_sort_medium_config_static_selectorELNS0_4arch9wavefront6targetE1EEEvSK_
		.amdhsa_group_segment_fixed_size 0
		.amdhsa_private_segment_fixed_size 0
		.amdhsa_kernarg_size 88
		.amdhsa_user_sgpr_count 6
		.amdhsa_user_sgpr_private_segment_buffer 1
		.amdhsa_user_sgpr_dispatch_ptr 0
		.amdhsa_user_sgpr_queue_ptr 0
		.amdhsa_user_sgpr_kernarg_segment_ptr 1
		.amdhsa_user_sgpr_dispatch_id 0
		.amdhsa_user_sgpr_flat_scratch_init 0
		.amdhsa_user_sgpr_kernarg_preload_length 0
		.amdhsa_user_sgpr_kernarg_preload_offset 0
		.amdhsa_user_sgpr_private_segment_size 0
		.amdhsa_uses_dynamic_stack 0
		.amdhsa_system_sgpr_private_segment_wavefront_offset 0
		.amdhsa_system_sgpr_workgroup_id_x 1
		.amdhsa_system_sgpr_workgroup_id_y 0
		.amdhsa_system_sgpr_workgroup_id_z 0
		.amdhsa_system_sgpr_workgroup_info 0
		.amdhsa_system_vgpr_workitem_id 0
		.amdhsa_next_free_vgpr 1
		.amdhsa_next_free_sgpr 0
		.amdhsa_accum_offset 4
		.amdhsa_reserve_vcc 0
		.amdhsa_reserve_flat_scratch 0
		.amdhsa_float_round_mode_32 0
		.amdhsa_float_round_mode_16_64 0
		.amdhsa_float_denorm_mode_32 3
		.amdhsa_float_denorm_mode_16_64 3
		.amdhsa_dx10_clamp 1
		.amdhsa_ieee_mode 1
		.amdhsa_fp16_overflow 0
		.amdhsa_tg_split 0
		.amdhsa_exception_fp_ieee_invalid_op 0
		.amdhsa_exception_fp_denorm_src 0
		.amdhsa_exception_fp_ieee_div_zero 0
		.amdhsa_exception_fp_ieee_overflow 0
		.amdhsa_exception_fp_ieee_underflow 0
		.amdhsa_exception_fp_ieee_inexact 0
		.amdhsa_exception_int_div_zero 0
	.end_amdhsa_kernel
	.section	.text._ZN7rocprim17ROCPRIM_400000_NS6detail17trampoline_kernelINS0_14default_configENS1_36segmented_radix_sort_config_selectorIalEEZNS1_25segmented_radix_sort_implIS3_Lb1EPKaPaPKlPlN2at6native12_GLOBAL__N_18offset_tEEE10hipError_tPvRmT1_PNSt15iterator_traitsISK_E10value_typeET2_T3_PNSL_ISQ_E10value_typeET4_jRbjT5_SW_jjP12ihipStream_tbEUlT_E0_NS1_11comp_targetILNS1_3genE3ELNS1_11target_archE908ELNS1_3gpuE7ELNS1_3repE0EEENS1_60segmented_radix_sort_warp_sort_medium_config_static_selectorELNS0_4arch9wavefront6targetE1EEEvSK_,"axG",@progbits,_ZN7rocprim17ROCPRIM_400000_NS6detail17trampoline_kernelINS0_14default_configENS1_36segmented_radix_sort_config_selectorIalEEZNS1_25segmented_radix_sort_implIS3_Lb1EPKaPaPKlPlN2at6native12_GLOBAL__N_18offset_tEEE10hipError_tPvRmT1_PNSt15iterator_traitsISK_E10value_typeET2_T3_PNSL_ISQ_E10value_typeET4_jRbjT5_SW_jjP12ihipStream_tbEUlT_E0_NS1_11comp_targetILNS1_3genE3ELNS1_11target_archE908ELNS1_3gpuE7ELNS1_3repE0EEENS1_60segmented_radix_sort_warp_sort_medium_config_static_selectorELNS0_4arch9wavefront6targetE1EEEvSK_,comdat
.Lfunc_end304:
	.size	_ZN7rocprim17ROCPRIM_400000_NS6detail17trampoline_kernelINS0_14default_configENS1_36segmented_radix_sort_config_selectorIalEEZNS1_25segmented_radix_sort_implIS3_Lb1EPKaPaPKlPlN2at6native12_GLOBAL__N_18offset_tEEE10hipError_tPvRmT1_PNSt15iterator_traitsISK_E10value_typeET2_T3_PNSL_ISQ_E10value_typeET4_jRbjT5_SW_jjP12ihipStream_tbEUlT_E0_NS1_11comp_targetILNS1_3genE3ELNS1_11target_archE908ELNS1_3gpuE7ELNS1_3repE0EEENS1_60segmented_radix_sort_warp_sort_medium_config_static_selectorELNS0_4arch9wavefront6targetE1EEEvSK_, .Lfunc_end304-_ZN7rocprim17ROCPRIM_400000_NS6detail17trampoline_kernelINS0_14default_configENS1_36segmented_radix_sort_config_selectorIalEEZNS1_25segmented_radix_sort_implIS3_Lb1EPKaPaPKlPlN2at6native12_GLOBAL__N_18offset_tEEE10hipError_tPvRmT1_PNSt15iterator_traitsISK_E10value_typeET2_T3_PNSL_ISQ_E10value_typeET4_jRbjT5_SW_jjP12ihipStream_tbEUlT_E0_NS1_11comp_targetILNS1_3genE3ELNS1_11target_archE908ELNS1_3gpuE7ELNS1_3repE0EEENS1_60segmented_radix_sort_warp_sort_medium_config_static_selectorELNS0_4arch9wavefront6targetE1EEEvSK_
                                        ; -- End function
	.section	.AMDGPU.csdata,"",@progbits
; Kernel info:
; codeLenInByte = 0
; NumSgprs: 4
; NumVgprs: 0
; NumAgprs: 0
; TotalNumVgprs: 0
; ScratchSize: 0
; MemoryBound: 0
; FloatMode: 240
; IeeeMode: 1
; LDSByteSize: 0 bytes/workgroup (compile time only)
; SGPRBlocks: 0
; VGPRBlocks: 0
; NumSGPRsForWavesPerEU: 4
; NumVGPRsForWavesPerEU: 1
; AccumOffset: 4
; Occupancy: 8
; WaveLimiterHint : 0
; COMPUTE_PGM_RSRC2:SCRATCH_EN: 0
; COMPUTE_PGM_RSRC2:USER_SGPR: 6
; COMPUTE_PGM_RSRC2:TRAP_HANDLER: 0
; COMPUTE_PGM_RSRC2:TGID_X_EN: 1
; COMPUTE_PGM_RSRC2:TGID_Y_EN: 0
; COMPUTE_PGM_RSRC2:TGID_Z_EN: 0
; COMPUTE_PGM_RSRC2:TIDIG_COMP_CNT: 0
; COMPUTE_PGM_RSRC3_GFX90A:ACCUM_OFFSET: 0
; COMPUTE_PGM_RSRC3_GFX90A:TG_SPLIT: 0
	.section	.text._ZN7rocprim17ROCPRIM_400000_NS6detail17trampoline_kernelINS0_14default_configENS1_36segmented_radix_sort_config_selectorIalEEZNS1_25segmented_radix_sort_implIS3_Lb1EPKaPaPKlPlN2at6native12_GLOBAL__N_18offset_tEEE10hipError_tPvRmT1_PNSt15iterator_traitsISK_E10value_typeET2_T3_PNSL_ISQ_E10value_typeET4_jRbjT5_SW_jjP12ihipStream_tbEUlT_E0_NS1_11comp_targetILNS1_3genE2ELNS1_11target_archE906ELNS1_3gpuE6ELNS1_3repE0EEENS1_60segmented_radix_sort_warp_sort_medium_config_static_selectorELNS0_4arch9wavefront6targetE1EEEvSK_,"axG",@progbits,_ZN7rocprim17ROCPRIM_400000_NS6detail17trampoline_kernelINS0_14default_configENS1_36segmented_radix_sort_config_selectorIalEEZNS1_25segmented_radix_sort_implIS3_Lb1EPKaPaPKlPlN2at6native12_GLOBAL__N_18offset_tEEE10hipError_tPvRmT1_PNSt15iterator_traitsISK_E10value_typeET2_T3_PNSL_ISQ_E10value_typeET4_jRbjT5_SW_jjP12ihipStream_tbEUlT_E0_NS1_11comp_targetILNS1_3genE2ELNS1_11target_archE906ELNS1_3gpuE6ELNS1_3repE0EEENS1_60segmented_radix_sort_warp_sort_medium_config_static_selectorELNS0_4arch9wavefront6targetE1EEEvSK_,comdat
	.globl	_ZN7rocprim17ROCPRIM_400000_NS6detail17trampoline_kernelINS0_14default_configENS1_36segmented_radix_sort_config_selectorIalEEZNS1_25segmented_radix_sort_implIS3_Lb1EPKaPaPKlPlN2at6native12_GLOBAL__N_18offset_tEEE10hipError_tPvRmT1_PNSt15iterator_traitsISK_E10value_typeET2_T3_PNSL_ISQ_E10value_typeET4_jRbjT5_SW_jjP12ihipStream_tbEUlT_E0_NS1_11comp_targetILNS1_3genE2ELNS1_11target_archE906ELNS1_3gpuE6ELNS1_3repE0EEENS1_60segmented_radix_sort_warp_sort_medium_config_static_selectorELNS0_4arch9wavefront6targetE1EEEvSK_ ; -- Begin function _ZN7rocprim17ROCPRIM_400000_NS6detail17trampoline_kernelINS0_14default_configENS1_36segmented_radix_sort_config_selectorIalEEZNS1_25segmented_radix_sort_implIS3_Lb1EPKaPaPKlPlN2at6native12_GLOBAL__N_18offset_tEEE10hipError_tPvRmT1_PNSt15iterator_traitsISK_E10value_typeET2_T3_PNSL_ISQ_E10value_typeET4_jRbjT5_SW_jjP12ihipStream_tbEUlT_E0_NS1_11comp_targetILNS1_3genE2ELNS1_11target_archE906ELNS1_3gpuE6ELNS1_3repE0EEENS1_60segmented_radix_sort_warp_sort_medium_config_static_selectorELNS0_4arch9wavefront6targetE1EEEvSK_
	.p2align	8
	.type	_ZN7rocprim17ROCPRIM_400000_NS6detail17trampoline_kernelINS0_14default_configENS1_36segmented_radix_sort_config_selectorIalEEZNS1_25segmented_radix_sort_implIS3_Lb1EPKaPaPKlPlN2at6native12_GLOBAL__N_18offset_tEEE10hipError_tPvRmT1_PNSt15iterator_traitsISK_E10value_typeET2_T3_PNSL_ISQ_E10value_typeET4_jRbjT5_SW_jjP12ihipStream_tbEUlT_E0_NS1_11comp_targetILNS1_3genE2ELNS1_11target_archE906ELNS1_3gpuE6ELNS1_3repE0EEENS1_60segmented_radix_sort_warp_sort_medium_config_static_selectorELNS0_4arch9wavefront6targetE1EEEvSK_,@function
_ZN7rocprim17ROCPRIM_400000_NS6detail17trampoline_kernelINS0_14default_configENS1_36segmented_radix_sort_config_selectorIalEEZNS1_25segmented_radix_sort_implIS3_Lb1EPKaPaPKlPlN2at6native12_GLOBAL__N_18offset_tEEE10hipError_tPvRmT1_PNSt15iterator_traitsISK_E10value_typeET2_T3_PNSL_ISQ_E10value_typeET4_jRbjT5_SW_jjP12ihipStream_tbEUlT_E0_NS1_11comp_targetILNS1_3genE2ELNS1_11target_archE906ELNS1_3gpuE6ELNS1_3repE0EEENS1_60segmented_radix_sort_warp_sort_medium_config_static_selectorELNS0_4arch9wavefront6targetE1EEEvSK_: ; @_ZN7rocprim17ROCPRIM_400000_NS6detail17trampoline_kernelINS0_14default_configENS1_36segmented_radix_sort_config_selectorIalEEZNS1_25segmented_radix_sort_implIS3_Lb1EPKaPaPKlPlN2at6native12_GLOBAL__N_18offset_tEEE10hipError_tPvRmT1_PNSt15iterator_traitsISK_E10value_typeET2_T3_PNSL_ISQ_E10value_typeET4_jRbjT5_SW_jjP12ihipStream_tbEUlT_E0_NS1_11comp_targetILNS1_3genE2ELNS1_11target_archE906ELNS1_3gpuE6ELNS1_3repE0EEENS1_60segmented_radix_sort_warp_sort_medium_config_static_selectorELNS0_4arch9wavefront6targetE1EEEvSK_
; %bb.0:
	.section	.rodata,"a",@progbits
	.p2align	6, 0x0
	.amdhsa_kernel _ZN7rocprim17ROCPRIM_400000_NS6detail17trampoline_kernelINS0_14default_configENS1_36segmented_radix_sort_config_selectorIalEEZNS1_25segmented_radix_sort_implIS3_Lb1EPKaPaPKlPlN2at6native12_GLOBAL__N_18offset_tEEE10hipError_tPvRmT1_PNSt15iterator_traitsISK_E10value_typeET2_T3_PNSL_ISQ_E10value_typeET4_jRbjT5_SW_jjP12ihipStream_tbEUlT_E0_NS1_11comp_targetILNS1_3genE2ELNS1_11target_archE906ELNS1_3gpuE6ELNS1_3repE0EEENS1_60segmented_radix_sort_warp_sort_medium_config_static_selectorELNS0_4arch9wavefront6targetE1EEEvSK_
		.amdhsa_group_segment_fixed_size 0
		.amdhsa_private_segment_fixed_size 0
		.amdhsa_kernarg_size 88
		.amdhsa_user_sgpr_count 6
		.amdhsa_user_sgpr_private_segment_buffer 1
		.amdhsa_user_sgpr_dispatch_ptr 0
		.amdhsa_user_sgpr_queue_ptr 0
		.amdhsa_user_sgpr_kernarg_segment_ptr 1
		.amdhsa_user_sgpr_dispatch_id 0
		.amdhsa_user_sgpr_flat_scratch_init 0
		.amdhsa_user_sgpr_kernarg_preload_length 0
		.amdhsa_user_sgpr_kernarg_preload_offset 0
		.amdhsa_user_sgpr_private_segment_size 0
		.amdhsa_uses_dynamic_stack 0
		.amdhsa_system_sgpr_private_segment_wavefront_offset 0
		.amdhsa_system_sgpr_workgroup_id_x 1
		.amdhsa_system_sgpr_workgroup_id_y 0
		.amdhsa_system_sgpr_workgroup_id_z 0
		.amdhsa_system_sgpr_workgroup_info 0
		.amdhsa_system_vgpr_workitem_id 0
		.amdhsa_next_free_vgpr 1
		.amdhsa_next_free_sgpr 0
		.amdhsa_accum_offset 4
		.amdhsa_reserve_vcc 0
		.amdhsa_reserve_flat_scratch 0
		.amdhsa_float_round_mode_32 0
		.amdhsa_float_round_mode_16_64 0
		.amdhsa_float_denorm_mode_32 3
		.amdhsa_float_denorm_mode_16_64 3
		.amdhsa_dx10_clamp 1
		.amdhsa_ieee_mode 1
		.amdhsa_fp16_overflow 0
		.amdhsa_tg_split 0
		.amdhsa_exception_fp_ieee_invalid_op 0
		.amdhsa_exception_fp_denorm_src 0
		.amdhsa_exception_fp_ieee_div_zero 0
		.amdhsa_exception_fp_ieee_overflow 0
		.amdhsa_exception_fp_ieee_underflow 0
		.amdhsa_exception_fp_ieee_inexact 0
		.amdhsa_exception_int_div_zero 0
	.end_amdhsa_kernel
	.section	.text._ZN7rocprim17ROCPRIM_400000_NS6detail17trampoline_kernelINS0_14default_configENS1_36segmented_radix_sort_config_selectorIalEEZNS1_25segmented_radix_sort_implIS3_Lb1EPKaPaPKlPlN2at6native12_GLOBAL__N_18offset_tEEE10hipError_tPvRmT1_PNSt15iterator_traitsISK_E10value_typeET2_T3_PNSL_ISQ_E10value_typeET4_jRbjT5_SW_jjP12ihipStream_tbEUlT_E0_NS1_11comp_targetILNS1_3genE2ELNS1_11target_archE906ELNS1_3gpuE6ELNS1_3repE0EEENS1_60segmented_radix_sort_warp_sort_medium_config_static_selectorELNS0_4arch9wavefront6targetE1EEEvSK_,"axG",@progbits,_ZN7rocprim17ROCPRIM_400000_NS6detail17trampoline_kernelINS0_14default_configENS1_36segmented_radix_sort_config_selectorIalEEZNS1_25segmented_radix_sort_implIS3_Lb1EPKaPaPKlPlN2at6native12_GLOBAL__N_18offset_tEEE10hipError_tPvRmT1_PNSt15iterator_traitsISK_E10value_typeET2_T3_PNSL_ISQ_E10value_typeET4_jRbjT5_SW_jjP12ihipStream_tbEUlT_E0_NS1_11comp_targetILNS1_3genE2ELNS1_11target_archE906ELNS1_3gpuE6ELNS1_3repE0EEENS1_60segmented_radix_sort_warp_sort_medium_config_static_selectorELNS0_4arch9wavefront6targetE1EEEvSK_,comdat
.Lfunc_end305:
	.size	_ZN7rocprim17ROCPRIM_400000_NS6detail17trampoline_kernelINS0_14default_configENS1_36segmented_radix_sort_config_selectorIalEEZNS1_25segmented_radix_sort_implIS3_Lb1EPKaPaPKlPlN2at6native12_GLOBAL__N_18offset_tEEE10hipError_tPvRmT1_PNSt15iterator_traitsISK_E10value_typeET2_T3_PNSL_ISQ_E10value_typeET4_jRbjT5_SW_jjP12ihipStream_tbEUlT_E0_NS1_11comp_targetILNS1_3genE2ELNS1_11target_archE906ELNS1_3gpuE6ELNS1_3repE0EEENS1_60segmented_radix_sort_warp_sort_medium_config_static_selectorELNS0_4arch9wavefront6targetE1EEEvSK_, .Lfunc_end305-_ZN7rocprim17ROCPRIM_400000_NS6detail17trampoline_kernelINS0_14default_configENS1_36segmented_radix_sort_config_selectorIalEEZNS1_25segmented_radix_sort_implIS3_Lb1EPKaPaPKlPlN2at6native12_GLOBAL__N_18offset_tEEE10hipError_tPvRmT1_PNSt15iterator_traitsISK_E10value_typeET2_T3_PNSL_ISQ_E10value_typeET4_jRbjT5_SW_jjP12ihipStream_tbEUlT_E0_NS1_11comp_targetILNS1_3genE2ELNS1_11target_archE906ELNS1_3gpuE6ELNS1_3repE0EEENS1_60segmented_radix_sort_warp_sort_medium_config_static_selectorELNS0_4arch9wavefront6targetE1EEEvSK_
                                        ; -- End function
	.section	.AMDGPU.csdata,"",@progbits
; Kernel info:
; codeLenInByte = 0
; NumSgprs: 4
; NumVgprs: 0
; NumAgprs: 0
; TotalNumVgprs: 0
; ScratchSize: 0
; MemoryBound: 0
; FloatMode: 240
; IeeeMode: 1
; LDSByteSize: 0 bytes/workgroup (compile time only)
; SGPRBlocks: 0
; VGPRBlocks: 0
; NumSGPRsForWavesPerEU: 4
; NumVGPRsForWavesPerEU: 1
; AccumOffset: 4
; Occupancy: 8
; WaveLimiterHint : 0
; COMPUTE_PGM_RSRC2:SCRATCH_EN: 0
; COMPUTE_PGM_RSRC2:USER_SGPR: 6
; COMPUTE_PGM_RSRC2:TRAP_HANDLER: 0
; COMPUTE_PGM_RSRC2:TGID_X_EN: 1
; COMPUTE_PGM_RSRC2:TGID_Y_EN: 0
; COMPUTE_PGM_RSRC2:TGID_Z_EN: 0
; COMPUTE_PGM_RSRC2:TIDIG_COMP_CNT: 0
; COMPUTE_PGM_RSRC3_GFX90A:ACCUM_OFFSET: 0
; COMPUTE_PGM_RSRC3_GFX90A:TG_SPLIT: 0
	.section	.text._ZN7rocprim17ROCPRIM_400000_NS6detail17trampoline_kernelINS0_14default_configENS1_36segmented_radix_sort_config_selectorIalEEZNS1_25segmented_radix_sort_implIS3_Lb1EPKaPaPKlPlN2at6native12_GLOBAL__N_18offset_tEEE10hipError_tPvRmT1_PNSt15iterator_traitsISK_E10value_typeET2_T3_PNSL_ISQ_E10value_typeET4_jRbjT5_SW_jjP12ihipStream_tbEUlT_E0_NS1_11comp_targetILNS1_3genE10ELNS1_11target_archE1201ELNS1_3gpuE5ELNS1_3repE0EEENS1_60segmented_radix_sort_warp_sort_medium_config_static_selectorELNS0_4arch9wavefront6targetE1EEEvSK_,"axG",@progbits,_ZN7rocprim17ROCPRIM_400000_NS6detail17trampoline_kernelINS0_14default_configENS1_36segmented_radix_sort_config_selectorIalEEZNS1_25segmented_radix_sort_implIS3_Lb1EPKaPaPKlPlN2at6native12_GLOBAL__N_18offset_tEEE10hipError_tPvRmT1_PNSt15iterator_traitsISK_E10value_typeET2_T3_PNSL_ISQ_E10value_typeET4_jRbjT5_SW_jjP12ihipStream_tbEUlT_E0_NS1_11comp_targetILNS1_3genE10ELNS1_11target_archE1201ELNS1_3gpuE5ELNS1_3repE0EEENS1_60segmented_radix_sort_warp_sort_medium_config_static_selectorELNS0_4arch9wavefront6targetE1EEEvSK_,comdat
	.globl	_ZN7rocprim17ROCPRIM_400000_NS6detail17trampoline_kernelINS0_14default_configENS1_36segmented_radix_sort_config_selectorIalEEZNS1_25segmented_radix_sort_implIS3_Lb1EPKaPaPKlPlN2at6native12_GLOBAL__N_18offset_tEEE10hipError_tPvRmT1_PNSt15iterator_traitsISK_E10value_typeET2_T3_PNSL_ISQ_E10value_typeET4_jRbjT5_SW_jjP12ihipStream_tbEUlT_E0_NS1_11comp_targetILNS1_3genE10ELNS1_11target_archE1201ELNS1_3gpuE5ELNS1_3repE0EEENS1_60segmented_radix_sort_warp_sort_medium_config_static_selectorELNS0_4arch9wavefront6targetE1EEEvSK_ ; -- Begin function _ZN7rocprim17ROCPRIM_400000_NS6detail17trampoline_kernelINS0_14default_configENS1_36segmented_radix_sort_config_selectorIalEEZNS1_25segmented_radix_sort_implIS3_Lb1EPKaPaPKlPlN2at6native12_GLOBAL__N_18offset_tEEE10hipError_tPvRmT1_PNSt15iterator_traitsISK_E10value_typeET2_T3_PNSL_ISQ_E10value_typeET4_jRbjT5_SW_jjP12ihipStream_tbEUlT_E0_NS1_11comp_targetILNS1_3genE10ELNS1_11target_archE1201ELNS1_3gpuE5ELNS1_3repE0EEENS1_60segmented_radix_sort_warp_sort_medium_config_static_selectorELNS0_4arch9wavefront6targetE1EEEvSK_
	.p2align	8
	.type	_ZN7rocprim17ROCPRIM_400000_NS6detail17trampoline_kernelINS0_14default_configENS1_36segmented_radix_sort_config_selectorIalEEZNS1_25segmented_radix_sort_implIS3_Lb1EPKaPaPKlPlN2at6native12_GLOBAL__N_18offset_tEEE10hipError_tPvRmT1_PNSt15iterator_traitsISK_E10value_typeET2_T3_PNSL_ISQ_E10value_typeET4_jRbjT5_SW_jjP12ihipStream_tbEUlT_E0_NS1_11comp_targetILNS1_3genE10ELNS1_11target_archE1201ELNS1_3gpuE5ELNS1_3repE0EEENS1_60segmented_radix_sort_warp_sort_medium_config_static_selectorELNS0_4arch9wavefront6targetE1EEEvSK_,@function
_ZN7rocprim17ROCPRIM_400000_NS6detail17trampoline_kernelINS0_14default_configENS1_36segmented_radix_sort_config_selectorIalEEZNS1_25segmented_radix_sort_implIS3_Lb1EPKaPaPKlPlN2at6native12_GLOBAL__N_18offset_tEEE10hipError_tPvRmT1_PNSt15iterator_traitsISK_E10value_typeET2_T3_PNSL_ISQ_E10value_typeET4_jRbjT5_SW_jjP12ihipStream_tbEUlT_E0_NS1_11comp_targetILNS1_3genE10ELNS1_11target_archE1201ELNS1_3gpuE5ELNS1_3repE0EEENS1_60segmented_radix_sort_warp_sort_medium_config_static_selectorELNS0_4arch9wavefront6targetE1EEEvSK_: ; @_ZN7rocprim17ROCPRIM_400000_NS6detail17trampoline_kernelINS0_14default_configENS1_36segmented_radix_sort_config_selectorIalEEZNS1_25segmented_radix_sort_implIS3_Lb1EPKaPaPKlPlN2at6native12_GLOBAL__N_18offset_tEEE10hipError_tPvRmT1_PNSt15iterator_traitsISK_E10value_typeET2_T3_PNSL_ISQ_E10value_typeET4_jRbjT5_SW_jjP12ihipStream_tbEUlT_E0_NS1_11comp_targetILNS1_3genE10ELNS1_11target_archE1201ELNS1_3gpuE5ELNS1_3repE0EEENS1_60segmented_radix_sort_warp_sort_medium_config_static_selectorELNS0_4arch9wavefront6targetE1EEEvSK_
; %bb.0:
	.section	.rodata,"a",@progbits
	.p2align	6, 0x0
	.amdhsa_kernel _ZN7rocprim17ROCPRIM_400000_NS6detail17trampoline_kernelINS0_14default_configENS1_36segmented_radix_sort_config_selectorIalEEZNS1_25segmented_radix_sort_implIS3_Lb1EPKaPaPKlPlN2at6native12_GLOBAL__N_18offset_tEEE10hipError_tPvRmT1_PNSt15iterator_traitsISK_E10value_typeET2_T3_PNSL_ISQ_E10value_typeET4_jRbjT5_SW_jjP12ihipStream_tbEUlT_E0_NS1_11comp_targetILNS1_3genE10ELNS1_11target_archE1201ELNS1_3gpuE5ELNS1_3repE0EEENS1_60segmented_radix_sort_warp_sort_medium_config_static_selectorELNS0_4arch9wavefront6targetE1EEEvSK_
		.amdhsa_group_segment_fixed_size 0
		.amdhsa_private_segment_fixed_size 0
		.amdhsa_kernarg_size 88
		.amdhsa_user_sgpr_count 6
		.amdhsa_user_sgpr_private_segment_buffer 1
		.amdhsa_user_sgpr_dispatch_ptr 0
		.amdhsa_user_sgpr_queue_ptr 0
		.amdhsa_user_sgpr_kernarg_segment_ptr 1
		.amdhsa_user_sgpr_dispatch_id 0
		.amdhsa_user_sgpr_flat_scratch_init 0
		.amdhsa_user_sgpr_kernarg_preload_length 0
		.amdhsa_user_sgpr_kernarg_preload_offset 0
		.amdhsa_user_sgpr_private_segment_size 0
		.amdhsa_uses_dynamic_stack 0
		.amdhsa_system_sgpr_private_segment_wavefront_offset 0
		.amdhsa_system_sgpr_workgroup_id_x 1
		.amdhsa_system_sgpr_workgroup_id_y 0
		.amdhsa_system_sgpr_workgroup_id_z 0
		.amdhsa_system_sgpr_workgroup_info 0
		.amdhsa_system_vgpr_workitem_id 0
		.amdhsa_next_free_vgpr 1
		.amdhsa_next_free_sgpr 0
		.amdhsa_accum_offset 4
		.amdhsa_reserve_vcc 0
		.amdhsa_reserve_flat_scratch 0
		.amdhsa_float_round_mode_32 0
		.amdhsa_float_round_mode_16_64 0
		.amdhsa_float_denorm_mode_32 3
		.amdhsa_float_denorm_mode_16_64 3
		.amdhsa_dx10_clamp 1
		.amdhsa_ieee_mode 1
		.amdhsa_fp16_overflow 0
		.amdhsa_tg_split 0
		.amdhsa_exception_fp_ieee_invalid_op 0
		.amdhsa_exception_fp_denorm_src 0
		.amdhsa_exception_fp_ieee_div_zero 0
		.amdhsa_exception_fp_ieee_overflow 0
		.amdhsa_exception_fp_ieee_underflow 0
		.amdhsa_exception_fp_ieee_inexact 0
		.amdhsa_exception_int_div_zero 0
	.end_amdhsa_kernel
	.section	.text._ZN7rocprim17ROCPRIM_400000_NS6detail17trampoline_kernelINS0_14default_configENS1_36segmented_radix_sort_config_selectorIalEEZNS1_25segmented_radix_sort_implIS3_Lb1EPKaPaPKlPlN2at6native12_GLOBAL__N_18offset_tEEE10hipError_tPvRmT1_PNSt15iterator_traitsISK_E10value_typeET2_T3_PNSL_ISQ_E10value_typeET4_jRbjT5_SW_jjP12ihipStream_tbEUlT_E0_NS1_11comp_targetILNS1_3genE10ELNS1_11target_archE1201ELNS1_3gpuE5ELNS1_3repE0EEENS1_60segmented_radix_sort_warp_sort_medium_config_static_selectorELNS0_4arch9wavefront6targetE1EEEvSK_,"axG",@progbits,_ZN7rocprim17ROCPRIM_400000_NS6detail17trampoline_kernelINS0_14default_configENS1_36segmented_radix_sort_config_selectorIalEEZNS1_25segmented_radix_sort_implIS3_Lb1EPKaPaPKlPlN2at6native12_GLOBAL__N_18offset_tEEE10hipError_tPvRmT1_PNSt15iterator_traitsISK_E10value_typeET2_T3_PNSL_ISQ_E10value_typeET4_jRbjT5_SW_jjP12ihipStream_tbEUlT_E0_NS1_11comp_targetILNS1_3genE10ELNS1_11target_archE1201ELNS1_3gpuE5ELNS1_3repE0EEENS1_60segmented_radix_sort_warp_sort_medium_config_static_selectorELNS0_4arch9wavefront6targetE1EEEvSK_,comdat
.Lfunc_end306:
	.size	_ZN7rocprim17ROCPRIM_400000_NS6detail17trampoline_kernelINS0_14default_configENS1_36segmented_radix_sort_config_selectorIalEEZNS1_25segmented_radix_sort_implIS3_Lb1EPKaPaPKlPlN2at6native12_GLOBAL__N_18offset_tEEE10hipError_tPvRmT1_PNSt15iterator_traitsISK_E10value_typeET2_T3_PNSL_ISQ_E10value_typeET4_jRbjT5_SW_jjP12ihipStream_tbEUlT_E0_NS1_11comp_targetILNS1_3genE10ELNS1_11target_archE1201ELNS1_3gpuE5ELNS1_3repE0EEENS1_60segmented_radix_sort_warp_sort_medium_config_static_selectorELNS0_4arch9wavefront6targetE1EEEvSK_, .Lfunc_end306-_ZN7rocprim17ROCPRIM_400000_NS6detail17trampoline_kernelINS0_14default_configENS1_36segmented_radix_sort_config_selectorIalEEZNS1_25segmented_radix_sort_implIS3_Lb1EPKaPaPKlPlN2at6native12_GLOBAL__N_18offset_tEEE10hipError_tPvRmT1_PNSt15iterator_traitsISK_E10value_typeET2_T3_PNSL_ISQ_E10value_typeET4_jRbjT5_SW_jjP12ihipStream_tbEUlT_E0_NS1_11comp_targetILNS1_3genE10ELNS1_11target_archE1201ELNS1_3gpuE5ELNS1_3repE0EEENS1_60segmented_radix_sort_warp_sort_medium_config_static_selectorELNS0_4arch9wavefront6targetE1EEEvSK_
                                        ; -- End function
	.section	.AMDGPU.csdata,"",@progbits
; Kernel info:
; codeLenInByte = 0
; NumSgprs: 4
; NumVgprs: 0
; NumAgprs: 0
; TotalNumVgprs: 0
; ScratchSize: 0
; MemoryBound: 0
; FloatMode: 240
; IeeeMode: 1
; LDSByteSize: 0 bytes/workgroup (compile time only)
; SGPRBlocks: 0
; VGPRBlocks: 0
; NumSGPRsForWavesPerEU: 4
; NumVGPRsForWavesPerEU: 1
; AccumOffset: 4
; Occupancy: 8
; WaveLimiterHint : 0
; COMPUTE_PGM_RSRC2:SCRATCH_EN: 0
; COMPUTE_PGM_RSRC2:USER_SGPR: 6
; COMPUTE_PGM_RSRC2:TRAP_HANDLER: 0
; COMPUTE_PGM_RSRC2:TGID_X_EN: 1
; COMPUTE_PGM_RSRC2:TGID_Y_EN: 0
; COMPUTE_PGM_RSRC2:TGID_Z_EN: 0
; COMPUTE_PGM_RSRC2:TIDIG_COMP_CNT: 0
; COMPUTE_PGM_RSRC3_GFX90A:ACCUM_OFFSET: 0
; COMPUTE_PGM_RSRC3_GFX90A:TG_SPLIT: 0
	.section	.text._ZN7rocprim17ROCPRIM_400000_NS6detail17trampoline_kernelINS0_14default_configENS1_36segmented_radix_sort_config_selectorIalEEZNS1_25segmented_radix_sort_implIS3_Lb1EPKaPaPKlPlN2at6native12_GLOBAL__N_18offset_tEEE10hipError_tPvRmT1_PNSt15iterator_traitsISK_E10value_typeET2_T3_PNSL_ISQ_E10value_typeET4_jRbjT5_SW_jjP12ihipStream_tbEUlT_E0_NS1_11comp_targetILNS1_3genE10ELNS1_11target_archE1200ELNS1_3gpuE4ELNS1_3repE0EEENS1_60segmented_radix_sort_warp_sort_medium_config_static_selectorELNS0_4arch9wavefront6targetE1EEEvSK_,"axG",@progbits,_ZN7rocprim17ROCPRIM_400000_NS6detail17trampoline_kernelINS0_14default_configENS1_36segmented_radix_sort_config_selectorIalEEZNS1_25segmented_radix_sort_implIS3_Lb1EPKaPaPKlPlN2at6native12_GLOBAL__N_18offset_tEEE10hipError_tPvRmT1_PNSt15iterator_traitsISK_E10value_typeET2_T3_PNSL_ISQ_E10value_typeET4_jRbjT5_SW_jjP12ihipStream_tbEUlT_E0_NS1_11comp_targetILNS1_3genE10ELNS1_11target_archE1200ELNS1_3gpuE4ELNS1_3repE0EEENS1_60segmented_radix_sort_warp_sort_medium_config_static_selectorELNS0_4arch9wavefront6targetE1EEEvSK_,comdat
	.globl	_ZN7rocprim17ROCPRIM_400000_NS6detail17trampoline_kernelINS0_14default_configENS1_36segmented_radix_sort_config_selectorIalEEZNS1_25segmented_radix_sort_implIS3_Lb1EPKaPaPKlPlN2at6native12_GLOBAL__N_18offset_tEEE10hipError_tPvRmT1_PNSt15iterator_traitsISK_E10value_typeET2_T3_PNSL_ISQ_E10value_typeET4_jRbjT5_SW_jjP12ihipStream_tbEUlT_E0_NS1_11comp_targetILNS1_3genE10ELNS1_11target_archE1200ELNS1_3gpuE4ELNS1_3repE0EEENS1_60segmented_radix_sort_warp_sort_medium_config_static_selectorELNS0_4arch9wavefront6targetE1EEEvSK_ ; -- Begin function _ZN7rocprim17ROCPRIM_400000_NS6detail17trampoline_kernelINS0_14default_configENS1_36segmented_radix_sort_config_selectorIalEEZNS1_25segmented_radix_sort_implIS3_Lb1EPKaPaPKlPlN2at6native12_GLOBAL__N_18offset_tEEE10hipError_tPvRmT1_PNSt15iterator_traitsISK_E10value_typeET2_T3_PNSL_ISQ_E10value_typeET4_jRbjT5_SW_jjP12ihipStream_tbEUlT_E0_NS1_11comp_targetILNS1_3genE10ELNS1_11target_archE1200ELNS1_3gpuE4ELNS1_3repE0EEENS1_60segmented_radix_sort_warp_sort_medium_config_static_selectorELNS0_4arch9wavefront6targetE1EEEvSK_
	.p2align	8
	.type	_ZN7rocprim17ROCPRIM_400000_NS6detail17trampoline_kernelINS0_14default_configENS1_36segmented_radix_sort_config_selectorIalEEZNS1_25segmented_radix_sort_implIS3_Lb1EPKaPaPKlPlN2at6native12_GLOBAL__N_18offset_tEEE10hipError_tPvRmT1_PNSt15iterator_traitsISK_E10value_typeET2_T3_PNSL_ISQ_E10value_typeET4_jRbjT5_SW_jjP12ihipStream_tbEUlT_E0_NS1_11comp_targetILNS1_3genE10ELNS1_11target_archE1200ELNS1_3gpuE4ELNS1_3repE0EEENS1_60segmented_radix_sort_warp_sort_medium_config_static_selectorELNS0_4arch9wavefront6targetE1EEEvSK_,@function
_ZN7rocprim17ROCPRIM_400000_NS6detail17trampoline_kernelINS0_14default_configENS1_36segmented_radix_sort_config_selectorIalEEZNS1_25segmented_radix_sort_implIS3_Lb1EPKaPaPKlPlN2at6native12_GLOBAL__N_18offset_tEEE10hipError_tPvRmT1_PNSt15iterator_traitsISK_E10value_typeET2_T3_PNSL_ISQ_E10value_typeET4_jRbjT5_SW_jjP12ihipStream_tbEUlT_E0_NS1_11comp_targetILNS1_3genE10ELNS1_11target_archE1200ELNS1_3gpuE4ELNS1_3repE0EEENS1_60segmented_radix_sort_warp_sort_medium_config_static_selectorELNS0_4arch9wavefront6targetE1EEEvSK_: ; @_ZN7rocprim17ROCPRIM_400000_NS6detail17trampoline_kernelINS0_14default_configENS1_36segmented_radix_sort_config_selectorIalEEZNS1_25segmented_radix_sort_implIS3_Lb1EPKaPaPKlPlN2at6native12_GLOBAL__N_18offset_tEEE10hipError_tPvRmT1_PNSt15iterator_traitsISK_E10value_typeET2_T3_PNSL_ISQ_E10value_typeET4_jRbjT5_SW_jjP12ihipStream_tbEUlT_E0_NS1_11comp_targetILNS1_3genE10ELNS1_11target_archE1200ELNS1_3gpuE4ELNS1_3repE0EEENS1_60segmented_radix_sort_warp_sort_medium_config_static_selectorELNS0_4arch9wavefront6targetE1EEEvSK_
; %bb.0:
	.section	.rodata,"a",@progbits
	.p2align	6, 0x0
	.amdhsa_kernel _ZN7rocprim17ROCPRIM_400000_NS6detail17trampoline_kernelINS0_14default_configENS1_36segmented_radix_sort_config_selectorIalEEZNS1_25segmented_radix_sort_implIS3_Lb1EPKaPaPKlPlN2at6native12_GLOBAL__N_18offset_tEEE10hipError_tPvRmT1_PNSt15iterator_traitsISK_E10value_typeET2_T3_PNSL_ISQ_E10value_typeET4_jRbjT5_SW_jjP12ihipStream_tbEUlT_E0_NS1_11comp_targetILNS1_3genE10ELNS1_11target_archE1200ELNS1_3gpuE4ELNS1_3repE0EEENS1_60segmented_radix_sort_warp_sort_medium_config_static_selectorELNS0_4arch9wavefront6targetE1EEEvSK_
		.amdhsa_group_segment_fixed_size 0
		.amdhsa_private_segment_fixed_size 0
		.amdhsa_kernarg_size 88
		.amdhsa_user_sgpr_count 6
		.amdhsa_user_sgpr_private_segment_buffer 1
		.amdhsa_user_sgpr_dispatch_ptr 0
		.amdhsa_user_sgpr_queue_ptr 0
		.amdhsa_user_sgpr_kernarg_segment_ptr 1
		.amdhsa_user_sgpr_dispatch_id 0
		.amdhsa_user_sgpr_flat_scratch_init 0
		.amdhsa_user_sgpr_kernarg_preload_length 0
		.amdhsa_user_sgpr_kernarg_preload_offset 0
		.amdhsa_user_sgpr_private_segment_size 0
		.amdhsa_uses_dynamic_stack 0
		.amdhsa_system_sgpr_private_segment_wavefront_offset 0
		.amdhsa_system_sgpr_workgroup_id_x 1
		.amdhsa_system_sgpr_workgroup_id_y 0
		.amdhsa_system_sgpr_workgroup_id_z 0
		.amdhsa_system_sgpr_workgroup_info 0
		.amdhsa_system_vgpr_workitem_id 0
		.amdhsa_next_free_vgpr 1
		.amdhsa_next_free_sgpr 0
		.amdhsa_accum_offset 4
		.amdhsa_reserve_vcc 0
		.amdhsa_reserve_flat_scratch 0
		.amdhsa_float_round_mode_32 0
		.amdhsa_float_round_mode_16_64 0
		.amdhsa_float_denorm_mode_32 3
		.amdhsa_float_denorm_mode_16_64 3
		.amdhsa_dx10_clamp 1
		.amdhsa_ieee_mode 1
		.amdhsa_fp16_overflow 0
		.amdhsa_tg_split 0
		.amdhsa_exception_fp_ieee_invalid_op 0
		.amdhsa_exception_fp_denorm_src 0
		.amdhsa_exception_fp_ieee_div_zero 0
		.amdhsa_exception_fp_ieee_overflow 0
		.amdhsa_exception_fp_ieee_underflow 0
		.amdhsa_exception_fp_ieee_inexact 0
		.amdhsa_exception_int_div_zero 0
	.end_amdhsa_kernel
	.section	.text._ZN7rocprim17ROCPRIM_400000_NS6detail17trampoline_kernelINS0_14default_configENS1_36segmented_radix_sort_config_selectorIalEEZNS1_25segmented_radix_sort_implIS3_Lb1EPKaPaPKlPlN2at6native12_GLOBAL__N_18offset_tEEE10hipError_tPvRmT1_PNSt15iterator_traitsISK_E10value_typeET2_T3_PNSL_ISQ_E10value_typeET4_jRbjT5_SW_jjP12ihipStream_tbEUlT_E0_NS1_11comp_targetILNS1_3genE10ELNS1_11target_archE1200ELNS1_3gpuE4ELNS1_3repE0EEENS1_60segmented_radix_sort_warp_sort_medium_config_static_selectorELNS0_4arch9wavefront6targetE1EEEvSK_,"axG",@progbits,_ZN7rocprim17ROCPRIM_400000_NS6detail17trampoline_kernelINS0_14default_configENS1_36segmented_radix_sort_config_selectorIalEEZNS1_25segmented_radix_sort_implIS3_Lb1EPKaPaPKlPlN2at6native12_GLOBAL__N_18offset_tEEE10hipError_tPvRmT1_PNSt15iterator_traitsISK_E10value_typeET2_T3_PNSL_ISQ_E10value_typeET4_jRbjT5_SW_jjP12ihipStream_tbEUlT_E0_NS1_11comp_targetILNS1_3genE10ELNS1_11target_archE1200ELNS1_3gpuE4ELNS1_3repE0EEENS1_60segmented_radix_sort_warp_sort_medium_config_static_selectorELNS0_4arch9wavefront6targetE1EEEvSK_,comdat
.Lfunc_end307:
	.size	_ZN7rocprim17ROCPRIM_400000_NS6detail17trampoline_kernelINS0_14default_configENS1_36segmented_radix_sort_config_selectorIalEEZNS1_25segmented_radix_sort_implIS3_Lb1EPKaPaPKlPlN2at6native12_GLOBAL__N_18offset_tEEE10hipError_tPvRmT1_PNSt15iterator_traitsISK_E10value_typeET2_T3_PNSL_ISQ_E10value_typeET4_jRbjT5_SW_jjP12ihipStream_tbEUlT_E0_NS1_11comp_targetILNS1_3genE10ELNS1_11target_archE1200ELNS1_3gpuE4ELNS1_3repE0EEENS1_60segmented_radix_sort_warp_sort_medium_config_static_selectorELNS0_4arch9wavefront6targetE1EEEvSK_, .Lfunc_end307-_ZN7rocprim17ROCPRIM_400000_NS6detail17trampoline_kernelINS0_14default_configENS1_36segmented_radix_sort_config_selectorIalEEZNS1_25segmented_radix_sort_implIS3_Lb1EPKaPaPKlPlN2at6native12_GLOBAL__N_18offset_tEEE10hipError_tPvRmT1_PNSt15iterator_traitsISK_E10value_typeET2_T3_PNSL_ISQ_E10value_typeET4_jRbjT5_SW_jjP12ihipStream_tbEUlT_E0_NS1_11comp_targetILNS1_3genE10ELNS1_11target_archE1200ELNS1_3gpuE4ELNS1_3repE0EEENS1_60segmented_radix_sort_warp_sort_medium_config_static_selectorELNS0_4arch9wavefront6targetE1EEEvSK_
                                        ; -- End function
	.section	.AMDGPU.csdata,"",@progbits
; Kernel info:
; codeLenInByte = 0
; NumSgprs: 4
; NumVgprs: 0
; NumAgprs: 0
; TotalNumVgprs: 0
; ScratchSize: 0
; MemoryBound: 0
; FloatMode: 240
; IeeeMode: 1
; LDSByteSize: 0 bytes/workgroup (compile time only)
; SGPRBlocks: 0
; VGPRBlocks: 0
; NumSGPRsForWavesPerEU: 4
; NumVGPRsForWavesPerEU: 1
; AccumOffset: 4
; Occupancy: 8
; WaveLimiterHint : 0
; COMPUTE_PGM_RSRC2:SCRATCH_EN: 0
; COMPUTE_PGM_RSRC2:USER_SGPR: 6
; COMPUTE_PGM_RSRC2:TRAP_HANDLER: 0
; COMPUTE_PGM_RSRC2:TGID_X_EN: 1
; COMPUTE_PGM_RSRC2:TGID_Y_EN: 0
; COMPUTE_PGM_RSRC2:TGID_Z_EN: 0
; COMPUTE_PGM_RSRC2:TIDIG_COMP_CNT: 0
; COMPUTE_PGM_RSRC3_GFX90A:ACCUM_OFFSET: 0
; COMPUTE_PGM_RSRC3_GFX90A:TG_SPLIT: 0
	.section	.text._ZN7rocprim17ROCPRIM_400000_NS6detail17trampoline_kernelINS0_14default_configENS1_36segmented_radix_sort_config_selectorIalEEZNS1_25segmented_radix_sort_implIS3_Lb1EPKaPaPKlPlN2at6native12_GLOBAL__N_18offset_tEEE10hipError_tPvRmT1_PNSt15iterator_traitsISK_E10value_typeET2_T3_PNSL_ISQ_E10value_typeET4_jRbjT5_SW_jjP12ihipStream_tbEUlT_E0_NS1_11comp_targetILNS1_3genE9ELNS1_11target_archE1100ELNS1_3gpuE3ELNS1_3repE0EEENS1_60segmented_radix_sort_warp_sort_medium_config_static_selectorELNS0_4arch9wavefront6targetE1EEEvSK_,"axG",@progbits,_ZN7rocprim17ROCPRIM_400000_NS6detail17trampoline_kernelINS0_14default_configENS1_36segmented_radix_sort_config_selectorIalEEZNS1_25segmented_radix_sort_implIS3_Lb1EPKaPaPKlPlN2at6native12_GLOBAL__N_18offset_tEEE10hipError_tPvRmT1_PNSt15iterator_traitsISK_E10value_typeET2_T3_PNSL_ISQ_E10value_typeET4_jRbjT5_SW_jjP12ihipStream_tbEUlT_E0_NS1_11comp_targetILNS1_3genE9ELNS1_11target_archE1100ELNS1_3gpuE3ELNS1_3repE0EEENS1_60segmented_radix_sort_warp_sort_medium_config_static_selectorELNS0_4arch9wavefront6targetE1EEEvSK_,comdat
	.globl	_ZN7rocprim17ROCPRIM_400000_NS6detail17trampoline_kernelINS0_14default_configENS1_36segmented_radix_sort_config_selectorIalEEZNS1_25segmented_radix_sort_implIS3_Lb1EPKaPaPKlPlN2at6native12_GLOBAL__N_18offset_tEEE10hipError_tPvRmT1_PNSt15iterator_traitsISK_E10value_typeET2_T3_PNSL_ISQ_E10value_typeET4_jRbjT5_SW_jjP12ihipStream_tbEUlT_E0_NS1_11comp_targetILNS1_3genE9ELNS1_11target_archE1100ELNS1_3gpuE3ELNS1_3repE0EEENS1_60segmented_radix_sort_warp_sort_medium_config_static_selectorELNS0_4arch9wavefront6targetE1EEEvSK_ ; -- Begin function _ZN7rocprim17ROCPRIM_400000_NS6detail17trampoline_kernelINS0_14default_configENS1_36segmented_radix_sort_config_selectorIalEEZNS1_25segmented_radix_sort_implIS3_Lb1EPKaPaPKlPlN2at6native12_GLOBAL__N_18offset_tEEE10hipError_tPvRmT1_PNSt15iterator_traitsISK_E10value_typeET2_T3_PNSL_ISQ_E10value_typeET4_jRbjT5_SW_jjP12ihipStream_tbEUlT_E0_NS1_11comp_targetILNS1_3genE9ELNS1_11target_archE1100ELNS1_3gpuE3ELNS1_3repE0EEENS1_60segmented_radix_sort_warp_sort_medium_config_static_selectorELNS0_4arch9wavefront6targetE1EEEvSK_
	.p2align	8
	.type	_ZN7rocprim17ROCPRIM_400000_NS6detail17trampoline_kernelINS0_14default_configENS1_36segmented_radix_sort_config_selectorIalEEZNS1_25segmented_radix_sort_implIS3_Lb1EPKaPaPKlPlN2at6native12_GLOBAL__N_18offset_tEEE10hipError_tPvRmT1_PNSt15iterator_traitsISK_E10value_typeET2_T3_PNSL_ISQ_E10value_typeET4_jRbjT5_SW_jjP12ihipStream_tbEUlT_E0_NS1_11comp_targetILNS1_3genE9ELNS1_11target_archE1100ELNS1_3gpuE3ELNS1_3repE0EEENS1_60segmented_radix_sort_warp_sort_medium_config_static_selectorELNS0_4arch9wavefront6targetE1EEEvSK_,@function
_ZN7rocprim17ROCPRIM_400000_NS6detail17trampoline_kernelINS0_14default_configENS1_36segmented_radix_sort_config_selectorIalEEZNS1_25segmented_radix_sort_implIS3_Lb1EPKaPaPKlPlN2at6native12_GLOBAL__N_18offset_tEEE10hipError_tPvRmT1_PNSt15iterator_traitsISK_E10value_typeET2_T3_PNSL_ISQ_E10value_typeET4_jRbjT5_SW_jjP12ihipStream_tbEUlT_E0_NS1_11comp_targetILNS1_3genE9ELNS1_11target_archE1100ELNS1_3gpuE3ELNS1_3repE0EEENS1_60segmented_radix_sort_warp_sort_medium_config_static_selectorELNS0_4arch9wavefront6targetE1EEEvSK_: ; @_ZN7rocprim17ROCPRIM_400000_NS6detail17trampoline_kernelINS0_14default_configENS1_36segmented_radix_sort_config_selectorIalEEZNS1_25segmented_radix_sort_implIS3_Lb1EPKaPaPKlPlN2at6native12_GLOBAL__N_18offset_tEEE10hipError_tPvRmT1_PNSt15iterator_traitsISK_E10value_typeET2_T3_PNSL_ISQ_E10value_typeET4_jRbjT5_SW_jjP12ihipStream_tbEUlT_E0_NS1_11comp_targetILNS1_3genE9ELNS1_11target_archE1100ELNS1_3gpuE3ELNS1_3repE0EEENS1_60segmented_radix_sort_warp_sort_medium_config_static_selectorELNS0_4arch9wavefront6targetE1EEEvSK_
; %bb.0:
	.section	.rodata,"a",@progbits
	.p2align	6, 0x0
	.amdhsa_kernel _ZN7rocprim17ROCPRIM_400000_NS6detail17trampoline_kernelINS0_14default_configENS1_36segmented_radix_sort_config_selectorIalEEZNS1_25segmented_radix_sort_implIS3_Lb1EPKaPaPKlPlN2at6native12_GLOBAL__N_18offset_tEEE10hipError_tPvRmT1_PNSt15iterator_traitsISK_E10value_typeET2_T3_PNSL_ISQ_E10value_typeET4_jRbjT5_SW_jjP12ihipStream_tbEUlT_E0_NS1_11comp_targetILNS1_3genE9ELNS1_11target_archE1100ELNS1_3gpuE3ELNS1_3repE0EEENS1_60segmented_radix_sort_warp_sort_medium_config_static_selectorELNS0_4arch9wavefront6targetE1EEEvSK_
		.amdhsa_group_segment_fixed_size 0
		.amdhsa_private_segment_fixed_size 0
		.amdhsa_kernarg_size 88
		.amdhsa_user_sgpr_count 6
		.amdhsa_user_sgpr_private_segment_buffer 1
		.amdhsa_user_sgpr_dispatch_ptr 0
		.amdhsa_user_sgpr_queue_ptr 0
		.amdhsa_user_sgpr_kernarg_segment_ptr 1
		.amdhsa_user_sgpr_dispatch_id 0
		.amdhsa_user_sgpr_flat_scratch_init 0
		.amdhsa_user_sgpr_kernarg_preload_length 0
		.amdhsa_user_sgpr_kernarg_preload_offset 0
		.amdhsa_user_sgpr_private_segment_size 0
		.amdhsa_uses_dynamic_stack 0
		.amdhsa_system_sgpr_private_segment_wavefront_offset 0
		.amdhsa_system_sgpr_workgroup_id_x 1
		.amdhsa_system_sgpr_workgroup_id_y 0
		.amdhsa_system_sgpr_workgroup_id_z 0
		.amdhsa_system_sgpr_workgroup_info 0
		.amdhsa_system_vgpr_workitem_id 0
		.amdhsa_next_free_vgpr 1
		.amdhsa_next_free_sgpr 0
		.amdhsa_accum_offset 4
		.amdhsa_reserve_vcc 0
		.amdhsa_reserve_flat_scratch 0
		.amdhsa_float_round_mode_32 0
		.amdhsa_float_round_mode_16_64 0
		.amdhsa_float_denorm_mode_32 3
		.amdhsa_float_denorm_mode_16_64 3
		.amdhsa_dx10_clamp 1
		.amdhsa_ieee_mode 1
		.amdhsa_fp16_overflow 0
		.amdhsa_tg_split 0
		.amdhsa_exception_fp_ieee_invalid_op 0
		.amdhsa_exception_fp_denorm_src 0
		.amdhsa_exception_fp_ieee_div_zero 0
		.amdhsa_exception_fp_ieee_overflow 0
		.amdhsa_exception_fp_ieee_underflow 0
		.amdhsa_exception_fp_ieee_inexact 0
		.amdhsa_exception_int_div_zero 0
	.end_amdhsa_kernel
	.section	.text._ZN7rocprim17ROCPRIM_400000_NS6detail17trampoline_kernelINS0_14default_configENS1_36segmented_radix_sort_config_selectorIalEEZNS1_25segmented_radix_sort_implIS3_Lb1EPKaPaPKlPlN2at6native12_GLOBAL__N_18offset_tEEE10hipError_tPvRmT1_PNSt15iterator_traitsISK_E10value_typeET2_T3_PNSL_ISQ_E10value_typeET4_jRbjT5_SW_jjP12ihipStream_tbEUlT_E0_NS1_11comp_targetILNS1_3genE9ELNS1_11target_archE1100ELNS1_3gpuE3ELNS1_3repE0EEENS1_60segmented_radix_sort_warp_sort_medium_config_static_selectorELNS0_4arch9wavefront6targetE1EEEvSK_,"axG",@progbits,_ZN7rocprim17ROCPRIM_400000_NS6detail17trampoline_kernelINS0_14default_configENS1_36segmented_radix_sort_config_selectorIalEEZNS1_25segmented_radix_sort_implIS3_Lb1EPKaPaPKlPlN2at6native12_GLOBAL__N_18offset_tEEE10hipError_tPvRmT1_PNSt15iterator_traitsISK_E10value_typeET2_T3_PNSL_ISQ_E10value_typeET4_jRbjT5_SW_jjP12ihipStream_tbEUlT_E0_NS1_11comp_targetILNS1_3genE9ELNS1_11target_archE1100ELNS1_3gpuE3ELNS1_3repE0EEENS1_60segmented_radix_sort_warp_sort_medium_config_static_selectorELNS0_4arch9wavefront6targetE1EEEvSK_,comdat
.Lfunc_end308:
	.size	_ZN7rocprim17ROCPRIM_400000_NS6detail17trampoline_kernelINS0_14default_configENS1_36segmented_radix_sort_config_selectorIalEEZNS1_25segmented_radix_sort_implIS3_Lb1EPKaPaPKlPlN2at6native12_GLOBAL__N_18offset_tEEE10hipError_tPvRmT1_PNSt15iterator_traitsISK_E10value_typeET2_T3_PNSL_ISQ_E10value_typeET4_jRbjT5_SW_jjP12ihipStream_tbEUlT_E0_NS1_11comp_targetILNS1_3genE9ELNS1_11target_archE1100ELNS1_3gpuE3ELNS1_3repE0EEENS1_60segmented_radix_sort_warp_sort_medium_config_static_selectorELNS0_4arch9wavefront6targetE1EEEvSK_, .Lfunc_end308-_ZN7rocprim17ROCPRIM_400000_NS6detail17trampoline_kernelINS0_14default_configENS1_36segmented_radix_sort_config_selectorIalEEZNS1_25segmented_radix_sort_implIS3_Lb1EPKaPaPKlPlN2at6native12_GLOBAL__N_18offset_tEEE10hipError_tPvRmT1_PNSt15iterator_traitsISK_E10value_typeET2_T3_PNSL_ISQ_E10value_typeET4_jRbjT5_SW_jjP12ihipStream_tbEUlT_E0_NS1_11comp_targetILNS1_3genE9ELNS1_11target_archE1100ELNS1_3gpuE3ELNS1_3repE0EEENS1_60segmented_radix_sort_warp_sort_medium_config_static_selectorELNS0_4arch9wavefront6targetE1EEEvSK_
                                        ; -- End function
	.section	.AMDGPU.csdata,"",@progbits
; Kernel info:
; codeLenInByte = 0
; NumSgprs: 4
; NumVgprs: 0
; NumAgprs: 0
; TotalNumVgprs: 0
; ScratchSize: 0
; MemoryBound: 0
; FloatMode: 240
; IeeeMode: 1
; LDSByteSize: 0 bytes/workgroup (compile time only)
; SGPRBlocks: 0
; VGPRBlocks: 0
; NumSGPRsForWavesPerEU: 4
; NumVGPRsForWavesPerEU: 1
; AccumOffset: 4
; Occupancy: 8
; WaveLimiterHint : 0
; COMPUTE_PGM_RSRC2:SCRATCH_EN: 0
; COMPUTE_PGM_RSRC2:USER_SGPR: 6
; COMPUTE_PGM_RSRC2:TRAP_HANDLER: 0
; COMPUTE_PGM_RSRC2:TGID_X_EN: 1
; COMPUTE_PGM_RSRC2:TGID_Y_EN: 0
; COMPUTE_PGM_RSRC2:TGID_Z_EN: 0
; COMPUTE_PGM_RSRC2:TIDIG_COMP_CNT: 0
; COMPUTE_PGM_RSRC3_GFX90A:ACCUM_OFFSET: 0
; COMPUTE_PGM_RSRC3_GFX90A:TG_SPLIT: 0
	.section	.text._ZN7rocprim17ROCPRIM_400000_NS6detail17trampoline_kernelINS0_14default_configENS1_36segmented_radix_sort_config_selectorIalEEZNS1_25segmented_radix_sort_implIS3_Lb1EPKaPaPKlPlN2at6native12_GLOBAL__N_18offset_tEEE10hipError_tPvRmT1_PNSt15iterator_traitsISK_E10value_typeET2_T3_PNSL_ISQ_E10value_typeET4_jRbjT5_SW_jjP12ihipStream_tbEUlT_E0_NS1_11comp_targetILNS1_3genE8ELNS1_11target_archE1030ELNS1_3gpuE2ELNS1_3repE0EEENS1_60segmented_radix_sort_warp_sort_medium_config_static_selectorELNS0_4arch9wavefront6targetE1EEEvSK_,"axG",@progbits,_ZN7rocprim17ROCPRIM_400000_NS6detail17trampoline_kernelINS0_14default_configENS1_36segmented_radix_sort_config_selectorIalEEZNS1_25segmented_radix_sort_implIS3_Lb1EPKaPaPKlPlN2at6native12_GLOBAL__N_18offset_tEEE10hipError_tPvRmT1_PNSt15iterator_traitsISK_E10value_typeET2_T3_PNSL_ISQ_E10value_typeET4_jRbjT5_SW_jjP12ihipStream_tbEUlT_E0_NS1_11comp_targetILNS1_3genE8ELNS1_11target_archE1030ELNS1_3gpuE2ELNS1_3repE0EEENS1_60segmented_radix_sort_warp_sort_medium_config_static_selectorELNS0_4arch9wavefront6targetE1EEEvSK_,comdat
	.globl	_ZN7rocprim17ROCPRIM_400000_NS6detail17trampoline_kernelINS0_14default_configENS1_36segmented_radix_sort_config_selectorIalEEZNS1_25segmented_radix_sort_implIS3_Lb1EPKaPaPKlPlN2at6native12_GLOBAL__N_18offset_tEEE10hipError_tPvRmT1_PNSt15iterator_traitsISK_E10value_typeET2_T3_PNSL_ISQ_E10value_typeET4_jRbjT5_SW_jjP12ihipStream_tbEUlT_E0_NS1_11comp_targetILNS1_3genE8ELNS1_11target_archE1030ELNS1_3gpuE2ELNS1_3repE0EEENS1_60segmented_radix_sort_warp_sort_medium_config_static_selectorELNS0_4arch9wavefront6targetE1EEEvSK_ ; -- Begin function _ZN7rocprim17ROCPRIM_400000_NS6detail17trampoline_kernelINS0_14default_configENS1_36segmented_radix_sort_config_selectorIalEEZNS1_25segmented_radix_sort_implIS3_Lb1EPKaPaPKlPlN2at6native12_GLOBAL__N_18offset_tEEE10hipError_tPvRmT1_PNSt15iterator_traitsISK_E10value_typeET2_T3_PNSL_ISQ_E10value_typeET4_jRbjT5_SW_jjP12ihipStream_tbEUlT_E0_NS1_11comp_targetILNS1_3genE8ELNS1_11target_archE1030ELNS1_3gpuE2ELNS1_3repE0EEENS1_60segmented_radix_sort_warp_sort_medium_config_static_selectorELNS0_4arch9wavefront6targetE1EEEvSK_
	.p2align	8
	.type	_ZN7rocprim17ROCPRIM_400000_NS6detail17trampoline_kernelINS0_14default_configENS1_36segmented_radix_sort_config_selectorIalEEZNS1_25segmented_radix_sort_implIS3_Lb1EPKaPaPKlPlN2at6native12_GLOBAL__N_18offset_tEEE10hipError_tPvRmT1_PNSt15iterator_traitsISK_E10value_typeET2_T3_PNSL_ISQ_E10value_typeET4_jRbjT5_SW_jjP12ihipStream_tbEUlT_E0_NS1_11comp_targetILNS1_3genE8ELNS1_11target_archE1030ELNS1_3gpuE2ELNS1_3repE0EEENS1_60segmented_radix_sort_warp_sort_medium_config_static_selectorELNS0_4arch9wavefront6targetE1EEEvSK_,@function
_ZN7rocprim17ROCPRIM_400000_NS6detail17trampoline_kernelINS0_14default_configENS1_36segmented_radix_sort_config_selectorIalEEZNS1_25segmented_radix_sort_implIS3_Lb1EPKaPaPKlPlN2at6native12_GLOBAL__N_18offset_tEEE10hipError_tPvRmT1_PNSt15iterator_traitsISK_E10value_typeET2_T3_PNSL_ISQ_E10value_typeET4_jRbjT5_SW_jjP12ihipStream_tbEUlT_E0_NS1_11comp_targetILNS1_3genE8ELNS1_11target_archE1030ELNS1_3gpuE2ELNS1_3repE0EEENS1_60segmented_radix_sort_warp_sort_medium_config_static_selectorELNS0_4arch9wavefront6targetE1EEEvSK_: ; @_ZN7rocprim17ROCPRIM_400000_NS6detail17trampoline_kernelINS0_14default_configENS1_36segmented_radix_sort_config_selectorIalEEZNS1_25segmented_radix_sort_implIS3_Lb1EPKaPaPKlPlN2at6native12_GLOBAL__N_18offset_tEEE10hipError_tPvRmT1_PNSt15iterator_traitsISK_E10value_typeET2_T3_PNSL_ISQ_E10value_typeET4_jRbjT5_SW_jjP12ihipStream_tbEUlT_E0_NS1_11comp_targetILNS1_3genE8ELNS1_11target_archE1030ELNS1_3gpuE2ELNS1_3repE0EEENS1_60segmented_radix_sort_warp_sort_medium_config_static_selectorELNS0_4arch9wavefront6targetE1EEEvSK_
; %bb.0:
	.section	.rodata,"a",@progbits
	.p2align	6, 0x0
	.amdhsa_kernel _ZN7rocprim17ROCPRIM_400000_NS6detail17trampoline_kernelINS0_14default_configENS1_36segmented_radix_sort_config_selectorIalEEZNS1_25segmented_radix_sort_implIS3_Lb1EPKaPaPKlPlN2at6native12_GLOBAL__N_18offset_tEEE10hipError_tPvRmT1_PNSt15iterator_traitsISK_E10value_typeET2_T3_PNSL_ISQ_E10value_typeET4_jRbjT5_SW_jjP12ihipStream_tbEUlT_E0_NS1_11comp_targetILNS1_3genE8ELNS1_11target_archE1030ELNS1_3gpuE2ELNS1_3repE0EEENS1_60segmented_radix_sort_warp_sort_medium_config_static_selectorELNS0_4arch9wavefront6targetE1EEEvSK_
		.amdhsa_group_segment_fixed_size 0
		.amdhsa_private_segment_fixed_size 0
		.amdhsa_kernarg_size 88
		.amdhsa_user_sgpr_count 6
		.amdhsa_user_sgpr_private_segment_buffer 1
		.amdhsa_user_sgpr_dispatch_ptr 0
		.amdhsa_user_sgpr_queue_ptr 0
		.amdhsa_user_sgpr_kernarg_segment_ptr 1
		.amdhsa_user_sgpr_dispatch_id 0
		.amdhsa_user_sgpr_flat_scratch_init 0
		.amdhsa_user_sgpr_kernarg_preload_length 0
		.amdhsa_user_sgpr_kernarg_preload_offset 0
		.amdhsa_user_sgpr_private_segment_size 0
		.amdhsa_uses_dynamic_stack 0
		.amdhsa_system_sgpr_private_segment_wavefront_offset 0
		.amdhsa_system_sgpr_workgroup_id_x 1
		.amdhsa_system_sgpr_workgroup_id_y 0
		.amdhsa_system_sgpr_workgroup_id_z 0
		.amdhsa_system_sgpr_workgroup_info 0
		.amdhsa_system_vgpr_workitem_id 0
		.amdhsa_next_free_vgpr 1
		.amdhsa_next_free_sgpr 0
		.amdhsa_accum_offset 4
		.amdhsa_reserve_vcc 0
		.amdhsa_reserve_flat_scratch 0
		.amdhsa_float_round_mode_32 0
		.amdhsa_float_round_mode_16_64 0
		.amdhsa_float_denorm_mode_32 3
		.amdhsa_float_denorm_mode_16_64 3
		.amdhsa_dx10_clamp 1
		.amdhsa_ieee_mode 1
		.amdhsa_fp16_overflow 0
		.amdhsa_tg_split 0
		.amdhsa_exception_fp_ieee_invalid_op 0
		.amdhsa_exception_fp_denorm_src 0
		.amdhsa_exception_fp_ieee_div_zero 0
		.amdhsa_exception_fp_ieee_overflow 0
		.amdhsa_exception_fp_ieee_underflow 0
		.amdhsa_exception_fp_ieee_inexact 0
		.amdhsa_exception_int_div_zero 0
	.end_amdhsa_kernel
	.section	.text._ZN7rocprim17ROCPRIM_400000_NS6detail17trampoline_kernelINS0_14default_configENS1_36segmented_radix_sort_config_selectorIalEEZNS1_25segmented_radix_sort_implIS3_Lb1EPKaPaPKlPlN2at6native12_GLOBAL__N_18offset_tEEE10hipError_tPvRmT1_PNSt15iterator_traitsISK_E10value_typeET2_T3_PNSL_ISQ_E10value_typeET4_jRbjT5_SW_jjP12ihipStream_tbEUlT_E0_NS1_11comp_targetILNS1_3genE8ELNS1_11target_archE1030ELNS1_3gpuE2ELNS1_3repE0EEENS1_60segmented_radix_sort_warp_sort_medium_config_static_selectorELNS0_4arch9wavefront6targetE1EEEvSK_,"axG",@progbits,_ZN7rocprim17ROCPRIM_400000_NS6detail17trampoline_kernelINS0_14default_configENS1_36segmented_radix_sort_config_selectorIalEEZNS1_25segmented_radix_sort_implIS3_Lb1EPKaPaPKlPlN2at6native12_GLOBAL__N_18offset_tEEE10hipError_tPvRmT1_PNSt15iterator_traitsISK_E10value_typeET2_T3_PNSL_ISQ_E10value_typeET4_jRbjT5_SW_jjP12ihipStream_tbEUlT_E0_NS1_11comp_targetILNS1_3genE8ELNS1_11target_archE1030ELNS1_3gpuE2ELNS1_3repE0EEENS1_60segmented_radix_sort_warp_sort_medium_config_static_selectorELNS0_4arch9wavefront6targetE1EEEvSK_,comdat
.Lfunc_end309:
	.size	_ZN7rocprim17ROCPRIM_400000_NS6detail17trampoline_kernelINS0_14default_configENS1_36segmented_radix_sort_config_selectorIalEEZNS1_25segmented_radix_sort_implIS3_Lb1EPKaPaPKlPlN2at6native12_GLOBAL__N_18offset_tEEE10hipError_tPvRmT1_PNSt15iterator_traitsISK_E10value_typeET2_T3_PNSL_ISQ_E10value_typeET4_jRbjT5_SW_jjP12ihipStream_tbEUlT_E0_NS1_11comp_targetILNS1_3genE8ELNS1_11target_archE1030ELNS1_3gpuE2ELNS1_3repE0EEENS1_60segmented_radix_sort_warp_sort_medium_config_static_selectorELNS0_4arch9wavefront6targetE1EEEvSK_, .Lfunc_end309-_ZN7rocprim17ROCPRIM_400000_NS6detail17trampoline_kernelINS0_14default_configENS1_36segmented_radix_sort_config_selectorIalEEZNS1_25segmented_radix_sort_implIS3_Lb1EPKaPaPKlPlN2at6native12_GLOBAL__N_18offset_tEEE10hipError_tPvRmT1_PNSt15iterator_traitsISK_E10value_typeET2_T3_PNSL_ISQ_E10value_typeET4_jRbjT5_SW_jjP12ihipStream_tbEUlT_E0_NS1_11comp_targetILNS1_3genE8ELNS1_11target_archE1030ELNS1_3gpuE2ELNS1_3repE0EEENS1_60segmented_radix_sort_warp_sort_medium_config_static_selectorELNS0_4arch9wavefront6targetE1EEEvSK_
                                        ; -- End function
	.section	.AMDGPU.csdata,"",@progbits
; Kernel info:
; codeLenInByte = 0
; NumSgprs: 4
; NumVgprs: 0
; NumAgprs: 0
; TotalNumVgprs: 0
; ScratchSize: 0
; MemoryBound: 0
; FloatMode: 240
; IeeeMode: 1
; LDSByteSize: 0 bytes/workgroup (compile time only)
; SGPRBlocks: 0
; VGPRBlocks: 0
; NumSGPRsForWavesPerEU: 4
; NumVGPRsForWavesPerEU: 1
; AccumOffset: 4
; Occupancy: 8
; WaveLimiterHint : 0
; COMPUTE_PGM_RSRC2:SCRATCH_EN: 0
; COMPUTE_PGM_RSRC2:USER_SGPR: 6
; COMPUTE_PGM_RSRC2:TRAP_HANDLER: 0
; COMPUTE_PGM_RSRC2:TGID_X_EN: 1
; COMPUTE_PGM_RSRC2:TGID_Y_EN: 0
; COMPUTE_PGM_RSRC2:TGID_Z_EN: 0
; COMPUTE_PGM_RSRC2:TIDIG_COMP_CNT: 0
; COMPUTE_PGM_RSRC3_GFX90A:ACCUM_OFFSET: 0
; COMPUTE_PGM_RSRC3_GFX90A:TG_SPLIT: 0
	.section	.text._ZN7rocprim17ROCPRIM_400000_NS6detail17trampoline_kernelINS0_14default_configENS1_36segmented_radix_sort_config_selectorIalEEZNS1_25segmented_radix_sort_implIS3_Lb1EPKaPaPKlPlN2at6native12_GLOBAL__N_18offset_tEEE10hipError_tPvRmT1_PNSt15iterator_traitsISK_E10value_typeET2_T3_PNSL_ISQ_E10value_typeET4_jRbjT5_SW_jjP12ihipStream_tbEUlT_E1_NS1_11comp_targetILNS1_3genE0ELNS1_11target_archE4294967295ELNS1_3gpuE0ELNS1_3repE0EEENS1_59segmented_radix_sort_warp_sort_small_config_static_selectorELNS0_4arch9wavefront6targetE1EEEvSK_,"axG",@progbits,_ZN7rocprim17ROCPRIM_400000_NS6detail17trampoline_kernelINS0_14default_configENS1_36segmented_radix_sort_config_selectorIalEEZNS1_25segmented_radix_sort_implIS3_Lb1EPKaPaPKlPlN2at6native12_GLOBAL__N_18offset_tEEE10hipError_tPvRmT1_PNSt15iterator_traitsISK_E10value_typeET2_T3_PNSL_ISQ_E10value_typeET4_jRbjT5_SW_jjP12ihipStream_tbEUlT_E1_NS1_11comp_targetILNS1_3genE0ELNS1_11target_archE4294967295ELNS1_3gpuE0ELNS1_3repE0EEENS1_59segmented_radix_sort_warp_sort_small_config_static_selectorELNS0_4arch9wavefront6targetE1EEEvSK_,comdat
	.globl	_ZN7rocprim17ROCPRIM_400000_NS6detail17trampoline_kernelINS0_14default_configENS1_36segmented_radix_sort_config_selectorIalEEZNS1_25segmented_radix_sort_implIS3_Lb1EPKaPaPKlPlN2at6native12_GLOBAL__N_18offset_tEEE10hipError_tPvRmT1_PNSt15iterator_traitsISK_E10value_typeET2_T3_PNSL_ISQ_E10value_typeET4_jRbjT5_SW_jjP12ihipStream_tbEUlT_E1_NS1_11comp_targetILNS1_3genE0ELNS1_11target_archE4294967295ELNS1_3gpuE0ELNS1_3repE0EEENS1_59segmented_radix_sort_warp_sort_small_config_static_selectorELNS0_4arch9wavefront6targetE1EEEvSK_ ; -- Begin function _ZN7rocprim17ROCPRIM_400000_NS6detail17trampoline_kernelINS0_14default_configENS1_36segmented_radix_sort_config_selectorIalEEZNS1_25segmented_radix_sort_implIS3_Lb1EPKaPaPKlPlN2at6native12_GLOBAL__N_18offset_tEEE10hipError_tPvRmT1_PNSt15iterator_traitsISK_E10value_typeET2_T3_PNSL_ISQ_E10value_typeET4_jRbjT5_SW_jjP12ihipStream_tbEUlT_E1_NS1_11comp_targetILNS1_3genE0ELNS1_11target_archE4294967295ELNS1_3gpuE0ELNS1_3repE0EEENS1_59segmented_radix_sort_warp_sort_small_config_static_selectorELNS0_4arch9wavefront6targetE1EEEvSK_
	.p2align	8
	.type	_ZN7rocprim17ROCPRIM_400000_NS6detail17trampoline_kernelINS0_14default_configENS1_36segmented_radix_sort_config_selectorIalEEZNS1_25segmented_radix_sort_implIS3_Lb1EPKaPaPKlPlN2at6native12_GLOBAL__N_18offset_tEEE10hipError_tPvRmT1_PNSt15iterator_traitsISK_E10value_typeET2_T3_PNSL_ISQ_E10value_typeET4_jRbjT5_SW_jjP12ihipStream_tbEUlT_E1_NS1_11comp_targetILNS1_3genE0ELNS1_11target_archE4294967295ELNS1_3gpuE0ELNS1_3repE0EEENS1_59segmented_radix_sort_warp_sort_small_config_static_selectorELNS0_4arch9wavefront6targetE1EEEvSK_,@function
_ZN7rocprim17ROCPRIM_400000_NS6detail17trampoline_kernelINS0_14default_configENS1_36segmented_radix_sort_config_selectorIalEEZNS1_25segmented_radix_sort_implIS3_Lb1EPKaPaPKlPlN2at6native12_GLOBAL__N_18offset_tEEE10hipError_tPvRmT1_PNSt15iterator_traitsISK_E10value_typeET2_T3_PNSL_ISQ_E10value_typeET4_jRbjT5_SW_jjP12ihipStream_tbEUlT_E1_NS1_11comp_targetILNS1_3genE0ELNS1_11target_archE4294967295ELNS1_3gpuE0ELNS1_3repE0EEENS1_59segmented_radix_sort_warp_sort_small_config_static_selectorELNS0_4arch9wavefront6targetE1EEEvSK_: ; @_ZN7rocprim17ROCPRIM_400000_NS6detail17trampoline_kernelINS0_14default_configENS1_36segmented_radix_sort_config_selectorIalEEZNS1_25segmented_radix_sort_implIS3_Lb1EPKaPaPKlPlN2at6native12_GLOBAL__N_18offset_tEEE10hipError_tPvRmT1_PNSt15iterator_traitsISK_E10value_typeET2_T3_PNSL_ISQ_E10value_typeET4_jRbjT5_SW_jjP12ihipStream_tbEUlT_E1_NS1_11comp_targetILNS1_3genE0ELNS1_11target_archE4294967295ELNS1_3gpuE0ELNS1_3repE0EEENS1_59segmented_radix_sort_warp_sort_small_config_static_selectorELNS0_4arch9wavefront6targetE1EEEvSK_
; %bb.0:
	.section	.rodata,"a",@progbits
	.p2align	6, 0x0
	.amdhsa_kernel _ZN7rocprim17ROCPRIM_400000_NS6detail17trampoline_kernelINS0_14default_configENS1_36segmented_radix_sort_config_selectorIalEEZNS1_25segmented_radix_sort_implIS3_Lb1EPKaPaPKlPlN2at6native12_GLOBAL__N_18offset_tEEE10hipError_tPvRmT1_PNSt15iterator_traitsISK_E10value_typeET2_T3_PNSL_ISQ_E10value_typeET4_jRbjT5_SW_jjP12ihipStream_tbEUlT_E1_NS1_11comp_targetILNS1_3genE0ELNS1_11target_archE4294967295ELNS1_3gpuE0ELNS1_3repE0EEENS1_59segmented_radix_sort_warp_sort_small_config_static_selectorELNS0_4arch9wavefront6targetE1EEEvSK_
		.amdhsa_group_segment_fixed_size 0
		.amdhsa_private_segment_fixed_size 0
		.amdhsa_kernarg_size 88
		.amdhsa_user_sgpr_count 6
		.amdhsa_user_sgpr_private_segment_buffer 1
		.amdhsa_user_sgpr_dispatch_ptr 0
		.amdhsa_user_sgpr_queue_ptr 0
		.amdhsa_user_sgpr_kernarg_segment_ptr 1
		.amdhsa_user_sgpr_dispatch_id 0
		.amdhsa_user_sgpr_flat_scratch_init 0
		.amdhsa_user_sgpr_kernarg_preload_length 0
		.amdhsa_user_sgpr_kernarg_preload_offset 0
		.amdhsa_user_sgpr_private_segment_size 0
		.amdhsa_uses_dynamic_stack 0
		.amdhsa_system_sgpr_private_segment_wavefront_offset 0
		.amdhsa_system_sgpr_workgroup_id_x 1
		.amdhsa_system_sgpr_workgroup_id_y 0
		.amdhsa_system_sgpr_workgroup_id_z 0
		.amdhsa_system_sgpr_workgroup_info 0
		.amdhsa_system_vgpr_workitem_id 0
		.amdhsa_next_free_vgpr 1
		.amdhsa_next_free_sgpr 0
		.amdhsa_accum_offset 4
		.amdhsa_reserve_vcc 0
		.amdhsa_reserve_flat_scratch 0
		.amdhsa_float_round_mode_32 0
		.amdhsa_float_round_mode_16_64 0
		.amdhsa_float_denorm_mode_32 3
		.amdhsa_float_denorm_mode_16_64 3
		.amdhsa_dx10_clamp 1
		.amdhsa_ieee_mode 1
		.amdhsa_fp16_overflow 0
		.amdhsa_tg_split 0
		.amdhsa_exception_fp_ieee_invalid_op 0
		.amdhsa_exception_fp_denorm_src 0
		.amdhsa_exception_fp_ieee_div_zero 0
		.amdhsa_exception_fp_ieee_overflow 0
		.amdhsa_exception_fp_ieee_underflow 0
		.amdhsa_exception_fp_ieee_inexact 0
		.amdhsa_exception_int_div_zero 0
	.end_amdhsa_kernel
	.section	.text._ZN7rocprim17ROCPRIM_400000_NS6detail17trampoline_kernelINS0_14default_configENS1_36segmented_radix_sort_config_selectorIalEEZNS1_25segmented_radix_sort_implIS3_Lb1EPKaPaPKlPlN2at6native12_GLOBAL__N_18offset_tEEE10hipError_tPvRmT1_PNSt15iterator_traitsISK_E10value_typeET2_T3_PNSL_ISQ_E10value_typeET4_jRbjT5_SW_jjP12ihipStream_tbEUlT_E1_NS1_11comp_targetILNS1_3genE0ELNS1_11target_archE4294967295ELNS1_3gpuE0ELNS1_3repE0EEENS1_59segmented_radix_sort_warp_sort_small_config_static_selectorELNS0_4arch9wavefront6targetE1EEEvSK_,"axG",@progbits,_ZN7rocprim17ROCPRIM_400000_NS6detail17trampoline_kernelINS0_14default_configENS1_36segmented_radix_sort_config_selectorIalEEZNS1_25segmented_radix_sort_implIS3_Lb1EPKaPaPKlPlN2at6native12_GLOBAL__N_18offset_tEEE10hipError_tPvRmT1_PNSt15iterator_traitsISK_E10value_typeET2_T3_PNSL_ISQ_E10value_typeET4_jRbjT5_SW_jjP12ihipStream_tbEUlT_E1_NS1_11comp_targetILNS1_3genE0ELNS1_11target_archE4294967295ELNS1_3gpuE0ELNS1_3repE0EEENS1_59segmented_radix_sort_warp_sort_small_config_static_selectorELNS0_4arch9wavefront6targetE1EEEvSK_,comdat
.Lfunc_end310:
	.size	_ZN7rocprim17ROCPRIM_400000_NS6detail17trampoline_kernelINS0_14default_configENS1_36segmented_radix_sort_config_selectorIalEEZNS1_25segmented_radix_sort_implIS3_Lb1EPKaPaPKlPlN2at6native12_GLOBAL__N_18offset_tEEE10hipError_tPvRmT1_PNSt15iterator_traitsISK_E10value_typeET2_T3_PNSL_ISQ_E10value_typeET4_jRbjT5_SW_jjP12ihipStream_tbEUlT_E1_NS1_11comp_targetILNS1_3genE0ELNS1_11target_archE4294967295ELNS1_3gpuE0ELNS1_3repE0EEENS1_59segmented_radix_sort_warp_sort_small_config_static_selectorELNS0_4arch9wavefront6targetE1EEEvSK_, .Lfunc_end310-_ZN7rocprim17ROCPRIM_400000_NS6detail17trampoline_kernelINS0_14default_configENS1_36segmented_radix_sort_config_selectorIalEEZNS1_25segmented_radix_sort_implIS3_Lb1EPKaPaPKlPlN2at6native12_GLOBAL__N_18offset_tEEE10hipError_tPvRmT1_PNSt15iterator_traitsISK_E10value_typeET2_T3_PNSL_ISQ_E10value_typeET4_jRbjT5_SW_jjP12ihipStream_tbEUlT_E1_NS1_11comp_targetILNS1_3genE0ELNS1_11target_archE4294967295ELNS1_3gpuE0ELNS1_3repE0EEENS1_59segmented_radix_sort_warp_sort_small_config_static_selectorELNS0_4arch9wavefront6targetE1EEEvSK_
                                        ; -- End function
	.section	.AMDGPU.csdata,"",@progbits
; Kernel info:
; codeLenInByte = 0
; NumSgprs: 4
; NumVgprs: 0
; NumAgprs: 0
; TotalNumVgprs: 0
; ScratchSize: 0
; MemoryBound: 0
; FloatMode: 240
; IeeeMode: 1
; LDSByteSize: 0 bytes/workgroup (compile time only)
; SGPRBlocks: 0
; VGPRBlocks: 0
; NumSGPRsForWavesPerEU: 4
; NumVGPRsForWavesPerEU: 1
; AccumOffset: 4
; Occupancy: 8
; WaveLimiterHint : 0
; COMPUTE_PGM_RSRC2:SCRATCH_EN: 0
; COMPUTE_PGM_RSRC2:USER_SGPR: 6
; COMPUTE_PGM_RSRC2:TRAP_HANDLER: 0
; COMPUTE_PGM_RSRC2:TGID_X_EN: 1
; COMPUTE_PGM_RSRC2:TGID_Y_EN: 0
; COMPUTE_PGM_RSRC2:TGID_Z_EN: 0
; COMPUTE_PGM_RSRC2:TIDIG_COMP_CNT: 0
; COMPUTE_PGM_RSRC3_GFX90A:ACCUM_OFFSET: 0
; COMPUTE_PGM_RSRC3_GFX90A:TG_SPLIT: 0
	.section	.text._ZN7rocprim17ROCPRIM_400000_NS6detail17trampoline_kernelINS0_14default_configENS1_36segmented_radix_sort_config_selectorIalEEZNS1_25segmented_radix_sort_implIS3_Lb1EPKaPaPKlPlN2at6native12_GLOBAL__N_18offset_tEEE10hipError_tPvRmT1_PNSt15iterator_traitsISK_E10value_typeET2_T3_PNSL_ISQ_E10value_typeET4_jRbjT5_SW_jjP12ihipStream_tbEUlT_E1_NS1_11comp_targetILNS1_3genE5ELNS1_11target_archE942ELNS1_3gpuE9ELNS1_3repE0EEENS1_59segmented_radix_sort_warp_sort_small_config_static_selectorELNS0_4arch9wavefront6targetE1EEEvSK_,"axG",@progbits,_ZN7rocprim17ROCPRIM_400000_NS6detail17trampoline_kernelINS0_14default_configENS1_36segmented_radix_sort_config_selectorIalEEZNS1_25segmented_radix_sort_implIS3_Lb1EPKaPaPKlPlN2at6native12_GLOBAL__N_18offset_tEEE10hipError_tPvRmT1_PNSt15iterator_traitsISK_E10value_typeET2_T3_PNSL_ISQ_E10value_typeET4_jRbjT5_SW_jjP12ihipStream_tbEUlT_E1_NS1_11comp_targetILNS1_3genE5ELNS1_11target_archE942ELNS1_3gpuE9ELNS1_3repE0EEENS1_59segmented_radix_sort_warp_sort_small_config_static_selectorELNS0_4arch9wavefront6targetE1EEEvSK_,comdat
	.globl	_ZN7rocprim17ROCPRIM_400000_NS6detail17trampoline_kernelINS0_14default_configENS1_36segmented_radix_sort_config_selectorIalEEZNS1_25segmented_radix_sort_implIS3_Lb1EPKaPaPKlPlN2at6native12_GLOBAL__N_18offset_tEEE10hipError_tPvRmT1_PNSt15iterator_traitsISK_E10value_typeET2_T3_PNSL_ISQ_E10value_typeET4_jRbjT5_SW_jjP12ihipStream_tbEUlT_E1_NS1_11comp_targetILNS1_3genE5ELNS1_11target_archE942ELNS1_3gpuE9ELNS1_3repE0EEENS1_59segmented_radix_sort_warp_sort_small_config_static_selectorELNS0_4arch9wavefront6targetE1EEEvSK_ ; -- Begin function _ZN7rocprim17ROCPRIM_400000_NS6detail17trampoline_kernelINS0_14default_configENS1_36segmented_radix_sort_config_selectorIalEEZNS1_25segmented_radix_sort_implIS3_Lb1EPKaPaPKlPlN2at6native12_GLOBAL__N_18offset_tEEE10hipError_tPvRmT1_PNSt15iterator_traitsISK_E10value_typeET2_T3_PNSL_ISQ_E10value_typeET4_jRbjT5_SW_jjP12ihipStream_tbEUlT_E1_NS1_11comp_targetILNS1_3genE5ELNS1_11target_archE942ELNS1_3gpuE9ELNS1_3repE0EEENS1_59segmented_radix_sort_warp_sort_small_config_static_selectorELNS0_4arch9wavefront6targetE1EEEvSK_
	.p2align	8
	.type	_ZN7rocprim17ROCPRIM_400000_NS6detail17trampoline_kernelINS0_14default_configENS1_36segmented_radix_sort_config_selectorIalEEZNS1_25segmented_radix_sort_implIS3_Lb1EPKaPaPKlPlN2at6native12_GLOBAL__N_18offset_tEEE10hipError_tPvRmT1_PNSt15iterator_traitsISK_E10value_typeET2_T3_PNSL_ISQ_E10value_typeET4_jRbjT5_SW_jjP12ihipStream_tbEUlT_E1_NS1_11comp_targetILNS1_3genE5ELNS1_11target_archE942ELNS1_3gpuE9ELNS1_3repE0EEENS1_59segmented_radix_sort_warp_sort_small_config_static_selectorELNS0_4arch9wavefront6targetE1EEEvSK_,@function
_ZN7rocprim17ROCPRIM_400000_NS6detail17trampoline_kernelINS0_14default_configENS1_36segmented_radix_sort_config_selectorIalEEZNS1_25segmented_radix_sort_implIS3_Lb1EPKaPaPKlPlN2at6native12_GLOBAL__N_18offset_tEEE10hipError_tPvRmT1_PNSt15iterator_traitsISK_E10value_typeET2_T3_PNSL_ISQ_E10value_typeET4_jRbjT5_SW_jjP12ihipStream_tbEUlT_E1_NS1_11comp_targetILNS1_3genE5ELNS1_11target_archE942ELNS1_3gpuE9ELNS1_3repE0EEENS1_59segmented_radix_sort_warp_sort_small_config_static_selectorELNS0_4arch9wavefront6targetE1EEEvSK_: ; @_ZN7rocprim17ROCPRIM_400000_NS6detail17trampoline_kernelINS0_14default_configENS1_36segmented_radix_sort_config_selectorIalEEZNS1_25segmented_radix_sort_implIS3_Lb1EPKaPaPKlPlN2at6native12_GLOBAL__N_18offset_tEEE10hipError_tPvRmT1_PNSt15iterator_traitsISK_E10value_typeET2_T3_PNSL_ISQ_E10value_typeET4_jRbjT5_SW_jjP12ihipStream_tbEUlT_E1_NS1_11comp_targetILNS1_3genE5ELNS1_11target_archE942ELNS1_3gpuE9ELNS1_3repE0EEENS1_59segmented_radix_sort_warp_sort_small_config_static_selectorELNS0_4arch9wavefront6targetE1EEEvSK_
; %bb.0:
	.section	.rodata,"a",@progbits
	.p2align	6, 0x0
	.amdhsa_kernel _ZN7rocprim17ROCPRIM_400000_NS6detail17trampoline_kernelINS0_14default_configENS1_36segmented_radix_sort_config_selectorIalEEZNS1_25segmented_radix_sort_implIS3_Lb1EPKaPaPKlPlN2at6native12_GLOBAL__N_18offset_tEEE10hipError_tPvRmT1_PNSt15iterator_traitsISK_E10value_typeET2_T3_PNSL_ISQ_E10value_typeET4_jRbjT5_SW_jjP12ihipStream_tbEUlT_E1_NS1_11comp_targetILNS1_3genE5ELNS1_11target_archE942ELNS1_3gpuE9ELNS1_3repE0EEENS1_59segmented_radix_sort_warp_sort_small_config_static_selectorELNS0_4arch9wavefront6targetE1EEEvSK_
		.amdhsa_group_segment_fixed_size 0
		.amdhsa_private_segment_fixed_size 0
		.amdhsa_kernarg_size 88
		.amdhsa_user_sgpr_count 6
		.amdhsa_user_sgpr_private_segment_buffer 1
		.amdhsa_user_sgpr_dispatch_ptr 0
		.amdhsa_user_sgpr_queue_ptr 0
		.amdhsa_user_sgpr_kernarg_segment_ptr 1
		.amdhsa_user_sgpr_dispatch_id 0
		.amdhsa_user_sgpr_flat_scratch_init 0
		.amdhsa_user_sgpr_kernarg_preload_length 0
		.amdhsa_user_sgpr_kernarg_preload_offset 0
		.amdhsa_user_sgpr_private_segment_size 0
		.amdhsa_uses_dynamic_stack 0
		.amdhsa_system_sgpr_private_segment_wavefront_offset 0
		.amdhsa_system_sgpr_workgroup_id_x 1
		.amdhsa_system_sgpr_workgroup_id_y 0
		.amdhsa_system_sgpr_workgroup_id_z 0
		.amdhsa_system_sgpr_workgroup_info 0
		.amdhsa_system_vgpr_workitem_id 0
		.amdhsa_next_free_vgpr 1
		.amdhsa_next_free_sgpr 0
		.amdhsa_accum_offset 4
		.amdhsa_reserve_vcc 0
		.amdhsa_reserve_flat_scratch 0
		.amdhsa_float_round_mode_32 0
		.amdhsa_float_round_mode_16_64 0
		.amdhsa_float_denorm_mode_32 3
		.amdhsa_float_denorm_mode_16_64 3
		.amdhsa_dx10_clamp 1
		.amdhsa_ieee_mode 1
		.amdhsa_fp16_overflow 0
		.amdhsa_tg_split 0
		.amdhsa_exception_fp_ieee_invalid_op 0
		.amdhsa_exception_fp_denorm_src 0
		.amdhsa_exception_fp_ieee_div_zero 0
		.amdhsa_exception_fp_ieee_overflow 0
		.amdhsa_exception_fp_ieee_underflow 0
		.amdhsa_exception_fp_ieee_inexact 0
		.amdhsa_exception_int_div_zero 0
	.end_amdhsa_kernel
	.section	.text._ZN7rocprim17ROCPRIM_400000_NS6detail17trampoline_kernelINS0_14default_configENS1_36segmented_radix_sort_config_selectorIalEEZNS1_25segmented_radix_sort_implIS3_Lb1EPKaPaPKlPlN2at6native12_GLOBAL__N_18offset_tEEE10hipError_tPvRmT1_PNSt15iterator_traitsISK_E10value_typeET2_T3_PNSL_ISQ_E10value_typeET4_jRbjT5_SW_jjP12ihipStream_tbEUlT_E1_NS1_11comp_targetILNS1_3genE5ELNS1_11target_archE942ELNS1_3gpuE9ELNS1_3repE0EEENS1_59segmented_radix_sort_warp_sort_small_config_static_selectorELNS0_4arch9wavefront6targetE1EEEvSK_,"axG",@progbits,_ZN7rocprim17ROCPRIM_400000_NS6detail17trampoline_kernelINS0_14default_configENS1_36segmented_radix_sort_config_selectorIalEEZNS1_25segmented_radix_sort_implIS3_Lb1EPKaPaPKlPlN2at6native12_GLOBAL__N_18offset_tEEE10hipError_tPvRmT1_PNSt15iterator_traitsISK_E10value_typeET2_T3_PNSL_ISQ_E10value_typeET4_jRbjT5_SW_jjP12ihipStream_tbEUlT_E1_NS1_11comp_targetILNS1_3genE5ELNS1_11target_archE942ELNS1_3gpuE9ELNS1_3repE0EEENS1_59segmented_radix_sort_warp_sort_small_config_static_selectorELNS0_4arch9wavefront6targetE1EEEvSK_,comdat
.Lfunc_end311:
	.size	_ZN7rocprim17ROCPRIM_400000_NS6detail17trampoline_kernelINS0_14default_configENS1_36segmented_radix_sort_config_selectorIalEEZNS1_25segmented_radix_sort_implIS3_Lb1EPKaPaPKlPlN2at6native12_GLOBAL__N_18offset_tEEE10hipError_tPvRmT1_PNSt15iterator_traitsISK_E10value_typeET2_T3_PNSL_ISQ_E10value_typeET4_jRbjT5_SW_jjP12ihipStream_tbEUlT_E1_NS1_11comp_targetILNS1_3genE5ELNS1_11target_archE942ELNS1_3gpuE9ELNS1_3repE0EEENS1_59segmented_radix_sort_warp_sort_small_config_static_selectorELNS0_4arch9wavefront6targetE1EEEvSK_, .Lfunc_end311-_ZN7rocprim17ROCPRIM_400000_NS6detail17trampoline_kernelINS0_14default_configENS1_36segmented_radix_sort_config_selectorIalEEZNS1_25segmented_radix_sort_implIS3_Lb1EPKaPaPKlPlN2at6native12_GLOBAL__N_18offset_tEEE10hipError_tPvRmT1_PNSt15iterator_traitsISK_E10value_typeET2_T3_PNSL_ISQ_E10value_typeET4_jRbjT5_SW_jjP12ihipStream_tbEUlT_E1_NS1_11comp_targetILNS1_3genE5ELNS1_11target_archE942ELNS1_3gpuE9ELNS1_3repE0EEENS1_59segmented_radix_sort_warp_sort_small_config_static_selectorELNS0_4arch9wavefront6targetE1EEEvSK_
                                        ; -- End function
	.section	.AMDGPU.csdata,"",@progbits
; Kernel info:
; codeLenInByte = 0
; NumSgprs: 4
; NumVgprs: 0
; NumAgprs: 0
; TotalNumVgprs: 0
; ScratchSize: 0
; MemoryBound: 0
; FloatMode: 240
; IeeeMode: 1
; LDSByteSize: 0 bytes/workgroup (compile time only)
; SGPRBlocks: 0
; VGPRBlocks: 0
; NumSGPRsForWavesPerEU: 4
; NumVGPRsForWavesPerEU: 1
; AccumOffset: 4
; Occupancy: 8
; WaveLimiterHint : 0
; COMPUTE_PGM_RSRC2:SCRATCH_EN: 0
; COMPUTE_PGM_RSRC2:USER_SGPR: 6
; COMPUTE_PGM_RSRC2:TRAP_HANDLER: 0
; COMPUTE_PGM_RSRC2:TGID_X_EN: 1
; COMPUTE_PGM_RSRC2:TGID_Y_EN: 0
; COMPUTE_PGM_RSRC2:TGID_Z_EN: 0
; COMPUTE_PGM_RSRC2:TIDIG_COMP_CNT: 0
; COMPUTE_PGM_RSRC3_GFX90A:ACCUM_OFFSET: 0
; COMPUTE_PGM_RSRC3_GFX90A:TG_SPLIT: 0
	.text
	.p2align	2                               ; -- Begin function _ZN7rocprim17ROCPRIM_400000_NS6detail26segmented_warp_sort_helperINS1_20WarpSortHelperConfigILj8ELj4ELj256EEEalLi256ELb1EvE4sortIPKaPaPKlPlEEvT_T0_T1_T2_jjjjRNS5_12storage_typeE
	.type	_ZN7rocprim17ROCPRIM_400000_NS6detail26segmented_warp_sort_helperINS1_20WarpSortHelperConfigILj8ELj4ELj256EEEalLi256ELb1EvE4sortIPKaPaPKlPlEEvT_T0_T1_T2_jjjjRNS5_12storage_typeE,@function
_ZN7rocprim17ROCPRIM_400000_NS6detail26segmented_warp_sort_helperINS1_20WarpSortHelperConfigILj8ELj4ELj256EEEalLi256ELb1EvE4sortIPKaPaPKlPlEEvT_T0_T1_T2_jjjjRNS5_12storage_typeE: ; @_ZN7rocprim17ROCPRIM_400000_NS6detail26segmented_warp_sort_helperINS1_20WarpSortHelperConfigILj8ELj4ELj256EEEalLi256ELb1EvE4sortIPKaPaPKlPlEEvT_T0_T1_T2_jjjjRNS5_12storage_typeE
; %bb.0:
	s_waitcnt vmcnt(0) expcnt(0) lgkmcnt(0)
	v_add_co_u32_e32 v14, vcc, v0, v8
	v_mbcnt_lo_u32_b32 v0, -1, 0
	v_mbcnt_hi_u32_b32 v0, -1, v0
	v_addc_co_u32_e32 v15, vcc, 0, v1, vcc
	v_lshlrev_b32_e32 v1, 2, v0
	v_and_b32_e32 v0, 28, v1
	v_sub_u32_e32 v16, v9, v8
	v_add_co_u32_e32 v14, vcc, v14, v0
	v_mov_b32_e32 v9, 0
	v_addc_co_u32_e32 v15, vcc, 0, v15, vcc
	v_cmp_lt_u32_e64 s[4:5], v0, v16
	v_mov_b32_e32 v28, 0x80
	v_mov_b32_e32 v32, 0x80
	;; [unrolled: 1-line block ×4, first 2 shown]
	s_and_saveexec_b64 s[6:7], s[4:5]
	s_cbranch_execz .LBB312_2
; %bb.1:
	flat_load_ubyte v28, v[14:15]
	v_mov_b32_e32 v29, 0x80
	v_mov_b32_e32 v30, 0x80
	;; [unrolled: 1-line block ×3, first 2 shown]
.LBB312_2:
	s_or_b64 exec, exec, s[6:7]
	v_or_b32_e32 v17, 1, v0
	v_cmp_lt_u32_e64 s[6:7], v17, v16
	s_and_saveexec_b64 s[10:11], s[6:7]
	s_cbranch_execz .LBB312_4
; %bb.3:
	flat_load_ubyte v29, v[14:15] offset:1
.LBB312_4:
	s_or_b64 exec, exec, s[10:11]
	v_or_b32_e32 v17, 2, v0
	v_cmp_lt_u32_e64 s[16:17], v17, v16
	s_and_saveexec_b64 s[10:11], s[16:17]
	s_cbranch_execz .LBB312_6
; %bb.5:
	flat_load_ubyte v30, v[14:15] offset:2
.LBB312_6:
	s_or_b64 exec, exec, s[10:11]
	v_or_b32_e32 v17, 3, v0
	v_cmp_lt_u32_e64 s[10:11], v17, v16
	s_and_saveexec_b64 s[14:15], s[10:11]
	s_cbranch_execz .LBB312_8
; %bb.7:
	flat_load_ubyte v32, v[14:15] offset:3
.LBB312_8:
	s_or_b64 exec, exec, s[14:15]
	v_lshlrev_b64 v[22:23], 3, v[8:9]
	v_add_co_u32_e32 v4, vcc, v4, v22
	v_addc_co_u32_e32 v5, vcc, v5, v23, vcc
	v_lshlrev_b32_e32 v9, 3, v0
	v_add_co_u32_e32 v4, vcc, v4, v9
	v_addc_co_u32_e32 v5, vcc, 0, v5, vcc
	; wave barrier
                                        ; implicit-def: $vgpr14_vgpr15
	s_and_saveexec_b64 s[14:15], s[4:5]
	s_cbranch_execnz .LBB312_107
; %bb.9:
	s_or_b64 exec, exec, s[14:15]
	s_and_saveexec_b64 s[14:15], s[6:7]
	s_cbranch_execnz .LBB312_108
.LBB312_10:
	s_or_b64 exec, exec, s[14:15]
                                        ; implicit-def: $vgpr18_vgpr19
	s_and_saveexec_b64 s[14:15], s[16:17]
	s_cbranch_execnz .LBB312_109
.LBB312_11:
	s_or_b64 exec, exec, s[14:15]
	s_and_saveexec_b64 s[14:15], s[10:11]
	s_cbranch_execz .LBB312_13
.LBB312_12:
	flat_load_dwordx2 v[20:21], v[4:5] offset:24
.LBB312_13:
	s_or_b64 exec, exec, s[14:15]
	v_cmp_ne_u32_e32 vcc, 0, v10
	v_cmp_ne_u32_e64 s[14:15], 8, v11
	s_or_b64 s[14:15], vcc, s[14:15]
	v_bfe_u32 v4, v31, 10, 10
	v_bfe_u32 v5, v31, 20, 10
	; wave barrier
	s_and_saveexec_b64 s[18:19], s[14:15]
	s_xor_b64 s[24:25], exec, s[18:19]
	s_cbranch_execz .LBB312_55
; %bb.14:
	s_load_dwordx2 s[14:15], s[8:9], 0x0
	v_mov_b32_e32 v24, 0
	v_lshlrev_b32_e64 v11, v11, -1
	v_lshlrev_b32_e64 v10, v10, -1
	s_waitcnt lgkmcnt(0)
	s_cmp_lt_u32 s12, s14
	s_cselect_b32 s18, 12, 18
	s_cmp_lt_u32 s13, s15
	s_cselect_b32 s14, 14, 20
	s_add_u32 s14, s8, s14
	s_addc_u32 s15, s9, 0
	s_add_u32 s18, s8, s18
	s_addc_u32 s19, s9, 0
	global_load_ushort v25, v24, s[14:15]
	global_load_ushort v26, v24, s[18:19]
	v_and_b32_e32 v24, 0x3ff, v31
	s_movk_i32 s14, 0x400
	v_xor_b32_e32 v31, v11, v10
	s_waitcnt vmcnt(0)
	v_mad_u32_u24 v4, v5, v25, v4
	v_mul_lo_u32 v4, v4, v26
	v_add_lshl_u32 v26, v4, v24, 2
	v_cmp_gt_u32_e32 vcc, s14, v26
	s_and_saveexec_b64 s[20:21], vcc
	s_cbranch_execz .LBB312_24
; %bb.15:
	v_lshlrev_b16_e32 v4, 8, v32
	v_lshlrev_b16_e32 v5, 8, v28
	;; [unrolled: 1-line block ×3, first 2 shown]
	v_or_b32_sdwa v4, v30, v4 dst_sel:WORD_1 dst_unused:UNUSED_PAD src0_sel:BYTE_0 src1_sel:DWORD
	v_or_b32_sdwa v5, v29, v5 dst_sel:DWORD dst_unused:UNUSED_PAD src0_sel:BYTE_0 src1_sel:DWORD
	v_or_b32_sdwa v10, v28, v10 dst_sel:DWORD dst_unused:UNUSED_PAD src0_sel:BYTE_0 src1_sel:DWORD
	v_or_b32_sdwa v5, v5, v4 dst_sel:DWORD dst_unused:UNUSED_PAD src0_sel:WORD_0 src1_sel:DWORD
	v_or_b32_sdwa v4, v10, v4 dst_sel:DWORD dst_unused:UNUSED_PAD src0_sel:WORD_0 src1_sel:DWORD
	v_and_b32_e32 v10, v29, v31
	v_and_b32_e32 v11, v28, v31
	v_cmp_gt_i16_sdwa vcc, sext(v10), sext(v11) src0_sel:BYTE_0 src1_sel:BYTE_0
	v_cndmask_b32_e32 v24, v4, v5, vcc
	v_lshrrev_b32_e32 v11, 24, v24
	v_lshrrev_b32_e32 v25, 16, v24
	v_and_b32_e32 v4, v11, v31
	v_bfe_i32 v27, v4, 0, 8
	v_and_b32_e32 v4, v25, v31
	v_bfe_i32 v10, v4, 0, 8
	v_cmp_gt_i16_e64 s[14:15], v27, v10
	v_pk_mov_b32 v[4:5], v[18:19], v[18:19] op_sel:[0,1]
	s_and_saveexec_b64 s[18:19], s[14:15]
; %bb.16:
	s_mov_b32 s14, 0x6070504
	v_perm_b32 v24, v24, v24, s14
	v_pk_mov_b32 v[4:5], v[20:21], v[20:21] op_sel:[0,1]
	v_pk_mov_b32 v[20:21], v[18:19], v[18:19] op_sel:[0,1]
	v_mov_b32_e32 v10, v27
	v_mov_b32_e32 v25, v11
; %bb.17:
	s_or_b64 exec, exec, s[18:19]
	v_lshrrev_b32_e32 v28, 8, v24
	v_and_b32_e32 v11, v28, v31
	v_cndmask_b32_e32 v19, v17, v15, vcc
	v_cndmask_b32_e32 v18, v16, v14, vcc
	v_bfe_i32 v27, v11, 0, 8
	v_cmp_gt_i16_e64 s[14:15], v10, v27
	v_pk_mov_b32 v[10:11], v[18:19], v[18:19] op_sel:[0,1]
	s_and_saveexec_b64 s[18:19], s[14:15]
	s_xor_b64 s[14:15], exec, s[18:19]
; %bb.18:
	s_mov_b32 s18, 0x7050004
	v_and_b32_e32 v27, v25, v31
	v_perm_b32 v24, v24, v25, s18
	v_pk_mov_b32 v[10:11], v[4:5], v[4:5] op_sel:[0,1]
	v_pk_mov_b32 v[4:5], v[18:19], v[18:19] op_sel:[0,1]
	v_mov_b32_e32 v28, v25
; %bb.19:
	s_or_b64 exec, exec, s[14:15]
	s_mov_b32 s14, 0x3020004
	v_and_b32_e32 v19, v24, v31
	v_perm_b32 v18, v28, v24, s14
	v_cmp_gt_i16_sdwa s[14:15], sext(v27), sext(v19) src0_sel:BYTE_0 src1_sel:BYTE_0
	v_cndmask_b32_e64 v28, v24, v18, s[14:15]
	v_lshrrev_b32_e32 v19, 24, v28
	v_lshrrev_b32_e32 v30, 16, v28
	v_and_b32_e32 v18, v19, v31
	v_bfe_i32 v27, v18, 0, 8
	v_and_b32_e32 v18, v30, v31
	v_bfe_i32 v18, v18, 0, 8
	v_lshrrev_b32_e32 v29, 8, v28
	v_cmp_gt_i16_e64 s[18:19], v27, v18
	v_pk_mov_b32 v[24:25], v[4:5], v[4:5] op_sel:[0,1]
	v_mov_b32_e32 v32, v19
	s_and_saveexec_b64 s[22:23], s[18:19]
; %bb.20:
	v_mov_b32_e32 v32, v30
	v_pk_mov_b32 v[24:25], v[20:21], v[20:21] op_sel:[0,1]
	v_pk_mov_b32 v[20:21], v[4:5], v[4:5] op_sel:[0,1]
	v_mov_b32_e32 v30, v19
	v_mov_b32_e32 v18, v27
; %bb.21:
	s_or_b64 exec, exec, s[22:23]
	v_cndmask_b32_e32 v4, v14, v16, vcc
	v_cndmask_b32_e32 v5, v15, v17, vcc
	v_cndmask_b32_e64 v14, v4, v10, s[14:15]
	v_cndmask_b32_e64 v16, v10, v4, s[14:15]
	v_and_b32_e32 v4, v29, v31
	v_cndmask_b32_e64 v15, v5, v11, s[14:15]
	v_cndmask_b32_e64 v17, v11, v5, s[14:15]
	v_cmp_gt_i16_sdwa s[18:19], v18, sext(v4) src0_sel:DWORD src1_sel:BYTE_0
	v_pk_mov_b32 v[18:19], v[24:25], v[24:25] op_sel:[0,1]
	s_and_saveexec_b64 s[14:15], s[18:19]
; %bb.22:
	v_mov_b32_e32 v4, v29
	v_swap_b32 v29, v30
	v_pk_mov_b32 v[18:19], v[16:17], v[16:17] op_sel:[0,1]
	v_pk_mov_b32 v[16:17], v[24:25], v[24:25] op_sel:[0,1]
; %bb.23:
	s_or_b64 exec, exec, s[14:15]
.LBB312_24:
	s_or_b64 exec, exec, s[20:21]
	v_and_b32_e32 v4, 0xffffff00, v26
	v_add_co_u32_e32 v10, vcc, v12, v4
	v_addc_co_u32_e32 v11, vcc, 0, v13, vcc
	s_movk_i32 s18, 0x400
	v_add_co_u32_e32 v12, vcc, v10, v1
	v_sub_u32_e64 v33, s18, v4 clamp
	v_mad_u64_u32 v[4:5], s[14:15], v4, 7, v[10:11]
	v_addc_co_u32_e32 v13, vcc, 0, v11, vcc
	v_lshlrev_b32_e32 v24, 3, v1
	v_lshlrev_b16_e32 v34, 8, v29
	v_lshlrev_b16_e32 v35, 8, v32
	v_add_co_u32_e32 v26, vcc, v4, v24
	v_or_b32_sdwa v34, v28, v34 dst_sel:DWORD dst_unused:UNUSED_PAD src0_sel:BYTE_0 src1_sel:DWORD
	v_or_b32_sdwa v35, v30, v35 dst_sel:WORD_1 dst_unused:UNUSED_PAD src0_sel:BYTE_0 src1_sel:DWORD
	v_addc_co_u32_e32 v27, vcc, 0, v5, vcc
	v_or_b32_sdwa v34, v34, v35 dst_sel:DWORD dst_unused:UNUSED_PAD src0_sel:WORD_0 src1_sel:DWORD
	flat_store_dwordx4 v[26:27], v[14:17] offset:1024
	flat_store_dword v[12:13], v34
	flat_store_dwordx4 v[26:27], v[18:21] offset:1040
	v_or_b32_e32 v34, 4, v1
	v_min_u32_e32 v34, v33, v34
	v_add_u32_e32 v35, 4, v34
	v_and_b32_e32 v36, 0x1f8, v1
	v_min_u32_e32 v35, v33, v35
	v_and_b32_e32 v37, 4, v1
	v_add_co_u32_e32 v24, vcc, s18, v26
	v_min_u32_e32 v37, v33, v37
	v_sub_u32_e32 v39, v34, v36
	v_sub_u32_e32 v38, v35, v34
	v_addc_co_u32_e32 v25, vcc, 0, v27, vcc
	v_sub_u32_e64 v38, v37, v38 clamp
	v_min_u32_e32 v39, v37, v39
	v_cmp_lt_u32_e32 vcc, v38, v39
	; wave barrier
	s_and_saveexec_b64 s[14:15], vcc
	s_cbranch_execz .LBB312_28
; %bb.25:
	v_add_co_u32_e32 v48, vcc, v10, v36
	v_addc_co_u32_e32 v49, vcc, 0, v11, vcc
	v_add_co_u32_e32 v50, vcc, v10, v34
	v_addc_co_u32_e32 v51, vcc, 0, v11, vcc
	s_mov_b64 s[18:19], 0
.LBB312_26:                             ; =>This Inner Loop Header: Depth=1
	v_add_u32_e32 v52, v39, v38
	v_lshrrev_b32_e32 v64, 1, v52
	v_add_co_u32_e32 v52, vcc, v48, v64
	v_xad_u32 v54, v64, -1, v37
	v_addc_co_u32_e32 v53, vcc, 0, v49, vcc
	v_add_co_u32_e32 v54, vcc, v50, v54
	v_addc_co_u32_e32 v55, vcc, 0, v51, vcc
	flat_load_ubyte v65, v[52:53]
	flat_load_ubyte v66, v[54:55]
	v_add_u32_e32 v52, 1, v64
	s_waitcnt vmcnt(0) lgkmcnt(0)
	v_and_b32_e32 v53, v65, v31
	v_and_b32_e32 v54, v66, v31
	v_cmp_gt_i16_sdwa vcc, sext(v54), sext(v53) src0_sel:BYTE_0 src1_sel:BYTE_0
	v_cndmask_b32_e32 v39, v39, v64, vcc
	v_cndmask_b32_e32 v38, v52, v38, vcc
	v_cmp_ge_u32_e32 vcc, v38, v39
	s_or_b64 s[18:19], vcc, s[18:19]
	s_andn2_b64 exec, exec, s[18:19]
	s_cbranch_execnz .LBB312_26
; %bb.27:
	s_or_b64 exec, exec, s[18:19]
.LBB312_28:
	s_or_b64 exec, exec, s[14:15]
	v_add_u32_e32 v37, v34, v37
	v_add_u32_e32 v36, v38, v36
	v_sub_u32_e32 v37, v37, v38
	v_cmp_le_u32_e32 vcc, v36, v34
	v_cmp_le_u32_e64 s[14:15], v37, v35
	s_or_b64 s[14:15], vcc, s[14:15]
	s_and_saveexec_b64 s[26:27], s[14:15]
	s_cbranch_execz .LBB312_34
; %bb.29:
	v_cmp_lt_u32_e32 vcc, v36, v34
                                        ; implicit-def: $vgpr28
	s_and_saveexec_b64 s[18:19], vcc
	s_cbranch_execz .LBB312_31
; %bb.30:
	v_add_co_u32_e64 v14, s[14:15], v10, v36
	v_addc_co_u32_e64 v15, s[14:15], 0, v11, s[14:15]
	flat_load_ubyte v28, v[14:15]
.LBB312_31:
	s_or_b64 exec, exec, s[18:19]
	v_cmp_ge_u32_e64 s[14:15], v37, v35
	v_cmp_lt_u32_e64 s[18:19], v37, v35
                                        ; implicit-def: $vgpr29
	s_and_saveexec_b64 s[20:21], s[18:19]
	s_cbranch_execz .LBB312_33
; %bb.32:
	v_add_co_u32_e64 v14, s[18:19], v10, v37
	v_addc_co_u32_e64 v15, s[18:19], 0, v11, s[18:19]
	flat_load_ubyte v29, v[14:15]
.LBB312_33:
	s_or_b64 exec, exec, s[20:21]
	s_waitcnt vmcnt(0) lgkmcnt(0)
	v_and_b32_e32 v14, v29, v31
	v_and_b32_e32 v15, v28, v31
	v_cmp_le_i16_sdwa s[18:19], sext(v14), sext(v15) src0_sel:BYTE_0 src1_sel:BYTE_0
	s_and_b64 s[18:19], vcc, s[18:19]
	s_or_b64 vcc, s[14:15], s[18:19]
	v_cndmask_b32_e32 v20, v37, v36, vcc
	v_cndmask_b32_e32 v14, v35, v34, vcc
	v_add_u32_e32 v16, 1, v20
	v_add_u32_e32 v14, -1, v14
	v_min_u32_e32 v14, v16, v14
	v_add_co_u32_e64 v14, s[14:15], v10, v14
	v_addc_co_u32_e64 v15, s[14:15], 0, v11, s[14:15]
	flat_load_ubyte v17, v[14:15]
	v_cndmask_b32_e32 v18, v16, v37, vcc
	v_cndmask_b32_e32 v19, v36, v16, vcc
	v_cmp_lt_u32_e64 s[18:19], v19, v34
	v_cmp_ge_u32_e64 s[14:15], v18, v35
	v_mov_b32_e32 v21, 0
	v_lshlrev_b64 v[14:15], 3, v[20:21]
	s_waitcnt vmcnt(0) lgkmcnt(0)
	v_cndmask_b32_e32 v30, v17, v29, vcc
	v_cndmask_b32_e32 v32, v28, v17, vcc
	v_and_b32_e32 v16, v30, v31
	v_and_b32_e32 v17, v32, v31
	v_cmp_le_i16_sdwa s[20:21], sext(v16), sext(v17) src0_sel:BYTE_0 src1_sel:BYTE_0
	s_and_b64 s[18:19], s[18:19], s[20:21]
	s_or_b64 s[14:15], s[14:15], s[18:19]
	v_cndmask_b32_e64 v20, v18, v19, s[14:15]
	v_cndmask_b32_e64 v16, v35, v34, s[14:15]
	v_add_u32_e32 v36, 1, v20
	v_add_u32_e32 v16, -1, v16
	v_min_u32_e32 v16, v36, v16
	v_add_co_u32_e64 v16, s[18:19], v10, v16
	v_addc_co_u32_e64 v17, s[18:19], 0, v11, s[18:19]
	flat_load_ubyte v37, v[16:17]
	v_cndmask_b32_e64 v38, v36, v18, s[14:15]
	v_cndmask_b32_e64 v36, v19, v36, s[14:15]
	v_cmp_lt_u32_e64 s[20:21], v36, v34
	v_cmp_ge_u32_e64 s[18:19], v38, v35
	v_lshlrev_b64 v[16:17], 3, v[20:21]
	v_cndmask_b32_e32 v28, v29, v28, vcc
	v_cndmask_b32_e64 v29, v30, v32, s[14:15]
	s_waitcnt vmcnt(0) lgkmcnt(0)
	v_cndmask_b32_e64 v39, v37, v30, s[14:15]
	v_cndmask_b32_e64 v37, v32, v37, s[14:15]
	v_and_b32_e32 v18, v39, v31
	v_and_b32_e32 v19, v37, v31
	v_cmp_le_i16_sdwa s[22:23], sext(v18), sext(v19) src0_sel:BYTE_0 src1_sel:BYTE_0
	s_and_b64 s[20:21], s[20:21], s[22:23]
	s_or_b64 s[18:19], s[18:19], s[20:21]
	v_cndmask_b32_e64 v20, v38, v36, s[18:19]
	v_cndmask_b32_e64 v18, v35, v34, s[18:19]
	v_add_u32_e32 v48, 1, v20
	v_add_u32_e32 v18, -1, v18
	v_min_u32_e32 v18, v48, v18
	v_add_co_u32_e64 v18, s[20:21], v10, v18
	v_addc_co_u32_e64 v19, s[20:21], 0, v11, s[20:21]
	flat_load_ubyte v49, v[18:19]
	v_add_co_u32_e64 v14, s[20:21], v4, v14
	v_addc_co_u32_e64 v15, s[20:21], v5, v15, s[20:21]
	v_add_co_u32_e64 v16, s[20:21], v4, v16
	v_addc_co_u32_e64 v17, s[20:21], v5, v17, s[20:21]
	flat_load_dwordx2 v[16:17], v[16:17] offset:1024
	v_lshlrev_b64 v[18:19], 3, v[20:21]
	flat_load_dwordx2 v[14:15], v[14:15] offset:1024
	v_add_co_u32_e64 v18, s[20:21], v4, v18
	v_addc_co_u32_e64 v19, s[20:21], v5, v19, s[20:21]
	v_cndmask_b32_e64 v20, v48, v38, s[18:19]
	v_cndmask_b32_e64 v36, v36, v48, s[18:19]
	v_cmp_ge_u32_e64 s[20:21], v20, v35
	v_cmp_lt_u32_e64 s[22:23], v36, v34
	flat_load_dwordx2 v[18:19], v[18:19] offset:1024
	v_cndmask_b32_e64 v30, v39, v37, s[18:19]
	s_waitcnt vmcnt(0) lgkmcnt(0)
	v_cndmask_b32_e64 v34, v49, v39, s[18:19]
	v_cndmask_b32_e64 v35, v37, v49, s[18:19]
	v_and_b32_e32 v38, v34, v31
	v_and_b32_e32 v48, v35, v31
	v_cmp_le_i16_sdwa s[28:29], sext(v38), sext(v48) src0_sel:BYTE_0 src1_sel:BYTE_0
	s_and_b64 s[22:23], s[22:23], s[28:29]
	s_or_b64 s[20:21], s[20:21], s[22:23]
	v_cndmask_b32_e64 v20, v20, v36, s[20:21]
	v_lshlrev_b64 v[20:21], 3, v[20:21]
	v_add_co_u32_e64 v20, s[22:23], v4, v20
	v_addc_co_u32_e64 v21, s[22:23], v5, v21, s[22:23]
	flat_load_dwordx2 v[20:21], v[20:21] offset:1024
	v_cndmask_b32_e64 v32, v34, v35, s[20:21]
.LBB312_34:
	s_or_b64 exec, exec, s[26:27]
	v_lshlrev_b16_e32 v34, 8, v29
	v_lshlrev_b16_e32 v35, 8, v32
	v_or_b32_sdwa v34, v28, v34 dst_sel:DWORD dst_unused:UNUSED_PAD src0_sel:BYTE_0 src1_sel:DWORD
	v_or_b32_sdwa v35, v30, v35 dst_sel:WORD_1 dst_unused:UNUSED_PAD src0_sel:BYTE_0 src1_sel:DWORD
	v_or_b32_sdwa v34, v34, v35 dst_sel:DWORD dst_unused:UNUSED_PAD src0_sel:WORD_0 src1_sel:DWORD
	v_and_b32_e32 v36, 0x1f0, v1
	; wave barrier
	flat_store_dwordx4 v[26:27], v[14:17] offset:1024
	flat_store_dword v[12:13], v34
	s_waitcnt vmcnt(0) lgkmcnt(0)
	flat_store_dwordx4 v[24:25], v[18:21] offset:16
	v_or_b32_e32 v34, 8, v36
	v_min_u32_e32 v34, v33, v34
	v_add_u32_e32 v35, 8, v34
	v_min_u32_e32 v35, v33, v35
	v_and_b32_e32 v37, 12, v1
	v_min_u32_e32 v37, v33, v37
	v_sub_u32_e32 v39, v34, v36
	v_sub_u32_e32 v38, v35, v34
	v_sub_u32_e64 v38, v37, v38 clamp
	v_min_u32_e32 v39, v37, v39
	v_cmp_lt_u32_e32 vcc, v38, v39
	; wave barrier
	s_and_saveexec_b64 s[14:15], vcc
	s_cbranch_execz .LBB312_38
; %bb.35:
	v_add_co_u32_e32 v48, vcc, v10, v36
	v_addc_co_u32_e32 v49, vcc, 0, v11, vcc
	v_add_co_u32_e32 v50, vcc, v10, v34
	v_addc_co_u32_e32 v51, vcc, 0, v11, vcc
	s_mov_b64 s[18:19], 0
.LBB312_36:                             ; =>This Inner Loop Header: Depth=1
	v_add_u32_e32 v52, v39, v38
	v_lshrrev_b32_e32 v64, 1, v52
	v_add_co_u32_e32 v52, vcc, v48, v64
	v_xad_u32 v54, v64, -1, v37
	v_addc_co_u32_e32 v53, vcc, 0, v49, vcc
	v_add_co_u32_e32 v54, vcc, v50, v54
	v_addc_co_u32_e32 v55, vcc, 0, v51, vcc
	flat_load_ubyte v65, v[52:53]
	flat_load_ubyte v66, v[54:55]
	v_add_u32_e32 v52, 1, v64
	s_waitcnt vmcnt(0) lgkmcnt(0)
	v_and_b32_e32 v53, v65, v31
	v_and_b32_e32 v54, v66, v31
	v_cmp_gt_i16_sdwa vcc, sext(v54), sext(v53) src0_sel:BYTE_0 src1_sel:BYTE_0
	v_cndmask_b32_e32 v39, v39, v64, vcc
	v_cndmask_b32_e32 v38, v52, v38, vcc
	v_cmp_ge_u32_e32 vcc, v38, v39
	s_or_b64 s[18:19], vcc, s[18:19]
	s_andn2_b64 exec, exec, s[18:19]
	s_cbranch_execnz .LBB312_36
; %bb.37:
	s_or_b64 exec, exec, s[18:19]
.LBB312_38:
	s_or_b64 exec, exec, s[14:15]
	v_add_u32_e32 v37, v34, v37
	v_add_u32_e32 v36, v38, v36
	v_sub_u32_e32 v37, v37, v38
	v_cmp_le_u32_e32 vcc, v36, v34
	v_cmp_le_u32_e64 s[14:15], v37, v35
	s_or_b64 s[14:15], vcc, s[14:15]
	s_and_saveexec_b64 s[26:27], s[14:15]
	s_cbranch_execz .LBB312_44
; %bb.39:
	v_cmp_lt_u32_e32 vcc, v36, v34
                                        ; implicit-def: $vgpr28
	s_and_saveexec_b64 s[18:19], vcc
	s_cbranch_execz .LBB312_41
; %bb.40:
	v_add_co_u32_e64 v14, s[14:15], v10, v36
	v_addc_co_u32_e64 v15, s[14:15], 0, v11, s[14:15]
	flat_load_ubyte v28, v[14:15]
.LBB312_41:
	s_or_b64 exec, exec, s[18:19]
	v_cmp_ge_u32_e64 s[14:15], v37, v35
	v_cmp_lt_u32_e64 s[18:19], v37, v35
                                        ; implicit-def: $vgpr29
	s_and_saveexec_b64 s[20:21], s[18:19]
	s_cbranch_execz .LBB312_43
; %bb.42:
	v_add_co_u32_e64 v14, s[18:19], v10, v37
	v_addc_co_u32_e64 v15, s[18:19], 0, v11, s[18:19]
	flat_load_ubyte v29, v[14:15]
.LBB312_43:
	s_or_b64 exec, exec, s[20:21]
	s_waitcnt vmcnt(0) lgkmcnt(0)
	v_and_b32_e32 v14, v29, v31
	v_and_b32_e32 v15, v28, v31
	v_cmp_le_i16_sdwa s[18:19], sext(v14), sext(v15) src0_sel:BYTE_0 src1_sel:BYTE_0
	s_and_b64 s[18:19], vcc, s[18:19]
	s_or_b64 vcc, s[14:15], s[18:19]
	v_cndmask_b32_e32 v20, v37, v36, vcc
	v_cndmask_b32_e32 v14, v35, v34, vcc
	v_add_u32_e32 v16, 1, v20
	v_add_u32_e32 v14, -1, v14
	v_min_u32_e32 v14, v16, v14
	v_add_co_u32_e64 v14, s[14:15], v10, v14
	v_addc_co_u32_e64 v15, s[14:15], 0, v11, s[14:15]
	flat_load_ubyte v17, v[14:15]
	v_cndmask_b32_e32 v18, v16, v37, vcc
	v_cndmask_b32_e32 v19, v36, v16, vcc
	v_cmp_lt_u32_e64 s[18:19], v19, v34
	v_cmp_ge_u32_e64 s[14:15], v18, v35
	v_mov_b32_e32 v21, 0
	v_lshlrev_b64 v[14:15], 3, v[20:21]
	s_waitcnt vmcnt(0) lgkmcnt(0)
	v_cndmask_b32_e32 v30, v17, v29, vcc
	v_cndmask_b32_e32 v32, v28, v17, vcc
	v_and_b32_e32 v16, v30, v31
	v_and_b32_e32 v17, v32, v31
	v_cmp_le_i16_sdwa s[20:21], sext(v16), sext(v17) src0_sel:BYTE_0 src1_sel:BYTE_0
	s_and_b64 s[18:19], s[18:19], s[20:21]
	s_or_b64 s[14:15], s[14:15], s[18:19]
	v_cndmask_b32_e64 v20, v18, v19, s[14:15]
	v_cndmask_b32_e64 v16, v35, v34, s[14:15]
	v_add_u32_e32 v36, 1, v20
	v_add_u32_e32 v16, -1, v16
	v_min_u32_e32 v16, v36, v16
	v_add_co_u32_e64 v16, s[18:19], v10, v16
	v_addc_co_u32_e64 v17, s[18:19], 0, v11, s[18:19]
	flat_load_ubyte v37, v[16:17]
	v_cndmask_b32_e64 v38, v36, v18, s[14:15]
	v_cndmask_b32_e64 v36, v19, v36, s[14:15]
	v_cmp_lt_u32_e64 s[20:21], v36, v34
	v_cmp_ge_u32_e64 s[18:19], v38, v35
	v_lshlrev_b64 v[16:17], 3, v[20:21]
	v_cndmask_b32_e32 v28, v29, v28, vcc
	v_cndmask_b32_e64 v29, v30, v32, s[14:15]
	s_waitcnt vmcnt(0) lgkmcnt(0)
	v_cndmask_b32_e64 v39, v37, v30, s[14:15]
	v_cndmask_b32_e64 v37, v32, v37, s[14:15]
	v_and_b32_e32 v18, v39, v31
	v_and_b32_e32 v19, v37, v31
	v_cmp_le_i16_sdwa s[22:23], sext(v18), sext(v19) src0_sel:BYTE_0 src1_sel:BYTE_0
	s_and_b64 s[20:21], s[20:21], s[22:23]
	s_or_b64 s[18:19], s[18:19], s[20:21]
	v_cndmask_b32_e64 v20, v38, v36, s[18:19]
	v_cndmask_b32_e64 v18, v35, v34, s[18:19]
	v_add_u32_e32 v48, 1, v20
	v_add_u32_e32 v18, -1, v18
	v_min_u32_e32 v18, v48, v18
	v_add_co_u32_e64 v18, s[20:21], v10, v18
	v_addc_co_u32_e64 v19, s[20:21], 0, v11, s[20:21]
	flat_load_ubyte v49, v[18:19]
	v_add_co_u32_e64 v14, s[20:21], v4, v14
	v_addc_co_u32_e64 v15, s[20:21], v5, v15, s[20:21]
	v_add_co_u32_e64 v16, s[20:21], v4, v16
	v_addc_co_u32_e64 v17, s[20:21], v5, v17, s[20:21]
	flat_load_dwordx2 v[16:17], v[16:17] offset:1024
	v_lshlrev_b64 v[18:19], 3, v[20:21]
	flat_load_dwordx2 v[14:15], v[14:15] offset:1024
	v_add_co_u32_e64 v18, s[20:21], v4, v18
	v_addc_co_u32_e64 v19, s[20:21], v5, v19, s[20:21]
	v_cndmask_b32_e64 v20, v48, v38, s[18:19]
	v_cndmask_b32_e64 v36, v36, v48, s[18:19]
	v_cmp_ge_u32_e64 s[20:21], v20, v35
	v_cmp_lt_u32_e64 s[22:23], v36, v34
	flat_load_dwordx2 v[18:19], v[18:19] offset:1024
	v_cndmask_b32_e64 v30, v39, v37, s[18:19]
	s_waitcnt vmcnt(0) lgkmcnt(0)
	v_cndmask_b32_e64 v34, v49, v39, s[18:19]
	v_cndmask_b32_e64 v35, v37, v49, s[18:19]
	v_and_b32_e32 v38, v34, v31
	v_and_b32_e32 v48, v35, v31
	v_cmp_le_i16_sdwa s[28:29], sext(v38), sext(v48) src0_sel:BYTE_0 src1_sel:BYTE_0
	s_and_b64 s[22:23], s[22:23], s[28:29]
	s_or_b64 s[20:21], s[20:21], s[22:23]
	v_cndmask_b32_e64 v20, v20, v36, s[20:21]
	v_lshlrev_b64 v[20:21], 3, v[20:21]
	v_add_co_u32_e64 v20, s[22:23], v4, v20
	v_addc_co_u32_e64 v21, s[22:23], v5, v21, s[22:23]
	flat_load_dwordx2 v[20:21], v[20:21] offset:1024
	v_cndmask_b32_e64 v32, v34, v35, s[20:21]
.LBB312_44:
	s_or_b64 exec, exec, s[26:27]
	; wave barrier
	flat_store_dwordx4 v[26:27], v[14:17] offset:1024
	v_lshlrev_b16_e32 v26, 8, v29
	v_lshlrev_b16_e32 v27, 8, v32
	v_or_b32_sdwa v26, v28, v26 dst_sel:DWORD dst_unused:UNUSED_PAD src0_sel:BYTE_0 src1_sel:DWORD
	v_or_b32_sdwa v27, v30, v27 dst_sel:WORD_1 dst_unused:UNUSED_PAD src0_sel:BYTE_0 src1_sel:DWORD
	v_or_b32_sdwa v26, v26, v27 dst_sel:DWORD dst_unused:UNUSED_PAD src0_sel:WORD_0 src1_sel:DWORD
	flat_store_dword v[12:13], v26
	s_waitcnt vmcnt(0) lgkmcnt(0)
	flat_store_dwordx4 v[24:25], v[18:21] offset:16
	v_and_b32_e32 v13, 0x1e0, v1
	v_or_b32_e32 v1, 16, v13
	v_min_u32_e32 v1, v33, v1
	v_add_u32_e32 v12, 16, v1
	v_min_u32_e32 v12, v33, v12
	v_min_u32_e32 v24, v33, v0
	v_sub_u32_e32 v25, v1, v13
	v_sub_u32_e32 v26, v12, v1
	v_sub_u32_e64 v26, v24, v26 clamp
	v_min_u32_e32 v25, v24, v25
	v_cmp_lt_u32_e32 vcc, v26, v25
	; wave barrier
	s_and_saveexec_b64 s[14:15], vcc
	s_cbranch_execz .LBB312_48
; %bb.45:
	v_add_co_u32_e32 v27, vcc, v10, v13
	v_addc_co_u32_e32 v33, vcc, 0, v11, vcc
	v_add_co_u32_e32 v34, vcc, v10, v1
	v_addc_co_u32_e32 v35, vcc, 0, v11, vcc
	s_mov_b64 s[18:19], 0
.LBB312_46:                             ; =>This Inner Loop Header: Depth=1
	v_add_u32_e32 v36, v25, v26
	v_lshrrev_b32_e32 v48, 1, v36
	v_add_co_u32_e32 v36, vcc, v27, v48
	v_xad_u32 v38, v48, -1, v24
	v_addc_co_u32_e32 v37, vcc, 0, v33, vcc
	v_add_co_u32_e32 v38, vcc, v34, v38
	v_addc_co_u32_e32 v39, vcc, 0, v35, vcc
	flat_load_ubyte v49, v[36:37]
	flat_load_ubyte v50, v[38:39]
	v_add_u32_e32 v36, 1, v48
	s_waitcnt vmcnt(0) lgkmcnt(0)
	v_and_b32_e32 v37, v49, v31
	v_and_b32_e32 v38, v50, v31
	v_cmp_gt_i16_sdwa vcc, sext(v38), sext(v37) src0_sel:BYTE_0 src1_sel:BYTE_0
	v_cndmask_b32_e32 v25, v25, v48, vcc
	v_cndmask_b32_e32 v26, v36, v26, vcc
	v_cmp_ge_u32_e32 vcc, v26, v25
	s_or_b64 s[18:19], vcc, s[18:19]
	s_andn2_b64 exec, exec, s[18:19]
	s_cbranch_execnz .LBB312_46
; %bb.47:
	s_or_b64 exec, exec, s[18:19]
.LBB312_48:
	s_or_b64 exec, exec, s[14:15]
	v_add_u32_e32 v25, v26, v13
	v_add_u32_e32 v13, v1, v24
	v_sub_u32_e32 v26, v13, v26
	v_cmp_le_u32_e32 vcc, v25, v1
	v_cmp_le_u32_e64 s[14:15], v26, v12
	s_or_b64 s[14:15], vcc, s[14:15]
	s_and_saveexec_b64 s[26:27], s[14:15]
	s_cbranch_execz .LBB312_54
; %bb.49:
	v_cmp_lt_u32_e32 vcc, v25, v1
                                        ; implicit-def: $vgpr13
	s_and_saveexec_b64 s[18:19], vcc
	s_cbranch_execz .LBB312_51
; %bb.50:
	v_add_co_u32_e64 v14, s[14:15], v10, v25
	v_addc_co_u32_e64 v15, s[14:15], 0, v11, s[14:15]
	flat_load_ubyte v13, v[14:15]
.LBB312_51:
	s_or_b64 exec, exec, s[18:19]
	v_cmp_ge_u32_e64 s[14:15], v26, v12
	v_cmp_lt_u32_e64 s[18:19], v26, v12
                                        ; implicit-def: $vgpr24
	s_and_saveexec_b64 s[20:21], s[18:19]
	s_cbranch_execz .LBB312_53
; %bb.52:
	v_add_co_u32_e64 v14, s[18:19], v10, v26
	v_addc_co_u32_e64 v15, s[18:19], 0, v11, s[18:19]
	flat_load_ubyte v24, v[14:15]
.LBB312_53:
	s_or_b64 exec, exec, s[20:21]
	s_waitcnt vmcnt(0) lgkmcnt(0)
	v_and_b32_e32 v14, v24, v31
	v_and_b32_e32 v15, v13, v31
	v_cmp_le_i16_sdwa s[18:19], sext(v14), sext(v15) src0_sel:BYTE_0 src1_sel:BYTE_0
	s_and_b64 s[18:19], vcc, s[18:19]
	s_or_b64 vcc, s[14:15], s[18:19]
	v_cndmask_b32_e32 v20, v26, v25, vcc
	v_cndmask_b32_e32 v14, v12, v1, vcc
	v_add_u32_e32 v16, 1, v20
	v_add_u32_e32 v14, -1, v14
	v_min_u32_e32 v14, v16, v14
	v_add_co_u32_e64 v14, s[14:15], v10, v14
	v_addc_co_u32_e64 v15, s[14:15], 0, v11, s[14:15]
	flat_load_ubyte v17, v[14:15]
	v_cndmask_b32_e32 v18, v16, v26, vcc
	v_cndmask_b32_e32 v19, v25, v16, vcc
	v_cmp_lt_u32_e64 s[18:19], v19, v1
	v_cmp_ge_u32_e64 s[14:15], v18, v12
	v_mov_b32_e32 v21, 0
	v_lshlrev_b64 v[14:15], 3, v[20:21]
	s_waitcnt vmcnt(0) lgkmcnt(0)
	v_cndmask_b32_e32 v25, v17, v24, vcc
	v_cndmask_b32_e32 v26, v13, v17, vcc
	v_and_b32_e32 v16, v25, v31
	v_and_b32_e32 v17, v26, v31
	v_cmp_le_i16_sdwa s[20:21], sext(v16), sext(v17) src0_sel:BYTE_0 src1_sel:BYTE_0
	s_and_b64 s[18:19], s[18:19], s[20:21]
	s_or_b64 s[14:15], s[14:15], s[18:19]
	v_cndmask_b32_e64 v20, v18, v19, s[14:15]
	v_cndmask_b32_e64 v16, v12, v1, s[14:15]
	v_add_u32_e32 v27, 1, v20
	v_add_u32_e32 v16, -1, v16
	v_min_u32_e32 v16, v27, v16
	v_add_co_u32_e64 v16, s[18:19], v10, v16
	v_addc_co_u32_e64 v17, s[18:19], 0, v11, s[18:19]
	flat_load_ubyte v28, v[16:17]
	v_cndmask_b32_e64 v29, v27, v18, s[14:15]
	v_cndmask_b32_e64 v27, v19, v27, s[14:15]
	v_cmp_lt_u32_e64 s[20:21], v27, v1
	v_cmp_ge_u32_e64 s[18:19], v29, v12
	v_lshlrev_b64 v[16:17], 3, v[20:21]
	s_waitcnt vmcnt(0) lgkmcnt(0)
	v_cndmask_b32_e64 v30, v28, v25, s[14:15]
	v_cndmask_b32_e64 v32, v26, v28, s[14:15]
	v_and_b32_e32 v18, v30, v31
	v_and_b32_e32 v19, v32, v31
	v_cmp_le_i16_sdwa s[22:23], sext(v18), sext(v19) src0_sel:BYTE_0 src1_sel:BYTE_0
	s_and_b64 s[20:21], s[20:21], s[22:23]
	s_or_b64 s[18:19], s[18:19], s[20:21]
	v_cndmask_b32_e64 v20, v29, v27, s[18:19]
	v_cndmask_b32_e64 v18, v12, v1, s[18:19]
	v_add_u32_e32 v28, 1, v20
	v_add_u32_e32 v18, -1, v18
	v_min_u32_e32 v18, v28, v18
	v_add_co_u32_e64 v10, s[20:21], v10, v18
	v_addc_co_u32_e64 v11, s[20:21], 0, v11, s[20:21]
	flat_load_ubyte v33, v[10:11]
	v_add_co_u32_e64 v10, s[20:21], v4, v14
	v_addc_co_u32_e64 v11, s[20:21], v5, v15, s[20:21]
	flat_load_dwordx2 v[14:15], v[10:11] offset:1024
	v_add_co_u32_e64 v10, s[20:21], v4, v16
	v_addc_co_u32_e64 v11, s[20:21], v5, v17, s[20:21]
	flat_load_dwordx2 v[16:17], v[10:11] offset:1024
	v_lshlrev_b64 v[10:11], 3, v[20:21]
	v_add_co_u32_e64 v10, s[20:21], v4, v10
	v_addc_co_u32_e64 v11, s[20:21], v5, v11, s[20:21]
	flat_load_dwordx2 v[18:19], v[10:11] offset:1024
	v_cndmask_b32_e64 v10, v28, v29, s[18:19]
	v_cndmask_b32_e64 v11, v27, v28, s[18:19]
	v_cmp_ge_u32_e64 s[20:21], v10, v12
	v_cmp_lt_u32_e64 s[22:23], v11, v1
	v_cndmask_b32_e32 v28, v24, v13, vcc
	v_cndmask_b32_e64 v29, v25, v26, s[14:15]
	s_waitcnt vmcnt(0) lgkmcnt(0)
	v_cndmask_b32_e64 v1, v33, v30, s[18:19]
	v_cndmask_b32_e64 v12, v32, v33, s[18:19]
	v_and_b32_e32 v20, v1, v31
	v_and_b32_e32 v27, v12, v31
	v_cmp_le_i16_sdwa s[28:29], sext(v20), sext(v27) src0_sel:BYTE_0 src1_sel:BYTE_0
	s_and_b64 s[22:23], s[22:23], s[28:29]
	s_or_b64 s[20:21], s[20:21], s[22:23]
	v_cndmask_b32_e64 v20, v10, v11, s[20:21]
	v_lshlrev_b64 v[10:11], 3, v[20:21]
	v_add_co_u32_e64 v4, s[22:23], v4, v10
	v_addc_co_u32_e64 v5, s[22:23], v5, v11, s[22:23]
	flat_load_dwordx2 v[20:21], v[4:5] offset:1024
	v_cndmask_b32_e64 v30, v30, v32, s[18:19]
	v_cndmask_b32_e64 v32, v1, v12, s[20:21]
.LBB312_54:
	s_or_b64 exec, exec, s[26:27]
	; wave barrier
	s_waitcnt lgkmcnt(0)
	s_barrier
                                        ; implicit-def: $vgpr1
                                        ; implicit-def: $vgpr12
                                        ; implicit-def: $vgpr13
                                        ; implicit-def: $vgpr31
                                        ; implicit-def: $vgpr4
                                        ; implicit-def: $vgpr5
.LBB312_55:
	s_andn2_saveexec_b64 s[20:21], s[24:25]
	s_cbranch_execz .LBB312_97
; %bb.56:
	s_load_dwordx2 s[14:15], s[8:9], 0x0
	v_mov_b32_e32 v10, 0
	s_waitcnt lgkmcnt(0)
	s_cmp_lt_u32 s12, s14
	s_cselect_b32 s14, 12, 18
	s_cmp_lt_u32 s13, s15
	s_cselect_b32 s12, 14, 20
	s_add_u32 s12, s8, s12
	s_addc_u32 s13, s9, 0
	s_add_u32 s8, s8, s14
	s_addc_u32 s9, s9, 0
	global_load_ushort v11, v10, s[12:13]
	global_load_ushort v24, v10, s[8:9]
	v_and_b32_e32 v10, 0x3ff, v31
	s_movk_i32 s8, 0x400
	s_waitcnt vmcnt(0)
	v_mad_u32_u24 v4, v5, v11, v4
	v_mul_lo_u32 v4, v4, v24
	v_add_lshl_u32 v26, v4, v10, 2
	v_cmp_gt_u32_e32 vcc, s8, v26
	s_and_saveexec_b64 s[14:15], vcc
	s_cbranch_execz .LBB312_66
; %bb.57:
	v_lshlrev_b16_e32 v4, 8, v32
	v_lshlrev_b16_e32 v5, 8, v28
	;; [unrolled: 1-line block ×3, first 2 shown]
	v_or_b32_sdwa v4, v30, v4 dst_sel:WORD_1 dst_unused:UNUSED_PAD src0_sel:BYTE_0 src1_sel:DWORD
	v_or_b32_sdwa v5, v29, v5 dst_sel:DWORD dst_unused:UNUSED_PAD src0_sel:BYTE_0 src1_sel:DWORD
	v_or_b32_sdwa v10, v28, v10 dst_sel:DWORD dst_unused:UNUSED_PAD src0_sel:BYTE_0 src1_sel:DWORD
	v_or_b32_sdwa v5, v5, v4 dst_sel:DWORD dst_unused:UNUSED_PAD src0_sel:WORD_0 src1_sel:DWORD
	v_or_b32_sdwa v4, v10, v4 dst_sel:DWORD dst_unused:UNUSED_PAD src0_sel:WORD_0 src1_sel:DWORD
	v_cmp_gt_i16_sdwa vcc, sext(v29), sext(v28) src0_sel:BYTE_0 src1_sel:BYTE_0
	v_cndmask_b32_e32 v24, v4, v5, vcc
	v_lshrrev_b32_e32 v4, 16, v24
	v_lshrrev_b32_e32 v5, 24, v24
	v_bfe_i32 v10, v5, 0, 8
	v_bfe_i32 v25, v4, 0, 8
	v_cmp_gt_i16_e64 s[8:9], v10, v25
	v_pk_mov_b32 v[4:5], v[18:19], v[18:19] op_sel:[0,1]
	s_and_saveexec_b64 s[12:13], s[8:9]
; %bb.58:
	s_mov_b32 s8, 0x6070504
	v_perm_b32 v24, v24, v24, s8
	v_pk_mov_b32 v[4:5], v[20:21], v[20:21] op_sel:[0,1]
	v_pk_mov_b32 v[20:21], v[18:19], v[18:19] op_sel:[0,1]
	v_mov_b32_e32 v25, v10
; %bb.59:
	s_or_b64 exec, exec, s[12:13]
	v_lshrrev_b32_e32 v10, 8, v24
	v_cndmask_b32_e32 v19, v17, v15, vcc
	v_cndmask_b32_e32 v18, v16, v14, vcc
	v_bfe_i32 v27, v10, 0, 8
	v_cmp_gt_i16_e64 s[8:9], v25, v27
	v_pk_mov_b32 v[10:11], v[18:19], v[18:19] op_sel:[0,1]
	s_and_saveexec_b64 s[12:13], s[8:9]
	s_xor_b64 s[8:9], exec, s[12:13]
; %bb.60:
	s_mov_b32 s12, 0x7050004
	v_perm_b32 v24, v24, v25, s12
	v_pk_mov_b32 v[10:11], v[4:5], v[4:5] op_sel:[0,1]
	v_pk_mov_b32 v[4:5], v[18:19], v[18:19] op_sel:[0,1]
	v_mov_b32_e32 v27, v25
; %bb.61:
	s_or_b64 exec, exec, s[8:9]
	s_mov_b32 s8, 0x3020004
	v_perm_b32 v18, v27, v24, s8
	v_cmp_gt_i16_sdwa s[8:9], v27, sext(v24) src0_sel:DWORD src1_sel:BYTE_0
	v_cndmask_b32_e64 v28, v24, v18, s[8:9]
	v_lshrrev_b32_e32 v30, 16, v28
	v_lshrrev_b32_e32 v32, 24, v28
	v_bfe_i32 v18, v32, 0, 8
	v_bfe_i32 v27, v30, 0, 8
	v_lshrrev_b32_e32 v29, 8, v28
	v_cmp_gt_i16_e64 s[12:13], v18, v27
	v_pk_mov_b32 v[24:25], v[4:5], v[4:5] op_sel:[0,1]
	s_and_saveexec_b64 s[18:19], s[12:13]
; %bb.62:
	v_mov_b32_e32 v19, v30
	v_pk_mov_b32 v[24:25], v[20:21], v[20:21] op_sel:[0,1]
	v_pk_mov_b32 v[20:21], v[4:5], v[4:5] op_sel:[0,1]
	v_swap_b32 v30, v32
	v_mov_b32_e32 v27, v18
; %bb.63:
	s_or_b64 exec, exec, s[18:19]
	v_cndmask_b32_e32 v4, v14, v16, vcc
	v_cndmask_b32_e32 v5, v15, v17, vcc
	v_cndmask_b32_e64 v15, v5, v11, s[8:9]
	v_cndmask_b32_e64 v14, v4, v10, s[8:9]
	;; [unrolled: 1-line block ×4, first 2 shown]
	v_cmp_gt_i16_sdwa s[12:13], v27, sext(v29) src0_sel:DWORD src1_sel:BYTE_0
	v_pk_mov_b32 v[18:19], v[24:25], v[24:25] op_sel:[0,1]
	s_and_saveexec_b64 s[8:9], s[12:13]
; %bb.64:
	v_mov_b32_e32 v30, v29
	v_mov_b32_e32 v29, v27
	v_pk_mov_b32 v[18:19], v[16:17], v[16:17] op_sel:[0,1]
	v_pk_mov_b32 v[16:17], v[24:25], v[24:25] op_sel:[0,1]
; %bb.65:
	s_or_b64 exec, exec, s[8:9]
.LBB312_66:
	s_or_b64 exec, exec, s[14:15]
	v_and_b32_e32 v4, 0xffffff00, v26
	v_add_co_u32_e32 v10, vcc, v12, v4
	v_addc_co_u32_e32 v11, vcc, 0, v13, vcc
	s_movk_i32 s12, 0x400
	v_add_co_u32_e32 v12, vcc, v10, v1
	v_sub_u32_e64 v31, s12, v4 clamp
	v_mad_u64_u32 v[4:5], s[8:9], v4, 7, v[10:11]
	v_addc_co_u32_e32 v13, vcc, 0, v11, vcc
	v_lshlrev_b32_e32 v24, 3, v1
	v_lshlrev_b16_e32 v33, 8, v29
	v_lshlrev_b16_e32 v34, 8, v32
	v_add_co_u32_e32 v26, vcc, v4, v24
	v_or_b32_sdwa v33, v28, v33 dst_sel:DWORD dst_unused:UNUSED_PAD src0_sel:BYTE_0 src1_sel:DWORD
	v_or_b32_sdwa v34, v30, v34 dst_sel:WORD_1 dst_unused:UNUSED_PAD src0_sel:BYTE_0 src1_sel:DWORD
	v_addc_co_u32_e32 v27, vcc, 0, v5, vcc
	v_or_b32_sdwa v33, v33, v34 dst_sel:DWORD dst_unused:UNUSED_PAD src0_sel:WORD_0 src1_sel:DWORD
	flat_store_dwordx4 v[26:27], v[14:17] offset:1024
	flat_store_dword v[12:13], v33
	flat_store_dwordx4 v[26:27], v[18:21] offset:1040
	v_or_b32_e32 v33, 4, v1
	v_min_u32_e32 v33, v31, v33
	v_add_u32_e32 v34, 4, v33
	v_and_b32_e32 v35, 0x1f8, v1
	v_min_u32_e32 v34, v31, v34
	v_and_b32_e32 v36, 4, v1
	v_add_co_u32_e32 v24, vcc, s12, v26
	v_min_u32_e32 v36, v31, v36
	v_sub_u32_e32 v38, v33, v35
	v_sub_u32_e32 v37, v34, v33
	v_addc_co_u32_e32 v25, vcc, 0, v27, vcc
	v_sub_u32_e64 v37, v36, v37 clamp
	v_min_u32_e32 v38, v36, v38
	v_cmp_lt_u32_e32 vcc, v37, v38
	; wave barrier
	s_and_saveexec_b64 s[8:9], vcc
	s_cbranch_execz .LBB312_70
; %bb.67:
	v_add_co_u32_e32 v39, vcc, v10, v35
	v_addc_co_u32_e32 v48, vcc, 0, v11, vcc
	v_add_co_u32_e32 v49, vcc, v10, v33
	v_addc_co_u32_e32 v50, vcc, 0, v11, vcc
	s_mov_b64 s[12:13], 0
.LBB312_68:                             ; =>This Inner Loop Header: Depth=1
	v_add_u32_e32 v51, v38, v37
	v_lshrrev_b32_e32 v51, 1, v51
	v_add_co_u32_e32 v52, vcc, v39, v51
	v_xad_u32 v54, v51, -1, v36
	v_addc_co_u32_e32 v53, vcc, 0, v48, vcc
	v_add_co_u32_e32 v54, vcc, v49, v54
	v_addc_co_u32_e32 v55, vcc, 0, v50, vcc
	flat_load_sbyte v64, v[52:53]
	flat_load_sbyte v65, v[54:55]
	v_add_u32_e32 v52, 1, v51
	s_waitcnt vmcnt(0) lgkmcnt(0)
	v_cmp_gt_i16_e32 vcc, v65, v64
	v_cndmask_b32_e32 v38, v38, v51, vcc
	v_cndmask_b32_e32 v37, v52, v37, vcc
	v_cmp_ge_u32_e32 vcc, v37, v38
	s_or_b64 s[12:13], vcc, s[12:13]
	s_andn2_b64 exec, exec, s[12:13]
	s_cbranch_execnz .LBB312_68
; %bb.69:
	s_or_b64 exec, exec, s[12:13]
.LBB312_70:
	s_or_b64 exec, exec, s[8:9]
	v_add_u32_e32 v36, v33, v36
	v_add_u32_e32 v35, v37, v35
	v_sub_u32_e32 v36, v36, v37
	v_cmp_le_u32_e32 vcc, v35, v33
	v_cmp_le_u32_e64 s[8:9], v36, v34
	s_or_b64 s[8:9], vcc, s[8:9]
	s_and_saveexec_b64 s[22:23], s[8:9]
	s_cbranch_execz .LBB312_76
; %bb.71:
	v_cmp_lt_u32_e32 vcc, v35, v33
                                        ; implicit-def: $vgpr28
	s_and_saveexec_b64 s[12:13], vcc
	s_cbranch_execz .LBB312_73
; %bb.72:
	v_add_co_u32_e64 v14, s[8:9], v10, v35
	v_addc_co_u32_e64 v15, s[8:9], 0, v11, s[8:9]
	flat_load_ubyte v28, v[14:15]
.LBB312_73:
	s_or_b64 exec, exec, s[12:13]
	v_cmp_ge_u32_e64 s[8:9], v36, v34
	v_cmp_lt_u32_e64 s[12:13], v36, v34
                                        ; implicit-def: $vgpr29
	s_and_saveexec_b64 s[14:15], s[12:13]
	s_cbranch_execz .LBB312_75
; %bb.74:
	v_add_co_u32_e64 v14, s[12:13], v10, v36
	v_addc_co_u32_e64 v15, s[12:13], 0, v11, s[12:13]
	flat_load_ubyte v29, v[14:15]
.LBB312_75:
	s_or_b64 exec, exec, s[14:15]
	s_waitcnt vmcnt(0) lgkmcnt(0)
	v_cmp_le_i16_sdwa s[12:13], sext(v29), sext(v28) src0_sel:BYTE_0 src1_sel:BYTE_0
	s_and_b64 s[12:13], vcc, s[12:13]
	s_or_b64 vcc, s[8:9], s[12:13]
	v_cndmask_b32_e32 v20, v36, v35, vcc
	v_cndmask_b32_e32 v14, v34, v33, vcc
	v_add_u32_e32 v16, 1, v20
	v_add_u32_e32 v14, -1, v14
	v_min_u32_e32 v14, v16, v14
	v_add_co_u32_e64 v14, s[8:9], v10, v14
	v_addc_co_u32_e64 v15, s[8:9], 0, v11, s[8:9]
	flat_load_ubyte v17, v[14:15]
	v_cndmask_b32_e32 v19, v35, v16, vcc
	v_cndmask_b32_e32 v18, v16, v36, vcc
	v_cmp_lt_u32_e64 s[12:13], v19, v33
	v_cmp_ge_u32_e64 s[8:9], v18, v34
	v_mov_b32_e32 v21, 0
	v_lshlrev_b64 v[14:15], 3, v[20:21]
	s_waitcnt vmcnt(0) lgkmcnt(0)
	v_cndmask_b32_e32 v30, v17, v29, vcc
	v_cndmask_b32_e32 v32, v28, v17, vcc
	v_cmp_le_i16_sdwa s[14:15], sext(v30), sext(v32) src0_sel:BYTE_0 src1_sel:BYTE_0
	s_and_b64 s[12:13], s[12:13], s[14:15]
	s_or_b64 s[8:9], s[8:9], s[12:13]
	v_cndmask_b32_e64 v20, v18, v19, s[8:9]
	v_cndmask_b32_e64 v16, v34, v33, s[8:9]
	v_add_u32_e32 v35, 1, v20
	v_add_u32_e32 v16, -1, v16
	v_min_u32_e32 v16, v35, v16
	v_add_co_u32_e64 v16, s[12:13], v10, v16
	v_addc_co_u32_e64 v17, s[12:13], 0, v11, s[12:13]
	flat_load_ubyte v36, v[16:17]
	v_cndmask_b32_e64 v37, v35, v18, s[8:9]
	v_cndmask_b32_e64 v35, v19, v35, s[8:9]
	v_cmp_lt_u32_e64 s[14:15], v35, v33
	v_cmp_ge_u32_e64 s[12:13], v37, v34
	v_lshlrev_b64 v[16:17], 3, v[20:21]
	v_cndmask_b32_e32 v28, v29, v28, vcc
	v_cndmask_b32_e64 v29, v30, v32, s[8:9]
	s_waitcnt vmcnt(0) lgkmcnt(0)
	v_cndmask_b32_e64 v38, v36, v30, s[8:9]
	v_cndmask_b32_e64 v36, v32, v36, s[8:9]
	v_cmp_le_i16_sdwa s[18:19], sext(v38), sext(v36) src0_sel:BYTE_0 src1_sel:BYTE_0
	s_and_b64 s[14:15], s[14:15], s[18:19]
	s_or_b64 s[12:13], s[12:13], s[14:15]
	v_cndmask_b32_e64 v20, v37, v35, s[12:13]
	v_cndmask_b32_e64 v18, v34, v33, s[12:13]
	v_add_u32_e32 v39, 1, v20
	v_add_u32_e32 v18, -1, v18
	v_min_u32_e32 v18, v39, v18
	v_add_co_u32_e64 v18, s[14:15], v10, v18
	v_addc_co_u32_e64 v19, s[14:15], 0, v11, s[14:15]
	flat_load_ubyte v48, v[18:19]
	v_add_co_u32_e64 v14, s[14:15], v4, v14
	v_addc_co_u32_e64 v15, s[14:15], v5, v15, s[14:15]
	v_add_co_u32_e64 v16, s[14:15], v4, v16
	v_addc_co_u32_e64 v17, s[14:15], v5, v17, s[14:15]
	flat_load_dwordx2 v[16:17], v[16:17] offset:1024
	v_lshlrev_b64 v[18:19], 3, v[20:21]
	flat_load_dwordx2 v[14:15], v[14:15] offset:1024
	v_add_co_u32_e64 v18, s[14:15], v4, v18
	v_addc_co_u32_e64 v19, s[14:15], v5, v19, s[14:15]
	v_cndmask_b32_e64 v20, v39, v37, s[12:13]
	v_cndmask_b32_e64 v35, v35, v39, s[12:13]
	v_cmp_ge_u32_e64 s[14:15], v20, v34
	v_cmp_lt_u32_e64 s[18:19], v35, v33
	flat_load_dwordx2 v[18:19], v[18:19] offset:1024
	v_cndmask_b32_e64 v30, v38, v36, s[12:13]
	s_waitcnt vmcnt(0) lgkmcnt(0)
	v_cndmask_b32_e64 v33, v48, v38, s[12:13]
	v_cndmask_b32_e64 v34, v36, v48, s[12:13]
	v_cmp_le_i16_sdwa s[24:25], sext(v33), sext(v34) src0_sel:BYTE_0 src1_sel:BYTE_0
	s_and_b64 s[18:19], s[18:19], s[24:25]
	s_or_b64 s[14:15], s[14:15], s[18:19]
	v_cndmask_b32_e64 v20, v20, v35, s[14:15]
	v_lshlrev_b64 v[20:21], 3, v[20:21]
	v_add_co_u32_e64 v20, s[18:19], v4, v20
	v_addc_co_u32_e64 v21, s[18:19], v5, v21, s[18:19]
	flat_load_dwordx2 v[20:21], v[20:21] offset:1024
	v_cndmask_b32_e64 v32, v33, v34, s[14:15]
.LBB312_76:
	s_or_b64 exec, exec, s[22:23]
	v_lshlrev_b16_e32 v33, 8, v29
	v_lshlrev_b16_e32 v34, 8, v32
	v_or_b32_sdwa v33, v28, v33 dst_sel:DWORD dst_unused:UNUSED_PAD src0_sel:BYTE_0 src1_sel:DWORD
	v_or_b32_sdwa v34, v30, v34 dst_sel:WORD_1 dst_unused:UNUSED_PAD src0_sel:BYTE_0 src1_sel:DWORD
	v_or_b32_sdwa v33, v33, v34 dst_sel:DWORD dst_unused:UNUSED_PAD src0_sel:WORD_0 src1_sel:DWORD
	v_and_b32_e32 v35, 0x1f0, v1
	; wave barrier
	flat_store_dwordx4 v[26:27], v[14:17] offset:1024
	flat_store_dword v[12:13], v33
	s_waitcnt vmcnt(0) lgkmcnt(0)
	flat_store_dwordx4 v[24:25], v[18:21] offset:16
	v_or_b32_e32 v33, 8, v35
	v_min_u32_e32 v33, v31, v33
	v_add_u32_e32 v34, 8, v33
	v_min_u32_e32 v34, v31, v34
	v_and_b32_e32 v36, 12, v1
	v_min_u32_e32 v36, v31, v36
	v_sub_u32_e32 v38, v33, v35
	v_sub_u32_e32 v37, v34, v33
	v_sub_u32_e64 v37, v36, v37 clamp
	v_min_u32_e32 v38, v36, v38
	v_cmp_lt_u32_e32 vcc, v37, v38
	; wave barrier
	s_and_saveexec_b64 s[8:9], vcc
	s_cbranch_execz .LBB312_80
; %bb.77:
	v_add_co_u32_e32 v39, vcc, v10, v35
	v_addc_co_u32_e32 v48, vcc, 0, v11, vcc
	v_add_co_u32_e32 v49, vcc, v10, v33
	v_addc_co_u32_e32 v50, vcc, 0, v11, vcc
	s_mov_b64 s[12:13], 0
.LBB312_78:                             ; =>This Inner Loop Header: Depth=1
	v_add_u32_e32 v51, v38, v37
	v_lshrrev_b32_e32 v51, 1, v51
	v_add_co_u32_e32 v52, vcc, v39, v51
	v_xad_u32 v54, v51, -1, v36
	v_addc_co_u32_e32 v53, vcc, 0, v48, vcc
	v_add_co_u32_e32 v54, vcc, v49, v54
	v_addc_co_u32_e32 v55, vcc, 0, v50, vcc
	flat_load_sbyte v64, v[52:53]
	flat_load_sbyte v65, v[54:55]
	v_add_u32_e32 v52, 1, v51
	s_waitcnt vmcnt(0) lgkmcnt(0)
	v_cmp_gt_i16_e32 vcc, v65, v64
	v_cndmask_b32_e32 v38, v38, v51, vcc
	v_cndmask_b32_e32 v37, v52, v37, vcc
	v_cmp_ge_u32_e32 vcc, v37, v38
	s_or_b64 s[12:13], vcc, s[12:13]
	s_andn2_b64 exec, exec, s[12:13]
	s_cbranch_execnz .LBB312_78
; %bb.79:
	s_or_b64 exec, exec, s[12:13]
.LBB312_80:
	s_or_b64 exec, exec, s[8:9]
	v_add_u32_e32 v36, v33, v36
	v_add_u32_e32 v35, v37, v35
	v_sub_u32_e32 v36, v36, v37
	v_cmp_le_u32_e32 vcc, v35, v33
	v_cmp_le_u32_e64 s[8:9], v36, v34
	s_or_b64 s[8:9], vcc, s[8:9]
	s_and_saveexec_b64 s[22:23], s[8:9]
	s_cbranch_execz .LBB312_86
; %bb.81:
	v_cmp_lt_u32_e32 vcc, v35, v33
                                        ; implicit-def: $vgpr28
	s_and_saveexec_b64 s[12:13], vcc
	s_cbranch_execz .LBB312_83
; %bb.82:
	v_add_co_u32_e64 v14, s[8:9], v10, v35
	v_addc_co_u32_e64 v15, s[8:9], 0, v11, s[8:9]
	flat_load_ubyte v28, v[14:15]
.LBB312_83:
	s_or_b64 exec, exec, s[12:13]
	v_cmp_ge_u32_e64 s[8:9], v36, v34
	v_cmp_lt_u32_e64 s[12:13], v36, v34
                                        ; implicit-def: $vgpr29
	s_and_saveexec_b64 s[14:15], s[12:13]
	s_cbranch_execz .LBB312_85
; %bb.84:
	v_add_co_u32_e64 v14, s[12:13], v10, v36
	v_addc_co_u32_e64 v15, s[12:13], 0, v11, s[12:13]
	flat_load_ubyte v29, v[14:15]
.LBB312_85:
	s_or_b64 exec, exec, s[14:15]
	s_waitcnt vmcnt(0) lgkmcnt(0)
	v_cmp_le_i16_sdwa s[12:13], sext(v29), sext(v28) src0_sel:BYTE_0 src1_sel:BYTE_0
	s_and_b64 s[12:13], vcc, s[12:13]
	s_or_b64 vcc, s[8:9], s[12:13]
	v_cndmask_b32_e32 v20, v36, v35, vcc
	v_cndmask_b32_e32 v14, v34, v33, vcc
	v_add_u32_e32 v16, 1, v20
	v_add_u32_e32 v14, -1, v14
	v_min_u32_e32 v14, v16, v14
	v_add_co_u32_e64 v14, s[8:9], v10, v14
	v_addc_co_u32_e64 v15, s[8:9], 0, v11, s[8:9]
	flat_load_ubyte v17, v[14:15]
	v_cndmask_b32_e32 v19, v35, v16, vcc
	v_cndmask_b32_e32 v18, v16, v36, vcc
	v_cmp_lt_u32_e64 s[12:13], v19, v33
	v_cmp_ge_u32_e64 s[8:9], v18, v34
	v_mov_b32_e32 v21, 0
	v_lshlrev_b64 v[14:15], 3, v[20:21]
	s_waitcnt vmcnt(0) lgkmcnt(0)
	v_cndmask_b32_e32 v30, v17, v29, vcc
	v_cndmask_b32_e32 v32, v28, v17, vcc
	v_cmp_le_i16_sdwa s[14:15], sext(v30), sext(v32) src0_sel:BYTE_0 src1_sel:BYTE_0
	s_and_b64 s[12:13], s[12:13], s[14:15]
	s_or_b64 s[8:9], s[8:9], s[12:13]
	v_cndmask_b32_e64 v20, v18, v19, s[8:9]
	v_cndmask_b32_e64 v16, v34, v33, s[8:9]
	v_add_u32_e32 v35, 1, v20
	v_add_u32_e32 v16, -1, v16
	v_min_u32_e32 v16, v35, v16
	v_add_co_u32_e64 v16, s[12:13], v10, v16
	v_addc_co_u32_e64 v17, s[12:13], 0, v11, s[12:13]
	flat_load_ubyte v36, v[16:17]
	v_cndmask_b32_e64 v37, v35, v18, s[8:9]
	v_cndmask_b32_e64 v35, v19, v35, s[8:9]
	v_cmp_lt_u32_e64 s[14:15], v35, v33
	v_cmp_ge_u32_e64 s[12:13], v37, v34
	v_lshlrev_b64 v[16:17], 3, v[20:21]
	v_cndmask_b32_e32 v28, v29, v28, vcc
	v_cndmask_b32_e64 v29, v30, v32, s[8:9]
	s_waitcnt vmcnt(0) lgkmcnt(0)
	v_cndmask_b32_e64 v38, v36, v30, s[8:9]
	v_cndmask_b32_e64 v36, v32, v36, s[8:9]
	v_cmp_le_i16_sdwa s[18:19], sext(v38), sext(v36) src0_sel:BYTE_0 src1_sel:BYTE_0
	s_and_b64 s[14:15], s[14:15], s[18:19]
	s_or_b64 s[12:13], s[12:13], s[14:15]
	v_cndmask_b32_e64 v20, v37, v35, s[12:13]
	v_cndmask_b32_e64 v18, v34, v33, s[12:13]
	v_add_u32_e32 v39, 1, v20
	v_add_u32_e32 v18, -1, v18
	v_min_u32_e32 v18, v39, v18
	v_add_co_u32_e64 v18, s[14:15], v10, v18
	v_addc_co_u32_e64 v19, s[14:15], 0, v11, s[14:15]
	flat_load_ubyte v48, v[18:19]
	v_add_co_u32_e64 v14, s[14:15], v4, v14
	v_addc_co_u32_e64 v15, s[14:15], v5, v15, s[14:15]
	v_add_co_u32_e64 v16, s[14:15], v4, v16
	v_addc_co_u32_e64 v17, s[14:15], v5, v17, s[14:15]
	flat_load_dwordx2 v[16:17], v[16:17] offset:1024
	v_lshlrev_b64 v[18:19], 3, v[20:21]
	flat_load_dwordx2 v[14:15], v[14:15] offset:1024
	v_add_co_u32_e64 v18, s[14:15], v4, v18
	v_addc_co_u32_e64 v19, s[14:15], v5, v19, s[14:15]
	v_cndmask_b32_e64 v20, v39, v37, s[12:13]
	v_cndmask_b32_e64 v35, v35, v39, s[12:13]
	v_cmp_ge_u32_e64 s[14:15], v20, v34
	v_cmp_lt_u32_e64 s[18:19], v35, v33
	flat_load_dwordx2 v[18:19], v[18:19] offset:1024
	v_cndmask_b32_e64 v30, v38, v36, s[12:13]
	s_waitcnt vmcnt(0) lgkmcnt(0)
	v_cndmask_b32_e64 v33, v48, v38, s[12:13]
	v_cndmask_b32_e64 v34, v36, v48, s[12:13]
	v_cmp_le_i16_sdwa s[24:25], sext(v33), sext(v34) src0_sel:BYTE_0 src1_sel:BYTE_0
	s_and_b64 s[18:19], s[18:19], s[24:25]
	s_or_b64 s[14:15], s[14:15], s[18:19]
	v_cndmask_b32_e64 v20, v20, v35, s[14:15]
	v_lshlrev_b64 v[20:21], 3, v[20:21]
	v_add_co_u32_e64 v20, s[18:19], v4, v20
	v_addc_co_u32_e64 v21, s[18:19], v5, v21, s[18:19]
	flat_load_dwordx2 v[20:21], v[20:21] offset:1024
	v_cndmask_b32_e64 v32, v33, v34, s[14:15]
.LBB312_86:
	s_or_b64 exec, exec, s[22:23]
	; wave barrier
	flat_store_dwordx4 v[26:27], v[14:17] offset:1024
	v_lshlrev_b16_e32 v26, 8, v29
	v_lshlrev_b16_e32 v27, 8, v32
	v_or_b32_sdwa v26, v28, v26 dst_sel:DWORD dst_unused:UNUSED_PAD src0_sel:BYTE_0 src1_sel:DWORD
	v_or_b32_sdwa v27, v30, v27 dst_sel:WORD_1 dst_unused:UNUSED_PAD src0_sel:BYTE_0 src1_sel:DWORD
	v_or_b32_sdwa v26, v26, v27 dst_sel:DWORD dst_unused:UNUSED_PAD src0_sel:WORD_0 src1_sel:DWORD
	flat_store_dword v[12:13], v26
	s_waitcnt vmcnt(0) lgkmcnt(0)
	flat_store_dwordx4 v[24:25], v[18:21] offset:16
	v_and_b32_e32 v13, 0x1e0, v1
	v_or_b32_e32 v1, 16, v13
	v_min_u32_e32 v1, v31, v1
	v_add_u32_e32 v12, 16, v1
	v_min_u32_e32 v12, v31, v12
	v_min_u32_e32 v24, v31, v0
	v_sub_u32_e32 v25, v1, v13
	v_sub_u32_e32 v26, v12, v1
	v_sub_u32_e64 v26, v24, v26 clamp
	v_min_u32_e32 v25, v24, v25
	v_cmp_lt_u32_e32 vcc, v26, v25
	; wave barrier
	s_and_saveexec_b64 s[8:9], vcc
	s_cbranch_execz .LBB312_90
; %bb.87:
	v_add_co_u32_e32 v27, vcc, v10, v13
	v_addc_co_u32_e32 v31, vcc, 0, v11, vcc
	v_add_co_u32_e32 v33, vcc, v10, v1
	v_addc_co_u32_e32 v34, vcc, 0, v11, vcc
	s_mov_b64 s[12:13], 0
.LBB312_88:                             ; =>This Inner Loop Header: Depth=1
	v_add_u32_e32 v35, v25, v26
	v_lshrrev_b32_e32 v35, 1, v35
	v_add_co_u32_e32 v36, vcc, v27, v35
	v_xad_u32 v38, v35, -1, v24
	v_addc_co_u32_e32 v37, vcc, 0, v31, vcc
	v_add_co_u32_e32 v38, vcc, v33, v38
	v_addc_co_u32_e32 v39, vcc, 0, v34, vcc
	flat_load_sbyte v48, v[36:37]
	flat_load_sbyte v49, v[38:39]
	v_add_u32_e32 v36, 1, v35
	s_waitcnt vmcnt(0) lgkmcnt(0)
	v_cmp_gt_i16_e32 vcc, v49, v48
	v_cndmask_b32_e32 v25, v25, v35, vcc
	v_cndmask_b32_e32 v26, v36, v26, vcc
	v_cmp_ge_u32_e32 vcc, v26, v25
	s_or_b64 s[12:13], vcc, s[12:13]
	s_andn2_b64 exec, exec, s[12:13]
	s_cbranch_execnz .LBB312_88
; %bb.89:
	s_or_b64 exec, exec, s[12:13]
.LBB312_90:
	s_or_b64 exec, exec, s[8:9]
	v_add_u32_e32 v25, v26, v13
	v_add_u32_e32 v13, v1, v24
	v_sub_u32_e32 v26, v13, v26
	v_cmp_le_u32_e32 vcc, v25, v1
	v_cmp_le_u32_e64 s[8:9], v26, v12
	s_or_b64 s[8:9], vcc, s[8:9]
	s_and_saveexec_b64 s[22:23], s[8:9]
	s_cbranch_execz .LBB312_96
; %bb.91:
	v_cmp_lt_u32_e32 vcc, v25, v1
                                        ; implicit-def: $vgpr13
	s_and_saveexec_b64 s[12:13], vcc
	s_cbranch_execz .LBB312_93
; %bb.92:
	v_add_co_u32_e64 v14, s[8:9], v10, v25
	v_addc_co_u32_e64 v15, s[8:9], 0, v11, s[8:9]
	flat_load_ubyte v13, v[14:15]
.LBB312_93:
	s_or_b64 exec, exec, s[12:13]
	v_cmp_ge_u32_e64 s[8:9], v26, v12
	v_cmp_lt_u32_e64 s[12:13], v26, v12
                                        ; implicit-def: $vgpr24
	s_and_saveexec_b64 s[14:15], s[12:13]
	s_cbranch_execz .LBB312_95
; %bb.94:
	v_add_co_u32_e64 v14, s[12:13], v10, v26
	v_addc_co_u32_e64 v15, s[12:13], 0, v11, s[12:13]
	flat_load_ubyte v24, v[14:15]
.LBB312_95:
	s_or_b64 exec, exec, s[14:15]
	s_waitcnt vmcnt(0) lgkmcnt(0)
	v_cmp_le_i16_sdwa s[12:13], sext(v24), sext(v13) src0_sel:BYTE_0 src1_sel:BYTE_0
	s_and_b64 s[12:13], vcc, s[12:13]
	s_or_b64 vcc, s[8:9], s[12:13]
	v_cndmask_b32_e32 v20, v26, v25, vcc
	v_cndmask_b32_e32 v14, v12, v1, vcc
	v_add_u32_e32 v16, 1, v20
	v_add_u32_e32 v14, -1, v14
	v_min_u32_e32 v14, v16, v14
	v_add_co_u32_e64 v14, s[8:9], v10, v14
	v_addc_co_u32_e64 v15, s[8:9], 0, v11, s[8:9]
	flat_load_ubyte v17, v[14:15]
	v_cndmask_b32_e32 v18, v16, v26, vcc
	v_cndmask_b32_e32 v19, v25, v16, vcc
	v_cmp_lt_u32_e64 s[12:13], v19, v1
	v_cmp_ge_u32_e64 s[8:9], v18, v12
	v_mov_b32_e32 v21, 0
	v_lshlrev_b64 v[14:15], 3, v[20:21]
	s_waitcnt vmcnt(0) lgkmcnt(0)
	v_cndmask_b32_e32 v25, v17, v24, vcc
	v_cndmask_b32_e32 v26, v13, v17, vcc
	v_cmp_le_i16_sdwa s[14:15], sext(v25), sext(v26) src0_sel:BYTE_0 src1_sel:BYTE_0
	s_and_b64 s[12:13], s[12:13], s[14:15]
	s_or_b64 s[8:9], s[8:9], s[12:13]
	v_cndmask_b32_e64 v20, v18, v19, s[8:9]
	v_cndmask_b32_e64 v16, v12, v1, s[8:9]
	v_add_u32_e32 v27, 1, v20
	v_add_u32_e32 v16, -1, v16
	v_min_u32_e32 v16, v27, v16
	v_add_co_u32_e64 v16, s[12:13], v10, v16
	v_addc_co_u32_e64 v17, s[12:13], 0, v11, s[12:13]
	flat_load_ubyte v28, v[16:17]
	v_cndmask_b32_e64 v29, v27, v18, s[8:9]
	v_cndmask_b32_e64 v27, v19, v27, s[8:9]
	v_cmp_lt_u32_e64 s[14:15], v27, v1
	v_cmp_ge_u32_e64 s[12:13], v29, v12
	v_lshlrev_b64 v[16:17], 3, v[20:21]
	s_waitcnt vmcnt(0) lgkmcnt(0)
	v_cndmask_b32_e64 v30, v28, v25, s[8:9]
	v_cndmask_b32_e64 v31, v26, v28, s[8:9]
	v_cmp_le_i16_sdwa s[18:19], sext(v30), sext(v31) src0_sel:BYTE_0 src1_sel:BYTE_0
	s_and_b64 s[14:15], s[14:15], s[18:19]
	s_or_b64 s[12:13], s[12:13], s[14:15]
	v_cndmask_b32_e64 v20, v29, v27, s[12:13]
	v_cndmask_b32_e64 v18, v12, v1, s[12:13]
	v_add_u32_e32 v28, 1, v20
	v_add_u32_e32 v18, -1, v18
	v_min_u32_e32 v18, v28, v18
	v_add_co_u32_e64 v10, s[14:15], v10, v18
	v_addc_co_u32_e64 v11, s[14:15], 0, v11, s[14:15]
	flat_load_ubyte v32, v[10:11]
	v_add_co_u32_e64 v10, s[14:15], v4, v14
	v_addc_co_u32_e64 v11, s[14:15], v5, v15, s[14:15]
	flat_load_dwordx2 v[14:15], v[10:11] offset:1024
	v_add_co_u32_e64 v10, s[14:15], v4, v16
	v_addc_co_u32_e64 v11, s[14:15], v5, v17, s[14:15]
	flat_load_dwordx2 v[16:17], v[10:11] offset:1024
	v_lshlrev_b64 v[10:11], 3, v[20:21]
	v_add_co_u32_e64 v10, s[14:15], v4, v10
	v_addc_co_u32_e64 v11, s[14:15], v5, v11, s[14:15]
	flat_load_dwordx2 v[18:19], v[10:11] offset:1024
	v_cndmask_b32_e64 v10, v28, v29, s[12:13]
	v_cndmask_b32_e64 v11, v27, v28, s[12:13]
	v_cmp_ge_u32_e64 s[14:15], v10, v12
	v_cmp_lt_u32_e64 s[18:19], v11, v1
	v_cndmask_b32_e32 v28, v24, v13, vcc
	v_cndmask_b32_e64 v29, v25, v26, s[8:9]
	s_waitcnt vmcnt(0) lgkmcnt(0)
	v_cndmask_b32_e64 v1, v32, v30, s[12:13]
	v_cndmask_b32_e64 v12, v31, v32, s[12:13]
	v_cmp_le_i16_sdwa s[24:25], sext(v1), sext(v12) src0_sel:BYTE_0 src1_sel:BYTE_0
	s_and_b64 s[18:19], s[18:19], s[24:25]
	s_or_b64 s[14:15], s[14:15], s[18:19]
	v_cndmask_b32_e64 v20, v10, v11, s[14:15]
	v_lshlrev_b64 v[10:11], 3, v[20:21]
	v_add_co_u32_e64 v4, s[18:19], v4, v10
	v_addc_co_u32_e64 v5, s[18:19], v5, v11, s[18:19]
	flat_load_dwordx2 v[20:21], v[4:5] offset:1024
	v_cndmask_b32_e64 v30, v30, v31, s[12:13]
	v_cndmask_b32_e64 v32, v1, v12, s[14:15]
.LBB312_96:
	s_or_b64 exec, exec, s[22:23]
	; wave barrier
	s_waitcnt lgkmcnt(0)
	s_barrier
.LBB312_97:
	s_or_b64 exec, exec, s[20:21]
	v_add_co_u32_e32 v1, vcc, v2, v8
	v_addc_co_u32_e32 v2, vcc, 0, v3, vcc
	v_add_co_u32_e32 v0, vcc, v1, v0
	v_addc_co_u32_e32 v1, vcc, 0, v2, vcc
	s_waitcnt lgkmcnt(0)
	; wave barrier
	s_and_saveexec_b64 s[8:9], s[4:5]
	s_cbranch_execnz .LBB312_110
; %bb.98:
	s_or_b64 exec, exec, s[8:9]
	s_and_saveexec_b64 s[8:9], s[6:7]
	s_cbranch_execnz .LBB312_111
.LBB312_99:
	s_or_b64 exec, exec, s[8:9]
	s_and_saveexec_b64 s[8:9], s[16:17]
	s_cbranch_execnz .LBB312_112
.LBB312_100:
	s_or_b64 exec, exec, s[8:9]
	s_and_saveexec_b64 s[8:9], s[10:11]
	s_cbranch_execz .LBB312_102
.LBB312_101:
	s_waitcnt vmcnt(0) lgkmcnt(0)
	flat_store_byte v[0:1], v32 offset:3
.LBB312_102:
	s_or_b64 exec, exec, s[8:9]
	v_add_co_u32_e32 v0, vcc, v6, v22
	v_addc_co_u32_e32 v1, vcc, v7, v23, vcc
	v_add_co_u32_e32 v0, vcc, v0, v9
	v_addc_co_u32_e32 v1, vcc, 0, v1, vcc
	; wave barrier
	s_and_saveexec_b64 s[8:9], s[4:5]
	s_cbranch_execnz .LBB312_113
; %bb.103:
	s_or_b64 exec, exec, s[8:9]
	s_and_saveexec_b64 s[4:5], s[6:7]
	s_cbranch_execnz .LBB312_114
.LBB312_104:
	s_or_b64 exec, exec, s[4:5]
	s_and_saveexec_b64 s[4:5], s[16:17]
	s_cbranch_execnz .LBB312_115
.LBB312_105:
	s_or_b64 exec, exec, s[4:5]
	s_and_saveexec_b64 s[4:5], s[10:11]
	s_cbranch_execnz .LBB312_116
.LBB312_106:
	s_or_b64 exec, exec, s[4:5]
	s_waitcnt vmcnt(0) lgkmcnt(0)
	s_setpc_b64 s[30:31]
.LBB312_107:
	flat_load_dwordx2 v[14:15], v[4:5]
	s_or_b64 exec, exec, s[14:15]
	s_and_saveexec_b64 s[14:15], s[6:7]
	s_cbranch_execz .LBB312_10
.LBB312_108:
	flat_load_dwordx2 v[16:17], v[4:5] offset:8
	s_or_b64 exec, exec, s[14:15]
                                        ; implicit-def: $vgpr18_vgpr19
	s_and_saveexec_b64 s[14:15], s[16:17]
	s_cbranch_execz .LBB312_11
.LBB312_109:
	flat_load_dwordx2 v[18:19], v[4:5] offset:16
	s_or_b64 exec, exec, s[14:15]
	s_and_saveexec_b64 s[14:15], s[10:11]
	s_cbranch_execnz .LBB312_12
	s_branch .LBB312_13
.LBB312_110:
	s_waitcnt vmcnt(0) lgkmcnt(0)
	flat_store_byte v[0:1], v28
	s_or_b64 exec, exec, s[8:9]
	s_and_saveexec_b64 s[8:9], s[6:7]
	s_cbranch_execz .LBB312_99
.LBB312_111:
	s_waitcnt vmcnt(0) lgkmcnt(0)
	flat_store_byte v[0:1], v29 offset:1
	s_or_b64 exec, exec, s[8:9]
	s_and_saveexec_b64 s[8:9], s[16:17]
	s_cbranch_execz .LBB312_100
.LBB312_112:
	s_waitcnt vmcnt(0) lgkmcnt(0)
	flat_store_byte v[0:1], v30 offset:2
	s_or_b64 exec, exec, s[8:9]
	s_and_saveexec_b64 s[8:9], s[10:11]
	s_cbranch_execnz .LBB312_101
	s_branch .LBB312_102
.LBB312_113:
	s_waitcnt vmcnt(0) lgkmcnt(0)
	flat_store_dwordx2 v[0:1], v[14:15]
	s_or_b64 exec, exec, s[8:9]
	s_and_saveexec_b64 s[4:5], s[6:7]
	s_cbranch_execz .LBB312_104
.LBB312_114:
	s_waitcnt vmcnt(0) lgkmcnt(0)
	flat_store_dwordx2 v[0:1], v[16:17] offset:8
	s_or_b64 exec, exec, s[4:5]
	s_and_saveexec_b64 s[4:5], s[16:17]
	s_cbranch_execz .LBB312_105
.LBB312_115:
	s_waitcnt vmcnt(0) lgkmcnt(0)
	flat_store_dwordx2 v[0:1], v[18:19] offset:16
	s_or_b64 exec, exec, s[4:5]
	s_and_saveexec_b64 s[4:5], s[10:11]
	s_cbranch_execz .LBB312_106
.LBB312_116:
	s_waitcnt vmcnt(0) lgkmcnt(0)
	flat_store_dwordx2 v[0:1], v[20:21] offset:24
	s_or_b64 exec, exec, s[4:5]
	s_waitcnt vmcnt(0) lgkmcnt(0)
	s_setpc_b64 s[30:31]
.Lfunc_end312:
	.size	_ZN7rocprim17ROCPRIM_400000_NS6detail26segmented_warp_sort_helperINS1_20WarpSortHelperConfigILj8ELj4ELj256EEEalLi256ELb1EvE4sortIPKaPaPKlPlEEvT_T0_T1_T2_jjjjRNS5_12storage_typeE, .Lfunc_end312-_ZN7rocprim17ROCPRIM_400000_NS6detail26segmented_warp_sort_helperINS1_20WarpSortHelperConfigILj8ELj4ELj256EEEalLi256ELb1EvE4sortIPKaPaPKlPlEEvT_T0_T1_T2_jjjjRNS5_12storage_typeE
                                        ; -- End function
	.section	.AMDGPU.csdata,"",@progbits
; Function info:
; codeLenInByte = 7544
; NumSgprs: 36
; NumVgprs: 67
; NumAgprs: 0
; TotalNumVgprs: 67
; ScratchSize: 0
; MemoryBound: 0
	.section	.text._ZN7rocprim17ROCPRIM_400000_NS6detail17trampoline_kernelINS0_14default_configENS1_36segmented_radix_sort_config_selectorIalEEZNS1_25segmented_radix_sort_implIS3_Lb1EPKaPaPKlPlN2at6native12_GLOBAL__N_18offset_tEEE10hipError_tPvRmT1_PNSt15iterator_traitsISK_E10value_typeET2_T3_PNSL_ISQ_E10value_typeET4_jRbjT5_SW_jjP12ihipStream_tbEUlT_E1_NS1_11comp_targetILNS1_3genE4ELNS1_11target_archE910ELNS1_3gpuE8ELNS1_3repE0EEENS1_59segmented_radix_sort_warp_sort_small_config_static_selectorELNS0_4arch9wavefront6targetE1EEEvSK_,"axG",@progbits,_ZN7rocprim17ROCPRIM_400000_NS6detail17trampoline_kernelINS0_14default_configENS1_36segmented_radix_sort_config_selectorIalEEZNS1_25segmented_radix_sort_implIS3_Lb1EPKaPaPKlPlN2at6native12_GLOBAL__N_18offset_tEEE10hipError_tPvRmT1_PNSt15iterator_traitsISK_E10value_typeET2_T3_PNSL_ISQ_E10value_typeET4_jRbjT5_SW_jjP12ihipStream_tbEUlT_E1_NS1_11comp_targetILNS1_3genE4ELNS1_11target_archE910ELNS1_3gpuE8ELNS1_3repE0EEENS1_59segmented_radix_sort_warp_sort_small_config_static_selectorELNS0_4arch9wavefront6targetE1EEEvSK_,comdat
	.globl	_ZN7rocprim17ROCPRIM_400000_NS6detail17trampoline_kernelINS0_14default_configENS1_36segmented_radix_sort_config_selectorIalEEZNS1_25segmented_radix_sort_implIS3_Lb1EPKaPaPKlPlN2at6native12_GLOBAL__N_18offset_tEEE10hipError_tPvRmT1_PNSt15iterator_traitsISK_E10value_typeET2_T3_PNSL_ISQ_E10value_typeET4_jRbjT5_SW_jjP12ihipStream_tbEUlT_E1_NS1_11comp_targetILNS1_3genE4ELNS1_11target_archE910ELNS1_3gpuE8ELNS1_3repE0EEENS1_59segmented_radix_sort_warp_sort_small_config_static_selectorELNS0_4arch9wavefront6targetE1EEEvSK_ ; -- Begin function _ZN7rocprim17ROCPRIM_400000_NS6detail17trampoline_kernelINS0_14default_configENS1_36segmented_radix_sort_config_selectorIalEEZNS1_25segmented_radix_sort_implIS3_Lb1EPKaPaPKlPlN2at6native12_GLOBAL__N_18offset_tEEE10hipError_tPvRmT1_PNSt15iterator_traitsISK_E10value_typeET2_T3_PNSL_ISQ_E10value_typeET4_jRbjT5_SW_jjP12ihipStream_tbEUlT_E1_NS1_11comp_targetILNS1_3genE4ELNS1_11target_archE910ELNS1_3gpuE8ELNS1_3repE0EEENS1_59segmented_radix_sort_warp_sort_small_config_static_selectorELNS0_4arch9wavefront6targetE1EEEvSK_
	.p2align	8
	.type	_ZN7rocprim17ROCPRIM_400000_NS6detail17trampoline_kernelINS0_14default_configENS1_36segmented_radix_sort_config_selectorIalEEZNS1_25segmented_radix_sort_implIS3_Lb1EPKaPaPKlPlN2at6native12_GLOBAL__N_18offset_tEEE10hipError_tPvRmT1_PNSt15iterator_traitsISK_E10value_typeET2_T3_PNSL_ISQ_E10value_typeET4_jRbjT5_SW_jjP12ihipStream_tbEUlT_E1_NS1_11comp_targetILNS1_3genE4ELNS1_11target_archE910ELNS1_3gpuE8ELNS1_3repE0EEENS1_59segmented_radix_sort_warp_sort_small_config_static_selectorELNS0_4arch9wavefront6targetE1EEEvSK_,@function
_ZN7rocprim17ROCPRIM_400000_NS6detail17trampoline_kernelINS0_14default_configENS1_36segmented_radix_sort_config_selectorIalEEZNS1_25segmented_radix_sort_implIS3_Lb1EPKaPaPKlPlN2at6native12_GLOBAL__N_18offset_tEEE10hipError_tPvRmT1_PNSt15iterator_traitsISK_E10value_typeET2_T3_PNSL_ISQ_E10value_typeET4_jRbjT5_SW_jjP12ihipStream_tbEUlT_E1_NS1_11comp_targetILNS1_3genE4ELNS1_11target_archE910ELNS1_3gpuE8ELNS1_3repE0EEENS1_59segmented_radix_sort_warp_sort_small_config_static_selectorELNS0_4arch9wavefront6targetE1EEEvSK_: ; @_ZN7rocprim17ROCPRIM_400000_NS6detail17trampoline_kernelINS0_14default_configENS1_36segmented_radix_sort_config_selectorIalEEZNS1_25segmented_radix_sort_implIS3_Lb1EPKaPaPKlPlN2at6native12_GLOBAL__N_18offset_tEEE10hipError_tPvRmT1_PNSt15iterator_traitsISK_E10value_typeET2_T3_PNSL_ISQ_E10value_typeET4_jRbjT5_SW_jjP12ihipStream_tbEUlT_E1_NS1_11comp_targetILNS1_3genE4ELNS1_11target_archE910ELNS1_3gpuE8ELNS1_3repE0EEENS1_59segmented_radix_sort_warp_sort_small_config_static_selectorELNS0_4arch9wavefront6targetE1EEEvSK_
; %bb.0:
	s_add_u32 flat_scratch_lo, s6, s10
	s_addc_u32 flat_scratch_hi, s7, 0
	s_add_u32 s0, s0, s10
	s_load_dword s6, s[4:5], 0x64
	s_load_dword s10, s[4:5], 0x34
	s_addc_u32 s1, s1, 0
	v_bfe_u32 v1, v0, 10, 10
	v_bfe_u32 v2, v0, 20, 10
	s_waitcnt lgkmcnt(0)
	s_lshr_b32 s7, s6, 16
	s_and_b32 s6, s6, 0xffff
	v_mad_u32_u24 v1, v2, s7, v1
	v_and_b32_e32 v2, 0x3ff, v0
	v_mad_u64_u32 v[2:3], s[6:7], v1, s6, v[2:3]
	v_lshrrev_b32_e32 v1, 3, v2
	v_lshl_add_u32 v2, s8, 5, v1
	v_cmp_gt_u32_e32 vcc, s10, v2
	s_mov_b32 s32, 0
	s_and_saveexec_b64 s[6:7], vcc
	s_cbranch_execz .LBB313_6
; %bb.1:
	s_load_dwordx2 s[6:7], s[4:5], 0x38
	s_load_dwordx4 s[12:15], s[4:5], 0x40
	v_mov_b32_e32 v3, 0
	v_lshlrev_b64 v[2:3], 2, v[2:3]
	s_waitcnt lgkmcnt(0)
	v_mov_b32_e32 v1, s7
	v_sub_co_u32_e32 v2, vcc, s6, v2
	v_subb_co_u32_e32 v3, vcc, v1, v3, vcc
	global_load_dword v1, v[2:3], off offset:-4
	s_waitcnt vmcnt(0)
	v_add_u32_e32 v2, s13, v1
	v_add_u32_e32 v1, s15, v1
	v_mul_lo_u32 v8, v2, s12
	v_mul_lo_u32 v40, v1, s14
	v_cmp_gt_u32_e32 vcc, v40, v8
	s_and_b64 exec, exec, vcc
	s_cbranch_execz .LBB313_6
; %bb.2:
	s_load_dwordx4 s[44:47], s[4:5], 0x20
	s_load_dword s6, s[4:5], 0x30
	s_load_dwordx8 s[36:43], s[4:5], 0x0
	s_load_dwordx2 s[48:49], s[4:5], 0x50
	s_mov_b32 s34, s8
	s_mov_b32 s33, s9
	s_waitcnt lgkmcnt(0)
	s_bitcmp0_b32 s6, 0
	s_mov_b64 s[6:7], -1
	s_cbranch_scc0 .LBB313_4
; %bb.3:
	s_add_u32 s8, s4, 0x58
	s_mov_b64 s[6:7], src_shared_base
	s_addc_u32 s9, s5, 0
	s_mov_b32 s12, s34
	s_mov_b32 s13, s33
	v_mov_b32_e32 v31, v0
	v_mov_b32_e32 v41, v0
	;; [unrolled: 1-line block ×15, first 2 shown]
	s_getpc_b64 s[10:11]
	s_add_u32 s10, s10, _ZN7rocprim17ROCPRIM_400000_NS6detail26segmented_warp_sort_helperINS1_20WarpSortHelperConfigILj8ELj4ELj256EEEalLi256ELb1EvE4sortIPKaPaPKlPlEEvT_T0_T1_T2_jjjjRNS5_12storage_typeE@rel32@lo+4
	s_addc_u32 s11, s11, _ZN7rocprim17ROCPRIM_400000_NS6detail26segmented_warp_sort_helperINS1_20WarpSortHelperConfigILj8ELj4ELj256EEEalLi256ELb1EvE4sortIPKaPaPKlPlEEvT_T0_T1_T2_jjjjRNS5_12storage_typeE@rel32@hi+12
	s_mov_b64 s[38:39], s[4:5]
	s_swappc_b64 s[30:31], s[10:11]
	v_mov_b32_e32 v0, v41
	s_mov_b64 s[4:5], s[38:39]
	s_mov_b64 s[6:7], 0
.LBB313_4:
	s_andn2_b64 vcc, exec, s[6:7]
	s_cbranch_vccnz .LBB313_6
; %bb.5:
	s_add_u32 s8, s4, 0x58
	s_addc_u32 s9, s5, 0
	s_mov_b64 s[4:5], src_shared_base
	s_mov_b32 s12, s34
	s_mov_b32 s13, s33
	v_mov_b32_e32 v31, v0
	v_mov_b32_e32 v0, s36
	;; [unrolled: 1-line block ×14, first 2 shown]
	s_getpc_b64 s[6:7]
	s_add_u32 s6, s6, _ZN7rocprim17ROCPRIM_400000_NS6detail26segmented_warp_sort_helperINS1_20WarpSortHelperConfigILj8ELj4ELj256EEEalLi256ELb1EvE4sortIPKaPaPKlPlEEvT_T0_T1_T2_jjjjRNS5_12storage_typeE@rel32@lo+4
	s_addc_u32 s7, s7, _ZN7rocprim17ROCPRIM_400000_NS6detail26segmented_warp_sort_helperINS1_20WarpSortHelperConfigILj8ELj4ELj256EEEalLi256ELb1EvE4sortIPKaPaPKlPlEEvT_T0_T1_T2_jjjjRNS5_12storage_typeE@rel32@hi+12
	s_swappc_b64 s[30:31], s[6:7]
.LBB313_6:
	s_endpgm
	.section	.rodata,"a",@progbits
	.p2align	6, 0x0
	.amdhsa_kernel _ZN7rocprim17ROCPRIM_400000_NS6detail17trampoline_kernelINS0_14default_configENS1_36segmented_radix_sort_config_selectorIalEEZNS1_25segmented_radix_sort_implIS3_Lb1EPKaPaPKlPlN2at6native12_GLOBAL__N_18offset_tEEE10hipError_tPvRmT1_PNSt15iterator_traitsISK_E10value_typeET2_T3_PNSL_ISQ_E10value_typeET4_jRbjT5_SW_jjP12ihipStream_tbEUlT_E1_NS1_11comp_targetILNS1_3genE4ELNS1_11target_archE910ELNS1_3gpuE8ELNS1_3repE0EEENS1_59segmented_radix_sort_warp_sort_small_config_static_selectorELNS0_4arch9wavefront6targetE1EEEvSK_
		.amdhsa_group_segment_fixed_size 9216
		.amdhsa_private_segment_fixed_size 0
		.amdhsa_kernarg_size 344
		.amdhsa_user_sgpr_count 8
		.amdhsa_user_sgpr_private_segment_buffer 1
		.amdhsa_user_sgpr_dispatch_ptr 0
		.amdhsa_user_sgpr_queue_ptr 0
		.amdhsa_user_sgpr_kernarg_segment_ptr 1
		.amdhsa_user_sgpr_dispatch_id 0
		.amdhsa_user_sgpr_flat_scratch_init 1
		.amdhsa_user_sgpr_kernarg_preload_length 0
		.amdhsa_user_sgpr_kernarg_preload_offset 0
		.amdhsa_user_sgpr_private_segment_size 0
		.amdhsa_uses_dynamic_stack 0
		.amdhsa_system_sgpr_private_segment_wavefront_offset 0
		.amdhsa_system_sgpr_workgroup_id_x 1
		.amdhsa_system_sgpr_workgroup_id_y 1
		.amdhsa_system_sgpr_workgroup_id_z 0
		.amdhsa_system_sgpr_workgroup_info 0
		.amdhsa_system_vgpr_workitem_id 2
		.amdhsa_next_free_vgpr 67
		.amdhsa_next_free_sgpr 50
		.amdhsa_accum_offset 68
		.amdhsa_reserve_vcc 1
		.amdhsa_reserve_flat_scratch 1
		.amdhsa_float_round_mode_32 0
		.amdhsa_float_round_mode_16_64 0
		.amdhsa_float_denorm_mode_32 3
		.amdhsa_float_denorm_mode_16_64 3
		.amdhsa_dx10_clamp 1
		.amdhsa_ieee_mode 1
		.amdhsa_fp16_overflow 0
		.amdhsa_tg_split 0
		.amdhsa_exception_fp_ieee_invalid_op 0
		.amdhsa_exception_fp_denorm_src 0
		.amdhsa_exception_fp_ieee_div_zero 0
		.amdhsa_exception_fp_ieee_overflow 0
		.amdhsa_exception_fp_ieee_underflow 0
		.amdhsa_exception_fp_ieee_inexact 0
		.amdhsa_exception_int_div_zero 0
	.end_amdhsa_kernel
	.section	.text._ZN7rocprim17ROCPRIM_400000_NS6detail17trampoline_kernelINS0_14default_configENS1_36segmented_radix_sort_config_selectorIalEEZNS1_25segmented_radix_sort_implIS3_Lb1EPKaPaPKlPlN2at6native12_GLOBAL__N_18offset_tEEE10hipError_tPvRmT1_PNSt15iterator_traitsISK_E10value_typeET2_T3_PNSL_ISQ_E10value_typeET4_jRbjT5_SW_jjP12ihipStream_tbEUlT_E1_NS1_11comp_targetILNS1_3genE4ELNS1_11target_archE910ELNS1_3gpuE8ELNS1_3repE0EEENS1_59segmented_radix_sort_warp_sort_small_config_static_selectorELNS0_4arch9wavefront6targetE1EEEvSK_,"axG",@progbits,_ZN7rocprim17ROCPRIM_400000_NS6detail17trampoline_kernelINS0_14default_configENS1_36segmented_radix_sort_config_selectorIalEEZNS1_25segmented_radix_sort_implIS3_Lb1EPKaPaPKlPlN2at6native12_GLOBAL__N_18offset_tEEE10hipError_tPvRmT1_PNSt15iterator_traitsISK_E10value_typeET2_T3_PNSL_ISQ_E10value_typeET4_jRbjT5_SW_jjP12ihipStream_tbEUlT_E1_NS1_11comp_targetILNS1_3genE4ELNS1_11target_archE910ELNS1_3gpuE8ELNS1_3repE0EEENS1_59segmented_radix_sort_warp_sort_small_config_static_selectorELNS0_4arch9wavefront6targetE1EEEvSK_,comdat
.Lfunc_end313:
	.size	_ZN7rocprim17ROCPRIM_400000_NS6detail17trampoline_kernelINS0_14default_configENS1_36segmented_radix_sort_config_selectorIalEEZNS1_25segmented_radix_sort_implIS3_Lb1EPKaPaPKlPlN2at6native12_GLOBAL__N_18offset_tEEE10hipError_tPvRmT1_PNSt15iterator_traitsISK_E10value_typeET2_T3_PNSL_ISQ_E10value_typeET4_jRbjT5_SW_jjP12ihipStream_tbEUlT_E1_NS1_11comp_targetILNS1_3genE4ELNS1_11target_archE910ELNS1_3gpuE8ELNS1_3repE0EEENS1_59segmented_radix_sort_warp_sort_small_config_static_selectorELNS0_4arch9wavefront6targetE1EEEvSK_, .Lfunc_end313-_ZN7rocprim17ROCPRIM_400000_NS6detail17trampoline_kernelINS0_14default_configENS1_36segmented_radix_sort_config_selectorIalEEZNS1_25segmented_radix_sort_implIS3_Lb1EPKaPaPKlPlN2at6native12_GLOBAL__N_18offset_tEEE10hipError_tPvRmT1_PNSt15iterator_traitsISK_E10value_typeET2_T3_PNSL_ISQ_E10value_typeET4_jRbjT5_SW_jjP12ihipStream_tbEUlT_E1_NS1_11comp_targetILNS1_3genE4ELNS1_11target_archE910ELNS1_3gpuE8ELNS1_3repE0EEENS1_59segmented_radix_sort_warp_sort_small_config_static_selectorELNS0_4arch9wavefront6targetE1EEEvSK_
                                        ; -- End function
	.section	.AMDGPU.csdata,"",@progbits
; Kernel info:
; codeLenInByte = 504
; NumSgprs: 56
; NumVgprs: 67
; NumAgprs: 0
; TotalNumVgprs: 67
; ScratchSize: 0
; MemoryBound: 0
; FloatMode: 240
; IeeeMode: 1
; LDSByteSize: 9216 bytes/workgroup (compile time only)
; SGPRBlocks: 6
; VGPRBlocks: 8
; NumSGPRsForWavesPerEU: 56
; NumVGPRsForWavesPerEU: 67
; AccumOffset: 68
; Occupancy: 7
; WaveLimiterHint : 0
; COMPUTE_PGM_RSRC2:SCRATCH_EN: 0
; COMPUTE_PGM_RSRC2:USER_SGPR: 8
; COMPUTE_PGM_RSRC2:TRAP_HANDLER: 0
; COMPUTE_PGM_RSRC2:TGID_X_EN: 1
; COMPUTE_PGM_RSRC2:TGID_Y_EN: 1
; COMPUTE_PGM_RSRC2:TGID_Z_EN: 0
; COMPUTE_PGM_RSRC2:TIDIG_COMP_CNT: 2
; COMPUTE_PGM_RSRC3_GFX90A:ACCUM_OFFSET: 16
; COMPUTE_PGM_RSRC3_GFX90A:TG_SPLIT: 0
	.section	.text._ZN7rocprim17ROCPRIM_400000_NS6detail17trampoline_kernelINS0_14default_configENS1_36segmented_radix_sort_config_selectorIalEEZNS1_25segmented_radix_sort_implIS3_Lb1EPKaPaPKlPlN2at6native12_GLOBAL__N_18offset_tEEE10hipError_tPvRmT1_PNSt15iterator_traitsISK_E10value_typeET2_T3_PNSL_ISQ_E10value_typeET4_jRbjT5_SW_jjP12ihipStream_tbEUlT_E1_NS1_11comp_targetILNS1_3genE3ELNS1_11target_archE908ELNS1_3gpuE7ELNS1_3repE0EEENS1_59segmented_radix_sort_warp_sort_small_config_static_selectorELNS0_4arch9wavefront6targetE1EEEvSK_,"axG",@progbits,_ZN7rocprim17ROCPRIM_400000_NS6detail17trampoline_kernelINS0_14default_configENS1_36segmented_radix_sort_config_selectorIalEEZNS1_25segmented_radix_sort_implIS3_Lb1EPKaPaPKlPlN2at6native12_GLOBAL__N_18offset_tEEE10hipError_tPvRmT1_PNSt15iterator_traitsISK_E10value_typeET2_T3_PNSL_ISQ_E10value_typeET4_jRbjT5_SW_jjP12ihipStream_tbEUlT_E1_NS1_11comp_targetILNS1_3genE3ELNS1_11target_archE908ELNS1_3gpuE7ELNS1_3repE0EEENS1_59segmented_radix_sort_warp_sort_small_config_static_selectorELNS0_4arch9wavefront6targetE1EEEvSK_,comdat
	.globl	_ZN7rocprim17ROCPRIM_400000_NS6detail17trampoline_kernelINS0_14default_configENS1_36segmented_radix_sort_config_selectorIalEEZNS1_25segmented_radix_sort_implIS3_Lb1EPKaPaPKlPlN2at6native12_GLOBAL__N_18offset_tEEE10hipError_tPvRmT1_PNSt15iterator_traitsISK_E10value_typeET2_T3_PNSL_ISQ_E10value_typeET4_jRbjT5_SW_jjP12ihipStream_tbEUlT_E1_NS1_11comp_targetILNS1_3genE3ELNS1_11target_archE908ELNS1_3gpuE7ELNS1_3repE0EEENS1_59segmented_radix_sort_warp_sort_small_config_static_selectorELNS0_4arch9wavefront6targetE1EEEvSK_ ; -- Begin function _ZN7rocprim17ROCPRIM_400000_NS6detail17trampoline_kernelINS0_14default_configENS1_36segmented_radix_sort_config_selectorIalEEZNS1_25segmented_radix_sort_implIS3_Lb1EPKaPaPKlPlN2at6native12_GLOBAL__N_18offset_tEEE10hipError_tPvRmT1_PNSt15iterator_traitsISK_E10value_typeET2_T3_PNSL_ISQ_E10value_typeET4_jRbjT5_SW_jjP12ihipStream_tbEUlT_E1_NS1_11comp_targetILNS1_3genE3ELNS1_11target_archE908ELNS1_3gpuE7ELNS1_3repE0EEENS1_59segmented_radix_sort_warp_sort_small_config_static_selectorELNS0_4arch9wavefront6targetE1EEEvSK_
	.p2align	8
	.type	_ZN7rocprim17ROCPRIM_400000_NS6detail17trampoline_kernelINS0_14default_configENS1_36segmented_radix_sort_config_selectorIalEEZNS1_25segmented_radix_sort_implIS3_Lb1EPKaPaPKlPlN2at6native12_GLOBAL__N_18offset_tEEE10hipError_tPvRmT1_PNSt15iterator_traitsISK_E10value_typeET2_T3_PNSL_ISQ_E10value_typeET4_jRbjT5_SW_jjP12ihipStream_tbEUlT_E1_NS1_11comp_targetILNS1_3genE3ELNS1_11target_archE908ELNS1_3gpuE7ELNS1_3repE0EEENS1_59segmented_radix_sort_warp_sort_small_config_static_selectorELNS0_4arch9wavefront6targetE1EEEvSK_,@function
_ZN7rocprim17ROCPRIM_400000_NS6detail17trampoline_kernelINS0_14default_configENS1_36segmented_radix_sort_config_selectorIalEEZNS1_25segmented_radix_sort_implIS3_Lb1EPKaPaPKlPlN2at6native12_GLOBAL__N_18offset_tEEE10hipError_tPvRmT1_PNSt15iterator_traitsISK_E10value_typeET2_T3_PNSL_ISQ_E10value_typeET4_jRbjT5_SW_jjP12ihipStream_tbEUlT_E1_NS1_11comp_targetILNS1_3genE3ELNS1_11target_archE908ELNS1_3gpuE7ELNS1_3repE0EEENS1_59segmented_radix_sort_warp_sort_small_config_static_selectorELNS0_4arch9wavefront6targetE1EEEvSK_: ; @_ZN7rocprim17ROCPRIM_400000_NS6detail17trampoline_kernelINS0_14default_configENS1_36segmented_radix_sort_config_selectorIalEEZNS1_25segmented_radix_sort_implIS3_Lb1EPKaPaPKlPlN2at6native12_GLOBAL__N_18offset_tEEE10hipError_tPvRmT1_PNSt15iterator_traitsISK_E10value_typeET2_T3_PNSL_ISQ_E10value_typeET4_jRbjT5_SW_jjP12ihipStream_tbEUlT_E1_NS1_11comp_targetILNS1_3genE3ELNS1_11target_archE908ELNS1_3gpuE7ELNS1_3repE0EEENS1_59segmented_radix_sort_warp_sort_small_config_static_selectorELNS0_4arch9wavefront6targetE1EEEvSK_
; %bb.0:
	.section	.rodata,"a",@progbits
	.p2align	6, 0x0
	.amdhsa_kernel _ZN7rocprim17ROCPRIM_400000_NS6detail17trampoline_kernelINS0_14default_configENS1_36segmented_radix_sort_config_selectorIalEEZNS1_25segmented_radix_sort_implIS3_Lb1EPKaPaPKlPlN2at6native12_GLOBAL__N_18offset_tEEE10hipError_tPvRmT1_PNSt15iterator_traitsISK_E10value_typeET2_T3_PNSL_ISQ_E10value_typeET4_jRbjT5_SW_jjP12ihipStream_tbEUlT_E1_NS1_11comp_targetILNS1_3genE3ELNS1_11target_archE908ELNS1_3gpuE7ELNS1_3repE0EEENS1_59segmented_radix_sort_warp_sort_small_config_static_selectorELNS0_4arch9wavefront6targetE1EEEvSK_
		.amdhsa_group_segment_fixed_size 0
		.amdhsa_private_segment_fixed_size 0
		.amdhsa_kernarg_size 88
		.amdhsa_user_sgpr_count 6
		.amdhsa_user_sgpr_private_segment_buffer 1
		.amdhsa_user_sgpr_dispatch_ptr 0
		.amdhsa_user_sgpr_queue_ptr 0
		.amdhsa_user_sgpr_kernarg_segment_ptr 1
		.amdhsa_user_sgpr_dispatch_id 0
		.amdhsa_user_sgpr_flat_scratch_init 0
		.amdhsa_user_sgpr_kernarg_preload_length 0
		.amdhsa_user_sgpr_kernarg_preload_offset 0
		.amdhsa_user_sgpr_private_segment_size 0
		.amdhsa_uses_dynamic_stack 0
		.amdhsa_system_sgpr_private_segment_wavefront_offset 0
		.amdhsa_system_sgpr_workgroup_id_x 1
		.amdhsa_system_sgpr_workgroup_id_y 0
		.amdhsa_system_sgpr_workgroup_id_z 0
		.amdhsa_system_sgpr_workgroup_info 0
		.amdhsa_system_vgpr_workitem_id 0
		.amdhsa_next_free_vgpr 1
		.amdhsa_next_free_sgpr 0
		.amdhsa_accum_offset 4
		.amdhsa_reserve_vcc 0
		.amdhsa_reserve_flat_scratch 0
		.amdhsa_float_round_mode_32 0
		.amdhsa_float_round_mode_16_64 0
		.amdhsa_float_denorm_mode_32 3
		.amdhsa_float_denorm_mode_16_64 3
		.amdhsa_dx10_clamp 1
		.amdhsa_ieee_mode 1
		.amdhsa_fp16_overflow 0
		.amdhsa_tg_split 0
		.amdhsa_exception_fp_ieee_invalid_op 0
		.amdhsa_exception_fp_denorm_src 0
		.amdhsa_exception_fp_ieee_div_zero 0
		.amdhsa_exception_fp_ieee_overflow 0
		.amdhsa_exception_fp_ieee_underflow 0
		.amdhsa_exception_fp_ieee_inexact 0
		.amdhsa_exception_int_div_zero 0
	.end_amdhsa_kernel
	.section	.text._ZN7rocprim17ROCPRIM_400000_NS6detail17trampoline_kernelINS0_14default_configENS1_36segmented_radix_sort_config_selectorIalEEZNS1_25segmented_radix_sort_implIS3_Lb1EPKaPaPKlPlN2at6native12_GLOBAL__N_18offset_tEEE10hipError_tPvRmT1_PNSt15iterator_traitsISK_E10value_typeET2_T3_PNSL_ISQ_E10value_typeET4_jRbjT5_SW_jjP12ihipStream_tbEUlT_E1_NS1_11comp_targetILNS1_3genE3ELNS1_11target_archE908ELNS1_3gpuE7ELNS1_3repE0EEENS1_59segmented_radix_sort_warp_sort_small_config_static_selectorELNS0_4arch9wavefront6targetE1EEEvSK_,"axG",@progbits,_ZN7rocprim17ROCPRIM_400000_NS6detail17trampoline_kernelINS0_14default_configENS1_36segmented_radix_sort_config_selectorIalEEZNS1_25segmented_radix_sort_implIS3_Lb1EPKaPaPKlPlN2at6native12_GLOBAL__N_18offset_tEEE10hipError_tPvRmT1_PNSt15iterator_traitsISK_E10value_typeET2_T3_PNSL_ISQ_E10value_typeET4_jRbjT5_SW_jjP12ihipStream_tbEUlT_E1_NS1_11comp_targetILNS1_3genE3ELNS1_11target_archE908ELNS1_3gpuE7ELNS1_3repE0EEENS1_59segmented_radix_sort_warp_sort_small_config_static_selectorELNS0_4arch9wavefront6targetE1EEEvSK_,comdat
.Lfunc_end314:
	.size	_ZN7rocprim17ROCPRIM_400000_NS6detail17trampoline_kernelINS0_14default_configENS1_36segmented_radix_sort_config_selectorIalEEZNS1_25segmented_radix_sort_implIS3_Lb1EPKaPaPKlPlN2at6native12_GLOBAL__N_18offset_tEEE10hipError_tPvRmT1_PNSt15iterator_traitsISK_E10value_typeET2_T3_PNSL_ISQ_E10value_typeET4_jRbjT5_SW_jjP12ihipStream_tbEUlT_E1_NS1_11comp_targetILNS1_3genE3ELNS1_11target_archE908ELNS1_3gpuE7ELNS1_3repE0EEENS1_59segmented_radix_sort_warp_sort_small_config_static_selectorELNS0_4arch9wavefront6targetE1EEEvSK_, .Lfunc_end314-_ZN7rocprim17ROCPRIM_400000_NS6detail17trampoline_kernelINS0_14default_configENS1_36segmented_radix_sort_config_selectorIalEEZNS1_25segmented_radix_sort_implIS3_Lb1EPKaPaPKlPlN2at6native12_GLOBAL__N_18offset_tEEE10hipError_tPvRmT1_PNSt15iterator_traitsISK_E10value_typeET2_T3_PNSL_ISQ_E10value_typeET4_jRbjT5_SW_jjP12ihipStream_tbEUlT_E1_NS1_11comp_targetILNS1_3genE3ELNS1_11target_archE908ELNS1_3gpuE7ELNS1_3repE0EEENS1_59segmented_radix_sort_warp_sort_small_config_static_selectorELNS0_4arch9wavefront6targetE1EEEvSK_
                                        ; -- End function
	.section	.AMDGPU.csdata,"",@progbits
; Kernel info:
; codeLenInByte = 0
; NumSgprs: 4
; NumVgprs: 0
; NumAgprs: 0
; TotalNumVgprs: 0
; ScratchSize: 0
; MemoryBound: 0
; FloatMode: 240
; IeeeMode: 1
; LDSByteSize: 0 bytes/workgroup (compile time only)
; SGPRBlocks: 0
; VGPRBlocks: 0
; NumSGPRsForWavesPerEU: 4
; NumVGPRsForWavesPerEU: 1
; AccumOffset: 4
; Occupancy: 8
; WaveLimiterHint : 0
; COMPUTE_PGM_RSRC2:SCRATCH_EN: 0
; COMPUTE_PGM_RSRC2:USER_SGPR: 6
; COMPUTE_PGM_RSRC2:TRAP_HANDLER: 0
; COMPUTE_PGM_RSRC2:TGID_X_EN: 1
; COMPUTE_PGM_RSRC2:TGID_Y_EN: 0
; COMPUTE_PGM_RSRC2:TGID_Z_EN: 0
; COMPUTE_PGM_RSRC2:TIDIG_COMP_CNT: 0
; COMPUTE_PGM_RSRC3_GFX90A:ACCUM_OFFSET: 0
; COMPUTE_PGM_RSRC3_GFX90A:TG_SPLIT: 0
	.section	.text._ZN7rocprim17ROCPRIM_400000_NS6detail17trampoline_kernelINS0_14default_configENS1_36segmented_radix_sort_config_selectorIalEEZNS1_25segmented_radix_sort_implIS3_Lb1EPKaPaPKlPlN2at6native12_GLOBAL__N_18offset_tEEE10hipError_tPvRmT1_PNSt15iterator_traitsISK_E10value_typeET2_T3_PNSL_ISQ_E10value_typeET4_jRbjT5_SW_jjP12ihipStream_tbEUlT_E1_NS1_11comp_targetILNS1_3genE2ELNS1_11target_archE906ELNS1_3gpuE6ELNS1_3repE0EEENS1_59segmented_radix_sort_warp_sort_small_config_static_selectorELNS0_4arch9wavefront6targetE1EEEvSK_,"axG",@progbits,_ZN7rocprim17ROCPRIM_400000_NS6detail17trampoline_kernelINS0_14default_configENS1_36segmented_radix_sort_config_selectorIalEEZNS1_25segmented_radix_sort_implIS3_Lb1EPKaPaPKlPlN2at6native12_GLOBAL__N_18offset_tEEE10hipError_tPvRmT1_PNSt15iterator_traitsISK_E10value_typeET2_T3_PNSL_ISQ_E10value_typeET4_jRbjT5_SW_jjP12ihipStream_tbEUlT_E1_NS1_11comp_targetILNS1_3genE2ELNS1_11target_archE906ELNS1_3gpuE6ELNS1_3repE0EEENS1_59segmented_radix_sort_warp_sort_small_config_static_selectorELNS0_4arch9wavefront6targetE1EEEvSK_,comdat
	.globl	_ZN7rocprim17ROCPRIM_400000_NS6detail17trampoline_kernelINS0_14default_configENS1_36segmented_radix_sort_config_selectorIalEEZNS1_25segmented_radix_sort_implIS3_Lb1EPKaPaPKlPlN2at6native12_GLOBAL__N_18offset_tEEE10hipError_tPvRmT1_PNSt15iterator_traitsISK_E10value_typeET2_T3_PNSL_ISQ_E10value_typeET4_jRbjT5_SW_jjP12ihipStream_tbEUlT_E1_NS1_11comp_targetILNS1_3genE2ELNS1_11target_archE906ELNS1_3gpuE6ELNS1_3repE0EEENS1_59segmented_radix_sort_warp_sort_small_config_static_selectorELNS0_4arch9wavefront6targetE1EEEvSK_ ; -- Begin function _ZN7rocprim17ROCPRIM_400000_NS6detail17trampoline_kernelINS0_14default_configENS1_36segmented_radix_sort_config_selectorIalEEZNS1_25segmented_radix_sort_implIS3_Lb1EPKaPaPKlPlN2at6native12_GLOBAL__N_18offset_tEEE10hipError_tPvRmT1_PNSt15iterator_traitsISK_E10value_typeET2_T3_PNSL_ISQ_E10value_typeET4_jRbjT5_SW_jjP12ihipStream_tbEUlT_E1_NS1_11comp_targetILNS1_3genE2ELNS1_11target_archE906ELNS1_3gpuE6ELNS1_3repE0EEENS1_59segmented_radix_sort_warp_sort_small_config_static_selectorELNS0_4arch9wavefront6targetE1EEEvSK_
	.p2align	8
	.type	_ZN7rocprim17ROCPRIM_400000_NS6detail17trampoline_kernelINS0_14default_configENS1_36segmented_radix_sort_config_selectorIalEEZNS1_25segmented_radix_sort_implIS3_Lb1EPKaPaPKlPlN2at6native12_GLOBAL__N_18offset_tEEE10hipError_tPvRmT1_PNSt15iterator_traitsISK_E10value_typeET2_T3_PNSL_ISQ_E10value_typeET4_jRbjT5_SW_jjP12ihipStream_tbEUlT_E1_NS1_11comp_targetILNS1_3genE2ELNS1_11target_archE906ELNS1_3gpuE6ELNS1_3repE0EEENS1_59segmented_radix_sort_warp_sort_small_config_static_selectorELNS0_4arch9wavefront6targetE1EEEvSK_,@function
_ZN7rocprim17ROCPRIM_400000_NS6detail17trampoline_kernelINS0_14default_configENS1_36segmented_radix_sort_config_selectorIalEEZNS1_25segmented_radix_sort_implIS3_Lb1EPKaPaPKlPlN2at6native12_GLOBAL__N_18offset_tEEE10hipError_tPvRmT1_PNSt15iterator_traitsISK_E10value_typeET2_T3_PNSL_ISQ_E10value_typeET4_jRbjT5_SW_jjP12ihipStream_tbEUlT_E1_NS1_11comp_targetILNS1_3genE2ELNS1_11target_archE906ELNS1_3gpuE6ELNS1_3repE0EEENS1_59segmented_radix_sort_warp_sort_small_config_static_selectorELNS0_4arch9wavefront6targetE1EEEvSK_: ; @_ZN7rocprim17ROCPRIM_400000_NS6detail17trampoline_kernelINS0_14default_configENS1_36segmented_radix_sort_config_selectorIalEEZNS1_25segmented_radix_sort_implIS3_Lb1EPKaPaPKlPlN2at6native12_GLOBAL__N_18offset_tEEE10hipError_tPvRmT1_PNSt15iterator_traitsISK_E10value_typeET2_T3_PNSL_ISQ_E10value_typeET4_jRbjT5_SW_jjP12ihipStream_tbEUlT_E1_NS1_11comp_targetILNS1_3genE2ELNS1_11target_archE906ELNS1_3gpuE6ELNS1_3repE0EEENS1_59segmented_radix_sort_warp_sort_small_config_static_selectorELNS0_4arch9wavefront6targetE1EEEvSK_
; %bb.0:
	.section	.rodata,"a",@progbits
	.p2align	6, 0x0
	.amdhsa_kernel _ZN7rocprim17ROCPRIM_400000_NS6detail17trampoline_kernelINS0_14default_configENS1_36segmented_radix_sort_config_selectorIalEEZNS1_25segmented_radix_sort_implIS3_Lb1EPKaPaPKlPlN2at6native12_GLOBAL__N_18offset_tEEE10hipError_tPvRmT1_PNSt15iterator_traitsISK_E10value_typeET2_T3_PNSL_ISQ_E10value_typeET4_jRbjT5_SW_jjP12ihipStream_tbEUlT_E1_NS1_11comp_targetILNS1_3genE2ELNS1_11target_archE906ELNS1_3gpuE6ELNS1_3repE0EEENS1_59segmented_radix_sort_warp_sort_small_config_static_selectorELNS0_4arch9wavefront6targetE1EEEvSK_
		.amdhsa_group_segment_fixed_size 0
		.amdhsa_private_segment_fixed_size 0
		.amdhsa_kernarg_size 88
		.amdhsa_user_sgpr_count 6
		.amdhsa_user_sgpr_private_segment_buffer 1
		.amdhsa_user_sgpr_dispatch_ptr 0
		.amdhsa_user_sgpr_queue_ptr 0
		.amdhsa_user_sgpr_kernarg_segment_ptr 1
		.amdhsa_user_sgpr_dispatch_id 0
		.amdhsa_user_sgpr_flat_scratch_init 0
		.amdhsa_user_sgpr_kernarg_preload_length 0
		.amdhsa_user_sgpr_kernarg_preload_offset 0
		.amdhsa_user_sgpr_private_segment_size 0
		.amdhsa_uses_dynamic_stack 0
		.amdhsa_system_sgpr_private_segment_wavefront_offset 0
		.amdhsa_system_sgpr_workgroup_id_x 1
		.amdhsa_system_sgpr_workgroup_id_y 0
		.amdhsa_system_sgpr_workgroup_id_z 0
		.amdhsa_system_sgpr_workgroup_info 0
		.amdhsa_system_vgpr_workitem_id 0
		.amdhsa_next_free_vgpr 1
		.amdhsa_next_free_sgpr 0
		.amdhsa_accum_offset 4
		.amdhsa_reserve_vcc 0
		.amdhsa_reserve_flat_scratch 0
		.amdhsa_float_round_mode_32 0
		.amdhsa_float_round_mode_16_64 0
		.amdhsa_float_denorm_mode_32 3
		.amdhsa_float_denorm_mode_16_64 3
		.amdhsa_dx10_clamp 1
		.amdhsa_ieee_mode 1
		.amdhsa_fp16_overflow 0
		.amdhsa_tg_split 0
		.amdhsa_exception_fp_ieee_invalid_op 0
		.amdhsa_exception_fp_denorm_src 0
		.amdhsa_exception_fp_ieee_div_zero 0
		.amdhsa_exception_fp_ieee_overflow 0
		.amdhsa_exception_fp_ieee_underflow 0
		.amdhsa_exception_fp_ieee_inexact 0
		.amdhsa_exception_int_div_zero 0
	.end_amdhsa_kernel
	.section	.text._ZN7rocprim17ROCPRIM_400000_NS6detail17trampoline_kernelINS0_14default_configENS1_36segmented_radix_sort_config_selectorIalEEZNS1_25segmented_radix_sort_implIS3_Lb1EPKaPaPKlPlN2at6native12_GLOBAL__N_18offset_tEEE10hipError_tPvRmT1_PNSt15iterator_traitsISK_E10value_typeET2_T3_PNSL_ISQ_E10value_typeET4_jRbjT5_SW_jjP12ihipStream_tbEUlT_E1_NS1_11comp_targetILNS1_3genE2ELNS1_11target_archE906ELNS1_3gpuE6ELNS1_3repE0EEENS1_59segmented_radix_sort_warp_sort_small_config_static_selectorELNS0_4arch9wavefront6targetE1EEEvSK_,"axG",@progbits,_ZN7rocprim17ROCPRIM_400000_NS6detail17trampoline_kernelINS0_14default_configENS1_36segmented_radix_sort_config_selectorIalEEZNS1_25segmented_radix_sort_implIS3_Lb1EPKaPaPKlPlN2at6native12_GLOBAL__N_18offset_tEEE10hipError_tPvRmT1_PNSt15iterator_traitsISK_E10value_typeET2_T3_PNSL_ISQ_E10value_typeET4_jRbjT5_SW_jjP12ihipStream_tbEUlT_E1_NS1_11comp_targetILNS1_3genE2ELNS1_11target_archE906ELNS1_3gpuE6ELNS1_3repE0EEENS1_59segmented_radix_sort_warp_sort_small_config_static_selectorELNS0_4arch9wavefront6targetE1EEEvSK_,comdat
.Lfunc_end315:
	.size	_ZN7rocprim17ROCPRIM_400000_NS6detail17trampoline_kernelINS0_14default_configENS1_36segmented_radix_sort_config_selectorIalEEZNS1_25segmented_radix_sort_implIS3_Lb1EPKaPaPKlPlN2at6native12_GLOBAL__N_18offset_tEEE10hipError_tPvRmT1_PNSt15iterator_traitsISK_E10value_typeET2_T3_PNSL_ISQ_E10value_typeET4_jRbjT5_SW_jjP12ihipStream_tbEUlT_E1_NS1_11comp_targetILNS1_3genE2ELNS1_11target_archE906ELNS1_3gpuE6ELNS1_3repE0EEENS1_59segmented_radix_sort_warp_sort_small_config_static_selectorELNS0_4arch9wavefront6targetE1EEEvSK_, .Lfunc_end315-_ZN7rocprim17ROCPRIM_400000_NS6detail17trampoline_kernelINS0_14default_configENS1_36segmented_radix_sort_config_selectorIalEEZNS1_25segmented_radix_sort_implIS3_Lb1EPKaPaPKlPlN2at6native12_GLOBAL__N_18offset_tEEE10hipError_tPvRmT1_PNSt15iterator_traitsISK_E10value_typeET2_T3_PNSL_ISQ_E10value_typeET4_jRbjT5_SW_jjP12ihipStream_tbEUlT_E1_NS1_11comp_targetILNS1_3genE2ELNS1_11target_archE906ELNS1_3gpuE6ELNS1_3repE0EEENS1_59segmented_radix_sort_warp_sort_small_config_static_selectorELNS0_4arch9wavefront6targetE1EEEvSK_
                                        ; -- End function
	.section	.AMDGPU.csdata,"",@progbits
; Kernel info:
; codeLenInByte = 0
; NumSgprs: 4
; NumVgprs: 0
; NumAgprs: 0
; TotalNumVgprs: 0
; ScratchSize: 0
; MemoryBound: 0
; FloatMode: 240
; IeeeMode: 1
; LDSByteSize: 0 bytes/workgroup (compile time only)
; SGPRBlocks: 0
; VGPRBlocks: 0
; NumSGPRsForWavesPerEU: 4
; NumVGPRsForWavesPerEU: 1
; AccumOffset: 4
; Occupancy: 8
; WaveLimiterHint : 0
; COMPUTE_PGM_RSRC2:SCRATCH_EN: 0
; COMPUTE_PGM_RSRC2:USER_SGPR: 6
; COMPUTE_PGM_RSRC2:TRAP_HANDLER: 0
; COMPUTE_PGM_RSRC2:TGID_X_EN: 1
; COMPUTE_PGM_RSRC2:TGID_Y_EN: 0
; COMPUTE_PGM_RSRC2:TGID_Z_EN: 0
; COMPUTE_PGM_RSRC2:TIDIG_COMP_CNT: 0
; COMPUTE_PGM_RSRC3_GFX90A:ACCUM_OFFSET: 0
; COMPUTE_PGM_RSRC3_GFX90A:TG_SPLIT: 0
	.section	.text._ZN7rocprim17ROCPRIM_400000_NS6detail17trampoline_kernelINS0_14default_configENS1_36segmented_radix_sort_config_selectorIalEEZNS1_25segmented_radix_sort_implIS3_Lb1EPKaPaPKlPlN2at6native12_GLOBAL__N_18offset_tEEE10hipError_tPvRmT1_PNSt15iterator_traitsISK_E10value_typeET2_T3_PNSL_ISQ_E10value_typeET4_jRbjT5_SW_jjP12ihipStream_tbEUlT_E1_NS1_11comp_targetILNS1_3genE10ELNS1_11target_archE1201ELNS1_3gpuE5ELNS1_3repE0EEENS1_59segmented_radix_sort_warp_sort_small_config_static_selectorELNS0_4arch9wavefront6targetE1EEEvSK_,"axG",@progbits,_ZN7rocprim17ROCPRIM_400000_NS6detail17trampoline_kernelINS0_14default_configENS1_36segmented_radix_sort_config_selectorIalEEZNS1_25segmented_radix_sort_implIS3_Lb1EPKaPaPKlPlN2at6native12_GLOBAL__N_18offset_tEEE10hipError_tPvRmT1_PNSt15iterator_traitsISK_E10value_typeET2_T3_PNSL_ISQ_E10value_typeET4_jRbjT5_SW_jjP12ihipStream_tbEUlT_E1_NS1_11comp_targetILNS1_3genE10ELNS1_11target_archE1201ELNS1_3gpuE5ELNS1_3repE0EEENS1_59segmented_radix_sort_warp_sort_small_config_static_selectorELNS0_4arch9wavefront6targetE1EEEvSK_,comdat
	.globl	_ZN7rocprim17ROCPRIM_400000_NS6detail17trampoline_kernelINS0_14default_configENS1_36segmented_radix_sort_config_selectorIalEEZNS1_25segmented_radix_sort_implIS3_Lb1EPKaPaPKlPlN2at6native12_GLOBAL__N_18offset_tEEE10hipError_tPvRmT1_PNSt15iterator_traitsISK_E10value_typeET2_T3_PNSL_ISQ_E10value_typeET4_jRbjT5_SW_jjP12ihipStream_tbEUlT_E1_NS1_11comp_targetILNS1_3genE10ELNS1_11target_archE1201ELNS1_3gpuE5ELNS1_3repE0EEENS1_59segmented_radix_sort_warp_sort_small_config_static_selectorELNS0_4arch9wavefront6targetE1EEEvSK_ ; -- Begin function _ZN7rocprim17ROCPRIM_400000_NS6detail17trampoline_kernelINS0_14default_configENS1_36segmented_radix_sort_config_selectorIalEEZNS1_25segmented_radix_sort_implIS3_Lb1EPKaPaPKlPlN2at6native12_GLOBAL__N_18offset_tEEE10hipError_tPvRmT1_PNSt15iterator_traitsISK_E10value_typeET2_T3_PNSL_ISQ_E10value_typeET4_jRbjT5_SW_jjP12ihipStream_tbEUlT_E1_NS1_11comp_targetILNS1_3genE10ELNS1_11target_archE1201ELNS1_3gpuE5ELNS1_3repE0EEENS1_59segmented_radix_sort_warp_sort_small_config_static_selectorELNS0_4arch9wavefront6targetE1EEEvSK_
	.p2align	8
	.type	_ZN7rocprim17ROCPRIM_400000_NS6detail17trampoline_kernelINS0_14default_configENS1_36segmented_radix_sort_config_selectorIalEEZNS1_25segmented_radix_sort_implIS3_Lb1EPKaPaPKlPlN2at6native12_GLOBAL__N_18offset_tEEE10hipError_tPvRmT1_PNSt15iterator_traitsISK_E10value_typeET2_T3_PNSL_ISQ_E10value_typeET4_jRbjT5_SW_jjP12ihipStream_tbEUlT_E1_NS1_11comp_targetILNS1_3genE10ELNS1_11target_archE1201ELNS1_3gpuE5ELNS1_3repE0EEENS1_59segmented_radix_sort_warp_sort_small_config_static_selectorELNS0_4arch9wavefront6targetE1EEEvSK_,@function
_ZN7rocprim17ROCPRIM_400000_NS6detail17trampoline_kernelINS0_14default_configENS1_36segmented_radix_sort_config_selectorIalEEZNS1_25segmented_radix_sort_implIS3_Lb1EPKaPaPKlPlN2at6native12_GLOBAL__N_18offset_tEEE10hipError_tPvRmT1_PNSt15iterator_traitsISK_E10value_typeET2_T3_PNSL_ISQ_E10value_typeET4_jRbjT5_SW_jjP12ihipStream_tbEUlT_E1_NS1_11comp_targetILNS1_3genE10ELNS1_11target_archE1201ELNS1_3gpuE5ELNS1_3repE0EEENS1_59segmented_radix_sort_warp_sort_small_config_static_selectorELNS0_4arch9wavefront6targetE1EEEvSK_: ; @_ZN7rocprim17ROCPRIM_400000_NS6detail17trampoline_kernelINS0_14default_configENS1_36segmented_radix_sort_config_selectorIalEEZNS1_25segmented_radix_sort_implIS3_Lb1EPKaPaPKlPlN2at6native12_GLOBAL__N_18offset_tEEE10hipError_tPvRmT1_PNSt15iterator_traitsISK_E10value_typeET2_T3_PNSL_ISQ_E10value_typeET4_jRbjT5_SW_jjP12ihipStream_tbEUlT_E1_NS1_11comp_targetILNS1_3genE10ELNS1_11target_archE1201ELNS1_3gpuE5ELNS1_3repE0EEENS1_59segmented_radix_sort_warp_sort_small_config_static_selectorELNS0_4arch9wavefront6targetE1EEEvSK_
; %bb.0:
	.section	.rodata,"a",@progbits
	.p2align	6, 0x0
	.amdhsa_kernel _ZN7rocprim17ROCPRIM_400000_NS6detail17trampoline_kernelINS0_14default_configENS1_36segmented_radix_sort_config_selectorIalEEZNS1_25segmented_radix_sort_implIS3_Lb1EPKaPaPKlPlN2at6native12_GLOBAL__N_18offset_tEEE10hipError_tPvRmT1_PNSt15iterator_traitsISK_E10value_typeET2_T3_PNSL_ISQ_E10value_typeET4_jRbjT5_SW_jjP12ihipStream_tbEUlT_E1_NS1_11comp_targetILNS1_3genE10ELNS1_11target_archE1201ELNS1_3gpuE5ELNS1_3repE0EEENS1_59segmented_radix_sort_warp_sort_small_config_static_selectorELNS0_4arch9wavefront6targetE1EEEvSK_
		.amdhsa_group_segment_fixed_size 0
		.amdhsa_private_segment_fixed_size 0
		.amdhsa_kernarg_size 88
		.amdhsa_user_sgpr_count 6
		.amdhsa_user_sgpr_private_segment_buffer 1
		.amdhsa_user_sgpr_dispatch_ptr 0
		.amdhsa_user_sgpr_queue_ptr 0
		.amdhsa_user_sgpr_kernarg_segment_ptr 1
		.amdhsa_user_sgpr_dispatch_id 0
		.amdhsa_user_sgpr_flat_scratch_init 0
		.amdhsa_user_sgpr_kernarg_preload_length 0
		.amdhsa_user_sgpr_kernarg_preload_offset 0
		.amdhsa_user_sgpr_private_segment_size 0
		.amdhsa_uses_dynamic_stack 0
		.amdhsa_system_sgpr_private_segment_wavefront_offset 0
		.amdhsa_system_sgpr_workgroup_id_x 1
		.amdhsa_system_sgpr_workgroup_id_y 0
		.amdhsa_system_sgpr_workgroup_id_z 0
		.amdhsa_system_sgpr_workgroup_info 0
		.amdhsa_system_vgpr_workitem_id 0
		.amdhsa_next_free_vgpr 1
		.amdhsa_next_free_sgpr 0
		.amdhsa_accum_offset 4
		.amdhsa_reserve_vcc 0
		.amdhsa_reserve_flat_scratch 0
		.amdhsa_float_round_mode_32 0
		.amdhsa_float_round_mode_16_64 0
		.amdhsa_float_denorm_mode_32 3
		.amdhsa_float_denorm_mode_16_64 3
		.amdhsa_dx10_clamp 1
		.amdhsa_ieee_mode 1
		.amdhsa_fp16_overflow 0
		.amdhsa_tg_split 0
		.amdhsa_exception_fp_ieee_invalid_op 0
		.amdhsa_exception_fp_denorm_src 0
		.amdhsa_exception_fp_ieee_div_zero 0
		.amdhsa_exception_fp_ieee_overflow 0
		.amdhsa_exception_fp_ieee_underflow 0
		.amdhsa_exception_fp_ieee_inexact 0
		.amdhsa_exception_int_div_zero 0
	.end_amdhsa_kernel
	.section	.text._ZN7rocprim17ROCPRIM_400000_NS6detail17trampoline_kernelINS0_14default_configENS1_36segmented_radix_sort_config_selectorIalEEZNS1_25segmented_radix_sort_implIS3_Lb1EPKaPaPKlPlN2at6native12_GLOBAL__N_18offset_tEEE10hipError_tPvRmT1_PNSt15iterator_traitsISK_E10value_typeET2_T3_PNSL_ISQ_E10value_typeET4_jRbjT5_SW_jjP12ihipStream_tbEUlT_E1_NS1_11comp_targetILNS1_3genE10ELNS1_11target_archE1201ELNS1_3gpuE5ELNS1_3repE0EEENS1_59segmented_radix_sort_warp_sort_small_config_static_selectorELNS0_4arch9wavefront6targetE1EEEvSK_,"axG",@progbits,_ZN7rocprim17ROCPRIM_400000_NS6detail17trampoline_kernelINS0_14default_configENS1_36segmented_radix_sort_config_selectorIalEEZNS1_25segmented_radix_sort_implIS3_Lb1EPKaPaPKlPlN2at6native12_GLOBAL__N_18offset_tEEE10hipError_tPvRmT1_PNSt15iterator_traitsISK_E10value_typeET2_T3_PNSL_ISQ_E10value_typeET4_jRbjT5_SW_jjP12ihipStream_tbEUlT_E1_NS1_11comp_targetILNS1_3genE10ELNS1_11target_archE1201ELNS1_3gpuE5ELNS1_3repE0EEENS1_59segmented_radix_sort_warp_sort_small_config_static_selectorELNS0_4arch9wavefront6targetE1EEEvSK_,comdat
.Lfunc_end316:
	.size	_ZN7rocprim17ROCPRIM_400000_NS6detail17trampoline_kernelINS0_14default_configENS1_36segmented_radix_sort_config_selectorIalEEZNS1_25segmented_radix_sort_implIS3_Lb1EPKaPaPKlPlN2at6native12_GLOBAL__N_18offset_tEEE10hipError_tPvRmT1_PNSt15iterator_traitsISK_E10value_typeET2_T3_PNSL_ISQ_E10value_typeET4_jRbjT5_SW_jjP12ihipStream_tbEUlT_E1_NS1_11comp_targetILNS1_3genE10ELNS1_11target_archE1201ELNS1_3gpuE5ELNS1_3repE0EEENS1_59segmented_radix_sort_warp_sort_small_config_static_selectorELNS0_4arch9wavefront6targetE1EEEvSK_, .Lfunc_end316-_ZN7rocprim17ROCPRIM_400000_NS6detail17trampoline_kernelINS0_14default_configENS1_36segmented_radix_sort_config_selectorIalEEZNS1_25segmented_radix_sort_implIS3_Lb1EPKaPaPKlPlN2at6native12_GLOBAL__N_18offset_tEEE10hipError_tPvRmT1_PNSt15iterator_traitsISK_E10value_typeET2_T3_PNSL_ISQ_E10value_typeET4_jRbjT5_SW_jjP12ihipStream_tbEUlT_E1_NS1_11comp_targetILNS1_3genE10ELNS1_11target_archE1201ELNS1_3gpuE5ELNS1_3repE0EEENS1_59segmented_radix_sort_warp_sort_small_config_static_selectorELNS0_4arch9wavefront6targetE1EEEvSK_
                                        ; -- End function
	.section	.AMDGPU.csdata,"",@progbits
; Kernel info:
; codeLenInByte = 0
; NumSgprs: 4
; NumVgprs: 0
; NumAgprs: 0
; TotalNumVgprs: 0
; ScratchSize: 0
; MemoryBound: 0
; FloatMode: 240
; IeeeMode: 1
; LDSByteSize: 0 bytes/workgroup (compile time only)
; SGPRBlocks: 0
; VGPRBlocks: 0
; NumSGPRsForWavesPerEU: 4
; NumVGPRsForWavesPerEU: 1
; AccumOffset: 4
; Occupancy: 8
; WaveLimiterHint : 0
; COMPUTE_PGM_RSRC2:SCRATCH_EN: 0
; COMPUTE_PGM_RSRC2:USER_SGPR: 6
; COMPUTE_PGM_RSRC2:TRAP_HANDLER: 0
; COMPUTE_PGM_RSRC2:TGID_X_EN: 1
; COMPUTE_PGM_RSRC2:TGID_Y_EN: 0
; COMPUTE_PGM_RSRC2:TGID_Z_EN: 0
; COMPUTE_PGM_RSRC2:TIDIG_COMP_CNT: 0
; COMPUTE_PGM_RSRC3_GFX90A:ACCUM_OFFSET: 0
; COMPUTE_PGM_RSRC3_GFX90A:TG_SPLIT: 0
	.section	.text._ZN7rocprim17ROCPRIM_400000_NS6detail17trampoline_kernelINS0_14default_configENS1_36segmented_radix_sort_config_selectorIalEEZNS1_25segmented_radix_sort_implIS3_Lb1EPKaPaPKlPlN2at6native12_GLOBAL__N_18offset_tEEE10hipError_tPvRmT1_PNSt15iterator_traitsISK_E10value_typeET2_T3_PNSL_ISQ_E10value_typeET4_jRbjT5_SW_jjP12ihipStream_tbEUlT_E1_NS1_11comp_targetILNS1_3genE10ELNS1_11target_archE1200ELNS1_3gpuE4ELNS1_3repE0EEENS1_59segmented_radix_sort_warp_sort_small_config_static_selectorELNS0_4arch9wavefront6targetE1EEEvSK_,"axG",@progbits,_ZN7rocprim17ROCPRIM_400000_NS6detail17trampoline_kernelINS0_14default_configENS1_36segmented_radix_sort_config_selectorIalEEZNS1_25segmented_radix_sort_implIS3_Lb1EPKaPaPKlPlN2at6native12_GLOBAL__N_18offset_tEEE10hipError_tPvRmT1_PNSt15iterator_traitsISK_E10value_typeET2_T3_PNSL_ISQ_E10value_typeET4_jRbjT5_SW_jjP12ihipStream_tbEUlT_E1_NS1_11comp_targetILNS1_3genE10ELNS1_11target_archE1200ELNS1_3gpuE4ELNS1_3repE0EEENS1_59segmented_radix_sort_warp_sort_small_config_static_selectorELNS0_4arch9wavefront6targetE1EEEvSK_,comdat
	.globl	_ZN7rocprim17ROCPRIM_400000_NS6detail17trampoline_kernelINS0_14default_configENS1_36segmented_radix_sort_config_selectorIalEEZNS1_25segmented_radix_sort_implIS3_Lb1EPKaPaPKlPlN2at6native12_GLOBAL__N_18offset_tEEE10hipError_tPvRmT1_PNSt15iterator_traitsISK_E10value_typeET2_T3_PNSL_ISQ_E10value_typeET4_jRbjT5_SW_jjP12ihipStream_tbEUlT_E1_NS1_11comp_targetILNS1_3genE10ELNS1_11target_archE1200ELNS1_3gpuE4ELNS1_3repE0EEENS1_59segmented_radix_sort_warp_sort_small_config_static_selectorELNS0_4arch9wavefront6targetE1EEEvSK_ ; -- Begin function _ZN7rocprim17ROCPRIM_400000_NS6detail17trampoline_kernelINS0_14default_configENS1_36segmented_radix_sort_config_selectorIalEEZNS1_25segmented_radix_sort_implIS3_Lb1EPKaPaPKlPlN2at6native12_GLOBAL__N_18offset_tEEE10hipError_tPvRmT1_PNSt15iterator_traitsISK_E10value_typeET2_T3_PNSL_ISQ_E10value_typeET4_jRbjT5_SW_jjP12ihipStream_tbEUlT_E1_NS1_11comp_targetILNS1_3genE10ELNS1_11target_archE1200ELNS1_3gpuE4ELNS1_3repE0EEENS1_59segmented_radix_sort_warp_sort_small_config_static_selectorELNS0_4arch9wavefront6targetE1EEEvSK_
	.p2align	8
	.type	_ZN7rocprim17ROCPRIM_400000_NS6detail17trampoline_kernelINS0_14default_configENS1_36segmented_radix_sort_config_selectorIalEEZNS1_25segmented_radix_sort_implIS3_Lb1EPKaPaPKlPlN2at6native12_GLOBAL__N_18offset_tEEE10hipError_tPvRmT1_PNSt15iterator_traitsISK_E10value_typeET2_T3_PNSL_ISQ_E10value_typeET4_jRbjT5_SW_jjP12ihipStream_tbEUlT_E1_NS1_11comp_targetILNS1_3genE10ELNS1_11target_archE1200ELNS1_3gpuE4ELNS1_3repE0EEENS1_59segmented_radix_sort_warp_sort_small_config_static_selectorELNS0_4arch9wavefront6targetE1EEEvSK_,@function
_ZN7rocprim17ROCPRIM_400000_NS6detail17trampoline_kernelINS0_14default_configENS1_36segmented_radix_sort_config_selectorIalEEZNS1_25segmented_radix_sort_implIS3_Lb1EPKaPaPKlPlN2at6native12_GLOBAL__N_18offset_tEEE10hipError_tPvRmT1_PNSt15iterator_traitsISK_E10value_typeET2_T3_PNSL_ISQ_E10value_typeET4_jRbjT5_SW_jjP12ihipStream_tbEUlT_E1_NS1_11comp_targetILNS1_3genE10ELNS1_11target_archE1200ELNS1_3gpuE4ELNS1_3repE0EEENS1_59segmented_radix_sort_warp_sort_small_config_static_selectorELNS0_4arch9wavefront6targetE1EEEvSK_: ; @_ZN7rocprim17ROCPRIM_400000_NS6detail17trampoline_kernelINS0_14default_configENS1_36segmented_radix_sort_config_selectorIalEEZNS1_25segmented_radix_sort_implIS3_Lb1EPKaPaPKlPlN2at6native12_GLOBAL__N_18offset_tEEE10hipError_tPvRmT1_PNSt15iterator_traitsISK_E10value_typeET2_T3_PNSL_ISQ_E10value_typeET4_jRbjT5_SW_jjP12ihipStream_tbEUlT_E1_NS1_11comp_targetILNS1_3genE10ELNS1_11target_archE1200ELNS1_3gpuE4ELNS1_3repE0EEENS1_59segmented_radix_sort_warp_sort_small_config_static_selectorELNS0_4arch9wavefront6targetE1EEEvSK_
; %bb.0:
	.section	.rodata,"a",@progbits
	.p2align	6, 0x0
	.amdhsa_kernel _ZN7rocprim17ROCPRIM_400000_NS6detail17trampoline_kernelINS0_14default_configENS1_36segmented_radix_sort_config_selectorIalEEZNS1_25segmented_radix_sort_implIS3_Lb1EPKaPaPKlPlN2at6native12_GLOBAL__N_18offset_tEEE10hipError_tPvRmT1_PNSt15iterator_traitsISK_E10value_typeET2_T3_PNSL_ISQ_E10value_typeET4_jRbjT5_SW_jjP12ihipStream_tbEUlT_E1_NS1_11comp_targetILNS1_3genE10ELNS1_11target_archE1200ELNS1_3gpuE4ELNS1_3repE0EEENS1_59segmented_radix_sort_warp_sort_small_config_static_selectorELNS0_4arch9wavefront6targetE1EEEvSK_
		.amdhsa_group_segment_fixed_size 0
		.amdhsa_private_segment_fixed_size 0
		.amdhsa_kernarg_size 88
		.amdhsa_user_sgpr_count 6
		.amdhsa_user_sgpr_private_segment_buffer 1
		.amdhsa_user_sgpr_dispatch_ptr 0
		.amdhsa_user_sgpr_queue_ptr 0
		.amdhsa_user_sgpr_kernarg_segment_ptr 1
		.amdhsa_user_sgpr_dispatch_id 0
		.amdhsa_user_sgpr_flat_scratch_init 0
		.amdhsa_user_sgpr_kernarg_preload_length 0
		.amdhsa_user_sgpr_kernarg_preload_offset 0
		.amdhsa_user_sgpr_private_segment_size 0
		.amdhsa_uses_dynamic_stack 0
		.amdhsa_system_sgpr_private_segment_wavefront_offset 0
		.amdhsa_system_sgpr_workgroup_id_x 1
		.amdhsa_system_sgpr_workgroup_id_y 0
		.amdhsa_system_sgpr_workgroup_id_z 0
		.amdhsa_system_sgpr_workgroup_info 0
		.amdhsa_system_vgpr_workitem_id 0
		.amdhsa_next_free_vgpr 1
		.amdhsa_next_free_sgpr 0
		.amdhsa_accum_offset 4
		.amdhsa_reserve_vcc 0
		.amdhsa_reserve_flat_scratch 0
		.amdhsa_float_round_mode_32 0
		.amdhsa_float_round_mode_16_64 0
		.amdhsa_float_denorm_mode_32 3
		.amdhsa_float_denorm_mode_16_64 3
		.amdhsa_dx10_clamp 1
		.amdhsa_ieee_mode 1
		.amdhsa_fp16_overflow 0
		.amdhsa_tg_split 0
		.amdhsa_exception_fp_ieee_invalid_op 0
		.amdhsa_exception_fp_denorm_src 0
		.amdhsa_exception_fp_ieee_div_zero 0
		.amdhsa_exception_fp_ieee_overflow 0
		.amdhsa_exception_fp_ieee_underflow 0
		.amdhsa_exception_fp_ieee_inexact 0
		.amdhsa_exception_int_div_zero 0
	.end_amdhsa_kernel
	.section	.text._ZN7rocprim17ROCPRIM_400000_NS6detail17trampoline_kernelINS0_14default_configENS1_36segmented_radix_sort_config_selectorIalEEZNS1_25segmented_radix_sort_implIS3_Lb1EPKaPaPKlPlN2at6native12_GLOBAL__N_18offset_tEEE10hipError_tPvRmT1_PNSt15iterator_traitsISK_E10value_typeET2_T3_PNSL_ISQ_E10value_typeET4_jRbjT5_SW_jjP12ihipStream_tbEUlT_E1_NS1_11comp_targetILNS1_3genE10ELNS1_11target_archE1200ELNS1_3gpuE4ELNS1_3repE0EEENS1_59segmented_radix_sort_warp_sort_small_config_static_selectorELNS0_4arch9wavefront6targetE1EEEvSK_,"axG",@progbits,_ZN7rocprim17ROCPRIM_400000_NS6detail17trampoline_kernelINS0_14default_configENS1_36segmented_radix_sort_config_selectorIalEEZNS1_25segmented_radix_sort_implIS3_Lb1EPKaPaPKlPlN2at6native12_GLOBAL__N_18offset_tEEE10hipError_tPvRmT1_PNSt15iterator_traitsISK_E10value_typeET2_T3_PNSL_ISQ_E10value_typeET4_jRbjT5_SW_jjP12ihipStream_tbEUlT_E1_NS1_11comp_targetILNS1_3genE10ELNS1_11target_archE1200ELNS1_3gpuE4ELNS1_3repE0EEENS1_59segmented_radix_sort_warp_sort_small_config_static_selectorELNS0_4arch9wavefront6targetE1EEEvSK_,comdat
.Lfunc_end317:
	.size	_ZN7rocprim17ROCPRIM_400000_NS6detail17trampoline_kernelINS0_14default_configENS1_36segmented_radix_sort_config_selectorIalEEZNS1_25segmented_radix_sort_implIS3_Lb1EPKaPaPKlPlN2at6native12_GLOBAL__N_18offset_tEEE10hipError_tPvRmT1_PNSt15iterator_traitsISK_E10value_typeET2_T3_PNSL_ISQ_E10value_typeET4_jRbjT5_SW_jjP12ihipStream_tbEUlT_E1_NS1_11comp_targetILNS1_3genE10ELNS1_11target_archE1200ELNS1_3gpuE4ELNS1_3repE0EEENS1_59segmented_radix_sort_warp_sort_small_config_static_selectorELNS0_4arch9wavefront6targetE1EEEvSK_, .Lfunc_end317-_ZN7rocprim17ROCPRIM_400000_NS6detail17trampoline_kernelINS0_14default_configENS1_36segmented_radix_sort_config_selectorIalEEZNS1_25segmented_radix_sort_implIS3_Lb1EPKaPaPKlPlN2at6native12_GLOBAL__N_18offset_tEEE10hipError_tPvRmT1_PNSt15iterator_traitsISK_E10value_typeET2_T3_PNSL_ISQ_E10value_typeET4_jRbjT5_SW_jjP12ihipStream_tbEUlT_E1_NS1_11comp_targetILNS1_3genE10ELNS1_11target_archE1200ELNS1_3gpuE4ELNS1_3repE0EEENS1_59segmented_radix_sort_warp_sort_small_config_static_selectorELNS0_4arch9wavefront6targetE1EEEvSK_
                                        ; -- End function
	.section	.AMDGPU.csdata,"",@progbits
; Kernel info:
; codeLenInByte = 0
; NumSgprs: 4
; NumVgprs: 0
; NumAgprs: 0
; TotalNumVgprs: 0
; ScratchSize: 0
; MemoryBound: 0
; FloatMode: 240
; IeeeMode: 1
; LDSByteSize: 0 bytes/workgroup (compile time only)
; SGPRBlocks: 0
; VGPRBlocks: 0
; NumSGPRsForWavesPerEU: 4
; NumVGPRsForWavesPerEU: 1
; AccumOffset: 4
; Occupancy: 8
; WaveLimiterHint : 0
; COMPUTE_PGM_RSRC2:SCRATCH_EN: 0
; COMPUTE_PGM_RSRC2:USER_SGPR: 6
; COMPUTE_PGM_RSRC2:TRAP_HANDLER: 0
; COMPUTE_PGM_RSRC2:TGID_X_EN: 1
; COMPUTE_PGM_RSRC2:TGID_Y_EN: 0
; COMPUTE_PGM_RSRC2:TGID_Z_EN: 0
; COMPUTE_PGM_RSRC2:TIDIG_COMP_CNT: 0
; COMPUTE_PGM_RSRC3_GFX90A:ACCUM_OFFSET: 0
; COMPUTE_PGM_RSRC3_GFX90A:TG_SPLIT: 0
	.section	.text._ZN7rocprim17ROCPRIM_400000_NS6detail17trampoline_kernelINS0_14default_configENS1_36segmented_radix_sort_config_selectorIalEEZNS1_25segmented_radix_sort_implIS3_Lb1EPKaPaPKlPlN2at6native12_GLOBAL__N_18offset_tEEE10hipError_tPvRmT1_PNSt15iterator_traitsISK_E10value_typeET2_T3_PNSL_ISQ_E10value_typeET4_jRbjT5_SW_jjP12ihipStream_tbEUlT_E1_NS1_11comp_targetILNS1_3genE9ELNS1_11target_archE1100ELNS1_3gpuE3ELNS1_3repE0EEENS1_59segmented_radix_sort_warp_sort_small_config_static_selectorELNS0_4arch9wavefront6targetE1EEEvSK_,"axG",@progbits,_ZN7rocprim17ROCPRIM_400000_NS6detail17trampoline_kernelINS0_14default_configENS1_36segmented_radix_sort_config_selectorIalEEZNS1_25segmented_radix_sort_implIS3_Lb1EPKaPaPKlPlN2at6native12_GLOBAL__N_18offset_tEEE10hipError_tPvRmT1_PNSt15iterator_traitsISK_E10value_typeET2_T3_PNSL_ISQ_E10value_typeET4_jRbjT5_SW_jjP12ihipStream_tbEUlT_E1_NS1_11comp_targetILNS1_3genE9ELNS1_11target_archE1100ELNS1_3gpuE3ELNS1_3repE0EEENS1_59segmented_radix_sort_warp_sort_small_config_static_selectorELNS0_4arch9wavefront6targetE1EEEvSK_,comdat
	.globl	_ZN7rocprim17ROCPRIM_400000_NS6detail17trampoline_kernelINS0_14default_configENS1_36segmented_radix_sort_config_selectorIalEEZNS1_25segmented_radix_sort_implIS3_Lb1EPKaPaPKlPlN2at6native12_GLOBAL__N_18offset_tEEE10hipError_tPvRmT1_PNSt15iterator_traitsISK_E10value_typeET2_T3_PNSL_ISQ_E10value_typeET4_jRbjT5_SW_jjP12ihipStream_tbEUlT_E1_NS1_11comp_targetILNS1_3genE9ELNS1_11target_archE1100ELNS1_3gpuE3ELNS1_3repE0EEENS1_59segmented_radix_sort_warp_sort_small_config_static_selectorELNS0_4arch9wavefront6targetE1EEEvSK_ ; -- Begin function _ZN7rocprim17ROCPRIM_400000_NS6detail17trampoline_kernelINS0_14default_configENS1_36segmented_radix_sort_config_selectorIalEEZNS1_25segmented_radix_sort_implIS3_Lb1EPKaPaPKlPlN2at6native12_GLOBAL__N_18offset_tEEE10hipError_tPvRmT1_PNSt15iterator_traitsISK_E10value_typeET2_T3_PNSL_ISQ_E10value_typeET4_jRbjT5_SW_jjP12ihipStream_tbEUlT_E1_NS1_11comp_targetILNS1_3genE9ELNS1_11target_archE1100ELNS1_3gpuE3ELNS1_3repE0EEENS1_59segmented_radix_sort_warp_sort_small_config_static_selectorELNS0_4arch9wavefront6targetE1EEEvSK_
	.p2align	8
	.type	_ZN7rocprim17ROCPRIM_400000_NS6detail17trampoline_kernelINS0_14default_configENS1_36segmented_radix_sort_config_selectorIalEEZNS1_25segmented_radix_sort_implIS3_Lb1EPKaPaPKlPlN2at6native12_GLOBAL__N_18offset_tEEE10hipError_tPvRmT1_PNSt15iterator_traitsISK_E10value_typeET2_T3_PNSL_ISQ_E10value_typeET4_jRbjT5_SW_jjP12ihipStream_tbEUlT_E1_NS1_11comp_targetILNS1_3genE9ELNS1_11target_archE1100ELNS1_3gpuE3ELNS1_3repE0EEENS1_59segmented_radix_sort_warp_sort_small_config_static_selectorELNS0_4arch9wavefront6targetE1EEEvSK_,@function
_ZN7rocprim17ROCPRIM_400000_NS6detail17trampoline_kernelINS0_14default_configENS1_36segmented_radix_sort_config_selectorIalEEZNS1_25segmented_radix_sort_implIS3_Lb1EPKaPaPKlPlN2at6native12_GLOBAL__N_18offset_tEEE10hipError_tPvRmT1_PNSt15iterator_traitsISK_E10value_typeET2_T3_PNSL_ISQ_E10value_typeET4_jRbjT5_SW_jjP12ihipStream_tbEUlT_E1_NS1_11comp_targetILNS1_3genE9ELNS1_11target_archE1100ELNS1_3gpuE3ELNS1_3repE0EEENS1_59segmented_radix_sort_warp_sort_small_config_static_selectorELNS0_4arch9wavefront6targetE1EEEvSK_: ; @_ZN7rocprim17ROCPRIM_400000_NS6detail17trampoline_kernelINS0_14default_configENS1_36segmented_radix_sort_config_selectorIalEEZNS1_25segmented_radix_sort_implIS3_Lb1EPKaPaPKlPlN2at6native12_GLOBAL__N_18offset_tEEE10hipError_tPvRmT1_PNSt15iterator_traitsISK_E10value_typeET2_T3_PNSL_ISQ_E10value_typeET4_jRbjT5_SW_jjP12ihipStream_tbEUlT_E1_NS1_11comp_targetILNS1_3genE9ELNS1_11target_archE1100ELNS1_3gpuE3ELNS1_3repE0EEENS1_59segmented_radix_sort_warp_sort_small_config_static_selectorELNS0_4arch9wavefront6targetE1EEEvSK_
; %bb.0:
	.section	.rodata,"a",@progbits
	.p2align	6, 0x0
	.amdhsa_kernel _ZN7rocprim17ROCPRIM_400000_NS6detail17trampoline_kernelINS0_14default_configENS1_36segmented_radix_sort_config_selectorIalEEZNS1_25segmented_radix_sort_implIS3_Lb1EPKaPaPKlPlN2at6native12_GLOBAL__N_18offset_tEEE10hipError_tPvRmT1_PNSt15iterator_traitsISK_E10value_typeET2_T3_PNSL_ISQ_E10value_typeET4_jRbjT5_SW_jjP12ihipStream_tbEUlT_E1_NS1_11comp_targetILNS1_3genE9ELNS1_11target_archE1100ELNS1_3gpuE3ELNS1_3repE0EEENS1_59segmented_radix_sort_warp_sort_small_config_static_selectorELNS0_4arch9wavefront6targetE1EEEvSK_
		.amdhsa_group_segment_fixed_size 0
		.amdhsa_private_segment_fixed_size 0
		.amdhsa_kernarg_size 88
		.amdhsa_user_sgpr_count 6
		.amdhsa_user_sgpr_private_segment_buffer 1
		.amdhsa_user_sgpr_dispatch_ptr 0
		.amdhsa_user_sgpr_queue_ptr 0
		.amdhsa_user_sgpr_kernarg_segment_ptr 1
		.amdhsa_user_sgpr_dispatch_id 0
		.amdhsa_user_sgpr_flat_scratch_init 0
		.amdhsa_user_sgpr_kernarg_preload_length 0
		.amdhsa_user_sgpr_kernarg_preload_offset 0
		.amdhsa_user_sgpr_private_segment_size 0
		.amdhsa_uses_dynamic_stack 0
		.amdhsa_system_sgpr_private_segment_wavefront_offset 0
		.amdhsa_system_sgpr_workgroup_id_x 1
		.amdhsa_system_sgpr_workgroup_id_y 0
		.amdhsa_system_sgpr_workgroup_id_z 0
		.amdhsa_system_sgpr_workgroup_info 0
		.amdhsa_system_vgpr_workitem_id 0
		.amdhsa_next_free_vgpr 1
		.amdhsa_next_free_sgpr 0
		.amdhsa_accum_offset 4
		.amdhsa_reserve_vcc 0
		.amdhsa_reserve_flat_scratch 0
		.amdhsa_float_round_mode_32 0
		.amdhsa_float_round_mode_16_64 0
		.amdhsa_float_denorm_mode_32 3
		.amdhsa_float_denorm_mode_16_64 3
		.amdhsa_dx10_clamp 1
		.amdhsa_ieee_mode 1
		.amdhsa_fp16_overflow 0
		.amdhsa_tg_split 0
		.amdhsa_exception_fp_ieee_invalid_op 0
		.amdhsa_exception_fp_denorm_src 0
		.amdhsa_exception_fp_ieee_div_zero 0
		.amdhsa_exception_fp_ieee_overflow 0
		.amdhsa_exception_fp_ieee_underflow 0
		.amdhsa_exception_fp_ieee_inexact 0
		.amdhsa_exception_int_div_zero 0
	.end_amdhsa_kernel
	.section	.text._ZN7rocprim17ROCPRIM_400000_NS6detail17trampoline_kernelINS0_14default_configENS1_36segmented_radix_sort_config_selectorIalEEZNS1_25segmented_radix_sort_implIS3_Lb1EPKaPaPKlPlN2at6native12_GLOBAL__N_18offset_tEEE10hipError_tPvRmT1_PNSt15iterator_traitsISK_E10value_typeET2_T3_PNSL_ISQ_E10value_typeET4_jRbjT5_SW_jjP12ihipStream_tbEUlT_E1_NS1_11comp_targetILNS1_3genE9ELNS1_11target_archE1100ELNS1_3gpuE3ELNS1_3repE0EEENS1_59segmented_radix_sort_warp_sort_small_config_static_selectorELNS0_4arch9wavefront6targetE1EEEvSK_,"axG",@progbits,_ZN7rocprim17ROCPRIM_400000_NS6detail17trampoline_kernelINS0_14default_configENS1_36segmented_radix_sort_config_selectorIalEEZNS1_25segmented_radix_sort_implIS3_Lb1EPKaPaPKlPlN2at6native12_GLOBAL__N_18offset_tEEE10hipError_tPvRmT1_PNSt15iterator_traitsISK_E10value_typeET2_T3_PNSL_ISQ_E10value_typeET4_jRbjT5_SW_jjP12ihipStream_tbEUlT_E1_NS1_11comp_targetILNS1_3genE9ELNS1_11target_archE1100ELNS1_3gpuE3ELNS1_3repE0EEENS1_59segmented_radix_sort_warp_sort_small_config_static_selectorELNS0_4arch9wavefront6targetE1EEEvSK_,comdat
.Lfunc_end318:
	.size	_ZN7rocprim17ROCPRIM_400000_NS6detail17trampoline_kernelINS0_14default_configENS1_36segmented_radix_sort_config_selectorIalEEZNS1_25segmented_radix_sort_implIS3_Lb1EPKaPaPKlPlN2at6native12_GLOBAL__N_18offset_tEEE10hipError_tPvRmT1_PNSt15iterator_traitsISK_E10value_typeET2_T3_PNSL_ISQ_E10value_typeET4_jRbjT5_SW_jjP12ihipStream_tbEUlT_E1_NS1_11comp_targetILNS1_3genE9ELNS1_11target_archE1100ELNS1_3gpuE3ELNS1_3repE0EEENS1_59segmented_radix_sort_warp_sort_small_config_static_selectorELNS0_4arch9wavefront6targetE1EEEvSK_, .Lfunc_end318-_ZN7rocprim17ROCPRIM_400000_NS6detail17trampoline_kernelINS0_14default_configENS1_36segmented_radix_sort_config_selectorIalEEZNS1_25segmented_radix_sort_implIS3_Lb1EPKaPaPKlPlN2at6native12_GLOBAL__N_18offset_tEEE10hipError_tPvRmT1_PNSt15iterator_traitsISK_E10value_typeET2_T3_PNSL_ISQ_E10value_typeET4_jRbjT5_SW_jjP12ihipStream_tbEUlT_E1_NS1_11comp_targetILNS1_3genE9ELNS1_11target_archE1100ELNS1_3gpuE3ELNS1_3repE0EEENS1_59segmented_radix_sort_warp_sort_small_config_static_selectorELNS0_4arch9wavefront6targetE1EEEvSK_
                                        ; -- End function
	.section	.AMDGPU.csdata,"",@progbits
; Kernel info:
; codeLenInByte = 0
; NumSgprs: 4
; NumVgprs: 0
; NumAgprs: 0
; TotalNumVgprs: 0
; ScratchSize: 0
; MemoryBound: 0
; FloatMode: 240
; IeeeMode: 1
; LDSByteSize: 0 bytes/workgroup (compile time only)
; SGPRBlocks: 0
; VGPRBlocks: 0
; NumSGPRsForWavesPerEU: 4
; NumVGPRsForWavesPerEU: 1
; AccumOffset: 4
; Occupancy: 8
; WaveLimiterHint : 0
; COMPUTE_PGM_RSRC2:SCRATCH_EN: 0
; COMPUTE_PGM_RSRC2:USER_SGPR: 6
; COMPUTE_PGM_RSRC2:TRAP_HANDLER: 0
; COMPUTE_PGM_RSRC2:TGID_X_EN: 1
; COMPUTE_PGM_RSRC2:TGID_Y_EN: 0
; COMPUTE_PGM_RSRC2:TGID_Z_EN: 0
; COMPUTE_PGM_RSRC2:TIDIG_COMP_CNT: 0
; COMPUTE_PGM_RSRC3_GFX90A:ACCUM_OFFSET: 0
; COMPUTE_PGM_RSRC3_GFX90A:TG_SPLIT: 0
	.section	.text._ZN7rocprim17ROCPRIM_400000_NS6detail17trampoline_kernelINS0_14default_configENS1_36segmented_radix_sort_config_selectorIalEEZNS1_25segmented_radix_sort_implIS3_Lb1EPKaPaPKlPlN2at6native12_GLOBAL__N_18offset_tEEE10hipError_tPvRmT1_PNSt15iterator_traitsISK_E10value_typeET2_T3_PNSL_ISQ_E10value_typeET4_jRbjT5_SW_jjP12ihipStream_tbEUlT_E1_NS1_11comp_targetILNS1_3genE8ELNS1_11target_archE1030ELNS1_3gpuE2ELNS1_3repE0EEENS1_59segmented_radix_sort_warp_sort_small_config_static_selectorELNS0_4arch9wavefront6targetE1EEEvSK_,"axG",@progbits,_ZN7rocprim17ROCPRIM_400000_NS6detail17trampoline_kernelINS0_14default_configENS1_36segmented_radix_sort_config_selectorIalEEZNS1_25segmented_radix_sort_implIS3_Lb1EPKaPaPKlPlN2at6native12_GLOBAL__N_18offset_tEEE10hipError_tPvRmT1_PNSt15iterator_traitsISK_E10value_typeET2_T3_PNSL_ISQ_E10value_typeET4_jRbjT5_SW_jjP12ihipStream_tbEUlT_E1_NS1_11comp_targetILNS1_3genE8ELNS1_11target_archE1030ELNS1_3gpuE2ELNS1_3repE0EEENS1_59segmented_radix_sort_warp_sort_small_config_static_selectorELNS0_4arch9wavefront6targetE1EEEvSK_,comdat
	.globl	_ZN7rocprim17ROCPRIM_400000_NS6detail17trampoline_kernelINS0_14default_configENS1_36segmented_radix_sort_config_selectorIalEEZNS1_25segmented_radix_sort_implIS3_Lb1EPKaPaPKlPlN2at6native12_GLOBAL__N_18offset_tEEE10hipError_tPvRmT1_PNSt15iterator_traitsISK_E10value_typeET2_T3_PNSL_ISQ_E10value_typeET4_jRbjT5_SW_jjP12ihipStream_tbEUlT_E1_NS1_11comp_targetILNS1_3genE8ELNS1_11target_archE1030ELNS1_3gpuE2ELNS1_3repE0EEENS1_59segmented_radix_sort_warp_sort_small_config_static_selectorELNS0_4arch9wavefront6targetE1EEEvSK_ ; -- Begin function _ZN7rocprim17ROCPRIM_400000_NS6detail17trampoline_kernelINS0_14default_configENS1_36segmented_radix_sort_config_selectorIalEEZNS1_25segmented_radix_sort_implIS3_Lb1EPKaPaPKlPlN2at6native12_GLOBAL__N_18offset_tEEE10hipError_tPvRmT1_PNSt15iterator_traitsISK_E10value_typeET2_T3_PNSL_ISQ_E10value_typeET4_jRbjT5_SW_jjP12ihipStream_tbEUlT_E1_NS1_11comp_targetILNS1_3genE8ELNS1_11target_archE1030ELNS1_3gpuE2ELNS1_3repE0EEENS1_59segmented_radix_sort_warp_sort_small_config_static_selectorELNS0_4arch9wavefront6targetE1EEEvSK_
	.p2align	8
	.type	_ZN7rocprim17ROCPRIM_400000_NS6detail17trampoline_kernelINS0_14default_configENS1_36segmented_radix_sort_config_selectorIalEEZNS1_25segmented_radix_sort_implIS3_Lb1EPKaPaPKlPlN2at6native12_GLOBAL__N_18offset_tEEE10hipError_tPvRmT1_PNSt15iterator_traitsISK_E10value_typeET2_T3_PNSL_ISQ_E10value_typeET4_jRbjT5_SW_jjP12ihipStream_tbEUlT_E1_NS1_11comp_targetILNS1_3genE8ELNS1_11target_archE1030ELNS1_3gpuE2ELNS1_3repE0EEENS1_59segmented_radix_sort_warp_sort_small_config_static_selectorELNS0_4arch9wavefront6targetE1EEEvSK_,@function
_ZN7rocprim17ROCPRIM_400000_NS6detail17trampoline_kernelINS0_14default_configENS1_36segmented_radix_sort_config_selectorIalEEZNS1_25segmented_radix_sort_implIS3_Lb1EPKaPaPKlPlN2at6native12_GLOBAL__N_18offset_tEEE10hipError_tPvRmT1_PNSt15iterator_traitsISK_E10value_typeET2_T3_PNSL_ISQ_E10value_typeET4_jRbjT5_SW_jjP12ihipStream_tbEUlT_E1_NS1_11comp_targetILNS1_3genE8ELNS1_11target_archE1030ELNS1_3gpuE2ELNS1_3repE0EEENS1_59segmented_radix_sort_warp_sort_small_config_static_selectorELNS0_4arch9wavefront6targetE1EEEvSK_: ; @_ZN7rocprim17ROCPRIM_400000_NS6detail17trampoline_kernelINS0_14default_configENS1_36segmented_radix_sort_config_selectorIalEEZNS1_25segmented_radix_sort_implIS3_Lb1EPKaPaPKlPlN2at6native12_GLOBAL__N_18offset_tEEE10hipError_tPvRmT1_PNSt15iterator_traitsISK_E10value_typeET2_T3_PNSL_ISQ_E10value_typeET4_jRbjT5_SW_jjP12ihipStream_tbEUlT_E1_NS1_11comp_targetILNS1_3genE8ELNS1_11target_archE1030ELNS1_3gpuE2ELNS1_3repE0EEENS1_59segmented_radix_sort_warp_sort_small_config_static_selectorELNS0_4arch9wavefront6targetE1EEEvSK_
; %bb.0:
	.section	.rodata,"a",@progbits
	.p2align	6, 0x0
	.amdhsa_kernel _ZN7rocprim17ROCPRIM_400000_NS6detail17trampoline_kernelINS0_14default_configENS1_36segmented_radix_sort_config_selectorIalEEZNS1_25segmented_radix_sort_implIS3_Lb1EPKaPaPKlPlN2at6native12_GLOBAL__N_18offset_tEEE10hipError_tPvRmT1_PNSt15iterator_traitsISK_E10value_typeET2_T3_PNSL_ISQ_E10value_typeET4_jRbjT5_SW_jjP12ihipStream_tbEUlT_E1_NS1_11comp_targetILNS1_3genE8ELNS1_11target_archE1030ELNS1_3gpuE2ELNS1_3repE0EEENS1_59segmented_radix_sort_warp_sort_small_config_static_selectorELNS0_4arch9wavefront6targetE1EEEvSK_
		.amdhsa_group_segment_fixed_size 0
		.amdhsa_private_segment_fixed_size 0
		.amdhsa_kernarg_size 88
		.amdhsa_user_sgpr_count 6
		.amdhsa_user_sgpr_private_segment_buffer 1
		.amdhsa_user_sgpr_dispatch_ptr 0
		.amdhsa_user_sgpr_queue_ptr 0
		.amdhsa_user_sgpr_kernarg_segment_ptr 1
		.amdhsa_user_sgpr_dispatch_id 0
		.amdhsa_user_sgpr_flat_scratch_init 0
		.amdhsa_user_sgpr_kernarg_preload_length 0
		.amdhsa_user_sgpr_kernarg_preload_offset 0
		.amdhsa_user_sgpr_private_segment_size 0
		.amdhsa_uses_dynamic_stack 0
		.amdhsa_system_sgpr_private_segment_wavefront_offset 0
		.amdhsa_system_sgpr_workgroup_id_x 1
		.amdhsa_system_sgpr_workgroup_id_y 0
		.amdhsa_system_sgpr_workgroup_id_z 0
		.amdhsa_system_sgpr_workgroup_info 0
		.amdhsa_system_vgpr_workitem_id 0
		.amdhsa_next_free_vgpr 1
		.amdhsa_next_free_sgpr 0
		.amdhsa_accum_offset 4
		.amdhsa_reserve_vcc 0
		.amdhsa_reserve_flat_scratch 0
		.amdhsa_float_round_mode_32 0
		.amdhsa_float_round_mode_16_64 0
		.amdhsa_float_denorm_mode_32 3
		.amdhsa_float_denorm_mode_16_64 3
		.amdhsa_dx10_clamp 1
		.amdhsa_ieee_mode 1
		.amdhsa_fp16_overflow 0
		.amdhsa_tg_split 0
		.amdhsa_exception_fp_ieee_invalid_op 0
		.amdhsa_exception_fp_denorm_src 0
		.amdhsa_exception_fp_ieee_div_zero 0
		.amdhsa_exception_fp_ieee_overflow 0
		.amdhsa_exception_fp_ieee_underflow 0
		.amdhsa_exception_fp_ieee_inexact 0
		.amdhsa_exception_int_div_zero 0
	.end_amdhsa_kernel
	.section	.text._ZN7rocprim17ROCPRIM_400000_NS6detail17trampoline_kernelINS0_14default_configENS1_36segmented_radix_sort_config_selectorIalEEZNS1_25segmented_radix_sort_implIS3_Lb1EPKaPaPKlPlN2at6native12_GLOBAL__N_18offset_tEEE10hipError_tPvRmT1_PNSt15iterator_traitsISK_E10value_typeET2_T3_PNSL_ISQ_E10value_typeET4_jRbjT5_SW_jjP12ihipStream_tbEUlT_E1_NS1_11comp_targetILNS1_3genE8ELNS1_11target_archE1030ELNS1_3gpuE2ELNS1_3repE0EEENS1_59segmented_radix_sort_warp_sort_small_config_static_selectorELNS0_4arch9wavefront6targetE1EEEvSK_,"axG",@progbits,_ZN7rocprim17ROCPRIM_400000_NS6detail17trampoline_kernelINS0_14default_configENS1_36segmented_radix_sort_config_selectorIalEEZNS1_25segmented_radix_sort_implIS3_Lb1EPKaPaPKlPlN2at6native12_GLOBAL__N_18offset_tEEE10hipError_tPvRmT1_PNSt15iterator_traitsISK_E10value_typeET2_T3_PNSL_ISQ_E10value_typeET4_jRbjT5_SW_jjP12ihipStream_tbEUlT_E1_NS1_11comp_targetILNS1_3genE8ELNS1_11target_archE1030ELNS1_3gpuE2ELNS1_3repE0EEENS1_59segmented_radix_sort_warp_sort_small_config_static_selectorELNS0_4arch9wavefront6targetE1EEEvSK_,comdat
.Lfunc_end319:
	.size	_ZN7rocprim17ROCPRIM_400000_NS6detail17trampoline_kernelINS0_14default_configENS1_36segmented_radix_sort_config_selectorIalEEZNS1_25segmented_radix_sort_implIS3_Lb1EPKaPaPKlPlN2at6native12_GLOBAL__N_18offset_tEEE10hipError_tPvRmT1_PNSt15iterator_traitsISK_E10value_typeET2_T3_PNSL_ISQ_E10value_typeET4_jRbjT5_SW_jjP12ihipStream_tbEUlT_E1_NS1_11comp_targetILNS1_3genE8ELNS1_11target_archE1030ELNS1_3gpuE2ELNS1_3repE0EEENS1_59segmented_radix_sort_warp_sort_small_config_static_selectorELNS0_4arch9wavefront6targetE1EEEvSK_, .Lfunc_end319-_ZN7rocprim17ROCPRIM_400000_NS6detail17trampoline_kernelINS0_14default_configENS1_36segmented_radix_sort_config_selectorIalEEZNS1_25segmented_radix_sort_implIS3_Lb1EPKaPaPKlPlN2at6native12_GLOBAL__N_18offset_tEEE10hipError_tPvRmT1_PNSt15iterator_traitsISK_E10value_typeET2_T3_PNSL_ISQ_E10value_typeET4_jRbjT5_SW_jjP12ihipStream_tbEUlT_E1_NS1_11comp_targetILNS1_3genE8ELNS1_11target_archE1030ELNS1_3gpuE2ELNS1_3repE0EEENS1_59segmented_radix_sort_warp_sort_small_config_static_selectorELNS0_4arch9wavefront6targetE1EEEvSK_
                                        ; -- End function
	.section	.AMDGPU.csdata,"",@progbits
; Kernel info:
; codeLenInByte = 0
; NumSgprs: 4
; NumVgprs: 0
; NumAgprs: 0
; TotalNumVgprs: 0
; ScratchSize: 0
; MemoryBound: 0
; FloatMode: 240
; IeeeMode: 1
; LDSByteSize: 0 bytes/workgroup (compile time only)
; SGPRBlocks: 0
; VGPRBlocks: 0
; NumSGPRsForWavesPerEU: 4
; NumVGPRsForWavesPerEU: 1
; AccumOffset: 4
; Occupancy: 8
; WaveLimiterHint : 0
; COMPUTE_PGM_RSRC2:SCRATCH_EN: 0
; COMPUTE_PGM_RSRC2:USER_SGPR: 6
; COMPUTE_PGM_RSRC2:TRAP_HANDLER: 0
; COMPUTE_PGM_RSRC2:TGID_X_EN: 1
; COMPUTE_PGM_RSRC2:TGID_Y_EN: 0
; COMPUTE_PGM_RSRC2:TGID_Z_EN: 0
; COMPUTE_PGM_RSRC2:TIDIG_COMP_CNT: 0
; COMPUTE_PGM_RSRC3_GFX90A:ACCUM_OFFSET: 0
; COMPUTE_PGM_RSRC3_GFX90A:TG_SPLIT: 0
	.section	.text._ZN7rocprim17ROCPRIM_400000_NS6detail17trampoline_kernelINS0_14default_configENS1_36segmented_radix_sort_config_selectorIalEEZNS1_25segmented_radix_sort_implIS3_Lb1EPKaPaPKlPlN2at6native12_GLOBAL__N_18offset_tEEE10hipError_tPvRmT1_PNSt15iterator_traitsISK_E10value_typeET2_T3_PNSL_ISQ_E10value_typeET4_jRbjT5_SW_jjP12ihipStream_tbEUlT_E2_NS1_11comp_targetILNS1_3genE0ELNS1_11target_archE4294967295ELNS1_3gpuE0ELNS1_3repE0EEENS1_30default_config_static_selectorELNS0_4arch9wavefront6targetE1EEEvSK_,"axG",@progbits,_ZN7rocprim17ROCPRIM_400000_NS6detail17trampoline_kernelINS0_14default_configENS1_36segmented_radix_sort_config_selectorIalEEZNS1_25segmented_radix_sort_implIS3_Lb1EPKaPaPKlPlN2at6native12_GLOBAL__N_18offset_tEEE10hipError_tPvRmT1_PNSt15iterator_traitsISK_E10value_typeET2_T3_PNSL_ISQ_E10value_typeET4_jRbjT5_SW_jjP12ihipStream_tbEUlT_E2_NS1_11comp_targetILNS1_3genE0ELNS1_11target_archE4294967295ELNS1_3gpuE0ELNS1_3repE0EEENS1_30default_config_static_selectorELNS0_4arch9wavefront6targetE1EEEvSK_,comdat
	.globl	_ZN7rocprim17ROCPRIM_400000_NS6detail17trampoline_kernelINS0_14default_configENS1_36segmented_radix_sort_config_selectorIalEEZNS1_25segmented_radix_sort_implIS3_Lb1EPKaPaPKlPlN2at6native12_GLOBAL__N_18offset_tEEE10hipError_tPvRmT1_PNSt15iterator_traitsISK_E10value_typeET2_T3_PNSL_ISQ_E10value_typeET4_jRbjT5_SW_jjP12ihipStream_tbEUlT_E2_NS1_11comp_targetILNS1_3genE0ELNS1_11target_archE4294967295ELNS1_3gpuE0ELNS1_3repE0EEENS1_30default_config_static_selectorELNS0_4arch9wavefront6targetE1EEEvSK_ ; -- Begin function _ZN7rocprim17ROCPRIM_400000_NS6detail17trampoline_kernelINS0_14default_configENS1_36segmented_radix_sort_config_selectorIalEEZNS1_25segmented_radix_sort_implIS3_Lb1EPKaPaPKlPlN2at6native12_GLOBAL__N_18offset_tEEE10hipError_tPvRmT1_PNSt15iterator_traitsISK_E10value_typeET2_T3_PNSL_ISQ_E10value_typeET4_jRbjT5_SW_jjP12ihipStream_tbEUlT_E2_NS1_11comp_targetILNS1_3genE0ELNS1_11target_archE4294967295ELNS1_3gpuE0ELNS1_3repE0EEENS1_30default_config_static_selectorELNS0_4arch9wavefront6targetE1EEEvSK_
	.p2align	8
	.type	_ZN7rocprim17ROCPRIM_400000_NS6detail17trampoline_kernelINS0_14default_configENS1_36segmented_radix_sort_config_selectorIalEEZNS1_25segmented_radix_sort_implIS3_Lb1EPKaPaPKlPlN2at6native12_GLOBAL__N_18offset_tEEE10hipError_tPvRmT1_PNSt15iterator_traitsISK_E10value_typeET2_T3_PNSL_ISQ_E10value_typeET4_jRbjT5_SW_jjP12ihipStream_tbEUlT_E2_NS1_11comp_targetILNS1_3genE0ELNS1_11target_archE4294967295ELNS1_3gpuE0ELNS1_3repE0EEENS1_30default_config_static_selectorELNS0_4arch9wavefront6targetE1EEEvSK_,@function
_ZN7rocprim17ROCPRIM_400000_NS6detail17trampoline_kernelINS0_14default_configENS1_36segmented_radix_sort_config_selectorIalEEZNS1_25segmented_radix_sort_implIS3_Lb1EPKaPaPKlPlN2at6native12_GLOBAL__N_18offset_tEEE10hipError_tPvRmT1_PNSt15iterator_traitsISK_E10value_typeET2_T3_PNSL_ISQ_E10value_typeET4_jRbjT5_SW_jjP12ihipStream_tbEUlT_E2_NS1_11comp_targetILNS1_3genE0ELNS1_11target_archE4294967295ELNS1_3gpuE0ELNS1_3repE0EEENS1_30default_config_static_selectorELNS0_4arch9wavefront6targetE1EEEvSK_: ; @_ZN7rocprim17ROCPRIM_400000_NS6detail17trampoline_kernelINS0_14default_configENS1_36segmented_radix_sort_config_selectorIalEEZNS1_25segmented_radix_sort_implIS3_Lb1EPKaPaPKlPlN2at6native12_GLOBAL__N_18offset_tEEE10hipError_tPvRmT1_PNSt15iterator_traitsISK_E10value_typeET2_T3_PNSL_ISQ_E10value_typeET4_jRbjT5_SW_jjP12ihipStream_tbEUlT_E2_NS1_11comp_targetILNS1_3genE0ELNS1_11target_archE4294967295ELNS1_3gpuE0ELNS1_3repE0EEENS1_30default_config_static_selectorELNS0_4arch9wavefront6targetE1EEEvSK_
; %bb.0:
	.section	.rodata,"a",@progbits
	.p2align	6, 0x0
	.amdhsa_kernel _ZN7rocprim17ROCPRIM_400000_NS6detail17trampoline_kernelINS0_14default_configENS1_36segmented_radix_sort_config_selectorIalEEZNS1_25segmented_radix_sort_implIS3_Lb1EPKaPaPKlPlN2at6native12_GLOBAL__N_18offset_tEEE10hipError_tPvRmT1_PNSt15iterator_traitsISK_E10value_typeET2_T3_PNSL_ISQ_E10value_typeET4_jRbjT5_SW_jjP12ihipStream_tbEUlT_E2_NS1_11comp_targetILNS1_3genE0ELNS1_11target_archE4294967295ELNS1_3gpuE0ELNS1_3repE0EEENS1_30default_config_static_selectorELNS0_4arch9wavefront6targetE1EEEvSK_
		.amdhsa_group_segment_fixed_size 0
		.amdhsa_private_segment_fixed_size 0
		.amdhsa_kernarg_size 80
		.amdhsa_user_sgpr_count 6
		.amdhsa_user_sgpr_private_segment_buffer 1
		.amdhsa_user_sgpr_dispatch_ptr 0
		.amdhsa_user_sgpr_queue_ptr 0
		.amdhsa_user_sgpr_kernarg_segment_ptr 1
		.amdhsa_user_sgpr_dispatch_id 0
		.amdhsa_user_sgpr_flat_scratch_init 0
		.amdhsa_user_sgpr_kernarg_preload_length 0
		.amdhsa_user_sgpr_kernarg_preload_offset 0
		.amdhsa_user_sgpr_private_segment_size 0
		.amdhsa_uses_dynamic_stack 0
		.amdhsa_system_sgpr_private_segment_wavefront_offset 0
		.amdhsa_system_sgpr_workgroup_id_x 1
		.amdhsa_system_sgpr_workgroup_id_y 0
		.amdhsa_system_sgpr_workgroup_id_z 0
		.amdhsa_system_sgpr_workgroup_info 0
		.amdhsa_system_vgpr_workitem_id 0
		.amdhsa_next_free_vgpr 1
		.amdhsa_next_free_sgpr 0
		.amdhsa_accum_offset 4
		.amdhsa_reserve_vcc 0
		.amdhsa_reserve_flat_scratch 0
		.amdhsa_float_round_mode_32 0
		.amdhsa_float_round_mode_16_64 0
		.amdhsa_float_denorm_mode_32 3
		.amdhsa_float_denorm_mode_16_64 3
		.amdhsa_dx10_clamp 1
		.amdhsa_ieee_mode 1
		.amdhsa_fp16_overflow 0
		.amdhsa_tg_split 0
		.amdhsa_exception_fp_ieee_invalid_op 0
		.amdhsa_exception_fp_denorm_src 0
		.amdhsa_exception_fp_ieee_div_zero 0
		.amdhsa_exception_fp_ieee_overflow 0
		.amdhsa_exception_fp_ieee_underflow 0
		.amdhsa_exception_fp_ieee_inexact 0
		.amdhsa_exception_int_div_zero 0
	.end_amdhsa_kernel
	.section	.text._ZN7rocprim17ROCPRIM_400000_NS6detail17trampoline_kernelINS0_14default_configENS1_36segmented_radix_sort_config_selectorIalEEZNS1_25segmented_radix_sort_implIS3_Lb1EPKaPaPKlPlN2at6native12_GLOBAL__N_18offset_tEEE10hipError_tPvRmT1_PNSt15iterator_traitsISK_E10value_typeET2_T3_PNSL_ISQ_E10value_typeET4_jRbjT5_SW_jjP12ihipStream_tbEUlT_E2_NS1_11comp_targetILNS1_3genE0ELNS1_11target_archE4294967295ELNS1_3gpuE0ELNS1_3repE0EEENS1_30default_config_static_selectorELNS0_4arch9wavefront6targetE1EEEvSK_,"axG",@progbits,_ZN7rocprim17ROCPRIM_400000_NS6detail17trampoline_kernelINS0_14default_configENS1_36segmented_radix_sort_config_selectorIalEEZNS1_25segmented_radix_sort_implIS3_Lb1EPKaPaPKlPlN2at6native12_GLOBAL__N_18offset_tEEE10hipError_tPvRmT1_PNSt15iterator_traitsISK_E10value_typeET2_T3_PNSL_ISQ_E10value_typeET4_jRbjT5_SW_jjP12ihipStream_tbEUlT_E2_NS1_11comp_targetILNS1_3genE0ELNS1_11target_archE4294967295ELNS1_3gpuE0ELNS1_3repE0EEENS1_30default_config_static_selectorELNS0_4arch9wavefront6targetE1EEEvSK_,comdat
.Lfunc_end320:
	.size	_ZN7rocprim17ROCPRIM_400000_NS6detail17trampoline_kernelINS0_14default_configENS1_36segmented_radix_sort_config_selectorIalEEZNS1_25segmented_radix_sort_implIS3_Lb1EPKaPaPKlPlN2at6native12_GLOBAL__N_18offset_tEEE10hipError_tPvRmT1_PNSt15iterator_traitsISK_E10value_typeET2_T3_PNSL_ISQ_E10value_typeET4_jRbjT5_SW_jjP12ihipStream_tbEUlT_E2_NS1_11comp_targetILNS1_3genE0ELNS1_11target_archE4294967295ELNS1_3gpuE0ELNS1_3repE0EEENS1_30default_config_static_selectorELNS0_4arch9wavefront6targetE1EEEvSK_, .Lfunc_end320-_ZN7rocprim17ROCPRIM_400000_NS6detail17trampoline_kernelINS0_14default_configENS1_36segmented_radix_sort_config_selectorIalEEZNS1_25segmented_radix_sort_implIS3_Lb1EPKaPaPKlPlN2at6native12_GLOBAL__N_18offset_tEEE10hipError_tPvRmT1_PNSt15iterator_traitsISK_E10value_typeET2_T3_PNSL_ISQ_E10value_typeET4_jRbjT5_SW_jjP12ihipStream_tbEUlT_E2_NS1_11comp_targetILNS1_3genE0ELNS1_11target_archE4294967295ELNS1_3gpuE0ELNS1_3repE0EEENS1_30default_config_static_selectorELNS0_4arch9wavefront6targetE1EEEvSK_
                                        ; -- End function
	.section	.AMDGPU.csdata,"",@progbits
; Kernel info:
; codeLenInByte = 0
; NumSgprs: 4
; NumVgprs: 0
; NumAgprs: 0
; TotalNumVgprs: 0
; ScratchSize: 0
; MemoryBound: 0
; FloatMode: 240
; IeeeMode: 1
; LDSByteSize: 0 bytes/workgroup (compile time only)
; SGPRBlocks: 0
; VGPRBlocks: 0
; NumSGPRsForWavesPerEU: 4
; NumVGPRsForWavesPerEU: 1
; AccumOffset: 4
; Occupancy: 8
; WaveLimiterHint : 0
; COMPUTE_PGM_RSRC2:SCRATCH_EN: 0
; COMPUTE_PGM_RSRC2:USER_SGPR: 6
; COMPUTE_PGM_RSRC2:TRAP_HANDLER: 0
; COMPUTE_PGM_RSRC2:TGID_X_EN: 1
; COMPUTE_PGM_RSRC2:TGID_Y_EN: 0
; COMPUTE_PGM_RSRC2:TGID_Z_EN: 0
; COMPUTE_PGM_RSRC2:TIDIG_COMP_CNT: 0
; COMPUTE_PGM_RSRC3_GFX90A:ACCUM_OFFSET: 0
; COMPUTE_PGM_RSRC3_GFX90A:TG_SPLIT: 0
	.section	.text._ZN7rocprim17ROCPRIM_400000_NS6detail17trampoline_kernelINS0_14default_configENS1_36segmented_radix_sort_config_selectorIalEEZNS1_25segmented_radix_sort_implIS3_Lb1EPKaPaPKlPlN2at6native12_GLOBAL__N_18offset_tEEE10hipError_tPvRmT1_PNSt15iterator_traitsISK_E10value_typeET2_T3_PNSL_ISQ_E10value_typeET4_jRbjT5_SW_jjP12ihipStream_tbEUlT_E2_NS1_11comp_targetILNS1_3genE5ELNS1_11target_archE942ELNS1_3gpuE9ELNS1_3repE0EEENS1_30default_config_static_selectorELNS0_4arch9wavefront6targetE1EEEvSK_,"axG",@progbits,_ZN7rocprim17ROCPRIM_400000_NS6detail17trampoline_kernelINS0_14default_configENS1_36segmented_radix_sort_config_selectorIalEEZNS1_25segmented_radix_sort_implIS3_Lb1EPKaPaPKlPlN2at6native12_GLOBAL__N_18offset_tEEE10hipError_tPvRmT1_PNSt15iterator_traitsISK_E10value_typeET2_T3_PNSL_ISQ_E10value_typeET4_jRbjT5_SW_jjP12ihipStream_tbEUlT_E2_NS1_11comp_targetILNS1_3genE5ELNS1_11target_archE942ELNS1_3gpuE9ELNS1_3repE0EEENS1_30default_config_static_selectorELNS0_4arch9wavefront6targetE1EEEvSK_,comdat
	.globl	_ZN7rocprim17ROCPRIM_400000_NS6detail17trampoline_kernelINS0_14default_configENS1_36segmented_radix_sort_config_selectorIalEEZNS1_25segmented_radix_sort_implIS3_Lb1EPKaPaPKlPlN2at6native12_GLOBAL__N_18offset_tEEE10hipError_tPvRmT1_PNSt15iterator_traitsISK_E10value_typeET2_T3_PNSL_ISQ_E10value_typeET4_jRbjT5_SW_jjP12ihipStream_tbEUlT_E2_NS1_11comp_targetILNS1_3genE5ELNS1_11target_archE942ELNS1_3gpuE9ELNS1_3repE0EEENS1_30default_config_static_selectorELNS0_4arch9wavefront6targetE1EEEvSK_ ; -- Begin function _ZN7rocprim17ROCPRIM_400000_NS6detail17trampoline_kernelINS0_14default_configENS1_36segmented_radix_sort_config_selectorIalEEZNS1_25segmented_radix_sort_implIS3_Lb1EPKaPaPKlPlN2at6native12_GLOBAL__N_18offset_tEEE10hipError_tPvRmT1_PNSt15iterator_traitsISK_E10value_typeET2_T3_PNSL_ISQ_E10value_typeET4_jRbjT5_SW_jjP12ihipStream_tbEUlT_E2_NS1_11comp_targetILNS1_3genE5ELNS1_11target_archE942ELNS1_3gpuE9ELNS1_3repE0EEENS1_30default_config_static_selectorELNS0_4arch9wavefront6targetE1EEEvSK_
	.p2align	8
	.type	_ZN7rocprim17ROCPRIM_400000_NS6detail17trampoline_kernelINS0_14default_configENS1_36segmented_radix_sort_config_selectorIalEEZNS1_25segmented_radix_sort_implIS3_Lb1EPKaPaPKlPlN2at6native12_GLOBAL__N_18offset_tEEE10hipError_tPvRmT1_PNSt15iterator_traitsISK_E10value_typeET2_T3_PNSL_ISQ_E10value_typeET4_jRbjT5_SW_jjP12ihipStream_tbEUlT_E2_NS1_11comp_targetILNS1_3genE5ELNS1_11target_archE942ELNS1_3gpuE9ELNS1_3repE0EEENS1_30default_config_static_selectorELNS0_4arch9wavefront6targetE1EEEvSK_,@function
_ZN7rocprim17ROCPRIM_400000_NS6detail17trampoline_kernelINS0_14default_configENS1_36segmented_radix_sort_config_selectorIalEEZNS1_25segmented_radix_sort_implIS3_Lb1EPKaPaPKlPlN2at6native12_GLOBAL__N_18offset_tEEE10hipError_tPvRmT1_PNSt15iterator_traitsISK_E10value_typeET2_T3_PNSL_ISQ_E10value_typeET4_jRbjT5_SW_jjP12ihipStream_tbEUlT_E2_NS1_11comp_targetILNS1_3genE5ELNS1_11target_archE942ELNS1_3gpuE9ELNS1_3repE0EEENS1_30default_config_static_selectorELNS0_4arch9wavefront6targetE1EEEvSK_: ; @_ZN7rocprim17ROCPRIM_400000_NS6detail17trampoline_kernelINS0_14default_configENS1_36segmented_radix_sort_config_selectorIalEEZNS1_25segmented_radix_sort_implIS3_Lb1EPKaPaPKlPlN2at6native12_GLOBAL__N_18offset_tEEE10hipError_tPvRmT1_PNSt15iterator_traitsISK_E10value_typeET2_T3_PNSL_ISQ_E10value_typeET4_jRbjT5_SW_jjP12ihipStream_tbEUlT_E2_NS1_11comp_targetILNS1_3genE5ELNS1_11target_archE942ELNS1_3gpuE9ELNS1_3repE0EEENS1_30default_config_static_selectorELNS0_4arch9wavefront6targetE1EEEvSK_
; %bb.0:
	.section	.rodata,"a",@progbits
	.p2align	6, 0x0
	.amdhsa_kernel _ZN7rocprim17ROCPRIM_400000_NS6detail17trampoline_kernelINS0_14default_configENS1_36segmented_radix_sort_config_selectorIalEEZNS1_25segmented_radix_sort_implIS3_Lb1EPKaPaPKlPlN2at6native12_GLOBAL__N_18offset_tEEE10hipError_tPvRmT1_PNSt15iterator_traitsISK_E10value_typeET2_T3_PNSL_ISQ_E10value_typeET4_jRbjT5_SW_jjP12ihipStream_tbEUlT_E2_NS1_11comp_targetILNS1_3genE5ELNS1_11target_archE942ELNS1_3gpuE9ELNS1_3repE0EEENS1_30default_config_static_selectorELNS0_4arch9wavefront6targetE1EEEvSK_
		.amdhsa_group_segment_fixed_size 0
		.amdhsa_private_segment_fixed_size 0
		.amdhsa_kernarg_size 80
		.amdhsa_user_sgpr_count 6
		.amdhsa_user_sgpr_private_segment_buffer 1
		.amdhsa_user_sgpr_dispatch_ptr 0
		.amdhsa_user_sgpr_queue_ptr 0
		.amdhsa_user_sgpr_kernarg_segment_ptr 1
		.amdhsa_user_sgpr_dispatch_id 0
		.amdhsa_user_sgpr_flat_scratch_init 0
		.amdhsa_user_sgpr_kernarg_preload_length 0
		.amdhsa_user_sgpr_kernarg_preload_offset 0
		.amdhsa_user_sgpr_private_segment_size 0
		.amdhsa_uses_dynamic_stack 0
		.amdhsa_system_sgpr_private_segment_wavefront_offset 0
		.amdhsa_system_sgpr_workgroup_id_x 1
		.amdhsa_system_sgpr_workgroup_id_y 0
		.amdhsa_system_sgpr_workgroup_id_z 0
		.amdhsa_system_sgpr_workgroup_info 0
		.amdhsa_system_vgpr_workitem_id 0
		.amdhsa_next_free_vgpr 1
		.amdhsa_next_free_sgpr 0
		.amdhsa_accum_offset 4
		.amdhsa_reserve_vcc 0
		.amdhsa_reserve_flat_scratch 0
		.amdhsa_float_round_mode_32 0
		.amdhsa_float_round_mode_16_64 0
		.amdhsa_float_denorm_mode_32 3
		.amdhsa_float_denorm_mode_16_64 3
		.amdhsa_dx10_clamp 1
		.amdhsa_ieee_mode 1
		.amdhsa_fp16_overflow 0
		.amdhsa_tg_split 0
		.amdhsa_exception_fp_ieee_invalid_op 0
		.amdhsa_exception_fp_denorm_src 0
		.amdhsa_exception_fp_ieee_div_zero 0
		.amdhsa_exception_fp_ieee_overflow 0
		.amdhsa_exception_fp_ieee_underflow 0
		.amdhsa_exception_fp_ieee_inexact 0
		.amdhsa_exception_int_div_zero 0
	.end_amdhsa_kernel
	.section	.text._ZN7rocprim17ROCPRIM_400000_NS6detail17trampoline_kernelINS0_14default_configENS1_36segmented_radix_sort_config_selectorIalEEZNS1_25segmented_radix_sort_implIS3_Lb1EPKaPaPKlPlN2at6native12_GLOBAL__N_18offset_tEEE10hipError_tPvRmT1_PNSt15iterator_traitsISK_E10value_typeET2_T3_PNSL_ISQ_E10value_typeET4_jRbjT5_SW_jjP12ihipStream_tbEUlT_E2_NS1_11comp_targetILNS1_3genE5ELNS1_11target_archE942ELNS1_3gpuE9ELNS1_3repE0EEENS1_30default_config_static_selectorELNS0_4arch9wavefront6targetE1EEEvSK_,"axG",@progbits,_ZN7rocprim17ROCPRIM_400000_NS6detail17trampoline_kernelINS0_14default_configENS1_36segmented_radix_sort_config_selectorIalEEZNS1_25segmented_radix_sort_implIS3_Lb1EPKaPaPKlPlN2at6native12_GLOBAL__N_18offset_tEEE10hipError_tPvRmT1_PNSt15iterator_traitsISK_E10value_typeET2_T3_PNSL_ISQ_E10value_typeET4_jRbjT5_SW_jjP12ihipStream_tbEUlT_E2_NS1_11comp_targetILNS1_3genE5ELNS1_11target_archE942ELNS1_3gpuE9ELNS1_3repE0EEENS1_30default_config_static_selectorELNS0_4arch9wavefront6targetE1EEEvSK_,comdat
.Lfunc_end321:
	.size	_ZN7rocprim17ROCPRIM_400000_NS6detail17trampoline_kernelINS0_14default_configENS1_36segmented_radix_sort_config_selectorIalEEZNS1_25segmented_radix_sort_implIS3_Lb1EPKaPaPKlPlN2at6native12_GLOBAL__N_18offset_tEEE10hipError_tPvRmT1_PNSt15iterator_traitsISK_E10value_typeET2_T3_PNSL_ISQ_E10value_typeET4_jRbjT5_SW_jjP12ihipStream_tbEUlT_E2_NS1_11comp_targetILNS1_3genE5ELNS1_11target_archE942ELNS1_3gpuE9ELNS1_3repE0EEENS1_30default_config_static_selectorELNS0_4arch9wavefront6targetE1EEEvSK_, .Lfunc_end321-_ZN7rocprim17ROCPRIM_400000_NS6detail17trampoline_kernelINS0_14default_configENS1_36segmented_radix_sort_config_selectorIalEEZNS1_25segmented_radix_sort_implIS3_Lb1EPKaPaPKlPlN2at6native12_GLOBAL__N_18offset_tEEE10hipError_tPvRmT1_PNSt15iterator_traitsISK_E10value_typeET2_T3_PNSL_ISQ_E10value_typeET4_jRbjT5_SW_jjP12ihipStream_tbEUlT_E2_NS1_11comp_targetILNS1_3genE5ELNS1_11target_archE942ELNS1_3gpuE9ELNS1_3repE0EEENS1_30default_config_static_selectorELNS0_4arch9wavefront6targetE1EEEvSK_
                                        ; -- End function
	.section	.AMDGPU.csdata,"",@progbits
; Kernel info:
; codeLenInByte = 0
; NumSgprs: 4
; NumVgprs: 0
; NumAgprs: 0
; TotalNumVgprs: 0
; ScratchSize: 0
; MemoryBound: 0
; FloatMode: 240
; IeeeMode: 1
; LDSByteSize: 0 bytes/workgroup (compile time only)
; SGPRBlocks: 0
; VGPRBlocks: 0
; NumSGPRsForWavesPerEU: 4
; NumVGPRsForWavesPerEU: 1
; AccumOffset: 4
; Occupancy: 8
; WaveLimiterHint : 0
; COMPUTE_PGM_RSRC2:SCRATCH_EN: 0
; COMPUTE_PGM_RSRC2:USER_SGPR: 6
; COMPUTE_PGM_RSRC2:TRAP_HANDLER: 0
; COMPUTE_PGM_RSRC2:TGID_X_EN: 1
; COMPUTE_PGM_RSRC2:TGID_Y_EN: 0
; COMPUTE_PGM_RSRC2:TGID_Z_EN: 0
; COMPUTE_PGM_RSRC2:TIDIG_COMP_CNT: 0
; COMPUTE_PGM_RSRC3_GFX90A:ACCUM_OFFSET: 0
; COMPUTE_PGM_RSRC3_GFX90A:TG_SPLIT: 0
	.section	.text._ZN7rocprim17ROCPRIM_400000_NS6detail17trampoline_kernelINS0_14default_configENS1_36segmented_radix_sort_config_selectorIalEEZNS1_25segmented_radix_sort_implIS3_Lb1EPKaPaPKlPlN2at6native12_GLOBAL__N_18offset_tEEE10hipError_tPvRmT1_PNSt15iterator_traitsISK_E10value_typeET2_T3_PNSL_ISQ_E10value_typeET4_jRbjT5_SW_jjP12ihipStream_tbEUlT_E2_NS1_11comp_targetILNS1_3genE4ELNS1_11target_archE910ELNS1_3gpuE8ELNS1_3repE0EEENS1_30default_config_static_selectorELNS0_4arch9wavefront6targetE1EEEvSK_,"axG",@progbits,_ZN7rocprim17ROCPRIM_400000_NS6detail17trampoline_kernelINS0_14default_configENS1_36segmented_radix_sort_config_selectorIalEEZNS1_25segmented_radix_sort_implIS3_Lb1EPKaPaPKlPlN2at6native12_GLOBAL__N_18offset_tEEE10hipError_tPvRmT1_PNSt15iterator_traitsISK_E10value_typeET2_T3_PNSL_ISQ_E10value_typeET4_jRbjT5_SW_jjP12ihipStream_tbEUlT_E2_NS1_11comp_targetILNS1_3genE4ELNS1_11target_archE910ELNS1_3gpuE8ELNS1_3repE0EEENS1_30default_config_static_selectorELNS0_4arch9wavefront6targetE1EEEvSK_,comdat
	.globl	_ZN7rocprim17ROCPRIM_400000_NS6detail17trampoline_kernelINS0_14default_configENS1_36segmented_radix_sort_config_selectorIalEEZNS1_25segmented_radix_sort_implIS3_Lb1EPKaPaPKlPlN2at6native12_GLOBAL__N_18offset_tEEE10hipError_tPvRmT1_PNSt15iterator_traitsISK_E10value_typeET2_T3_PNSL_ISQ_E10value_typeET4_jRbjT5_SW_jjP12ihipStream_tbEUlT_E2_NS1_11comp_targetILNS1_3genE4ELNS1_11target_archE910ELNS1_3gpuE8ELNS1_3repE0EEENS1_30default_config_static_selectorELNS0_4arch9wavefront6targetE1EEEvSK_ ; -- Begin function _ZN7rocprim17ROCPRIM_400000_NS6detail17trampoline_kernelINS0_14default_configENS1_36segmented_radix_sort_config_selectorIalEEZNS1_25segmented_radix_sort_implIS3_Lb1EPKaPaPKlPlN2at6native12_GLOBAL__N_18offset_tEEE10hipError_tPvRmT1_PNSt15iterator_traitsISK_E10value_typeET2_T3_PNSL_ISQ_E10value_typeET4_jRbjT5_SW_jjP12ihipStream_tbEUlT_E2_NS1_11comp_targetILNS1_3genE4ELNS1_11target_archE910ELNS1_3gpuE8ELNS1_3repE0EEENS1_30default_config_static_selectorELNS0_4arch9wavefront6targetE1EEEvSK_
	.p2align	8
	.type	_ZN7rocprim17ROCPRIM_400000_NS6detail17trampoline_kernelINS0_14default_configENS1_36segmented_radix_sort_config_selectorIalEEZNS1_25segmented_radix_sort_implIS3_Lb1EPKaPaPKlPlN2at6native12_GLOBAL__N_18offset_tEEE10hipError_tPvRmT1_PNSt15iterator_traitsISK_E10value_typeET2_T3_PNSL_ISQ_E10value_typeET4_jRbjT5_SW_jjP12ihipStream_tbEUlT_E2_NS1_11comp_targetILNS1_3genE4ELNS1_11target_archE910ELNS1_3gpuE8ELNS1_3repE0EEENS1_30default_config_static_selectorELNS0_4arch9wavefront6targetE1EEEvSK_,@function
_ZN7rocprim17ROCPRIM_400000_NS6detail17trampoline_kernelINS0_14default_configENS1_36segmented_radix_sort_config_selectorIalEEZNS1_25segmented_radix_sort_implIS3_Lb1EPKaPaPKlPlN2at6native12_GLOBAL__N_18offset_tEEE10hipError_tPvRmT1_PNSt15iterator_traitsISK_E10value_typeET2_T3_PNSL_ISQ_E10value_typeET4_jRbjT5_SW_jjP12ihipStream_tbEUlT_E2_NS1_11comp_targetILNS1_3genE4ELNS1_11target_archE910ELNS1_3gpuE8ELNS1_3repE0EEENS1_30default_config_static_selectorELNS0_4arch9wavefront6targetE1EEEvSK_: ; @_ZN7rocprim17ROCPRIM_400000_NS6detail17trampoline_kernelINS0_14default_configENS1_36segmented_radix_sort_config_selectorIalEEZNS1_25segmented_radix_sort_implIS3_Lb1EPKaPaPKlPlN2at6native12_GLOBAL__N_18offset_tEEE10hipError_tPvRmT1_PNSt15iterator_traitsISK_E10value_typeET2_T3_PNSL_ISQ_E10value_typeET4_jRbjT5_SW_jjP12ihipStream_tbEUlT_E2_NS1_11comp_targetILNS1_3genE4ELNS1_11target_archE910ELNS1_3gpuE8ELNS1_3repE0EEENS1_30default_config_static_selectorELNS0_4arch9wavefront6targetE1EEEvSK_
; %bb.0:
	s_add_u32 flat_scratch_lo, s6, s10
	s_addc_u32 flat_scratch_hi, s7, 0
	s_add_u32 s0, s0, s10
	s_mov_b32 s33, s9
	s_mov_b32 s50, s8
	s_load_dwordx4 s[8:11], s[4:5], 0x34
	s_addc_u32 s1, s1, 0
	s_mov_b32 s32, 0
	s_waitcnt lgkmcnt(0)
	s_add_i32 s51, s9, s50
	s_add_i32 s76, s11, s50
	s_mul_i32 s51, s51, s8
	s_mul_i32 s76, s76, s10
	s_cmp_le_u32 s76, s51
	s_cbranch_scc1 .LBB322_686
; %bb.1:
	s_load_dword s6, s[4:5], 0x30
	s_load_dwordx4 s[64:67], s[4:5], 0x20
	s_load_dwordx4 s[68:71], s[4:5], 0x44
	s_load_dwordx8 s[56:63], s[4:5], 0x0
	s_waitcnt lgkmcnt(0)
	s_bitcmp1_b32 s6, 0
	s_cselect_b64 s[54:55], -1, 0
	s_sub_i32 s71, s76, s51
	s_cmpk_lt_u32 s71, 0x801
	s_mov_b64 s[6:7], -1
	s_cbranch_scc0 .LBB322_15
; %bb.2:
	s_cmp_lt_u32 s71, 33
	s_cbranch_scc0 .LBB322_9
; %bb.3:
	s_load_dword s6, s[4:5], 0x5c
	v_bfe_u32 v1, v0, 10, 10
	v_bfe_u32 v3, v0, 20, 10
	v_and_b32_e32 v2, 0x3ff, v0
	s_waitcnt lgkmcnt(0)
	s_lshr_b32 s7, s6, 16
	s_and_b32 s6, s6, 0xffff
	v_mad_u32_u24 v1, v3, s7, v1
	v_mad_u64_u32 v[2:3], s[6:7], v1, s6, v[2:3]
	v_cmp_gt_u32_e32 vcc, 8, v2
	s_and_saveexec_b64 s[34:35], vcc
	s_cbranch_execz .LBB322_8
; %bb.4:
	s_and_b32 s6, s68, 1
	v_cndmask_b32_e64 v1, 0, 1, s[54:55]
	v_cmp_ne_u32_e32 vcc, s6, v1
	s_mov_b64 s[6:7], -1
	s_cbranch_vccnz .LBB322_6
; %bb.5:
	s_add_u32 s8, s4, 0x50
	s_mov_b64 s[6:7], src_shared_base
	s_addc_u32 s9, s5, 0
	s_mov_b32 s12, s50
	s_mov_b32 s13, s33
	v_mov_b32_e32 v31, v0
	v_mov_b32_e32 v40, v0
	;; [unrolled: 1-line block ×16, first 2 shown]
	s_getpc_b64 s[10:11]
	s_add_u32 s10, s10, _ZN7rocprim17ROCPRIM_400000_NS6detail26segmented_warp_sort_helperINS1_20WarpSortHelperConfigILj8ELj4ELj256EEEalLi256ELb1EvE4sortIPKaPaPKlPlEEvT_T0_T1_T2_jjjjRNS5_12storage_typeE@rel32@lo+4
	s_addc_u32 s11, s11, _ZN7rocprim17ROCPRIM_400000_NS6detail26segmented_warp_sort_helperINS1_20WarpSortHelperConfigILj8ELj4ELj256EEEalLi256ELb1EvE4sortIPKaPaPKlPlEEvT_T0_T1_T2_jjjjRNS5_12storage_typeE@rel32@hi+12
	s_mov_b64 s[36:37], s[4:5]
	s_swappc_b64 s[30:31], s[10:11]
	v_mov_b32_e32 v0, v40
	s_mov_b64 s[4:5], s[36:37]
	s_mov_b64 s[6:7], 0
.LBB322_6:
	s_andn2_b64 vcc, exec, s[6:7]
	s_cbranch_vccnz .LBB322_8
; %bb.7:
	s_add_u32 s8, s4, 0x50
	s_mov_b64 s[6:7], src_shared_base
	s_addc_u32 s9, s5, 0
	s_mov_b32 s12, s50
	s_mov_b32 s13, s33
	v_mov_b32_e32 v31, v0
	v_mov_b32_e32 v40, v0
	;; [unrolled: 1-line block ×16, first 2 shown]
	s_getpc_b64 s[10:11]
	s_add_u32 s10, s10, _ZN7rocprim17ROCPRIM_400000_NS6detail26segmented_warp_sort_helperINS1_20WarpSortHelperConfigILj8ELj4ELj256EEEalLi256ELb1EvE4sortIPKaPaPKlPlEEvT_T0_T1_T2_jjjjRNS5_12storage_typeE@rel32@lo+4
	s_addc_u32 s11, s11, _ZN7rocprim17ROCPRIM_400000_NS6detail26segmented_warp_sort_helperINS1_20WarpSortHelperConfigILj8ELj4ELj256EEEalLi256ELb1EvE4sortIPKaPaPKlPlEEvT_T0_T1_T2_jjjjRNS5_12storage_typeE@rel32@hi+12
	s_mov_b64 s[36:37], s[4:5]
	s_swappc_b64 s[30:31], s[10:11]
	v_mov_b32_e32 v0, v40
	s_mov_b64 s[4:5], s[36:37]
.LBB322_8:
	s_or_b64 exec, exec, s[34:35]
	s_mov_b64 s[6:7], 0
.LBB322_9:
	s_andn2_b64 vcc, exec, s[6:7]
	s_cbranch_vccnz .LBB322_14
; %bb.10:
	s_and_b32 s6, s68, 1
	v_cndmask_b32_e64 v1, 0, 1, s[54:55]
	v_cmp_ne_u32_e32 vcc, s6, v1
	s_mov_b64 s[6:7], -1
	s_cbranch_vccnz .LBB322_12
; %bb.11:
	s_add_u32 s8, s4, 0x50
	s_mov_b64 s[6:7], src_shared_base
	s_addc_u32 s9, s5, 0
	s_mov_b32 s12, s50
	s_mov_b32 s13, s33
	v_mov_b32_e32 v31, v0
	v_mov_b32_e32 v41, v0
	;; [unrolled: 1-line block ×16, first 2 shown]
	s_getpc_b64 s[10:11]
	s_add_u32 s10, s10, _ZN7rocprim17ROCPRIM_400000_NS6detail40segmented_radix_sort_single_block_helperIalLj256ELj8ELb1EE4sortIPKaPaPKlPlEEbT_T0_T1_T2_jjjjRNS3_12storage_typeE@rel32@lo+4
	s_addc_u32 s11, s11, _ZN7rocprim17ROCPRIM_400000_NS6detail40segmented_radix_sort_single_block_helperIalLj256ELj8ELb1EE4sortIPKaPaPKlPlEEbT_T0_T1_T2_jjjjRNS3_12storage_typeE@rel32@hi+12
	s_mov_b64 s[48:49], s[4:5]
	s_swappc_b64 s[30:31], s[10:11]
	v_mov_b32_e32 v0, v41
	s_mov_b64 s[4:5], s[48:49]
	s_mov_b64 s[6:7], 0
.LBB322_12:
	s_andn2_b64 vcc, exec, s[6:7]
	s_cbranch_vccnz .LBB322_14
; %bb.13:
	s_add_u32 s8, s4, 0x50
	s_mov_b64 s[6:7], src_shared_base
	s_addc_u32 s9, s5, 0
	s_mov_b32 s12, s50
	s_mov_b32 s13, s33
	v_mov_b32_e32 v31, v0
	v_mov_b32_e32 v41, v0
	;; [unrolled: 1-line block ×16, first 2 shown]
	s_getpc_b64 s[10:11]
	s_add_u32 s10, s10, _ZN7rocprim17ROCPRIM_400000_NS6detail40segmented_radix_sort_single_block_helperIalLj256ELj8ELb1EE4sortIPKaPaPKlPlEEbT_T0_T1_T2_jjjjRNS3_12storage_typeE@rel32@lo+4
	s_addc_u32 s11, s11, _ZN7rocprim17ROCPRIM_400000_NS6detail40segmented_radix_sort_single_block_helperIalLj256ELj8ELb1EE4sortIPKaPaPKlPlEEbT_T0_T1_T2_jjjjRNS3_12storage_typeE@rel32@hi+12
	s_mov_b64 s[48:49], s[4:5]
	s_swappc_b64 s[30:31], s[10:11]
	v_mov_b32_e32 v0, v41
	s_mov_b64 s[4:5], s[48:49]
.LBB322_14:
	s_mov_b64 s[6:7], 0
.LBB322_15:
	s_andn2_b64 vcc, exec, s[6:7]
	s_cbranch_vccnz .LBB322_686
; %bb.16:
	s_cmp_ge_u32 s69, s70
	s_cbranch_scc1 .LBB322_686
; %bb.17:
	v_and_b32_e32 v2, 0x3ff, v0
	v_mov_b32_e32 v1, s61
	v_add_co_u32_e32 v28, vcc, s60, v2
	s_movk_i32 s6, 0x100
	v_addc_co_u32_e32 v29, vcc, 0, v1, vcc
	v_or_b32_e32 v1, 63, v2
	s_mov_b64 s[12:13], s[4:5]
	v_cmp_gt_u32_e64 s[4:5], s6, v2
	v_cmp_eq_u32_e64 s[6:7], v1, v2
	v_lshrrev_b32_e32 v1, 4, v2
	v_and_b32_e32 v35, 12, v1
	v_lshlrev_b32_e32 v1, 3, v2
	v_bfe_u32 v40, v0, 20, 10
	v_bfe_u32 v41, v0, 10, 10
	v_mul_u32_u24_e32 v0, 5, v2
	v_mov_b32_e32 v43, 0x410
	v_and_b32_e32 v39, 0x600, v1
	v_lshl_add_u32 v44, v0, 2, v43
	v_lshlrev_b32_e32 v0, 4, v2
	v_sub_u32_e32 v45, 0, v0
	v_lshlrev_b32_e32 v0, 3, v39
	v_mov_b32_e32 v1, s67
	v_add_co_u32_e32 v46, vcc, s66, v0
	v_addc_co_u32_e32 v47, vcc, 0, v1, vcc
	v_mov_b32_e32 v1, s61
	v_add_co_u32_e32 v48, vcc, s60, v39
	v_addc_co_u32_e32 v49, vcc, 0, v1, vcc
	;; [unrolled: 3-line block ×7, first 2 shown]
	v_lshlrev_b32_e32 v3, 2, v2
	v_mov_b32_e32 v0, s57
	v_add_co_u32_e32 v61, vcc, s56, v39
	v_mad_u32_u24 v34, v2, 12, v3
	s_add_u32 s74, s12, 0x50
	s_movk_i32 s14, 0xff
	v_addc_co_u32_e32 v62, vcc, 0, v0, vcc
	v_mbcnt_lo_u32_b32 v0, -1, 0
	s_mov_b32 s73, 0
	v_mov_b32_e32 v4, 0
	v_or_b32_e32 v24, 0x100, v2
	v_or_b32_e32 v25, 0x200, v2
	v_or_b32_e32 v26, 0x300, v2
	v_and_b32_e32 v27, 3, v2
	v_or_b32_e32 v30, 0x400, v2
	v_or_b32_e32 v31, 0x500, v2
	;; [unrolled: 1-line block ×5, first 2 shown]
	v_cmp_gt_u32_e64 s[8:9], 4, v2
	v_add_u32_e32 v37, 0x4400, v3
	v_cmp_lt_u32_e64 s[10:11], 63, v2
	v_add_u32_e32 v38, 0x43fc, v35
	s_addc_u32 s75, s13, 0
	v_add_u32_e32 v42, v34, v3
	v_cmp_eq_u32_e64 s[12:13], 0, v2
	v_cmp_ne_u32_e64 s[14:15], s14, v2
	v_mul_u32_u24_e32 v50, 7, v2
	v_mov_b32_e32 v63, 1
	v_mbcnt_hi_u32_b32 v64, -1, v0
	s_mov_b32 s68, s69
	s_branch .LBB322_20
.LBB322_18:                             ;   in Loop: Header=BB322_20 Depth=1
	s_waitcnt lgkmcnt(0)
	s_barrier
.LBB322_19:                             ;   in Loop: Header=BB322_20 Depth=1
	s_add_i32 s68, s68, 8
	s_cmp_ge_u32 s68, s70
	s_cbranch_scc1 .LBB322_686
.LBB322_20:                             ; =>This Loop Header: Depth=1
                                        ;     Child Loop BB322_24 Depth 2
                                        ;     Child Loop BB322_74 Depth 2
	;; [unrolled: 1-line block ×8, first 2 shown]
	s_sub_i32 s16, s70, s68
	s_min_u32 s16, s16, 8
	s_lshl_b32 s16, -1, s16
	s_xor_b64 s[54:55], s[54:55], -1
	s_not_b32 s77, s16
	s_cmp_lg_u32 s68, s69
	s_mov_b64 s[16:17], -1
	ds_write2st64_b32 v3, v4, v4 offset1:4
	ds_write2st64_b32 v3, v4, v4 offset0:8 offset1:12
	s_waitcnt lgkmcnt(0)
	s_cbranch_scc0 .LBB322_354
; %bb.21:                               ;   in Loop: Header=BB322_20 Depth=1
	s_and_b64 vcc, exec, s[54:55]
	s_cbranch_vccz .LBB322_187
; %bb.22:                               ;   in Loop: Header=BB322_20 Depth=1
	s_mov_b32 s20, s71
	s_mov_b32 s22, s51
	s_barrier
	s_waitcnt lgkmcnt(0)
                                        ; implicit-def: $vgpr5
                                        ; implicit-def: $vgpr6
                                        ; implicit-def: $vgpr7
                                        ; implicit-def: $vgpr8
                                        ; implicit-def: $vgpr9
                                        ; implicit-def: $vgpr10
                                        ; implicit-def: $vgpr11
                                        ; implicit-def: $vgpr12
	s_branch .LBB322_24
.LBB322_23:                             ;   in Loop: Header=BB322_24 Depth=2
	s_or_b64 exec, exec, s[16:17]
	s_addk_i32 s20, 0xf800
	s_cmp_ge_u32 s21, s76
	s_mov_b32 s22, s21
	s_cbranch_scc1 .LBB322_62
.LBB322_24:                             ;   Parent Loop BB322_20 Depth=1
                                        ; =>  This Inner Loop Header: Depth=2
	s_add_i32 s21, s22, 0x800
	s_cmp_gt_u32 s21, s76
	s_cbranch_scc1 .LBB322_27
; %bb.25:                               ;   in Loop: Header=BB322_24 Depth=2
	v_add_co_u32_e32 v0, vcc, s22, v28
	v_addc_co_u32_e32 v1, vcc, 0, v29, vcc
	global_load_ubyte v20, v[0:1], off offset:1536
	global_load_ubyte v19, v[0:1], off offset:1280
	global_load_ubyte v18, v[0:1], off offset:1024
	global_load_ubyte v17, v[0:1], off offset:768
	global_load_ubyte v16, v[0:1], off offset:512
	global_load_ubyte v15, v[0:1], off offset:256
	global_load_ubyte v14, v[0:1], off
	v_add_co_u32_e32 v0, vcc, 0x700, v0
	v_addc_co_u32_e32 v1, vcc, 0, v1, vcc
	s_mov_b64 s[16:17], -1
	s_movk_i32 s25, 0x800
	s_cbranch_execz .LBB322_28
; %bb.26:                               ;   in Loop: Header=BB322_24 Depth=2
                                        ; implicit-def: $vgpr5
                                        ; implicit-def: $vgpr6
                                        ; implicit-def: $vgpr7
                                        ; implicit-def: $vgpr8
                                        ; implicit-def: $vgpr9
                                        ; implicit-def: $vgpr10
                                        ; implicit-def: $vgpr11
                                        ; implicit-def: $vgpr12
	v_mov_b32_e32 v13, s20
	s_and_saveexec_b64 s[18:19], s[16:17]
	s_cbranch_execnz .LBB322_39
	s_branch .LBB322_40
.LBB322_27:                             ;   in Loop: Header=BB322_24 Depth=2
	s_mov_b64 s[16:17], 0
                                        ; implicit-def: $sgpr25
                                        ; implicit-def: $vgpr14
                                        ; implicit-def: $vgpr15
                                        ; implicit-def: $vgpr16
                                        ; implicit-def: $vgpr17
                                        ; implicit-def: $vgpr18
                                        ; implicit-def: $vgpr19
                                        ; implicit-def: $vgpr20
                                        ; implicit-def: $vgpr0_vgpr1
.LBB322_28:                             ;   in Loop: Header=BB322_24 Depth=2
	s_add_u32 s23, s60, s22
	s_addc_u32 s24, s61, 0
	v_cmp_gt_u32_e32 vcc, s20, v2
	s_and_saveexec_b64 s[18:19], vcc
	s_cbranch_execz .LBB322_56
; %bb.29:                               ;   in Loop: Header=BB322_24 Depth=2
	v_mov_b32_e32 v1, s24
	v_add_co_u32_e32 v0, vcc, s23, v2
	v_addc_co_u32_e32 v1, vcc, 0, v1, vcc
	global_load_ubyte v5, v[0:1], off
	s_or_b64 exec, exec, s[18:19]
	v_cmp_gt_u32_e32 vcc, s20, v24
	s_and_saveexec_b64 s[18:19], vcc
	s_cbranch_execnz .LBB322_57
.LBB322_30:                             ;   in Loop: Header=BB322_24 Depth=2
	s_or_b64 exec, exec, s[18:19]
	v_cmp_gt_u32_e32 vcc, s20, v25
	s_and_saveexec_b64 s[18:19], vcc
	s_cbranch_execz .LBB322_58
.LBB322_31:                             ;   in Loop: Header=BB322_24 Depth=2
	v_mov_b32_e32 v1, s24
	v_add_co_u32_e32 v0, vcc, s23, v2
	v_addc_co_u32_e32 v1, vcc, 0, v1, vcc
	global_load_ubyte v7, v[0:1], off offset:512
	s_or_b64 exec, exec, s[18:19]
	v_cmp_gt_u32_e32 vcc, s20, v26
	s_and_saveexec_b64 s[18:19], vcc
	s_cbranch_execnz .LBB322_59
.LBB322_32:                             ;   in Loop: Header=BB322_24 Depth=2
	s_or_b64 exec, exec, s[18:19]
	v_cmp_gt_u32_e32 vcc, s20, v30
	s_and_saveexec_b64 s[18:19], vcc
	s_cbranch_execz .LBB322_60
.LBB322_33:                             ;   in Loop: Header=BB322_24 Depth=2
	v_mov_b32_e32 v1, s24
	v_add_co_u32_e32 v0, vcc, s23, v2
	v_addc_co_u32_e32 v1, vcc, 0, v1, vcc
	global_load_ubyte v9, v[0:1], off offset:1024
	s_or_b64 exec, exec, s[18:19]
	v_cmp_gt_u32_e32 vcc, s20, v31
	s_and_saveexec_b64 s[18:19], vcc
	s_cbranch_execnz .LBB322_61
.LBB322_34:                             ;   in Loop: Header=BB322_24 Depth=2
	s_or_b64 exec, exec, s[18:19]
	v_cmp_gt_u32_e32 vcc, s20, v32
	s_and_saveexec_b64 s[18:19], vcc
	s_cbranch_execz .LBB322_36
.LBB322_35:                             ;   in Loop: Header=BB322_24 Depth=2
	v_mov_b32_e32 v1, s24
	v_add_co_u32_e32 v0, vcc, s23, v2
	v_addc_co_u32_e32 v1, vcc, 0, v1, vcc
	global_load_ubyte v11, v[0:1], off offset:1536
.LBB322_36:                             ;   in Loop: Header=BB322_24 Depth=2
	s_or_b64 exec, exec, s[18:19]
	v_cmp_gt_u32_e32 vcc, s20, v33
                                        ; implicit-def: $sgpr25
                                        ; implicit-def: $vgpr0_vgpr1
	s_and_saveexec_b64 s[18:19], vcc
	s_cbranch_execz .LBB322_38
; %bb.37:                               ;   in Loop: Header=BB322_24 Depth=2
	v_mov_b32_e32 v0, s24
	v_add_co_u32_e32 v1, vcc, s23, v2
	s_waitcnt vmcnt(0)
	v_addc_co_u32_e32 v12, vcc, 0, v0, vcc
	v_add_co_u32_e32 v0, vcc, 0x700, v1
	s_sub_i32 s25, s76, s22
	v_addc_co_u32_e32 v1, vcc, 0, v12, vcc
	s_or_b64 s[16:17], s[16:17], exec
                                        ; implicit-def: $vgpr12
.LBB322_38:                             ;   in Loop: Header=BB322_24 Depth=2
	s_or_b64 exec, exec, s[18:19]
	s_waitcnt vmcnt(0)
	v_mov_b32_e32 v14, v5
	v_mov_b32_e32 v15, v6
	;; [unrolled: 1-line block ×8, first 2 shown]
	s_and_saveexec_b64 s[18:19], s[16:17]
	s_cbranch_execz .LBB322_40
.LBB322_39:                             ;   in Loop: Header=BB322_24 Depth=2
	global_load_ubyte v12, v[0:1], off
	v_mov_b32_e32 v13, s25
	s_waitcnt vmcnt(1)
	v_mov_b32_e32 v5, v14
	v_mov_b32_e32 v6, v15
	;; [unrolled: 1-line block ×7, first 2 shown]
.LBB322_40:                             ;   in Loop: Header=BB322_24 Depth=2
	s_or_b64 exec, exec, s[18:19]
	v_cmp_lt_u32_e32 vcc, v2, v13
	s_and_saveexec_b64 s[16:17], vcc
	s_cbranch_execz .LBB322_48
; %bb.41:                               ;   in Loop: Header=BB322_24 Depth=2
	v_xor_b32_e32 v0, 0x7f, v5
	v_lshrrev_b32_sdwa v0, s68, v0 dst_sel:DWORD dst_unused:UNUSED_PAD src0_sel:DWORD src1_sel:BYTE_0
	v_and_b32_e32 v0, s77, v0
	v_lshlrev_b32_e32 v1, 2, v27
	v_lshl_or_b32 v0, v0, 4, v1
	ds_add_u32 v0, v63
	s_or_b64 exec, exec, s[16:17]
	v_cmp_lt_u32_e32 vcc, v24, v13
	s_and_saveexec_b64 s[16:17], vcc
	s_cbranch_execnz .LBB322_49
.LBB322_42:                             ;   in Loop: Header=BB322_24 Depth=2
	s_or_b64 exec, exec, s[16:17]
	v_cmp_lt_u32_e32 vcc, v25, v13
	s_and_saveexec_b64 s[16:17], vcc
	s_cbranch_execz .LBB322_50
.LBB322_43:                             ;   in Loop: Header=BB322_24 Depth=2
	v_xor_b32_e32 v0, 0x7f, v7
	v_lshrrev_b32_sdwa v0, s68, v0 dst_sel:DWORD dst_unused:UNUSED_PAD src0_sel:DWORD src1_sel:BYTE_0
	v_and_b32_e32 v0, s77, v0
	v_lshlrev_b32_e32 v1, 2, v27
	v_lshl_or_b32 v0, v0, 4, v1
	ds_add_u32 v0, v63
	s_or_b64 exec, exec, s[16:17]
	v_cmp_lt_u32_e32 vcc, v26, v13
	s_and_saveexec_b64 s[16:17], vcc
	s_cbranch_execnz .LBB322_51
.LBB322_44:                             ;   in Loop: Header=BB322_24 Depth=2
	s_or_b64 exec, exec, s[16:17]
	v_cmp_lt_u32_e32 vcc, v30, v13
	s_and_saveexec_b64 s[16:17], vcc
	s_cbranch_execz .LBB322_52
.LBB322_45:                             ;   in Loop: Header=BB322_24 Depth=2
	v_xor_b32_e32 v0, 0x7f, v9
	v_lshrrev_b32_sdwa v0, s68, v0 dst_sel:DWORD dst_unused:UNUSED_PAD src0_sel:DWORD src1_sel:BYTE_0
	v_and_b32_e32 v0, s77, v0
	v_lshlrev_b32_e32 v1, 2, v27
	v_lshl_or_b32 v0, v0, 4, v1
	ds_add_u32 v0, v63
	s_or_b64 exec, exec, s[16:17]
	v_cmp_lt_u32_e32 vcc, v31, v13
	s_and_saveexec_b64 s[16:17], vcc
	s_cbranch_execnz .LBB322_53
.LBB322_46:                             ;   in Loop: Header=BB322_24 Depth=2
	s_or_b64 exec, exec, s[16:17]
	v_cmp_lt_u32_e32 vcc, v32, v13
	s_and_saveexec_b64 s[16:17], vcc
	s_cbranch_execz .LBB322_54
.LBB322_47:                             ;   in Loop: Header=BB322_24 Depth=2
	v_xor_b32_e32 v0, 0x7f, v11
	v_lshrrev_b32_sdwa v0, s68, v0 dst_sel:DWORD dst_unused:UNUSED_PAD src0_sel:DWORD src1_sel:BYTE_0
	v_and_b32_e32 v0, s77, v0
	v_lshlrev_b32_e32 v1, 2, v27
	v_lshl_or_b32 v0, v0, 4, v1
	ds_add_u32 v0, v63
	s_or_b64 exec, exec, s[16:17]
	v_cmp_lt_u32_e32 vcc, v33, v13
	s_and_saveexec_b64 s[16:17], vcc
	s_cbranch_execz .LBB322_23
	s_branch .LBB322_55
.LBB322_48:                             ;   in Loop: Header=BB322_24 Depth=2
	s_or_b64 exec, exec, s[16:17]
	v_cmp_lt_u32_e32 vcc, v24, v13
	s_and_saveexec_b64 s[16:17], vcc
	s_cbranch_execz .LBB322_42
.LBB322_49:                             ;   in Loop: Header=BB322_24 Depth=2
	v_xor_b32_e32 v0, 0x7f, v6
	v_lshrrev_b32_sdwa v0, s68, v0 dst_sel:DWORD dst_unused:UNUSED_PAD src0_sel:DWORD src1_sel:BYTE_0
	v_and_b32_e32 v0, s77, v0
	v_lshlrev_b32_e32 v1, 2, v27
	v_lshl_or_b32 v0, v0, 4, v1
	ds_add_u32 v0, v63
	s_or_b64 exec, exec, s[16:17]
	v_cmp_lt_u32_e32 vcc, v25, v13
	s_and_saveexec_b64 s[16:17], vcc
	s_cbranch_execnz .LBB322_43
.LBB322_50:                             ;   in Loop: Header=BB322_24 Depth=2
	s_or_b64 exec, exec, s[16:17]
	v_cmp_lt_u32_e32 vcc, v26, v13
	s_and_saveexec_b64 s[16:17], vcc
	s_cbranch_execz .LBB322_44
.LBB322_51:                             ;   in Loop: Header=BB322_24 Depth=2
	v_xor_b32_e32 v0, 0x7f, v8
	v_lshrrev_b32_sdwa v0, s68, v0 dst_sel:DWORD dst_unused:UNUSED_PAD src0_sel:DWORD src1_sel:BYTE_0
	v_and_b32_e32 v0, s77, v0
	v_lshlrev_b32_e32 v1, 2, v27
	v_lshl_or_b32 v0, v0, 4, v1
	ds_add_u32 v0, v63
	s_or_b64 exec, exec, s[16:17]
	v_cmp_lt_u32_e32 vcc, v30, v13
	s_and_saveexec_b64 s[16:17], vcc
	s_cbranch_execnz .LBB322_45
.LBB322_52:                             ;   in Loop: Header=BB322_24 Depth=2
	s_or_b64 exec, exec, s[16:17]
	v_cmp_lt_u32_e32 vcc, v31, v13
	s_and_saveexec_b64 s[16:17], vcc
	s_cbranch_execz .LBB322_46
.LBB322_53:                             ;   in Loop: Header=BB322_24 Depth=2
	v_xor_b32_e32 v0, 0x7f, v10
	v_lshrrev_b32_sdwa v0, s68, v0 dst_sel:DWORD dst_unused:UNUSED_PAD src0_sel:DWORD src1_sel:BYTE_0
	v_and_b32_e32 v0, s77, v0
	v_lshlrev_b32_e32 v1, 2, v27
	v_lshl_or_b32 v0, v0, 4, v1
	ds_add_u32 v0, v63
	s_or_b64 exec, exec, s[16:17]
	v_cmp_lt_u32_e32 vcc, v32, v13
	s_and_saveexec_b64 s[16:17], vcc
	s_cbranch_execnz .LBB322_47
.LBB322_54:                             ;   in Loop: Header=BB322_24 Depth=2
	s_or_b64 exec, exec, s[16:17]
	v_cmp_lt_u32_e32 vcc, v33, v13
	s_and_saveexec_b64 s[16:17], vcc
	s_cbranch_execz .LBB322_23
.LBB322_55:                             ;   in Loop: Header=BB322_24 Depth=2
	s_waitcnt vmcnt(0)
	v_xor_b32_e32 v0, 0x7f, v12
	v_lshrrev_b32_sdwa v0, s68, v0 dst_sel:DWORD dst_unused:UNUSED_PAD src0_sel:DWORD src1_sel:BYTE_0
	v_and_b32_e32 v0, s77, v0
	v_lshlrev_b32_e32 v1, 2, v27
	v_lshl_or_b32 v0, v0, 4, v1
	ds_add_u32 v0, v63
	s_branch .LBB322_23
.LBB322_56:                             ;   in Loop: Header=BB322_24 Depth=2
	s_or_b64 exec, exec, s[18:19]
	v_cmp_gt_u32_e32 vcc, s20, v24
	s_and_saveexec_b64 s[18:19], vcc
	s_cbranch_execz .LBB322_30
.LBB322_57:                             ;   in Loop: Header=BB322_24 Depth=2
	v_mov_b32_e32 v1, s24
	v_add_co_u32_e32 v0, vcc, s23, v2
	v_addc_co_u32_e32 v1, vcc, 0, v1, vcc
	global_load_ubyte v6, v[0:1], off offset:256
	s_or_b64 exec, exec, s[18:19]
	v_cmp_gt_u32_e32 vcc, s20, v25
	s_and_saveexec_b64 s[18:19], vcc
	s_cbranch_execnz .LBB322_31
.LBB322_58:                             ;   in Loop: Header=BB322_24 Depth=2
	s_or_b64 exec, exec, s[18:19]
	v_cmp_gt_u32_e32 vcc, s20, v26
	s_and_saveexec_b64 s[18:19], vcc
	s_cbranch_execz .LBB322_32
.LBB322_59:                             ;   in Loop: Header=BB322_24 Depth=2
	v_mov_b32_e32 v1, s24
	v_add_co_u32_e32 v0, vcc, s23, v2
	v_addc_co_u32_e32 v1, vcc, 0, v1, vcc
	global_load_ubyte v8, v[0:1], off offset:768
	s_or_b64 exec, exec, s[18:19]
	v_cmp_gt_u32_e32 vcc, s20, v30
	s_and_saveexec_b64 s[18:19], vcc
	s_cbranch_execnz .LBB322_33
.LBB322_60:                             ;   in Loop: Header=BB322_24 Depth=2
	s_or_b64 exec, exec, s[18:19]
	v_cmp_gt_u32_e32 vcc, s20, v31
	s_and_saveexec_b64 s[18:19], vcc
	s_cbranch_execz .LBB322_34
.LBB322_61:                             ;   in Loop: Header=BB322_24 Depth=2
	v_mov_b32_e32 v1, s24
	v_add_co_u32_e32 v0, vcc, s23, v2
	v_addc_co_u32_e32 v1, vcc, 0, v1, vcc
	global_load_ubyte v10, v[0:1], off offset:1280
	s_or_b64 exec, exec, s[18:19]
	v_cmp_gt_u32_e32 vcc, s20, v32
	s_and_saveexec_b64 s[18:19], vcc
	s_cbranch_execz .LBB322_36
	s_branch .LBB322_35
.LBB322_62:                             ;   in Loop: Header=BB322_20 Depth=1
	v_mov_b32_e32 v0, 0
	s_waitcnt lgkmcnt(0)
	s_barrier
	s_and_saveexec_b64 s[16:17], s[4:5]
	s_cbranch_execz .LBB322_64
; %bb.63:                               ;   in Loop: Header=BB322_20 Depth=1
	ds_read2_b64 v[6:9], v34 offset1:1
	s_waitcnt lgkmcnt(0)
	v_add_u32_e32 v0, v7, v6
	v_add3_u32 v0, v0, v8, v9
.LBB322_64:                             ;   in Loop: Header=BB322_20 Depth=1
	s_or_b64 exec, exec, s[16:17]
	v_and_b32_e32 v1, 15, v64
	v_mov_b32_dpp v5, v0 row_shr:1 row_mask:0xf bank_mask:0xf
	v_cmp_eq_u32_e64 s[16:17], 0, v1
	v_cndmask_b32_e64 v5, v5, 0, s[16:17]
	v_add_u32_e32 v0, v5, v0
	v_cmp_lt_u32_e64 s[18:19], 1, v1
	v_cmp_lt_u32_e64 s[20:21], 3, v1
	v_mov_b32_dpp v5, v0 row_shr:2 row_mask:0xf bank_mask:0xf
	v_cndmask_b32_e64 v5, 0, v5, s[18:19]
	v_add_u32_e32 v0, v0, v5
	v_cmp_lt_u32_e64 s[22:23], 7, v1
	v_cmp_lt_u32_e64 s[26:27], 31, v64
	v_mov_b32_dpp v5, v0 row_shr:4 row_mask:0xf bank_mask:0xf
	v_cndmask_b32_e64 v5, 0, v5, s[20:21]
	v_add_u32_e32 v0, v0, v5
	v_and_b32_e32 v6, 16, v64
	v_cmp_eq_u32_e64 s[24:25], 0, v6
	v_mov_b32_dpp v5, v0 row_shr:8 row_mask:0xf bank_mask:0xf
	v_cndmask_b32_e64 v1, 0, v5, s[22:23]
	v_add_u32_e32 v0, v0, v1
	v_bfe_i32 v5, v64, 4, 1
	s_nop 0
	v_mov_b32_dpp v1, v0 row_bcast:15 row_mask:0xf bank_mask:0xf
	v_and_b32_e32 v1, v5, v1
	v_add_u32_e32 v0, v0, v1
	s_nop 1
	v_mov_b32_dpp v1, v0 row_bcast:31 row_mask:0xf bank_mask:0xf
	v_cndmask_b32_e64 v1, 0, v1, s[26:27]
	v_add_u32_e32 v1, v0, v1
	s_and_saveexec_b64 s[28:29], s[6:7]
	s_cbranch_execz .LBB322_66
; %bb.65:                               ;   in Loop: Header=BB322_20 Depth=1
	ds_write_b32 v36, v1
.LBB322_66:                             ;   in Loop: Header=BB322_20 Depth=1
	s_or_b64 exec, exec, s[28:29]
	v_and_b32_e32 v0, 3, v64
	s_waitcnt lgkmcnt(0)
	s_barrier
	s_and_saveexec_b64 s[28:29], s[8:9]
	s_cbranch_execz .LBB322_68
; %bb.67:                               ;   in Loop: Header=BB322_20 Depth=1
	ds_read_b32 v5, v37
	v_cmp_ne_u32_e32 vcc, 0, v0
	s_waitcnt lgkmcnt(0)
	v_mov_b32_dpp v6, v5 row_shr:1 row_mask:0xf bank_mask:0xf
	v_cndmask_b32_e32 v6, 0, v6, vcc
	v_add_u32_e32 v5, v6, v5
	v_cmp_lt_u32_e32 vcc, 1, v0
	s_nop 0
	v_mov_b32_dpp v6, v5 row_shr:2 row_mask:0xf bank_mask:0xf
	v_cndmask_b32_e32 v6, 0, v6, vcc
	v_add_u32_e32 v5, v5, v6
	ds_write_b32 v37, v5
.LBB322_68:                             ;   in Loop: Header=BB322_20 Depth=1
	s_or_b64 exec, exec, s[28:29]
	v_mov_b32_e32 v5, 0
	s_waitcnt lgkmcnt(0)
	s_barrier
	s_and_saveexec_b64 s[28:29], s[10:11]
	s_cbranch_execz .LBB322_70
; %bb.69:                               ;   in Loop: Header=BB322_20 Depth=1
	ds_read_b32 v5, v38
.LBB322_70:                             ;   in Loop: Header=BB322_20 Depth=1
	s_or_b64 exec, exec, s[28:29]
	v_add_u32_e32 v6, -1, v64
	v_and_b32_e32 v7, 64, v64
	v_cmp_lt_i32_e32 vcc, v6, v7
	v_cndmask_b32_e32 v6, v6, v64, vcc
	s_waitcnt lgkmcnt(0)
	v_add_u32_e32 v1, v5, v1
	v_lshlrev_b32_e32 v65, 2, v6
	ds_bpermute_b32 v1, v65, v1
	v_cmp_eq_u32_e64 s[28:29], 0, v64
	s_waitcnt lgkmcnt(0)
	s_barrier
	s_and_saveexec_b64 s[30:31], s[4:5]
	s_cbranch_execz .LBB322_72
; %bb.71:                               ;   in Loop: Header=BB322_20 Depth=1
	v_cndmask_b32_e64 v1, v1, v5, s[28:29]
	v_add_u32_e32 v1, s51, v1
	ds_write_b32 v3, v1
.LBB322_72:                             ;   in Loop: Header=BB322_20 Depth=1
	s_or_b64 exec, exec, s[30:31]
	s_load_dword s30, s[74:75], 0x4
	s_load_dword s36, s[74:75], 0xc
	s_waitcnt vmcnt(6)
	v_and_b32_e32 v20, 63, v64
	v_add_co_u32_e32 v74, vcc, v48, v20
	s_waitcnt lgkmcnt(0)
	s_cmp_lt_u32 s33, s30
	s_cselect_b32 s30, 14, 20
	s_add_u32 s30, s74, s30
	s_addc_u32 s31, s75, 0
	global_load_ushort v5, v4, s[30:31]
	v_lshlrev_b32_e32 v21, 3, v20
	v_addc_co_u32_e32 v76, vcc, 0, v49, vcc
	v_add_co_u32_e32 v77, vcc, v46, v21
	v_addc_co_u32_e32 v78, vcc, 0, v47, vcc
	s_and_b32 s36, s36, 0xffff
	v_or_b32_e32 v72, v20, v39
	v_add_co_u32_e32 v86, vcc, 0x1c0, v74
	v_cmp_eq_u32_e64 s[30:31], 0, v0
	v_cmp_lt_u32_e64 s[34:35], 1, v0
	s_mov_b32 s78, s71
	v_or_b32_e32 v79, 64, v72
	v_or_b32_e32 v80, 0x80, v72
	;; [unrolled: 1-line block ×7, first 2 shown]
	v_addc_co_u32_e32 v87, vcc, 0, v76, vcc
	s_mov_b32 s72, s51
                                        ; implicit-def: $vgpr0_vgpr1
                                        ; implicit-def: $vgpr6_vgpr7
                                        ; implicit-def: $vgpr8_vgpr9
                                        ; implicit-def: $vgpr10_vgpr11
                                        ; implicit-def: $vgpr12_vgpr13
                                        ; implicit-def: $vgpr14_vgpr15
                                        ; implicit-def: $vgpr16_vgpr17
                                        ; implicit-def: $vgpr18_vgpr19
                                        ; implicit-def: $vgpr66
                                        ; implicit-def: $vgpr67
                                        ; implicit-def: $vgpr68
                                        ; implicit-def: $vgpr69
                                        ; implicit-def: $vgpr70
                                        ; implicit-def: $vgpr71
                                        ; implicit-def: $vgpr73
                                        ; implicit-def: $vgpr75
	s_waitcnt vmcnt(0)
	v_mad_u32_u24 v5, v40, v5, v41
	v_mad_u64_u32 v[20:21], s[36:37], v5, s36, v[2:3]
	v_lshrrev_b32_e32 v88, 6, v20
	s_branch .LBB322_74
.LBB322_73:                             ;   in Loop: Header=BB322_74 Depth=2
	s_or_b64 exec, exec, s[36:37]
	s_addk_i32 s78, 0xf800
	s_cmp_lt_u32 s79, s76
	s_mov_b32 s72, s79
	s_cbranch_scc0 .LBB322_186
.LBB322_74:                             ;   Parent Loop BB322_20 Depth=1
                                        ; =>  This Inner Loop Header: Depth=2
	s_add_i32 s79, s72, 0x800
	s_cmp_gt_u32 s79, s76
	s_cbranch_scc1 .LBB322_77
; %bb.75:                               ;   in Loop: Header=BB322_74 Depth=2
	v_add_co_u32_e32 v20, vcc, s72, v74
	v_addc_co_u32_e32 v21, vcc, 0, v76, vcc
	global_load_ubyte v23, v[20:21], off offset:384
	global_load_ubyte v91, v[20:21], off offset:320
	;; [unrolled: 1-line block ×6, first 2 shown]
	global_load_ubyte v5, v[20:21], off
	s_mov_b64 s[36:37], -1
	s_movk_i32 s40, 0x800
	s_cbranch_execz .LBB322_78
; %bb.76:                               ;   in Loop: Header=BB322_74 Depth=2
                                        ; implicit-def: $vgpr22
	v_mov_b32_e32 v89, s78
	s_and_saveexec_b64 s[38:39], s[36:37]
	s_cbranch_execnz .LBB322_87
	s_branch .LBB322_88
.LBB322_77:                             ;   in Loop: Header=BB322_74 Depth=2
	s_mov_b64 s[36:37], 0
                                        ; implicit-def: $sgpr40
                                        ; implicit-def: $vgpr5
                                        ; implicit-def: $vgpr94
                                        ; implicit-def: $vgpr99
                                        ; implicit-def: $vgpr101
                                        ; implicit-def: $vgpr96
                                        ; implicit-def: $vgpr91
                                        ; implicit-def: $vgpr23
.LBB322_78:                             ;   in Loop: Header=BB322_74 Depth=2
	v_add_co_u32_e32 v20, vcc, s72, v74
	v_addc_co_u32_e32 v21, vcc, 0, v76, vcc
	v_cmp_gt_u32_e32 vcc, s78, v72
	s_waitcnt vmcnt(0)
	v_mov_b32_e32 v5, 0x80
	v_mov_b32_e32 v22, 0x80
	v_mov_b32_e32 v94, 0x80
	v_mov_b32_e32 v99, 0x80
	v_mov_b32_e32 v101, 0x80
	v_mov_b32_e32 v96, 0x80
	v_mov_b32_e32 v91, 0x80
	v_mov_b32_e32 v23, 0x80
	s_and_saveexec_b64 s[36:37], vcc
	s_cbranch_execz .LBB322_180
; %bb.79:                               ;   in Loop: Header=BB322_74 Depth=2
	global_load_ubyte v5, v[20:21], off
	v_mov_b32_e32 v94, 0x80
	v_mov_b32_e32 v99, 0x80
	;; [unrolled: 1-line block ×7, first 2 shown]
	s_or_b64 exec, exec, s[36:37]
	v_cmp_gt_u32_e32 vcc, s78, v79
	s_and_saveexec_b64 s[36:37], vcc
	s_cbranch_execnz .LBB322_181
.LBB322_80:                             ;   in Loop: Header=BB322_74 Depth=2
	s_or_b64 exec, exec, s[36:37]
	v_cmp_gt_u32_e32 vcc, s78, v80
	s_and_saveexec_b64 s[36:37], vcc
	s_cbranch_execz .LBB322_182
.LBB322_81:                             ;   in Loop: Header=BB322_74 Depth=2
	global_load_ubyte v99, v[20:21], off offset:128
	s_or_b64 exec, exec, s[36:37]
	v_cmp_gt_u32_e32 vcc, s78, v81
	s_and_saveexec_b64 s[36:37], vcc
	s_cbranch_execnz .LBB322_183
.LBB322_82:                             ;   in Loop: Header=BB322_74 Depth=2
	s_or_b64 exec, exec, s[36:37]
	v_cmp_gt_u32_e32 vcc, s78, v82
	s_and_saveexec_b64 s[36:37], vcc
	s_cbranch_execz .LBB322_184
.LBB322_83:                             ;   in Loop: Header=BB322_74 Depth=2
	global_load_ubyte v96, v[20:21], off offset:256
	s_or_b64 exec, exec, s[36:37]
	v_cmp_gt_u32_e32 vcc, s78, v83
	s_and_saveexec_b64 s[36:37], vcc
	s_cbranch_execnz .LBB322_185
.LBB322_84:                             ;   in Loop: Header=BB322_74 Depth=2
	s_or_b64 exec, exec, s[36:37]
	v_cmp_gt_u32_e32 vcc, s78, v84
	s_and_saveexec_b64 s[36:37], vcc
	s_cbranch_execz .LBB322_86
.LBB322_85:                             ;   in Loop: Header=BB322_74 Depth=2
	global_load_ubyte v23, v[20:21], off offset:384
.LBB322_86:                             ;   in Loop: Header=BB322_74 Depth=2
	s_or_b64 exec, exec, s[36:37]
	s_sub_i32 s40, s76, s72
	v_cmp_gt_u32_e64 s[36:37], s78, v85
	v_mov_b32_e32 v89, s78
	s_and_saveexec_b64 s[38:39], s[36:37]
	s_cbranch_execz .LBB322_88
.LBB322_87:                             ;   in Loop: Header=BB322_74 Depth=2
	v_mov_b32_e32 v21, s73
	v_add_co_u32_e32 v20, vcc, s72, v86
	v_addc_co_u32_e32 v21, vcc, v87, v21, vcc
	global_load_ubyte v22, v[20:21], off
	v_mov_b32_e32 v89, s40
.LBB322_88:                             ;   in Loop: Header=BB322_74 Depth=2
	s_or_b64 exec, exec, s[38:39]
	s_waitcnt vmcnt(0)
	v_xor_b32_e32 v90, 0x7f, v5
	v_add_u32_e32 v5, 0x410, v42
	ds_write2_b32 v5, v4, v4 offset1:1
	ds_write2_b32 v44, v4, v4 offset0:2 offset1:3
	ds_write_b32 v44, v4 offset:16
	v_lshrrev_b32_sdwa v5, s68, v90 dst_sel:DWORD dst_unused:UNUSED_PAD src0_sel:DWORD src1_sel:BYTE_0
	v_and_b32_e32 v20, s77, v5
	v_mad_u32_u24 v5, v20, 5, v88
	v_lshl_add_u32 v92, v5, 2, v43
	v_and_b32_e32 v5, 1, v20
	v_add_co_u32_e32 v21, vcc, -1, v5
	v_addc_co_u32_e64 v93, s[36:37], 0, -1, vcc
	v_cmp_ne_u32_e32 vcc, 0, v5
	v_xor_b32_e32 v5, vcc_hi, v93
	v_and_b32_e32 v93, exec_hi, v5
	v_lshlrev_b32_e32 v5, 30, v20
	v_xor_b32_e32 v21, vcc_lo, v21
	v_cmp_gt_i64_e32 vcc, 0, v[4:5]
	v_not_b32_e32 v5, v5
	v_ashrrev_i32_e32 v5, 31, v5
	v_and_b32_e32 v21, exec_lo, v21
	v_xor_b32_e32 v95, vcc_hi, v5
	v_xor_b32_e32 v5, vcc_lo, v5
	v_and_b32_e32 v21, v21, v5
	v_lshlrev_b32_e32 v5, 29, v20
	v_cmp_gt_i64_e32 vcc, 0, v[4:5]
	v_not_b32_e32 v5, v5
	v_ashrrev_i32_e32 v5, 31, v5
	v_and_b32_e32 v93, v93, v95
	v_xor_b32_e32 v95, vcc_hi, v5
	v_xor_b32_e32 v5, vcc_lo, v5
	v_and_b32_e32 v21, v21, v5
	v_lshlrev_b32_e32 v5, 28, v20
	v_cmp_gt_i64_e32 vcc, 0, v[4:5]
	v_not_b32_e32 v5, v5
	v_ashrrev_i32_e32 v5, 31, v5
	v_and_b32_e32 v93, v93, v95
	;; [unrolled: 8-line block ×5, first 2 shown]
	v_xor_b32_e32 v95, vcc_hi, v5
	v_xor_b32_e32 v5, vcc_lo, v5
	v_and_b32_e32 v93, v93, v95
	v_and_b32_e32 v95, v21, v5
	v_lshlrev_b32_e32 v5, 24, v20
	v_cmp_gt_i64_e32 vcc, 0, v[4:5]
	v_not_b32_e32 v5, v5
	v_ashrrev_i32_e32 v5, 31, v5
	v_xor_b32_e32 v20, vcc_hi, v5
	v_xor_b32_e32 v5, vcc_lo, v5
	v_and_b32_e32 v21, v93, v20
	v_and_b32_e32 v20, v95, v5
	v_mbcnt_lo_u32_b32 v5, v20, 0
	v_mbcnt_hi_u32_b32 v93, v21, v5
	v_cmp_eq_u32_e32 vcc, 0, v93
	v_cmp_ne_u64_e64 s[36:37], 0, v[20:21]
	s_and_b64 s[38:39], s[36:37], vcc
	s_waitcnt lgkmcnt(0)
	s_barrier
	s_waitcnt lgkmcnt(0)
	; wave barrier
	s_and_saveexec_b64 s[36:37], s[38:39]
	s_cbranch_execz .LBB322_90
; %bb.89:                               ;   in Loop: Header=BB322_74 Depth=2
	v_bcnt_u32_b32 v5, v20, 0
	v_bcnt_u32_b32 v5, v21, v5
	ds_write_b32 v92, v5
.LBB322_90:                             ;   in Loop: Header=BB322_74 Depth=2
	s_or_b64 exec, exec, s[36:37]
	v_xor_b32_e32 v94, 0x7f, v94
	v_lshrrev_b32_sdwa v5, s68, v94 dst_sel:DWORD dst_unused:UNUSED_PAD src0_sel:DWORD src1_sel:BYTE_0
	v_and_b32_e32 v20, s77, v5
	v_mul_u32_u24_e32 v5, 5, v20
	v_add_lshl_u32 v5, v5, v88, 2
	; wave barrier
	v_add_u32_e32 v97, 0x410, v5
	ds_read_b32 v95, v5 offset:1040
	v_and_b32_e32 v5, 1, v20
	v_add_co_u32_e32 v21, vcc, -1, v5
	v_addc_co_u32_e64 v98, s[36:37], 0, -1, vcc
	v_cmp_ne_u32_e32 vcc, 0, v5
	v_xor_b32_e32 v5, vcc_hi, v98
	v_and_b32_e32 v98, exec_hi, v5
	v_lshlrev_b32_e32 v5, 30, v20
	v_xor_b32_e32 v21, vcc_lo, v21
	v_cmp_gt_i64_e32 vcc, 0, v[4:5]
	v_not_b32_e32 v5, v5
	v_ashrrev_i32_e32 v5, 31, v5
	v_and_b32_e32 v21, exec_lo, v21
	v_xor_b32_e32 v100, vcc_hi, v5
	v_xor_b32_e32 v5, vcc_lo, v5
	v_and_b32_e32 v21, v21, v5
	v_lshlrev_b32_e32 v5, 29, v20
	v_cmp_gt_i64_e32 vcc, 0, v[4:5]
	v_not_b32_e32 v5, v5
	v_ashrrev_i32_e32 v5, 31, v5
	v_and_b32_e32 v98, v98, v100
	v_xor_b32_e32 v100, vcc_hi, v5
	v_xor_b32_e32 v5, vcc_lo, v5
	v_and_b32_e32 v21, v21, v5
	v_lshlrev_b32_e32 v5, 28, v20
	v_cmp_gt_i64_e32 vcc, 0, v[4:5]
	v_not_b32_e32 v5, v5
	v_ashrrev_i32_e32 v5, 31, v5
	v_and_b32_e32 v98, v98, v100
	;; [unrolled: 8-line block ×5, first 2 shown]
	v_xor_b32_e32 v100, vcc_hi, v5
	v_xor_b32_e32 v5, vcc_lo, v5
	v_and_b32_e32 v98, v98, v100
	v_and_b32_e32 v100, v21, v5
	v_lshlrev_b32_e32 v5, 24, v20
	v_cmp_gt_i64_e32 vcc, 0, v[4:5]
	v_not_b32_e32 v5, v5
	v_ashrrev_i32_e32 v5, 31, v5
	v_xor_b32_e32 v20, vcc_hi, v5
	v_xor_b32_e32 v5, vcc_lo, v5
	v_and_b32_e32 v21, v98, v20
	v_and_b32_e32 v20, v100, v5
	v_mbcnt_lo_u32_b32 v5, v20, 0
	v_mbcnt_hi_u32_b32 v98, v21, v5
	v_cmp_eq_u32_e32 vcc, 0, v98
	v_cmp_ne_u64_e64 s[36:37], 0, v[20:21]
	s_and_b64 s[38:39], s[36:37], vcc
	; wave barrier
	s_and_saveexec_b64 s[36:37], s[38:39]
	s_cbranch_execz .LBB322_92
; %bb.91:                               ;   in Loop: Header=BB322_74 Depth=2
	v_bcnt_u32_b32 v5, v20, 0
	v_bcnt_u32_b32 v5, v21, v5
	s_waitcnt lgkmcnt(0)
	v_add_u32_e32 v5, v95, v5
	ds_write_b32 v97, v5
.LBB322_92:                             ;   in Loop: Header=BB322_74 Depth=2
	s_or_b64 exec, exec, s[36:37]
	v_xor_b32_e32 v99, 0x7f, v99
	v_lshrrev_b32_sdwa v5, s68, v99 dst_sel:DWORD dst_unused:UNUSED_PAD src0_sel:DWORD src1_sel:BYTE_0
	v_and_b32_e32 v20, s77, v5
	v_mul_u32_u24_e32 v5, 5, v20
	v_add_lshl_u32 v5, v5, v88, 2
	; wave barrier
	v_add_u32_e32 v102, 0x410, v5
	ds_read_b32 v100, v5 offset:1040
	v_and_b32_e32 v5, 1, v20
	v_add_co_u32_e32 v21, vcc, -1, v5
	v_addc_co_u32_e64 v103, s[36:37], 0, -1, vcc
	v_cmp_ne_u32_e32 vcc, 0, v5
	v_xor_b32_e32 v5, vcc_hi, v103
	v_and_b32_e32 v103, exec_hi, v5
	v_lshlrev_b32_e32 v5, 30, v20
	v_xor_b32_e32 v21, vcc_lo, v21
	v_cmp_gt_i64_e32 vcc, 0, v[4:5]
	v_not_b32_e32 v5, v5
	v_ashrrev_i32_e32 v5, 31, v5
	v_and_b32_e32 v21, exec_lo, v21
	v_xor_b32_e32 v104, vcc_hi, v5
	v_xor_b32_e32 v5, vcc_lo, v5
	v_and_b32_e32 v21, v21, v5
	v_lshlrev_b32_e32 v5, 29, v20
	v_cmp_gt_i64_e32 vcc, 0, v[4:5]
	v_not_b32_e32 v5, v5
	v_ashrrev_i32_e32 v5, 31, v5
	v_and_b32_e32 v103, v103, v104
	v_xor_b32_e32 v104, vcc_hi, v5
	v_xor_b32_e32 v5, vcc_lo, v5
	v_and_b32_e32 v21, v21, v5
	v_lshlrev_b32_e32 v5, 28, v20
	v_cmp_gt_i64_e32 vcc, 0, v[4:5]
	v_not_b32_e32 v5, v5
	v_ashrrev_i32_e32 v5, 31, v5
	v_and_b32_e32 v103, v103, v104
	;; [unrolled: 8-line block ×5, first 2 shown]
	v_xor_b32_e32 v104, vcc_hi, v5
	v_xor_b32_e32 v5, vcc_lo, v5
	v_and_b32_e32 v103, v103, v104
	v_and_b32_e32 v104, v21, v5
	v_lshlrev_b32_e32 v5, 24, v20
	v_cmp_gt_i64_e32 vcc, 0, v[4:5]
	v_not_b32_e32 v5, v5
	v_ashrrev_i32_e32 v5, 31, v5
	v_xor_b32_e32 v20, vcc_hi, v5
	v_xor_b32_e32 v5, vcc_lo, v5
	v_and_b32_e32 v21, v103, v20
	v_and_b32_e32 v20, v104, v5
	v_mbcnt_lo_u32_b32 v5, v20, 0
	v_mbcnt_hi_u32_b32 v103, v21, v5
	v_cmp_eq_u32_e32 vcc, 0, v103
	v_cmp_ne_u64_e64 s[36:37], 0, v[20:21]
	s_and_b64 s[38:39], s[36:37], vcc
	; wave barrier
	s_and_saveexec_b64 s[36:37], s[38:39]
	s_cbranch_execz .LBB322_94
; %bb.93:                               ;   in Loop: Header=BB322_74 Depth=2
	v_bcnt_u32_b32 v5, v20, 0
	v_bcnt_u32_b32 v5, v21, v5
	s_waitcnt lgkmcnt(0)
	v_add_u32_e32 v5, v100, v5
	ds_write_b32 v102, v5
.LBB322_94:                             ;   in Loop: Header=BB322_74 Depth=2
	s_or_b64 exec, exec, s[36:37]
	v_xor_b32_e32 v101, 0x7f, v101
	v_lshrrev_b32_sdwa v5, s68, v101 dst_sel:DWORD dst_unused:UNUSED_PAD src0_sel:DWORD src1_sel:BYTE_0
	v_and_b32_e32 v20, s77, v5
	v_mul_u32_u24_e32 v5, 5, v20
	v_add_lshl_u32 v5, v5, v88, 2
	; wave barrier
	v_add_u32_e32 v105, 0x410, v5
	ds_read_b32 v104, v5 offset:1040
	v_and_b32_e32 v5, 1, v20
	v_add_co_u32_e32 v21, vcc, -1, v5
	v_addc_co_u32_e64 v106, s[36:37], 0, -1, vcc
	v_cmp_ne_u32_e32 vcc, 0, v5
	v_xor_b32_e32 v5, vcc_hi, v106
	v_and_b32_e32 v106, exec_hi, v5
	v_lshlrev_b32_e32 v5, 30, v20
	v_xor_b32_e32 v21, vcc_lo, v21
	v_cmp_gt_i64_e32 vcc, 0, v[4:5]
	v_not_b32_e32 v5, v5
	v_ashrrev_i32_e32 v5, 31, v5
	v_and_b32_e32 v21, exec_lo, v21
	v_xor_b32_e32 v107, vcc_hi, v5
	v_xor_b32_e32 v5, vcc_lo, v5
	v_and_b32_e32 v21, v21, v5
	v_lshlrev_b32_e32 v5, 29, v20
	v_cmp_gt_i64_e32 vcc, 0, v[4:5]
	v_not_b32_e32 v5, v5
	v_ashrrev_i32_e32 v5, 31, v5
	v_and_b32_e32 v106, v106, v107
	v_xor_b32_e32 v107, vcc_hi, v5
	v_xor_b32_e32 v5, vcc_lo, v5
	v_and_b32_e32 v21, v21, v5
	v_lshlrev_b32_e32 v5, 28, v20
	v_cmp_gt_i64_e32 vcc, 0, v[4:5]
	v_not_b32_e32 v5, v5
	v_ashrrev_i32_e32 v5, 31, v5
	v_and_b32_e32 v106, v106, v107
	v_xor_b32_e32 v107, vcc_hi, v5
	v_xor_b32_e32 v5, vcc_lo, v5
	v_and_b32_e32 v21, v21, v5
	v_lshlrev_b32_e32 v5, 27, v20
	v_cmp_gt_i64_e32 vcc, 0, v[4:5]
	v_not_b32_e32 v5, v5
	v_ashrrev_i32_e32 v5, 31, v5
	v_and_b32_e32 v106, v106, v107
	v_xor_b32_e32 v107, vcc_hi, v5
	v_xor_b32_e32 v5, vcc_lo, v5
	v_and_b32_e32 v21, v21, v5
	v_lshlrev_b32_e32 v5, 26, v20
	v_cmp_gt_i64_e32 vcc, 0, v[4:5]
	v_not_b32_e32 v5, v5
	v_ashrrev_i32_e32 v5, 31, v5
	v_and_b32_e32 v106, v106, v107
	v_xor_b32_e32 v107, vcc_hi, v5
	v_xor_b32_e32 v5, vcc_lo, v5
	v_and_b32_e32 v21, v21, v5
	v_lshlrev_b32_e32 v5, 25, v20
	v_cmp_gt_i64_e32 vcc, 0, v[4:5]
	v_not_b32_e32 v5, v5
	v_ashrrev_i32_e32 v5, 31, v5
	v_and_b32_e32 v106, v106, v107
	v_xor_b32_e32 v107, vcc_hi, v5
	v_xor_b32_e32 v5, vcc_lo, v5
	v_and_b32_e32 v106, v106, v107
	v_and_b32_e32 v107, v21, v5
	v_lshlrev_b32_e32 v5, 24, v20
	v_cmp_gt_i64_e32 vcc, 0, v[4:5]
	v_not_b32_e32 v5, v5
	v_ashrrev_i32_e32 v5, 31, v5
	v_xor_b32_e32 v20, vcc_hi, v5
	v_xor_b32_e32 v5, vcc_lo, v5
	v_and_b32_e32 v21, v106, v20
	v_and_b32_e32 v20, v107, v5
	v_mbcnt_lo_u32_b32 v5, v20, 0
	v_mbcnt_hi_u32_b32 v106, v21, v5
	v_cmp_eq_u32_e32 vcc, 0, v106
	v_cmp_ne_u64_e64 s[36:37], 0, v[20:21]
	s_and_b64 s[38:39], s[36:37], vcc
	; wave barrier
	s_and_saveexec_b64 s[36:37], s[38:39]
	s_cbranch_execz .LBB322_96
; %bb.95:                               ;   in Loop: Header=BB322_74 Depth=2
	v_bcnt_u32_b32 v5, v20, 0
	v_bcnt_u32_b32 v5, v21, v5
	s_waitcnt lgkmcnt(0)
	v_add_u32_e32 v5, v104, v5
	ds_write_b32 v105, v5
.LBB322_96:                             ;   in Loop: Header=BB322_74 Depth=2
	s_or_b64 exec, exec, s[36:37]
	v_xor_b32_e32 v96, 0x7f, v96
	v_lshrrev_b32_sdwa v5, s68, v96 dst_sel:DWORD dst_unused:UNUSED_PAD src0_sel:DWORD src1_sel:BYTE_0
	v_and_b32_e32 v20, s77, v5
	v_mul_u32_u24_e32 v5, 5, v20
	v_add_lshl_u32 v5, v5, v88, 2
	; wave barrier
	v_add_u32_e32 v108, 0x410, v5
	ds_read_b32 v107, v5 offset:1040
	v_and_b32_e32 v5, 1, v20
	v_add_co_u32_e32 v21, vcc, -1, v5
	v_addc_co_u32_e64 v109, s[36:37], 0, -1, vcc
	v_cmp_ne_u32_e32 vcc, 0, v5
	v_xor_b32_e32 v5, vcc_hi, v109
	v_and_b32_e32 v109, exec_hi, v5
	v_lshlrev_b32_e32 v5, 30, v20
	v_xor_b32_e32 v21, vcc_lo, v21
	v_cmp_gt_i64_e32 vcc, 0, v[4:5]
	v_not_b32_e32 v5, v5
	v_ashrrev_i32_e32 v5, 31, v5
	v_and_b32_e32 v21, exec_lo, v21
	v_xor_b32_e32 v110, vcc_hi, v5
	v_xor_b32_e32 v5, vcc_lo, v5
	v_and_b32_e32 v21, v21, v5
	v_lshlrev_b32_e32 v5, 29, v20
	v_cmp_gt_i64_e32 vcc, 0, v[4:5]
	v_not_b32_e32 v5, v5
	v_ashrrev_i32_e32 v5, 31, v5
	v_and_b32_e32 v109, v109, v110
	v_xor_b32_e32 v110, vcc_hi, v5
	v_xor_b32_e32 v5, vcc_lo, v5
	v_and_b32_e32 v21, v21, v5
	v_lshlrev_b32_e32 v5, 28, v20
	v_cmp_gt_i64_e32 vcc, 0, v[4:5]
	v_not_b32_e32 v5, v5
	v_ashrrev_i32_e32 v5, 31, v5
	v_and_b32_e32 v109, v109, v110
	;; [unrolled: 8-line block ×5, first 2 shown]
	v_xor_b32_e32 v110, vcc_hi, v5
	v_xor_b32_e32 v5, vcc_lo, v5
	v_and_b32_e32 v109, v109, v110
	v_and_b32_e32 v110, v21, v5
	v_lshlrev_b32_e32 v5, 24, v20
	v_cmp_gt_i64_e32 vcc, 0, v[4:5]
	v_not_b32_e32 v5, v5
	v_ashrrev_i32_e32 v5, 31, v5
	v_xor_b32_e32 v20, vcc_hi, v5
	v_xor_b32_e32 v5, vcc_lo, v5
	v_and_b32_e32 v21, v109, v20
	v_and_b32_e32 v20, v110, v5
	v_mbcnt_lo_u32_b32 v5, v20, 0
	v_mbcnt_hi_u32_b32 v109, v21, v5
	v_cmp_eq_u32_e32 vcc, 0, v109
	v_cmp_ne_u64_e64 s[36:37], 0, v[20:21]
	s_and_b64 s[38:39], s[36:37], vcc
	; wave barrier
	s_and_saveexec_b64 s[36:37], s[38:39]
	s_cbranch_execz .LBB322_98
; %bb.97:                               ;   in Loop: Header=BB322_74 Depth=2
	v_bcnt_u32_b32 v5, v20, 0
	v_bcnt_u32_b32 v5, v21, v5
	s_waitcnt lgkmcnt(0)
	v_add_u32_e32 v5, v107, v5
	ds_write_b32 v108, v5
.LBB322_98:                             ;   in Loop: Header=BB322_74 Depth=2
	s_or_b64 exec, exec, s[36:37]
	v_xor_b32_e32 v91, 0x7f, v91
	v_lshrrev_b32_sdwa v5, s68, v91 dst_sel:DWORD dst_unused:UNUSED_PAD src0_sel:DWORD src1_sel:BYTE_0
	v_and_b32_e32 v20, s77, v5
	v_mul_u32_u24_e32 v5, 5, v20
	v_add_lshl_u32 v5, v5, v88, 2
	; wave barrier
	v_add_u32_e32 v111, 0x410, v5
	ds_read_b32 v110, v5 offset:1040
	v_and_b32_e32 v5, 1, v20
	v_add_co_u32_e32 v21, vcc, -1, v5
	v_addc_co_u32_e64 v112, s[36:37], 0, -1, vcc
	v_cmp_ne_u32_e32 vcc, 0, v5
	v_xor_b32_e32 v5, vcc_hi, v112
	v_and_b32_e32 v112, exec_hi, v5
	v_lshlrev_b32_e32 v5, 30, v20
	v_xor_b32_e32 v21, vcc_lo, v21
	v_cmp_gt_i64_e32 vcc, 0, v[4:5]
	v_not_b32_e32 v5, v5
	v_ashrrev_i32_e32 v5, 31, v5
	v_and_b32_e32 v21, exec_lo, v21
	v_xor_b32_e32 v113, vcc_hi, v5
	v_xor_b32_e32 v5, vcc_lo, v5
	v_and_b32_e32 v21, v21, v5
	v_lshlrev_b32_e32 v5, 29, v20
	v_cmp_gt_i64_e32 vcc, 0, v[4:5]
	v_not_b32_e32 v5, v5
	v_ashrrev_i32_e32 v5, 31, v5
	v_and_b32_e32 v112, v112, v113
	v_xor_b32_e32 v113, vcc_hi, v5
	v_xor_b32_e32 v5, vcc_lo, v5
	v_and_b32_e32 v21, v21, v5
	v_lshlrev_b32_e32 v5, 28, v20
	v_cmp_gt_i64_e32 vcc, 0, v[4:5]
	v_not_b32_e32 v5, v5
	v_ashrrev_i32_e32 v5, 31, v5
	v_and_b32_e32 v112, v112, v113
	;; [unrolled: 8-line block ×5, first 2 shown]
	v_xor_b32_e32 v113, vcc_hi, v5
	v_xor_b32_e32 v5, vcc_lo, v5
	v_and_b32_e32 v112, v112, v113
	v_and_b32_e32 v113, v21, v5
	v_lshlrev_b32_e32 v5, 24, v20
	v_cmp_gt_i64_e32 vcc, 0, v[4:5]
	v_not_b32_e32 v5, v5
	v_ashrrev_i32_e32 v5, 31, v5
	v_xor_b32_e32 v20, vcc_hi, v5
	v_xor_b32_e32 v5, vcc_lo, v5
	v_and_b32_e32 v21, v112, v20
	v_and_b32_e32 v20, v113, v5
	v_mbcnt_lo_u32_b32 v5, v20, 0
	v_mbcnt_hi_u32_b32 v112, v21, v5
	v_cmp_eq_u32_e32 vcc, 0, v112
	v_cmp_ne_u64_e64 s[36:37], 0, v[20:21]
	s_and_b64 s[38:39], s[36:37], vcc
	; wave barrier
	s_and_saveexec_b64 s[36:37], s[38:39]
	s_cbranch_execz .LBB322_100
; %bb.99:                               ;   in Loop: Header=BB322_74 Depth=2
	v_bcnt_u32_b32 v5, v20, 0
	v_bcnt_u32_b32 v5, v21, v5
	s_waitcnt lgkmcnt(0)
	v_add_u32_e32 v5, v110, v5
	ds_write_b32 v111, v5
.LBB322_100:                            ;   in Loop: Header=BB322_74 Depth=2
	s_or_b64 exec, exec, s[36:37]
	v_xor_b32_e32 v113, 0x7f, v23
	v_lshrrev_b32_sdwa v5, s68, v113 dst_sel:DWORD dst_unused:UNUSED_PAD src0_sel:DWORD src1_sel:BYTE_0
	v_and_b32_e32 v20, s77, v5
	v_mul_u32_u24_e32 v5, 5, v20
	v_add_lshl_u32 v5, v5, v88, 2
	; wave barrier
	v_add_u32_e32 v115, 0x410, v5
	ds_read_b32 v114, v5 offset:1040
	v_and_b32_e32 v5, 1, v20
	v_add_co_u32_e32 v21, vcc, -1, v5
	v_addc_co_u32_e64 v23, s[36:37], 0, -1, vcc
	v_cmp_ne_u32_e32 vcc, 0, v5
	v_xor_b32_e32 v5, vcc_hi, v23
	v_and_b32_e32 v23, exec_hi, v5
	v_lshlrev_b32_e32 v5, 30, v20
	v_xor_b32_e32 v21, vcc_lo, v21
	v_cmp_gt_i64_e32 vcc, 0, v[4:5]
	v_not_b32_e32 v5, v5
	v_ashrrev_i32_e32 v5, 31, v5
	v_and_b32_e32 v21, exec_lo, v21
	v_xor_b32_e32 v116, vcc_hi, v5
	v_xor_b32_e32 v5, vcc_lo, v5
	v_and_b32_e32 v21, v21, v5
	v_lshlrev_b32_e32 v5, 29, v20
	v_cmp_gt_i64_e32 vcc, 0, v[4:5]
	v_not_b32_e32 v5, v5
	v_ashrrev_i32_e32 v5, 31, v5
	v_and_b32_e32 v23, v23, v116
	v_xor_b32_e32 v116, vcc_hi, v5
	v_xor_b32_e32 v5, vcc_lo, v5
	v_and_b32_e32 v21, v21, v5
	v_lshlrev_b32_e32 v5, 28, v20
	v_cmp_gt_i64_e32 vcc, 0, v[4:5]
	v_not_b32_e32 v5, v5
	v_ashrrev_i32_e32 v5, 31, v5
	v_and_b32_e32 v23, v23, v116
	;; [unrolled: 8-line block ×5, first 2 shown]
	v_xor_b32_e32 v116, vcc_hi, v5
	v_xor_b32_e32 v5, vcc_lo, v5
	v_and_b32_e32 v23, v23, v116
	v_and_b32_e32 v116, v21, v5
	v_lshlrev_b32_e32 v5, 24, v20
	v_cmp_gt_i64_e32 vcc, 0, v[4:5]
	v_not_b32_e32 v5, v5
	v_ashrrev_i32_e32 v5, 31, v5
	v_xor_b32_e32 v20, vcc_hi, v5
	v_xor_b32_e32 v5, vcc_lo, v5
	v_and_b32_e32 v21, v23, v20
	v_and_b32_e32 v20, v116, v5
	v_mbcnt_lo_u32_b32 v5, v20, 0
	v_mbcnt_hi_u32_b32 v116, v21, v5
	v_cmp_eq_u32_e32 vcc, 0, v116
	v_cmp_ne_u64_e64 s[36:37], 0, v[20:21]
	s_and_b64 s[38:39], s[36:37], vcc
	; wave barrier
	s_and_saveexec_b64 s[36:37], s[38:39]
	s_cbranch_execz .LBB322_102
; %bb.101:                              ;   in Loop: Header=BB322_74 Depth=2
	v_bcnt_u32_b32 v5, v20, 0
	v_bcnt_u32_b32 v5, v21, v5
	s_waitcnt lgkmcnt(0)
	v_add_u32_e32 v5, v114, v5
	ds_write_b32 v115, v5
.LBB322_102:                            ;   in Loop: Header=BB322_74 Depth=2
	s_or_b64 exec, exec, s[36:37]
	v_xor_b32_e32 v117, 0x7f, v22
	v_lshrrev_b32_sdwa v5, s68, v117 dst_sel:DWORD dst_unused:UNUSED_PAD src0_sel:DWORD src1_sel:BYTE_0
	v_and_b32_e32 v20, s77, v5
	v_mul_u32_u24_e32 v5, 5, v20
	v_add_lshl_u32 v5, v5, v88, 2
	; wave barrier
	v_add_u32_e32 v119, 0x410, v5
	ds_read_b32 v118, v5 offset:1040
	v_and_b32_e32 v5, 1, v20
	v_add_co_u32_e32 v21, vcc, -1, v5
	v_addc_co_u32_e64 v22, s[36:37], 0, -1, vcc
	v_cmp_ne_u32_e32 vcc, 0, v5
	v_xor_b32_e32 v5, vcc_hi, v22
	v_and_b32_e32 v22, exec_hi, v5
	v_lshlrev_b32_e32 v5, 30, v20
	v_xor_b32_e32 v21, vcc_lo, v21
	v_cmp_gt_i64_e32 vcc, 0, v[4:5]
	v_not_b32_e32 v5, v5
	v_ashrrev_i32_e32 v5, 31, v5
	v_and_b32_e32 v21, exec_lo, v21
	v_xor_b32_e32 v23, vcc_hi, v5
	v_xor_b32_e32 v5, vcc_lo, v5
	v_and_b32_e32 v21, v21, v5
	v_lshlrev_b32_e32 v5, 29, v20
	v_cmp_gt_i64_e32 vcc, 0, v[4:5]
	v_not_b32_e32 v5, v5
	v_ashrrev_i32_e32 v5, 31, v5
	v_and_b32_e32 v22, v22, v23
	v_xor_b32_e32 v23, vcc_hi, v5
	v_xor_b32_e32 v5, vcc_lo, v5
	v_and_b32_e32 v21, v21, v5
	v_lshlrev_b32_e32 v5, 28, v20
	v_cmp_gt_i64_e32 vcc, 0, v[4:5]
	v_not_b32_e32 v5, v5
	v_ashrrev_i32_e32 v5, 31, v5
	v_and_b32_e32 v22, v22, v23
	;; [unrolled: 8-line block ×5, first 2 shown]
	v_xor_b32_e32 v23, vcc_hi, v5
	v_xor_b32_e32 v5, vcc_lo, v5
	v_and_b32_e32 v22, v22, v23
	v_and_b32_e32 v23, v21, v5
	v_lshlrev_b32_e32 v5, 24, v20
	v_cmp_gt_i64_e32 vcc, 0, v[4:5]
	v_not_b32_e32 v5, v5
	v_ashrrev_i32_e32 v5, 31, v5
	v_xor_b32_e32 v20, vcc_hi, v5
	v_xor_b32_e32 v5, vcc_lo, v5
	v_and_b32_e32 v21, v22, v20
	v_and_b32_e32 v20, v23, v5
	v_mbcnt_lo_u32_b32 v5, v20, 0
	v_mbcnt_hi_u32_b32 v120, v21, v5
	v_cmp_eq_u32_e32 vcc, 0, v120
	v_cmp_ne_u64_e64 s[36:37], 0, v[20:21]
	s_and_b64 s[38:39], s[36:37], vcc
	; wave barrier
	s_and_saveexec_b64 s[36:37], s[38:39]
	s_cbranch_execz .LBB322_104
; %bb.103:                              ;   in Loop: Header=BB322_74 Depth=2
	v_bcnt_u32_b32 v5, v20, 0
	v_bcnt_u32_b32 v5, v21, v5
	s_waitcnt lgkmcnt(0)
	v_add_u32_e32 v5, v118, v5
	ds_write_b32 v119, v5
.LBB322_104:                            ;   in Loop: Header=BB322_74 Depth=2
	s_or_b64 exec, exec, s[36:37]
	; wave barrier
	s_waitcnt lgkmcnt(0)
	s_barrier
	ds_read_b32 v5, v42 offset:1040
	ds_read2_b32 v[22:23], v44 offset0:1 offset1:2
	ds_read2_b32 v[20:21], v44 offset0:3 offset1:4
	s_waitcnt lgkmcnt(1)
	v_add3_u32 v121, v22, v5, v23
	s_waitcnt lgkmcnt(0)
	v_add3_u32 v21, v121, v20, v21
	s_nop 1
	v_mov_b32_dpp v121, v21 row_shr:1 row_mask:0xf bank_mask:0xf
	v_cndmask_b32_e64 v121, v121, 0, s[16:17]
	v_add_u32_e32 v21, v121, v21
	s_nop 1
	v_mov_b32_dpp v121, v21 row_shr:2 row_mask:0xf bank_mask:0xf
	v_cndmask_b32_e64 v121, 0, v121, s[18:19]
	v_add_u32_e32 v21, v21, v121
	;; [unrolled: 4-line block ×4, first 2 shown]
	s_nop 1
	v_mov_b32_dpp v121, v21 row_bcast:15 row_mask:0xf bank_mask:0xf
	v_cndmask_b32_e64 v121, v121, 0, s[24:25]
	v_add_u32_e32 v21, v21, v121
	s_nop 1
	v_mov_b32_dpp v121, v21 row_bcast:31 row_mask:0xf bank_mask:0xf
	v_cndmask_b32_e64 v121, 0, v121, s[26:27]
	v_add_u32_e32 v21, v21, v121
	s_and_saveexec_b64 s[36:37], s[6:7]
	s_cbranch_execz .LBB322_106
; %bb.105:                              ;   in Loop: Header=BB322_74 Depth=2
	ds_write_b32 v35, v21 offset:1024
.LBB322_106:                            ;   in Loop: Header=BB322_74 Depth=2
	s_or_b64 exec, exec, s[36:37]
	s_waitcnt lgkmcnt(0)
	s_barrier
	s_and_saveexec_b64 s[36:37], s[8:9]
	s_cbranch_execz .LBB322_108
; %bb.107:                              ;   in Loop: Header=BB322_74 Depth=2
	v_add_u32_e32 v121, v42, v45
	ds_read_b32 v122, v121 offset:1024
	s_waitcnt lgkmcnt(0)
	s_nop 0
	v_mov_b32_dpp v123, v122 row_shr:1 row_mask:0xf bank_mask:0xf
	v_cndmask_b32_e64 v123, v123, 0, s[30:31]
	v_add_u32_e32 v122, v123, v122
	s_nop 1
	v_mov_b32_dpp v123, v122 row_shr:2 row_mask:0xf bank_mask:0xf
	v_cndmask_b32_e64 v123, 0, v123, s[34:35]
	v_add_u32_e32 v122, v122, v123
	ds_write_b32 v121, v122 offset:1024
.LBB322_108:                            ;   in Loop: Header=BB322_74 Depth=2
	s_or_b64 exec, exec, s[36:37]
	v_mov_b32_e32 v121, 0
	s_waitcnt lgkmcnt(0)
	s_barrier
	s_and_saveexec_b64 s[36:37], s[10:11]
	s_cbranch_execz .LBB322_110
; %bb.109:                              ;   in Loop: Header=BB322_74 Depth=2
	ds_read_b32 v121, v35 offset:1020
.LBB322_110:                            ;   in Loop: Header=BB322_74 Depth=2
	s_or_b64 exec, exec, s[36:37]
	s_waitcnt lgkmcnt(0)
	v_add_u32_e32 v21, v121, v21
	ds_bpermute_b32 v21, v65, v21
	s_waitcnt lgkmcnt(0)
	v_cndmask_b32_e64 v21, v21, v121, s[28:29]
	v_cndmask_b32_e64 v21, v21, 0, s[12:13]
	v_add_u32_e32 v5, v21, v5
	ds_write_b32 v42, v21 offset:1040
	v_add_u32_e32 v21, v5, v22
	v_add_u32_e32 v22, v21, v23
	ds_write2_b32 v44, v5, v21 offset0:1 offset1:2
	v_add_u32_e32 v5, v22, v20
	ds_write2_b32 v44, v22, v5 offset0:3 offset1:4
	s_waitcnt lgkmcnt(0)
	s_barrier
	ds_read_b32 v20, v97
	ds_read_b32 v21, v102
	;; [unrolled: 1-line block ×8, first 2 shown]
	ds_read_b32 v97, v42 offset:1040
	v_mov_b32_e32 v5, 0x800
	s_and_saveexec_b64 s[36:37], s[14:15]
	s_cbranch_execz .LBB322_112
; %bb.111:                              ;   in Loop: Header=BB322_74 Depth=2
	ds_read_b32 v5, v42 offset:1060
.LBB322_112:                            ;   in Loop: Header=BB322_74 Depth=2
	s_or_b64 exec, exec, s[36:37]
	s_waitcnt lgkmcnt(0)
	s_barrier
	s_and_saveexec_b64 s[36:37], s[4:5]
	s_cbranch_execz .LBB322_114
; %bb.113:                              ;   in Loop: Header=BB322_74 Depth=2
	ds_read_b32 v102, v3
	s_waitcnt lgkmcnt(0)
	v_sub_u32_e32 v97, v102, v97
	ds_write_b32 v3, v97
.LBB322_114:                            ;   in Loop: Header=BB322_74 Depth=2
	s_or_b64 exec, exec, s[36:37]
	v_add_u32_e32 v102, v92, v93
	v_add3_u32 v98, v98, v95, v20
	v_add3_u32 v97, v103, v100, v21
	;; [unrolled: 1-line block ×7, first 2 shown]
	v_cmp_lt_u32_e64 s[48:49], v2, v89
	ds_write_b8 v102, v90 offset:1024
	ds_write_b8 v98, v94 offset:1024
	;; [unrolled: 1-line block ×8, first 2 shown]
	s_waitcnt lgkmcnt(0)
	s_barrier
	s_and_saveexec_b64 s[36:37], s[48:49]
	s_cbranch_execz .LBB322_122
; %bb.115:                              ;   in Loop: Header=BB322_74 Depth=2
	ds_read_u8 v20, v2 offset:1024
	s_waitcnt lgkmcnt(0)
	v_lshrrev_b32_sdwa v21, s68, v20 dst_sel:DWORD dst_unused:UNUSED_PAD src0_sel:DWORD src1_sel:BYTE_0
	v_and_b32_e32 v21, s77, v21
	v_lshlrev_b32_e32 v21, 2, v21
	ds_read_b32 v21, v21
	v_xor_b32_e32 v20, 0x7f, v20
	s_waitcnt lgkmcnt(0)
	v_add_u32_e32 v21, v21, v2
	global_store_byte v21, v20, s[58:59]
	s_or_b64 exec, exec, s[36:37]
	v_cmp_lt_u32_e64 s[46:47], v24, v89
	s_and_saveexec_b64 s[36:37], s[46:47]
	s_cbranch_execnz .LBB322_123
.LBB322_116:                            ;   in Loop: Header=BB322_74 Depth=2
	s_or_b64 exec, exec, s[36:37]
	v_cmp_lt_u32_e64 s[44:45], v25, v89
	s_and_saveexec_b64 s[36:37], s[44:45]
	s_cbranch_execz .LBB322_124
.LBB322_117:                            ;   in Loop: Header=BB322_74 Depth=2
	ds_read_u8 v20, v30 offset:512
	s_waitcnt lgkmcnt(0)
	v_lshrrev_b32_sdwa v21, s68, v20 dst_sel:DWORD dst_unused:UNUSED_PAD src0_sel:DWORD src1_sel:BYTE_0
	v_and_b32_e32 v21, s77, v21
	v_lshlrev_b32_e32 v21, 2, v21
	ds_read_b32 v21, v21
	v_xor_b32_e32 v20, 0x7f, v20
	s_waitcnt lgkmcnt(0)
	v_add_u32_e32 v21, v21, v25
	global_store_byte v21, v20, s[58:59]
	s_or_b64 exec, exec, s[36:37]
	v_cmp_lt_u32_e64 s[42:43], v26, v89
	s_and_saveexec_b64 s[36:37], s[42:43]
	s_cbranch_execnz .LBB322_125
.LBB322_118:                            ;   in Loop: Header=BB322_74 Depth=2
	s_or_b64 exec, exec, s[36:37]
	v_cmp_lt_u32_e64 s[40:41], v30, v89
	s_and_saveexec_b64 s[36:37], s[40:41]
	s_cbranch_execz .LBB322_126
.LBB322_119:                            ;   in Loop: Header=BB322_74 Depth=2
	ds_read_u8 v20, v30 offset:1024
	s_waitcnt lgkmcnt(0)
	v_lshrrev_b32_sdwa v21, s68, v20 dst_sel:DWORD dst_unused:UNUSED_PAD src0_sel:DWORD src1_sel:BYTE_0
	v_and_b32_e32 v21, s77, v21
	v_lshlrev_b32_e32 v21, 2, v21
	ds_read_b32 v21, v21
	v_xor_b32_e32 v20, 0x7f, v20
	s_waitcnt lgkmcnt(0)
	v_add_u32_e32 v21, v21, v30
	global_store_byte v21, v20, s[58:59]
	s_or_b64 exec, exec, s[36:37]
	v_cmp_lt_u32_e64 s[38:39], v31, v89
	s_and_saveexec_b64 s[36:37], s[38:39]
	s_cbranch_execnz .LBB322_127
.LBB322_120:                            ;   in Loop: Header=BB322_74 Depth=2
	s_or_b64 exec, exec, s[36:37]
	v_cmp_lt_u32_e64 s[36:37], v32, v89
	s_and_saveexec_b64 s[52:53], s[36:37]
	s_cbranch_execz .LBB322_128
.LBB322_121:                            ;   in Loop: Header=BB322_74 Depth=2
	ds_read_u8 v20, v30 offset:1536
	s_waitcnt lgkmcnt(0)
	v_lshrrev_b32_sdwa v21, s68, v20 dst_sel:DWORD dst_unused:UNUSED_PAD src0_sel:DWORD src1_sel:BYTE_0
	v_and_b32_e32 v21, s77, v21
	v_lshlrev_b32_e32 v21, 2, v21
	ds_read_b32 v21, v21
	v_xor_b32_e32 v20, 0x7f, v20
	s_waitcnt lgkmcnt(0)
	v_add_u32_e32 v21, v21, v32
	global_store_byte v21, v20, s[58:59]
	s_or_b64 exec, exec, s[52:53]
	v_cmp_lt_u32_e32 vcc, v33, v89
	s_and_saveexec_b64 s[52:53], vcc
	s_cbranch_execnz .LBB322_129
	s_branch .LBB322_130
.LBB322_122:                            ;   in Loop: Header=BB322_74 Depth=2
	s_or_b64 exec, exec, s[36:37]
	v_cmp_lt_u32_e64 s[46:47], v24, v89
	s_and_saveexec_b64 s[36:37], s[46:47]
	s_cbranch_execz .LBB322_116
.LBB322_123:                            ;   in Loop: Header=BB322_74 Depth=2
	ds_read_u8 v20, v30 offset:256
	s_waitcnt lgkmcnt(0)
	v_lshrrev_b32_sdwa v21, s68, v20 dst_sel:DWORD dst_unused:UNUSED_PAD src0_sel:DWORD src1_sel:BYTE_0
	v_and_b32_e32 v21, s77, v21
	v_lshlrev_b32_e32 v21, 2, v21
	ds_read_b32 v21, v21
	v_xor_b32_e32 v20, 0x7f, v20
	s_waitcnt lgkmcnt(0)
	v_add_u32_e32 v21, v21, v24
	global_store_byte v21, v20, s[58:59]
	s_or_b64 exec, exec, s[36:37]
	v_cmp_lt_u32_e64 s[44:45], v25, v89
	s_and_saveexec_b64 s[36:37], s[44:45]
	s_cbranch_execnz .LBB322_117
.LBB322_124:                            ;   in Loop: Header=BB322_74 Depth=2
	s_or_b64 exec, exec, s[36:37]
	v_cmp_lt_u32_e64 s[42:43], v26, v89
	s_and_saveexec_b64 s[36:37], s[42:43]
	s_cbranch_execz .LBB322_118
.LBB322_125:                            ;   in Loop: Header=BB322_74 Depth=2
	ds_read_u8 v20, v30 offset:768
	s_waitcnt lgkmcnt(0)
	v_lshrrev_b32_sdwa v21, s68, v20 dst_sel:DWORD dst_unused:UNUSED_PAD src0_sel:DWORD src1_sel:BYTE_0
	v_and_b32_e32 v21, s77, v21
	v_lshlrev_b32_e32 v21, 2, v21
	ds_read_b32 v21, v21
	v_xor_b32_e32 v20, 0x7f, v20
	s_waitcnt lgkmcnt(0)
	v_add_u32_e32 v21, v21, v26
	global_store_byte v21, v20, s[58:59]
	s_or_b64 exec, exec, s[36:37]
	v_cmp_lt_u32_e64 s[40:41], v30, v89
	s_and_saveexec_b64 s[36:37], s[40:41]
	s_cbranch_execnz .LBB322_119
.LBB322_126:                            ;   in Loop: Header=BB322_74 Depth=2
	s_or_b64 exec, exec, s[36:37]
	v_cmp_lt_u32_e64 s[38:39], v31, v89
	s_and_saveexec_b64 s[36:37], s[38:39]
	s_cbranch_execz .LBB322_120
.LBB322_127:                            ;   in Loop: Header=BB322_74 Depth=2
	ds_read_u8 v20, v30 offset:1280
	s_waitcnt lgkmcnt(0)
	v_lshrrev_b32_sdwa v21, s68, v20 dst_sel:DWORD dst_unused:UNUSED_PAD src0_sel:DWORD src1_sel:BYTE_0
	v_and_b32_e32 v21, s77, v21
	v_lshlrev_b32_e32 v21, 2, v21
	ds_read_b32 v21, v21
	v_xor_b32_e32 v20, 0x7f, v20
	s_waitcnt lgkmcnt(0)
	v_add_u32_e32 v21, v21, v31
	global_store_byte v21, v20, s[58:59]
	s_or_b64 exec, exec, s[36:37]
	v_cmp_lt_u32_e64 s[36:37], v32, v89
	s_and_saveexec_b64 s[52:53], s[36:37]
	s_cbranch_execnz .LBB322_121
.LBB322_128:                            ;   in Loop: Header=BB322_74 Depth=2
	s_or_b64 exec, exec, s[52:53]
	v_cmp_lt_u32_e32 vcc, v33, v89
	s_and_saveexec_b64 s[52:53], vcc
	s_cbranch_execz .LBB322_130
.LBB322_129:                            ;   in Loop: Header=BB322_74 Depth=2
	ds_read_u8 v20, v30 offset:1792
	s_waitcnt lgkmcnt(0)
	v_lshrrev_b32_sdwa v21, s68, v20 dst_sel:DWORD dst_unused:UNUSED_PAD src0_sel:DWORD src1_sel:BYTE_0
	v_and_b32_e32 v21, s77, v21
	v_lshlrev_b32_e32 v21, 2, v21
	ds_read_b32 v21, v21
	v_xor_b32_e32 v20, 0x7f, v20
	s_waitcnt lgkmcnt(0)
	v_add_u32_e32 v21, v21, v33
	global_store_byte v21, v20, s[58:59]
.LBB322_130:                            ;   in Loop: Header=BB322_74 Depth=2
	s_or_b64 exec, exec, s[52:53]
	s_lshl_b64 s[52:53], s[72:73], 3
	v_mov_b32_e32 v21, s53
	v_add_co_u32_e64 v20, s[52:53], s52, v77
	v_addc_co_u32_e64 v21, s[52:53], v78, v21, s[52:53]
	v_cmp_lt_u32_e64 s[52:53], v72, v89
	s_and_saveexec_b64 s[62:63], s[52:53]
	s_xor_b64 s[52:53], exec, s[62:63]
	s_cbranch_execz .LBB322_146
; %bb.131:                              ;   in Loop: Header=BB322_74 Depth=2
	global_load_dwordx2 v[18:19], v[20:21], off
	s_or_b64 exec, exec, s[52:53]
	v_cmp_lt_u32_e64 s[52:53], v79, v89
	s_and_saveexec_b64 s[62:63], s[52:53]
	s_cbranch_execnz .LBB322_147
.LBB322_132:                            ;   in Loop: Header=BB322_74 Depth=2
	s_or_b64 exec, exec, s[62:63]
	v_cmp_lt_u32_e64 s[52:53], v80, v89
	s_and_saveexec_b64 s[62:63], s[52:53]
	s_cbranch_execz .LBB322_148
.LBB322_133:                            ;   in Loop: Header=BB322_74 Depth=2
	global_load_dwordx2 v[14:15], v[20:21], off offset:1024
	s_or_b64 exec, exec, s[62:63]
	v_cmp_lt_u32_e64 s[52:53], v81, v89
	s_and_saveexec_b64 s[62:63], s[52:53]
	s_cbranch_execnz .LBB322_149
.LBB322_134:                            ;   in Loop: Header=BB322_74 Depth=2
	s_or_b64 exec, exec, s[62:63]
	v_cmp_lt_u32_e64 s[52:53], v82, v89
	s_and_saveexec_b64 s[62:63], s[52:53]
	s_cbranch_execz .LBB322_150
.LBB322_135:                            ;   in Loop: Header=BB322_74 Depth=2
	global_load_dwordx2 v[10:11], v[20:21], off offset:2048
	s_or_b64 exec, exec, s[62:63]
	v_cmp_lt_u32_e64 s[52:53], v83, v89
	s_and_saveexec_b64 s[62:63], s[52:53]
	s_cbranch_execnz .LBB322_151
.LBB322_136:                            ;   in Loop: Header=BB322_74 Depth=2
	s_or_b64 exec, exec, s[62:63]
	v_cmp_lt_u32_e64 s[52:53], v84, v89
	s_and_saveexec_b64 s[62:63], s[52:53]
	s_cbranch_execz .LBB322_152
.LBB322_137:                            ;   in Loop: Header=BB322_74 Depth=2
	global_load_dwordx2 v[6:7], v[20:21], off offset:3072
	s_or_b64 exec, exec, s[62:63]
	v_cmp_lt_u32_e64 s[52:53], v85, v89
	s_and_saveexec_b64 s[62:63], s[52:53]
	s_cbranch_execnz .LBB322_153
.LBB322_138:                            ;   in Loop: Header=BB322_74 Depth=2
	s_or_b64 exec, exec, s[62:63]
	s_and_saveexec_b64 s[52:53], s[48:49]
	s_cbranch_execz .LBB322_154
.LBB322_139:                            ;   in Loop: Header=BB322_74 Depth=2
	ds_read_u8 v20, v2 offset:1024
	s_waitcnt lgkmcnt(0)
	v_lshrrev_b32_e32 v20, s68, v20
	v_and_b32_e32 v75, s77, v20
	s_or_b64 exec, exec, s[52:53]
	s_and_saveexec_b64 s[52:53], s[46:47]
	s_cbranch_execnz .LBB322_155
.LBB322_140:                            ;   in Loop: Header=BB322_74 Depth=2
	s_or_b64 exec, exec, s[52:53]
	s_and_saveexec_b64 s[52:53], s[44:45]
	s_cbranch_execz .LBB322_156
.LBB322_141:                            ;   in Loop: Header=BB322_74 Depth=2
	ds_read_u8 v20, v30 offset:512
	s_waitcnt lgkmcnt(0)
	v_lshrrev_b32_e32 v20, s68, v20
	v_and_b32_e32 v71, s77, v20
	s_or_b64 exec, exec, s[52:53]
	s_and_saveexec_b64 s[52:53], s[42:43]
	s_cbranch_execnz .LBB322_157
.LBB322_142:                            ;   in Loop: Header=BB322_74 Depth=2
	s_or_b64 exec, exec, s[52:53]
	s_and_saveexec_b64 s[52:53], s[40:41]
	s_cbranch_execz .LBB322_158
.LBB322_143:                            ;   in Loop: Header=BB322_74 Depth=2
	ds_read_u8 v20, v30 offset:1024
	s_waitcnt lgkmcnt(0)
	v_lshrrev_b32_e32 v20, s68, v20
	v_and_b32_e32 v69, s77, v20
	s_or_b64 exec, exec, s[52:53]
	s_and_saveexec_b64 s[52:53], s[38:39]
	s_cbranch_execnz .LBB322_159
.LBB322_144:                            ;   in Loop: Header=BB322_74 Depth=2
	s_or_b64 exec, exec, s[52:53]
	s_and_saveexec_b64 s[52:53], s[36:37]
	s_cbranch_execz .LBB322_160
.LBB322_145:                            ;   in Loop: Header=BB322_74 Depth=2
	ds_read_u8 v20, v30 offset:1536
	s_waitcnt lgkmcnt(0)
	v_lshrrev_b32_e32 v20, s68, v20
	v_and_b32_e32 v67, s77, v20
	s_or_b64 exec, exec, s[52:53]
	s_and_saveexec_b64 s[52:53], vcc
	s_cbranch_execnz .LBB322_161
	s_branch .LBB322_162
.LBB322_146:                            ;   in Loop: Header=BB322_74 Depth=2
	s_or_b64 exec, exec, s[52:53]
	v_cmp_lt_u32_e64 s[52:53], v79, v89
	s_and_saveexec_b64 s[62:63], s[52:53]
	s_cbranch_execz .LBB322_132
.LBB322_147:                            ;   in Loop: Header=BB322_74 Depth=2
	global_load_dwordx2 v[16:17], v[20:21], off offset:512
	s_or_b64 exec, exec, s[62:63]
	v_cmp_lt_u32_e64 s[52:53], v80, v89
	s_and_saveexec_b64 s[62:63], s[52:53]
	s_cbranch_execnz .LBB322_133
.LBB322_148:                            ;   in Loop: Header=BB322_74 Depth=2
	s_or_b64 exec, exec, s[62:63]
	v_cmp_lt_u32_e64 s[52:53], v81, v89
	s_and_saveexec_b64 s[62:63], s[52:53]
	s_cbranch_execz .LBB322_134
.LBB322_149:                            ;   in Loop: Header=BB322_74 Depth=2
	global_load_dwordx2 v[12:13], v[20:21], off offset:1536
	s_or_b64 exec, exec, s[62:63]
	v_cmp_lt_u32_e64 s[52:53], v82, v89
	s_and_saveexec_b64 s[62:63], s[52:53]
	s_cbranch_execnz .LBB322_135
.LBB322_150:                            ;   in Loop: Header=BB322_74 Depth=2
	s_or_b64 exec, exec, s[62:63]
	v_cmp_lt_u32_e64 s[52:53], v83, v89
	s_and_saveexec_b64 s[62:63], s[52:53]
	s_cbranch_execz .LBB322_136
.LBB322_151:                            ;   in Loop: Header=BB322_74 Depth=2
	global_load_dwordx2 v[8:9], v[20:21], off offset:2560
	s_or_b64 exec, exec, s[62:63]
	v_cmp_lt_u32_e64 s[52:53], v84, v89
	s_and_saveexec_b64 s[62:63], s[52:53]
	s_cbranch_execnz .LBB322_137
.LBB322_152:                            ;   in Loop: Header=BB322_74 Depth=2
	s_or_b64 exec, exec, s[62:63]
	v_cmp_lt_u32_e64 s[52:53], v85, v89
	s_and_saveexec_b64 s[62:63], s[52:53]
	s_cbranch_execz .LBB322_138
.LBB322_153:                            ;   in Loop: Header=BB322_74 Depth=2
	global_load_dwordx2 v[0:1], v[20:21], off offset:3584
	s_or_b64 exec, exec, s[62:63]
	s_and_saveexec_b64 s[52:53], s[48:49]
	s_cbranch_execnz .LBB322_139
.LBB322_154:                            ;   in Loop: Header=BB322_74 Depth=2
	s_or_b64 exec, exec, s[52:53]
	s_and_saveexec_b64 s[52:53], s[46:47]
	s_cbranch_execz .LBB322_140
.LBB322_155:                            ;   in Loop: Header=BB322_74 Depth=2
	ds_read_u8 v20, v30 offset:256
	s_waitcnt lgkmcnt(0)
	v_lshrrev_b32_e32 v20, s68, v20
	v_and_b32_e32 v73, s77, v20
	s_or_b64 exec, exec, s[52:53]
	s_and_saveexec_b64 s[52:53], s[44:45]
	s_cbranch_execnz .LBB322_141
.LBB322_156:                            ;   in Loop: Header=BB322_74 Depth=2
	s_or_b64 exec, exec, s[52:53]
	s_and_saveexec_b64 s[52:53], s[42:43]
	s_cbranch_execz .LBB322_142
.LBB322_157:                            ;   in Loop: Header=BB322_74 Depth=2
	ds_read_u8 v20, v30 offset:768
	s_waitcnt lgkmcnt(0)
	v_lshrrev_b32_e32 v20, s68, v20
	v_and_b32_e32 v70, s77, v20
	s_or_b64 exec, exec, s[52:53]
	s_and_saveexec_b64 s[52:53], s[40:41]
	s_cbranch_execnz .LBB322_143
.LBB322_158:                            ;   in Loop: Header=BB322_74 Depth=2
	s_or_b64 exec, exec, s[52:53]
	s_and_saveexec_b64 s[52:53], s[38:39]
	s_cbranch_execz .LBB322_144
.LBB322_159:                            ;   in Loop: Header=BB322_74 Depth=2
	ds_read_u8 v20, v30 offset:1280
	s_waitcnt lgkmcnt(0)
	v_lshrrev_b32_e32 v20, s68, v20
	v_and_b32_e32 v68, s77, v20
	s_or_b64 exec, exec, s[52:53]
	s_and_saveexec_b64 s[52:53], s[36:37]
	s_cbranch_execnz .LBB322_145
.LBB322_160:                            ;   in Loop: Header=BB322_74 Depth=2
	s_or_b64 exec, exec, s[52:53]
	s_and_saveexec_b64 s[52:53], vcc
	s_cbranch_execz .LBB322_162
.LBB322_161:                            ;   in Loop: Header=BB322_74 Depth=2
	ds_read_u8 v20, v30 offset:1792
	s_waitcnt lgkmcnt(0)
	v_lshrrev_b32_e32 v20, s68, v20
	v_and_b32_e32 v66, s77, v20
.LBB322_162:                            ;   in Loop: Header=BB322_74 Depth=2
	s_or_b64 exec, exec, s[52:53]
	v_lshlrev_b32_e32 v20, 3, v102
	s_barrier
	s_waitcnt vmcnt(0)
	ds_write_b64 v20, v[18:19] offset:1024
	v_lshlrev_b32_e32 v20, 3, v98
	ds_write_b64 v20, v[16:17] offset:1024
	v_lshlrev_b32_e32 v20, 3, v97
	;; [unrolled: 2-line block ×7, first 2 shown]
	ds_write_b64 v20, v[0:1] offset:1024
	s_waitcnt lgkmcnt(0)
	s_barrier
	s_and_saveexec_b64 s[52:53], s[48:49]
	s_cbranch_execz .LBB322_170
; %bb.163:                              ;   in Loop: Header=BB322_74 Depth=2
	v_lshlrev_b32_e32 v20, 2, v75
	ds_read_b32 v22, v20
	v_add_u32_e32 v20, v2, v50
	ds_read_b64 v[20:21], v20 offset:1024
	v_mov_b32_e32 v23, v4
	v_mov_b32_e32 v89, s65
	s_waitcnt lgkmcnt(1)
	v_add_u32_e32 v22, v22, v2
	v_lshlrev_b64 v[22:23], 3, v[22:23]
	v_add_co_u32_e64 v22, s[48:49], s64, v22
	v_addc_co_u32_e64 v23, s[48:49], v89, v23, s[48:49]
	s_waitcnt lgkmcnt(0)
	global_store_dwordx2 v[22:23], v[20:21], off
	s_or_b64 exec, exec, s[52:53]
	s_and_saveexec_b64 s[48:49], s[46:47]
	s_cbranch_execnz .LBB322_171
.LBB322_164:                            ;   in Loop: Header=BB322_74 Depth=2
	s_or_b64 exec, exec, s[48:49]
	s_and_saveexec_b64 s[46:47], s[44:45]
	s_cbranch_execz .LBB322_172
.LBB322_165:                            ;   in Loop: Header=BB322_74 Depth=2
	v_lshlrev_b32_e32 v20, 2, v71
	ds_read_b32 v22, v20
	v_add_u32_e32 v20, v30, v50
	ds_read_b64 v[20:21], v20 offset:4096
	v_mov_b32_e32 v23, v4
	v_mov_b32_e32 v89, s65
	s_waitcnt lgkmcnt(1)
	v_add_u32_e32 v22, v22, v25
	v_lshlrev_b64 v[22:23], 3, v[22:23]
	v_add_co_u32_e64 v22, s[44:45], s64, v22
	v_addc_co_u32_e64 v23, s[44:45], v89, v23, s[44:45]
	s_waitcnt lgkmcnt(0)
	global_store_dwordx2 v[22:23], v[20:21], off
	s_or_b64 exec, exec, s[46:47]
	s_and_saveexec_b64 s[44:45], s[42:43]
	s_cbranch_execnz .LBB322_173
.LBB322_166:                            ;   in Loop: Header=BB322_74 Depth=2
	s_or_b64 exec, exec, s[44:45]
	s_and_saveexec_b64 s[42:43], s[40:41]
	s_cbranch_execz .LBB322_174
.LBB322_167:                            ;   in Loop: Header=BB322_74 Depth=2
	v_lshlrev_b32_e32 v20, 2, v69
	ds_read_b32 v22, v20
	v_add_u32_e32 v20, v30, v50
	ds_read_b64 v[20:21], v20 offset:8192
	v_mov_b32_e32 v23, v4
	v_mov_b32_e32 v89, s65
	s_waitcnt lgkmcnt(1)
	v_add_u32_e32 v22, v22, v30
	v_lshlrev_b64 v[22:23], 3, v[22:23]
	v_add_co_u32_e64 v22, s[40:41], s64, v22
	v_addc_co_u32_e64 v23, s[40:41], v89, v23, s[40:41]
	s_waitcnt lgkmcnt(0)
	global_store_dwordx2 v[22:23], v[20:21], off
	s_or_b64 exec, exec, s[42:43]
	s_and_saveexec_b64 s[40:41], s[38:39]
	s_cbranch_execnz .LBB322_175
.LBB322_168:                            ;   in Loop: Header=BB322_74 Depth=2
	s_or_b64 exec, exec, s[40:41]
	s_and_saveexec_b64 s[38:39], s[36:37]
	s_cbranch_execz .LBB322_176
.LBB322_169:                            ;   in Loop: Header=BB322_74 Depth=2
	v_lshlrev_b32_e32 v20, 2, v67
	ds_read_b32 v22, v20
	v_add_u32_e32 v20, v30, v50
	ds_read_b64 v[20:21], v20 offset:12288
	v_mov_b32_e32 v23, v4
	v_mov_b32_e32 v89, s65
	s_waitcnt lgkmcnt(1)
	v_add_u32_e32 v22, v22, v32
	v_lshlrev_b64 v[22:23], 3, v[22:23]
	v_add_co_u32_e64 v22, s[36:37], s64, v22
	v_addc_co_u32_e64 v23, s[36:37], v89, v23, s[36:37]
	s_waitcnt lgkmcnt(0)
	global_store_dwordx2 v[22:23], v[20:21], off
	s_or_b64 exec, exec, s[38:39]
	s_and_saveexec_b64 s[36:37], vcc
	s_cbranch_execnz .LBB322_177
	s_branch .LBB322_178
.LBB322_170:                            ;   in Loop: Header=BB322_74 Depth=2
	s_or_b64 exec, exec, s[52:53]
	s_and_saveexec_b64 s[48:49], s[46:47]
	s_cbranch_execz .LBB322_164
.LBB322_171:                            ;   in Loop: Header=BB322_74 Depth=2
	v_lshlrev_b32_e32 v20, 2, v73
	ds_read_b32 v22, v20
	v_add_u32_e32 v20, v30, v50
	ds_read_b64 v[20:21], v20 offset:2048
	v_mov_b32_e32 v23, v4
	v_mov_b32_e32 v89, s65
	s_waitcnt lgkmcnt(1)
	v_add_u32_e32 v22, v22, v24
	v_lshlrev_b64 v[22:23], 3, v[22:23]
	v_add_co_u32_e64 v22, s[46:47], s64, v22
	v_addc_co_u32_e64 v23, s[46:47], v89, v23, s[46:47]
	s_waitcnt lgkmcnt(0)
	global_store_dwordx2 v[22:23], v[20:21], off
	s_or_b64 exec, exec, s[48:49]
	s_and_saveexec_b64 s[46:47], s[44:45]
	s_cbranch_execnz .LBB322_165
.LBB322_172:                            ;   in Loop: Header=BB322_74 Depth=2
	s_or_b64 exec, exec, s[46:47]
	s_and_saveexec_b64 s[44:45], s[42:43]
	s_cbranch_execz .LBB322_166
.LBB322_173:                            ;   in Loop: Header=BB322_74 Depth=2
	v_lshlrev_b32_e32 v20, 2, v70
	ds_read_b32 v22, v20
	v_add_u32_e32 v20, v30, v50
	ds_read_b64 v[20:21], v20 offset:6144
	v_mov_b32_e32 v23, v4
	v_mov_b32_e32 v89, s65
	s_waitcnt lgkmcnt(1)
	v_add_u32_e32 v22, v22, v26
	v_lshlrev_b64 v[22:23], 3, v[22:23]
	v_add_co_u32_e64 v22, s[42:43], s64, v22
	v_addc_co_u32_e64 v23, s[42:43], v89, v23, s[42:43]
	s_waitcnt lgkmcnt(0)
	global_store_dwordx2 v[22:23], v[20:21], off
	s_or_b64 exec, exec, s[44:45]
	s_and_saveexec_b64 s[42:43], s[40:41]
	s_cbranch_execnz .LBB322_167
.LBB322_174:                            ;   in Loop: Header=BB322_74 Depth=2
	s_or_b64 exec, exec, s[42:43]
	s_and_saveexec_b64 s[40:41], s[38:39]
	s_cbranch_execz .LBB322_168
.LBB322_175:                            ;   in Loop: Header=BB322_74 Depth=2
	v_lshlrev_b32_e32 v20, 2, v68
	ds_read_b32 v22, v20
	v_add_u32_e32 v20, v30, v50
	ds_read_b64 v[20:21], v20 offset:10240
	v_mov_b32_e32 v23, v4
	v_mov_b32_e32 v89, s65
	s_waitcnt lgkmcnt(1)
	v_add_u32_e32 v22, v22, v31
	v_lshlrev_b64 v[22:23], 3, v[22:23]
	v_add_co_u32_e64 v22, s[38:39], s64, v22
	v_addc_co_u32_e64 v23, s[38:39], v89, v23, s[38:39]
	s_waitcnt lgkmcnt(0)
	global_store_dwordx2 v[22:23], v[20:21], off
	s_or_b64 exec, exec, s[40:41]
	s_and_saveexec_b64 s[38:39], s[36:37]
	s_cbranch_execnz .LBB322_169
.LBB322_176:                            ;   in Loop: Header=BB322_74 Depth=2
	s_or_b64 exec, exec, s[38:39]
	s_and_saveexec_b64 s[36:37], vcc
	s_cbranch_execz .LBB322_178
.LBB322_177:                            ;   in Loop: Header=BB322_74 Depth=2
	v_lshlrev_b32_e32 v20, 2, v66
	ds_read_b32 v22, v20
	v_add_u32_e32 v20, v30, v50
	ds_read_b64 v[20:21], v20 offset:14336
	v_mov_b32_e32 v23, v4
	v_mov_b32_e32 v89, s65
	s_waitcnt lgkmcnt(1)
	v_add_u32_e32 v22, v22, v33
	v_lshlrev_b64 v[22:23], 3, v[22:23]
	v_add_co_u32_e32 v22, vcc, s64, v22
	v_addc_co_u32_e32 v23, vcc, v89, v23, vcc
	s_waitcnt lgkmcnt(0)
	global_store_dwordx2 v[22:23], v[20:21], off
.LBB322_178:                            ;   in Loop: Header=BB322_74 Depth=2
	s_or_b64 exec, exec, s[36:37]
	s_barrier
	s_and_saveexec_b64 s[36:37], s[4:5]
	s_cbranch_execz .LBB322_73
; %bb.179:                              ;   in Loop: Header=BB322_74 Depth=2
	ds_read_b32 v20, v3
	s_waitcnt lgkmcnt(0)
	v_add_u32_e32 v5, v20, v5
	ds_write_b32 v3, v5
	s_branch .LBB322_73
.LBB322_180:                            ;   in Loop: Header=BB322_74 Depth=2
	s_or_b64 exec, exec, s[36:37]
	v_cmp_gt_u32_e32 vcc, s78, v79
	s_and_saveexec_b64 s[36:37], vcc
	s_cbranch_execz .LBB322_80
.LBB322_181:                            ;   in Loop: Header=BB322_74 Depth=2
	global_load_ubyte v94, v[20:21], off offset:64
	s_or_b64 exec, exec, s[36:37]
	v_cmp_gt_u32_e32 vcc, s78, v80
	s_and_saveexec_b64 s[36:37], vcc
	s_cbranch_execnz .LBB322_81
.LBB322_182:                            ;   in Loop: Header=BB322_74 Depth=2
	s_or_b64 exec, exec, s[36:37]
	v_cmp_gt_u32_e32 vcc, s78, v81
	s_and_saveexec_b64 s[36:37], vcc
	s_cbranch_execz .LBB322_82
.LBB322_183:                            ;   in Loop: Header=BB322_74 Depth=2
	global_load_ubyte v101, v[20:21], off offset:192
	s_or_b64 exec, exec, s[36:37]
	v_cmp_gt_u32_e32 vcc, s78, v82
	s_and_saveexec_b64 s[36:37], vcc
	s_cbranch_execnz .LBB322_83
.LBB322_184:                            ;   in Loop: Header=BB322_74 Depth=2
	s_or_b64 exec, exec, s[36:37]
	v_cmp_gt_u32_e32 vcc, s78, v83
	s_and_saveexec_b64 s[36:37], vcc
	s_cbranch_execz .LBB322_84
.LBB322_185:                            ;   in Loop: Header=BB322_74 Depth=2
	global_load_ubyte v91, v[20:21], off offset:320
	s_or_b64 exec, exec, s[36:37]
	v_cmp_gt_u32_e32 vcc, s78, v84
	s_and_saveexec_b64 s[36:37], vcc
	s_cbranch_execnz .LBB322_85
	s_branch .LBB322_86
.LBB322_186:                            ;   in Loop: Header=BB322_20 Depth=1
	s_waitcnt lgkmcnt(0)
	s_barrier
	s_mov_b64 s[16:17], 0
.LBB322_187:                            ;   in Loop: Header=BB322_20 Depth=1
	s_and_b64 vcc, exec, s[16:17]
	s_cbranch_vccz .LBB322_353
; %bb.188:                              ;   in Loop: Header=BB322_20 Depth=1
	s_mov_b32 s20, s71
	s_mov_b32 s22, s51
	s_barrier
	s_waitcnt lgkmcnt(0)
                                        ; implicit-def: $vgpr5
                                        ; implicit-def: $vgpr6
                                        ; implicit-def: $vgpr7
                                        ; implicit-def: $vgpr8
                                        ; implicit-def: $vgpr9
                                        ; implicit-def: $vgpr10
                                        ; implicit-def: $vgpr11
                                        ; implicit-def: $vgpr12
	s_branch .LBB322_190
.LBB322_189:                            ;   in Loop: Header=BB322_190 Depth=2
	s_or_b64 exec, exec, s[16:17]
	s_addk_i32 s20, 0xf800
	s_cmp_ge_u32 s21, s76
	s_mov_b32 s22, s21
	s_cbranch_scc1 .LBB322_228
.LBB322_190:                            ;   Parent Loop BB322_20 Depth=1
                                        ; =>  This Inner Loop Header: Depth=2
	s_add_i32 s21, s22, 0x800
	s_cmp_gt_u32 s21, s76
	s_cbranch_scc1 .LBB322_193
; %bb.191:                              ;   in Loop: Header=BB322_190 Depth=2
	v_add_co_u32_e32 v0, vcc, s22, v51
	v_addc_co_u32_e32 v1, vcc, 0, v52, vcc
	global_load_ubyte v20, v[0:1], off offset:1536
	global_load_ubyte v19, v[0:1], off offset:1280
	;; [unrolled: 1-line block ×6, first 2 shown]
	global_load_ubyte v14, v[0:1], off
	v_add_co_u32_e32 v0, vcc, 0x700, v0
	v_addc_co_u32_e32 v1, vcc, 0, v1, vcc
	s_mov_b64 s[16:17], -1
	s_movk_i32 s25, 0x800
	s_cbranch_execz .LBB322_194
; %bb.192:                              ;   in Loop: Header=BB322_190 Depth=2
                                        ; implicit-def: $vgpr5
                                        ; implicit-def: $vgpr6
                                        ; implicit-def: $vgpr7
                                        ; implicit-def: $vgpr8
                                        ; implicit-def: $vgpr9
                                        ; implicit-def: $vgpr10
                                        ; implicit-def: $vgpr11
                                        ; implicit-def: $vgpr12
	v_mov_b32_e32 v13, s20
	s_and_saveexec_b64 s[18:19], s[16:17]
	s_cbranch_execnz .LBB322_205
	s_branch .LBB322_206
.LBB322_193:                            ;   in Loop: Header=BB322_190 Depth=2
	s_mov_b64 s[16:17], 0
                                        ; implicit-def: $sgpr25
                                        ; implicit-def: $vgpr14
                                        ; implicit-def: $vgpr15
                                        ; implicit-def: $vgpr16
                                        ; implicit-def: $vgpr17
                                        ; implicit-def: $vgpr18
                                        ; implicit-def: $vgpr19
                                        ; implicit-def: $vgpr20
                                        ; implicit-def: $vgpr0_vgpr1
.LBB322_194:                            ;   in Loop: Header=BB322_190 Depth=2
	s_add_u32 s23, s58, s22
	s_addc_u32 s24, s59, 0
	v_cmp_gt_u32_e32 vcc, s20, v2
	s_and_saveexec_b64 s[18:19], vcc
	s_cbranch_execz .LBB322_222
; %bb.195:                              ;   in Loop: Header=BB322_190 Depth=2
	v_mov_b32_e32 v1, s24
	v_add_co_u32_e32 v0, vcc, s23, v2
	v_addc_co_u32_e32 v1, vcc, 0, v1, vcc
	global_load_ubyte v5, v[0:1], off
	s_or_b64 exec, exec, s[18:19]
	v_cmp_gt_u32_e32 vcc, s20, v24
	s_and_saveexec_b64 s[18:19], vcc
	s_cbranch_execnz .LBB322_223
.LBB322_196:                            ;   in Loop: Header=BB322_190 Depth=2
	s_or_b64 exec, exec, s[18:19]
	v_cmp_gt_u32_e32 vcc, s20, v25
	s_and_saveexec_b64 s[18:19], vcc
	s_cbranch_execz .LBB322_224
.LBB322_197:                            ;   in Loop: Header=BB322_190 Depth=2
	v_mov_b32_e32 v1, s24
	v_add_co_u32_e32 v0, vcc, s23, v2
	v_addc_co_u32_e32 v1, vcc, 0, v1, vcc
	global_load_ubyte v7, v[0:1], off offset:512
	s_or_b64 exec, exec, s[18:19]
	v_cmp_gt_u32_e32 vcc, s20, v26
	s_and_saveexec_b64 s[18:19], vcc
	s_cbranch_execnz .LBB322_225
.LBB322_198:                            ;   in Loop: Header=BB322_190 Depth=2
	s_or_b64 exec, exec, s[18:19]
	v_cmp_gt_u32_e32 vcc, s20, v30
	s_and_saveexec_b64 s[18:19], vcc
	s_cbranch_execz .LBB322_226
.LBB322_199:                            ;   in Loop: Header=BB322_190 Depth=2
	v_mov_b32_e32 v1, s24
	v_add_co_u32_e32 v0, vcc, s23, v2
	v_addc_co_u32_e32 v1, vcc, 0, v1, vcc
	global_load_ubyte v9, v[0:1], off offset:1024
	s_or_b64 exec, exec, s[18:19]
	v_cmp_gt_u32_e32 vcc, s20, v31
	s_and_saveexec_b64 s[18:19], vcc
	s_cbranch_execnz .LBB322_227
.LBB322_200:                            ;   in Loop: Header=BB322_190 Depth=2
	s_or_b64 exec, exec, s[18:19]
	v_cmp_gt_u32_e32 vcc, s20, v32
	s_and_saveexec_b64 s[18:19], vcc
	s_cbranch_execz .LBB322_202
.LBB322_201:                            ;   in Loop: Header=BB322_190 Depth=2
	v_mov_b32_e32 v1, s24
	v_add_co_u32_e32 v0, vcc, s23, v2
	v_addc_co_u32_e32 v1, vcc, 0, v1, vcc
	global_load_ubyte v11, v[0:1], off offset:1536
.LBB322_202:                            ;   in Loop: Header=BB322_190 Depth=2
	s_or_b64 exec, exec, s[18:19]
	v_cmp_gt_u32_e32 vcc, s20, v33
                                        ; implicit-def: $sgpr25
                                        ; implicit-def: $vgpr0_vgpr1
	s_and_saveexec_b64 s[18:19], vcc
	s_cbranch_execz .LBB322_204
; %bb.203:                              ;   in Loop: Header=BB322_190 Depth=2
	v_mov_b32_e32 v0, s24
	v_add_co_u32_e32 v1, vcc, s23, v2
	s_waitcnt vmcnt(0)
	v_addc_co_u32_e32 v12, vcc, 0, v0, vcc
	v_add_co_u32_e32 v0, vcc, 0x700, v1
	s_sub_i32 s25, s76, s22
	v_addc_co_u32_e32 v1, vcc, 0, v12, vcc
	s_or_b64 s[16:17], s[16:17], exec
                                        ; implicit-def: $vgpr12
.LBB322_204:                            ;   in Loop: Header=BB322_190 Depth=2
	s_or_b64 exec, exec, s[18:19]
	s_waitcnt vmcnt(0)
	v_mov_b32_e32 v14, v5
	v_mov_b32_e32 v15, v6
	;; [unrolled: 1-line block ×8, first 2 shown]
	s_and_saveexec_b64 s[18:19], s[16:17]
	s_cbranch_execz .LBB322_206
.LBB322_205:                            ;   in Loop: Header=BB322_190 Depth=2
	global_load_ubyte v12, v[0:1], off
	v_mov_b32_e32 v13, s25
	s_waitcnt vmcnt(1)
	v_mov_b32_e32 v5, v14
	v_mov_b32_e32 v6, v15
	;; [unrolled: 1-line block ×7, first 2 shown]
.LBB322_206:                            ;   in Loop: Header=BB322_190 Depth=2
	s_or_b64 exec, exec, s[18:19]
	v_cmp_lt_u32_e32 vcc, v2, v13
	s_and_saveexec_b64 s[16:17], vcc
	s_cbranch_execz .LBB322_214
; %bb.207:                              ;   in Loop: Header=BB322_190 Depth=2
	v_xor_b32_e32 v0, 0x7f, v5
	v_lshrrev_b32_sdwa v0, s68, v0 dst_sel:DWORD dst_unused:UNUSED_PAD src0_sel:DWORD src1_sel:BYTE_0
	v_and_b32_e32 v0, s77, v0
	v_lshlrev_b32_e32 v1, 2, v27
	v_lshl_or_b32 v0, v0, 4, v1
	ds_add_u32 v0, v63
	s_or_b64 exec, exec, s[16:17]
	v_cmp_lt_u32_e32 vcc, v24, v13
	s_and_saveexec_b64 s[16:17], vcc
	s_cbranch_execnz .LBB322_215
.LBB322_208:                            ;   in Loop: Header=BB322_190 Depth=2
	s_or_b64 exec, exec, s[16:17]
	v_cmp_lt_u32_e32 vcc, v25, v13
	s_and_saveexec_b64 s[16:17], vcc
	s_cbranch_execz .LBB322_216
.LBB322_209:                            ;   in Loop: Header=BB322_190 Depth=2
	v_xor_b32_e32 v0, 0x7f, v7
	v_lshrrev_b32_sdwa v0, s68, v0 dst_sel:DWORD dst_unused:UNUSED_PAD src0_sel:DWORD src1_sel:BYTE_0
	v_and_b32_e32 v0, s77, v0
	v_lshlrev_b32_e32 v1, 2, v27
	v_lshl_or_b32 v0, v0, 4, v1
	ds_add_u32 v0, v63
	s_or_b64 exec, exec, s[16:17]
	v_cmp_lt_u32_e32 vcc, v26, v13
	s_and_saveexec_b64 s[16:17], vcc
	s_cbranch_execnz .LBB322_217
.LBB322_210:                            ;   in Loop: Header=BB322_190 Depth=2
	s_or_b64 exec, exec, s[16:17]
	v_cmp_lt_u32_e32 vcc, v30, v13
	s_and_saveexec_b64 s[16:17], vcc
	s_cbranch_execz .LBB322_218
.LBB322_211:                            ;   in Loop: Header=BB322_190 Depth=2
	v_xor_b32_e32 v0, 0x7f, v9
	v_lshrrev_b32_sdwa v0, s68, v0 dst_sel:DWORD dst_unused:UNUSED_PAD src0_sel:DWORD src1_sel:BYTE_0
	v_and_b32_e32 v0, s77, v0
	v_lshlrev_b32_e32 v1, 2, v27
	v_lshl_or_b32 v0, v0, 4, v1
	ds_add_u32 v0, v63
	s_or_b64 exec, exec, s[16:17]
	v_cmp_lt_u32_e32 vcc, v31, v13
	s_and_saveexec_b64 s[16:17], vcc
	s_cbranch_execnz .LBB322_219
.LBB322_212:                            ;   in Loop: Header=BB322_190 Depth=2
	s_or_b64 exec, exec, s[16:17]
	v_cmp_lt_u32_e32 vcc, v32, v13
	s_and_saveexec_b64 s[16:17], vcc
	s_cbranch_execz .LBB322_220
.LBB322_213:                            ;   in Loop: Header=BB322_190 Depth=2
	v_xor_b32_e32 v0, 0x7f, v11
	v_lshrrev_b32_sdwa v0, s68, v0 dst_sel:DWORD dst_unused:UNUSED_PAD src0_sel:DWORD src1_sel:BYTE_0
	v_and_b32_e32 v0, s77, v0
	v_lshlrev_b32_e32 v1, 2, v27
	v_lshl_or_b32 v0, v0, 4, v1
	ds_add_u32 v0, v63
	s_or_b64 exec, exec, s[16:17]
	v_cmp_lt_u32_e32 vcc, v33, v13
	s_and_saveexec_b64 s[16:17], vcc
	s_cbranch_execz .LBB322_189
	s_branch .LBB322_221
.LBB322_214:                            ;   in Loop: Header=BB322_190 Depth=2
	s_or_b64 exec, exec, s[16:17]
	v_cmp_lt_u32_e32 vcc, v24, v13
	s_and_saveexec_b64 s[16:17], vcc
	s_cbranch_execz .LBB322_208
.LBB322_215:                            ;   in Loop: Header=BB322_190 Depth=2
	v_xor_b32_e32 v0, 0x7f, v6
	v_lshrrev_b32_sdwa v0, s68, v0 dst_sel:DWORD dst_unused:UNUSED_PAD src0_sel:DWORD src1_sel:BYTE_0
	v_and_b32_e32 v0, s77, v0
	v_lshlrev_b32_e32 v1, 2, v27
	v_lshl_or_b32 v0, v0, 4, v1
	ds_add_u32 v0, v63
	s_or_b64 exec, exec, s[16:17]
	v_cmp_lt_u32_e32 vcc, v25, v13
	s_and_saveexec_b64 s[16:17], vcc
	s_cbranch_execnz .LBB322_209
.LBB322_216:                            ;   in Loop: Header=BB322_190 Depth=2
	s_or_b64 exec, exec, s[16:17]
	v_cmp_lt_u32_e32 vcc, v26, v13
	s_and_saveexec_b64 s[16:17], vcc
	s_cbranch_execz .LBB322_210
.LBB322_217:                            ;   in Loop: Header=BB322_190 Depth=2
	v_xor_b32_e32 v0, 0x7f, v8
	v_lshrrev_b32_sdwa v0, s68, v0 dst_sel:DWORD dst_unused:UNUSED_PAD src0_sel:DWORD src1_sel:BYTE_0
	v_and_b32_e32 v0, s77, v0
	v_lshlrev_b32_e32 v1, 2, v27
	v_lshl_or_b32 v0, v0, 4, v1
	ds_add_u32 v0, v63
	s_or_b64 exec, exec, s[16:17]
	v_cmp_lt_u32_e32 vcc, v30, v13
	s_and_saveexec_b64 s[16:17], vcc
	s_cbranch_execnz .LBB322_211
.LBB322_218:                            ;   in Loop: Header=BB322_190 Depth=2
	s_or_b64 exec, exec, s[16:17]
	v_cmp_lt_u32_e32 vcc, v31, v13
	s_and_saveexec_b64 s[16:17], vcc
	s_cbranch_execz .LBB322_212
.LBB322_219:                            ;   in Loop: Header=BB322_190 Depth=2
	v_xor_b32_e32 v0, 0x7f, v10
	v_lshrrev_b32_sdwa v0, s68, v0 dst_sel:DWORD dst_unused:UNUSED_PAD src0_sel:DWORD src1_sel:BYTE_0
	v_and_b32_e32 v0, s77, v0
	v_lshlrev_b32_e32 v1, 2, v27
	v_lshl_or_b32 v0, v0, 4, v1
	ds_add_u32 v0, v63
	s_or_b64 exec, exec, s[16:17]
	v_cmp_lt_u32_e32 vcc, v32, v13
	s_and_saveexec_b64 s[16:17], vcc
	s_cbranch_execnz .LBB322_213
.LBB322_220:                            ;   in Loop: Header=BB322_190 Depth=2
	s_or_b64 exec, exec, s[16:17]
	v_cmp_lt_u32_e32 vcc, v33, v13
	s_and_saveexec_b64 s[16:17], vcc
	s_cbranch_execz .LBB322_189
.LBB322_221:                            ;   in Loop: Header=BB322_190 Depth=2
	s_waitcnt vmcnt(0)
	v_xor_b32_e32 v0, 0x7f, v12
	v_lshrrev_b32_sdwa v0, s68, v0 dst_sel:DWORD dst_unused:UNUSED_PAD src0_sel:DWORD src1_sel:BYTE_0
	v_and_b32_e32 v0, s77, v0
	v_lshlrev_b32_e32 v1, 2, v27
	v_lshl_or_b32 v0, v0, 4, v1
	ds_add_u32 v0, v63
	s_branch .LBB322_189
.LBB322_222:                            ;   in Loop: Header=BB322_190 Depth=2
	s_or_b64 exec, exec, s[18:19]
	v_cmp_gt_u32_e32 vcc, s20, v24
	s_and_saveexec_b64 s[18:19], vcc
	s_cbranch_execz .LBB322_196
.LBB322_223:                            ;   in Loop: Header=BB322_190 Depth=2
	v_mov_b32_e32 v1, s24
	v_add_co_u32_e32 v0, vcc, s23, v2
	v_addc_co_u32_e32 v1, vcc, 0, v1, vcc
	global_load_ubyte v6, v[0:1], off offset:256
	s_or_b64 exec, exec, s[18:19]
	v_cmp_gt_u32_e32 vcc, s20, v25
	s_and_saveexec_b64 s[18:19], vcc
	s_cbranch_execnz .LBB322_197
.LBB322_224:                            ;   in Loop: Header=BB322_190 Depth=2
	s_or_b64 exec, exec, s[18:19]
	v_cmp_gt_u32_e32 vcc, s20, v26
	s_and_saveexec_b64 s[18:19], vcc
	s_cbranch_execz .LBB322_198
.LBB322_225:                            ;   in Loop: Header=BB322_190 Depth=2
	v_mov_b32_e32 v1, s24
	v_add_co_u32_e32 v0, vcc, s23, v2
	v_addc_co_u32_e32 v1, vcc, 0, v1, vcc
	global_load_ubyte v8, v[0:1], off offset:768
	s_or_b64 exec, exec, s[18:19]
	v_cmp_gt_u32_e32 vcc, s20, v30
	s_and_saveexec_b64 s[18:19], vcc
	s_cbranch_execnz .LBB322_199
.LBB322_226:                            ;   in Loop: Header=BB322_190 Depth=2
	s_or_b64 exec, exec, s[18:19]
	v_cmp_gt_u32_e32 vcc, s20, v31
	s_and_saveexec_b64 s[18:19], vcc
	s_cbranch_execz .LBB322_200
.LBB322_227:                            ;   in Loop: Header=BB322_190 Depth=2
	v_mov_b32_e32 v1, s24
	v_add_co_u32_e32 v0, vcc, s23, v2
	v_addc_co_u32_e32 v1, vcc, 0, v1, vcc
	global_load_ubyte v10, v[0:1], off offset:1280
	s_or_b64 exec, exec, s[18:19]
	v_cmp_gt_u32_e32 vcc, s20, v32
	s_and_saveexec_b64 s[18:19], vcc
	s_cbranch_execz .LBB322_202
	s_branch .LBB322_201
.LBB322_228:                            ;   in Loop: Header=BB322_20 Depth=1
	v_mov_b32_e32 v0, 0
	s_waitcnt lgkmcnt(0)
	s_barrier
	s_and_saveexec_b64 s[16:17], s[4:5]
	s_cbranch_execz .LBB322_230
; %bb.229:                              ;   in Loop: Header=BB322_20 Depth=1
	ds_read2_b64 v[6:9], v34 offset1:1
	s_waitcnt lgkmcnt(0)
	v_add_u32_e32 v0, v7, v6
	v_add3_u32 v0, v0, v8, v9
.LBB322_230:                            ;   in Loop: Header=BB322_20 Depth=1
	s_or_b64 exec, exec, s[16:17]
	v_and_b32_e32 v1, 15, v64
	v_mov_b32_dpp v5, v0 row_shr:1 row_mask:0xf bank_mask:0xf
	v_cmp_eq_u32_e64 s[16:17], 0, v1
	v_cndmask_b32_e64 v5, v5, 0, s[16:17]
	v_add_u32_e32 v0, v5, v0
	v_cmp_lt_u32_e64 s[18:19], 1, v1
	v_cmp_lt_u32_e64 s[20:21], 3, v1
	v_mov_b32_dpp v5, v0 row_shr:2 row_mask:0xf bank_mask:0xf
	v_cndmask_b32_e64 v5, 0, v5, s[18:19]
	v_add_u32_e32 v0, v0, v5
	v_cmp_lt_u32_e64 s[22:23], 7, v1
	v_cmp_lt_u32_e64 s[26:27], 31, v64
	v_mov_b32_dpp v5, v0 row_shr:4 row_mask:0xf bank_mask:0xf
	v_cndmask_b32_e64 v5, 0, v5, s[20:21]
	v_add_u32_e32 v0, v0, v5
	v_and_b32_e32 v6, 16, v64
	v_cmp_eq_u32_e64 s[24:25], 0, v6
	v_mov_b32_dpp v5, v0 row_shr:8 row_mask:0xf bank_mask:0xf
	v_cndmask_b32_e64 v1, 0, v5, s[22:23]
	v_add_u32_e32 v0, v0, v1
	v_bfe_i32 v5, v64, 4, 1
	s_nop 0
	v_mov_b32_dpp v1, v0 row_bcast:15 row_mask:0xf bank_mask:0xf
	v_and_b32_e32 v1, v5, v1
	v_add_u32_e32 v0, v0, v1
	s_nop 1
	v_mov_b32_dpp v1, v0 row_bcast:31 row_mask:0xf bank_mask:0xf
	v_cndmask_b32_e64 v1, 0, v1, s[26:27]
	v_add_u32_e32 v1, v0, v1
	s_and_saveexec_b64 s[28:29], s[6:7]
	s_cbranch_execz .LBB322_232
; %bb.231:                              ;   in Loop: Header=BB322_20 Depth=1
	ds_write_b32 v36, v1
.LBB322_232:                            ;   in Loop: Header=BB322_20 Depth=1
	s_or_b64 exec, exec, s[28:29]
	v_and_b32_e32 v0, 3, v64
	s_waitcnt lgkmcnt(0)
	s_barrier
	s_and_saveexec_b64 s[28:29], s[8:9]
	s_cbranch_execz .LBB322_234
; %bb.233:                              ;   in Loop: Header=BB322_20 Depth=1
	ds_read_b32 v5, v37
	v_cmp_ne_u32_e32 vcc, 0, v0
	s_waitcnt lgkmcnt(0)
	v_mov_b32_dpp v6, v5 row_shr:1 row_mask:0xf bank_mask:0xf
	v_cndmask_b32_e32 v6, 0, v6, vcc
	v_add_u32_e32 v5, v6, v5
	v_cmp_lt_u32_e32 vcc, 1, v0
	s_nop 0
	v_mov_b32_dpp v6, v5 row_shr:2 row_mask:0xf bank_mask:0xf
	v_cndmask_b32_e32 v6, 0, v6, vcc
	v_add_u32_e32 v5, v5, v6
	ds_write_b32 v37, v5
.LBB322_234:                            ;   in Loop: Header=BB322_20 Depth=1
	s_or_b64 exec, exec, s[28:29]
	v_mov_b32_e32 v5, 0
	s_waitcnt lgkmcnt(0)
	s_barrier
	s_and_saveexec_b64 s[28:29], s[10:11]
	s_cbranch_execz .LBB322_236
; %bb.235:                              ;   in Loop: Header=BB322_20 Depth=1
	ds_read_b32 v5, v38
.LBB322_236:                            ;   in Loop: Header=BB322_20 Depth=1
	s_or_b64 exec, exec, s[28:29]
	v_add_u32_e32 v6, -1, v64
	v_and_b32_e32 v7, 64, v64
	v_cmp_lt_i32_e32 vcc, v6, v7
	v_cndmask_b32_e32 v6, v6, v64, vcc
	s_waitcnt lgkmcnt(0)
	v_add_u32_e32 v1, v5, v1
	v_lshlrev_b32_e32 v65, 2, v6
	ds_bpermute_b32 v1, v65, v1
	v_cmp_eq_u32_e64 s[28:29], 0, v64
	s_waitcnt lgkmcnt(0)
	s_barrier
	s_and_saveexec_b64 s[30:31], s[4:5]
	s_cbranch_execz .LBB322_238
; %bb.237:                              ;   in Loop: Header=BB322_20 Depth=1
	v_cndmask_b32_e64 v1, v1, v5, s[28:29]
	v_add_u32_e32 v1, s51, v1
	ds_write_b32 v3, v1
.LBB322_238:                            ;   in Loop: Header=BB322_20 Depth=1
	s_or_b64 exec, exec, s[30:31]
	s_load_dwordx2 s[30:31], s[74:75], 0x0
	v_and_b32_e32 v21, 63, v64
	v_add_co_u32_e32 v74, vcc, v55, v21
	v_lshlrev_b32_e32 v22, 3, v21
	s_waitcnt lgkmcnt(0)
	s_cmp_lt_u32 s50, s30
	s_cselect_b32 s34, 12, 18
	s_cmp_lt_u32 s33, s31
	s_cselect_b32 s30, 14, 20
	s_add_u32 s30, s74, s30
	s_addc_u32 s31, s75, 0
	s_add_u32 s34, s74, s34
	global_load_ushort v5, v4, s[30:31]
	s_addc_u32 s35, s75, 0
	global_load_ushort v20, v4, s[34:35]
	v_addc_co_u32_e32 v76, vcc, 0, v56, vcc
	v_add_co_u32_e32 v77, vcc, v53, v22
	v_addc_co_u32_e32 v78, vcc, 0, v54, vcc
	v_or_b32_e32 v72, v21, v39
	v_add_co_u32_e32 v86, vcc, 0x1c0, v74
	v_cmp_eq_u32_e64 s[30:31], 0, v0
	v_cmp_lt_u32_e64 s[34:35], 1, v0
	s_mov_b32 s78, s71
	v_or_b32_e32 v79, 64, v72
	v_or_b32_e32 v80, 0x80, v72
	;; [unrolled: 1-line block ×7, first 2 shown]
	v_addc_co_u32_e32 v87, vcc, 0, v76, vcc
	s_mov_b32 s72, s51
                                        ; implicit-def: $vgpr0_vgpr1
                                        ; implicit-def: $vgpr6_vgpr7
                                        ; implicit-def: $vgpr8_vgpr9
                                        ; implicit-def: $vgpr10_vgpr11
                                        ; implicit-def: $vgpr12_vgpr13
                                        ; implicit-def: $vgpr14_vgpr15
                                        ; implicit-def: $vgpr16_vgpr17
                                        ; implicit-def: $vgpr18_vgpr19
                                        ; implicit-def: $vgpr66
                                        ; implicit-def: $vgpr67
                                        ; implicit-def: $vgpr68
                                        ; implicit-def: $vgpr69
                                        ; implicit-def: $vgpr70
                                        ; implicit-def: $vgpr71
                                        ; implicit-def: $vgpr73
                                        ; implicit-def: $vgpr75
	s_waitcnt vmcnt(1)
	v_mad_u32_u24 v5, v40, v5, v41
	s_waitcnt vmcnt(0)
	v_mad_u64_u32 v[20:21], s[36:37], v5, v20, v[2:3]
	v_lshrrev_b32_e32 v88, 6, v20
	s_branch .LBB322_240
.LBB322_239:                            ;   in Loop: Header=BB322_240 Depth=2
	s_or_b64 exec, exec, s[36:37]
	s_addk_i32 s78, 0xf800
	s_cmp_lt_u32 s79, s76
	s_mov_b32 s72, s79
	s_cbranch_scc0 .LBB322_352
.LBB322_240:                            ;   Parent Loop BB322_20 Depth=1
                                        ; =>  This Inner Loop Header: Depth=2
	s_add_i32 s79, s72, 0x800
	s_cmp_gt_u32 s79, s76
	s_cbranch_scc1 .LBB322_243
; %bb.241:                              ;   in Loop: Header=BB322_240 Depth=2
	v_add_co_u32_e32 v20, vcc, s72, v74
	v_addc_co_u32_e32 v21, vcc, 0, v76, vcc
	global_load_ubyte v23, v[20:21], off offset:384
	global_load_ubyte v91, v[20:21], off offset:320
	;; [unrolled: 1-line block ×6, first 2 shown]
	global_load_ubyte v5, v[20:21], off
	s_mov_b64 s[36:37], -1
	s_movk_i32 s40, 0x800
	s_cbranch_execz .LBB322_244
; %bb.242:                              ;   in Loop: Header=BB322_240 Depth=2
                                        ; implicit-def: $vgpr22
	v_mov_b32_e32 v89, s78
	s_and_saveexec_b64 s[38:39], s[36:37]
	s_cbranch_execnz .LBB322_253
	s_branch .LBB322_254
.LBB322_243:                            ;   in Loop: Header=BB322_240 Depth=2
	s_mov_b64 s[36:37], 0
                                        ; implicit-def: $sgpr40
                                        ; implicit-def: $vgpr5
                                        ; implicit-def: $vgpr94
                                        ; implicit-def: $vgpr99
                                        ; implicit-def: $vgpr101
                                        ; implicit-def: $vgpr96
                                        ; implicit-def: $vgpr91
                                        ; implicit-def: $vgpr23
.LBB322_244:                            ;   in Loop: Header=BB322_240 Depth=2
	v_add_co_u32_e32 v20, vcc, s72, v74
	v_addc_co_u32_e32 v21, vcc, 0, v76, vcc
	v_cmp_gt_u32_e32 vcc, s78, v72
	s_waitcnt vmcnt(0)
	v_mov_b32_e32 v5, 0x80
	v_mov_b32_e32 v22, 0x80
	;; [unrolled: 1-line block ×8, first 2 shown]
	s_and_saveexec_b64 s[36:37], vcc
	s_cbranch_execz .LBB322_346
; %bb.245:                              ;   in Loop: Header=BB322_240 Depth=2
	global_load_ubyte v5, v[20:21], off
	v_mov_b32_e32 v94, 0x80
	v_mov_b32_e32 v99, 0x80
	v_mov_b32_e32 v101, 0x80
	v_mov_b32_e32 v96, 0x80
	v_mov_b32_e32 v91, 0x80
	v_mov_b32_e32 v23, 0x80
	v_mov_b32_e32 v22, 0x80
	s_or_b64 exec, exec, s[36:37]
	v_cmp_gt_u32_e32 vcc, s78, v79
	s_and_saveexec_b64 s[36:37], vcc
	s_cbranch_execnz .LBB322_347
.LBB322_246:                            ;   in Loop: Header=BB322_240 Depth=2
	s_or_b64 exec, exec, s[36:37]
	v_cmp_gt_u32_e32 vcc, s78, v80
	s_and_saveexec_b64 s[36:37], vcc
	s_cbranch_execz .LBB322_348
.LBB322_247:                            ;   in Loop: Header=BB322_240 Depth=2
	global_load_ubyte v99, v[20:21], off offset:128
	s_or_b64 exec, exec, s[36:37]
	v_cmp_gt_u32_e32 vcc, s78, v81
	s_and_saveexec_b64 s[36:37], vcc
	s_cbranch_execnz .LBB322_349
.LBB322_248:                            ;   in Loop: Header=BB322_240 Depth=2
	s_or_b64 exec, exec, s[36:37]
	v_cmp_gt_u32_e32 vcc, s78, v82
	s_and_saveexec_b64 s[36:37], vcc
	s_cbranch_execz .LBB322_350
.LBB322_249:                            ;   in Loop: Header=BB322_240 Depth=2
	global_load_ubyte v96, v[20:21], off offset:256
	s_or_b64 exec, exec, s[36:37]
	v_cmp_gt_u32_e32 vcc, s78, v83
	s_and_saveexec_b64 s[36:37], vcc
	s_cbranch_execnz .LBB322_351
.LBB322_250:                            ;   in Loop: Header=BB322_240 Depth=2
	s_or_b64 exec, exec, s[36:37]
	v_cmp_gt_u32_e32 vcc, s78, v84
	s_and_saveexec_b64 s[36:37], vcc
	s_cbranch_execz .LBB322_252
.LBB322_251:                            ;   in Loop: Header=BB322_240 Depth=2
	global_load_ubyte v23, v[20:21], off offset:384
.LBB322_252:                            ;   in Loop: Header=BB322_240 Depth=2
	s_or_b64 exec, exec, s[36:37]
	s_sub_i32 s40, s76, s72
	v_cmp_gt_u32_e64 s[36:37], s78, v85
	v_mov_b32_e32 v89, s78
	s_and_saveexec_b64 s[38:39], s[36:37]
	s_cbranch_execz .LBB322_254
.LBB322_253:                            ;   in Loop: Header=BB322_240 Depth=2
	v_mov_b32_e32 v21, s73
	v_add_co_u32_e32 v20, vcc, s72, v86
	v_addc_co_u32_e32 v21, vcc, v87, v21, vcc
	global_load_ubyte v22, v[20:21], off
	v_mov_b32_e32 v89, s40
.LBB322_254:                            ;   in Loop: Header=BB322_240 Depth=2
	s_or_b64 exec, exec, s[38:39]
	s_waitcnt vmcnt(0)
	v_xor_b32_e32 v90, 0x7f, v5
	v_add_u32_e32 v5, 0x410, v42
	ds_write2_b32 v5, v4, v4 offset1:1
	ds_write2_b32 v44, v4, v4 offset0:2 offset1:3
	ds_write_b32 v44, v4 offset:16
	v_lshrrev_b32_sdwa v5, s68, v90 dst_sel:DWORD dst_unused:UNUSED_PAD src0_sel:DWORD src1_sel:BYTE_0
	v_and_b32_e32 v20, s77, v5
	v_mad_u32_u24 v5, v20, 5, v88
	v_lshl_add_u32 v92, v5, 2, v43
	v_and_b32_e32 v5, 1, v20
	v_add_co_u32_e32 v21, vcc, -1, v5
	v_addc_co_u32_e64 v93, s[36:37], 0, -1, vcc
	v_cmp_ne_u32_e32 vcc, 0, v5
	v_xor_b32_e32 v5, vcc_hi, v93
	v_and_b32_e32 v93, exec_hi, v5
	v_lshlrev_b32_e32 v5, 30, v20
	v_xor_b32_e32 v21, vcc_lo, v21
	v_cmp_gt_i64_e32 vcc, 0, v[4:5]
	v_not_b32_e32 v5, v5
	v_ashrrev_i32_e32 v5, 31, v5
	v_and_b32_e32 v21, exec_lo, v21
	v_xor_b32_e32 v95, vcc_hi, v5
	v_xor_b32_e32 v5, vcc_lo, v5
	v_and_b32_e32 v21, v21, v5
	v_lshlrev_b32_e32 v5, 29, v20
	v_cmp_gt_i64_e32 vcc, 0, v[4:5]
	v_not_b32_e32 v5, v5
	v_ashrrev_i32_e32 v5, 31, v5
	v_and_b32_e32 v93, v93, v95
	v_xor_b32_e32 v95, vcc_hi, v5
	v_xor_b32_e32 v5, vcc_lo, v5
	v_and_b32_e32 v21, v21, v5
	v_lshlrev_b32_e32 v5, 28, v20
	v_cmp_gt_i64_e32 vcc, 0, v[4:5]
	v_not_b32_e32 v5, v5
	v_ashrrev_i32_e32 v5, 31, v5
	v_and_b32_e32 v93, v93, v95
	;; [unrolled: 8-line block ×5, first 2 shown]
	v_xor_b32_e32 v95, vcc_hi, v5
	v_xor_b32_e32 v5, vcc_lo, v5
	v_and_b32_e32 v93, v93, v95
	v_and_b32_e32 v95, v21, v5
	v_lshlrev_b32_e32 v5, 24, v20
	v_cmp_gt_i64_e32 vcc, 0, v[4:5]
	v_not_b32_e32 v5, v5
	v_ashrrev_i32_e32 v5, 31, v5
	v_xor_b32_e32 v20, vcc_hi, v5
	v_xor_b32_e32 v5, vcc_lo, v5
	v_and_b32_e32 v21, v93, v20
	v_and_b32_e32 v20, v95, v5
	v_mbcnt_lo_u32_b32 v5, v20, 0
	v_mbcnt_hi_u32_b32 v93, v21, v5
	v_cmp_eq_u32_e32 vcc, 0, v93
	v_cmp_ne_u64_e64 s[36:37], 0, v[20:21]
	s_and_b64 s[38:39], s[36:37], vcc
	s_waitcnt lgkmcnt(0)
	s_barrier
	s_waitcnt lgkmcnt(0)
	; wave barrier
	s_and_saveexec_b64 s[36:37], s[38:39]
	s_cbranch_execz .LBB322_256
; %bb.255:                              ;   in Loop: Header=BB322_240 Depth=2
	v_bcnt_u32_b32 v5, v20, 0
	v_bcnt_u32_b32 v5, v21, v5
	ds_write_b32 v92, v5
.LBB322_256:                            ;   in Loop: Header=BB322_240 Depth=2
	s_or_b64 exec, exec, s[36:37]
	v_xor_b32_e32 v94, 0x7f, v94
	v_lshrrev_b32_sdwa v5, s68, v94 dst_sel:DWORD dst_unused:UNUSED_PAD src0_sel:DWORD src1_sel:BYTE_0
	v_and_b32_e32 v20, s77, v5
	v_mul_u32_u24_e32 v5, 5, v20
	v_add_lshl_u32 v5, v5, v88, 2
	; wave barrier
	v_add_u32_e32 v97, 0x410, v5
	ds_read_b32 v95, v5 offset:1040
	v_and_b32_e32 v5, 1, v20
	v_add_co_u32_e32 v21, vcc, -1, v5
	v_addc_co_u32_e64 v98, s[36:37], 0, -1, vcc
	v_cmp_ne_u32_e32 vcc, 0, v5
	v_xor_b32_e32 v5, vcc_hi, v98
	v_and_b32_e32 v98, exec_hi, v5
	v_lshlrev_b32_e32 v5, 30, v20
	v_xor_b32_e32 v21, vcc_lo, v21
	v_cmp_gt_i64_e32 vcc, 0, v[4:5]
	v_not_b32_e32 v5, v5
	v_ashrrev_i32_e32 v5, 31, v5
	v_and_b32_e32 v21, exec_lo, v21
	v_xor_b32_e32 v100, vcc_hi, v5
	v_xor_b32_e32 v5, vcc_lo, v5
	v_and_b32_e32 v21, v21, v5
	v_lshlrev_b32_e32 v5, 29, v20
	v_cmp_gt_i64_e32 vcc, 0, v[4:5]
	v_not_b32_e32 v5, v5
	v_ashrrev_i32_e32 v5, 31, v5
	v_and_b32_e32 v98, v98, v100
	v_xor_b32_e32 v100, vcc_hi, v5
	v_xor_b32_e32 v5, vcc_lo, v5
	v_and_b32_e32 v21, v21, v5
	v_lshlrev_b32_e32 v5, 28, v20
	v_cmp_gt_i64_e32 vcc, 0, v[4:5]
	v_not_b32_e32 v5, v5
	v_ashrrev_i32_e32 v5, 31, v5
	v_and_b32_e32 v98, v98, v100
	;; [unrolled: 8-line block ×5, first 2 shown]
	v_xor_b32_e32 v100, vcc_hi, v5
	v_xor_b32_e32 v5, vcc_lo, v5
	v_and_b32_e32 v98, v98, v100
	v_and_b32_e32 v100, v21, v5
	v_lshlrev_b32_e32 v5, 24, v20
	v_cmp_gt_i64_e32 vcc, 0, v[4:5]
	v_not_b32_e32 v5, v5
	v_ashrrev_i32_e32 v5, 31, v5
	v_xor_b32_e32 v20, vcc_hi, v5
	v_xor_b32_e32 v5, vcc_lo, v5
	v_and_b32_e32 v21, v98, v20
	v_and_b32_e32 v20, v100, v5
	v_mbcnt_lo_u32_b32 v5, v20, 0
	v_mbcnt_hi_u32_b32 v98, v21, v5
	v_cmp_eq_u32_e32 vcc, 0, v98
	v_cmp_ne_u64_e64 s[36:37], 0, v[20:21]
	s_and_b64 s[38:39], s[36:37], vcc
	; wave barrier
	s_and_saveexec_b64 s[36:37], s[38:39]
	s_cbranch_execz .LBB322_258
; %bb.257:                              ;   in Loop: Header=BB322_240 Depth=2
	v_bcnt_u32_b32 v5, v20, 0
	v_bcnt_u32_b32 v5, v21, v5
	s_waitcnt lgkmcnt(0)
	v_add_u32_e32 v5, v95, v5
	ds_write_b32 v97, v5
.LBB322_258:                            ;   in Loop: Header=BB322_240 Depth=2
	s_or_b64 exec, exec, s[36:37]
	v_xor_b32_e32 v99, 0x7f, v99
	v_lshrrev_b32_sdwa v5, s68, v99 dst_sel:DWORD dst_unused:UNUSED_PAD src0_sel:DWORD src1_sel:BYTE_0
	v_and_b32_e32 v20, s77, v5
	v_mul_u32_u24_e32 v5, 5, v20
	v_add_lshl_u32 v5, v5, v88, 2
	; wave barrier
	v_add_u32_e32 v102, 0x410, v5
	ds_read_b32 v100, v5 offset:1040
	v_and_b32_e32 v5, 1, v20
	v_add_co_u32_e32 v21, vcc, -1, v5
	v_addc_co_u32_e64 v103, s[36:37], 0, -1, vcc
	v_cmp_ne_u32_e32 vcc, 0, v5
	v_xor_b32_e32 v5, vcc_hi, v103
	v_and_b32_e32 v103, exec_hi, v5
	v_lshlrev_b32_e32 v5, 30, v20
	v_xor_b32_e32 v21, vcc_lo, v21
	v_cmp_gt_i64_e32 vcc, 0, v[4:5]
	v_not_b32_e32 v5, v5
	v_ashrrev_i32_e32 v5, 31, v5
	v_and_b32_e32 v21, exec_lo, v21
	v_xor_b32_e32 v104, vcc_hi, v5
	v_xor_b32_e32 v5, vcc_lo, v5
	v_and_b32_e32 v21, v21, v5
	v_lshlrev_b32_e32 v5, 29, v20
	v_cmp_gt_i64_e32 vcc, 0, v[4:5]
	v_not_b32_e32 v5, v5
	v_ashrrev_i32_e32 v5, 31, v5
	v_and_b32_e32 v103, v103, v104
	v_xor_b32_e32 v104, vcc_hi, v5
	v_xor_b32_e32 v5, vcc_lo, v5
	v_and_b32_e32 v21, v21, v5
	v_lshlrev_b32_e32 v5, 28, v20
	v_cmp_gt_i64_e32 vcc, 0, v[4:5]
	v_not_b32_e32 v5, v5
	v_ashrrev_i32_e32 v5, 31, v5
	v_and_b32_e32 v103, v103, v104
	;; [unrolled: 8-line block ×5, first 2 shown]
	v_xor_b32_e32 v104, vcc_hi, v5
	v_xor_b32_e32 v5, vcc_lo, v5
	v_and_b32_e32 v103, v103, v104
	v_and_b32_e32 v104, v21, v5
	v_lshlrev_b32_e32 v5, 24, v20
	v_cmp_gt_i64_e32 vcc, 0, v[4:5]
	v_not_b32_e32 v5, v5
	v_ashrrev_i32_e32 v5, 31, v5
	v_xor_b32_e32 v20, vcc_hi, v5
	v_xor_b32_e32 v5, vcc_lo, v5
	v_and_b32_e32 v21, v103, v20
	v_and_b32_e32 v20, v104, v5
	v_mbcnt_lo_u32_b32 v5, v20, 0
	v_mbcnt_hi_u32_b32 v103, v21, v5
	v_cmp_eq_u32_e32 vcc, 0, v103
	v_cmp_ne_u64_e64 s[36:37], 0, v[20:21]
	s_and_b64 s[38:39], s[36:37], vcc
	; wave barrier
	s_and_saveexec_b64 s[36:37], s[38:39]
	s_cbranch_execz .LBB322_260
; %bb.259:                              ;   in Loop: Header=BB322_240 Depth=2
	v_bcnt_u32_b32 v5, v20, 0
	v_bcnt_u32_b32 v5, v21, v5
	s_waitcnt lgkmcnt(0)
	v_add_u32_e32 v5, v100, v5
	ds_write_b32 v102, v5
.LBB322_260:                            ;   in Loop: Header=BB322_240 Depth=2
	s_or_b64 exec, exec, s[36:37]
	v_xor_b32_e32 v101, 0x7f, v101
	v_lshrrev_b32_sdwa v5, s68, v101 dst_sel:DWORD dst_unused:UNUSED_PAD src0_sel:DWORD src1_sel:BYTE_0
	v_and_b32_e32 v20, s77, v5
	v_mul_u32_u24_e32 v5, 5, v20
	v_add_lshl_u32 v5, v5, v88, 2
	; wave barrier
	v_add_u32_e32 v105, 0x410, v5
	ds_read_b32 v104, v5 offset:1040
	v_and_b32_e32 v5, 1, v20
	v_add_co_u32_e32 v21, vcc, -1, v5
	v_addc_co_u32_e64 v106, s[36:37], 0, -1, vcc
	v_cmp_ne_u32_e32 vcc, 0, v5
	v_xor_b32_e32 v5, vcc_hi, v106
	v_and_b32_e32 v106, exec_hi, v5
	v_lshlrev_b32_e32 v5, 30, v20
	v_xor_b32_e32 v21, vcc_lo, v21
	v_cmp_gt_i64_e32 vcc, 0, v[4:5]
	v_not_b32_e32 v5, v5
	v_ashrrev_i32_e32 v5, 31, v5
	v_and_b32_e32 v21, exec_lo, v21
	v_xor_b32_e32 v107, vcc_hi, v5
	v_xor_b32_e32 v5, vcc_lo, v5
	v_and_b32_e32 v21, v21, v5
	v_lshlrev_b32_e32 v5, 29, v20
	v_cmp_gt_i64_e32 vcc, 0, v[4:5]
	v_not_b32_e32 v5, v5
	v_ashrrev_i32_e32 v5, 31, v5
	v_and_b32_e32 v106, v106, v107
	v_xor_b32_e32 v107, vcc_hi, v5
	v_xor_b32_e32 v5, vcc_lo, v5
	v_and_b32_e32 v21, v21, v5
	v_lshlrev_b32_e32 v5, 28, v20
	v_cmp_gt_i64_e32 vcc, 0, v[4:5]
	v_not_b32_e32 v5, v5
	v_ashrrev_i32_e32 v5, 31, v5
	v_and_b32_e32 v106, v106, v107
	;; [unrolled: 8-line block ×5, first 2 shown]
	v_xor_b32_e32 v107, vcc_hi, v5
	v_xor_b32_e32 v5, vcc_lo, v5
	v_and_b32_e32 v106, v106, v107
	v_and_b32_e32 v107, v21, v5
	v_lshlrev_b32_e32 v5, 24, v20
	v_cmp_gt_i64_e32 vcc, 0, v[4:5]
	v_not_b32_e32 v5, v5
	v_ashrrev_i32_e32 v5, 31, v5
	v_xor_b32_e32 v20, vcc_hi, v5
	v_xor_b32_e32 v5, vcc_lo, v5
	v_and_b32_e32 v21, v106, v20
	v_and_b32_e32 v20, v107, v5
	v_mbcnt_lo_u32_b32 v5, v20, 0
	v_mbcnt_hi_u32_b32 v106, v21, v5
	v_cmp_eq_u32_e32 vcc, 0, v106
	v_cmp_ne_u64_e64 s[36:37], 0, v[20:21]
	s_and_b64 s[38:39], s[36:37], vcc
	; wave barrier
	s_and_saveexec_b64 s[36:37], s[38:39]
	s_cbranch_execz .LBB322_262
; %bb.261:                              ;   in Loop: Header=BB322_240 Depth=2
	v_bcnt_u32_b32 v5, v20, 0
	v_bcnt_u32_b32 v5, v21, v5
	s_waitcnt lgkmcnt(0)
	v_add_u32_e32 v5, v104, v5
	ds_write_b32 v105, v5
.LBB322_262:                            ;   in Loop: Header=BB322_240 Depth=2
	s_or_b64 exec, exec, s[36:37]
	v_xor_b32_e32 v96, 0x7f, v96
	v_lshrrev_b32_sdwa v5, s68, v96 dst_sel:DWORD dst_unused:UNUSED_PAD src0_sel:DWORD src1_sel:BYTE_0
	v_and_b32_e32 v20, s77, v5
	v_mul_u32_u24_e32 v5, 5, v20
	v_add_lshl_u32 v5, v5, v88, 2
	; wave barrier
	v_add_u32_e32 v108, 0x410, v5
	ds_read_b32 v107, v5 offset:1040
	v_and_b32_e32 v5, 1, v20
	v_add_co_u32_e32 v21, vcc, -1, v5
	v_addc_co_u32_e64 v109, s[36:37], 0, -1, vcc
	v_cmp_ne_u32_e32 vcc, 0, v5
	v_xor_b32_e32 v5, vcc_hi, v109
	v_and_b32_e32 v109, exec_hi, v5
	v_lshlrev_b32_e32 v5, 30, v20
	v_xor_b32_e32 v21, vcc_lo, v21
	v_cmp_gt_i64_e32 vcc, 0, v[4:5]
	v_not_b32_e32 v5, v5
	v_ashrrev_i32_e32 v5, 31, v5
	v_and_b32_e32 v21, exec_lo, v21
	v_xor_b32_e32 v110, vcc_hi, v5
	v_xor_b32_e32 v5, vcc_lo, v5
	v_and_b32_e32 v21, v21, v5
	v_lshlrev_b32_e32 v5, 29, v20
	v_cmp_gt_i64_e32 vcc, 0, v[4:5]
	v_not_b32_e32 v5, v5
	v_ashrrev_i32_e32 v5, 31, v5
	v_and_b32_e32 v109, v109, v110
	v_xor_b32_e32 v110, vcc_hi, v5
	v_xor_b32_e32 v5, vcc_lo, v5
	v_and_b32_e32 v21, v21, v5
	v_lshlrev_b32_e32 v5, 28, v20
	v_cmp_gt_i64_e32 vcc, 0, v[4:5]
	v_not_b32_e32 v5, v5
	v_ashrrev_i32_e32 v5, 31, v5
	v_and_b32_e32 v109, v109, v110
	;; [unrolled: 8-line block ×5, first 2 shown]
	v_xor_b32_e32 v110, vcc_hi, v5
	v_xor_b32_e32 v5, vcc_lo, v5
	v_and_b32_e32 v109, v109, v110
	v_and_b32_e32 v110, v21, v5
	v_lshlrev_b32_e32 v5, 24, v20
	v_cmp_gt_i64_e32 vcc, 0, v[4:5]
	v_not_b32_e32 v5, v5
	v_ashrrev_i32_e32 v5, 31, v5
	v_xor_b32_e32 v20, vcc_hi, v5
	v_xor_b32_e32 v5, vcc_lo, v5
	v_and_b32_e32 v21, v109, v20
	v_and_b32_e32 v20, v110, v5
	v_mbcnt_lo_u32_b32 v5, v20, 0
	v_mbcnt_hi_u32_b32 v109, v21, v5
	v_cmp_eq_u32_e32 vcc, 0, v109
	v_cmp_ne_u64_e64 s[36:37], 0, v[20:21]
	s_and_b64 s[38:39], s[36:37], vcc
	; wave barrier
	s_and_saveexec_b64 s[36:37], s[38:39]
	s_cbranch_execz .LBB322_264
; %bb.263:                              ;   in Loop: Header=BB322_240 Depth=2
	v_bcnt_u32_b32 v5, v20, 0
	v_bcnt_u32_b32 v5, v21, v5
	s_waitcnt lgkmcnt(0)
	v_add_u32_e32 v5, v107, v5
	ds_write_b32 v108, v5
.LBB322_264:                            ;   in Loop: Header=BB322_240 Depth=2
	s_or_b64 exec, exec, s[36:37]
	v_xor_b32_e32 v91, 0x7f, v91
	v_lshrrev_b32_sdwa v5, s68, v91 dst_sel:DWORD dst_unused:UNUSED_PAD src0_sel:DWORD src1_sel:BYTE_0
	v_and_b32_e32 v20, s77, v5
	v_mul_u32_u24_e32 v5, 5, v20
	v_add_lshl_u32 v5, v5, v88, 2
	; wave barrier
	v_add_u32_e32 v111, 0x410, v5
	ds_read_b32 v110, v5 offset:1040
	v_and_b32_e32 v5, 1, v20
	v_add_co_u32_e32 v21, vcc, -1, v5
	v_addc_co_u32_e64 v112, s[36:37], 0, -1, vcc
	v_cmp_ne_u32_e32 vcc, 0, v5
	v_xor_b32_e32 v5, vcc_hi, v112
	v_and_b32_e32 v112, exec_hi, v5
	v_lshlrev_b32_e32 v5, 30, v20
	v_xor_b32_e32 v21, vcc_lo, v21
	v_cmp_gt_i64_e32 vcc, 0, v[4:5]
	v_not_b32_e32 v5, v5
	v_ashrrev_i32_e32 v5, 31, v5
	v_and_b32_e32 v21, exec_lo, v21
	v_xor_b32_e32 v113, vcc_hi, v5
	v_xor_b32_e32 v5, vcc_lo, v5
	v_and_b32_e32 v21, v21, v5
	v_lshlrev_b32_e32 v5, 29, v20
	v_cmp_gt_i64_e32 vcc, 0, v[4:5]
	v_not_b32_e32 v5, v5
	v_ashrrev_i32_e32 v5, 31, v5
	v_and_b32_e32 v112, v112, v113
	v_xor_b32_e32 v113, vcc_hi, v5
	v_xor_b32_e32 v5, vcc_lo, v5
	v_and_b32_e32 v21, v21, v5
	v_lshlrev_b32_e32 v5, 28, v20
	v_cmp_gt_i64_e32 vcc, 0, v[4:5]
	v_not_b32_e32 v5, v5
	v_ashrrev_i32_e32 v5, 31, v5
	v_and_b32_e32 v112, v112, v113
	;; [unrolled: 8-line block ×5, first 2 shown]
	v_xor_b32_e32 v113, vcc_hi, v5
	v_xor_b32_e32 v5, vcc_lo, v5
	v_and_b32_e32 v112, v112, v113
	v_and_b32_e32 v113, v21, v5
	v_lshlrev_b32_e32 v5, 24, v20
	v_cmp_gt_i64_e32 vcc, 0, v[4:5]
	v_not_b32_e32 v5, v5
	v_ashrrev_i32_e32 v5, 31, v5
	v_xor_b32_e32 v20, vcc_hi, v5
	v_xor_b32_e32 v5, vcc_lo, v5
	v_and_b32_e32 v21, v112, v20
	v_and_b32_e32 v20, v113, v5
	v_mbcnt_lo_u32_b32 v5, v20, 0
	v_mbcnt_hi_u32_b32 v112, v21, v5
	v_cmp_eq_u32_e32 vcc, 0, v112
	v_cmp_ne_u64_e64 s[36:37], 0, v[20:21]
	s_and_b64 s[38:39], s[36:37], vcc
	; wave barrier
	s_and_saveexec_b64 s[36:37], s[38:39]
	s_cbranch_execz .LBB322_266
; %bb.265:                              ;   in Loop: Header=BB322_240 Depth=2
	v_bcnt_u32_b32 v5, v20, 0
	v_bcnt_u32_b32 v5, v21, v5
	s_waitcnt lgkmcnt(0)
	v_add_u32_e32 v5, v110, v5
	ds_write_b32 v111, v5
.LBB322_266:                            ;   in Loop: Header=BB322_240 Depth=2
	s_or_b64 exec, exec, s[36:37]
	v_xor_b32_e32 v113, 0x7f, v23
	v_lshrrev_b32_sdwa v5, s68, v113 dst_sel:DWORD dst_unused:UNUSED_PAD src0_sel:DWORD src1_sel:BYTE_0
	v_and_b32_e32 v20, s77, v5
	v_mul_u32_u24_e32 v5, 5, v20
	v_add_lshl_u32 v5, v5, v88, 2
	; wave barrier
	v_add_u32_e32 v115, 0x410, v5
	ds_read_b32 v114, v5 offset:1040
	v_and_b32_e32 v5, 1, v20
	v_add_co_u32_e32 v21, vcc, -1, v5
	v_addc_co_u32_e64 v23, s[36:37], 0, -1, vcc
	v_cmp_ne_u32_e32 vcc, 0, v5
	v_xor_b32_e32 v5, vcc_hi, v23
	v_and_b32_e32 v23, exec_hi, v5
	v_lshlrev_b32_e32 v5, 30, v20
	v_xor_b32_e32 v21, vcc_lo, v21
	v_cmp_gt_i64_e32 vcc, 0, v[4:5]
	v_not_b32_e32 v5, v5
	v_ashrrev_i32_e32 v5, 31, v5
	v_and_b32_e32 v21, exec_lo, v21
	v_xor_b32_e32 v116, vcc_hi, v5
	v_xor_b32_e32 v5, vcc_lo, v5
	v_and_b32_e32 v21, v21, v5
	v_lshlrev_b32_e32 v5, 29, v20
	v_cmp_gt_i64_e32 vcc, 0, v[4:5]
	v_not_b32_e32 v5, v5
	v_ashrrev_i32_e32 v5, 31, v5
	v_and_b32_e32 v23, v23, v116
	v_xor_b32_e32 v116, vcc_hi, v5
	v_xor_b32_e32 v5, vcc_lo, v5
	v_and_b32_e32 v21, v21, v5
	v_lshlrev_b32_e32 v5, 28, v20
	v_cmp_gt_i64_e32 vcc, 0, v[4:5]
	v_not_b32_e32 v5, v5
	v_ashrrev_i32_e32 v5, 31, v5
	v_and_b32_e32 v23, v23, v116
	;; [unrolled: 8-line block ×5, first 2 shown]
	v_xor_b32_e32 v116, vcc_hi, v5
	v_xor_b32_e32 v5, vcc_lo, v5
	v_and_b32_e32 v23, v23, v116
	v_and_b32_e32 v116, v21, v5
	v_lshlrev_b32_e32 v5, 24, v20
	v_cmp_gt_i64_e32 vcc, 0, v[4:5]
	v_not_b32_e32 v5, v5
	v_ashrrev_i32_e32 v5, 31, v5
	v_xor_b32_e32 v20, vcc_hi, v5
	v_xor_b32_e32 v5, vcc_lo, v5
	v_and_b32_e32 v21, v23, v20
	v_and_b32_e32 v20, v116, v5
	v_mbcnt_lo_u32_b32 v5, v20, 0
	v_mbcnt_hi_u32_b32 v116, v21, v5
	v_cmp_eq_u32_e32 vcc, 0, v116
	v_cmp_ne_u64_e64 s[36:37], 0, v[20:21]
	s_and_b64 s[38:39], s[36:37], vcc
	; wave barrier
	s_and_saveexec_b64 s[36:37], s[38:39]
	s_cbranch_execz .LBB322_268
; %bb.267:                              ;   in Loop: Header=BB322_240 Depth=2
	v_bcnt_u32_b32 v5, v20, 0
	v_bcnt_u32_b32 v5, v21, v5
	s_waitcnt lgkmcnt(0)
	v_add_u32_e32 v5, v114, v5
	ds_write_b32 v115, v5
.LBB322_268:                            ;   in Loop: Header=BB322_240 Depth=2
	s_or_b64 exec, exec, s[36:37]
	v_xor_b32_e32 v117, 0x7f, v22
	v_lshrrev_b32_sdwa v5, s68, v117 dst_sel:DWORD dst_unused:UNUSED_PAD src0_sel:DWORD src1_sel:BYTE_0
	v_and_b32_e32 v20, s77, v5
	v_mul_u32_u24_e32 v5, 5, v20
	v_add_lshl_u32 v5, v5, v88, 2
	; wave barrier
	v_add_u32_e32 v119, 0x410, v5
	ds_read_b32 v118, v5 offset:1040
	v_and_b32_e32 v5, 1, v20
	v_add_co_u32_e32 v21, vcc, -1, v5
	v_addc_co_u32_e64 v22, s[36:37], 0, -1, vcc
	v_cmp_ne_u32_e32 vcc, 0, v5
	v_xor_b32_e32 v5, vcc_hi, v22
	v_and_b32_e32 v22, exec_hi, v5
	v_lshlrev_b32_e32 v5, 30, v20
	v_xor_b32_e32 v21, vcc_lo, v21
	v_cmp_gt_i64_e32 vcc, 0, v[4:5]
	v_not_b32_e32 v5, v5
	v_ashrrev_i32_e32 v5, 31, v5
	v_and_b32_e32 v21, exec_lo, v21
	v_xor_b32_e32 v23, vcc_hi, v5
	v_xor_b32_e32 v5, vcc_lo, v5
	v_and_b32_e32 v21, v21, v5
	v_lshlrev_b32_e32 v5, 29, v20
	v_cmp_gt_i64_e32 vcc, 0, v[4:5]
	v_not_b32_e32 v5, v5
	v_ashrrev_i32_e32 v5, 31, v5
	v_and_b32_e32 v22, v22, v23
	v_xor_b32_e32 v23, vcc_hi, v5
	v_xor_b32_e32 v5, vcc_lo, v5
	v_and_b32_e32 v21, v21, v5
	v_lshlrev_b32_e32 v5, 28, v20
	v_cmp_gt_i64_e32 vcc, 0, v[4:5]
	v_not_b32_e32 v5, v5
	v_ashrrev_i32_e32 v5, 31, v5
	v_and_b32_e32 v22, v22, v23
	v_xor_b32_e32 v23, vcc_hi, v5
	v_xor_b32_e32 v5, vcc_lo, v5
	v_and_b32_e32 v21, v21, v5
	v_lshlrev_b32_e32 v5, 27, v20
	v_cmp_gt_i64_e32 vcc, 0, v[4:5]
	v_not_b32_e32 v5, v5
	v_ashrrev_i32_e32 v5, 31, v5
	v_and_b32_e32 v22, v22, v23
	v_xor_b32_e32 v23, vcc_hi, v5
	v_xor_b32_e32 v5, vcc_lo, v5
	v_and_b32_e32 v21, v21, v5
	v_lshlrev_b32_e32 v5, 26, v20
	v_cmp_gt_i64_e32 vcc, 0, v[4:5]
	v_not_b32_e32 v5, v5
	v_ashrrev_i32_e32 v5, 31, v5
	v_and_b32_e32 v22, v22, v23
	v_xor_b32_e32 v23, vcc_hi, v5
	v_xor_b32_e32 v5, vcc_lo, v5
	v_and_b32_e32 v21, v21, v5
	v_lshlrev_b32_e32 v5, 25, v20
	v_cmp_gt_i64_e32 vcc, 0, v[4:5]
	v_not_b32_e32 v5, v5
	v_ashrrev_i32_e32 v5, 31, v5
	v_and_b32_e32 v22, v22, v23
	v_xor_b32_e32 v23, vcc_hi, v5
	v_xor_b32_e32 v5, vcc_lo, v5
	v_and_b32_e32 v22, v22, v23
	v_and_b32_e32 v23, v21, v5
	v_lshlrev_b32_e32 v5, 24, v20
	v_cmp_gt_i64_e32 vcc, 0, v[4:5]
	v_not_b32_e32 v5, v5
	v_ashrrev_i32_e32 v5, 31, v5
	v_xor_b32_e32 v20, vcc_hi, v5
	v_xor_b32_e32 v5, vcc_lo, v5
	v_and_b32_e32 v21, v22, v20
	v_and_b32_e32 v20, v23, v5
	v_mbcnt_lo_u32_b32 v5, v20, 0
	v_mbcnt_hi_u32_b32 v120, v21, v5
	v_cmp_eq_u32_e32 vcc, 0, v120
	v_cmp_ne_u64_e64 s[36:37], 0, v[20:21]
	s_and_b64 s[38:39], s[36:37], vcc
	; wave barrier
	s_and_saveexec_b64 s[36:37], s[38:39]
	s_cbranch_execz .LBB322_270
; %bb.269:                              ;   in Loop: Header=BB322_240 Depth=2
	v_bcnt_u32_b32 v5, v20, 0
	v_bcnt_u32_b32 v5, v21, v5
	s_waitcnt lgkmcnt(0)
	v_add_u32_e32 v5, v118, v5
	ds_write_b32 v119, v5
.LBB322_270:                            ;   in Loop: Header=BB322_240 Depth=2
	s_or_b64 exec, exec, s[36:37]
	; wave barrier
	s_waitcnt lgkmcnt(0)
	s_barrier
	ds_read_b32 v5, v42 offset:1040
	ds_read2_b32 v[22:23], v44 offset0:1 offset1:2
	ds_read2_b32 v[20:21], v44 offset0:3 offset1:4
	s_waitcnt lgkmcnt(1)
	v_add3_u32 v121, v22, v5, v23
	s_waitcnt lgkmcnt(0)
	v_add3_u32 v21, v121, v20, v21
	s_nop 1
	v_mov_b32_dpp v121, v21 row_shr:1 row_mask:0xf bank_mask:0xf
	v_cndmask_b32_e64 v121, v121, 0, s[16:17]
	v_add_u32_e32 v21, v121, v21
	s_nop 1
	v_mov_b32_dpp v121, v21 row_shr:2 row_mask:0xf bank_mask:0xf
	v_cndmask_b32_e64 v121, 0, v121, s[18:19]
	v_add_u32_e32 v21, v21, v121
	;; [unrolled: 4-line block ×4, first 2 shown]
	s_nop 1
	v_mov_b32_dpp v121, v21 row_bcast:15 row_mask:0xf bank_mask:0xf
	v_cndmask_b32_e64 v121, v121, 0, s[24:25]
	v_add_u32_e32 v21, v21, v121
	s_nop 1
	v_mov_b32_dpp v121, v21 row_bcast:31 row_mask:0xf bank_mask:0xf
	v_cndmask_b32_e64 v121, 0, v121, s[26:27]
	v_add_u32_e32 v21, v21, v121
	s_and_saveexec_b64 s[36:37], s[6:7]
	s_cbranch_execz .LBB322_272
; %bb.271:                              ;   in Loop: Header=BB322_240 Depth=2
	ds_write_b32 v35, v21 offset:1024
.LBB322_272:                            ;   in Loop: Header=BB322_240 Depth=2
	s_or_b64 exec, exec, s[36:37]
	s_waitcnt lgkmcnt(0)
	s_barrier
	s_and_saveexec_b64 s[36:37], s[8:9]
	s_cbranch_execz .LBB322_274
; %bb.273:                              ;   in Loop: Header=BB322_240 Depth=2
	v_add_u32_e32 v121, v42, v45
	ds_read_b32 v122, v121 offset:1024
	s_waitcnt lgkmcnt(0)
	s_nop 0
	v_mov_b32_dpp v123, v122 row_shr:1 row_mask:0xf bank_mask:0xf
	v_cndmask_b32_e64 v123, v123, 0, s[30:31]
	v_add_u32_e32 v122, v123, v122
	s_nop 1
	v_mov_b32_dpp v123, v122 row_shr:2 row_mask:0xf bank_mask:0xf
	v_cndmask_b32_e64 v123, 0, v123, s[34:35]
	v_add_u32_e32 v122, v122, v123
	ds_write_b32 v121, v122 offset:1024
.LBB322_274:                            ;   in Loop: Header=BB322_240 Depth=2
	s_or_b64 exec, exec, s[36:37]
	v_mov_b32_e32 v121, 0
	s_waitcnt lgkmcnt(0)
	s_barrier
	s_and_saveexec_b64 s[36:37], s[10:11]
	s_cbranch_execz .LBB322_276
; %bb.275:                              ;   in Loop: Header=BB322_240 Depth=2
	ds_read_b32 v121, v35 offset:1020
.LBB322_276:                            ;   in Loop: Header=BB322_240 Depth=2
	s_or_b64 exec, exec, s[36:37]
	s_waitcnt lgkmcnt(0)
	v_add_u32_e32 v21, v121, v21
	ds_bpermute_b32 v21, v65, v21
	s_waitcnt lgkmcnt(0)
	v_cndmask_b32_e64 v21, v21, v121, s[28:29]
	v_cndmask_b32_e64 v21, v21, 0, s[12:13]
	v_add_u32_e32 v5, v21, v5
	ds_write_b32 v42, v21 offset:1040
	v_add_u32_e32 v21, v5, v22
	v_add_u32_e32 v22, v21, v23
	ds_write2_b32 v44, v5, v21 offset0:1 offset1:2
	v_add_u32_e32 v5, v22, v20
	ds_write2_b32 v44, v22, v5 offset0:3 offset1:4
	s_waitcnt lgkmcnt(0)
	s_barrier
	ds_read_b32 v20, v97
	ds_read_b32 v21, v102
	;; [unrolled: 1-line block ×8, first 2 shown]
	ds_read_b32 v97, v42 offset:1040
	v_mov_b32_e32 v5, 0x800
	s_and_saveexec_b64 s[36:37], s[14:15]
	s_cbranch_execz .LBB322_278
; %bb.277:                              ;   in Loop: Header=BB322_240 Depth=2
	ds_read_b32 v5, v42 offset:1060
.LBB322_278:                            ;   in Loop: Header=BB322_240 Depth=2
	s_or_b64 exec, exec, s[36:37]
	s_waitcnt lgkmcnt(0)
	s_barrier
	s_and_saveexec_b64 s[36:37], s[4:5]
	s_cbranch_execz .LBB322_280
; %bb.279:                              ;   in Loop: Header=BB322_240 Depth=2
	ds_read_b32 v102, v3
	s_waitcnt lgkmcnt(0)
	v_sub_u32_e32 v97, v102, v97
	ds_write_b32 v3, v97
.LBB322_280:                            ;   in Loop: Header=BB322_240 Depth=2
	s_or_b64 exec, exec, s[36:37]
	v_add_u32_e32 v102, v92, v93
	v_add3_u32 v98, v98, v95, v20
	v_add3_u32 v97, v103, v100, v21
	;; [unrolled: 1-line block ×7, first 2 shown]
	v_cmp_lt_u32_e64 s[48:49], v2, v89
	ds_write_b8 v102, v90 offset:1024
	ds_write_b8 v98, v94 offset:1024
	;; [unrolled: 1-line block ×8, first 2 shown]
	s_waitcnt lgkmcnt(0)
	s_barrier
	s_and_saveexec_b64 s[36:37], s[48:49]
	s_cbranch_execz .LBB322_288
; %bb.281:                              ;   in Loop: Header=BB322_240 Depth=2
	ds_read_u8 v20, v2 offset:1024
	s_waitcnt lgkmcnt(0)
	v_lshrrev_b32_sdwa v21, s68, v20 dst_sel:DWORD dst_unused:UNUSED_PAD src0_sel:DWORD src1_sel:BYTE_0
	v_and_b32_e32 v21, s77, v21
	v_lshlrev_b32_e32 v21, 2, v21
	ds_read_b32 v21, v21
	v_xor_b32_e32 v20, 0x7f, v20
	s_waitcnt lgkmcnt(0)
	v_add_u32_e32 v21, v21, v2
	global_store_byte v21, v20, s[60:61]
	s_or_b64 exec, exec, s[36:37]
	v_cmp_lt_u32_e64 s[46:47], v24, v89
	s_and_saveexec_b64 s[36:37], s[46:47]
	s_cbranch_execnz .LBB322_289
.LBB322_282:                            ;   in Loop: Header=BB322_240 Depth=2
	s_or_b64 exec, exec, s[36:37]
	v_cmp_lt_u32_e64 s[44:45], v25, v89
	s_and_saveexec_b64 s[36:37], s[44:45]
	s_cbranch_execz .LBB322_290
.LBB322_283:                            ;   in Loop: Header=BB322_240 Depth=2
	ds_read_u8 v20, v30 offset:512
	s_waitcnt lgkmcnt(0)
	v_lshrrev_b32_sdwa v21, s68, v20 dst_sel:DWORD dst_unused:UNUSED_PAD src0_sel:DWORD src1_sel:BYTE_0
	v_and_b32_e32 v21, s77, v21
	v_lshlrev_b32_e32 v21, 2, v21
	ds_read_b32 v21, v21
	v_xor_b32_e32 v20, 0x7f, v20
	s_waitcnt lgkmcnt(0)
	v_add_u32_e32 v21, v21, v25
	global_store_byte v21, v20, s[60:61]
	s_or_b64 exec, exec, s[36:37]
	v_cmp_lt_u32_e64 s[42:43], v26, v89
	s_and_saveexec_b64 s[36:37], s[42:43]
	s_cbranch_execnz .LBB322_291
.LBB322_284:                            ;   in Loop: Header=BB322_240 Depth=2
	s_or_b64 exec, exec, s[36:37]
	v_cmp_lt_u32_e64 s[40:41], v30, v89
	s_and_saveexec_b64 s[36:37], s[40:41]
	s_cbranch_execz .LBB322_292
.LBB322_285:                            ;   in Loop: Header=BB322_240 Depth=2
	ds_read_u8 v20, v30 offset:1024
	s_waitcnt lgkmcnt(0)
	v_lshrrev_b32_sdwa v21, s68, v20 dst_sel:DWORD dst_unused:UNUSED_PAD src0_sel:DWORD src1_sel:BYTE_0
	v_and_b32_e32 v21, s77, v21
	v_lshlrev_b32_e32 v21, 2, v21
	ds_read_b32 v21, v21
	v_xor_b32_e32 v20, 0x7f, v20
	s_waitcnt lgkmcnt(0)
	v_add_u32_e32 v21, v21, v30
	global_store_byte v21, v20, s[60:61]
	s_or_b64 exec, exec, s[36:37]
	v_cmp_lt_u32_e64 s[38:39], v31, v89
	s_and_saveexec_b64 s[36:37], s[38:39]
	s_cbranch_execnz .LBB322_293
.LBB322_286:                            ;   in Loop: Header=BB322_240 Depth=2
	s_or_b64 exec, exec, s[36:37]
	v_cmp_lt_u32_e64 s[36:37], v32, v89
	s_and_saveexec_b64 s[52:53], s[36:37]
	s_cbranch_execz .LBB322_294
.LBB322_287:                            ;   in Loop: Header=BB322_240 Depth=2
	ds_read_u8 v20, v30 offset:1536
	s_waitcnt lgkmcnt(0)
	v_lshrrev_b32_sdwa v21, s68, v20 dst_sel:DWORD dst_unused:UNUSED_PAD src0_sel:DWORD src1_sel:BYTE_0
	v_and_b32_e32 v21, s77, v21
	v_lshlrev_b32_e32 v21, 2, v21
	ds_read_b32 v21, v21
	v_xor_b32_e32 v20, 0x7f, v20
	s_waitcnt lgkmcnt(0)
	v_add_u32_e32 v21, v21, v32
	global_store_byte v21, v20, s[60:61]
	s_or_b64 exec, exec, s[52:53]
	v_cmp_lt_u32_e32 vcc, v33, v89
	s_and_saveexec_b64 s[52:53], vcc
	s_cbranch_execnz .LBB322_295
	s_branch .LBB322_296
.LBB322_288:                            ;   in Loop: Header=BB322_240 Depth=2
	s_or_b64 exec, exec, s[36:37]
	v_cmp_lt_u32_e64 s[46:47], v24, v89
	s_and_saveexec_b64 s[36:37], s[46:47]
	s_cbranch_execz .LBB322_282
.LBB322_289:                            ;   in Loop: Header=BB322_240 Depth=2
	ds_read_u8 v20, v30 offset:256
	s_waitcnt lgkmcnt(0)
	v_lshrrev_b32_sdwa v21, s68, v20 dst_sel:DWORD dst_unused:UNUSED_PAD src0_sel:DWORD src1_sel:BYTE_0
	v_and_b32_e32 v21, s77, v21
	v_lshlrev_b32_e32 v21, 2, v21
	ds_read_b32 v21, v21
	v_xor_b32_e32 v20, 0x7f, v20
	s_waitcnt lgkmcnt(0)
	v_add_u32_e32 v21, v21, v24
	global_store_byte v21, v20, s[60:61]
	s_or_b64 exec, exec, s[36:37]
	v_cmp_lt_u32_e64 s[44:45], v25, v89
	s_and_saveexec_b64 s[36:37], s[44:45]
	s_cbranch_execnz .LBB322_283
.LBB322_290:                            ;   in Loop: Header=BB322_240 Depth=2
	s_or_b64 exec, exec, s[36:37]
	v_cmp_lt_u32_e64 s[42:43], v26, v89
	s_and_saveexec_b64 s[36:37], s[42:43]
	s_cbranch_execz .LBB322_284
.LBB322_291:                            ;   in Loop: Header=BB322_240 Depth=2
	ds_read_u8 v20, v30 offset:768
	s_waitcnt lgkmcnt(0)
	v_lshrrev_b32_sdwa v21, s68, v20 dst_sel:DWORD dst_unused:UNUSED_PAD src0_sel:DWORD src1_sel:BYTE_0
	v_and_b32_e32 v21, s77, v21
	v_lshlrev_b32_e32 v21, 2, v21
	ds_read_b32 v21, v21
	v_xor_b32_e32 v20, 0x7f, v20
	s_waitcnt lgkmcnt(0)
	v_add_u32_e32 v21, v21, v26
	global_store_byte v21, v20, s[60:61]
	s_or_b64 exec, exec, s[36:37]
	v_cmp_lt_u32_e64 s[40:41], v30, v89
	s_and_saveexec_b64 s[36:37], s[40:41]
	s_cbranch_execnz .LBB322_285
.LBB322_292:                            ;   in Loop: Header=BB322_240 Depth=2
	s_or_b64 exec, exec, s[36:37]
	v_cmp_lt_u32_e64 s[38:39], v31, v89
	s_and_saveexec_b64 s[36:37], s[38:39]
	s_cbranch_execz .LBB322_286
.LBB322_293:                            ;   in Loop: Header=BB322_240 Depth=2
	ds_read_u8 v20, v30 offset:1280
	s_waitcnt lgkmcnt(0)
	v_lshrrev_b32_sdwa v21, s68, v20 dst_sel:DWORD dst_unused:UNUSED_PAD src0_sel:DWORD src1_sel:BYTE_0
	v_and_b32_e32 v21, s77, v21
	v_lshlrev_b32_e32 v21, 2, v21
	ds_read_b32 v21, v21
	v_xor_b32_e32 v20, 0x7f, v20
	s_waitcnt lgkmcnt(0)
	v_add_u32_e32 v21, v21, v31
	global_store_byte v21, v20, s[60:61]
	s_or_b64 exec, exec, s[36:37]
	v_cmp_lt_u32_e64 s[36:37], v32, v89
	s_and_saveexec_b64 s[52:53], s[36:37]
	s_cbranch_execnz .LBB322_287
.LBB322_294:                            ;   in Loop: Header=BB322_240 Depth=2
	s_or_b64 exec, exec, s[52:53]
	v_cmp_lt_u32_e32 vcc, v33, v89
	s_and_saveexec_b64 s[52:53], vcc
	s_cbranch_execz .LBB322_296
.LBB322_295:                            ;   in Loop: Header=BB322_240 Depth=2
	ds_read_u8 v20, v30 offset:1792
	s_waitcnt lgkmcnt(0)
	v_lshrrev_b32_sdwa v21, s68, v20 dst_sel:DWORD dst_unused:UNUSED_PAD src0_sel:DWORD src1_sel:BYTE_0
	v_and_b32_e32 v21, s77, v21
	v_lshlrev_b32_e32 v21, 2, v21
	ds_read_b32 v21, v21
	v_xor_b32_e32 v20, 0x7f, v20
	s_waitcnt lgkmcnt(0)
	v_add_u32_e32 v21, v21, v33
	global_store_byte v21, v20, s[60:61]
.LBB322_296:                            ;   in Loop: Header=BB322_240 Depth=2
	s_or_b64 exec, exec, s[52:53]
	s_lshl_b64 s[52:53], s[72:73], 3
	v_mov_b32_e32 v21, s53
	v_add_co_u32_e64 v20, s[52:53], s52, v77
	v_addc_co_u32_e64 v21, s[52:53], v78, v21, s[52:53]
	v_cmp_lt_u32_e64 s[52:53], v72, v89
	s_and_saveexec_b64 s[62:63], s[52:53]
	s_xor_b64 s[52:53], exec, s[62:63]
	s_cbranch_execz .LBB322_312
; %bb.297:                              ;   in Loop: Header=BB322_240 Depth=2
	global_load_dwordx2 v[18:19], v[20:21], off
	s_or_b64 exec, exec, s[52:53]
	v_cmp_lt_u32_e64 s[52:53], v79, v89
	s_and_saveexec_b64 s[62:63], s[52:53]
	s_cbranch_execnz .LBB322_313
.LBB322_298:                            ;   in Loop: Header=BB322_240 Depth=2
	s_or_b64 exec, exec, s[62:63]
	v_cmp_lt_u32_e64 s[52:53], v80, v89
	s_and_saveexec_b64 s[62:63], s[52:53]
	s_cbranch_execz .LBB322_314
.LBB322_299:                            ;   in Loop: Header=BB322_240 Depth=2
	global_load_dwordx2 v[14:15], v[20:21], off offset:1024
	s_or_b64 exec, exec, s[62:63]
	v_cmp_lt_u32_e64 s[52:53], v81, v89
	s_and_saveexec_b64 s[62:63], s[52:53]
	s_cbranch_execnz .LBB322_315
.LBB322_300:                            ;   in Loop: Header=BB322_240 Depth=2
	s_or_b64 exec, exec, s[62:63]
	v_cmp_lt_u32_e64 s[52:53], v82, v89
	s_and_saveexec_b64 s[62:63], s[52:53]
	s_cbranch_execz .LBB322_316
.LBB322_301:                            ;   in Loop: Header=BB322_240 Depth=2
	global_load_dwordx2 v[10:11], v[20:21], off offset:2048
	s_or_b64 exec, exec, s[62:63]
	v_cmp_lt_u32_e64 s[52:53], v83, v89
	s_and_saveexec_b64 s[62:63], s[52:53]
	s_cbranch_execnz .LBB322_317
.LBB322_302:                            ;   in Loop: Header=BB322_240 Depth=2
	s_or_b64 exec, exec, s[62:63]
	v_cmp_lt_u32_e64 s[52:53], v84, v89
	s_and_saveexec_b64 s[62:63], s[52:53]
	s_cbranch_execz .LBB322_318
.LBB322_303:                            ;   in Loop: Header=BB322_240 Depth=2
	global_load_dwordx2 v[6:7], v[20:21], off offset:3072
	s_or_b64 exec, exec, s[62:63]
	v_cmp_lt_u32_e64 s[52:53], v85, v89
	s_and_saveexec_b64 s[62:63], s[52:53]
	s_cbranch_execnz .LBB322_319
.LBB322_304:                            ;   in Loop: Header=BB322_240 Depth=2
	s_or_b64 exec, exec, s[62:63]
	s_and_saveexec_b64 s[52:53], s[48:49]
	s_cbranch_execz .LBB322_320
.LBB322_305:                            ;   in Loop: Header=BB322_240 Depth=2
	ds_read_u8 v20, v2 offset:1024
	s_waitcnt lgkmcnt(0)
	v_lshrrev_b32_e32 v20, s68, v20
	v_and_b32_e32 v75, s77, v20
	s_or_b64 exec, exec, s[52:53]
	s_and_saveexec_b64 s[52:53], s[46:47]
	s_cbranch_execnz .LBB322_321
.LBB322_306:                            ;   in Loop: Header=BB322_240 Depth=2
	s_or_b64 exec, exec, s[52:53]
	s_and_saveexec_b64 s[52:53], s[44:45]
	s_cbranch_execz .LBB322_322
.LBB322_307:                            ;   in Loop: Header=BB322_240 Depth=2
	ds_read_u8 v20, v30 offset:512
	s_waitcnt lgkmcnt(0)
	v_lshrrev_b32_e32 v20, s68, v20
	v_and_b32_e32 v71, s77, v20
	s_or_b64 exec, exec, s[52:53]
	s_and_saveexec_b64 s[52:53], s[42:43]
	s_cbranch_execnz .LBB322_323
.LBB322_308:                            ;   in Loop: Header=BB322_240 Depth=2
	s_or_b64 exec, exec, s[52:53]
	s_and_saveexec_b64 s[52:53], s[40:41]
	s_cbranch_execz .LBB322_324
.LBB322_309:                            ;   in Loop: Header=BB322_240 Depth=2
	ds_read_u8 v20, v30 offset:1024
	s_waitcnt lgkmcnt(0)
	v_lshrrev_b32_e32 v20, s68, v20
	v_and_b32_e32 v69, s77, v20
	s_or_b64 exec, exec, s[52:53]
	s_and_saveexec_b64 s[52:53], s[38:39]
	s_cbranch_execnz .LBB322_325
.LBB322_310:                            ;   in Loop: Header=BB322_240 Depth=2
	s_or_b64 exec, exec, s[52:53]
	s_and_saveexec_b64 s[52:53], s[36:37]
	s_cbranch_execz .LBB322_326
.LBB322_311:                            ;   in Loop: Header=BB322_240 Depth=2
	ds_read_u8 v20, v30 offset:1536
	s_waitcnt lgkmcnt(0)
	v_lshrrev_b32_e32 v20, s68, v20
	v_and_b32_e32 v67, s77, v20
	s_or_b64 exec, exec, s[52:53]
	s_and_saveexec_b64 s[52:53], vcc
	s_cbranch_execnz .LBB322_327
	s_branch .LBB322_328
.LBB322_312:                            ;   in Loop: Header=BB322_240 Depth=2
	s_or_b64 exec, exec, s[52:53]
	v_cmp_lt_u32_e64 s[52:53], v79, v89
	s_and_saveexec_b64 s[62:63], s[52:53]
	s_cbranch_execz .LBB322_298
.LBB322_313:                            ;   in Loop: Header=BB322_240 Depth=2
	global_load_dwordx2 v[16:17], v[20:21], off offset:512
	s_or_b64 exec, exec, s[62:63]
	v_cmp_lt_u32_e64 s[52:53], v80, v89
	s_and_saveexec_b64 s[62:63], s[52:53]
	s_cbranch_execnz .LBB322_299
.LBB322_314:                            ;   in Loop: Header=BB322_240 Depth=2
	s_or_b64 exec, exec, s[62:63]
	v_cmp_lt_u32_e64 s[52:53], v81, v89
	s_and_saveexec_b64 s[62:63], s[52:53]
	s_cbranch_execz .LBB322_300
.LBB322_315:                            ;   in Loop: Header=BB322_240 Depth=2
	global_load_dwordx2 v[12:13], v[20:21], off offset:1536
	s_or_b64 exec, exec, s[62:63]
	v_cmp_lt_u32_e64 s[52:53], v82, v89
	s_and_saveexec_b64 s[62:63], s[52:53]
	s_cbranch_execnz .LBB322_301
.LBB322_316:                            ;   in Loop: Header=BB322_240 Depth=2
	s_or_b64 exec, exec, s[62:63]
	v_cmp_lt_u32_e64 s[52:53], v83, v89
	s_and_saveexec_b64 s[62:63], s[52:53]
	s_cbranch_execz .LBB322_302
.LBB322_317:                            ;   in Loop: Header=BB322_240 Depth=2
	global_load_dwordx2 v[8:9], v[20:21], off offset:2560
	s_or_b64 exec, exec, s[62:63]
	v_cmp_lt_u32_e64 s[52:53], v84, v89
	s_and_saveexec_b64 s[62:63], s[52:53]
	s_cbranch_execnz .LBB322_303
.LBB322_318:                            ;   in Loop: Header=BB322_240 Depth=2
	s_or_b64 exec, exec, s[62:63]
	v_cmp_lt_u32_e64 s[52:53], v85, v89
	s_and_saveexec_b64 s[62:63], s[52:53]
	s_cbranch_execz .LBB322_304
.LBB322_319:                            ;   in Loop: Header=BB322_240 Depth=2
	global_load_dwordx2 v[0:1], v[20:21], off offset:3584
	s_or_b64 exec, exec, s[62:63]
	s_and_saveexec_b64 s[52:53], s[48:49]
	s_cbranch_execnz .LBB322_305
.LBB322_320:                            ;   in Loop: Header=BB322_240 Depth=2
	s_or_b64 exec, exec, s[52:53]
	s_and_saveexec_b64 s[52:53], s[46:47]
	s_cbranch_execz .LBB322_306
.LBB322_321:                            ;   in Loop: Header=BB322_240 Depth=2
	ds_read_u8 v20, v30 offset:256
	s_waitcnt lgkmcnt(0)
	v_lshrrev_b32_e32 v20, s68, v20
	v_and_b32_e32 v73, s77, v20
	s_or_b64 exec, exec, s[52:53]
	s_and_saveexec_b64 s[52:53], s[44:45]
	s_cbranch_execnz .LBB322_307
.LBB322_322:                            ;   in Loop: Header=BB322_240 Depth=2
	s_or_b64 exec, exec, s[52:53]
	s_and_saveexec_b64 s[52:53], s[42:43]
	s_cbranch_execz .LBB322_308
.LBB322_323:                            ;   in Loop: Header=BB322_240 Depth=2
	ds_read_u8 v20, v30 offset:768
	s_waitcnt lgkmcnt(0)
	v_lshrrev_b32_e32 v20, s68, v20
	v_and_b32_e32 v70, s77, v20
	s_or_b64 exec, exec, s[52:53]
	s_and_saveexec_b64 s[52:53], s[40:41]
	s_cbranch_execnz .LBB322_309
.LBB322_324:                            ;   in Loop: Header=BB322_240 Depth=2
	s_or_b64 exec, exec, s[52:53]
	s_and_saveexec_b64 s[52:53], s[38:39]
	s_cbranch_execz .LBB322_310
.LBB322_325:                            ;   in Loop: Header=BB322_240 Depth=2
	ds_read_u8 v20, v30 offset:1280
	s_waitcnt lgkmcnt(0)
	v_lshrrev_b32_e32 v20, s68, v20
	v_and_b32_e32 v68, s77, v20
	s_or_b64 exec, exec, s[52:53]
	s_and_saveexec_b64 s[52:53], s[36:37]
	s_cbranch_execnz .LBB322_311
.LBB322_326:                            ;   in Loop: Header=BB322_240 Depth=2
	s_or_b64 exec, exec, s[52:53]
	s_and_saveexec_b64 s[52:53], vcc
	s_cbranch_execz .LBB322_328
.LBB322_327:                            ;   in Loop: Header=BB322_240 Depth=2
	ds_read_u8 v20, v30 offset:1792
	s_waitcnt lgkmcnt(0)
	v_lshrrev_b32_e32 v20, s68, v20
	v_and_b32_e32 v66, s77, v20
.LBB322_328:                            ;   in Loop: Header=BB322_240 Depth=2
	s_or_b64 exec, exec, s[52:53]
	v_lshlrev_b32_e32 v20, 3, v102
	s_barrier
	s_waitcnt vmcnt(0)
	ds_write_b64 v20, v[18:19] offset:1024
	v_lshlrev_b32_e32 v20, 3, v98
	ds_write_b64 v20, v[16:17] offset:1024
	v_lshlrev_b32_e32 v20, 3, v97
	;; [unrolled: 2-line block ×7, first 2 shown]
	ds_write_b64 v20, v[0:1] offset:1024
	s_waitcnt lgkmcnt(0)
	s_barrier
	s_and_saveexec_b64 s[52:53], s[48:49]
	s_cbranch_execz .LBB322_336
; %bb.329:                              ;   in Loop: Header=BB322_240 Depth=2
	v_lshlrev_b32_e32 v20, 2, v75
	ds_read_b32 v22, v20
	v_add_u32_e32 v20, v2, v50
	ds_read_b64 v[20:21], v20 offset:1024
	v_mov_b32_e32 v23, v4
	v_mov_b32_e32 v89, s67
	s_waitcnt lgkmcnt(1)
	v_add_u32_e32 v22, v22, v2
	v_lshlrev_b64 v[22:23], 3, v[22:23]
	v_add_co_u32_e64 v22, s[48:49], s66, v22
	v_addc_co_u32_e64 v23, s[48:49], v89, v23, s[48:49]
	s_waitcnt lgkmcnt(0)
	global_store_dwordx2 v[22:23], v[20:21], off
	s_or_b64 exec, exec, s[52:53]
	s_and_saveexec_b64 s[48:49], s[46:47]
	s_cbranch_execnz .LBB322_337
.LBB322_330:                            ;   in Loop: Header=BB322_240 Depth=2
	s_or_b64 exec, exec, s[48:49]
	s_and_saveexec_b64 s[46:47], s[44:45]
	s_cbranch_execz .LBB322_338
.LBB322_331:                            ;   in Loop: Header=BB322_240 Depth=2
	v_lshlrev_b32_e32 v20, 2, v71
	ds_read_b32 v22, v20
	v_add_u32_e32 v20, v30, v50
	ds_read_b64 v[20:21], v20 offset:4096
	v_mov_b32_e32 v23, v4
	v_mov_b32_e32 v89, s67
	s_waitcnt lgkmcnt(1)
	v_add_u32_e32 v22, v22, v25
	v_lshlrev_b64 v[22:23], 3, v[22:23]
	v_add_co_u32_e64 v22, s[44:45], s66, v22
	v_addc_co_u32_e64 v23, s[44:45], v89, v23, s[44:45]
	s_waitcnt lgkmcnt(0)
	global_store_dwordx2 v[22:23], v[20:21], off
	s_or_b64 exec, exec, s[46:47]
	s_and_saveexec_b64 s[44:45], s[42:43]
	s_cbranch_execnz .LBB322_339
.LBB322_332:                            ;   in Loop: Header=BB322_240 Depth=2
	s_or_b64 exec, exec, s[44:45]
	s_and_saveexec_b64 s[42:43], s[40:41]
	s_cbranch_execz .LBB322_340
.LBB322_333:                            ;   in Loop: Header=BB322_240 Depth=2
	v_lshlrev_b32_e32 v20, 2, v69
	ds_read_b32 v22, v20
	v_add_u32_e32 v20, v30, v50
	ds_read_b64 v[20:21], v20 offset:8192
	v_mov_b32_e32 v23, v4
	v_mov_b32_e32 v89, s67
	s_waitcnt lgkmcnt(1)
	v_add_u32_e32 v22, v22, v30
	v_lshlrev_b64 v[22:23], 3, v[22:23]
	v_add_co_u32_e64 v22, s[40:41], s66, v22
	v_addc_co_u32_e64 v23, s[40:41], v89, v23, s[40:41]
	s_waitcnt lgkmcnt(0)
	global_store_dwordx2 v[22:23], v[20:21], off
	s_or_b64 exec, exec, s[42:43]
	s_and_saveexec_b64 s[40:41], s[38:39]
	s_cbranch_execnz .LBB322_341
.LBB322_334:                            ;   in Loop: Header=BB322_240 Depth=2
	s_or_b64 exec, exec, s[40:41]
	s_and_saveexec_b64 s[38:39], s[36:37]
	s_cbranch_execz .LBB322_342
.LBB322_335:                            ;   in Loop: Header=BB322_240 Depth=2
	v_lshlrev_b32_e32 v20, 2, v67
	ds_read_b32 v22, v20
	v_add_u32_e32 v20, v30, v50
	ds_read_b64 v[20:21], v20 offset:12288
	v_mov_b32_e32 v23, v4
	v_mov_b32_e32 v89, s67
	s_waitcnt lgkmcnt(1)
	v_add_u32_e32 v22, v22, v32
	v_lshlrev_b64 v[22:23], 3, v[22:23]
	v_add_co_u32_e64 v22, s[36:37], s66, v22
	v_addc_co_u32_e64 v23, s[36:37], v89, v23, s[36:37]
	s_waitcnt lgkmcnt(0)
	global_store_dwordx2 v[22:23], v[20:21], off
	s_or_b64 exec, exec, s[38:39]
	s_and_saveexec_b64 s[36:37], vcc
	s_cbranch_execnz .LBB322_343
	s_branch .LBB322_344
.LBB322_336:                            ;   in Loop: Header=BB322_240 Depth=2
	s_or_b64 exec, exec, s[52:53]
	s_and_saveexec_b64 s[48:49], s[46:47]
	s_cbranch_execz .LBB322_330
.LBB322_337:                            ;   in Loop: Header=BB322_240 Depth=2
	v_lshlrev_b32_e32 v20, 2, v73
	ds_read_b32 v22, v20
	v_add_u32_e32 v20, v30, v50
	ds_read_b64 v[20:21], v20 offset:2048
	v_mov_b32_e32 v23, v4
	v_mov_b32_e32 v89, s67
	s_waitcnt lgkmcnt(1)
	v_add_u32_e32 v22, v22, v24
	v_lshlrev_b64 v[22:23], 3, v[22:23]
	v_add_co_u32_e64 v22, s[46:47], s66, v22
	v_addc_co_u32_e64 v23, s[46:47], v89, v23, s[46:47]
	s_waitcnt lgkmcnt(0)
	global_store_dwordx2 v[22:23], v[20:21], off
	s_or_b64 exec, exec, s[48:49]
	s_and_saveexec_b64 s[46:47], s[44:45]
	s_cbranch_execnz .LBB322_331
.LBB322_338:                            ;   in Loop: Header=BB322_240 Depth=2
	s_or_b64 exec, exec, s[46:47]
	s_and_saveexec_b64 s[44:45], s[42:43]
	s_cbranch_execz .LBB322_332
.LBB322_339:                            ;   in Loop: Header=BB322_240 Depth=2
	v_lshlrev_b32_e32 v20, 2, v70
	ds_read_b32 v22, v20
	v_add_u32_e32 v20, v30, v50
	ds_read_b64 v[20:21], v20 offset:6144
	v_mov_b32_e32 v23, v4
	v_mov_b32_e32 v89, s67
	s_waitcnt lgkmcnt(1)
	v_add_u32_e32 v22, v22, v26
	v_lshlrev_b64 v[22:23], 3, v[22:23]
	v_add_co_u32_e64 v22, s[42:43], s66, v22
	v_addc_co_u32_e64 v23, s[42:43], v89, v23, s[42:43]
	s_waitcnt lgkmcnt(0)
	global_store_dwordx2 v[22:23], v[20:21], off
	s_or_b64 exec, exec, s[44:45]
	s_and_saveexec_b64 s[42:43], s[40:41]
	s_cbranch_execnz .LBB322_333
.LBB322_340:                            ;   in Loop: Header=BB322_240 Depth=2
	s_or_b64 exec, exec, s[42:43]
	s_and_saveexec_b64 s[40:41], s[38:39]
	s_cbranch_execz .LBB322_334
.LBB322_341:                            ;   in Loop: Header=BB322_240 Depth=2
	v_lshlrev_b32_e32 v20, 2, v68
	ds_read_b32 v22, v20
	v_add_u32_e32 v20, v30, v50
	ds_read_b64 v[20:21], v20 offset:10240
	v_mov_b32_e32 v23, v4
	v_mov_b32_e32 v89, s67
	s_waitcnt lgkmcnt(1)
	v_add_u32_e32 v22, v22, v31
	v_lshlrev_b64 v[22:23], 3, v[22:23]
	v_add_co_u32_e64 v22, s[38:39], s66, v22
	v_addc_co_u32_e64 v23, s[38:39], v89, v23, s[38:39]
	s_waitcnt lgkmcnt(0)
	global_store_dwordx2 v[22:23], v[20:21], off
	s_or_b64 exec, exec, s[40:41]
	s_and_saveexec_b64 s[38:39], s[36:37]
	s_cbranch_execnz .LBB322_335
.LBB322_342:                            ;   in Loop: Header=BB322_240 Depth=2
	s_or_b64 exec, exec, s[38:39]
	s_and_saveexec_b64 s[36:37], vcc
	s_cbranch_execz .LBB322_344
.LBB322_343:                            ;   in Loop: Header=BB322_240 Depth=2
	v_lshlrev_b32_e32 v20, 2, v66
	ds_read_b32 v22, v20
	v_add_u32_e32 v20, v30, v50
	ds_read_b64 v[20:21], v20 offset:14336
	v_mov_b32_e32 v23, v4
	v_mov_b32_e32 v89, s67
	s_waitcnt lgkmcnt(1)
	v_add_u32_e32 v22, v22, v33
	v_lshlrev_b64 v[22:23], 3, v[22:23]
	v_add_co_u32_e32 v22, vcc, s66, v22
	v_addc_co_u32_e32 v23, vcc, v89, v23, vcc
	s_waitcnt lgkmcnt(0)
	global_store_dwordx2 v[22:23], v[20:21], off
.LBB322_344:                            ;   in Loop: Header=BB322_240 Depth=2
	s_or_b64 exec, exec, s[36:37]
	s_barrier
	s_and_saveexec_b64 s[36:37], s[4:5]
	s_cbranch_execz .LBB322_239
; %bb.345:                              ;   in Loop: Header=BB322_240 Depth=2
	ds_read_b32 v20, v3
	s_waitcnt lgkmcnt(0)
	v_add_u32_e32 v5, v20, v5
	ds_write_b32 v3, v5
	s_branch .LBB322_239
.LBB322_346:                            ;   in Loop: Header=BB322_240 Depth=2
	s_or_b64 exec, exec, s[36:37]
	v_cmp_gt_u32_e32 vcc, s78, v79
	s_and_saveexec_b64 s[36:37], vcc
	s_cbranch_execz .LBB322_246
.LBB322_347:                            ;   in Loop: Header=BB322_240 Depth=2
	global_load_ubyte v94, v[20:21], off offset:64
	s_or_b64 exec, exec, s[36:37]
	v_cmp_gt_u32_e32 vcc, s78, v80
	s_and_saveexec_b64 s[36:37], vcc
	s_cbranch_execnz .LBB322_247
.LBB322_348:                            ;   in Loop: Header=BB322_240 Depth=2
	s_or_b64 exec, exec, s[36:37]
	v_cmp_gt_u32_e32 vcc, s78, v81
	s_and_saveexec_b64 s[36:37], vcc
	s_cbranch_execz .LBB322_248
.LBB322_349:                            ;   in Loop: Header=BB322_240 Depth=2
	global_load_ubyte v101, v[20:21], off offset:192
	s_or_b64 exec, exec, s[36:37]
	v_cmp_gt_u32_e32 vcc, s78, v82
	s_and_saveexec_b64 s[36:37], vcc
	s_cbranch_execnz .LBB322_249
.LBB322_350:                            ;   in Loop: Header=BB322_240 Depth=2
	s_or_b64 exec, exec, s[36:37]
	v_cmp_gt_u32_e32 vcc, s78, v83
	s_and_saveexec_b64 s[36:37], vcc
	s_cbranch_execz .LBB322_250
.LBB322_351:                            ;   in Loop: Header=BB322_240 Depth=2
	global_load_ubyte v91, v[20:21], off offset:320
	s_or_b64 exec, exec, s[36:37]
	v_cmp_gt_u32_e32 vcc, s78, v84
	s_and_saveexec_b64 s[36:37], vcc
	s_cbranch_execnz .LBB322_251
	s_branch .LBB322_252
.LBB322_352:                            ;   in Loop: Header=BB322_20 Depth=1
	s_waitcnt lgkmcnt(0)
	s_barrier
.LBB322_353:                            ;   in Loop: Header=BB322_20 Depth=1
	s_mov_b64 s[16:17], 0
.LBB322_354:                            ;   in Loop: Header=BB322_20 Depth=1
	s_andn2_b64 vcc, exec, s[16:17]
	s_cbranch_vccnz .LBB322_19
; %bb.355:                              ;   in Loop: Header=BB322_20 Depth=1
	s_mov_b64 s[16:17], -1
	s_and_b64 vcc, exec, s[54:55]
	s_cbranch_vccz .LBB322_521
; %bb.356:                              ;   in Loop: Header=BB322_20 Depth=1
	s_mov_b32 s20, s71
	s_mov_b32 s22, s51
	s_barrier
	s_waitcnt lgkmcnt(0)
                                        ; implicit-def: $vgpr5
                                        ; implicit-def: $vgpr6
                                        ; implicit-def: $vgpr7
                                        ; implicit-def: $vgpr8
                                        ; implicit-def: $vgpr9
                                        ; implicit-def: $vgpr10
                                        ; implicit-def: $vgpr11
                                        ; implicit-def: $vgpr12
	s_branch .LBB322_358
.LBB322_357:                            ;   in Loop: Header=BB322_358 Depth=2
	s_or_b64 exec, exec, s[16:17]
	s_addk_i32 s20, 0xf800
	s_cmp_ge_u32 s21, s76
	s_mov_b32 s22, s21
	s_cbranch_scc1 .LBB322_396
.LBB322_358:                            ;   Parent Loop BB322_20 Depth=1
                                        ; =>  This Inner Loop Header: Depth=2
	s_add_i32 s21, s22, 0x800
	s_cmp_gt_u32 s21, s76
	s_cbranch_scc1 .LBB322_361
; %bb.359:                              ;   in Loop: Header=BB322_358 Depth=2
	v_add_co_u32_e32 v0, vcc, s22, v57
	v_addc_co_u32_e32 v1, vcc, 0, v58, vcc
	global_load_ubyte v20, v[0:1], off offset:1536
	global_load_ubyte v19, v[0:1], off offset:1280
	global_load_ubyte v18, v[0:1], off offset:1024
	global_load_ubyte v17, v[0:1], off offset:768
	global_load_ubyte v16, v[0:1], off offset:512
	global_load_ubyte v15, v[0:1], off offset:256
	global_load_ubyte v14, v[0:1], off
	v_add_co_u32_e32 v0, vcc, 0x700, v0
	v_addc_co_u32_e32 v1, vcc, 0, v1, vcc
	s_mov_b64 s[16:17], -1
	s_movk_i32 s25, 0x800
	s_cbranch_execz .LBB322_362
; %bb.360:                              ;   in Loop: Header=BB322_358 Depth=2
                                        ; implicit-def: $vgpr5
                                        ; implicit-def: $vgpr6
                                        ; implicit-def: $vgpr7
                                        ; implicit-def: $vgpr8
                                        ; implicit-def: $vgpr9
                                        ; implicit-def: $vgpr10
                                        ; implicit-def: $vgpr11
                                        ; implicit-def: $vgpr12
	v_mov_b32_e32 v13, s20
	s_and_saveexec_b64 s[18:19], s[16:17]
	s_cbranch_execnz .LBB322_373
	s_branch .LBB322_374
.LBB322_361:                            ;   in Loop: Header=BB322_358 Depth=2
	s_mov_b64 s[16:17], 0
                                        ; implicit-def: $sgpr25
                                        ; implicit-def: $vgpr14
                                        ; implicit-def: $vgpr15
                                        ; implicit-def: $vgpr16
                                        ; implicit-def: $vgpr17
                                        ; implicit-def: $vgpr18
                                        ; implicit-def: $vgpr19
                                        ; implicit-def: $vgpr20
                                        ; implicit-def: $vgpr0_vgpr1
.LBB322_362:                            ;   in Loop: Header=BB322_358 Depth=2
	s_add_u32 s23, s56, s22
	s_addc_u32 s24, s57, 0
	v_cmp_gt_u32_e32 vcc, s20, v2
	s_and_saveexec_b64 s[18:19], vcc
	s_cbranch_execz .LBB322_390
; %bb.363:                              ;   in Loop: Header=BB322_358 Depth=2
	v_mov_b32_e32 v1, s24
	v_add_co_u32_e32 v0, vcc, s23, v2
	v_addc_co_u32_e32 v1, vcc, 0, v1, vcc
	global_load_ubyte v5, v[0:1], off
	s_or_b64 exec, exec, s[18:19]
	v_cmp_gt_u32_e32 vcc, s20, v24
	s_and_saveexec_b64 s[18:19], vcc
	s_cbranch_execnz .LBB322_391
.LBB322_364:                            ;   in Loop: Header=BB322_358 Depth=2
	s_or_b64 exec, exec, s[18:19]
	v_cmp_gt_u32_e32 vcc, s20, v25
	s_and_saveexec_b64 s[18:19], vcc
	s_cbranch_execz .LBB322_392
.LBB322_365:                            ;   in Loop: Header=BB322_358 Depth=2
	v_mov_b32_e32 v1, s24
	v_add_co_u32_e32 v0, vcc, s23, v2
	v_addc_co_u32_e32 v1, vcc, 0, v1, vcc
	global_load_ubyte v7, v[0:1], off offset:512
	s_or_b64 exec, exec, s[18:19]
	v_cmp_gt_u32_e32 vcc, s20, v26
	s_and_saveexec_b64 s[18:19], vcc
	s_cbranch_execnz .LBB322_393
.LBB322_366:                            ;   in Loop: Header=BB322_358 Depth=2
	s_or_b64 exec, exec, s[18:19]
	v_cmp_gt_u32_e32 vcc, s20, v30
	s_and_saveexec_b64 s[18:19], vcc
	s_cbranch_execz .LBB322_394
.LBB322_367:                            ;   in Loop: Header=BB322_358 Depth=2
	v_mov_b32_e32 v1, s24
	v_add_co_u32_e32 v0, vcc, s23, v2
	v_addc_co_u32_e32 v1, vcc, 0, v1, vcc
	global_load_ubyte v9, v[0:1], off offset:1024
	s_or_b64 exec, exec, s[18:19]
	v_cmp_gt_u32_e32 vcc, s20, v31
	s_and_saveexec_b64 s[18:19], vcc
	s_cbranch_execnz .LBB322_395
.LBB322_368:                            ;   in Loop: Header=BB322_358 Depth=2
	s_or_b64 exec, exec, s[18:19]
	v_cmp_gt_u32_e32 vcc, s20, v32
	s_and_saveexec_b64 s[18:19], vcc
	s_cbranch_execz .LBB322_370
.LBB322_369:                            ;   in Loop: Header=BB322_358 Depth=2
	v_mov_b32_e32 v1, s24
	v_add_co_u32_e32 v0, vcc, s23, v2
	v_addc_co_u32_e32 v1, vcc, 0, v1, vcc
	global_load_ubyte v11, v[0:1], off offset:1536
.LBB322_370:                            ;   in Loop: Header=BB322_358 Depth=2
	s_or_b64 exec, exec, s[18:19]
	v_cmp_gt_u32_e32 vcc, s20, v33
                                        ; implicit-def: $sgpr25
                                        ; implicit-def: $vgpr0_vgpr1
	s_and_saveexec_b64 s[18:19], vcc
	s_cbranch_execz .LBB322_372
; %bb.371:                              ;   in Loop: Header=BB322_358 Depth=2
	v_mov_b32_e32 v0, s24
	v_add_co_u32_e32 v1, vcc, s23, v2
	s_waitcnt vmcnt(0)
	v_addc_co_u32_e32 v12, vcc, 0, v0, vcc
	v_add_co_u32_e32 v0, vcc, 0x700, v1
	s_sub_i32 s25, s76, s22
	v_addc_co_u32_e32 v1, vcc, 0, v12, vcc
	s_or_b64 s[16:17], s[16:17], exec
                                        ; implicit-def: $vgpr12
.LBB322_372:                            ;   in Loop: Header=BB322_358 Depth=2
	s_or_b64 exec, exec, s[18:19]
	s_waitcnt vmcnt(0)
	v_mov_b32_e32 v14, v5
	v_mov_b32_e32 v15, v6
	;; [unrolled: 1-line block ×8, first 2 shown]
	s_and_saveexec_b64 s[18:19], s[16:17]
	s_cbranch_execz .LBB322_374
.LBB322_373:                            ;   in Loop: Header=BB322_358 Depth=2
	global_load_ubyte v12, v[0:1], off
	v_mov_b32_e32 v13, s25
	s_waitcnt vmcnt(1)
	v_mov_b32_e32 v5, v14
	v_mov_b32_e32 v6, v15
	;; [unrolled: 1-line block ×7, first 2 shown]
.LBB322_374:                            ;   in Loop: Header=BB322_358 Depth=2
	s_or_b64 exec, exec, s[18:19]
	v_cmp_lt_u32_e32 vcc, v2, v13
	s_and_saveexec_b64 s[16:17], vcc
	s_cbranch_execz .LBB322_382
; %bb.375:                              ;   in Loop: Header=BB322_358 Depth=2
	v_xor_b32_e32 v0, 0x7f, v5
	v_lshrrev_b32_sdwa v0, s69, v0 dst_sel:DWORD dst_unused:UNUSED_PAD src0_sel:DWORD src1_sel:BYTE_0
	v_and_b32_e32 v0, s77, v0
	v_lshlrev_b32_e32 v1, 2, v27
	v_lshl_or_b32 v0, v0, 4, v1
	ds_add_u32 v0, v63
	s_or_b64 exec, exec, s[16:17]
	v_cmp_lt_u32_e32 vcc, v24, v13
	s_and_saveexec_b64 s[16:17], vcc
	s_cbranch_execnz .LBB322_383
.LBB322_376:                            ;   in Loop: Header=BB322_358 Depth=2
	s_or_b64 exec, exec, s[16:17]
	v_cmp_lt_u32_e32 vcc, v25, v13
	s_and_saveexec_b64 s[16:17], vcc
	s_cbranch_execz .LBB322_384
.LBB322_377:                            ;   in Loop: Header=BB322_358 Depth=2
	v_xor_b32_e32 v0, 0x7f, v7
	v_lshrrev_b32_sdwa v0, s69, v0 dst_sel:DWORD dst_unused:UNUSED_PAD src0_sel:DWORD src1_sel:BYTE_0
	v_and_b32_e32 v0, s77, v0
	v_lshlrev_b32_e32 v1, 2, v27
	v_lshl_or_b32 v0, v0, 4, v1
	ds_add_u32 v0, v63
	s_or_b64 exec, exec, s[16:17]
	v_cmp_lt_u32_e32 vcc, v26, v13
	s_and_saveexec_b64 s[16:17], vcc
	s_cbranch_execnz .LBB322_385
.LBB322_378:                            ;   in Loop: Header=BB322_358 Depth=2
	s_or_b64 exec, exec, s[16:17]
	v_cmp_lt_u32_e32 vcc, v30, v13
	s_and_saveexec_b64 s[16:17], vcc
	s_cbranch_execz .LBB322_386
.LBB322_379:                            ;   in Loop: Header=BB322_358 Depth=2
	v_xor_b32_e32 v0, 0x7f, v9
	v_lshrrev_b32_sdwa v0, s69, v0 dst_sel:DWORD dst_unused:UNUSED_PAD src0_sel:DWORD src1_sel:BYTE_0
	v_and_b32_e32 v0, s77, v0
	v_lshlrev_b32_e32 v1, 2, v27
	v_lshl_or_b32 v0, v0, 4, v1
	ds_add_u32 v0, v63
	s_or_b64 exec, exec, s[16:17]
	v_cmp_lt_u32_e32 vcc, v31, v13
	s_and_saveexec_b64 s[16:17], vcc
	s_cbranch_execnz .LBB322_387
.LBB322_380:                            ;   in Loop: Header=BB322_358 Depth=2
	s_or_b64 exec, exec, s[16:17]
	v_cmp_lt_u32_e32 vcc, v32, v13
	s_and_saveexec_b64 s[16:17], vcc
	s_cbranch_execz .LBB322_388
.LBB322_381:                            ;   in Loop: Header=BB322_358 Depth=2
	v_xor_b32_e32 v0, 0x7f, v11
	v_lshrrev_b32_sdwa v0, s69, v0 dst_sel:DWORD dst_unused:UNUSED_PAD src0_sel:DWORD src1_sel:BYTE_0
	v_and_b32_e32 v0, s77, v0
	v_lshlrev_b32_e32 v1, 2, v27
	v_lshl_or_b32 v0, v0, 4, v1
	ds_add_u32 v0, v63
	s_or_b64 exec, exec, s[16:17]
	v_cmp_lt_u32_e32 vcc, v33, v13
	s_and_saveexec_b64 s[16:17], vcc
	s_cbranch_execz .LBB322_357
	s_branch .LBB322_389
.LBB322_382:                            ;   in Loop: Header=BB322_358 Depth=2
	s_or_b64 exec, exec, s[16:17]
	v_cmp_lt_u32_e32 vcc, v24, v13
	s_and_saveexec_b64 s[16:17], vcc
	s_cbranch_execz .LBB322_376
.LBB322_383:                            ;   in Loop: Header=BB322_358 Depth=2
	v_xor_b32_e32 v0, 0x7f, v6
	v_lshrrev_b32_sdwa v0, s69, v0 dst_sel:DWORD dst_unused:UNUSED_PAD src0_sel:DWORD src1_sel:BYTE_0
	v_and_b32_e32 v0, s77, v0
	v_lshlrev_b32_e32 v1, 2, v27
	v_lshl_or_b32 v0, v0, 4, v1
	ds_add_u32 v0, v63
	s_or_b64 exec, exec, s[16:17]
	v_cmp_lt_u32_e32 vcc, v25, v13
	s_and_saveexec_b64 s[16:17], vcc
	s_cbranch_execnz .LBB322_377
.LBB322_384:                            ;   in Loop: Header=BB322_358 Depth=2
	s_or_b64 exec, exec, s[16:17]
	v_cmp_lt_u32_e32 vcc, v26, v13
	s_and_saveexec_b64 s[16:17], vcc
	s_cbranch_execz .LBB322_378
.LBB322_385:                            ;   in Loop: Header=BB322_358 Depth=2
	v_xor_b32_e32 v0, 0x7f, v8
	v_lshrrev_b32_sdwa v0, s69, v0 dst_sel:DWORD dst_unused:UNUSED_PAD src0_sel:DWORD src1_sel:BYTE_0
	v_and_b32_e32 v0, s77, v0
	v_lshlrev_b32_e32 v1, 2, v27
	v_lshl_or_b32 v0, v0, 4, v1
	ds_add_u32 v0, v63
	s_or_b64 exec, exec, s[16:17]
	v_cmp_lt_u32_e32 vcc, v30, v13
	s_and_saveexec_b64 s[16:17], vcc
	s_cbranch_execnz .LBB322_379
.LBB322_386:                            ;   in Loop: Header=BB322_358 Depth=2
	s_or_b64 exec, exec, s[16:17]
	v_cmp_lt_u32_e32 vcc, v31, v13
	s_and_saveexec_b64 s[16:17], vcc
	s_cbranch_execz .LBB322_380
.LBB322_387:                            ;   in Loop: Header=BB322_358 Depth=2
	v_xor_b32_e32 v0, 0x7f, v10
	v_lshrrev_b32_sdwa v0, s69, v0 dst_sel:DWORD dst_unused:UNUSED_PAD src0_sel:DWORD src1_sel:BYTE_0
	v_and_b32_e32 v0, s77, v0
	v_lshlrev_b32_e32 v1, 2, v27
	v_lshl_or_b32 v0, v0, 4, v1
	ds_add_u32 v0, v63
	s_or_b64 exec, exec, s[16:17]
	v_cmp_lt_u32_e32 vcc, v32, v13
	s_and_saveexec_b64 s[16:17], vcc
	s_cbranch_execnz .LBB322_381
.LBB322_388:                            ;   in Loop: Header=BB322_358 Depth=2
	s_or_b64 exec, exec, s[16:17]
	v_cmp_lt_u32_e32 vcc, v33, v13
	s_and_saveexec_b64 s[16:17], vcc
	s_cbranch_execz .LBB322_357
.LBB322_389:                            ;   in Loop: Header=BB322_358 Depth=2
	s_waitcnt vmcnt(0)
	v_xor_b32_e32 v0, 0x7f, v12
	v_lshrrev_b32_sdwa v0, s69, v0 dst_sel:DWORD dst_unused:UNUSED_PAD src0_sel:DWORD src1_sel:BYTE_0
	v_and_b32_e32 v0, s77, v0
	v_lshlrev_b32_e32 v1, 2, v27
	v_lshl_or_b32 v0, v0, 4, v1
	ds_add_u32 v0, v63
	s_branch .LBB322_357
.LBB322_390:                            ;   in Loop: Header=BB322_358 Depth=2
	s_or_b64 exec, exec, s[18:19]
	v_cmp_gt_u32_e32 vcc, s20, v24
	s_and_saveexec_b64 s[18:19], vcc
	s_cbranch_execz .LBB322_364
.LBB322_391:                            ;   in Loop: Header=BB322_358 Depth=2
	v_mov_b32_e32 v1, s24
	v_add_co_u32_e32 v0, vcc, s23, v2
	v_addc_co_u32_e32 v1, vcc, 0, v1, vcc
	global_load_ubyte v6, v[0:1], off offset:256
	s_or_b64 exec, exec, s[18:19]
	v_cmp_gt_u32_e32 vcc, s20, v25
	s_and_saveexec_b64 s[18:19], vcc
	s_cbranch_execnz .LBB322_365
.LBB322_392:                            ;   in Loop: Header=BB322_358 Depth=2
	s_or_b64 exec, exec, s[18:19]
	v_cmp_gt_u32_e32 vcc, s20, v26
	s_and_saveexec_b64 s[18:19], vcc
	s_cbranch_execz .LBB322_366
.LBB322_393:                            ;   in Loop: Header=BB322_358 Depth=2
	v_mov_b32_e32 v1, s24
	v_add_co_u32_e32 v0, vcc, s23, v2
	v_addc_co_u32_e32 v1, vcc, 0, v1, vcc
	global_load_ubyte v8, v[0:1], off offset:768
	s_or_b64 exec, exec, s[18:19]
	v_cmp_gt_u32_e32 vcc, s20, v30
	s_and_saveexec_b64 s[18:19], vcc
	s_cbranch_execnz .LBB322_367
.LBB322_394:                            ;   in Loop: Header=BB322_358 Depth=2
	s_or_b64 exec, exec, s[18:19]
	v_cmp_gt_u32_e32 vcc, s20, v31
	s_and_saveexec_b64 s[18:19], vcc
	s_cbranch_execz .LBB322_368
.LBB322_395:                            ;   in Loop: Header=BB322_358 Depth=2
	v_mov_b32_e32 v1, s24
	v_add_co_u32_e32 v0, vcc, s23, v2
	v_addc_co_u32_e32 v1, vcc, 0, v1, vcc
	global_load_ubyte v10, v[0:1], off offset:1280
	s_or_b64 exec, exec, s[18:19]
	v_cmp_gt_u32_e32 vcc, s20, v32
	s_and_saveexec_b64 s[18:19], vcc
	s_cbranch_execz .LBB322_370
	s_branch .LBB322_369
.LBB322_396:                            ;   in Loop: Header=BB322_20 Depth=1
	v_mov_b32_e32 v0, 0
	s_waitcnt lgkmcnt(0)
	s_barrier
	s_and_saveexec_b64 s[16:17], s[4:5]
	s_cbranch_execz .LBB322_398
; %bb.397:                              ;   in Loop: Header=BB322_20 Depth=1
	ds_read2_b64 v[6:9], v34 offset1:1
	s_waitcnt lgkmcnt(0)
	v_add_u32_e32 v0, v7, v6
	v_add3_u32 v0, v0, v8, v9
.LBB322_398:                            ;   in Loop: Header=BB322_20 Depth=1
	s_or_b64 exec, exec, s[16:17]
	v_and_b32_e32 v1, 15, v64
	v_mov_b32_dpp v5, v0 row_shr:1 row_mask:0xf bank_mask:0xf
	v_cmp_eq_u32_e64 s[16:17], 0, v1
	v_cndmask_b32_e64 v5, v5, 0, s[16:17]
	v_add_u32_e32 v0, v5, v0
	v_cmp_lt_u32_e64 s[18:19], 1, v1
	v_cmp_lt_u32_e64 s[20:21], 3, v1
	v_mov_b32_dpp v5, v0 row_shr:2 row_mask:0xf bank_mask:0xf
	v_cndmask_b32_e64 v5, 0, v5, s[18:19]
	v_add_u32_e32 v0, v0, v5
	v_cmp_lt_u32_e64 s[22:23], 7, v1
	v_cmp_lt_u32_e64 s[26:27], 31, v64
	v_mov_b32_dpp v5, v0 row_shr:4 row_mask:0xf bank_mask:0xf
	v_cndmask_b32_e64 v5, 0, v5, s[20:21]
	v_add_u32_e32 v0, v0, v5
	v_and_b32_e32 v6, 16, v64
	v_cmp_eq_u32_e64 s[24:25], 0, v6
	v_mov_b32_dpp v5, v0 row_shr:8 row_mask:0xf bank_mask:0xf
	v_cndmask_b32_e64 v1, 0, v5, s[22:23]
	v_add_u32_e32 v0, v0, v1
	v_bfe_i32 v5, v64, 4, 1
	s_nop 0
	v_mov_b32_dpp v1, v0 row_bcast:15 row_mask:0xf bank_mask:0xf
	v_and_b32_e32 v1, v5, v1
	v_add_u32_e32 v0, v0, v1
	s_nop 1
	v_mov_b32_dpp v1, v0 row_bcast:31 row_mask:0xf bank_mask:0xf
	v_cndmask_b32_e64 v1, 0, v1, s[26:27]
	v_add_u32_e32 v1, v0, v1
	s_and_saveexec_b64 s[28:29], s[6:7]
	s_cbranch_execz .LBB322_400
; %bb.399:                              ;   in Loop: Header=BB322_20 Depth=1
	ds_write_b32 v36, v1
.LBB322_400:                            ;   in Loop: Header=BB322_20 Depth=1
	s_or_b64 exec, exec, s[28:29]
	v_and_b32_e32 v0, 3, v64
	s_waitcnt lgkmcnt(0)
	s_barrier
	s_and_saveexec_b64 s[28:29], s[8:9]
	s_cbranch_execz .LBB322_402
; %bb.401:                              ;   in Loop: Header=BB322_20 Depth=1
	ds_read_b32 v5, v37
	v_cmp_ne_u32_e32 vcc, 0, v0
	s_waitcnt lgkmcnt(0)
	v_mov_b32_dpp v6, v5 row_shr:1 row_mask:0xf bank_mask:0xf
	v_cndmask_b32_e32 v6, 0, v6, vcc
	v_add_u32_e32 v5, v6, v5
	v_cmp_lt_u32_e32 vcc, 1, v0
	s_nop 0
	v_mov_b32_dpp v6, v5 row_shr:2 row_mask:0xf bank_mask:0xf
	v_cndmask_b32_e32 v6, 0, v6, vcc
	v_add_u32_e32 v5, v5, v6
	ds_write_b32 v37, v5
.LBB322_402:                            ;   in Loop: Header=BB322_20 Depth=1
	s_or_b64 exec, exec, s[28:29]
	v_mov_b32_e32 v5, 0
	s_waitcnt lgkmcnt(0)
	s_barrier
	s_and_saveexec_b64 s[28:29], s[10:11]
	s_cbranch_execz .LBB322_404
; %bb.403:                              ;   in Loop: Header=BB322_20 Depth=1
	ds_read_b32 v5, v38
.LBB322_404:                            ;   in Loop: Header=BB322_20 Depth=1
	s_or_b64 exec, exec, s[28:29]
	v_add_u32_e32 v6, -1, v64
	v_and_b32_e32 v7, 64, v64
	v_cmp_lt_i32_e32 vcc, v6, v7
	v_cndmask_b32_e32 v6, v6, v64, vcc
	s_waitcnt lgkmcnt(0)
	v_add_u32_e32 v1, v5, v1
	v_lshlrev_b32_e32 v65, 2, v6
	ds_bpermute_b32 v1, v65, v1
	v_cmp_eq_u32_e64 s[28:29], 0, v64
	s_waitcnt lgkmcnt(0)
	s_barrier
	s_and_saveexec_b64 s[30:31], s[4:5]
	s_cbranch_execz .LBB322_406
; %bb.405:                              ;   in Loop: Header=BB322_20 Depth=1
	v_cndmask_b32_e64 v1, v1, v5, s[28:29]
	v_add_u32_e32 v1, s51, v1
	ds_write_b32 v3, v1
.LBB322_406:                            ;   in Loop: Header=BB322_20 Depth=1
	s_or_b64 exec, exec, s[30:31]
	s_load_dwordx2 s[30:31], s[74:75], 0x0
	v_and_b32_e32 v21, 63, v64
	v_add_co_u32_e32 v74, vcc, v61, v21
	v_lshlrev_b32_e32 v22, 3, v21
	s_waitcnt lgkmcnt(0)
	s_cmp_lt_u32 s50, s30
	s_cselect_b32 s34, 12, 18
	s_cmp_lt_u32 s33, s31
	s_cselect_b32 s30, 14, 20
	s_add_u32 s30, s74, s30
	s_addc_u32 s31, s75, 0
	s_add_u32 s34, s74, s34
	global_load_ushort v5, v4, s[30:31]
	s_addc_u32 s35, s75, 0
	global_load_ushort v20, v4, s[34:35]
	v_addc_co_u32_e32 v76, vcc, 0, v62, vcc
	v_add_co_u32_e32 v77, vcc, v59, v22
	v_addc_co_u32_e32 v78, vcc, 0, v60, vcc
	v_or_b32_e32 v72, v21, v39
	v_add_co_u32_e32 v86, vcc, 0x1c0, v74
	v_cmp_eq_u32_e64 s[30:31], 0, v0
	v_cmp_lt_u32_e64 s[34:35], 1, v0
	s_mov_b32 s78, s71
	v_or_b32_e32 v79, 64, v72
	v_or_b32_e32 v80, 0x80, v72
	;; [unrolled: 1-line block ×7, first 2 shown]
	v_addc_co_u32_e32 v87, vcc, 0, v76, vcc
	s_mov_b32 s72, s51
                                        ; implicit-def: $vgpr0_vgpr1
                                        ; implicit-def: $vgpr6_vgpr7
                                        ; implicit-def: $vgpr8_vgpr9
                                        ; implicit-def: $vgpr10_vgpr11
                                        ; implicit-def: $vgpr12_vgpr13
                                        ; implicit-def: $vgpr14_vgpr15
                                        ; implicit-def: $vgpr16_vgpr17
                                        ; implicit-def: $vgpr18_vgpr19
                                        ; implicit-def: $vgpr66
                                        ; implicit-def: $vgpr67
                                        ; implicit-def: $vgpr68
                                        ; implicit-def: $vgpr69
                                        ; implicit-def: $vgpr70
                                        ; implicit-def: $vgpr71
                                        ; implicit-def: $vgpr73
                                        ; implicit-def: $vgpr75
	s_waitcnt vmcnt(1)
	v_mad_u32_u24 v5, v40, v5, v41
	s_waitcnt vmcnt(0)
	v_mad_u64_u32 v[20:21], s[36:37], v5, v20, v[2:3]
	v_lshrrev_b32_e32 v88, 6, v20
	s_branch .LBB322_408
.LBB322_407:                            ;   in Loop: Header=BB322_408 Depth=2
	s_or_b64 exec, exec, s[36:37]
	s_addk_i32 s78, 0xf800
	s_cmp_lt_u32 s79, s76
	s_mov_b32 s72, s79
	s_cbranch_scc0 .LBB322_520
.LBB322_408:                            ;   Parent Loop BB322_20 Depth=1
                                        ; =>  This Inner Loop Header: Depth=2
	s_add_i32 s79, s72, 0x800
	s_cmp_gt_u32 s79, s76
	s_cbranch_scc1 .LBB322_411
; %bb.409:                              ;   in Loop: Header=BB322_408 Depth=2
	v_add_co_u32_e32 v20, vcc, s72, v74
	v_addc_co_u32_e32 v21, vcc, 0, v76, vcc
	global_load_ubyte v23, v[20:21], off offset:384
	global_load_ubyte v91, v[20:21], off offset:320
	;; [unrolled: 1-line block ×6, first 2 shown]
	global_load_ubyte v5, v[20:21], off
	s_mov_b64 s[36:37], -1
	s_movk_i32 s40, 0x800
	s_cbranch_execz .LBB322_412
; %bb.410:                              ;   in Loop: Header=BB322_408 Depth=2
                                        ; implicit-def: $vgpr22
	v_mov_b32_e32 v89, s78
	s_and_saveexec_b64 s[38:39], s[36:37]
	s_cbranch_execnz .LBB322_421
	s_branch .LBB322_422
.LBB322_411:                            ;   in Loop: Header=BB322_408 Depth=2
	s_mov_b64 s[36:37], 0
                                        ; implicit-def: $sgpr40
                                        ; implicit-def: $vgpr5
                                        ; implicit-def: $vgpr94
                                        ; implicit-def: $vgpr99
                                        ; implicit-def: $vgpr101
                                        ; implicit-def: $vgpr96
                                        ; implicit-def: $vgpr91
                                        ; implicit-def: $vgpr23
.LBB322_412:                            ;   in Loop: Header=BB322_408 Depth=2
	v_add_co_u32_e32 v20, vcc, s72, v74
	v_addc_co_u32_e32 v21, vcc, 0, v76, vcc
	v_cmp_gt_u32_e32 vcc, s78, v72
	s_waitcnt vmcnt(0)
	v_mov_b32_e32 v5, 0x80
	v_mov_b32_e32 v22, 0x80
	v_mov_b32_e32 v94, 0x80
	v_mov_b32_e32 v99, 0x80
	v_mov_b32_e32 v101, 0x80
	v_mov_b32_e32 v96, 0x80
	v_mov_b32_e32 v91, 0x80
	v_mov_b32_e32 v23, 0x80
	s_and_saveexec_b64 s[36:37], vcc
	s_cbranch_execz .LBB322_514
; %bb.413:                              ;   in Loop: Header=BB322_408 Depth=2
	global_load_ubyte v5, v[20:21], off
	v_mov_b32_e32 v94, 0x80
	v_mov_b32_e32 v99, 0x80
	v_mov_b32_e32 v101, 0x80
	v_mov_b32_e32 v96, 0x80
	v_mov_b32_e32 v91, 0x80
	v_mov_b32_e32 v23, 0x80
	v_mov_b32_e32 v22, 0x80
	s_or_b64 exec, exec, s[36:37]
	v_cmp_gt_u32_e32 vcc, s78, v79
	s_and_saveexec_b64 s[36:37], vcc
	s_cbranch_execnz .LBB322_515
.LBB322_414:                            ;   in Loop: Header=BB322_408 Depth=2
	s_or_b64 exec, exec, s[36:37]
	v_cmp_gt_u32_e32 vcc, s78, v80
	s_and_saveexec_b64 s[36:37], vcc
	s_cbranch_execz .LBB322_516
.LBB322_415:                            ;   in Loop: Header=BB322_408 Depth=2
	global_load_ubyte v99, v[20:21], off offset:128
	s_or_b64 exec, exec, s[36:37]
	v_cmp_gt_u32_e32 vcc, s78, v81
	s_and_saveexec_b64 s[36:37], vcc
	s_cbranch_execnz .LBB322_517
.LBB322_416:                            ;   in Loop: Header=BB322_408 Depth=2
	s_or_b64 exec, exec, s[36:37]
	v_cmp_gt_u32_e32 vcc, s78, v82
	s_and_saveexec_b64 s[36:37], vcc
	s_cbranch_execz .LBB322_518
.LBB322_417:                            ;   in Loop: Header=BB322_408 Depth=2
	global_load_ubyte v96, v[20:21], off offset:256
	s_or_b64 exec, exec, s[36:37]
	v_cmp_gt_u32_e32 vcc, s78, v83
	s_and_saveexec_b64 s[36:37], vcc
	s_cbranch_execnz .LBB322_519
.LBB322_418:                            ;   in Loop: Header=BB322_408 Depth=2
	s_or_b64 exec, exec, s[36:37]
	v_cmp_gt_u32_e32 vcc, s78, v84
	s_and_saveexec_b64 s[36:37], vcc
	s_cbranch_execz .LBB322_420
.LBB322_419:                            ;   in Loop: Header=BB322_408 Depth=2
	global_load_ubyte v23, v[20:21], off offset:384
.LBB322_420:                            ;   in Loop: Header=BB322_408 Depth=2
	s_or_b64 exec, exec, s[36:37]
	s_sub_i32 s40, s76, s72
	v_cmp_gt_u32_e64 s[36:37], s78, v85
	v_mov_b32_e32 v89, s78
	s_and_saveexec_b64 s[38:39], s[36:37]
	s_cbranch_execz .LBB322_422
.LBB322_421:                            ;   in Loop: Header=BB322_408 Depth=2
	v_mov_b32_e32 v21, s73
	v_add_co_u32_e32 v20, vcc, s72, v86
	v_addc_co_u32_e32 v21, vcc, v87, v21, vcc
	global_load_ubyte v22, v[20:21], off
	v_mov_b32_e32 v89, s40
.LBB322_422:                            ;   in Loop: Header=BB322_408 Depth=2
	s_or_b64 exec, exec, s[38:39]
	s_waitcnt vmcnt(0)
	v_xor_b32_e32 v90, 0x7f, v5
	v_add_u32_e32 v5, 0x410, v42
	ds_write2_b32 v5, v4, v4 offset1:1
	ds_write2_b32 v44, v4, v4 offset0:2 offset1:3
	ds_write_b32 v44, v4 offset:16
	v_lshrrev_b32_sdwa v5, s69, v90 dst_sel:DWORD dst_unused:UNUSED_PAD src0_sel:DWORD src1_sel:BYTE_0
	v_and_b32_e32 v20, s77, v5
	v_mad_u32_u24 v5, v20, 5, v88
	v_lshl_add_u32 v92, v5, 2, v43
	v_and_b32_e32 v5, 1, v20
	v_add_co_u32_e32 v21, vcc, -1, v5
	v_addc_co_u32_e64 v93, s[36:37], 0, -1, vcc
	v_cmp_ne_u32_e32 vcc, 0, v5
	v_xor_b32_e32 v5, vcc_hi, v93
	v_and_b32_e32 v93, exec_hi, v5
	v_lshlrev_b32_e32 v5, 30, v20
	v_xor_b32_e32 v21, vcc_lo, v21
	v_cmp_gt_i64_e32 vcc, 0, v[4:5]
	v_not_b32_e32 v5, v5
	v_ashrrev_i32_e32 v5, 31, v5
	v_and_b32_e32 v21, exec_lo, v21
	v_xor_b32_e32 v95, vcc_hi, v5
	v_xor_b32_e32 v5, vcc_lo, v5
	v_and_b32_e32 v21, v21, v5
	v_lshlrev_b32_e32 v5, 29, v20
	v_cmp_gt_i64_e32 vcc, 0, v[4:5]
	v_not_b32_e32 v5, v5
	v_ashrrev_i32_e32 v5, 31, v5
	v_and_b32_e32 v93, v93, v95
	v_xor_b32_e32 v95, vcc_hi, v5
	v_xor_b32_e32 v5, vcc_lo, v5
	v_and_b32_e32 v21, v21, v5
	v_lshlrev_b32_e32 v5, 28, v20
	v_cmp_gt_i64_e32 vcc, 0, v[4:5]
	v_not_b32_e32 v5, v5
	v_ashrrev_i32_e32 v5, 31, v5
	v_and_b32_e32 v93, v93, v95
	;; [unrolled: 8-line block ×5, first 2 shown]
	v_xor_b32_e32 v95, vcc_hi, v5
	v_xor_b32_e32 v5, vcc_lo, v5
	v_and_b32_e32 v93, v93, v95
	v_and_b32_e32 v95, v21, v5
	v_lshlrev_b32_e32 v5, 24, v20
	v_cmp_gt_i64_e32 vcc, 0, v[4:5]
	v_not_b32_e32 v5, v5
	v_ashrrev_i32_e32 v5, 31, v5
	v_xor_b32_e32 v20, vcc_hi, v5
	v_xor_b32_e32 v5, vcc_lo, v5
	v_and_b32_e32 v21, v93, v20
	v_and_b32_e32 v20, v95, v5
	v_mbcnt_lo_u32_b32 v5, v20, 0
	v_mbcnt_hi_u32_b32 v93, v21, v5
	v_cmp_eq_u32_e32 vcc, 0, v93
	v_cmp_ne_u64_e64 s[36:37], 0, v[20:21]
	s_and_b64 s[38:39], s[36:37], vcc
	s_waitcnt lgkmcnt(0)
	s_barrier
	s_waitcnt lgkmcnt(0)
	; wave barrier
	s_and_saveexec_b64 s[36:37], s[38:39]
	s_cbranch_execz .LBB322_424
; %bb.423:                              ;   in Loop: Header=BB322_408 Depth=2
	v_bcnt_u32_b32 v5, v20, 0
	v_bcnt_u32_b32 v5, v21, v5
	ds_write_b32 v92, v5
.LBB322_424:                            ;   in Loop: Header=BB322_408 Depth=2
	s_or_b64 exec, exec, s[36:37]
	v_xor_b32_e32 v94, 0x7f, v94
	v_lshrrev_b32_sdwa v5, s69, v94 dst_sel:DWORD dst_unused:UNUSED_PAD src0_sel:DWORD src1_sel:BYTE_0
	v_and_b32_e32 v20, s77, v5
	v_mul_u32_u24_e32 v5, 5, v20
	v_add_lshl_u32 v5, v5, v88, 2
	; wave barrier
	v_add_u32_e32 v97, 0x410, v5
	ds_read_b32 v95, v5 offset:1040
	v_and_b32_e32 v5, 1, v20
	v_add_co_u32_e32 v21, vcc, -1, v5
	v_addc_co_u32_e64 v98, s[36:37], 0, -1, vcc
	v_cmp_ne_u32_e32 vcc, 0, v5
	v_xor_b32_e32 v5, vcc_hi, v98
	v_and_b32_e32 v98, exec_hi, v5
	v_lshlrev_b32_e32 v5, 30, v20
	v_xor_b32_e32 v21, vcc_lo, v21
	v_cmp_gt_i64_e32 vcc, 0, v[4:5]
	v_not_b32_e32 v5, v5
	v_ashrrev_i32_e32 v5, 31, v5
	v_and_b32_e32 v21, exec_lo, v21
	v_xor_b32_e32 v100, vcc_hi, v5
	v_xor_b32_e32 v5, vcc_lo, v5
	v_and_b32_e32 v21, v21, v5
	v_lshlrev_b32_e32 v5, 29, v20
	v_cmp_gt_i64_e32 vcc, 0, v[4:5]
	v_not_b32_e32 v5, v5
	v_ashrrev_i32_e32 v5, 31, v5
	v_and_b32_e32 v98, v98, v100
	v_xor_b32_e32 v100, vcc_hi, v5
	v_xor_b32_e32 v5, vcc_lo, v5
	v_and_b32_e32 v21, v21, v5
	v_lshlrev_b32_e32 v5, 28, v20
	v_cmp_gt_i64_e32 vcc, 0, v[4:5]
	v_not_b32_e32 v5, v5
	v_ashrrev_i32_e32 v5, 31, v5
	v_and_b32_e32 v98, v98, v100
	;; [unrolled: 8-line block ×5, first 2 shown]
	v_xor_b32_e32 v100, vcc_hi, v5
	v_xor_b32_e32 v5, vcc_lo, v5
	v_and_b32_e32 v98, v98, v100
	v_and_b32_e32 v100, v21, v5
	v_lshlrev_b32_e32 v5, 24, v20
	v_cmp_gt_i64_e32 vcc, 0, v[4:5]
	v_not_b32_e32 v5, v5
	v_ashrrev_i32_e32 v5, 31, v5
	v_xor_b32_e32 v20, vcc_hi, v5
	v_xor_b32_e32 v5, vcc_lo, v5
	v_and_b32_e32 v21, v98, v20
	v_and_b32_e32 v20, v100, v5
	v_mbcnt_lo_u32_b32 v5, v20, 0
	v_mbcnt_hi_u32_b32 v98, v21, v5
	v_cmp_eq_u32_e32 vcc, 0, v98
	v_cmp_ne_u64_e64 s[36:37], 0, v[20:21]
	s_and_b64 s[38:39], s[36:37], vcc
	; wave barrier
	s_and_saveexec_b64 s[36:37], s[38:39]
	s_cbranch_execz .LBB322_426
; %bb.425:                              ;   in Loop: Header=BB322_408 Depth=2
	v_bcnt_u32_b32 v5, v20, 0
	v_bcnt_u32_b32 v5, v21, v5
	s_waitcnt lgkmcnt(0)
	v_add_u32_e32 v5, v95, v5
	ds_write_b32 v97, v5
.LBB322_426:                            ;   in Loop: Header=BB322_408 Depth=2
	s_or_b64 exec, exec, s[36:37]
	v_xor_b32_e32 v99, 0x7f, v99
	v_lshrrev_b32_sdwa v5, s69, v99 dst_sel:DWORD dst_unused:UNUSED_PAD src0_sel:DWORD src1_sel:BYTE_0
	v_and_b32_e32 v20, s77, v5
	v_mul_u32_u24_e32 v5, 5, v20
	v_add_lshl_u32 v5, v5, v88, 2
	; wave barrier
	v_add_u32_e32 v102, 0x410, v5
	ds_read_b32 v100, v5 offset:1040
	v_and_b32_e32 v5, 1, v20
	v_add_co_u32_e32 v21, vcc, -1, v5
	v_addc_co_u32_e64 v103, s[36:37], 0, -1, vcc
	v_cmp_ne_u32_e32 vcc, 0, v5
	v_xor_b32_e32 v5, vcc_hi, v103
	v_and_b32_e32 v103, exec_hi, v5
	v_lshlrev_b32_e32 v5, 30, v20
	v_xor_b32_e32 v21, vcc_lo, v21
	v_cmp_gt_i64_e32 vcc, 0, v[4:5]
	v_not_b32_e32 v5, v5
	v_ashrrev_i32_e32 v5, 31, v5
	v_and_b32_e32 v21, exec_lo, v21
	v_xor_b32_e32 v104, vcc_hi, v5
	v_xor_b32_e32 v5, vcc_lo, v5
	v_and_b32_e32 v21, v21, v5
	v_lshlrev_b32_e32 v5, 29, v20
	v_cmp_gt_i64_e32 vcc, 0, v[4:5]
	v_not_b32_e32 v5, v5
	v_ashrrev_i32_e32 v5, 31, v5
	v_and_b32_e32 v103, v103, v104
	v_xor_b32_e32 v104, vcc_hi, v5
	v_xor_b32_e32 v5, vcc_lo, v5
	v_and_b32_e32 v21, v21, v5
	v_lshlrev_b32_e32 v5, 28, v20
	v_cmp_gt_i64_e32 vcc, 0, v[4:5]
	v_not_b32_e32 v5, v5
	v_ashrrev_i32_e32 v5, 31, v5
	v_and_b32_e32 v103, v103, v104
	;; [unrolled: 8-line block ×5, first 2 shown]
	v_xor_b32_e32 v104, vcc_hi, v5
	v_xor_b32_e32 v5, vcc_lo, v5
	v_and_b32_e32 v103, v103, v104
	v_and_b32_e32 v104, v21, v5
	v_lshlrev_b32_e32 v5, 24, v20
	v_cmp_gt_i64_e32 vcc, 0, v[4:5]
	v_not_b32_e32 v5, v5
	v_ashrrev_i32_e32 v5, 31, v5
	v_xor_b32_e32 v20, vcc_hi, v5
	v_xor_b32_e32 v5, vcc_lo, v5
	v_and_b32_e32 v21, v103, v20
	v_and_b32_e32 v20, v104, v5
	v_mbcnt_lo_u32_b32 v5, v20, 0
	v_mbcnt_hi_u32_b32 v103, v21, v5
	v_cmp_eq_u32_e32 vcc, 0, v103
	v_cmp_ne_u64_e64 s[36:37], 0, v[20:21]
	s_and_b64 s[38:39], s[36:37], vcc
	; wave barrier
	s_and_saveexec_b64 s[36:37], s[38:39]
	s_cbranch_execz .LBB322_428
; %bb.427:                              ;   in Loop: Header=BB322_408 Depth=2
	v_bcnt_u32_b32 v5, v20, 0
	v_bcnt_u32_b32 v5, v21, v5
	s_waitcnt lgkmcnt(0)
	v_add_u32_e32 v5, v100, v5
	ds_write_b32 v102, v5
.LBB322_428:                            ;   in Loop: Header=BB322_408 Depth=2
	s_or_b64 exec, exec, s[36:37]
	v_xor_b32_e32 v101, 0x7f, v101
	v_lshrrev_b32_sdwa v5, s69, v101 dst_sel:DWORD dst_unused:UNUSED_PAD src0_sel:DWORD src1_sel:BYTE_0
	v_and_b32_e32 v20, s77, v5
	v_mul_u32_u24_e32 v5, 5, v20
	v_add_lshl_u32 v5, v5, v88, 2
	; wave barrier
	v_add_u32_e32 v105, 0x410, v5
	ds_read_b32 v104, v5 offset:1040
	v_and_b32_e32 v5, 1, v20
	v_add_co_u32_e32 v21, vcc, -1, v5
	v_addc_co_u32_e64 v106, s[36:37], 0, -1, vcc
	v_cmp_ne_u32_e32 vcc, 0, v5
	v_xor_b32_e32 v5, vcc_hi, v106
	v_and_b32_e32 v106, exec_hi, v5
	v_lshlrev_b32_e32 v5, 30, v20
	v_xor_b32_e32 v21, vcc_lo, v21
	v_cmp_gt_i64_e32 vcc, 0, v[4:5]
	v_not_b32_e32 v5, v5
	v_ashrrev_i32_e32 v5, 31, v5
	v_and_b32_e32 v21, exec_lo, v21
	v_xor_b32_e32 v107, vcc_hi, v5
	v_xor_b32_e32 v5, vcc_lo, v5
	v_and_b32_e32 v21, v21, v5
	v_lshlrev_b32_e32 v5, 29, v20
	v_cmp_gt_i64_e32 vcc, 0, v[4:5]
	v_not_b32_e32 v5, v5
	v_ashrrev_i32_e32 v5, 31, v5
	v_and_b32_e32 v106, v106, v107
	v_xor_b32_e32 v107, vcc_hi, v5
	v_xor_b32_e32 v5, vcc_lo, v5
	v_and_b32_e32 v21, v21, v5
	v_lshlrev_b32_e32 v5, 28, v20
	v_cmp_gt_i64_e32 vcc, 0, v[4:5]
	v_not_b32_e32 v5, v5
	v_ashrrev_i32_e32 v5, 31, v5
	v_and_b32_e32 v106, v106, v107
	v_xor_b32_e32 v107, vcc_hi, v5
	v_xor_b32_e32 v5, vcc_lo, v5
	v_and_b32_e32 v21, v21, v5
	v_lshlrev_b32_e32 v5, 27, v20
	v_cmp_gt_i64_e32 vcc, 0, v[4:5]
	v_not_b32_e32 v5, v5
	v_ashrrev_i32_e32 v5, 31, v5
	v_and_b32_e32 v106, v106, v107
	v_xor_b32_e32 v107, vcc_hi, v5
	v_xor_b32_e32 v5, vcc_lo, v5
	v_and_b32_e32 v21, v21, v5
	v_lshlrev_b32_e32 v5, 26, v20
	v_cmp_gt_i64_e32 vcc, 0, v[4:5]
	v_not_b32_e32 v5, v5
	v_ashrrev_i32_e32 v5, 31, v5
	v_and_b32_e32 v106, v106, v107
	v_xor_b32_e32 v107, vcc_hi, v5
	v_xor_b32_e32 v5, vcc_lo, v5
	v_and_b32_e32 v21, v21, v5
	v_lshlrev_b32_e32 v5, 25, v20
	v_cmp_gt_i64_e32 vcc, 0, v[4:5]
	v_not_b32_e32 v5, v5
	v_ashrrev_i32_e32 v5, 31, v5
	v_and_b32_e32 v106, v106, v107
	v_xor_b32_e32 v107, vcc_hi, v5
	v_xor_b32_e32 v5, vcc_lo, v5
	v_and_b32_e32 v106, v106, v107
	v_and_b32_e32 v107, v21, v5
	v_lshlrev_b32_e32 v5, 24, v20
	v_cmp_gt_i64_e32 vcc, 0, v[4:5]
	v_not_b32_e32 v5, v5
	v_ashrrev_i32_e32 v5, 31, v5
	v_xor_b32_e32 v20, vcc_hi, v5
	v_xor_b32_e32 v5, vcc_lo, v5
	v_and_b32_e32 v21, v106, v20
	v_and_b32_e32 v20, v107, v5
	v_mbcnt_lo_u32_b32 v5, v20, 0
	v_mbcnt_hi_u32_b32 v106, v21, v5
	v_cmp_eq_u32_e32 vcc, 0, v106
	v_cmp_ne_u64_e64 s[36:37], 0, v[20:21]
	s_and_b64 s[38:39], s[36:37], vcc
	; wave barrier
	s_and_saveexec_b64 s[36:37], s[38:39]
	s_cbranch_execz .LBB322_430
; %bb.429:                              ;   in Loop: Header=BB322_408 Depth=2
	v_bcnt_u32_b32 v5, v20, 0
	v_bcnt_u32_b32 v5, v21, v5
	s_waitcnt lgkmcnt(0)
	v_add_u32_e32 v5, v104, v5
	ds_write_b32 v105, v5
.LBB322_430:                            ;   in Loop: Header=BB322_408 Depth=2
	s_or_b64 exec, exec, s[36:37]
	v_xor_b32_e32 v96, 0x7f, v96
	v_lshrrev_b32_sdwa v5, s69, v96 dst_sel:DWORD dst_unused:UNUSED_PAD src0_sel:DWORD src1_sel:BYTE_0
	v_and_b32_e32 v20, s77, v5
	v_mul_u32_u24_e32 v5, 5, v20
	v_add_lshl_u32 v5, v5, v88, 2
	; wave barrier
	v_add_u32_e32 v108, 0x410, v5
	ds_read_b32 v107, v5 offset:1040
	v_and_b32_e32 v5, 1, v20
	v_add_co_u32_e32 v21, vcc, -1, v5
	v_addc_co_u32_e64 v109, s[36:37], 0, -1, vcc
	v_cmp_ne_u32_e32 vcc, 0, v5
	v_xor_b32_e32 v5, vcc_hi, v109
	v_and_b32_e32 v109, exec_hi, v5
	v_lshlrev_b32_e32 v5, 30, v20
	v_xor_b32_e32 v21, vcc_lo, v21
	v_cmp_gt_i64_e32 vcc, 0, v[4:5]
	v_not_b32_e32 v5, v5
	v_ashrrev_i32_e32 v5, 31, v5
	v_and_b32_e32 v21, exec_lo, v21
	v_xor_b32_e32 v110, vcc_hi, v5
	v_xor_b32_e32 v5, vcc_lo, v5
	v_and_b32_e32 v21, v21, v5
	v_lshlrev_b32_e32 v5, 29, v20
	v_cmp_gt_i64_e32 vcc, 0, v[4:5]
	v_not_b32_e32 v5, v5
	v_ashrrev_i32_e32 v5, 31, v5
	v_and_b32_e32 v109, v109, v110
	v_xor_b32_e32 v110, vcc_hi, v5
	v_xor_b32_e32 v5, vcc_lo, v5
	v_and_b32_e32 v21, v21, v5
	v_lshlrev_b32_e32 v5, 28, v20
	v_cmp_gt_i64_e32 vcc, 0, v[4:5]
	v_not_b32_e32 v5, v5
	v_ashrrev_i32_e32 v5, 31, v5
	v_and_b32_e32 v109, v109, v110
	;; [unrolled: 8-line block ×5, first 2 shown]
	v_xor_b32_e32 v110, vcc_hi, v5
	v_xor_b32_e32 v5, vcc_lo, v5
	v_and_b32_e32 v109, v109, v110
	v_and_b32_e32 v110, v21, v5
	v_lshlrev_b32_e32 v5, 24, v20
	v_cmp_gt_i64_e32 vcc, 0, v[4:5]
	v_not_b32_e32 v5, v5
	v_ashrrev_i32_e32 v5, 31, v5
	v_xor_b32_e32 v20, vcc_hi, v5
	v_xor_b32_e32 v5, vcc_lo, v5
	v_and_b32_e32 v21, v109, v20
	v_and_b32_e32 v20, v110, v5
	v_mbcnt_lo_u32_b32 v5, v20, 0
	v_mbcnt_hi_u32_b32 v109, v21, v5
	v_cmp_eq_u32_e32 vcc, 0, v109
	v_cmp_ne_u64_e64 s[36:37], 0, v[20:21]
	s_and_b64 s[38:39], s[36:37], vcc
	; wave barrier
	s_and_saveexec_b64 s[36:37], s[38:39]
	s_cbranch_execz .LBB322_432
; %bb.431:                              ;   in Loop: Header=BB322_408 Depth=2
	v_bcnt_u32_b32 v5, v20, 0
	v_bcnt_u32_b32 v5, v21, v5
	s_waitcnt lgkmcnt(0)
	v_add_u32_e32 v5, v107, v5
	ds_write_b32 v108, v5
.LBB322_432:                            ;   in Loop: Header=BB322_408 Depth=2
	s_or_b64 exec, exec, s[36:37]
	v_xor_b32_e32 v91, 0x7f, v91
	v_lshrrev_b32_sdwa v5, s69, v91 dst_sel:DWORD dst_unused:UNUSED_PAD src0_sel:DWORD src1_sel:BYTE_0
	v_and_b32_e32 v20, s77, v5
	v_mul_u32_u24_e32 v5, 5, v20
	v_add_lshl_u32 v5, v5, v88, 2
	; wave barrier
	v_add_u32_e32 v111, 0x410, v5
	ds_read_b32 v110, v5 offset:1040
	v_and_b32_e32 v5, 1, v20
	v_add_co_u32_e32 v21, vcc, -1, v5
	v_addc_co_u32_e64 v112, s[36:37], 0, -1, vcc
	v_cmp_ne_u32_e32 vcc, 0, v5
	v_xor_b32_e32 v5, vcc_hi, v112
	v_and_b32_e32 v112, exec_hi, v5
	v_lshlrev_b32_e32 v5, 30, v20
	v_xor_b32_e32 v21, vcc_lo, v21
	v_cmp_gt_i64_e32 vcc, 0, v[4:5]
	v_not_b32_e32 v5, v5
	v_ashrrev_i32_e32 v5, 31, v5
	v_and_b32_e32 v21, exec_lo, v21
	v_xor_b32_e32 v113, vcc_hi, v5
	v_xor_b32_e32 v5, vcc_lo, v5
	v_and_b32_e32 v21, v21, v5
	v_lshlrev_b32_e32 v5, 29, v20
	v_cmp_gt_i64_e32 vcc, 0, v[4:5]
	v_not_b32_e32 v5, v5
	v_ashrrev_i32_e32 v5, 31, v5
	v_and_b32_e32 v112, v112, v113
	v_xor_b32_e32 v113, vcc_hi, v5
	v_xor_b32_e32 v5, vcc_lo, v5
	v_and_b32_e32 v21, v21, v5
	v_lshlrev_b32_e32 v5, 28, v20
	v_cmp_gt_i64_e32 vcc, 0, v[4:5]
	v_not_b32_e32 v5, v5
	v_ashrrev_i32_e32 v5, 31, v5
	v_and_b32_e32 v112, v112, v113
	;; [unrolled: 8-line block ×5, first 2 shown]
	v_xor_b32_e32 v113, vcc_hi, v5
	v_xor_b32_e32 v5, vcc_lo, v5
	v_and_b32_e32 v112, v112, v113
	v_and_b32_e32 v113, v21, v5
	v_lshlrev_b32_e32 v5, 24, v20
	v_cmp_gt_i64_e32 vcc, 0, v[4:5]
	v_not_b32_e32 v5, v5
	v_ashrrev_i32_e32 v5, 31, v5
	v_xor_b32_e32 v20, vcc_hi, v5
	v_xor_b32_e32 v5, vcc_lo, v5
	v_and_b32_e32 v21, v112, v20
	v_and_b32_e32 v20, v113, v5
	v_mbcnt_lo_u32_b32 v5, v20, 0
	v_mbcnt_hi_u32_b32 v112, v21, v5
	v_cmp_eq_u32_e32 vcc, 0, v112
	v_cmp_ne_u64_e64 s[36:37], 0, v[20:21]
	s_and_b64 s[38:39], s[36:37], vcc
	; wave barrier
	s_and_saveexec_b64 s[36:37], s[38:39]
	s_cbranch_execz .LBB322_434
; %bb.433:                              ;   in Loop: Header=BB322_408 Depth=2
	v_bcnt_u32_b32 v5, v20, 0
	v_bcnt_u32_b32 v5, v21, v5
	s_waitcnt lgkmcnt(0)
	v_add_u32_e32 v5, v110, v5
	ds_write_b32 v111, v5
.LBB322_434:                            ;   in Loop: Header=BB322_408 Depth=2
	s_or_b64 exec, exec, s[36:37]
	v_xor_b32_e32 v113, 0x7f, v23
	v_lshrrev_b32_sdwa v5, s69, v113 dst_sel:DWORD dst_unused:UNUSED_PAD src0_sel:DWORD src1_sel:BYTE_0
	v_and_b32_e32 v20, s77, v5
	v_mul_u32_u24_e32 v5, 5, v20
	v_add_lshl_u32 v5, v5, v88, 2
	; wave barrier
	v_add_u32_e32 v115, 0x410, v5
	ds_read_b32 v114, v5 offset:1040
	v_and_b32_e32 v5, 1, v20
	v_add_co_u32_e32 v21, vcc, -1, v5
	v_addc_co_u32_e64 v23, s[36:37], 0, -1, vcc
	v_cmp_ne_u32_e32 vcc, 0, v5
	v_xor_b32_e32 v5, vcc_hi, v23
	v_and_b32_e32 v23, exec_hi, v5
	v_lshlrev_b32_e32 v5, 30, v20
	v_xor_b32_e32 v21, vcc_lo, v21
	v_cmp_gt_i64_e32 vcc, 0, v[4:5]
	v_not_b32_e32 v5, v5
	v_ashrrev_i32_e32 v5, 31, v5
	v_and_b32_e32 v21, exec_lo, v21
	v_xor_b32_e32 v116, vcc_hi, v5
	v_xor_b32_e32 v5, vcc_lo, v5
	v_and_b32_e32 v21, v21, v5
	v_lshlrev_b32_e32 v5, 29, v20
	v_cmp_gt_i64_e32 vcc, 0, v[4:5]
	v_not_b32_e32 v5, v5
	v_ashrrev_i32_e32 v5, 31, v5
	v_and_b32_e32 v23, v23, v116
	v_xor_b32_e32 v116, vcc_hi, v5
	v_xor_b32_e32 v5, vcc_lo, v5
	v_and_b32_e32 v21, v21, v5
	v_lshlrev_b32_e32 v5, 28, v20
	v_cmp_gt_i64_e32 vcc, 0, v[4:5]
	v_not_b32_e32 v5, v5
	v_ashrrev_i32_e32 v5, 31, v5
	v_and_b32_e32 v23, v23, v116
	;; [unrolled: 8-line block ×5, first 2 shown]
	v_xor_b32_e32 v116, vcc_hi, v5
	v_xor_b32_e32 v5, vcc_lo, v5
	v_and_b32_e32 v23, v23, v116
	v_and_b32_e32 v116, v21, v5
	v_lshlrev_b32_e32 v5, 24, v20
	v_cmp_gt_i64_e32 vcc, 0, v[4:5]
	v_not_b32_e32 v5, v5
	v_ashrrev_i32_e32 v5, 31, v5
	v_xor_b32_e32 v20, vcc_hi, v5
	v_xor_b32_e32 v5, vcc_lo, v5
	v_and_b32_e32 v21, v23, v20
	v_and_b32_e32 v20, v116, v5
	v_mbcnt_lo_u32_b32 v5, v20, 0
	v_mbcnt_hi_u32_b32 v116, v21, v5
	v_cmp_eq_u32_e32 vcc, 0, v116
	v_cmp_ne_u64_e64 s[36:37], 0, v[20:21]
	s_and_b64 s[38:39], s[36:37], vcc
	; wave barrier
	s_and_saveexec_b64 s[36:37], s[38:39]
	s_cbranch_execz .LBB322_436
; %bb.435:                              ;   in Loop: Header=BB322_408 Depth=2
	v_bcnt_u32_b32 v5, v20, 0
	v_bcnt_u32_b32 v5, v21, v5
	s_waitcnt lgkmcnt(0)
	v_add_u32_e32 v5, v114, v5
	ds_write_b32 v115, v5
.LBB322_436:                            ;   in Loop: Header=BB322_408 Depth=2
	s_or_b64 exec, exec, s[36:37]
	v_xor_b32_e32 v117, 0x7f, v22
	v_lshrrev_b32_sdwa v5, s69, v117 dst_sel:DWORD dst_unused:UNUSED_PAD src0_sel:DWORD src1_sel:BYTE_0
	v_and_b32_e32 v20, s77, v5
	v_mul_u32_u24_e32 v5, 5, v20
	v_add_lshl_u32 v5, v5, v88, 2
	; wave barrier
	v_add_u32_e32 v119, 0x410, v5
	ds_read_b32 v118, v5 offset:1040
	v_and_b32_e32 v5, 1, v20
	v_add_co_u32_e32 v21, vcc, -1, v5
	v_addc_co_u32_e64 v22, s[36:37], 0, -1, vcc
	v_cmp_ne_u32_e32 vcc, 0, v5
	v_xor_b32_e32 v5, vcc_hi, v22
	v_and_b32_e32 v22, exec_hi, v5
	v_lshlrev_b32_e32 v5, 30, v20
	v_xor_b32_e32 v21, vcc_lo, v21
	v_cmp_gt_i64_e32 vcc, 0, v[4:5]
	v_not_b32_e32 v5, v5
	v_ashrrev_i32_e32 v5, 31, v5
	v_and_b32_e32 v21, exec_lo, v21
	v_xor_b32_e32 v23, vcc_hi, v5
	v_xor_b32_e32 v5, vcc_lo, v5
	v_and_b32_e32 v21, v21, v5
	v_lshlrev_b32_e32 v5, 29, v20
	v_cmp_gt_i64_e32 vcc, 0, v[4:5]
	v_not_b32_e32 v5, v5
	v_ashrrev_i32_e32 v5, 31, v5
	v_and_b32_e32 v22, v22, v23
	v_xor_b32_e32 v23, vcc_hi, v5
	v_xor_b32_e32 v5, vcc_lo, v5
	v_and_b32_e32 v21, v21, v5
	v_lshlrev_b32_e32 v5, 28, v20
	v_cmp_gt_i64_e32 vcc, 0, v[4:5]
	v_not_b32_e32 v5, v5
	v_ashrrev_i32_e32 v5, 31, v5
	v_and_b32_e32 v22, v22, v23
	;; [unrolled: 8-line block ×5, first 2 shown]
	v_xor_b32_e32 v23, vcc_hi, v5
	v_xor_b32_e32 v5, vcc_lo, v5
	v_and_b32_e32 v22, v22, v23
	v_and_b32_e32 v23, v21, v5
	v_lshlrev_b32_e32 v5, 24, v20
	v_cmp_gt_i64_e32 vcc, 0, v[4:5]
	v_not_b32_e32 v5, v5
	v_ashrrev_i32_e32 v5, 31, v5
	v_xor_b32_e32 v20, vcc_hi, v5
	v_xor_b32_e32 v5, vcc_lo, v5
	v_and_b32_e32 v21, v22, v20
	v_and_b32_e32 v20, v23, v5
	v_mbcnt_lo_u32_b32 v5, v20, 0
	v_mbcnt_hi_u32_b32 v120, v21, v5
	v_cmp_eq_u32_e32 vcc, 0, v120
	v_cmp_ne_u64_e64 s[36:37], 0, v[20:21]
	s_and_b64 s[38:39], s[36:37], vcc
	; wave barrier
	s_and_saveexec_b64 s[36:37], s[38:39]
	s_cbranch_execz .LBB322_438
; %bb.437:                              ;   in Loop: Header=BB322_408 Depth=2
	v_bcnt_u32_b32 v5, v20, 0
	v_bcnt_u32_b32 v5, v21, v5
	s_waitcnt lgkmcnt(0)
	v_add_u32_e32 v5, v118, v5
	ds_write_b32 v119, v5
.LBB322_438:                            ;   in Loop: Header=BB322_408 Depth=2
	s_or_b64 exec, exec, s[36:37]
	; wave barrier
	s_waitcnt lgkmcnt(0)
	s_barrier
	ds_read_b32 v5, v42 offset:1040
	ds_read2_b32 v[22:23], v44 offset0:1 offset1:2
	ds_read2_b32 v[20:21], v44 offset0:3 offset1:4
	s_waitcnt lgkmcnt(1)
	v_add3_u32 v121, v22, v5, v23
	s_waitcnt lgkmcnt(0)
	v_add3_u32 v21, v121, v20, v21
	s_nop 1
	v_mov_b32_dpp v121, v21 row_shr:1 row_mask:0xf bank_mask:0xf
	v_cndmask_b32_e64 v121, v121, 0, s[16:17]
	v_add_u32_e32 v21, v121, v21
	s_nop 1
	v_mov_b32_dpp v121, v21 row_shr:2 row_mask:0xf bank_mask:0xf
	v_cndmask_b32_e64 v121, 0, v121, s[18:19]
	v_add_u32_e32 v21, v21, v121
	;; [unrolled: 4-line block ×4, first 2 shown]
	s_nop 1
	v_mov_b32_dpp v121, v21 row_bcast:15 row_mask:0xf bank_mask:0xf
	v_cndmask_b32_e64 v121, v121, 0, s[24:25]
	v_add_u32_e32 v21, v21, v121
	s_nop 1
	v_mov_b32_dpp v121, v21 row_bcast:31 row_mask:0xf bank_mask:0xf
	v_cndmask_b32_e64 v121, 0, v121, s[26:27]
	v_add_u32_e32 v21, v21, v121
	s_and_saveexec_b64 s[36:37], s[6:7]
	s_cbranch_execz .LBB322_440
; %bb.439:                              ;   in Loop: Header=BB322_408 Depth=2
	ds_write_b32 v35, v21 offset:1024
.LBB322_440:                            ;   in Loop: Header=BB322_408 Depth=2
	s_or_b64 exec, exec, s[36:37]
	s_waitcnt lgkmcnt(0)
	s_barrier
	s_and_saveexec_b64 s[36:37], s[8:9]
	s_cbranch_execz .LBB322_442
; %bb.441:                              ;   in Loop: Header=BB322_408 Depth=2
	v_add_u32_e32 v121, v42, v45
	ds_read_b32 v122, v121 offset:1024
	s_waitcnt lgkmcnt(0)
	s_nop 0
	v_mov_b32_dpp v123, v122 row_shr:1 row_mask:0xf bank_mask:0xf
	v_cndmask_b32_e64 v123, v123, 0, s[30:31]
	v_add_u32_e32 v122, v123, v122
	s_nop 1
	v_mov_b32_dpp v123, v122 row_shr:2 row_mask:0xf bank_mask:0xf
	v_cndmask_b32_e64 v123, 0, v123, s[34:35]
	v_add_u32_e32 v122, v122, v123
	ds_write_b32 v121, v122 offset:1024
.LBB322_442:                            ;   in Loop: Header=BB322_408 Depth=2
	s_or_b64 exec, exec, s[36:37]
	v_mov_b32_e32 v121, 0
	s_waitcnt lgkmcnt(0)
	s_barrier
	s_and_saveexec_b64 s[36:37], s[10:11]
	s_cbranch_execz .LBB322_444
; %bb.443:                              ;   in Loop: Header=BB322_408 Depth=2
	ds_read_b32 v121, v35 offset:1020
.LBB322_444:                            ;   in Loop: Header=BB322_408 Depth=2
	s_or_b64 exec, exec, s[36:37]
	s_waitcnt lgkmcnt(0)
	v_add_u32_e32 v21, v121, v21
	ds_bpermute_b32 v21, v65, v21
	s_waitcnt lgkmcnt(0)
	v_cndmask_b32_e64 v21, v21, v121, s[28:29]
	v_cndmask_b32_e64 v21, v21, 0, s[12:13]
	v_add_u32_e32 v5, v21, v5
	ds_write_b32 v42, v21 offset:1040
	v_add_u32_e32 v21, v5, v22
	v_add_u32_e32 v22, v21, v23
	ds_write2_b32 v44, v5, v21 offset0:1 offset1:2
	v_add_u32_e32 v5, v22, v20
	ds_write2_b32 v44, v22, v5 offset0:3 offset1:4
	s_waitcnt lgkmcnt(0)
	s_barrier
	ds_read_b32 v20, v97
	ds_read_b32 v21, v102
	;; [unrolled: 1-line block ×8, first 2 shown]
	ds_read_b32 v97, v42 offset:1040
	v_mov_b32_e32 v5, 0x800
	s_and_saveexec_b64 s[36:37], s[14:15]
	s_cbranch_execz .LBB322_446
; %bb.445:                              ;   in Loop: Header=BB322_408 Depth=2
	ds_read_b32 v5, v42 offset:1060
.LBB322_446:                            ;   in Loop: Header=BB322_408 Depth=2
	s_or_b64 exec, exec, s[36:37]
	s_waitcnt lgkmcnt(0)
	s_barrier
	s_and_saveexec_b64 s[36:37], s[4:5]
	s_cbranch_execz .LBB322_448
; %bb.447:                              ;   in Loop: Header=BB322_408 Depth=2
	ds_read_b32 v102, v3
	s_waitcnt lgkmcnt(0)
	v_sub_u32_e32 v97, v102, v97
	ds_write_b32 v3, v97
.LBB322_448:                            ;   in Loop: Header=BB322_408 Depth=2
	s_or_b64 exec, exec, s[36:37]
	v_add_u32_e32 v102, v92, v93
	v_add3_u32 v98, v98, v95, v20
	v_add3_u32 v97, v103, v100, v21
	;; [unrolled: 1-line block ×7, first 2 shown]
	v_cmp_lt_u32_e64 s[48:49], v2, v89
	ds_write_b8 v102, v90 offset:1024
	ds_write_b8 v98, v94 offset:1024
	;; [unrolled: 1-line block ×8, first 2 shown]
	s_waitcnt lgkmcnt(0)
	s_barrier
	s_and_saveexec_b64 s[36:37], s[48:49]
	s_cbranch_execz .LBB322_456
; %bb.449:                              ;   in Loop: Header=BB322_408 Depth=2
	ds_read_u8 v20, v2 offset:1024
	s_waitcnt lgkmcnt(0)
	v_lshrrev_b32_sdwa v21, s69, v20 dst_sel:DWORD dst_unused:UNUSED_PAD src0_sel:DWORD src1_sel:BYTE_0
	v_and_b32_e32 v21, s77, v21
	v_lshlrev_b32_e32 v21, 2, v21
	ds_read_b32 v21, v21
	v_xor_b32_e32 v20, 0x7f, v20
	s_waitcnt lgkmcnt(0)
	v_add_u32_e32 v21, v21, v2
	global_store_byte v21, v20, s[58:59]
	s_or_b64 exec, exec, s[36:37]
	v_cmp_lt_u32_e64 s[46:47], v24, v89
	s_and_saveexec_b64 s[36:37], s[46:47]
	s_cbranch_execnz .LBB322_457
.LBB322_450:                            ;   in Loop: Header=BB322_408 Depth=2
	s_or_b64 exec, exec, s[36:37]
	v_cmp_lt_u32_e64 s[44:45], v25, v89
	s_and_saveexec_b64 s[36:37], s[44:45]
	s_cbranch_execz .LBB322_458
.LBB322_451:                            ;   in Loop: Header=BB322_408 Depth=2
	ds_read_u8 v20, v30 offset:512
	s_waitcnt lgkmcnt(0)
	v_lshrrev_b32_sdwa v21, s69, v20 dst_sel:DWORD dst_unused:UNUSED_PAD src0_sel:DWORD src1_sel:BYTE_0
	v_and_b32_e32 v21, s77, v21
	v_lshlrev_b32_e32 v21, 2, v21
	ds_read_b32 v21, v21
	v_xor_b32_e32 v20, 0x7f, v20
	s_waitcnt lgkmcnt(0)
	v_add_u32_e32 v21, v21, v25
	global_store_byte v21, v20, s[58:59]
	s_or_b64 exec, exec, s[36:37]
	v_cmp_lt_u32_e64 s[42:43], v26, v89
	s_and_saveexec_b64 s[36:37], s[42:43]
	s_cbranch_execnz .LBB322_459
.LBB322_452:                            ;   in Loop: Header=BB322_408 Depth=2
	s_or_b64 exec, exec, s[36:37]
	v_cmp_lt_u32_e64 s[40:41], v30, v89
	s_and_saveexec_b64 s[36:37], s[40:41]
	s_cbranch_execz .LBB322_460
.LBB322_453:                            ;   in Loop: Header=BB322_408 Depth=2
	ds_read_u8 v20, v30 offset:1024
	s_waitcnt lgkmcnt(0)
	v_lshrrev_b32_sdwa v21, s69, v20 dst_sel:DWORD dst_unused:UNUSED_PAD src0_sel:DWORD src1_sel:BYTE_0
	v_and_b32_e32 v21, s77, v21
	v_lshlrev_b32_e32 v21, 2, v21
	ds_read_b32 v21, v21
	v_xor_b32_e32 v20, 0x7f, v20
	s_waitcnt lgkmcnt(0)
	v_add_u32_e32 v21, v21, v30
	global_store_byte v21, v20, s[58:59]
	s_or_b64 exec, exec, s[36:37]
	v_cmp_lt_u32_e64 s[38:39], v31, v89
	s_and_saveexec_b64 s[36:37], s[38:39]
	s_cbranch_execnz .LBB322_461
.LBB322_454:                            ;   in Loop: Header=BB322_408 Depth=2
	s_or_b64 exec, exec, s[36:37]
	v_cmp_lt_u32_e64 s[36:37], v32, v89
	s_and_saveexec_b64 s[52:53], s[36:37]
	s_cbranch_execz .LBB322_462
.LBB322_455:                            ;   in Loop: Header=BB322_408 Depth=2
	ds_read_u8 v20, v30 offset:1536
	s_waitcnt lgkmcnt(0)
	v_lshrrev_b32_sdwa v21, s69, v20 dst_sel:DWORD dst_unused:UNUSED_PAD src0_sel:DWORD src1_sel:BYTE_0
	v_and_b32_e32 v21, s77, v21
	v_lshlrev_b32_e32 v21, 2, v21
	ds_read_b32 v21, v21
	v_xor_b32_e32 v20, 0x7f, v20
	s_waitcnt lgkmcnt(0)
	v_add_u32_e32 v21, v21, v32
	global_store_byte v21, v20, s[58:59]
	s_or_b64 exec, exec, s[52:53]
	v_cmp_lt_u32_e32 vcc, v33, v89
	s_and_saveexec_b64 s[52:53], vcc
	s_cbranch_execnz .LBB322_463
	s_branch .LBB322_464
.LBB322_456:                            ;   in Loop: Header=BB322_408 Depth=2
	s_or_b64 exec, exec, s[36:37]
	v_cmp_lt_u32_e64 s[46:47], v24, v89
	s_and_saveexec_b64 s[36:37], s[46:47]
	s_cbranch_execz .LBB322_450
.LBB322_457:                            ;   in Loop: Header=BB322_408 Depth=2
	ds_read_u8 v20, v30 offset:256
	s_waitcnt lgkmcnt(0)
	v_lshrrev_b32_sdwa v21, s69, v20 dst_sel:DWORD dst_unused:UNUSED_PAD src0_sel:DWORD src1_sel:BYTE_0
	v_and_b32_e32 v21, s77, v21
	v_lshlrev_b32_e32 v21, 2, v21
	ds_read_b32 v21, v21
	v_xor_b32_e32 v20, 0x7f, v20
	s_waitcnt lgkmcnt(0)
	v_add_u32_e32 v21, v21, v24
	global_store_byte v21, v20, s[58:59]
	s_or_b64 exec, exec, s[36:37]
	v_cmp_lt_u32_e64 s[44:45], v25, v89
	s_and_saveexec_b64 s[36:37], s[44:45]
	s_cbranch_execnz .LBB322_451
.LBB322_458:                            ;   in Loop: Header=BB322_408 Depth=2
	s_or_b64 exec, exec, s[36:37]
	v_cmp_lt_u32_e64 s[42:43], v26, v89
	s_and_saveexec_b64 s[36:37], s[42:43]
	s_cbranch_execz .LBB322_452
.LBB322_459:                            ;   in Loop: Header=BB322_408 Depth=2
	ds_read_u8 v20, v30 offset:768
	s_waitcnt lgkmcnt(0)
	v_lshrrev_b32_sdwa v21, s69, v20 dst_sel:DWORD dst_unused:UNUSED_PAD src0_sel:DWORD src1_sel:BYTE_0
	v_and_b32_e32 v21, s77, v21
	v_lshlrev_b32_e32 v21, 2, v21
	ds_read_b32 v21, v21
	v_xor_b32_e32 v20, 0x7f, v20
	s_waitcnt lgkmcnt(0)
	v_add_u32_e32 v21, v21, v26
	global_store_byte v21, v20, s[58:59]
	s_or_b64 exec, exec, s[36:37]
	v_cmp_lt_u32_e64 s[40:41], v30, v89
	s_and_saveexec_b64 s[36:37], s[40:41]
	s_cbranch_execnz .LBB322_453
.LBB322_460:                            ;   in Loop: Header=BB322_408 Depth=2
	s_or_b64 exec, exec, s[36:37]
	v_cmp_lt_u32_e64 s[38:39], v31, v89
	s_and_saveexec_b64 s[36:37], s[38:39]
	s_cbranch_execz .LBB322_454
.LBB322_461:                            ;   in Loop: Header=BB322_408 Depth=2
	ds_read_u8 v20, v30 offset:1280
	s_waitcnt lgkmcnt(0)
	v_lshrrev_b32_sdwa v21, s69, v20 dst_sel:DWORD dst_unused:UNUSED_PAD src0_sel:DWORD src1_sel:BYTE_0
	v_and_b32_e32 v21, s77, v21
	v_lshlrev_b32_e32 v21, 2, v21
	ds_read_b32 v21, v21
	v_xor_b32_e32 v20, 0x7f, v20
	s_waitcnt lgkmcnt(0)
	v_add_u32_e32 v21, v21, v31
	global_store_byte v21, v20, s[58:59]
	s_or_b64 exec, exec, s[36:37]
	v_cmp_lt_u32_e64 s[36:37], v32, v89
	s_and_saveexec_b64 s[52:53], s[36:37]
	s_cbranch_execnz .LBB322_455
.LBB322_462:                            ;   in Loop: Header=BB322_408 Depth=2
	s_or_b64 exec, exec, s[52:53]
	v_cmp_lt_u32_e32 vcc, v33, v89
	s_and_saveexec_b64 s[52:53], vcc
	s_cbranch_execz .LBB322_464
.LBB322_463:                            ;   in Loop: Header=BB322_408 Depth=2
	ds_read_u8 v20, v30 offset:1792
	s_waitcnt lgkmcnt(0)
	v_lshrrev_b32_sdwa v21, s69, v20 dst_sel:DWORD dst_unused:UNUSED_PAD src0_sel:DWORD src1_sel:BYTE_0
	v_and_b32_e32 v21, s77, v21
	v_lshlrev_b32_e32 v21, 2, v21
	ds_read_b32 v21, v21
	v_xor_b32_e32 v20, 0x7f, v20
	s_waitcnt lgkmcnt(0)
	v_add_u32_e32 v21, v21, v33
	global_store_byte v21, v20, s[58:59]
.LBB322_464:                            ;   in Loop: Header=BB322_408 Depth=2
	s_or_b64 exec, exec, s[52:53]
	s_lshl_b64 s[52:53], s[72:73], 3
	v_mov_b32_e32 v21, s53
	v_add_co_u32_e64 v20, s[52:53], s52, v77
	v_addc_co_u32_e64 v21, s[52:53], v78, v21, s[52:53]
	v_cmp_lt_u32_e64 s[52:53], v72, v89
	s_and_saveexec_b64 s[62:63], s[52:53]
	s_xor_b64 s[52:53], exec, s[62:63]
	s_cbranch_execz .LBB322_480
; %bb.465:                              ;   in Loop: Header=BB322_408 Depth=2
	global_load_dwordx2 v[18:19], v[20:21], off
	s_or_b64 exec, exec, s[52:53]
	v_cmp_lt_u32_e64 s[52:53], v79, v89
	s_and_saveexec_b64 s[62:63], s[52:53]
	s_cbranch_execnz .LBB322_481
.LBB322_466:                            ;   in Loop: Header=BB322_408 Depth=2
	s_or_b64 exec, exec, s[62:63]
	v_cmp_lt_u32_e64 s[52:53], v80, v89
	s_and_saveexec_b64 s[62:63], s[52:53]
	s_cbranch_execz .LBB322_482
.LBB322_467:                            ;   in Loop: Header=BB322_408 Depth=2
	global_load_dwordx2 v[14:15], v[20:21], off offset:1024
	s_or_b64 exec, exec, s[62:63]
	v_cmp_lt_u32_e64 s[52:53], v81, v89
	s_and_saveexec_b64 s[62:63], s[52:53]
	s_cbranch_execnz .LBB322_483
.LBB322_468:                            ;   in Loop: Header=BB322_408 Depth=2
	s_or_b64 exec, exec, s[62:63]
	v_cmp_lt_u32_e64 s[52:53], v82, v89
	s_and_saveexec_b64 s[62:63], s[52:53]
	s_cbranch_execz .LBB322_484
.LBB322_469:                            ;   in Loop: Header=BB322_408 Depth=2
	global_load_dwordx2 v[10:11], v[20:21], off offset:2048
	s_or_b64 exec, exec, s[62:63]
	v_cmp_lt_u32_e64 s[52:53], v83, v89
	s_and_saveexec_b64 s[62:63], s[52:53]
	s_cbranch_execnz .LBB322_485
.LBB322_470:                            ;   in Loop: Header=BB322_408 Depth=2
	s_or_b64 exec, exec, s[62:63]
	v_cmp_lt_u32_e64 s[52:53], v84, v89
	s_and_saveexec_b64 s[62:63], s[52:53]
	s_cbranch_execz .LBB322_486
.LBB322_471:                            ;   in Loop: Header=BB322_408 Depth=2
	global_load_dwordx2 v[6:7], v[20:21], off offset:3072
	s_or_b64 exec, exec, s[62:63]
	v_cmp_lt_u32_e64 s[52:53], v85, v89
	s_and_saveexec_b64 s[62:63], s[52:53]
	s_cbranch_execnz .LBB322_487
.LBB322_472:                            ;   in Loop: Header=BB322_408 Depth=2
	s_or_b64 exec, exec, s[62:63]
	s_and_saveexec_b64 s[52:53], s[48:49]
	s_cbranch_execz .LBB322_488
.LBB322_473:                            ;   in Loop: Header=BB322_408 Depth=2
	ds_read_u8 v20, v2 offset:1024
	s_waitcnt lgkmcnt(0)
	v_lshrrev_b32_e32 v20, s69, v20
	v_and_b32_e32 v75, s77, v20
	s_or_b64 exec, exec, s[52:53]
	s_and_saveexec_b64 s[52:53], s[46:47]
	s_cbranch_execnz .LBB322_489
.LBB322_474:                            ;   in Loop: Header=BB322_408 Depth=2
	s_or_b64 exec, exec, s[52:53]
	s_and_saveexec_b64 s[52:53], s[44:45]
	s_cbranch_execz .LBB322_490
.LBB322_475:                            ;   in Loop: Header=BB322_408 Depth=2
	ds_read_u8 v20, v30 offset:512
	s_waitcnt lgkmcnt(0)
	v_lshrrev_b32_e32 v20, s69, v20
	v_and_b32_e32 v71, s77, v20
	s_or_b64 exec, exec, s[52:53]
	s_and_saveexec_b64 s[52:53], s[42:43]
	s_cbranch_execnz .LBB322_491
.LBB322_476:                            ;   in Loop: Header=BB322_408 Depth=2
	s_or_b64 exec, exec, s[52:53]
	s_and_saveexec_b64 s[52:53], s[40:41]
	s_cbranch_execz .LBB322_492
.LBB322_477:                            ;   in Loop: Header=BB322_408 Depth=2
	ds_read_u8 v20, v30 offset:1024
	s_waitcnt lgkmcnt(0)
	v_lshrrev_b32_e32 v20, s69, v20
	v_and_b32_e32 v69, s77, v20
	s_or_b64 exec, exec, s[52:53]
	s_and_saveexec_b64 s[52:53], s[38:39]
	s_cbranch_execnz .LBB322_493
.LBB322_478:                            ;   in Loop: Header=BB322_408 Depth=2
	s_or_b64 exec, exec, s[52:53]
	s_and_saveexec_b64 s[52:53], s[36:37]
	s_cbranch_execz .LBB322_494
.LBB322_479:                            ;   in Loop: Header=BB322_408 Depth=2
	ds_read_u8 v20, v30 offset:1536
	s_waitcnt lgkmcnt(0)
	v_lshrrev_b32_e32 v20, s69, v20
	v_and_b32_e32 v67, s77, v20
	s_or_b64 exec, exec, s[52:53]
	s_and_saveexec_b64 s[52:53], vcc
	s_cbranch_execnz .LBB322_495
	s_branch .LBB322_496
.LBB322_480:                            ;   in Loop: Header=BB322_408 Depth=2
	s_or_b64 exec, exec, s[52:53]
	v_cmp_lt_u32_e64 s[52:53], v79, v89
	s_and_saveexec_b64 s[62:63], s[52:53]
	s_cbranch_execz .LBB322_466
.LBB322_481:                            ;   in Loop: Header=BB322_408 Depth=2
	global_load_dwordx2 v[16:17], v[20:21], off offset:512
	s_or_b64 exec, exec, s[62:63]
	v_cmp_lt_u32_e64 s[52:53], v80, v89
	s_and_saveexec_b64 s[62:63], s[52:53]
	s_cbranch_execnz .LBB322_467
.LBB322_482:                            ;   in Loop: Header=BB322_408 Depth=2
	s_or_b64 exec, exec, s[62:63]
	v_cmp_lt_u32_e64 s[52:53], v81, v89
	s_and_saveexec_b64 s[62:63], s[52:53]
	s_cbranch_execz .LBB322_468
.LBB322_483:                            ;   in Loop: Header=BB322_408 Depth=2
	global_load_dwordx2 v[12:13], v[20:21], off offset:1536
	s_or_b64 exec, exec, s[62:63]
	v_cmp_lt_u32_e64 s[52:53], v82, v89
	s_and_saveexec_b64 s[62:63], s[52:53]
	s_cbranch_execnz .LBB322_469
.LBB322_484:                            ;   in Loop: Header=BB322_408 Depth=2
	s_or_b64 exec, exec, s[62:63]
	v_cmp_lt_u32_e64 s[52:53], v83, v89
	s_and_saveexec_b64 s[62:63], s[52:53]
	s_cbranch_execz .LBB322_470
.LBB322_485:                            ;   in Loop: Header=BB322_408 Depth=2
	global_load_dwordx2 v[8:9], v[20:21], off offset:2560
	s_or_b64 exec, exec, s[62:63]
	v_cmp_lt_u32_e64 s[52:53], v84, v89
	s_and_saveexec_b64 s[62:63], s[52:53]
	s_cbranch_execnz .LBB322_471
.LBB322_486:                            ;   in Loop: Header=BB322_408 Depth=2
	s_or_b64 exec, exec, s[62:63]
	v_cmp_lt_u32_e64 s[52:53], v85, v89
	s_and_saveexec_b64 s[62:63], s[52:53]
	s_cbranch_execz .LBB322_472
.LBB322_487:                            ;   in Loop: Header=BB322_408 Depth=2
	global_load_dwordx2 v[0:1], v[20:21], off offset:3584
	s_or_b64 exec, exec, s[62:63]
	s_and_saveexec_b64 s[52:53], s[48:49]
	s_cbranch_execnz .LBB322_473
.LBB322_488:                            ;   in Loop: Header=BB322_408 Depth=2
	s_or_b64 exec, exec, s[52:53]
	s_and_saveexec_b64 s[52:53], s[46:47]
	s_cbranch_execz .LBB322_474
.LBB322_489:                            ;   in Loop: Header=BB322_408 Depth=2
	ds_read_u8 v20, v30 offset:256
	s_waitcnt lgkmcnt(0)
	v_lshrrev_b32_e32 v20, s69, v20
	v_and_b32_e32 v73, s77, v20
	s_or_b64 exec, exec, s[52:53]
	s_and_saveexec_b64 s[52:53], s[44:45]
	s_cbranch_execnz .LBB322_475
.LBB322_490:                            ;   in Loop: Header=BB322_408 Depth=2
	s_or_b64 exec, exec, s[52:53]
	s_and_saveexec_b64 s[52:53], s[42:43]
	s_cbranch_execz .LBB322_476
.LBB322_491:                            ;   in Loop: Header=BB322_408 Depth=2
	ds_read_u8 v20, v30 offset:768
	s_waitcnt lgkmcnt(0)
	v_lshrrev_b32_e32 v20, s69, v20
	v_and_b32_e32 v70, s77, v20
	s_or_b64 exec, exec, s[52:53]
	s_and_saveexec_b64 s[52:53], s[40:41]
	s_cbranch_execnz .LBB322_477
.LBB322_492:                            ;   in Loop: Header=BB322_408 Depth=2
	s_or_b64 exec, exec, s[52:53]
	s_and_saveexec_b64 s[52:53], s[38:39]
	s_cbranch_execz .LBB322_478
.LBB322_493:                            ;   in Loop: Header=BB322_408 Depth=2
	ds_read_u8 v20, v30 offset:1280
	s_waitcnt lgkmcnt(0)
	v_lshrrev_b32_e32 v20, s69, v20
	v_and_b32_e32 v68, s77, v20
	s_or_b64 exec, exec, s[52:53]
	s_and_saveexec_b64 s[52:53], s[36:37]
	s_cbranch_execnz .LBB322_479
.LBB322_494:                            ;   in Loop: Header=BB322_408 Depth=2
	s_or_b64 exec, exec, s[52:53]
	s_and_saveexec_b64 s[52:53], vcc
	s_cbranch_execz .LBB322_496
.LBB322_495:                            ;   in Loop: Header=BB322_408 Depth=2
	ds_read_u8 v20, v30 offset:1792
	s_waitcnt lgkmcnt(0)
	v_lshrrev_b32_e32 v20, s69, v20
	v_and_b32_e32 v66, s77, v20
.LBB322_496:                            ;   in Loop: Header=BB322_408 Depth=2
	s_or_b64 exec, exec, s[52:53]
	v_lshlrev_b32_e32 v20, 3, v102
	s_barrier
	s_waitcnt vmcnt(0)
	ds_write_b64 v20, v[18:19] offset:1024
	v_lshlrev_b32_e32 v20, 3, v98
	ds_write_b64 v20, v[16:17] offset:1024
	v_lshlrev_b32_e32 v20, 3, v97
	ds_write_b64 v20, v[14:15] offset:1024
	v_lshlrev_b32_e32 v20, 3, v95
	ds_write_b64 v20, v[12:13] offset:1024
	v_lshlrev_b32_e32 v20, 3, v93
	ds_write_b64 v20, v[10:11] offset:1024
	v_lshlrev_b32_e32 v20, 3, v92
	ds_write_b64 v20, v[8:9] offset:1024
	v_lshlrev_b32_e32 v20, 3, v23
	ds_write_b64 v20, v[6:7] offset:1024
	v_lshlrev_b32_e32 v20, 3, v22
	ds_write_b64 v20, v[0:1] offset:1024
	s_waitcnt lgkmcnt(0)
	s_barrier
	s_and_saveexec_b64 s[52:53], s[48:49]
	s_cbranch_execz .LBB322_504
; %bb.497:                              ;   in Loop: Header=BB322_408 Depth=2
	v_lshlrev_b32_e32 v20, 2, v75
	ds_read_b32 v22, v20
	v_add_u32_e32 v20, v2, v50
	ds_read_b64 v[20:21], v20 offset:1024
	v_mov_b32_e32 v23, v4
	v_mov_b32_e32 v89, s65
	s_waitcnt lgkmcnt(1)
	v_add_u32_e32 v22, v22, v2
	v_lshlrev_b64 v[22:23], 3, v[22:23]
	v_add_co_u32_e64 v22, s[48:49], s64, v22
	v_addc_co_u32_e64 v23, s[48:49], v89, v23, s[48:49]
	s_waitcnt lgkmcnt(0)
	global_store_dwordx2 v[22:23], v[20:21], off
	s_or_b64 exec, exec, s[52:53]
	s_and_saveexec_b64 s[48:49], s[46:47]
	s_cbranch_execnz .LBB322_505
.LBB322_498:                            ;   in Loop: Header=BB322_408 Depth=2
	s_or_b64 exec, exec, s[48:49]
	s_and_saveexec_b64 s[46:47], s[44:45]
	s_cbranch_execz .LBB322_506
.LBB322_499:                            ;   in Loop: Header=BB322_408 Depth=2
	v_lshlrev_b32_e32 v20, 2, v71
	ds_read_b32 v22, v20
	v_add_u32_e32 v20, v30, v50
	ds_read_b64 v[20:21], v20 offset:4096
	v_mov_b32_e32 v23, v4
	v_mov_b32_e32 v89, s65
	s_waitcnt lgkmcnt(1)
	v_add_u32_e32 v22, v22, v25
	v_lshlrev_b64 v[22:23], 3, v[22:23]
	v_add_co_u32_e64 v22, s[44:45], s64, v22
	v_addc_co_u32_e64 v23, s[44:45], v89, v23, s[44:45]
	s_waitcnt lgkmcnt(0)
	global_store_dwordx2 v[22:23], v[20:21], off
	s_or_b64 exec, exec, s[46:47]
	s_and_saveexec_b64 s[44:45], s[42:43]
	s_cbranch_execnz .LBB322_507
.LBB322_500:                            ;   in Loop: Header=BB322_408 Depth=2
	s_or_b64 exec, exec, s[44:45]
	s_and_saveexec_b64 s[42:43], s[40:41]
	s_cbranch_execz .LBB322_508
.LBB322_501:                            ;   in Loop: Header=BB322_408 Depth=2
	v_lshlrev_b32_e32 v20, 2, v69
	ds_read_b32 v22, v20
	v_add_u32_e32 v20, v30, v50
	ds_read_b64 v[20:21], v20 offset:8192
	v_mov_b32_e32 v23, v4
	v_mov_b32_e32 v89, s65
	s_waitcnt lgkmcnt(1)
	v_add_u32_e32 v22, v22, v30
	v_lshlrev_b64 v[22:23], 3, v[22:23]
	v_add_co_u32_e64 v22, s[40:41], s64, v22
	v_addc_co_u32_e64 v23, s[40:41], v89, v23, s[40:41]
	s_waitcnt lgkmcnt(0)
	global_store_dwordx2 v[22:23], v[20:21], off
	s_or_b64 exec, exec, s[42:43]
	s_and_saveexec_b64 s[40:41], s[38:39]
	s_cbranch_execnz .LBB322_509
.LBB322_502:                            ;   in Loop: Header=BB322_408 Depth=2
	s_or_b64 exec, exec, s[40:41]
	s_and_saveexec_b64 s[38:39], s[36:37]
	s_cbranch_execz .LBB322_510
.LBB322_503:                            ;   in Loop: Header=BB322_408 Depth=2
	v_lshlrev_b32_e32 v20, 2, v67
	ds_read_b32 v22, v20
	v_add_u32_e32 v20, v30, v50
	ds_read_b64 v[20:21], v20 offset:12288
	v_mov_b32_e32 v23, v4
	v_mov_b32_e32 v89, s65
	s_waitcnt lgkmcnt(1)
	v_add_u32_e32 v22, v22, v32
	v_lshlrev_b64 v[22:23], 3, v[22:23]
	v_add_co_u32_e64 v22, s[36:37], s64, v22
	v_addc_co_u32_e64 v23, s[36:37], v89, v23, s[36:37]
	s_waitcnt lgkmcnt(0)
	global_store_dwordx2 v[22:23], v[20:21], off
	s_or_b64 exec, exec, s[38:39]
	s_and_saveexec_b64 s[36:37], vcc
	s_cbranch_execnz .LBB322_511
	s_branch .LBB322_512
.LBB322_504:                            ;   in Loop: Header=BB322_408 Depth=2
	s_or_b64 exec, exec, s[52:53]
	s_and_saveexec_b64 s[48:49], s[46:47]
	s_cbranch_execz .LBB322_498
.LBB322_505:                            ;   in Loop: Header=BB322_408 Depth=2
	v_lshlrev_b32_e32 v20, 2, v73
	ds_read_b32 v22, v20
	v_add_u32_e32 v20, v30, v50
	ds_read_b64 v[20:21], v20 offset:2048
	v_mov_b32_e32 v23, v4
	v_mov_b32_e32 v89, s65
	s_waitcnt lgkmcnt(1)
	v_add_u32_e32 v22, v22, v24
	v_lshlrev_b64 v[22:23], 3, v[22:23]
	v_add_co_u32_e64 v22, s[46:47], s64, v22
	v_addc_co_u32_e64 v23, s[46:47], v89, v23, s[46:47]
	s_waitcnt lgkmcnt(0)
	global_store_dwordx2 v[22:23], v[20:21], off
	s_or_b64 exec, exec, s[48:49]
	s_and_saveexec_b64 s[46:47], s[44:45]
	s_cbranch_execnz .LBB322_499
.LBB322_506:                            ;   in Loop: Header=BB322_408 Depth=2
	s_or_b64 exec, exec, s[46:47]
	s_and_saveexec_b64 s[44:45], s[42:43]
	s_cbranch_execz .LBB322_500
.LBB322_507:                            ;   in Loop: Header=BB322_408 Depth=2
	v_lshlrev_b32_e32 v20, 2, v70
	ds_read_b32 v22, v20
	v_add_u32_e32 v20, v30, v50
	ds_read_b64 v[20:21], v20 offset:6144
	v_mov_b32_e32 v23, v4
	v_mov_b32_e32 v89, s65
	s_waitcnt lgkmcnt(1)
	v_add_u32_e32 v22, v22, v26
	v_lshlrev_b64 v[22:23], 3, v[22:23]
	v_add_co_u32_e64 v22, s[42:43], s64, v22
	v_addc_co_u32_e64 v23, s[42:43], v89, v23, s[42:43]
	s_waitcnt lgkmcnt(0)
	global_store_dwordx2 v[22:23], v[20:21], off
	s_or_b64 exec, exec, s[44:45]
	s_and_saveexec_b64 s[42:43], s[40:41]
	s_cbranch_execnz .LBB322_501
.LBB322_508:                            ;   in Loop: Header=BB322_408 Depth=2
	s_or_b64 exec, exec, s[42:43]
	s_and_saveexec_b64 s[40:41], s[38:39]
	s_cbranch_execz .LBB322_502
.LBB322_509:                            ;   in Loop: Header=BB322_408 Depth=2
	v_lshlrev_b32_e32 v20, 2, v68
	ds_read_b32 v22, v20
	v_add_u32_e32 v20, v30, v50
	ds_read_b64 v[20:21], v20 offset:10240
	v_mov_b32_e32 v23, v4
	v_mov_b32_e32 v89, s65
	s_waitcnt lgkmcnt(1)
	v_add_u32_e32 v22, v22, v31
	v_lshlrev_b64 v[22:23], 3, v[22:23]
	v_add_co_u32_e64 v22, s[38:39], s64, v22
	v_addc_co_u32_e64 v23, s[38:39], v89, v23, s[38:39]
	s_waitcnt lgkmcnt(0)
	global_store_dwordx2 v[22:23], v[20:21], off
	s_or_b64 exec, exec, s[40:41]
	s_and_saveexec_b64 s[38:39], s[36:37]
	s_cbranch_execnz .LBB322_503
.LBB322_510:                            ;   in Loop: Header=BB322_408 Depth=2
	s_or_b64 exec, exec, s[38:39]
	s_and_saveexec_b64 s[36:37], vcc
	s_cbranch_execz .LBB322_512
.LBB322_511:                            ;   in Loop: Header=BB322_408 Depth=2
	v_lshlrev_b32_e32 v20, 2, v66
	ds_read_b32 v22, v20
	v_add_u32_e32 v20, v30, v50
	ds_read_b64 v[20:21], v20 offset:14336
	v_mov_b32_e32 v23, v4
	v_mov_b32_e32 v89, s65
	s_waitcnt lgkmcnt(1)
	v_add_u32_e32 v22, v22, v33
	v_lshlrev_b64 v[22:23], 3, v[22:23]
	v_add_co_u32_e32 v22, vcc, s64, v22
	v_addc_co_u32_e32 v23, vcc, v89, v23, vcc
	s_waitcnt lgkmcnt(0)
	global_store_dwordx2 v[22:23], v[20:21], off
.LBB322_512:                            ;   in Loop: Header=BB322_408 Depth=2
	s_or_b64 exec, exec, s[36:37]
	s_barrier
	s_and_saveexec_b64 s[36:37], s[4:5]
	s_cbranch_execz .LBB322_407
; %bb.513:                              ;   in Loop: Header=BB322_408 Depth=2
	ds_read_b32 v20, v3
	s_waitcnt lgkmcnt(0)
	v_add_u32_e32 v5, v20, v5
	ds_write_b32 v3, v5
	s_branch .LBB322_407
.LBB322_514:                            ;   in Loop: Header=BB322_408 Depth=2
	s_or_b64 exec, exec, s[36:37]
	v_cmp_gt_u32_e32 vcc, s78, v79
	s_and_saveexec_b64 s[36:37], vcc
	s_cbranch_execz .LBB322_414
.LBB322_515:                            ;   in Loop: Header=BB322_408 Depth=2
	global_load_ubyte v94, v[20:21], off offset:64
	s_or_b64 exec, exec, s[36:37]
	v_cmp_gt_u32_e32 vcc, s78, v80
	s_and_saveexec_b64 s[36:37], vcc
	s_cbranch_execnz .LBB322_415
.LBB322_516:                            ;   in Loop: Header=BB322_408 Depth=2
	s_or_b64 exec, exec, s[36:37]
	v_cmp_gt_u32_e32 vcc, s78, v81
	s_and_saveexec_b64 s[36:37], vcc
	s_cbranch_execz .LBB322_416
.LBB322_517:                            ;   in Loop: Header=BB322_408 Depth=2
	global_load_ubyte v101, v[20:21], off offset:192
	s_or_b64 exec, exec, s[36:37]
	v_cmp_gt_u32_e32 vcc, s78, v82
	s_and_saveexec_b64 s[36:37], vcc
	s_cbranch_execnz .LBB322_417
.LBB322_518:                            ;   in Loop: Header=BB322_408 Depth=2
	s_or_b64 exec, exec, s[36:37]
	v_cmp_gt_u32_e32 vcc, s78, v83
	s_and_saveexec_b64 s[36:37], vcc
	s_cbranch_execz .LBB322_418
.LBB322_519:                            ;   in Loop: Header=BB322_408 Depth=2
	global_load_ubyte v91, v[20:21], off offset:320
	s_or_b64 exec, exec, s[36:37]
	v_cmp_gt_u32_e32 vcc, s78, v84
	s_and_saveexec_b64 s[36:37], vcc
	s_cbranch_execnz .LBB322_419
	s_branch .LBB322_420
.LBB322_520:                            ;   in Loop: Header=BB322_20 Depth=1
	s_waitcnt lgkmcnt(0)
	s_barrier
	s_mov_b64 s[16:17], 0
.LBB322_521:                            ;   in Loop: Header=BB322_20 Depth=1
	s_and_b64 vcc, exec, s[16:17]
	s_cbranch_vccz .LBB322_19
; %bb.522:                              ;   in Loop: Header=BB322_20 Depth=1
	s_mov_b32 s20, s71
	s_mov_b32 s22, s51
	s_barrier
	s_waitcnt lgkmcnt(0)
                                        ; implicit-def: $vgpr5
                                        ; implicit-def: $vgpr6
                                        ; implicit-def: $vgpr7
                                        ; implicit-def: $vgpr8
                                        ; implicit-def: $vgpr9
                                        ; implicit-def: $vgpr10
                                        ; implicit-def: $vgpr11
                                        ; implicit-def: $vgpr12
	s_branch .LBB322_524
.LBB322_523:                            ;   in Loop: Header=BB322_524 Depth=2
	s_or_b64 exec, exec, s[16:17]
	s_addk_i32 s20, 0xf800
	s_cmp_ge_u32 s21, s76
	s_mov_b32 s22, s21
	s_cbranch_scc1 .LBB322_562
.LBB322_524:                            ;   Parent Loop BB322_20 Depth=1
                                        ; =>  This Inner Loop Header: Depth=2
	s_add_i32 s21, s22, 0x800
	s_cmp_gt_u32 s21, s76
	s_cbranch_scc1 .LBB322_527
; %bb.525:                              ;   in Loop: Header=BB322_524 Depth=2
	v_add_co_u32_e32 v0, vcc, s22, v57
	v_addc_co_u32_e32 v1, vcc, 0, v58, vcc
	global_load_ubyte v20, v[0:1], off offset:1536
	global_load_ubyte v19, v[0:1], off offset:1280
	;; [unrolled: 1-line block ×6, first 2 shown]
	global_load_ubyte v14, v[0:1], off
	v_add_co_u32_e32 v0, vcc, 0x700, v0
	v_addc_co_u32_e32 v1, vcc, 0, v1, vcc
	s_mov_b64 s[16:17], -1
	s_movk_i32 s25, 0x800
	s_cbranch_execz .LBB322_528
; %bb.526:                              ;   in Loop: Header=BB322_524 Depth=2
                                        ; implicit-def: $vgpr5
                                        ; implicit-def: $vgpr6
                                        ; implicit-def: $vgpr7
                                        ; implicit-def: $vgpr8
                                        ; implicit-def: $vgpr9
                                        ; implicit-def: $vgpr10
                                        ; implicit-def: $vgpr11
                                        ; implicit-def: $vgpr12
	v_mov_b32_e32 v13, s20
	s_and_saveexec_b64 s[18:19], s[16:17]
	s_cbranch_execnz .LBB322_539
	s_branch .LBB322_540
.LBB322_527:                            ;   in Loop: Header=BB322_524 Depth=2
	s_mov_b64 s[16:17], 0
                                        ; implicit-def: $sgpr25
                                        ; implicit-def: $vgpr14
                                        ; implicit-def: $vgpr15
                                        ; implicit-def: $vgpr16
                                        ; implicit-def: $vgpr17
                                        ; implicit-def: $vgpr18
                                        ; implicit-def: $vgpr19
                                        ; implicit-def: $vgpr20
                                        ; implicit-def: $vgpr0_vgpr1
.LBB322_528:                            ;   in Loop: Header=BB322_524 Depth=2
	s_add_u32 s23, s56, s22
	s_addc_u32 s24, s57, 0
	v_cmp_gt_u32_e32 vcc, s20, v2
	s_and_saveexec_b64 s[18:19], vcc
	s_cbranch_execz .LBB322_556
; %bb.529:                              ;   in Loop: Header=BB322_524 Depth=2
	v_mov_b32_e32 v1, s24
	v_add_co_u32_e32 v0, vcc, s23, v2
	v_addc_co_u32_e32 v1, vcc, 0, v1, vcc
	global_load_ubyte v5, v[0:1], off
	s_or_b64 exec, exec, s[18:19]
	v_cmp_gt_u32_e32 vcc, s20, v24
	s_and_saveexec_b64 s[18:19], vcc
	s_cbranch_execnz .LBB322_557
.LBB322_530:                            ;   in Loop: Header=BB322_524 Depth=2
	s_or_b64 exec, exec, s[18:19]
	v_cmp_gt_u32_e32 vcc, s20, v25
	s_and_saveexec_b64 s[18:19], vcc
	s_cbranch_execz .LBB322_558
.LBB322_531:                            ;   in Loop: Header=BB322_524 Depth=2
	v_mov_b32_e32 v1, s24
	v_add_co_u32_e32 v0, vcc, s23, v2
	v_addc_co_u32_e32 v1, vcc, 0, v1, vcc
	global_load_ubyte v7, v[0:1], off offset:512
	s_or_b64 exec, exec, s[18:19]
	v_cmp_gt_u32_e32 vcc, s20, v26
	s_and_saveexec_b64 s[18:19], vcc
	s_cbranch_execnz .LBB322_559
.LBB322_532:                            ;   in Loop: Header=BB322_524 Depth=2
	s_or_b64 exec, exec, s[18:19]
	v_cmp_gt_u32_e32 vcc, s20, v30
	s_and_saveexec_b64 s[18:19], vcc
	s_cbranch_execz .LBB322_560
.LBB322_533:                            ;   in Loop: Header=BB322_524 Depth=2
	v_mov_b32_e32 v1, s24
	v_add_co_u32_e32 v0, vcc, s23, v2
	v_addc_co_u32_e32 v1, vcc, 0, v1, vcc
	global_load_ubyte v9, v[0:1], off offset:1024
	s_or_b64 exec, exec, s[18:19]
	v_cmp_gt_u32_e32 vcc, s20, v31
	s_and_saveexec_b64 s[18:19], vcc
	s_cbranch_execnz .LBB322_561
.LBB322_534:                            ;   in Loop: Header=BB322_524 Depth=2
	s_or_b64 exec, exec, s[18:19]
	v_cmp_gt_u32_e32 vcc, s20, v32
	s_and_saveexec_b64 s[18:19], vcc
	s_cbranch_execz .LBB322_536
.LBB322_535:                            ;   in Loop: Header=BB322_524 Depth=2
	v_mov_b32_e32 v1, s24
	v_add_co_u32_e32 v0, vcc, s23, v2
	v_addc_co_u32_e32 v1, vcc, 0, v1, vcc
	global_load_ubyte v11, v[0:1], off offset:1536
.LBB322_536:                            ;   in Loop: Header=BB322_524 Depth=2
	s_or_b64 exec, exec, s[18:19]
	v_cmp_gt_u32_e32 vcc, s20, v33
                                        ; implicit-def: $sgpr25
                                        ; implicit-def: $vgpr0_vgpr1
	s_and_saveexec_b64 s[18:19], vcc
	s_cbranch_execz .LBB322_538
; %bb.537:                              ;   in Loop: Header=BB322_524 Depth=2
	v_mov_b32_e32 v0, s24
	v_add_co_u32_e32 v1, vcc, s23, v2
	s_waitcnt vmcnt(0)
	v_addc_co_u32_e32 v12, vcc, 0, v0, vcc
	v_add_co_u32_e32 v0, vcc, 0x700, v1
	s_sub_i32 s25, s76, s22
	v_addc_co_u32_e32 v1, vcc, 0, v12, vcc
	s_or_b64 s[16:17], s[16:17], exec
                                        ; implicit-def: $vgpr12
.LBB322_538:                            ;   in Loop: Header=BB322_524 Depth=2
	s_or_b64 exec, exec, s[18:19]
	s_waitcnt vmcnt(0)
	v_mov_b32_e32 v14, v5
	v_mov_b32_e32 v15, v6
	;; [unrolled: 1-line block ×8, first 2 shown]
	s_and_saveexec_b64 s[18:19], s[16:17]
	s_cbranch_execz .LBB322_540
.LBB322_539:                            ;   in Loop: Header=BB322_524 Depth=2
	global_load_ubyte v12, v[0:1], off
	v_mov_b32_e32 v13, s25
	s_waitcnt vmcnt(1)
	v_mov_b32_e32 v5, v14
	v_mov_b32_e32 v6, v15
	;; [unrolled: 1-line block ×7, first 2 shown]
.LBB322_540:                            ;   in Loop: Header=BB322_524 Depth=2
	s_or_b64 exec, exec, s[18:19]
	v_cmp_lt_u32_e32 vcc, v2, v13
	v_lshlrev_b32_e32 v0, 2, v27
	s_and_saveexec_b64 s[16:17], vcc
	s_cbranch_execz .LBB322_548
; %bb.541:                              ;   in Loop: Header=BB322_524 Depth=2
	v_xor_b32_e32 v1, 0x7f, v5
	v_lshrrev_b32_sdwa v1, s69, v1 dst_sel:DWORD dst_unused:UNUSED_PAD src0_sel:DWORD src1_sel:BYTE_0
	v_and_b32_e32 v1, s77, v1
	v_lshl_or_b32 v1, v1, 4, v0
	ds_add_u32 v1, v63
	s_or_b64 exec, exec, s[16:17]
	v_cmp_lt_u32_e32 vcc, v24, v13
	s_and_saveexec_b64 s[16:17], vcc
	s_cbranch_execnz .LBB322_549
.LBB322_542:                            ;   in Loop: Header=BB322_524 Depth=2
	s_or_b64 exec, exec, s[16:17]
	v_cmp_lt_u32_e32 vcc, v25, v13
	s_and_saveexec_b64 s[16:17], vcc
	s_cbranch_execz .LBB322_550
.LBB322_543:                            ;   in Loop: Header=BB322_524 Depth=2
	v_xor_b32_e32 v1, 0x7f, v7
	v_lshrrev_b32_sdwa v1, s69, v1 dst_sel:DWORD dst_unused:UNUSED_PAD src0_sel:DWORD src1_sel:BYTE_0
	v_and_b32_e32 v1, s77, v1
	v_lshl_or_b32 v1, v1, 4, v0
	ds_add_u32 v1, v63
	s_or_b64 exec, exec, s[16:17]
	v_cmp_lt_u32_e32 vcc, v26, v13
	s_and_saveexec_b64 s[16:17], vcc
	s_cbranch_execnz .LBB322_551
.LBB322_544:                            ;   in Loop: Header=BB322_524 Depth=2
	s_or_b64 exec, exec, s[16:17]
	v_cmp_lt_u32_e32 vcc, v30, v13
	s_and_saveexec_b64 s[16:17], vcc
	s_cbranch_execz .LBB322_552
.LBB322_545:                            ;   in Loop: Header=BB322_524 Depth=2
	v_xor_b32_e32 v1, 0x7f, v9
	v_lshrrev_b32_sdwa v1, s69, v1 dst_sel:DWORD dst_unused:UNUSED_PAD src0_sel:DWORD src1_sel:BYTE_0
	v_and_b32_e32 v1, s77, v1
	v_lshl_or_b32 v1, v1, 4, v0
	ds_add_u32 v1, v63
	s_or_b64 exec, exec, s[16:17]
	v_cmp_lt_u32_e32 vcc, v31, v13
	s_and_saveexec_b64 s[16:17], vcc
	s_cbranch_execnz .LBB322_553
.LBB322_546:                            ;   in Loop: Header=BB322_524 Depth=2
	s_or_b64 exec, exec, s[16:17]
	v_cmp_lt_u32_e32 vcc, v32, v13
	s_and_saveexec_b64 s[16:17], vcc
	s_cbranch_execz .LBB322_554
.LBB322_547:                            ;   in Loop: Header=BB322_524 Depth=2
	v_xor_b32_e32 v1, 0x7f, v11
	v_lshrrev_b32_sdwa v1, s69, v1 dst_sel:DWORD dst_unused:UNUSED_PAD src0_sel:DWORD src1_sel:BYTE_0
	v_and_b32_e32 v1, s77, v1
	v_lshl_or_b32 v1, v1, 4, v0
	ds_add_u32 v1, v63
	s_or_b64 exec, exec, s[16:17]
	v_cmp_lt_u32_e32 vcc, v33, v13
	s_and_saveexec_b64 s[16:17], vcc
	s_cbranch_execz .LBB322_523
	s_branch .LBB322_555
.LBB322_548:                            ;   in Loop: Header=BB322_524 Depth=2
	s_or_b64 exec, exec, s[16:17]
	v_cmp_lt_u32_e32 vcc, v24, v13
	s_and_saveexec_b64 s[16:17], vcc
	s_cbranch_execz .LBB322_542
.LBB322_549:                            ;   in Loop: Header=BB322_524 Depth=2
	v_xor_b32_e32 v1, 0x7f, v6
	v_lshrrev_b32_sdwa v1, s69, v1 dst_sel:DWORD dst_unused:UNUSED_PAD src0_sel:DWORD src1_sel:BYTE_0
	v_and_b32_e32 v1, s77, v1
	v_lshl_or_b32 v1, v1, 4, v0
	ds_add_u32 v1, v63
	s_or_b64 exec, exec, s[16:17]
	v_cmp_lt_u32_e32 vcc, v25, v13
	s_and_saveexec_b64 s[16:17], vcc
	s_cbranch_execnz .LBB322_543
.LBB322_550:                            ;   in Loop: Header=BB322_524 Depth=2
	s_or_b64 exec, exec, s[16:17]
	v_cmp_lt_u32_e32 vcc, v26, v13
	s_and_saveexec_b64 s[16:17], vcc
	s_cbranch_execz .LBB322_544
.LBB322_551:                            ;   in Loop: Header=BB322_524 Depth=2
	v_xor_b32_e32 v1, 0x7f, v8
	v_lshrrev_b32_sdwa v1, s69, v1 dst_sel:DWORD dst_unused:UNUSED_PAD src0_sel:DWORD src1_sel:BYTE_0
	v_and_b32_e32 v1, s77, v1
	v_lshl_or_b32 v1, v1, 4, v0
	ds_add_u32 v1, v63
	s_or_b64 exec, exec, s[16:17]
	v_cmp_lt_u32_e32 vcc, v30, v13
	s_and_saveexec_b64 s[16:17], vcc
	s_cbranch_execnz .LBB322_545
.LBB322_552:                            ;   in Loop: Header=BB322_524 Depth=2
	s_or_b64 exec, exec, s[16:17]
	v_cmp_lt_u32_e32 vcc, v31, v13
	s_and_saveexec_b64 s[16:17], vcc
	s_cbranch_execz .LBB322_546
.LBB322_553:                            ;   in Loop: Header=BB322_524 Depth=2
	v_xor_b32_e32 v1, 0x7f, v10
	v_lshrrev_b32_sdwa v1, s69, v1 dst_sel:DWORD dst_unused:UNUSED_PAD src0_sel:DWORD src1_sel:BYTE_0
	v_and_b32_e32 v1, s77, v1
	v_lshl_or_b32 v1, v1, 4, v0
	ds_add_u32 v1, v63
	s_or_b64 exec, exec, s[16:17]
	v_cmp_lt_u32_e32 vcc, v32, v13
	s_and_saveexec_b64 s[16:17], vcc
	s_cbranch_execnz .LBB322_547
.LBB322_554:                            ;   in Loop: Header=BB322_524 Depth=2
	s_or_b64 exec, exec, s[16:17]
	v_cmp_lt_u32_e32 vcc, v33, v13
	s_and_saveexec_b64 s[16:17], vcc
	s_cbranch_execz .LBB322_523
.LBB322_555:                            ;   in Loop: Header=BB322_524 Depth=2
	s_waitcnt vmcnt(0)
	v_xor_b32_e32 v1, 0x7f, v12
	v_lshrrev_b32_sdwa v1, s69, v1 dst_sel:DWORD dst_unused:UNUSED_PAD src0_sel:DWORD src1_sel:BYTE_0
	v_and_b32_e32 v1, s77, v1
	v_lshl_or_b32 v0, v1, 4, v0
	ds_add_u32 v0, v63
	s_branch .LBB322_523
.LBB322_556:                            ;   in Loop: Header=BB322_524 Depth=2
	s_or_b64 exec, exec, s[18:19]
	v_cmp_gt_u32_e32 vcc, s20, v24
	s_and_saveexec_b64 s[18:19], vcc
	s_cbranch_execz .LBB322_530
.LBB322_557:                            ;   in Loop: Header=BB322_524 Depth=2
	v_mov_b32_e32 v1, s24
	v_add_co_u32_e32 v0, vcc, s23, v2
	v_addc_co_u32_e32 v1, vcc, 0, v1, vcc
	global_load_ubyte v6, v[0:1], off offset:256
	s_or_b64 exec, exec, s[18:19]
	v_cmp_gt_u32_e32 vcc, s20, v25
	s_and_saveexec_b64 s[18:19], vcc
	s_cbranch_execnz .LBB322_531
.LBB322_558:                            ;   in Loop: Header=BB322_524 Depth=2
	s_or_b64 exec, exec, s[18:19]
	v_cmp_gt_u32_e32 vcc, s20, v26
	s_and_saveexec_b64 s[18:19], vcc
	s_cbranch_execz .LBB322_532
.LBB322_559:                            ;   in Loop: Header=BB322_524 Depth=2
	v_mov_b32_e32 v1, s24
	v_add_co_u32_e32 v0, vcc, s23, v2
	v_addc_co_u32_e32 v1, vcc, 0, v1, vcc
	global_load_ubyte v8, v[0:1], off offset:768
	s_or_b64 exec, exec, s[18:19]
	v_cmp_gt_u32_e32 vcc, s20, v30
	s_and_saveexec_b64 s[18:19], vcc
	s_cbranch_execnz .LBB322_533
.LBB322_560:                            ;   in Loop: Header=BB322_524 Depth=2
	s_or_b64 exec, exec, s[18:19]
	v_cmp_gt_u32_e32 vcc, s20, v31
	s_and_saveexec_b64 s[18:19], vcc
	s_cbranch_execz .LBB322_534
.LBB322_561:                            ;   in Loop: Header=BB322_524 Depth=2
	v_mov_b32_e32 v1, s24
	v_add_co_u32_e32 v0, vcc, s23, v2
	v_addc_co_u32_e32 v1, vcc, 0, v1, vcc
	global_load_ubyte v10, v[0:1], off offset:1280
	s_or_b64 exec, exec, s[18:19]
	v_cmp_gt_u32_e32 vcc, s20, v32
	s_and_saveexec_b64 s[18:19], vcc
	s_cbranch_execz .LBB322_536
	s_branch .LBB322_535
.LBB322_562:                            ;   in Loop: Header=BB322_20 Depth=1
	v_mov_b32_e32 v0, 0
	s_waitcnt lgkmcnt(0)
	s_barrier
	s_and_saveexec_b64 s[16:17], s[4:5]
	s_cbranch_execz .LBB322_564
; %bb.563:                              ;   in Loop: Header=BB322_20 Depth=1
	ds_read2_b64 v[6:9], v34 offset1:1
	s_waitcnt lgkmcnt(0)
	v_add_u32_e32 v0, v7, v6
	v_add3_u32 v0, v0, v8, v9
.LBB322_564:                            ;   in Loop: Header=BB322_20 Depth=1
	s_or_b64 exec, exec, s[16:17]
	v_and_b32_e32 v1, 15, v64
	v_mov_b32_dpp v5, v0 row_shr:1 row_mask:0xf bank_mask:0xf
	v_cmp_eq_u32_e64 s[16:17], 0, v1
	v_cndmask_b32_e64 v5, v5, 0, s[16:17]
	v_add_u32_e32 v0, v5, v0
	v_cmp_lt_u32_e64 s[18:19], 1, v1
	v_cmp_lt_u32_e64 s[20:21], 3, v1
	v_mov_b32_dpp v5, v0 row_shr:2 row_mask:0xf bank_mask:0xf
	v_cndmask_b32_e64 v5, 0, v5, s[18:19]
	v_add_u32_e32 v0, v0, v5
	v_cmp_lt_u32_e64 s[22:23], 7, v1
	v_cmp_lt_u32_e64 s[26:27], 31, v64
	v_mov_b32_dpp v5, v0 row_shr:4 row_mask:0xf bank_mask:0xf
	v_cndmask_b32_e64 v5, 0, v5, s[20:21]
	v_add_u32_e32 v0, v0, v5
	v_and_b32_e32 v6, 16, v64
	v_cmp_eq_u32_e64 s[24:25], 0, v6
	v_mov_b32_dpp v5, v0 row_shr:8 row_mask:0xf bank_mask:0xf
	v_cndmask_b32_e64 v1, 0, v5, s[22:23]
	v_add_u32_e32 v0, v0, v1
	v_bfe_i32 v5, v64, 4, 1
	s_nop 0
	v_mov_b32_dpp v1, v0 row_bcast:15 row_mask:0xf bank_mask:0xf
	v_and_b32_e32 v1, v5, v1
	v_add_u32_e32 v0, v0, v1
	s_nop 1
	v_mov_b32_dpp v1, v0 row_bcast:31 row_mask:0xf bank_mask:0xf
	v_cndmask_b32_e64 v1, 0, v1, s[26:27]
	v_add_u32_e32 v1, v0, v1
	s_and_saveexec_b64 s[28:29], s[6:7]
	s_cbranch_execz .LBB322_566
; %bb.565:                              ;   in Loop: Header=BB322_20 Depth=1
	ds_write_b32 v36, v1
.LBB322_566:                            ;   in Loop: Header=BB322_20 Depth=1
	s_or_b64 exec, exec, s[28:29]
	v_and_b32_e32 v0, 3, v64
	s_waitcnt lgkmcnt(0)
	s_barrier
	s_and_saveexec_b64 s[28:29], s[8:9]
	s_cbranch_execz .LBB322_568
; %bb.567:                              ;   in Loop: Header=BB322_20 Depth=1
	ds_read_b32 v5, v37
	v_cmp_ne_u32_e32 vcc, 0, v0
	s_waitcnt lgkmcnt(0)
	v_mov_b32_dpp v6, v5 row_shr:1 row_mask:0xf bank_mask:0xf
	v_cndmask_b32_e32 v6, 0, v6, vcc
	v_add_u32_e32 v5, v6, v5
	v_cmp_lt_u32_e32 vcc, 1, v0
	s_nop 0
	v_mov_b32_dpp v6, v5 row_shr:2 row_mask:0xf bank_mask:0xf
	v_cndmask_b32_e32 v6, 0, v6, vcc
	v_add_u32_e32 v5, v5, v6
	ds_write_b32 v37, v5
.LBB322_568:                            ;   in Loop: Header=BB322_20 Depth=1
	s_or_b64 exec, exec, s[28:29]
	v_mov_b32_e32 v5, 0
	s_waitcnt lgkmcnt(0)
	s_barrier
	s_and_saveexec_b64 s[28:29], s[10:11]
	s_cbranch_execz .LBB322_570
; %bb.569:                              ;   in Loop: Header=BB322_20 Depth=1
	ds_read_b32 v5, v38
.LBB322_570:                            ;   in Loop: Header=BB322_20 Depth=1
	s_or_b64 exec, exec, s[28:29]
	v_add_u32_e32 v6, -1, v64
	v_and_b32_e32 v7, 64, v64
	v_cmp_lt_i32_e32 vcc, v6, v7
	v_cndmask_b32_e32 v6, v6, v64, vcc
	s_waitcnt lgkmcnt(0)
	v_add_u32_e32 v1, v5, v1
	v_lshlrev_b32_e32 v65, 2, v6
	ds_bpermute_b32 v1, v65, v1
	v_cmp_eq_u32_e64 s[28:29], 0, v64
	s_waitcnt lgkmcnt(0)
	s_barrier
	s_and_saveexec_b64 s[30:31], s[4:5]
	s_cbranch_execz .LBB322_572
; %bb.571:                              ;   in Loop: Header=BB322_20 Depth=1
	v_cndmask_b32_e64 v1, v1, v5, s[28:29]
	v_add_u32_e32 v1, s51, v1
	ds_write_b32 v3, v1
.LBB322_572:                            ;   in Loop: Header=BB322_20 Depth=1
	s_or_b64 exec, exec, s[30:31]
	s_load_dwordx2 s[30:31], s[74:75], 0x0
	v_and_b32_e32 v21, 63, v64
	v_add_co_u32_e32 v74, vcc, v61, v21
	v_lshlrev_b32_e32 v22, 3, v21
	s_waitcnt lgkmcnt(0)
	s_cmp_lt_u32 s50, s30
	s_cselect_b32 s34, 12, 18
	s_cmp_lt_u32 s33, s31
	s_cselect_b32 s30, 14, 20
	s_add_u32 s30, s74, s30
	s_addc_u32 s31, s75, 0
	s_add_u32 s34, s74, s34
	global_load_ushort v5, v4, s[30:31]
	s_addc_u32 s35, s75, 0
	global_load_ushort v20, v4, s[34:35]
	v_addc_co_u32_e32 v76, vcc, 0, v62, vcc
	v_add_co_u32_e32 v77, vcc, v59, v22
	v_addc_co_u32_e32 v78, vcc, 0, v60, vcc
	v_or_b32_e32 v72, v21, v39
	v_add_co_u32_e32 v86, vcc, 0x1c0, v74
	v_cmp_eq_u32_e64 s[30:31], 0, v0
	v_cmp_lt_u32_e64 s[34:35], 1, v0
	s_mov_b32 s78, s71
	v_or_b32_e32 v79, 64, v72
	v_or_b32_e32 v80, 0x80, v72
	;; [unrolled: 1-line block ×7, first 2 shown]
	v_addc_co_u32_e32 v87, vcc, 0, v76, vcc
	s_mov_b32 s72, s51
                                        ; implicit-def: $vgpr0_vgpr1
                                        ; implicit-def: $vgpr6_vgpr7
                                        ; implicit-def: $vgpr8_vgpr9
                                        ; implicit-def: $vgpr10_vgpr11
                                        ; implicit-def: $vgpr12_vgpr13
                                        ; implicit-def: $vgpr14_vgpr15
                                        ; implicit-def: $vgpr16_vgpr17
                                        ; implicit-def: $vgpr18_vgpr19
                                        ; implicit-def: $vgpr66
                                        ; implicit-def: $vgpr67
                                        ; implicit-def: $vgpr68
                                        ; implicit-def: $vgpr69
                                        ; implicit-def: $vgpr70
                                        ; implicit-def: $vgpr71
                                        ; implicit-def: $vgpr73
                                        ; implicit-def: $vgpr75
	s_waitcnt vmcnt(1)
	v_mad_u32_u24 v5, v40, v5, v41
	s_waitcnt vmcnt(0)
	v_mad_u64_u32 v[20:21], s[36:37], v5, v20, v[2:3]
	v_lshrrev_b32_e32 v88, 6, v20
	s_branch .LBB322_574
.LBB322_573:                            ;   in Loop: Header=BB322_574 Depth=2
	s_or_b64 exec, exec, s[36:37]
	s_addk_i32 s78, 0xf800
	s_cmp_lt_u32 s79, s76
	s_mov_b32 s72, s79
	s_cbranch_scc0 .LBB322_18
.LBB322_574:                            ;   Parent Loop BB322_20 Depth=1
                                        ; =>  This Inner Loop Header: Depth=2
	s_add_i32 s79, s72, 0x800
	s_cmp_gt_u32 s79, s76
	s_cbranch_scc1 .LBB322_577
; %bb.575:                              ;   in Loop: Header=BB322_574 Depth=2
	v_add_co_u32_e32 v20, vcc, s72, v74
	v_addc_co_u32_e32 v21, vcc, 0, v76, vcc
	global_load_ubyte v23, v[20:21], off offset:384
	global_load_ubyte v91, v[20:21], off offset:320
	;; [unrolled: 1-line block ×6, first 2 shown]
	global_load_ubyte v5, v[20:21], off
	s_mov_b64 s[36:37], -1
	s_movk_i32 s40, 0x800
	s_cbranch_execz .LBB322_578
; %bb.576:                              ;   in Loop: Header=BB322_574 Depth=2
                                        ; implicit-def: $vgpr22
	v_mov_b32_e32 v89, s78
	s_and_saveexec_b64 s[38:39], s[36:37]
	s_cbranch_execnz .LBB322_587
	s_branch .LBB322_588
.LBB322_577:                            ;   in Loop: Header=BB322_574 Depth=2
	s_mov_b64 s[36:37], 0
                                        ; implicit-def: $sgpr40
                                        ; implicit-def: $vgpr5
                                        ; implicit-def: $vgpr94
                                        ; implicit-def: $vgpr99
                                        ; implicit-def: $vgpr101
                                        ; implicit-def: $vgpr96
                                        ; implicit-def: $vgpr91
                                        ; implicit-def: $vgpr23
.LBB322_578:                            ;   in Loop: Header=BB322_574 Depth=2
	v_add_co_u32_e32 v20, vcc, s72, v74
	v_addc_co_u32_e32 v21, vcc, 0, v76, vcc
	v_cmp_gt_u32_e32 vcc, s78, v72
	s_waitcnt vmcnt(0)
	v_mov_b32_e32 v5, 0x80
	v_mov_b32_e32 v22, 0x80
	;; [unrolled: 1-line block ×8, first 2 shown]
	s_and_saveexec_b64 s[36:37], vcc
	s_cbranch_execz .LBB322_680
; %bb.579:                              ;   in Loop: Header=BB322_574 Depth=2
	global_load_ubyte v5, v[20:21], off
	v_mov_b32_e32 v94, 0x80
	v_mov_b32_e32 v99, 0x80
	;; [unrolled: 1-line block ×7, first 2 shown]
	s_or_b64 exec, exec, s[36:37]
	v_cmp_gt_u32_e32 vcc, s78, v79
	s_and_saveexec_b64 s[36:37], vcc
	s_cbranch_execnz .LBB322_681
.LBB322_580:                            ;   in Loop: Header=BB322_574 Depth=2
	s_or_b64 exec, exec, s[36:37]
	v_cmp_gt_u32_e32 vcc, s78, v80
	s_and_saveexec_b64 s[36:37], vcc
	s_cbranch_execz .LBB322_682
.LBB322_581:                            ;   in Loop: Header=BB322_574 Depth=2
	global_load_ubyte v99, v[20:21], off offset:128
	s_or_b64 exec, exec, s[36:37]
	v_cmp_gt_u32_e32 vcc, s78, v81
	s_and_saveexec_b64 s[36:37], vcc
	s_cbranch_execnz .LBB322_683
.LBB322_582:                            ;   in Loop: Header=BB322_574 Depth=2
	s_or_b64 exec, exec, s[36:37]
	v_cmp_gt_u32_e32 vcc, s78, v82
	s_and_saveexec_b64 s[36:37], vcc
	s_cbranch_execz .LBB322_684
.LBB322_583:                            ;   in Loop: Header=BB322_574 Depth=2
	global_load_ubyte v96, v[20:21], off offset:256
	s_or_b64 exec, exec, s[36:37]
	v_cmp_gt_u32_e32 vcc, s78, v83
	s_and_saveexec_b64 s[36:37], vcc
	s_cbranch_execnz .LBB322_685
.LBB322_584:                            ;   in Loop: Header=BB322_574 Depth=2
	s_or_b64 exec, exec, s[36:37]
	v_cmp_gt_u32_e32 vcc, s78, v84
	s_and_saveexec_b64 s[36:37], vcc
	s_cbranch_execz .LBB322_586
.LBB322_585:                            ;   in Loop: Header=BB322_574 Depth=2
	global_load_ubyte v23, v[20:21], off offset:384
.LBB322_586:                            ;   in Loop: Header=BB322_574 Depth=2
	s_or_b64 exec, exec, s[36:37]
	s_sub_i32 s40, s76, s72
	v_cmp_gt_u32_e64 s[36:37], s78, v85
	v_mov_b32_e32 v89, s78
	s_and_saveexec_b64 s[38:39], s[36:37]
	s_cbranch_execz .LBB322_588
.LBB322_587:                            ;   in Loop: Header=BB322_574 Depth=2
	v_mov_b32_e32 v21, s73
	v_add_co_u32_e32 v20, vcc, s72, v86
	v_addc_co_u32_e32 v21, vcc, v87, v21, vcc
	global_load_ubyte v22, v[20:21], off
	v_mov_b32_e32 v89, s40
.LBB322_588:                            ;   in Loop: Header=BB322_574 Depth=2
	s_or_b64 exec, exec, s[38:39]
	s_waitcnt vmcnt(0)
	v_xor_b32_e32 v90, 0x7f, v5
	v_add_u32_e32 v5, 0x410, v42
	ds_write2_b32 v5, v4, v4 offset1:1
	ds_write2_b32 v44, v4, v4 offset0:2 offset1:3
	ds_write_b32 v44, v4 offset:16
	v_lshrrev_b32_sdwa v5, s69, v90 dst_sel:DWORD dst_unused:UNUSED_PAD src0_sel:DWORD src1_sel:BYTE_0
	v_and_b32_e32 v20, s77, v5
	v_mad_u32_u24 v5, v20, 5, v88
	v_lshl_add_u32 v92, v5, 2, v43
	v_and_b32_e32 v5, 1, v20
	v_add_co_u32_e32 v21, vcc, -1, v5
	v_addc_co_u32_e64 v93, s[36:37], 0, -1, vcc
	v_cmp_ne_u32_e32 vcc, 0, v5
	v_xor_b32_e32 v5, vcc_hi, v93
	v_and_b32_e32 v93, exec_hi, v5
	v_lshlrev_b32_e32 v5, 30, v20
	v_xor_b32_e32 v21, vcc_lo, v21
	v_cmp_gt_i64_e32 vcc, 0, v[4:5]
	v_not_b32_e32 v5, v5
	v_ashrrev_i32_e32 v5, 31, v5
	v_and_b32_e32 v21, exec_lo, v21
	v_xor_b32_e32 v95, vcc_hi, v5
	v_xor_b32_e32 v5, vcc_lo, v5
	v_and_b32_e32 v21, v21, v5
	v_lshlrev_b32_e32 v5, 29, v20
	v_cmp_gt_i64_e32 vcc, 0, v[4:5]
	v_not_b32_e32 v5, v5
	v_ashrrev_i32_e32 v5, 31, v5
	v_and_b32_e32 v93, v93, v95
	v_xor_b32_e32 v95, vcc_hi, v5
	v_xor_b32_e32 v5, vcc_lo, v5
	v_and_b32_e32 v21, v21, v5
	v_lshlrev_b32_e32 v5, 28, v20
	v_cmp_gt_i64_e32 vcc, 0, v[4:5]
	v_not_b32_e32 v5, v5
	v_ashrrev_i32_e32 v5, 31, v5
	v_and_b32_e32 v93, v93, v95
	;; [unrolled: 8-line block ×5, first 2 shown]
	v_xor_b32_e32 v95, vcc_hi, v5
	v_xor_b32_e32 v5, vcc_lo, v5
	v_and_b32_e32 v93, v93, v95
	v_and_b32_e32 v95, v21, v5
	v_lshlrev_b32_e32 v5, 24, v20
	v_cmp_gt_i64_e32 vcc, 0, v[4:5]
	v_not_b32_e32 v5, v5
	v_ashrrev_i32_e32 v5, 31, v5
	v_xor_b32_e32 v20, vcc_hi, v5
	v_xor_b32_e32 v5, vcc_lo, v5
	v_and_b32_e32 v21, v93, v20
	v_and_b32_e32 v20, v95, v5
	v_mbcnt_lo_u32_b32 v5, v20, 0
	v_mbcnt_hi_u32_b32 v93, v21, v5
	v_cmp_eq_u32_e32 vcc, 0, v93
	v_cmp_ne_u64_e64 s[36:37], 0, v[20:21]
	s_and_b64 s[38:39], s[36:37], vcc
	s_waitcnt lgkmcnt(0)
	s_barrier
	s_waitcnt lgkmcnt(0)
	; wave barrier
	s_and_saveexec_b64 s[36:37], s[38:39]
	s_cbranch_execz .LBB322_590
; %bb.589:                              ;   in Loop: Header=BB322_574 Depth=2
	v_bcnt_u32_b32 v5, v20, 0
	v_bcnt_u32_b32 v5, v21, v5
	ds_write_b32 v92, v5
.LBB322_590:                            ;   in Loop: Header=BB322_574 Depth=2
	s_or_b64 exec, exec, s[36:37]
	v_xor_b32_e32 v94, 0x7f, v94
	v_lshrrev_b32_sdwa v5, s69, v94 dst_sel:DWORD dst_unused:UNUSED_PAD src0_sel:DWORD src1_sel:BYTE_0
	v_and_b32_e32 v20, s77, v5
	v_mul_u32_u24_e32 v5, 5, v20
	v_add_lshl_u32 v5, v5, v88, 2
	; wave barrier
	v_add_u32_e32 v97, 0x410, v5
	ds_read_b32 v95, v5 offset:1040
	v_and_b32_e32 v5, 1, v20
	v_add_co_u32_e32 v21, vcc, -1, v5
	v_addc_co_u32_e64 v98, s[36:37], 0, -1, vcc
	v_cmp_ne_u32_e32 vcc, 0, v5
	v_xor_b32_e32 v5, vcc_hi, v98
	v_and_b32_e32 v98, exec_hi, v5
	v_lshlrev_b32_e32 v5, 30, v20
	v_xor_b32_e32 v21, vcc_lo, v21
	v_cmp_gt_i64_e32 vcc, 0, v[4:5]
	v_not_b32_e32 v5, v5
	v_ashrrev_i32_e32 v5, 31, v5
	v_and_b32_e32 v21, exec_lo, v21
	v_xor_b32_e32 v100, vcc_hi, v5
	v_xor_b32_e32 v5, vcc_lo, v5
	v_and_b32_e32 v21, v21, v5
	v_lshlrev_b32_e32 v5, 29, v20
	v_cmp_gt_i64_e32 vcc, 0, v[4:5]
	v_not_b32_e32 v5, v5
	v_ashrrev_i32_e32 v5, 31, v5
	v_and_b32_e32 v98, v98, v100
	v_xor_b32_e32 v100, vcc_hi, v5
	v_xor_b32_e32 v5, vcc_lo, v5
	v_and_b32_e32 v21, v21, v5
	v_lshlrev_b32_e32 v5, 28, v20
	v_cmp_gt_i64_e32 vcc, 0, v[4:5]
	v_not_b32_e32 v5, v5
	v_ashrrev_i32_e32 v5, 31, v5
	v_and_b32_e32 v98, v98, v100
	v_xor_b32_e32 v100, vcc_hi, v5
	v_xor_b32_e32 v5, vcc_lo, v5
	v_and_b32_e32 v21, v21, v5
	v_lshlrev_b32_e32 v5, 27, v20
	v_cmp_gt_i64_e32 vcc, 0, v[4:5]
	v_not_b32_e32 v5, v5
	v_ashrrev_i32_e32 v5, 31, v5
	v_and_b32_e32 v98, v98, v100
	v_xor_b32_e32 v100, vcc_hi, v5
	v_xor_b32_e32 v5, vcc_lo, v5
	v_and_b32_e32 v21, v21, v5
	v_lshlrev_b32_e32 v5, 26, v20
	v_cmp_gt_i64_e32 vcc, 0, v[4:5]
	v_not_b32_e32 v5, v5
	v_ashrrev_i32_e32 v5, 31, v5
	v_and_b32_e32 v98, v98, v100
	v_xor_b32_e32 v100, vcc_hi, v5
	v_xor_b32_e32 v5, vcc_lo, v5
	v_and_b32_e32 v21, v21, v5
	v_lshlrev_b32_e32 v5, 25, v20
	v_cmp_gt_i64_e32 vcc, 0, v[4:5]
	v_not_b32_e32 v5, v5
	v_ashrrev_i32_e32 v5, 31, v5
	v_and_b32_e32 v98, v98, v100
	v_xor_b32_e32 v100, vcc_hi, v5
	v_xor_b32_e32 v5, vcc_lo, v5
	v_and_b32_e32 v98, v98, v100
	v_and_b32_e32 v100, v21, v5
	v_lshlrev_b32_e32 v5, 24, v20
	v_cmp_gt_i64_e32 vcc, 0, v[4:5]
	v_not_b32_e32 v5, v5
	v_ashrrev_i32_e32 v5, 31, v5
	v_xor_b32_e32 v20, vcc_hi, v5
	v_xor_b32_e32 v5, vcc_lo, v5
	v_and_b32_e32 v21, v98, v20
	v_and_b32_e32 v20, v100, v5
	v_mbcnt_lo_u32_b32 v5, v20, 0
	v_mbcnt_hi_u32_b32 v98, v21, v5
	v_cmp_eq_u32_e32 vcc, 0, v98
	v_cmp_ne_u64_e64 s[36:37], 0, v[20:21]
	s_and_b64 s[38:39], s[36:37], vcc
	; wave barrier
	s_and_saveexec_b64 s[36:37], s[38:39]
	s_cbranch_execz .LBB322_592
; %bb.591:                              ;   in Loop: Header=BB322_574 Depth=2
	v_bcnt_u32_b32 v5, v20, 0
	v_bcnt_u32_b32 v5, v21, v5
	s_waitcnt lgkmcnt(0)
	v_add_u32_e32 v5, v95, v5
	ds_write_b32 v97, v5
.LBB322_592:                            ;   in Loop: Header=BB322_574 Depth=2
	s_or_b64 exec, exec, s[36:37]
	v_xor_b32_e32 v99, 0x7f, v99
	v_lshrrev_b32_sdwa v5, s69, v99 dst_sel:DWORD dst_unused:UNUSED_PAD src0_sel:DWORD src1_sel:BYTE_0
	v_and_b32_e32 v20, s77, v5
	v_mul_u32_u24_e32 v5, 5, v20
	v_add_lshl_u32 v5, v5, v88, 2
	; wave barrier
	v_add_u32_e32 v102, 0x410, v5
	ds_read_b32 v100, v5 offset:1040
	v_and_b32_e32 v5, 1, v20
	v_add_co_u32_e32 v21, vcc, -1, v5
	v_addc_co_u32_e64 v103, s[36:37], 0, -1, vcc
	v_cmp_ne_u32_e32 vcc, 0, v5
	v_xor_b32_e32 v5, vcc_hi, v103
	v_and_b32_e32 v103, exec_hi, v5
	v_lshlrev_b32_e32 v5, 30, v20
	v_xor_b32_e32 v21, vcc_lo, v21
	v_cmp_gt_i64_e32 vcc, 0, v[4:5]
	v_not_b32_e32 v5, v5
	v_ashrrev_i32_e32 v5, 31, v5
	v_and_b32_e32 v21, exec_lo, v21
	v_xor_b32_e32 v104, vcc_hi, v5
	v_xor_b32_e32 v5, vcc_lo, v5
	v_and_b32_e32 v21, v21, v5
	v_lshlrev_b32_e32 v5, 29, v20
	v_cmp_gt_i64_e32 vcc, 0, v[4:5]
	v_not_b32_e32 v5, v5
	v_ashrrev_i32_e32 v5, 31, v5
	v_and_b32_e32 v103, v103, v104
	v_xor_b32_e32 v104, vcc_hi, v5
	v_xor_b32_e32 v5, vcc_lo, v5
	v_and_b32_e32 v21, v21, v5
	v_lshlrev_b32_e32 v5, 28, v20
	v_cmp_gt_i64_e32 vcc, 0, v[4:5]
	v_not_b32_e32 v5, v5
	v_ashrrev_i32_e32 v5, 31, v5
	v_and_b32_e32 v103, v103, v104
	v_xor_b32_e32 v104, vcc_hi, v5
	v_xor_b32_e32 v5, vcc_lo, v5
	v_and_b32_e32 v21, v21, v5
	v_lshlrev_b32_e32 v5, 27, v20
	v_cmp_gt_i64_e32 vcc, 0, v[4:5]
	v_not_b32_e32 v5, v5
	v_ashrrev_i32_e32 v5, 31, v5
	v_and_b32_e32 v103, v103, v104
	v_xor_b32_e32 v104, vcc_hi, v5
	v_xor_b32_e32 v5, vcc_lo, v5
	v_and_b32_e32 v21, v21, v5
	v_lshlrev_b32_e32 v5, 26, v20
	v_cmp_gt_i64_e32 vcc, 0, v[4:5]
	v_not_b32_e32 v5, v5
	v_ashrrev_i32_e32 v5, 31, v5
	v_and_b32_e32 v103, v103, v104
	v_xor_b32_e32 v104, vcc_hi, v5
	v_xor_b32_e32 v5, vcc_lo, v5
	v_and_b32_e32 v21, v21, v5
	v_lshlrev_b32_e32 v5, 25, v20
	v_cmp_gt_i64_e32 vcc, 0, v[4:5]
	v_not_b32_e32 v5, v5
	v_ashrrev_i32_e32 v5, 31, v5
	v_and_b32_e32 v103, v103, v104
	v_xor_b32_e32 v104, vcc_hi, v5
	v_xor_b32_e32 v5, vcc_lo, v5
	v_and_b32_e32 v103, v103, v104
	v_and_b32_e32 v104, v21, v5
	v_lshlrev_b32_e32 v5, 24, v20
	v_cmp_gt_i64_e32 vcc, 0, v[4:5]
	v_not_b32_e32 v5, v5
	v_ashrrev_i32_e32 v5, 31, v5
	v_xor_b32_e32 v20, vcc_hi, v5
	v_xor_b32_e32 v5, vcc_lo, v5
	v_and_b32_e32 v21, v103, v20
	v_and_b32_e32 v20, v104, v5
	v_mbcnt_lo_u32_b32 v5, v20, 0
	v_mbcnt_hi_u32_b32 v103, v21, v5
	v_cmp_eq_u32_e32 vcc, 0, v103
	v_cmp_ne_u64_e64 s[36:37], 0, v[20:21]
	s_and_b64 s[38:39], s[36:37], vcc
	; wave barrier
	s_and_saveexec_b64 s[36:37], s[38:39]
	s_cbranch_execz .LBB322_594
; %bb.593:                              ;   in Loop: Header=BB322_574 Depth=2
	v_bcnt_u32_b32 v5, v20, 0
	v_bcnt_u32_b32 v5, v21, v5
	s_waitcnt lgkmcnt(0)
	v_add_u32_e32 v5, v100, v5
	ds_write_b32 v102, v5
.LBB322_594:                            ;   in Loop: Header=BB322_574 Depth=2
	s_or_b64 exec, exec, s[36:37]
	v_xor_b32_e32 v101, 0x7f, v101
	v_lshrrev_b32_sdwa v5, s69, v101 dst_sel:DWORD dst_unused:UNUSED_PAD src0_sel:DWORD src1_sel:BYTE_0
	v_and_b32_e32 v20, s77, v5
	v_mul_u32_u24_e32 v5, 5, v20
	v_add_lshl_u32 v5, v5, v88, 2
	; wave barrier
	v_add_u32_e32 v105, 0x410, v5
	ds_read_b32 v104, v5 offset:1040
	v_and_b32_e32 v5, 1, v20
	v_add_co_u32_e32 v21, vcc, -1, v5
	v_addc_co_u32_e64 v106, s[36:37], 0, -1, vcc
	v_cmp_ne_u32_e32 vcc, 0, v5
	v_xor_b32_e32 v5, vcc_hi, v106
	v_and_b32_e32 v106, exec_hi, v5
	v_lshlrev_b32_e32 v5, 30, v20
	v_xor_b32_e32 v21, vcc_lo, v21
	v_cmp_gt_i64_e32 vcc, 0, v[4:5]
	v_not_b32_e32 v5, v5
	v_ashrrev_i32_e32 v5, 31, v5
	v_and_b32_e32 v21, exec_lo, v21
	v_xor_b32_e32 v107, vcc_hi, v5
	v_xor_b32_e32 v5, vcc_lo, v5
	v_and_b32_e32 v21, v21, v5
	v_lshlrev_b32_e32 v5, 29, v20
	v_cmp_gt_i64_e32 vcc, 0, v[4:5]
	v_not_b32_e32 v5, v5
	v_ashrrev_i32_e32 v5, 31, v5
	v_and_b32_e32 v106, v106, v107
	v_xor_b32_e32 v107, vcc_hi, v5
	v_xor_b32_e32 v5, vcc_lo, v5
	v_and_b32_e32 v21, v21, v5
	v_lshlrev_b32_e32 v5, 28, v20
	v_cmp_gt_i64_e32 vcc, 0, v[4:5]
	v_not_b32_e32 v5, v5
	v_ashrrev_i32_e32 v5, 31, v5
	v_and_b32_e32 v106, v106, v107
	;; [unrolled: 8-line block ×5, first 2 shown]
	v_xor_b32_e32 v107, vcc_hi, v5
	v_xor_b32_e32 v5, vcc_lo, v5
	v_and_b32_e32 v106, v106, v107
	v_and_b32_e32 v107, v21, v5
	v_lshlrev_b32_e32 v5, 24, v20
	v_cmp_gt_i64_e32 vcc, 0, v[4:5]
	v_not_b32_e32 v5, v5
	v_ashrrev_i32_e32 v5, 31, v5
	v_xor_b32_e32 v20, vcc_hi, v5
	v_xor_b32_e32 v5, vcc_lo, v5
	v_and_b32_e32 v21, v106, v20
	v_and_b32_e32 v20, v107, v5
	v_mbcnt_lo_u32_b32 v5, v20, 0
	v_mbcnt_hi_u32_b32 v106, v21, v5
	v_cmp_eq_u32_e32 vcc, 0, v106
	v_cmp_ne_u64_e64 s[36:37], 0, v[20:21]
	s_and_b64 s[38:39], s[36:37], vcc
	; wave barrier
	s_and_saveexec_b64 s[36:37], s[38:39]
	s_cbranch_execz .LBB322_596
; %bb.595:                              ;   in Loop: Header=BB322_574 Depth=2
	v_bcnt_u32_b32 v5, v20, 0
	v_bcnt_u32_b32 v5, v21, v5
	s_waitcnt lgkmcnt(0)
	v_add_u32_e32 v5, v104, v5
	ds_write_b32 v105, v5
.LBB322_596:                            ;   in Loop: Header=BB322_574 Depth=2
	s_or_b64 exec, exec, s[36:37]
	v_xor_b32_e32 v96, 0x7f, v96
	v_lshrrev_b32_sdwa v5, s69, v96 dst_sel:DWORD dst_unused:UNUSED_PAD src0_sel:DWORD src1_sel:BYTE_0
	v_and_b32_e32 v20, s77, v5
	v_mul_u32_u24_e32 v5, 5, v20
	v_add_lshl_u32 v5, v5, v88, 2
	; wave barrier
	v_add_u32_e32 v108, 0x410, v5
	ds_read_b32 v107, v5 offset:1040
	v_and_b32_e32 v5, 1, v20
	v_add_co_u32_e32 v21, vcc, -1, v5
	v_addc_co_u32_e64 v109, s[36:37], 0, -1, vcc
	v_cmp_ne_u32_e32 vcc, 0, v5
	v_xor_b32_e32 v5, vcc_hi, v109
	v_and_b32_e32 v109, exec_hi, v5
	v_lshlrev_b32_e32 v5, 30, v20
	v_xor_b32_e32 v21, vcc_lo, v21
	v_cmp_gt_i64_e32 vcc, 0, v[4:5]
	v_not_b32_e32 v5, v5
	v_ashrrev_i32_e32 v5, 31, v5
	v_and_b32_e32 v21, exec_lo, v21
	v_xor_b32_e32 v110, vcc_hi, v5
	v_xor_b32_e32 v5, vcc_lo, v5
	v_and_b32_e32 v21, v21, v5
	v_lshlrev_b32_e32 v5, 29, v20
	v_cmp_gt_i64_e32 vcc, 0, v[4:5]
	v_not_b32_e32 v5, v5
	v_ashrrev_i32_e32 v5, 31, v5
	v_and_b32_e32 v109, v109, v110
	v_xor_b32_e32 v110, vcc_hi, v5
	v_xor_b32_e32 v5, vcc_lo, v5
	v_and_b32_e32 v21, v21, v5
	v_lshlrev_b32_e32 v5, 28, v20
	v_cmp_gt_i64_e32 vcc, 0, v[4:5]
	v_not_b32_e32 v5, v5
	v_ashrrev_i32_e32 v5, 31, v5
	v_and_b32_e32 v109, v109, v110
	;; [unrolled: 8-line block ×5, first 2 shown]
	v_xor_b32_e32 v110, vcc_hi, v5
	v_xor_b32_e32 v5, vcc_lo, v5
	v_and_b32_e32 v109, v109, v110
	v_and_b32_e32 v110, v21, v5
	v_lshlrev_b32_e32 v5, 24, v20
	v_cmp_gt_i64_e32 vcc, 0, v[4:5]
	v_not_b32_e32 v5, v5
	v_ashrrev_i32_e32 v5, 31, v5
	v_xor_b32_e32 v20, vcc_hi, v5
	v_xor_b32_e32 v5, vcc_lo, v5
	v_and_b32_e32 v21, v109, v20
	v_and_b32_e32 v20, v110, v5
	v_mbcnt_lo_u32_b32 v5, v20, 0
	v_mbcnt_hi_u32_b32 v109, v21, v5
	v_cmp_eq_u32_e32 vcc, 0, v109
	v_cmp_ne_u64_e64 s[36:37], 0, v[20:21]
	s_and_b64 s[38:39], s[36:37], vcc
	; wave barrier
	s_and_saveexec_b64 s[36:37], s[38:39]
	s_cbranch_execz .LBB322_598
; %bb.597:                              ;   in Loop: Header=BB322_574 Depth=2
	v_bcnt_u32_b32 v5, v20, 0
	v_bcnt_u32_b32 v5, v21, v5
	s_waitcnt lgkmcnt(0)
	v_add_u32_e32 v5, v107, v5
	ds_write_b32 v108, v5
.LBB322_598:                            ;   in Loop: Header=BB322_574 Depth=2
	s_or_b64 exec, exec, s[36:37]
	v_xor_b32_e32 v91, 0x7f, v91
	v_lshrrev_b32_sdwa v5, s69, v91 dst_sel:DWORD dst_unused:UNUSED_PAD src0_sel:DWORD src1_sel:BYTE_0
	v_and_b32_e32 v20, s77, v5
	v_mul_u32_u24_e32 v5, 5, v20
	v_add_lshl_u32 v5, v5, v88, 2
	; wave barrier
	v_add_u32_e32 v111, 0x410, v5
	ds_read_b32 v110, v5 offset:1040
	v_and_b32_e32 v5, 1, v20
	v_add_co_u32_e32 v21, vcc, -1, v5
	v_addc_co_u32_e64 v112, s[36:37], 0, -1, vcc
	v_cmp_ne_u32_e32 vcc, 0, v5
	v_xor_b32_e32 v5, vcc_hi, v112
	v_and_b32_e32 v112, exec_hi, v5
	v_lshlrev_b32_e32 v5, 30, v20
	v_xor_b32_e32 v21, vcc_lo, v21
	v_cmp_gt_i64_e32 vcc, 0, v[4:5]
	v_not_b32_e32 v5, v5
	v_ashrrev_i32_e32 v5, 31, v5
	v_and_b32_e32 v21, exec_lo, v21
	v_xor_b32_e32 v113, vcc_hi, v5
	v_xor_b32_e32 v5, vcc_lo, v5
	v_and_b32_e32 v21, v21, v5
	v_lshlrev_b32_e32 v5, 29, v20
	v_cmp_gt_i64_e32 vcc, 0, v[4:5]
	v_not_b32_e32 v5, v5
	v_ashrrev_i32_e32 v5, 31, v5
	v_and_b32_e32 v112, v112, v113
	v_xor_b32_e32 v113, vcc_hi, v5
	v_xor_b32_e32 v5, vcc_lo, v5
	v_and_b32_e32 v21, v21, v5
	v_lshlrev_b32_e32 v5, 28, v20
	v_cmp_gt_i64_e32 vcc, 0, v[4:5]
	v_not_b32_e32 v5, v5
	v_ashrrev_i32_e32 v5, 31, v5
	v_and_b32_e32 v112, v112, v113
	;; [unrolled: 8-line block ×5, first 2 shown]
	v_xor_b32_e32 v113, vcc_hi, v5
	v_xor_b32_e32 v5, vcc_lo, v5
	v_and_b32_e32 v112, v112, v113
	v_and_b32_e32 v113, v21, v5
	v_lshlrev_b32_e32 v5, 24, v20
	v_cmp_gt_i64_e32 vcc, 0, v[4:5]
	v_not_b32_e32 v5, v5
	v_ashrrev_i32_e32 v5, 31, v5
	v_xor_b32_e32 v20, vcc_hi, v5
	v_xor_b32_e32 v5, vcc_lo, v5
	v_and_b32_e32 v21, v112, v20
	v_and_b32_e32 v20, v113, v5
	v_mbcnt_lo_u32_b32 v5, v20, 0
	v_mbcnt_hi_u32_b32 v112, v21, v5
	v_cmp_eq_u32_e32 vcc, 0, v112
	v_cmp_ne_u64_e64 s[36:37], 0, v[20:21]
	s_and_b64 s[38:39], s[36:37], vcc
	; wave barrier
	s_and_saveexec_b64 s[36:37], s[38:39]
	s_cbranch_execz .LBB322_600
; %bb.599:                              ;   in Loop: Header=BB322_574 Depth=2
	v_bcnt_u32_b32 v5, v20, 0
	v_bcnt_u32_b32 v5, v21, v5
	s_waitcnt lgkmcnt(0)
	v_add_u32_e32 v5, v110, v5
	ds_write_b32 v111, v5
.LBB322_600:                            ;   in Loop: Header=BB322_574 Depth=2
	s_or_b64 exec, exec, s[36:37]
	v_xor_b32_e32 v113, 0x7f, v23
	v_lshrrev_b32_sdwa v5, s69, v113 dst_sel:DWORD dst_unused:UNUSED_PAD src0_sel:DWORD src1_sel:BYTE_0
	v_and_b32_e32 v20, s77, v5
	v_mul_u32_u24_e32 v5, 5, v20
	v_add_lshl_u32 v5, v5, v88, 2
	; wave barrier
	v_add_u32_e32 v115, 0x410, v5
	ds_read_b32 v114, v5 offset:1040
	v_and_b32_e32 v5, 1, v20
	v_add_co_u32_e32 v21, vcc, -1, v5
	v_addc_co_u32_e64 v23, s[36:37], 0, -1, vcc
	v_cmp_ne_u32_e32 vcc, 0, v5
	v_xor_b32_e32 v5, vcc_hi, v23
	v_and_b32_e32 v23, exec_hi, v5
	v_lshlrev_b32_e32 v5, 30, v20
	v_xor_b32_e32 v21, vcc_lo, v21
	v_cmp_gt_i64_e32 vcc, 0, v[4:5]
	v_not_b32_e32 v5, v5
	v_ashrrev_i32_e32 v5, 31, v5
	v_and_b32_e32 v21, exec_lo, v21
	v_xor_b32_e32 v116, vcc_hi, v5
	v_xor_b32_e32 v5, vcc_lo, v5
	v_and_b32_e32 v21, v21, v5
	v_lshlrev_b32_e32 v5, 29, v20
	v_cmp_gt_i64_e32 vcc, 0, v[4:5]
	v_not_b32_e32 v5, v5
	v_ashrrev_i32_e32 v5, 31, v5
	v_and_b32_e32 v23, v23, v116
	v_xor_b32_e32 v116, vcc_hi, v5
	v_xor_b32_e32 v5, vcc_lo, v5
	v_and_b32_e32 v21, v21, v5
	v_lshlrev_b32_e32 v5, 28, v20
	v_cmp_gt_i64_e32 vcc, 0, v[4:5]
	v_not_b32_e32 v5, v5
	v_ashrrev_i32_e32 v5, 31, v5
	v_and_b32_e32 v23, v23, v116
	;; [unrolled: 8-line block ×5, first 2 shown]
	v_xor_b32_e32 v116, vcc_hi, v5
	v_xor_b32_e32 v5, vcc_lo, v5
	v_and_b32_e32 v23, v23, v116
	v_and_b32_e32 v116, v21, v5
	v_lshlrev_b32_e32 v5, 24, v20
	v_cmp_gt_i64_e32 vcc, 0, v[4:5]
	v_not_b32_e32 v5, v5
	v_ashrrev_i32_e32 v5, 31, v5
	v_xor_b32_e32 v20, vcc_hi, v5
	v_xor_b32_e32 v5, vcc_lo, v5
	v_and_b32_e32 v21, v23, v20
	v_and_b32_e32 v20, v116, v5
	v_mbcnt_lo_u32_b32 v5, v20, 0
	v_mbcnt_hi_u32_b32 v116, v21, v5
	v_cmp_eq_u32_e32 vcc, 0, v116
	v_cmp_ne_u64_e64 s[36:37], 0, v[20:21]
	s_and_b64 s[38:39], s[36:37], vcc
	; wave barrier
	s_and_saveexec_b64 s[36:37], s[38:39]
	s_cbranch_execz .LBB322_602
; %bb.601:                              ;   in Loop: Header=BB322_574 Depth=2
	v_bcnt_u32_b32 v5, v20, 0
	v_bcnt_u32_b32 v5, v21, v5
	s_waitcnt lgkmcnt(0)
	v_add_u32_e32 v5, v114, v5
	ds_write_b32 v115, v5
.LBB322_602:                            ;   in Loop: Header=BB322_574 Depth=2
	s_or_b64 exec, exec, s[36:37]
	v_xor_b32_e32 v117, 0x7f, v22
	v_lshrrev_b32_sdwa v5, s69, v117 dst_sel:DWORD dst_unused:UNUSED_PAD src0_sel:DWORD src1_sel:BYTE_0
	v_and_b32_e32 v20, s77, v5
	v_mul_u32_u24_e32 v5, 5, v20
	v_add_lshl_u32 v5, v5, v88, 2
	; wave barrier
	v_add_u32_e32 v119, 0x410, v5
	ds_read_b32 v118, v5 offset:1040
	v_and_b32_e32 v5, 1, v20
	v_add_co_u32_e32 v21, vcc, -1, v5
	v_addc_co_u32_e64 v22, s[36:37], 0, -1, vcc
	v_cmp_ne_u32_e32 vcc, 0, v5
	v_xor_b32_e32 v5, vcc_hi, v22
	v_and_b32_e32 v22, exec_hi, v5
	v_lshlrev_b32_e32 v5, 30, v20
	v_xor_b32_e32 v21, vcc_lo, v21
	v_cmp_gt_i64_e32 vcc, 0, v[4:5]
	v_not_b32_e32 v5, v5
	v_ashrrev_i32_e32 v5, 31, v5
	v_and_b32_e32 v21, exec_lo, v21
	v_xor_b32_e32 v23, vcc_hi, v5
	v_xor_b32_e32 v5, vcc_lo, v5
	v_and_b32_e32 v21, v21, v5
	v_lshlrev_b32_e32 v5, 29, v20
	v_cmp_gt_i64_e32 vcc, 0, v[4:5]
	v_not_b32_e32 v5, v5
	v_ashrrev_i32_e32 v5, 31, v5
	v_and_b32_e32 v22, v22, v23
	v_xor_b32_e32 v23, vcc_hi, v5
	v_xor_b32_e32 v5, vcc_lo, v5
	v_and_b32_e32 v21, v21, v5
	v_lshlrev_b32_e32 v5, 28, v20
	v_cmp_gt_i64_e32 vcc, 0, v[4:5]
	v_not_b32_e32 v5, v5
	v_ashrrev_i32_e32 v5, 31, v5
	v_and_b32_e32 v22, v22, v23
	;; [unrolled: 8-line block ×5, first 2 shown]
	v_xor_b32_e32 v23, vcc_hi, v5
	v_xor_b32_e32 v5, vcc_lo, v5
	v_and_b32_e32 v22, v22, v23
	v_and_b32_e32 v23, v21, v5
	v_lshlrev_b32_e32 v5, 24, v20
	v_cmp_gt_i64_e32 vcc, 0, v[4:5]
	v_not_b32_e32 v5, v5
	v_ashrrev_i32_e32 v5, 31, v5
	v_xor_b32_e32 v20, vcc_hi, v5
	v_xor_b32_e32 v5, vcc_lo, v5
	v_and_b32_e32 v21, v22, v20
	v_and_b32_e32 v20, v23, v5
	v_mbcnt_lo_u32_b32 v5, v20, 0
	v_mbcnt_hi_u32_b32 v120, v21, v5
	v_cmp_eq_u32_e32 vcc, 0, v120
	v_cmp_ne_u64_e64 s[36:37], 0, v[20:21]
	s_and_b64 s[38:39], s[36:37], vcc
	; wave barrier
	s_and_saveexec_b64 s[36:37], s[38:39]
	s_cbranch_execz .LBB322_604
; %bb.603:                              ;   in Loop: Header=BB322_574 Depth=2
	v_bcnt_u32_b32 v5, v20, 0
	v_bcnt_u32_b32 v5, v21, v5
	s_waitcnt lgkmcnt(0)
	v_add_u32_e32 v5, v118, v5
	ds_write_b32 v119, v5
.LBB322_604:                            ;   in Loop: Header=BB322_574 Depth=2
	s_or_b64 exec, exec, s[36:37]
	; wave barrier
	s_waitcnt lgkmcnt(0)
	s_barrier
	ds_read_b32 v5, v42 offset:1040
	ds_read2_b32 v[22:23], v44 offset0:1 offset1:2
	ds_read2_b32 v[20:21], v44 offset0:3 offset1:4
	s_waitcnt lgkmcnt(1)
	v_add3_u32 v121, v22, v5, v23
	s_waitcnt lgkmcnt(0)
	v_add3_u32 v21, v121, v20, v21
	s_nop 1
	v_mov_b32_dpp v121, v21 row_shr:1 row_mask:0xf bank_mask:0xf
	v_cndmask_b32_e64 v121, v121, 0, s[16:17]
	v_add_u32_e32 v21, v121, v21
	s_nop 1
	v_mov_b32_dpp v121, v21 row_shr:2 row_mask:0xf bank_mask:0xf
	v_cndmask_b32_e64 v121, 0, v121, s[18:19]
	v_add_u32_e32 v21, v21, v121
	;; [unrolled: 4-line block ×4, first 2 shown]
	s_nop 1
	v_mov_b32_dpp v121, v21 row_bcast:15 row_mask:0xf bank_mask:0xf
	v_cndmask_b32_e64 v121, v121, 0, s[24:25]
	v_add_u32_e32 v21, v21, v121
	s_nop 1
	v_mov_b32_dpp v121, v21 row_bcast:31 row_mask:0xf bank_mask:0xf
	v_cndmask_b32_e64 v121, 0, v121, s[26:27]
	v_add_u32_e32 v21, v21, v121
	s_and_saveexec_b64 s[36:37], s[6:7]
	s_cbranch_execz .LBB322_606
; %bb.605:                              ;   in Loop: Header=BB322_574 Depth=2
	ds_write_b32 v35, v21 offset:1024
.LBB322_606:                            ;   in Loop: Header=BB322_574 Depth=2
	s_or_b64 exec, exec, s[36:37]
	s_waitcnt lgkmcnt(0)
	s_barrier
	s_and_saveexec_b64 s[36:37], s[8:9]
	s_cbranch_execz .LBB322_608
; %bb.607:                              ;   in Loop: Header=BB322_574 Depth=2
	v_add_u32_e32 v121, v42, v45
	ds_read_b32 v122, v121 offset:1024
	s_waitcnt lgkmcnt(0)
	s_nop 0
	v_mov_b32_dpp v123, v122 row_shr:1 row_mask:0xf bank_mask:0xf
	v_cndmask_b32_e64 v123, v123, 0, s[30:31]
	v_add_u32_e32 v122, v123, v122
	s_nop 1
	v_mov_b32_dpp v123, v122 row_shr:2 row_mask:0xf bank_mask:0xf
	v_cndmask_b32_e64 v123, 0, v123, s[34:35]
	v_add_u32_e32 v122, v122, v123
	ds_write_b32 v121, v122 offset:1024
.LBB322_608:                            ;   in Loop: Header=BB322_574 Depth=2
	s_or_b64 exec, exec, s[36:37]
	v_mov_b32_e32 v121, 0
	s_waitcnt lgkmcnt(0)
	s_barrier
	s_and_saveexec_b64 s[36:37], s[10:11]
	s_cbranch_execz .LBB322_610
; %bb.609:                              ;   in Loop: Header=BB322_574 Depth=2
	ds_read_b32 v121, v35 offset:1020
.LBB322_610:                            ;   in Loop: Header=BB322_574 Depth=2
	s_or_b64 exec, exec, s[36:37]
	s_waitcnt lgkmcnt(0)
	v_add_u32_e32 v21, v121, v21
	ds_bpermute_b32 v21, v65, v21
	s_waitcnt lgkmcnt(0)
	v_cndmask_b32_e64 v21, v21, v121, s[28:29]
	v_cndmask_b32_e64 v21, v21, 0, s[12:13]
	v_add_u32_e32 v5, v21, v5
	ds_write_b32 v42, v21 offset:1040
	v_add_u32_e32 v21, v5, v22
	v_add_u32_e32 v22, v21, v23
	ds_write2_b32 v44, v5, v21 offset0:1 offset1:2
	v_add_u32_e32 v5, v22, v20
	ds_write2_b32 v44, v22, v5 offset0:3 offset1:4
	s_waitcnt lgkmcnt(0)
	s_barrier
	ds_read_b32 v20, v97
	ds_read_b32 v21, v102
	;; [unrolled: 1-line block ×8, first 2 shown]
	ds_read_b32 v97, v42 offset:1040
	v_mov_b32_e32 v5, 0x800
	s_and_saveexec_b64 s[36:37], s[14:15]
	s_cbranch_execz .LBB322_612
; %bb.611:                              ;   in Loop: Header=BB322_574 Depth=2
	ds_read_b32 v5, v42 offset:1060
.LBB322_612:                            ;   in Loop: Header=BB322_574 Depth=2
	s_or_b64 exec, exec, s[36:37]
	s_waitcnt lgkmcnt(0)
	s_barrier
	s_and_saveexec_b64 s[36:37], s[4:5]
	s_cbranch_execz .LBB322_614
; %bb.613:                              ;   in Loop: Header=BB322_574 Depth=2
	ds_read_b32 v102, v3
	s_waitcnt lgkmcnt(0)
	v_sub_u32_e32 v97, v102, v97
	ds_write_b32 v3, v97
.LBB322_614:                            ;   in Loop: Header=BB322_574 Depth=2
	s_or_b64 exec, exec, s[36:37]
	v_add_u32_e32 v102, v92, v93
	v_add3_u32 v98, v98, v95, v20
	v_add3_u32 v97, v103, v100, v21
	;; [unrolled: 1-line block ×7, first 2 shown]
	v_cmp_lt_u32_e64 s[48:49], v2, v89
	ds_write_b8 v102, v90 offset:1024
	ds_write_b8 v98, v94 offset:1024
	;; [unrolled: 1-line block ×8, first 2 shown]
	s_waitcnt lgkmcnt(0)
	s_barrier
	s_and_saveexec_b64 s[36:37], s[48:49]
	s_cbranch_execz .LBB322_622
; %bb.615:                              ;   in Loop: Header=BB322_574 Depth=2
	ds_read_u8 v20, v2 offset:1024
	s_waitcnt lgkmcnt(0)
	v_lshrrev_b32_sdwa v21, s69, v20 dst_sel:DWORD dst_unused:UNUSED_PAD src0_sel:DWORD src1_sel:BYTE_0
	v_and_b32_e32 v21, s77, v21
	v_lshlrev_b32_e32 v21, 2, v21
	ds_read_b32 v21, v21
	v_xor_b32_e32 v20, 0x7f, v20
	s_waitcnt lgkmcnt(0)
	v_add_u32_e32 v21, v21, v2
	global_store_byte v21, v20, s[60:61]
	s_or_b64 exec, exec, s[36:37]
	v_cmp_lt_u32_e64 s[46:47], v24, v89
	s_and_saveexec_b64 s[36:37], s[46:47]
	s_cbranch_execnz .LBB322_623
.LBB322_616:                            ;   in Loop: Header=BB322_574 Depth=2
	s_or_b64 exec, exec, s[36:37]
	v_cmp_lt_u32_e64 s[44:45], v25, v89
	s_and_saveexec_b64 s[36:37], s[44:45]
	s_cbranch_execz .LBB322_624
.LBB322_617:                            ;   in Loop: Header=BB322_574 Depth=2
	ds_read_u8 v20, v30 offset:512
	s_waitcnt lgkmcnt(0)
	v_lshrrev_b32_sdwa v21, s69, v20 dst_sel:DWORD dst_unused:UNUSED_PAD src0_sel:DWORD src1_sel:BYTE_0
	v_and_b32_e32 v21, s77, v21
	v_lshlrev_b32_e32 v21, 2, v21
	ds_read_b32 v21, v21
	v_xor_b32_e32 v20, 0x7f, v20
	s_waitcnt lgkmcnt(0)
	v_add_u32_e32 v21, v21, v25
	global_store_byte v21, v20, s[60:61]
	s_or_b64 exec, exec, s[36:37]
	v_cmp_lt_u32_e64 s[42:43], v26, v89
	s_and_saveexec_b64 s[36:37], s[42:43]
	s_cbranch_execnz .LBB322_625
.LBB322_618:                            ;   in Loop: Header=BB322_574 Depth=2
	s_or_b64 exec, exec, s[36:37]
	v_cmp_lt_u32_e64 s[40:41], v30, v89
	s_and_saveexec_b64 s[36:37], s[40:41]
	s_cbranch_execz .LBB322_626
.LBB322_619:                            ;   in Loop: Header=BB322_574 Depth=2
	ds_read_u8 v20, v30 offset:1024
	s_waitcnt lgkmcnt(0)
	v_lshrrev_b32_sdwa v21, s69, v20 dst_sel:DWORD dst_unused:UNUSED_PAD src0_sel:DWORD src1_sel:BYTE_0
	v_and_b32_e32 v21, s77, v21
	v_lshlrev_b32_e32 v21, 2, v21
	ds_read_b32 v21, v21
	v_xor_b32_e32 v20, 0x7f, v20
	s_waitcnt lgkmcnt(0)
	v_add_u32_e32 v21, v21, v30
	global_store_byte v21, v20, s[60:61]
	s_or_b64 exec, exec, s[36:37]
	v_cmp_lt_u32_e64 s[38:39], v31, v89
	s_and_saveexec_b64 s[36:37], s[38:39]
	s_cbranch_execnz .LBB322_627
.LBB322_620:                            ;   in Loop: Header=BB322_574 Depth=2
	s_or_b64 exec, exec, s[36:37]
	v_cmp_lt_u32_e64 s[36:37], v32, v89
	s_and_saveexec_b64 s[52:53], s[36:37]
	s_cbranch_execz .LBB322_628
.LBB322_621:                            ;   in Loop: Header=BB322_574 Depth=2
	ds_read_u8 v20, v30 offset:1536
	s_waitcnt lgkmcnt(0)
	v_lshrrev_b32_sdwa v21, s69, v20 dst_sel:DWORD dst_unused:UNUSED_PAD src0_sel:DWORD src1_sel:BYTE_0
	v_and_b32_e32 v21, s77, v21
	v_lshlrev_b32_e32 v21, 2, v21
	ds_read_b32 v21, v21
	v_xor_b32_e32 v20, 0x7f, v20
	s_waitcnt lgkmcnt(0)
	v_add_u32_e32 v21, v21, v32
	global_store_byte v21, v20, s[60:61]
	s_or_b64 exec, exec, s[52:53]
	v_cmp_lt_u32_e32 vcc, v33, v89
	s_and_saveexec_b64 s[52:53], vcc
	s_cbranch_execnz .LBB322_629
	s_branch .LBB322_630
.LBB322_622:                            ;   in Loop: Header=BB322_574 Depth=2
	s_or_b64 exec, exec, s[36:37]
	v_cmp_lt_u32_e64 s[46:47], v24, v89
	s_and_saveexec_b64 s[36:37], s[46:47]
	s_cbranch_execz .LBB322_616
.LBB322_623:                            ;   in Loop: Header=BB322_574 Depth=2
	ds_read_u8 v20, v30 offset:256
	s_waitcnt lgkmcnt(0)
	v_lshrrev_b32_sdwa v21, s69, v20 dst_sel:DWORD dst_unused:UNUSED_PAD src0_sel:DWORD src1_sel:BYTE_0
	v_and_b32_e32 v21, s77, v21
	v_lshlrev_b32_e32 v21, 2, v21
	ds_read_b32 v21, v21
	v_xor_b32_e32 v20, 0x7f, v20
	s_waitcnt lgkmcnt(0)
	v_add_u32_e32 v21, v21, v24
	global_store_byte v21, v20, s[60:61]
	s_or_b64 exec, exec, s[36:37]
	v_cmp_lt_u32_e64 s[44:45], v25, v89
	s_and_saveexec_b64 s[36:37], s[44:45]
	s_cbranch_execnz .LBB322_617
.LBB322_624:                            ;   in Loop: Header=BB322_574 Depth=2
	s_or_b64 exec, exec, s[36:37]
	v_cmp_lt_u32_e64 s[42:43], v26, v89
	s_and_saveexec_b64 s[36:37], s[42:43]
	s_cbranch_execz .LBB322_618
.LBB322_625:                            ;   in Loop: Header=BB322_574 Depth=2
	ds_read_u8 v20, v30 offset:768
	s_waitcnt lgkmcnt(0)
	v_lshrrev_b32_sdwa v21, s69, v20 dst_sel:DWORD dst_unused:UNUSED_PAD src0_sel:DWORD src1_sel:BYTE_0
	v_and_b32_e32 v21, s77, v21
	v_lshlrev_b32_e32 v21, 2, v21
	ds_read_b32 v21, v21
	v_xor_b32_e32 v20, 0x7f, v20
	s_waitcnt lgkmcnt(0)
	v_add_u32_e32 v21, v21, v26
	global_store_byte v21, v20, s[60:61]
	s_or_b64 exec, exec, s[36:37]
	v_cmp_lt_u32_e64 s[40:41], v30, v89
	s_and_saveexec_b64 s[36:37], s[40:41]
	s_cbranch_execnz .LBB322_619
.LBB322_626:                            ;   in Loop: Header=BB322_574 Depth=2
	s_or_b64 exec, exec, s[36:37]
	v_cmp_lt_u32_e64 s[38:39], v31, v89
	s_and_saveexec_b64 s[36:37], s[38:39]
	s_cbranch_execz .LBB322_620
.LBB322_627:                            ;   in Loop: Header=BB322_574 Depth=2
	ds_read_u8 v20, v30 offset:1280
	s_waitcnt lgkmcnt(0)
	v_lshrrev_b32_sdwa v21, s69, v20 dst_sel:DWORD dst_unused:UNUSED_PAD src0_sel:DWORD src1_sel:BYTE_0
	v_and_b32_e32 v21, s77, v21
	v_lshlrev_b32_e32 v21, 2, v21
	ds_read_b32 v21, v21
	v_xor_b32_e32 v20, 0x7f, v20
	s_waitcnt lgkmcnt(0)
	v_add_u32_e32 v21, v21, v31
	global_store_byte v21, v20, s[60:61]
	s_or_b64 exec, exec, s[36:37]
	v_cmp_lt_u32_e64 s[36:37], v32, v89
	s_and_saveexec_b64 s[52:53], s[36:37]
	s_cbranch_execnz .LBB322_621
.LBB322_628:                            ;   in Loop: Header=BB322_574 Depth=2
	s_or_b64 exec, exec, s[52:53]
	v_cmp_lt_u32_e32 vcc, v33, v89
	s_and_saveexec_b64 s[52:53], vcc
	s_cbranch_execz .LBB322_630
.LBB322_629:                            ;   in Loop: Header=BB322_574 Depth=2
	ds_read_u8 v20, v30 offset:1792
	s_waitcnt lgkmcnt(0)
	v_lshrrev_b32_sdwa v21, s69, v20 dst_sel:DWORD dst_unused:UNUSED_PAD src0_sel:DWORD src1_sel:BYTE_0
	v_and_b32_e32 v21, s77, v21
	v_lshlrev_b32_e32 v21, 2, v21
	ds_read_b32 v21, v21
	v_xor_b32_e32 v20, 0x7f, v20
	s_waitcnt lgkmcnt(0)
	v_add_u32_e32 v21, v21, v33
	global_store_byte v21, v20, s[60:61]
.LBB322_630:                            ;   in Loop: Header=BB322_574 Depth=2
	s_or_b64 exec, exec, s[52:53]
	s_lshl_b64 s[52:53], s[72:73], 3
	v_mov_b32_e32 v21, s53
	v_add_co_u32_e64 v20, s[52:53], s52, v77
	v_addc_co_u32_e64 v21, s[52:53], v78, v21, s[52:53]
	v_cmp_lt_u32_e64 s[52:53], v72, v89
	s_and_saveexec_b64 s[62:63], s[52:53]
	s_xor_b64 s[52:53], exec, s[62:63]
	s_cbranch_execz .LBB322_646
; %bb.631:                              ;   in Loop: Header=BB322_574 Depth=2
	global_load_dwordx2 v[18:19], v[20:21], off
	s_or_b64 exec, exec, s[52:53]
	v_cmp_lt_u32_e64 s[52:53], v79, v89
	s_and_saveexec_b64 s[62:63], s[52:53]
	s_cbranch_execnz .LBB322_647
.LBB322_632:                            ;   in Loop: Header=BB322_574 Depth=2
	s_or_b64 exec, exec, s[62:63]
	v_cmp_lt_u32_e64 s[52:53], v80, v89
	s_and_saveexec_b64 s[62:63], s[52:53]
	s_cbranch_execz .LBB322_648
.LBB322_633:                            ;   in Loop: Header=BB322_574 Depth=2
	global_load_dwordx2 v[14:15], v[20:21], off offset:1024
	s_or_b64 exec, exec, s[62:63]
	v_cmp_lt_u32_e64 s[52:53], v81, v89
	s_and_saveexec_b64 s[62:63], s[52:53]
	s_cbranch_execnz .LBB322_649
.LBB322_634:                            ;   in Loop: Header=BB322_574 Depth=2
	s_or_b64 exec, exec, s[62:63]
	v_cmp_lt_u32_e64 s[52:53], v82, v89
	s_and_saveexec_b64 s[62:63], s[52:53]
	s_cbranch_execz .LBB322_650
.LBB322_635:                            ;   in Loop: Header=BB322_574 Depth=2
	global_load_dwordx2 v[10:11], v[20:21], off offset:2048
	s_or_b64 exec, exec, s[62:63]
	v_cmp_lt_u32_e64 s[52:53], v83, v89
	s_and_saveexec_b64 s[62:63], s[52:53]
	s_cbranch_execnz .LBB322_651
.LBB322_636:                            ;   in Loop: Header=BB322_574 Depth=2
	s_or_b64 exec, exec, s[62:63]
	v_cmp_lt_u32_e64 s[52:53], v84, v89
	s_and_saveexec_b64 s[62:63], s[52:53]
	s_cbranch_execz .LBB322_652
.LBB322_637:                            ;   in Loop: Header=BB322_574 Depth=2
	global_load_dwordx2 v[6:7], v[20:21], off offset:3072
	s_or_b64 exec, exec, s[62:63]
	v_cmp_lt_u32_e64 s[52:53], v85, v89
	s_and_saveexec_b64 s[62:63], s[52:53]
	s_cbranch_execnz .LBB322_653
.LBB322_638:                            ;   in Loop: Header=BB322_574 Depth=2
	s_or_b64 exec, exec, s[62:63]
	s_and_saveexec_b64 s[52:53], s[48:49]
	s_cbranch_execz .LBB322_654
.LBB322_639:                            ;   in Loop: Header=BB322_574 Depth=2
	ds_read_u8 v20, v2 offset:1024
	s_waitcnt lgkmcnt(0)
	v_lshrrev_b32_e32 v20, s69, v20
	v_and_b32_e32 v75, s77, v20
	s_or_b64 exec, exec, s[52:53]
	s_and_saveexec_b64 s[52:53], s[46:47]
	s_cbranch_execnz .LBB322_655
.LBB322_640:                            ;   in Loop: Header=BB322_574 Depth=2
	s_or_b64 exec, exec, s[52:53]
	s_and_saveexec_b64 s[52:53], s[44:45]
	s_cbranch_execz .LBB322_656
.LBB322_641:                            ;   in Loop: Header=BB322_574 Depth=2
	ds_read_u8 v20, v30 offset:512
	s_waitcnt lgkmcnt(0)
	v_lshrrev_b32_e32 v20, s69, v20
	v_and_b32_e32 v71, s77, v20
	s_or_b64 exec, exec, s[52:53]
	s_and_saveexec_b64 s[52:53], s[42:43]
	s_cbranch_execnz .LBB322_657
.LBB322_642:                            ;   in Loop: Header=BB322_574 Depth=2
	s_or_b64 exec, exec, s[52:53]
	s_and_saveexec_b64 s[52:53], s[40:41]
	s_cbranch_execz .LBB322_658
.LBB322_643:                            ;   in Loop: Header=BB322_574 Depth=2
	ds_read_u8 v20, v30 offset:1024
	s_waitcnt lgkmcnt(0)
	v_lshrrev_b32_e32 v20, s69, v20
	v_and_b32_e32 v69, s77, v20
	s_or_b64 exec, exec, s[52:53]
	s_and_saveexec_b64 s[52:53], s[38:39]
	s_cbranch_execnz .LBB322_659
.LBB322_644:                            ;   in Loop: Header=BB322_574 Depth=2
	s_or_b64 exec, exec, s[52:53]
	s_and_saveexec_b64 s[52:53], s[36:37]
	s_cbranch_execz .LBB322_660
.LBB322_645:                            ;   in Loop: Header=BB322_574 Depth=2
	ds_read_u8 v20, v30 offset:1536
	s_waitcnt lgkmcnt(0)
	v_lshrrev_b32_e32 v20, s69, v20
	v_and_b32_e32 v67, s77, v20
	s_or_b64 exec, exec, s[52:53]
	s_and_saveexec_b64 s[52:53], vcc
	s_cbranch_execnz .LBB322_661
	s_branch .LBB322_662
.LBB322_646:                            ;   in Loop: Header=BB322_574 Depth=2
	s_or_b64 exec, exec, s[52:53]
	v_cmp_lt_u32_e64 s[52:53], v79, v89
	s_and_saveexec_b64 s[62:63], s[52:53]
	s_cbranch_execz .LBB322_632
.LBB322_647:                            ;   in Loop: Header=BB322_574 Depth=2
	global_load_dwordx2 v[16:17], v[20:21], off offset:512
	s_or_b64 exec, exec, s[62:63]
	v_cmp_lt_u32_e64 s[52:53], v80, v89
	s_and_saveexec_b64 s[62:63], s[52:53]
	s_cbranch_execnz .LBB322_633
.LBB322_648:                            ;   in Loop: Header=BB322_574 Depth=2
	s_or_b64 exec, exec, s[62:63]
	v_cmp_lt_u32_e64 s[52:53], v81, v89
	s_and_saveexec_b64 s[62:63], s[52:53]
	s_cbranch_execz .LBB322_634
.LBB322_649:                            ;   in Loop: Header=BB322_574 Depth=2
	global_load_dwordx2 v[12:13], v[20:21], off offset:1536
	s_or_b64 exec, exec, s[62:63]
	v_cmp_lt_u32_e64 s[52:53], v82, v89
	s_and_saveexec_b64 s[62:63], s[52:53]
	s_cbranch_execnz .LBB322_635
.LBB322_650:                            ;   in Loop: Header=BB322_574 Depth=2
	s_or_b64 exec, exec, s[62:63]
	v_cmp_lt_u32_e64 s[52:53], v83, v89
	s_and_saveexec_b64 s[62:63], s[52:53]
	s_cbranch_execz .LBB322_636
.LBB322_651:                            ;   in Loop: Header=BB322_574 Depth=2
	global_load_dwordx2 v[8:9], v[20:21], off offset:2560
	s_or_b64 exec, exec, s[62:63]
	v_cmp_lt_u32_e64 s[52:53], v84, v89
	s_and_saveexec_b64 s[62:63], s[52:53]
	s_cbranch_execnz .LBB322_637
.LBB322_652:                            ;   in Loop: Header=BB322_574 Depth=2
	s_or_b64 exec, exec, s[62:63]
	v_cmp_lt_u32_e64 s[52:53], v85, v89
	s_and_saveexec_b64 s[62:63], s[52:53]
	s_cbranch_execz .LBB322_638
.LBB322_653:                            ;   in Loop: Header=BB322_574 Depth=2
	global_load_dwordx2 v[0:1], v[20:21], off offset:3584
	s_or_b64 exec, exec, s[62:63]
	s_and_saveexec_b64 s[52:53], s[48:49]
	s_cbranch_execnz .LBB322_639
.LBB322_654:                            ;   in Loop: Header=BB322_574 Depth=2
	s_or_b64 exec, exec, s[52:53]
	s_and_saveexec_b64 s[52:53], s[46:47]
	s_cbranch_execz .LBB322_640
.LBB322_655:                            ;   in Loop: Header=BB322_574 Depth=2
	ds_read_u8 v20, v30 offset:256
	s_waitcnt lgkmcnt(0)
	v_lshrrev_b32_e32 v20, s69, v20
	v_and_b32_e32 v73, s77, v20
	s_or_b64 exec, exec, s[52:53]
	s_and_saveexec_b64 s[52:53], s[44:45]
	s_cbranch_execnz .LBB322_641
.LBB322_656:                            ;   in Loop: Header=BB322_574 Depth=2
	s_or_b64 exec, exec, s[52:53]
	s_and_saveexec_b64 s[52:53], s[42:43]
	s_cbranch_execz .LBB322_642
.LBB322_657:                            ;   in Loop: Header=BB322_574 Depth=2
	ds_read_u8 v20, v30 offset:768
	s_waitcnt lgkmcnt(0)
	v_lshrrev_b32_e32 v20, s69, v20
	v_and_b32_e32 v70, s77, v20
	s_or_b64 exec, exec, s[52:53]
	s_and_saveexec_b64 s[52:53], s[40:41]
	s_cbranch_execnz .LBB322_643
.LBB322_658:                            ;   in Loop: Header=BB322_574 Depth=2
	s_or_b64 exec, exec, s[52:53]
	s_and_saveexec_b64 s[52:53], s[38:39]
	s_cbranch_execz .LBB322_644
.LBB322_659:                            ;   in Loop: Header=BB322_574 Depth=2
	ds_read_u8 v20, v30 offset:1280
	s_waitcnt lgkmcnt(0)
	v_lshrrev_b32_e32 v20, s69, v20
	v_and_b32_e32 v68, s77, v20
	s_or_b64 exec, exec, s[52:53]
	s_and_saveexec_b64 s[52:53], s[36:37]
	s_cbranch_execnz .LBB322_645
.LBB322_660:                            ;   in Loop: Header=BB322_574 Depth=2
	s_or_b64 exec, exec, s[52:53]
	s_and_saveexec_b64 s[52:53], vcc
	s_cbranch_execz .LBB322_662
.LBB322_661:                            ;   in Loop: Header=BB322_574 Depth=2
	ds_read_u8 v20, v30 offset:1792
	s_waitcnt lgkmcnt(0)
	v_lshrrev_b32_e32 v20, s69, v20
	v_and_b32_e32 v66, s77, v20
.LBB322_662:                            ;   in Loop: Header=BB322_574 Depth=2
	s_or_b64 exec, exec, s[52:53]
	v_lshlrev_b32_e32 v20, 3, v102
	s_barrier
	s_waitcnt vmcnt(0)
	ds_write_b64 v20, v[18:19] offset:1024
	v_lshlrev_b32_e32 v20, 3, v98
	ds_write_b64 v20, v[16:17] offset:1024
	v_lshlrev_b32_e32 v20, 3, v97
	;; [unrolled: 2-line block ×7, first 2 shown]
	ds_write_b64 v20, v[0:1] offset:1024
	s_waitcnt lgkmcnt(0)
	s_barrier
	s_and_saveexec_b64 s[52:53], s[48:49]
	s_cbranch_execz .LBB322_670
; %bb.663:                              ;   in Loop: Header=BB322_574 Depth=2
	v_lshlrev_b32_e32 v20, 2, v75
	ds_read_b32 v22, v20
	v_add_u32_e32 v20, v2, v50
	ds_read_b64 v[20:21], v20 offset:1024
	v_mov_b32_e32 v23, v4
	v_mov_b32_e32 v89, s67
	s_waitcnt lgkmcnt(1)
	v_add_u32_e32 v22, v22, v2
	v_lshlrev_b64 v[22:23], 3, v[22:23]
	v_add_co_u32_e64 v22, s[48:49], s66, v22
	v_addc_co_u32_e64 v23, s[48:49], v89, v23, s[48:49]
	s_waitcnt lgkmcnt(0)
	global_store_dwordx2 v[22:23], v[20:21], off
	s_or_b64 exec, exec, s[52:53]
	v_add_u32_e32 v20, v30, v50
	s_and_saveexec_b64 s[48:49], s[46:47]
	s_cbranch_execnz .LBB322_671
.LBB322_664:                            ;   in Loop: Header=BB322_574 Depth=2
	s_or_b64 exec, exec, s[48:49]
	s_and_saveexec_b64 s[46:47], s[44:45]
	s_cbranch_execz .LBB322_672
.LBB322_665:                            ;   in Loop: Header=BB322_574 Depth=2
	v_lshlrev_b32_e32 v21, 2, v71
	ds_read_b32 v21, v21
	ds_read_b64 v[22:23], v20 offset:4096
	v_mov_b32_e32 v91, v4
	v_mov_b32_e32 v89, s67
	s_waitcnt lgkmcnt(1)
	v_add_u32_e32 v90, v21, v25
	v_lshlrev_b64 v[90:91], 3, v[90:91]
	v_add_co_u32_e64 v90, s[44:45], s66, v90
	v_addc_co_u32_e64 v91, s[44:45], v89, v91, s[44:45]
	s_waitcnt lgkmcnt(0)
	global_store_dwordx2 v[90:91], v[22:23], off
	s_or_b64 exec, exec, s[46:47]
	s_and_saveexec_b64 s[44:45], s[42:43]
	s_cbranch_execnz .LBB322_673
.LBB322_666:                            ;   in Loop: Header=BB322_574 Depth=2
	s_or_b64 exec, exec, s[44:45]
	s_and_saveexec_b64 s[42:43], s[40:41]
	s_cbranch_execz .LBB322_674
.LBB322_667:                            ;   in Loop: Header=BB322_574 Depth=2
	v_lshlrev_b32_e32 v21, 2, v69
	ds_read_b32 v21, v21
	ds_read_b64 v[22:23], v20 offset:8192
	v_mov_b32_e32 v91, v4
	v_mov_b32_e32 v89, s67
	s_waitcnt lgkmcnt(1)
	v_add_u32_e32 v90, v21, v30
	v_lshlrev_b64 v[90:91], 3, v[90:91]
	v_add_co_u32_e64 v90, s[40:41], s66, v90
	v_addc_co_u32_e64 v91, s[40:41], v89, v91, s[40:41]
	s_waitcnt lgkmcnt(0)
	global_store_dwordx2 v[90:91], v[22:23], off
	s_or_b64 exec, exec, s[42:43]
	s_and_saveexec_b64 s[40:41], s[38:39]
	s_cbranch_execnz .LBB322_675
.LBB322_668:                            ;   in Loop: Header=BB322_574 Depth=2
	s_or_b64 exec, exec, s[40:41]
	s_and_saveexec_b64 s[38:39], s[36:37]
	s_cbranch_execz .LBB322_676
.LBB322_669:                            ;   in Loop: Header=BB322_574 Depth=2
	v_lshlrev_b32_e32 v21, 2, v67
	ds_read_b32 v21, v21
	ds_read_b64 v[22:23], v20 offset:12288
	v_mov_b32_e32 v91, v4
	v_mov_b32_e32 v89, s67
	s_waitcnt lgkmcnt(1)
	v_add_u32_e32 v90, v21, v32
	v_lshlrev_b64 v[90:91], 3, v[90:91]
	v_add_co_u32_e64 v90, s[36:37], s66, v90
	v_addc_co_u32_e64 v91, s[36:37], v89, v91, s[36:37]
	s_waitcnt lgkmcnt(0)
	global_store_dwordx2 v[90:91], v[22:23], off
	s_or_b64 exec, exec, s[38:39]
	s_and_saveexec_b64 s[36:37], vcc
	s_cbranch_execnz .LBB322_677
	s_branch .LBB322_678
.LBB322_670:                            ;   in Loop: Header=BB322_574 Depth=2
	s_or_b64 exec, exec, s[52:53]
	v_add_u32_e32 v20, v30, v50
	s_and_saveexec_b64 s[48:49], s[46:47]
	s_cbranch_execz .LBB322_664
.LBB322_671:                            ;   in Loop: Header=BB322_574 Depth=2
	v_lshlrev_b32_e32 v21, 2, v73
	ds_read_b32 v21, v21
	ds_read_b64 v[22:23], v20 offset:2048
	v_mov_b32_e32 v91, v4
	v_mov_b32_e32 v89, s67
	s_waitcnt lgkmcnt(1)
	v_add_u32_e32 v90, v21, v24
	v_lshlrev_b64 v[90:91], 3, v[90:91]
	v_add_co_u32_e64 v90, s[46:47], s66, v90
	v_addc_co_u32_e64 v91, s[46:47], v89, v91, s[46:47]
	s_waitcnt lgkmcnt(0)
	global_store_dwordx2 v[90:91], v[22:23], off
	s_or_b64 exec, exec, s[48:49]
	s_and_saveexec_b64 s[46:47], s[44:45]
	s_cbranch_execnz .LBB322_665
.LBB322_672:                            ;   in Loop: Header=BB322_574 Depth=2
	s_or_b64 exec, exec, s[46:47]
	s_and_saveexec_b64 s[44:45], s[42:43]
	s_cbranch_execz .LBB322_666
.LBB322_673:                            ;   in Loop: Header=BB322_574 Depth=2
	v_lshlrev_b32_e32 v21, 2, v70
	ds_read_b32 v21, v21
	ds_read_b64 v[22:23], v20 offset:6144
	v_mov_b32_e32 v91, v4
	v_mov_b32_e32 v89, s67
	s_waitcnt lgkmcnt(1)
	v_add_u32_e32 v90, v21, v26
	v_lshlrev_b64 v[90:91], 3, v[90:91]
	v_add_co_u32_e64 v90, s[42:43], s66, v90
	v_addc_co_u32_e64 v91, s[42:43], v89, v91, s[42:43]
	s_waitcnt lgkmcnt(0)
	global_store_dwordx2 v[90:91], v[22:23], off
	s_or_b64 exec, exec, s[44:45]
	s_and_saveexec_b64 s[42:43], s[40:41]
	s_cbranch_execnz .LBB322_667
.LBB322_674:                            ;   in Loop: Header=BB322_574 Depth=2
	s_or_b64 exec, exec, s[42:43]
	s_and_saveexec_b64 s[40:41], s[38:39]
	s_cbranch_execz .LBB322_668
.LBB322_675:                            ;   in Loop: Header=BB322_574 Depth=2
	v_lshlrev_b32_e32 v21, 2, v68
	ds_read_b32 v21, v21
	ds_read_b64 v[22:23], v20 offset:10240
	v_mov_b32_e32 v91, v4
	v_mov_b32_e32 v89, s67
	s_waitcnt lgkmcnt(1)
	v_add_u32_e32 v90, v21, v31
	v_lshlrev_b64 v[90:91], 3, v[90:91]
	v_add_co_u32_e64 v90, s[38:39], s66, v90
	v_addc_co_u32_e64 v91, s[38:39], v89, v91, s[38:39]
	s_waitcnt lgkmcnt(0)
	global_store_dwordx2 v[90:91], v[22:23], off
	s_or_b64 exec, exec, s[40:41]
	s_and_saveexec_b64 s[38:39], s[36:37]
	s_cbranch_execnz .LBB322_669
.LBB322_676:                            ;   in Loop: Header=BB322_574 Depth=2
	s_or_b64 exec, exec, s[38:39]
	s_and_saveexec_b64 s[36:37], vcc
	s_cbranch_execz .LBB322_678
.LBB322_677:                            ;   in Loop: Header=BB322_574 Depth=2
	v_lshlrev_b32_e32 v21, 2, v66
	ds_read_b32 v22, v21
	ds_read_b64 v[20:21], v20 offset:14336
	v_mov_b32_e32 v23, v4
	v_mov_b32_e32 v89, s67
	s_waitcnt lgkmcnt(1)
	v_add_u32_e32 v22, v22, v33
	v_lshlrev_b64 v[22:23], 3, v[22:23]
	v_add_co_u32_e32 v22, vcc, s66, v22
	v_addc_co_u32_e32 v23, vcc, v89, v23, vcc
	s_waitcnt lgkmcnt(0)
	global_store_dwordx2 v[22:23], v[20:21], off
.LBB322_678:                            ;   in Loop: Header=BB322_574 Depth=2
	s_or_b64 exec, exec, s[36:37]
	s_barrier
	s_and_saveexec_b64 s[36:37], s[4:5]
	s_cbranch_execz .LBB322_573
; %bb.679:                              ;   in Loop: Header=BB322_574 Depth=2
	ds_read_b32 v20, v3
	s_waitcnt lgkmcnt(0)
	v_add_u32_e32 v5, v20, v5
	ds_write_b32 v3, v5
	s_branch .LBB322_573
.LBB322_680:                            ;   in Loop: Header=BB322_574 Depth=2
	s_or_b64 exec, exec, s[36:37]
	v_cmp_gt_u32_e32 vcc, s78, v79
	s_and_saveexec_b64 s[36:37], vcc
	s_cbranch_execz .LBB322_580
.LBB322_681:                            ;   in Loop: Header=BB322_574 Depth=2
	global_load_ubyte v94, v[20:21], off offset:64
	s_or_b64 exec, exec, s[36:37]
	v_cmp_gt_u32_e32 vcc, s78, v80
	s_and_saveexec_b64 s[36:37], vcc
	s_cbranch_execnz .LBB322_581
.LBB322_682:                            ;   in Loop: Header=BB322_574 Depth=2
	s_or_b64 exec, exec, s[36:37]
	v_cmp_gt_u32_e32 vcc, s78, v81
	s_and_saveexec_b64 s[36:37], vcc
	s_cbranch_execz .LBB322_582
.LBB322_683:                            ;   in Loop: Header=BB322_574 Depth=2
	global_load_ubyte v101, v[20:21], off offset:192
	s_or_b64 exec, exec, s[36:37]
	v_cmp_gt_u32_e32 vcc, s78, v82
	s_and_saveexec_b64 s[36:37], vcc
	s_cbranch_execnz .LBB322_583
.LBB322_684:                            ;   in Loop: Header=BB322_574 Depth=2
	s_or_b64 exec, exec, s[36:37]
	v_cmp_gt_u32_e32 vcc, s78, v83
	s_and_saveexec_b64 s[36:37], vcc
	s_cbranch_execz .LBB322_584
.LBB322_685:                            ;   in Loop: Header=BB322_574 Depth=2
	global_load_ubyte v91, v[20:21], off offset:320
	s_or_b64 exec, exec, s[36:37]
	v_cmp_gt_u32_e32 vcc, s78, v84
	s_and_saveexec_b64 s[36:37], vcc
	s_cbranch_execnz .LBB322_585
	s_branch .LBB322_586
.LBB322_686:
	s_endpgm
	.section	.rodata,"a",@progbits
	.p2align	6, 0x0
	.amdhsa_kernel _ZN7rocprim17ROCPRIM_400000_NS6detail17trampoline_kernelINS0_14default_configENS1_36segmented_radix_sort_config_selectorIalEEZNS1_25segmented_radix_sort_implIS3_Lb1EPKaPaPKlPlN2at6native12_GLOBAL__N_18offset_tEEE10hipError_tPvRmT1_PNSt15iterator_traitsISK_E10value_typeET2_T3_PNSL_ISQ_E10value_typeET4_jRbjT5_SW_jjP12ihipStream_tbEUlT_E2_NS1_11comp_targetILNS1_3genE4ELNS1_11target_archE910ELNS1_3gpuE8ELNS1_3repE0EEENS1_30default_config_static_selectorELNS0_4arch9wavefront6targetE1EEEvSK_
		.amdhsa_group_segment_fixed_size 17424
		.amdhsa_private_segment_fixed_size 8
		.amdhsa_kernarg_size 336
		.amdhsa_user_sgpr_count 8
		.amdhsa_user_sgpr_private_segment_buffer 1
		.amdhsa_user_sgpr_dispatch_ptr 0
		.amdhsa_user_sgpr_queue_ptr 0
		.amdhsa_user_sgpr_kernarg_segment_ptr 1
		.amdhsa_user_sgpr_dispatch_id 0
		.amdhsa_user_sgpr_flat_scratch_init 1
		.amdhsa_user_sgpr_kernarg_preload_length 0
		.amdhsa_user_sgpr_kernarg_preload_offset 0
		.amdhsa_user_sgpr_private_segment_size 0
		.amdhsa_uses_dynamic_stack 0
		.amdhsa_system_sgpr_private_segment_wavefront_offset 1
		.amdhsa_system_sgpr_workgroup_id_x 1
		.amdhsa_system_sgpr_workgroup_id_y 1
		.amdhsa_system_sgpr_workgroup_id_z 0
		.amdhsa_system_sgpr_workgroup_info 0
		.amdhsa_system_vgpr_workitem_id 2
		.amdhsa_next_free_vgpr 168
		.amdhsa_next_free_sgpr 80
		.amdhsa_accum_offset 168
		.amdhsa_reserve_vcc 1
		.amdhsa_reserve_flat_scratch 1
		.amdhsa_float_round_mode_32 0
		.amdhsa_float_round_mode_16_64 0
		.amdhsa_float_denorm_mode_32 3
		.amdhsa_float_denorm_mode_16_64 3
		.amdhsa_dx10_clamp 1
		.amdhsa_ieee_mode 1
		.amdhsa_fp16_overflow 0
		.amdhsa_tg_split 0
		.amdhsa_exception_fp_ieee_invalid_op 0
		.amdhsa_exception_fp_denorm_src 0
		.amdhsa_exception_fp_ieee_div_zero 0
		.amdhsa_exception_fp_ieee_overflow 0
		.amdhsa_exception_fp_ieee_underflow 0
		.amdhsa_exception_fp_ieee_inexact 0
		.amdhsa_exception_int_div_zero 0
	.end_amdhsa_kernel
	.section	.text._ZN7rocprim17ROCPRIM_400000_NS6detail17trampoline_kernelINS0_14default_configENS1_36segmented_radix_sort_config_selectorIalEEZNS1_25segmented_radix_sort_implIS3_Lb1EPKaPaPKlPlN2at6native12_GLOBAL__N_18offset_tEEE10hipError_tPvRmT1_PNSt15iterator_traitsISK_E10value_typeET2_T3_PNSL_ISQ_E10value_typeET4_jRbjT5_SW_jjP12ihipStream_tbEUlT_E2_NS1_11comp_targetILNS1_3genE4ELNS1_11target_archE910ELNS1_3gpuE8ELNS1_3repE0EEENS1_30default_config_static_selectorELNS0_4arch9wavefront6targetE1EEEvSK_,"axG",@progbits,_ZN7rocprim17ROCPRIM_400000_NS6detail17trampoline_kernelINS0_14default_configENS1_36segmented_radix_sort_config_selectorIalEEZNS1_25segmented_radix_sort_implIS3_Lb1EPKaPaPKlPlN2at6native12_GLOBAL__N_18offset_tEEE10hipError_tPvRmT1_PNSt15iterator_traitsISK_E10value_typeET2_T3_PNSL_ISQ_E10value_typeET4_jRbjT5_SW_jjP12ihipStream_tbEUlT_E2_NS1_11comp_targetILNS1_3genE4ELNS1_11target_archE910ELNS1_3gpuE8ELNS1_3repE0EEENS1_30default_config_static_selectorELNS0_4arch9wavefront6targetE1EEEvSK_,comdat
.Lfunc_end322:
	.size	_ZN7rocprim17ROCPRIM_400000_NS6detail17trampoline_kernelINS0_14default_configENS1_36segmented_radix_sort_config_selectorIalEEZNS1_25segmented_radix_sort_implIS3_Lb1EPKaPaPKlPlN2at6native12_GLOBAL__N_18offset_tEEE10hipError_tPvRmT1_PNSt15iterator_traitsISK_E10value_typeET2_T3_PNSL_ISQ_E10value_typeET4_jRbjT5_SW_jjP12ihipStream_tbEUlT_E2_NS1_11comp_targetILNS1_3genE4ELNS1_11target_archE910ELNS1_3gpuE8ELNS1_3repE0EEENS1_30default_config_static_selectorELNS0_4arch9wavefront6targetE1EEEvSK_, .Lfunc_end322-_ZN7rocprim17ROCPRIM_400000_NS6detail17trampoline_kernelINS0_14default_configENS1_36segmented_radix_sort_config_selectorIalEEZNS1_25segmented_radix_sort_implIS3_Lb1EPKaPaPKlPlN2at6native12_GLOBAL__N_18offset_tEEE10hipError_tPvRmT1_PNSt15iterator_traitsISK_E10value_typeET2_T3_PNSL_ISQ_E10value_typeET4_jRbjT5_SW_jjP12ihipStream_tbEUlT_E2_NS1_11comp_targetILNS1_3genE4ELNS1_11target_archE910ELNS1_3gpuE8ELNS1_3repE0EEENS1_30default_config_static_selectorELNS0_4arch9wavefront6targetE1EEEvSK_
                                        ; -- End function
	.section	.AMDGPU.csdata,"",@progbits
; Kernel info:
; codeLenInByte = 36320
; NumSgprs: 86
; NumVgprs: 168
; NumAgprs: 0
; TotalNumVgprs: 168
; ScratchSize: 8
; MemoryBound: 0
; FloatMode: 240
; IeeeMode: 1
; LDSByteSize: 17424 bytes/workgroup (compile time only)
; SGPRBlocks: 10
; VGPRBlocks: 20
; NumSGPRsForWavesPerEU: 86
; NumVGPRsForWavesPerEU: 168
; AccumOffset: 168
; Occupancy: 3
; WaveLimiterHint : 1
; COMPUTE_PGM_RSRC2:SCRATCH_EN: 1
; COMPUTE_PGM_RSRC2:USER_SGPR: 8
; COMPUTE_PGM_RSRC2:TRAP_HANDLER: 0
; COMPUTE_PGM_RSRC2:TGID_X_EN: 1
; COMPUTE_PGM_RSRC2:TGID_Y_EN: 1
; COMPUTE_PGM_RSRC2:TGID_Z_EN: 0
; COMPUTE_PGM_RSRC2:TIDIG_COMP_CNT: 2
; COMPUTE_PGM_RSRC3_GFX90A:ACCUM_OFFSET: 41
; COMPUTE_PGM_RSRC3_GFX90A:TG_SPLIT: 0
	.section	.text._ZN7rocprim17ROCPRIM_400000_NS6detail17trampoline_kernelINS0_14default_configENS1_36segmented_radix_sort_config_selectorIalEEZNS1_25segmented_radix_sort_implIS3_Lb1EPKaPaPKlPlN2at6native12_GLOBAL__N_18offset_tEEE10hipError_tPvRmT1_PNSt15iterator_traitsISK_E10value_typeET2_T3_PNSL_ISQ_E10value_typeET4_jRbjT5_SW_jjP12ihipStream_tbEUlT_E2_NS1_11comp_targetILNS1_3genE3ELNS1_11target_archE908ELNS1_3gpuE7ELNS1_3repE0EEENS1_30default_config_static_selectorELNS0_4arch9wavefront6targetE1EEEvSK_,"axG",@progbits,_ZN7rocprim17ROCPRIM_400000_NS6detail17trampoline_kernelINS0_14default_configENS1_36segmented_radix_sort_config_selectorIalEEZNS1_25segmented_radix_sort_implIS3_Lb1EPKaPaPKlPlN2at6native12_GLOBAL__N_18offset_tEEE10hipError_tPvRmT1_PNSt15iterator_traitsISK_E10value_typeET2_T3_PNSL_ISQ_E10value_typeET4_jRbjT5_SW_jjP12ihipStream_tbEUlT_E2_NS1_11comp_targetILNS1_3genE3ELNS1_11target_archE908ELNS1_3gpuE7ELNS1_3repE0EEENS1_30default_config_static_selectorELNS0_4arch9wavefront6targetE1EEEvSK_,comdat
	.globl	_ZN7rocprim17ROCPRIM_400000_NS6detail17trampoline_kernelINS0_14default_configENS1_36segmented_radix_sort_config_selectorIalEEZNS1_25segmented_radix_sort_implIS3_Lb1EPKaPaPKlPlN2at6native12_GLOBAL__N_18offset_tEEE10hipError_tPvRmT1_PNSt15iterator_traitsISK_E10value_typeET2_T3_PNSL_ISQ_E10value_typeET4_jRbjT5_SW_jjP12ihipStream_tbEUlT_E2_NS1_11comp_targetILNS1_3genE3ELNS1_11target_archE908ELNS1_3gpuE7ELNS1_3repE0EEENS1_30default_config_static_selectorELNS0_4arch9wavefront6targetE1EEEvSK_ ; -- Begin function _ZN7rocprim17ROCPRIM_400000_NS6detail17trampoline_kernelINS0_14default_configENS1_36segmented_radix_sort_config_selectorIalEEZNS1_25segmented_radix_sort_implIS3_Lb1EPKaPaPKlPlN2at6native12_GLOBAL__N_18offset_tEEE10hipError_tPvRmT1_PNSt15iterator_traitsISK_E10value_typeET2_T3_PNSL_ISQ_E10value_typeET4_jRbjT5_SW_jjP12ihipStream_tbEUlT_E2_NS1_11comp_targetILNS1_3genE3ELNS1_11target_archE908ELNS1_3gpuE7ELNS1_3repE0EEENS1_30default_config_static_selectorELNS0_4arch9wavefront6targetE1EEEvSK_
	.p2align	8
	.type	_ZN7rocprim17ROCPRIM_400000_NS6detail17trampoline_kernelINS0_14default_configENS1_36segmented_radix_sort_config_selectorIalEEZNS1_25segmented_radix_sort_implIS3_Lb1EPKaPaPKlPlN2at6native12_GLOBAL__N_18offset_tEEE10hipError_tPvRmT1_PNSt15iterator_traitsISK_E10value_typeET2_T3_PNSL_ISQ_E10value_typeET4_jRbjT5_SW_jjP12ihipStream_tbEUlT_E2_NS1_11comp_targetILNS1_3genE3ELNS1_11target_archE908ELNS1_3gpuE7ELNS1_3repE0EEENS1_30default_config_static_selectorELNS0_4arch9wavefront6targetE1EEEvSK_,@function
_ZN7rocprim17ROCPRIM_400000_NS6detail17trampoline_kernelINS0_14default_configENS1_36segmented_radix_sort_config_selectorIalEEZNS1_25segmented_radix_sort_implIS3_Lb1EPKaPaPKlPlN2at6native12_GLOBAL__N_18offset_tEEE10hipError_tPvRmT1_PNSt15iterator_traitsISK_E10value_typeET2_T3_PNSL_ISQ_E10value_typeET4_jRbjT5_SW_jjP12ihipStream_tbEUlT_E2_NS1_11comp_targetILNS1_3genE3ELNS1_11target_archE908ELNS1_3gpuE7ELNS1_3repE0EEENS1_30default_config_static_selectorELNS0_4arch9wavefront6targetE1EEEvSK_: ; @_ZN7rocprim17ROCPRIM_400000_NS6detail17trampoline_kernelINS0_14default_configENS1_36segmented_radix_sort_config_selectorIalEEZNS1_25segmented_radix_sort_implIS3_Lb1EPKaPaPKlPlN2at6native12_GLOBAL__N_18offset_tEEE10hipError_tPvRmT1_PNSt15iterator_traitsISK_E10value_typeET2_T3_PNSL_ISQ_E10value_typeET4_jRbjT5_SW_jjP12ihipStream_tbEUlT_E2_NS1_11comp_targetILNS1_3genE3ELNS1_11target_archE908ELNS1_3gpuE7ELNS1_3repE0EEENS1_30default_config_static_selectorELNS0_4arch9wavefront6targetE1EEEvSK_
; %bb.0:
	.section	.rodata,"a",@progbits
	.p2align	6, 0x0
	.amdhsa_kernel _ZN7rocprim17ROCPRIM_400000_NS6detail17trampoline_kernelINS0_14default_configENS1_36segmented_radix_sort_config_selectorIalEEZNS1_25segmented_radix_sort_implIS3_Lb1EPKaPaPKlPlN2at6native12_GLOBAL__N_18offset_tEEE10hipError_tPvRmT1_PNSt15iterator_traitsISK_E10value_typeET2_T3_PNSL_ISQ_E10value_typeET4_jRbjT5_SW_jjP12ihipStream_tbEUlT_E2_NS1_11comp_targetILNS1_3genE3ELNS1_11target_archE908ELNS1_3gpuE7ELNS1_3repE0EEENS1_30default_config_static_selectorELNS0_4arch9wavefront6targetE1EEEvSK_
		.amdhsa_group_segment_fixed_size 0
		.amdhsa_private_segment_fixed_size 0
		.amdhsa_kernarg_size 80
		.amdhsa_user_sgpr_count 6
		.amdhsa_user_sgpr_private_segment_buffer 1
		.amdhsa_user_sgpr_dispatch_ptr 0
		.amdhsa_user_sgpr_queue_ptr 0
		.amdhsa_user_sgpr_kernarg_segment_ptr 1
		.amdhsa_user_sgpr_dispatch_id 0
		.amdhsa_user_sgpr_flat_scratch_init 0
		.amdhsa_user_sgpr_kernarg_preload_length 0
		.amdhsa_user_sgpr_kernarg_preload_offset 0
		.amdhsa_user_sgpr_private_segment_size 0
		.amdhsa_uses_dynamic_stack 0
		.amdhsa_system_sgpr_private_segment_wavefront_offset 0
		.amdhsa_system_sgpr_workgroup_id_x 1
		.amdhsa_system_sgpr_workgroup_id_y 0
		.amdhsa_system_sgpr_workgroup_id_z 0
		.amdhsa_system_sgpr_workgroup_info 0
		.amdhsa_system_vgpr_workitem_id 0
		.amdhsa_next_free_vgpr 1
		.amdhsa_next_free_sgpr 0
		.amdhsa_accum_offset 4
		.amdhsa_reserve_vcc 0
		.amdhsa_reserve_flat_scratch 0
		.amdhsa_float_round_mode_32 0
		.amdhsa_float_round_mode_16_64 0
		.amdhsa_float_denorm_mode_32 3
		.amdhsa_float_denorm_mode_16_64 3
		.amdhsa_dx10_clamp 1
		.amdhsa_ieee_mode 1
		.amdhsa_fp16_overflow 0
		.amdhsa_tg_split 0
		.amdhsa_exception_fp_ieee_invalid_op 0
		.amdhsa_exception_fp_denorm_src 0
		.amdhsa_exception_fp_ieee_div_zero 0
		.amdhsa_exception_fp_ieee_overflow 0
		.amdhsa_exception_fp_ieee_underflow 0
		.amdhsa_exception_fp_ieee_inexact 0
		.amdhsa_exception_int_div_zero 0
	.end_amdhsa_kernel
	.section	.text._ZN7rocprim17ROCPRIM_400000_NS6detail17trampoline_kernelINS0_14default_configENS1_36segmented_radix_sort_config_selectorIalEEZNS1_25segmented_radix_sort_implIS3_Lb1EPKaPaPKlPlN2at6native12_GLOBAL__N_18offset_tEEE10hipError_tPvRmT1_PNSt15iterator_traitsISK_E10value_typeET2_T3_PNSL_ISQ_E10value_typeET4_jRbjT5_SW_jjP12ihipStream_tbEUlT_E2_NS1_11comp_targetILNS1_3genE3ELNS1_11target_archE908ELNS1_3gpuE7ELNS1_3repE0EEENS1_30default_config_static_selectorELNS0_4arch9wavefront6targetE1EEEvSK_,"axG",@progbits,_ZN7rocprim17ROCPRIM_400000_NS6detail17trampoline_kernelINS0_14default_configENS1_36segmented_radix_sort_config_selectorIalEEZNS1_25segmented_radix_sort_implIS3_Lb1EPKaPaPKlPlN2at6native12_GLOBAL__N_18offset_tEEE10hipError_tPvRmT1_PNSt15iterator_traitsISK_E10value_typeET2_T3_PNSL_ISQ_E10value_typeET4_jRbjT5_SW_jjP12ihipStream_tbEUlT_E2_NS1_11comp_targetILNS1_3genE3ELNS1_11target_archE908ELNS1_3gpuE7ELNS1_3repE0EEENS1_30default_config_static_selectorELNS0_4arch9wavefront6targetE1EEEvSK_,comdat
.Lfunc_end323:
	.size	_ZN7rocprim17ROCPRIM_400000_NS6detail17trampoline_kernelINS0_14default_configENS1_36segmented_radix_sort_config_selectorIalEEZNS1_25segmented_radix_sort_implIS3_Lb1EPKaPaPKlPlN2at6native12_GLOBAL__N_18offset_tEEE10hipError_tPvRmT1_PNSt15iterator_traitsISK_E10value_typeET2_T3_PNSL_ISQ_E10value_typeET4_jRbjT5_SW_jjP12ihipStream_tbEUlT_E2_NS1_11comp_targetILNS1_3genE3ELNS1_11target_archE908ELNS1_3gpuE7ELNS1_3repE0EEENS1_30default_config_static_selectorELNS0_4arch9wavefront6targetE1EEEvSK_, .Lfunc_end323-_ZN7rocprim17ROCPRIM_400000_NS6detail17trampoline_kernelINS0_14default_configENS1_36segmented_radix_sort_config_selectorIalEEZNS1_25segmented_radix_sort_implIS3_Lb1EPKaPaPKlPlN2at6native12_GLOBAL__N_18offset_tEEE10hipError_tPvRmT1_PNSt15iterator_traitsISK_E10value_typeET2_T3_PNSL_ISQ_E10value_typeET4_jRbjT5_SW_jjP12ihipStream_tbEUlT_E2_NS1_11comp_targetILNS1_3genE3ELNS1_11target_archE908ELNS1_3gpuE7ELNS1_3repE0EEENS1_30default_config_static_selectorELNS0_4arch9wavefront6targetE1EEEvSK_
                                        ; -- End function
	.section	.AMDGPU.csdata,"",@progbits
; Kernel info:
; codeLenInByte = 0
; NumSgprs: 4
; NumVgprs: 0
; NumAgprs: 0
; TotalNumVgprs: 0
; ScratchSize: 0
; MemoryBound: 0
; FloatMode: 240
; IeeeMode: 1
; LDSByteSize: 0 bytes/workgroup (compile time only)
; SGPRBlocks: 0
; VGPRBlocks: 0
; NumSGPRsForWavesPerEU: 4
; NumVGPRsForWavesPerEU: 1
; AccumOffset: 4
; Occupancy: 8
; WaveLimiterHint : 0
; COMPUTE_PGM_RSRC2:SCRATCH_EN: 0
; COMPUTE_PGM_RSRC2:USER_SGPR: 6
; COMPUTE_PGM_RSRC2:TRAP_HANDLER: 0
; COMPUTE_PGM_RSRC2:TGID_X_EN: 1
; COMPUTE_PGM_RSRC2:TGID_Y_EN: 0
; COMPUTE_PGM_RSRC2:TGID_Z_EN: 0
; COMPUTE_PGM_RSRC2:TIDIG_COMP_CNT: 0
; COMPUTE_PGM_RSRC3_GFX90A:ACCUM_OFFSET: 0
; COMPUTE_PGM_RSRC3_GFX90A:TG_SPLIT: 0
	.section	.text._ZN7rocprim17ROCPRIM_400000_NS6detail17trampoline_kernelINS0_14default_configENS1_36segmented_radix_sort_config_selectorIalEEZNS1_25segmented_radix_sort_implIS3_Lb1EPKaPaPKlPlN2at6native12_GLOBAL__N_18offset_tEEE10hipError_tPvRmT1_PNSt15iterator_traitsISK_E10value_typeET2_T3_PNSL_ISQ_E10value_typeET4_jRbjT5_SW_jjP12ihipStream_tbEUlT_E2_NS1_11comp_targetILNS1_3genE2ELNS1_11target_archE906ELNS1_3gpuE6ELNS1_3repE0EEENS1_30default_config_static_selectorELNS0_4arch9wavefront6targetE1EEEvSK_,"axG",@progbits,_ZN7rocprim17ROCPRIM_400000_NS6detail17trampoline_kernelINS0_14default_configENS1_36segmented_radix_sort_config_selectorIalEEZNS1_25segmented_radix_sort_implIS3_Lb1EPKaPaPKlPlN2at6native12_GLOBAL__N_18offset_tEEE10hipError_tPvRmT1_PNSt15iterator_traitsISK_E10value_typeET2_T3_PNSL_ISQ_E10value_typeET4_jRbjT5_SW_jjP12ihipStream_tbEUlT_E2_NS1_11comp_targetILNS1_3genE2ELNS1_11target_archE906ELNS1_3gpuE6ELNS1_3repE0EEENS1_30default_config_static_selectorELNS0_4arch9wavefront6targetE1EEEvSK_,comdat
	.globl	_ZN7rocprim17ROCPRIM_400000_NS6detail17trampoline_kernelINS0_14default_configENS1_36segmented_radix_sort_config_selectorIalEEZNS1_25segmented_radix_sort_implIS3_Lb1EPKaPaPKlPlN2at6native12_GLOBAL__N_18offset_tEEE10hipError_tPvRmT1_PNSt15iterator_traitsISK_E10value_typeET2_T3_PNSL_ISQ_E10value_typeET4_jRbjT5_SW_jjP12ihipStream_tbEUlT_E2_NS1_11comp_targetILNS1_3genE2ELNS1_11target_archE906ELNS1_3gpuE6ELNS1_3repE0EEENS1_30default_config_static_selectorELNS0_4arch9wavefront6targetE1EEEvSK_ ; -- Begin function _ZN7rocprim17ROCPRIM_400000_NS6detail17trampoline_kernelINS0_14default_configENS1_36segmented_radix_sort_config_selectorIalEEZNS1_25segmented_radix_sort_implIS3_Lb1EPKaPaPKlPlN2at6native12_GLOBAL__N_18offset_tEEE10hipError_tPvRmT1_PNSt15iterator_traitsISK_E10value_typeET2_T3_PNSL_ISQ_E10value_typeET4_jRbjT5_SW_jjP12ihipStream_tbEUlT_E2_NS1_11comp_targetILNS1_3genE2ELNS1_11target_archE906ELNS1_3gpuE6ELNS1_3repE0EEENS1_30default_config_static_selectorELNS0_4arch9wavefront6targetE1EEEvSK_
	.p2align	8
	.type	_ZN7rocprim17ROCPRIM_400000_NS6detail17trampoline_kernelINS0_14default_configENS1_36segmented_radix_sort_config_selectorIalEEZNS1_25segmented_radix_sort_implIS3_Lb1EPKaPaPKlPlN2at6native12_GLOBAL__N_18offset_tEEE10hipError_tPvRmT1_PNSt15iterator_traitsISK_E10value_typeET2_T3_PNSL_ISQ_E10value_typeET4_jRbjT5_SW_jjP12ihipStream_tbEUlT_E2_NS1_11comp_targetILNS1_3genE2ELNS1_11target_archE906ELNS1_3gpuE6ELNS1_3repE0EEENS1_30default_config_static_selectorELNS0_4arch9wavefront6targetE1EEEvSK_,@function
_ZN7rocprim17ROCPRIM_400000_NS6detail17trampoline_kernelINS0_14default_configENS1_36segmented_radix_sort_config_selectorIalEEZNS1_25segmented_radix_sort_implIS3_Lb1EPKaPaPKlPlN2at6native12_GLOBAL__N_18offset_tEEE10hipError_tPvRmT1_PNSt15iterator_traitsISK_E10value_typeET2_T3_PNSL_ISQ_E10value_typeET4_jRbjT5_SW_jjP12ihipStream_tbEUlT_E2_NS1_11comp_targetILNS1_3genE2ELNS1_11target_archE906ELNS1_3gpuE6ELNS1_3repE0EEENS1_30default_config_static_selectorELNS0_4arch9wavefront6targetE1EEEvSK_: ; @_ZN7rocprim17ROCPRIM_400000_NS6detail17trampoline_kernelINS0_14default_configENS1_36segmented_radix_sort_config_selectorIalEEZNS1_25segmented_radix_sort_implIS3_Lb1EPKaPaPKlPlN2at6native12_GLOBAL__N_18offset_tEEE10hipError_tPvRmT1_PNSt15iterator_traitsISK_E10value_typeET2_T3_PNSL_ISQ_E10value_typeET4_jRbjT5_SW_jjP12ihipStream_tbEUlT_E2_NS1_11comp_targetILNS1_3genE2ELNS1_11target_archE906ELNS1_3gpuE6ELNS1_3repE0EEENS1_30default_config_static_selectorELNS0_4arch9wavefront6targetE1EEEvSK_
; %bb.0:
	.section	.rodata,"a",@progbits
	.p2align	6, 0x0
	.amdhsa_kernel _ZN7rocprim17ROCPRIM_400000_NS6detail17trampoline_kernelINS0_14default_configENS1_36segmented_radix_sort_config_selectorIalEEZNS1_25segmented_radix_sort_implIS3_Lb1EPKaPaPKlPlN2at6native12_GLOBAL__N_18offset_tEEE10hipError_tPvRmT1_PNSt15iterator_traitsISK_E10value_typeET2_T3_PNSL_ISQ_E10value_typeET4_jRbjT5_SW_jjP12ihipStream_tbEUlT_E2_NS1_11comp_targetILNS1_3genE2ELNS1_11target_archE906ELNS1_3gpuE6ELNS1_3repE0EEENS1_30default_config_static_selectorELNS0_4arch9wavefront6targetE1EEEvSK_
		.amdhsa_group_segment_fixed_size 0
		.amdhsa_private_segment_fixed_size 0
		.amdhsa_kernarg_size 80
		.amdhsa_user_sgpr_count 6
		.amdhsa_user_sgpr_private_segment_buffer 1
		.amdhsa_user_sgpr_dispatch_ptr 0
		.amdhsa_user_sgpr_queue_ptr 0
		.amdhsa_user_sgpr_kernarg_segment_ptr 1
		.amdhsa_user_sgpr_dispatch_id 0
		.amdhsa_user_sgpr_flat_scratch_init 0
		.amdhsa_user_sgpr_kernarg_preload_length 0
		.amdhsa_user_sgpr_kernarg_preload_offset 0
		.amdhsa_user_sgpr_private_segment_size 0
		.amdhsa_uses_dynamic_stack 0
		.amdhsa_system_sgpr_private_segment_wavefront_offset 0
		.amdhsa_system_sgpr_workgroup_id_x 1
		.amdhsa_system_sgpr_workgroup_id_y 0
		.amdhsa_system_sgpr_workgroup_id_z 0
		.amdhsa_system_sgpr_workgroup_info 0
		.amdhsa_system_vgpr_workitem_id 0
		.amdhsa_next_free_vgpr 1
		.amdhsa_next_free_sgpr 0
		.amdhsa_accum_offset 4
		.amdhsa_reserve_vcc 0
		.amdhsa_reserve_flat_scratch 0
		.amdhsa_float_round_mode_32 0
		.amdhsa_float_round_mode_16_64 0
		.amdhsa_float_denorm_mode_32 3
		.amdhsa_float_denorm_mode_16_64 3
		.amdhsa_dx10_clamp 1
		.amdhsa_ieee_mode 1
		.amdhsa_fp16_overflow 0
		.amdhsa_tg_split 0
		.amdhsa_exception_fp_ieee_invalid_op 0
		.amdhsa_exception_fp_denorm_src 0
		.amdhsa_exception_fp_ieee_div_zero 0
		.amdhsa_exception_fp_ieee_overflow 0
		.amdhsa_exception_fp_ieee_underflow 0
		.amdhsa_exception_fp_ieee_inexact 0
		.amdhsa_exception_int_div_zero 0
	.end_amdhsa_kernel
	.section	.text._ZN7rocprim17ROCPRIM_400000_NS6detail17trampoline_kernelINS0_14default_configENS1_36segmented_radix_sort_config_selectorIalEEZNS1_25segmented_radix_sort_implIS3_Lb1EPKaPaPKlPlN2at6native12_GLOBAL__N_18offset_tEEE10hipError_tPvRmT1_PNSt15iterator_traitsISK_E10value_typeET2_T3_PNSL_ISQ_E10value_typeET4_jRbjT5_SW_jjP12ihipStream_tbEUlT_E2_NS1_11comp_targetILNS1_3genE2ELNS1_11target_archE906ELNS1_3gpuE6ELNS1_3repE0EEENS1_30default_config_static_selectorELNS0_4arch9wavefront6targetE1EEEvSK_,"axG",@progbits,_ZN7rocprim17ROCPRIM_400000_NS6detail17trampoline_kernelINS0_14default_configENS1_36segmented_radix_sort_config_selectorIalEEZNS1_25segmented_radix_sort_implIS3_Lb1EPKaPaPKlPlN2at6native12_GLOBAL__N_18offset_tEEE10hipError_tPvRmT1_PNSt15iterator_traitsISK_E10value_typeET2_T3_PNSL_ISQ_E10value_typeET4_jRbjT5_SW_jjP12ihipStream_tbEUlT_E2_NS1_11comp_targetILNS1_3genE2ELNS1_11target_archE906ELNS1_3gpuE6ELNS1_3repE0EEENS1_30default_config_static_selectorELNS0_4arch9wavefront6targetE1EEEvSK_,comdat
.Lfunc_end324:
	.size	_ZN7rocprim17ROCPRIM_400000_NS6detail17trampoline_kernelINS0_14default_configENS1_36segmented_radix_sort_config_selectorIalEEZNS1_25segmented_radix_sort_implIS3_Lb1EPKaPaPKlPlN2at6native12_GLOBAL__N_18offset_tEEE10hipError_tPvRmT1_PNSt15iterator_traitsISK_E10value_typeET2_T3_PNSL_ISQ_E10value_typeET4_jRbjT5_SW_jjP12ihipStream_tbEUlT_E2_NS1_11comp_targetILNS1_3genE2ELNS1_11target_archE906ELNS1_3gpuE6ELNS1_3repE0EEENS1_30default_config_static_selectorELNS0_4arch9wavefront6targetE1EEEvSK_, .Lfunc_end324-_ZN7rocprim17ROCPRIM_400000_NS6detail17trampoline_kernelINS0_14default_configENS1_36segmented_radix_sort_config_selectorIalEEZNS1_25segmented_radix_sort_implIS3_Lb1EPKaPaPKlPlN2at6native12_GLOBAL__N_18offset_tEEE10hipError_tPvRmT1_PNSt15iterator_traitsISK_E10value_typeET2_T3_PNSL_ISQ_E10value_typeET4_jRbjT5_SW_jjP12ihipStream_tbEUlT_E2_NS1_11comp_targetILNS1_3genE2ELNS1_11target_archE906ELNS1_3gpuE6ELNS1_3repE0EEENS1_30default_config_static_selectorELNS0_4arch9wavefront6targetE1EEEvSK_
                                        ; -- End function
	.section	.AMDGPU.csdata,"",@progbits
; Kernel info:
; codeLenInByte = 0
; NumSgprs: 4
; NumVgprs: 0
; NumAgprs: 0
; TotalNumVgprs: 0
; ScratchSize: 0
; MemoryBound: 0
; FloatMode: 240
; IeeeMode: 1
; LDSByteSize: 0 bytes/workgroup (compile time only)
; SGPRBlocks: 0
; VGPRBlocks: 0
; NumSGPRsForWavesPerEU: 4
; NumVGPRsForWavesPerEU: 1
; AccumOffset: 4
; Occupancy: 8
; WaveLimiterHint : 0
; COMPUTE_PGM_RSRC2:SCRATCH_EN: 0
; COMPUTE_PGM_RSRC2:USER_SGPR: 6
; COMPUTE_PGM_RSRC2:TRAP_HANDLER: 0
; COMPUTE_PGM_RSRC2:TGID_X_EN: 1
; COMPUTE_PGM_RSRC2:TGID_Y_EN: 0
; COMPUTE_PGM_RSRC2:TGID_Z_EN: 0
; COMPUTE_PGM_RSRC2:TIDIG_COMP_CNT: 0
; COMPUTE_PGM_RSRC3_GFX90A:ACCUM_OFFSET: 0
; COMPUTE_PGM_RSRC3_GFX90A:TG_SPLIT: 0
	.section	.text._ZN7rocprim17ROCPRIM_400000_NS6detail17trampoline_kernelINS0_14default_configENS1_36segmented_radix_sort_config_selectorIalEEZNS1_25segmented_radix_sort_implIS3_Lb1EPKaPaPKlPlN2at6native12_GLOBAL__N_18offset_tEEE10hipError_tPvRmT1_PNSt15iterator_traitsISK_E10value_typeET2_T3_PNSL_ISQ_E10value_typeET4_jRbjT5_SW_jjP12ihipStream_tbEUlT_E2_NS1_11comp_targetILNS1_3genE10ELNS1_11target_archE1201ELNS1_3gpuE5ELNS1_3repE0EEENS1_30default_config_static_selectorELNS0_4arch9wavefront6targetE1EEEvSK_,"axG",@progbits,_ZN7rocprim17ROCPRIM_400000_NS6detail17trampoline_kernelINS0_14default_configENS1_36segmented_radix_sort_config_selectorIalEEZNS1_25segmented_radix_sort_implIS3_Lb1EPKaPaPKlPlN2at6native12_GLOBAL__N_18offset_tEEE10hipError_tPvRmT1_PNSt15iterator_traitsISK_E10value_typeET2_T3_PNSL_ISQ_E10value_typeET4_jRbjT5_SW_jjP12ihipStream_tbEUlT_E2_NS1_11comp_targetILNS1_3genE10ELNS1_11target_archE1201ELNS1_3gpuE5ELNS1_3repE0EEENS1_30default_config_static_selectorELNS0_4arch9wavefront6targetE1EEEvSK_,comdat
	.globl	_ZN7rocprim17ROCPRIM_400000_NS6detail17trampoline_kernelINS0_14default_configENS1_36segmented_radix_sort_config_selectorIalEEZNS1_25segmented_radix_sort_implIS3_Lb1EPKaPaPKlPlN2at6native12_GLOBAL__N_18offset_tEEE10hipError_tPvRmT1_PNSt15iterator_traitsISK_E10value_typeET2_T3_PNSL_ISQ_E10value_typeET4_jRbjT5_SW_jjP12ihipStream_tbEUlT_E2_NS1_11comp_targetILNS1_3genE10ELNS1_11target_archE1201ELNS1_3gpuE5ELNS1_3repE0EEENS1_30default_config_static_selectorELNS0_4arch9wavefront6targetE1EEEvSK_ ; -- Begin function _ZN7rocprim17ROCPRIM_400000_NS6detail17trampoline_kernelINS0_14default_configENS1_36segmented_radix_sort_config_selectorIalEEZNS1_25segmented_radix_sort_implIS3_Lb1EPKaPaPKlPlN2at6native12_GLOBAL__N_18offset_tEEE10hipError_tPvRmT1_PNSt15iterator_traitsISK_E10value_typeET2_T3_PNSL_ISQ_E10value_typeET4_jRbjT5_SW_jjP12ihipStream_tbEUlT_E2_NS1_11comp_targetILNS1_3genE10ELNS1_11target_archE1201ELNS1_3gpuE5ELNS1_3repE0EEENS1_30default_config_static_selectorELNS0_4arch9wavefront6targetE1EEEvSK_
	.p2align	8
	.type	_ZN7rocprim17ROCPRIM_400000_NS6detail17trampoline_kernelINS0_14default_configENS1_36segmented_radix_sort_config_selectorIalEEZNS1_25segmented_radix_sort_implIS3_Lb1EPKaPaPKlPlN2at6native12_GLOBAL__N_18offset_tEEE10hipError_tPvRmT1_PNSt15iterator_traitsISK_E10value_typeET2_T3_PNSL_ISQ_E10value_typeET4_jRbjT5_SW_jjP12ihipStream_tbEUlT_E2_NS1_11comp_targetILNS1_3genE10ELNS1_11target_archE1201ELNS1_3gpuE5ELNS1_3repE0EEENS1_30default_config_static_selectorELNS0_4arch9wavefront6targetE1EEEvSK_,@function
_ZN7rocprim17ROCPRIM_400000_NS6detail17trampoline_kernelINS0_14default_configENS1_36segmented_radix_sort_config_selectorIalEEZNS1_25segmented_radix_sort_implIS3_Lb1EPKaPaPKlPlN2at6native12_GLOBAL__N_18offset_tEEE10hipError_tPvRmT1_PNSt15iterator_traitsISK_E10value_typeET2_T3_PNSL_ISQ_E10value_typeET4_jRbjT5_SW_jjP12ihipStream_tbEUlT_E2_NS1_11comp_targetILNS1_3genE10ELNS1_11target_archE1201ELNS1_3gpuE5ELNS1_3repE0EEENS1_30default_config_static_selectorELNS0_4arch9wavefront6targetE1EEEvSK_: ; @_ZN7rocprim17ROCPRIM_400000_NS6detail17trampoline_kernelINS0_14default_configENS1_36segmented_radix_sort_config_selectorIalEEZNS1_25segmented_radix_sort_implIS3_Lb1EPKaPaPKlPlN2at6native12_GLOBAL__N_18offset_tEEE10hipError_tPvRmT1_PNSt15iterator_traitsISK_E10value_typeET2_T3_PNSL_ISQ_E10value_typeET4_jRbjT5_SW_jjP12ihipStream_tbEUlT_E2_NS1_11comp_targetILNS1_3genE10ELNS1_11target_archE1201ELNS1_3gpuE5ELNS1_3repE0EEENS1_30default_config_static_selectorELNS0_4arch9wavefront6targetE1EEEvSK_
; %bb.0:
	.section	.rodata,"a",@progbits
	.p2align	6, 0x0
	.amdhsa_kernel _ZN7rocprim17ROCPRIM_400000_NS6detail17trampoline_kernelINS0_14default_configENS1_36segmented_radix_sort_config_selectorIalEEZNS1_25segmented_radix_sort_implIS3_Lb1EPKaPaPKlPlN2at6native12_GLOBAL__N_18offset_tEEE10hipError_tPvRmT1_PNSt15iterator_traitsISK_E10value_typeET2_T3_PNSL_ISQ_E10value_typeET4_jRbjT5_SW_jjP12ihipStream_tbEUlT_E2_NS1_11comp_targetILNS1_3genE10ELNS1_11target_archE1201ELNS1_3gpuE5ELNS1_3repE0EEENS1_30default_config_static_selectorELNS0_4arch9wavefront6targetE1EEEvSK_
		.amdhsa_group_segment_fixed_size 0
		.amdhsa_private_segment_fixed_size 0
		.amdhsa_kernarg_size 80
		.amdhsa_user_sgpr_count 6
		.amdhsa_user_sgpr_private_segment_buffer 1
		.amdhsa_user_sgpr_dispatch_ptr 0
		.amdhsa_user_sgpr_queue_ptr 0
		.amdhsa_user_sgpr_kernarg_segment_ptr 1
		.amdhsa_user_sgpr_dispatch_id 0
		.amdhsa_user_sgpr_flat_scratch_init 0
		.amdhsa_user_sgpr_kernarg_preload_length 0
		.amdhsa_user_sgpr_kernarg_preload_offset 0
		.amdhsa_user_sgpr_private_segment_size 0
		.amdhsa_uses_dynamic_stack 0
		.amdhsa_system_sgpr_private_segment_wavefront_offset 0
		.amdhsa_system_sgpr_workgroup_id_x 1
		.amdhsa_system_sgpr_workgroup_id_y 0
		.amdhsa_system_sgpr_workgroup_id_z 0
		.amdhsa_system_sgpr_workgroup_info 0
		.amdhsa_system_vgpr_workitem_id 0
		.amdhsa_next_free_vgpr 1
		.amdhsa_next_free_sgpr 0
		.amdhsa_accum_offset 4
		.amdhsa_reserve_vcc 0
		.amdhsa_reserve_flat_scratch 0
		.amdhsa_float_round_mode_32 0
		.amdhsa_float_round_mode_16_64 0
		.amdhsa_float_denorm_mode_32 3
		.amdhsa_float_denorm_mode_16_64 3
		.amdhsa_dx10_clamp 1
		.amdhsa_ieee_mode 1
		.amdhsa_fp16_overflow 0
		.amdhsa_tg_split 0
		.amdhsa_exception_fp_ieee_invalid_op 0
		.amdhsa_exception_fp_denorm_src 0
		.amdhsa_exception_fp_ieee_div_zero 0
		.amdhsa_exception_fp_ieee_overflow 0
		.amdhsa_exception_fp_ieee_underflow 0
		.amdhsa_exception_fp_ieee_inexact 0
		.amdhsa_exception_int_div_zero 0
	.end_amdhsa_kernel
	.section	.text._ZN7rocprim17ROCPRIM_400000_NS6detail17trampoline_kernelINS0_14default_configENS1_36segmented_radix_sort_config_selectorIalEEZNS1_25segmented_radix_sort_implIS3_Lb1EPKaPaPKlPlN2at6native12_GLOBAL__N_18offset_tEEE10hipError_tPvRmT1_PNSt15iterator_traitsISK_E10value_typeET2_T3_PNSL_ISQ_E10value_typeET4_jRbjT5_SW_jjP12ihipStream_tbEUlT_E2_NS1_11comp_targetILNS1_3genE10ELNS1_11target_archE1201ELNS1_3gpuE5ELNS1_3repE0EEENS1_30default_config_static_selectorELNS0_4arch9wavefront6targetE1EEEvSK_,"axG",@progbits,_ZN7rocprim17ROCPRIM_400000_NS6detail17trampoline_kernelINS0_14default_configENS1_36segmented_radix_sort_config_selectorIalEEZNS1_25segmented_radix_sort_implIS3_Lb1EPKaPaPKlPlN2at6native12_GLOBAL__N_18offset_tEEE10hipError_tPvRmT1_PNSt15iterator_traitsISK_E10value_typeET2_T3_PNSL_ISQ_E10value_typeET4_jRbjT5_SW_jjP12ihipStream_tbEUlT_E2_NS1_11comp_targetILNS1_3genE10ELNS1_11target_archE1201ELNS1_3gpuE5ELNS1_3repE0EEENS1_30default_config_static_selectorELNS0_4arch9wavefront6targetE1EEEvSK_,comdat
.Lfunc_end325:
	.size	_ZN7rocprim17ROCPRIM_400000_NS6detail17trampoline_kernelINS0_14default_configENS1_36segmented_radix_sort_config_selectorIalEEZNS1_25segmented_radix_sort_implIS3_Lb1EPKaPaPKlPlN2at6native12_GLOBAL__N_18offset_tEEE10hipError_tPvRmT1_PNSt15iterator_traitsISK_E10value_typeET2_T3_PNSL_ISQ_E10value_typeET4_jRbjT5_SW_jjP12ihipStream_tbEUlT_E2_NS1_11comp_targetILNS1_3genE10ELNS1_11target_archE1201ELNS1_3gpuE5ELNS1_3repE0EEENS1_30default_config_static_selectorELNS0_4arch9wavefront6targetE1EEEvSK_, .Lfunc_end325-_ZN7rocprim17ROCPRIM_400000_NS6detail17trampoline_kernelINS0_14default_configENS1_36segmented_radix_sort_config_selectorIalEEZNS1_25segmented_radix_sort_implIS3_Lb1EPKaPaPKlPlN2at6native12_GLOBAL__N_18offset_tEEE10hipError_tPvRmT1_PNSt15iterator_traitsISK_E10value_typeET2_T3_PNSL_ISQ_E10value_typeET4_jRbjT5_SW_jjP12ihipStream_tbEUlT_E2_NS1_11comp_targetILNS1_3genE10ELNS1_11target_archE1201ELNS1_3gpuE5ELNS1_3repE0EEENS1_30default_config_static_selectorELNS0_4arch9wavefront6targetE1EEEvSK_
                                        ; -- End function
	.section	.AMDGPU.csdata,"",@progbits
; Kernel info:
; codeLenInByte = 0
; NumSgprs: 4
; NumVgprs: 0
; NumAgprs: 0
; TotalNumVgprs: 0
; ScratchSize: 0
; MemoryBound: 0
; FloatMode: 240
; IeeeMode: 1
; LDSByteSize: 0 bytes/workgroup (compile time only)
; SGPRBlocks: 0
; VGPRBlocks: 0
; NumSGPRsForWavesPerEU: 4
; NumVGPRsForWavesPerEU: 1
; AccumOffset: 4
; Occupancy: 8
; WaveLimiterHint : 0
; COMPUTE_PGM_RSRC2:SCRATCH_EN: 0
; COMPUTE_PGM_RSRC2:USER_SGPR: 6
; COMPUTE_PGM_RSRC2:TRAP_HANDLER: 0
; COMPUTE_PGM_RSRC2:TGID_X_EN: 1
; COMPUTE_PGM_RSRC2:TGID_Y_EN: 0
; COMPUTE_PGM_RSRC2:TGID_Z_EN: 0
; COMPUTE_PGM_RSRC2:TIDIG_COMP_CNT: 0
; COMPUTE_PGM_RSRC3_GFX90A:ACCUM_OFFSET: 0
; COMPUTE_PGM_RSRC3_GFX90A:TG_SPLIT: 0
	.section	.text._ZN7rocprim17ROCPRIM_400000_NS6detail17trampoline_kernelINS0_14default_configENS1_36segmented_radix_sort_config_selectorIalEEZNS1_25segmented_radix_sort_implIS3_Lb1EPKaPaPKlPlN2at6native12_GLOBAL__N_18offset_tEEE10hipError_tPvRmT1_PNSt15iterator_traitsISK_E10value_typeET2_T3_PNSL_ISQ_E10value_typeET4_jRbjT5_SW_jjP12ihipStream_tbEUlT_E2_NS1_11comp_targetILNS1_3genE10ELNS1_11target_archE1200ELNS1_3gpuE4ELNS1_3repE0EEENS1_30default_config_static_selectorELNS0_4arch9wavefront6targetE1EEEvSK_,"axG",@progbits,_ZN7rocprim17ROCPRIM_400000_NS6detail17trampoline_kernelINS0_14default_configENS1_36segmented_radix_sort_config_selectorIalEEZNS1_25segmented_radix_sort_implIS3_Lb1EPKaPaPKlPlN2at6native12_GLOBAL__N_18offset_tEEE10hipError_tPvRmT1_PNSt15iterator_traitsISK_E10value_typeET2_T3_PNSL_ISQ_E10value_typeET4_jRbjT5_SW_jjP12ihipStream_tbEUlT_E2_NS1_11comp_targetILNS1_3genE10ELNS1_11target_archE1200ELNS1_3gpuE4ELNS1_3repE0EEENS1_30default_config_static_selectorELNS0_4arch9wavefront6targetE1EEEvSK_,comdat
	.globl	_ZN7rocprim17ROCPRIM_400000_NS6detail17trampoline_kernelINS0_14default_configENS1_36segmented_radix_sort_config_selectorIalEEZNS1_25segmented_radix_sort_implIS3_Lb1EPKaPaPKlPlN2at6native12_GLOBAL__N_18offset_tEEE10hipError_tPvRmT1_PNSt15iterator_traitsISK_E10value_typeET2_T3_PNSL_ISQ_E10value_typeET4_jRbjT5_SW_jjP12ihipStream_tbEUlT_E2_NS1_11comp_targetILNS1_3genE10ELNS1_11target_archE1200ELNS1_3gpuE4ELNS1_3repE0EEENS1_30default_config_static_selectorELNS0_4arch9wavefront6targetE1EEEvSK_ ; -- Begin function _ZN7rocprim17ROCPRIM_400000_NS6detail17trampoline_kernelINS0_14default_configENS1_36segmented_radix_sort_config_selectorIalEEZNS1_25segmented_radix_sort_implIS3_Lb1EPKaPaPKlPlN2at6native12_GLOBAL__N_18offset_tEEE10hipError_tPvRmT1_PNSt15iterator_traitsISK_E10value_typeET2_T3_PNSL_ISQ_E10value_typeET4_jRbjT5_SW_jjP12ihipStream_tbEUlT_E2_NS1_11comp_targetILNS1_3genE10ELNS1_11target_archE1200ELNS1_3gpuE4ELNS1_3repE0EEENS1_30default_config_static_selectorELNS0_4arch9wavefront6targetE1EEEvSK_
	.p2align	8
	.type	_ZN7rocprim17ROCPRIM_400000_NS6detail17trampoline_kernelINS0_14default_configENS1_36segmented_radix_sort_config_selectorIalEEZNS1_25segmented_radix_sort_implIS3_Lb1EPKaPaPKlPlN2at6native12_GLOBAL__N_18offset_tEEE10hipError_tPvRmT1_PNSt15iterator_traitsISK_E10value_typeET2_T3_PNSL_ISQ_E10value_typeET4_jRbjT5_SW_jjP12ihipStream_tbEUlT_E2_NS1_11comp_targetILNS1_3genE10ELNS1_11target_archE1200ELNS1_3gpuE4ELNS1_3repE0EEENS1_30default_config_static_selectorELNS0_4arch9wavefront6targetE1EEEvSK_,@function
_ZN7rocprim17ROCPRIM_400000_NS6detail17trampoline_kernelINS0_14default_configENS1_36segmented_radix_sort_config_selectorIalEEZNS1_25segmented_radix_sort_implIS3_Lb1EPKaPaPKlPlN2at6native12_GLOBAL__N_18offset_tEEE10hipError_tPvRmT1_PNSt15iterator_traitsISK_E10value_typeET2_T3_PNSL_ISQ_E10value_typeET4_jRbjT5_SW_jjP12ihipStream_tbEUlT_E2_NS1_11comp_targetILNS1_3genE10ELNS1_11target_archE1200ELNS1_3gpuE4ELNS1_3repE0EEENS1_30default_config_static_selectorELNS0_4arch9wavefront6targetE1EEEvSK_: ; @_ZN7rocprim17ROCPRIM_400000_NS6detail17trampoline_kernelINS0_14default_configENS1_36segmented_radix_sort_config_selectorIalEEZNS1_25segmented_radix_sort_implIS3_Lb1EPKaPaPKlPlN2at6native12_GLOBAL__N_18offset_tEEE10hipError_tPvRmT1_PNSt15iterator_traitsISK_E10value_typeET2_T3_PNSL_ISQ_E10value_typeET4_jRbjT5_SW_jjP12ihipStream_tbEUlT_E2_NS1_11comp_targetILNS1_3genE10ELNS1_11target_archE1200ELNS1_3gpuE4ELNS1_3repE0EEENS1_30default_config_static_selectorELNS0_4arch9wavefront6targetE1EEEvSK_
; %bb.0:
	.section	.rodata,"a",@progbits
	.p2align	6, 0x0
	.amdhsa_kernel _ZN7rocprim17ROCPRIM_400000_NS6detail17trampoline_kernelINS0_14default_configENS1_36segmented_radix_sort_config_selectorIalEEZNS1_25segmented_radix_sort_implIS3_Lb1EPKaPaPKlPlN2at6native12_GLOBAL__N_18offset_tEEE10hipError_tPvRmT1_PNSt15iterator_traitsISK_E10value_typeET2_T3_PNSL_ISQ_E10value_typeET4_jRbjT5_SW_jjP12ihipStream_tbEUlT_E2_NS1_11comp_targetILNS1_3genE10ELNS1_11target_archE1200ELNS1_3gpuE4ELNS1_3repE0EEENS1_30default_config_static_selectorELNS0_4arch9wavefront6targetE1EEEvSK_
		.amdhsa_group_segment_fixed_size 0
		.amdhsa_private_segment_fixed_size 0
		.amdhsa_kernarg_size 80
		.amdhsa_user_sgpr_count 6
		.amdhsa_user_sgpr_private_segment_buffer 1
		.amdhsa_user_sgpr_dispatch_ptr 0
		.amdhsa_user_sgpr_queue_ptr 0
		.amdhsa_user_sgpr_kernarg_segment_ptr 1
		.amdhsa_user_sgpr_dispatch_id 0
		.amdhsa_user_sgpr_flat_scratch_init 0
		.amdhsa_user_sgpr_kernarg_preload_length 0
		.amdhsa_user_sgpr_kernarg_preload_offset 0
		.amdhsa_user_sgpr_private_segment_size 0
		.amdhsa_uses_dynamic_stack 0
		.amdhsa_system_sgpr_private_segment_wavefront_offset 0
		.amdhsa_system_sgpr_workgroup_id_x 1
		.amdhsa_system_sgpr_workgroup_id_y 0
		.amdhsa_system_sgpr_workgroup_id_z 0
		.amdhsa_system_sgpr_workgroup_info 0
		.amdhsa_system_vgpr_workitem_id 0
		.amdhsa_next_free_vgpr 1
		.amdhsa_next_free_sgpr 0
		.amdhsa_accum_offset 4
		.amdhsa_reserve_vcc 0
		.amdhsa_reserve_flat_scratch 0
		.amdhsa_float_round_mode_32 0
		.amdhsa_float_round_mode_16_64 0
		.amdhsa_float_denorm_mode_32 3
		.amdhsa_float_denorm_mode_16_64 3
		.amdhsa_dx10_clamp 1
		.amdhsa_ieee_mode 1
		.amdhsa_fp16_overflow 0
		.amdhsa_tg_split 0
		.amdhsa_exception_fp_ieee_invalid_op 0
		.amdhsa_exception_fp_denorm_src 0
		.amdhsa_exception_fp_ieee_div_zero 0
		.amdhsa_exception_fp_ieee_overflow 0
		.amdhsa_exception_fp_ieee_underflow 0
		.amdhsa_exception_fp_ieee_inexact 0
		.amdhsa_exception_int_div_zero 0
	.end_amdhsa_kernel
	.section	.text._ZN7rocprim17ROCPRIM_400000_NS6detail17trampoline_kernelINS0_14default_configENS1_36segmented_radix_sort_config_selectorIalEEZNS1_25segmented_radix_sort_implIS3_Lb1EPKaPaPKlPlN2at6native12_GLOBAL__N_18offset_tEEE10hipError_tPvRmT1_PNSt15iterator_traitsISK_E10value_typeET2_T3_PNSL_ISQ_E10value_typeET4_jRbjT5_SW_jjP12ihipStream_tbEUlT_E2_NS1_11comp_targetILNS1_3genE10ELNS1_11target_archE1200ELNS1_3gpuE4ELNS1_3repE0EEENS1_30default_config_static_selectorELNS0_4arch9wavefront6targetE1EEEvSK_,"axG",@progbits,_ZN7rocprim17ROCPRIM_400000_NS6detail17trampoline_kernelINS0_14default_configENS1_36segmented_radix_sort_config_selectorIalEEZNS1_25segmented_radix_sort_implIS3_Lb1EPKaPaPKlPlN2at6native12_GLOBAL__N_18offset_tEEE10hipError_tPvRmT1_PNSt15iterator_traitsISK_E10value_typeET2_T3_PNSL_ISQ_E10value_typeET4_jRbjT5_SW_jjP12ihipStream_tbEUlT_E2_NS1_11comp_targetILNS1_3genE10ELNS1_11target_archE1200ELNS1_3gpuE4ELNS1_3repE0EEENS1_30default_config_static_selectorELNS0_4arch9wavefront6targetE1EEEvSK_,comdat
.Lfunc_end326:
	.size	_ZN7rocprim17ROCPRIM_400000_NS6detail17trampoline_kernelINS0_14default_configENS1_36segmented_radix_sort_config_selectorIalEEZNS1_25segmented_radix_sort_implIS3_Lb1EPKaPaPKlPlN2at6native12_GLOBAL__N_18offset_tEEE10hipError_tPvRmT1_PNSt15iterator_traitsISK_E10value_typeET2_T3_PNSL_ISQ_E10value_typeET4_jRbjT5_SW_jjP12ihipStream_tbEUlT_E2_NS1_11comp_targetILNS1_3genE10ELNS1_11target_archE1200ELNS1_3gpuE4ELNS1_3repE0EEENS1_30default_config_static_selectorELNS0_4arch9wavefront6targetE1EEEvSK_, .Lfunc_end326-_ZN7rocprim17ROCPRIM_400000_NS6detail17trampoline_kernelINS0_14default_configENS1_36segmented_radix_sort_config_selectorIalEEZNS1_25segmented_radix_sort_implIS3_Lb1EPKaPaPKlPlN2at6native12_GLOBAL__N_18offset_tEEE10hipError_tPvRmT1_PNSt15iterator_traitsISK_E10value_typeET2_T3_PNSL_ISQ_E10value_typeET4_jRbjT5_SW_jjP12ihipStream_tbEUlT_E2_NS1_11comp_targetILNS1_3genE10ELNS1_11target_archE1200ELNS1_3gpuE4ELNS1_3repE0EEENS1_30default_config_static_selectorELNS0_4arch9wavefront6targetE1EEEvSK_
                                        ; -- End function
	.section	.AMDGPU.csdata,"",@progbits
; Kernel info:
; codeLenInByte = 0
; NumSgprs: 4
; NumVgprs: 0
; NumAgprs: 0
; TotalNumVgprs: 0
; ScratchSize: 0
; MemoryBound: 0
; FloatMode: 240
; IeeeMode: 1
; LDSByteSize: 0 bytes/workgroup (compile time only)
; SGPRBlocks: 0
; VGPRBlocks: 0
; NumSGPRsForWavesPerEU: 4
; NumVGPRsForWavesPerEU: 1
; AccumOffset: 4
; Occupancy: 8
; WaveLimiterHint : 0
; COMPUTE_PGM_RSRC2:SCRATCH_EN: 0
; COMPUTE_PGM_RSRC2:USER_SGPR: 6
; COMPUTE_PGM_RSRC2:TRAP_HANDLER: 0
; COMPUTE_PGM_RSRC2:TGID_X_EN: 1
; COMPUTE_PGM_RSRC2:TGID_Y_EN: 0
; COMPUTE_PGM_RSRC2:TGID_Z_EN: 0
; COMPUTE_PGM_RSRC2:TIDIG_COMP_CNT: 0
; COMPUTE_PGM_RSRC3_GFX90A:ACCUM_OFFSET: 0
; COMPUTE_PGM_RSRC3_GFX90A:TG_SPLIT: 0
	.section	.text._ZN7rocprim17ROCPRIM_400000_NS6detail17trampoline_kernelINS0_14default_configENS1_36segmented_radix_sort_config_selectorIalEEZNS1_25segmented_radix_sort_implIS3_Lb1EPKaPaPKlPlN2at6native12_GLOBAL__N_18offset_tEEE10hipError_tPvRmT1_PNSt15iterator_traitsISK_E10value_typeET2_T3_PNSL_ISQ_E10value_typeET4_jRbjT5_SW_jjP12ihipStream_tbEUlT_E2_NS1_11comp_targetILNS1_3genE9ELNS1_11target_archE1100ELNS1_3gpuE3ELNS1_3repE0EEENS1_30default_config_static_selectorELNS0_4arch9wavefront6targetE1EEEvSK_,"axG",@progbits,_ZN7rocprim17ROCPRIM_400000_NS6detail17trampoline_kernelINS0_14default_configENS1_36segmented_radix_sort_config_selectorIalEEZNS1_25segmented_radix_sort_implIS3_Lb1EPKaPaPKlPlN2at6native12_GLOBAL__N_18offset_tEEE10hipError_tPvRmT1_PNSt15iterator_traitsISK_E10value_typeET2_T3_PNSL_ISQ_E10value_typeET4_jRbjT5_SW_jjP12ihipStream_tbEUlT_E2_NS1_11comp_targetILNS1_3genE9ELNS1_11target_archE1100ELNS1_3gpuE3ELNS1_3repE0EEENS1_30default_config_static_selectorELNS0_4arch9wavefront6targetE1EEEvSK_,comdat
	.globl	_ZN7rocprim17ROCPRIM_400000_NS6detail17trampoline_kernelINS0_14default_configENS1_36segmented_radix_sort_config_selectorIalEEZNS1_25segmented_radix_sort_implIS3_Lb1EPKaPaPKlPlN2at6native12_GLOBAL__N_18offset_tEEE10hipError_tPvRmT1_PNSt15iterator_traitsISK_E10value_typeET2_T3_PNSL_ISQ_E10value_typeET4_jRbjT5_SW_jjP12ihipStream_tbEUlT_E2_NS1_11comp_targetILNS1_3genE9ELNS1_11target_archE1100ELNS1_3gpuE3ELNS1_3repE0EEENS1_30default_config_static_selectorELNS0_4arch9wavefront6targetE1EEEvSK_ ; -- Begin function _ZN7rocprim17ROCPRIM_400000_NS6detail17trampoline_kernelINS0_14default_configENS1_36segmented_radix_sort_config_selectorIalEEZNS1_25segmented_radix_sort_implIS3_Lb1EPKaPaPKlPlN2at6native12_GLOBAL__N_18offset_tEEE10hipError_tPvRmT1_PNSt15iterator_traitsISK_E10value_typeET2_T3_PNSL_ISQ_E10value_typeET4_jRbjT5_SW_jjP12ihipStream_tbEUlT_E2_NS1_11comp_targetILNS1_3genE9ELNS1_11target_archE1100ELNS1_3gpuE3ELNS1_3repE0EEENS1_30default_config_static_selectorELNS0_4arch9wavefront6targetE1EEEvSK_
	.p2align	8
	.type	_ZN7rocprim17ROCPRIM_400000_NS6detail17trampoline_kernelINS0_14default_configENS1_36segmented_radix_sort_config_selectorIalEEZNS1_25segmented_radix_sort_implIS3_Lb1EPKaPaPKlPlN2at6native12_GLOBAL__N_18offset_tEEE10hipError_tPvRmT1_PNSt15iterator_traitsISK_E10value_typeET2_T3_PNSL_ISQ_E10value_typeET4_jRbjT5_SW_jjP12ihipStream_tbEUlT_E2_NS1_11comp_targetILNS1_3genE9ELNS1_11target_archE1100ELNS1_3gpuE3ELNS1_3repE0EEENS1_30default_config_static_selectorELNS0_4arch9wavefront6targetE1EEEvSK_,@function
_ZN7rocprim17ROCPRIM_400000_NS6detail17trampoline_kernelINS0_14default_configENS1_36segmented_radix_sort_config_selectorIalEEZNS1_25segmented_radix_sort_implIS3_Lb1EPKaPaPKlPlN2at6native12_GLOBAL__N_18offset_tEEE10hipError_tPvRmT1_PNSt15iterator_traitsISK_E10value_typeET2_T3_PNSL_ISQ_E10value_typeET4_jRbjT5_SW_jjP12ihipStream_tbEUlT_E2_NS1_11comp_targetILNS1_3genE9ELNS1_11target_archE1100ELNS1_3gpuE3ELNS1_3repE0EEENS1_30default_config_static_selectorELNS0_4arch9wavefront6targetE1EEEvSK_: ; @_ZN7rocprim17ROCPRIM_400000_NS6detail17trampoline_kernelINS0_14default_configENS1_36segmented_radix_sort_config_selectorIalEEZNS1_25segmented_radix_sort_implIS3_Lb1EPKaPaPKlPlN2at6native12_GLOBAL__N_18offset_tEEE10hipError_tPvRmT1_PNSt15iterator_traitsISK_E10value_typeET2_T3_PNSL_ISQ_E10value_typeET4_jRbjT5_SW_jjP12ihipStream_tbEUlT_E2_NS1_11comp_targetILNS1_3genE9ELNS1_11target_archE1100ELNS1_3gpuE3ELNS1_3repE0EEENS1_30default_config_static_selectorELNS0_4arch9wavefront6targetE1EEEvSK_
; %bb.0:
	.section	.rodata,"a",@progbits
	.p2align	6, 0x0
	.amdhsa_kernel _ZN7rocprim17ROCPRIM_400000_NS6detail17trampoline_kernelINS0_14default_configENS1_36segmented_radix_sort_config_selectorIalEEZNS1_25segmented_radix_sort_implIS3_Lb1EPKaPaPKlPlN2at6native12_GLOBAL__N_18offset_tEEE10hipError_tPvRmT1_PNSt15iterator_traitsISK_E10value_typeET2_T3_PNSL_ISQ_E10value_typeET4_jRbjT5_SW_jjP12ihipStream_tbEUlT_E2_NS1_11comp_targetILNS1_3genE9ELNS1_11target_archE1100ELNS1_3gpuE3ELNS1_3repE0EEENS1_30default_config_static_selectorELNS0_4arch9wavefront6targetE1EEEvSK_
		.amdhsa_group_segment_fixed_size 0
		.amdhsa_private_segment_fixed_size 0
		.amdhsa_kernarg_size 80
		.amdhsa_user_sgpr_count 6
		.amdhsa_user_sgpr_private_segment_buffer 1
		.amdhsa_user_sgpr_dispatch_ptr 0
		.amdhsa_user_sgpr_queue_ptr 0
		.amdhsa_user_sgpr_kernarg_segment_ptr 1
		.amdhsa_user_sgpr_dispatch_id 0
		.amdhsa_user_sgpr_flat_scratch_init 0
		.amdhsa_user_sgpr_kernarg_preload_length 0
		.amdhsa_user_sgpr_kernarg_preload_offset 0
		.amdhsa_user_sgpr_private_segment_size 0
		.amdhsa_uses_dynamic_stack 0
		.amdhsa_system_sgpr_private_segment_wavefront_offset 0
		.amdhsa_system_sgpr_workgroup_id_x 1
		.amdhsa_system_sgpr_workgroup_id_y 0
		.amdhsa_system_sgpr_workgroup_id_z 0
		.amdhsa_system_sgpr_workgroup_info 0
		.amdhsa_system_vgpr_workitem_id 0
		.amdhsa_next_free_vgpr 1
		.amdhsa_next_free_sgpr 0
		.amdhsa_accum_offset 4
		.amdhsa_reserve_vcc 0
		.amdhsa_reserve_flat_scratch 0
		.amdhsa_float_round_mode_32 0
		.amdhsa_float_round_mode_16_64 0
		.amdhsa_float_denorm_mode_32 3
		.amdhsa_float_denorm_mode_16_64 3
		.amdhsa_dx10_clamp 1
		.amdhsa_ieee_mode 1
		.amdhsa_fp16_overflow 0
		.amdhsa_tg_split 0
		.amdhsa_exception_fp_ieee_invalid_op 0
		.amdhsa_exception_fp_denorm_src 0
		.amdhsa_exception_fp_ieee_div_zero 0
		.amdhsa_exception_fp_ieee_overflow 0
		.amdhsa_exception_fp_ieee_underflow 0
		.amdhsa_exception_fp_ieee_inexact 0
		.amdhsa_exception_int_div_zero 0
	.end_amdhsa_kernel
	.section	.text._ZN7rocprim17ROCPRIM_400000_NS6detail17trampoline_kernelINS0_14default_configENS1_36segmented_radix_sort_config_selectorIalEEZNS1_25segmented_radix_sort_implIS3_Lb1EPKaPaPKlPlN2at6native12_GLOBAL__N_18offset_tEEE10hipError_tPvRmT1_PNSt15iterator_traitsISK_E10value_typeET2_T3_PNSL_ISQ_E10value_typeET4_jRbjT5_SW_jjP12ihipStream_tbEUlT_E2_NS1_11comp_targetILNS1_3genE9ELNS1_11target_archE1100ELNS1_3gpuE3ELNS1_3repE0EEENS1_30default_config_static_selectorELNS0_4arch9wavefront6targetE1EEEvSK_,"axG",@progbits,_ZN7rocprim17ROCPRIM_400000_NS6detail17trampoline_kernelINS0_14default_configENS1_36segmented_radix_sort_config_selectorIalEEZNS1_25segmented_radix_sort_implIS3_Lb1EPKaPaPKlPlN2at6native12_GLOBAL__N_18offset_tEEE10hipError_tPvRmT1_PNSt15iterator_traitsISK_E10value_typeET2_T3_PNSL_ISQ_E10value_typeET4_jRbjT5_SW_jjP12ihipStream_tbEUlT_E2_NS1_11comp_targetILNS1_3genE9ELNS1_11target_archE1100ELNS1_3gpuE3ELNS1_3repE0EEENS1_30default_config_static_selectorELNS0_4arch9wavefront6targetE1EEEvSK_,comdat
.Lfunc_end327:
	.size	_ZN7rocprim17ROCPRIM_400000_NS6detail17trampoline_kernelINS0_14default_configENS1_36segmented_radix_sort_config_selectorIalEEZNS1_25segmented_radix_sort_implIS3_Lb1EPKaPaPKlPlN2at6native12_GLOBAL__N_18offset_tEEE10hipError_tPvRmT1_PNSt15iterator_traitsISK_E10value_typeET2_T3_PNSL_ISQ_E10value_typeET4_jRbjT5_SW_jjP12ihipStream_tbEUlT_E2_NS1_11comp_targetILNS1_3genE9ELNS1_11target_archE1100ELNS1_3gpuE3ELNS1_3repE0EEENS1_30default_config_static_selectorELNS0_4arch9wavefront6targetE1EEEvSK_, .Lfunc_end327-_ZN7rocprim17ROCPRIM_400000_NS6detail17trampoline_kernelINS0_14default_configENS1_36segmented_radix_sort_config_selectorIalEEZNS1_25segmented_radix_sort_implIS3_Lb1EPKaPaPKlPlN2at6native12_GLOBAL__N_18offset_tEEE10hipError_tPvRmT1_PNSt15iterator_traitsISK_E10value_typeET2_T3_PNSL_ISQ_E10value_typeET4_jRbjT5_SW_jjP12ihipStream_tbEUlT_E2_NS1_11comp_targetILNS1_3genE9ELNS1_11target_archE1100ELNS1_3gpuE3ELNS1_3repE0EEENS1_30default_config_static_selectorELNS0_4arch9wavefront6targetE1EEEvSK_
                                        ; -- End function
	.section	.AMDGPU.csdata,"",@progbits
; Kernel info:
; codeLenInByte = 0
; NumSgprs: 4
; NumVgprs: 0
; NumAgprs: 0
; TotalNumVgprs: 0
; ScratchSize: 0
; MemoryBound: 0
; FloatMode: 240
; IeeeMode: 1
; LDSByteSize: 0 bytes/workgroup (compile time only)
; SGPRBlocks: 0
; VGPRBlocks: 0
; NumSGPRsForWavesPerEU: 4
; NumVGPRsForWavesPerEU: 1
; AccumOffset: 4
; Occupancy: 8
; WaveLimiterHint : 0
; COMPUTE_PGM_RSRC2:SCRATCH_EN: 0
; COMPUTE_PGM_RSRC2:USER_SGPR: 6
; COMPUTE_PGM_RSRC2:TRAP_HANDLER: 0
; COMPUTE_PGM_RSRC2:TGID_X_EN: 1
; COMPUTE_PGM_RSRC2:TGID_Y_EN: 0
; COMPUTE_PGM_RSRC2:TGID_Z_EN: 0
; COMPUTE_PGM_RSRC2:TIDIG_COMP_CNT: 0
; COMPUTE_PGM_RSRC3_GFX90A:ACCUM_OFFSET: 0
; COMPUTE_PGM_RSRC3_GFX90A:TG_SPLIT: 0
	.section	.text._ZN7rocprim17ROCPRIM_400000_NS6detail17trampoline_kernelINS0_14default_configENS1_36segmented_radix_sort_config_selectorIalEEZNS1_25segmented_radix_sort_implIS3_Lb1EPKaPaPKlPlN2at6native12_GLOBAL__N_18offset_tEEE10hipError_tPvRmT1_PNSt15iterator_traitsISK_E10value_typeET2_T3_PNSL_ISQ_E10value_typeET4_jRbjT5_SW_jjP12ihipStream_tbEUlT_E2_NS1_11comp_targetILNS1_3genE8ELNS1_11target_archE1030ELNS1_3gpuE2ELNS1_3repE0EEENS1_30default_config_static_selectorELNS0_4arch9wavefront6targetE1EEEvSK_,"axG",@progbits,_ZN7rocprim17ROCPRIM_400000_NS6detail17trampoline_kernelINS0_14default_configENS1_36segmented_radix_sort_config_selectorIalEEZNS1_25segmented_radix_sort_implIS3_Lb1EPKaPaPKlPlN2at6native12_GLOBAL__N_18offset_tEEE10hipError_tPvRmT1_PNSt15iterator_traitsISK_E10value_typeET2_T3_PNSL_ISQ_E10value_typeET4_jRbjT5_SW_jjP12ihipStream_tbEUlT_E2_NS1_11comp_targetILNS1_3genE8ELNS1_11target_archE1030ELNS1_3gpuE2ELNS1_3repE0EEENS1_30default_config_static_selectorELNS0_4arch9wavefront6targetE1EEEvSK_,comdat
	.globl	_ZN7rocprim17ROCPRIM_400000_NS6detail17trampoline_kernelINS0_14default_configENS1_36segmented_radix_sort_config_selectorIalEEZNS1_25segmented_radix_sort_implIS3_Lb1EPKaPaPKlPlN2at6native12_GLOBAL__N_18offset_tEEE10hipError_tPvRmT1_PNSt15iterator_traitsISK_E10value_typeET2_T3_PNSL_ISQ_E10value_typeET4_jRbjT5_SW_jjP12ihipStream_tbEUlT_E2_NS1_11comp_targetILNS1_3genE8ELNS1_11target_archE1030ELNS1_3gpuE2ELNS1_3repE0EEENS1_30default_config_static_selectorELNS0_4arch9wavefront6targetE1EEEvSK_ ; -- Begin function _ZN7rocprim17ROCPRIM_400000_NS6detail17trampoline_kernelINS0_14default_configENS1_36segmented_radix_sort_config_selectorIalEEZNS1_25segmented_radix_sort_implIS3_Lb1EPKaPaPKlPlN2at6native12_GLOBAL__N_18offset_tEEE10hipError_tPvRmT1_PNSt15iterator_traitsISK_E10value_typeET2_T3_PNSL_ISQ_E10value_typeET4_jRbjT5_SW_jjP12ihipStream_tbEUlT_E2_NS1_11comp_targetILNS1_3genE8ELNS1_11target_archE1030ELNS1_3gpuE2ELNS1_3repE0EEENS1_30default_config_static_selectorELNS0_4arch9wavefront6targetE1EEEvSK_
	.p2align	8
	.type	_ZN7rocprim17ROCPRIM_400000_NS6detail17trampoline_kernelINS0_14default_configENS1_36segmented_radix_sort_config_selectorIalEEZNS1_25segmented_radix_sort_implIS3_Lb1EPKaPaPKlPlN2at6native12_GLOBAL__N_18offset_tEEE10hipError_tPvRmT1_PNSt15iterator_traitsISK_E10value_typeET2_T3_PNSL_ISQ_E10value_typeET4_jRbjT5_SW_jjP12ihipStream_tbEUlT_E2_NS1_11comp_targetILNS1_3genE8ELNS1_11target_archE1030ELNS1_3gpuE2ELNS1_3repE0EEENS1_30default_config_static_selectorELNS0_4arch9wavefront6targetE1EEEvSK_,@function
_ZN7rocprim17ROCPRIM_400000_NS6detail17trampoline_kernelINS0_14default_configENS1_36segmented_radix_sort_config_selectorIalEEZNS1_25segmented_radix_sort_implIS3_Lb1EPKaPaPKlPlN2at6native12_GLOBAL__N_18offset_tEEE10hipError_tPvRmT1_PNSt15iterator_traitsISK_E10value_typeET2_T3_PNSL_ISQ_E10value_typeET4_jRbjT5_SW_jjP12ihipStream_tbEUlT_E2_NS1_11comp_targetILNS1_3genE8ELNS1_11target_archE1030ELNS1_3gpuE2ELNS1_3repE0EEENS1_30default_config_static_selectorELNS0_4arch9wavefront6targetE1EEEvSK_: ; @_ZN7rocprim17ROCPRIM_400000_NS6detail17trampoline_kernelINS0_14default_configENS1_36segmented_radix_sort_config_selectorIalEEZNS1_25segmented_radix_sort_implIS3_Lb1EPKaPaPKlPlN2at6native12_GLOBAL__N_18offset_tEEE10hipError_tPvRmT1_PNSt15iterator_traitsISK_E10value_typeET2_T3_PNSL_ISQ_E10value_typeET4_jRbjT5_SW_jjP12ihipStream_tbEUlT_E2_NS1_11comp_targetILNS1_3genE8ELNS1_11target_archE1030ELNS1_3gpuE2ELNS1_3repE0EEENS1_30default_config_static_selectorELNS0_4arch9wavefront6targetE1EEEvSK_
; %bb.0:
	.section	.rodata,"a",@progbits
	.p2align	6, 0x0
	.amdhsa_kernel _ZN7rocprim17ROCPRIM_400000_NS6detail17trampoline_kernelINS0_14default_configENS1_36segmented_radix_sort_config_selectorIalEEZNS1_25segmented_radix_sort_implIS3_Lb1EPKaPaPKlPlN2at6native12_GLOBAL__N_18offset_tEEE10hipError_tPvRmT1_PNSt15iterator_traitsISK_E10value_typeET2_T3_PNSL_ISQ_E10value_typeET4_jRbjT5_SW_jjP12ihipStream_tbEUlT_E2_NS1_11comp_targetILNS1_3genE8ELNS1_11target_archE1030ELNS1_3gpuE2ELNS1_3repE0EEENS1_30default_config_static_selectorELNS0_4arch9wavefront6targetE1EEEvSK_
		.amdhsa_group_segment_fixed_size 0
		.amdhsa_private_segment_fixed_size 0
		.amdhsa_kernarg_size 80
		.amdhsa_user_sgpr_count 6
		.amdhsa_user_sgpr_private_segment_buffer 1
		.amdhsa_user_sgpr_dispatch_ptr 0
		.amdhsa_user_sgpr_queue_ptr 0
		.amdhsa_user_sgpr_kernarg_segment_ptr 1
		.amdhsa_user_sgpr_dispatch_id 0
		.amdhsa_user_sgpr_flat_scratch_init 0
		.amdhsa_user_sgpr_kernarg_preload_length 0
		.amdhsa_user_sgpr_kernarg_preload_offset 0
		.amdhsa_user_sgpr_private_segment_size 0
		.amdhsa_uses_dynamic_stack 0
		.amdhsa_system_sgpr_private_segment_wavefront_offset 0
		.amdhsa_system_sgpr_workgroup_id_x 1
		.amdhsa_system_sgpr_workgroup_id_y 0
		.amdhsa_system_sgpr_workgroup_id_z 0
		.amdhsa_system_sgpr_workgroup_info 0
		.amdhsa_system_vgpr_workitem_id 0
		.amdhsa_next_free_vgpr 1
		.amdhsa_next_free_sgpr 0
		.amdhsa_accum_offset 4
		.amdhsa_reserve_vcc 0
		.amdhsa_reserve_flat_scratch 0
		.amdhsa_float_round_mode_32 0
		.amdhsa_float_round_mode_16_64 0
		.amdhsa_float_denorm_mode_32 3
		.amdhsa_float_denorm_mode_16_64 3
		.amdhsa_dx10_clamp 1
		.amdhsa_ieee_mode 1
		.amdhsa_fp16_overflow 0
		.amdhsa_tg_split 0
		.amdhsa_exception_fp_ieee_invalid_op 0
		.amdhsa_exception_fp_denorm_src 0
		.amdhsa_exception_fp_ieee_div_zero 0
		.amdhsa_exception_fp_ieee_overflow 0
		.amdhsa_exception_fp_ieee_underflow 0
		.amdhsa_exception_fp_ieee_inexact 0
		.amdhsa_exception_int_div_zero 0
	.end_amdhsa_kernel
	.section	.text._ZN7rocprim17ROCPRIM_400000_NS6detail17trampoline_kernelINS0_14default_configENS1_36segmented_radix_sort_config_selectorIalEEZNS1_25segmented_radix_sort_implIS3_Lb1EPKaPaPKlPlN2at6native12_GLOBAL__N_18offset_tEEE10hipError_tPvRmT1_PNSt15iterator_traitsISK_E10value_typeET2_T3_PNSL_ISQ_E10value_typeET4_jRbjT5_SW_jjP12ihipStream_tbEUlT_E2_NS1_11comp_targetILNS1_3genE8ELNS1_11target_archE1030ELNS1_3gpuE2ELNS1_3repE0EEENS1_30default_config_static_selectorELNS0_4arch9wavefront6targetE1EEEvSK_,"axG",@progbits,_ZN7rocprim17ROCPRIM_400000_NS6detail17trampoline_kernelINS0_14default_configENS1_36segmented_radix_sort_config_selectorIalEEZNS1_25segmented_radix_sort_implIS3_Lb1EPKaPaPKlPlN2at6native12_GLOBAL__N_18offset_tEEE10hipError_tPvRmT1_PNSt15iterator_traitsISK_E10value_typeET2_T3_PNSL_ISQ_E10value_typeET4_jRbjT5_SW_jjP12ihipStream_tbEUlT_E2_NS1_11comp_targetILNS1_3genE8ELNS1_11target_archE1030ELNS1_3gpuE2ELNS1_3repE0EEENS1_30default_config_static_selectorELNS0_4arch9wavefront6targetE1EEEvSK_,comdat
.Lfunc_end328:
	.size	_ZN7rocprim17ROCPRIM_400000_NS6detail17trampoline_kernelINS0_14default_configENS1_36segmented_radix_sort_config_selectorIalEEZNS1_25segmented_radix_sort_implIS3_Lb1EPKaPaPKlPlN2at6native12_GLOBAL__N_18offset_tEEE10hipError_tPvRmT1_PNSt15iterator_traitsISK_E10value_typeET2_T3_PNSL_ISQ_E10value_typeET4_jRbjT5_SW_jjP12ihipStream_tbEUlT_E2_NS1_11comp_targetILNS1_3genE8ELNS1_11target_archE1030ELNS1_3gpuE2ELNS1_3repE0EEENS1_30default_config_static_selectorELNS0_4arch9wavefront6targetE1EEEvSK_, .Lfunc_end328-_ZN7rocprim17ROCPRIM_400000_NS6detail17trampoline_kernelINS0_14default_configENS1_36segmented_radix_sort_config_selectorIalEEZNS1_25segmented_radix_sort_implIS3_Lb1EPKaPaPKlPlN2at6native12_GLOBAL__N_18offset_tEEE10hipError_tPvRmT1_PNSt15iterator_traitsISK_E10value_typeET2_T3_PNSL_ISQ_E10value_typeET4_jRbjT5_SW_jjP12ihipStream_tbEUlT_E2_NS1_11comp_targetILNS1_3genE8ELNS1_11target_archE1030ELNS1_3gpuE2ELNS1_3repE0EEENS1_30default_config_static_selectorELNS0_4arch9wavefront6targetE1EEEvSK_
                                        ; -- End function
	.section	.AMDGPU.csdata,"",@progbits
; Kernel info:
; codeLenInByte = 0
; NumSgprs: 4
; NumVgprs: 0
; NumAgprs: 0
; TotalNumVgprs: 0
; ScratchSize: 0
; MemoryBound: 0
; FloatMode: 240
; IeeeMode: 1
; LDSByteSize: 0 bytes/workgroup (compile time only)
; SGPRBlocks: 0
; VGPRBlocks: 0
; NumSGPRsForWavesPerEU: 4
; NumVGPRsForWavesPerEU: 1
; AccumOffset: 4
; Occupancy: 8
; WaveLimiterHint : 0
; COMPUTE_PGM_RSRC2:SCRATCH_EN: 0
; COMPUTE_PGM_RSRC2:USER_SGPR: 6
; COMPUTE_PGM_RSRC2:TRAP_HANDLER: 0
; COMPUTE_PGM_RSRC2:TGID_X_EN: 1
; COMPUTE_PGM_RSRC2:TGID_Y_EN: 0
; COMPUTE_PGM_RSRC2:TGID_Z_EN: 0
; COMPUTE_PGM_RSRC2:TIDIG_COMP_CNT: 0
; COMPUTE_PGM_RSRC3_GFX90A:ACCUM_OFFSET: 0
; COMPUTE_PGM_RSRC3_GFX90A:TG_SPLIT: 0
	.section	.text._ZN7rocprim17ROCPRIM_400000_NS6detail17trampoline_kernelINS0_13select_configILj256ELj13ELNS0_17block_load_methodE3ELS4_3ELS4_3ELNS0_20block_scan_algorithmE0ELj4294967295EEENS1_25partition_config_selectorILNS1_17partition_subalgoE4EjNS0_10empty_typeEbEEZZNS1_14partition_implILS8_4ELb0ES6_15HIP_vector_typeIjLj2EENS0_17counting_iteratorIjlEEPS9_SG_NS0_5tupleIJPjSI_NS0_16reverse_iteratorISI_EEEEENSH_IJSG_SG_SG_EEES9_SI_JZNS1_25segmented_radix_sort_implINS0_14default_configELb0EPKaPaPKlPlN2at6native12_GLOBAL__N_18offset_tEEE10hipError_tPvRmT1_PNSt15iterator_traitsIS12_E10value_typeET2_T3_PNS13_IS18_E10value_typeET4_jRbjT5_S1E_jjP12ihipStream_tbEUljE_ZNSN_ISO_Lb0ESQ_SR_ST_SU_SY_EESZ_S10_S11_S12_S16_S17_S18_S1B_S1C_jS1D_jS1E_S1E_jjS1G_bEUljE0_EEESZ_S10_S11_S18_S1C_S1E_T6_T7_T9_mT8_S1G_bDpT10_ENKUlT_T0_E_clISt17integral_constantIbLb0EES1U_EEDaS1P_S1Q_EUlS1P_E_NS1_11comp_targetILNS1_3genE0ELNS1_11target_archE4294967295ELNS1_3gpuE0ELNS1_3repE0EEENS1_30default_config_static_selectorELNS0_4arch9wavefront6targetE1EEEvS12_,"axG",@progbits,_ZN7rocprim17ROCPRIM_400000_NS6detail17trampoline_kernelINS0_13select_configILj256ELj13ELNS0_17block_load_methodE3ELS4_3ELS4_3ELNS0_20block_scan_algorithmE0ELj4294967295EEENS1_25partition_config_selectorILNS1_17partition_subalgoE4EjNS0_10empty_typeEbEEZZNS1_14partition_implILS8_4ELb0ES6_15HIP_vector_typeIjLj2EENS0_17counting_iteratorIjlEEPS9_SG_NS0_5tupleIJPjSI_NS0_16reverse_iteratorISI_EEEEENSH_IJSG_SG_SG_EEES9_SI_JZNS1_25segmented_radix_sort_implINS0_14default_configELb0EPKaPaPKlPlN2at6native12_GLOBAL__N_18offset_tEEE10hipError_tPvRmT1_PNSt15iterator_traitsIS12_E10value_typeET2_T3_PNS13_IS18_E10value_typeET4_jRbjT5_S1E_jjP12ihipStream_tbEUljE_ZNSN_ISO_Lb0ESQ_SR_ST_SU_SY_EESZ_S10_S11_S12_S16_S17_S18_S1B_S1C_jS1D_jS1E_S1E_jjS1G_bEUljE0_EEESZ_S10_S11_S18_S1C_S1E_T6_T7_T9_mT8_S1G_bDpT10_ENKUlT_T0_E_clISt17integral_constantIbLb0EES1U_EEDaS1P_S1Q_EUlS1P_E_NS1_11comp_targetILNS1_3genE0ELNS1_11target_archE4294967295ELNS1_3gpuE0ELNS1_3repE0EEENS1_30default_config_static_selectorELNS0_4arch9wavefront6targetE1EEEvS12_,comdat
	.globl	_ZN7rocprim17ROCPRIM_400000_NS6detail17trampoline_kernelINS0_13select_configILj256ELj13ELNS0_17block_load_methodE3ELS4_3ELS4_3ELNS0_20block_scan_algorithmE0ELj4294967295EEENS1_25partition_config_selectorILNS1_17partition_subalgoE4EjNS0_10empty_typeEbEEZZNS1_14partition_implILS8_4ELb0ES6_15HIP_vector_typeIjLj2EENS0_17counting_iteratorIjlEEPS9_SG_NS0_5tupleIJPjSI_NS0_16reverse_iteratorISI_EEEEENSH_IJSG_SG_SG_EEES9_SI_JZNS1_25segmented_radix_sort_implINS0_14default_configELb0EPKaPaPKlPlN2at6native12_GLOBAL__N_18offset_tEEE10hipError_tPvRmT1_PNSt15iterator_traitsIS12_E10value_typeET2_T3_PNS13_IS18_E10value_typeET4_jRbjT5_S1E_jjP12ihipStream_tbEUljE_ZNSN_ISO_Lb0ESQ_SR_ST_SU_SY_EESZ_S10_S11_S12_S16_S17_S18_S1B_S1C_jS1D_jS1E_S1E_jjS1G_bEUljE0_EEESZ_S10_S11_S18_S1C_S1E_T6_T7_T9_mT8_S1G_bDpT10_ENKUlT_T0_E_clISt17integral_constantIbLb0EES1U_EEDaS1P_S1Q_EUlS1P_E_NS1_11comp_targetILNS1_3genE0ELNS1_11target_archE4294967295ELNS1_3gpuE0ELNS1_3repE0EEENS1_30default_config_static_selectorELNS0_4arch9wavefront6targetE1EEEvS12_ ; -- Begin function _ZN7rocprim17ROCPRIM_400000_NS6detail17trampoline_kernelINS0_13select_configILj256ELj13ELNS0_17block_load_methodE3ELS4_3ELS4_3ELNS0_20block_scan_algorithmE0ELj4294967295EEENS1_25partition_config_selectorILNS1_17partition_subalgoE4EjNS0_10empty_typeEbEEZZNS1_14partition_implILS8_4ELb0ES6_15HIP_vector_typeIjLj2EENS0_17counting_iteratorIjlEEPS9_SG_NS0_5tupleIJPjSI_NS0_16reverse_iteratorISI_EEEEENSH_IJSG_SG_SG_EEES9_SI_JZNS1_25segmented_radix_sort_implINS0_14default_configELb0EPKaPaPKlPlN2at6native12_GLOBAL__N_18offset_tEEE10hipError_tPvRmT1_PNSt15iterator_traitsIS12_E10value_typeET2_T3_PNS13_IS18_E10value_typeET4_jRbjT5_S1E_jjP12ihipStream_tbEUljE_ZNSN_ISO_Lb0ESQ_SR_ST_SU_SY_EESZ_S10_S11_S12_S16_S17_S18_S1B_S1C_jS1D_jS1E_S1E_jjS1G_bEUljE0_EEESZ_S10_S11_S18_S1C_S1E_T6_T7_T9_mT8_S1G_bDpT10_ENKUlT_T0_E_clISt17integral_constantIbLb0EES1U_EEDaS1P_S1Q_EUlS1P_E_NS1_11comp_targetILNS1_3genE0ELNS1_11target_archE4294967295ELNS1_3gpuE0ELNS1_3repE0EEENS1_30default_config_static_selectorELNS0_4arch9wavefront6targetE1EEEvS12_
	.p2align	8
	.type	_ZN7rocprim17ROCPRIM_400000_NS6detail17trampoline_kernelINS0_13select_configILj256ELj13ELNS0_17block_load_methodE3ELS4_3ELS4_3ELNS0_20block_scan_algorithmE0ELj4294967295EEENS1_25partition_config_selectorILNS1_17partition_subalgoE4EjNS0_10empty_typeEbEEZZNS1_14partition_implILS8_4ELb0ES6_15HIP_vector_typeIjLj2EENS0_17counting_iteratorIjlEEPS9_SG_NS0_5tupleIJPjSI_NS0_16reverse_iteratorISI_EEEEENSH_IJSG_SG_SG_EEES9_SI_JZNS1_25segmented_radix_sort_implINS0_14default_configELb0EPKaPaPKlPlN2at6native12_GLOBAL__N_18offset_tEEE10hipError_tPvRmT1_PNSt15iterator_traitsIS12_E10value_typeET2_T3_PNS13_IS18_E10value_typeET4_jRbjT5_S1E_jjP12ihipStream_tbEUljE_ZNSN_ISO_Lb0ESQ_SR_ST_SU_SY_EESZ_S10_S11_S12_S16_S17_S18_S1B_S1C_jS1D_jS1E_S1E_jjS1G_bEUljE0_EEESZ_S10_S11_S18_S1C_S1E_T6_T7_T9_mT8_S1G_bDpT10_ENKUlT_T0_E_clISt17integral_constantIbLb0EES1U_EEDaS1P_S1Q_EUlS1P_E_NS1_11comp_targetILNS1_3genE0ELNS1_11target_archE4294967295ELNS1_3gpuE0ELNS1_3repE0EEENS1_30default_config_static_selectorELNS0_4arch9wavefront6targetE1EEEvS12_,@function
_ZN7rocprim17ROCPRIM_400000_NS6detail17trampoline_kernelINS0_13select_configILj256ELj13ELNS0_17block_load_methodE3ELS4_3ELS4_3ELNS0_20block_scan_algorithmE0ELj4294967295EEENS1_25partition_config_selectorILNS1_17partition_subalgoE4EjNS0_10empty_typeEbEEZZNS1_14partition_implILS8_4ELb0ES6_15HIP_vector_typeIjLj2EENS0_17counting_iteratorIjlEEPS9_SG_NS0_5tupleIJPjSI_NS0_16reverse_iteratorISI_EEEEENSH_IJSG_SG_SG_EEES9_SI_JZNS1_25segmented_radix_sort_implINS0_14default_configELb0EPKaPaPKlPlN2at6native12_GLOBAL__N_18offset_tEEE10hipError_tPvRmT1_PNSt15iterator_traitsIS12_E10value_typeET2_T3_PNS13_IS18_E10value_typeET4_jRbjT5_S1E_jjP12ihipStream_tbEUljE_ZNSN_ISO_Lb0ESQ_SR_ST_SU_SY_EESZ_S10_S11_S12_S16_S17_S18_S1B_S1C_jS1D_jS1E_S1E_jjS1G_bEUljE0_EEESZ_S10_S11_S18_S1C_S1E_T6_T7_T9_mT8_S1G_bDpT10_ENKUlT_T0_E_clISt17integral_constantIbLb0EES1U_EEDaS1P_S1Q_EUlS1P_E_NS1_11comp_targetILNS1_3genE0ELNS1_11target_archE4294967295ELNS1_3gpuE0ELNS1_3repE0EEENS1_30default_config_static_selectorELNS0_4arch9wavefront6targetE1EEEvS12_: ; @_ZN7rocprim17ROCPRIM_400000_NS6detail17trampoline_kernelINS0_13select_configILj256ELj13ELNS0_17block_load_methodE3ELS4_3ELS4_3ELNS0_20block_scan_algorithmE0ELj4294967295EEENS1_25partition_config_selectorILNS1_17partition_subalgoE4EjNS0_10empty_typeEbEEZZNS1_14partition_implILS8_4ELb0ES6_15HIP_vector_typeIjLj2EENS0_17counting_iteratorIjlEEPS9_SG_NS0_5tupleIJPjSI_NS0_16reverse_iteratorISI_EEEEENSH_IJSG_SG_SG_EEES9_SI_JZNS1_25segmented_radix_sort_implINS0_14default_configELb0EPKaPaPKlPlN2at6native12_GLOBAL__N_18offset_tEEE10hipError_tPvRmT1_PNSt15iterator_traitsIS12_E10value_typeET2_T3_PNS13_IS18_E10value_typeET4_jRbjT5_S1E_jjP12ihipStream_tbEUljE_ZNSN_ISO_Lb0ESQ_SR_ST_SU_SY_EESZ_S10_S11_S12_S16_S17_S18_S1B_S1C_jS1D_jS1E_S1E_jjS1G_bEUljE0_EEESZ_S10_S11_S18_S1C_S1E_T6_T7_T9_mT8_S1G_bDpT10_ENKUlT_T0_E_clISt17integral_constantIbLb0EES1U_EEDaS1P_S1Q_EUlS1P_E_NS1_11comp_targetILNS1_3genE0ELNS1_11target_archE4294967295ELNS1_3gpuE0ELNS1_3repE0EEENS1_30default_config_static_selectorELNS0_4arch9wavefront6targetE1EEEvS12_
; %bb.0:
	.section	.rodata,"a",@progbits
	.p2align	6, 0x0
	.amdhsa_kernel _ZN7rocprim17ROCPRIM_400000_NS6detail17trampoline_kernelINS0_13select_configILj256ELj13ELNS0_17block_load_methodE3ELS4_3ELS4_3ELNS0_20block_scan_algorithmE0ELj4294967295EEENS1_25partition_config_selectorILNS1_17partition_subalgoE4EjNS0_10empty_typeEbEEZZNS1_14partition_implILS8_4ELb0ES6_15HIP_vector_typeIjLj2EENS0_17counting_iteratorIjlEEPS9_SG_NS0_5tupleIJPjSI_NS0_16reverse_iteratorISI_EEEEENSH_IJSG_SG_SG_EEES9_SI_JZNS1_25segmented_radix_sort_implINS0_14default_configELb0EPKaPaPKlPlN2at6native12_GLOBAL__N_18offset_tEEE10hipError_tPvRmT1_PNSt15iterator_traitsIS12_E10value_typeET2_T3_PNS13_IS18_E10value_typeET4_jRbjT5_S1E_jjP12ihipStream_tbEUljE_ZNSN_ISO_Lb0ESQ_SR_ST_SU_SY_EESZ_S10_S11_S12_S16_S17_S18_S1B_S1C_jS1D_jS1E_S1E_jjS1G_bEUljE0_EEESZ_S10_S11_S18_S1C_S1E_T6_T7_T9_mT8_S1G_bDpT10_ENKUlT_T0_E_clISt17integral_constantIbLb0EES1U_EEDaS1P_S1Q_EUlS1P_E_NS1_11comp_targetILNS1_3genE0ELNS1_11target_archE4294967295ELNS1_3gpuE0ELNS1_3repE0EEENS1_30default_config_static_selectorELNS0_4arch9wavefront6targetE1EEEvS12_
		.amdhsa_group_segment_fixed_size 0
		.amdhsa_private_segment_fixed_size 0
		.amdhsa_kernarg_size 176
		.amdhsa_user_sgpr_count 6
		.amdhsa_user_sgpr_private_segment_buffer 1
		.amdhsa_user_sgpr_dispatch_ptr 0
		.amdhsa_user_sgpr_queue_ptr 0
		.amdhsa_user_sgpr_kernarg_segment_ptr 1
		.amdhsa_user_sgpr_dispatch_id 0
		.amdhsa_user_sgpr_flat_scratch_init 0
		.amdhsa_user_sgpr_kernarg_preload_length 0
		.amdhsa_user_sgpr_kernarg_preload_offset 0
		.amdhsa_user_sgpr_private_segment_size 0
		.amdhsa_uses_dynamic_stack 0
		.amdhsa_system_sgpr_private_segment_wavefront_offset 0
		.amdhsa_system_sgpr_workgroup_id_x 1
		.amdhsa_system_sgpr_workgroup_id_y 0
		.amdhsa_system_sgpr_workgroup_id_z 0
		.amdhsa_system_sgpr_workgroup_info 0
		.amdhsa_system_vgpr_workitem_id 0
		.amdhsa_next_free_vgpr 1
		.amdhsa_next_free_sgpr 0
		.amdhsa_accum_offset 4
		.amdhsa_reserve_vcc 0
		.amdhsa_reserve_flat_scratch 0
		.amdhsa_float_round_mode_32 0
		.amdhsa_float_round_mode_16_64 0
		.amdhsa_float_denorm_mode_32 3
		.amdhsa_float_denorm_mode_16_64 3
		.amdhsa_dx10_clamp 1
		.amdhsa_ieee_mode 1
		.amdhsa_fp16_overflow 0
		.amdhsa_tg_split 0
		.amdhsa_exception_fp_ieee_invalid_op 0
		.amdhsa_exception_fp_denorm_src 0
		.amdhsa_exception_fp_ieee_div_zero 0
		.amdhsa_exception_fp_ieee_overflow 0
		.amdhsa_exception_fp_ieee_underflow 0
		.amdhsa_exception_fp_ieee_inexact 0
		.amdhsa_exception_int_div_zero 0
	.end_amdhsa_kernel
	.section	.text._ZN7rocprim17ROCPRIM_400000_NS6detail17trampoline_kernelINS0_13select_configILj256ELj13ELNS0_17block_load_methodE3ELS4_3ELS4_3ELNS0_20block_scan_algorithmE0ELj4294967295EEENS1_25partition_config_selectorILNS1_17partition_subalgoE4EjNS0_10empty_typeEbEEZZNS1_14partition_implILS8_4ELb0ES6_15HIP_vector_typeIjLj2EENS0_17counting_iteratorIjlEEPS9_SG_NS0_5tupleIJPjSI_NS0_16reverse_iteratorISI_EEEEENSH_IJSG_SG_SG_EEES9_SI_JZNS1_25segmented_radix_sort_implINS0_14default_configELb0EPKaPaPKlPlN2at6native12_GLOBAL__N_18offset_tEEE10hipError_tPvRmT1_PNSt15iterator_traitsIS12_E10value_typeET2_T3_PNS13_IS18_E10value_typeET4_jRbjT5_S1E_jjP12ihipStream_tbEUljE_ZNSN_ISO_Lb0ESQ_SR_ST_SU_SY_EESZ_S10_S11_S12_S16_S17_S18_S1B_S1C_jS1D_jS1E_S1E_jjS1G_bEUljE0_EEESZ_S10_S11_S18_S1C_S1E_T6_T7_T9_mT8_S1G_bDpT10_ENKUlT_T0_E_clISt17integral_constantIbLb0EES1U_EEDaS1P_S1Q_EUlS1P_E_NS1_11comp_targetILNS1_3genE0ELNS1_11target_archE4294967295ELNS1_3gpuE0ELNS1_3repE0EEENS1_30default_config_static_selectorELNS0_4arch9wavefront6targetE1EEEvS12_,"axG",@progbits,_ZN7rocprim17ROCPRIM_400000_NS6detail17trampoline_kernelINS0_13select_configILj256ELj13ELNS0_17block_load_methodE3ELS4_3ELS4_3ELNS0_20block_scan_algorithmE0ELj4294967295EEENS1_25partition_config_selectorILNS1_17partition_subalgoE4EjNS0_10empty_typeEbEEZZNS1_14partition_implILS8_4ELb0ES6_15HIP_vector_typeIjLj2EENS0_17counting_iteratorIjlEEPS9_SG_NS0_5tupleIJPjSI_NS0_16reverse_iteratorISI_EEEEENSH_IJSG_SG_SG_EEES9_SI_JZNS1_25segmented_radix_sort_implINS0_14default_configELb0EPKaPaPKlPlN2at6native12_GLOBAL__N_18offset_tEEE10hipError_tPvRmT1_PNSt15iterator_traitsIS12_E10value_typeET2_T3_PNS13_IS18_E10value_typeET4_jRbjT5_S1E_jjP12ihipStream_tbEUljE_ZNSN_ISO_Lb0ESQ_SR_ST_SU_SY_EESZ_S10_S11_S12_S16_S17_S18_S1B_S1C_jS1D_jS1E_S1E_jjS1G_bEUljE0_EEESZ_S10_S11_S18_S1C_S1E_T6_T7_T9_mT8_S1G_bDpT10_ENKUlT_T0_E_clISt17integral_constantIbLb0EES1U_EEDaS1P_S1Q_EUlS1P_E_NS1_11comp_targetILNS1_3genE0ELNS1_11target_archE4294967295ELNS1_3gpuE0ELNS1_3repE0EEENS1_30default_config_static_selectorELNS0_4arch9wavefront6targetE1EEEvS12_,comdat
.Lfunc_end329:
	.size	_ZN7rocprim17ROCPRIM_400000_NS6detail17trampoline_kernelINS0_13select_configILj256ELj13ELNS0_17block_load_methodE3ELS4_3ELS4_3ELNS0_20block_scan_algorithmE0ELj4294967295EEENS1_25partition_config_selectorILNS1_17partition_subalgoE4EjNS0_10empty_typeEbEEZZNS1_14partition_implILS8_4ELb0ES6_15HIP_vector_typeIjLj2EENS0_17counting_iteratorIjlEEPS9_SG_NS0_5tupleIJPjSI_NS0_16reverse_iteratorISI_EEEEENSH_IJSG_SG_SG_EEES9_SI_JZNS1_25segmented_radix_sort_implINS0_14default_configELb0EPKaPaPKlPlN2at6native12_GLOBAL__N_18offset_tEEE10hipError_tPvRmT1_PNSt15iterator_traitsIS12_E10value_typeET2_T3_PNS13_IS18_E10value_typeET4_jRbjT5_S1E_jjP12ihipStream_tbEUljE_ZNSN_ISO_Lb0ESQ_SR_ST_SU_SY_EESZ_S10_S11_S12_S16_S17_S18_S1B_S1C_jS1D_jS1E_S1E_jjS1G_bEUljE0_EEESZ_S10_S11_S18_S1C_S1E_T6_T7_T9_mT8_S1G_bDpT10_ENKUlT_T0_E_clISt17integral_constantIbLb0EES1U_EEDaS1P_S1Q_EUlS1P_E_NS1_11comp_targetILNS1_3genE0ELNS1_11target_archE4294967295ELNS1_3gpuE0ELNS1_3repE0EEENS1_30default_config_static_selectorELNS0_4arch9wavefront6targetE1EEEvS12_, .Lfunc_end329-_ZN7rocprim17ROCPRIM_400000_NS6detail17trampoline_kernelINS0_13select_configILj256ELj13ELNS0_17block_load_methodE3ELS4_3ELS4_3ELNS0_20block_scan_algorithmE0ELj4294967295EEENS1_25partition_config_selectorILNS1_17partition_subalgoE4EjNS0_10empty_typeEbEEZZNS1_14partition_implILS8_4ELb0ES6_15HIP_vector_typeIjLj2EENS0_17counting_iteratorIjlEEPS9_SG_NS0_5tupleIJPjSI_NS0_16reverse_iteratorISI_EEEEENSH_IJSG_SG_SG_EEES9_SI_JZNS1_25segmented_radix_sort_implINS0_14default_configELb0EPKaPaPKlPlN2at6native12_GLOBAL__N_18offset_tEEE10hipError_tPvRmT1_PNSt15iterator_traitsIS12_E10value_typeET2_T3_PNS13_IS18_E10value_typeET4_jRbjT5_S1E_jjP12ihipStream_tbEUljE_ZNSN_ISO_Lb0ESQ_SR_ST_SU_SY_EESZ_S10_S11_S12_S16_S17_S18_S1B_S1C_jS1D_jS1E_S1E_jjS1G_bEUljE0_EEESZ_S10_S11_S18_S1C_S1E_T6_T7_T9_mT8_S1G_bDpT10_ENKUlT_T0_E_clISt17integral_constantIbLb0EES1U_EEDaS1P_S1Q_EUlS1P_E_NS1_11comp_targetILNS1_3genE0ELNS1_11target_archE4294967295ELNS1_3gpuE0ELNS1_3repE0EEENS1_30default_config_static_selectorELNS0_4arch9wavefront6targetE1EEEvS12_
                                        ; -- End function
	.section	.AMDGPU.csdata,"",@progbits
; Kernel info:
; codeLenInByte = 0
; NumSgprs: 4
; NumVgprs: 0
; NumAgprs: 0
; TotalNumVgprs: 0
; ScratchSize: 0
; MemoryBound: 0
; FloatMode: 240
; IeeeMode: 1
; LDSByteSize: 0 bytes/workgroup (compile time only)
; SGPRBlocks: 0
; VGPRBlocks: 0
; NumSGPRsForWavesPerEU: 4
; NumVGPRsForWavesPerEU: 1
; AccumOffset: 4
; Occupancy: 8
; WaveLimiterHint : 0
; COMPUTE_PGM_RSRC2:SCRATCH_EN: 0
; COMPUTE_PGM_RSRC2:USER_SGPR: 6
; COMPUTE_PGM_RSRC2:TRAP_HANDLER: 0
; COMPUTE_PGM_RSRC2:TGID_X_EN: 1
; COMPUTE_PGM_RSRC2:TGID_Y_EN: 0
; COMPUTE_PGM_RSRC2:TGID_Z_EN: 0
; COMPUTE_PGM_RSRC2:TIDIG_COMP_CNT: 0
; COMPUTE_PGM_RSRC3_GFX90A:ACCUM_OFFSET: 0
; COMPUTE_PGM_RSRC3_GFX90A:TG_SPLIT: 0
	.section	.text._ZN7rocprim17ROCPRIM_400000_NS6detail17trampoline_kernelINS0_13select_configILj256ELj13ELNS0_17block_load_methodE3ELS4_3ELS4_3ELNS0_20block_scan_algorithmE0ELj4294967295EEENS1_25partition_config_selectorILNS1_17partition_subalgoE4EjNS0_10empty_typeEbEEZZNS1_14partition_implILS8_4ELb0ES6_15HIP_vector_typeIjLj2EENS0_17counting_iteratorIjlEEPS9_SG_NS0_5tupleIJPjSI_NS0_16reverse_iteratorISI_EEEEENSH_IJSG_SG_SG_EEES9_SI_JZNS1_25segmented_radix_sort_implINS0_14default_configELb0EPKaPaPKlPlN2at6native12_GLOBAL__N_18offset_tEEE10hipError_tPvRmT1_PNSt15iterator_traitsIS12_E10value_typeET2_T3_PNS13_IS18_E10value_typeET4_jRbjT5_S1E_jjP12ihipStream_tbEUljE_ZNSN_ISO_Lb0ESQ_SR_ST_SU_SY_EESZ_S10_S11_S12_S16_S17_S18_S1B_S1C_jS1D_jS1E_S1E_jjS1G_bEUljE0_EEESZ_S10_S11_S18_S1C_S1E_T6_T7_T9_mT8_S1G_bDpT10_ENKUlT_T0_E_clISt17integral_constantIbLb0EES1U_EEDaS1P_S1Q_EUlS1P_E_NS1_11comp_targetILNS1_3genE5ELNS1_11target_archE942ELNS1_3gpuE9ELNS1_3repE0EEENS1_30default_config_static_selectorELNS0_4arch9wavefront6targetE1EEEvS12_,"axG",@progbits,_ZN7rocprim17ROCPRIM_400000_NS6detail17trampoline_kernelINS0_13select_configILj256ELj13ELNS0_17block_load_methodE3ELS4_3ELS4_3ELNS0_20block_scan_algorithmE0ELj4294967295EEENS1_25partition_config_selectorILNS1_17partition_subalgoE4EjNS0_10empty_typeEbEEZZNS1_14partition_implILS8_4ELb0ES6_15HIP_vector_typeIjLj2EENS0_17counting_iteratorIjlEEPS9_SG_NS0_5tupleIJPjSI_NS0_16reverse_iteratorISI_EEEEENSH_IJSG_SG_SG_EEES9_SI_JZNS1_25segmented_radix_sort_implINS0_14default_configELb0EPKaPaPKlPlN2at6native12_GLOBAL__N_18offset_tEEE10hipError_tPvRmT1_PNSt15iterator_traitsIS12_E10value_typeET2_T3_PNS13_IS18_E10value_typeET4_jRbjT5_S1E_jjP12ihipStream_tbEUljE_ZNSN_ISO_Lb0ESQ_SR_ST_SU_SY_EESZ_S10_S11_S12_S16_S17_S18_S1B_S1C_jS1D_jS1E_S1E_jjS1G_bEUljE0_EEESZ_S10_S11_S18_S1C_S1E_T6_T7_T9_mT8_S1G_bDpT10_ENKUlT_T0_E_clISt17integral_constantIbLb0EES1U_EEDaS1P_S1Q_EUlS1P_E_NS1_11comp_targetILNS1_3genE5ELNS1_11target_archE942ELNS1_3gpuE9ELNS1_3repE0EEENS1_30default_config_static_selectorELNS0_4arch9wavefront6targetE1EEEvS12_,comdat
	.globl	_ZN7rocprim17ROCPRIM_400000_NS6detail17trampoline_kernelINS0_13select_configILj256ELj13ELNS0_17block_load_methodE3ELS4_3ELS4_3ELNS0_20block_scan_algorithmE0ELj4294967295EEENS1_25partition_config_selectorILNS1_17partition_subalgoE4EjNS0_10empty_typeEbEEZZNS1_14partition_implILS8_4ELb0ES6_15HIP_vector_typeIjLj2EENS0_17counting_iteratorIjlEEPS9_SG_NS0_5tupleIJPjSI_NS0_16reverse_iteratorISI_EEEEENSH_IJSG_SG_SG_EEES9_SI_JZNS1_25segmented_radix_sort_implINS0_14default_configELb0EPKaPaPKlPlN2at6native12_GLOBAL__N_18offset_tEEE10hipError_tPvRmT1_PNSt15iterator_traitsIS12_E10value_typeET2_T3_PNS13_IS18_E10value_typeET4_jRbjT5_S1E_jjP12ihipStream_tbEUljE_ZNSN_ISO_Lb0ESQ_SR_ST_SU_SY_EESZ_S10_S11_S12_S16_S17_S18_S1B_S1C_jS1D_jS1E_S1E_jjS1G_bEUljE0_EEESZ_S10_S11_S18_S1C_S1E_T6_T7_T9_mT8_S1G_bDpT10_ENKUlT_T0_E_clISt17integral_constantIbLb0EES1U_EEDaS1P_S1Q_EUlS1P_E_NS1_11comp_targetILNS1_3genE5ELNS1_11target_archE942ELNS1_3gpuE9ELNS1_3repE0EEENS1_30default_config_static_selectorELNS0_4arch9wavefront6targetE1EEEvS12_ ; -- Begin function _ZN7rocprim17ROCPRIM_400000_NS6detail17trampoline_kernelINS0_13select_configILj256ELj13ELNS0_17block_load_methodE3ELS4_3ELS4_3ELNS0_20block_scan_algorithmE0ELj4294967295EEENS1_25partition_config_selectorILNS1_17partition_subalgoE4EjNS0_10empty_typeEbEEZZNS1_14partition_implILS8_4ELb0ES6_15HIP_vector_typeIjLj2EENS0_17counting_iteratorIjlEEPS9_SG_NS0_5tupleIJPjSI_NS0_16reverse_iteratorISI_EEEEENSH_IJSG_SG_SG_EEES9_SI_JZNS1_25segmented_radix_sort_implINS0_14default_configELb0EPKaPaPKlPlN2at6native12_GLOBAL__N_18offset_tEEE10hipError_tPvRmT1_PNSt15iterator_traitsIS12_E10value_typeET2_T3_PNS13_IS18_E10value_typeET4_jRbjT5_S1E_jjP12ihipStream_tbEUljE_ZNSN_ISO_Lb0ESQ_SR_ST_SU_SY_EESZ_S10_S11_S12_S16_S17_S18_S1B_S1C_jS1D_jS1E_S1E_jjS1G_bEUljE0_EEESZ_S10_S11_S18_S1C_S1E_T6_T7_T9_mT8_S1G_bDpT10_ENKUlT_T0_E_clISt17integral_constantIbLb0EES1U_EEDaS1P_S1Q_EUlS1P_E_NS1_11comp_targetILNS1_3genE5ELNS1_11target_archE942ELNS1_3gpuE9ELNS1_3repE0EEENS1_30default_config_static_selectorELNS0_4arch9wavefront6targetE1EEEvS12_
	.p2align	8
	.type	_ZN7rocprim17ROCPRIM_400000_NS6detail17trampoline_kernelINS0_13select_configILj256ELj13ELNS0_17block_load_methodE3ELS4_3ELS4_3ELNS0_20block_scan_algorithmE0ELj4294967295EEENS1_25partition_config_selectorILNS1_17partition_subalgoE4EjNS0_10empty_typeEbEEZZNS1_14partition_implILS8_4ELb0ES6_15HIP_vector_typeIjLj2EENS0_17counting_iteratorIjlEEPS9_SG_NS0_5tupleIJPjSI_NS0_16reverse_iteratorISI_EEEEENSH_IJSG_SG_SG_EEES9_SI_JZNS1_25segmented_radix_sort_implINS0_14default_configELb0EPKaPaPKlPlN2at6native12_GLOBAL__N_18offset_tEEE10hipError_tPvRmT1_PNSt15iterator_traitsIS12_E10value_typeET2_T3_PNS13_IS18_E10value_typeET4_jRbjT5_S1E_jjP12ihipStream_tbEUljE_ZNSN_ISO_Lb0ESQ_SR_ST_SU_SY_EESZ_S10_S11_S12_S16_S17_S18_S1B_S1C_jS1D_jS1E_S1E_jjS1G_bEUljE0_EEESZ_S10_S11_S18_S1C_S1E_T6_T7_T9_mT8_S1G_bDpT10_ENKUlT_T0_E_clISt17integral_constantIbLb0EES1U_EEDaS1P_S1Q_EUlS1P_E_NS1_11comp_targetILNS1_3genE5ELNS1_11target_archE942ELNS1_3gpuE9ELNS1_3repE0EEENS1_30default_config_static_selectorELNS0_4arch9wavefront6targetE1EEEvS12_,@function
_ZN7rocprim17ROCPRIM_400000_NS6detail17trampoline_kernelINS0_13select_configILj256ELj13ELNS0_17block_load_methodE3ELS4_3ELS4_3ELNS0_20block_scan_algorithmE0ELj4294967295EEENS1_25partition_config_selectorILNS1_17partition_subalgoE4EjNS0_10empty_typeEbEEZZNS1_14partition_implILS8_4ELb0ES6_15HIP_vector_typeIjLj2EENS0_17counting_iteratorIjlEEPS9_SG_NS0_5tupleIJPjSI_NS0_16reverse_iteratorISI_EEEEENSH_IJSG_SG_SG_EEES9_SI_JZNS1_25segmented_radix_sort_implINS0_14default_configELb0EPKaPaPKlPlN2at6native12_GLOBAL__N_18offset_tEEE10hipError_tPvRmT1_PNSt15iterator_traitsIS12_E10value_typeET2_T3_PNS13_IS18_E10value_typeET4_jRbjT5_S1E_jjP12ihipStream_tbEUljE_ZNSN_ISO_Lb0ESQ_SR_ST_SU_SY_EESZ_S10_S11_S12_S16_S17_S18_S1B_S1C_jS1D_jS1E_S1E_jjS1G_bEUljE0_EEESZ_S10_S11_S18_S1C_S1E_T6_T7_T9_mT8_S1G_bDpT10_ENKUlT_T0_E_clISt17integral_constantIbLb0EES1U_EEDaS1P_S1Q_EUlS1P_E_NS1_11comp_targetILNS1_3genE5ELNS1_11target_archE942ELNS1_3gpuE9ELNS1_3repE0EEENS1_30default_config_static_selectorELNS0_4arch9wavefront6targetE1EEEvS12_: ; @_ZN7rocprim17ROCPRIM_400000_NS6detail17trampoline_kernelINS0_13select_configILj256ELj13ELNS0_17block_load_methodE3ELS4_3ELS4_3ELNS0_20block_scan_algorithmE0ELj4294967295EEENS1_25partition_config_selectorILNS1_17partition_subalgoE4EjNS0_10empty_typeEbEEZZNS1_14partition_implILS8_4ELb0ES6_15HIP_vector_typeIjLj2EENS0_17counting_iteratorIjlEEPS9_SG_NS0_5tupleIJPjSI_NS0_16reverse_iteratorISI_EEEEENSH_IJSG_SG_SG_EEES9_SI_JZNS1_25segmented_radix_sort_implINS0_14default_configELb0EPKaPaPKlPlN2at6native12_GLOBAL__N_18offset_tEEE10hipError_tPvRmT1_PNSt15iterator_traitsIS12_E10value_typeET2_T3_PNS13_IS18_E10value_typeET4_jRbjT5_S1E_jjP12ihipStream_tbEUljE_ZNSN_ISO_Lb0ESQ_SR_ST_SU_SY_EESZ_S10_S11_S12_S16_S17_S18_S1B_S1C_jS1D_jS1E_S1E_jjS1G_bEUljE0_EEESZ_S10_S11_S18_S1C_S1E_T6_T7_T9_mT8_S1G_bDpT10_ENKUlT_T0_E_clISt17integral_constantIbLb0EES1U_EEDaS1P_S1Q_EUlS1P_E_NS1_11comp_targetILNS1_3genE5ELNS1_11target_archE942ELNS1_3gpuE9ELNS1_3repE0EEENS1_30default_config_static_selectorELNS0_4arch9wavefront6targetE1EEEvS12_
; %bb.0:
	.section	.rodata,"a",@progbits
	.p2align	6, 0x0
	.amdhsa_kernel _ZN7rocprim17ROCPRIM_400000_NS6detail17trampoline_kernelINS0_13select_configILj256ELj13ELNS0_17block_load_methodE3ELS4_3ELS4_3ELNS0_20block_scan_algorithmE0ELj4294967295EEENS1_25partition_config_selectorILNS1_17partition_subalgoE4EjNS0_10empty_typeEbEEZZNS1_14partition_implILS8_4ELb0ES6_15HIP_vector_typeIjLj2EENS0_17counting_iteratorIjlEEPS9_SG_NS0_5tupleIJPjSI_NS0_16reverse_iteratorISI_EEEEENSH_IJSG_SG_SG_EEES9_SI_JZNS1_25segmented_radix_sort_implINS0_14default_configELb0EPKaPaPKlPlN2at6native12_GLOBAL__N_18offset_tEEE10hipError_tPvRmT1_PNSt15iterator_traitsIS12_E10value_typeET2_T3_PNS13_IS18_E10value_typeET4_jRbjT5_S1E_jjP12ihipStream_tbEUljE_ZNSN_ISO_Lb0ESQ_SR_ST_SU_SY_EESZ_S10_S11_S12_S16_S17_S18_S1B_S1C_jS1D_jS1E_S1E_jjS1G_bEUljE0_EEESZ_S10_S11_S18_S1C_S1E_T6_T7_T9_mT8_S1G_bDpT10_ENKUlT_T0_E_clISt17integral_constantIbLb0EES1U_EEDaS1P_S1Q_EUlS1P_E_NS1_11comp_targetILNS1_3genE5ELNS1_11target_archE942ELNS1_3gpuE9ELNS1_3repE0EEENS1_30default_config_static_selectorELNS0_4arch9wavefront6targetE1EEEvS12_
		.amdhsa_group_segment_fixed_size 0
		.amdhsa_private_segment_fixed_size 0
		.amdhsa_kernarg_size 176
		.amdhsa_user_sgpr_count 6
		.amdhsa_user_sgpr_private_segment_buffer 1
		.amdhsa_user_sgpr_dispatch_ptr 0
		.amdhsa_user_sgpr_queue_ptr 0
		.amdhsa_user_sgpr_kernarg_segment_ptr 1
		.amdhsa_user_sgpr_dispatch_id 0
		.amdhsa_user_sgpr_flat_scratch_init 0
		.amdhsa_user_sgpr_kernarg_preload_length 0
		.amdhsa_user_sgpr_kernarg_preload_offset 0
		.amdhsa_user_sgpr_private_segment_size 0
		.amdhsa_uses_dynamic_stack 0
		.amdhsa_system_sgpr_private_segment_wavefront_offset 0
		.amdhsa_system_sgpr_workgroup_id_x 1
		.amdhsa_system_sgpr_workgroup_id_y 0
		.amdhsa_system_sgpr_workgroup_id_z 0
		.amdhsa_system_sgpr_workgroup_info 0
		.amdhsa_system_vgpr_workitem_id 0
		.amdhsa_next_free_vgpr 1
		.amdhsa_next_free_sgpr 0
		.amdhsa_accum_offset 4
		.amdhsa_reserve_vcc 0
		.amdhsa_reserve_flat_scratch 0
		.amdhsa_float_round_mode_32 0
		.amdhsa_float_round_mode_16_64 0
		.amdhsa_float_denorm_mode_32 3
		.amdhsa_float_denorm_mode_16_64 3
		.amdhsa_dx10_clamp 1
		.amdhsa_ieee_mode 1
		.amdhsa_fp16_overflow 0
		.amdhsa_tg_split 0
		.amdhsa_exception_fp_ieee_invalid_op 0
		.amdhsa_exception_fp_denorm_src 0
		.amdhsa_exception_fp_ieee_div_zero 0
		.amdhsa_exception_fp_ieee_overflow 0
		.amdhsa_exception_fp_ieee_underflow 0
		.amdhsa_exception_fp_ieee_inexact 0
		.amdhsa_exception_int_div_zero 0
	.end_amdhsa_kernel
	.section	.text._ZN7rocprim17ROCPRIM_400000_NS6detail17trampoline_kernelINS0_13select_configILj256ELj13ELNS0_17block_load_methodE3ELS4_3ELS4_3ELNS0_20block_scan_algorithmE0ELj4294967295EEENS1_25partition_config_selectorILNS1_17partition_subalgoE4EjNS0_10empty_typeEbEEZZNS1_14partition_implILS8_4ELb0ES6_15HIP_vector_typeIjLj2EENS0_17counting_iteratorIjlEEPS9_SG_NS0_5tupleIJPjSI_NS0_16reverse_iteratorISI_EEEEENSH_IJSG_SG_SG_EEES9_SI_JZNS1_25segmented_radix_sort_implINS0_14default_configELb0EPKaPaPKlPlN2at6native12_GLOBAL__N_18offset_tEEE10hipError_tPvRmT1_PNSt15iterator_traitsIS12_E10value_typeET2_T3_PNS13_IS18_E10value_typeET4_jRbjT5_S1E_jjP12ihipStream_tbEUljE_ZNSN_ISO_Lb0ESQ_SR_ST_SU_SY_EESZ_S10_S11_S12_S16_S17_S18_S1B_S1C_jS1D_jS1E_S1E_jjS1G_bEUljE0_EEESZ_S10_S11_S18_S1C_S1E_T6_T7_T9_mT8_S1G_bDpT10_ENKUlT_T0_E_clISt17integral_constantIbLb0EES1U_EEDaS1P_S1Q_EUlS1P_E_NS1_11comp_targetILNS1_3genE5ELNS1_11target_archE942ELNS1_3gpuE9ELNS1_3repE0EEENS1_30default_config_static_selectorELNS0_4arch9wavefront6targetE1EEEvS12_,"axG",@progbits,_ZN7rocprim17ROCPRIM_400000_NS6detail17trampoline_kernelINS0_13select_configILj256ELj13ELNS0_17block_load_methodE3ELS4_3ELS4_3ELNS0_20block_scan_algorithmE0ELj4294967295EEENS1_25partition_config_selectorILNS1_17partition_subalgoE4EjNS0_10empty_typeEbEEZZNS1_14partition_implILS8_4ELb0ES6_15HIP_vector_typeIjLj2EENS0_17counting_iteratorIjlEEPS9_SG_NS0_5tupleIJPjSI_NS0_16reverse_iteratorISI_EEEEENSH_IJSG_SG_SG_EEES9_SI_JZNS1_25segmented_radix_sort_implINS0_14default_configELb0EPKaPaPKlPlN2at6native12_GLOBAL__N_18offset_tEEE10hipError_tPvRmT1_PNSt15iterator_traitsIS12_E10value_typeET2_T3_PNS13_IS18_E10value_typeET4_jRbjT5_S1E_jjP12ihipStream_tbEUljE_ZNSN_ISO_Lb0ESQ_SR_ST_SU_SY_EESZ_S10_S11_S12_S16_S17_S18_S1B_S1C_jS1D_jS1E_S1E_jjS1G_bEUljE0_EEESZ_S10_S11_S18_S1C_S1E_T6_T7_T9_mT8_S1G_bDpT10_ENKUlT_T0_E_clISt17integral_constantIbLb0EES1U_EEDaS1P_S1Q_EUlS1P_E_NS1_11comp_targetILNS1_3genE5ELNS1_11target_archE942ELNS1_3gpuE9ELNS1_3repE0EEENS1_30default_config_static_selectorELNS0_4arch9wavefront6targetE1EEEvS12_,comdat
.Lfunc_end330:
	.size	_ZN7rocprim17ROCPRIM_400000_NS6detail17trampoline_kernelINS0_13select_configILj256ELj13ELNS0_17block_load_methodE3ELS4_3ELS4_3ELNS0_20block_scan_algorithmE0ELj4294967295EEENS1_25partition_config_selectorILNS1_17partition_subalgoE4EjNS0_10empty_typeEbEEZZNS1_14partition_implILS8_4ELb0ES6_15HIP_vector_typeIjLj2EENS0_17counting_iteratorIjlEEPS9_SG_NS0_5tupleIJPjSI_NS0_16reverse_iteratorISI_EEEEENSH_IJSG_SG_SG_EEES9_SI_JZNS1_25segmented_radix_sort_implINS0_14default_configELb0EPKaPaPKlPlN2at6native12_GLOBAL__N_18offset_tEEE10hipError_tPvRmT1_PNSt15iterator_traitsIS12_E10value_typeET2_T3_PNS13_IS18_E10value_typeET4_jRbjT5_S1E_jjP12ihipStream_tbEUljE_ZNSN_ISO_Lb0ESQ_SR_ST_SU_SY_EESZ_S10_S11_S12_S16_S17_S18_S1B_S1C_jS1D_jS1E_S1E_jjS1G_bEUljE0_EEESZ_S10_S11_S18_S1C_S1E_T6_T7_T9_mT8_S1G_bDpT10_ENKUlT_T0_E_clISt17integral_constantIbLb0EES1U_EEDaS1P_S1Q_EUlS1P_E_NS1_11comp_targetILNS1_3genE5ELNS1_11target_archE942ELNS1_3gpuE9ELNS1_3repE0EEENS1_30default_config_static_selectorELNS0_4arch9wavefront6targetE1EEEvS12_, .Lfunc_end330-_ZN7rocprim17ROCPRIM_400000_NS6detail17trampoline_kernelINS0_13select_configILj256ELj13ELNS0_17block_load_methodE3ELS4_3ELS4_3ELNS0_20block_scan_algorithmE0ELj4294967295EEENS1_25partition_config_selectorILNS1_17partition_subalgoE4EjNS0_10empty_typeEbEEZZNS1_14partition_implILS8_4ELb0ES6_15HIP_vector_typeIjLj2EENS0_17counting_iteratorIjlEEPS9_SG_NS0_5tupleIJPjSI_NS0_16reverse_iteratorISI_EEEEENSH_IJSG_SG_SG_EEES9_SI_JZNS1_25segmented_radix_sort_implINS0_14default_configELb0EPKaPaPKlPlN2at6native12_GLOBAL__N_18offset_tEEE10hipError_tPvRmT1_PNSt15iterator_traitsIS12_E10value_typeET2_T3_PNS13_IS18_E10value_typeET4_jRbjT5_S1E_jjP12ihipStream_tbEUljE_ZNSN_ISO_Lb0ESQ_SR_ST_SU_SY_EESZ_S10_S11_S12_S16_S17_S18_S1B_S1C_jS1D_jS1E_S1E_jjS1G_bEUljE0_EEESZ_S10_S11_S18_S1C_S1E_T6_T7_T9_mT8_S1G_bDpT10_ENKUlT_T0_E_clISt17integral_constantIbLb0EES1U_EEDaS1P_S1Q_EUlS1P_E_NS1_11comp_targetILNS1_3genE5ELNS1_11target_archE942ELNS1_3gpuE9ELNS1_3repE0EEENS1_30default_config_static_selectorELNS0_4arch9wavefront6targetE1EEEvS12_
                                        ; -- End function
	.section	.AMDGPU.csdata,"",@progbits
; Kernel info:
; codeLenInByte = 0
; NumSgprs: 4
; NumVgprs: 0
; NumAgprs: 0
; TotalNumVgprs: 0
; ScratchSize: 0
; MemoryBound: 0
; FloatMode: 240
; IeeeMode: 1
; LDSByteSize: 0 bytes/workgroup (compile time only)
; SGPRBlocks: 0
; VGPRBlocks: 0
; NumSGPRsForWavesPerEU: 4
; NumVGPRsForWavesPerEU: 1
; AccumOffset: 4
; Occupancy: 8
; WaveLimiterHint : 0
; COMPUTE_PGM_RSRC2:SCRATCH_EN: 0
; COMPUTE_PGM_RSRC2:USER_SGPR: 6
; COMPUTE_PGM_RSRC2:TRAP_HANDLER: 0
; COMPUTE_PGM_RSRC2:TGID_X_EN: 1
; COMPUTE_PGM_RSRC2:TGID_Y_EN: 0
; COMPUTE_PGM_RSRC2:TGID_Z_EN: 0
; COMPUTE_PGM_RSRC2:TIDIG_COMP_CNT: 0
; COMPUTE_PGM_RSRC3_GFX90A:ACCUM_OFFSET: 0
; COMPUTE_PGM_RSRC3_GFX90A:TG_SPLIT: 0
	.section	.text._ZN7rocprim17ROCPRIM_400000_NS6detail17trampoline_kernelINS0_13select_configILj256ELj13ELNS0_17block_load_methodE3ELS4_3ELS4_3ELNS0_20block_scan_algorithmE0ELj4294967295EEENS1_25partition_config_selectorILNS1_17partition_subalgoE4EjNS0_10empty_typeEbEEZZNS1_14partition_implILS8_4ELb0ES6_15HIP_vector_typeIjLj2EENS0_17counting_iteratorIjlEEPS9_SG_NS0_5tupleIJPjSI_NS0_16reverse_iteratorISI_EEEEENSH_IJSG_SG_SG_EEES9_SI_JZNS1_25segmented_radix_sort_implINS0_14default_configELb0EPKaPaPKlPlN2at6native12_GLOBAL__N_18offset_tEEE10hipError_tPvRmT1_PNSt15iterator_traitsIS12_E10value_typeET2_T3_PNS13_IS18_E10value_typeET4_jRbjT5_S1E_jjP12ihipStream_tbEUljE_ZNSN_ISO_Lb0ESQ_SR_ST_SU_SY_EESZ_S10_S11_S12_S16_S17_S18_S1B_S1C_jS1D_jS1E_S1E_jjS1G_bEUljE0_EEESZ_S10_S11_S18_S1C_S1E_T6_T7_T9_mT8_S1G_bDpT10_ENKUlT_T0_E_clISt17integral_constantIbLb0EES1U_EEDaS1P_S1Q_EUlS1P_E_NS1_11comp_targetILNS1_3genE4ELNS1_11target_archE910ELNS1_3gpuE8ELNS1_3repE0EEENS1_30default_config_static_selectorELNS0_4arch9wavefront6targetE1EEEvS12_,"axG",@progbits,_ZN7rocprim17ROCPRIM_400000_NS6detail17trampoline_kernelINS0_13select_configILj256ELj13ELNS0_17block_load_methodE3ELS4_3ELS4_3ELNS0_20block_scan_algorithmE0ELj4294967295EEENS1_25partition_config_selectorILNS1_17partition_subalgoE4EjNS0_10empty_typeEbEEZZNS1_14partition_implILS8_4ELb0ES6_15HIP_vector_typeIjLj2EENS0_17counting_iteratorIjlEEPS9_SG_NS0_5tupleIJPjSI_NS0_16reverse_iteratorISI_EEEEENSH_IJSG_SG_SG_EEES9_SI_JZNS1_25segmented_radix_sort_implINS0_14default_configELb0EPKaPaPKlPlN2at6native12_GLOBAL__N_18offset_tEEE10hipError_tPvRmT1_PNSt15iterator_traitsIS12_E10value_typeET2_T3_PNS13_IS18_E10value_typeET4_jRbjT5_S1E_jjP12ihipStream_tbEUljE_ZNSN_ISO_Lb0ESQ_SR_ST_SU_SY_EESZ_S10_S11_S12_S16_S17_S18_S1B_S1C_jS1D_jS1E_S1E_jjS1G_bEUljE0_EEESZ_S10_S11_S18_S1C_S1E_T6_T7_T9_mT8_S1G_bDpT10_ENKUlT_T0_E_clISt17integral_constantIbLb0EES1U_EEDaS1P_S1Q_EUlS1P_E_NS1_11comp_targetILNS1_3genE4ELNS1_11target_archE910ELNS1_3gpuE8ELNS1_3repE0EEENS1_30default_config_static_selectorELNS0_4arch9wavefront6targetE1EEEvS12_,comdat
	.globl	_ZN7rocprim17ROCPRIM_400000_NS6detail17trampoline_kernelINS0_13select_configILj256ELj13ELNS0_17block_load_methodE3ELS4_3ELS4_3ELNS0_20block_scan_algorithmE0ELj4294967295EEENS1_25partition_config_selectorILNS1_17partition_subalgoE4EjNS0_10empty_typeEbEEZZNS1_14partition_implILS8_4ELb0ES6_15HIP_vector_typeIjLj2EENS0_17counting_iteratorIjlEEPS9_SG_NS0_5tupleIJPjSI_NS0_16reverse_iteratorISI_EEEEENSH_IJSG_SG_SG_EEES9_SI_JZNS1_25segmented_radix_sort_implINS0_14default_configELb0EPKaPaPKlPlN2at6native12_GLOBAL__N_18offset_tEEE10hipError_tPvRmT1_PNSt15iterator_traitsIS12_E10value_typeET2_T3_PNS13_IS18_E10value_typeET4_jRbjT5_S1E_jjP12ihipStream_tbEUljE_ZNSN_ISO_Lb0ESQ_SR_ST_SU_SY_EESZ_S10_S11_S12_S16_S17_S18_S1B_S1C_jS1D_jS1E_S1E_jjS1G_bEUljE0_EEESZ_S10_S11_S18_S1C_S1E_T6_T7_T9_mT8_S1G_bDpT10_ENKUlT_T0_E_clISt17integral_constantIbLb0EES1U_EEDaS1P_S1Q_EUlS1P_E_NS1_11comp_targetILNS1_3genE4ELNS1_11target_archE910ELNS1_3gpuE8ELNS1_3repE0EEENS1_30default_config_static_selectorELNS0_4arch9wavefront6targetE1EEEvS12_ ; -- Begin function _ZN7rocprim17ROCPRIM_400000_NS6detail17trampoline_kernelINS0_13select_configILj256ELj13ELNS0_17block_load_methodE3ELS4_3ELS4_3ELNS0_20block_scan_algorithmE0ELj4294967295EEENS1_25partition_config_selectorILNS1_17partition_subalgoE4EjNS0_10empty_typeEbEEZZNS1_14partition_implILS8_4ELb0ES6_15HIP_vector_typeIjLj2EENS0_17counting_iteratorIjlEEPS9_SG_NS0_5tupleIJPjSI_NS0_16reverse_iteratorISI_EEEEENSH_IJSG_SG_SG_EEES9_SI_JZNS1_25segmented_radix_sort_implINS0_14default_configELb0EPKaPaPKlPlN2at6native12_GLOBAL__N_18offset_tEEE10hipError_tPvRmT1_PNSt15iterator_traitsIS12_E10value_typeET2_T3_PNS13_IS18_E10value_typeET4_jRbjT5_S1E_jjP12ihipStream_tbEUljE_ZNSN_ISO_Lb0ESQ_SR_ST_SU_SY_EESZ_S10_S11_S12_S16_S17_S18_S1B_S1C_jS1D_jS1E_S1E_jjS1G_bEUljE0_EEESZ_S10_S11_S18_S1C_S1E_T6_T7_T9_mT8_S1G_bDpT10_ENKUlT_T0_E_clISt17integral_constantIbLb0EES1U_EEDaS1P_S1Q_EUlS1P_E_NS1_11comp_targetILNS1_3genE4ELNS1_11target_archE910ELNS1_3gpuE8ELNS1_3repE0EEENS1_30default_config_static_selectorELNS0_4arch9wavefront6targetE1EEEvS12_
	.p2align	8
	.type	_ZN7rocprim17ROCPRIM_400000_NS6detail17trampoline_kernelINS0_13select_configILj256ELj13ELNS0_17block_load_methodE3ELS4_3ELS4_3ELNS0_20block_scan_algorithmE0ELj4294967295EEENS1_25partition_config_selectorILNS1_17partition_subalgoE4EjNS0_10empty_typeEbEEZZNS1_14partition_implILS8_4ELb0ES6_15HIP_vector_typeIjLj2EENS0_17counting_iteratorIjlEEPS9_SG_NS0_5tupleIJPjSI_NS0_16reverse_iteratorISI_EEEEENSH_IJSG_SG_SG_EEES9_SI_JZNS1_25segmented_radix_sort_implINS0_14default_configELb0EPKaPaPKlPlN2at6native12_GLOBAL__N_18offset_tEEE10hipError_tPvRmT1_PNSt15iterator_traitsIS12_E10value_typeET2_T3_PNS13_IS18_E10value_typeET4_jRbjT5_S1E_jjP12ihipStream_tbEUljE_ZNSN_ISO_Lb0ESQ_SR_ST_SU_SY_EESZ_S10_S11_S12_S16_S17_S18_S1B_S1C_jS1D_jS1E_S1E_jjS1G_bEUljE0_EEESZ_S10_S11_S18_S1C_S1E_T6_T7_T9_mT8_S1G_bDpT10_ENKUlT_T0_E_clISt17integral_constantIbLb0EES1U_EEDaS1P_S1Q_EUlS1P_E_NS1_11comp_targetILNS1_3genE4ELNS1_11target_archE910ELNS1_3gpuE8ELNS1_3repE0EEENS1_30default_config_static_selectorELNS0_4arch9wavefront6targetE1EEEvS12_,@function
_ZN7rocprim17ROCPRIM_400000_NS6detail17trampoline_kernelINS0_13select_configILj256ELj13ELNS0_17block_load_methodE3ELS4_3ELS4_3ELNS0_20block_scan_algorithmE0ELj4294967295EEENS1_25partition_config_selectorILNS1_17partition_subalgoE4EjNS0_10empty_typeEbEEZZNS1_14partition_implILS8_4ELb0ES6_15HIP_vector_typeIjLj2EENS0_17counting_iteratorIjlEEPS9_SG_NS0_5tupleIJPjSI_NS0_16reverse_iteratorISI_EEEEENSH_IJSG_SG_SG_EEES9_SI_JZNS1_25segmented_radix_sort_implINS0_14default_configELb0EPKaPaPKlPlN2at6native12_GLOBAL__N_18offset_tEEE10hipError_tPvRmT1_PNSt15iterator_traitsIS12_E10value_typeET2_T3_PNS13_IS18_E10value_typeET4_jRbjT5_S1E_jjP12ihipStream_tbEUljE_ZNSN_ISO_Lb0ESQ_SR_ST_SU_SY_EESZ_S10_S11_S12_S16_S17_S18_S1B_S1C_jS1D_jS1E_S1E_jjS1G_bEUljE0_EEESZ_S10_S11_S18_S1C_S1E_T6_T7_T9_mT8_S1G_bDpT10_ENKUlT_T0_E_clISt17integral_constantIbLb0EES1U_EEDaS1P_S1Q_EUlS1P_E_NS1_11comp_targetILNS1_3genE4ELNS1_11target_archE910ELNS1_3gpuE8ELNS1_3repE0EEENS1_30default_config_static_selectorELNS0_4arch9wavefront6targetE1EEEvS12_: ; @_ZN7rocprim17ROCPRIM_400000_NS6detail17trampoline_kernelINS0_13select_configILj256ELj13ELNS0_17block_load_methodE3ELS4_3ELS4_3ELNS0_20block_scan_algorithmE0ELj4294967295EEENS1_25partition_config_selectorILNS1_17partition_subalgoE4EjNS0_10empty_typeEbEEZZNS1_14partition_implILS8_4ELb0ES6_15HIP_vector_typeIjLj2EENS0_17counting_iteratorIjlEEPS9_SG_NS0_5tupleIJPjSI_NS0_16reverse_iteratorISI_EEEEENSH_IJSG_SG_SG_EEES9_SI_JZNS1_25segmented_radix_sort_implINS0_14default_configELb0EPKaPaPKlPlN2at6native12_GLOBAL__N_18offset_tEEE10hipError_tPvRmT1_PNSt15iterator_traitsIS12_E10value_typeET2_T3_PNS13_IS18_E10value_typeET4_jRbjT5_S1E_jjP12ihipStream_tbEUljE_ZNSN_ISO_Lb0ESQ_SR_ST_SU_SY_EESZ_S10_S11_S12_S16_S17_S18_S1B_S1C_jS1D_jS1E_S1E_jjS1G_bEUljE0_EEESZ_S10_S11_S18_S1C_S1E_T6_T7_T9_mT8_S1G_bDpT10_ENKUlT_T0_E_clISt17integral_constantIbLb0EES1U_EEDaS1P_S1Q_EUlS1P_E_NS1_11comp_targetILNS1_3genE4ELNS1_11target_archE910ELNS1_3gpuE8ELNS1_3repE0EEENS1_30default_config_static_selectorELNS0_4arch9wavefront6targetE1EEEvS12_
; %bb.0:
	s_load_dwordx2 s[0:1], s[4:5], 0x68
	s_load_dword s7, s[4:5], 0x8
	s_load_dwordx2 s[56:57], s[4:5], 0x10
	s_load_dwordx4 s[44:47], s[4:5], 0x58
	s_mul_i32 s33, s6, 0xd00
	s_waitcnt lgkmcnt(0)
	v_mov_b32_e32 v3, s1
	v_mov_b32_e32 v2, s0
	s_load_dword s1, s[4:5], 0x80
	s_load_dwordx2 s[60:61], s[4:5], 0xa8
	s_load_dwordx8 s[36:43], s[4:5], 0x88
	s_load_dwordx4 s[48:51], s[46:47], 0x0
	s_waitcnt lgkmcnt(0)
	s_add_i32 s8, s1, -1
	s_mulk_i32 s1, 0xd00
	s_add_u32 s2, s56, s1
	s_addc_u32 s3, s57, 0
	s_cmp_eq_u32 s6, s8
	s_cselect_b64 s[30:31], -1, 0
	s_cmp_lg_u32 s6, s8
	v_cmp_lt_u64_e32 vcc, s[2:3], v[2:3]
	s_cselect_b64 s[2:3], -1, 0
	s_add_i32 s7, s7, s33
	s_or_b64 s[2:3], s[2:3], vcc
	s_add_i32 s7, s7, s56
	v_add_u32_e32 v1, s7, v0
	s_mov_b64 s[8:9], -1
	s_and_b64 vcc, exec, s[2:3]
	s_cbranch_vccz .LBB331_2
; %bb.1:
	v_add_u32_e32 v2, 0x100, v1
	v_lshlrev_b32_e32 v14, 2, v0
	v_add_u32_e32 v3, 0x200, v1
	v_add_u32_e32 v4, 0x300, v1
	;; [unrolled: 1-line block ×11, first 2 shown]
	ds_write2st64_b32 v14, v1, v2 offset1:4
	ds_write2st64_b32 v14, v3, v4 offset0:8 offset1:12
	ds_write2st64_b32 v14, v5, v6 offset0:16 offset1:20
	;; [unrolled: 1-line block ×5, first 2 shown]
	ds_write_b32 v14, v13 offset:12288
	s_waitcnt lgkmcnt(0)
	s_barrier
	s_mov_b64 s[8:9], 0
.LBB331_2:
	s_andn2_b64 vcc, exec, s[8:9]
	s_add_i32 s1, s1, s56
	s_cbranch_vccnz .LBB331_4
; %bb.3:
	v_add_u32_e32 v2, 0x100, v1
	v_lshlrev_b32_e32 v14, 2, v0
	v_add_u32_e32 v3, 0x200, v1
	v_add_u32_e32 v4, 0x300, v1
	;; [unrolled: 1-line block ×11, first 2 shown]
	ds_write2st64_b32 v14, v1, v2 offset1:4
	ds_write2st64_b32 v14, v3, v4 offset0:8 offset1:12
	ds_write2st64_b32 v14, v5, v6 offset0:16 offset1:20
	;; [unrolled: 1-line block ×5, first 2 shown]
	ds_write_b32 v14, v13 offset:12288
	s_waitcnt lgkmcnt(0)
	s_barrier
.LBB331_4:
	v_mul_u32_u24_e32 v31, 13, v0
	v_lshlrev_b32_e32 v1, 2, v31
	s_load_dwordx4 s[52:55], s[4:5], 0x28
	s_load_dwordx2 s[34:35], s[4:5], 0x38
	s_waitcnt lgkmcnt(0)
	ds_read2_b32 v[18:19], v1 offset1:1
	ds_read2_b32 v[16:17], v1 offset0:2 offset1:3
	ds_read2_b32 v[14:15], v1 offset0:4 offset1:5
	;; [unrolled: 1-line block ×5, first 2 shown]
	ds_read_b32 v30, v1 offset:48
	v_cndmask_b32_e64 v1, 0, 1, s[2:3]
	s_sub_i32 s7, s0, s1
	v_cmp_ne_u32_e64 s[0:1], 1, v1
	s_andn2_b64 vcc, exec, s[2:3]
	s_waitcnt lgkmcnt(0)
	s_barrier
	s_cbranch_vccnz .LBB331_32
; %bb.5:
	v_add_u32_e32 v1, s37, v18
	v_add_u32_e32 v2, s39, v18
	v_mul_lo_u32 v1, v1, s36
	v_mul_lo_u32 v2, v2, s38
	v_sub_u32_e32 v1, v1, v2
	v_cmp_lt_u32_e32 vcc, s40, v1
	v_cmp_ge_u32_e64 s[2:3], s40, v1
	s_mov_b64 s[64:65], 0
	s_mov_b64 s[62:63], 0
	s_and_saveexec_b64 s[8:9], s[2:3]
; %bb.6:
	v_add_u32_e32 v1, s42, v18
	v_add_u32_e32 v2, s60, v18
	v_mul_lo_u32 v1, v1, s41
	v_mul_lo_u32 v2, v2, s43
	v_sub_u32_e32 v1, v1, v2
	v_cmp_lt_u32_e64 s[2:3], s61, v1
	s_and_b64 s[62:63], s[2:3], exec
; %bb.7:
	s_or_b64 exec, exec, s[8:9]
	v_add_u32_e32 v1, s37, v19
	v_add_u32_e32 v2, s39, v19
	v_mul_lo_u32 v1, v1, s36
	v_mul_lo_u32 v2, v2, s38
	v_sub_u32_e32 v1, v1, v2
	v_cmp_lt_u32_e64 s[2:3], s40, v1
	v_cmp_ge_u32_e64 s[8:9], s40, v1
	s_and_saveexec_b64 s[10:11], s[8:9]
; %bb.8:
	v_add_u32_e32 v1, s42, v19
	v_add_u32_e32 v2, s60, v19
	v_mul_lo_u32 v1, v1, s41
	v_mul_lo_u32 v2, v2, s43
	v_sub_u32_e32 v1, v1, v2
	v_cmp_lt_u32_e64 s[8:9], s61, v1
	s_and_b64 s[64:65], s[8:9], exec
; %bb.9:
	s_or_b64 exec, exec, s[10:11]
	v_add_u32_e32 v1, s37, v16
	v_add_u32_e32 v2, s39, v16
	v_mul_lo_u32 v1, v1, s36
	v_mul_lo_u32 v2, v2, s38
	v_sub_u32_e32 v1, v1, v2
	v_cmp_lt_u32_e64 s[26:27], s40, v1
	v_cmp_ge_u32_e64 s[8:9], s40, v1
	s_mov_b64 s[68:69], 0
	s_mov_b64 s[66:67], 0
	s_and_saveexec_b64 s[10:11], s[8:9]
; %bb.10:
	v_add_u32_e32 v1, s42, v16
	v_add_u32_e32 v2, s60, v16
	v_mul_lo_u32 v1, v1, s41
	v_mul_lo_u32 v2, v2, s43
	v_sub_u32_e32 v1, v1, v2
	v_cmp_lt_u32_e64 s[8:9], s61, v1
	s_and_b64 s[66:67], s[8:9], exec
; %bb.11:
	s_or_b64 exec, exec, s[10:11]
	v_add_u32_e32 v1, s37, v17
	v_add_u32_e32 v2, s39, v17
	v_mul_lo_u32 v1, v1, s36
	v_mul_lo_u32 v2, v2, s38
	v_sub_u32_e32 v1, v1, v2
	v_cmp_lt_u32_e64 s[8:9], s40, v1
	v_cmp_ge_u32_e64 s[10:11], s40, v1
	s_and_saveexec_b64 s[12:13], s[10:11]
; %bb.12:
	v_add_u32_e32 v1, s42, v17
	v_add_u32_e32 v2, s60, v17
	v_mul_lo_u32 v1, v1, s41
	v_mul_lo_u32 v2, v2, s43
	v_sub_u32_e32 v1, v1, v2
	v_cmp_lt_u32_e64 s[10:11], s61, v1
	s_and_b64 s[68:69], s[10:11], exec
; %bb.13:
	s_or_b64 exec, exec, s[12:13]
	v_add_u32_e32 v1, s37, v14
	v_add_u32_e32 v2, s39, v14
	v_mul_lo_u32 v1, v1, s36
	v_mul_lo_u32 v2, v2, s38
	v_sub_u32_e32 v1, v1, v2
	v_cmp_lt_u32_e64 s[10:11], s40, v1
	;; [unrolled: 38-line block ×5, first 2 shown]
	v_cmp_ge_u32_e64 s[24:25], s40, v1
	s_mov_b64 s[84:85], 0
	s_mov_b64 s[86:87], 0
	s_and_saveexec_b64 s[28:29], s[24:25]
; %bb.26:
	v_add_u32_e32 v1, s42, v8
	v_add_u32_e32 v2, s60, v8
	v_mul_lo_u32 v1, v1, s41
	v_mul_lo_u32 v2, v2, s43
	v_sub_u32_e32 v1, v1, v2
	v_cmp_lt_u32_e64 s[24:25], s61, v1
	s_and_b64 s[86:87], s[24:25], exec
; %bb.27:
	s_or_b64 exec, exec, s[28:29]
	v_add_u32_e32 v1, s37, v9
	v_add_u32_e32 v2, s39, v9
	v_mul_lo_u32 v1, v1, s36
	v_mul_lo_u32 v2, v2, s38
	v_sub_u32_e32 v1, v1, v2
	v_cmp_lt_u32_e64 s[24:25], s40, v1
	v_cmp_ge_u32_e64 s[28:29], s40, v1
	s_and_saveexec_b64 s[46:47], s[28:29]
; %bb.28:
	v_add_u32_e32 v1, s42, v9
	v_add_u32_e32 v2, s60, v9
	v_mul_lo_u32 v1, v1, s41
	v_mul_lo_u32 v2, v2, s43
	v_sub_u32_e32 v1, v1, v2
	v_cmp_lt_u32_e64 s[28:29], s61, v1
	s_and_b64 s[84:85], s[28:29], exec
; %bb.29:
	s_or_b64 exec, exec, s[46:47]
	v_add_u32_e32 v1, s37, v30
	v_add_u32_e32 v2, s39, v30
	v_mul_lo_u32 v1, v1, s36
	v_mul_lo_u32 v2, v2, s38
	v_sub_u32_e32 v1, v1, v2
	v_cmp_ge_u32_e64 s[28:29], s40, v1
	s_mov_b64 s[46:47], -1
	s_mov_b64 s[78:79], 0
	s_mov_b64 s[58:59], 0
	s_and_saveexec_b64 s[88:89], s[28:29]
; %bb.30:
	v_add_u32_e32 v1, s42, v30
	v_add_u32_e32 v2, s60, v30
	v_mul_lo_u32 v1, v1, s41
	v_mul_lo_u32 v2, v2, s43
	v_sub_u32_e32 v1, v1, v2
	v_cmp_lt_u32_e64 s[28:29], s61, v1
	s_and_b64 s[58:59], s[28:29], exec
	s_xor_b64 s[46:47], exec, -1
; %bb.31:
	s_or_b64 exec, exec, s[88:89]
	v_cndmask_b32_e64 v52, 0, 1, s[86:87]
	v_cndmask_b32_e64 v55, 0, 1, s[24:25]
	;; [unrolled: 1-line block ×22, first 2 shown]
	v_cndmask_b32_e64 v32, 0, 1, vcc
	v_cndmask_b32_e64 v54, 0, 1, s[84:85]
	s_load_dwordx2 s[12:13], s[4:5], 0x78
	s_add_i32 s18, s7, 0xd00
	s_and_b64 vcc, exec, s[78:79]
	s_cbranch_vccnz .LBB331_33
	s_branch .LBB331_86
.LBB331_32:
                                        ; implicit-def: $sgpr46_sgpr47
                                        ; implicit-def: $sgpr58_sgpr59
                                        ; implicit-def: $vgpr54
                                        ; implicit-def: $vgpr52
                                        ; implicit-def: $vgpr50
                                        ; implicit-def: $vgpr48
                                        ; implicit-def: $vgpr46
                                        ; implicit-def: $vgpr44
                                        ; implicit-def: $vgpr42
                                        ; implicit-def: $vgpr40
                                        ; implicit-def: $vgpr38
                                        ; implicit-def: $vgpr32
                                        ; implicit-def: $vgpr34
                                        ; implicit-def: $vgpr36
                                        ; implicit-def: $vgpr39
                                        ; implicit-def: $vgpr41
                                        ; implicit-def: $vgpr43
                                        ; implicit-def: $vgpr45
                                        ; implicit-def: $vgpr47
                                        ; implicit-def: $vgpr49
                                        ; implicit-def: $vgpr51
                                        ; implicit-def: $vgpr53
                                        ; implicit-def: $vgpr55
                                        ; implicit-def: $vgpr33
                                        ; implicit-def: $vgpr35
                                        ; implicit-def: $vgpr37
	s_load_dwordx2 s[12:13], s[4:5], 0x78
	s_add_i32 s18, s7, 0xd00
	s_cbranch_execz .LBB331_86
.LBB331_33:
	v_cmp_gt_u32_e32 vcc, s18, v31
	v_mov_b32_e32 v33, 0
	v_mov_b32_e32 v32, 0
	s_and_saveexec_b64 s[4:5], vcc
	s_cbranch_execz .LBB331_37
; %bb.34:
	v_add_u32_e32 v1, s37, v18
	v_add_u32_e32 v2, s39, v18
	v_mul_lo_u32 v1, v1, s36
	v_mul_lo_u32 v2, v2, s38
	v_sub_u32_e32 v1, v1, v2
	v_cmp_lt_u32_e32 vcc, s40, v1
	v_cmp_ge_u32_e64 s[2:3], s40, v1
	s_mov_b64 s[10:11], 0
	s_and_saveexec_b64 s[8:9], s[2:3]
; %bb.35:
	v_add_u32_e32 v1, s42, v18
	v_add_u32_e32 v2, s60, v18
	v_mul_lo_u32 v1, v1, s41
	v_mul_lo_u32 v2, v2, s43
	v_sub_u32_e32 v1, v1, v2
	v_cmp_lt_u32_e64 s[2:3], s61, v1
	s_and_b64 s[10:11], s[2:3], exec
; %bb.36:
	s_or_b64 exec, exec, s[8:9]
	v_cndmask_b32_e64 v32, 0, 1, vcc
	v_cndmask_b32_e64 v33, 0, 1, s[10:11]
.LBB331_37:
	s_or_b64 exec, exec, s[4:5]
	v_add_u32_e32 v1, 1, v31
	v_cmp_gt_u32_e32 vcc, s18, v1
	v_mov_b32_e32 v34, 0
	v_mov_b32_e32 v35, 0
	s_and_saveexec_b64 s[4:5], vcc
	s_cbranch_execz .LBB331_41
; %bb.38:
	v_add_u32_e32 v1, s37, v19
	v_add_u32_e32 v2, s39, v19
	v_mul_lo_u32 v1, v1, s36
	v_mul_lo_u32 v2, v2, s38
	v_sub_u32_e32 v1, v1, v2
	v_cmp_lt_u32_e32 vcc, s40, v1
	v_cmp_ge_u32_e64 s[2:3], s40, v1
	s_mov_b64 s[10:11], 0
	s_and_saveexec_b64 s[8:9], s[2:3]
; %bb.39:
	v_add_u32_e32 v1, s42, v19
	v_add_u32_e32 v2, s60, v19
	v_mul_lo_u32 v1, v1, s41
	v_mul_lo_u32 v2, v2, s43
	v_sub_u32_e32 v1, v1, v2
	v_cmp_lt_u32_e64 s[2:3], s61, v1
	s_and_b64 s[10:11], s[2:3], exec
; %bb.40:
	s_or_b64 exec, exec, s[8:9]
	v_cndmask_b32_e64 v34, 0, 1, vcc
	v_cndmask_b32_e64 v35, 0, 1, s[10:11]
.LBB331_41:
	s_or_b64 exec, exec, s[4:5]
	v_add_u32_e32 v1, 2, v31
	v_cmp_gt_u32_e32 vcc, s18, v1
	v_mov_b32_e32 v36, 0
	v_mov_b32_e32 v37, 0
	s_and_saveexec_b64 s[4:5], vcc
	s_cbranch_execz .LBB331_45
; %bb.42:
	v_add_u32_e32 v1, s37, v16
	v_add_u32_e32 v2, s39, v16
	v_mul_lo_u32 v1, v1, s36
	v_mul_lo_u32 v2, v2, s38
	v_sub_u32_e32 v1, v1, v2
	v_cmp_lt_u32_e32 vcc, s40, v1
	v_cmp_ge_u32_e64 s[2:3], s40, v1
	s_mov_b64 s[10:11], 0
	s_and_saveexec_b64 s[8:9], s[2:3]
; %bb.43:
	v_add_u32_e32 v1, s42, v16
	v_add_u32_e32 v2, s60, v16
	v_mul_lo_u32 v1, v1, s41
	v_mul_lo_u32 v2, v2, s43
	v_sub_u32_e32 v1, v1, v2
	v_cmp_lt_u32_e64 s[2:3], s61, v1
	s_and_b64 s[10:11], s[2:3], exec
; %bb.44:
	s_or_b64 exec, exec, s[8:9]
	v_cndmask_b32_e64 v36, 0, 1, vcc
	v_cndmask_b32_e64 v37, 0, 1, s[10:11]
.LBB331_45:
	s_or_b64 exec, exec, s[4:5]
	v_add_u32_e32 v1, 3, v31
	v_cmp_gt_u32_e32 vcc, s18, v1
	v_mov_b32_e32 v38, 0
	v_mov_b32_e32 v39, 0
	s_and_saveexec_b64 s[4:5], vcc
	s_cbranch_execz .LBB331_49
; %bb.46:
	v_add_u32_e32 v1, s37, v17
	v_add_u32_e32 v2, s39, v17
	v_mul_lo_u32 v1, v1, s36
	v_mul_lo_u32 v2, v2, s38
	v_sub_u32_e32 v1, v1, v2
	v_cmp_lt_u32_e32 vcc, s40, v1
	v_cmp_ge_u32_e64 s[2:3], s40, v1
	s_mov_b64 s[10:11], 0
	s_and_saveexec_b64 s[8:9], s[2:3]
; %bb.47:
	v_add_u32_e32 v1, s42, v17
	v_add_u32_e32 v2, s60, v17
	v_mul_lo_u32 v1, v1, s41
	v_mul_lo_u32 v2, v2, s43
	v_sub_u32_e32 v1, v1, v2
	v_cmp_lt_u32_e64 s[2:3], s61, v1
	s_and_b64 s[10:11], s[2:3], exec
; %bb.48:
	s_or_b64 exec, exec, s[8:9]
	v_cndmask_b32_e64 v39, 0, 1, vcc
	v_cndmask_b32_e64 v38, 0, 1, s[10:11]
.LBB331_49:
	s_or_b64 exec, exec, s[4:5]
	v_add_u32_e32 v1, 4, v31
	v_cmp_gt_u32_e32 vcc, s18, v1
	v_mov_b32_e32 v40, 0
	v_mov_b32_e32 v41, 0
	s_and_saveexec_b64 s[4:5], vcc
	s_cbranch_execz .LBB331_53
; %bb.50:
	v_add_u32_e32 v1, s37, v14
	v_add_u32_e32 v2, s39, v14
	v_mul_lo_u32 v1, v1, s36
	v_mul_lo_u32 v2, v2, s38
	v_sub_u32_e32 v1, v1, v2
	v_cmp_lt_u32_e32 vcc, s40, v1
	v_cmp_ge_u32_e64 s[2:3], s40, v1
	s_mov_b64 s[10:11], 0
	s_and_saveexec_b64 s[8:9], s[2:3]
; %bb.51:
	v_add_u32_e32 v1, s42, v14
	v_add_u32_e32 v2, s60, v14
	v_mul_lo_u32 v1, v1, s41
	v_mul_lo_u32 v2, v2, s43
	v_sub_u32_e32 v1, v1, v2
	v_cmp_lt_u32_e64 s[2:3], s61, v1
	s_and_b64 s[10:11], s[2:3], exec
; %bb.52:
	s_or_b64 exec, exec, s[8:9]
	v_cndmask_b32_e64 v41, 0, 1, vcc
	v_cndmask_b32_e64 v40, 0, 1, s[10:11]
.LBB331_53:
	s_or_b64 exec, exec, s[4:5]
	v_add_u32_e32 v1, 5, v31
	v_cmp_gt_u32_e32 vcc, s18, v1
	v_mov_b32_e32 v42, 0
	v_mov_b32_e32 v43, 0
	s_and_saveexec_b64 s[4:5], vcc
	s_cbranch_execz .LBB331_57
; %bb.54:
	v_add_u32_e32 v1, s37, v15
	v_add_u32_e32 v2, s39, v15
	v_mul_lo_u32 v1, v1, s36
	v_mul_lo_u32 v2, v2, s38
	v_sub_u32_e32 v1, v1, v2
	v_cmp_lt_u32_e32 vcc, s40, v1
	v_cmp_ge_u32_e64 s[2:3], s40, v1
	s_mov_b64 s[10:11], 0
	s_and_saveexec_b64 s[8:9], s[2:3]
; %bb.55:
	v_add_u32_e32 v1, s42, v15
	v_add_u32_e32 v2, s60, v15
	v_mul_lo_u32 v1, v1, s41
	v_mul_lo_u32 v2, v2, s43
	v_sub_u32_e32 v1, v1, v2
	v_cmp_lt_u32_e64 s[2:3], s61, v1
	s_and_b64 s[10:11], s[2:3], exec
; %bb.56:
	s_or_b64 exec, exec, s[8:9]
	v_cndmask_b32_e64 v43, 0, 1, vcc
	v_cndmask_b32_e64 v42, 0, 1, s[10:11]
.LBB331_57:
	s_or_b64 exec, exec, s[4:5]
	v_add_u32_e32 v1, 6, v31
	v_cmp_gt_u32_e32 vcc, s18, v1
	v_mov_b32_e32 v44, 0
	v_mov_b32_e32 v45, 0
	s_and_saveexec_b64 s[4:5], vcc
	s_cbranch_execz .LBB331_61
; %bb.58:
	v_add_u32_e32 v1, s37, v12
	v_add_u32_e32 v2, s39, v12
	v_mul_lo_u32 v1, v1, s36
	v_mul_lo_u32 v2, v2, s38
	v_sub_u32_e32 v1, v1, v2
	v_cmp_lt_u32_e32 vcc, s40, v1
	v_cmp_ge_u32_e64 s[2:3], s40, v1
	s_mov_b64 s[10:11], 0
	s_and_saveexec_b64 s[8:9], s[2:3]
; %bb.59:
	v_add_u32_e32 v1, s42, v12
	v_add_u32_e32 v2, s60, v12
	v_mul_lo_u32 v1, v1, s41
	v_mul_lo_u32 v2, v2, s43
	v_sub_u32_e32 v1, v1, v2
	v_cmp_lt_u32_e64 s[2:3], s61, v1
	s_and_b64 s[10:11], s[2:3], exec
; %bb.60:
	s_or_b64 exec, exec, s[8:9]
	v_cndmask_b32_e64 v45, 0, 1, vcc
	v_cndmask_b32_e64 v44, 0, 1, s[10:11]
.LBB331_61:
	s_or_b64 exec, exec, s[4:5]
	v_add_u32_e32 v1, 7, v31
	v_cmp_gt_u32_e32 vcc, s18, v1
	v_mov_b32_e32 v46, 0
	v_mov_b32_e32 v47, 0
	s_and_saveexec_b64 s[4:5], vcc
	s_cbranch_execz .LBB331_65
; %bb.62:
	v_add_u32_e32 v1, s37, v13
	v_add_u32_e32 v2, s39, v13
	v_mul_lo_u32 v1, v1, s36
	v_mul_lo_u32 v2, v2, s38
	v_sub_u32_e32 v1, v1, v2
	v_cmp_lt_u32_e32 vcc, s40, v1
	v_cmp_ge_u32_e64 s[2:3], s40, v1
	s_mov_b64 s[10:11], 0
	s_and_saveexec_b64 s[8:9], s[2:3]
; %bb.63:
	v_add_u32_e32 v1, s42, v13
	v_add_u32_e32 v2, s60, v13
	v_mul_lo_u32 v1, v1, s41
	v_mul_lo_u32 v2, v2, s43
	v_sub_u32_e32 v1, v1, v2
	v_cmp_lt_u32_e64 s[2:3], s61, v1
	s_and_b64 s[10:11], s[2:3], exec
; %bb.64:
	s_or_b64 exec, exec, s[8:9]
	v_cndmask_b32_e64 v47, 0, 1, vcc
	v_cndmask_b32_e64 v46, 0, 1, s[10:11]
.LBB331_65:
	s_or_b64 exec, exec, s[4:5]
	v_add_u32_e32 v1, 8, v31
	v_cmp_gt_u32_e32 vcc, s18, v1
	v_mov_b32_e32 v48, 0
	v_mov_b32_e32 v49, 0
	s_and_saveexec_b64 s[4:5], vcc
	s_cbranch_execz .LBB331_69
; %bb.66:
	v_add_u32_e32 v1, s37, v10
	v_add_u32_e32 v2, s39, v10
	v_mul_lo_u32 v1, v1, s36
	v_mul_lo_u32 v2, v2, s38
	v_sub_u32_e32 v1, v1, v2
	v_cmp_lt_u32_e32 vcc, s40, v1
	v_cmp_ge_u32_e64 s[2:3], s40, v1
	s_mov_b64 s[10:11], 0
	s_and_saveexec_b64 s[8:9], s[2:3]
; %bb.67:
	v_add_u32_e32 v1, s42, v10
	v_add_u32_e32 v2, s60, v10
	v_mul_lo_u32 v1, v1, s41
	v_mul_lo_u32 v2, v2, s43
	v_sub_u32_e32 v1, v1, v2
	v_cmp_lt_u32_e64 s[2:3], s61, v1
	s_and_b64 s[10:11], s[2:3], exec
; %bb.68:
	s_or_b64 exec, exec, s[8:9]
	v_cndmask_b32_e64 v49, 0, 1, vcc
	v_cndmask_b32_e64 v48, 0, 1, s[10:11]
.LBB331_69:
	s_or_b64 exec, exec, s[4:5]
	v_add_u32_e32 v1, 9, v31
	v_cmp_gt_u32_e32 vcc, s18, v1
	v_mov_b32_e32 v50, 0
	v_mov_b32_e32 v51, 0
	s_and_saveexec_b64 s[4:5], vcc
	s_cbranch_execz .LBB331_73
; %bb.70:
	v_add_u32_e32 v1, s37, v11
	v_add_u32_e32 v2, s39, v11
	v_mul_lo_u32 v1, v1, s36
	v_mul_lo_u32 v2, v2, s38
	v_sub_u32_e32 v1, v1, v2
	v_cmp_lt_u32_e32 vcc, s40, v1
	v_cmp_ge_u32_e64 s[2:3], s40, v1
	s_mov_b64 s[10:11], 0
	s_and_saveexec_b64 s[8:9], s[2:3]
; %bb.71:
	v_add_u32_e32 v1, s42, v11
	v_add_u32_e32 v2, s60, v11
	v_mul_lo_u32 v1, v1, s41
	v_mul_lo_u32 v2, v2, s43
	v_sub_u32_e32 v1, v1, v2
	v_cmp_lt_u32_e64 s[2:3], s61, v1
	s_and_b64 s[10:11], s[2:3], exec
; %bb.72:
	s_or_b64 exec, exec, s[8:9]
	v_cndmask_b32_e64 v51, 0, 1, vcc
	v_cndmask_b32_e64 v50, 0, 1, s[10:11]
.LBB331_73:
	s_or_b64 exec, exec, s[4:5]
	v_add_u32_e32 v1, 10, v31
	v_cmp_gt_u32_e32 vcc, s18, v1
	v_mov_b32_e32 v52, 0
	v_mov_b32_e32 v53, 0
	s_and_saveexec_b64 s[4:5], vcc
	s_cbranch_execz .LBB331_77
; %bb.74:
	v_add_u32_e32 v1, s37, v8
	v_add_u32_e32 v2, s39, v8
	v_mul_lo_u32 v1, v1, s36
	v_mul_lo_u32 v2, v2, s38
	v_sub_u32_e32 v1, v1, v2
	v_cmp_lt_u32_e32 vcc, s40, v1
	v_cmp_ge_u32_e64 s[2:3], s40, v1
	s_mov_b64 s[10:11], 0
	s_and_saveexec_b64 s[8:9], s[2:3]
; %bb.75:
	v_add_u32_e32 v1, s42, v8
	v_add_u32_e32 v2, s60, v8
	v_mul_lo_u32 v1, v1, s41
	v_mul_lo_u32 v2, v2, s43
	v_sub_u32_e32 v1, v1, v2
	v_cmp_lt_u32_e64 s[2:3], s61, v1
	s_and_b64 s[10:11], s[2:3], exec
; %bb.76:
	s_or_b64 exec, exec, s[8:9]
	v_cndmask_b32_e64 v53, 0, 1, vcc
	v_cndmask_b32_e64 v52, 0, 1, s[10:11]
.LBB331_77:
	s_or_b64 exec, exec, s[4:5]
	v_add_u32_e32 v1, 11, v31
	v_cmp_gt_u32_e32 vcc, s18, v1
	v_mov_b32_e32 v54, 0
	v_mov_b32_e32 v55, 0
	s_and_saveexec_b64 s[4:5], vcc
	s_cbranch_execz .LBB331_81
; %bb.78:
	v_add_u32_e32 v1, s37, v9
	v_add_u32_e32 v2, s39, v9
	v_mul_lo_u32 v1, v1, s36
	v_mul_lo_u32 v2, v2, s38
	v_sub_u32_e32 v1, v1, v2
	v_cmp_lt_u32_e32 vcc, s40, v1
	v_cmp_ge_u32_e64 s[2:3], s40, v1
	s_mov_b64 s[10:11], 0
	s_and_saveexec_b64 s[8:9], s[2:3]
; %bb.79:
	v_add_u32_e32 v1, s42, v9
	v_add_u32_e32 v2, s60, v9
	v_mul_lo_u32 v1, v1, s41
	v_mul_lo_u32 v2, v2, s43
	v_sub_u32_e32 v1, v1, v2
	v_cmp_lt_u32_e64 s[2:3], s61, v1
	s_and_b64 s[10:11], s[2:3], exec
; %bb.80:
	s_or_b64 exec, exec, s[8:9]
	v_cndmask_b32_e64 v55, 0, 1, vcc
	v_cndmask_b32_e64 v54, 0, 1, s[10:11]
.LBB331_81:
	s_or_b64 exec, exec, s[4:5]
	v_add_u32_e32 v1, 12, v31
	v_cmp_gt_u32_e32 vcc, s18, v1
	s_mov_b64 s[46:47], 0
	s_mov_b64 s[58:59], 0
	s_and_saveexec_b64 s[2:3], vcc
	s_cbranch_execz .LBB331_85
; %bb.82:
	v_add_u32_e32 v1, s37, v30
	v_add_u32_e32 v2, s39, v30
	v_mul_lo_u32 v1, v1, s36
	v_mul_lo_u32 v2, v2, s38
	v_sub_u32_e32 v1, v1, v2
	v_cmp_ge_u32_e32 vcc, s40, v1
	s_mov_b64 s[8:9], -1
	s_mov_b64 s[10:11], 0
	s_and_saveexec_b64 s[4:5], vcc
; %bb.83:
	v_add_u32_e32 v1, s42, v30
	v_add_u32_e32 v2, s60, v30
	v_mul_lo_u32 v1, v1, s41
	v_mul_lo_u32 v2, v2, s43
	v_sub_u32_e32 v1, v1, v2
	v_cmp_lt_u32_e32 vcc, s61, v1
	s_and_b64 s[10:11], vcc, exec
	s_xor_b64 s[8:9], exec, -1
; %bb.84:
	s_or_b64 exec, exec, s[4:5]
	s_and_b64 s[58:59], s[10:11], exec
	s_and_b64 s[46:47], s[8:9], exec
.LBB331_85:
	s_or_b64 exec, exec, s[2:3]
.LBB331_86:
	v_and_b32_e32 v63, 0xff, v33
	v_and_b32_e32 v74, 0xff, v35
	v_and_b32_e32 v65, 0xff, v37
	v_and_b32_e32 v75, 0xff, v38
	v_and_b32_e32 v67, 0xff, v40
	v_add3_u32 v2, v74, v65, v63
	v_and_b32_e32 v76, 0xff, v42
	v_and_b32_e32 v69, 0xff, v44
	v_add3_u32 v2, v2, v75, v67
	v_and_b32_e32 v62, 0xff, v32
	v_and_b32_e32 v56, 0xff, v34
	;; [unrolled: 1-line block ×5, first 2 shown]
	v_add3_u32 v2, v2, v76, v69
	v_and_b32_e32 v57, 0xff, v39
	v_and_b32_e32 v66, 0xff, v41
	;; [unrolled: 1-line block ×4, first 2 shown]
	v_add3_u32 v3, v56, v64, v62
	v_add3_u32 v2, v2, v77, v71
	v_and_b32_e32 v58, 0xff, v43
	v_and_b32_e32 v68, 0xff, v45
	v_and_b32_e32 v79, 0xff, v54
	v_cndmask_b32_e64 v1, 0, 1, s[58:59]
	v_add3_u32 v3, v3, v57, v66
	v_add3_u32 v2, v2, v78, v73
	v_and_b32_e32 v59, 0xff, v47
	v_and_b32_e32 v70, 0xff, v49
	v_add3_u32 v3, v3, v58, v68
	v_add3_u32 v86, v2, v79, v1
	v_mbcnt_lo_u32_b32 v1, -1, 0
	v_and_b32_e32 v60, 0xff, v51
	v_and_b32_e32 v72, 0xff, v53
	v_add3_u32 v3, v3, v59, v70
	v_mbcnt_hi_u32_b32 v80, -1, v1
	v_and_b32_e32 v61, 0xff, v55
	v_add3_u32 v3, v3, v60, v72
	v_cndmask_b32_e64 v4, 0, 1, s[46:47]
	v_and_b32_e32 v84, 15, v80
	s_cmp_lg_u32 s6, 0
	v_add3_u32 v85, v3, v61, v4
	v_cmp_eq_u32_e64 s[4:5], 0, v84
	v_cmp_lt_u32_e64 s[2:3], 1, v84
	v_cmp_lt_u32_e64 s[8:9], 3, v84
	;; [unrolled: 1-line block ×3, first 2 shown]
	v_and_b32_e32 v83, 16, v80
	v_cmp_lt_u32_e32 vcc, 31, v80
	v_lshrrev_b32_e32 v81, 6, v0
	v_or_b32_e32 v82, 63, v0
	s_cbranch_scc0 .LBB331_115
; %bb.87:
	v_mov_b32_dpp v1, v85 row_shr:1 row_mask:0xf bank_mask:0xf
	v_mov_b32_dpp v2, v86 row_shr:1 row_mask:0xf bank_mask:0xf
	v_add_u32_e32 v1, v1, v85
	v_add_u32_e32 v2, v2, v86
	v_cndmask_b32_e64 v2, v2, v86, s[4:5]
	v_cndmask_b32_e64 v1, v1, v85, s[4:5]
	s_nop 0
	v_mov_b32_dpp v4, v2 row_shr:2 row_mask:0xf bank_mask:0xf
	v_mov_b32_dpp v3, v1 row_shr:2 row_mask:0xf bank_mask:0xf
	v_add_u32_e32 v3, v1, v3
	v_add_u32_e32 v4, v2, v4
	v_cndmask_b32_e64 v2, v2, v4, s[2:3]
	v_cndmask_b32_e64 v1, v1, v3, s[2:3]
	s_nop 0
	v_mov_b32_dpp v4, v2 row_shr:4 row_mask:0xf bank_mask:0xf
	v_mov_b32_dpp v3, v1 row_shr:4 row_mask:0xf bank_mask:0xf
	v_add_u32_e32 v3, v1, v3
	v_add_u32_e32 v4, v2, v4
	v_cndmask_b32_e64 v2, v2, v4, s[8:9]
	v_cndmask_b32_e64 v1, v1, v3, s[8:9]
	v_cmp_eq_u32_e64 s[8:9], 0, v83
	v_mov_b32_dpp v4, v2 row_shr:8 row_mask:0xf bank_mask:0xf
	v_mov_b32_dpp v3, v1 row_shr:8 row_mask:0xf bank_mask:0xf
	v_add_u32_e32 v3, v1, v3
	v_add_u32_e32 v4, v2, v4
	v_cndmask_b32_e64 v2, v2, v4, s[10:11]
	v_cndmask_b32_e64 v1, v1, v3, s[10:11]
	s_nop 0
	v_mov_b32_dpp v4, v2 row_bcast:15 row_mask:0xf bank_mask:0xf
	v_mov_b32_dpp v3, v1 row_bcast:15 row_mask:0xf bank_mask:0xf
	v_add_u32_e32 v3, v1, v3
	v_add_u32_e32 v4, v2, v4
	v_cndmask_b32_e64 v2, v4, v2, s[8:9]
	v_cndmask_b32_e64 v1, v3, v1, s[8:9]
	s_nop 0
	v_mov_b32_dpp v4, v2 row_bcast:31 row_mask:0xf bank_mask:0xf
	v_mov_b32_dpp v3, v1 row_bcast:31 row_mask:0xf bank_mask:0xf
	v_add_u32_e32 v4, v2, v4
	v_add_u32_e32 v5, v1, v3
	v_cndmask_b32_e32 v3, v2, v4, vcc
	v_cndmask_b32_e32 v2, v1, v5, vcc
	v_cmp_eq_u32_e32 vcc, v82, v0
	s_and_saveexec_b64 s[8:9], vcc
	s_cbranch_execz .LBB331_89
; %bb.88:
	v_lshlrev_b32_e32 v1, 3, v81
	ds_write_b64 v1, v[2:3]
.LBB331_89:
	s_or_b64 exec, exec, s[8:9]
	v_cmp_gt_u32_e32 vcc, 4, v0
	s_waitcnt lgkmcnt(0)
	s_barrier
	s_and_saveexec_b64 s[8:9], vcc
	s_cbranch_execz .LBB331_91
; %bb.90:
	v_lshlrev_b32_e32 v1, 3, v0
	ds_read_b64 v[4:5], v1
	v_and_b32_e32 v6, 3, v80
	v_cmp_eq_u32_e32 vcc, 0, v6
	s_waitcnt lgkmcnt(0)
	v_mov_b32_dpp v7, v4 row_shr:1 row_mask:0xf bank_mask:0xf
	v_mov_b32_dpp v20, v5 row_shr:1 row_mask:0xf bank_mask:0xf
	v_add_u32_e32 v7, v7, v4
	v_add_u32_e32 v20, v20, v5
	v_cndmask_b32_e32 v5, v20, v5, vcc
	v_cndmask_b32_e32 v4, v7, v4, vcc
	v_cmp_lt_u32_e32 vcc, 1, v6
	v_mov_b32_dpp v20, v5 row_shr:2 row_mask:0xf bank_mask:0xf
	v_mov_b32_dpp v7, v4 row_shr:2 row_mask:0xf bank_mask:0xf
	v_cndmask_b32_e32 v6, 0, v7, vcc
	v_cndmask_b32_e32 v7, 0, v20, vcc
	v_add_u32_e32 v5, v7, v5
	v_add_u32_e32 v4, v6, v4
	ds_write_b64 v1, v[4:5]
.LBB331_91:
	s_or_b64 exec, exec, s[8:9]
	v_cmp_gt_u32_e32 vcc, 64, v0
	v_cmp_lt_u32_e64 s[8:9], 63, v0
	s_waitcnt lgkmcnt(0)
	s_barrier
	s_waitcnt lgkmcnt(0)
                                        ; implicit-def: $vgpr21
	s_and_saveexec_b64 s[10:11], s[8:9]
	s_xor_b64 s[8:9], exec, s[10:11]
	s_cbranch_execz .LBB331_93
; %bb.92:
	v_lshl_add_u32 v1, v81, 3, -8
	ds_read_b64 v[20:21], v1
	s_waitcnt lgkmcnt(0)
	v_add_u32_e32 v3, v21, v3
	v_add_u32_e32 v2, v20, v2
.LBB331_93:
	s_andn2_saveexec_b64 s[8:9], s[8:9]
; %bb.94:
                                        ; implicit-def: $vgpr20
; %bb.95:
	s_or_b64 exec, exec, s[8:9]
	v_add_u32_e32 v1, -1, v80
	v_and_b32_e32 v4, 64, v80
	v_cmp_lt_i32_e64 s[8:9], v1, v4
	v_cndmask_b32_e64 v1, v1, v80, s[8:9]
	v_lshlrev_b32_e32 v4, 2, v1
	ds_bpermute_b32 v1, v4, v2
	ds_bpermute_b32 v87, v4, v3
	v_cmp_eq_u32_e64 s[8:9], 0, v80
	s_and_saveexec_b64 s[10:11], vcc
	s_cbranch_execz .LBB331_114
; %bb.96:
	v_mov_b32_e32 v7, 0
	ds_read_b64 v[22:23], v7 offset:24
	s_and_saveexec_b64 s[14:15], s[8:9]
	s_cbranch_execz .LBB331_98
; %bb.97:
	s_add_i32 s16, s6, 64
	s_mov_b32 s17, 0
	s_lshl_b64 s[16:17], s[16:17], 4
	s_waitcnt lgkmcnt(0)
	v_and_b32_e32 v2, 0xff000000, v23
	v_and_b32_e32 v3, 0xff0000, v23
	s_add_u32 s16, s12, s16
	v_or_b32_e32 v2, v3, v2
	v_and_b32_e32 v3, 0xff00, v23
	s_addc_u32 s17, s13, s17
	v_or_b32_e32 v2, v2, v3
	v_or_b32_sdwa v5, v2, v23 dst_sel:DWORD dst_unused:UNUSED_PAD src0_sel:DWORD src1_sel:BYTE_0
	v_mov_b32_e32 v6, 1
	v_mov_b32_e32 v4, v22
	v_pk_mov_b32 v[2:3], s[16:17], s[16:17] op_sel:[0,1]
	;;#ASMSTART
	global_store_dwordx4 v[2:3], v[4:7] off	
s_waitcnt vmcnt(0)
	;;#ASMEND
.LBB331_98:
	s_or_b64 exec, exec, s[14:15]
	v_xad_u32 v24, v80, -1, s6
	v_add_u32_e32 v6, 64, v24
	v_lshlrev_b64 v[2:3], 4, v[6:7]
	v_mov_b32_e32 v4, s13
	v_add_co_u32_e32 v26, vcc, s12, v2
	v_addc_co_u32_e32 v27, vcc, v4, v3, vcc
	;;#ASMSTART
	global_load_dwordx4 v[2:5], v[26:27] off glc	
s_waitcnt vmcnt(0)
	;;#ASMEND
	v_and_b32_e32 v5, 0xff, v3
	v_and_b32_e32 v6, 0xff00, v3
	v_or3_b32 v5, 0, v5, v6
	v_or3_b32 v2, v2, 0, 0
	v_and_b32_e32 v6, 0xff000000, v3
	v_and_b32_e32 v3, 0xff0000, v3
	v_or3_b32 v3, v5, v3, v6
	v_or3_b32 v2, v2, 0, 0
	v_cmp_eq_u16_sdwa s[16:17], v4, v7 src0_sel:BYTE_0 src1_sel:DWORD
	s_and_saveexec_b64 s[14:15], s[16:17]
	s_cbranch_execz .LBB331_102
; %bb.99:
	s_mov_b64 s[16:17], 0
	v_mov_b32_e32 v6, 0
.LBB331_100:                            ; =>This Inner Loop Header: Depth=1
	;;#ASMSTART
	global_load_dwordx4 v[2:5], v[26:27] off glc	
s_waitcnt vmcnt(0)
	;;#ASMEND
	v_cmp_ne_u16_sdwa s[20:21], v4, v6 src0_sel:BYTE_0 src1_sel:DWORD
	s_or_b64 s[16:17], s[20:21], s[16:17]
	s_andn2_b64 exec, exec, s[16:17]
	s_cbranch_execnz .LBB331_100
; %bb.101:
	s_or_b64 exec, exec, s[16:17]
.LBB331_102:
	s_or_b64 exec, exec, s[14:15]
	v_and_b32_e32 v89, 63, v80
	v_cmp_ne_u32_e32 vcc, 63, v89
	v_mov_b32_e32 v88, 2
	v_addc_co_u32_e32 v26, vcc, 0, v80, vcc
	v_cmp_eq_u16_sdwa s[14:15], v4, v88 src0_sel:BYTE_0 src1_sel:DWORD
	v_lshlrev_b64 v[6:7], v80, -1
	v_lshlrev_b32_e32 v90, 2, v26
	v_and_b32_e32 v5, s15, v7
	ds_bpermute_b32 v26, v90, v2
	ds_bpermute_b32 v27, v90, v3
	v_or_b32_e32 v5, 0x80000000, v5
	v_and_b32_e32 v25, s14, v6
	v_ffbl_b32_e32 v5, v5
	v_add_u32_e32 v5, 32, v5
	v_ffbl_b32_e32 v25, v25
	v_min_u32_e32 v5, v25, v5
	s_waitcnt lgkmcnt(1)
	v_add_u32_e32 v25, v26, v2
	s_waitcnt lgkmcnt(0)
	v_add_u32_e32 v26, v27, v3
	v_cmp_lt_u32_e32 vcc, v89, v5
	v_cndmask_b32_e32 v3, v3, v26, vcc
	v_cndmask_b32_e32 v2, v2, v25, vcc
	v_cmp_gt_u32_e32 vcc, 62, v89
	v_cndmask_b32_e64 v25, 0, 1, vcc
	v_lshlrev_b32_e32 v25, 1, v25
	v_add_lshl_u32 v91, v25, v80, 2
	ds_bpermute_b32 v25, v91, v2
	ds_bpermute_b32 v26, v91, v3
	v_add_u32_e32 v92, 2, v89
	v_cmp_gt_u32_e32 vcc, v92, v5
	v_add_u32_e32 v94, 4, v89
	s_waitcnt lgkmcnt(1)
	v_add_u32_e32 v25, v2, v25
	s_waitcnt lgkmcnt(0)
	v_add_u32_e32 v26, v3, v26
	v_cndmask_b32_e32 v3, v26, v3, vcc
	v_cndmask_b32_e32 v2, v25, v2, vcc
	v_cmp_gt_u32_e32 vcc, 60, v89
	v_cndmask_b32_e64 v25, 0, 1, vcc
	v_lshlrev_b32_e32 v25, 2, v25
	v_add_lshl_u32 v93, v25, v80, 2
	ds_bpermute_b32 v25, v93, v2
	ds_bpermute_b32 v26, v93, v3
	v_cmp_gt_u32_e32 vcc, v94, v5
	v_add_u32_e32 v96, 8, v89
	v_add_u32_e32 v98, 16, v89
	s_waitcnt lgkmcnt(1)
	v_add_u32_e32 v25, v2, v25
	s_waitcnt lgkmcnt(0)
	v_add_u32_e32 v26, v3, v26
	v_cndmask_b32_e32 v3, v26, v3, vcc
	v_cndmask_b32_e32 v2, v25, v2, vcc
	v_cmp_gt_u32_e32 vcc, 56, v89
	v_cndmask_b32_e64 v25, 0, 1, vcc
	v_lshlrev_b32_e32 v25, 3, v25
	v_add_lshl_u32 v95, v25, v80, 2
	ds_bpermute_b32 v25, v95, v2
	ds_bpermute_b32 v26, v95, v3
	v_cmp_gt_u32_e32 vcc, v96, v5
	v_add_u32_e32 v100, 32, v89
	s_waitcnt lgkmcnt(1)
	v_add_u32_e32 v25, v2, v25
	s_waitcnt lgkmcnt(0)
	v_add_u32_e32 v26, v3, v26
	v_cndmask_b32_e32 v3, v26, v3, vcc
	v_cndmask_b32_e32 v2, v25, v2, vcc
	v_cmp_gt_u32_e32 vcc, 48, v89
	v_cndmask_b32_e64 v25, 0, 1, vcc
	v_lshlrev_b32_e32 v25, 4, v25
	v_add_lshl_u32 v97, v25, v80, 2
	ds_bpermute_b32 v25, v97, v2
	ds_bpermute_b32 v26, v97, v3
	v_cmp_gt_u32_e32 vcc, v98, v5
	s_waitcnt lgkmcnt(1)
	v_add_u32_e32 v25, v2, v25
	s_waitcnt lgkmcnt(0)
	v_add_u32_e32 v26, v3, v26
	v_cndmask_b32_e32 v3, v26, v3, vcc
	v_cndmask_b32_e32 v2, v25, v2, vcc
	v_cmp_gt_u32_e32 vcc, 32, v89
	v_cndmask_b32_e64 v25, 0, 1, vcc
	v_lshlrev_b32_e32 v25, 5, v25
	v_add_lshl_u32 v99, v25, v80, 2
	ds_bpermute_b32 v25, v99, v2
	ds_bpermute_b32 v26, v99, v3
	v_cmp_le_u32_e32 vcc, v100, v5
	s_waitcnt lgkmcnt(1)
	v_cndmask_b32_e32 v5, 0, v25, vcc
	s_waitcnt lgkmcnt(0)
	v_cndmask_b32_e32 v25, 0, v26, vcc
	v_add_u32_e32 v3, v3, v25
	v_add_u32_e32 v2, v2, v5
	v_mov_b32_e32 v25, 0
	s_branch .LBB331_104
.LBB331_103:                            ;   in Loop: Header=BB331_104 Depth=1
	s_or_b64 exec, exec, s[14:15]
	v_cmp_eq_u16_sdwa s[14:15], v4, v88 src0_sel:BYTE_0 src1_sel:DWORD
	v_and_b32_e32 v5, s15, v7
	ds_bpermute_b32 v29, v90, v2
	ds_bpermute_b32 v101, v90, v3
	v_or_b32_e32 v5, 0x80000000, v5
	v_and_b32_e32 v28, s14, v6
	v_ffbl_b32_e32 v5, v5
	v_add_u32_e32 v5, 32, v5
	v_ffbl_b32_e32 v28, v28
	v_min_u32_e32 v5, v28, v5
	s_waitcnt lgkmcnt(1)
	v_add_u32_e32 v28, v29, v2
	s_waitcnt lgkmcnt(0)
	v_add_u32_e32 v29, v101, v3
	v_cmp_lt_u32_e32 vcc, v89, v5
	v_cndmask_b32_e32 v3, v3, v29, vcc
	v_cndmask_b32_e32 v2, v2, v28, vcc
	ds_bpermute_b32 v28, v91, v2
	ds_bpermute_b32 v29, v91, v3
	v_cmp_gt_u32_e32 vcc, v92, v5
	v_subrev_u32_e32 v24, 64, v24
	s_waitcnt lgkmcnt(1)
	v_add_u32_e32 v28, v2, v28
	s_waitcnt lgkmcnt(0)
	v_add_u32_e32 v29, v3, v29
	v_cndmask_b32_e32 v3, v29, v3, vcc
	v_cndmask_b32_e32 v2, v28, v2, vcc
	ds_bpermute_b32 v28, v93, v2
	ds_bpermute_b32 v29, v93, v3
	v_cmp_gt_u32_e32 vcc, v94, v5
	s_waitcnt lgkmcnt(1)
	v_add_u32_e32 v28, v2, v28
	s_waitcnt lgkmcnt(0)
	v_add_u32_e32 v29, v3, v29
	v_cndmask_b32_e32 v3, v29, v3, vcc
	v_cndmask_b32_e32 v2, v28, v2, vcc
	ds_bpermute_b32 v28, v95, v2
	ds_bpermute_b32 v29, v95, v3
	v_cmp_gt_u32_e32 vcc, v96, v5
	;; [unrolled: 9-line block ×3, first 2 shown]
	s_waitcnt lgkmcnt(1)
	v_add_u32_e32 v28, v2, v28
	s_waitcnt lgkmcnt(0)
	v_add_u32_e32 v29, v3, v29
	v_cndmask_b32_e32 v3, v29, v3, vcc
	v_cndmask_b32_e32 v2, v28, v2, vcc
	ds_bpermute_b32 v28, v99, v2
	ds_bpermute_b32 v29, v99, v3
	v_cmp_le_u32_e32 vcc, v100, v5
	s_waitcnt lgkmcnt(1)
	v_cndmask_b32_e32 v5, 0, v28, vcc
	s_waitcnt lgkmcnt(0)
	v_cndmask_b32_e32 v28, 0, v29, vcc
	v_add3_u32 v3, v28, v27, v3
	v_add3_u32 v2, v5, v26, v2
.LBB331_104:                            ; =>This Loop Header: Depth=1
                                        ;     Child Loop BB331_107 Depth 2
	v_cmp_ne_u16_sdwa s[14:15], v4, v88 src0_sel:BYTE_0 src1_sel:DWORD
	v_cndmask_b32_e64 v4, 0, 1, s[14:15]
	;;#ASMSTART
	;;#ASMEND
	v_cmp_ne_u32_e32 vcc, 0, v4
	s_cmp_lg_u64 vcc, exec
	v_pk_mov_b32 v[26:27], v[2:3], v[2:3] op_sel:[0,1]
	s_cbranch_scc1 .LBB331_109
; %bb.105:                              ;   in Loop: Header=BB331_104 Depth=1
	v_lshlrev_b64 v[2:3], 4, v[24:25]
	v_mov_b32_e32 v4, s13
	v_add_co_u32_e32 v28, vcc, s12, v2
	v_addc_co_u32_e32 v29, vcc, v4, v3, vcc
	;;#ASMSTART
	global_load_dwordx4 v[2:5], v[28:29] off glc	
s_waitcnt vmcnt(0)
	;;#ASMEND
	v_and_b32_e32 v5, 0xff, v3
	v_and_b32_e32 v101, 0xff00, v3
	v_or3_b32 v5, 0, v5, v101
	v_or3_b32 v2, v2, 0, 0
	v_and_b32_e32 v101, 0xff000000, v3
	v_and_b32_e32 v3, 0xff0000, v3
	v_or3_b32 v3, v5, v3, v101
	v_or3_b32 v2, v2, 0, 0
	v_cmp_eq_u16_sdwa s[16:17], v4, v25 src0_sel:BYTE_0 src1_sel:DWORD
	s_and_saveexec_b64 s[14:15], s[16:17]
	s_cbranch_execz .LBB331_103
; %bb.106:                              ;   in Loop: Header=BB331_104 Depth=1
	s_mov_b64 s[16:17], 0
.LBB331_107:                            ;   Parent Loop BB331_104 Depth=1
                                        ; =>  This Inner Loop Header: Depth=2
	;;#ASMSTART
	global_load_dwordx4 v[2:5], v[28:29] off glc	
s_waitcnt vmcnt(0)
	;;#ASMEND
	v_cmp_ne_u16_sdwa s[20:21], v4, v25 src0_sel:BYTE_0 src1_sel:DWORD
	s_or_b64 s[16:17], s[20:21], s[16:17]
	s_andn2_b64 exec, exec, s[16:17]
	s_cbranch_execnz .LBB331_107
; %bb.108:                              ;   in Loop: Header=BB331_104 Depth=1
	s_or_b64 exec, exec, s[16:17]
	s_branch .LBB331_103
.LBB331_109:                            ;   in Loop: Header=BB331_104 Depth=1
                                        ; implicit-def: $vgpr4
                                        ; implicit-def: $vgpr2_vgpr3
	s_cbranch_execz .LBB331_104
; %bb.110:
	s_and_saveexec_b64 s[14:15], s[8:9]
	s_cbranch_execz .LBB331_112
; %bb.111:
	s_add_i32 s6, s6, 64
	s_mov_b32 s7, 0
	v_add_u32_e32 v3, v27, v23
	s_lshl_b64 s[6:7], s[6:7], 4
	s_add_u32 s6, s12, s6
	v_and_b32_e32 v4, 0xff000000, v3
	v_and_b32_e32 v6, 0xff0000, v3
	s_addc_u32 s7, s13, s7
	v_or_b32_e32 v4, v6, v4
	v_and_b32_e32 v6, 0xff00, v3
	v_and_b32_e32 v3, 0xff, v3
	v_add_u32_e32 v2, v26, v22
	v_mov_b32_e32 v5, 0
	v_or3_b32 v3, v4, v6, v3
	v_mov_b32_e32 v4, 2
	v_pk_mov_b32 v[6:7], s[6:7], s[6:7] op_sel:[0,1]
	;;#ASMSTART
	global_store_dwordx4 v[6:7], v[2:5] off	
s_waitcnt vmcnt(0)
	;;#ASMEND
	s_movk_i32 s6, 0x3400
	v_add_u32_e64 v2, s6, 0
	ds_write2_b32 v2, v22, v23 offset1:2
	ds_write2_b32 v2, v26, v27 offset0:4 offset1:6
.LBB331_112:
	s_or_b64 exec, exec, s[14:15]
	v_cmp_eq_u32_e32 vcc, 0, v0
	s_and_b64 exec, exec, vcc
	s_cbranch_execz .LBB331_114
; %bb.113:
	v_mov_b32_e32 v2, 0
	ds_write_b64 v2, v[26:27] offset:24
.LBB331_114:
	s_or_b64 exec, exec, s[10:11]
	v_mov_b32_e32 v2, 0
	s_waitcnt lgkmcnt(0)
	s_barrier
	ds_read_b64 v[6:7], v2 offset:24
	s_movk_i32 s6, 0x3400
	v_cndmask_b32_e64 v2, v87, v21, s[8:9]
	v_cndmask_b32_e64 v1, v1, v20, s[8:9]
	v_add_u32_e64 v4, s6, 0
	s_waitcnt lgkmcnt(0)
	v_add_u32_e32 v20, v6, v1
	v_add_u32_e32 v1, v7, v2
	s_barrier
	ds_read2_b32 v[2:3], v4 offset1:2
	ds_read2_b32 v[4:5], v4 offset0:4 offset1:6
	v_cmp_eq_u32_e32 vcc, 0, v0
	v_cndmask_b32_e32 v1, v1, v7, vcc
	v_cndmask_b32_e32 v20, v20, v6, vcc
	s_branch .LBB331_125
.LBB331_115:
                                        ; implicit-def: $vgpr1
                                        ; implicit-def: $vgpr4
                                        ; implicit-def: $vgpr2
                                        ; implicit-def: $vgpr20_vgpr21
	s_cbranch_execz .LBB331_125
; %bb.116:
	s_nop 0
	v_mov_b32_dpp v1, v85 row_shr:1 row_mask:0xf bank_mask:0xf
	s_waitcnt lgkmcnt(0)
	v_mov_b32_dpp v2, v86 row_shr:1 row_mask:0xf bank_mask:0xf
	v_add_u32_e32 v1, v1, v85
	v_add_u32_e32 v2, v2, v86
	v_cndmask_b32_e64 v2, v2, v86, s[4:5]
	v_cndmask_b32_e64 v1, v1, v85, s[4:5]
	v_cmp_lt_u32_e32 vcc, 3, v84
	v_mov_b32_dpp v4, v2 row_shr:2 row_mask:0xf bank_mask:0xf
	v_mov_b32_dpp v3, v1 row_shr:2 row_mask:0xf bank_mask:0xf
	v_add_u32_e32 v3, v1, v3
	v_add_u32_e32 v4, v2, v4
	v_cndmask_b32_e64 v2, v2, v4, s[2:3]
	v_cndmask_b32_e64 v1, v1, v3, s[2:3]
	s_nop 0
	v_mov_b32_dpp v4, v2 row_shr:4 row_mask:0xf bank_mask:0xf
	v_mov_b32_dpp v3, v1 row_shr:4 row_mask:0xf bank_mask:0xf
	v_add_u32_e32 v3, v1, v3
	v_add_u32_e32 v4, v2, v4
	v_cndmask_b32_e32 v2, v2, v4, vcc
	v_cndmask_b32_e32 v1, v1, v3, vcc
	v_cmp_lt_u32_e32 vcc, 7, v84
	v_mov_b32_dpp v4, v2 row_shr:8 row_mask:0xf bank_mask:0xf
	v_mov_b32_dpp v3, v1 row_shr:8 row_mask:0xf bank_mask:0xf
	v_add_u32_e32 v3, v1, v3
	v_add_u32_e32 v4, v2, v4
	v_cndmask_b32_e32 v2, v2, v4, vcc
	v_cndmask_b32_e32 v1, v1, v3, vcc
	v_cmp_eq_u32_e32 vcc, 0, v83
	v_mov_b32_dpp v4, v2 row_bcast:15 row_mask:0xf bank_mask:0xf
	v_mov_b32_dpp v3, v1 row_bcast:15 row_mask:0xf bank_mask:0xf
	v_add_u32_e32 v3, v1, v3
	v_add_u32_e32 v4, v2, v4
	v_cndmask_b32_e32 v2, v4, v2, vcc
	v_cndmask_b32_e32 v1, v3, v1, vcc
	v_cmp_lt_u32_e32 vcc, 31, v80
	v_mov_b32_dpp v4, v2 row_bcast:31 row_mask:0xf bank_mask:0xf
	v_mov_b32_dpp v3, v1 row_bcast:31 row_mask:0xf bank_mask:0xf
	v_add_u32_e32 v4, v2, v4
	v_add_u32_e32 v5, v1, v3
	v_cndmask_b32_e32 v3, v2, v4, vcc
	v_cndmask_b32_e32 v2, v1, v5, vcc
	v_cmp_eq_u32_e32 vcc, v82, v0
	s_and_saveexec_b64 s[2:3], vcc
	s_cbranch_execz .LBB331_118
; %bb.117:
	v_lshlrev_b32_e32 v1, 3, v81
	ds_write_b64 v1, v[2:3]
.LBB331_118:
	s_or_b64 exec, exec, s[2:3]
	v_cmp_gt_u32_e32 vcc, 4, v0
	s_waitcnt lgkmcnt(0)
	s_barrier
	s_and_saveexec_b64 s[2:3], vcc
	s_cbranch_execz .LBB331_120
; %bb.119:
	v_lshlrev_b32_e32 v1, 3, v0
	ds_read_b64 v[4:5], v1
	v_and_b32_e32 v6, 3, v80
	v_cmp_eq_u32_e32 vcc, 0, v6
	s_waitcnt lgkmcnt(0)
	v_mov_b32_dpp v7, v4 row_shr:1 row_mask:0xf bank_mask:0xf
	v_mov_b32_dpp v20, v5 row_shr:1 row_mask:0xf bank_mask:0xf
	v_add_u32_e32 v7, v7, v4
	v_add_u32_e32 v20, v20, v5
	v_cndmask_b32_e32 v5, v20, v5, vcc
	v_cndmask_b32_e32 v4, v7, v4, vcc
	v_cmp_lt_u32_e32 vcc, 1, v6
	v_mov_b32_dpp v20, v5 row_shr:2 row_mask:0xf bank_mask:0xf
	v_mov_b32_dpp v7, v4 row_shr:2 row_mask:0xf bank_mask:0xf
	v_cndmask_b32_e32 v6, 0, v7, vcc
	v_cndmask_b32_e32 v7, 0, v20, vcc
	v_add_u32_e32 v5, v7, v5
	v_add_u32_e32 v4, v6, v4
	ds_write_b64 v1, v[4:5]
.LBB331_120:
	s_or_b64 exec, exec, s[2:3]
	v_cmp_lt_u32_e32 vcc, 63, v0
	v_mov_b32_e32 v4, 0
	v_mov_b32_e32 v6, 0
	;; [unrolled: 1-line block ×3, first 2 shown]
	s_waitcnt lgkmcnt(0)
	s_barrier
	s_and_saveexec_b64 s[2:3], vcc
	s_cbranch_execz .LBB331_122
; %bb.121:
	v_lshl_add_u32 v1, v81, 3, -8
	ds_read_b64 v[6:7], v1
.LBB331_122:
	s_or_b64 exec, exec, s[2:3]
	s_waitcnt lgkmcnt(0)
	v_add_u32_e32 v5, v7, v3
	v_add_u32_e32 v1, v6, v2
	v_add_u32_e32 v2, -1, v80
	v_and_b32_e32 v3, 64, v80
	v_cmp_lt_i32_e32 vcc, v2, v3
	v_cndmask_b32_e32 v2, v2, v80, vcc
	v_lshlrev_b32_e32 v20, 2, v2
	ds_read_b64 v[2:3], v4 offset:24
	ds_bpermute_b32 v1, v20, v1
	ds_bpermute_b32 v20, v20, v5
	v_cmp_eq_u32_e32 vcc, 0, v0
	s_waitcnt lgkmcnt(2)
	v_readfirstlane_b32 s4, v3
	s_and_saveexec_b64 s[2:3], vcc
	s_cbranch_execz .LBB331_124
; %bb.123:
	s_add_u32 s6, s12, 0x400
	s_mov_b32 s8, 0
	s_addc_u32 s7, s13, 0
	s_and_b32 s9, s4, 0xff000000
	s_and_b32 s11, s4, 0xff0000
	s_mov_b32 s10, s8
	s_or_b64 s[10:11], s[10:11], s[8:9]
	s_and_b32 s9, s4, 0xff00
	s_or_b64 s[10:11], s[10:11], s[8:9]
	s_and_b32 s9, s4, 0xff
	s_or_b64 s[8:9], s[10:11], s[8:9]
	v_mov_b32_e32 v3, s9
	v_mov_b32_e32 v4, 2
	;; [unrolled: 1-line block ×3, first 2 shown]
	v_pk_mov_b32 v[22:23], s[6:7], s[6:7] op_sel:[0,1]
	;;#ASMSTART
	global_store_dwordx4 v[22:23], v[2:5] off	
s_waitcnt vmcnt(0)
	;;#ASMEND
.LBB331_124:
	s_or_b64 exec, exec, s[2:3]
	v_cmp_eq_u32_e64 s[2:3], 0, v80
	s_waitcnt lgkmcnt(1)
	v_cndmask_b32_e64 v3, v1, v6, s[2:3]
	s_waitcnt lgkmcnt(0)
	v_cndmask_b32_e64 v1, v20, v7, s[2:3]
	v_mov_b32_e32 v4, 0
	v_cndmask_b32_e64 v1, v1, 0, vcc
	v_cndmask_b32_e64 v20, v3, 0, vcc
	s_barrier
	v_mov_b32_e32 v3, s4
	v_mov_b32_e32 v5, 0
.LBB331_125:
	v_add_u32_e32 v24, v1, v63
	v_add_u32_e32 v25, v24, v74
	v_add_u32_e32 v21, v20, v62
	v_add_u32_e32 v28, v25, v65
	v_add_u32_e32 v26, v21, v56
	v_add_u32_e32 v29, v28, v75
	v_add_u32_e32 v27, v26, v64
	v_add_u32_e32 v62, v29, v67
	v_add_u32_e32 v56, v27, v57
	v_add_u32_e32 v63, v62, v76
	v_add_u32_e32 v57, v56, v66
	v_add_u32_e32 v65, v63, v69
	v_add_u32_e32 v58, v57, v58
	v_add_u32_e32 v66, v65, v77
	v_mov_b32_e32 v7, s49
	s_waitcnt lgkmcnt(0)
	v_add_co_u32_e32 v6, vcc, s48, v4
	v_add_u32_e32 v64, v58, v68
	v_add_u32_e32 v68, v66, v71
	v_addc_co_u32_e32 v7, vcc, 0, v7, vcc
	v_add_u32_e32 v69, v68, v78
	v_mov_b32_e32 v22, s51
	v_sub_co_u32_e32 v23, vcc, s50, v2
	v_add_u32_e32 v71, v69, v73
	v_subbrev_co_u32_e32 v73, vcc, 0, v22, vcc
	v_add_co_u32_e32 v22, vcc, v23, v5
	v_addc_co_u32_e32 v23, vcc, 0, v73, vcc
	v_lshlrev_b32_e32 v73, 1, v2
	v_sub_u32_e32 v1, v1, v5
	v_add_u32_e32 v74, v73, v3
	v_sub_u32_e32 v20, v20, v4
	v_add_u32_e32 v1, v1, v2
	v_add_u32_e32 v31, v74, v31
	v_and_b32_e32 v33, 1, v33
	v_add_u32_e32 v74, v20, v1
	v_and_b32_e32 v32, 1, v32
	v_sub_u32_e32 v74, v31, v74
	v_cmp_eq_u32_e32 vcc, 1, v33
	v_cndmask_b32_e32 v1, v74, v1, vcc
	v_cmp_eq_u32_e32 vcc, 1, v32
	v_cndmask_b32_e32 v1, v1, v20, vcc
	v_lshlrev_b32_e32 v1, 2, v1
	v_sub_u32_e32 v20, v24, v5
	ds_write_b32 v1, v18
	v_sub_u32_e32 v1, v21, v4
	v_add_u32_e32 v20, v20, v2
	v_add_u32_e32 v24, v20, v1
	v_and_b32_e32 v21, 1, v35
	v_sub_u32_e32 v24, v31, v24
	v_and_b32_e32 v18, 1, v34
	v_add_u32_e32 v24, 1, v24
	v_cmp_eq_u32_e32 vcc, 1, v21
	v_cndmask_b32_e32 v20, v24, v20, vcc
	v_cmp_eq_u32_e32 vcc, 1, v18
	v_cndmask_b32_e32 v1, v20, v1, vcc
	v_lshlrev_b32_e32 v1, 2, v1
	ds_write_b32 v1, v19
	v_sub_u32_e32 v19, v25, v5
	v_sub_u32_e32 v1, v26, v4
	v_add_u32_e32 v19, v19, v2
	v_add_u32_e32 v21, v19, v1
	v_and_b32_e32 v20, 1, v37
	v_sub_u32_e32 v21, v31, v21
	v_and_b32_e32 v18, 1, v36
	v_add_u32_e32 v21, 2, v21
	v_cmp_eq_u32_e32 vcc, 1, v20
	v_cndmask_b32_e32 v19, v21, v19, vcc
	v_cmp_eq_u32_e32 vcc, 1, v18
	v_cndmask_b32_e32 v1, v19, v1, vcc
	v_lshlrev_b32_e32 v1, 2, v1
	v_sub_u32_e32 v18, v28, v5
	ds_write_b32 v1, v16
	v_sub_u32_e32 v1, v27, v4
	v_add_u32_e32 v18, v18, v2
	v_add_u32_e32 v20, v1, v18
	v_and_b32_e32 v19, 1, v38
	v_sub_u32_e32 v20, v31, v20
	v_and_b32_e32 v16, 1, v39
	v_add_u32_e32 v20, 3, v20
	v_cmp_eq_u32_e32 vcc, 1, v19
	v_cndmask_b32_e32 v18, v20, v18, vcc
	v_cmp_eq_u32_e32 vcc, 1, v16
	v_cndmask_b32_e32 v1, v18, v1, vcc
	v_lshlrev_b32_e32 v1, 2, v1
	ds_write_b32 v1, v17
	v_sub_u32_e32 v17, v29, v5
	v_sub_u32_e32 v1, v56, v4
	v_add_u32_e32 v17, v17, v2
	v_add_u32_e32 v19, v1, v17
	v_and_b32_e32 v18, 1, v40
	v_sub_u32_e32 v19, v31, v19
	v_and_b32_e32 v16, 1, v41
	v_add_u32_e32 v19, 4, v19
	;; [unrolled: 28-line block ×3, first 2 shown]
	v_cmp_eq_u32_e32 vcc, 1, v16
	v_cndmask_b32_e32 v15, v17, v15, vcc
	v_cmp_eq_u32_e32 vcc, 1, v14
	v_cndmask_b32_e32 v1, v15, v1, vcc
	v_lshlrev_b32_e32 v1, 2, v1
	v_sub_u32_e32 v14, v65, v5
	ds_write_b32 v1, v12
	v_sub_u32_e32 v1, v64, v4
	v_add_u32_e32 v14, v14, v2
	v_add_u32_e32 v16, v1, v14
	v_and_b32_e32 v15, 1, v46
	v_sub_u32_e32 v16, v31, v16
	v_and_b32_e32 v12, 1, v47
	v_add_u32_e32 v16, 7, v16
	v_cmp_eq_u32_e32 vcc, 1, v15
	v_cndmask_b32_e32 v14, v16, v14, vcc
	v_cmp_eq_u32_e32 vcc, 1, v12
	v_cndmask_b32_e32 v1, v14, v1, vcc
	v_lshlrev_b32_e32 v1, 2, v1
	v_add_u32_e32 v59, v64, v59
	ds_write_b32 v1, v13
	v_sub_u32_e32 v13, v66, v5
	v_sub_u32_e32 v1, v59, v4
	v_add_u32_e32 v13, v13, v2
	v_add_u32_e32 v15, v1, v13
	v_and_b32_e32 v14, 1, v48
	v_sub_u32_e32 v15, v31, v15
	v_and_b32_e32 v12, 1, v49
	v_add_u32_e32 v15, 8, v15
	v_cmp_eq_u32_e32 vcc, 1, v14
	v_cndmask_b32_e32 v13, v15, v13, vcc
	v_cmp_eq_u32_e32 vcc, 1, v12
	v_cndmask_b32_e32 v1, v13, v1, vcc
	v_add_u32_e32 v67, v59, v70
	v_lshlrev_b32_e32 v1, 2, v1
	v_sub_u32_e32 v12, v68, v5
	ds_write_b32 v1, v10
	v_sub_u32_e32 v1, v67, v4
	v_add_u32_e32 v12, v12, v2
	v_add_u32_e32 v14, v1, v12
	v_and_b32_e32 v13, 1, v50
	v_sub_u32_e32 v14, v31, v14
	v_and_b32_e32 v10, 1, v51
	v_add_u32_e32 v14, 9, v14
	v_cmp_eq_u32_e32 vcc, 1, v13
	v_cndmask_b32_e32 v12, v14, v12, vcc
	v_cmp_eq_u32_e32 vcc, 1, v10
	v_cndmask_b32_e32 v1, v12, v1, vcc
	v_lshlrev_b32_e32 v1, 2, v1
	v_add_u32_e32 v60, v67, v60
	ds_write_b32 v1, v11
	v_sub_u32_e32 v11, v69, v5
	v_sub_u32_e32 v1, v60, v4
	v_add_u32_e32 v11, v11, v2
	v_add_u32_e32 v13, v1, v11
	v_and_b32_e32 v12, 1, v52
	v_sub_u32_e32 v13, v31, v13
	v_and_b32_e32 v10, 1, v53
	v_add_u32_e32 v13, 10, v13
	v_cmp_eq_u32_e32 vcc, 1, v12
	v_cndmask_b32_e32 v11, v13, v11, vcc
	v_cmp_eq_u32_e32 vcc, 1, v10
	v_cndmask_b32_e32 v1, v11, v1, vcc
	v_add_u32_e32 v70, v60, v72
	v_lshlrev_b32_e32 v1, 2, v1
	v_sub_u32_e32 v10, v71, v5
	ds_write_b32 v1, v8
	v_sub_u32_e32 v1, v70, v4
	v_add_u32_e32 v10, v10, v2
	v_add_u32_e32 v12, v1, v10
	v_and_b32_e32 v11, 1, v54
	v_sub_u32_e32 v12, v31, v12
	v_and_b32_e32 v8, 1, v55
	v_add_u32_e32 v12, 11, v12
	v_cmp_eq_u32_e32 vcc, 1, v11
	v_cndmask_b32_e32 v10, v12, v10, vcc
	v_cmp_eq_u32_e32 vcc, 1, v8
	v_cndmask_b32_e32 v1, v10, v1, vcc
	v_add_u32_e32 v72, v71, v79
	v_add_u32_e32 v61, v70, v61
	v_lshlrev_b32_e32 v1, 2, v1
	ds_write_b32 v1, v9
	v_sub_u32_e32 v1, v61, v4
	v_sub_u32_e32 v4, v72, v5
	v_add_u32_e32 v4, v4, v2
	v_add_u32_e32 v8, v1, v4
	v_sub_u32_e32 v8, v31, v8
	v_add_u32_e32 v8, 12, v8
	v_cndmask_b32_e64 v4, v8, v4, s[58:59]
	v_cndmask_b32_e64 v1, v4, v1, s[46:47]
	v_lshlrev_b32_e32 v1, 2, v1
	ds_write_b32 v1, v30
	v_add_co_u32_e32 v1, vcc, v3, v73
	v_addc_co_u32_e64 v4, s[2:3], 0, 0, vcc
	v_add_co_u32_e32 v1, vcc, v1, v22
	v_addc_co_u32_e32 v4, vcc, v4, v23, vcc
	s_add_u32 s4, s56, s33
	v_add_co_u32_e32 v1, vcc, v1, v6
	s_addc_u32 s5, s57, 0
	v_addc_co_u32_e32 v4, vcc, v4, v7, vcc
	v_mov_b32_e32 v8, s5
	v_sub_co_u32_e32 v1, vcc, s4, v1
	v_subb_co_u32_e32 v4, vcc, v8, v4, vcc
	v_lshlrev_b64 v[8:9], 2, v[22:23]
	v_mov_b32_e32 v10, s55
	v_add_co_u32_e32 v8, vcc, s54, v8
	v_addc_co_u32_e32 v9, vcc, v10, v9, vcc
	v_lshlrev_b64 v[10:11], 2, v[6:7]
	v_mov_b32_e32 v13, s53
	v_add_co_u32_e32 v10, vcc, s52, v10
	s_add_u32 s6, s34, -4
	v_addc_co_u32_e32 v11, vcc, v13, v11, vcc
	s_addc_u32 s7, s35, -1
	v_add_u32_e32 v12, v2, v3
	s_and_b64 vcc, exec, s[0:1]
	s_mov_b64 s[0:1], -1
	s_waitcnt lgkmcnt(0)
	s_barrier
	s_cbranch_vccz .LBB331_129
; %bb.126:
	s_and_b64 vcc, exec, s[0:1]
	s_cbranch_vccnz .LBB331_234
.LBB331_127:
	v_cmp_eq_u32_e32 vcc, 0, v0
	s_and_b64 s[0:1], vcc, s[30:31]
	s_and_saveexec_b64 s[2:3], s[0:1]
	s_cbranch_execnz .LBB331_352
.LBB331_128:
	s_endpgm
.LBB331_129:
	v_cmp_le_u32_e32 vcc, v2, v0
	s_and_saveexec_b64 s[0:1], vcc
	s_xor_b64 s[0:1], exec, s[0:1]
	s_cbranch_execz .LBB331_135
; %bb.130:
	v_cmp_le_u32_e32 vcc, v12, v0
	s_and_saveexec_b64 s[2:3], vcc
	s_xor_b64 s[2:3], exec, s[2:3]
	s_cbranch_execz .LBB331_132
; %bb.131:
	v_lshlrev_b32_e32 v13, 2, v0
	v_add_co_u32_e32 v14, vcc, v1, v0
	ds_read_b32 v13, v13
	v_addc_co_u32_e32 v15, vcc, 0, v4, vcc
	v_lshlrev_b64 v[14:15], 2, v[14:15]
	v_mov_b32_e32 v16, s35
	v_sub_co_u32_e32 v14, vcc, s34, v14
	v_subb_co_u32_e32 v15, vcc, v16, v15, vcc
	s_waitcnt lgkmcnt(0)
	global_store_dword v[14:15], v13, off offset:-4
.LBB331_132:
	s_andn2_saveexec_b64 s[2:3], s[2:3]
	s_cbranch_execz .LBB331_134
; %bb.133:
	v_lshlrev_b32_e32 v13, 2, v0
	ds_read_b32 v14, v13
	v_readfirstlane_b32 s4, v8
	v_readfirstlane_b32 s5, v9
	s_waitcnt lgkmcnt(0)
	s_nop 3
	global_store_dword v13, v14, s[4:5]
.LBB331_134:
	s_or_b64 exec, exec, s[2:3]
.LBB331_135:
	s_andn2_saveexec_b64 s[0:1], s[0:1]
	s_cbranch_execz .LBB331_137
; %bb.136:
	v_lshlrev_b32_e32 v13, 2, v0
	ds_read_b32 v14, v13
	v_readfirstlane_b32 s2, v10
	v_readfirstlane_b32 s3, v11
	s_waitcnt lgkmcnt(0)
	s_nop 3
	global_store_dword v13, v14, s[2:3]
.LBB331_137:
	s_or_b64 exec, exec, s[0:1]
	v_or_b32_e32 v13, 0x100, v0
	v_cmp_le_u32_e32 vcc, v2, v13
	s_and_saveexec_b64 s[0:1], vcc
	s_xor_b64 s[0:1], exec, s[0:1]
	s_cbranch_execz .LBB331_143
; %bb.138:
	v_cmp_le_u32_e32 vcc, v12, v13
	s_and_saveexec_b64 s[2:3], vcc
	s_xor_b64 s[2:3], exec, s[2:3]
	s_cbranch_execz .LBB331_140
; %bb.139:
	v_lshlrev_b32_e32 v13, 2, v0
	ds_read_b32 v13, v13 offset:1024
	v_add_co_u32_e32 v14, vcc, v1, v0
	v_addc_co_u32_e32 v15, vcc, 0, v4, vcc
	v_lshlrev_b64 v[14:15], 2, v[14:15]
	v_mov_b32_e32 v16, s7
	v_sub_co_u32_e32 v14, vcc, s6, v14
	v_subb_co_u32_e32 v15, vcc, v16, v15, vcc
	s_waitcnt lgkmcnt(0)
	global_store_dword v[14:15], v13, off offset:-1024
.LBB331_140:
	s_andn2_saveexec_b64 s[2:3], s[2:3]
	s_cbranch_execz .LBB331_142
; %bb.141:
	v_lshlrev_b32_e32 v13, 2, v0
	ds_read_b32 v14, v13 offset:1024
	v_readfirstlane_b32 s4, v8
	v_readfirstlane_b32 s5, v9
	s_waitcnt lgkmcnt(0)
	s_nop 3
	global_store_dword v13, v14, s[4:5] offset:1024
.LBB331_142:
	s_or_b64 exec, exec, s[2:3]
.LBB331_143:
	s_andn2_saveexec_b64 s[0:1], s[0:1]
	s_cbranch_execz .LBB331_145
; %bb.144:
	v_lshlrev_b32_e32 v13, 2, v0
	ds_read_b32 v14, v13 offset:1024
	v_readfirstlane_b32 s2, v10
	v_readfirstlane_b32 s3, v11
	s_waitcnt lgkmcnt(0)
	s_nop 3
	global_store_dword v13, v14, s[2:3] offset:1024
.LBB331_145:
	s_or_b64 exec, exec, s[0:1]
	v_or_b32_e32 v13, 0x200, v0
	v_cmp_le_u32_e32 vcc, v2, v13
	s_and_saveexec_b64 s[0:1], vcc
	s_xor_b64 s[0:1], exec, s[0:1]
	s_cbranch_execz .LBB331_151
; %bb.146:
	v_cmp_le_u32_e32 vcc, v12, v13
	s_and_saveexec_b64 s[2:3], vcc
	s_xor_b64 s[2:3], exec, s[2:3]
	s_cbranch_execz .LBB331_148
; %bb.147:
	v_lshlrev_b32_e32 v13, 2, v0
	ds_read_b32 v13, v13 offset:2048
	v_add_co_u32_e32 v14, vcc, v1, v0
	v_addc_co_u32_e32 v15, vcc, 0, v4, vcc
	v_lshlrev_b64 v[14:15], 2, v[14:15]
	v_mov_b32_e32 v16, s7
	v_sub_co_u32_e32 v14, vcc, s6, v14
	v_subb_co_u32_e32 v15, vcc, v16, v15, vcc
	s_waitcnt lgkmcnt(0)
	global_store_dword v[14:15], v13, off offset:-2048
.LBB331_148:
	s_andn2_saveexec_b64 s[2:3], s[2:3]
	s_cbranch_execz .LBB331_150
; %bb.149:
	v_lshlrev_b32_e32 v13, 2, v0
	ds_read_b32 v14, v13 offset:2048
	v_readfirstlane_b32 s4, v8
	v_readfirstlane_b32 s5, v9
	s_waitcnt lgkmcnt(0)
	s_nop 3
	global_store_dword v13, v14, s[4:5] offset:2048
.LBB331_150:
	s_or_b64 exec, exec, s[2:3]
.LBB331_151:
	s_andn2_saveexec_b64 s[0:1], s[0:1]
	s_cbranch_execz .LBB331_153
; %bb.152:
	v_lshlrev_b32_e32 v13, 2, v0
	ds_read_b32 v14, v13 offset:2048
	v_readfirstlane_b32 s2, v10
	v_readfirstlane_b32 s3, v11
	s_waitcnt lgkmcnt(0)
	s_nop 3
	global_store_dword v13, v14, s[2:3] offset:2048
.LBB331_153:
	;; [unrolled: 47-line block ×3, first 2 shown]
	s_or_b64 exec, exec, s[0:1]
	v_or_b32_e32 v13, 0x400, v0
	v_cmp_le_u32_e32 vcc, v2, v13
	s_and_saveexec_b64 s[0:1], vcc
	s_xor_b64 s[0:1], exec, s[0:1]
	s_cbranch_execz .LBB331_167
; %bb.162:
	v_cmp_le_u32_e32 vcc, v12, v13
	s_and_saveexec_b64 s[2:3], vcc
	s_xor_b64 s[2:3], exec, s[2:3]
	s_cbranch_execz .LBB331_164
; %bb.163:
	v_lshlrev_b32_e32 v13, 2, v0
	ds_read_b32 v13, v13 offset:4096
	v_add_co_u32_e32 v14, vcc, v1, v0
	v_addc_co_u32_e32 v15, vcc, 0, v4, vcc
	v_lshlrev_b64 v[14:15], 2, v[14:15]
	v_mov_b32_e32 v16, s7
	v_sub_co_u32_e32 v14, vcc, s6, v14
	v_subb_co_u32_e32 v15, vcc, v16, v15, vcc
	s_waitcnt lgkmcnt(0)
	global_store_dword v[14:15], v13, off offset:-4096
                                        ; implicit-def: $vgpr13
.LBB331_164:
	s_andn2_saveexec_b64 s[2:3], s[2:3]
	s_cbranch_execz .LBB331_166
; %bb.165:
	v_lshlrev_b32_e32 v14, 2, v0
	ds_read_b32 v14, v14 offset:4096
	v_lshlrev_b32_e32 v13, 2, v13
	v_readfirstlane_b32 s4, v8
	v_readfirstlane_b32 s5, v9
	s_waitcnt lgkmcnt(0)
	s_nop 3
	global_store_dword v13, v14, s[4:5]
.LBB331_166:
	s_or_b64 exec, exec, s[2:3]
                                        ; implicit-def: $vgpr13
.LBB331_167:
	s_andn2_saveexec_b64 s[0:1], s[0:1]
	s_cbranch_execz .LBB331_169
; %bb.168:
	v_lshlrev_b32_e32 v14, 2, v0
	ds_read_b32 v14, v14 offset:4096
	v_lshlrev_b32_e32 v13, 2, v13
	v_readfirstlane_b32 s2, v10
	v_readfirstlane_b32 s3, v11
	s_waitcnt lgkmcnt(0)
	s_nop 3
	global_store_dword v13, v14, s[2:3]
.LBB331_169:
	s_or_b64 exec, exec, s[0:1]
	v_or_b32_e32 v13, 0x500, v0
	v_cmp_le_u32_e32 vcc, v2, v13
	s_and_saveexec_b64 s[0:1], vcc
	s_xor_b64 s[0:1], exec, s[0:1]
	s_cbranch_execz .LBB331_175
; %bb.170:
	v_cmp_le_u32_e32 vcc, v12, v13
	s_and_saveexec_b64 s[2:3], vcc
	s_xor_b64 s[2:3], exec, s[2:3]
	s_cbranch_execz .LBB331_172
; %bb.171:
	v_add_co_u32_e32 v14, vcc, v1, v13
	v_lshlrev_b32_e32 v13, 2, v0
	ds_read_b32 v13, v13 offset:5120
	v_addc_co_u32_e32 v15, vcc, 0, v4, vcc
	v_lshlrev_b64 v[14:15], 2, v[14:15]
	v_mov_b32_e32 v16, s7
	v_sub_co_u32_e32 v14, vcc, s6, v14
	v_subb_co_u32_e32 v15, vcc, v16, v15, vcc
	s_waitcnt lgkmcnt(0)
	global_store_dword v[14:15], v13, off
                                        ; implicit-def: $vgpr13
.LBB331_172:
	s_andn2_saveexec_b64 s[2:3], s[2:3]
	s_cbranch_execz .LBB331_174
; %bb.173:
	v_lshlrev_b32_e32 v14, 2, v0
	ds_read_b32 v14, v14 offset:5120
	v_lshlrev_b32_e32 v13, 2, v13
	v_readfirstlane_b32 s4, v8
	v_readfirstlane_b32 s5, v9
	s_waitcnt lgkmcnt(0)
	s_nop 3
	global_store_dword v13, v14, s[4:5]
.LBB331_174:
	s_or_b64 exec, exec, s[2:3]
                                        ; implicit-def: $vgpr13
.LBB331_175:
	s_andn2_saveexec_b64 s[0:1], s[0:1]
	s_cbranch_execz .LBB331_177
; %bb.176:
	v_lshlrev_b32_e32 v14, 2, v0
	ds_read_b32 v14, v14 offset:5120
	v_lshlrev_b32_e32 v13, 2, v13
	v_readfirstlane_b32 s2, v10
	v_readfirstlane_b32 s3, v11
	s_waitcnt lgkmcnt(0)
	s_nop 3
	global_store_dword v13, v14, s[2:3]
.LBB331_177:
	s_or_b64 exec, exec, s[0:1]
	v_or_b32_e32 v13, 0x600, v0
	v_cmp_le_u32_e32 vcc, v2, v13
	s_and_saveexec_b64 s[0:1], vcc
	s_xor_b64 s[0:1], exec, s[0:1]
	s_cbranch_execz .LBB331_183
; %bb.178:
	v_cmp_le_u32_e32 vcc, v12, v13
	s_and_saveexec_b64 s[2:3], vcc
	s_xor_b64 s[2:3], exec, s[2:3]
	s_cbranch_execz .LBB331_180
; %bb.179:
	v_add_co_u32_e32 v14, vcc, v1, v13
	v_lshlrev_b32_e32 v13, 2, v0
	ds_read_b32 v13, v13 offset:6144
	v_addc_co_u32_e32 v15, vcc, 0, v4, vcc
	v_lshlrev_b64 v[14:15], 2, v[14:15]
	v_mov_b32_e32 v16, s7
	v_sub_co_u32_e32 v14, vcc, s6, v14
	v_subb_co_u32_e32 v15, vcc, v16, v15, vcc
	s_waitcnt lgkmcnt(0)
	global_store_dword v[14:15], v13, off
                                        ; implicit-def: $vgpr13
.LBB331_180:
	s_andn2_saveexec_b64 s[2:3], s[2:3]
	s_cbranch_execz .LBB331_182
; %bb.181:
	v_lshlrev_b32_e32 v14, 2, v0
	ds_read_b32 v14, v14 offset:6144
	v_lshlrev_b32_e32 v13, 2, v13
	v_readfirstlane_b32 s4, v8
	v_readfirstlane_b32 s5, v9
	s_waitcnt lgkmcnt(0)
	s_nop 3
	global_store_dword v13, v14, s[4:5]
.LBB331_182:
	s_or_b64 exec, exec, s[2:3]
                                        ; implicit-def: $vgpr13
.LBB331_183:
	;; [unrolled: 51-line block ×8, first 2 shown]
	s_andn2_saveexec_b64 s[0:1], s[0:1]
	s_cbranch_execz .LBB331_233
; %bb.232:
	v_lshlrev_b32_e32 v14, 2, v0
	ds_read_b32 v14, v14 offset:12288
	v_lshlrev_b32_e32 v13, 2, v13
	v_readfirstlane_b32 s2, v10
	v_readfirstlane_b32 s3, v11
	s_waitcnt lgkmcnt(0)
	s_nop 3
	global_store_dword v13, v14, s[2:3]
.LBB331_233:
	s_or_b64 exec, exec, s[0:1]
	s_branch .LBB331_127
.LBB331_234:
	v_cmp_gt_u32_e32 vcc, s18, v0
	s_and_saveexec_b64 s[0:1], vcc
	s_cbranch_execz .LBB331_243
; %bb.235:
	v_cmp_le_u32_e32 vcc, v2, v0
	s_and_saveexec_b64 s[2:3], vcc
	s_xor_b64 s[2:3], exec, s[2:3]
	s_cbranch_execz .LBB331_241
; %bb.236:
	v_cmp_le_u32_e32 vcc, v12, v0
	s_and_saveexec_b64 s[4:5], vcc
	s_xor_b64 s[4:5], exec, s[4:5]
	s_cbranch_execz .LBB331_238
; %bb.237:
	v_lshlrev_b32_e32 v13, 2, v0
	v_add_co_u32_e32 v14, vcc, v1, v0
	ds_read_b32 v13, v13
	v_addc_co_u32_e32 v15, vcc, 0, v4, vcc
	v_lshlrev_b64 v[14:15], 2, v[14:15]
	v_mov_b32_e32 v16, s35
	v_sub_co_u32_e32 v14, vcc, s34, v14
	v_subb_co_u32_e32 v15, vcc, v16, v15, vcc
	s_waitcnt lgkmcnt(0)
	global_store_dword v[14:15], v13, off offset:-4
.LBB331_238:
	s_andn2_saveexec_b64 s[4:5], s[4:5]
	s_cbranch_execz .LBB331_240
; %bb.239:
	v_lshlrev_b32_e32 v13, 2, v0
	ds_read_b32 v14, v13
	v_readfirstlane_b32 s8, v8
	v_readfirstlane_b32 s9, v9
	s_waitcnt lgkmcnt(0)
	s_nop 3
	global_store_dword v13, v14, s[8:9]
.LBB331_240:
	s_or_b64 exec, exec, s[4:5]
.LBB331_241:
	s_andn2_saveexec_b64 s[2:3], s[2:3]
	s_cbranch_execz .LBB331_243
; %bb.242:
	v_lshlrev_b32_e32 v13, 2, v0
	ds_read_b32 v14, v13
	v_readfirstlane_b32 s2, v10
	v_readfirstlane_b32 s3, v11
	s_waitcnt lgkmcnt(0)
	s_nop 3
	global_store_dword v13, v14, s[2:3]
.LBB331_243:
	s_or_b64 exec, exec, s[0:1]
	v_or_b32_e32 v13, 0x100, v0
	v_cmp_gt_u32_e32 vcc, s18, v13
	s_and_saveexec_b64 s[0:1], vcc
	s_cbranch_execz .LBB331_252
; %bb.244:
	v_cmp_le_u32_e32 vcc, v2, v13
	s_and_saveexec_b64 s[2:3], vcc
	s_xor_b64 s[2:3], exec, s[2:3]
	s_cbranch_execz .LBB331_250
; %bb.245:
	v_cmp_le_u32_e32 vcc, v12, v13
	s_and_saveexec_b64 s[4:5], vcc
	s_xor_b64 s[4:5], exec, s[4:5]
	s_cbranch_execz .LBB331_247
; %bb.246:
	v_lshlrev_b32_e32 v13, 2, v0
	ds_read_b32 v13, v13 offset:1024
	v_add_co_u32_e32 v14, vcc, v1, v0
	v_addc_co_u32_e32 v15, vcc, 0, v4, vcc
	v_lshlrev_b64 v[14:15], 2, v[14:15]
	v_mov_b32_e32 v16, s7
	v_sub_co_u32_e32 v14, vcc, s6, v14
	v_subb_co_u32_e32 v15, vcc, v16, v15, vcc
	s_waitcnt lgkmcnt(0)
	global_store_dword v[14:15], v13, off offset:-1024
.LBB331_247:
	s_andn2_saveexec_b64 s[4:5], s[4:5]
	s_cbranch_execz .LBB331_249
; %bb.248:
	v_lshlrev_b32_e32 v13, 2, v0
	ds_read_b32 v14, v13 offset:1024
	v_readfirstlane_b32 s8, v8
	v_readfirstlane_b32 s9, v9
	s_waitcnt lgkmcnt(0)
	s_nop 3
	global_store_dword v13, v14, s[8:9] offset:1024
.LBB331_249:
	s_or_b64 exec, exec, s[4:5]
.LBB331_250:
	s_andn2_saveexec_b64 s[2:3], s[2:3]
	s_cbranch_execz .LBB331_252
; %bb.251:
	v_lshlrev_b32_e32 v13, 2, v0
	ds_read_b32 v14, v13 offset:1024
	v_readfirstlane_b32 s2, v10
	v_readfirstlane_b32 s3, v11
	s_waitcnt lgkmcnt(0)
	s_nop 3
	global_store_dword v13, v14, s[2:3] offset:1024
.LBB331_252:
	s_or_b64 exec, exec, s[0:1]
	v_or_b32_e32 v13, 0x200, v0
	v_cmp_gt_u32_e32 vcc, s18, v13
	s_and_saveexec_b64 s[0:1], vcc
	s_cbranch_execz .LBB331_261
; %bb.253:
	v_cmp_le_u32_e32 vcc, v2, v13
	s_and_saveexec_b64 s[2:3], vcc
	s_xor_b64 s[2:3], exec, s[2:3]
	s_cbranch_execz .LBB331_259
; %bb.254:
	v_cmp_le_u32_e32 vcc, v12, v13
	s_and_saveexec_b64 s[4:5], vcc
	s_xor_b64 s[4:5], exec, s[4:5]
	s_cbranch_execz .LBB331_256
; %bb.255:
	v_lshlrev_b32_e32 v13, 2, v0
	ds_read_b32 v13, v13 offset:2048
	v_add_co_u32_e32 v14, vcc, v1, v0
	v_addc_co_u32_e32 v15, vcc, 0, v4, vcc
	v_lshlrev_b64 v[14:15], 2, v[14:15]
	v_mov_b32_e32 v16, s7
	v_sub_co_u32_e32 v14, vcc, s6, v14
	v_subb_co_u32_e32 v15, vcc, v16, v15, vcc
	s_waitcnt lgkmcnt(0)
	global_store_dword v[14:15], v13, off offset:-2048
.LBB331_256:
	s_andn2_saveexec_b64 s[4:5], s[4:5]
	s_cbranch_execz .LBB331_258
; %bb.257:
	v_lshlrev_b32_e32 v13, 2, v0
	ds_read_b32 v14, v13 offset:2048
	v_readfirstlane_b32 s8, v8
	v_readfirstlane_b32 s9, v9
	s_waitcnt lgkmcnt(0)
	s_nop 3
	global_store_dword v13, v14, s[8:9] offset:2048
.LBB331_258:
	s_or_b64 exec, exec, s[4:5]
.LBB331_259:
	s_andn2_saveexec_b64 s[2:3], s[2:3]
	s_cbranch_execz .LBB331_261
; %bb.260:
	v_lshlrev_b32_e32 v13, 2, v0
	ds_read_b32 v14, v13 offset:2048
	v_readfirstlane_b32 s2, v10
	v_readfirstlane_b32 s3, v11
	s_waitcnt lgkmcnt(0)
	s_nop 3
	global_store_dword v13, v14, s[2:3] offset:2048
.LBB331_261:
	;; [unrolled: 51-line block ×3, first 2 shown]
	s_or_b64 exec, exec, s[0:1]
	v_or_b32_e32 v13, 0x400, v0
	v_cmp_gt_u32_e32 vcc, s18, v13
	s_and_saveexec_b64 s[0:1], vcc
	s_cbranch_execz .LBB331_279
; %bb.271:
	v_cmp_le_u32_e32 vcc, v2, v13
	s_and_saveexec_b64 s[2:3], vcc
	s_xor_b64 s[2:3], exec, s[2:3]
	s_cbranch_execz .LBB331_277
; %bb.272:
	v_cmp_le_u32_e32 vcc, v12, v13
	s_and_saveexec_b64 s[4:5], vcc
	s_xor_b64 s[4:5], exec, s[4:5]
	s_cbranch_execz .LBB331_274
; %bb.273:
	v_lshlrev_b32_e32 v13, 2, v0
	ds_read_b32 v13, v13 offset:4096
	v_add_co_u32_e32 v14, vcc, v1, v0
	v_addc_co_u32_e32 v15, vcc, 0, v4, vcc
	v_lshlrev_b64 v[14:15], 2, v[14:15]
	v_mov_b32_e32 v16, s7
	v_sub_co_u32_e32 v14, vcc, s6, v14
	v_subb_co_u32_e32 v15, vcc, v16, v15, vcc
	s_waitcnt lgkmcnt(0)
	global_store_dword v[14:15], v13, off offset:-4096
                                        ; implicit-def: $vgpr13
.LBB331_274:
	s_andn2_saveexec_b64 s[4:5], s[4:5]
	s_cbranch_execz .LBB331_276
; %bb.275:
	v_lshlrev_b32_e32 v14, 2, v0
	ds_read_b32 v14, v14 offset:4096
	v_lshlrev_b32_e32 v13, 2, v13
	v_readfirstlane_b32 s8, v8
	v_readfirstlane_b32 s9, v9
	s_waitcnt lgkmcnt(0)
	s_nop 3
	global_store_dword v13, v14, s[8:9]
.LBB331_276:
	s_or_b64 exec, exec, s[4:5]
                                        ; implicit-def: $vgpr13
.LBB331_277:
	s_andn2_saveexec_b64 s[2:3], s[2:3]
	s_cbranch_execz .LBB331_279
; %bb.278:
	v_lshlrev_b32_e32 v14, 2, v0
	ds_read_b32 v14, v14 offset:4096
	v_lshlrev_b32_e32 v13, 2, v13
	v_readfirstlane_b32 s2, v10
	v_readfirstlane_b32 s3, v11
	s_waitcnt lgkmcnt(0)
	s_nop 3
	global_store_dword v13, v14, s[2:3]
.LBB331_279:
	s_or_b64 exec, exec, s[0:1]
	v_or_b32_e32 v13, 0x500, v0
	v_cmp_gt_u32_e32 vcc, s18, v13
	s_and_saveexec_b64 s[0:1], vcc
	s_cbranch_execz .LBB331_288
; %bb.280:
	v_cmp_le_u32_e32 vcc, v2, v13
	s_and_saveexec_b64 s[2:3], vcc
	s_xor_b64 s[2:3], exec, s[2:3]
	s_cbranch_execz .LBB331_286
; %bb.281:
	v_cmp_le_u32_e32 vcc, v12, v13
	s_and_saveexec_b64 s[4:5], vcc
	s_xor_b64 s[4:5], exec, s[4:5]
	s_cbranch_execz .LBB331_283
; %bb.282:
	v_add_co_u32_e32 v14, vcc, v1, v13
	v_lshlrev_b32_e32 v13, 2, v0
	ds_read_b32 v13, v13 offset:5120
	v_addc_co_u32_e32 v15, vcc, 0, v4, vcc
	v_lshlrev_b64 v[14:15], 2, v[14:15]
	v_mov_b32_e32 v16, s7
	v_sub_co_u32_e32 v14, vcc, s6, v14
	v_subb_co_u32_e32 v15, vcc, v16, v15, vcc
	s_waitcnt lgkmcnt(0)
	global_store_dword v[14:15], v13, off
                                        ; implicit-def: $vgpr13
.LBB331_283:
	s_andn2_saveexec_b64 s[4:5], s[4:5]
	s_cbranch_execz .LBB331_285
; %bb.284:
	v_lshlrev_b32_e32 v14, 2, v0
	ds_read_b32 v14, v14 offset:5120
	v_lshlrev_b32_e32 v13, 2, v13
	v_readfirstlane_b32 s8, v8
	v_readfirstlane_b32 s9, v9
	s_waitcnt lgkmcnt(0)
	s_nop 3
	global_store_dword v13, v14, s[8:9]
.LBB331_285:
	s_or_b64 exec, exec, s[4:5]
                                        ; implicit-def: $vgpr13
.LBB331_286:
	s_andn2_saveexec_b64 s[2:3], s[2:3]
	s_cbranch_execz .LBB331_288
; %bb.287:
	v_lshlrev_b32_e32 v14, 2, v0
	ds_read_b32 v14, v14 offset:5120
	v_lshlrev_b32_e32 v13, 2, v13
	v_readfirstlane_b32 s2, v10
	v_readfirstlane_b32 s3, v11
	s_waitcnt lgkmcnt(0)
	s_nop 3
	global_store_dword v13, v14, s[2:3]
.LBB331_288:
	s_or_b64 exec, exec, s[0:1]
	v_or_b32_e32 v13, 0x600, v0
	v_cmp_gt_u32_e32 vcc, s18, v13
	s_and_saveexec_b64 s[0:1], vcc
	s_cbranch_execz .LBB331_297
; %bb.289:
	v_cmp_le_u32_e32 vcc, v2, v13
	s_and_saveexec_b64 s[2:3], vcc
	s_xor_b64 s[2:3], exec, s[2:3]
	s_cbranch_execz .LBB331_295
; %bb.290:
	v_cmp_le_u32_e32 vcc, v12, v13
	s_and_saveexec_b64 s[4:5], vcc
	s_xor_b64 s[4:5], exec, s[4:5]
	s_cbranch_execz .LBB331_292
; %bb.291:
	v_add_co_u32_e32 v14, vcc, v1, v13
	v_lshlrev_b32_e32 v13, 2, v0
	ds_read_b32 v13, v13 offset:6144
	v_addc_co_u32_e32 v15, vcc, 0, v4, vcc
	v_lshlrev_b64 v[14:15], 2, v[14:15]
	v_mov_b32_e32 v16, s7
	v_sub_co_u32_e32 v14, vcc, s6, v14
	v_subb_co_u32_e32 v15, vcc, v16, v15, vcc
	s_waitcnt lgkmcnt(0)
	global_store_dword v[14:15], v13, off
                                        ; implicit-def: $vgpr13
.LBB331_292:
	s_andn2_saveexec_b64 s[4:5], s[4:5]
	s_cbranch_execz .LBB331_294
; %bb.293:
	v_lshlrev_b32_e32 v14, 2, v0
	ds_read_b32 v14, v14 offset:6144
	v_lshlrev_b32_e32 v13, 2, v13
	v_readfirstlane_b32 s8, v8
	v_readfirstlane_b32 s9, v9
	s_waitcnt lgkmcnt(0)
	s_nop 3
	global_store_dword v13, v14, s[8:9]
.LBB331_294:
	s_or_b64 exec, exec, s[4:5]
                                        ; implicit-def: $vgpr13
.LBB331_295:
	s_andn2_saveexec_b64 s[2:3], s[2:3]
	s_cbranch_execz .LBB331_297
; %bb.296:
	v_lshlrev_b32_e32 v14, 2, v0
	ds_read_b32 v14, v14 offset:6144
	v_lshlrev_b32_e32 v13, 2, v13
	v_readfirstlane_b32 s2, v10
	v_readfirstlane_b32 s3, v11
	s_waitcnt lgkmcnt(0)
	s_nop 3
	global_store_dword v13, v14, s[2:3]
.LBB331_297:
	;; [unrolled: 55-line block ×7, first 2 shown]
	s_or_b64 exec, exec, s[0:1]
	v_or_b32_e32 v13, 0xc00, v0
	v_cmp_gt_u32_e32 vcc, s18, v13
	s_and_saveexec_b64 s[0:1], vcc
	s_cbranch_execz .LBB331_351
; %bb.343:
	v_cmp_le_u32_e32 vcc, v2, v13
	s_and_saveexec_b64 s[2:3], vcc
	s_xor_b64 s[2:3], exec, s[2:3]
	s_cbranch_execz .LBB331_349
; %bb.344:
	v_cmp_le_u32_e32 vcc, v12, v13
	s_and_saveexec_b64 s[4:5], vcc
	s_xor_b64 s[4:5], exec, s[4:5]
	s_cbranch_execz .LBB331_346
; %bb.345:
	v_add_co_u32_e32 v8, vcc, v1, v13
	v_lshlrev_b32_e32 v1, 2, v0
	ds_read_b32 v1, v1 offset:12288
	v_addc_co_u32_e32 v9, vcc, 0, v4, vcc
	v_lshlrev_b64 v[8:9], 2, v[8:9]
	v_mov_b32_e32 v4, s7
	v_sub_co_u32_e32 v8, vcc, s6, v8
	v_subb_co_u32_e32 v9, vcc, v4, v9, vcc
	s_waitcnt lgkmcnt(0)
	global_store_dword v[8:9], v1, off
                                        ; implicit-def: $vgpr13
                                        ; implicit-def: $vgpr8_vgpr9
.LBB331_346:
	s_andn2_saveexec_b64 s[4:5], s[4:5]
	s_cbranch_execz .LBB331_348
; %bb.347:
	v_lshlrev_b32_e32 v1, 2, v0
	ds_read_b32 v1, v1 offset:12288
	v_lshlrev_b32_e32 v4, 2, v13
	v_readfirstlane_b32 s6, v8
	v_readfirstlane_b32 s7, v9
	s_waitcnt lgkmcnt(0)
	s_nop 3
	global_store_dword v4, v1, s[6:7]
.LBB331_348:
	s_or_b64 exec, exec, s[4:5]
                                        ; implicit-def: $vgpr13
                                        ; implicit-def: $vgpr10_vgpr11
.LBB331_349:
	s_andn2_saveexec_b64 s[2:3], s[2:3]
	s_cbranch_execz .LBB331_351
; %bb.350:
	v_lshlrev_b32_e32 v1, 2, v0
	ds_read_b32 v1, v1 offset:12288
	v_lshlrev_b32_e32 v4, 2, v13
	v_readfirstlane_b32 s2, v10
	v_readfirstlane_b32 s3, v11
	s_waitcnt lgkmcnt(0)
	s_nop 3
	global_store_dword v4, v1, s[2:3]
.LBB331_351:
	s_or_b64 exec, exec, s[0:1]
	v_cmp_eq_u32_e32 vcc, 0, v0
	s_and_b64 s[0:1], vcc, s[30:31]
	s_and_saveexec_b64 s[2:3], s[0:1]
	s_cbranch_execz .LBB331_128
.LBB331_352:
	v_add_co_u32_e32 v0, vcc, v6, v2
	v_addc_co_u32_e32 v1, vcc, 0, v7, vcc
	v_mov_b32_e32 v2, s51
	v_add_co_u32_e32 v3, vcc, s50, v3
	v_addc_co_u32_e32 v6, vcc, 0, v2, vcc
	v_add_co_u32_e32 v2, vcc, v3, v5
	v_mov_b32_e32 v4, 0
	v_addc_co_u32_e32 v3, vcc, 0, v6, vcc
	global_store_dwordx4 v4, v[0:3], s[44:45]
	s_endpgm
	.section	.rodata,"a",@progbits
	.p2align	6, 0x0
	.amdhsa_kernel _ZN7rocprim17ROCPRIM_400000_NS6detail17trampoline_kernelINS0_13select_configILj256ELj13ELNS0_17block_load_methodE3ELS4_3ELS4_3ELNS0_20block_scan_algorithmE0ELj4294967295EEENS1_25partition_config_selectorILNS1_17partition_subalgoE4EjNS0_10empty_typeEbEEZZNS1_14partition_implILS8_4ELb0ES6_15HIP_vector_typeIjLj2EENS0_17counting_iteratorIjlEEPS9_SG_NS0_5tupleIJPjSI_NS0_16reverse_iteratorISI_EEEEENSH_IJSG_SG_SG_EEES9_SI_JZNS1_25segmented_radix_sort_implINS0_14default_configELb0EPKaPaPKlPlN2at6native12_GLOBAL__N_18offset_tEEE10hipError_tPvRmT1_PNSt15iterator_traitsIS12_E10value_typeET2_T3_PNS13_IS18_E10value_typeET4_jRbjT5_S1E_jjP12ihipStream_tbEUljE_ZNSN_ISO_Lb0ESQ_SR_ST_SU_SY_EESZ_S10_S11_S12_S16_S17_S18_S1B_S1C_jS1D_jS1E_S1E_jjS1G_bEUljE0_EEESZ_S10_S11_S18_S1C_S1E_T6_T7_T9_mT8_S1G_bDpT10_ENKUlT_T0_E_clISt17integral_constantIbLb0EES1U_EEDaS1P_S1Q_EUlS1P_E_NS1_11comp_targetILNS1_3genE4ELNS1_11target_archE910ELNS1_3gpuE8ELNS1_3repE0EEENS1_30default_config_static_selectorELNS0_4arch9wavefront6targetE1EEEvS12_
		.amdhsa_group_segment_fixed_size 13340
		.amdhsa_private_segment_fixed_size 0
		.amdhsa_kernarg_size 176
		.amdhsa_user_sgpr_count 6
		.amdhsa_user_sgpr_private_segment_buffer 1
		.amdhsa_user_sgpr_dispatch_ptr 0
		.amdhsa_user_sgpr_queue_ptr 0
		.amdhsa_user_sgpr_kernarg_segment_ptr 1
		.amdhsa_user_sgpr_dispatch_id 0
		.amdhsa_user_sgpr_flat_scratch_init 0
		.amdhsa_user_sgpr_kernarg_preload_length 0
		.amdhsa_user_sgpr_kernarg_preload_offset 0
		.amdhsa_user_sgpr_private_segment_size 0
		.amdhsa_uses_dynamic_stack 0
		.amdhsa_system_sgpr_private_segment_wavefront_offset 0
		.amdhsa_system_sgpr_workgroup_id_x 1
		.amdhsa_system_sgpr_workgroup_id_y 0
		.amdhsa_system_sgpr_workgroup_id_z 0
		.amdhsa_system_sgpr_workgroup_info 0
		.amdhsa_system_vgpr_workitem_id 0
		.amdhsa_next_free_vgpr 102
		.amdhsa_next_free_sgpr 90
		.amdhsa_accum_offset 104
		.amdhsa_reserve_vcc 1
		.amdhsa_reserve_flat_scratch 0
		.amdhsa_float_round_mode_32 0
		.amdhsa_float_round_mode_16_64 0
		.amdhsa_float_denorm_mode_32 3
		.amdhsa_float_denorm_mode_16_64 3
		.amdhsa_dx10_clamp 1
		.amdhsa_ieee_mode 1
		.amdhsa_fp16_overflow 0
		.amdhsa_tg_split 0
		.amdhsa_exception_fp_ieee_invalid_op 0
		.amdhsa_exception_fp_denorm_src 0
		.amdhsa_exception_fp_ieee_div_zero 0
		.amdhsa_exception_fp_ieee_overflow 0
		.amdhsa_exception_fp_ieee_underflow 0
		.amdhsa_exception_fp_ieee_inexact 0
		.amdhsa_exception_int_div_zero 0
	.end_amdhsa_kernel
	.section	.text._ZN7rocprim17ROCPRIM_400000_NS6detail17trampoline_kernelINS0_13select_configILj256ELj13ELNS0_17block_load_methodE3ELS4_3ELS4_3ELNS0_20block_scan_algorithmE0ELj4294967295EEENS1_25partition_config_selectorILNS1_17partition_subalgoE4EjNS0_10empty_typeEbEEZZNS1_14partition_implILS8_4ELb0ES6_15HIP_vector_typeIjLj2EENS0_17counting_iteratorIjlEEPS9_SG_NS0_5tupleIJPjSI_NS0_16reverse_iteratorISI_EEEEENSH_IJSG_SG_SG_EEES9_SI_JZNS1_25segmented_radix_sort_implINS0_14default_configELb0EPKaPaPKlPlN2at6native12_GLOBAL__N_18offset_tEEE10hipError_tPvRmT1_PNSt15iterator_traitsIS12_E10value_typeET2_T3_PNS13_IS18_E10value_typeET4_jRbjT5_S1E_jjP12ihipStream_tbEUljE_ZNSN_ISO_Lb0ESQ_SR_ST_SU_SY_EESZ_S10_S11_S12_S16_S17_S18_S1B_S1C_jS1D_jS1E_S1E_jjS1G_bEUljE0_EEESZ_S10_S11_S18_S1C_S1E_T6_T7_T9_mT8_S1G_bDpT10_ENKUlT_T0_E_clISt17integral_constantIbLb0EES1U_EEDaS1P_S1Q_EUlS1P_E_NS1_11comp_targetILNS1_3genE4ELNS1_11target_archE910ELNS1_3gpuE8ELNS1_3repE0EEENS1_30default_config_static_selectorELNS0_4arch9wavefront6targetE1EEEvS12_,"axG",@progbits,_ZN7rocprim17ROCPRIM_400000_NS6detail17trampoline_kernelINS0_13select_configILj256ELj13ELNS0_17block_load_methodE3ELS4_3ELS4_3ELNS0_20block_scan_algorithmE0ELj4294967295EEENS1_25partition_config_selectorILNS1_17partition_subalgoE4EjNS0_10empty_typeEbEEZZNS1_14partition_implILS8_4ELb0ES6_15HIP_vector_typeIjLj2EENS0_17counting_iteratorIjlEEPS9_SG_NS0_5tupleIJPjSI_NS0_16reverse_iteratorISI_EEEEENSH_IJSG_SG_SG_EEES9_SI_JZNS1_25segmented_radix_sort_implINS0_14default_configELb0EPKaPaPKlPlN2at6native12_GLOBAL__N_18offset_tEEE10hipError_tPvRmT1_PNSt15iterator_traitsIS12_E10value_typeET2_T3_PNS13_IS18_E10value_typeET4_jRbjT5_S1E_jjP12ihipStream_tbEUljE_ZNSN_ISO_Lb0ESQ_SR_ST_SU_SY_EESZ_S10_S11_S12_S16_S17_S18_S1B_S1C_jS1D_jS1E_S1E_jjS1G_bEUljE0_EEESZ_S10_S11_S18_S1C_S1E_T6_T7_T9_mT8_S1G_bDpT10_ENKUlT_T0_E_clISt17integral_constantIbLb0EES1U_EEDaS1P_S1Q_EUlS1P_E_NS1_11comp_targetILNS1_3genE4ELNS1_11target_archE910ELNS1_3gpuE8ELNS1_3repE0EEENS1_30default_config_static_selectorELNS0_4arch9wavefront6targetE1EEEvS12_,comdat
.Lfunc_end331:
	.size	_ZN7rocprim17ROCPRIM_400000_NS6detail17trampoline_kernelINS0_13select_configILj256ELj13ELNS0_17block_load_methodE3ELS4_3ELS4_3ELNS0_20block_scan_algorithmE0ELj4294967295EEENS1_25partition_config_selectorILNS1_17partition_subalgoE4EjNS0_10empty_typeEbEEZZNS1_14partition_implILS8_4ELb0ES6_15HIP_vector_typeIjLj2EENS0_17counting_iteratorIjlEEPS9_SG_NS0_5tupleIJPjSI_NS0_16reverse_iteratorISI_EEEEENSH_IJSG_SG_SG_EEES9_SI_JZNS1_25segmented_radix_sort_implINS0_14default_configELb0EPKaPaPKlPlN2at6native12_GLOBAL__N_18offset_tEEE10hipError_tPvRmT1_PNSt15iterator_traitsIS12_E10value_typeET2_T3_PNS13_IS18_E10value_typeET4_jRbjT5_S1E_jjP12ihipStream_tbEUljE_ZNSN_ISO_Lb0ESQ_SR_ST_SU_SY_EESZ_S10_S11_S12_S16_S17_S18_S1B_S1C_jS1D_jS1E_S1E_jjS1G_bEUljE0_EEESZ_S10_S11_S18_S1C_S1E_T6_T7_T9_mT8_S1G_bDpT10_ENKUlT_T0_E_clISt17integral_constantIbLb0EES1U_EEDaS1P_S1Q_EUlS1P_E_NS1_11comp_targetILNS1_3genE4ELNS1_11target_archE910ELNS1_3gpuE8ELNS1_3repE0EEENS1_30default_config_static_selectorELNS0_4arch9wavefront6targetE1EEEvS12_, .Lfunc_end331-_ZN7rocprim17ROCPRIM_400000_NS6detail17trampoline_kernelINS0_13select_configILj256ELj13ELNS0_17block_load_methodE3ELS4_3ELS4_3ELNS0_20block_scan_algorithmE0ELj4294967295EEENS1_25partition_config_selectorILNS1_17partition_subalgoE4EjNS0_10empty_typeEbEEZZNS1_14partition_implILS8_4ELb0ES6_15HIP_vector_typeIjLj2EENS0_17counting_iteratorIjlEEPS9_SG_NS0_5tupleIJPjSI_NS0_16reverse_iteratorISI_EEEEENSH_IJSG_SG_SG_EEES9_SI_JZNS1_25segmented_radix_sort_implINS0_14default_configELb0EPKaPaPKlPlN2at6native12_GLOBAL__N_18offset_tEEE10hipError_tPvRmT1_PNSt15iterator_traitsIS12_E10value_typeET2_T3_PNS13_IS18_E10value_typeET4_jRbjT5_S1E_jjP12ihipStream_tbEUljE_ZNSN_ISO_Lb0ESQ_SR_ST_SU_SY_EESZ_S10_S11_S12_S16_S17_S18_S1B_S1C_jS1D_jS1E_S1E_jjS1G_bEUljE0_EEESZ_S10_S11_S18_S1C_S1E_T6_T7_T9_mT8_S1G_bDpT10_ENKUlT_T0_E_clISt17integral_constantIbLb0EES1U_EEDaS1P_S1Q_EUlS1P_E_NS1_11comp_targetILNS1_3genE4ELNS1_11target_archE910ELNS1_3gpuE8ELNS1_3repE0EEENS1_30default_config_static_selectorELNS0_4arch9wavefront6targetE1EEEvS12_
                                        ; -- End function
	.section	.AMDGPU.csdata,"",@progbits
; Kernel info:
; codeLenInByte = 13332
; NumSgprs: 94
; NumVgprs: 102
; NumAgprs: 0
; TotalNumVgprs: 102
; ScratchSize: 0
; MemoryBound: 0
; FloatMode: 240
; IeeeMode: 1
; LDSByteSize: 13340 bytes/workgroup (compile time only)
; SGPRBlocks: 11
; VGPRBlocks: 12
; NumSGPRsForWavesPerEU: 94
; NumVGPRsForWavesPerEU: 102
; AccumOffset: 104
; Occupancy: 4
; WaveLimiterHint : 1
; COMPUTE_PGM_RSRC2:SCRATCH_EN: 0
; COMPUTE_PGM_RSRC2:USER_SGPR: 6
; COMPUTE_PGM_RSRC2:TRAP_HANDLER: 0
; COMPUTE_PGM_RSRC2:TGID_X_EN: 1
; COMPUTE_PGM_RSRC2:TGID_Y_EN: 0
; COMPUTE_PGM_RSRC2:TGID_Z_EN: 0
; COMPUTE_PGM_RSRC2:TIDIG_COMP_CNT: 0
; COMPUTE_PGM_RSRC3_GFX90A:ACCUM_OFFSET: 25
; COMPUTE_PGM_RSRC3_GFX90A:TG_SPLIT: 0
	.section	.text._ZN7rocprim17ROCPRIM_400000_NS6detail17trampoline_kernelINS0_13select_configILj256ELj13ELNS0_17block_load_methodE3ELS4_3ELS4_3ELNS0_20block_scan_algorithmE0ELj4294967295EEENS1_25partition_config_selectorILNS1_17partition_subalgoE4EjNS0_10empty_typeEbEEZZNS1_14partition_implILS8_4ELb0ES6_15HIP_vector_typeIjLj2EENS0_17counting_iteratorIjlEEPS9_SG_NS0_5tupleIJPjSI_NS0_16reverse_iteratorISI_EEEEENSH_IJSG_SG_SG_EEES9_SI_JZNS1_25segmented_radix_sort_implINS0_14default_configELb0EPKaPaPKlPlN2at6native12_GLOBAL__N_18offset_tEEE10hipError_tPvRmT1_PNSt15iterator_traitsIS12_E10value_typeET2_T3_PNS13_IS18_E10value_typeET4_jRbjT5_S1E_jjP12ihipStream_tbEUljE_ZNSN_ISO_Lb0ESQ_SR_ST_SU_SY_EESZ_S10_S11_S12_S16_S17_S18_S1B_S1C_jS1D_jS1E_S1E_jjS1G_bEUljE0_EEESZ_S10_S11_S18_S1C_S1E_T6_T7_T9_mT8_S1G_bDpT10_ENKUlT_T0_E_clISt17integral_constantIbLb0EES1U_EEDaS1P_S1Q_EUlS1P_E_NS1_11comp_targetILNS1_3genE3ELNS1_11target_archE908ELNS1_3gpuE7ELNS1_3repE0EEENS1_30default_config_static_selectorELNS0_4arch9wavefront6targetE1EEEvS12_,"axG",@progbits,_ZN7rocprim17ROCPRIM_400000_NS6detail17trampoline_kernelINS0_13select_configILj256ELj13ELNS0_17block_load_methodE3ELS4_3ELS4_3ELNS0_20block_scan_algorithmE0ELj4294967295EEENS1_25partition_config_selectorILNS1_17partition_subalgoE4EjNS0_10empty_typeEbEEZZNS1_14partition_implILS8_4ELb0ES6_15HIP_vector_typeIjLj2EENS0_17counting_iteratorIjlEEPS9_SG_NS0_5tupleIJPjSI_NS0_16reverse_iteratorISI_EEEEENSH_IJSG_SG_SG_EEES9_SI_JZNS1_25segmented_radix_sort_implINS0_14default_configELb0EPKaPaPKlPlN2at6native12_GLOBAL__N_18offset_tEEE10hipError_tPvRmT1_PNSt15iterator_traitsIS12_E10value_typeET2_T3_PNS13_IS18_E10value_typeET4_jRbjT5_S1E_jjP12ihipStream_tbEUljE_ZNSN_ISO_Lb0ESQ_SR_ST_SU_SY_EESZ_S10_S11_S12_S16_S17_S18_S1B_S1C_jS1D_jS1E_S1E_jjS1G_bEUljE0_EEESZ_S10_S11_S18_S1C_S1E_T6_T7_T9_mT8_S1G_bDpT10_ENKUlT_T0_E_clISt17integral_constantIbLb0EES1U_EEDaS1P_S1Q_EUlS1P_E_NS1_11comp_targetILNS1_3genE3ELNS1_11target_archE908ELNS1_3gpuE7ELNS1_3repE0EEENS1_30default_config_static_selectorELNS0_4arch9wavefront6targetE1EEEvS12_,comdat
	.globl	_ZN7rocprim17ROCPRIM_400000_NS6detail17trampoline_kernelINS0_13select_configILj256ELj13ELNS0_17block_load_methodE3ELS4_3ELS4_3ELNS0_20block_scan_algorithmE0ELj4294967295EEENS1_25partition_config_selectorILNS1_17partition_subalgoE4EjNS0_10empty_typeEbEEZZNS1_14partition_implILS8_4ELb0ES6_15HIP_vector_typeIjLj2EENS0_17counting_iteratorIjlEEPS9_SG_NS0_5tupleIJPjSI_NS0_16reverse_iteratorISI_EEEEENSH_IJSG_SG_SG_EEES9_SI_JZNS1_25segmented_radix_sort_implINS0_14default_configELb0EPKaPaPKlPlN2at6native12_GLOBAL__N_18offset_tEEE10hipError_tPvRmT1_PNSt15iterator_traitsIS12_E10value_typeET2_T3_PNS13_IS18_E10value_typeET4_jRbjT5_S1E_jjP12ihipStream_tbEUljE_ZNSN_ISO_Lb0ESQ_SR_ST_SU_SY_EESZ_S10_S11_S12_S16_S17_S18_S1B_S1C_jS1D_jS1E_S1E_jjS1G_bEUljE0_EEESZ_S10_S11_S18_S1C_S1E_T6_T7_T9_mT8_S1G_bDpT10_ENKUlT_T0_E_clISt17integral_constantIbLb0EES1U_EEDaS1P_S1Q_EUlS1P_E_NS1_11comp_targetILNS1_3genE3ELNS1_11target_archE908ELNS1_3gpuE7ELNS1_3repE0EEENS1_30default_config_static_selectorELNS0_4arch9wavefront6targetE1EEEvS12_ ; -- Begin function _ZN7rocprim17ROCPRIM_400000_NS6detail17trampoline_kernelINS0_13select_configILj256ELj13ELNS0_17block_load_methodE3ELS4_3ELS4_3ELNS0_20block_scan_algorithmE0ELj4294967295EEENS1_25partition_config_selectorILNS1_17partition_subalgoE4EjNS0_10empty_typeEbEEZZNS1_14partition_implILS8_4ELb0ES6_15HIP_vector_typeIjLj2EENS0_17counting_iteratorIjlEEPS9_SG_NS0_5tupleIJPjSI_NS0_16reverse_iteratorISI_EEEEENSH_IJSG_SG_SG_EEES9_SI_JZNS1_25segmented_radix_sort_implINS0_14default_configELb0EPKaPaPKlPlN2at6native12_GLOBAL__N_18offset_tEEE10hipError_tPvRmT1_PNSt15iterator_traitsIS12_E10value_typeET2_T3_PNS13_IS18_E10value_typeET4_jRbjT5_S1E_jjP12ihipStream_tbEUljE_ZNSN_ISO_Lb0ESQ_SR_ST_SU_SY_EESZ_S10_S11_S12_S16_S17_S18_S1B_S1C_jS1D_jS1E_S1E_jjS1G_bEUljE0_EEESZ_S10_S11_S18_S1C_S1E_T6_T7_T9_mT8_S1G_bDpT10_ENKUlT_T0_E_clISt17integral_constantIbLb0EES1U_EEDaS1P_S1Q_EUlS1P_E_NS1_11comp_targetILNS1_3genE3ELNS1_11target_archE908ELNS1_3gpuE7ELNS1_3repE0EEENS1_30default_config_static_selectorELNS0_4arch9wavefront6targetE1EEEvS12_
	.p2align	8
	.type	_ZN7rocprim17ROCPRIM_400000_NS6detail17trampoline_kernelINS0_13select_configILj256ELj13ELNS0_17block_load_methodE3ELS4_3ELS4_3ELNS0_20block_scan_algorithmE0ELj4294967295EEENS1_25partition_config_selectorILNS1_17partition_subalgoE4EjNS0_10empty_typeEbEEZZNS1_14partition_implILS8_4ELb0ES6_15HIP_vector_typeIjLj2EENS0_17counting_iteratorIjlEEPS9_SG_NS0_5tupleIJPjSI_NS0_16reverse_iteratorISI_EEEEENSH_IJSG_SG_SG_EEES9_SI_JZNS1_25segmented_radix_sort_implINS0_14default_configELb0EPKaPaPKlPlN2at6native12_GLOBAL__N_18offset_tEEE10hipError_tPvRmT1_PNSt15iterator_traitsIS12_E10value_typeET2_T3_PNS13_IS18_E10value_typeET4_jRbjT5_S1E_jjP12ihipStream_tbEUljE_ZNSN_ISO_Lb0ESQ_SR_ST_SU_SY_EESZ_S10_S11_S12_S16_S17_S18_S1B_S1C_jS1D_jS1E_S1E_jjS1G_bEUljE0_EEESZ_S10_S11_S18_S1C_S1E_T6_T7_T9_mT8_S1G_bDpT10_ENKUlT_T0_E_clISt17integral_constantIbLb0EES1U_EEDaS1P_S1Q_EUlS1P_E_NS1_11comp_targetILNS1_3genE3ELNS1_11target_archE908ELNS1_3gpuE7ELNS1_3repE0EEENS1_30default_config_static_selectorELNS0_4arch9wavefront6targetE1EEEvS12_,@function
_ZN7rocprim17ROCPRIM_400000_NS6detail17trampoline_kernelINS0_13select_configILj256ELj13ELNS0_17block_load_methodE3ELS4_3ELS4_3ELNS0_20block_scan_algorithmE0ELj4294967295EEENS1_25partition_config_selectorILNS1_17partition_subalgoE4EjNS0_10empty_typeEbEEZZNS1_14partition_implILS8_4ELb0ES6_15HIP_vector_typeIjLj2EENS0_17counting_iteratorIjlEEPS9_SG_NS0_5tupleIJPjSI_NS0_16reverse_iteratorISI_EEEEENSH_IJSG_SG_SG_EEES9_SI_JZNS1_25segmented_radix_sort_implINS0_14default_configELb0EPKaPaPKlPlN2at6native12_GLOBAL__N_18offset_tEEE10hipError_tPvRmT1_PNSt15iterator_traitsIS12_E10value_typeET2_T3_PNS13_IS18_E10value_typeET4_jRbjT5_S1E_jjP12ihipStream_tbEUljE_ZNSN_ISO_Lb0ESQ_SR_ST_SU_SY_EESZ_S10_S11_S12_S16_S17_S18_S1B_S1C_jS1D_jS1E_S1E_jjS1G_bEUljE0_EEESZ_S10_S11_S18_S1C_S1E_T6_T7_T9_mT8_S1G_bDpT10_ENKUlT_T0_E_clISt17integral_constantIbLb0EES1U_EEDaS1P_S1Q_EUlS1P_E_NS1_11comp_targetILNS1_3genE3ELNS1_11target_archE908ELNS1_3gpuE7ELNS1_3repE0EEENS1_30default_config_static_selectorELNS0_4arch9wavefront6targetE1EEEvS12_: ; @_ZN7rocprim17ROCPRIM_400000_NS6detail17trampoline_kernelINS0_13select_configILj256ELj13ELNS0_17block_load_methodE3ELS4_3ELS4_3ELNS0_20block_scan_algorithmE0ELj4294967295EEENS1_25partition_config_selectorILNS1_17partition_subalgoE4EjNS0_10empty_typeEbEEZZNS1_14partition_implILS8_4ELb0ES6_15HIP_vector_typeIjLj2EENS0_17counting_iteratorIjlEEPS9_SG_NS0_5tupleIJPjSI_NS0_16reverse_iteratorISI_EEEEENSH_IJSG_SG_SG_EEES9_SI_JZNS1_25segmented_radix_sort_implINS0_14default_configELb0EPKaPaPKlPlN2at6native12_GLOBAL__N_18offset_tEEE10hipError_tPvRmT1_PNSt15iterator_traitsIS12_E10value_typeET2_T3_PNS13_IS18_E10value_typeET4_jRbjT5_S1E_jjP12ihipStream_tbEUljE_ZNSN_ISO_Lb0ESQ_SR_ST_SU_SY_EESZ_S10_S11_S12_S16_S17_S18_S1B_S1C_jS1D_jS1E_S1E_jjS1G_bEUljE0_EEESZ_S10_S11_S18_S1C_S1E_T6_T7_T9_mT8_S1G_bDpT10_ENKUlT_T0_E_clISt17integral_constantIbLb0EES1U_EEDaS1P_S1Q_EUlS1P_E_NS1_11comp_targetILNS1_3genE3ELNS1_11target_archE908ELNS1_3gpuE7ELNS1_3repE0EEENS1_30default_config_static_selectorELNS0_4arch9wavefront6targetE1EEEvS12_
; %bb.0:
	.section	.rodata,"a",@progbits
	.p2align	6, 0x0
	.amdhsa_kernel _ZN7rocprim17ROCPRIM_400000_NS6detail17trampoline_kernelINS0_13select_configILj256ELj13ELNS0_17block_load_methodE3ELS4_3ELS4_3ELNS0_20block_scan_algorithmE0ELj4294967295EEENS1_25partition_config_selectorILNS1_17partition_subalgoE4EjNS0_10empty_typeEbEEZZNS1_14partition_implILS8_4ELb0ES6_15HIP_vector_typeIjLj2EENS0_17counting_iteratorIjlEEPS9_SG_NS0_5tupleIJPjSI_NS0_16reverse_iteratorISI_EEEEENSH_IJSG_SG_SG_EEES9_SI_JZNS1_25segmented_radix_sort_implINS0_14default_configELb0EPKaPaPKlPlN2at6native12_GLOBAL__N_18offset_tEEE10hipError_tPvRmT1_PNSt15iterator_traitsIS12_E10value_typeET2_T3_PNS13_IS18_E10value_typeET4_jRbjT5_S1E_jjP12ihipStream_tbEUljE_ZNSN_ISO_Lb0ESQ_SR_ST_SU_SY_EESZ_S10_S11_S12_S16_S17_S18_S1B_S1C_jS1D_jS1E_S1E_jjS1G_bEUljE0_EEESZ_S10_S11_S18_S1C_S1E_T6_T7_T9_mT8_S1G_bDpT10_ENKUlT_T0_E_clISt17integral_constantIbLb0EES1U_EEDaS1P_S1Q_EUlS1P_E_NS1_11comp_targetILNS1_3genE3ELNS1_11target_archE908ELNS1_3gpuE7ELNS1_3repE0EEENS1_30default_config_static_selectorELNS0_4arch9wavefront6targetE1EEEvS12_
		.amdhsa_group_segment_fixed_size 0
		.amdhsa_private_segment_fixed_size 0
		.amdhsa_kernarg_size 176
		.amdhsa_user_sgpr_count 6
		.amdhsa_user_sgpr_private_segment_buffer 1
		.amdhsa_user_sgpr_dispatch_ptr 0
		.amdhsa_user_sgpr_queue_ptr 0
		.amdhsa_user_sgpr_kernarg_segment_ptr 1
		.amdhsa_user_sgpr_dispatch_id 0
		.amdhsa_user_sgpr_flat_scratch_init 0
		.amdhsa_user_sgpr_kernarg_preload_length 0
		.amdhsa_user_sgpr_kernarg_preload_offset 0
		.amdhsa_user_sgpr_private_segment_size 0
		.amdhsa_uses_dynamic_stack 0
		.amdhsa_system_sgpr_private_segment_wavefront_offset 0
		.amdhsa_system_sgpr_workgroup_id_x 1
		.amdhsa_system_sgpr_workgroup_id_y 0
		.amdhsa_system_sgpr_workgroup_id_z 0
		.amdhsa_system_sgpr_workgroup_info 0
		.amdhsa_system_vgpr_workitem_id 0
		.amdhsa_next_free_vgpr 1
		.amdhsa_next_free_sgpr 0
		.amdhsa_accum_offset 4
		.amdhsa_reserve_vcc 0
		.amdhsa_reserve_flat_scratch 0
		.amdhsa_float_round_mode_32 0
		.amdhsa_float_round_mode_16_64 0
		.amdhsa_float_denorm_mode_32 3
		.amdhsa_float_denorm_mode_16_64 3
		.amdhsa_dx10_clamp 1
		.amdhsa_ieee_mode 1
		.amdhsa_fp16_overflow 0
		.amdhsa_tg_split 0
		.amdhsa_exception_fp_ieee_invalid_op 0
		.amdhsa_exception_fp_denorm_src 0
		.amdhsa_exception_fp_ieee_div_zero 0
		.amdhsa_exception_fp_ieee_overflow 0
		.amdhsa_exception_fp_ieee_underflow 0
		.amdhsa_exception_fp_ieee_inexact 0
		.amdhsa_exception_int_div_zero 0
	.end_amdhsa_kernel
	.section	.text._ZN7rocprim17ROCPRIM_400000_NS6detail17trampoline_kernelINS0_13select_configILj256ELj13ELNS0_17block_load_methodE3ELS4_3ELS4_3ELNS0_20block_scan_algorithmE0ELj4294967295EEENS1_25partition_config_selectorILNS1_17partition_subalgoE4EjNS0_10empty_typeEbEEZZNS1_14partition_implILS8_4ELb0ES6_15HIP_vector_typeIjLj2EENS0_17counting_iteratorIjlEEPS9_SG_NS0_5tupleIJPjSI_NS0_16reverse_iteratorISI_EEEEENSH_IJSG_SG_SG_EEES9_SI_JZNS1_25segmented_radix_sort_implINS0_14default_configELb0EPKaPaPKlPlN2at6native12_GLOBAL__N_18offset_tEEE10hipError_tPvRmT1_PNSt15iterator_traitsIS12_E10value_typeET2_T3_PNS13_IS18_E10value_typeET4_jRbjT5_S1E_jjP12ihipStream_tbEUljE_ZNSN_ISO_Lb0ESQ_SR_ST_SU_SY_EESZ_S10_S11_S12_S16_S17_S18_S1B_S1C_jS1D_jS1E_S1E_jjS1G_bEUljE0_EEESZ_S10_S11_S18_S1C_S1E_T6_T7_T9_mT8_S1G_bDpT10_ENKUlT_T0_E_clISt17integral_constantIbLb0EES1U_EEDaS1P_S1Q_EUlS1P_E_NS1_11comp_targetILNS1_3genE3ELNS1_11target_archE908ELNS1_3gpuE7ELNS1_3repE0EEENS1_30default_config_static_selectorELNS0_4arch9wavefront6targetE1EEEvS12_,"axG",@progbits,_ZN7rocprim17ROCPRIM_400000_NS6detail17trampoline_kernelINS0_13select_configILj256ELj13ELNS0_17block_load_methodE3ELS4_3ELS4_3ELNS0_20block_scan_algorithmE0ELj4294967295EEENS1_25partition_config_selectorILNS1_17partition_subalgoE4EjNS0_10empty_typeEbEEZZNS1_14partition_implILS8_4ELb0ES6_15HIP_vector_typeIjLj2EENS0_17counting_iteratorIjlEEPS9_SG_NS0_5tupleIJPjSI_NS0_16reverse_iteratorISI_EEEEENSH_IJSG_SG_SG_EEES9_SI_JZNS1_25segmented_radix_sort_implINS0_14default_configELb0EPKaPaPKlPlN2at6native12_GLOBAL__N_18offset_tEEE10hipError_tPvRmT1_PNSt15iterator_traitsIS12_E10value_typeET2_T3_PNS13_IS18_E10value_typeET4_jRbjT5_S1E_jjP12ihipStream_tbEUljE_ZNSN_ISO_Lb0ESQ_SR_ST_SU_SY_EESZ_S10_S11_S12_S16_S17_S18_S1B_S1C_jS1D_jS1E_S1E_jjS1G_bEUljE0_EEESZ_S10_S11_S18_S1C_S1E_T6_T7_T9_mT8_S1G_bDpT10_ENKUlT_T0_E_clISt17integral_constantIbLb0EES1U_EEDaS1P_S1Q_EUlS1P_E_NS1_11comp_targetILNS1_3genE3ELNS1_11target_archE908ELNS1_3gpuE7ELNS1_3repE0EEENS1_30default_config_static_selectorELNS0_4arch9wavefront6targetE1EEEvS12_,comdat
.Lfunc_end332:
	.size	_ZN7rocprim17ROCPRIM_400000_NS6detail17trampoline_kernelINS0_13select_configILj256ELj13ELNS0_17block_load_methodE3ELS4_3ELS4_3ELNS0_20block_scan_algorithmE0ELj4294967295EEENS1_25partition_config_selectorILNS1_17partition_subalgoE4EjNS0_10empty_typeEbEEZZNS1_14partition_implILS8_4ELb0ES6_15HIP_vector_typeIjLj2EENS0_17counting_iteratorIjlEEPS9_SG_NS0_5tupleIJPjSI_NS0_16reverse_iteratorISI_EEEEENSH_IJSG_SG_SG_EEES9_SI_JZNS1_25segmented_radix_sort_implINS0_14default_configELb0EPKaPaPKlPlN2at6native12_GLOBAL__N_18offset_tEEE10hipError_tPvRmT1_PNSt15iterator_traitsIS12_E10value_typeET2_T3_PNS13_IS18_E10value_typeET4_jRbjT5_S1E_jjP12ihipStream_tbEUljE_ZNSN_ISO_Lb0ESQ_SR_ST_SU_SY_EESZ_S10_S11_S12_S16_S17_S18_S1B_S1C_jS1D_jS1E_S1E_jjS1G_bEUljE0_EEESZ_S10_S11_S18_S1C_S1E_T6_T7_T9_mT8_S1G_bDpT10_ENKUlT_T0_E_clISt17integral_constantIbLb0EES1U_EEDaS1P_S1Q_EUlS1P_E_NS1_11comp_targetILNS1_3genE3ELNS1_11target_archE908ELNS1_3gpuE7ELNS1_3repE0EEENS1_30default_config_static_selectorELNS0_4arch9wavefront6targetE1EEEvS12_, .Lfunc_end332-_ZN7rocprim17ROCPRIM_400000_NS6detail17trampoline_kernelINS0_13select_configILj256ELj13ELNS0_17block_load_methodE3ELS4_3ELS4_3ELNS0_20block_scan_algorithmE0ELj4294967295EEENS1_25partition_config_selectorILNS1_17partition_subalgoE4EjNS0_10empty_typeEbEEZZNS1_14partition_implILS8_4ELb0ES6_15HIP_vector_typeIjLj2EENS0_17counting_iteratorIjlEEPS9_SG_NS0_5tupleIJPjSI_NS0_16reverse_iteratorISI_EEEEENSH_IJSG_SG_SG_EEES9_SI_JZNS1_25segmented_radix_sort_implINS0_14default_configELb0EPKaPaPKlPlN2at6native12_GLOBAL__N_18offset_tEEE10hipError_tPvRmT1_PNSt15iterator_traitsIS12_E10value_typeET2_T3_PNS13_IS18_E10value_typeET4_jRbjT5_S1E_jjP12ihipStream_tbEUljE_ZNSN_ISO_Lb0ESQ_SR_ST_SU_SY_EESZ_S10_S11_S12_S16_S17_S18_S1B_S1C_jS1D_jS1E_S1E_jjS1G_bEUljE0_EEESZ_S10_S11_S18_S1C_S1E_T6_T7_T9_mT8_S1G_bDpT10_ENKUlT_T0_E_clISt17integral_constantIbLb0EES1U_EEDaS1P_S1Q_EUlS1P_E_NS1_11comp_targetILNS1_3genE3ELNS1_11target_archE908ELNS1_3gpuE7ELNS1_3repE0EEENS1_30default_config_static_selectorELNS0_4arch9wavefront6targetE1EEEvS12_
                                        ; -- End function
	.section	.AMDGPU.csdata,"",@progbits
; Kernel info:
; codeLenInByte = 0
; NumSgprs: 4
; NumVgprs: 0
; NumAgprs: 0
; TotalNumVgprs: 0
; ScratchSize: 0
; MemoryBound: 0
; FloatMode: 240
; IeeeMode: 1
; LDSByteSize: 0 bytes/workgroup (compile time only)
; SGPRBlocks: 0
; VGPRBlocks: 0
; NumSGPRsForWavesPerEU: 4
; NumVGPRsForWavesPerEU: 1
; AccumOffset: 4
; Occupancy: 8
; WaveLimiterHint : 0
; COMPUTE_PGM_RSRC2:SCRATCH_EN: 0
; COMPUTE_PGM_RSRC2:USER_SGPR: 6
; COMPUTE_PGM_RSRC2:TRAP_HANDLER: 0
; COMPUTE_PGM_RSRC2:TGID_X_EN: 1
; COMPUTE_PGM_RSRC2:TGID_Y_EN: 0
; COMPUTE_PGM_RSRC2:TGID_Z_EN: 0
; COMPUTE_PGM_RSRC2:TIDIG_COMP_CNT: 0
; COMPUTE_PGM_RSRC3_GFX90A:ACCUM_OFFSET: 0
; COMPUTE_PGM_RSRC3_GFX90A:TG_SPLIT: 0
	.section	.text._ZN7rocprim17ROCPRIM_400000_NS6detail17trampoline_kernelINS0_13select_configILj256ELj13ELNS0_17block_load_methodE3ELS4_3ELS4_3ELNS0_20block_scan_algorithmE0ELj4294967295EEENS1_25partition_config_selectorILNS1_17partition_subalgoE4EjNS0_10empty_typeEbEEZZNS1_14partition_implILS8_4ELb0ES6_15HIP_vector_typeIjLj2EENS0_17counting_iteratorIjlEEPS9_SG_NS0_5tupleIJPjSI_NS0_16reverse_iteratorISI_EEEEENSH_IJSG_SG_SG_EEES9_SI_JZNS1_25segmented_radix_sort_implINS0_14default_configELb0EPKaPaPKlPlN2at6native12_GLOBAL__N_18offset_tEEE10hipError_tPvRmT1_PNSt15iterator_traitsIS12_E10value_typeET2_T3_PNS13_IS18_E10value_typeET4_jRbjT5_S1E_jjP12ihipStream_tbEUljE_ZNSN_ISO_Lb0ESQ_SR_ST_SU_SY_EESZ_S10_S11_S12_S16_S17_S18_S1B_S1C_jS1D_jS1E_S1E_jjS1G_bEUljE0_EEESZ_S10_S11_S18_S1C_S1E_T6_T7_T9_mT8_S1G_bDpT10_ENKUlT_T0_E_clISt17integral_constantIbLb0EES1U_EEDaS1P_S1Q_EUlS1P_E_NS1_11comp_targetILNS1_3genE2ELNS1_11target_archE906ELNS1_3gpuE6ELNS1_3repE0EEENS1_30default_config_static_selectorELNS0_4arch9wavefront6targetE1EEEvS12_,"axG",@progbits,_ZN7rocprim17ROCPRIM_400000_NS6detail17trampoline_kernelINS0_13select_configILj256ELj13ELNS0_17block_load_methodE3ELS4_3ELS4_3ELNS0_20block_scan_algorithmE0ELj4294967295EEENS1_25partition_config_selectorILNS1_17partition_subalgoE4EjNS0_10empty_typeEbEEZZNS1_14partition_implILS8_4ELb0ES6_15HIP_vector_typeIjLj2EENS0_17counting_iteratorIjlEEPS9_SG_NS0_5tupleIJPjSI_NS0_16reverse_iteratorISI_EEEEENSH_IJSG_SG_SG_EEES9_SI_JZNS1_25segmented_radix_sort_implINS0_14default_configELb0EPKaPaPKlPlN2at6native12_GLOBAL__N_18offset_tEEE10hipError_tPvRmT1_PNSt15iterator_traitsIS12_E10value_typeET2_T3_PNS13_IS18_E10value_typeET4_jRbjT5_S1E_jjP12ihipStream_tbEUljE_ZNSN_ISO_Lb0ESQ_SR_ST_SU_SY_EESZ_S10_S11_S12_S16_S17_S18_S1B_S1C_jS1D_jS1E_S1E_jjS1G_bEUljE0_EEESZ_S10_S11_S18_S1C_S1E_T6_T7_T9_mT8_S1G_bDpT10_ENKUlT_T0_E_clISt17integral_constantIbLb0EES1U_EEDaS1P_S1Q_EUlS1P_E_NS1_11comp_targetILNS1_3genE2ELNS1_11target_archE906ELNS1_3gpuE6ELNS1_3repE0EEENS1_30default_config_static_selectorELNS0_4arch9wavefront6targetE1EEEvS12_,comdat
	.globl	_ZN7rocprim17ROCPRIM_400000_NS6detail17trampoline_kernelINS0_13select_configILj256ELj13ELNS0_17block_load_methodE3ELS4_3ELS4_3ELNS0_20block_scan_algorithmE0ELj4294967295EEENS1_25partition_config_selectorILNS1_17partition_subalgoE4EjNS0_10empty_typeEbEEZZNS1_14partition_implILS8_4ELb0ES6_15HIP_vector_typeIjLj2EENS0_17counting_iteratorIjlEEPS9_SG_NS0_5tupleIJPjSI_NS0_16reverse_iteratorISI_EEEEENSH_IJSG_SG_SG_EEES9_SI_JZNS1_25segmented_radix_sort_implINS0_14default_configELb0EPKaPaPKlPlN2at6native12_GLOBAL__N_18offset_tEEE10hipError_tPvRmT1_PNSt15iterator_traitsIS12_E10value_typeET2_T3_PNS13_IS18_E10value_typeET4_jRbjT5_S1E_jjP12ihipStream_tbEUljE_ZNSN_ISO_Lb0ESQ_SR_ST_SU_SY_EESZ_S10_S11_S12_S16_S17_S18_S1B_S1C_jS1D_jS1E_S1E_jjS1G_bEUljE0_EEESZ_S10_S11_S18_S1C_S1E_T6_T7_T9_mT8_S1G_bDpT10_ENKUlT_T0_E_clISt17integral_constantIbLb0EES1U_EEDaS1P_S1Q_EUlS1P_E_NS1_11comp_targetILNS1_3genE2ELNS1_11target_archE906ELNS1_3gpuE6ELNS1_3repE0EEENS1_30default_config_static_selectorELNS0_4arch9wavefront6targetE1EEEvS12_ ; -- Begin function _ZN7rocprim17ROCPRIM_400000_NS6detail17trampoline_kernelINS0_13select_configILj256ELj13ELNS0_17block_load_methodE3ELS4_3ELS4_3ELNS0_20block_scan_algorithmE0ELj4294967295EEENS1_25partition_config_selectorILNS1_17partition_subalgoE4EjNS0_10empty_typeEbEEZZNS1_14partition_implILS8_4ELb0ES6_15HIP_vector_typeIjLj2EENS0_17counting_iteratorIjlEEPS9_SG_NS0_5tupleIJPjSI_NS0_16reverse_iteratorISI_EEEEENSH_IJSG_SG_SG_EEES9_SI_JZNS1_25segmented_radix_sort_implINS0_14default_configELb0EPKaPaPKlPlN2at6native12_GLOBAL__N_18offset_tEEE10hipError_tPvRmT1_PNSt15iterator_traitsIS12_E10value_typeET2_T3_PNS13_IS18_E10value_typeET4_jRbjT5_S1E_jjP12ihipStream_tbEUljE_ZNSN_ISO_Lb0ESQ_SR_ST_SU_SY_EESZ_S10_S11_S12_S16_S17_S18_S1B_S1C_jS1D_jS1E_S1E_jjS1G_bEUljE0_EEESZ_S10_S11_S18_S1C_S1E_T6_T7_T9_mT8_S1G_bDpT10_ENKUlT_T0_E_clISt17integral_constantIbLb0EES1U_EEDaS1P_S1Q_EUlS1P_E_NS1_11comp_targetILNS1_3genE2ELNS1_11target_archE906ELNS1_3gpuE6ELNS1_3repE0EEENS1_30default_config_static_selectorELNS0_4arch9wavefront6targetE1EEEvS12_
	.p2align	8
	.type	_ZN7rocprim17ROCPRIM_400000_NS6detail17trampoline_kernelINS0_13select_configILj256ELj13ELNS0_17block_load_methodE3ELS4_3ELS4_3ELNS0_20block_scan_algorithmE0ELj4294967295EEENS1_25partition_config_selectorILNS1_17partition_subalgoE4EjNS0_10empty_typeEbEEZZNS1_14partition_implILS8_4ELb0ES6_15HIP_vector_typeIjLj2EENS0_17counting_iteratorIjlEEPS9_SG_NS0_5tupleIJPjSI_NS0_16reverse_iteratorISI_EEEEENSH_IJSG_SG_SG_EEES9_SI_JZNS1_25segmented_radix_sort_implINS0_14default_configELb0EPKaPaPKlPlN2at6native12_GLOBAL__N_18offset_tEEE10hipError_tPvRmT1_PNSt15iterator_traitsIS12_E10value_typeET2_T3_PNS13_IS18_E10value_typeET4_jRbjT5_S1E_jjP12ihipStream_tbEUljE_ZNSN_ISO_Lb0ESQ_SR_ST_SU_SY_EESZ_S10_S11_S12_S16_S17_S18_S1B_S1C_jS1D_jS1E_S1E_jjS1G_bEUljE0_EEESZ_S10_S11_S18_S1C_S1E_T6_T7_T9_mT8_S1G_bDpT10_ENKUlT_T0_E_clISt17integral_constantIbLb0EES1U_EEDaS1P_S1Q_EUlS1P_E_NS1_11comp_targetILNS1_3genE2ELNS1_11target_archE906ELNS1_3gpuE6ELNS1_3repE0EEENS1_30default_config_static_selectorELNS0_4arch9wavefront6targetE1EEEvS12_,@function
_ZN7rocprim17ROCPRIM_400000_NS6detail17trampoline_kernelINS0_13select_configILj256ELj13ELNS0_17block_load_methodE3ELS4_3ELS4_3ELNS0_20block_scan_algorithmE0ELj4294967295EEENS1_25partition_config_selectorILNS1_17partition_subalgoE4EjNS0_10empty_typeEbEEZZNS1_14partition_implILS8_4ELb0ES6_15HIP_vector_typeIjLj2EENS0_17counting_iteratorIjlEEPS9_SG_NS0_5tupleIJPjSI_NS0_16reverse_iteratorISI_EEEEENSH_IJSG_SG_SG_EEES9_SI_JZNS1_25segmented_radix_sort_implINS0_14default_configELb0EPKaPaPKlPlN2at6native12_GLOBAL__N_18offset_tEEE10hipError_tPvRmT1_PNSt15iterator_traitsIS12_E10value_typeET2_T3_PNS13_IS18_E10value_typeET4_jRbjT5_S1E_jjP12ihipStream_tbEUljE_ZNSN_ISO_Lb0ESQ_SR_ST_SU_SY_EESZ_S10_S11_S12_S16_S17_S18_S1B_S1C_jS1D_jS1E_S1E_jjS1G_bEUljE0_EEESZ_S10_S11_S18_S1C_S1E_T6_T7_T9_mT8_S1G_bDpT10_ENKUlT_T0_E_clISt17integral_constantIbLb0EES1U_EEDaS1P_S1Q_EUlS1P_E_NS1_11comp_targetILNS1_3genE2ELNS1_11target_archE906ELNS1_3gpuE6ELNS1_3repE0EEENS1_30default_config_static_selectorELNS0_4arch9wavefront6targetE1EEEvS12_: ; @_ZN7rocprim17ROCPRIM_400000_NS6detail17trampoline_kernelINS0_13select_configILj256ELj13ELNS0_17block_load_methodE3ELS4_3ELS4_3ELNS0_20block_scan_algorithmE0ELj4294967295EEENS1_25partition_config_selectorILNS1_17partition_subalgoE4EjNS0_10empty_typeEbEEZZNS1_14partition_implILS8_4ELb0ES6_15HIP_vector_typeIjLj2EENS0_17counting_iteratorIjlEEPS9_SG_NS0_5tupleIJPjSI_NS0_16reverse_iteratorISI_EEEEENSH_IJSG_SG_SG_EEES9_SI_JZNS1_25segmented_radix_sort_implINS0_14default_configELb0EPKaPaPKlPlN2at6native12_GLOBAL__N_18offset_tEEE10hipError_tPvRmT1_PNSt15iterator_traitsIS12_E10value_typeET2_T3_PNS13_IS18_E10value_typeET4_jRbjT5_S1E_jjP12ihipStream_tbEUljE_ZNSN_ISO_Lb0ESQ_SR_ST_SU_SY_EESZ_S10_S11_S12_S16_S17_S18_S1B_S1C_jS1D_jS1E_S1E_jjS1G_bEUljE0_EEESZ_S10_S11_S18_S1C_S1E_T6_T7_T9_mT8_S1G_bDpT10_ENKUlT_T0_E_clISt17integral_constantIbLb0EES1U_EEDaS1P_S1Q_EUlS1P_E_NS1_11comp_targetILNS1_3genE2ELNS1_11target_archE906ELNS1_3gpuE6ELNS1_3repE0EEENS1_30default_config_static_selectorELNS0_4arch9wavefront6targetE1EEEvS12_
; %bb.0:
	.section	.rodata,"a",@progbits
	.p2align	6, 0x0
	.amdhsa_kernel _ZN7rocprim17ROCPRIM_400000_NS6detail17trampoline_kernelINS0_13select_configILj256ELj13ELNS0_17block_load_methodE3ELS4_3ELS4_3ELNS0_20block_scan_algorithmE0ELj4294967295EEENS1_25partition_config_selectorILNS1_17partition_subalgoE4EjNS0_10empty_typeEbEEZZNS1_14partition_implILS8_4ELb0ES6_15HIP_vector_typeIjLj2EENS0_17counting_iteratorIjlEEPS9_SG_NS0_5tupleIJPjSI_NS0_16reverse_iteratorISI_EEEEENSH_IJSG_SG_SG_EEES9_SI_JZNS1_25segmented_radix_sort_implINS0_14default_configELb0EPKaPaPKlPlN2at6native12_GLOBAL__N_18offset_tEEE10hipError_tPvRmT1_PNSt15iterator_traitsIS12_E10value_typeET2_T3_PNS13_IS18_E10value_typeET4_jRbjT5_S1E_jjP12ihipStream_tbEUljE_ZNSN_ISO_Lb0ESQ_SR_ST_SU_SY_EESZ_S10_S11_S12_S16_S17_S18_S1B_S1C_jS1D_jS1E_S1E_jjS1G_bEUljE0_EEESZ_S10_S11_S18_S1C_S1E_T6_T7_T9_mT8_S1G_bDpT10_ENKUlT_T0_E_clISt17integral_constantIbLb0EES1U_EEDaS1P_S1Q_EUlS1P_E_NS1_11comp_targetILNS1_3genE2ELNS1_11target_archE906ELNS1_3gpuE6ELNS1_3repE0EEENS1_30default_config_static_selectorELNS0_4arch9wavefront6targetE1EEEvS12_
		.amdhsa_group_segment_fixed_size 0
		.amdhsa_private_segment_fixed_size 0
		.amdhsa_kernarg_size 176
		.amdhsa_user_sgpr_count 6
		.amdhsa_user_sgpr_private_segment_buffer 1
		.amdhsa_user_sgpr_dispatch_ptr 0
		.amdhsa_user_sgpr_queue_ptr 0
		.amdhsa_user_sgpr_kernarg_segment_ptr 1
		.amdhsa_user_sgpr_dispatch_id 0
		.amdhsa_user_sgpr_flat_scratch_init 0
		.amdhsa_user_sgpr_kernarg_preload_length 0
		.amdhsa_user_sgpr_kernarg_preload_offset 0
		.amdhsa_user_sgpr_private_segment_size 0
		.amdhsa_uses_dynamic_stack 0
		.amdhsa_system_sgpr_private_segment_wavefront_offset 0
		.amdhsa_system_sgpr_workgroup_id_x 1
		.amdhsa_system_sgpr_workgroup_id_y 0
		.amdhsa_system_sgpr_workgroup_id_z 0
		.amdhsa_system_sgpr_workgroup_info 0
		.amdhsa_system_vgpr_workitem_id 0
		.amdhsa_next_free_vgpr 1
		.amdhsa_next_free_sgpr 0
		.amdhsa_accum_offset 4
		.amdhsa_reserve_vcc 0
		.amdhsa_reserve_flat_scratch 0
		.amdhsa_float_round_mode_32 0
		.amdhsa_float_round_mode_16_64 0
		.amdhsa_float_denorm_mode_32 3
		.amdhsa_float_denorm_mode_16_64 3
		.amdhsa_dx10_clamp 1
		.amdhsa_ieee_mode 1
		.amdhsa_fp16_overflow 0
		.amdhsa_tg_split 0
		.amdhsa_exception_fp_ieee_invalid_op 0
		.amdhsa_exception_fp_denorm_src 0
		.amdhsa_exception_fp_ieee_div_zero 0
		.amdhsa_exception_fp_ieee_overflow 0
		.amdhsa_exception_fp_ieee_underflow 0
		.amdhsa_exception_fp_ieee_inexact 0
		.amdhsa_exception_int_div_zero 0
	.end_amdhsa_kernel
	.section	.text._ZN7rocprim17ROCPRIM_400000_NS6detail17trampoline_kernelINS0_13select_configILj256ELj13ELNS0_17block_load_methodE3ELS4_3ELS4_3ELNS0_20block_scan_algorithmE0ELj4294967295EEENS1_25partition_config_selectorILNS1_17partition_subalgoE4EjNS0_10empty_typeEbEEZZNS1_14partition_implILS8_4ELb0ES6_15HIP_vector_typeIjLj2EENS0_17counting_iteratorIjlEEPS9_SG_NS0_5tupleIJPjSI_NS0_16reverse_iteratorISI_EEEEENSH_IJSG_SG_SG_EEES9_SI_JZNS1_25segmented_radix_sort_implINS0_14default_configELb0EPKaPaPKlPlN2at6native12_GLOBAL__N_18offset_tEEE10hipError_tPvRmT1_PNSt15iterator_traitsIS12_E10value_typeET2_T3_PNS13_IS18_E10value_typeET4_jRbjT5_S1E_jjP12ihipStream_tbEUljE_ZNSN_ISO_Lb0ESQ_SR_ST_SU_SY_EESZ_S10_S11_S12_S16_S17_S18_S1B_S1C_jS1D_jS1E_S1E_jjS1G_bEUljE0_EEESZ_S10_S11_S18_S1C_S1E_T6_T7_T9_mT8_S1G_bDpT10_ENKUlT_T0_E_clISt17integral_constantIbLb0EES1U_EEDaS1P_S1Q_EUlS1P_E_NS1_11comp_targetILNS1_3genE2ELNS1_11target_archE906ELNS1_3gpuE6ELNS1_3repE0EEENS1_30default_config_static_selectorELNS0_4arch9wavefront6targetE1EEEvS12_,"axG",@progbits,_ZN7rocprim17ROCPRIM_400000_NS6detail17trampoline_kernelINS0_13select_configILj256ELj13ELNS0_17block_load_methodE3ELS4_3ELS4_3ELNS0_20block_scan_algorithmE0ELj4294967295EEENS1_25partition_config_selectorILNS1_17partition_subalgoE4EjNS0_10empty_typeEbEEZZNS1_14partition_implILS8_4ELb0ES6_15HIP_vector_typeIjLj2EENS0_17counting_iteratorIjlEEPS9_SG_NS0_5tupleIJPjSI_NS0_16reverse_iteratorISI_EEEEENSH_IJSG_SG_SG_EEES9_SI_JZNS1_25segmented_radix_sort_implINS0_14default_configELb0EPKaPaPKlPlN2at6native12_GLOBAL__N_18offset_tEEE10hipError_tPvRmT1_PNSt15iterator_traitsIS12_E10value_typeET2_T3_PNS13_IS18_E10value_typeET4_jRbjT5_S1E_jjP12ihipStream_tbEUljE_ZNSN_ISO_Lb0ESQ_SR_ST_SU_SY_EESZ_S10_S11_S12_S16_S17_S18_S1B_S1C_jS1D_jS1E_S1E_jjS1G_bEUljE0_EEESZ_S10_S11_S18_S1C_S1E_T6_T7_T9_mT8_S1G_bDpT10_ENKUlT_T0_E_clISt17integral_constantIbLb0EES1U_EEDaS1P_S1Q_EUlS1P_E_NS1_11comp_targetILNS1_3genE2ELNS1_11target_archE906ELNS1_3gpuE6ELNS1_3repE0EEENS1_30default_config_static_selectorELNS0_4arch9wavefront6targetE1EEEvS12_,comdat
.Lfunc_end333:
	.size	_ZN7rocprim17ROCPRIM_400000_NS6detail17trampoline_kernelINS0_13select_configILj256ELj13ELNS0_17block_load_methodE3ELS4_3ELS4_3ELNS0_20block_scan_algorithmE0ELj4294967295EEENS1_25partition_config_selectorILNS1_17partition_subalgoE4EjNS0_10empty_typeEbEEZZNS1_14partition_implILS8_4ELb0ES6_15HIP_vector_typeIjLj2EENS0_17counting_iteratorIjlEEPS9_SG_NS0_5tupleIJPjSI_NS0_16reverse_iteratorISI_EEEEENSH_IJSG_SG_SG_EEES9_SI_JZNS1_25segmented_radix_sort_implINS0_14default_configELb0EPKaPaPKlPlN2at6native12_GLOBAL__N_18offset_tEEE10hipError_tPvRmT1_PNSt15iterator_traitsIS12_E10value_typeET2_T3_PNS13_IS18_E10value_typeET4_jRbjT5_S1E_jjP12ihipStream_tbEUljE_ZNSN_ISO_Lb0ESQ_SR_ST_SU_SY_EESZ_S10_S11_S12_S16_S17_S18_S1B_S1C_jS1D_jS1E_S1E_jjS1G_bEUljE0_EEESZ_S10_S11_S18_S1C_S1E_T6_T7_T9_mT8_S1G_bDpT10_ENKUlT_T0_E_clISt17integral_constantIbLb0EES1U_EEDaS1P_S1Q_EUlS1P_E_NS1_11comp_targetILNS1_3genE2ELNS1_11target_archE906ELNS1_3gpuE6ELNS1_3repE0EEENS1_30default_config_static_selectorELNS0_4arch9wavefront6targetE1EEEvS12_, .Lfunc_end333-_ZN7rocprim17ROCPRIM_400000_NS6detail17trampoline_kernelINS0_13select_configILj256ELj13ELNS0_17block_load_methodE3ELS4_3ELS4_3ELNS0_20block_scan_algorithmE0ELj4294967295EEENS1_25partition_config_selectorILNS1_17partition_subalgoE4EjNS0_10empty_typeEbEEZZNS1_14partition_implILS8_4ELb0ES6_15HIP_vector_typeIjLj2EENS0_17counting_iteratorIjlEEPS9_SG_NS0_5tupleIJPjSI_NS0_16reverse_iteratorISI_EEEEENSH_IJSG_SG_SG_EEES9_SI_JZNS1_25segmented_radix_sort_implINS0_14default_configELb0EPKaPaPKlPlN2at6native12_GLOBAL__N_18offset_tEEE10hipError_tPvRmT1_PNSt15iterator_traitsIS12_E10value_typeET2_T3_PNS13_IS18_E10value_typeET4_jRbjT5_S1E_jjP12ihipStream_tbEUljE_ZNSN_ISO_Lb0ESQ_SR_ST_SU_SY_EESZ_S10_S11_S12_S16_S17_S18_S1B_S1C_jS1D_jS1E_S1E_jjS1G_bEUljE0_EEESZ_S10_S11_S18_S1C_S1E_T6_T7_T9_mT8_S1G_bDpT10_ENKUlT_T0_E_clISt17integral_constantIbLb0EES1U_EEDaS1P_S1Q_EUlS1P_E_NS1_11comp_targetILNS1_3genE2ELNS1_11target_archE906ELNS1_3gpuE6ELNS1_3repE0EEENS1_30default_config_static_selectorELNS0_4arch9wavefront6targetE1EEEvS12_
                                        ; -- End function
	.section	.AMDGPU.csdata,"",@progbits
; Kernel info:
; codeLenInByte = 0
; NumSgprs: 4
; NumVgprs: 0
; NumAgprs: 0
; TotalNumVgprs: 0
; ScratchSize: 0
; MemoryBound: 0
; FloatMode: 240
; IeeeMode: 1
; LDSByteSize: 0 bytes/workgroup (compile time only)
; SGPRBlocks: 0
; VGPRBlocks: 0
; NumSGPRsForWavesPerEU: 4
; NumVGPRsForWavesPerEU: 1
; AccumOffset: 4
; Occupancy: 8
; WaveLimiterHint : 0
; COMPUTE_PGM_RSRC2:SCRATCH_EN: 0
; COMPUTE_PGM_RSRC2:USER_SGPR: 6
; COMPUTE_PGM_RSRC2:TRAP_HANDLER: 0
; COMPUTE_PGM_RSRC2:TGID_X_EN: 1
; COMPUTE_PGM_RSRC2:TGID_Y_EN: 0
; COMPUTE_PGM_RSRC2:TGID_Z_EN: 0
; COMPUTE_PGM_RSRC2:TIDIG_COMP_CNT: 0
; COMPUTE_PGM_RSRC3_GFX90A:ACCUM_OFFSET: 0
; COMPUTE_PGM_RSRC3_GFX90A:TG_SPLIT: 0
	.section	.text._ZN7rocprim17ROCPRIM_400000_NS6detail17trampoline_kernelINS0_13select_configILj256ELj13ELNS0_17block_load_methodE3ELS4_3ELS4_3ELNS0_20block_scan_algorithmE0ELj4294967295EEENS1_25partition_config_selectorILNS1_17partition_subalgoE4EjNS0_10empty_typeEbEEZZNS1_14partition_implILS8_4ELb0ES6_15HIP_vector_typeIjLj2EENS0_17counting_iteratorIjlEEPS9_SG_NS0_5tupleIJPjSI_NS0_16reverse_iteratorISI_EEEEENSH_IJSG_SG_SG_EEES9_SI_JZNS1_25segmented_radix_sort_implINS0_14default_configELb0EPKaPaPKlPlN2at6native12_GLOBAL__N_18offset_tEEE10hipError_tPvRmT1_PNSt15iterator_traitsIS12_E10value_typeET2_T3_PNS13_IS18_E10value_typeET4_jRbjT5_S1E_jjP12ihipStream_tbEUljE_ZNSN_ISO_Lb0ESQ_SR_ST_SU_SY_EESZ_S10_S11_S12_S16_S17_S18_S1B_S1C_jS1D_jS1E_S1E_jjS1G_bEUljE0_EEESZ_S10_S11_S18_S1C_S1E_T6_T7_T9_mT8_S1G_bDpT10_ENKUlT_T0_E_clISt17integral_constantIbLb0EES1U_EEDaS1P_S1Q_EUlS1P_E_NS1_11comp_targetILNS1_3genE10ELNS1_11target_archE1200ELNS1_3gpuE4ELNS1_3repE0EEENS1_30default_config_static_selectorELNS0_4arch9wavefront6targetE1EEEvS12_,"axG",@progbits,_ZN7rocprim17ROCPRIM_400000_NS6detail17trampoline_kernelINS0_13select_configILj256ELj13ELNS0_17block_load_methodE3ELS4_3ELS4_3ELNS0_20block_scan_algorithmE0ELj4294967295EEENS1_25partition_config_selectorILNS1_17partition_subalgoE4EjNS0_10empty_typeEbEEZZNS1_14partition_implILS8_4ELb0ES6_15HIP_vector_typeIjLj2EENS0_17counting_iteratorIjlEEPS9_SG_NS0_5tupleIJPjSI_NS0_16reverse_iteratorISI_EEEEENSH_IJSG_SG_SG_EEES9_SI_JZNS1_25segmented_radix_sort_implINS0_14default_configELb0EPKaPaPKlPlN2at6native12_GLOBAL__N_18offset_tEEE10hipError_tPvRmT1_PNSt15iterator_traitsIS12_E10value_typeET2_T3_PNS13_IS18_E10value_typeET4_jRbjT5_S1E_jjP12ihipStream_tbEUljE_ZNSN_ISO_Lb0ESQ_SR_ST_SU_SY_EESZ_S10_S11_S12_S16_S17_S18_S1B_S1C_jS1D_jS1E_S1E_jjS1G_bEUljE0_EEESZ_S10_S11_S18_S1C_S1E_T6_T7_T9_mT8_S1G_bDpT10_ENKUlT_T0_E_clISt17integral_constantIbLb0EES1U_EEDaS1P_S1Q_EUlS1P_E_NS1_11comp_targetILNS1_3genE10ELNS1_11target_archE1200ELNS1_3gpuE4ELNS1_3repE0EEENS1_30default_config_static_selectorELNS0_4arch9wavefront6targetE1EEEvS12_,comdat
	.globl	_ZN7rocprim17ROCPRIM_400000_NS6detail17trampoline_kernelINS0_13select_configILj256ELj13ELNS0_17block_load_methodE3ELS4_3ELS4_3ELNS0_20block_scan_algorithmE0ELj4294967295EEENS1_25partition_config_selectorILNS1_17partition_subalgoE4EjNS0_10empty_typeEbEEZZNS1_14partition_implILS8_4ELb0ES6_15HIP_vector_typeIjLj2EENS0_17counting_iteratorIjlEEPS9_SG_NS0_5tupleIJPjSI_NS0_16reverse_iteratorISI_EEEEENSH_IJSG_SG_SG_EEES9_SI_JZNS1_25segmented_radix_sort_implINS0_14default_configELb0EPKaPaPKlPlN2at6native12_GLOBAL__N_18offset_tEEE10hipError_tPvRmT1_PNSt15iterator_traitsIS12_E10value_typeET2_T3_PNS13_IS18_E10value_typeET4_jRbjT5_S1E_jjP12ihipStream_tbEUljE_ZNSN_ISO_Lb0ESQ_SR_ST_SU_SY_EESZ_S10_S11_S12_S16_S17_S18_S1B_S1C_jS1D_jS1E_S1E_jjS1G_bEUljE0_EEESZ_S10_S11_S18_S1C_S1E_T6_T7_T9_mT8_S1G_bDpT10_ENKUlT_T0_E_clISt17integral_constantIbLb0EES1U_EEDaS1P_S1Q_EUlS1P_E_NS1_11comp_targetILNS1_3genE10ELNS1_11target_archE1200ELNS1_3gpuE4ELNS1_3repE0EEENS1_30default_config_static_selectorELNS0_4arch9wavefront6targetE1EEEvS12_ ; -- Begin function _ZN7rocprim17ROCPRIM_400000_NS6detail17trampoline_kernelINS0_13select_configILj256ELj13ELNS0_17block_load_methodE3ELS4_3ELS4_3ELNS0_20block_scan_algorithmE0ELj4294967295EEENS1_25partition_config_selectorILNS1_17partition_subalgoE4EjNS0_10empty_typeEbEEZZNS1_14partition_implILS8_4ELb0ES6_15HIP_vector_typeIjLj2EENS0_17counting_iteratorIjlEEPS9_SG_NS0_5tupleIJPjSI_NS0_16reverse_iteratorISI_EEEEENSH_IJSG_SG_SG_EEES9_SI_JZNS1_25segmented_radix_sort_implINS0_14default_configELb0EPKaPaPKlPlN2at6native12_GLOBAL__N_18offset_tEEE10hipError_tPvRmT1_PNSt15iterator_traitsIS12_E10value_typeET2_T3_PNS13_IS18_E10value_typeET4_jRbjT5_S1E_jjP12ihipStream_tbEUljE_ZNSN_ISO_Lb0ESQ_SR_ST_SU_SY_EESZ_S10_S11_S12_S16_S17_S18_S1B_S1C_jS1D_jS1E_S1E_jjS1G_bEUljE0_EEESZ_S10_S11_S18_S1C_S1E_T6_T7_T9_mT8_S1G_bDpT10_ENKUlT_T0_E_clISt17integral_constantIbLb0EES1U_EEDaS1P_S1Q_EUlS1P_E_NS1_11comp_targetILNS1_3genE10ELNS1_11target_archE1200ELNS1_3gpuE4ELNS1_3repE0EEENS1_30default_config_static_selectorELNS0_4arch9wavefront6targetE1EEEvS12_
	.p2align	8
	.type	_ZN7rocprim17ROCPRIM_400000_NS6detail17trampoline_kernelINS0_13select_configILj256ELj13ELNS0_17block_load_methodE3ELS4_3ELS4_3ELNS0_20block_scan_algorithmE0ELj4294967295EEENS1_25partition_config_selectorILNS1_17partition_subalgoE4EjNS0_10empty_typeEbEEZZNS1_14partition_implILS8_4ELb0ES6_15HIP_vector_typeIjLj2EENS0_17counting_iteratorIjlEEPS9_SG_NS0_5tupleIJPjSI_NS0_16reverse_iteratorISI_EEEEENSH_IJSG_SG_SG_EEES9_SI_JZNS1_25segmented_radix_sort_implINS0_14default_configELb0EPKaPaPKlPlN2at6native12_GLOBAL__N_18offset_tEEE10hipError_tPvRmT1_PNSt15iterator_traitsIS12_E10value_typeET2_T3_PNS13_IS18_E10value_typeET4_jRbjT5_S1E_jjP12ihipStream_tbEUljE_ZNSN_ISO_Lb0ESQ_SR_ST_SU_SY_EESZ_S10_S11_S12_S16_S17_S18_S1B_S1C_jS1D_jS1E_S1E_jjS1G_bEUljE0_EEESZ_S10_S11_S18_S1C_S1E_T6_T7_T9_mT8_S1G_bDpT10_ENKUlT_T0_E_clISt17integral_constantIbLb0EES1U_EEDaS1P_S1Q_EUlS1P_E_NS1_11comp_targetILNS1_3genE10ELNS1_11target_archE1200ELNS1_3gpuE4ELNS1_3repE0EEENS1_30default_config_static_selectorELNS0_4arch9wavefront6targetE1EEEvS12_,@function
_ZN7rocprim17ROCPRIM_400000_NS6detail17trampoline_kernelINS0_13select_configILj256ELj13ELNS0_17block_load_methodE3ELS4_3ELS4_3ELNS0_20block_scan_algorithmE0ELj4294967295EEENS1_25partition_config_selectorILNS1_17partition_subalgoE4EjNS0_10empty_typeEbEEZZNS1_14partition_implILS8_4ELb0ES6_15HIP_vector_typeIjLj2EENS0_17counting_iteratorIjlEEPS9_SG_NS0_5tupleIJPjSI_NS0_16reverse_iteratorISI_EEEEENSH_IJSG_SG_SG_EEES9_SI_JZNS1_25segmented_radix_sort_implINS0_14default_configELb0EPKaPaPKlPlN2at6native12_GLOBAL__N_18offset_tEEE10hipError_tPvRmT1_PNSt15iterator_traitsIS12_E10value_typeET2_T3_PNS13_IS18_E10value_typeET4_jRbjT5_S1E_jjP12ihipStream_tbEUljE_ZNSN_ISO_Lb0ESQ_SR_ST_SU_SY_EESZ_S10_S11_S12_S16_S17_S18_S1B_S1C_jS1D_jS1E_S1E_jjS1G_bEUljE0_EEESZ_S10_S11_S18_S1C_S1E_T6_T7_T9_mT8_S1G_bDpT10_ENKUlT_T0_E_clISt17integral_constantIbLb0EES1U_EEDaS1P_S1Q_EUlS1P_E_NS1_11comp_targetILNS1_3genE10ELNS1_11target_archE1200ELNS1_3gpuE4ELNS1_3repE0EEENS1_30default_config_static_selectorELNS0_4arch9wavefront6targetE1EEEvS12_: ; @_ZN7rocprim17ROCPRIM_400000_NS6detail17trampoline_kernelINS0_13select_configILj256ELj13ELNS0_17block_load_methodE3ELS4_3ELS4_3ELNS0_20block_scan_algorithmE0ELj4294967295EEENS1_25partition_config_selectorILNS1_17partition_subalgoE4EjNS0_10empty_typeEbEEZZNS1_14partition_implILS8_4ELb0ES6_15HIP_vector_typeIjLj2EENS0_17counting_iteratorIjlEEPS9_SG_NS0_5tupleIJPjSI_NS0_16reverse_iteratorISI_EEEEENSH_IJSG_SG_SG_EEES9_SI_JZNS1_25segmented_radix_sort_implINS0_14default_configELb0EPKaPaPKlPlN2at6native12_GLOBAL__N_18offset_tEEE10hipError_tPvRmT1_PNSt15iterator_traitsIS12_E10value_typeET2_T3_PNS13_IS18_E10value_typeET4_jRbjT5_S1E_jjP12ihipStream_tbEUljE_ZNSN_ISO_Lb0ESQ_SR_ST_SU_SY_EESZ_S10_S11_S12_S16_S17_S18_S1B_S1C_jS1D_jS1E_S1E_jjS1G_bEUljE0_EEESZ_S10_S11_S18_S1C_S1E_T6_T7_T9_mT8_S1G_bDpT10_ENKUlT_T0_E_clISt17integral_constantIbLb0EES1U_EEDaS1P_S1Q_EUlS1P_E_NS1_11comp_targetILNS1_3genE10ELNS1_11target_archE1200ELNS1_3gpuE4ELNS1_3repE0EEENS1_30default_config_static_selectorELNS0_4arch9wavefront6targetE1EEEvS12_
; %bb.0:
	.section	.rodata,"a",@progbits
	.p2align	6, 0x0
	.amdhsa_kernel _ZN7rocprim17ROCPRIM_400000_NS6detail17trampoline_kernelINS0_13select_configILj256ELj13ELNS0_17block_load_methodE3ELS4_3ELS4_3ELNS0_20block_scan_algorithmE0ELj4294967295EEENS1_25partition_config_selectorILNS1_17partition_subalgoE4EjNS0_10empty_typeEbEEZZNS1_14partition_implILS8_4ELb0ES6_15HIP_vector_typeIjLj2EENS0_17counting_iteratorIjlEEPS9_SG_NS0_5tupleIJPjSI_NS0_16reverse_iteratorISI_EEEEENSH_IJSG_SG_SG_EEES9_SI_JZNS1_25segmented_radix_sort_implINS0_14default_configELb0EPKaPaPKlPlN2at6native12_GLOBAL__N_18offset_tEEE10hipError_tPvRmT1_PNSt15iterator_traitsIS12_E10value_typeET2_T3_PNS13_IS18_E10value_typeET4_jRbjT5_S1E_jjP12ihipStream_tbEUljE_ZNSN_ISO_Lb0ESQ_SR_ST_SU_SY_EESZ_S10_S11_S12_S16_S17_S18_S1B_S1C_jS1D_jS1E_S1E_jjS1G_bEUljE0_EEESZ_S10_S11_S18_S1C_S1E_T6_T7_T9_mT8_S1G_bDpT10_ENKUlT_T0_E_clISt17integral_constantIbLb0EES1U_EEDaS1P_S1Q_EUlS1P_E_NS1_11comp_targetILNS1_3genE10ELNS1_11target_archE1200ELNS1_3gpuE4ELNS1_3repE0EEENS1_30default_config_static_selectorELNS0_4arch9wavefront6targetE1EEEvS12_
		.amdhsa_group_segment_fixed_size 0
		.amdhsa_private_segment_fixed_size 0
		.amdhsa_kernarg_size 176
		.amdhsa_user_sgpr_count 6
		.amdhsa_user_sgpr_private_segment_buffer 1
		.amdhsa_user_sgpr_dispatch_ptr 0
		.amdhsa_user_sgpr_queue_ptr 0
		.amdhsa_user_sgpr_kernarg_segment_ptr 1
		.amdhsa_user_sgpr_dispatch_id 0
		.amdhsa_user_sgpr_flat_scratch_init 0
		.amdhsa_user_sgpr_kernarg_preload_length 0
		.amdhsa_user_sgpr_kernarg_preload_offset 0
		.amdhsa_user_sgpr_private_segment_size 0
		.amdhsa_uses_dynamic_stack 0
		.amdhsa_system_sgpr_private_segment_wavefront_offset 0
		.amdhsa_system_sgpr_workgroup_id_x 1
		.amdhsa_system_sgpr_workgroup_id_y 0
		.amdhsa_system_sgpr_workgroup_id_z 0
		.amdhsa_system_sgpr_workgroup_info 0
		.amdhsa_system_vgpr_workitem_id 0
		.amdhsa_next_free_vgpr 1
		.amdhsa_next_free_sgpr 0
		.amdhsa_accum_offset 4
		.amdhsa_reserve_vcc 0
		.amdhsa_reserve_flat_scratch 0
		.amdhsa_float_round_mode_32 0
		.amdhsa_float_round_mode_16_64 0
		.amdhsa_float_denorm_mode_32 3
		.amdhsa_float_denorm_mode_16_64 3
		.amdhsa_dx10_clamp 1
		.amdhsa_ieee_mode 1
		.amdhsa_fp16_overflow 0
		.amdhsa_tg_split 0
		.amdhsa_exception_fp_ieee_invalid_op 0
		.amdhsa_exception_fp_denorm_src 0
		.amdhsa_exception_fp_ieee_div_zero 0
		.amdhsa_exception_fp_ieee_overflow 0
		.amdhsa_exception_fp_ieee_underflow 0
		.amdhsa_exception_fp_ieee_inexact 0
		.amdhsa_exception_int_div_zero 0
	.end_amdhsa_kernel
	.section	.text._ZN7rocprim17ROCPRIM_400000_NS6detail17trampoline_kernelINS0_13select_configILj256ELj13ELNS0_17block_load_methodE3ELS4_3ELS4_3ELNS0_20block_scan_algorithmE0ELj4294967295EEENS1_25partition_config_selectorILNS1_17partition_subalgoE4EjNS0_10empty_typeEbEEZZNS1_14partition_implILS8_4ELb0ES6_15HIP_vector_typeIjLj2EENS0_17counting_iteratorIjlEEPS9_SG_NS0_5tupleIJPjSI_NS0_16reverse_iteratorISI_EEEEENSH_IJSG_SG_SG_EEES9_SI_JZNS1_25segmented_radix_sort_implINS0_14default_configELb0EPKaPaPKlPlN2at6native12_GLOBAL__N_18offset_tEEE10hipError_tPvRmT1_PNSt15iterator_traitsIS12_E10value_typeET2_T3_PNS13_IS18_E10value_typeET4_jRbjT5_S1E_jjP12ihipStream_tbEUljE_ZNSN_ISO_Lb0ESQ_SR_ST_SU_SY_EESZ_S10_S11_S12_S16_S17_S18_S1B_S1C_jS1D_jS1E_S1E_jjS1G_bEUljE0_EEESZ_S10_S11_S18_S1C_S1E_T6_T7_T9_mT8_S1G_bDpT10_ENKUlT_T0_E_clISt17integral_constantIbLb0EES1U_EEDaS1P_S1Q_EUlS1P_E_NS1_11comp_targetILNS1_3genE10ELNS1_11target_archE1200ELNS1_3gpuE4ELNS1_3repE0EEENS1_30default_config_static_selectorELNS0_4arch9wavefront6targetE1EEEvS12_,"axG",@progbits,_ZN7rocprim17ROCPRIM_400000_NS6detail17trampoline_kernelINS0_13select_configILj256ELj13ELNS0_17block_load_methodE3ELS4_3ELS4_3ELNS0_20block_scan_algorithmE0ELj4294967295EEENS1_25partition_config_selectorILNS1_17partition_subalgoE4EjNS0_10empty_typeEbEEZZNS1_14partition_implILS8_4ELb0ES6_15HIP_vector_typeIjLj2EENS0_17counting_iteratorIjlEEPS9_SG_NS0_5tupleIJPjSI_NS0_16reverse_iteratorISI_EEEEENSH_IJSG_SG_SG_EEES9_SI_JZNS1_25segmented_radix_sort_implINS0_14default_configELb0EPKaPaPKlPlN2at6native12_GLOBAL__N_18offset_tEEE10hipError_tPvRmT1_PNSt15iterator_traitsIS12_E10value_typeET2_T3_PNS13_IS18_E10value_typeET4_jRbjT5_S1E_jjP12ihipStream_tbEUljE_ZNSN_ISO_Lb0ESQ_SR_ST_SU_SY_EESZ_S10_S11_S12_S16_S17_S18_S1B_S1C_jS1D_jS1E_S1E_jjS1G_bEUljE0_EEESZ_S10_S11_S18_S1C_S1E_T6_T7_T9_mT8_S1G_bDpT10_ENKUlT_T0_E_clISt17integral_constantIbLb0EES1U_EEDaS1P_S1Q_EUlS1P_E_NS1_11comp_targetILNS1_3genE10ELNS1_11target_archE1200ELNS1_3gpuE4ELNS1_3repE0EEENS1_30default_config_static_selectorELNS0_4arch9wavefront6targetE1EEEvS12_,comdat
.Lfunc_end334:
	.size	_ZN7rocprim17ROCPRIM_400000_NS6detail17trampoline_kernelINS0_13select_configILj256ELj13ELNS0_17block_load_methodE3ELS4_3ELS4_3ELNS0_20block_scan_algorithmE0ELj4294967295EEENS1_25partition_config_selectorILNS1_17partition_subalgoE4EjNS0_10empty_typeEbEEZZNS1_14partition_implILS8_4ELb0ES6_15HIP_vector_typeIjLj2EENS0_17counting_iteratorIjlEEPS9_SG_NS0_5tupleIJPjSI_NS0_16reverse_iteratorISI_EEEEENSH_IJSG_SG_SG_EEES9_SI_JZNS1_25segmented_radix_sort_implINS0_14default_configELb0EPKaPaPKlPlN2at6native12_GLOBAL__N_18offset_tEEE10hipError_tPvRmT1_PNSt15iterator_traitsIS12_E10value_typeET2_T3_PNS13_IS18_E10value_typeET4_jRbjT5_S1E_jjP12ihipStream_tbEUljE_ZNSN_ISO_Lb0ESQ_SR_ST_SU_SY_EESZ_S10_S11_S12_S16_S17_S18_S1B_S1C_jS1D_jS1E_S1E_jjS1G_bEUljE0_EEESZ_S10_S11_S18_S1C_S1E_T6_T7_T9_mT8_S1G_bDpT10_ENKUlT_T0_E_clISt17integral_constantIbLb0EES1U_EEDaS1P_S1Q_EUlS1P_E_NS1_11comp_targetILNS1_3genE10ELNS1_11target_archE1200ELNS1_3gpuE4ELNS1_3repE0EEENS1_30default_config_static_selectorELNS0_4arch9wavefront6targetE1EEEvS12_, .Lfunc_end334-_ZN7rocprim17ROCPRIM_400000_NS6detail17trampoline_kernelINS0_13select_configILj256ELj13ELNS0_17block_load_methodE3ELS4_3ELS4_3ELNS0_20block_scan_algorithmE0ELj4294967295EEENS1_25partition_config_selectorILNS1_17partition_subalgoE4EjNS0_10empty_typeEbEEZZNS1_14partition_implILS8_4ELb0ES6_15HIP_vector_typeIjLj2EENS0_17counting_iteratorIjlEEPS9_SG_NS0_5tupleIJPjSI_NS0_16reverse_iteratorISI_EEEEENSH_IJSG_SG_SG_EEES9_SI_JZNS1_25segmented_radix_sort_implINS0_14default_configELb0EPKaPaPKlPlN2at6native12_GLOBAL__N_18offset_tEEE10hipError_tPvRmT1_PNSt15iterator_traitsIS12_E10value_typeET2_T3_PNS13_IS18_E10value_typeET4_jRbjT5_S1E_jjP12ihipStream_tbEUljE_ZNSN_ISO_Lb0ESQ_SR_ST_SU_SY_EESZ_S10_S11_S12_S16_S17_S18_S1B_S1C_jS1D_jS1E_S1E_jjS1G_bEUljE0_EEESZ_S10_S11_S18_S1C_S1E_T6_T7_T9_mT8_S1G_bDpT10_ENKUlT_T0_E_clISt17integral_constantIbLb0EES1U_EEDaS1P_S1Q_EUlS1P_E_NS1_11comp_targetILNS1_3genE10ELNS1_11target_archE1200ELNS1_3gpuE4ELNS1_3repE0EEENS1_30default_config_static_selectorELNS0_4arch9wavefront6targetE1EEEvS12_
                                        ; -- End function
	.section	.AMDGPU.csdata,"",@progbits
; Kernel info:
; codeLenInByte = 0
; NumSgprs: 4
; NumVgprs: 0
; NumAgprs: 0
; TotalNumVgprs: 0
; ScratchSize: 0
; MemoryBound: 0
; FloatMode: 240
; IeeeMode: 1
; LDSByteSize: 0 bytes/workgroup (compile time only)
; SGPRBlocks: 0
; VGPRBlocks: 0
; NumSGPRsForWavesPerEU: 4
; NumVGPRsForWavesPerEU: 1
; AccumOffset: 4
; Occupancy: 8
; WaveLimiterHint : 0
; COMPUTE_PGM_RSRC2:SCRATCH_EN: 0
; COMPUTE_PGM_RSRC2:USER_SGPR: 6
; COMPUTE_PGM_RSRC2:TRAP_HANDLER: 0
; COMPUTE_PGM_RSRC2:TGID_X_EN: 1
; COMPUTE_PGM_RSRC2:TGID_Y_EN: 0
; COMPUTE_PGM_RSRC2:TGID_Z_EN: 0
; COMPUTE_PGM_RSRC2:TIDIG_COMP_CNT: 0
; COMPUTE_PGM_RSRC3_GFX90A:ACCUM_OFFSET: 0
; COMPUTE_PGM_RSRC3_GFX90A:TG_SPLIT: 0
	.section	.text._ZN7rocprim17ROCPRIM_400000_NS6detail17trampoline_kernelINS0_13select_configILj256ELj13ELNS0_17block_load_methodE3ELS4_3ELS4_3ELNS0_20block_scan_algorithmE0ELj4294967295EEENS1_25partition_config_selectorILNS1_17partition_subalgoE4EjNS0_10empty_typeEbEEZZNS1_14partition_implILS8_4ELb0ES6_15HIP_vector_typeIjLj2EENS0_17counting_iteratorIjlEEPS9_SG_NS0_5tupleIJPjSI_NS0_16reverse_iteratorISI_EEEEENSH_IJSG_SG_SG_EEES9_SI_JZNS1_25segmented_radix_sort_implINS0_14default_configELb0EPKaPaPKlPlN2at6native12_GLOBAL__N_18offset_tEEE10hipError_tPvRmT1_PNSt15iterator_traitsIS12_E10value_typeET2_T3_PNS13_IS18_E10value_typeET4_jRbjT5_S1E_jjP12ihipStream_tbEUljE_ZNSN_ISO_Lb0ESQ_SR_ST_SU_SY_EESZ_S10_S11_S12_S16_S17_S18_S1B_S1C_jS1D_jS1E_S1E_jjS1G_bEUljE0_EEESZ_S10_S11_S18_S1C_S1E_T6_T7_T9_mT8_S1G_bDpT10_ENKUlT_T0_E_clISt17integral_constantIbLb0EES1U_EEDaS1P_S1Q_EUlS1P_E_NS1_11comp_targetILNS1_3genE9ELNS1_11target_archE1100ELNS1_3gpuE3ELNS1_3repE0EEENS1_30default_config_static_selectorELNS0_4arch9wavefront6targetE1EEEvS12_,"axG",@progbits,_ZN7rocprim17ROCPRIM_400000_NS6detail17trampoline_kernelINS0_13select_configILj256ELj13ELNS0_17block_load_methodE3ELS4_3ELS4_3ELNS0_20block_scan_algorithmE0ELj4294967295EEENS1_25partition_config_selectorILNS1_17partition_subalgoE4EjNS0_10empty_typeEbEEZZNS1_14partition_implILS8_4ELb0ES6_15HIP_vector_typeIjLj2EENS0_17counting_iteratorIjlEEPS9_SG_NS0_5tupleIJPjSI_NS0_16reverse_iteratorISI_EEEEENSH_IJSG_SG_SG_EEES9_SI_JZNS1_25segmented_radix_sort_implINS0_14default_configELb0EPKaPaPKlPlN2at6native12_GLOBAL__N_18offset_tEEE10hipError_tPvRmT1_PNSt15iterator_traitsIS12_E10value_typeET2_T3_PNS13_IS18_E10value_typeET4_jRbjT5_S1E_jjP12ihipStream_tbEUljE_ZNSN_ISO_Lb0ESQ_SR_ST_SU_SY_EESZ_S10_S11_S12_S16_S17_S18_S1B_S1C_jS1D_jS1E_S1E_jjS1G_bEUljE0_EEESZ_S10_S11_S18_S1C_S1E_T6_T7_T9_mT8_S1G_bDpT10_ENKUlT_T0_E_clISt17integral_constantIbLb0EES1U_EEDaS1P_S1Q_EUlS1P_E_NS1_11comp_targetILNS1_3genE9ELNS1_11target_archE1100ELNS1_3gpuE3ELNS1_3repE0EEENS1_30default_config_static_selectorELNS0_4arch9wavefront6targetE1EEEvS12_,comdat
	.globl	_ZN7rocprim17ROCPRIM_400000_NS6detail17trampoline_kernelINS0_13select_configILj256ELj13ELNS0_17block_load_methodE3ELS4_3ELS4_3ELNS0_20block_scan_algorithmE0ELj4294967295EEENS1_25partition_config_selectorILNS1_17partition_subalgoE4EjNS0_10empty_typeEbEEZZNS1_14partition_implILS8_4ELb0ES6_15HIP_vector_typeIjLj2EENS0_17counting_iteratorIjlEEPS9_SG_NS0_5tupleIJPjSI_NS0_16reverse_iteratorISI_EEEEENSH_IJSG_SG_SG_EEES9_SI_JZNS1_25segmented_radix_sort_implINS0_14default_configELb0EPKaPaPKlPlN2at6native12_GLOBAL__N_18offset_tEEE10hipError_tPvRmT1_PNSt15iterator_traitsIS12_E10value_typeET2_T3_PNS13_IS18_E10value_typeET4_jRbjT5_S1E_jjP12ihipStream_tbEUljE_ZNSN_ISO_Lb0ESQ_SR_ST_SU_SY_EESZ_S10_S11_S12_S16_S17_S18_S1B_S1C_jS1D_jS1E_S1E_jjS1G_bEUljE0_EEESZ_S10_S11_S18_S1C_S1E_T6_T7_T9_mT8_S1G_bDpT10_ENKUlT_T0_E_clISt17integral_constantIbLb0EES1U_EEDaS1P_S1Q_EUlS1P_E_NS1_11comp_targetILNS1_3genE9ELNS1_11target_archE1100ELNS1_3gpuE3ELNS1_3repE0EEENS1_30default_config_static_selectorELNS0_4arch9wavefront6targetE1EEEvS12_ ; -- Begin function _ZN7rocprim17ROCPRIM_400000_NS6detail17trampoline_kernelINS0_13select_configILj256ELj13ELNS0_17block_load_methodE3ELS4_3ELS4_3ELNS0_20block_scan_algorithmE0ELj4294967295EEENS1_25partition_config_selectorILNS1_17partition_subalgoE4EjNS0_10empty_typeEbEEZZNS1_14partition_implILS8_4ELb0ES6_15HIP_vector_typeIjLj2EENS0_17counting_iteratorIjlEEPS9_SG_NS0_5tupleIJPjSI_NS0_16reverse_iteratorISI_EEEEENSH_IJSG_SG_SG_EEES9_SI_JZNS1_25segmented_radix_sort_implINS0_14default_configELb0EPKaPaPKlPlN2at6native12_GLOBAL__N_18offset_tEEE10hipError_tPvRmT1_PNSt15iterator_traitsIS12_E10value_typeET2_T3_PNS13_IS18_E10value_typeET4_jRbjT5_S1E_jjP12ihipStream_tbEUljE_ZNSN_ISO_Lb0ESQ_SR_ST_SU_SY_EESZ_S10_S11_S12_S16_S17_S18_S1B_S1C_jS1D_jS1E_S1E_jjS1G_bEUljE0_EEESZ_S10_S11_S18_S1C_S1E_T6_T7_T9_mT8_S1G_bDpT10_ENKUlT_T0_E_clISt17integral_constantIbLb0EES1U_EEDaS1P_S1Q_EUlS1P_E_NS1_11comp_targetILNS1_3genE9ELNS1_11target_archE1100ELNS1_3gpuE3ELNS1_3repE0EEENS1_30default_config_static_selectorELNS0_4arch9wavefront6targetE1EEEvS12_
	.p2align	8
	.type	_ZN7rocprim17ROCPRIM_400000_NS6detail17trampoline_kernelINS0_13select_configILj256ELj13ELNS0_17block_load_methodE3ELS4_3ELS4_3ELNS0_20block_scan_algorithmE0ELj4294967295EEENS1_25partition_config_selectorILNS1_17partition_subalgoE4EjNS0_10empty_typeEbEEZZNS1_14partition_implILS8_4ELb0ES6_15HIP_vector_typeIjLj2EENS0_17counting_iteratorIjlEEPS9_SG_NS0_5tupleIJPjSI_NS0_16reverse_iteratorISI_EEEEENSH_IJSG_SG_SG_EEES9_SI_JZNS1_25segmented_radix_sort_implINS0_14default_configELb0EPKaPaPKlPlN2at6native12_GLOBAL__N_18offset_tEEE10hipError_tPvRmT1_PNSt15iterator_traitsIS12_E10value_typeET2_T3_PNS13_IS18_E10value_typeET4_jRbjT5_S1E_jjP12ihipStream_tbEUljE_ZNSN_ISO_Lb0ESQ_SR_ST_SU_SY_EESZ_S10_S11_S12_S16_S17_S18_S1B_S1C_jS1D_jS1E_S1E_jjS1G_bEUljE0_EEESZ_S10_S11_S18_S1C_S1E_T6_T7_T9_mT8_S1G_bDpT10_ENKUlT_T0_E_clISt17integral_constantIbLb0EES1U_EEDaS1P_S1Q_EUlS1P_E_NS1_11comp_targetILNS1_3genE9ELNS1_11target_archE1100ELNS1_3gpuE3ELNS1_3repE0EEENS1_30default_config_static_selectorELNS0_4arch9wavefront6targetE1EEEvS12_,@function
_ZN7rocprim17ROCPRIM_400000_NS6detail17trampoline_kernelINS0_13select_configILj256ELj13ELNS0_17block_load_methodE3ELS4_3ELS4_3ELNS0_20block_scan_algorithmE0ELj4294967295EEENS1_25partition_config_selectorILNS1_17partition_subalgoE4EjNS0_10empty_typeEbEEZZNS1_14partition_implILS8_4ELb0ES6_15HIP_vector_typeIjLj2EENS0_17counting_iteratorIjlEEPS9_SG_NS0_5tupleIJPjSI_NS0_16reverse_iteratorISI_EEEEENSH_IJSG_SG_SG_EEES9_SI_JZNS1_25segmented_radix_sort_implINS0_14default_configELb0EPKaPaPKlPlN2at6native12_GLOBAL__N_18offset_tEEE10hipError_tPvRmT1_PNSt15iterator_traitsIS12_E10value_typeET2_T3_PNS13_IS18_E10value_typeET4_jRbjT5_S1E_jjP12ihipStream_tbEUljE_ZNSN_ISO_Lb0ESQ_SR_ST_SU_SY_EESZ_S10_S11_S12_S16_S17_S18_S1B_S1C_jS1D_jS1E_S1E_jjS1G_bEUljE0_EEESZ_S10_S11_S18_S1C_S1E_T6_T7_T9_mT8_S1G_bDpT10_ENKUlT_T0_E_clISt17integral_constantIbLb0EES1U_EEDaS1P_S1Q_EUlS1P_E_NS1_11comp_targetILNS1_3genE9ELNS1_11target_archE1100ELNS1_3gpuE3ELNS1_3repE0EEENS1_30default_config_static_selectorELNS0_4arch9wavefront6targetE1EEEvS12_: ; @_ZN7rocprim17ROCPRIM_400000_NS6detail17trampoline_kernelINS0_13select_configILj256ELj13ELNS0_17block_load_methodE3ELS4_3ELS4_3ELNS0_20block_scan_algorithmE0ELj4294967295EEENS1_25partition_config_selectorILNS1_17partition_subalgoE4EjNS0_10empty_typeEbEEZZNS1_14partition_implILS8_4ELb0ES6_15HIP_vector_typeIjLj2EENS0_17counting_iteratorIjlEEPS9_SG_NS0_5tupleIJPjSI_NS0_16reverse_iteratorISI_EEEEENSH_IJSG_SG_SG_EEES9_SI_JZNS1_25segmented_radix_sort_implINS0_14default_configELb0EPKaPaPKlPlN2at6native12_GLOBAL__N_18offset_tEEE10hipError_tPvRmT1_PNSt15iterator_traitsIS12_E10value_typeET2_T3_PNS13_IS18_E10value_typeET4_jRbjT5_S1E_jjP12ihipStream_tbEUljE_ZNSN_ISO_Lb0ESQ_SR_ST_SU_SY_EESZ_S10_S11_S12_S16_S17_S18_S1B_S1C_jS1D_jS1E_S1E_jjS1G_bEUljE0_EEESZ_S10_S11_S18_S1C_S1E_T6_T7_T9_mT8_S1G_bDpT10_ENKUlT_T0_E_clISt17integral_constantIbLb0EES1U_EEDaS1P_S1Q_EUlS1P_E_NS1_11comp_targetILNS1_3genE9ELNS1_11target_archE1100ELNS1_3gpuE3ELNS1_3repE0EEENS1_30default_config_static_selectorELNS0_4arch9wavefront6targetE1EEEvS12_
; %bb.0:
	.section	.rodata,"a",@progbits
	.p2align	6, 0x0
	.amdhsa_kernel _ZN7rocprim17ROCPRIM_400000_NS6detail17trampoline_kernelINS0_13select_configILj256ELj13ELNS0_17block_load_methodE3ELS4_3ELS4_3ELNS0_20block_scan_algorithmE0ELj4294967295EEENS1_25partition_config_selectorILNS1_17partition_subalgoE4EjNS0_10empty_typeEbEEZZNS1_14partition_implILS8_4ELb0ES6_15HIP_vector_typeIjLj2EENS0_17counting_iteratorIjlEEPS9_SG_NS0_5tupleIJPjSI_NS0_16reverse_iteratorISI_EEEEENSH_IJSG_SG_SG_EEES9_SI_JZNS1_25segmented_radix_sort_implINS0_14default_configELb0EPKaPaPKlPlN2at6native12_GLOBAL__N_18offset_tEEE10hipError_tPvRmT1_PNSt15iterator_traitsIS12_E10value_typeET2_T3_PNS13_IS18_E10value_typeET4_jRbjT5_S1E_jjP12ihipStream_tbEUljE_ZNSN_ISO_Lb0ESQ_SR_ST_SU_SY_EESZ_S10_S11_S12_S16_S17_S18_S1B_S1C_jS1D_jS1E_S1E_jjS1G_bEUljE0_EEESZ_S10_S11_S18_S1C_S1E_T6_T7_T9_mT8_S1G_bDpT10_ENKUlT_T0_E_clISt17integral_constantIbLb0EES1U_EEDaS1P_S1Q_EUlS1P_E_NS1_11comp_targetILNS1_3genE9ELNS1_11target_archE1100ELNS1_3gpuE3ELNS1_3repE0EEENS1_30default_config_static_selectorELNS0_4arch9wavefront6targetE1EEEvS12_
		.amdhsa_group_segment_fixed_size 0
		.amdhsa_private_segment_fixed_size 0
		.amdhsa_kernarg_size 176
		.amdhsa_user_sgpr_count 6
		.amdhsa_user_sgpr_private_segment_buffer 1
		.amdhsa_user_sgpr_dispatch_ptr 0
		.amdhsa_user_sgpr_queue_ptr 0
		.amdhsa_user_sgpr_kernarg_segment_ptr 1
		.amdhsa_user_sgpr_dispatch_id 0
		.amdhsa_user_sgpr_flat_scratch_init 0
		.amdhsa_user_sgpr_kernarg_preload_length 0
		.amdhsa_user_sgpr_kernarg_preload_offset 0
		.amdhsa_user_sgpr_private_segment_size 0
		.amdhsa_uses_dynamic_stack 0
		.amdhsa_system_sgpr_private_segment_wavefront_offset 0
		.amdhsa_system_sgpr_workgroup_id_x 1
		.amdhsa_system_sgpr_workgroup_id_y 0
		.amdhsa_system_sgpr_workgroup_id_z 0
		.amdhsa_system_sgpr_workgroup_info 0
		.amdhsa_system_vgpr_workitem_id 0
		.amdhsa_next_free_vgpr 1
		.amdhsa_next_free_sgpr 0
		.amdhsa_accum_offset 4
		.amdhsa_reserve_vcc 0
		.amdhsa_reserve_flat_scratch 0
		.amdhsa_float_round_mode_32 0
		.amdhsa_float_round_mode_16_64 0
		.amdhsa_float_denorm_mode_32 3
		.amdhsa_float_denorm_mode_16_64 3
		.amdhsa_dx10_clamp 1
		.amdhsa_ieee_mode 1
		.amdhsa_fp16_overflow 0
		.amdhsa_tg_split 0
		.amdhsa_exception_fp_ieee_invalid_op 0
		.amdhsa_exception_fp_denorm_src 0
		.amdhsa_exception_fp_ieee_div_zero 0
		.amdhsa_exception_fp_ieee_overflow 0
		.amdhsa_exception_fp_ieee_underflow 0
		.amdhsa_exception_fp_ieee_inexact 0
		.amdhsa_exception_int_div_zero 0
	.end_amdhsa_kernel
	.section	.text._ZN7rocprim17ROCPRIM_400000_NS6detail17trampoline_kernelINS0_13select_configILj256ELj13ELNS0_17block_load_methodE3ELS4_3ELS4_3ELNS0_20block_scan_algorithmE0ELj4294967295EEENS1_25partition_config_selectorILNS1_17partition_subalgoE4EjNS0_10empty_typeEbEEZZNS1_14partition_implILS8_4ELb0ES6_15HIP_vector_typeIjLj2EENS0_17counting_iteratorIjlEEPS9_SG_NS0_5tupleIJPjSI_NS0_16reverse_iteratorISI_EEEEENSH_IJSG_SG_SG_EEES9_SI_JZNS1_25segmented_radix_sort_implINS0_14default_configELb0EPKaPaPKlPlN2at6native12_GLOBAL__N_18offset_tEEE10hipError_tPvRmT1_PNSt15iterator_traitsIS12_E10value_typeET2_T3_PNS13_IS18_E10value_typeET4_jRbjT5_S1E_jjP12ihipStream_tbEUljE_ZNSN_ISO_Lb0ESQ_SR_ST_SU_SY_EESZ_S10_S11_S12_S16_S17_S18_S1B_S1C_jS1D_jS1E_S1E_jjS1G_bEUljE0_EEESZ_S10_S11_S18_S1C_S1E_T6_T7_T9_mT8_S1G_bDpT10_ENKUlT_T0_E_clISt17integral_constantIbLb0EES1U_EEDaS1P_S1Q_EUlS1P_E_NS1_11comp_targetILNS1_3genE9ELNS1_11target_archE1100ELNS1_3gpuE3ELNS1_3repE0EEENS1_30default_config_static_selectorELNS0_4arch9wavefront6targetE1EEEvS12_,"axG",@progbits,_ZN7rocprim17ROCPRIM_400000_NS6detail17trampoline_kernelINS0_13select_configILj256ELj13ELNS0_17block_load_methodE3ELS4_3ELS4_3ELNS0_20block_scan_algorithmE0ELj4294967295EEENS1_25partition_config_selectorILNS1_17partition_subalgoE4EjNS0_10empty_typeEbEEZZNS1_14partition_implILS8_4ELb0ES6_15HIP_vector_typeIjLj2EENS0_17counting_iteratorIjlEEPS9_SG_NS0_5tupleIJPjSI_NS0_16reverse_iteratorISI_EEEEENSH_IJSG_SG_SG_EEES9_SI_JZNS1_25segmented_radix_sort_implINS0_14default_configELb0EPKaPaPKlPlN2at6native12_GLOBAL__N_18offset_tEEE10hipError_tPvRmT1_PNSt15iterator_traitsIS12_E10value_typeET2_T3_PNS13_IS18_E10value_typeET4_jRbjT5_S1E_jjP12ihipStream_tbEUljE_ZNSN_ISO_Lb0ESQ_SR_ST_SU_SY_EESZ_S10_S11_S12_S16_S17_S18_S1B_S1C_jS1D_jS1E_S1E_jjS1G_bEUljE0_EEESZ_S10_S11_S18_S1C_S1E_T6_T7_T9_mT8_S1G_bDpT10_ENKUlT_T0_E_clISt17integral_constantIbLb0EES1U_EEDaS1P_S1Q_EUlS1P_E_NS1_11comp_targetILNS1_3genE9ELNS1_11target_archE1100ELNS1_3gpuE3ELNS1_3repE0EEENS1_30default_config_static_selectorELNS0_4arch9wavefront6targetE1EEEvS12_,comdat
.Lfunc_end335:
	.size	_ZN7rocprim17ROCPRIM_400000_NS6detail17trampoline_kernelINS0_13select_configILj256ELj13ELNS0_17block_load_methodE3ELS4_3ELS4_3ELNS0_20block_scan_algorithmE0ELj4294967295EEENS1_25partition_config_selectorILNS1_17partition_subalgoE4EjNS0_10empty_typeEbEEZZNS1_14partition_implILS8_4ELb0ES6_15HIP_vector_typeIjLj2EENS0_17counting_iteratorIjlEEPS9_SG_NS0_5tupleIJPjSI_NS0_16reverse_iteratorISI_EEEEENSH_IJSG_SG_SG_EEES9_SI_JZNS1_25segmented_radix_sort_implINS0_14default_configELb0EPKaPaPKlPlN2at6native12_GLOBAL__N_18offset_tEEE10hipError_tPvRmT1_PNSt15iterator_traitsIS12_E10value_typeET2_T3_PNS13_IS18_E10value_typeET4_jRbjT5_S1E_jjP12ihipStream_tbEUljE_ZNSN_ISO_Lb0ESQ_SR_ST_SU_SY_EESZ_S10_S11_S12_S16_S17_S18_S1B_S1C_jS1D_jS1E_S1E_jjS1G_bEUljE0_EEESZ_S10_S11_S18_S1C_S1E_T6_T7_T9_mT8_S1G_bDpT10_ENKUlT_T0_E_clISt17integral_constantIbLb0EES1U_EEDaS1P_S1Q_EUlS1P_E_NS1_11comp_targetILNS1_3genE9ELNS1_11target_archE1100ELNS1_3gpuE3ELNS1_3repE0EEENS1_30default_config_static_selectorELNS0_4arch9wavefront6targetE1EEEvS12_, .Lfunc_end335-_ZN7rocprim17ROCPRIM_400000_NS6detail17trampoline_kernelINS0_13select_configILj256ELj13ELNS0_17block_load_methodE3ELS4_3ELS4_3ELNS0_20block_scan_algorithmE0ELj4294967295EEENS1_25partition_config_selectorILNS1_17partition_subalgoE4EjNS0_10empty_typeEbEEZZNS1_14partition_implILS8_4ELb0ES6_15HIP_vector_typeIjLj2EENS0_17counting_iteratorIjlEEPS9_SG_NS0_5tupleIJPjSI_NS0_16reverse_iteratorISI_EEEEENSH_IJSG_SG_SG_EEES9_SI_JZNS1_25segmented_radix_sort_implINS0_14default_configELb0EPKaPaPKlPlN2at6native12_GLOBAL__N_18offset_tEEE10hipError_tPvRmT1_PNSt15iterator_traitsIS12_E10value_typeET2_T3_PNS13_IS18_E10value_typeET4_jRbjT5_S1E_jjP12ihipStream_tbEUljE_ZNSN_ISO_Lb0ESQ_SR_ST_SU_SY_EESZ_S10_S11_S12_S16_S17_S18_S1B_S1C_jS1D_jS1E_S1E_jjS1G_bEUljE0_EEESZ_S10_S11_S18_S1C_S1E_T6_T7_T9_mT8_S1G_bDpT10_ENKUlT_T0_E_clISt17integral_constantIbLb0EES1U_EEDaS1P_S1Q_EUlS1P_E_NS1_11comp_targetILNS1_3genE9ELNS1_11target_archE1100ELNS1_3gpuE3ELNS1_3repE0EEENS1_30default_config_static_selectorELNS0_4arch9wavefront6targetE1EEEvS12_
                                        ; -- End function
	.section	.AMDGPU.csdata,"",@progbits
; Kernel info:
; codeLenInByte = 0
; NumSgprs: 4
; NumVgprs: 0
; NumAgprs: 0
; TotalNumVgprs: 0
; ScratchSize: 0
; MemoryBound: 0
; FloatMode: 240
; IeeeMode: 1
; LDSByteSize: 0 bytes/workgroup (compile time only)
; SGPRBlocks: 0
; VGPRBlocks: 0
; NumSGPRsForWavesPerEU: 4
; NumVGPRsForWavesPerEU: 1
; AccumOffset: 4
; Occupancy: 8
; WaveLimiterHint : 0
; COMPUTE_PGM_RSRC2:SCRATCH_EN: 0
; COMPUTE_PGM_RSRC2:USER_SGPR: 6
; COMPUTE_PGM_RSRC2:TRAP_HANDLER: 0
; COMPUTE_PGM_RSRC2:TGID_X_EN: 1
; COMPUTE_PGM_RSRC2:TGID_Y_EN: 0
; COMPUTE_PGM_RSRC2:TGID_Z_EN: 0
; COMPUTE_PGM_RSRC2:TIDIG_COMP_CNT: 0
; COMPUTE_PGM_RSRC3_GFX90A:ACCUM_OFFSET: 0
; COMPUTE_PGM_RSRC3_GFX90A:TG_SPLIT: 0
	.section	.text._ZN7rocprim17ROCPRIM_400000_NS6detail17trampoline_kernelINS0_13select_configILj256ELj13ELNS0_17block_load_methodE3ELS4_3ELS4_3ELNS0_20block_scan_algorithmE0ELj4294967295EEENS1_25partition_config_selectorILNS1_17partition_subalgoE4EjNS0_10empty_typeEbEEZZNS1_14partition_implILS8_4ELb0ES6_15HIP_vector_typeIjLj2EENS0_17counting_iteratorIjlEEPS9_SG_NS0_5tupleIJPjSI_NS0_16reverse_iteratorISI_EEEEENSH_IJSG_SG_SG_EEES9_SI_JZNS1_25segmented_radix_sort_implINS0_14default_configELb0EPKaPaPKlPlN2at6native12_GLOBAL__N_18offset_tEEE10hipError_tPvRmT1_PNSt15iterator_traitsIS12_E10value_typeET2_T3_PNS13_IS18_E10value_typeET4_jRbjT5_S1E_jjP12ihipStream_tbEUljE_ZNSN_ISO_Lb0ESQ_SR_ST_SU_SY_EESZ_S10_S11_S12_S16_S17_S18_S1B_S1C_jS1D_jS1E_S1E_jjS1G_bEUljE0_EEESZ_S10_S11_S18_S1C_S1E_T6_T7_T9_mT8_S1G_bDpT10_ENKUlT_T0_E_clISt17integral_constantIbLb0EES1U_EEDaS1P_S1Q_EUlS1P_E_NS1_11comp_targetILNS1_3genE8ELNS1_11target_archE1030ELNS1_3gpuE2ELNS1_3repE0EEENS1_30default_config_static_selectorELNS0_4arch9wavefront6targetE1EEEvS12_,"axG",@progbits,_ZN7rocprim17ROCPRIM_400000_NS6detail17trampoline_kernelINS0_13select_configILj256ELj13ELNS0_17block_load_methodE3ELS4_3ELS4_3ELNS0_20block_scan_algorithmE0ELj4294967295EEENS1_25partition_config_selectorILNS1_17partition_subalgoE4EjNS0_10empty_typeEbEEZZNS1_14partition_implILS8_4ELb0ES6_15HIP_vector_typeIjLj2EENS0_17counting_iteratorIjlEEPS9_SG_NS0_5tupleIJPjSI_NS0_16reverse_iteratorISI_EEEEENSH_IJSG_SG_SG_EEES9_SI_JZNS1_25segmented_radix_sort_implINS0_14default_configELb0EPKaPaPKlPlN2at6native12_GLOBAL__N_18offset_tEEE10hipError_tPvRmT1_PNSt15iterator_traitsIS12_E10value_typeET2_T3_PNS13_IS18_E10value_typeET4_jRbjT5_S1E_jjP12ihipStream_tbEUljE_ZNSN_ISO_Lb0ESQ_SR_ST_SU_SY_EESZ_S10_S11_S12_S16_S17_S18_S1B_S1C_jS1D_jS1E_S1E_jjS1G_bEUljE0_EEESZ_S10_S11_S18_S1C_S1E_T6_T7_T9_mT8_S1G_bDpT10_ENKUlT_T0_E_clISt17integral_constantIbLb0EES1U_EEDaS1P_S1Q_EUlS1P_E_NS1_11comp_targetILNS1_3genE8ELNS1_11target_archE1030ELNS1_3gpuE2ELNS1_3repE0EEENS1_30default_config_static_selectorELNS0_4arch9wavefront6targetE1EEEvS12_,comdat
	.globl	_ZN7rocprim17ROCPRIM_400000_NS6detail17trampoline_kernelINS0_13select_configILj256ELj13ELNS0_17block_load_methodE3ELS4_3ELS4_3ELNS0_20block_scan_algorithmE0ELj4294967295EEENS1_25partition_config_selectorILNS1_17partition_subalgoE4EjNS0_10empty_typeEbEEZZNS1_14partition_implILS8_4ELb0ES6_15HIP_vector_typeIjLj2EENS0_17counting_iteratorIjlEEPS9_SG_NS0_5tupleIJPjSI_NS0_16reverse_iteratorISI_EEEEENSH_IJSG_SG_SG_EEES9_SI_JZNS1_25segmented_radix_sort_implINS0_14default_configELb0EPKaPaPKlPlN2at6native12_GLOBAL__N_18offset_tEEE10hipError_tPvRmT1_PNSt15iterator_traitsIS12_E10value_typeET2_T3_PNS13_IS18_E10value_typeET4_jRbjT5_S1E_jjP12ihipStream_tbEUljE_ZNSN_ISO_Lb0ESQ_SR_ST_SU_SY_EESZ_S10_S11_S12_S16_S17_S18_S1B_S1C_jS1D_jS1E_S1E_jjS1G_bEUljE0_EEESZ_S10_S11_S18_S1C_S1E_T6_T7_T9_mT8_S1G_bDpT10_ENKUlT_T0_E_clISt17integral_constantIbLb0EES1U_EEDaS1P_S1Q_EUlS1P_E_NS1_11comp_targetILNS1_3genE8ELNS1_11target_archE1030ELNS1_3gpuE2ELNS1_3repE0EEENS1_30default_config_static_selectorELNS0_4arch9wavefront6targetE1EEEvS12_ ; -- Begin function _ZN7rocprim17ROCPRIM_400000_NS6detail17trampoline_kernelINS0_13select_configILj256ELj13ELNS0_17block_load_methodE3ELS4_3ELS4_3ELNS0_20block_scan_algorithmE0ELj4294967295EEENS1_25partition_config_selectorILNS1_17partition_subalgoE4EjNS0_10empty_typeEbEEZZNS1_14partition_implILS8_4ELb0ES6_15HIP_vector_typeIjLj2EENS0_17counting_iteratorIjlEEPS9_SG_NS0_5tupleIJPjSI_NS0_16reverse_iteratorISI_EEEEENSH_IJSG_SG_SG_EEES9_SI_JZNS1_25segmented_radix_sort_implINS0_14default_configELb0EPKaPaPKlPlN2at6native12_GLOBAL__N_18offset_tEEE10hipError_tPvRmT1_PNSt15iterator_traitsIS12_E10value_typeET2_T3_PNS13_IS18_E10value_typeET4_jRbjT5_S1E_jjP12ihipStream_tbEUljE_ZNSN_ISO_Lb0ESQ_SR_ST_SU_SY_EESZ_S10_S11_S12_S16_S17_S18_S1B_S1C_jS1D_jS1E_S1E_jjS1G_bEUljE0_EEESZ_S10_S11_S18_S1C_S1E_T6_T7_T9_mT8_S1G_bDpT10_ENKUlT_T0_E_clISt17integral_constantIbLb0EES1U_EEDaS1P_S1Q_EUlS1P_E_NS1_11comp_targetILNS1_3genE8ELNS1_11target_archE1030ELNS1_3gpuE2ELNS1_3repE0EEENS1_30default_config_static_selectorELNS0_4arch9wavefront6targetE1EEEvS12_
	.p2align	8
	.type	_ZN7rocprim17ROCPRIM_400000_NS6detail17trampoline_kernelINS0_13select_configILj256ELj13ELNS0_17block_load_methodE3ELS4_3ELS4_3ELNS0_20block_scan_algorithmE0ELj4294967295EEENS1_25partition_config_selectorILNS1_17partition_subalgoE4EjNS0_10empty_typeEbEEZZNS1_14partition_implILS8_4ELb0ES6_15HIP_vector_typeIjLj2EENS0_17counting_iteratorIjlEEPS9_SG_NS0_5tupleIJPjSI_NS0_16reverse_iteratorISI_EEEEENSH_IJSG_SG_SG_EEES9_SI_JZNS1_25segmented_radix_sort_implINS0_14default_configELb0EPKaPaPKlPlN2at6native12_GLOBAL__N_18offset_tEEE10hipError_tPvRmT1_PNSt15iterator_traitsIS12_E10value_typeET2_T3_PNS13_IS18_E10value_typeET4_jRbjT5_S1E_jjP12ihipStream_tbEUljE_ZNSN_ISO_Lb0ESQ_SR_ST_SU_SY_EESZ_S10_S11_S12_S16_S17_S18_S1B_S1C_jS1D_jS1E_S1E_jjS1G_bEUljE0_EEESZ_S10_S11_S18_S1C_S1E_T6_T7_T9_mT8_S1G_bDpT10_ENKUlT_T0_E_clISt17integral_constantIbLb0EES1U_EEDaS1P_S1Q_EUlS1P_E_NS1_11comp_targetILNS1_3genE8ELNS1_11target_archE1030ELNS1_3gpuE2ELNS1_3repE0EEENS1_30default_config_static_selectorELNS0_4arch9wavefront6targetE1EEEvS12_,@function
_ZN7rocprim17ROCPRIM_400000_NS6detail17trampoline_kernelINS0_13select_configILj256ELj13ELNS0_17block_load_methodE3ELS4_3ELS4_3ELNS0_20block_scan_algorithmE0ELj4294967295EEENS1_25partition_config_selectorILNS1_17partition_subalgoE4EjNS0_10empty_typeEbEEZZNS1_14partition_implILS8_4ELb0ES6_15HIP_vector_typeIjLj2EENS0_17counting_iteratorIjlEEPS9_SG_NS0_5tupleIJPjSI_NS0_16reverse_iteratorISI_EEEEENSH_IJSG_SG_SG_EEES9_SI_JZNS1_25segmented_radix_sort_implINS0_14default_configELb0EPKaPaPKlPlN2at6native12_GLOBAL__N_18offset_tEEE10hipError_tPvRmT1_PNSt15iterator_traitsIS12_E10value_typeET2_T3_PNS13_IS18_E10value_typeET4_jRbjT5_S1E_jjP12ihipStream_tbEUljE_ZNSN_ISO_Lb0ESQ_SR_ST_SU_SY_EESZ_S10_S11_S12_S16_S17_S18_S1B_S1C_jS1D_jS1E_S1E_jjS1G_bEUljE0_EEESZ_S10_S11_S18_S1C_S1E_T6_T7_T9_mT8_S1G_bDpT10_ENKUlT_T0_E_clISt17integral_constantIbLb0EES1U_EEDaS1P_S1Q_EUlS1P_E_NS1_11comp_targetILNS1_3genE8ELNS1_11target_archE1030ELNS1_3gpuE2ELNS1_3repE0EEENS1_30default_config_static_selectorELNS0_4arch9wavefront6targetE1EEEvS12_: ; @_ZN7rocprim17ROCPRIM_400000_NS6detail17trampoline_kernelINS0_13select_configILj256ELj13ELNS0_17block_load_methodE3ELS4_3ELS4_3ELNS0_20block_scan_algorithmE0ELj4294967295EEENS1_25partition_config_selectorILNS1_17partition_subalgoE4EjNS0_10empty_typeEbEEZZNS1_14partition_implILS8_4ELb0ES6_15HIP_vector_typeIjLj2EENS0_17counting_iteratorIjlEEPS9_SG_NS0_5tupleIJPjSI_NS0_16reverse_iteratorISI_EEEEENSH_IJSG_SG_SG_EEES9_SI_JZNS1_25segmented_radix_sort_implINS0_14default_configELb0EPKaPaPKlPlN2at6native12_GLOBAL__N_18offset_tEEE10hipError_tPvRmT1_PNSt15iterator_traitsIS12_E10value_typeET2_T3_PNS13_IS18_E10value_typeET4_jRbjT5_S1E_jjP12ihipStream_tbEUljE_ZNSN_ISO_Lb0ESQ_SR_ST_SU_SY_EESZ_S10_S11_S12_S16_S17_S18_S1B_S1C_jS1D_jS1E_S1E_jjS1G_bEUljE0_EEESZ_S10_S11_S18_S1C_S1E_T6_T7_T9_mT8_S1G_bDpT10_ENKUlT_T0_E_clISt17integral_constantIbLb0EES1U_EEDaS1P_S1Q_EUlS1P_E_NS1_11comp_targetILNS1_3genE8ELNS1_11target_archE1030ELNS1_3gpuE2ELNS1_3repE0EEENS1_30default_config_static_selectorELNS0_4arch9wavefront6targetE1EEEvS12_
; %bb.0:
	.section	.rodata,"a",@progbits
	.p2align	6, 0x0
	.amdhsa_kernel _ZN7rocprim17ROCPRIM_400000_NS6detail17trampoline_kernelINS0_13select_configILj256ELj13ELNS0_17block_load_methodE3ELS4_3ELS4_3ELNS0_20block_scan_algorithmE0ELj4294967295EEENS1_25partition_config_selectorILNS1_17partition_subalgoE4EjNS0_10empty_typeEbEEZZNS1_14partition_implILS8_4ELb0ES6_15HIP_vector_typeIjLj2EENS0_17counting_iteratorIjlEEPS9_SG_NS0_5tupleIJPjSI_NS0_16reverse_iteratorISI_EEEEENSH_IJSG_SG_SG_EEES9_SI_JZNS1_25segmented_radix_sort_implINS0_14default_configELb0EPKaPaPKlPlN2at6native12_GLOBAL__N_18offset_tEEE10hipError_tPvRmT1_PNSt15iterator_traitsIS12_E10value_typeET2_T3_PNS13_IS18_E10value_typeET4_jRbjT5_S1E_jjP12ihipStream_tbEUljE_ZNSN_ISO_Lb0ESQ_SR_ST_SU_SY_EESZ_S10_S11_S12_S16_S17_S18_S1B_S1C_jS1D_jS1E_S1E_jjS1G_bEUljE0_EEESZ_S10_S11_S18_S1C_S1E_T6_T7_T9_mT8_S1G_bDpT10_ENKUlT_T0_E_clISt17integral_constantIbLb0EES1U_EEDaS1P_S1Q_EUlS1P_E_NS1_11comp_targetILNS1_3genE8ELNS1_11target_archE1030ELNS1_3gpuE2ELNS1_3repE0EEENS1_30default_config_static_selectorELNS0_4arch9wavefront6targetE1EEEvS12_
		.amdhsa_group_segment_fixed_size 0
		.amdhsa_private_segment_fixed_size 0
		.amdhsa_kernarg_size 176
		.amdhsa_user_sgpr_count 6
		.amdhsa_user_sgpr_private_segment_buffer 1
		.amdhsa_user_sgpr_dispatch_ptr 0
		.amdhsa_user_sgpr_queue_ptr 0
		.amdhsa_user_sgpr_kernarg_segment_ptr 1
		.amdhsa_user_sgpr_dispatch_id 0
		.amdhsa_user_sgpr_flat_scratch_init 0
		.amdhsa_user_sgpr_kernarg_preload_length 0
		.amdhsa_user_sgpr_kernarg_preload_offset 0
		.amdhsa_user_sgpr_private_segment_size 0
		.amdhsa_uses_dynamic_stack 0
		.amdhsa_system_sgpr_private_segment_wavefront_offset 0
		.amdhsa_system_sgpr_workgroup_id_x 1
		.amdhsa_system_sgpr_workgroup_id_y 0
		.amdhsa_system_sgpr_workgroup_id_z 0
		.amdhsa_system_sgpr_workgroup_info 0
		.amdhsa_system_vgpr_workitem_id 0
		.amdhsa_next_free_vgpr 1
		.amdhsa_next_free_sgpr 0
		.amdhsa_accum_offset 4
		.amdhsa_reserve_vcc 0
		.amdhsa_reserve_flat_scratch 0
		.amdhsa_float_round_mode_32 0
		.amdhsa_float_round_mode_16_64 0
		.amdhsa_float_denorm_mode_32 3
		.amdhsa_float_denorm_mode_16_64 3
		.amdhsa_dx10_clamp 1
		.amdhsa_ieee_mode 1
		.amdhsa_fp16_overflow 0
		.amdhsa_tg_split 0
		.amdhsa_exception_fp_ieee_invalid_op 0
		.amdhsa_exception_fp_denorm_src 0
		.amdhsa_exception_fp_ieee_div_zero 0
		.amdhsa_exception_fp_ieee_overflow 0
		.amdhsa_exception_fp_ieee_underflow 0
		.amdhsa_exception_fp_ieee_inexact 0
		.amdhsa_exception_int_div_zero 0
	.end_amdhsa_kernel
	.section	.text._ZN7rocprim17ROCPRIM_400000_NS6detail17trampoline_kernelINS0_13select_configILj256ELj13ELNS0_17block_load_methodE3ELS4_3ELS4_3ELNS0_20block_scan_algorithmE0ELj4294967295EEENS1_25partition_config_selectorILNS1_17partition_subalgoE4EjNS0_10empty_typeEbEEZZNS1_14partition_implILS8_4ELb0ES6_15HIP_vector_typeIjLj2EENS0_17counting_iteratorIjlEEPS9_SG_NS0_5tupleIJPjSI_NS0_16reverse_iteratorISI_EEEEENSH_IJSG_SG_SG_EEES9_SI_JZNS1_25segmented_radix_sort_implINS0_14default_configELb0EPKaPaPKlPlN2at6native12_GLOBAL__N_18offset_tEEE10hipError_tPvRmT1_PNSt15iterator_traitsIS12_E10value_typeET2_T3_PNS13_IS18_E10value_typeET4_jRbjT5_S1E_jjP12ihipStream_tbEUljE_ZNSN_ISO_Lb0ESQ_SR_ST_SU_SY_EESZ_S10_S11_S12_S16_S17_S18_S1B_S1C_jS1D_jS1E_S1E_jjS1G_bEUljE0_EEESZ_S10_S11_S18_S1C_S1E_T6_T7_T9_mT8_S1G_bDpT10_ENKUlT_T0_E_clISt17integral_constantIbLb0EES1U_EEDaS1P_S1Q_EUlS1P_E_NS1_11comp_targetILNS1_3genE8ELNS1_11target_archE1030ELNS1_3gpuE2ELNS1_3repE0EEENS1_30default_config_static_selectorELNS0_4arch9wavefront6targetE1EEEvS12_,"axG",@progbits,_ZN7rocprim17ROCPRIM_400000_NS6detail17trampoline_kernelINS0_13select_configILj256ELj13ELNS0_17block_load_methodE3ELS4_3ELS4_3ELNS0_20block_scan_algorithmE0ELj4294967295EEENS1_25partition_config_selectorILNS1_17partition_subalgoE4EjNS0_10empty_typeEbEEZZNS1_14partition_implILS8_4ELb0ES6_15HIP_vector_typeIjLj2EENS0_17counting_iteratorIjlEEPS9_SG_NS0_5tupleIJPjSI_NS0_16reverse_iteratorISI_EEEEENSH_IJSG_SG_SG_EEES9_SI_JZNS1_25segmented_radix_sort_implINS0_14default_configELb0EPKaPaPKlPlN2at6native12_GLOBAL__N_18offset_tEEE10hipError_tPvRmT1_PNSt15iterator_traitsIS12_E10value_typeET2_T3_PNS13_IS18_E10value_typeET4_jRbjT5_S1E_jjP12ihipStream_tbEUljE_ZNSN_ISO_Lb0ESQ_SR_ST_SU_SY_EESZ_S10_S11_S12_S16_S17_S18_S1B_S1C_jS1D_jS1E_S1E_jjS1G_bEUljE0_EEESZ_S10_S11_S18_S1C_S1E_T6_T7_T9_mT8_S1G_bDpT10_ENKUlT_T0_E_clISt17integral_constantIbLb0EES1U_EEDaS1P_S1Q_EUlS1P_E_NS1_11comp_targetILNS1_3genE8ELNS1_11target_archE1030ELNS1_3gpuE2ELNS1_3repE0EEENS1_30default_config_static_selectorELNS0_4arch9wavefront6targetE1EEEvS12_,comdat
.Lfunc_end336:
	.size	_ZN7rocprim17ROCPRIM_400000_NS6detail17trampoline_kernelINS0_13select_configILj256ELj13ELNS0_17block_load_methodE3ELS4_3ELS4_3ELNS0_20block_scan_algorithmE0ELj4294967295EEENS1_25partition_config_selectorILNS1_17partition_subalgoE4EjNS0_10empty_typeEbEEZZNS1_14partition_implILS8_4ELb0ES6_15HIP_vector_typeIjLj2EENS0_17counting_iteratorIjlEEPS9_SG_NS0_5tupleIJPjSI_NS0_16reverse_iteratorISI_EEEEENSH_IJSG_SG_SG_EEES9_SI_JZNS1_25segmented_radix_sort_implINS0_14default_configELb0EPKaPaPKlPlN2at6native12_GLOBAL__N_18offset_tEEE10hipError_tPvRmT1_PNSt15iterator_traitsIS12_E10value_typeET2_T3_PNS13_IS18_E10value_typeET4_jRbjT5_S1E_jjP12ihipStream_tbEUljE_ZNSN_ISO_Lb0ESQ_SR_ST_SU_SY_EESZ_S10_S11_S12_S16_S17_S18_S1B_S1C_jS1D_jS1E_S1E_jjS1G_bEUljE0_EEESZ_S10_S11_S18_S1C_S1E_T6_T7_T9_mT8_S1G_bDpT10_ENKUlT_T0_E_clISt17integral_constantIbLb0EES1U_EEDaS1P_S1Q_EUlS1P_E_NS1_11comp_targetILNS1_3genE8ELNS1_11target_archE1030ELNS1_3gpuE2ELNS1_3repE0EEENS1_30default_config_static_selectorELNS0_4arch9wavefront6targetE1EEEvS12_, .Lfunc_end336-_ZN7rocprim17ROCPRIM_400000_NS6detail17trampoline_kernelINS0_13select_configILj256ELj13ELNS0_17block_load_methodE3ELS4_3ELS4_3ELNS0_20block_scan_algorithmE0ELj4294967295EEENS1_25partition_config_selectorILNS1_17partition_subalgoE4EjNS0_10empty_typeEbEEZZNS1_14partition_implILS8_4ELb0ES6_15HIP_vector_typeIjLj2EENS0_17counting_iteratorIjlEEPS9_SG_NS0_5tupleIJPjSI_NS0_16reverse_iteratorISI_EEEEENSH_IJSG_SG_SG_EEES9_SI_JZNS1_25segmented_radix_sort_implINS0_14default_configELb0EPKaPaPKlPlN2at6native12_GLOBAL__N_18offset_tEEE10hipError_tPvRmT1_PNSt15iterator_traitsIS12_E10value_typeET2_T3_PNS13_IS18_E10value_typeET4_jRbjT5_S1E_jjP12ihipStream_tbEUljE_ZNSN_ISO_Lb0ESQ_SR_ST_SU_SY_EESZ_S10_S11_S12_S16_S17_S18_S1B_S1C_jS1D_jS1E_S1E_jjS1G_bEUljE0_EEESZ_S10_S11_S18_S1C_S1E_T6_T7_T9_mT8_S1G_bDpT10_ENKUlT_T0_E_clISt17integral_constantIbLb0EES1U_EEDaS1P_S1Q_EUlS1P_E_NS1_11comp_targetILNS1_3genE8ELNS1_11target_archE1030ELNS1_3gpuE2ELNS1_3repE0EEENS1_30default_config_static_selectorELNS0_4arch9wavefront6targetE1EEEvS12_
                                        ; -- End function
	.section	.AMDGPU.csdata,"",@progbits
; Kernel info:
; codeLenInByte = 0
; NumSgprs: 4
; NumVgprs: 0
; NumAgprs: 0
; TotalNumVgprs: 0
; ScratchSize: 0
; MemoryBound: 0
; FloatMode: 240
; IeeeMode: 1
; LDSByteSize: 0 bytes/workgroup (compile time only)
; SGPRBlocks: 0
; VGPRBlocks: 0
; NumSGPRsForWavesPerEU: 4
; NumVGPRsForWavesPerEU: 1
; AccumOffset: 4
; Occupancy: 8
; WaveLimiterHint : 0
; COMPUTE_PGM_RSRC2:SCRATCH_EN: 0
; COMPUTE_PGM_RSRC2:USER_SGPR: 6
; COMPUTE_PGM_RSRC2:TRAP_HANDLER: 0
; COMPUTE_PGM_RSRC2:TGID_X_EN: 1
; COMPUTE_PGM_RSRC2:TGID_Y_EN: 0
; COMPUTE_PGM_RSRC2:TGID_Z_EN: 0
; COMPUTE_PGM_RSRC2:TIDIG_COMP_CNT: 0
; COMPUTE_PGM_RSRC3_GFX90A:ACCUM_OFFSET: 0
; COMPUTE_PGM_RSRC3_GFX90A:TG_SPLIT: 0
	.section	.text._ZN7rocprim17ROCPRIM_400000_NS6detail17trampoline_kernelINS0_13select_configILj256ELj13ELNS0_17block_load_methodE3ELS4_3ELS4_3ELNS0_20block_scan_algorithmE0ELj4294967295EEENS1_25partition_config_selectorILNS1_17partition_subalgoE4EjNS0_10empty_typeEbEEZZNS1_14partition_implILS8_4ELb0ES6_15HIP_vector_typeIjLj2EENS0_17counting_iteratorIjlEEPS9_SG_NS0_5tupleIJPjSI_NS0_16reverse_iteratorISI_EEEEENSH_IJSG_SG_SG_EEES9_SI_JZNS1_25segmented_radix_sort_implINS0_14default_configELb0EPKaPaPKlPlN2at6native12_GLOBAL__N_18offset_tEEE10hipError_tPvRmT1_PNSt15iterator_traitsIS12_E10value_typeET2_T3_PNS13_IS18_E10value_typeET4_jRbjT5_S1E_jjP12ihipStream_tbEUljE_ZNSN_ISO_Lb0ESQ_SR_ST_SU_SY_EESZ_S10_S11_S12_S16_S17_S18_S1B_S1C_jS1D_jS1E_S1E_jjS1G_bEUljE0_EEESZ_S10_S11_S18_S1C_S1E_T6_T7_T9_mT8_S1G_bDpT10_ENKUlT_T0_E_clISt17integral_constantIbLb1EES1U_EEDaS1P_S1Q_EUlS1P_E_NS1_11comp_targetILNS1_3genE0ELNS1_11target_archE4294967295ELNS1_3gpuE0ELNS1_3repE0EEENS1_30default_config_static_selectorELNS0_4arch9wavefront6targetE1EEEvS12_,"axG",@progbits,_ZN7rocprim17ROCPRIM_400000_NS6detail17trampoline_kernelINS0_13select_configILj256ELj13ELNS0_17block_load_methodE3ELS4_3ELS4_3ELNS0_20block_scan_algorithmE0ELj4294967295EEENS1_25partition_config_selectorILNS1_17partition_subalgoE4EjNS0_10empty_typeEbEEZZNS1_14partition_implILS8_4ELb0ES6_15HIP_vector_typeIjLj2EENS0_17counting_iteratorIjlEEPS9_SG_NS0_5tupleIJPjSI_NS0_16reverse_iteratorISI_EEEEENSH_IJSG_SG_SG_EEES9_SI_JZNS1_25segmented_radix_sort_implINS0_14default_configELb0EPKaPaPKlPlN2at6native12_GLOBAL__N_18offset_tEEE10hipError_tPvRmT1_PNSt15iterator_traitsIS12_E10value_typeET2_T3_PNS13_IS18_E10value_typeET4_jRbjT5_S1E_jjP12ihipStream_tbEUljE_ZNSN_ISO_Lb0ESQ_SR_ST_SU_SY_EESZ_S10_S11_S12_S16_S17_S18_S1B_S1C_jS1D_jS1E_S1E_jjS1G_bEUljE0_EEESZ_S10_S11_S18_S1C_S1E_T6_T7_T9_mT8_S1G_bDpT10_ENKUlT_T0_E_clISt17integral_constantIbLb1EES1U_EEDaS1P_S1Q_EUlS1P_E_NS1_11comp_targetILNS1_3genE0ELNS1_11target_archE4294967295ELNS1_3gpuE0ELNS1_3repE0EEENS1_30default_config_static_selectorELNS0_4arch9wavefront6targetE1EEEvS12_,comdat
	.globl	_ZN7rocprim17ROCPRIM_400000_NS6detail17trampoline_kernelINS0_13select_configILj256ELj13ELNS0_17block_load_methodE3ELS4_3ELS4_3ELNS0_20block_scan_algorithmE0ELj4294967295EEENS1_25partition_config_selectorILNS1_17partition_subalgoE4EjNS0_10empty_typeEbEEZZNS1_14partition_implILS8_4ELb0ES6_15HIP_vector_typeIjLj2EENS0_17counting_iteratorIjlEEPS9_SG_NS0_5tupleIJPjSI_NS0_16reverse_iteratorISI_EEEEENSH_IJSG_SG_SG_EEES9_SI_JZNS1_25segmented_radix_sort_implINS0_14default_configELb0EPKaPaPKlPlN2at6native12_GLOBAL__N_18offset_tEEE10hipError_tPvRmT1_PNSt15iterator_traitsIS12_E10value_typeET2_T3_PNS13_IS18_E10value_typeET4_jRbjT5_S1E_jjP12ihipStream_tbEUljE_ZNSN_ISO_Lb0ESQ_SR_ST_SU_SY_EESZ_S10_S11_S12_S16_S17_S18_S1B_S1C_jS1D_jS1E_S1E_jjS1G_bEUljE0_EEESZ_S10_S11_S18_S1C_S1E_T6_T7_T9_mT8_S1G_bDpT10_ENKUlT_T0_E_clISt17integral_constantIbLb1EES1U_EEDaS1P_S1Q_EUlS1P_E_NS1_11comp_targetILNS1_3genE0ELNS1_11target_archE4294967295ELNS1_3gpuE0ELNS1_3repE0EEENS1_30default_config_static_selectorELNS0_4arch9wavefront6targetE1EEEvS12_ ; -- Begin function _ZN7rocprim17ROCPRIM_400000_NS6detail17trampoline_kernelINS0_13select_configILj256ELj13ELNS0_17block_load_methodE3ELS4_3ELS4_3ELNS0_20block_scan_algorithmE0ELj4294967295EEENS1_25partition_config_selectorILNS1_17partition_subalgoE4EjNS0_10empty_typeEbEEZZNS1_14partition_implILS8_4ELb0ES6_15HIP_vector_typeIjLj2EENS0_17counting_iteratorIjlEEPS9_SG_NS0_5tupleIJPjSI_NS0_16reverse_iteratorISI_EEEEENSH_IJSG_SG_SG_EEES9_SI_JZNS1_25segmented_radix_sort_implINS0_14default_configELb0EPKaPaPKlPlN2at6native12_GLOBAL__N_18offset_tEEE10hipError_tPvRmT1_PNSt15iterator_traitsIS12_E10value_typeET2_T3_PNS13_IS18_E10value_typeET4_jRbjT5_S1E_jjP12ihipStream_tbEUljE_ZNSN_ISO_Lb0ESQ_SR_ST_SU_SY_EESZ_S10_S11_S12_S16_S17_S18_S1B_S1C_jS1D_jS1E_S1E_jjS1G_bEUljE0_EEESZ_S10_S11_S18_S1C_S1E_T6_T7_T9_mT8_S1G_bDpT10_ENKUlT_T0_E_clISt17integral_constantIbLb1EES1U_EEDaS1P_S1Q_EUlS1P_E_NS1_11comp_targetILNS1_3genE0ELNS1_11target_archE4294967295ELNS1_3gpuE0ELNS1_3repE0EEENS1_30default_config_static_selectorELNS0_4arch9wavefront6targetE1EEEvS12_
	.p2align	8
	.type	_ZN7rocprim17ROCPRIM_400000_NS6detail17trampoline_kernelINS0_13select_configILj256ELj13ELNS0_17block_load_methodE3ELS4_3ELS4_3ELNS0_20block_scan_algorithmE0ELj4294967295EEENS1_25partition_config_selectorILNS1_17partition_subalgoE4EjNS0_10empty_typeEbEEZZNS1_14partition_implILS8_4ELb0ES6_15HIP_vector_typeIjLj2EENS0_17counting_iteratorIjlEEPS9_SG_NS0_5tupleIJPjSI_NS0_16reverse_iteratorISI_EEEEENSH_IJSG_SG_SG_EEES9_SI_JZNS1_25segmented_radix_sort_implINS0_14default_configELb0EPKaPaPKlPlN2at6native12_GLOBAL__N_18offset_tEEE10hipError_tPvRmT1_PNSt15iterator_traitsIS12_E10value_typeET2_T3_PNS13_IS18_E10value_typeET4_jRbjT5_S1E_jjP12ihipStream_tbEUljE_ZNSN_ISO_Lb0ESQ_SR_ST_SU_SY_EESZ_S10_S11_S12_S16_S17_S18_S1B_S1C_jS1D_jS1E_S1E_jjS1G_bEUljE0_EEESZ_S10_S11_S18_S1C_S1E_T6_T7_T9_mT8_S1G_bDpT10_ENKUlT_T0_E_clISt17integral_constantIbLb1EES1U_EEDaS1P_S1Q_EUlS1P_E_NS1_11comp_targetILNS1_3genE0ELNS1_11target_archE4294967295ELNS1_3gpuE0ELNS1_3repE0EEENS1_30default_config_static_selectorELNS0_4arch9wavefront6targetE1EEEvS12_,@function
_ZN7rocprim17ROCPRIM_400000_NS6detail17trampoline_kernelINS0_13select_configILj256ELj13ELNS0_17block_load_methodE3ELS4_3ELS4_3ELNS0_20block_scan_algorithmE0ELj4294967295EEENS1_25partition_config_selectorILNS1_17partition_subalgoE4EjNS0_10empty_typeEbEEZZNS1_14partition_implILS8_4ELb0ES6_15HIP_vector_typeIjLj2EENS0_17counting_iteratorIjlEEPS9_SG_NS0_5tupleIJPjSI_NS0_16reverse_iteratorISI_EEEEENSH_IJSG_SG_SG_EEES9_SI_JZNS1_25segmented_radix_sort_implINS0_14default_configELb0EPKaPaPKlPlN2at6native12_GLOBAL__N_18offset_tEEE10hipError_tPvRmT1_PNSt15iterator_traitsIS12_E10value_typeET2_T3_PNS13_IS18_E10value_typeET4_jRbjT5_S1E_jjP12ihipStream_tbEUljE_ZNSN_ISO_Lb0ESQ_SR_ST_SU_SY_EESZ_S10_S11_S12_S16_S17_S18_S1B_S1C_jS1D_jS1E_S1E_jjS1G_bEUljE0_EEESZ_S10_S11_S18_S1C_S1E_T6_T7_T9_mT8_S1G_bDpT10_ENKUlT_T0_E_clISt17integral_constantIbLb1EES1U_EEDaS1P_S1Q_EUlS1P_E_NS1_11comp_targetILNS1_3genE0ELNS1_11target_archE4294967295ELNS1_3gpuE0ELNS1_3repE0EEENS1_30default_config_static_selectorELNS0_4arch9wavefront6targetE1EEEvS12_: ; @_ZN7rocprim17ROCPRIM_400000_NS6detail17trampoline_kernelINS0_13select_configILj256ELj13ELNS0_17block_load_methodE3ELS4_3ELS4_3ELNS0_20block_scan_algorithmE0ELj4294967295EEENS1_25partition_config_selectorILNS1_17partition_subalgoE4EjNS0_10empty_typeEbEEZZNS1_14partition_implILS8_4ELb0ES6_15HIP_vector_typeIjLj2EENS0_17counting_iteratorIjlEEPS9_SG_NS0_5tupleIJPjSI_NS0_16reverse_iteratorISI_EEEEENSH_IJSG_SG_SG_EEES9_SI_JZNS1_25segmented_radix_sort_implINS0_14default_configELb0EPKaPaPKlPlN2at6native12_GLOBAL__N_18offset_tEEE10hipError_tPvRmT1_PNSt15iterator_traitsIS12_E10value_typeET2_T3_PNS13_IS18_E10value_typeET4_jRbjT5_S1E_jjP12ihipStream_tbEUljE_ZNSN_ISO_Lb0ESQ_SR_ST_SU_SY_EESZ_S10_S11_S12_S16_S17_S18_S1B_S1C_jS1D_jS1E_S1E_jjS1G_bEUljE0_EEESZ_S10_S11_S18_S1C_S1E_T6_T7_T9_mT8_S1G_bDpT10_ENKUlT_T0_E_clISt17integral_constantIbLb1EES1U_EEDaS1P_S1Q_EUlS1P_E_NS1_11comp_targetILNS1_3genE0ELNS1_11target_archE4294967295ELNS1_3gpuE0ELNS1_3repE0EEENS1_30default_config_static_selectorELNS0_4arch9wavefront6targetE1EEEvS12_
; %bb.0:
	.section	.rodata,"a",@progbits
	.p2align	6, 0x0
	.amdhsa_kernel _ZN7rocprim17ROCPRIM_400000_NS6detail17trampoline_kernelINS0_13select_configILj256ELj13ELNS0_17block_load_methodE3ELS4_3ELS4_3ELNS0_20block_scan_algorithmE0ELj4294967295EEENS1_25partition_config_selectorILNS1_17partition_subalgoE4EjNS0_10empty_typeEbEEZZNS1_14partition_implILS8_4ELb0ES6_15HIP_vector_typeIjLj2EENS0_17counting_iteratorIjlEEPS9_SG_NS0_5tupleIJPjSI_NS0_16reverse_iteratorISI_EEEEENSH_IJSG_SG_SG_EEES9_SI_JZNS1_25segmented_radix_sort_implINS0_14default_configELb0EPKaPaPKlPlN2at6native12_GLOBAL__N_18offset_tEEE10hipError_tPvRmT1_PNSt15iterator_traitsIS12_E10value_typeET2_T3_PNS13_IS18_E10value_typeET4_jRbjT5_S1E_jjP12ihipStream_tbEUljE_ZNSN_ISO_Lb0ESQ_SR_ST_SU_SY_EESZ_S10_S11_S12_S16_S17_S18_S1B_S1C_jS1D_jS1E_S1E_jjS1G_bEUljE0_EEESZ_S10_S11_S18_S1C_S1E_T6_T7_T9_mT8_S1G_bDpT10_ENKUlT_T0_E_clISt17integral_constantIbLb1EES1U_EEDaS1P_S1Q_EUlS1P_E_NS1_11comp_targetILNS1_3genE0ELNS1_11target_archE4294967295ELNS1_3gpuE0ELNS1_3repE0EEENS1_30default_config_static_selectorELNS0_4arch9wavefront6targetE1EEEvS12_
		.amdhsa_group_segment_fixed_size 0
		.amdhsa_private_segment_fixed_size 0
		.amdhsa_kernarg_size 184
		.amdhsa_user_sgpr_count 6
		.amdhsa_user_sgpr_private_segment_buffer 1
		.amdhsa_user_sgpr_dispatch_ptr 0
		.amdhsa_user_sgpr_queue_ptr 0
		.amdhsa_user_sgpr_kernarg_segment_ptr 1
		.amdhsa_user_sgpr_dispatch_id 0
		.amdhsa_user_sgpr_flat_scratch_init 0
		.amdhsa_user_sgpr_kernarg_preload_length 0
		.amdhsa_user_sgpr_kernarg_preload_offset 0
		.amdhsa_user_sgpr_private_segment_size 0
		.amdhsa_uses_dynamic_stack 0
		.amdhsa_system_sgpr_private_segment_wavefront_offset 0
		.amdhsa_system_sgpr_workgroup_id_x 1
		.amdhsa_system_sgpr_workgroup_id_y 0
		.amdhsa_system_sgpr_workgroup_id_z 0
		.amdhsa_system_sgpr_workgroup_info 0
		.amdhsa_system_vgpr_workitem_id 0
		.amdhsa_next_free_vgpr 1
		.amdhsa_next_free_sgpr 0
		.amdhsa_accum_offset 4
		.amdhsa_reserve_vcc 0
		.amdhsa_reserve_flat_scratch 0
		.amdhsa_float_round_mode_32 0
		.amdhsa_float_round_mode_16_64 0
		.amdhsa_float_denorm_mode_32 3
		.amdhsa_float_denorm_mode_16_64 3
		.amdhsa_dx10_clamp 1
		.amdhsa_ieee_mode 1
		.amdhsa_fp16_overflow 0
		.amdhsa_tg_split 0
		.amdhsa_exception_fp_ieee_invalid_op 0
		.amdhsa_exception_fp_denorm_src 0
		.amdhsa_exception_fp_ieee_div_zero 0
		.amdhsa_exception_fp_ieee_overflow 0
		.amdhsa_exception_fp_ieee_underflow 0
		.amdhsa_exception_fp_ieee_inexact 0
		.amdhsa_exception_int_div_zero 0
	.end_amdhsa_kernel
	.section	.text._ZN7rocprim17ROCPRIM_400000_NS6detail17trampoline_kernelINS0_13select_configILj256ELj13ELNS0_17block_load_methodE3ELS4_3ELS4_3ELNS0_20block_scan_algorithmE0ELj4294967295EEENS1_25partition_config_selectorILNS1_17partition_subalgoE4EjNS0_10empty_typeEbEEZZNS1_14partition_implILS8_4ELb0ES6_15HIP_vector_typeIjLj2EENS0_17counting_iteratorIjlEEPS9_SG_NS0_5tupleIJPjSI_NS0_16reverse_iteratorISI_EEEEENSH_IJSG_SG_SG_EEES9_SI_JZNS1_25segmented_radix_sort_implINS0_14default_configELb0EPKaPaPKlPlN2at6native12_GLOBAL__N_18offset_tEEE10hipError_tPvRmT1_PNSt15iterator_traitsIS12_E10value_typeET2_T3_PNS13_IS18_E10value_typeET4_jRbjT5_S1E_jjP12ihipStream_tbEUljE_ZNSN_ISO_Lb0ESQ_SR_ST_SU_SY_EESZ_S10_S11_S12_S16_S17_S18_S1B_S1C_jS1D_jS1E_S1E_jjS1G_bEUljE0_EEESZ_S10_S11_S18_S1C_S1E_T6_T7_T9_mT8_S1G_bDpT10_ENKUlT_T0_E_clISt17integral_constantIbLb1EES1U_EEDaS1P_S1Q_EUlS1P_E_NS1_11comp_targetILNS1_3genE0ELNS1_11target_archE4294967295ELNS1_3gpuE0ELNS1_3repE0EEENS1_30default_config_static_selectorELNS0_4arch9wavefront6targetE1EEEvS12_,"axG",@progbits,_ZN7rocprim17ROCPRIM_400000_NS6detail17trampoline_kernelINS0_13select_configILj256ELj13ELNS0_17block_load_methodE3ELS4_3ELS4_3ELNS0_20block_scan_algorithmE0ELj4294967295EEENS1_25partition_config_selectorILNS1_17partition_subalgoE4EjNS0_10empty_typeEbEEZZNS1_14partition_implILS8_4ELb0ES6_15HIP_vector_typeIjLj2EENS0_17counting_iteratorIjlEEPS9_SG_NS0_5tupleIJPjSI_NS0_16reverse_iteratorISI_EEEEENSH_IJSG_SG_SG_EEES9_SI_JZNS1_25segmented_radix_sort_implINS0_14default_configELb0EPKaPaPKlPlN2at6native12_GLOBAL__N_18offset_tEEE10hipError_tPvRmT1_PNSt15iterator_traitsIS12_E10value_typeET2_T3_PNS13_IS18_E10value_typeET4_jRbjT5_S1E_jjP12ihipStream_tbEUljE_ZNSN_ISO_Lb0ESQ_SR_ST_SU_SY_EESZ_S10_S11_S12_S16_S17_S18_S1B_S1C_jS1D_jS1E_S1E_jjS1G_bEUljE0_EEESZ_S10_S11_S18_S1C_S1E_T6_T7_T9_mT8_S1G_bDpT10_ENKUlT_T0_E_clISt17integral_constantIbLb1EES1U_EEDaS1P_S1Q_EUlS1P_E_NS1_11comp_targetILNS1_3genE0ELNS1_11target_archE4294967295ELNS1_3gpuE0ELNS1_3repE0EEENS1_30default_config_static_selectorELNS0_4arch9wavefront6targetE1EEEvS12_,comdat
.Lfunc_end337:
	.size	_ZN7rocprim17ROCPRIM_400000_NS6detail17trampoline_kernelINS0_13select_configILj256ELj13ELNS0_17block_load_methodE3ELS4_3ELS4_3ELNS0_20block_scan_algorithmE0ELj4294967295EEENS1_25partition_config_selectorILNS1_17partition_subalgoE4EjNS0_10empty_typeEbEEZZNS1_14partition_implILS8_4ELb0ES6_15HIP_vector_typeIjLj2EENS0_17counting_iteratorIjlEEPS9_SG_NS0_5tupleIJPjSI_NS0_16reverse_iteratorISI_EEEEENSH_IJSG_SG_SG_EEES9_SI_JZNS1_25segmented_radix_sort_implINS0_14default_configELb0EPKaPaPKlPlN2at6native12_GLOBAL__N_18offset_tEEE10hipError_tPvRmT1_PNSt15iterator_traitsIS12_E10value_typeET2_T3_PNS13_IS18_E10value_typeET4_jRbjT5_S1E_jjP12ihipStream_tbEUljE_ZNSN_ISO_Lb0ESQ_SR_ST_SU_SY_EESZ_S10_S11_S12_S16_S17_S18_S1B_S1C_jS1D_jS1E_S1E_jjS1G_bEUljE0_EEESZ_S10_S11_S18_S1C_S1E_T6_T7_T9_mT8_S1G_bDpT10_ENKUlT_T0_E_clISt17integral_constantIbLb1EES1U_EEDaS1P_S1Q_EUlS1P_E_NS1_11comp_targetILNS1_3genE0ELNS1_11target_archE4294967295ELNS1_3gpuE0ELNS1_3repE0EEENS1_30default_config_static_selectorELNS0_4arch9wavefront6targetE1EEEvS12_, .Lfunc_end337-_ZN7rocprim17ROCPRIM_400000_NS6detail17trampoline_kernelINS0_13select_configILj256ELj13ELNS0_17block_load_methodE3ELS4_3ELS4_3ELNS0_20block_scan_algorithmE0ELj4294967295EEENS1_25partition_config_selectorILNS1_17partition_subalgoE4EjNS0_10empty_typeEbEEZZNS1_14partition_implILS8_4ELb0ES6_15HIP_vector_typeIjLj2EENS0_17counting_iteratorIjlEEPS9_SG_NS0_5tupleIJPjSI_NS0_16reverse_iteratorISI_EEEEENSH_IJSG_SG_SG_EEES9_SI_JZNS1_25segmented_radix_sort_implINS0_14default_configELb0EPKaPaPKlPlN2at6native12_GLOBAL__N_18offset_tEEE10hipError_tPvRmT1_PNSt15iterator_traitsIS12_E10value_typeET2_T3_PNS13_IS18_E10value_typeET4_jRbjT5_S1E_jjP12ihipStream_tbEUljE_ZNSN_ISO_Lb0ESQ_SR_ST_SU_SY_EESZ_S10_S11_S12_S16_S17_S18_S1B_S1C_jS1D_jS1E_S1E_jjS1G_bEUljE0_EEESZ_S10_S11_S18_S1C_S1E_T6_T7_T9_mT8_S1G_bDpT10_ENKUlT_T0_E_clISt17integral_constantIbLb1EES1U_EEDaS1P_S1Q_EUlS1P_E_NS1_11comp_targetILNS1_3genE0ELNS1_11target_archE4294967295ELNS1_3gpuE0ELNS1_3repE0EEENS1_30default_config_static_selectorELNS0_4arch9wavefront6targetE1EEEvS12_
                                        ; -- End function
	.section	.AMDGPU.csdata,"",@progbits
; Kernel info:
; codeLenInByte = 0
; NumSgprs: 4
; NumVgprs: 0
; NumAgprs: 0
; TotalNumVgprs: 0
; ScratchSize: 0
; MemoryBound: 0
; FloatMode: 240
; IeeeMode: 1
; LDSByteSize: 0 bytes/workgroup (compile time only)
; SGPRBlocks: 0
; VGPRBlocks: 0
; NumSGPRsForWavesPerEU: 4
; NumVGPRsForWavesPerEU: 1
; AccumOffset: 4
; Occupancy: 8
; WaveLimiterHint : 0
; COMPUTE_PGM_RSRC2:SCRATCH_EN: 0
; COMPUTE_PGM_RSRC2:USER_SGPR: 6
; COMPUTE_PGM_RSRC2:TRAP_HANDLER: 0
; COMPUTE_PGM_RSRC2:TGID_X_EN: 1
; COMPUTE_PGM_RSRC2:TGID_Y_EN: 0
; COMPUTE_PGM_RSRC2:TGID_Z_EN: 0
; COMPUTE_PGM_RSRC2:TIDIG_COMP_CNT: 0
; COMPUTE_PGM_RSRC3_GFX90A:ACCUM_OFFSET: 0
; COMPUTE_PGM_RSRC3_GFX90A:TG_SPLIT: 0
	.section	.text._ZN7rocprim17ROCPRIM_400000_NS6detail17trampoline_kernelINS0_13select_configILj256ELj13ELNS0_17block_load_methodE3ELS4_3ELS4_3ELNS0_20block_scan_algorithmE0ELj4294967295EEENS1_25partition_config_selectorILNS1_17partition_subalgoE4EjNS0_10empty_typeEbEEZZNS1_14partition_implILS8_4ELb0ES6_15HIP_vector_typeIjLj2EENS0_17counting_iteratorIjlEEPS9_SG_NS0_5tupleIJPjSI_NS0_16reverse_iteratorISI_EEEEENSH_IJSG_SG_SG_EEES9_SI_JZNS1_25segmented_radix_sort_implINS0_14default_configELb0EPKaPaPKlPlN2at6native12_GLOBAL__N_18offset_tEEE10hipError_tPvRmT1_PNSt15iterator_traitsIS12_E10value_typeET2_T3_PNS13_IS18_E10value_typeET4_jRbjT5_S1E_jjP12ihipStream_tbEUljE_ZNSN_ISO_Lb0ESQ_SR_ST_SU_SY_EESZ_S10_S11_S12_S16_S17_S18_S1B_S1C_jS1D_jS1E_S1E_jjS1G_bEUljE0_EEESZ_S10_S11_S18_S1C_S1E_T6_T7_T9_mT8_S1G_bDpT10_ENKUlT_T0_E_clISt17integral_constantIbLb1EES1U_EEDaS1P_S1Q_EUlS1P_E_NS1_11comp_targetILNS1_3genE5ELNS1_11target_archE942ELNS1_3gpuE9ELNS1_3repE0EEENS1_30default_config_static_selectorELNS0_4arch9wavefront6targetE1EEEvS12_,"axG",@progbits,_ZN7rocprim17ROCPRIM_400000_NS6detail17trampoline_kernelINS0_13select_configILj256ELj13ELNS0_17block_load_methodE3ELS4_3ELS4_3ELNS0_20block_scan_algorithmE0ELj4294967295EEENS1_25partition_config_selectorILNS1_17partition_subalgoE4EjNS0_10empty_typeEbEEZZNS1_14partition_implILS8_4ELb0ES6_15HIP_vector_typeIjLj2EENS0_17counting_iteratorIjlEEPS9_SG_NS0_5tupleIJPjSI_NS0_16reverse_iteratorISI_EEEEENSH_IJSG_SG_SG_EEES9_SI_JZNS1_25segmented_radix_sort_implINS0_14default_configELb0EPKaPaPKlPlN2at6native12_GLOBAL__N_18offset_tEEE10hipError_tPvRmT1_PNSt15iterator_traitsIS12_E10value_typeET2_T3_PNS13_IS18_E10value_typeET4_jRbjT5_S1E_jjP12ihipStream_tbEUljE_ZNSN_ISO_Lb0ESQ_SR_ST_SU_SY_EESZ_S10_S11_S12_S16_S17_S18_S1B_S1C_jS1D_jS1E_S1E_jjS1G_bEUljE0_EEESZ_S10_S11_S18_S1C_S1E_T6_T7_T9_mT8_S1G_bDpT10_ENKUlT_T0_E_clISt17integral_constantIbLb1EES1U_EEDaS1P_S1Q_EUlS1P_E_NS1_11comp_targetILNS1_3genE5ELNS1_11target_archE942ELNS1_3gpuE9ELNS1_3repE0EEENS1_30default_config_static_selectorELNS0_4arch9wavefront6targetE1EEEvS12_,comdat
	.globl	_ZN7rocprim17ROCPRIM_400000_NS6detail17trampoline_kernelINS0_13select_configILj256ELj13ELNS0_17block_load_methodE3ELS4_3ELS4_3ELNS0_20block_scan_algorithmE0ELj4294967295EEENS1_25partition_config_selectorILNS1_17partition_subalgoE4EjNS0_10empty_typeEbEEZZNS1_14partition_implILS8_4ELb0ES6_15HIP_vector_typeIjLj2EENS0_17counting_iteratorIjlEEPS9_SG_NS0_5tupleIJPjSI_NS0_16reverse_iteratorISI_EEEEENSH_IJSG_SG_SG_EEES9_SI_JZNS1_25segmented_radix_sort_implINS0_14default_configELb0EPKaPaPKlPlN2at6native12_GLOBAL__N_18offset_tEEE10hipError_tPvRmT1_PNSt15iterator_traitsIS12_E10value_typeET2_T3_PNS13_IS18_E10value_typeET4_jRbjT5_S1E_jjP12ihipStream_tbEUljE_ZNSN_ISO_Lb0ESQ_SR_ST_SU_SY_EESZ_S10_S11_S12_S16_S17_S18_S1B_S1C_jS1D_jS1E_S1E_jjS1G_bEUljE0_EEESZ_S10_S11_S18_S1C_S1E_T6_T7_T9_mT8_S1G_bDpT10_ENKUlT_T0_E_clISt17integral_constantIbLb1EES1U_EEDaS1P_S1Q_EUlS1P_E_NS1_11comp_targetILNS1_3genE5ELNS1_11target_archE942ELNS1_3gpuE9ELNS1_3repE0EEENS1_30default_config_static_selectorELNS0_4arch9wavefront6targetE1EEEvS12_ ; -- Begin function _ZN7rocprim17ROCPRIM_400000_NS6detail17trampoline_kernelINS0_13select_configILj256ELj13ELNS0_17block_load_methodE3ELS4_3ELS4_3ELNS0_20block_scan_algorithmE0ELj4294967295EEENS1_25partition_config_selectorILNS1_17partition_subalgoE4EjNS0_10empty_typeEbEEZZNS1_14partition_implILS8_4ELb0ES6_15HIP_vector_typeIjLj2EENS0_17counting_iteratorIjlEEPS9_SG_NS0_5tupleIJPjSI_NS0_16reverse_iteratorISI_EEEEENSH_IJSG_SG_SG_EEES9_SI_JZNS1_25segmented_radix_sort_implINS0_14default_configELb0EPKaPaPKlPlN2at6native12_GLOBAL__N_18offset_tEEE10hipError_tPvRmT1_PNSt15iterator_traitsIS12_E10value_typeET2_T3_PNS13_IS18_E10value_typeET4_jRbjT5_S1E_jjP12ihipStream_tbEUljE_ZNSN_ISO_Lb0ESQ_SR_ST_SU_SY_EESZ_S10_S11_S12_S16_S17_S18_S1B_S1C_jS1D_jS1E_S1E_jjS1G_bEUljE0_EEESZ_S10_S11_S18_S1C_S1E_T6_T7_T9_mT8_S1G_bDpT10_ENKUlT_T0_E_clISt17integral_constantIbLb1EES1U_EEDaS1P_S1Q_EUlS1P_E_NS1_11comp_targetILNS1_3genE5ELNS1_11target_archE942ELNS1_3gpuE9ELNS1_3repE0EEENS1_30default_config_static_selectorELNS0_4arch9wavefront6targetE1EEEvS12_
	.p2align	8
	.type	_ZN7rocprim17ROCPRIM_400000_NS6detail17trampoline_kernelINS0_13select_configILj256ELj13ELNS0_17block_load_methodE3ELS4_3ELS4_3ELNS0_20block_scan_algorithmE0ELj4294967295EEENS1_25partition_config_selectorILNS1_17partition_subalgoE4EjNS0_10empty_typeEbEEZZNS1_14partition_implILS8_4ELb0ES6_15HIP_vector_typeIjLj2EENS0_17counting_iteratorIjlEEPS9_SG_NS0_5tupleIJPjSI_NS0_16reverse_iteratorISI_EEEEENSH_IJSG_SG_SG_EEES9_SI_JZNS1_25segmented_radix_sort_implINS0_14default_configELb0EPKaPaPKlPlN2at6native12_GLOBAL__N_18offset_tEEE10hipError_tPvRmT1_PNSt15iterator_traitsIS12_E10value_typeET2_T3_PNS13_IS18_E10value_typeET4_jRbjT5_S1E_jjP12ihipStream_tbEUljE_ZNSN_ISO_Lb0ESQ_SR_ST_SU_SY_EESZ_S10_S11_S12_S16_S17_S18_S1B_S1C_jS1D_jS1E_S1E_jjS1G_bEUljE0_EEESZ_S10_S11_S18_S1C_S1E_T6_T7_T9_mT8_S1G_bDpT10_ENKUlT_T0_E_clISt17integral_constantIbLb1EES1U_EEDaS1P_S1Q_EUlS1P_E_NS1_11comp_targetILNS1_3genE5ELNS1_11target_archE942ELNS1_3gpuE9ELNS1_3repE0EEENS1_30default_config_static_selectorELNS0_4arch9wavefront6targetE1EEEvS12_,@function
_ZN7rocprim17ROCPRIM_400000_NS6detail17trampoline_kernelINS0_13select_configILj256ELj13ELNS0_17block_load_methodE3ELS4_3ELS4_3ELNS0_20block_scan_algorithmE0ELj4294967295EEENS1_25partition_config_selectorILNS1_17partition_subalgoE4EjNS0_10empty_typeEbEEZZNS1_14partition_implILS8_4ELb0ES6_15HIP_vector_typeIjLj2EENS0_17counting_iteratorIjlEEPS9_SG_NS0_5tupleIJPjSI_NS0_16reverse_iteratorISI_EEEEENSH_IJSG_SG_SG_EEES9_SI_JZNS1_25segmented_radix_sort_implINS0_14default_configELb0EPKaPaPKlPlN2at6native12_GLOBAL__N_18offset_tEEE10hipError_tPvRmT1_PNSt15iterator_traitsIS12_E10value_typeET2_T3_PNS13_IS18_E10value_typeET4_jRbjT5_S1E_jjP12ihipStream_tbEUljE_ZNSN_ISO_Lb0ESQ_SR_ST_SU_SY_EESZ_S10_S11_S12_S16_S17_S18_S1B_S1C_jS1D_jS1E_S1E_jjS1G_bEUljE0_EEESZ_S10_S11_S18_S1C_S1E_T6_T7_T9_mT8_S1G_bDpT10_ENKUlT_T0_E_clISt17integral_constantIbLb1EES1U_EEDaS1P_S1Q_EUlS1P_E_NS1_11comp_targetILNS1_3genE5ELNS1_11target_archE942ELNS1_3gpuE9ELNS1_3repE0EEENS1_30default_config_static_selectorELNS0_4arch9wavefront6targetE1EEEvS12_: ; @_ZN7rocprim17ROCPRIM_400000_NS6detail17trampoline_kernelINS0_13select_configILj256ELj13ELNS0_17block_load_methodE3ELS4_3ELS4_3ELNS0_20block_scan_algorithmE0ELj4294967295EEENS1_25partition_config_selectorILNS1_17partition_subalgoE4EjNS0_10empty_typeEbEEZZNS1_14partition_implILS8_4ELb0ES6_15HIP_vector_typeIjLj2EENS0_17counting_iteratorIjlEEPS9_SG_NS0_5tupleIJPjSI_NS0_16reverse_iteratorISI_EEEEENSH_IJSG_SG_SG_EEES9_SI_JZNS1_25segmented_radix_sort_implINS0_14default_configELb0EPKaPaPKlPlN2at6native12_GLOBAL__N_18offset_tEEE10hipError_tPvRmT1_PNSt15iterator_traitsIS12_E10value_typeET2_T3_PNS13_IS18_E10value_typeET4_jRbjT5_S1E_jjP12ihipStream_tbEUljE_ZNSN_ISO_Lb0ESQ_SR_ST_SU_SY_EESZ_S10_S11_S12_S16_S17_S18_S1B_S1C_jS1D_jS1E_S1E_jjS1G_bEUljE0_EEESZ_S10_S11_S18_S1C_S1E_T6_T7_T9_mT8_S1G_bDpT10_ENKUlT_T0_E_clISt17integral_constantIbLb1EES1U_EEDaS1P_S1Q_EUlS1P_E_NS1_11comp_targetILNS1_3genE5ELNS1_11target_archE942ELNS1_3gpuE9ELNS1_3repE0EEENS1_30default_config_static_selectorELNS0_4arch9wavefront6targetE1EEEvS12_
; %bb.0:
	.section	.rodata,"a",@progbits
	.p2align	6, 0x0
	.amdhsa_kernel _ZN7rocprim17ROCPRIM_400000_NS6detail17trampoline_kernelINS0_13select_configILj256ELj13ELNS0_17block_load_methodE3ELS4_3ELS4_3ELNS0_20block_scan_algorithmE0ELj4294967295EEENS1_25partition_config_selectorILNS1_17partition_subalgoE4EjNS0_10empty_typeEbEEZZNS1_14partition_implILS8_4ELb0ES6_15HIP_vector_typeIjLj2EENS0_17counting_iteratorIjlEEPS9_SG_NS0_5tupleIJPjSI_NS0_16reverse_iteratorISI_EEEEENSH_IJSG_SG_SG_EEES9_SI_JZNS1_25segmented_radix_sort_implINS0_14default_configELb0EPKaPaPKlPlN2at6native12_GLOBAL__N_18offset_tEEE10hipError_tPvRmT1_PNSt15iterator_traitsIS12_E10value_typeET2_T3_PNS13_IS18_E10value_typeET4_jRbjT5_S1E_jjP12ihipStream_tbEUljE_ZNSN_ISO_Lb0ESQ_SR_ST_SU_SY_EESZ_S10_S11_S12_S16_S17_S18_S1B_S1C_jS1D_jS1E_S1E_jjS1G_bEUljE0_EEESZ_S10_S11_S18_S1C_S1E_T6_T7_T9_mT8_S1G_bDpT10_ENKUlT_T0_E_clISt17integral_constantIbLb1EES1U_EEDaS1P_S1Q_EUlS1P_E_NS1_11comp_targetILNS1_3genE5ELNS1_11target_archE942ELNS1_3gpuE9ELNS1_3repE0EEENS1_30default_config_static_selectorELNS0_4arch9wavefront6targetE1EEEvS12_
		.amdhsa_group_segment_fixed_size 0
		.amdhsa_private_segment_fixed_size 0
		.amdhsa_kernarg_size 184
		.amdhsa_user_sgpr_count 6
		.amdhsa_user_sgpr_private_segment_buffer 1
		.amdhsa_user_sgpr_dispatch_ptr 0
		.amdhsa_user_sgpr_queue_ptr 0
		.amdhsa_user_sgpr_kernarg_segment_ptr 1
		.amdhsa_user_sgpr_dispatch_id 0
		.amdhsa_user_sgpr_flat_scratch_init 0
		.amdhsa_user_sgpr_kernarg_preload_length 0
		.amdhsa_user_sgpr_kernarg_preload_offset 0
		.amdhsa_user_sgpr_private_segment_size 0
		.amdhsa_uses_dynamic_stack 0
		.amdhsa_system_sgpr_private_segment_wavefront_offset 0
		.amdhsa_system_sgpr_workgroup_id_x 1
		.amdhsa_system_sgpr_workgroup_id_y 0
		.amdhsa_system_sgpr_workgroup_id_z 0
		.amdhsa_system_sgpr_workgroup_info 0
		.amdhsa_system_vgpr_workitem_id 0
		.amdhsa_next_free_vgpr 1
		.amdhsa_next_free_sgpr 0
		.amdhsa_accum_offset 4
		.amdhsa_reserve_vcc 0
		.amdhsa_reserve_flat_scratch 0
		.amdhsa_float_round_mode_32 0
		.amdhsa_float_round_mode_16_64 0
		.amdhsa_float_denorm_mode_32 3
		.amdhsa_float_denorm_mode_16_64 3
		.amdhsa_dx10_clamp 1
		.amdhsa_ieee_mode 1
		.amdhsa_fp16_overflow 0
		.amdhsa_tg_split 0
		.amdhsa_exception_fp_ieee_invalid_op 0
		.amdhsa_exception_fp_denorm_src 0
		.amdhsa_exception_fp_ieee_div_zero 0
		.amdhsa_exception_fp_ieee_overflow 0
		.amdhsa_exception_fp_ieee_underflow 0
		.amdhsa_exception_fp_ieee_inexact 0
		.amdhsa_exception_int_div_zero 0
	.end_amdhsa_kernel
	.section	.text._ZN7rocprim17ROCPRIM_400000_NS6detail17trampoline_kernelINS0_13select_configILj256ELj13ELNS0_17block_load_methodE3ELS4_3ELS4_3ELNS0_20block_scan_algorithmE0ELj4294967295EEENS1_25partition_config_selectorILNS1_17partition_subalgoE4EjNS0_10empty_typeEbEEZZNS1_14partition_implILS8_4ELb0ES6_15HIP_vector_typeIjLj2EENS0_17counting_iteratorIjlEEPS9_SG_NS0_5tupleIJPjSI_NS0_16reverse_iteratorISI_EEEEENSH_IJSG_SG_SG_EEES9_SI_JZNS1_25segmented_radix_sort_implINS0_14default_configELb0EPKaPaPKlPlN2at6native12_GLOBAL__N_18offset_tEEE10hipError_tPvRmT1_PNSt15iterator_traitsIS12_E10value_typeET2_T3_PNS13_IS18_E10value_typeET4_jRbjT5_S1E_jjP12ihipStream_tbEUljE_ZNSN_ISO_Lb0ESQ_SR_ST_SU_SY_EESZ_S10_S11_S12_S16_S17_S18_S1B_S1C_jS1D_jS1E_S1E_jjS1G_bEUljE0_EEESZ_S10_S11_S18_S1C_S1E_T6_T7_T9_mT8_S1G_bDpT10_ENKUlT_T0_E_clISt17integral_constantIbLb1EES1U_EEDaS1P_S1Q_EUlS1P_E_NS1_11comp_targetILNS1_3genE5ELNS1_11target_archE942ELNS1_3gpuE9ELNS1_3repE0EEENS1_30default_config_static_selectorELNS0_4arch9wavefront6targetE1EEEvS12_,"axG",@progbits,_ZN7rocprim17ROCPRIM_400000_NS6detail17trampoline_kernelINS0_13select_configILj256ELj13ELNS0_17block_load_methodE3ELS4_3ELS4_3ELNS0_20block_scan_algorithmE0ELj4294967295EEENS1_25partition_config_selectorILNS1_17partition_subalgoE4EjNS0_10empty_typeEbEEZZNS1_14partition_implILS8_4ELb0ES6_15HIP_vector_typeIjLj2EENS0_17counting_iteratorIjlEEPS9_SG_NS0_5tupleIJPjSI_NS0_16reverse_iteratorISI_EEEEENSH_IJSG_SG_SG_EEES9_SI_JZNS1_25segmented_radix_sort_implINS0_14default_configELb0EPKaPaPKlPlN2at6native12_GLOBAL__N_18offset_tEEE10hipError_tPvRmT1_PNSt15iterator_traitsIS12_E10value_typeET2_T3_PNS13_IS18_E10value_typeET4_jRbjT5_S1E_jjP12ihipStream_tbEUljE_ZNSN_ISO_Lb0ESQ_SR_ST_SU_SY_EESZ_S10_S11_S12_S16_S17_S18_S1B_S1C_jS1D_jS1E_S1E_jjS1G_bEUljE0_EEESZ_S10_S11_S18_S1C_S1E_T6_T7_T9_mT8_S1G_bDpT10_ENKUlT_T0_E_clISt17integral_constantIbLb1EES1U_EEDaS1P_S1Q_EUlS1P_E_NS1_11comp_targetILNS1_3genE5ELNS1_11target_archE942ELNS1_3gpuE9ELNS1_3repE0EEENS1_30default_config_static_selectorELNS0_4arch9wavefront6targetE1EEEvS12_,comdat
.Lfunc_end338:
	.size	_ZN7rocprim17ROCPRIM_400000_NS6detail17trampoline_kernelINS0_13select_configILj256ELj13ELNS0_17block_load_methodE3ELS4_3ELS4_3ELNS0_20block_scan_algorithmE0ELj4294967295EEENS1_25partition_config_selectorILNS1_17partition_subalgoE4EjNS0_10empty_typeEbEEZZNS1_14partition_implILS8_4ELb0ES6_15HIP_vector_typeIjLj2EENS0_17counting_iteratorIjlEEPS9_SG_NS0_5tupleIJPjSI_NS0_16reverse_iteratorISI_EEEEENSH_IJSG_SG_SG_EEES9_SI_JZNS1_25segmented_radix_sort_implINS0_14default_configELb0EPKaPaPKlPlN2at6native12_GLOBAL__N_18offset_tEEE10hipError_tPvRmT1_PNSt15iterator_traitsIS12_E10value_typeET2_T3_PNS13_IS18_E10value_typeET4_jRbjT5_S1E_jjP12ihipStream_tbEUljE_ZNSN_ISO_Lb0ESQ_SR_ST_SU_SY_EESZ_S10_S11_S12_S16_S17_S18_S1B_S1C_jS1D_jS1E_S1E_jjS1G_bEUljE0_EEESZ_S10_S11_S18_S1C_S1E_T6_T7_T9_mT8_S1G_bDpT10_ENKUlT_T0_E_clISt17integral_constantIbLb1EES1U_EEDaS1P_S1Q_EUlS1P_E_NS1_11comp_targetILNS1_3genE5ELNS1_11target_archE942ELNS1_3gpuE9ELNS1_3repE0EEENS1_30default_config_static_selectorELNS0_4arch9wavefront6targetE1EEEvS12_, .Lfunc_end338-_ZN7rocprim17ROCPRIM_400000_NS6detail17trampoline_kernelINS0_13select_configILj256ELj13ELNS0_17block_load_methodE3ELS4_3ELS4_3ELNS0_20block_scan_algorithmE0ELj4294967295EEENS1_25partition_config_selectorILNS1_17partition_subalgoE4EjNS0_10empty_typeEbEEZZNS1_14partition_implILS8_4ELb0ES6_15HIP_vector_typeIjLj2EENS0_17counting_iteratorIjlEEPS9_SG_NS0_5tupleIJPjSI_NS0_16reverse_iteratorISI_EEEEENSH_IJSG_SG_SG_EEES9_SI_JZNS1_25segmented_radix_sort_implINS0_14default_configELb0EPKaPaPKlPlN2at6native12_GLOBAL__N_18offset_tEEE10hipError_tPvRmT1_PNSt15iterator_traitsIS12_E10value_typeET2_T3_PNS13_IS18_E10value_typeET4_jRbjT5_S1E_jjP12ihipStream_tbEUljE_ZNSN_ISO_Lb0ESQ_SR_ST_SU_SY_EESZ_S10_S11_S12_S16_S17_S18_S1B_S1C_jS1D_jS1E_S1E_jjS1G_bEUljE0_EEESZ_S10_S11_S18_S1C_S1E_T6_T7_T9_mT8_S1G_bDpT10_ENKUlT_T0_E_clISt17integral_constantIbLb1EES1U_EEDaS1P_S1Q_EUlS1P_E_NS1_11comp_targetILNS1_3genE5ELNS1_11target_archE942ELNS1_3gpuE9ELNS1_3repE0EEENS1_30default_config_static_selectorELNS0_4arch9wavefront6targetE1EEEvS12_
                                        ; -- End function
	.section	.AMDGPU.csdata,"",@progbits
; Kernel info:
; codeLenInByte = 0
; NumSgprs: 4
; NumVgprs: 0
; NumAgprs: 0
; TotalNumVgprs: 0
; ScratchSize: 0
; MemoryBound: 0
; FloatMode: 240
; IeeeMode: 1
; LDSByteSize: 0 bytes/workgroup (compile time only)
; SGPRBlocks: 0
; VGPRBlocks: 0
; NumSGPRsForWavesPerEU: 4
; NumVGPRsForWavesPerEU: 1
; AccumOffset: 4
; Occupancy: 8
; WaveLimiterHint : 0
; COMPUTE_PGM_RSRC2:SCRATCH_EN: 0
; COMPUTE_PGM_RSRC2:USER_SGPR: 6
; COMPUTE_PGM_RSRC2:TRAP_HANDLER: 0
; COMPUTE_PGM_RSRC2:TGID_X_EN: 1
; COMPUTE_PGM_RSRC2:TGID_Y_EN: 0
; COMPUTE_PGM_RSRC2:TGID_Z_EN: 0
; COMPUTE_PGM_RSRC2:TIDIG_COMP_CNT: 0
; COMPUTE_PGM_RSRC3_GFX90A:ACCUM_OFFSET: 0
; COMPUTE_PGM_RSRC3_GFX90A:TG_SPLIT: 0
	.section	.text._ZN7rocprim17ROCPRIM_400000_NS6detail17trampoline_kernelINS0_13select_configILj256ELj13ELNS0_17block_load_methodE3ELS4_3ELS4_3ELNS0_20block_scan_algorithmE0ELj4294967295EEENS1_25partition_config_selectorILNS1_17partition_subalgoE4EjNS0_10empty_typeEbEEZZNS1_14partition_implILS8_4ELb0ES6_15HIP_vector_typeIjLj2EENS0_17counting_iteratorIjlEEPS9_SG_NS0_5tupleIJPjSI_NS0_16reverse_iteratorISI_EEEEENSH_IJSG_SG_SG_EEES9_SI_JZNS1_25segmented_radix_sort_implINS0_14default_configELb0EPKaPaPKlPlN2at6native12_GLOBAL__N_18offset_tEEE10hipError_tPvRmT1_PNSt15iterator_traitsIS12_E10value_typeET2_T3_PNS13_IS18_E10value_typeET4_jRbjT5_S1E_jjP12ihipStream_tbEUljE_ZNSN_ISO_Lb0ESQ_SR_ST_SU_SY_EESZ_S10_S11_S12_S16_S17_S18_S1B_S1C_jS1D_jS1E_S1E_jjS1G_bEUljE0_EEESZ_S10_S11_S18_S1C_S1E_T6_T7_T9_mT8_S1G_bDpT10_ENKUlT_T0_E_clISt17integral_constantIbLb1EES1U_EEDaS1P_S1Q_EUlS1P_E_NS1_11comp_targetILNS1_3genE4ELNS1_11target_archE910ELNS1_3gpuE8ELNS1_3repE0EEENS1_30default_config_static_selectorELNS0_4arch9wavefront6targetE1EEEvS12_,"axG",@progbits,_ZN7rocprim17ROCPRIM_400000_NS6detail17trampoline_kernelINS0_13select_configILj256ELj13ELNS0_17block_load_methodE3ELS4_3ELS4_3ELNS0_20block_scan_algorithmE0ELj4294967295EEENS1_25partition_config_selectorILNS1_17partition_subalgoE4EjNS0_10empty_typeEbEEZZNS1_14partition_implILS8_4ELb0ES6_15HIP_vector_typeIjLj2EENS0_17counting_iteratorIjlEEPS9_SG_NS0_5tupleIJPjSI_NS0_16reverse_iteratorISI_EEEEENSH_IJSG_SG_SG_EEES9_SI_JZNS1_25segmented_radix_sort_implINS0_14default_configELb0EPKaPaPKlPlN2at6native12_GLOBAL__N_18offset_tEEE10hipError_tPvRmT1_PNSt15iterator_traitsIS12_E10value_typeET2_T3_PNS13_IS18_E10value_typeET4_jRbjT5_S1E_jjP12ihipStream_tbEUljE_ZNSN_ISO_Lb0ESQ_SR_ST_SU_SY_EESZ_S10_S11_S12_S16_S17_S18_S1B_S1C_jS1D_jS1E_S1E_jjS1G_bEUljE0_EEESZ_S10_S11_S18_S1C_S1E_T6_T7_T9_mT8_S1G_bDpT10_ENKUlT_T0_E_clISt17integral_constantIbLb1EES1U_EEDaS1P_S1Q_EUlS1P_E_NS1_11comp_targetILNS1_3genE4ELNS1_11target_archE910ELNS1_3gpuE8ELNS1_3repE0EEENS1_30default_config_static_selectorELNS0_4arch9wavefront6targetE1EEEvS12_,comdat
	.globl	_ZN7rocprim17ROCPRIM_400000_NS6detail17trampoline_kernelINS0_13select_configILj256ELj13ELNS0_17block_load_methodE3ELS4_3ELS4_3ELNS0_20block_scan_algorithmE0ELj4294967295EEENS1_25partition_config_selectorILNS1_17partition_subalgoE4EjNS0_10empty_typeEbEEZZNS1_14partition_implILS8_4ELb0ES6_15HIP_vector_typeIjLj2EENS0_17counting_iteratorIjlEEPS9_SG_NS0_5tupleIJPjSI_NS0_16reverse_iteratorISI_EEEEENSH_IJSG_SG_SG_EEES9_SI_JZNS1_25segmented_radix_sort_implINS0_14default_configELb0EPKaPaPKlPlN2at6native12_GLOBAL__N_18offset_tEEE10hipError_tPvRmT1_PNSt15iterator_traitsIS12_E10value_typeET2_T3_PNS13_IS18_E10value_typeET4_jRbjT5_S1E_jjP12ihipStream_tbEUljE_ZNSN_ISO_Lb0ESQ_SR_ST_SU_SY_EESZ_S10_S11_S12_S16_S17_S18_S1B_S1C_jS1D_jS1E_S1E_jjS1G_bEUljE0_EEESZ_S10_S11_S18_S1C_S1E_T6_T7_T9_mT8_S1G_bDpT10_ENKUlT_T0_E_clISt17integral_constantIbLb1EES1U_EEDaS1P_S1Q_EUlS1P_E_NS1_11comp_targetILNS1_3genE4ELNS1_11target_archE910ELNS1_3gpuE8ELNS1_3repE0EEENS1_30default_config_static_selectorELNS0_4arch9wavefront6targetE1EEEvS12_ ; -- Begin function _ZN7rocprim17ROCPRIM_400000_NS6detail17trampoline_kernelINS0_13select_configILj256ELj13ELNS0_17block_load_methodE3ELS4_3ELS4_3ELNS0_20block_scan_algorithmE0ELj4294967295EEENS1_25partition_config_selectorILNS1_17partition_subalgoE4EjNS0_10empty_typeEbEEZZNS1_14partition_implILS8_4ELb0ES6_15HIP_vector_typeIjLj2EENS0_17counting_iteratorIjlEEPS9_SG_NS0_5tupleIJPjSI_NS0_16reverse_iteratorISI_EEEEENSH_IJSG_SG_SG_EEES9_SI_JZNS1_25segmented_radix_sort_implINS0_14default_configELb0EPKaPaPKlPlN2at6native12_GLOBAL__N_18offset_tEEE10hipError_tPvRmT1_PNSt15iterator_traitsIS12_E10value_typeET2_T3_PNS13_IS18_E10value_typeET4_jRbjT5_S1E_jjP12ihipStream_tbEUljE_ZNSN_ISO_Lb0ESQ_SR_ST_SU_SY_EESZ_S10_S11_S12_S16_S17_S18_S1B_S1C_jS1D_jS1E_S1E_jjS1G_bEUljE0_EEESZ_S10_S11_S18_S1C_S1E_T6_T7_T9_mT8_S1G_bDpT10_ENKUlT_T0_E_clISt17integral_constantIbLb1EES1U_EEDaS1P_S1Q_EUlS1P_E_NS1_11comp_targetILNS1_3genE4ELNS1_11target_archE910ELNS1_3gpuE8ELNS1_3repE0EEENS1_30default_config_static_selectorELNS0_4arch9wavefront6targetE1EEEvS12_
	.p2align	8
	.type	_ZN7rocprim17ROCPRIM_400000_NS6detail17trampoline_kernelINS0_13select_configILj256ELj13ELNS0_17block_load_methodE3ELS4_3ELS4_3ELNS0_20block_scan_algorithmE0ELj4294967295EEENS1_25partition_config_selectorILNS1_17partition_subalgoE4EjNS0_10empty_typeEbEEZZNS1_14partition_implILS8_4ELb0ES6_15HIP_vector_typeIjLj2EENS0_17counting_iteratorIjlEEPS9_SG_NS0_5tupleIJPjSI_NS0_16reverse_iteratorISI_EEEEENSH_IJSG_SG_SG_EEES9_SI_JZNS1_25segmented_radix_sort_implINS0_14default_configELb0EPKaPaPKlPlN2at6native12_GLOBAL__N_18offset_tEEE10hipError_tPvRmT1_PNSt15iterator_traitsIS12_E10value_typeET2_T3_PNS13_IS18_E10value_typeET4_jRbjT5_S1E_jjP12ihipStream_tbEUljE_ZNSN_ISO_Lb0ESQ_SR_ST_SU_SY_EESZ_S10_S11_S12_S16_S17_S18_S1B_S1C_jS1D_jS1E_S1E_jjS1G_bEUljE0_EEESZ_S10_S11_S18_S1C_S1E_T6_T7_T9_mT8_S1G_bDpT10_ENKUlT_T0_E_clISt17integral_constantIbLb1EES1U_EEDaS1P_S1Q_EUlS1P_E_NS1_11comp_targetILNS1_3genE4ELNS1_11target_archE910ELNS1_3gpuE8ELNS1_3repE0EEENS1_30default_config_static_selectorELNS0_4arch9wavefront6targetE1EEEvS12_,@function
_ZN7rocprim17ROCPRIM_400000_NS6detail17trampoline_kernelINS0_13select_configILj256ELj13ELNS0_17block_load_methodE3ELS4_3ELS4_3ELNS0_20block_scan_algorithmE0ELj4294967295EEENS1_25partition_config_selectorILNS1_17partition_subalgoE4EjNS0_10empty_typeEbEEZZNS1_14partition_implILS8_4ELb0ES6_15HIP_vector_typeIjLj2EENS0_17counting_iteratorIjlEEPS9_SG_NS0_5tupleIJPjSI_NS0_16reverse_iteratorISI_EEEEENSH_IJSG_SG_SG_EEES9_SI_JZNS1_25segmented_radix_sort_implINS0_14default_configELb0EPKaPaPKlPlN2at6native12_GLOBAL__N_18offset_tEEE10hipError_tPvRmT1_PNSt15iterator_traitsIS12_E10value_typeET2_T3_PNS13_IS18_E10value_typeET4_jRbjT5_S1E_jjP12ihipStream_tbEUljE_ZNSN_ISO_Lb0ESQ_SR_ST_SU_SY_EESZ_S10_S11_S12_S16_S17_S18_S1B_S1C_jS1D_jS1E_S1E_jjS1G_bEUljE0_EEESZ_S10_S11_S18_S1C_S1E_T6_T7_T9_mT8_S1G_bDpT10_ENKUlT_T0_E_clISt17integral_constantIbLb1EES1U_EEDaS1P_S1Q_EUlS1P_E_NS1_11comp_targetILNS1_3genE4ELNS1_11target_archE910ELNS1_3gpuE8ELNS1_3repE0EEENS1_30default_config_static_selectorELNS0_4arch9wavefront6targetE1EEEvS12_: ; @_ZN7rocprim17ROCPRIM_400000_NS6detail17trampoline_kernelINS0_13select_configILj256ELj13ELNS0_17block_load_methodE3ELS4_3ELS4_3ELNS0_20block_scan_algorithmE0ELj4294967295EEENS1_25partition_config_selectorILNS1_17partition_subalgoE4EjNS0_10empty_typeEbEEZZNS1_14partition_implILS8_4ELb0ES6_15HIP_vector_typeIjLj2EENS0_17counting_iteratorIjlEEPS9_SG_NS0_5tupleIJPjSI_NS0_16reverse_iteratorISI_EEEEENSH_IJSG_SG_SG_EEES9_SI_JZNS1_25segmented_radix_sort_implINS0_14default_configELb0EPKaPaPKlPlN2at6native12_GLOBAL__N_18offset_tEEE10hipError_tPvRmT1_PNSt15iterator_traitsIS12_E10value_typeET2_T3_PNS13_IS18_E10value_typeET4_jRbjT5_S1E_jjP12ihipStream_tbEUljE_ZNSN_ISO_Lb0ESQ_SR_ST_SU_SY_EESZ_S10_S11_S12_S16_S17_S18_S1B_S1C_jS1D_jS1E_S1E_jjS1G_bEUljE0_EEESZ_S10_S11_S18_S1C_S1E_T6_T7_T9_mT8_S1G_bDpT10_ENKUlT_T0_E_clISt17integral_constantIbLb1EES1U_EEDaS1P_S1Q_EUlS1P_E_NS1_11comp_targetILNS1_3genE4ELNS1_11target_archE910ELNS1_3gpuE8ELNS1_3repE0EEENS1_30default_config_static_selectorELNS0_4arch9wavefront6targetE1EEEvS12_
; %bb.0:
	s_load_dwordx2 s[48:49], s[4:5], 0x10
	s_load_dwordx4 s[44:47], s[4:5], 0x28
	s_load_dwordx2 s[34:35], s[4:5], 0x38
	s_load_dwordx4 s[28:31], s[4:5], 0x58
	s_load_dwordx2 s[2:3], s[4:5], 0x68
	s_load_dwordx2 s[50:51], s[4:5], 0x78
	;; [unrolled: 1-line block ×3, first 2 shown]
	s_load_dwordx8 s[36:43], s[4:5], 0x90
	v_cmp_eq_u32_e64 s[0:1], 0, v0
	s_and_saveexec_b64 s[6:7], s[0:1]
	s_cbranch_execz .LBB339_4
; %bb.1:
	s_mov_b64 s[10:11], exec
	v_mbcnt_lo_u32_b32 v1, s10, 0
	v_mbcnt_hi_u32_b32 v1, s11, v1
	v_cmp_eq_u32_e32 vcc, 0, v1
                                        ; implicit-def: $vgpr2
	s_and_saveexec_b64 s[8:9], vcc
	s_cbranch_execz .LBB339_3
; %bb.2:
	s_load_dwordx2 s[12:13], s[4:5], 0x88
	s_bcnt1_i32_b64 s10, s[10:11]
	v_mov_b32_e32 v2, 0
	v_mov_b32_e32 v3, s10
	s_waitcnt lgkmcnt(0)
	global_atomic_add v2, v2, v3, s[12:13] glc
.LBB339_3:
	s_or_b64 exec, exec, s[8:9]
	s_waitcnt vmcnt(0)
	v_readfirstlane_b32 s8, v2
	v_add_u32_e32 v1, s8, v1
	v_mov_b32_e32 v2, 0
	ds_write_b32 v2, v1
.LBB339_4:
	s_or_b64 exec, exec, s[6:7]
	v_mov_b32_e32 v1, 0
	s_load_dword s7, s[4:5], 0x8
	s_load_dword s6, s[4:5], 0x80
	s_waitcnt lgkmcnt(0)
	s_barrier
	ds_read_b32 v8, v1
	s_waitcnt lgkmcnt(0)
	s_barrier
	global_load_dwordx4 v[2:5], v1, s[30:31]
	v_mov_b32_e32 v7, s3
	s_movk_i32 s3, 0xd00
	s_add_i32 s8, s7, s48
	v_mul_lo_u32 v34, v8, s3
	s_add_i32 s7, s6, -1
	s_mul_i32 s3, s6, 0xd00
	s_add_u32 s4, s48, s3
	v_readfirstlane_b32 s33, v8
	s_addc_u32 s5, s49, 0
	s_cmp_eq_u32 s33, s7
	v_mov_b32_e32 v6, s2
	s_cselect_b64 s[30:31], -1, 0
	s_cmp_lg_u32 s33, s7
	v_cmp_lt_u64_e32 vcc, s[4:5], v[6:7]
	s_cselect_b64 s[4:5], -1, 0
	s_or_b64 s[4:5], vcc, s[4:5]
	v_add_u32_e32 v1, s8, v34
	s_mov_b64 s[6:7], -1
	s_and_b64 vcc, exec, s[4:5]
	v_add_u32_e32 v1, v1, v0
	s_cbranch_vccz .LBB339_6
; %bb.5:
	v_add_u32_e32 v6, 0x100, v1
	v_lshlrev_b32_e32 v18, 2, v0
	v_add_u32_e32 v7, 0x200, v1
	v_add_u32_e32 v8, 0x300, v1
	;; [unrolled: 1-line block ×11, first 2 shown]
	ds_write2st64_b32 v18, v1, v6 offset1:4
	ds_write2st64_b32 v18, v7, v8 offset0:8 offset1:12
	ds_write2st64_b32 v18, v9, v10 offset0:16 offset1:20
	;; [unrolled: 1-line block ×5, first 2 shown]
	ds_write_b32 v18, v17 offset:12288
	s_waitcnt lgkmcnt(0)
	s_barrier
	s_mov_b64 s[6:7], 0
.LBB339_6:
	s_andn2_b64 vcc, exec, s[6:7]
	s_add_i32 s3, s3, s48
	s_cbranch_vccnz .LBB339_8
; %bb.7:
	v_add_u32_e32 v6, 0x100, v1
	v_lshlrev_b32_e32 v18, 2, v0
	v_add_u32_e32 v7, 0x200, v1
	v_add_u32_e32 v8, 0x300, v1
	;; [unrolled: 1-line block ×11, first 2 shown]
	ds_write2st64_b32 v18, v1, v6 offset1:4
	ds_write2st64_b32 v18, v7, v8 offset0:8 offset1:12
	ds_write2st64_b32 v18, v9, v10 offset0:16 offset1:20
	ds_write2st64_b32 v18, v11, v12 offset0:24 offset1:28
	ds_write2st64_b32 v18, v13, v14 offset0:32 offset1:36
	ds_write2st64_b32 v18, v15, v16 offset0:40 offset1:44
	ds_write_b32 v18, v17 offset:12288
	s_waitcnt lgkmcnt(0)
	s_barrier
.LBB339_8:
	v_mul_u32_u24_e32 v36, 13, v0
	v_lshlrev_b32_e32 v1, 2, v36
	ds_read2_b32 v[22:23], v1 offset1:1
	ds_read2_b32 v[20:21], v1 offset0:2 offset1:3
	ds_read2_b32 v[18:19], v1 offset0:4 offset1:5
	;; [unrolled: 1-line block ×5, first 2 shown]
	ds_read_b32 v35, v1 offset:48
	v_cndmask_b32_e64 v1, 0, 1, s[4:5]
	s_sub_i32 s86, s2, s3
	v_cmp_ne_u32_e64 s[2:3], 1, v1
	s_andn2_b64 vcc, exec, s[4:5]
	s_waitcnt lgkmcnt(0)
	s_barrier
	s_cbranch_vccnz .LBB339_36
; %bb.9:
	v_add_u32_e32 v1, s37, v22
	v_add_u32_e32 v6, s39, v22
	v_mul_lo_u32 v1, v1, s36
	v_mul_lo_u32 v6, v6, s38
	v_sub_u32_e32 v1, v1, v6
	v_cmp_lt_u32_e32 vcc, s40, v1
	v_cmp_ge_u32_e64 s[4:5], s40, v1
	s_mov_b64 s[60:61], 0
	s_mov_b64 s[58:59], 0
	s_and_saveexec_b64 s[6:7], s[4:5]
; %bb.10:
	v_add_u32_e32 v1, s42, v22
	v_add_u32_e32 v6, s56, v22
	v_mul_lo_u32 v1, v1, s41
	v_mul_lo_u32 v6, v6, s43
	v_sub_u32_e32 v1, v1, v6
	v_cmp_lt_u32_e64 s[4:5], s57, v1
	s_and_b64 s[58:59], s[4:5], exec
; %bb.11:
	s_or_b64 exec, exec, s[6:7]
	v_add_u32_e32 v1, s37, v23
	v_add_u32_e32 v6, s39, v23
	v_mul_lo_u32 v1, v1, s36
	v_mul_lo_u32 v6, v6, s38
	v_sub_u32_e32 v1, v1, v6
	v_cmp_lt_u32_e64 s[4:5], s40, v1
	v_cmp_ge_u32_e64 s[6:7], s40, v1
	s_and_saveexec_b64 s[8:9], s[6:7]
; %bb.12:
	v_add_u32_e32 v1, s42, v23
	v_add_u32_e32 v6, s56, v23
	v_mul_lo_u32 v1, v1, s41
	v_mul_lo_u32 v6, v6, s43
	v_sub_u32_e32 v1, v1, v6
	v_cmp_lt_u32_e64 s[6:7], s57, v1
	s_and_b64 s[60:61], s[6:7], exec
; %bb.13:
	s_or_b64 exec, exec, s[8:9]
	v_add_u32_e32 v1, s37, v20
	v_add_u32_e32 v6, s39, v20
	v_mul_lo_u32 v1, v1, s36
	v_mul_lo_u32 v6, v6, s38
	v_sub_u32_e32 v1, v1, v6
	v_cmp_lt_u32_e64 s[6:7], s40, v1
	v_cmp_ge_u32_e64 s[8:9], s40, v1
	s_mov_b64 s[64:65], 0
	s_mov_b64 s[62:63], 0
	s_and_saveexec_b64 s[10:11], s[8:9]
; %bb.14:
	v_add_u32_e32 v1, s42, v20
	v_add_u32_e32 v6, s56, v20
	v_mul_lo_u32 v1, v1, s41
	v_mul_lo_u32 v6, v6, s43
	v_sub_u32_e32 v1, v1, v6
	v_cmp_lt_u32_e64 s[8:9], s57, v1
	s_and_b64 s[62:63], s[8:9], exec
; %bb.15:
	s_or_b64 exec, exec, s[10:11]
	v_add_u32_e32 v1, s37, v21
	v_add_u32_e32 v6, s39, v21
	v_mul_lo_u32 v1, v1, s36
	v_mul_lo_u32 v6, v6, s38
	v_sub_u32_e32 v1, v1, v6
	v_cmp_lt_u32_e64 s[8:9], s40, v1
	v_cmp_ge_u32_e64 s[10:11], s40, v1
	s_and_saveexec_b64 s[12:13], s[10:11]
; %bb.16:
	v_add_u32_e32 v1, s42, v21
	v_add_u32_e32 v6, s56, v21
	v_mul_lo_u32 v1, v1, s41
	v_mul_lo_u32 v6, v6, s43
	v_sub_u32_e32 v1, v1, v6
	v_cmp_lt_u32_e64 s[10:11], s57, v1
	s_and_b64 s[64:65], s[10:11], exec
; %bb.17:
	s_or_b64 exec, exec, s[12:13]
	v_add_u32_e32 v1, s37, v18
	v_add_u32_e32 v6, s39, v18
	v_mul_lo_u32 v1, v1, s36
	v_mul_lo_u32 v6, v6, s38
	v_sub_u32_e32 v1, v1, v6
	v_cmp_lt_u32_e64 s[10:11], s40, v1
	;; [unrolled: 38-line block ×5, first 2 shown]
	v_cmp_ge_u32_e64 s[24:25], s40, v1
	s_mov_b64 s[80:81], 0
	s_mov_b64 s[82:83], 0
	s_and_saveexec_b64 s[26:27], s[24:25]
; %bb.30:
	v_add_u32_e32 v1, s42, v12
	v_add_u32_e32 v6, s56, v12
	v_mul_lo_u32 v1, v1, s41
	v_mul_lo_u32 v6, v6, s43
	v_sub_u32_e32 v1, v1, v6
	v_cmp_lt_u32_e64 s[24:25], s57, v1
	s_and_b64 s[82:83], s[24:25], exec
; %bb.31:
	s_or_b64 exec, exec, s[26:27]
	v_add_u32_e32 v1, s37, v13
	v_add_u32_e32 v6, s39, v13
	v_mul_lo_u32 v1, v1, s36
	v_mul_lo_u32 v6, v6, s38
	v_sub_u32_e32 v1, v1, v6
	v_cmp_lt_u32_e64 s[24:25], s40, v1
	v_cmp_ge_u32_e64 s[26:27], s40, v1
	s_and_saveexec_b64 s[52:53], s[26:27]
; %bb.32:
	v_add_u32_e32 v1, s42, v13
	v_add_u32_e32 v6, s56, v13
	v_mul_lo_u32 v1, v1, s41
	v_mul_lo_u32 v6, v6, s43
	v_sub_u32_e32 v1, v1, v6
	v_cmp_lt_u32_e64 s[26:27], s57, v1
	s_and_b64 s[80:81], s[26:27], exec
; %bb.33:
	s_or_b64 exec, exec, s[52:53]
	v_add_u32_e32 v1, s37, v35
	v_add_u32_e32 v6, s39, v35
	v_mul_lo_u32 v1, v1, s36
	v_mul_lo_u32 v6, v6, s38
	v_sub_u32_e32 v1, v1, v6
	v_cmp_ge_u32_e64 s[26:27], s40, v1
	s_mov_b64 s[52:53], -1
	s_mov_b64 s[74:75], 0
	s_mov_b64 s[54:55], 0
	s_and_saveexec_b64 s[84:85], s[26:27]
; %bb.34:
	v_add_u32_e32 v1, s42, v35
	v_add_u32_e32 v6, s56, v35
	v_mul_lo_u32 v1, v1, s41
	v_mul_lo_u32 v6, v6, s43
	v_sub_u32_e32 v1, v1, v6
	v_cmp_lt_u32_e64 s[26:27], s57, v1
	s_and_b64 s[54:55], s[26:27], exec
	s_xor_b64 s[52:53], exec, -1
; %bb.35:
	s_or_b64 exec, exec, s[84:85]
	v_cndmask_b32_e64 v57, 0, 1, s[82:83]
	v_cndmask_b32_e64 v60, 0, 1, s[24:25]
	;; [unrolled: 1-line block ×22, first 2 shown]
	v_cndmask_b32_e64 v37, 0, 1, vcc
	v_cndmask_b32_e64 v59, 0, 1, s[80:81]
	s_add_i32 s16, s86, 0xd00
	s_and_b64 vcc, exec, s[74:75]
	s_cbranch_vccnz .LBB339_37
	s_branch .LBB339_90
.LBB339_36:
                                        ; implicit-def: $sgpr52_sgpr53
                                        ; implicit-def: $sgpr54_sgpr55
                                        ; implicit-def: $vgpr59
                                        ; implicit-def: $vgpr57
                                        ; implicit-def: $vgpr55
                                        ; implicit-def: $vgpr53
                                        ; implicit-def: $vgpr51
                                        ; implicit-def: $vgpr49
                                        ; implicit-def: $vgpr47
                                        ; implicit-def: $vgpr45
                                        ; implicit-def: $vgpr43
                                        ; implicit-def: $vgpr37
                                        ; implicit-def: $vgpr39
                                        ; implicit-def: $vgpr41
                                        ; implicit-def: $vgpr44
                                        ; implicit-def: $vgpr46
                                        ; implicit-def: $vgpr48
                                        ; implicit-def: $vgpr50
                                        ; implicit-def: $vgpr52
                                        ; implicit-def: $vgpr54
                                        ; implicit-def: $vgpr56
                                        ; implicit-def: $vgpr58
                                        ; implicit-def: $vgpr60
                                        ; implicit-def: $vgpr38
                                        ; implicit-def: $vgpr40
                                        ; implicit-def: $vgpr42
	s_add_i32 s16, s86, 0xd00
	s_cbranch_execz .LBB339_90
.LBB339_37:
	v_cmp_gt_u32_e32 vcc, s16, v36
	v_mov_b32_e32 v38, 0
	v_mov_b32_e32 v37, 0
	s_and_saveexec_b64 s[6:7], vcc
	s_cbranch_execz .LBB339_41
; %bb.38:
	v_add_u32_e32 v1, s37, v22
	v_add_u32_e32 v6, s39, v22
	v_mul_lo_u32 v1, v1, s36
	v_mul_lo_u32 v6, v6, s38
	v_sub_u32_e32 v1, v1, v6
	v_cmp_lt_u32_e32 vcc, s40, v1
	v_cmp_ge_u32_e64 s[4:5], s40, v1
	s_mov_b64 s[10:11], 0
	s_and_saveexec_b64 s[8:9], s[4:5]
; %bb.39:
	v_add_u32_e32 v1, s42, v22
	v_add_u32_e32 v6, s56, v22
	v_mul_lo_u32 v1, v1, s41
	v_mul_lo_u32 v6, v6, s43
	v_sub_u32_e32 v1, v1, v6
	v_cmp_lt_u32_e64 s[4:5], s57, v1
	s_and_b64 s[10:11], s[4:5], exec
; %bb.40:
	s_or_b64 exec, exec, s[8:9]
	v_cndmask_b32_e64 v37, 0, 1, vcc
	v_cndmask_b32_e64 v38, 0, 1, s[10:11]
.LBB339_41:
	s_or_b64 exec, exec, s[6:7]
	v_add_u32_e32 v1, 1, v36
	v_cmp_gt_u32_e32 vcc, s16, v1
	v_mov_b32_e32 v39, 0
	v_mov_b32_e32 v40, 0
	s_and_saveexec_b64 s[6:7], vcc
	s_cbranch_execz .LBB339_45
; %bb.42:
	v_add_u32_e32 v1, s37, v23
	v_add_u32_e32 v6, s39, v23
	v_mul_lo_u32 v1, v1, s36
	v_mul_lo_u32 v6, v6, s38
	v_sub_u32_e32 v1, v1, v6
	v_cmp_lt_u32_e32 vcc, s40, v1
	v_cmp_ge_u32_e64 s[4:5], s40, v1
	s_mov_b64 s[10:11], 0
	s_and_saveexec_b64 s[8:9], s[4:5]
; %bb.43:
	v_add_u32_e32 v1, s42, v23
	v_add_u32_e32 v6, s56, v23
	v_mul_lo_u32 v1, v1, s41
	v_mul_lo_u32 v6, v6, s43
	v_sub_u32_e32 v1, v1, v6
	v_cmp_lt_u32_e64 s[4:5], s57, v1
	s_and_b64 s[10:11], s[4:5], exec
; %bb.44:
	s_or_b64 exec, exec, s[8:9]
	v_cndmask_b32_e64 v39, 0, 1, vcc
	v_cndmask_b32_e64 v40, 0, 1, s[10:11]
.LBB339_45:
	s_or_b64 exec, exec, s[6:7]
	v_add_u32_e32 v1, 2, v36
	;; [unrolled: 30-line block ×12, first 2 shown]
	v_cmp_gt_u32_e32 vcc, s16, v1
	s_mov_b64 s[52:53], 0
	s_mov_b64 s[54:55], 0
	s_and_saveexec_b64 s[4:5], vcc
	s_cbranch_execz .LBB339_89
; %bb.86:
	v_add_u32_e32 v1, s37, v35
	v_add_u32_e32 v6, s39, v35
	v_mul_lo_u32 v1, v1, s36
	v_mul_lo_u32 v6, v6, s38
	v_sub_u32_e32 v1, v1, v6
	v_cmp_ge_u32_e32 vcc, s40, v1
	s_mov_b64 s[8:9], -1
	s_mov_b64 s[10:11], 0
	s_and_saveexec_b64 s[6:7], vcc
; %bb.87:
	v_add_u32_e32 v1, s42, v35
	v_add_u32_e32 v6, s56, v35
	v_mul_lo_u32 v1, v1, s41
	v_mul_lo_u32 v6, v6, s43
	v_sub_u32_e32 v1, v1, v6
	v_cmp_lt_u32_e32 vcc, s57, v1
	s_and_b64 s[10:11], vcc, exec
	s_xor_b64 s[8:9], exec, -1
; %bb.88:
	s_or_b64 exec, exec, s[6:7]
	s_and_b64 s[54:55], s[10:11], exec
	s_and_b64 s[52:53], s[8:9], exec
.LBB339_89:
	s_or_b64 exec, exec, s[4:5]
.LBB339_90:
	v_and_b32_e32 v68, 0xff, v38
	v_and_b32_e32 v79, 0xff, v40
	;; [unrolled: 1-line block ×5, first 2 shown]
	v_add3_u32 v6, v79, v70, v68
	v_and_b32_e32 v81, 0xff, v47
	v_and_b32_e32 v74, 0xff, v49
	v_add3_u32 v6, v6, v80, v72
	v_and_b32_e32 v67, 0xff, v37
	v_and_b32_e32 v61, 0xff, v39
	;; [unrolled: 1-line block ×5, first 2 shown]
	v_add3_u32 v6, v6, v81, v74
	v_and_b32_e32 v62, 0xff, v44
	v_and_b32_e32 v71, 0xff, v46
	;; [unrolled: 1-line block ×4, first 2 shown]
	v_add3_u32 v7, v61, v69, v67
	v_add3_u32 v6, v6, v82, v76
	v_and_b32_e32 v63, 0xff, v48
	v_and_b32_e32 v73, 0xff, v50
	;; [unrolled: 1-line block ×3, first 2 shown]
	v_cndmask_b32_e64 v1, 0, 1, s[54:55]
	v_add3_u32 v7, v7, v62, v71
	v_add3_u32 v6, v6, v83, v78
	v_and_b32_e32 v64, 0xff, v52
	v_and_b32_e32 v75, 0xff, v54
	v_add3_u32 v7, v7, v63, v73
	v_add3_u32 v91, v6, v84, v1
	v_mbcnt_lo_u32_b32 v1, -1, 0
	v_and_b32_e32 v65, 0xff, v56
	v_and_b32_e32 v77, 0xff, v58
	v_add3_u32 v7, v7, v64, v75
	v_mbcnt_hi_u32_b32 v85, -1, v1
	v_and_b32_e32 v66, 0xff, v60
	v_add3_u32 v7, v7, v65, v77
	v_cndmask_b32_e64 v8, 0, 1, s[52:53]
	v_and_b32_e32 v89, 15, v85
	s_cmp_lg_u32 s33, 0
	v_add3_u32 v90, v7, v66, v8
	v_cmp_eq_u32_e64 s[6:7], 0, v89
	v_cmp_lt_u32_e64 s[4:5], 1, v89
	v_cmp_lt_u32_e64 s[10:11], 3, v89
	;; [unrolled: 1-line block ×3, first 2 shown]
	v_and_b32_e32 v88, 16, v85
	v_cmp_lt_u32_e32 vcc, 31, v85
	v_lshrrev_b32_e32 v86, 6, v0
	v_or_b32_e32 v87, 63, v0
	s_cbranch_scc0 .LBB339_123
; %bb.91:
	v_mov_b32_dpp v1, v90 row_shr:1 row_mask:0xf bank_mask:0xf
	v_mov_b32_dpp v6, v91 row_shr:1 row_mask:0xf bank_mask:0xf
	v_add_u32_e32 v1, v1, v90
	v_add_u32_e32 v6, v6, v91
	v_cndmask_b32_e64 v6, v6, v91, s[6:7]
	v_cndmask_b32_e64 v1, v1, v90, s[6:7]
	s_nop 0
	v_mov_b32_dpp v8, v6 row_shr:2 row_mask:0xf bank_mask:0xf
	v_mov_b32_dpp v7, v1 row_shr:2 row_mask:0xf bank_mask:0xf
	v_add_u32_e32 v7, v1, v7
	v_add_u32_e32 v8, v6, v8
	v_cndmask_b32_e64 v6, v6, v8, s[4:5]
	v_cndmask_b32_e64 v1, v1, v7, s[4:5]
	s_nop 0
	;; [unrolled: 7-line block ×3, first 2 shown]
	v_mov_b32_dpp v8, v6 row_shr:8 row_mask:0xf bank_mask:0xf
	v_mov_b32_dpp v7, v1 row_shr:8 row_mask:0xf bank_mask:0xf
	v_add_u32_e32 v7, v1, v7
	v_add_u32_e32 v8, v6, v8
	v_cndmask_b32_e64 v6, v6, v8, s[8:9]
	v_cndmask_b32_e64 v1, v1, v7, s[8:9]
	v_cmp_eq_u32_e64 s[8:9], 0, v88
	v_mov_b32_dpp v8, v6 row_bcast:15 row_mask:0xf bank_mask:0xf
	v_mov_b32_dpp v7, v1 row_bcast:15 row_mask:0xf bank_mask:0xf
	v_add_u32_e32 v7, v1, v7
	v_add_u32_e32 v8, v6, v8
	v_cndmask_b32_e64 v6, v8, v6, s[8:9]
	v_cndmask_b32_e64 v1, v7, v1, s[8:9]
	s_nop 0
	v_mov_b32_dpp v8, v6 row_bcast:31 row_mask:0xf bank_mask:0xf
	v_mov_b32_dpp v7, v1 row_bcast:31 row_mask:0xf bank_mask:0xf
	v_add_u32_e32 v8, v6, v8
	v_add_u32_e32 v9, v1, v7
	v_cndmask_b32_e32 v7, v6, v8, vcc
	v_cndmask_b32_e32 v6, v1, v9, vcc
	v_cmp_eq_u32_e32 vcc, v87, v0
	s_and_saveexec_b64 s[8:9], vcc
	s_cbranch_execz .LBB339_93
; %bb.92:
	v_lshlrev_b32_e32 v1, 3, v86
	ds_write_b64 v1, v[6:7]
.LBB339_93:
	s_or_b64 exec, exec, s[8:9]
	v_cmp_gt_u32_e32 vcc, 4, v0
	s_waitcnt lgkmcnt(0)
	s_barrier
	s_and_saveexec_b64 s[8:9], vcc
	s_cbranch_execz .LBB339_95
; %bb.94:
	v_lshlrev_b32_e32 v1, 3, v0
	ds_read_b64 v[8:9], v1
	v_and_b32_e32 v10, 3, v85
	v_cmp_eq_u32_e32 vcc, 0, v10
	s_waitcnt lgkmcnt(0)
	v_mov_b32_dpp v11, v8 row_shr:1 row_mask:0xf bank_mask:0xf
	v_mov_b32_dpp v24, v9 row_shr:1 row_mask:0xf bank_mask:0xf
	v_add_u32_e32 v11, v11, v8
	v_add_u32_e32 v24, v24, v9
	v_cndmask_b32_e32 v9, v24, v9, vcc
	v_cndmask_b32_e32 v8, v11, v8, vcc
	v_cmp_lt_u32_e32 vcc, 1, v10
	v_mov_b32_dpp v24, v9 row_shr:2 row_mask:0xf bank_mask:0xf
	v_mov_b32_dpp v11, v8 row_shr:2 row_mask:0xf bank_mask:0xf
	v_cndmask_b32_e32 v10, 0, v11, vcc
	v_cndmask_b32_e32 v11, 0, v24, vcc
	v_add_u32_e32 v9, v11, v9
	v_add_u32_e32 v8, v10, v8
	ds_write_b64 v1, v[8:9]
.LBB339_95:
	s_or_b64 exec, exec, s[8:9]
	v_cmp_gt_u32_e32 vcc, 64, v0
	v_cmp_lt_u32_e64 s[8:9], 63, v0
	s_waitcnt lgkmcnt(0)
	s_barrier
	s_waitcnt lgkmcnt(0)
                                        ; implicit-def: $vgpr25
	s_and_saveexec_b64 s[10:11], s[8:9]
	s_xor_b64 s[8:9], exec, s[10:11]
	s_cbranch_execz .LBB339_97
; %bb.96:
	v_lshl_add_u32 v1, v86, 3, -8
	ds_read_b64 v[24:25], v1
	s_waitcnt lgkmcnt(0)
	v_add_u32_e32 v7, v25, v7
	v_add_u32_e32 v6, v24, v6
.LBB339_97:
	s_andn2_saveexec_b64 s[8:9], s[8:9]
; %bb.98:
                                        ; implicit-def: $vgpr24
; %bb.99:
	s_or_b64 exec, exec, s[8:9]
	v_add_u32_e32 v1, -1, v85
	v_and_b32_e32 v8, 64, v85
	v_cmp_lt_i32_e64 s[8:9], v1, v8
	v_cndmask_b32_e64 v1, v1, v85, s[8:9]
	v_lshlrev_b32_e32 v8, 2, v1
	ds_bpermute_b32 v1, v8, v6
	ds_bpermute_b32 v92, v8, v7
	v_cmp_eq_u32_e64 s[8:9], 0, v85
	s_and_saveexec_b64 s[10:11], vcc
	s_cbranch_execz .LBB339_122
; %bb.100:
	v_mov_b32_e32 v11, 0
	ds_read_b64 v[26:27], v11 offset:24
	s_and_saveexec_b64 s[12:13], s[8:9]
	s_cbranch_execz .LBB339_102
; %bb.101:
	s_add_i32 s14, s33, 64
	s_mov_b32 s15, 0
	s_lshl_b64 s[14:15], s[14:15], 4
	s_waitcnt lgkmcnt(0)
	v_and_b32_e32 v6, 0xff000000, v27
	v_and_b32_e32 v7, 0xff0000, v27
	s_add_u32 s14, s50, s14
	v_or_b32_e32 v6, v7, v6
	v_and_b32_e32 v7, 0xff00, v27
	s_addc_u32 s15, s51, s15
	v_or_b32_e32 v6, v6, v7
	v_or_b32_sdwa v9, v6, v27 dst_sel:DWORD dst_unused:UNUSED_PAD src0_sel:DWORD src1_sel:BYTE_0
	v_mov_b32_e32 v10, 1
	v_mov_b32_e32 v8, v26
	v_pk_mov_b32 v[6:7], s[14:15], s[14:15] op_sel:[0,1]
	;;#ASMSTART
	global_store_dwordx4 v[6:7], v[8:11] off	
s_waitcnt vmcnt(0)
	;;#ASMEND
.LBB339_102:
	s_or_b64 exec, exec, s[12:13]
	v_xad_u32 v28, v85, -1, s33
	v_add_u32_e32 v10, 64, v28
	v_lshlrev_b64 v[6:7], 4, v[10:11]
	v_mov_b32_e32 v8, s51
	v_add_co_u32_e32 v30, vcc, s50, v6
	v_addc_co_u32_e32 v31, vcc, v8, v7, vcc
	;;#ASMSTART
	global_load_dwordx4 v[6:9], v[30:31] off glc	
s_waitcnt vmcnt(0)
	;;#ASMEND
	v_and_b32_e32 v9, 0xff, v7
	v_and_b32_e32 v10, 0xff00, v7
	v_or3_b32 v9, 0, v9, v10
	v_or3_b32 v6, v6, 0, 0
	v_and_b32_e32 v10, 0xff000000, v7
	v_and_b32_e32 v7, 0xff0000, v7
	v_or3_b32 v7, v9, v7, v10
	v_or3_b32 v6, v6, 0, 0
	v_cmp_eq_u16_sdwa s[14:15], v8, v11 src0_sel:BYTE_0 src1_sel:DWORD
	s_and_saveexec_b64 s[12:13], s[14:15]
	s_cbranch_execz .LBB339_108
; %bb.103:
	s_mov_b32 s17, 1
	s_mov_b64 s[14:15], 0
	v_mov_b32_e32 v10, 0
.LBB339_104:                            ; =>This Loop Header: Depth=1
                                        ;     Child Loop BB339_105 Depth 2
	s_max_u32 s18, s17, 1
.LBB339_105:                            ;   Parent Loop BB339_104 Depth=1
                                        ; =>  This Inner Loop Header: Depth=2
	s_add_i32 s18, s18, -1
	s_cmp_eq_u32 s18, 0
	s_sleep 1
	s_cbranch_scc0 .LBB339_105
; %bb.106:                              ;   in Loop: Header=BB339_104 Depth=1
	s_cmp_lt_u32 s17, 32
	s_cselect_b64 s[18:19], -1, 0
	s_cmp_lg_u64 s[18:19], 0
	s_addc_u32 s17, s17, 0
	;;#ASMSTART
	global_load_dwordx4 v[6:9], v[30:31] off glc	
s_waitcnt vmcnt(0)
	;;#ASMEND
	v_cmp_ne_u16_sdwa s[18:19], v8, v10 src0_sel:BYTE_0 src1_sel:DWORD
	s_or_b64 s[14:15], s[18:19], s[14:15]
	s_andn2_b64 exec, exec, s[14:15]
	s_cbranch_execnz .LBB339_104
; %bb.107:
	s_or_b64 exec, exec, s[14:15]
.LBB339_108:
	s_or_b64 exec, exec, s[12:13]
	v_and_b32_e32 v94, 63, v85
	v_cmp_ne_u32_e32 vcc, 63, v94
	v_mov_b32_e32 v93, 2
	v_addc_co_u32_e32 v30, vcc, 0, v85, vcc
	v_cmp_eq_u16_sdwa s[12:13], v8, v93 src0_sel:BYTE_0 src1_sel:DWORD
	v_lshlrev_b64 v[10:11], v85, -1
	v_lshlrev_b32_e32 v95, 2, v30
	v_and_b32_e32 v9, s13, v11
	ds_bpermute_b32 v30, v95, v6
	ds_bpermute_b32 v31, v95, v7
	v_or_b32_e32 v9, 0x80000000, v9
	v_and_b32_e32 v29, s12, v10
	v_ffbl_b32_e32 v9, v9
	v_add_u32_e32 v9, 32, v9
	v_ffbl_b32_e32 v29, v29
	v_min_u32_e32 v9, v29, v9
	s_waitcnt lgkmcnt(1)
	v_add_u32_e32 v29, v30, v6
	s_waitcnt lgkmcnt(0)
	v_add_u32_e32 v30, v31, v7
	v_cmp_lt_u32_e32 vcc, v94, v9
	v_cndmask_b32_e32 v7, v7, v30, vcc
	v_cndmask_b32_e32 v6, v6, v29, vcc
	v_cmp_gt_u32_e32 vcc, 62, v94
	v_cndmask_b32_e64 v29, 0, 1, vcc
	v_lshlrev_b32_e32 v29, 1, v29
	v_add_lshl_u32 v96, v29, v85, 2
	ds_bpermute_b32 v29, v96, v6
	ds_bpermute_b32 v30, v96, v7
	v_add_u32_e32 v97, 2, v94
	v_cmp_gt_u32_e32 vcc, v97, v9
	v_add_u32_e32 v99, 4, v94
	s_waitcnt lgkmcnt(1)
	v_add_u32_e32 v29, v6, v29
	s_waitcnt lgkmcnt(0)
	v_add_u32_e32 v30, v7, v30
	v_cndmask_b32_e32 v7, v30, v7, vcc
	v_cndmask_b32_e32 v6, v29, v6, vcc
	v_cmp_gt_u32_e32 vcc, 60, v94
	v_cndmask_b32_e64 v29, 0, 1, vcc
	v_lshlrev_b32_e32 v29, 2, v29
	v_add_lshl_u32 v98, v29, v85, 2
	ds_bpermute_b32 v29, v98, v6
	ds_bpermute_b32 v30, v98, v7
	v_cmp_gt_u32_e32 vcc, v99, v9
	v_add_u32_e32 v101, 8, v94
	v_add_u32_e32 v103, 16, v94
	s_waitcnt lgkmcnt(1)
	v_add_u32_e32 v29, v6, v29
	s_waitcnt lgkmcnt(0)
	v_add_u32_e32 v30, v7, v30
	v_cndmask_b32_e32 v7, v30, v7, vcc
	v_cndmask_b32_e32 v6, v29, v6, vcc
	v_cmp_gt_u32_e32 vcc, 56, v94
	v_cndmask_b32_e64 v29, 0, 1, vcc
	v_lshlrev_b32_e32 v29, 3, v29
	v_add_lshl_u32 v100, v29, v85, 2
	ds_bpermute_b32 v29, v100, v6
	ds_bpermute_b32 v30, v100, v7
	v_cmp_gt_u32_e32 vcc, v101, v9
	v_add_u32_e32 v105, 32, v94
	s_waitcnt lgkmcnt(1)
	v_add_u32_e32 v29, v6, v29
	s_waitcnt lgkmcnt(0)
	v_add_u32_e32 v30, v7, v30
	v_cndmask_b32_e32 v7, v30, v7, vcc
	v_cndmask_b32_e32 v6, v29, v6, vcc
	v_cmp_gt_u32_e32 vcc, 48, v94
	v_cndmask_b32_e64 v29, 0, 1, vcc
	v_lshlrev_b32_e32 v29, 4, v29
	v_add_lshl_u32 v102, v29, v85, 2
	ds_bpermute_b32 v29, v102, v6
	ds_bpermute_b32 v30, v102, v7
	v_cmp_gt_u32_e32 vcc, v103, v9
	s_waitcnt lgkmcnt(1)
	v_add_u32_e32 v29, v6, v29
	s_waitcnt lgkmcnt(0)
	v_add_u32_e32 v30, v7, v30
	v_cndmask_b32_e32 v7, v30, v7, vcc
	v_cndmask_b32_e32 v6, v29, v6, vcc
	v_cmp_gt_u32_e32 vcc, 32, v94
	v_cndmask_b32_e64 v29, 0, 1, vcc
	v_lshlrev_b32_e32 v29, 5, v29
	v_add_lshl_u32 v104, v29, v85, 2
	ds_bpermute_b32 v29, v104, v6
	ds_bpermute_b32 v30, v104, v7
	v_cmp_le_u32_e32 vcc, v105, v9
	s_waitcnt lgkmcnt(1)
	v_cndmask_b32_e32 v9, 0, v29, vcc
	s_waitcnt lgkmcnt(0)
	v_cndmask_b32_e32 v29, 0, v30, vcc
	v_add_u32_e32 v7, v7, v29
	v_add_u32_e32 v6, v6, v9
	v_mov_b32_e32 v29, 0
	s_branch .LBB339_110
.LBB339_109:                            ;   in Loop: Header=BB339_110 Depth=1
	s_or_b64 exec, exec, s[12:13]
	v_cmp_eq_u16_sdwa s[12:13], v8, v93 src0_sel:BYTE_0 src1_sel:DWORD
	v_and_b32_e32 v9, s13, v11
	ds_bpermute_b32 v33, v95, v6
	ds_bpermute_b32 v106, v95, v7
	v_or_b32_e32 v9, 0x80000000, v9
	v_and_b32_e32 v32, s12, v10
	v_ffbl_b32_e32 v9, v9
	v_add_u32_e32 v9, 32, v9
	v_ffbl_b32_e32 v32, v32
	v_min_u32_e32 v9, v32, v9
	s_waitcnt lgkmcnt(1)
	v_add_u32_e32 v32, v33, v6
	s_waitcnt lgkmcnt(0)
	v_add_u32_e32 v33, v106, v7
	v_cmp_lt_u32_e32 vcc, v94, v9
	v_cndmask_b32_e32 v7, v7, v33, vcc
	v_cndmask_b32_e32 v6, v6, v32, vcc
	ds_bpermute_b32 v32, v96, v6
	ds_bpermute_b32 v33, v96, v7
	v_cmp_gt_u32_e32 vcc, v97, v9
	v_subrev_u32_e32 v28, 64, v28
	s_waitcnt lgkmcnt(1)
	v_add_u32_e32 v32, v6, v32
	s_waitcnt lgkmcnt(0)
	v_add_u32_e32 v33, v7, v33
	v_cndmask_b32_e32 v7, v33, v7, vcc
	v_cndmask_b32_e32 v6, v32, v6, vcc
	ds_bpermute_b32 v32, v98, v6
	ds_bpermute_b32 v33, v98, v7
	v_cmp_gt_u32_e32 vcc, v99, v9
	s_waitcnt lgkmcnt(1)
	v_add_u32_e32 v32, v6, v32
	s_waitcnt lgkmcnt(0)
	v_add_u32_e32 v33, v7, v33
	v_cndmask_b32_e32 v7, v33, v7, vcc
	v_cndmask_b32_e32 v6, v32, v6, vcc
	ds_bpermute_b32 v32, v100, v6
	ds_bpermute_b32 v33, v100, v7
	v_cmp_gt_u32_e32 vcc, v101, v9
	;; [unrolled: 9-line block ×3, first 2 shown]
	s_waitcnt lgkmcnt(1)
	v_add_u32_e32 v32, v6, v32
	s_waitcnt lgkmcnt(0)
	v_add_u32_e32 v33, v7, v33
	v_cndmask_b32_e32 v7, v33, v7, vcc
	v_cndmask_b32_e32 v6, v32, v6, vcc
	ds_bpermute_b32 v32, v104, v6
	ds_bpermute_b32 v33, v104, v7
	v_cmp_le_u32_e32 vcc, v105, v9
	s_waitcnt lgkmcnt(1)
	v_cndmask_b32_e32 v9, 0, v32, vcc
	s_waitcnt lgkmcnt(0)
	v_cndmask_b32_e32 v32, 0, v33, vcc
	v_add3_u32 v7, v32, v31, v7
	v_add3_u32 v6, v9, v30, v6
.LBB339_110:                            ; =>This Loop Header: Depth=1
                                        ;     Child Loop BB339_113 Depth 2
                                        ;       Child Loop BB339_114 Depth 3
	v_cmp_ne_u16_sdwa s[12:13], v8, v93 src0_sel:BYTE_0 src1_sel:DWORD
	v_cndmask_b32_e64 v8, 0, 1, s[12:13]
	;;#ASMSTART
	;;#ASMEND
	v_cmp_ne_u32_e32 vcc, 0, v8
	s_cmp_lg_u64 vcc, exec
	v_pk_mov_b32 v[30:31], v[6:7], v[6:7] op_sel:[0,1]
	s_cbranch_scc1 .LBB339_117
; %bb.111:                              ;   in Loop: Header=BB339_110 Depth=1
	v_lshlrev_b64 v[6:7], 4, v[28:29]
	v_mov_b32_e32 v8, s51
	v_add_co_u32_e32 v32, vcc, s50, v6
	v_addc_co_u32_e32 v33, vcc, v8, v7, vcc
	;;#ASMSTART
	global_load_dwordx4 v[6:9], v[32:33] off glc	
s_waitcnt vmcnt(0)
	;;#ASMEND
	v_and_b32_e32 v9, 0xff, v7
	v_and_b32_e32 v106, 0xff00, v7
	v_or3_b32 v9, 0, v9, v106
	v_or3_b32 v6, v6, 0, 0
	v_and_b32_e32 v106, 0xff000000, v7
	v_and_b32_e32 v7, 0xff0000, v7
	v_or3_b32 v7, v9, v7, v106
	v_or3_b32 v6, v6, 0, 0
	v_cmp_eq_u16_sdwa s[14:15], v8, v29 src0_sel:BYTE_0 src1_sel:DWORD
	s_and_saveexec_b64 s[12:13], s[14:15]
	s_cbranch_execz .LBB339_109
; %bb.112:                              ;   in Loop: Header=BB339_110 Depth=1
	s_mov_b32 s17, 1
	s_mov_b64 s[14:15], 0
.LBB339_113:                            ;   Parent Loop BB339_110 Depth=1
                                        ; =>  This Loop Header: Depth=2
                                        ;       Child Loop BB339_114 Depth 3
	s_max_u32 s18, s17, 1
.LBB339_114:                            ;   Parent Loop BB339_110 Depth=1
                                        ;     Parent Loop BB339_113 Depth=2
                                        ; =>    This Inner Loop Header: Depth=3
	s_add_i32 s18, s18, -1
	s_cmp_eq_u32 s18, 0
	s_sleep 1
	s_cbranch_scc0 .LBB339_114
; %bb.115:                              ;   in Loop: Header=BB339_113 Depth=2
	s_cmp_lt_u32 s17, 32
	s_cselect_b64 s[18:19], -1, 0
	s_cmp_lg_u64 s[18:19], 0
	s_addc_u32 s17, s17, 0
	;;#ASMSTART
	global_load_dwordx4 v[6:9], v[32:33] off glc	
s_waitcnt vmcnt(0)
	;;#ASMEND
	v_cmp_ne_u16_sdwa s[18:19], v8, v29 src0_sel:BYTE_0 src1_sel:DWORD
	s_or_b64 s[14:15], s[18:19], s[14:15]
	s_andn2_b64 exec, exec, s[14:15]
	s_cbranch_execnz .LBB339_113
; %bb.116:                              ;   in Loop: Header=BB339_110 Depth=1
	s_or_b64 exec, exec, s[14:15]
	s_branch .LBB339_109
.LBB339_117:                            ;   in Loop: Header=BB339_110 Depth=1
                                        ; implicit-def: $vgpr8
                                        ; implicit-def: $vgpr6_vgpr7
	s_cbranch_execz .LBB339_110
; %bb.118:
	s_and_saveexec_b64 s[12:13], s[8:9]
	s_cbranch_execz .LBB339_120
; %bb.119:
	s_add_i32 s14, s33, 64
	s_mov_b32 s15, 0
	v_add_u32_e32 v7, v31, v27
	s_lshl_b64 s[14:15], s[14:15], 4
	s_add_u32 s14, s50, s14
	v_and_b32_e32 v8, 0xff000000, v7
	v_and_b32_e32 v10, 0xff0000, v7
	s_addc_u32 s15, s51, s15
	v_or_b32_e32 v8, v10, v8
	v_and_b32_e32 v10, 0xff00, v7
	v_and_b32_e32 v7, 0xff, v7
	v_add_u32_e32 v6, v30, v26
	v_mov_b32_e32 v9, 0
	v_or3_b32 v7, v8, v10, v7
	v_mov_b32_e32 v8, 2
	v_pk_mov_b32 v[10:11], s[14:15], s[14:15] op_sel:[0,1]
	;;#ASMSTART
	global_store_dwordx4 v[10:11], v[6:9] off	
s_waitcnt vmcnt(0)
	;;#ASMEND
	s_movk_i32 s14, 0x3400
	v_add_u32_e64 v6, s14, 0
	ds_write2_b32 v6, v26, v27 offset1:2
	ds_write2_b32 v6, v30, v31 offset0:4 offset1:6
.LBB339_120:
	s_or_b64 exec, exec, s[12:13]
	s_and_b64 exec, exec, s[0:1]
	s_cbranch_execz .LBB339_122
; %bb.121:
	v_mov_b32_e32 v6, 0
	ds_write_b64 v6, v[30:31] offset:24
.LBB339_122:
	s_or_b64 exec, exec, s[10:11]
	v_mov_b32_e32 v6, 0
	s_waitcnt lgkmcnt(0)
	s_barrier
	ds_read_b64 v[10:11], v6 offset:24
	v_cndmask_b32_e64 v25, v92, v25, s[8:9]
	v_cndmask_b32_e64 v1, v1, v24, s[8:9]
	s_movk_i32 s8, 0x3400
	s_waitcnt lgkmcnt(0)
	v_add_u32_e32 v24, v10, v1
	v_add_u32_e64 v1, s8, 0
	s_barrier
	ds_read2_b32 v[6:7], v1 offset1:2
	ds_read2_b32 v[8:9], v1 offset0:4 offset1:6
	v_add_u32_e32 v1, v11, v25
	v_cndmask_b32_e64 v1, v1, v11, s[0:1]
	v_cndmask_b32_e64 v10, v24, v10, s[0:1]
	s_branch .LBB339_133
.LBB339_123:
                                        ; implicit-def: $vgpr1
                                        ; implicit-def: $vgpr8
                                        ; implicit-def: $vgpr6
                                        ; implicit-def: $vgpr10_vgpr11
	s_cbranch_execz .LBB339_133
; %bb.124:
	s_nop 0
	v_mov_b32_dpp v1, v90 row_shr:1 row_mask:0xf bank_mask:0xf
	s_waitcnt lgkmcnt(1)
	v_mov_b32_dpp v6, v91 row_shr:1 row_mask:0xf bank_mask:0xf
	v_add_u32_e32 v1, v1, v90
	v_add_u32_e32 v6, v6, v91
	v_cndmask_b32_e64 v6, v6, v91, s[6:7]
	v_cndmask_b32_e64 v1, v1, v90, s[6:7]
	v_cmp_lt_u32_e32 vcc, 3, v89
	s_waitcnt lgkmcnt(0)
	v_mov_b32_dpp v8, v6 row_shr:2 row_mask:0xf bank_mask:0xf
	v_mov_b32_dpp v7, v1 row_shr:2 row_mask:0xf bank_mask:0xf
	v_add_u32_e32 v7, v1, v7
	v_add_u32_e32 v8, v6, v8
	v_cndmask_b32_e64 v6, v6, v8, s[4:5]
	v_cndmask_b32_e64 v1, v1, v7, s[4:5]
	s_nop 0
	v_mov_b32_dpp v8, v6 row_shr:4 row_mask:0xf bank_mask:0xf
	v_mov_b32_dpp v7, v1 row_shr:4 row_mask:0xf bank_mask:0xf
	v_add_u32_e32 v7, v1, v7
	v_add_u32_e32 v8, v6, v8
	v_cndmask_b32_e32 v6, v6, v8, vcc
	v_cndmask_b32_e32 v1, v1, v7, vcc
	v_cmp_lt_u32_e32 vcc, 7, v89
	v_mov_b32_dpp v8, v6 row_shr:8 row_mask:0xf bank_mask:0xf
	v_mov_b32_dpp v7, v1 row_shr:8 row_mask:0xf bank_mask:0xf
	v_add_u32_e32 v7, v1, v7
	v_add_u32_e32 v8, v6, v8
	v_cndmask_b32_e32 v6, v6, v8, vcc
	v_cndmask_b32_e32 v1, v1, v7, vcc
	v_cmp_eq_u32_e32 vcc, 0, v88
	v_mov_b32_dpp v8, v6 row_bcast:15 row_mask:0xf bank_mask:0xf
	v_mov_b32_dpp v7, v1 row_bcast:15 row_mask:0xf bank_mask:0xf
	v_add_u32_e32 v7, v1, v7
	v_add_u32_e32 v8, v6, v8
	v_cndmask_b32_e32 v6, v8, v6, vcc
	v_cndmask_b32_e32 v1, v7, v1, vcc
	v_cmp_lt_u32_e32 vcc, 31, v85
	v_mov_b32_dpp v8, v6 row_bcast:31 row_mask:0xf bank_mask:0xf
	v_mov_b32_dpp v7, v1 row_bcast:31 row_mask:0xf bank_mask:0xf
	v_add_u32_e32 v8, v6, v8
	v_add_u32_e32 v9, v1, v7
	v_cndmask_b32_e32 v7, v6, v8, vcc
	v_cndmask_b32_e32 v6, v1, v9, vcc
	v_cmp_eq_u32_e32 vcc, v87, v0
	s_and_saveexec_b64 s[4:5], vcc
	s_cbranch_execz .LBB339_126
; %bb.125:
	v_lshlrev_b32_e32 v1, 3, v86
	ds_write_b64 v1, v[6:7]
.LBB339_126:
	s_or_b64 exec, exec, s[4:5]
	v_cmp_gt_u32_e32 vcc, 4, v0
	s_waitcnt lgkmcnt(0)
	s_barrier
	s_and_saveexec_b64 s[4:5], vcc
	s_cbranch_execz .LBB339_128
; %bb.127:
	v_lshlrev_b32_e32 v1, 3, v0
	ds_read_b64 v[8:9], v1
	v_and_b32_e32 v10, 3, v85
	v_cmp_eq_u32_e32 vcc, 0, v10
	s_waitcnt lgkmcnt(0)
	v_mov_b32_dpp v11, v8 row_shr:1 row_mask:0xf bank_mask:0xf
	v_mov_b32_dpp v24, v9 row_shr:1 row_mask:0xf bank_mask:0xf
	v_add_u32_e32 v11, v11, v8
	v_add_u32_e32 v24, v24, v9
	v_cndmask_b32_e32 v9, v24, v9, vcc
	v_cndmask_b32_e32 v8, v11, v8, vcc
	v_cmp_lt_u32_e32 vcc, 1, v10
	v_mov_b32_dpp v24, v9 row_shr:2 row_mask:0xf bank_mask:0xf
	v_mov_b32_dpp v11, v8 row_shr:2 row_mask:0xf bank_mask:0xf
	v_cndmask_b32_e32 v10, 0, v11, vcc
	v_cndmask_b32_e32 v11, 0, v24, vcc
	v_add_u32_e32 v9, v11, v9
	v_add_u32_e32 v8, v10, v8
	ds_write_b64 v1, v[8:9]
.LBB339_128:
	s_or_b64 exec, exec, s[4:5]
	v_cmp_lt_u32_e32 vcc, 63, v0
	v_mov_b32_e32 v8, 0
	v_mov_b32_e32 v10, 0
	;; [unrolled: 1-line block ×3, first 2 shown]
	s_waitcnt lgkmcnt(0)
	s_barrier
	s_and_saveexec_b64 s[4:5], vcc
	s_cbranch_execz .LBB339_130
; %bb.129:
	v_lshl_add_u32 v1, v86, 3, -8
	ds_read_b64 v[10:11], v1
.LBB339_130:
	s_or_b64 exec, exec, s[4:5]
	s_waitcnt lgkmcnt(0)
	v_add_u32_e32 v9, v11, v7
	v_add_u32_e32 v1, v10, v6
	v_add_u32_e32 v6, -1, v85
	v_and_b32_e32 v7, 64, v85
	v_cmp_lt_i32_e32 vcc, v6, v7
	v_cndmask_b32_e32 v6, v6, v85, vcc
	v_lshlrev_b32_e32 v24, 2, v6
	ds_read_b64 v[6:7], v8 offset:24
	ds_bpermute_b32 v1, v24, v1
	ds_bpermute_b32 v24, v24, v9
	s_waitcnt lgkmcnt(2)
	v_readfirstlane_b32 s6, v7
	s_and_saveexec_b64 s[4:5], s[0:1]
	s_cbranch_execz .LBB339_132
; %bb.131:
	s_add_u32 s8, s50, 0x400
	s_mov_b32 s10, 0
	s_addc_u32 s9, s51, 0
	s_and_b32 s11, s6, 0xff000000
	s_and_b32 s13, s6, 0xff0000
	s_mov_b32 s12, s10
	s_or_b64 s[12:13], s[12:13], s[10:11]
	s_and_b32 s11, s6, 0xff00
	s_or_b64 s[12:13], s[12:13], s[10:11]
	s_and_b32 s11, s6, 0xff
	s_or_b64 s[10:11], s[12:13], s[10:11]
	v_mov_b32_e32 v7, s11
	v_mov_b32_e32 v8, 2
	;; [unrolled: 1-line block ×3, first 2 shown]
	v_pk_mov_b32 v[26:27], s[8:9], s[8:9] op_sel:[0,1]
	;;#ASMSTART
	global_store_dwordx4 v[26:27], v[6:9] off	
s_waitcnt vmcnt(0)
	;;#ASMEND
.LBB339_132:
	s_or_b64 exec, exec, s[4:5]
	v_cmp_eq_u32_e32 vcc, 0, v85
	s_waitcnt lgkmcnt(1)
	v_cndmask_b32_e32 v7, v1, v10, vcc
	s_waitcnt lgkmcnt(0)
	v_cndmask_b32_e32 v1, v24, v11, vcc
	v_mov_b32_e32 v8, 0
	v_cndmask_b32_e64 v1, v1, 0, s[0:1]
	v_cndmask_b32_e64 v10, v7, 0, s[0:1]
	s_barrier
	v_mov_b32_e32 v7, s6
	v_mov_b32_e32 v9, 0
.LBB339_133:
	v_add_u32_e32 v11, v10, v67
	v_add_u32_e32 v26, v1, v68
	;; [unrolled: 1-line block ×13, first 2 shown]
	s_waitcnt vmcnt(0) lgkmcnt(0)
	v_add_co_u32_e32 v2, vcc, v2, v8
	v_add_u32_e32 v68, v62, v74
	v_add_u32_e32 v64, v67, v64
	v_addc_co_u32_e32 v3, vcc, 0, v3, vcc
	v_add_u32_e32 v69, v68, v82
	v_add_u32_e32 v70, v64, v75
	v_sub_co_u32_e32 v24, vcc, v4, v6
	v_add_u32_e32 v71, v69, v76
	v_add_u32_e32 v65, v70, v65
	v_subbrev_co_u32_e32 v25, vcc, 0, v5, vcc
	v_lshlrev_b32_e32 v76, 1, v6
	v_sub_u32_e32 v1, v1, v9
	v_add_u32_e32 v73, v65, v77
	v_add_co_u32_e32 v24, vcc, v24, v9
	v_add_u32_e32 v77, v76, v7
	v_sub_u32_e32 v10, v10, v8
	v_add_u32_e32 v1, v1, v6
	v_addc_co_u32_e32 v25, vcc, 0, v25, vcc
	v_add_u32_e32 v36, v77, v36
	v_and_b32_e32 v38, 1, v38
	v_add_u32_e32 v77, v10, v1
	v_and_b32_e32 v37, 1, v37
	v_sub_u32_e32 v77, v36, v77
	v_cmp_eq_u32_e32 vcc, 1, v38
	v_cndmask_b32_e32 v1, v77, v1, vcc
	v_cmp_eq_u32_e32 vcc, 1, v37
	v_cndmask_b32_e32 v1, v1, v10, vcc
	v_lshlrev_b32_e32 v1, 2, v1
	ds_write_b32 v1, v22
	v_sub_u32_e32 v1, v11, v8
	v_sub_u32_e32 v11, v26, v9
	v_add_u32_e32 v11, v11, v6
	v_add_u32_e32 v26, v11, v1
	v_and_b32_e32 v22, 1, v40
	v_sub_u32_e32 v26, v36, v26
	v_and_b32_e32 v10, 1, v39
	v_add_u32_e32 v26, 1, v26
	v_cmp_eq_u32_e32 vcc, 1, v22
	v_cndmask_b32_e32 v11, v26, v11, vcc
	v_cmp_eq_u32_e32 vcc, 1, v10
	v_cndmask_b32_e32 v1, v11, v1, vcc
	v_lshlrev_b32_e32 v1, 2, v1
	v_sub_u32_e32 v11, v27, v9
	ds_write_b32 v1, v23
	v_sub_u32_e32 v1, v28, v8
	v_add_u32_e32 v11, v11, v6
	v_add_u32_e32 v23, v11, v1
	v_and_b32_e32 v22, 1, v42
	v_sub_u32_e32 v23, v36, v23
	v_and_b32_e32 v10, 1, v41
	v_add_u32_e32 v23, 2, v23
	v_cmp_eq_u32_e32 vcc, 1, v22
	v_cndmask_b32_e32 v11, v23, v11, vcc
	v_cmp_eq_u32_e32 vcc, 1, v10
	v_cndmask_b32_e32 v1, v11, v1, vcc
	v_lshlrev_b32_e32 v1, 2, v1
	v_sub_u32_e32 v11, v30, v9
	ds_write_b32 v1, v20
	v_sub_u32_e32 v1, v29, v8
	v_add_u32_e32 v11, v11, v6
	v_add_u32_e32 v22, v1, v11
	v_and_b32_e32 v20, 1, v43
	v_sub_u32_e32 v22, v36, v22
	v_and_b32_e32 v10, 1, v44
	v_add_u32_e32 v22, 3, v22
	v_cmp_eq_u32_e32 vcc, 1, v20
	v_cndmask_b32_e32 v11, v22, v11, vcc
	v_cmp_eq_u32_e32 vcc, 1, v10
	v_cndmask_b32_e32 v1, v11, v1, vcc
	v_lshlrev_b32_e32 v1, 2, v1
	v_sub_u32_e32 v11, v31, v9
	ds_write_b32 v1, v21
	v_sub_u32_e32 v1, v32, v8
	v_add_u32_e32 v11, v11, v6
	v_add_u32_e32 v21, v1, v11
	v_and_b32_e32 v20, 1, v45
	v_sub_u32_e32 v21, v36, v21
	v_and_b32_e32 v10, 1, v46
	v_add_u32_e32 v21, 4, v21
	v_cmp_eq_u32_e32 vcc, 1, v20
	v_cndmask_b32_e32 v11, v21, v11, vcc
	v_cmp_eq_u32_e32 vcc, 1, v10
	v_cndmask_b32_e32 v1, v11, v1, vcc
	v_lshlrev_b32_e32 v1, 2, v1
	v_sub_u32_e32 v11, v61, v9
	ds_write_b32 v1, v18
	v_sub_u32_e32 v1, v33, v8
	v_add_u32_e32 v11, v11, v6
	v_add_u32_e32 v20, v1, v11
	v_and_b32_e32 v18, 1, v47
	v_sub_u32_e32 v20, v36, v20
	v_and_b32_e32 v10, 1, v48
	v_add_u32_e32 v20, 5, v20
	v_cmp_eq_u32_e32 vcc, 1, v18
	v_cndmask_b32_e32 v11, v20, v11, vcc
	v_cmp_eq_u32_e32 vcc, 1, v10
	v_cndmask_b32_e32 v1, v11, v1, vcc
	v_lshlrev_b32_e32 v1, 2, v1
	v_sub_u32_e32 v11, v62, v9
	ds_write_b32 v1, v19
	v_sub_u32_e32 v1, v63, v8
	v_add_u32_e32 v11, v11, v6
	v_add_u32_e32 v19, v1, v11
	v_and_b32_e32 v18, 1, v49
	v_sub_u32_e32 v19, v36, v19
	v_and_b32_e32 v10, 1, v50
	v_add_u32_e32 v19, 6, v19
	v_cmp_eq_u32_e32 vcc, 1, v18
	v_cndmask_b32_e32 v11, v19, v11, vcc
	v_cmp_eq_u32_e32 vcc, 1, v10
	v_cndmask_b32_e32 v1, v11, v1, vcc
	v_lshlrev_b32_e32 v1, 2, v1
	v_sub_u32_e32 v11, v68, v9
	ds_write_b32 v1, v16
	v_sub_u32_e32 v1, v67, v8
	v_add_u32_e32 v11, v11, v6
	v_add_u32_e32 v18, v1, v11
	v_and_b32_e32 v16, 1, v51
	v_sub_u32_e32 v18, v36, v18
	v_and_b32_e32 v10, 1, v52
	v_add_u32_e32 v18, 7, v18
	v_cmp_eq_u32_e32 vcc, 1, v16
	v_cndmask_b32_e32 v11, v18, v11, vcc
	v_cmp_eq_u32_e32 vcc, 1, v10
	v_cndmask_b32_e32 v1, v11, v1, vcc
	v_lshlrev_b32_e32 v1, 2, v1
	v_sub_u32_e32 v11, v69, v9
	ds_write_b32 v1, v17
	v_sub_u32_e32 v1, v64, v8
	v_add_u32_e32 v11, v11, v6
	v_add_u32_e32 v17, v1, v11
	v_and_b32_e32 v16, 1, v53
	v_sub_u32_e32 v17, v36, v17
	v_and_b32_e32 v10, 1, v54
	v_add_u32_e32 v17, 8, v17
	v_cmp_eq_u32_e32 vcc, 1, v16
	v_cndmask_b32_e32 v11, v17, v11, vcc
	v_cmp_eq_u32_e32 vcc, 1, v10
	v_cndmask_b32_e32 v1, v11, v1, vcc
	v_lshlrev_b32_e32 v1, 2, v1
	v_sub_u32_e32 v11, v71, v9
	ds_write_b32 v1, v14
	v_sub_u32_e32 v1, v70, v8
	v_add_u32_e32 v11, v11, v6
	v_add_u32_e32 v16, v1, v11
	v_and_b32_e32 v14, 1, v55
	v_sub_u32_e32 v16, v36, v16
	v_and_b32_e32 v10, 1, v56
	v_add_u32_e32 v16, 9, v16
	v_cmp_eq_u32_e32 vcc, 1, v14
	v_cndmask_b32_e32 v11, v16, v11, vcc
	v_cmp_eq_u32_e32 vcc, 1, v10
	v_add_u32_e32 v72, v71, v83
	v_cndmask_b32_e32 v1, v11, v1, vcc
	v_lshlrev_b32_e32 v1, 2, v1
	v_sub_u32_e32 v11, v72, v9
	ds_write_b32 v1, v15
	v_sub_u32_e32 v1, v65, v8
	v_add_u32_e32 v11, v11, v6
	v_add_u32_e32 v15, v1, v11
	v_and_b32_e32 v14, 1, v57
	v_sub_u32_e32 v15, v36, v15
	v_and_b32_e32 v10, 1, v58
	v_add_u32_e32 v15, 10, v15
	v_cmp_eq_u32_e32 vcc, 1, v14
	v_cndmask_b32_e32 v11, v15, v11, vcc
	v_cmp_eq_u32_e32 vcc, 1, v10
	v_add_u32_e32 v74, v72, v78
	v_cndmask_b32_e32 v1, v11, v1, vcc
	v_lshlrev_b32_e32 v1, 2, v1
	v_sub_u32_e32 v11, v74, v9
	ds_write_b32 v1, v12
	v_sub_u32_e32 v1, v73, v8
	v_add_u32_e32 v11, v11, v6
	v_add_u32_e32 v14, v1, v11
	v_and_b32_e32 v12, 1, v59
	v_sub_u32_e32 v14, v36, v14
	v_and_b32_e32 v10, 1, v60
	v_add_u32_e32 v14, 11, v14
	v_cmp_eq_u32_e32 vcc, 1, v12
	v_cndmask_b32_e32 v11, v14, v11, vcc
	v_cmp_eq_u32_e32 vcc, 1, v10
	v_cndmask_b32_e32 v1, v11, v1, vcc
	v_add_u32_e32 v75, v74, v84
	v_add_u32_e32 v66, v73, v66
	v_lshlrev_b32_e32 v1, 2, v1
	ds_write_b32 v1, v13
	v_sub_u32_e32 v1, v66, v8
	v_sub_u32_e32 v8, v75, v9
	v_add_u32_e32 v8, v8, v6
	v_add_u32_e32 v10, v1, v8
	v_sub_u32_e32 v10, v36, v10
	v_add_u32_e32 v10, 12, v10
	v_cndmask_b32_e64 v8, v10, v8, s[54:55]
	v_cndmask_b32_e64 v1, v8, v1, s[52:53]
	v_lshlrev_b32_e32 v1, 2, v1
	ds_write_b32 v1, v35
	v_mov_b32_e32 v1, s49
	v_add_co_u32_e32 v8, vcc, s48, v34
	v_addc_co_u32_e32 v10, vcc, 0, v1, vcc
	v_add_co_u32_e32 v1, vcc, v7, v76
	v_addc_co_u32_e64 v11, s[4:5], 0, 0, vcc
	v_add_co_u32_e32 v1, vcc, v1, v24
	v_addc_co_u32_e32 v11, vcc, v11, v25, vcc
	v_add_co_u32_e32 v1, vcc, v1, v2
	v_addc_co_u32_e32 v11, vcc, v11, v3, vcc
	v_sub_co_u32_e32 v1, vcc, v8, v1
	v_subb_co_u32_e32 v8, vcc, v10, v11, vcc
	v_lshlrev_b64 v[10:11], 2, v[24:25]
	v_mov_b32_e32 v12, s47
	v_add_co_u32_e32 v10, vcc, s46, v10
	v_addc_co_u32_e32 v11, vcc, v12, v11, vcc
	v_lshlrev_b64 v[12:13], 2, v[2:3]
	v_mov_b32_e32 v15, s45
	v_add_co_u32_e32 v12, vcc, s44, v12
	s_add_u32 s8, s34, -4
	v_addc_co_u32_e32 v13, vcc, v15, v13, vcc
	s_addc_u32 s9, s35, -1
	v_add_u32_e32 v14, v6, v7
	s_and_b64 vcc, exec, s[2:3]
	s_mov_b64 s[2:3], -1
	s_waitcnt lgkmcnt(0)
	s_barrier
	s_cbranch_vccz .LBB339_137
; %bb.134:
	s_and_b64 vcc, exec, s[2:3]
	s_cbranch_vccnz .LBB339_242
.LBB339_135:
	s_and_b64 s[0:1], s[0:1], s[30:31]
	s_and_saveexec_b64 s[2:3], s[0:1]
	s_cbranch_execnz .LBB339_360
.LBB339_136:
	s_endpgm
.LBB339_137:
	v_cmp_le_u32_e32 vcc, v6, v0
	s_and_saveexec_b64 s[2:3], vcc
	s_xor_b64 s[2:3], exec, s[2:3]
	s_cbranch_execz .LBB339_143
; %bb.138:
	v_cmp_le_u32_e32 vcc, v14, v0
	s_and_saveexec_b64 s[4:5], vcc
	s_xor_b64 s[4:5], exec, s[4:5]
	s_cbranch_execz .LBB339_140
; %bb.139:
	v_lshlrev_b32_e32 v15, 2, v0
	v_add_co_u32_e32 v16, vcc, v1, v0
	ds_read_b32 v15, v15
	v_addc_co_u32_e32 v17, vcc, 0, v8, vcc
	v_lshlrev_b64 v[16:17], 2, v[16:17]
	v_mov_b32_e32 v18, s35
	v_sub_co_u32_e32 v16, vcc, s34, v16
	v_subb_co_u32_e32 v17, vcc, v18, v17, vcc
	s_waitcnt lgkmcnt(0)
	global_store_dword v[16:17], v15, off offset:-4
.LBB339_140:
	s_andn2_saveexec_b64 s[4:5], s[4:5]
	s_cbranch_execz .LBB339_142
; %bb.141:
	v_lshlrev_b32_e32 v15, 2, v0
	ds_read_b32 v16, v15
	v_readfirstlane_b32 s6, v10
	v_readfirstlane_b32 s7, v11
	s_waitcnt lgkmcnt(0)
	s_nop 3
	global_store_dword v15, v16, s[6:7]
.LBB339_142:
	s_or_b64 exec, exec, s[4:5]
.LBB339_143:
	s_andn2_saveexec_b64 s[2:3], s[2:3]
	s_cbranch_execz .LBB339_145
; %bb.144:
	v_lshlrev_b32_e32 v15, 2, v0
	ds_read_b32 v16, v15
	v_readfirstlane_b32 s4, v12
	v_readfirstlane_b32 s5, v13
	s_waitcnt lgkmcnt(0)
	s_nop 3
	global_store_dword v15, v16, s[4:5]
.LBB339_145:
	s_or_b64 exec, exec, s[2:3]
	v_or_b32_e32 v15, 0x100, v0
	v_cmp_le_u32_e32 vcc, v6, v15
	s_and_saveexec_b64 s[2:3], vcc
	s_xor_b64 s[2:3], exec, s[2:3]
	s_cbranch_execz .LBB339_151
; %bb.146:
	v_cmp_le_u32_e32 vcc, v14, v15
	s_and_saveexec_b64 s[4:5], vcc
	s_xor_b64 s[4:5], exec, s[4:5]
	s_cbranch_execz .LBB339_148
; %bb.147:
	v_lshlrev_b32_e32 v15, 2, v0
	ds_read_b32 v15, v15 offset:1024
	v_add_co_u32_e32 v16, vcc, v1, v0
	v_addc_co_u32_e32 v17, vcc, 0, v8, vcc
	v_lshlrev_b64 v[16:17], 2, v[16:17]
	v_mov_b32_e32 v18, s9
	v_sub_co_u32_e32 v16, vcc, s8, v16
	v_subb_co_u32_e32 v17, vcc, v18, v17, vcc
	s_waitcnt lgkmcnt(0)
	global_store_dword v[16:17], v15, off offset:-1024
.LBB339_148:
	s_andn2_saveexec_b64 s[4:5], s[4:5]
	s_cbranch_execz .LBB339_150
; %bb.149:
	v_lshlrev_b32_e32 v15, 2, v0
	ds_read_b32 v16, v15 offset:1024
	v_readfirstlane_b32 s6, v10
	v_readfirstlane_b32 s7, v11
	s_waitcnt lgkmcnt(0)
	s_nop 3
	global_store_dword v15, v16, s[6:7] offset:1024
.LBB339_150:
	s_or_b64 exec, exec, s[4:5]
.LBB339_151:
	s_andn2_saveexec_b64 s[2:3], s[2:3]
	s_cbranch_execz .LBB339_153
; %bb.152:
	v_lshlrev_b32_e32 v15, 2, v0
	ds_read_b32 v16, v15 offset:1024
	v_readfirstlane_b32 s4, v12
	v_readfirstlane_b32 s5, v13
	s_waitcnt lgkmcnt(0)
	s_nop 3
	global_store_dword v15, v16, s[4:5] offset:1024
.LBB339_153:
	s_or_b64 exec, exec, s[2:3]
	v_or_b32_e32 v15, 0x200, v0
	v_cmp_le_u32_e32 vcc, v6, v15
	s_and_saveexec_b64 s[2:3], vcc
	s_xor_b64 s[2:3], exec, s[2:3]
	s_cbranch_execz .LBB339_159
; %bb.154:
	v_cmp_le_u32_e32 vcc, v14, v15
	s_and_saveexec_b64 s[4:5], vcc
	s_xor_b64 s[4:5], exec, s[4:5]
	s_cbranch_execz .LBB339_156
; %bb.155:
	v_lshlrev_b32_e32 v15, 2, v0
	ds_read_b32 v15, v15 offset:2048
	v_add_co_u32_e32 v16, vcc, v1, v0
	v_addc_co_u32_e32 v17, vcc, 0, v8, vcc
	v_lshlrev_b64 v[16:17], 2, v[16:17]
	v_mov_b32_e32 v18, s9
	v_sub_co_u32_e32 v16, vcc, s8, v16
	v_subb_co_u32_e32 v17, vcc, v18, v17, vcc
	s_waitcnt lgkmcnt(0)
	global_store_dword v[16:17], v15, off offset:-2048
.LBB339_156:
	s_andn2_saveexec_b64 s[4:5], s[4:5]
	s_cbranch_execz .LBB339_158
; %bb.157:
	v_lshlrev_b32_e32 v15, 2, v0
	ds_read_b32 v16, v15 offset:2048
	v_readfirstlane_b32 s6, v10
	v_readfirstlane_b32 s7, v11
	s_waitcnt lgkmcnt(0)
	s_nop 3
	global_store_dword v15, v16, s[6:7] offset:2048
.LBB339_158:
	s_or_b64 exec, exec, s[4:5]
.LBB339_159:
	s_andn2_saveexec_b64 s[2:3], s[2:3]
	s_cbranch_execz .LBB339_161
; %bb.160:
	v_lshlrev_b32_e32 v15, 2, v0
	ds_read_b32 v16, v15 offset:2048
	v_readfirstlane_b32 s4, v12
	v_readfirstlane_b32 s5, v13
	s_waitcnt lgkmcnt(0)
	s_nop 3
	global_store_dword v15, v16, s[4:5] offset:2048
.LBB339_161:
	;; [unrolled: 47-line block ×3, first 2 shown]
	s_or_b64 exec, exec, s[2:3]
	v_or_b32_e32 v15, 0x400, v0
	v_cmp_le_u32_e32 vcc, v6, v15
	s_and_saveexec_b64 s[2:3], vcc
	s_xor_b64 s[2:3], exec, s[2:3]
	s_cbranch_execz .LBB339_175
; %bb.170:
	v_cmp_le_u32_e32 vcc, v14, v15
	s_and_saveexec_b64 s[4:5], vcc
	s_xor_b64 s[4:5], exec, s[4:5]
	s_cbranch_execz .LBB339_172
; %bb.171:
	v_lshlrev_b32_e32 v15, 2, v0
	ds_read_b32 v15, v15 offset:4096
	v_add_co_u32_e32 v16, vcc, v1, v0
	v_addc_co_u32_e32 v17, vcc, 0, v8, vcc
	v_lshlrev_b64 v[16:17], 2, v[16:17]
	v_mov_b32_e32 v18, s9
	v_sub_co_u32_e32 v16, vcc, s8, v16
	v_subb_co_u32_e32 v17, vcc, v18, v17, vcc
	s_waitcnt lgkmcnt(0)
	global_store_dword v[16:17], v15, off offset:-4096
                                        ; implicit-def: $vgpr15
.LBB339_172:
	s_andn2_saveexec_b64 s[4:5], s[4:5]
	s_cbranch_execz .LBB339_174
; %bb.173:
	v_lshlrev_b32_e32 v16, 2, v0
	ds_read_b32 v16, v16 offset:4096
	v_lshlrev_b32_e32 v15, 2, v15
	v_readfirstlane_b32 s6, v10
	v_readfirstlane_b32 s7, v11
	s_waitcnt lgkmcnt(0)
	s_nop 3
	global_store_dword v15, v16, s[6:7]
.LBB339_174:
	s_or_b64 exec, exec, s[4:5]
                                        ; implicit-def: $vgpr15
.LBB339_175:
	s_andn2_saveexec_b64 s[2:3], s[2:3]
	s_cbranch_execz .LBB339_177
; %bb.176:
	v_lshlrev_b32_e32 v16, 2, v0
	ds_read_b32 v16, v16 offset:4096
	v_lshlrev_b32_e32 v15, 2, v15
	v_readfirstlane_b32 s4, v12
	v_readfirstlane_b32 s5, v13
	s_waitcnt lgkmcnt(0)
	s_nop 3
	global_store_dword v15, v16, s[4:5]
.LBB339_177:
	s_or_b64 exec, exec, s[2:3]
	v_or_b32_e32 v15, 0x500, v0
	v_cmp_le_u32_e32 vcc, v6, v15
	s_and_saveexec_b64 s[2:3], vcc
	s_xor_b64 s[2:3], exec, s[2:3]
	s_cbranch_execz .LBB339_183
; %bb.178:
	v_cmp_le_u32_e32 vcc, v14, v15
	s_and_saveexec_b64 s[4:5], vcc
	s_xor_b64 s[4:5], exec, s[4:5]
	s_cbranch_execz .LBB339_180
; %bb.179:
	v_add_co_u32_e32 v16, vcc, v1, v15
	v_lshlrev_b32_e32 v15, 2, v0
	ds_read_b32 v15, v15 offset:5120
	v_addc_co_u32_e32 v17, vcc, 0, v8, vcc
	v_lshlrev_b64 v[16:17], 2, v[16:17]
	v_mov_b32_e32 v18, s9
	v_sub_co_u32_e32 v16, vcc, s8, v16
	v_subb_co_u32_e32 v17, vcc, v18, v17, vcc
	s_waitcnt lgkmcnt(0)
	global_store_dword v[16:17], v15, off
                                        ; implicit-def: $vgpr15
.LBB339_180:
	s_andn2_saveexec_b64 s[4:5], s[4:5]
	s_cbranch_execz .LBB339_182
; %bb.181:
	v_lshlrev_b32_e32 v16, 2, v0
	ds_read_b32 v16, v16 offset:5120
	v_lshlrev_b32_e32 v15, 2, v15
	v_readfirstlane_b32 s6, v10
	v_readfirstlane_b32 s7, v11
	s_waitcnt lgkmcnt(0)
	s_nop 3
	global_store_dword v15, v16, s[6:7]
.LBB339_182:
	s_or_b64 exec, exec, s[4:5]
                                        ; implicit-def: $vgpr15
.LBB339_183:
	s_andn2_saveexec_b64 s[2:3], s[2:3]
	s_cbranch_execz .LBB339_185
; %bb.184:
	v_lshlrev_b32_e32 v16, 2, v0
	ds_read_b32 v16, v16 offset:5120
	v_lshlrev_b32_e32 v15, 2, v15
	v_readfirstlane_b32 s4, v12
	v_readfirstlane_b32 s5, v13
	s_waitcnt lgkmcnt(0)
	s_nop 3
	global_store_dword v15, v16, s[4:5]
.LBB339_185:
	s_or_b64 exec, exec, s[2:3]
	v_or_b32_e32 v15, 0x600, v0
	v_cmp_le_u32_e32 vcc, v6, v15
	s_and_saveexec_b64 s[2:3], vcc
	s_xor_b64 s[2:3], exec, s[2:3]
	s_cbranch_execz .LBB339_191
; %bb.186:
	v_cmp_le_u32_e32 vcc, v14, v15
	s_and_saveexec_b64 s[4:5], vcc
	s_xor_b64 s[4:5], exec, s[4:5]
	s_cbranch_execz .LBB339_188
; %bb.187:
	v_add_co_u32_e32 v16, vcc, v1, v15
	v_lshlrev_b32_e32 v15, 2, v0
	ds_read_b32 v15, v15 offset:6144
	v_addc_co_u32_e32 v17, vcc, 0, v8, vcc
	v_lshlrev_b64 v[16:17], 2, v[16:17]
	v_mov_b32_e32 v18, s9
	v_sub_co_u32_e32 v16, vcc, s8, v16
	v_subb_co_u32_e32 v17, vcc, v18, v17, vcc
	s_waitcnt lgkmcnt(0)
	global_store_dword v[16:17], v15, off
                                        ; implicit-def: $vgpr15
.LBB339_188:
	s_andn2_saveexec_b64 s[4:5], s[4:5]
	s_cbranch_execz .LBB339_190
; %bb.189:
	v_lshlrev_b32_e32 v16, 2, v0
	ds_read_b32 v16, v16 offset:6144
	v_lshlrev_b32_e32 v15, 2, v15
	v_readfirstlane_b32 s6, v10
	v_readfirstlane_b32 s7, v11
	s_waitcnt lgkmcnt(0)
	s_nop 3
	global_store_dword v15, v16, s[6:7]
.LBB339_190:
	s_or_b64 exec, exec, s[4:5]
                                        ; implicit-def: $vgpr15
.LBB339_191:
	;; [unrolled: 51-line block ×8, first 2 shown]
	s_andn2_saveexec_b64 s[2:3], s[2:3]
	s_cbranch_execz .LBB339_241
; %bb.240:
	v_lshlrev_b32_e32 v16, 2, v0
	ds_read_b32 v16, v16 offset:12288
	v_lshlrev_b32_e32 v15, 2, v15
	v_readfirstlane_b32 s4, v12
	v_readfirstlane_b32 s5, v13
	s_waitcnt lgkmcnt(0)
	s_nop 3
	global_store_dword v15, v16, s[4:5]
.LBB339_241:
	s_or_b64 exec, exec, s[2:3]
	s_branch .LBB339_135
.LBB339_242:
	v_cmp_gt_u32_e32 vcc, s16, v0
	s_and_saveexec_b64 s[2:3], vcc
	s_cbranch_execz .LBB339_251
; %bb.243:
	v_cmp_le_u32_e32 vcc, v6, v0
	s_and_saveexec_b64 s[4:5], vcc
	s_xor_b64 s[4:5], exec, s[4:5]
	s_cbranch_execz .LBB339_249
; %bb.244:
	v_cmp_le_u32_e32 vcc, v14, v0
	s_and_saveexec_b64 s[6:7], vcc
	s_xor_b64 s[6:7], exec, s[6:7]
	s_cbranch_execz .LBB339_246
; %bb.245:
	v_lshlrev_b32_e32 v15, 2, v0
	v_add_co_u32_e32 v16, vcc, v1, v0
	ds_read_b32 v15, v15
	v_addc_co_u32_e32 v17, vcc, 0, v8, vcc
	v_lshlrev_b64 v[16:17], 2, v[16:17]
	v_mov_b32_e32 v18, s35
	v_sub_co_u32_e32 v16, vcc, s34, v16
	v_subb_co_u32_e32 v17, vcc, v18, v17, vcc
	s_waitcnt lgkmcnt(0)
	global_store_dword v[16:17], v15, off offset:-4
.LBB339_246:
	s_andn2_saveexec_b64 s[6:7], s[6:7]
	s_cbranch_execz .LBB339_248
; %bb.247:
	v_lshlrev_b32_e32 v15, 2, v0
	ds_read_b32 v16, v15
	v_readfirstlane_b32 s10, v10
	v_readfirstlane_b32 s11, v11
	s_waitcnt lgkmcnt(0)
	s_nop 3
	global_store_dword v15, v16, s[10:11]
.LBB339_248:
	s_or_b64 exec, exec, s[6:7]
.LBB339_249:
	s_andn2_saveexec_b64 s[4:5], s[4:5]
	s_cbranch_execz .LBB339_251
; %bb.250:
	v_lshlrev_b32_e32 v15, 2, v0
	ds_read_b32 v16, v15
	v_readfirstlane_b32 s4, v12
	v_readfirstlane_b32 s5, v13
	s_waitcnt lgkmcnt(0)
	s_nop 3
	global_store_dword v15, v16, s[4:5]
.LBB339_251:
	s_or_b64 exec, exec, s[2:3]
	v_or_b32_e32 v15, 0x100, v0
	v_cmp_gt_u32_e32 vcc, s16, v15
	s_and_saveexec_b64 s[2:3], vcc
	s_cbranch_execz .LBB339_260
; %bb.252:
	v_cmp_le_u32_e32 vcc, v6, v15
	s_and_saveexec_b64 s[4:5], vcc
	s_xor_b64 s[4:5], exec, s[4:5]
	s_cbranch_execz .LBB339_258
; %bb.253:
	v_cmp_le_u32_e32 vcc, v14, v15
	s_and_saveexec_b64 s[6:7], vcc
	s_xor_b64 s[6:7], exec, s[6:7]
	s_cbranch_execz .LBB339_255
; %bb.254:
	v_lshlrev_b32_e32 v15, 2, v0
	ds_read_b32 v15, v15 offset:1024
	v_add_co_u32_e32 v16, vcc, v1, v0
	v_addc_co_u32_e32 v17, vcc, 0, v8, vcc
	v_lshlrev_b64 v[16:17], 2, v[16:17]
	v_mov_b32_e32 v18, s9
	v_sub_co_u32_e32 v16, vcc, s8, v16
	v_subb_co_u32_e32 v17, vcc, v18, v17, vcc
	s_waitcnt lgkmcnt(0)
	global_store_dword v[16:17], v15, off offset:-1024
.LBB339_255:
	s_andn2_saveexec_b64 s[6:7], s[6:7]
	s_cbranch_execz .LBB339_257
; %bb.256:
	v_lshlrev_b32_e32 v15, 2, v0
	ds_read_b32 v16, v15 offset:1024
	v_readfirstlane_b32 s10, v10
	v_readfirstlane_b32 s11, v11
	s_waitcnt lgkmcnt(0)
	s_nop 3
	global_store_dword v15, v16, s[10:11] offset:1024
.LBB339_257:
	s_or_b64 exec, exec, s[6:7]
.LBB339_258:
	s_andn2_saveexec_b64 s[4:5], s[4:5]
	s_cbranch_execz .LBB339_260
; %bb.259:
	v_lshlrev_b32_e32 v15, 2, v0
	ds_read_b32 v16, v15 offset:1024
	v_readfirstlane_b32 s4, v12
	v_readfirstlane_b32 s5, v13
	s_waitcnt lgkmcnt(0)
	s_nop 3
	global_store_dword v15, v16, s[4:5] offset:1024
.LBB339_260:
	s_or_b64 exec, exec, s[2:3]
	v_or_b32_e32 v15, 0x200, v0
	v_cmp_gt_u32_e32 vcc, s16, v15
	s_and_saveexec_b64 s[2:3], vcc
	s_cbranch_execz .LBB339_269
; %bb.261:
	v_cmp_le_u32_e32 vcc, v6, v15
	s_and_saveexec_b64 s[4:5], vcc
	s_xor_b64 s[4:5], exec, s[4:5]
	s_cbranch_execz .LBB339_267
; %bb.262:
	v_cmp_le_u32_e32 vcc, v14, v15
	s_and_saveexec_b64 s[6:7], vcc
	s_xor_b64 s[6:7], exec, s[6:7]
	s_cbranch_execz .LBB339_264
; %bb.263:
	v_lshlrev_b32_e32 v15, 2, v0
	ds_read_b32 v15, v15 offset:2048
	v_add_co_u32_e32 v16, vcc, v1, v0
	v_addc_co_u32_e32 v17, vcc, 0, v8, vcc
	v_lshlrev_b64 v[16:17], 2, v[16:17]
	v_mov_b32_e32 v18, s9
	v_sub_co_u32_e32 v16, vcc, s8, v16
	v_subb_co_u32_e32 v17, vcc, v18, v17, vcc
	s_waitcnt lgkmcnt(0)
	global_store_dword v[16:17], v15, off offset:-2048
.LBB339_264:
	s_andn2_saveexec_b64 s[6:7], s[6:7]
	s_cbranch_execz .LBB339_266
; %bb.265:
	v_lshlrev_b32_e32 v15, 2, v0
	ds_read_b32 v16, v15 offset:2048
	v_readfirstlane_b32 s10, v10
	v_readfirstlane_b32 s11, v11
	s_waitcnt lgkmcnt(0)
	s_nop 3
	global_store_dword v15, v16, s[10:11] offset:2048
.LBB339_266:
	s_or_b64 exec, exec, s[6:7]
.LBB339_267:
	s_andn2_saveexec_b64 s[4:5], s[4:5]
	s_cbranch_execz .LBB339_269
; %bb.268:
	v_lshlrev_b32_e32 v15, 2, v0
	ds_read_b32 v16, v15 offset:2048
	v_readfirstlane_b32 s4, v12
	v_readfirstlane_b32 s5, v13
	s_waitcnt lgkmcnt(0)
	s_nop 3
	global_store_dword v15, v16, s[4:5] offset:2048
.LBB339_269:
	;; [unrolled: 51-line block ×3, first 2 shown]
	s_or_b64 exec, exec, s[2:3]
	v_or_b32_e32 v15, 0x400, v0
	v_cmp_gt_u32_e32 vcc, s16, v15
	s_and_saveexec_b64 s[2:3], vcc
	s_cbranch_execz .LBB339_287
; %bb.279:
	v_cmp_le_u32_e32 vcc, v6, v15
	s_and_saveexec_b64 s[4:5], vcc
	s_xor_b64 s[4:5], exec, s[4:5]
	s_cbranch_execz .LBB339_285
; %bb.280:
	v_cmp_le_u32_e32 vcc, v14, v15
	s_and_saveexec_b64 s[6:7], vcc
	s_xor_b64 s[6:7], exec, s[6:7]
	s_cbranch_execz .LBB339_282
; %bb.281:
	v_lshlrev_b32_e32 v15, 2, v0
	ds_read_b32 v15, v15 offset:4096
	v_add_co_u32_e32 v16, vcc, v1, v0
	v_addc_co_u32_e32 v17, vcc, 0, v8, vcc
	v_lshlrev_b64 v[16:17], 2, v[16:17]
	v_mov_b32_e32 v18, s9
	v_sub_co_u32_e32 v16, vcc, s8, v16
	v_subb_co_u32_e32 v17, vcc, v18, v17, vcc
	s_waitcnt lgkmcnt(0)
	global_store_dword v[16:17], v15, off offset:-4096
                                        ; implicit-def: $vgpr15
.LBB339_282:
	s_andn2_saveexec_b64 s[6:7], s[6:7]
	s_cbranch_execz .LBB339_284
; %bb.283:
	v_lshlrev_b32_e32 v16, 2, v0
	ds_read_b32 v16, v16 offset:4096
	v_lshlrev_b32_e32 v15, 2, v15
	v_readfirstlane_b32 s10, v10
	v_readfirstlane_b32 s11, v11
	s_waitcnt lgkmcnt(0)
	s_nop 3
	global_store_dword v15, v16, s[10:11]
.LBB339_284:
	s_or_b64 exec, exec, s[6:7]
                                        ; implicit-def: $vgpr15
.LBB339_285:
	s_andn2_saveexec_b64 s[4:5], s[4:5]
	s_cbranch_execz .LBB339_287
; %bb.286:
	v_lshlrev_b32_e32 v16, 2, v0
	ds_read_b32 v16, v16 offset:4096
	v_lshlrev_b32_e32 v15, 2, v15
	v_readfirstlane_b32 s4, v12
	v_readfirstlane_b32 s5, v13
	s_waitcnt lgkmcnt(0)
	s_nop 3
	global_store_dword v15, v16, s[4:5]
.LBB339_287:
	s_or_b64 exec, exec, s[2:3]
	v_or_b32_e32 v15, 0x500, v0
	v_cmp_gt_u32_e32 vcc, s16, v15
	s_and_saveexec_b64 s[2:3], vcc
	s_cbranch_execz .LBB339_296
; %bb.288:
	v_cmp_le_u32_e32 vcc, v6, v15
	s_and_saveexec_b64 s[4:5], vcc
	s_xor_b64 s[4:5], exec, s[4:5]
	s_cbranch_execz .LBB339_294
; %bb.289:
	v_cmp_le_u32_e32 vcc, v14, v15
	s_and_saveexec_b64 s[6:7], vcc
	s_xor_b64 s[6:7], exec, s[6:7]
	s_cbranch_execz .LBB339_291
; %bb.290:
	v_add_co_u32_e32 v16, vcc, v1, v15
	v_lshlrev_b32_e32 v15, 2, v0
	ds_read_b32 v15, v15 offset:5120
	v_addc_co_u32_e32 v17, vcc, 0, v8, vcc
	v_lshlrev_b64 v[16:17], 2, v[16:17]
	v_mov_b32_e32 v18, s9
	v_sub_co_u32_e32 v16, vcc, s8, v16
	v_subb_co_u32_e32 v17, vcc, v18, v17, vcc
	s_waitcnt lgkmcnt(0)
	global_store_dword v[16:17], v15, off
                                        ; implicit-def: $vgpr15
.LBB339_291:
	s_andn2_saveexec_b64 s[6:7], s[6:7]
	s_cbranch_execz .LBB339_293
; %bb.292:
	v_lshlrev_b32_e32 v16, 2, v0
	ds_read_b32 v16, v16 offset:5120
	v_lshlrev_b32_e32 v15, 2, v15
	v_readfirstlane_b32 s10, v10
	v_readfirstlane_b32 s11, v11
	s_waitcnt lgkmcnt(0)
	s_nop 3
	global_store_dword v15, v16, s[10:11]
.LBB339_293:
	s_or_b64 exec, exec, s[6:7]
                                        ; implicit-def: $vgpr15
.LBB339_294:
	s_andn2_saveexec_b64 s[4:5], s[4:5]
	s_cbranch_execz .LBB339_296
; %bb.295:
	v_lshlrev_b32_e32 v16, 2, v0
	ds_read_b32 v16, v16 offset:5120
	v_lshlrev_b32_e32 v15, 2, v15
	v_readfirstlane_b32 s4, v12
	v_readfirstlane_b32 s5, v13
	s_waitcnt lgkmcnt(0)
	s_nop 3
	global_store_dword v15, v16, s[4:5]
.LBB339_296:
	s_or_b64 exec, exec, s[2:3]
	v_or_b32_e32 v15, 0x600, v0
	v_cmp_gt_u32_e32 vcc, s16, v15
	s_and_saveexec_b64 s[2:3], vcc
	s_cbranch_execz .LBB339_305
; %bb.297:
	v_cmp_le_u32_e32 vcc, v6, v15
	s_and_saveexec_b64 s[4:5], vcc
	s_xor_b64 s[4:5], exec, s[4:5]
	s_cbranch_execz .LBB339_303
; %bb.298:
	v_cmp_le_u32_e32 vcc, v14, v15
	s_and_saveexec_b64 s[6:7], vcc
	s_xor_b64 s[6:7], exec, s[6:7]
	s_cbranch_execz .LBB339_300
; %bb.299:
	v_add_co_u32_e32 v16, vcc, v1, v15
	v_lshlrev_b32_e32 v15, 2, v0
	ds_read_b32 v15, v15 offset:6144
	v_addc_co_u32_e32 v17, vcc, 0, v8, vcc
	v_lshlrev_b64 v[16:17], 2, v[16:17]
	v_mov_b32_e32 v18, s9
	v_sub_co_u32_e32 v16, vcc, s8, v16
	v_subb_co_u32_e32 v17, vcc, v18, v17, vcc
	s_waitcnt lgkmcnt(0)
	global_store_dword v[16:17], v15, off
                                        ; implicit-def: $vgpr15
.LBB339_300:
	s_andn2_saveexec_b64 s[6:7], s[6:7]
	s_cbranch_execz .LBB339_302
; %bb.301:
	v_lshlrev_b32_e32 v16, 2, v0
	ds_read_b32 v16, v16 offset:6144
	v_lshlrev_b32_e32 v15, 2, v15
	v_readfirstlane_b32 s10, v10
	v_readfirstlane_b32 s11, v11
	s_waitcnt lgkmcnt(0)
	s_nop 3
	global_store_dword v15, v16, s[10:11]
.LBB339_302:
	s_or_b64 exec, exec, s[6:7]
                                        ; implicit-def: $vgpr15
.LBB339_303:
	s_andn2_saveexec_b64 s[4:5], s[4:5]
	s_cbranch_execz .LBB339_305
; %bb.304:
	v_lshlrev_b32_e32 v16, 2, v0
	ds_read_b32 v16, v16 offset:6144
	v_lshlrev_b32_e32 v15, 2, v15
	v_readfirstlane_b32 s4, v12
	v_readfirstlane_b32 s5, v13
	s_waitcnt lgkmcnt(0)
	s_nop 3
	global_store_dword v15, v16, s[4:5]
.LBB339_305:
	;; [unrolled: 55-line block ×7, first 2 shown]
	s_or_b64 exec, exec, s[2:3]
	v_or_b32_e32 v15, 0xc00, v0
	v_cmp_gt_u32_e32 vcc, s16, v15
	s_and_saveexec_b64 s[2:3], vcc
	s_cbranch_execz .LBB339_359
; %bb.351:
	v_cmp_le_u32_e32 vcc, v6, v15
	s_and_saveexec_b64 s[4:5], vcc
	s_xor_b64 s[4:5], exec, s[4:5]
	s_cbranch_execz .LBB339_357
; %bb.352:
	v_cmp_le_u32_e32 vcc, v14, v15
	s_and_saveexec_b64 s[6:7], vcc
	s_xor_b64 s[6:7], exec, s[6:7]
	s_cbranch_execz .LBB339_354
; %bb.353:
	v_add_co_u32_e32 v10, vcc, v1, v15
	v_lshlrev_b32_e32 v0, 2, v0
	v_addc_co_u32_e32 v11, vcc, 0, v8, vcc
	ds_read_b32 v8, v0 offset:12288
	v_lshlrev_b64 v[0:1], 2, v[10:11]
	v_mov_b32_e32 v10, s9
	v_sub_co_u32_e32 v0, vcc, s8, v0
	v_subb_co_u32_e32 v1, vcc, v10, v1, vcc
	s_waitcnt lgkmcnt(0)
	global_store_dword v[0:1], v8, off
                                        ; implicit-def: $vgpr0
                                        ; implicit-def: $vgpr15
                                        ; implicit-def: $vgpr10_vgpr11
.LBB339_354:
	s_andn2_saveexec_b64 s[6:7], s[6:7]
	s_cbranch_execz .LBB339_356
; %bb.355:
	v_lshlrev_b32_e32 v0, 2, v0
	ds_read_b32 v0, v0 offset:12288
	v_lshlrev_b32_e32 v1, 2, v15
	v_readfirstlane_b32 s8, v10
	v_readfirstlane_b32 s9, v11
	s_waitcnt lgkmcnt(0)
	s_nop 3
	global_store_dword v1, v0, s[8:9]
.LBB339_356:
	s_or_b64 exec, exec, s[6:7]
                                        ; implicit-def: $vgpr0
                                        ; implicit-def: $vgpr15
                                        ; implicit-def: $vgpr12_vgpr13
.LBB339_357:
	s_andn2_saveexec_b64 s[4:5], s[4:5]
	s_cbranch_execz .LBB339_359
; %bb.358:
	v_lshlrev_b32_e32 v0, 2, v0
	ds_read_b32 v0, v0 offset:12288
	v_lshlrev_b32_e32 v1, 2, v15
	v_readfirstlane_b32 s4, v12
	v_readfirstlane_b32 s5, v13
	s_waitcnt lgkmcnt(0)
	s_nop 3
	global_store_dword v1, v0, s[4:5]
.LBB339_359:
	s_or_b64 exec, exec, s[2:3]
	s_and_b64 s[0:1], s[0:1], s[30:31]
	s_and_saveexec_b64 s[2:3], s[0:1]
	s_cbranch_execz .LBB339_136
.LBB339_360:
	v_add_co_u32_e32 v0, vcc, v2, v6
	v_addc_co_u32_e32 v1, vcc, 0, v3, vcc
	v_add_co_u32_e32 v2, vcc, v4, v7
	v_addc_co_u32_e32 v3, vcc, 0, v5, vcc
	v_add_co_u32_e32 v2, vcc, v2, v9
	v_mov_b32_e32 v8, 0
	v_addc_co_u32_e32 v3, vcc, 0, v3, vcc
	global_store_dwordx4 v8, v[0:3], s[28:29]
	s_endpgm
	.section	.rodata,"a",@progbits
	.p2align	6, 0x0
	.amdhsa_kernel _ZN7rocprim17ROCPRIM_400000_NS6detail17trampoline_kernelINS0_13select_configILj256ELj13ELNS0_17block_load_methodE3ELS4_3ELS4_3ELNS0_20block_scan_algorithmE0ELj4294967295EEENS1_25partition_config_selectorILNS1_17partition_subalgoE4EjNS0_10empty_typeEbEEZZNS1_14partition_implILS8_4ELb0ES6_15HIP_vector_typeIjLj2EENS0_17counting_iteratorIjlEEPS9_SG_NS0_5tupleIJPjSI_NS0_16reverse_iteratorISI_EEEEENSH_IJSG_SG_SG_EEES9_SI_JZNS1_25segmented_radix_sort_implINS0_14default_configELb0EPKaPaPKlPlN2at6native12_GLOBAL__N_18offset_tEEE10hipError_tPvRmT1_PNSt15iterator_traitsIS12_E10value_typeET2_T3_PNS13_IS18_E10value_typeET4_jRbjT5_S1E_jjP12ihipStream_tbEUljE_ZNSN_ISO_Lb0ESQ_SR_ST_SU_SY_EESZ_S10_S11_S12_S16_S17_S18_S1B_S1C_jS1D_jS1E_S1E_jjS1G_bEUljE0_EEESZ_S10_S11_S18_S1C_S1E_T6_T7_T9_mT8_S1G_bDpT10_ENKUlT_T0_E_clISt17integral_constantIbLb1EES1U_EEDaS1P_S1Q_EUlS1P_E_NS1_11comp_targetILNS1_3genE4ELNS1_11target_archE910ELNS1_3gpuE8ELNS1_3repE0EEENS1_30default_config_static_selectorELNS0_4arch9wavefront6targetE1EEEvS12_
		.amdhsa_group_segment_fixed_size 13340
		.amdhsa_private_segment_fixed_size 0
		.amdhsa_kernarg_size 184
		.amdhsa_user_sgpr_count 6
		.amdhsa_user_sgpr_private_segment_buffer 1
		.amdhsa_user_sgpr_dispatch_ptr 0
		.amdhsa_user_sgpr_queue_ptr 0
		.amdhsa_user_sgpr_kernarg_segment_ptr 1
		.amdhsa_user_sgpr_dispatch_id 0
		.amdhsa_user_sgpr_flat_scratch_init 0
		.amdhsa_user_sgpr_kernarg_preload_length 0
		.amdhsa_user_sgpr_kernarg_preload_offset 0
		.amdhsa_user_sgpr_private_segment_size 0
		.amdhsa_uses_dynamic_stack 0
		.amdhsa_system_sgpr_private_segment_wavefront_offset 0
		.amdhsa_system_sgpr_workgroup_id_x 1
		.amdhsa_system_sgpr_workgroup_id_y 0
		.amdhsa_system_sgpr_workgroup_id_z 0
		.amdhsa_system_sgpr_workgroup_info 0
		.amdhsa_system_vgpr_workitem_id 0
		.amdhsa_next_free_vgpr 107
		.amdhsa_next_free_sgpr 87
		.amdhsa_accum_offset 108
		.amdhsa_reserve_vcc 1
		.amdhsa_reserve_flat_scratch 0
		.amdhsa_float_round_mode_32 0
		.amdhsa_float_round_mode_16_64 0
		.amdhsa_float_denorm_mode_32 3
		.amdhsa_float_denorm_mode_16_64 3
		.amdhsa_dx10_clamp 1
		.amdhsa_ieee_mode 1
		.amdhsa_fp16_overflow 0
		.amdhsa_tg_split 0
		.amdhsa_exception_fp_ieee_invalid_op 0
		.amdhsa_exception_fp_denorm_src 0
		.amdhsa_exception_fp_ieee_div_zero 0
		.amdhsa_exception_fp_ieee_overflow 0
		.amdhsa_exception_fp_ieee_underflow 0
		.amdhsa_exception_fp_ieee_inexact 0
		.amdhsa_exception_int_div_zero 0
	.end_amdhsa_kernel
	.section	.text._ZN7rocprim17ROCPRIM_400000_NS6detail17trampoline_kernelINS0_13select_configILj256ELj13ELNS0_17block_load_methodE3ELS4_3ELS4_3ELNS0_20block_scan_algorithmE0ELj4294967295EEENS1_25partition_config_selectorILNS1_17partition_subalgoE4EjNS0_10empty_typeEbEEZZNS1_14partition_implILS8_4ELb0ES6_15HIP_vector_typeIjLj2EENS0_17counting_iteratorIjlEEPS9_SG_NS0_5tupleIJPjSI_NS0_16reverse_iteratorISI_EEEEENSH_IJSG_SG_SG_EEES9_SI_JZNS1_25segmented_radix_sort_implINS0_14default_configELb0EPKaPaPKlPlN2at6native12_GLOBAL__N_18offset_tEEE10hipError_tPvRmT1_PNSt15iterator_traitsIS12_E10value_typeET2_T3_PNS13_IS18_E10value_typeET4_jRbjT5_S1E_jjP12ihipStream_tbEUljE_ZNSN_ISO_Lb0ESQ_SR_ST_SU_SY_EESZ_S10_S11_S12_S16_S17_S18_S1B_S1C_jS1D_jS1E_S1E_jjS1G_bEUljE0_EEESZ_S10_S11_S18_S1C_S1E_T6_T7_T9_mT8_S1G_bDpT10_ENKUlT_T0_E_clISt17integral_constantIbLb1EES1U_EEDaS1P_S1Q_EUlS1P_E_NS1_11comp_targetILNS1_3genE4ELNS1_11target_archE910ELNS1_3gpuE8ELNS1_3repE0EEENS1_30default_config_static_selectorELNS0_4arch9wavefront6targetE1EEEvS12_,"axG",@progbits,_ZN7rocprim17ROCPRIM_400000_NS6detail17trampoline_kernelINS0_13select_configILj256ELj13ELNS0_17block_load_methodE3ELS4_3ELS4_3ELNS0_20block_scan_algorithmE0ELj4294967295EEENS1_25partition_config_selectorILNS1_17partition_subalgoE4EjNS0_10empty_typeEbEEZZNS1_14partition_implILS8_4ELb0ES6_15HIP_vector_typeIjLj2EENS0_17counting_iteratorIjlEEPS9_SG_NS0_5tupleIJPjSI_NS0_16reverse_iteratorISI_EEEEENSH_IJSG_SG_SG_EEES9_SI_JZNS1_25segmented_radix_sort_implINS0_14default_configELb0EPKaPaPKlPlN2at6native12_GLOBAL__N_18offset_tEEE10hipError_tPvRmT1_PNSt15iterator_traitsIS12_E10value_typeET2_T3_PNS13_IS18_E10value_typeET4_jRbjT5_S1E_jjP12ihipStream_tbEUljE_ZNSN_ISO_Lb0ESQ_SR_ST_SU_SY_EESZ_S10_S11_S12_S16_S17_S18_S1B_S1C_jS1D_jS1E_S1E_jjS1G_bEUljE0_EEESZ_S10_S11_S18_S1C_S1E_T6_T7_T9_mT8_S1G_bDpT10_ENKUlT_T0_E_clISt17integral_constantIbLb1EES1U_EEDaS1P_S1Q_EUlS1P_E_NS1_11comp_targetILNS1_3genE4ELNS1_11target_archE910ELNS1_3gpuE8ELNS1_3repE0EEENS1_30default_config_static_selectorELNS0_4arch9wavefront6targetE1EEEvS12_,comdat
.Lfunc_end339:
	.size	_ZN7rocprim17ROCPRIM_400000_NS6detail17trampoline_kernelINS0_13select_configILj256ELj13ELNS0_17block_load_methodE3ELS4_3ELS4_3ELNS0_20block_scan_algorithmE0ELj4294967295EEENS1_25partition_config_selectorILNS1_17partition_subalgoE4EjNS0_10empty_typeEbEEZZNS1_14partition_implILS8_4ELb0ES6_15HIP_vector_typeIjLj2EENS0_17counting_iteratorIjlEEPS9_SG_NS0_5tupleIJPjSI_NS0_16reverse_iteratorISI_EEEEENSH_IJSG_SG_SG_EEES9_SI_JZNS1_25segmented_radix_sort_implINS0_14default_configELb0EPKaPaPKlPlN2at6native12_GLOBAL__N_18offset_tEEE10hipError_tPvRmT1_PNSt15iterator_traitsIS12_E10value_typeET2_T3_PNS13_IS18_E10value_typeET4_jRbjT5_S1E_jjP12ihipStream_tbEUljE_ZNSN_ISO_Lb0ESQ_SR_ST_SU_SY_EESZ_S10_S11_S12_S16_S17_S18_S1B_S1C_jS1D_jS1E_S1E_jjS1G_bEUljE0_EEESZ_S10_S11_S18_S1C_S1E_T6_T7_T9_mT8_S1G_bDpT10_ENKUlT_T0_E_clISt17integral_constantIbLb1EES1U_EEDaS1P_S1Q_EUlS1P_E_NS1_11comp_targetILNS1_3genE4ELNS1_11target_archE910ELNS1_3gpuE8ELNS1_3repE0EEENS1_30default_config_static_selectorELNS0_4arch9wavefront6targetE1EEEvS12_, .Lfunc_end339-_ZN7rocprim17ROCPRIM_400000_NS6detail17trampoline_kernelINS0_13select_configILj256ELj13ELNS0_17block_load_methodE3ELS4_3ELS4_3ELNS0_20block_scan_algorithmE0ELj4294967295EEENS1_25partition_config_selectorILNS1_17partition_subalgoE4EjNS0_10empty_typeEbEEZZNS1_14partition_implILS8_4ELb0ES6_15HIP_vector_typeIjLj2EENS0_17counting_iteratorIjlEEPS9_SG_NS0_5tupleIJPjSI_NS0_16reverse_iteratorISI_EEEEENSH_IJSG_SG_SG_EEES9_SI_JZNS1_25segmented_radix_sort_implINS0_14default_configELb0EPKaPaPKlPlN2at6native12_GLOBAL__N_18offset_tEEE10hipError_tPvRmT1_PNSt15iterator_traitsIS12_E10value_typeET2_T3_PNS13_IS18_E10value_typeET4_jRbjT5_S1E_jjP12ihipStream_tbEUljE_ZNSN_ISO_Lb0ESQ_SR_ST_SU_SY_EESZ_S10_S11_S12_S16_S17_S18_S1B_S1C_jS1D_jS1E_S1E_jjS1G_bEUljE0_EEESZ_S10_S11_S18_S1C_S1E_T6_T7_T9_mT8_S1G_bDpT10_ENKUlT_T0_E_clISt17integral_constantIbLb1EES1U_EEDaS1P_S1Q_EUlS1P_E_NS1_11comp_targetILNS1_3genE4ELNS1_11target_archE910ELNS1_3gpuE8ELNS1_3repE0EEENS1_30default_config_static_selectorELNS0_4arch9wavefront6targetE1EEEvS12_
                                        ; -- End function
	.section	.AMDGPU.csdata,"",@progbits
; Kernel info:
; codeLenInByte = 13512
; NumSgprs: 91
; NumVgprs: 107
; NumAgprs: 0
; TotalNumVgprs: 107
; ScratchSize: 0
; MemoryBound: 0
; FloatMode: 240
; IeeeMode: 1
; LDSByteSize: 13340 bytes/workgroup (compile time only)
; SGPRBlocks: 11
; VGPRBlocks: 13
; NumSGPRsForWavesPerEU: 91
; NumVGPRsForWavesPerEU: 107
; AccumOffset: 108
; Occupancy: 4
; WaveLimiterHint : 1
; COMPUTE_PGM_RSRC2:SCRATCH_EN: 0
; COMPUTE_PGM_RSRC2:USER_SGPR: 6
; COMPUTE_PGM_RSRC2:TRAP_HANDLER: 0
; COMPUTE_PGM_RSRC2:TGID_X_EN: 1
; COMPUTE_PGM_RSRC2:TGID_Y_EN: 0
; COMPUTE_PGM_RSRC2:TGID_Z_EN: 0
; COMPUTE_PGM_RSRC2:TIDIG_COMP_CNT: 0
; COMPUTE_PGM_RSRC3_GFX90A:ACCUM_OFFSET: 26
; COMPUTE_PGM_RSRC3_GFX90A:TG_SPLIT: 0
	.section	.text._ZN7rocprim17ROCPRIM_400000_NS6detail17trampoline_kernelINS0_13select_configILj256ELj13ELNS0_17block_load_methodE3ELS4_3ELS4_3ELNS0_20block_scan_algorithmE0ELj4294967295EEENS1_25partition_config_selectorILNS1_17partition_subalgoE4EjNS0_10empty_typeEbEEZZNS1_14partition_implILS8_4ELb0ES6_15HIP_vector_typeIjLj2EENS0_17counting_iteratorIjlEEPS9_SG_NS0_5tupleIJPjSI_NS0_16reverse_iteratorISI_EEEEENSH_IJSG_SG_SG_EEES9_SI_JZNS1_25segmented_radix_sort_implINS0_14default_configELb0EPKaPaPKlPlN2at6native12_GLOBAL__N_18offset_tEEE10hipError_tPvRmT1_PNSt15iterator_traitsIS12_E10value_typeET2_T3_PNS13_IS18_E10value_typeET4_jRbjT5_S1E_jjP12ihipStream_tbEUljE_ZNSN_ISO_Lb0ESQ_SR_ST_SU_SY_EESZ_S10_S11_S12_S16_S17_S18_S1B_S1C_jS1D_jS1E_S1E_jjS1G_bEUljE0_EEESZ_S10_S11_S18_S1C_S1E_T6_T7_T9_mT8_S1G_bDpT10_ENKUlT_T0_E_clISt17integral_constantIbLb1EES1U_EEDaS1P_S1Q_EUlS1P_E_NS1_11comp_targetILNS1_3genE3ELNS1_11target_archE908ELNS1_3gpuE7ELNS1_3repE0EEENS1_30default_config_static_selectorELNS0_4arch9wavefront6targetE1EEEvS12_,"axG",@progbits,_ZN7rocprim17ROCPRIM_400000_NS6detail17trampoline_kernelINS0_13select_configILj256ELj13ELNS0_17block_load_methodE3ELS4_3ELS4_3ELNS0_20block_scan_algorithmE0ELj4294967295EEENS1_25partition_config_selectorILNS1_17partition_subalgoE4EjNS0_10empty_typeEbEEZZNS1_14partition_implILS8_4ELb0ES6_15HIP_vector_typeIjLj2EENS0_17counting_iteratorIjlEEPS9_SG_NS0_5tupleIJPjSI_NS0_16reverse_iteratorISI_EEEEENSH_IJSG_SG_SG_EEES9_SI_JZNS1_25segmented_radix_sort_implINS0_14default_configELb0EPKaPaPKlPlN2at6native12_GLOBAL__N_18offset_tEEE10hipError_tPvRmT1_PNSt15iterator_traitsIS12_E10value_typeET2_T3_PNS13_IS18_E10value_typeET4_jRbjT5_S1E_jjP12ihipStream_tbEUljE_ZNSN_ISO_Lb0ESQ_SR_ST_SU_SY_EESZ_S10_S11_S12_S16_S17_S18_S1B_S1C_jS1D_jS1E_S1E_jjS1G_bEUljE0_EEESZ_S10_S11_S18_S1C_S1E_T6_T7_T9_mT8_S1G_bDpT10_ENKUlT_T0_E_clISt17integral_constantIbLb1EES1U_EEDaS1P_S1Q_EUlS1P_E_NS1_11comp_targetILNS1_3genE3ELNS1_11target_archE908ELNS1_3gpuE7ELNS1_3repE0EEENS1_30default_config_static_selectorELNS0_4arch9wavefront6targetE1EEEvS12_,comdat
	.globl	_ZN7rocprim17ROCPRIM_400000_NS6detail17trampoline_kernelINS0_13select_configILj256ELj13ELNS0_17block_load_methodE3ELS4_3ELS4_3ELNS0_20block_scan_algorithmE0ELj4294967295EEENS1_25partition_config_selectorILNS1_17partition_subalgoE4EjNS0_10empty_typeEbEEZZNS1_14partition_implILS8_4ELb0ES6_15HIP_vector_typeIjLj2EENS0_17counting_iteratorIjlEEPS9_SG_NS0_5tupleIJPjSI_NS0_16reverse_iteratorISI_EEEEENSH_IJSG_SG_SG_EEES9_SI_JZNS1_25segmented_radix_sort_implINS0_14default_configELb0EPKaPaPKlPlN2at6native12_GLOBAL__N_18offset_tEEE10hipError_tPvRmT1_PNSt15iterator_traitsIS12_E10value_typeET2_T3_PNS13_IS18_E10value_typeET4_jRbjT5_S1E_jjP12ihipStream_tbEUljE_ZNSN_ISO_Lb0ESQ_SR_ST_SU_SY_EESZ_S10_S11_S12_S16_S17_S18_S1B_S1C_jS1D_jS1E_S1E_jjS1G_bEUljE0_EEESZ_S10_S11_S18_S1C_S1E_T6_T7_T9_mT8_S1G_bDpT10_ENKUlT_T0_E_clISt17integral_constantIbLb1EES1U_EEDaS1P_S1Q_EUlS1P_E_NS1_11comp_targetILNS1_3genE3ELNS1_11target_archE908ELNS1_3gpuE7ELNS1_3repE0EEENS1_30default_config_static_selectorELNS0_4arch9wavefront6targetE1EEEvS12_ ; -- Begin function _ZN7rocprim17ROCPRIM_400000_NS6detail17trampoline_kernelINS0_13select_configILj256ELj13ELNS0_17block_load_methodE3ELS4_3ELS4_3ELNS0_20block_scan_algorithmE0ELj4294967295EEENS1_25partition_config_selectorILNS1_17partition_subalgoE4EjNS0_10empty_typeEbEEZZNS1_14partition_implILS8_4ELb0ES6_15HIP_vector_typeIjLj2EENS0_17counting_iteratorIjlEEPS9_SG_NS0_5tupleIJPjSI_NS0_16reverse_iteratorISI_EEEEENSH_IJSG_SG_SG_EEES9_SI_JZNS1_25segmented_radix_sort_implINS0_14default_configELb0EPKaPaPKlPlN2at6native12_GLOBAL__N_18offset_tEEE10hipError_tPvRmT1_PNSt15iterator_traitsIS12_E10value_typeET2_T3_PNS13_IS18_E10value_typeET4_jRbjT5_S1E_jjP12ihipStream_tbEUljE_ZNSN_ISO_Lb0ESQ_SR_ST_SU_SY_EESZ_S10_S11_S12_S16_S17_S18_S1B_S1C_jS1D_jS1E_S1E_jjS1G_bEUljE0_EEESZ_S10_S11_S18_S1C_S1E_T6_T7_T9_mT8_S1G_bDpT10_ENKUlT_T0_E_clISt17integral_constantIbLb1EES1U_EEDaS1P_S1Q_EUlS1P_E_NS1_11comp_targetILNS1_3genE3ELNS1_11target_archE908ELNS1_3gpuE7ELNS1_3repE0EEENS1_30default_config_static_selectorELNS0_4arch9wavefront6targetE1EEEvS12_
	.p2align	8
	.type	_ZN7rocprim17ROCPRIM_400000_NS6detail17trampoline_kernelINS0_13select_configILj256ELj13ELNS0_17block_load_methodE3ELS4_3ELS4_3ELNS0_20block_scan_algorithmE0ELj4294967295EEENS1_25partition_config_selectorILNS1_17partition_subalgoE4EjNS0_10empty_typeEbEEZZNS1_14partition_implILS8_4ELb0ES6_15HIP_vector_typeIjLj2EENS0_17counting_iteratorIjlEEPS9_SG_NS0_5tupleIJPjSI_NS0_16reverse_iteratorISI_EEEEENSH_IJSG_SG_SG_EEES9_SI_JZNS1_25segmented_radix_sort_implINS0_14default_configELb0EPKaPaPKlPlN2at6native12_GLOBAL__N_18offset_tEEE10hipError_tPvRmT1_PNSt15iterator_traitsIS12_E10value_typeET2_T3_PNS13_IS18_E10value_typeET4_jRbjT5_S1E_jjP12ihipStream_tbEUljE_ZNSN_ISO_Lb0ESQ_SR_ST_SU_SY_EESZ_S10_S11_S12_S16_S17_S18_S1B_S1C_jS1D_jS1E_S1E_jjS1G_bEUljE0_EEESZ_S10_S11_S18_S1C_S1E_T6_T7_T9_mT8_S1G_bDpT10_ENKUlT_T0_E_clISt17integral_constantIbLb1EES1U_EEDaS1P_S1Q_EUlS1P_E_NS1_11comp_targetILNS1_3genE3ELNS1_11target_archE908ELNS1_3gpuE7ELNS1_3repE0EEENS1_30default_config_static_selectorELNS0_4arch9wavefront6targetE1EEEvS12_,@function
_ZN7rocprim17ROCPRIM_400000_NS6detail17trampoline_kernelINS0_13select_configILj256ELj13ELNS0_17block_load_methodE3ELS4_3ELS4_3ELNS0_20block_scan_algorithmE0ELj4294967295EEENS1_25partition_config_selectorILNS1_17partition_subalgoE4EjNS0_10empty_typeEbEEZZNS1_14partition_implILS8_4ELb0ES6_15HIP_vector_typeIjLj2EENS0_17counting_iteratorIjlEEPS9_SG_NS0_5tupleIJPjSI_NS0_16reverse_iteratorISI_EEEEENSH_IJSG_SG_SG_EEES9_SI_JZNS1_25segmented_radix_sort_implINS0_14default_configELb0EPKaPaPKlPlN2at6native12_GLOBAL__N_18offset_tEEE10hipError_tPvRmT1_PNSt15iterator_traitsIS12_E10value_typeET2_T3_PNS13_IS18_E10value_typeET4_jRbjT5_S1E_jjP12ihipStream_tbEUljE_ZNSN_ISO_Lb0ESQ_SR_ST_SU_SY_EESZ_S10_S11_S12_S16_S17_S18_S1B_S1C_jS1D_jS1E_S1E_jjS1G_bEUljE0_EEESZ_S10_S11_S18_S1C_S1E_T6_T7_T9_mT8_S1G_bDpT10_ENKUlT_T0_E_clISt17integral_constantIbLb1EES1U_EEDaS1P_S1Q_EUlS1P_E_NS1_11comp_targetILNS1_3genE3ELNS1_11target_archE908ELNS1_3gpuE7ELNS1_3repE0EEENS1_30default_config_static_selectorELNS0_4arch9wavefront6targetE1EEEvS12_: ; @_ZN7rocprim17ROCPRIM_400000_NS6detail17trampoline_kernelINS0_13select_configILj256ELj13ELNS0_17block_load_methodE3ELS4_3ELS4_3ELNS0_20block_scan_algorithmE0ELj4294967295EEENS1_25partition_config_selectorILNS1_17partition_subalgoE4EjNS0_10empty_typeEbEEZZNS1_14partition_implILS8_4ELb0ES6_15HIP_vector_typeIjLj2EENS0_17counting_iteratorIjlEEPS9_SG_NS0_5tupleIJPjSI_NS0_16reverse_iteratorISI_EEEEENSH_IJSG_SG_SG_EEES9_SI_JZNS1_25segmented_radix_sort_implINS0_14default_configELb0EPKaPaPKlPlN2at6native12_GLOBAL__N_18offset_tEEE10hipError_tPvRmT1_PNSt15iterator_traitsIS12_E10value_typeET2_T3_PNS13_IS18_E10value_typeET4_jRbjT5_S1E_jjP12ihipStream_tbEUljE_ZNSN_ISO_Lb0ESQ_SR_ST_SU_SY_EESZ_S10_S11_S12_S16_S17_S18_S1B_S1C_jS1D_jS1E_S1E_jjS1G_bEUljE0_EEESZ_S10_S11_S18_S1C_S1E_T6_T7_T9_mT8_S1G_bDpT10_ENKUlT_T0_E_clISt17integral_constantIbLb1EES1U_EEDaS1P_S1Q_EUlS1P_E_NS1_11comp_targetILNS1_3genE3ELNS1_11target_archE908ELNS1_3gpuE7ELNS1_3repE0EEENS1_30default_config_static_selectorELNS0_4arch9wavefront6targetE1EEEvS12_
; %bb.0:
	.section	.rodata,"a",@progbits
	.p2align	6, 0x0
	.amdhsa_kernel _ZN7rocprim17ROCPRIM_400000_NS6detail17trampoline_kernelINS0_13select_configILj256ELj13ELNS0_17block_load_methodE3ELS4_3ELS4_3ELNS0_20block_scan_algorithmE0ELj4294967295EEENS1_25partition_config_selectorILNS1_17partition_subalgoE4EjNS0_10empty_typeEbEEZZNS1_14partition_implILS8_4ELb0ES6_15HIP_vector_typeIjLj2EENS0_17counting_iteratorIjlEEPS9_SG_NS0_5tupleIJPjSI_NS0_16reverse_iteratorISI_EEEEENSH_IJSG_SG_SG_EEES9_SI_JZNS1_25segmented_radix_sort_implINS0_14default_configELb0EPKaPaPKlPlN2at6native12_GLOBAL__N_18offset_tEEE10hipError_tPvRmT1_PNSt15iterator_traitsIS12_E10value_typeET2_T3_PNS13_IS18_E10value_typeET4_jRbjT5_S1E_jjP12ihipStream_tbEUljE_ZNSN_ISO_Lb0ESQ_SR_ST_SU_SY_EESZ_S10_S11_S12_S16_S17_S18_S1B_S1C_jS1D_jS1E_S1E_jjS1G_bEUljE0_EEESZ_S10_S11_S18_S1C_S1E_T6_T7_T9_mT8_S1G_bDpT10_ENKUlT_T0_E_clISt17integral_constantIbLb1EES1U_EEDaS1P_S1Q_EUlS1P_E_NS1_11comp_targetILNS1_3genE3ELNS1_11target_archE908ELNS1_3gpuE7ELNS1_3repE0EEENS1_30default_config_static_selectorELNS0_4arch9wavefront6targetE1EEEvS12_
		.amdhsa_group_segment_fixed_size 0
		.amdhsa_private_segment_fixed_size 0
		.amdhsa_kernarg_size 184
		.amdhsa_user_sgpr_count 6
		.amdhsa_user_sgpr_private_segment_buffer 1
		.amdhsa_user_sgpr_dispatch_ptr 0
		.amdhsa_user_sgpr_queue_ptr 0
		.amdhsa_user_sgpr_kernarg_segment_ptr 1
		.amdhsa_user_sgpr_dispatch_id 0
		.amdhsa_user_sgpr_flat_scratch_init 0
		.amdhsa_user_sgpr_kernarg_preload_length 0
		.amdhsa_user_sgpr_kernarg_preload_offset 0
		.amdhsa_user_sgpr_private_segment_size 0
		.amdhsa_uses_dynamic_stack 0
		.amdhsa_system_sgpr_private_segment_wavefront_offset 0
		.amdhsa_system_sgpr_workgroup_id_x 1
		.amdhsa_system_sgpr_workgroup_id_y 0
		.amdhsa_system_sgpr_workgroup_id_z 0
		.amdhsa_system_sgpr_workgroup_info 0
		.amdhsa_system_vgpr_workitem_id 0
		.amdhsa_next_free_vgpr 1
		.amdhsa_next_free_sgpr 0
		.amdhsa_accum_offset 4
		.amdhsa_reserve_vcc 0
		.amdhsa_reserve_flat_scratch 0
		.amdhsa_float_round_mode_32 0
		.amdhsa_float_round_mode_16_64 0
		.amdhsa_float_denorm_mode_32 3
		.amdhsa_float_denorm_mode_16_64 3
		.amdhsa_dx10_clamp 1
		.amdhsa_ieee_mode 1
		.amdhsa_fp16_overflow 0
		.amdhsa_tg_split 0
		.amdhsa_exception_fp_ieee_invalid_op 0
		.amdhsa_exception_fp_denorm_src 0
		.amdhsa_exception_fp_ieee_div_zero 0
		.amdhsa_exception_fp_ieee_overflow 0
		.amdhsa_exception_fp_ieee_underflow 0
		.amdhsa_exception_fp_ieee_inexact 0
		.amdhsa_exception_int_div_zero 0
	.end_amdhsa_kernel
	.section	.text._ZN7rocprim17ROCPRIM_400000_NS6detail17trampoline_kernelINS0_13select_configILj256ELj13ELNS0_17block_load_methodE3ELS4_3ELS4_3ELNS0_20block_scan_algorithmE0ELj4294967295EEENS1_25partition_config_selectorILNS1_17partition_subalgoE4EjNS0_10empty_typeEbEEZZNS1_14partition_implILS8_4ELb0ES6_15HIP_vector_typeIjLj2EENS0_17counting_iteratorIjlEEPS9_SG_NS0_5tupleIJPjSI_NS0_16reverse_iteratorISI_EEEEENSH_IJSG_SG_SG_EEES9_SI_JZNS1_25segmented_radix_sort_implINS0_14default_configELb0EPKaPaPKlPlN2at6native12_GLOBAL__N_18offset_tEEE10hipError_tPvRmT1_PNSt15iterator_traitsIS12_E10value_typeET2_T3_PNS13_IS18_E10value_typeET4_jRbjT5_S1E_jjP12ihipStream_tbEUljE_ZNSN_ISO_Lb0ESQ_SR_ST_SU_SY_EESZ_S10_S11_S12_S16_S17_S18_S1B_S1C_jS1D_jS1E_S1E_jjS1G_bEUljE0_EEESZ_S10_S11_S18_S1C_S1E_T6_T7_T9_mT8_S1G_bDpT10_ENKUlT_T0_E_clISt17integral_constantIbLb1EES1U_EEDaS1P_S1Q_EUlS1P_E_NS1_11comp_targetILNS1_3genE3ELNS1_11target_archE908ELNS1_3gpuE7ELNS1_3repE0EEENS1_30default_config_static_selectorELNS0_4arch9wavefront6targetE1EEEvS12_,"axG",@progbits,_ZN7rocprim17ROCPRIM_400000_NS6detail17trampoline_kernelINS0_13select_configILj256ELj13ELNS0_17block_load_methodE3ELS4_3ELS4_3ELNS0_20block_scan_algorithmE0ELj4294967295EEENS1_25partition_config_selectorILNS1_17partition_subalgoE4EjNS0_10empty_typeEbEEZZNS1_14partition_implILS8_4ELb0ES6_15HIP_vector_typeIjLj2EENS0_17counting_iteratorIjlEEPS9_SG_NS0_5tupleIJPjSI_NS0_16reverse_iteratorISI_EEEEENSH_IJSG_SG_SG_EEES9_SI_JZNS1_25segmented_radix_sort_implINS0_14default_configELb0EPKaPaPKlPlN2at6native12_GLOBAL__N_18offset_tEEE10hipError_tPvRmT1_PNSt15iterator_traitsIS12_E10value_typeET2_T3_PNS13_IS18_E10value_typeET4_jRbjT5_S1E_jjP12ihipStream_tbEUljE_ZNSN_ISO_Lb0ESQ_SR_ST_SU_SY_EESZ_S10_S11_S12_S16_S17_S18_S1B_S1C_jS1D_jS1E_S1E_jjS1G_bEUljE0_EEESZ_S10_S11_S18_S1C_S1E_T6_T7_T9_mT8_S1G_bDpT10_ENKUlT_T0_E_clISt17integral_constantIbLb1EES1U_EEDaS1P_S1Q_EUlS1P_E_NS1_11comp_targetILNS1_3genE3ELNS1_11target_archE908ELNS1_3gpuE7ELNS1_3repE0EEENS1_30default_config_static_selectorELNS0_4arch9wavefront6targetE1EEEvS12_,comdat
.Lfunc_end340:
	.size	_ZN7rocprim17ROCPRIM_400000_NS6detail17trampoline_kernelINS0_13select_configILj256ELj13ELNS0_17block_load_methodE3ELS4_3ELS4_3ELNS0_20block_scan_algorithmE0ELj4294967295EEENS1_25partition_config_selectorILNS1_17partition_subalgoE4EjNS0_10empty_typeEbEEZZNS1_14partition_implILS8_4ELb0ES6_15HIP_vector_typeIjLj2EENS0_17counting_iteratorIjlEEPS9_SG_NS0_5tupleIJPjSI_NS0_16reverse_iteratorISI_EEEEENSH_IJSG_SG_SG_EEES9_SI_JZNS1_25segmented_radix_sort_implINS0_14default_configELb0EPKaPaPKlPlN2at6native12_GLOBAL__N_18offset_tEEE10hipError_tPvRmT1_PNSt15iterator_traitsIS12_E10value_typeET2_T3_PNS13_IS18_E10value_typeET4_jRbjT5_S1E_jjP12ihipStream_tbEUljE_ZNSN_ISO_Lb0ESQ_SR_ST_SU_SY_EESZ_S10_S11_S12_S16_S17_S18_S1B_S1C_jS1D_jS1E_S1E_jjS1G_bEUljE0_EEESZ_S10_S11_S18_S1C_S1E_T6_T7_T9_mT8_S1G_bDpT10_ENKUlT_T0_E_clISt17integral_constantIbLb1EES1U_EEDaS1P_S1Q_EUlS1P_E_NS1_11comp_targetILNS1_3genE3ELNS1_11target_archE908ELNS1_3gpuE7ELNS1_3repE0EEENS1_30default_config_static_selectorELNS0_4arch9wavefront6targetE1EEEvS12_, .Lfunc_end340-_ZN7rocprim17ROCPRIM_400000_NS6detail17trampoline_kernelINS0_13select_configILj256ELj13ELNS0_17block_load_methodE3ELS4_3ELS4_3ELNS0_20block_scan_algorithmE0ELj4294967295EEENS1_25partition_config_selectorILNS1_17partition_subalgoE4EjNS0_10empty_typeEbEEZZNS1_14partition_implILS8_4ELb0ES6_15HIP_vector_typeIjLj2EENS0_17counting_iteratorIjlEEPS9_SG_NS0_5tupleIJPjSI_NS0_16reverse_iteratorISI_EEEEENSH_IJSG_SG_SG_EEES9_SI_JZNS1_25segmented_radix_sort_implINS0_14default_configELb0EPKaPaPKlPlN2at6native12_GLOBAL__N_18offset_tEEE10hipError_tPvRmT1_PNSt15iterator_traitsIS12_E10value_typeET2_T3_PNS13_IS18_E10value_typeET4_jRbjT5_S1E_jjP12ihipStream_tbEUljE_ZNSN_ISO_Lb0ESQ_SR_ST_SU_SY_EESZ_S10_S11_S12_S16_S17_S18_S1B_S1C_jS1D_jS1E_S1E_jjS1G_bEUljE0_EEESZ_S10_S11_S18_S1C_S1E_T6_T7_T9_mT8_S1G_bDpT10_ENKUlT_T0_E_clISt17integral_constantIbLb1EES1U_EEDaS1P_S1Q_EUlS1P_E_NS1_11comp_targetILNS1_3genE3ELNS1_11target_archE908ELNS1_3gpuE7ELNS1_3repE0EEENS1_30default_config_static_selectorELNS0_4arch9wavefront6targetE1EEEvS12_
                                        ; -- End function
	.section	.AMDGPU.csdata,"",@progbits
; Kernel info:
; codeLenInByte = 0
; NumSgprs: 4
; NumVgprs: 0
; NumAgprs: 0
; TotalNumVgprs: 0
; ScratchSize: 0
; MemoryBound: 0
; FloatMode: 240
; IeeeMode: 1
; LDSByteSize: 0 bytes/workgroup (compile time only)
; SGPRBlocks: 0
; VGPRBlocks: 0
; NumSGPRsForWavesPerEU: 4
; NumVGPRsForWavesPerEU: 1
; AccumOffset: 4
; Occupancy: 8
; WaveLimiterHint : 0
; COMPUTE_PGM_RSRC2:SCRATCH_EN: 0
; COMPUTE_PGM_RSRC2:USER_SGPR: 6
; COMPUTE_PGM_RSRC2:TRAP_HANDLER: 0
; COMPUTE_PGM_RSRC2:TGID_X_EN: 1
; COMPUTE_PGM_RSRC2:TGID_Y_EN: 0
; COMPUTE_PGM_RSRC2:TGID_Z_EN: 0
; COMPUTE_PGM_RSRC2:TIDIG_COMP_CNT: 0
; COMPUTE_PGM_RSRC3_GFX90A:ACCUM_OFFSET: 0
; COMPUTE_PGM_RSRC3_GFX90A:TG_SPLIT: 0
	.section	.text._ZN7rocprim17ROCPRIM_400000_NS6detail17trampoline_kernelINS0_13select_configILj256ELj13ELNS0_17block_load_methodE3ELS4_3ELS4_3ELNS0_20block_scan_algorithmE0ELj4294967295EEENS1_25partition_config_selectorILNS1_17partition_subalgoE4EjNS0_10empty_typeEbEEZZNS1_14partition_implILS8_4ELb0ES6_15HIP_vector_typeIjLj2EENS0_17counting_iteratorIjlEEPS9_SG_NS0_5tupleIJPjSI_NS0_16reverse_iteratorISI_EEEEENSH_IJSG_SG_SG_EEES9_SI_JZNS1_25segmented_radix_sort_implINS0_14default_configELb0EPKaPaPKlPlN2at6native12_GLOBAL__N_18offset_tEEE10hipError_tPvRmT1_PNSt15iterator_traitsIS12_E10value_typeET2_T3_PNS13_IS18_E10value_typeET4_jRbjT5_S1E_jjP12ihipStream_tbEUljE_ZNSN_ISO_Lb0ESQ_SR_ST_SU_SY_EESZ_S10_S11_S12_S16_S17_S18_S1B_S1C_jS1D_jS1E_S1E_jjS1G_bEUljE0_EEESZ_S10_S11_S18_S1C_S1E_T6_T7_T9_mT8_S1G_bDpT10_ENKUlT_T0_E_clISt17integral_constantIbLb1EES1U_EEDaS1P_S1Q_EUlS1P_E_NS1_11comp_targetILNS1_3genE2ELNS1_11target_archE906ELNS1_3gpuE6ELNS1_3repE0EEENS1_30default_config_static_selectorELNS0_4arch9wavefront6targetE1EEEvS12_,"axG",@progbits,_ZN7rocprim17ROCPRIM_400000_NS6detail17trampoline_kernelINS0_13select_configILj256ELj13ELNS0_17block_load_methodE3ELS4_3ELS4_3ELNS0_20block_scan_algorithmE0ELj4294967295EEENS1_25partition_config_selectorILNS1_17partition_subalgoE4EjNS0_10empty_typeEbEEZZNS1_14partition_implILS8_4ELb0ES6_15HIP_vector_typeIjLj2EENS0_17counting_iteratorIjlEEPS9_SG_NS0_5tupleIJPjSI_NS0_16reverse_iteratorISI_EEEEENSH_IJSG_SG_SG_EEES9_SI_JZNS1_25segmented_radix_sort_implINS0_14default_configELb0EPKaPaPKlPlN2at6native12_GLOBAL__N_18offset_tEEE10hipError_tPvRmT1_PNSt15iterator_traitsIS12_E10value_typeET2_T3_PNS13_IS18_E10value_typeET4_jRbjT5_S1E_jjP12ihipStream_tbEUljE_ZNSN_ISO_Lb0ESQ_SR_ST_SU_SY_EESZ_S10_S11_S12_S16_S17_S18_S1B_S1C_jS1D_jS1E_S1E_jjS1G_bEUljE0_EEESZ_S10_S11_S18_S1C_S1E_T6_T7_T9_mT8_S1G_bDpT10_ENKUlT_T0_E_clISt17integral_constantIbLb1EES1U_EEDaS1P_S1Q_EUlS1P_E_NS1_11comp_targetILNS1_3genE2ELNS1_11target_archE906ELNS1_3gpuE6ELNS1_3repE0EEENS1_30default_config_static_selectorELNS0_4arch9wavefront6targetE1EEEvS12_,comdat
	.globl	_ZN7rocprim17ROCPRIM_400000_NS6detail17trampoline_kernelINS0_13select_configILj256ELj13ELNS0_17block_load_methodE3ELS4_3ELS4_3ELNS0_20block_scan_algorithmE0ELj4294967295EEENS1_25partition_config_selectorILNS1_17partition_subalgoE4EjNS0_10empty_typeEbEEZZNS1_14partition_implILS8_4ELb0ES6_15HIP_vector_typeIjLj2EENS0_17counting_iteratorIjlEEPS9_SG_NS0_5tupleIJPjSI_NS0_16reverse_iteratorISI_EEEEENSH_IJSG_SG_SG_EEES9_SI_JZNS1_25segmented_radix_sort_implINS0_14default_configELb0EPKaPaPKlPlN2at6native12_GLOBAL__N_18offset_tEEE10hipError_tPvRmT1_PNSt15iterator_traitsIS12_E10value_typeET2_T3_PNS13_IS18_E10value_typeET4_jRbjT5_S1E_jjP12ihipStream_tbEUljE_ZNSN_ISO_Lb0ESQ_SR_ST_SU_SY_EESZ_S10_S11_S12_S16_S17_S18_S1B_S1C_jS1D_jS1E_S1E_jjS1G_bEUljE0_EEESZ_S10_S11_S18_S1C_S1E_T6_T7_T9_mT8_S1G_bDpT10_ENKUlT_T0_E_clISt17integral_constantIbLb1EES1U_EEDaS1P_S1Q_EUlS1P_E_NS1_11comp_targetILNS1_3genE2ELNS1_11target_archE906ELNS1_3gpuE6ELNS1_3repE0EEENS1_30default_config_static_selectorELNS0_4arch9wavefront6targetE1EEEvS12_ ; -- Begin function _ZN7rocprim17ROCPRIM_400000_NS6detail17trampoline_kernelINS0_13select_configILj256ELj13ELNS0_17block_load_methodE3ELS4_3ELS4_3ELNS0_20block_scan_algorithmE0ELj4294967295EEENS1_25partition_config_selectorILNS1_17partition_subalgoE4EjNS0_10empty_typeEbEEZZNS1_14partition_implILS8_4ELb0ES6_15HIP_vector_typeIjLj2EENS0_17counting_iteratorIjlEEPS9_SG_NS0_5tupleIJPjSI_NS0_16reverse_iteratorISI_EEEEENSH_IJSG_SG_SG_EEES9_SI_JZNS1_25segmented_radix_sort_implINS0_14default_configELb0EPKaPaPKlPlN2at6native12_GLOBAL__N_18offset_tEEE10hipError_tPvRmT1_PNSt15iterator_traitsIS12_E10value_typeET2_T3_PNS13_IS18_E10value_typeET4_jRbjT5_S1E_jjP12ihipStream_tbEUljE_ZNSN_ISO_Lb0ESQ_SR_ST_SU_SY_EESZ_S10_S11_S12_S16_S17_S18_S1B_S1C_jS1D_jS1E_S1E_jjS1G_bEUljE0_EEESZ_S10_S11_S18_S1C_S1E_T6_T7_T9_mT8_S1G_bDpT10_ENKUlT_T0_E_clISt17integral_constantIbLb1EES1U_EEDaS1P_S1Q_EUlS1P_E_NS1_11comp_targetILNS1_3genE2ELNS1_11target_archE906ELNS1_3gpuE6ELNS1_3repE0EEENS1_30default_config_static_selectorELNS0_4arch9wavefront6targetE1EEEvS12_
	.p2align	8
	.type	_ZN7rocprim17ROCPRIM_400000_NS6detail17trampoline_kernelINS0_13select_configILj256ELj13ELNS0_17block_load_methodE3ELS4_3ELS4_3ELNS0_20block_scan_algorithmE0ELj4294967295EEENS1_25partition_config_selectorILNS1_17partition_subalgoE4EjNS0_10empty_typeEbEEZZNS1_14partition_implILS8_4ELb0ES6_15HIP_vector_typeIjLj2EENS0_17counting_iteratorIjlEEPS9_SG_NS0_5tupleIJPjSI_NS0_16reverse_iteratorISI_EEEEENSH_IJSG_SG_SG_EEES9_SI_JZNS1_25segmented_radix_sort_implINS0_14default_configELb0EPKaPaPKlPlN2at6native12_GLOBAL__N_18offset_tEEE10hipError_tPvRmT1_PNSt15iterator_traitsIS12_E10value_typeET2_T3_PNS13_IS18_E10value_typeET4_jRbjT5_S1E_jjP12ihipStream_tbEUljE_ZNSN_ISO_Lb0ESQ_SR_ST_SU_SY_EESZ_S10_S11_S12_S16_S17_S18_S1B_S1C_jS1D_jS1E_S1E_jjS1G_bEUljE0_EEESZ_S10_S11_S18_S1C_S1E_T6_T7_T9_mT8_S1G_bDpT10_ENKUlT_T0_E_clISt17integral_constantIbLb1EES1U_EEDaS1P_S1Q_EUlS1P_E_NS1_11comp_targetILNS1_3genE2ELNS1_11target_archE906ELNS1_3gpuE6ELNS1_3repE0EEENS1_30default_config_static_selectorELNS0_4arch9wavefront6targetE1EEEvS12_,@function
_ZN7rocprim17ROCPRIM_400000_NS6detail17trampoline_kernelINS0_13select_configILj256ELj13ELNS0_17block_load_methodE3ELS4_3ELS4_3ELNS0_20block_scan_algorithmE0ELj4294967295EEENS1_25partition_config_selectorILNS1_17partition_subalgoE4EjNS0_10empty_typeEbEEZZNS1_14partition_implILS8_4ELb0ES6_15HIP_vector_typeIjLj2EENS0_17counting_iteratorIjlEEPS9_SG_NS0_5tupleIJPjSI_NS0_16reverse_iteratorISI_EEEEENSH_IJSG_SG_SG_EEES9_SI_JZNS1_25segmented_radix_sort_implINS0_14default_configELb0EPKaPaPKlPlN2at6native12_GLOBAL__N_18offset_tEEE10hipError_tPvRmT1_PNSt15iterator_traitsIS12_E10value_typeET2_T3_PNS13_IS18_E10value_typeET4_jRbjT5_S1E_jjP12ihipStream_tbEUljE_ZNSN_ISO_Lb0ESQ_SR_ST_SU_SY_EESZ_S10_S11_S12_S16_S17_S18_S1B_S1C_jS1D_jS1E_S1E_jjS1G_bEUljE0_EEESZ_S10_S11_S18_S1C_S1E_T6_T7_T9_mT8_S1G_bDpT10_ENKUlT_T0_E_clISt17integral_constantIbLb1EES1U_EEDaS1P_S1Q_EUlS1P_E_NS1_11comp_targetILNS1_3genE2ELNS1_11target_archE906ELNS1_3gpuE6ELNS1_3repE0EEENS1_30default_config_static_selectorELNS0_4arch9wavefront6targetE1EEEvS12_: ; @_ZN7rocprim17ROCPRIM_400000_NS6detail17trampoline_kernelINS0_13select_configILj256ELj13ELNS0_17block_load_methodE3ELS4_3ELS4_3ELNS0_20block_scan_algorithmE0ELj4294967295EEENS1_25partition_config_selectorILNS1_17partition_subalgoE4EjNS0_10empty_typeEbEEZZNS1_14partition_implILS8_4ELb0ES6_15HIP_vector_typeIjLj2EENS0_17counting_iteratorIjlEEPS9_SG_NS0_5tupleIJPjSI_NS0_16reverse_iteratorISI_EEEEENSH_IJSG_SG_SG_EEES9_SI_JZNS1_25segmented_radix_sort_implINS0_14default_configELb0EPKaPaPKlPlN2at6native12_GLOBAL__N_18offset_tEEE10hipError_tPvRmT1_PNSt15iterator_traitsIS12_E10value_typeET2_T3_PNS13_IS18_E10value_typeET4_jRbjT5_S1E_jjP12ihipStream_tbEUljE_ZNSN_ISO_Lb0ESQ_SR_ST_SU_SY_EESZ_S10_S11_S12_S16_S17_S18_S1B_S1C_jS1D_jS1E_S1E_jjS1G_bEUljE0_EEESZ_S10_S11_S18_S1C_S1E_T6_T7_T9_mT8_S1G_bDpT10_ENKUlT_T0_E_clISt17integral_constantIbLb1EES1U_EEDaS1P_S1Q_EUlS1P_E_NS1_11comp_targetILNS1_3genE2ELNS1_11target_archE906ELNS1_3gpuE6ELNS1_3repE0EEENS1_30default_config_static_selectorELNS0_4arch9wavefront6targetE1EEEvS12_
; %bb.0:
	.section	.rodata,"a",@progbits
	.p2align	6, 0x0
	.amdhsa_kernel _ZN7rocprim17ROCPRIM_400000_NS6detail17trampoline_kernelINS0_13select_configILj256ELj13ELNS0_17block_load_methodE3ELS4_3ELS4_3ELNS0_20block_scan_algorithmE0ELj4294967295EEENS1_25partition_config_selectorILNS1_17partition_subalgoE4EjNS0_10empty_typeEbEEZZNS1_14partition_implILS8_4ELb0ES6_15HIP_vector_typeIjLj2EENS0_17counting_iteratorIjlEEPS9_SG_NS0_5tupleIJPjSI_NS0_16reverse_iteratorISI_EEEEENSH_IJSG_SG_SG_EEES9_SI_JZNS1_25segmented_radix_sort_implINS0_14default_configELb0EPKaPaPKlPlN2at6native12_GLOBAL__N_18offset_tEEE10hipError_tPvRmT1_PNSt15iterator_traitsIS12_E10value_typeET2_T3_PNS13_IS18_E10value_typeET4_jRbjT5_S1E_jjP12ihipStream_tbEUljE_ZNSN_ISO_Lb0ESQ_SR_ST_SU_SY_EESZ_S10_S11_S12_S16_S17_S18_S1B_S1C_jS1D_jS1E_S1E_jjS1G_bEUljE0_EEESZ_S10_S11_S18_S1C_S1E_T6_T7_T9_mT8_S1G_bDpT10_ENKUlT_T0_E_clISt17integral_constantIbLb1EES1U_EEDaS1P_S1Q_EUlS1P_E_NS1_11comp_targetILNS1_3genE2ELNS1_11target_archE906ELNS1_3gpuE6ELNS1_3repE0EEENS1_30default_config_static_selectorELNS0_4arch9wavefront6targetE1EEEvS12_
		.amdhsa_group_segment_fixed_size 0
		.amdhsa_private_segment_fixed_size 0
		.amdhsa_kernarg_size 184
		.amdhsa_user_sgpr_count 6
		.amdhsa_user_sgpr_private_segment_buffer 1
		.amdhsa_user_sgpr_dispatch_ptr 0
		.amdhsa_user_sgpr_queue_ptr 0
		.amdhsa_user_sgpr_kernarg_segment_ptr 1
		.amdhsa_user_sgpr_dispatch_id 0
		.amdhsa_user_sgpr_flat_scratch_init 0
		.amdhsa_user_sgpr_kernarg_preload_length 0
		.amdhsa_user_sgpr_kernarg_preload_offset 0
		.amdhsa_user_sgpr_private_segment_size 0
		.amdhsa_uses_dynamic_stack 0
		.amdhsa_system_sgpr_private_segment_wavefront_offset 0
		.amdhsa_system_sgpr_workgroup_id_x 1
		.amdhsa_system_sgpr_workgroup_id_y 0
		.amdhsa_system_sgpr_workgroup_id_z 0
		.amdhsa_system_sgpr_workgroup_info 0
		.amdhsa_system_vgpr_workitem_id 0
		.amdhsa_next_free_vgpr 1
		.amdhsa_next_free_sgpr 0
		.amdhsa_accum_offset 4
		.amdhsa_reserve_vcc 0
		.amdhsa_reserve_flat_scratch 0
		.amdhsa_float_round_mode_32 0
		.amdhsa_float_round_mode_16_64 0
		.amdhsa_float_denorm_mode_32 3
		.amdhsa_float_denorm_mode_16_64 3
		.amdhsa_dx10_clamp 1
		.amdhsa_ieee_mode 1
		.amdhsa_fp16_overflow 0
		.amdhsa_tg_split 0
		.amdhsa_exception_fp_ieee_invalid_op 0
		.amdhsa_exception_fp_denorm_src 0
		.amdhsa_exception_fp_ieee_div_zero 0
		.amdhsa_exception_fp_ieee_overflow 0
		.amdhsa_exception_fp_ieee_underflow 0
		.amdhsa_exception_fp_ieee_inexact 0
		.amdhsa_exception_int_div_zero 0
	.end_amdhsa_kernel
	.section	.text._ZN7rocprim17ROCPRIM_400000_NS6detail17trampoline_kernelINS0_13select_configILj256ELj13ELNS0_17block_load_methodE3ELS4_3ELS4_3ELNS0_20block_scan_algorithmE0ELj4294967295EEENS1_25partition_config_selectorILNS1_17partition_subalgoE4EjNS0_10empty_typeEbEEZZNS1_14partition_implILS8_4ELb0ES6_15HIP_vector_typeIjLj2EENS0_17counting_iteratorIjlEEPS9_SG_NS0_5tupleIJPjSI_NS0_16reverse_iteratorISI_EEEEENSH_IJSG_SG_SG_EEES9_SI_JZNS1_25segmented_radix_sort_implINS0_14default_configELb0EPKaPaPKlPlN2at6native12_GLOBAL__N_18offset_tEEE10hipError_tPvRmT1_PNSt15iterator_traitsIS12_E10value_typeET2_T3_PNS13_IS18_E10value_typeET4_jRbjT5_S1E_jjP12ihipStream_tbEUljE_ZNSN_ISO_Lb0ESQ_SR_ST_SU_SY_EESZ_S10_S11_S12_S16_S17_S18_S1B_S1C_jS1D_jS1E_S1E_jjS1G_bEUljE0_EEESZ_S10_S11_S18_S1C_S1E_T6_T7_T9_mT8_S1G_bDpT10_ENKUlT_T0_E_clISt17integral_constantIbLb1EES1U_EEDaS1P_S1Q_EUlS1P_E_NS1_11comp_targetILNS1_3genE2ELNS1_11target_archE906ELNS1_3gpuE6ELNS1_3repE0EEENS1_30default_config_static_selectorELNS0_4arch9wavefront6targetE1EEEvS12_,"axG",@progbits,_ZN7rocprim17ROCPRIM_400000_NS6detail17trampoline_kernelINS0_13select_configILj256ELj13ELNS0_17block_load_methodE3ELS4_3ELS4_3ELNS0_20block_scan_algorithmE0ELj4294967295EEENS1_25partition_config_selectorILNS1_17partition_subalgoE4EjNS0_10empty_typeEbEEZZNS1_14partition_implILS8_4ELb0ES6_15HIP_vector_typeIjLj2EENS0_17counting_iteratorIjlEEPS9_SG_NS0_5tupleIJPjSI_NS0_16reverse_iteratorISI_EEEEENSH_IJSG_SG_SG_EEES9_SI_JZNS1_25segmented_radix_sort_implINS0_14default_configELb0EPKaPaPKlPlN2at6native12_GLOBAL__N_18offset_tEEE10hipError_tPvRmT1_PNSt15iterator_traitsIS12_E10value_typeET2_T3_PNS13_IS18_E10value_typeET4_jRbjT5_S1E_jjP12ihipStream_tbEUljE_ZNSN_ISO_Lb0ESQ_SR_ST_SU_SY_EESZ_S10_S11_S12_S16_S17_S18_S1B_S1C_jS1D_jS1E_S1E_jjS1G_bEUljE0_EEESZ_S10_S11_S18_S1C_S1E_T6_T7_T9_mT8_S1G_bDpT10_ENKUlT_T0_E_clISt17integral_constantIbLb1EES1U_EEDaS1P_S1Q_EUlS1P_E_NS1_11comp_targetILNS1_3genE2ELNS1_11target_archE906ELNS1_3gpuE6ELNS1_3repE0EEENS1_30default_config_static_selectorELNS0_4arch9wavefront6targetE1EEEvS12_,comdat
.Lfunc_end341:
	.size	_ZN7rocprim17ROCPRIM_400000_NS6detail17trampoline_kernelINS0_13select_configILj256ELj13ELNS0_17block_load_methodE3ELS4_3ELS4_3ELNS0_20block_scan_algorithmE0ELj4294967295EEENS1_25partition_config_selectorILNS1_17partition_subalgoE4EjNS0_10empty_typeEbEEZZNS1_14partition_implILS8_4ELb0ES6_15HIP_vector_typeIjLj2EENS0_17counting_iteratorIjlEEPS9_SG_NS0_5tupleIJPjSI_NS0_16reverse_iteratorISI_EEEEENSH_IJSG_SG_SG_EEES9_SI_JZNS1_25segmented_radix_sort_implINS0_14default_configELb0EPKaPaPKlPlN2at6native12_GLOBAL__N_18offset_tEEE10hipError_tPvRmT1_PNSt15iterator_traitsIS12_E10value_typeET2_T3_PNS13_IS18_E10value_typeET4_jRbjT5_S1E_jjP12ihipStream_tbEUljE_ZNSN_ISO_Lb0ESQ_SR_ST_SU_SY_EESZ_S10_S11_S12_S16_S17_S18_S1B_S1C_jS1D_jS1E_S1E_jjS1G_bEUljE0_EEESZ_S10_S11_S18_S1C_S1E_T6_T7_T9_mT8_S1G_bDpT10_ENKUlT_T0_E_clISt17integral_constantIbLb1EES1U_EEDaS1P_S1Q_EUlS1P_E_NS1_11comp_targetILNS1_3genE2ELNS1_11target_archE906ELNS1_3gpuE6ELNS1_3repE0EEENS1_30default_config_static_selectorELNS0_4arch9wavefront6targetE1EEEvS12_, .Lfunc_end341-_ZN7rocprim17ROCPRIM_400000_NS6detail17trampoline_kernelINS0_13select_configILj256ELj13ELNS0_17block_load_methodE3ELS4_3ELS4_3ELNS0_20block_scan_algorithmE0ELj4294967295EEENS1_25partition_config_selectorILNS1_17partition_subalgoE4EjNS0_10empty_typeEbEEZZNS1_14partition_implILS8_4ELb0ES6_15HIP_vector_typeIjLj2EENS0_17counting_iteratorIjlEEPS9_SG_NS0_5tupleIJPjSI_NS0_16reverse_iteratorISI_EEEEENSH_IJSG_SG_SG_EEES9_SI_JZNS1_25segmented_radix_sort_implINS0_14default_configELb0EPKaPaPKlPlN2at6native12_GLOBAL__N_18offset_tEEE10hipError_tPvRmT1_PNSt15iterator_traitsIS12_E10value_typeET2_T3_PNS13_IS18_E10value_typeET4_jRbjT5_S1E_jjP12ihipStream_tbEUljE_ZNSN_ISO_Lb0ESQ_SR_ST_SU_SY_EESZ_S10_S11_S12_S16_S17_S18_S1B_S1C_jS1D_jS1E_S1E_jjS1G_bEUljE0_EEESZ_S10_S11_S18_S1C_S1E_T6_T7_T9_mT8_S1G_bDpT10_ENKUlT_T0_E_clISt17integral_constantIbLb1EES1U_EEDaS1P_S1Q_EUlS1P_E_NS1_11comp_targetILNS1_3genE2ELNS1_11target_archE906ELNS1_3gpuE6ELNS1_3repE0EEENS1_30default_config_static_selectorELNS0_4arch9wavefront6targetE1EEEvS12_
                                        ; -- End function
	.section	.AMDGPU.csdata,"",@progbits
; Kernel info:
; codeLenInByte = 0
; NumSgprs: 4
; NumVgprs: 0
; NumAgprs: 0
; TotalNumVgprs: 0
; ScratchSize: 0
; MemoryBound: 0
; FloatMode: 240
; IeeeMode: 1
; LDSByteSize: 0 bytes/workgroup (compile time only)
; SGPRBlocks: 0
; VGPRBlocks: 0
; NumSGPRsForWavesPerEU: 4
; NumVGPRsForWavesPerEU: 1
; AccumOffset: 4
; Occupancy: 8
; WaveLimiterHint : 0
; COMPUTE_PGM_RSRC2:SCRATCH_EN: 0
; COMPUTE_PGM_RSRC2:USER_SGPR: 6
; COMPUTE_PGM_RSRC2:TRAP_HANDLER: 0
; COMPUTE_PGM_RSRC2:TGID_X_EN: 1
; COMPUTE_PGM_RSRC2:TGID_Y_EN: 0
; COMPUTE_PGM_RSRC2:TGID_Z_EN: 0
; COMPUTE_PGM_RSRC2:TIDIG_COMP_CNT: 0
; COMPUTE_PGM_RSRC3_GFX90A:ACCUM_OFFSET: 0
; COMPUTE_PGM_RSRC3_GFX90A:TG_SPLIT: 0
	.section	.text._ZN7rocprim17ROCPRIM_400000_NS6detail17trampoline_kernelINS0_13select_configILj256ELj13ELNS0_17block_load_methodE3ELS4_3ELS4_3ELNS0_20block_scan_algorithmE0ELj4294967295EEENS1_25partition_config_selectorILNS1_17partition_subalgoE4EjNS0_10empty_typeEbEEZZNS1_14partition_implILS8_4ELb0ES6_15HIP_vector_typeIjLj2EENS0_17counting_iteratorIjlEEPS9_SG_NS0_5tupleIJPjSI_NS0_16reverse_iteratorISI_EEEEENSH_IJSG_SG_SG_EEES9_SI_JZNS1_25segmented_radix_sort_implINS0_14default_configELb0EPKaPaPKlPlN2at6native12_GLOBAL__N_18offset_tEEE10hipError_tPvRmT1_PNSt15iterator_traitsIS12_E10value_typeET2_T3_PNS13_IS18_E10value_typeET4_jRbjT5_S1E_jjP12ihipStream_tbEUljE_ZNSN_ISO_Lb0ESQ_SR_ST_SU_SY_EESZ_S10_S11_S12_S16_S17_S18_S1B_S1C_jS1D_jS1E_S1E_jjS1G_bEUljE0_EEESZ_S10_S11_S18_S1C_S1E_T6_T7_T9_mT8_S1G_bDpT10_ENKUlT_T0_E_clISt17integral_constantIbLb1EES1U_EEDaS1P_S1Q_EUlS1P_E_NS1_11comp_targetILNS1_3genE10ELNS1_11target_archE1200ELNS1_3gpuE4ELNS1_3repE0EEENS1_30default_config_static_selectorELNS0_4arch9wavefront6targetE1EEEvS12_,"axG",@progbits,_ZN7rocprim17ROCPRIM_400000_NS6detail17trampoline_kernelINS0_13select_configILj256ELj13ELNS0_17block_load_methodE3ELS4_3ELS4_3ELNS0_20block_scan_algorithmE0ELj4294967295EEENS1_25partition_config_selectorILNS1_17partition_subalgoE4EjNS0_10empty_typeEbEEZZNS1_14partition_implILS8_4ELb0ES6_15HIP_vector_typeIjLj2EENS0_17counting_iteratorIjlEEPS9_SG_NS0_5tupleIJPjSI_NS0_16reverse_iteratorISI_EEEEENSH_IJSG_SG_SG_EEES9_SI_JZNS1_25segmented_radix_sort_implINS0_14default_configELb0EPKaPaPKlPlN2at6native12_GLOBAL__N_18offset_tEEE10hipError_tPvRmT1_PNSt15iterator_traitsIS12_E10value_typeET2_T3_PNS13_IS18_E10value_typeET4_jRbjT5_S1E_jjP12ihipStream_tbEUljE_ZNSN_ISO_Lb0ESQ_SR_ST_SU_SY_EESZ_S10_S11_S12_S16_S17_S18_S1B_S1C_jS1D_jS1E_S1E_jjS1G_bEUljE0_EEESZ_S10_S11_S18_S1C_S1E_T6_T7_T9_mT8_S1G_bDpT10_ENKUlT_T0_E_clISt17integral_constantIbLb1EES1U_EEDaS1P_S1Q_EUlS1P_E_NS1_11comp_targetILNS1_3genE10ELNS1_11target_archE1200ELNS1_3gpuE4ELNS1_3repE0EEENS1_30default_config_static_selectorELNS0_4arch9wavefront6targetE1EEEvS12_,comdat
	.globl	_ZN7rocprim17ROCPRIM_400000_NS6detail17trampoline_kernelINS0_13select_configILj256ELj13ELNS0_17block_load_methodE3ELS4_3ELS4_3ELNS0_20block_scan_algorithmE0ELj4294967295EEENS1_25partition_config_selectorILNS1_17partition_subalgoE4EjNS0_10empty_typeEbEEZZNS1_14partition_implILS8_4ELb0ES6_15HIP_vector_typeIjLj2EENS0_17counting_iteratorIjlEEPS9_SG_NS0_5tupleIJPjSI_NS0_16reverse_iteratorISI_EEEEENSH_IJSG_SG_SG_EEES9_SI_JZNS1_25segmented_radix_sort_implINS0_14default_configELb0EPKaPaPKlPlN2at6native12_GLOBAL__N_18offset_tEEE10hipError_tPvRmT1_PNSt15iterator_traitsIS12_E10value_typeET2_T3_PNS13_IS18_E10value_typeET4_jRbjT5_S1E_jjP12ihipStream_tbEUljE_ZNSN_ISO_Lb0ESQ_SR_ST_SU_SY_EESZ_S10_S11_S12_S16_S17_S18_S1B_S1C_jS1D_jS1E_S1E_jjS1G_bEUljE0_EEESZ_S10_S11_S18_S1C_S1E_T6_T7_T9_mT8_S1G_bDpT10_ENKUlT_T0_E_clISt17integral_constantIbLb1EES1U_EEDaS1P_S1Q_EUlS1P_E_NS1_11comp_targetILNS1_3genE10ELNS1_11target_archE1200ELNS1_3gpuE4ELNS1_3repE0EEENS1_30default_config_static_selectorELNS0_4arch9wavefront6targetE1EEEvS12_ ; -- Begin function _ZN7rocprim17ROCPRIM_400000_NS6detail17trampoline_kernelINS0_13select_configILj256ELj13ELNS0_17block_load_methodE3ELS4_3ELS4_3ELNS0_20block_scan_algorithmE0ELj4294967295EEENS1_25partition_config_selectorILNS1_17partition_subalgoE4EjNS0_10empty_typeEbEEZZNS1_14partition_implILS8_4ELb0ES6_15HIP_vector_typeIjLj2EENS0_17counting_iteratorIjlEEPS9_SG_NS0_5tupleIJPjSI_NS0_16reverse_iteratorISI_EEEEENSH_IJSG_SG_SG_EEES9_SI_JZNS1_25segmented_radix_sort_implINS0_14default_configELb0EPKaPaPKlPlN2at6native12_GLOBAL__N_18offset_tEEE10hipError_tPvRmT1_PNSt15iterator_traitsIS12_E10value_typeET2_T3_PNS13_IS18_E10value_typeET4_jRbjT5_S1E_jjP12ihipStream_tbEUljE_ZNSN_ISO_Lb0ESQ_SR_ST_SU_SY_EESZ_S10_S11_S12_S16_S17_S18_S1B_S1C_jS1D_jS1E_S1E_jjS1G_bEUljE0_EEESZ_S10_S11_S18_S1C_S1E_T6_T7_T9_mT8_S1G_bDpT10_ENKUlT_T0_E_clISt17integral_constantIbLb1EES1U_EEDaS1P_S1Q_EUlS1P_E_NS1_11comp_targetILNS1_3genE10ELNS1_11target_archE1200ELNS1_3gpuE4ELNS1_3repE0EEENS1_30default_config_static_selectorELNS0_4arch9wavefront6targetE1EEEvS12_
	.p2align	8
	.type	_ZN7rocprim17ROCPRIM_400000_NS6detail17trampoline_kernelINS0_13select_configILj256ELj13ELNS0_17block_load_methodE3ELS4_3ELS4_3ELNS0_20block_scan_algorithmE0ELj4294967295EEENS1_25partition_config_selectorILNS1_17partition_subalgoE4EjNS0_10empty_typeEbEEZZNS1_14partition_implILS8_4ELb0ES6_15HIP_vector_typeIjLj2EENS0_17counting_iteratorIjlEEPS9_SG_NS0_5tupleIJPjSI_NS0_16reverse_iteratorISI_EEEEENSH_IJSG_SG_SG_EEES9_SI_JZNS1_25segmented_radix_sort_implINS0_14default_configELb0EPKaPaPKlPlN2at6native12_GLOBAL__N_18offset_tEEE10hipError_tPvRmT1_PNSt15iterator_traitsIS12_E10value_typeET2_T3_PNS13_IS18_E10value_typeET4_jRbjT5_S1E_jjP12ihipStream_tbEUljE_ZNSN_ISO_Lb0ESQ_SR_ST_SU_SY_EESZ_S10_S11_S12_S16_S17_S18_S1B_S1C_jS1D_jS1E_S1E_jjS1G_bEUljE0_EEESZ_S10_S11_S18_S1C_S1E_T6_T7_T9_mT8_S1G_bDpT10_ENKUlT_T0_E_clISt17integral_constantIbLb1EES1U_EEDaS1P_S1Q_EUlS1P_E_NS1_11comp_targetILNS1_3genE10ELNS1_11target_archE1200ELNS1_3gpuE4ELNS1_3repE0EEENS1_30default_config_static_selectorELNS0_4arch9wavefront6targetE1EEEvS12_,@function
_ZN7rocprim17ROCPRIM_400000_NS6detail17trampoline_kernelINS0_13select_configILj256ELj13ELNS0_17block_load_methodE3ELS4_3ELS4_3ELNS0_20block_scan_algorithmE0ELj4294967295EEENS1_25partition_config_selectorILNS1_17partition_subalgoE4EjNS0_10empty_typeEbEEZZNS1_14partition_implILS8_4ELb0ES6_15HIP_vector_typeIjLj2EENS0_17counting_iteratorIjlEEPS9_SG_NS0_5tupleIJPjSI_NS0_16reverse_iteratorISI_EEEEENSH_IJSG_SG_SG_EEES9_SI_JZNS1_25segmented_radix_sort_implINS0_14default_configELb0EPKaPaPKlPlN2at6native12_GLOBAL__N_18offset_tEEE10hipError_tPvRmT1_PNSt15iterator_traitsIS12_E10value_typeET2_T3_PNS13_IS18_E10value_typeET4_jRbjT5_S1E_jjP12ihipStream_tbEUljE_ZNSN_ISO_Lb0ESQ_SR_ST_SU_SY_EESZ_S10_S11_S12_S16_S17_S18_S1B_S1C_jS1D_jS1E_S1E_jjS1G_bEUljE0_EEESZ_S10_S11_S18_S1C_S1E_T6_T7_T9_mT8_S1G_bDpT10_ENKUlT_T0_E_clISt17integral_constantIbLb1EES1U_EEDaS1P_S1Q_EUlS1P_E_NS1_11comp_targetILNS1_3genE10ELNS1_11target_archE1200ELNS1_3gpuE4ELNS1_3repE0EEENS1_30default_config_static_selectorELNS0_4arch9wavefront6targetE1EEEvS12_: ; @_ZN7rocprim17ROCPRIM_400000_NS6detail17trampoline_kernelINS0_13select_configILj256ELj13ELNS0_17block_load_methodE3ELS4_3ELS4_3ELNS0_20block_scan_algorithmE0ELj4294967295EEENS1_25partition_config_selectorILNS1_17partition_subalgoE4EjNS0_10empty_typeEbEEZZNS1_14partition_implILS8_4ELb0ES6_15HIP_vector_typeIjLj2EENS0_17counting_iteratorIjlEEPS9_SG_NS0_5tupleIJPjSI_NS0_16reverse_iteratorISI_EEEEENSH_IJSG_SG_SG_EEES9_SI_JZNS1_25segmented_radix_sort_implINS0_14default_configELb0EPKaPaPKlPlN2at6native12_GLOBAL__N_18offset_tEEE10hipError_tPvRmT1_PNSt15iterator_traitsIS12_E10value_typeET2_T3_PNS13_IS18_E10value_typeET4_jRbjT5_S1E_jjP12ihipStream_tbEUljE_ZNSN_ISO_Lb0ESQ_SR_ST_SU_SY_EESZ_S10_S11_S12_S16_S17_S18_S1B_S1C_jS1D_jS1E_S1E_jjS1G_bEUljE0_EEESZ_S10_S11_S18_S1C_S1E_T6_T7_T9_mT8_S1G_bDpT10_ENKUlT_T0_E_clISt17integral_constantIbLb1EES1U_EEDaS1P_S1Q_EUlS1P_E_NS1_11comp_targetILNS1_3genE10ELNS1_11target_archE1200ELNS1_3gpuE4ELNS1_3repE0EEENS1_30default_config_static_selectorELNS0_4arch9wavefront6targetE1EEEvS12_
; %bb.0:
	.section	.rodata,"a",@progbits
	.p2align	6, 0x0
	.amdhsa_kernel _ZN7rocprim17ROCPRIM_400000_NS6detail17trampoline_kernelINS0_13select_configILj256ELj13ELNS0_17block_load_methodE3ELS4_3ELS4_3ELNS0_20block_scan_algorithmE0ELj4294967295EEENS1_25partition_config_selectorILNS1_17partition_subalgoE4EjNS0_10empty_typeEbEEZZNS1_14partition_implILS8_4ELb0ES6_15HIP_vector_typeIjLj2EENS0_17counting_iteratorIjlEEPS9_SG_NS0_5tupleIJPjSI_NS0_16reverse_iteratorISI_EEEEENSH_IJSG_SG_SG_EEES9_SI_JZNS1_25segmented_radix_sort_implINS0_14default_configELb0EPKaPaPKlPlN2at6native12_GLOBAL__N_18offset_tEEE10hipError_tPvRmT1_PNSt15iterator_traitsIS12_E10value_typeET2_T3_PNS13_IS18_E10value_typeET4_jRbjT5_S1E_jjP12ihipStream_tbEUljE_ZNSN_ISO_Lb0ESQ_SR_ST_SU_SY_EESZ_S10_S11_S12_S16_S17_S18_S1B_S1C_jS1D_jS1E_S1E_jjS1G_bEUljE0_EEESZ_S10_S11_S18_S1C_S1E_T6_T7_T9_mT8_S1G_bDpT10_ENKUlT_T0_E_clISt17integral_constantIbLb1EES1U_EEDaS1P_S1Q_EUlS1P_E_NS1_11comp_targetILNS1_3genE10ELNS1_11target_archE1200ELNS1_3gpuE4ELNS1_3repE0EEENS1_30default_config_static_selectorELNS0_4arch9wavefront6targetE1EEEvS12_
		.amdhsa_group_segment_fixed_size 0
		.amdhsa_private_segment_fixed_size 0
		.amdhsa_kernarg_size 184
		.amdhsa_user_sgpr_count 6
		.amdhsa_user_sgpr_private_segment_buffer 1
		.amdhsa_user_sgpr_dispatch_ptr 0
		.amdhsa_user_sgpr_queue_ptr 0
		.amdhsa_user_sgpr_kernarg_segment_ptr 1
		.amdhsa_user_sgpr_dispatch_id 0
		.amdhsa_user_sgpr_flat_scratch_init 0
		.amdhsa_user_sgpr_kernarg_preload_length 0
		.amdhsa_user_sgpr_kernarg_preload_offset 0
		.amdhsa_user_sgpr_private_segment_size 0
		.amdhsa_uses_dynamic_stack 0
		.amdhsa_system_sgpr_private_segment_wavefront_offset 0
		.amdhsa_system_sgpr_workgroup_id_x 1
		.amdhsa_system_sgpr_workgroup_id_y 0
		.amdhsa_system_sgpr_workgroup_id_z 0
		.amdhsa_system_sgpr_workgroup_info 0
		.amdhsa_system_vgpr_workitem_id 0
		.amdhsa_next_free_vgpr 1
		.amdhsa_next_free_sgpr 0
		.amdhsa_accum_offset 4
		.amdhsa_reserve_vcc 0
		.amdhsa_reserve_flat_scratch 0
		.amdhsa_float_round_mode_32 0
		.amdhsa_float_round_mode_16_64 0
		.amdhsa_float_denorm_mode_32 3
		.amdhsa_float_denorm_mode_16_64 3
		.amdhsa_dx10_clamp 1
		.amdhsa_ieee_mode 1
		.amdhsa_fp16_overflow 0
		.amdhsa_tg_split 0
		.amdhsa_exception_fp_ieee_invalid_op 0
		.amdhsa_exception_fp_denorm_src 0
		.amdhsa_exception_fp_ieee_div_zero 0
		.amdhsa_exception_fp_ieee_overflow 0
		.amdhsa_exception_fp_ieee_underflow 0
		.amdhsa_exception_fp_ieee_inexact 0
		.amdhsa_exception_int_div_zero 0
	.end_amdhsa_kernel
	.section	.text._ZN7rocprim17ROCPRIM_400000_NS6detail17trampoline_kernelINS0_13select_configILj256ELj13ELNS0_17block_load_methodE3ELS4_3ELS4_3ELNS0_20block_scan_algorithmE0ELj4294967295EEENS1_25partition_config_selectorILNS1_17partition_subalgoE4EjNS0_10empty_typeEbEEZZNS1_14partition_implILS8_4ELb0ES6_15HIP_vector_typeIjLj2EENS0_17counting_iteratorIjlEEPS9_SG_NS0_5tupleIJPjSI_NS0_16reverse_iteratorISI_EEEEENSH_IJSG_SG_SG_EEES9_SI_JZNS1_25segmented_radix_sort_implINS0_14default_configELb0EPKaPaPKlPlN2at6native12_GLOBAL__N_18offset_tEEE10hipError_tPvRmT1_PNSt15iterator_traitsIS12_E10value_typeET2_T3_PNS13_IS18_E10value_typeET4_jRbjT5_S1E_jjP12ihipStream_tbEUljE_ZNSN_ISO_Lb0ESQ_SR_ST_SU_SY_EESZ_S10_S11_S12_S16_S17_S18_S1B_S1C_jS1D_jS1E_S1E_jjS1G_bEUljE0_EEESZ_S10_S11_S18_S1C_S1E_T6_T7_T9_mT8_S1G_bDpT10_ENKUlT_T0_E_clISt17integral_constantIbLb1EES1U_EEDaS1P_S1Q_EUlS1P_E_NS1_11comp_targetILNS1_3genE10ELNS1_11target_archE1200ELNS1_3gpuE4ELNS1_3repE0EEENS1_30default_config_static_selectorELNS0_4arch9wavefront6targetE1EEEvS12_,"axG",@progbits,_ZN7rocprim17ROCPRIM_400000_NS6detail17trampoline_kernelINS0_13select_configILj256ELj13ELNS0_17block_load_methodE3ELS4_3ELS4_3ELNS0_20block_scan_algorithmE0ELj4294967295EEENS1_25partition_config_selectorILNS1_17partition_subalgoE4EjNS0_10empty_typeEbEEZZNS1_14partition_implILS8_4ELb0ES6_15HIP_vector_typeIjLj2EENS0_17counting_iteratorIjlEEPS9_SG_NS0_5tupleIJPjSI_NS0_16reverse_iteratorISI_EEEEENSH_IJSG_SG_SG_EEES9_SI_JZNS1_25segmented_radix_sort_implINS0_14default_configELb0EPKaPaPKlPlN2at6native12_GLOBAL__N_18offset_tEEE10hipError_tPvRmT1_PNSt15iterator_traitsIS12_E10value_typeET2_T3_PNS13_IS18_E10value_typeET4_jRbjT5_S1E_jjP12ihipStream_tbEUljE_ZNSN_ISO_Lb0ESQ_SR_ST_SU_SY_EESZ_S10_S11_S12_S16_S17_S18_S1B_S1C_jS1D_jS1E_S1E_jjS1G_bEUljE0_EEESZ_S10_S11_S18_S1C_S1E_T6_T7_T9_mT8_S1G_bDpT10_ENKUlT_T0_E_clISt17integral_constantIbLb1EES1U_EEDaS1P_S1Q_EUlS1P_E_NS1_11comp_targetILNS1_3genE10ELNS1_11target_archE1200ELNS1_3gpuE4ELNS1_3repE0EEENS1_30default_config_static_selectorELNS0_4arch9wavefront6targetE1EEEvS12_,comdat
.Lfunc_end342:
	.size	_ZN7rocprim17ROCPRIM_400000_NS6detail17trampoline_kernelINS0_13select_configILj256ELj13ELNS0_17block_load_methodE3ELS4_3ELS4_3ELNS0_20block_scan_algorithmE0ELj4294967295EEENS1_25partition_config_selectorILNS1_17partition_subalgoE4EjNS0_10empty_typeEbEEZZNS1_14partition_implILS8_4ELb0ES6_15HIP_vector_typeIjLj2EENS0_17counting_iteratorIjlEEPS9_SG_NS0_5tupleIJPjSI_NS0_16reverse_iteratorISI_EEEEENSH_IJSG_SG_SG_EEES9_SI_JZNS1_25segmented_radix_sort_implINS0_14default_configELb0EPKaPaPKlPlN2at6native12_GLOBAL__N_18offset_tEEE10hipError_tPvRmT1_PNSt15iterator_traitsIS12_E10value_typeET2_T3_PNS13_IS18_E10value_typeET4_jRbjT5_S1E_jjP12ihipStream_tbEUljE_ZNSN_ISO_Lb0ESQ_SR_ST_SU_SY_EESZ_S10_S11_S12_S16_S17_S18_S1B_S1C_jS1D_jS1E_S1E_jjS1G_bEUljE0_EEESZ_S10_S11_S18_S1C_S1E_T6_T7_T9_mT8_S1G_bDpT10_ENKUlT_T0_E_clISt17integral_constantIbLb1EES1U_EEDaS1P_S1Q_EUlS1P_E_NS1_11comp_targetILNS1_3genE10ELNS1_11target_archE1200ELNS1_3gpuE4ELNS1_3repE0EEENS1_30default_config_static_selectorELNS0_4arch9wavefront6targetE1EEEvS12_, .Lfunc_end342-_ZN7rocprim17ROCPRIM_400000_NS6detail17trampoline_kernelINS0_13select_configILj256ELj13ELNS0_17block_load_methodE3ELS4_3ELS4_3ELNS0_20block_scan_algorithmE0ELj4294967295EEENS1_25partition_config_selectorILNS1_17partition_subalgoE4EjNS0_10empty_typeEbEEZZNS1_14partition_implILS8_4ELb0ES6_15HIP_vector_typeIjLj2EENS0_17counting_iteratorIjlEEPS9_SG_NS0_5tupleIJPjSI_NS0_16reverse_iteratorISI_EEEEENSH_IJSG_SG_SG_EEES9_SI_JZNS1_25segmented_radix_sort_implINS0_14default_configELb0EPKaPaPKlPlN2at6native12_GLOBAL__N_18offset_tEEE10hipError_tPvRmT1_PNSt15iterator_traitsIS12_E10value_typeET2_T3_PNS13_IS18_E10value_typeET4_jRbjT5_S1E_jjP12ihipStream_tbEUljE_ZNSN_ISO_Lb0ESQ_SR_ST_SU_SY_EESZ_S10_S11_S12_S16_S17_S18_S1B_S1C_jS1D_jS1E_S1E_jjS1G_bEUljE0_EEESZ_S10_S11_S18_S1C_S1E_T6_T7_T9_mT8_S1G_bDpT10_ENKUlT_T0_E_clISt17integral_constantIbLb1EES1U_EEDaS1P_S1Q_EUlS1P_E_NS1_11comp_targetILNS1_3genE10ELNS1_11target_archE1200ELNS1_3gpuE4ELNS1_3repE0EEENS1_30default_config_static_selectorELNS0_4arch9wavefront6targetE1EEEvS12_
                                        ; -- End function
	.section	.AMDGPU.csdata,"",@progbits
; Kernel info:
; codeLenInByte = 0
; NumSgprs: 4
; NumVgprs: 0
; NumAgprs: 0
; TotalNumVgprs: 0
; ScratchSize: 0
; MemoryBound: 0
; FloatMode: 240
; IeeeMode: 1
; LDSByteSize: 0 bytes/workgroup (compile time only)
; SGPRBlocks: 0
; VGPRBlocks: 0
; NumSGPRsForWavesPerEU: 4
; NumVGPRsForWavesPerEU: 1
; AccumOffset: 4
; Occupancy: 8
; WaveLimiterHint : 0
; COMPUTE_PGM_RSRC2:SCRATCH_EN: 0
; COMPUTE_PGM_RSRC2:USER_SGPR: 6
; COMPUTE_PGM_RSRC2:TRAP_HANDLER: 0
; COMPUTE_PGM_RSRC2:TGID_X_EN: 1
; COMPUTE_PGM_RSRC2:TGID_Y_EN: 0
; COMPUTE_PGM_RSRC2:TGID_Z_EN: 0
; COMPUTE_PGM_RSRC2:TIDIG_COMP_CNT: 0
; COMPUTE_PGM_RSRC3_GFX90A:ACCUM_OFFSET: 0
; COMPUTE_PGM_RSRC3_GFX90A:TG_SPLIT: 0
	.section	.text._ZN7rocprim17ROCPRIM_400000_NS6detail17trampoline_kernelINS0_13select_configILj256ELj13ELNS0_17block_load_methodE3ELS4_3ELS4_3ELNS0_20block_scan_algorithmE0ELj4294967295EEENS1_25partition_config_selectorILNS1_17partition_subalgoE4EjNS0_10empty_typeEbEEZZNS1_14partition_implILS8_4ELb0ES6_15HIP_vector_typeIjLj2EENS0_17counting_iteratorIjlEEPS9_SG_NS0_5tupleIJPjSI_NS0_16reverse_iteratorISI_EEEEENSH_IJSG_SG_SG_EEES9_SI_JZNS1_25segmented_radix_sort_implINS0_14default_configELb0EPKaPaPKlPlN2at6native12_GLOBAL__N_18offset_tEEE10hipError_tPvRmT1_PNSt15iterator_traitsIS12_E10value_typeET2_T3_PNS13_IS18_E10value_typeET4_jRbjT5_S1E_jjP12ihipStream_tbEUljE_ZNSN_ISO_Lb0ESQ_SR_ST_SU_SY_EESZ_S10_S11_S12_S16_S17_S18_S1B_S1C_jS1D_jS1E_S1E_jjS1G_bEUljE0_EEESZ_S10_S11_S18_S1C_S1E_T6_T7_T9_mT8_S1G_bDpT10_ENKUlT_T0_E_clISt17integral_constantIbLb1EES1U_EEDaS1P_S1Q_EUlS1P_E_NS1_11comp_targetILNS1_3genE9ELNS1_11target_archE1100ELNS1_3gpuE3ELNS1_3repE0EEENS1_30default_config_static_selectorELNS0_4arch9wavefront6targetE1EEEvS12_,"axG",@progbits,_ZN7rocprim17ROCPRIM_400000_NS6detail17trampoline_kernelINS0_13select_configILj256ELj13ELNS0_17block_load_methodE3ELS4_3ELS4_3ELNS0_20block_scan_algorithmE0ELj4294967295EEENS1_25partition_config_selectorILNS1_17partition_subalgoE4EjNS0_10empty_typeEbEEZZNS1_14partition_implILS8_4ELb0ES6_15HIP_vector_typeIjLj2EENS0_17counting_iteratorIjlEEPS9_SG_NS0_5tupleIJPjSI_NS0_16reverse_iteratorISI_EEEEENSH_IJSG_SG_SG_EEES9_SI_JZNS1_25segmented_radix_sort_implINS0_14default_configELb0EPKaPaPKlPlN2at6native12_GLOBAL__N_18offset_tEEE10hipError_tPvRmT1_PNSt15iterator_traitsIS12_E10value_typeET2_T3_PNS13_IS18_E10value_typeET4_jRbjT5_S1E_jjP12ihipStream_tbEUljE_ZNSN_ISO_Lb0ESQ_SR_ST_SU_SY_EESZ_S10_S11_S12_S16_S17_S18_S1B_S1C_jS1D_jS1E_S1E_jjS1G_bEUljE0_EEESZ_S10_S11_S18_S1C_S1E_T6_T7_T9_mT8_S1G_bDpT10_ENKUlT_T0_E_clISt17integral_constantIbLb1EES1U_EEDaS1P_S1Q_EUlS1P_E_NS1_11comp_targetILNS1_3genE9ELNS1_11target_archE1100ELNS1_3gpuE3ELNS1_3repE0EEENS1_30default_config_static_selectorELNS0_4arch9wavefront6targetE1EEEvS12_,comdat
	.globl	_ZN7rocprim17ROCPRIM_400000_NS6detail17trampoline_kernelINS0_13select_configILj256ELj13ELNS0_17block_load_methodE3ELS4_3ELS4_3ELNS0_20block_scan_algorithmE0ELj4294967295EEENS1_25partition_config_selectorILNS1_17partition_subalgoE4EjNS0_10empty_typeEbEEZZNS1_14partition_implILS8_4ELb0ES6_15HIP_vector_typeIjLj2EENS0_17counting_iteratorIjlEEPS9_SG_NS0_5tupleIJPjSI_NS0_16reverse_iteratorISI_EEEEENSH_IJSG_SG_SG_EEES9_SI_JZNS1_25segmented_radix_sort_implINS0_14default_configELb0EPKaPaPKlPlN2at6native12_GLOBAL__N_18offset_tEEE10hipError_tPvRmT1_PNSt15iterator_traitsIS12_E10value_typeET2_T3_PNS13_IS18_E10value_typeET4_jRbjT5_S1E_jjP12ihipStream_tbEUljE_ZNSN_ISO_Lb0ESQ_SR_ST_SU_SY_EESZ_S10_S11_S12_S16_S17_S18_S1B_S1C_jS1D_jS1E_S1E_jjS1G_bEUljE0_EEESZ_S10_S11_S18_S1C_S1E_T6_T7_T9_mT8_S1G_bDpT10_ENKUlT_T0_E_clISt17integral_constantIbLb1EES1U_EEDaS1P_S1Q_EUlS1P_E_NS1_11comp_targetILNS1_3genE9ELNS1_11target_archE1100ELNS1_3gpuE3ELNS1_3repE0EEENS1_30default_config_static_selectorELNS0_4arch9wavefront6targetE1EEEvS12_ ; -- Begin function _ZN7rocprim17ROCPRIM_400000_NS6detail17trampoline_kernelINS0_13select_configILj256ELj13ELNS0_17block_load_methodE3ELS4_3ELS4_3ELNS0_20block_scan_algorithmE0ELj4294967295EEENS1_25partition_config_selectorILNS1_17partition_subalgoE4EjNS0_10empty_typeEbEEZZNS1_14partition_implILS8_4ELb0ES6_15HIP_vector_typeIjLj2EENS0_17counting_iteratorIjlEEPS9_SG_NS0_5tupleIJPjSI_NS0_16reverse_iteratorISI_EEEEENSH_IJSG_SG_SG_EEES9_SI_JZNS1_25segmented_radix_sort_implINS0_14default_configELb0EPKaPaPKlPlN2at6native12_GLOBAL__N_18offset_tEEE10hipError_tPvRmT1_PNSt15iterator_traitsIS12_E10value_typeET2_T3_PNS13_IS18_E10value_typeET4_jRbjT5_S1E_jjP12ihipStream_tbEUljE_ZNSN_ISO_Lb0ESQ_SR_ST_SU_SY_EESZ_S10_S11_S12_S16_S17_S18_S1B_S1C_jS1D_jS1E_S1E_jjS1G_bEUljE0_EEESZ_S10_S11_S18_S1C_S1E_T6_T7_T9_mT8_S1G_bDpT10_ENKUlT_T0_E_clISt17integral_constantIbLb1EES1U_EEDaS1P_S1Q_EUlS1P_E_NS1_11comp_targetILNS1_3genE9ELNS1_11target_archE1100ELNS1_3gpuE3ELNS1_3repE0EEENS1_30default_config_static_selectorELNS0_4arch9wavefront6targetE1EEEvS12_
	.p2align	8
	.type	_ZN7rocprim17ROCPRIM_400000_NS6detail17trampoline_kernelINS0_13select_configILj256ELj13ELNS0_17block_load_methodE3ELS4_3ELS4_3ELNS0_20block_scan_algorithmE0ELj4294967295EEENS1_25partition_config_selectorILNS1_17partition_subalgoE4EjNS0_10empty_typeEbEEZZNS1_14partition_implILS8_4ELb0ES6_15HIP_vector_typeIjLj2EENS0_17counting_iteratorIjlEEPS9_SG_NS0_5tupleIJPjSI_NS0_16reverse_iteratorISI_EEEEENSH_IJSG_SG_SG_EEES9_SI_JZNS1_25segmented_radix_sort_implINS0_14default_configELb0EPKaPaPKlPlN2at6native12_GLOBAL__N_18offset_tEEE10hipError_tPvRmT1_PNSt15iterator_traitsIS12_E10value_typeET2_T3_PNS13_IS18_E10value_typeET4_jRbjT5_S1E_jjP12ihipStream_tbEUljE_ZNSN_ISO_Lb0ESQ_SR_ST_SU_SY_EESZ_S10_S11_S12_S16_S17_S18_S1B_S1C_jS1D_jS1E_S1E_jjS1G_bEUljE0_EEESZ_S10_S11_S18_S1C_S1E_T6_T7_T9_mT8_S1G_bDpT10_ENKUlT_T0_E_clISt17integral_constantIbLb1EES1U_EEDaS1P_S1Q_EUlS1P_E_NS1_11comp_targetILNS1_3genE9ELNS1_11target_archE1100ELNS1_3gpuE3ELNS1_3repE0EEENS1_30default_config_static_selectorELNS0_4arch9wavefront6targetE1EEEvS12_,@function
_ZN7rocprim17ROCPRIM_400000_NS6detail17trampoline_kernelINS0_13select_configILj256ELj13ELNS0_17block_load_methodE3ELS4_3ELS4_3ELNS0_20block_scan_algorithmE0ELj4294967295EEENS1_25partition_config_selectorILNS1_17partition_subalgoE4EjNS0_10empty_typeEbEEZZNS1_14partition_implILS8_4ELb0ES6_15HIP_vector_typeIjLj2EENS0_17counting_iteratorIjlEEPS9_SG_NS0_5tupleIJPjSI_NS0_16reverse_iteratorISI_EEEEENSH_IJSG_SG_SG_EEES9_SI_JZNS1_25segmented_radix_sort_implINS0_14default_configELb0EPKaPaPKlPlN2at6native12_GLOBAL__N_18offset_tEEE10hipError_tPvRmT1_PNSt15iterator_traitsIS12_E10value_typeET2_T3_PNS13_IS18_E10value_typeET4_jRbjT5_S1E_jjP12ihipStream_tbEUljE_ZNSN_ISO_Lb0ESQ_SR_ST_SU_SY_EESZ_S10_S11_S12_S16_S17_S18_S1B_S1C_jS1D_jS1E_S1E_jjS1G_bEUljE0_EEESZ_S10_S11_S18_S1C_S1E_T6_T7_T9_mT8_S1G_bDpT10_ENKUlT_T0_E_clISt17integral_constantIbLb1EES1U_EEDaS1P_S1Q_EUlS1P_E_NS1_11comp_targetILNS1_3genE9ELNS1_11target_archE1100ELNS1_3gpuE3ELNS1_3repE0EEENS1_30default_config_static_selectorELNS0_4arch9wavefront6targetE1EEEvS12_: ; @_ZN7rocprim17ROCPRIM_400000_NS6detail17trampoline_kernelINS0_13select_configILj256ELj13ELNS0_17block_load_methodE3ELS4_3ELS4_3ELNS0_20block_scan_algorithmE0ELj4294967295EEENS1_25partition_config_selectorILNS1_17partition_subalgoE4EjNS0_10empty_typeEbEEZZNS1_14partition_implILS8_4ELb0ES6_15HIP_vector_typeIjLj2EENS0_17counting_iteratorIjlEEPS9_SG_NS0_5tupleIJPjSI_NS0_16reverse_iteratorISI_EEEEENSH_IJSG_SG_SG_EEES9_SI_JZNS1_25segmented_radix_sort_implINS0_14default_configELb0EPKaPaPKlPlN2at6native12_GLOBAL__N_18offset_tEEE10hipError_tPvRmT1_PNSt15iterator_traitsIS12_E10value_typeET2_T3_PNS13_IS18_E10value_typeET4_jRbjT5_S1E_jjP12ihipStream_tbEUljE_ZNSN_ISO_Lb0ESQ_SR_ST_SU_SY_EESZ_S10_S11_S12_S16_S17_S18_S1B_S1C_jS1D_jS1E_S1E_jjS1G_bEUljE0_EEESZ_S10_S11_S18_S1C_S1E_T6_T7_T9_mT8_S1G_bDpT10_ENKUlT_T0_E_clISt17integral_constantIbLb1EES1U_EEDaS1P_S1Q_EUlS1P_E_NS1_11comp_targetILNS1_3genE9ELNS1_11target_archE1100ELNS1_3gpuE3ELNS1_3repE0EEENS1_30default_config_static_selectorELNS0_4arch9wavefront6targetE1EEEvS12_
; %bb.0:
	.section	.rodata,"a",@progbits
	.p2align	6, 0x0
	.amdhsa_kernel _ZN7rocprim17ROCPRIM_400000_NS6detail17trampoline_kernelINS0_13select_configILj256ELj13ELNS0_17block_load_methodE3ELS4_3ELS4_3ELNS0_20block_scan_algorithmE0ELj4294967295EEENS1_25partition_config_selectorILNS1_17partition_subalgoE4EjNS0_10empty_typeEbEEZZNS1_14partition_implILS8_4ELb0ES6_15HIP_vector_typeIjLj2EENS0_17counting_iteratorIjlEEPS9_SG_NS0_5tupleIJPjSI_NS0_16reverse_iteratorISI_EEEEENSH_IJSG_SG_SG_EEES9_SI_JZNS1_25segmented_radix_sort_implINS0_14default_configELb0EPKaPaPKlPlN2at6native12_GLOBAL__N_18offset_tEEE10hipError_tPvRmT1_PNSt15iterator_traitsIS12_E10value_typeET2_T3_PNS13_IS18_E10value_typeET4_jRbjT5_S1E_jjP12ihipStream_tbEUljE_ZNSN_ISO_Lb0ESQ_SR_ST_SU_SY_EESZ_S10_S11_S12_S16_S17_S18_S1B_S1C_jS1D_jS1E_S1E_jjS1G_bEUljE0_EEESZ_S10_S11_S18_S1C_S1E_T6_T7_T9_mT8_S1G_bDpT10_ENKUlT_T0_E_clISt17integral_constantIbLb1EES1U_EEDaS1P_S1Q_EUlS1P_E_NS1_11comp_targetILNS1_3genE9ELNS1_11target_archE1100ELNS1_3gpuE3ELNS1_3repE0EEENS1_30default_config_static_selectorELNS0_4arch9wavefront6targetE1EEEvS12_
		.amdhsa_group_segment_fixed_size 0
		.amdhsa_private_segment_fixed_size 0
		.amdhsa_kernarg_size 184
		.amdhsa_user_sgpr_count 6
		.amdhsa_user_sgpr_private_segment_buffer 1
		.amdhsa_user_sgpr_dispatch_ptr 0
		.amdhsa_user_sgpr_queue_ptr 0
		.amdhsa_user_sgpr_kernarg_segment_ptr 1
		.amdhsa_user_sgpr_dispatch_id 0
		.amdhsa_user_sgpr_flat_scratch_init 0
		.amdhsa_user_sgpr_kernarg_preload_length 0
		.amdhsa_user_sgpr_kernarg_preload_offset 0
		.amdhsa_user_sgpr_private_segment_size 0
		.amdhsa_uses_dynamic_stack 0
		.amdhsa_system_sgpr_private_segment_wavefront_offset 0
		.amdhsa_system_sgpr_workgroup_id_x 1
		.amdhsa_system_sgpr_workgroup_id_y 0
		.amdhsa_system_sgpr_workgroup_id_z 0
		.amdhsa_system_sgpr_workgroup_info 0
		.amdhsa_system_vgpr_workitem_id 0
		.amdhsa_next_free_vgpr 1
		.amdhsa_next_free_sgpr 0
		.amdhsa_accum_offset 4
		.amdhsa_reserve_vcc 0
		.amdhsa_reserve_flat_scratch 0
		.amdhsa_float_round_mode_32 0
		.amdhsa_float_round_mode_16_64 0
		.amdhsa_float_denorm_mode_32 3
		.amdhsa_float_denorm_mode_16_64 3
		.amdhsa_dx10_clamp 1
		.amdhsa_ieee_mode 1
		.amdhsa_fp16_overflow 0
		.amdhsa_tg_split 0
		.amdhsa_exception_fp_ieee_invalid_op 0
		.amdhsa_exception_fp_denorm_src 0
		.amdhsa_exception_fp_ieee_div_zero 0
		.amdhsa_exception_fp_ieee_overflow 0
		.amdhsa_exception_fp_ieee_underflow 0
		.amdhsa_exception_fp_ieee_inexact 0
		.amdhsa_exception_int_div_zero 0
	.end_amdhsa_kernel
	.section	.text._ZN7rocprim17ROCPRIM_400000_NS6detail17trampoline_kernelINS0_13select_configILj256ELj13ELNS0_17block_load_methodE3ELS4_3ELS4_3ELNS0_20block_scan_algorithmE0ELj4294967295EEENS1_25partition_config_selectorILNS1_17partition_subalgoE4EjNS0_10empty_typeEbEEZZNS1_14partition_implILS8_4ELb0ES6_15HIP_vector_typeIjLj2EENS0_17counting_iteratorIjlEEPS9_SG_NS0_5tupleIJPjSI_NS0_16reverse_iteratorISI_EEEEENSH_IJSG_SG_SG_EEES9_SI_JZNS1_25segmented_radix_sort_implINS0_14default_configELb0EPKaPaPKlPlN2at6native12_GLOBAL__N_18offset_tEEE10hipError_tPvRmT1_PNSt15iterator_traitsIS12_E10value_typeET2_T3_PNS13_IS18_E10value_typeET4_jRbjT5_S1E_jjP12ihipStream_tbEUljE_ZNSN_ISO_Lb0ESQ_SR_ST_SU_SY_EESZ_S10_S11_S12_S16_S17_S18_S1B_S1C_jS1D_jS1E_S1E_jjS1G_bEUljE0_EEESZ_S10_S11_S18_S1C_S1E_T6_T7_T9_mT8_S1G_bDpT10_ENKUlT_T0_E_clISt17integral_constantIbLb1EES1U_EEDaS1P_S1Q_EUlS1P_E_NS1_11comp_targetILNS1_3genE9ELNS1_11target_archE1100ELNS1_3gpuE3ELNS1_3repE0EEENS1_30default_config_static_selectorELNS0_4arch9wavefront6targetE1EEEvS12_,"axG",@progbits,_ZN7rocprim17ROCPRIM_400000_NS6detail17trampoline_kernelINS0_13select_configILj256ELj13ELNS0_17block_load_methodE3ELS4_3ELS4_3ELNS0_20block_scan_algorithmE0ELj4294967295EEENS1_25partition_config_selectorILNS1_17partition_subalgoE4EjNS0_10empty_typeEbEEZZNS1_14partition_implILS8_4ELb0ES6_15HIP_vector_typeIjLj2EENS0_17counting_iteratorIjlEEPS9_SG_NS0_5tupleIJPjSI_NS0_16reverse_iteratorISI_EEEEENSH_IJSG_SG_SG_EEES9_SI_JZNS1_25segmented_radix_sort_implINS0_14default_configELb0EPKaPaPKlPlN2at6native12_GLOBAL__N_18offset_tEEE10hipError_tPvRmT1_PNSt15iterator_traitsIS12_E10value_typeET2_T3_PNS13_IS18_E10value_typeET4_jRbjT5_S1E_jjP12ihipStream_tbEUljE_ZNSN_ISO_Lb0ESQ_SR_ST_SU_SY_EESZ_S10_S11_S12_S16_S17_S18_S1B_S1C_jS1D_jS1E_S1E_jjS1G_bEUljE0_EEESZ_S10_S11_S18_S1C_S1E_T6_T7_T9_mT8_S1G_bDpT10_ENKUlT_T0_E_clISt17integral_constantIbLb1EES1U_EEDaS1P_S1Q_EUlS1P_E_NS1_11comp_targetILNS1_3genE9ELNS1_11target_archE1100ELNS1_3gpuE3ELNS1_3repE0EEENS1_30default_config_static_selectorELNS0_4arch9wavefront6targetE1EEEvS12_,comdat
.Lfunc_end343:
	.size	_ZN7rocprim17ROCPRIM_400000_NS6detail17trampoline_kernelINS0_13select_configILj256ELj13ELNS0_17block_load_methodE3ELS4_3ELS4_3ELNS0_20block_scan_algorithmE0ELj4294967295EEENS1_25partition_config_selectorILNS1_17partition_subalgoE4EjNS0_10empty_typeEbEEZZNS1_14partition_implILS8_4ELb0ES6_15HIP_vector_typeIjLj2EENS0_17counting_iteratorIjlEEPS9_SG_NS0_5tupleIJPjSI_NS0_16reverse_iteratorISI_EEEEENSH_IJSG_SG_SG_EEES9_SI_JZNS1_25segmented_radix_sort_implINS0_14default_configELb0EPKaPaPKlPlN2at6native12_GLOBAL__N_18offset_tEEE10hipError_tPvRmT1_PNSt15iterator_traitsIS12_E10value_typeET2_T3_PNS13_IS18_E10value_typeET4_jRbjT5_S1E_jjP12ihipStream_tbEUljE_ZNSN_ISO_Lb0ESQ_SR_ST_SU_SY_EESZ_S10_S11_S12_S16_S17_S18_S1B_S1C_jS1D_jS1E_S1E_jjS1G_bEUljE0_EEESZ_S10_S11_S18_S1C_S1E_T6_T7_T9_mT8_S1G_bDpT10_ENKUlT_T0_E_clISt17integral_constantIbLb1EES1U_EEDaS1P_S1Q_EUlS1P_E_NS1_11comp_targetILNS1_3genE9ELNS1_11target_archE1100ELNS1_3gpuE3ELNS1_3repE0EEENS1_30default_config_static_selectorELNS0_4arch9wavefront6targetE1EEEvS12_, .Lfunc_end343-_ZN7rocprim17ROCPRIM_400000_NS6detail17trampoline_kernelINS0_13select_configILj256ELj13ELNS0_17block_load_methodE3ELS4_3ELS4_3ELNS0_20block_scan_algorithmE0ELj4294967295EEENS1_25partition_config_selectorILNS1_17partition_subalgoE4EjNS0_10empty_typeEbEEZZNS1_14partition_implILS8_4ELb0ES6_15HIP_vector_typeIjLj2EENS0_17counting_iteratorIjlEEPS9_SG_NS0_5tupleIJPjSI_NS0_16reverse_iteratorISI_EEEEENSH_IJSG_SG_SG_EEES9_SI_JZNS1_25segmented_radix_sort_implINS0_14default_configELb0EPKaPaPKlPlN2at6native12_GLOBAL__N_18offset_tEEE10hipError_tPvRmT1_PNSt15iterator_traitsIS12_E10value_typeET2_T3_PNS13_IS18_E10value_typeET4_jRbjT5_S1E_jjP12ihipStream_tbEUljE_ZNSN_ISO_Lb0ESQ_SR_ST_SU_SY_EESZ_S10_S11_S12_S16_S17_S18_S1B_S1C_jS1D_jS1E_S1E_jjS1G_bEUljE0_EEESZ_S10_S11_S18_S1C_S1E_T6_T7_T9_mT8_S1G_bDpT10_ENKUlT_T0_E_clISt17integral_constantIbLb1EES1U_EEDaS1P_S1Q_EUlS1P_E_NS1_11comp_targetILNS1_3genE9ELNS1_11target_archE1100ELNS1_3gpuE3ELNS1_3repE0EEENS1_30default_config_static_selectorELNS0_4arch9wavefront6targetE1EEEvS12_
                                        ; -- End function
	.section	.AMDGPU.csdata,"",@progbits
; Kernel info:
; codeLenInByte = 0
; NumSgprs: 4
; NumVgprs: 0
; NumAgprs: 0
; TotalNumVgprs: 0
; ScratchSize: 0
; MemoryBound: 0
; FloatMode: 240
; IeeeMode: 1
; LDSByteSize: 0 bytes/workgroup (compile time only)
; SGPRBlocks: 0
; VGPRBlocks: 0
; NumSGPRsForWavesPerEU: 4
; NumVGPRsForWavesPerEU: 1
; AccumOffset: 4
; Occupancy: 8
; WaveLimiterHint : 0
; COMPUTE_PGM_RSRC2:SCRATCH_EN: 0
; COMPUTE_PGM_RSRC2:USER_SGPR: 6
; COMPUTE_PGM_RSRC2:TRAP_HANDLER: 0
; COMPUTE_PGM_RSRC2:TGID_X_EN: 1
; COMPUTE_PGM_RSRC2:TGID_Y_EN: 0
; COMPUTE_PGM_RSRC2:TGID_Z_EN: 0
; COMPUTE_PGM_RSRC2:TIDIG_COMP_CNT: 0
; COMPUTE_PGM_RSRC3_GFX90A:ACCUM_OFFSET: 0
; COMPUTE_PGM_RSRC3_GFX90A:TG_SPLIT: 0
	.section	.text._ZN7rocprim17ROCPRIM_400000_NS6detail17trampoline_kernelINS0_13select_configILj256ELj13ELNS0_17block_load_methodE3ELS4_3ELS4_3ELNS0_20block_scan_algorithmE0ELj4294967295EEENS1_25partition_config_selectorILNS1_17partition_subalgoE4EjNS0_10empty_typeEbEEZZNS1_14partition_implILS8_4ELb0ES6_15HIP_vector_typeIjLj2EENS0_17counting_iteratorIjlEEPS9_SG_NS0_5tupleIJPjSI_NS0_16reverse_iteratorISI_EEEEENSH_IJSG_SG_SG_EEES9_SI_JZNS1_25segmented_radix_sort_implINS0_14default_configELb0EPKaPaPKlPlN2at6native12_GLOBAL__N_18offset_tEEE10hipError_tPvRmT1_PNSt15iterator_traitsIS12_E10value_typeET2_T3_PNS13_IS18_E10value_typeET4_jRbjT5_S1E_jjP12ihipStream_tbEUljE_ZNSN_ISO_Lb0ESQ_SR_ST_SU_SY_EESZ_S10_S11_S12_S16_S17_S18_S1B_S1C_jS1D_jS1E_S1E_jjS1G_bEUljE0_EEESZ_S10_S11_S18_S1C_S1E_T6_T7_T9_mT8_S1G_bDpT10_ENKUlT_T0_E_clISt17integral_constantIbLb1EES1U_EEDaS1P_S1Q_EUlS1P_E_NS1_11comp_targetILNS1_3genE8ELNS1_11target_archE1030ELNS1_3gpuE2ELNS1_3repE0EEENS1_30default_config_static_selectorELNS0_4arch9wavefront6targetE1EEEvS12_,"axG",@progbits,_ZN7rocprim17ROCPRIM_400000_NS6detail17trampoline_kernelINS0_13select_configILj256ELj13ELNS0_17block_load_methodE3ELS4_3ELS4_3ELNS0_20block_scan_algorithmE0ELj4294967295EEENS1_25partition_config_selectorILNS1_17partition_subalgoE4EjNS0_10empty_typeEbEEZZNS1_14partition_implILS8_4ELb0ES6_15HIP_vector_typeIjLj2EENS0_17counting_iteratorIjlEEPS9_SG_NS0_5tupleIJPjSI_NS0_16reverse_iteratorISI_EEEEENSH_IJSG_SG_SG_EEES9_SI_JZNS1_25segmented_radix_sort_implINS0_14default_configELb0EPKaPaPKlPlN2at6native12_GLOBAL__N_18offset_tEEE10hipError_tPvRmT1_PNSt15iterator_traitsIS12_E10value_typeET2_T3_PNS13_IS18_E10value_typeET4_jRbjT5_S1E_jjP12ihipStream_tbEUljE_ZNSN_ISO_Lb0ESQ_SR_ST_SU_SY_EESZ_S10_S11_S12_S16_S17_S18_S1B_S1C_jS1D_jS1E_S1E_jjS1G_bEUljE0_EEESZ_S10_S11_S18_S1C_S1E_T6_T7_T9_mT8_S1G_bDpT10_ENKUlT_T0_E_clISt17integral_constantIbLb1EES1U_EEDaS1P_S1Q_EUlS1P_E_NS1_11comp_targetILNS1_3genE8ELNS1_11target_archE1030ELNS1_3gpuE2ELNS1_3repE0EEENS1_30default_config_static_selectorELNS0_4arch9wavefront6targetE1EEEvS12_,comdat
	.globl	_ZN7rocprim17ROCPRIM_400000_NS6detail17trampoline_kernelINS0_13select_configILj256ELj13ELNS0_17block_load_methodE3ELS4_3ELS4_3ELNS0_20block_scan_algorithmE0ELj4294967295EEENS1_25partition_config_selectorILNS1_17partition_subalgoE4EjNS0_10empty_typeEbEEZZNS1_14partition_implILS8_4ELb0ES6_15HIP_vector_typeIjLj2EENS0_17counting_iteratorIjlEEPS9_SG_NS0_5tupleIJPjSI_NS0_16reverse_iteratorISI_EEEEENSH_IJSG_SG_SG_EEES9_SI_JZNS1_25segmented_radix_sort_implINS0_14default_configELb0EPKaPaPKlPlN2at6native12_GLOBAL__N_18offset_tEEE10hipError_tPvRmT1_PNSt15iterator_traitsIS12_E10value_typeET2_T3_PNS13_IS18_E10value_typeET4_jRbjT5_S1E_jjP12ihipStream_tbEUljE_ZNSN_ISO_Lb0ESQ_SR_ST_SU_SY_EESZ_S10_S11_S12_S16_S17_S18_S1B_S1C_jS1D_jS1E_S1E_jjS1G_bEUljE0_EEESZ_S10_S11_S18_S1C_S1E_T6_T7_T9_mT8_S1G_bDpT10_ENKUlT_T0_E_clISt17integral_constantIbLb1EES1U_EEDaS1P_S1Q_EUlS1P_E_NS1_11comp_targetILNS1_3genE8ELNS1_11target_archE1030ELNS1_3gpuE2ELNS1_3repE0EEENS1_30default_config_static_selectorELNS0_4arch9wavefront6targetE1EEEvS12_ ; -- Begin function _ZN7rocprim17ROCPRIM_400000_NS6detail17trampoline_kernelINS0_13select_configILj256ELj13ELNS0_17block_load_methodE3ELS4_3ELS4_3ELNS0_20block_scan_algorithmE0ELj4294967295EEENS1_25partition_config_selectorILNS1_17partition_subalgoE4EjNS0_10empty_typeEbEEZZNS1_14partition_implILS8_4ELb0ES6_15HIP_vector_typeIjLj2EENS0_17counting_iteratorIjlEEPS9_SG_NS0_5tupleIJPjSI_NS0_16reverse_iteratorISI_EEEEENSH_IJSG_SG_SG_EEES9_SI_JZNS1_25segmented_radix_sort_implINS0_14default_configELb0EPKaPaPKlPlN2at6native12_GLOBAL__N_18offset_tEEE10hipError_tPvRmT1_PNSt15iterator_traitsIS12_E10value_typeET2_T3_PNS13_IS18_E10value_typeET4_jRbjT5_S1E_jjP12ihipStream_tbEUljE_ZNSN_ISO_Lb0ESQ_SR_ST_SU_SY_EESZ_S10_S11_S12_S16_S17_S18_S1B_S1C_jS1D_jS1E_S1E_jjS1G_bEUljE0_EEESZ_S10_S11_S18_S1C_S1E_T6_T7_T9_mT8_S1G_bDpT10_ENKUlT_T0_E_clISt17integral_constantIbLb1EES1U_EEDaS1P_S1Q_EUlS1P_E_NS1_11comp_targetILNS1_3genE8ELNS1_11target_archE1030ELNS1_3gpuE2ELNS1_3repE0EEENS1_30default_config_static_selectorELNS0_4arch9wavefront6targetE1EEEvS12_
	.p2align	8
	.type	_ZN7rocprim17ROCPRIM_400000_NS6detail17trampoline_kernelINS0_13select_configILj256ELj13ELNS0_17block_load_methodE3ELS4_3ELS4_3ELNS0_20block_scan_algorithmE0ELj4294967295EEENS1_25partition_config_selectorILNS1_17partition_subalgoE4EjNS0_10empty_typeEbEEZZNS1_14partition_implILS8_4ELb0ES6_15HIP_vector_typeIjLj2EENS0_17counting_iteratorIjlEEPS9_SG_NS0_5tupleIJPjSI_NS0_16reverse_iteratorISI_EEEEENSH_IJSG_SG_SG_EEES9_SI_JZNS1_25segmented_radix_sort_implINS0_14default_configELb0EPKaPaPKlPlN2at6native12_GLOBAL__N_18offset_tEEE10hipError_tPvRmT1_PNSt15iterator_traitsIS12_E10value_typeET2_T3_PNS13_IS18_E10value_typeET4_jRbjT5_S1E_jjP12ihipStream_tbEUljE_ZNSN_ISO_Lb0ESQ_SR_ST_SU_SY_EESZ_S10_S11_S12_S16_S17_S18_S1B_S1C_jS1D_jS1E_S1E_jjS1G_bEUljE0_EEESZ_S10_S11_S18_S1C_S1E_T6_T7_T9_mT8_S1G_bDpT10_ENKUlT_T0_E_clISt17integral_constantIbLb1EES1U_EEDaS1P_S1Q_EUlS1P_E_NS1_11comp_targetILNS1_3genE8ELNS1_11target_archE1030ELNS1_3gpuE2ELNS1_3repE0EEENS1_30default_config_static_selectorELNS0_4arch9wavefront6targetE1EEEvS12_,@function
_ZN7rocprim17ROCPRIM_400000_NS6detail17trampoline_kernelINS0_13select_configILj256ELj13ELNS0_17block_load_methodE3ELS4_3ELS4_3ELNS0_20block_scan_algorithmE0ELj4294967295EEENS1_25partition_config_selectorILNS1_17partition_subalgoE4EjNS0_10empty_typeEbEEZZNS1_14partition_implILS8_4ELb0ES6_15HIP_vector_typeIjLj2EENS0_17counting_iteratorIjlEEPS9_SG_NS0_5tupleIJPjSI_NS0_16reverse_iteratorISI_EEEEENSH_IJSG_SG_SG_EEES9_SI_JZNS1_25segmented_radix_sort_implINS0_14default_configELb0EPKaPaPKlPlN2at6native12_GLOBAL__N_18offset_tEEE10hipError_tPvRmT1_PNSt15iterator_traitsIS12_E10value_typeET2_T3_PNS13_IS18_E10value_typeET4_jRbjT5_S1E_jjP12ihipStream_tbEUljE_ZNSN_ISO_Lb0ESQ_SR_ST_SU_SY_EESZ_S10_S11_S12_S16_S17_S18_S1B_S1C_jS1D_jS1E_S1E_jjS1G_bEUljE0_EEESZ_S10_S11_S18_S1C_S1E_T6_T7_T9_mT8_S1G_bDpT10_ENKUlT_T0_E_clISt17integral_constantIbLb1EES1U_EEDaS1P_S1Q_EUlS1P_E_NS1_11comp_targetILNS1_3genE8ELNS1_11target_archE1030ELNS1_3gpuE2ELNS1_3repE0EEENS1_30default_config_static_selectorELNS0_4arch9wavefront6targetE1EEEvS12_: ; @_ZN7rocprim17ROCPRIM_400000_NS6detail17trampoline_kernelINS0_13select_configILj256ELj13ELNS0_17block_load_methodE3ELS4_3ELS4_3ELNS0_20block_scan_algorithmE0ELj4294967295EEENS1_25partition_config_selectorILNS1_17partition_subalgoE4EjNS0_10empty_typeEbEEZZNS1_14partition_implILS8_4ELb0ES6_15HIP_vector_typeIjLj2EENS0_17counting_iteratorIjlEEPS9_SG_NS0_5tupleIJPjSI_NS0_16reverse_iteratorISI_EEEEENSH_IJSG_SG_SG_EEES9_SI_JZNS1_25segmented_radix_sort_implINS0_14default_configELb0EPKaPaPKlPlN2at6native12_GLOBAL__N_18offset_tEEE10hipError_tPvRmT1_PNSt15iterator_traitsIS12_E10value_typeET2_T3_PNS13_IS18_E10value_typeET4_jRbjT5_S1E_jjP12ihipStream_tbEUljE_ZNSN_ISO_Lb0ESQ_SR_ST_SU_SY_EESZ_S10_S11_S12_S16_S17_S18_S1B_S1C_jS1D_jS1E_S1E_jjS1G_bEUljE0_EEESZ_S10_S11_S18_S1C_S1E_T6_T7_T9_mT8_S1G_bDpT10_ENKUlT_T0_E_clISt17integral_constantIbLb1EES1U_EEDaS1P_S1Q_EUlS1P_E_NS1_11comp_targetILNS1_3genE8ELNS1_11target_archE1030ELNS1_3gpuE2ELNS1_3repE0EEENS1_30default_config_static_selectorELNS0_4arch9wavefront6targetE1EEEvS12_
; %bb.0:
	.section	.rodata,"a",@progbits
	.p2align	6, 0x0
	.amdhsa_kernel _ZN7rocprim17ROCPRIM_400000_NS6detail17trampoline_kernelINS0_13select_configILj256ELj13ELNS0_17block_load_methodE3ELS4_3ELS4_3ELNS0_20block_scan_algorithmE0ELj4294967295EEENS1_25partition_config_selectorILNS1_17partition_subalgoE4EjNS0_10empty_typeEbEEZZNS1_14partition_implILS8_4ELb0ES6_15HIP_vector_typeIjLj2EENS0_17counting_iteratorIjlEEPS9_SG_NS0_5tupleIJPjSI_NS0_16reverse_iteratorISI_EEEEENSH_IJSG_SG_SG_EEES9_SI_JZNS1_25segmented_radix_sort_implINS0_14default_configELb0EPKaPaPKlPlN2at6native12_GLOBAL__N_18offset_tEEE10hipError_tPvRmT1_PNSt15iterator_traitsIS12_E10value_typeET2_T3_PNS13_IS18_E10value_typeET4_jRbjT5_S1E_jjP12ihipStream_tbEUljE_ZNSN_ISO_Lb0ESQ_SR_ST_SU_SY_EESZ_S10_S11_S12_S16_S17_S18_S1B_S1C_jS1D_jS1E_S1E_jjS1G_bEUljE0_EEESZ_S10_S11_S18_S1C_S1E_T6_T7_T9_mT8_S1G_bDpT10_ENKUlT_T0_E_clISt17integral_constantIbLb1EES1U_EEDaS1P_S1Q_EUlS1P_E_NS1_11comp_targetILNS1_3genE8ELNS1_11target_archE1030ELNS1_3gpuE2ELNS1_3repE0EEENS1_30default_config_static_selectorELNS0_4arch9wavefront6targetE1EEEvS12_
		.amdhsa_group_segment_fixed_size 0
		.amdhsa_private_segment_fixed_size 0
		.amdhsa_kernarg_size 184
		.amdhsa_user_sgpr_count 6
		.amdhsa_user_sgpr_private_segment_buffer 1
		.amdhsa_user_sgpr_dispatch_ptr 0
		.amdhsa_user_sgpr_queue_ptr 0
		.amdhsa_user_sgpr_kernarg_segment_ptr 1
		.amdhsa_user_sgpr_dispatch_id 0
		.amdhsa_user_sgpr_flat_scratch_init 0
		.amdhsa_user_sgpr_kernarg_preload_length 0
		.amdhsa_user_sgpr_kernarg_preload_offset 0
		.amdhsa_user_sgpr_private_segment_size 0
		.amdhsa_uses_dynamic_stack 0
		.amdhsa_system_sgpr_private_segment_wavefront_offset 0
		.amdhsa_system_sgpr_workgroup_id_x 1
		.amdhsa_system_sgpr_workgroup_id_y 0
		.amdhsa_system_sgpr_workgroup_id_z 0
		.amdhsa_system_sgpr_workgroup_info 0
		.amdhsa_system_vgpr_workitem_id 0
		.amdhsa_next_free_vgpr 1
		.amdhsa_next_free_sgpr 0
		.amdhsa_accum_offset 4
		.amdhsa_reserve_vcc 0
		.amdhsa_reserve_flat_scratch 0
		.amdhsa_float_round_mode_32 0
		.amdhsa_float_round_mode_16_64 0
		.amdhsa_float_denorm_mode_32 3
		.amdhsa_float_denorm_mode_16_64 3
		.amdhsa_dx10_clamp 1
		.amdhsa_ieee_mode 1
		.amdhsa_fp16_overflow 0
		.amdhsa_tg_split 0
		.amdhsa_exception_fp_ieee_invalid_op 0
		.amdhsa_exception_fp_denorm_src 0
		.amdhsa_exception_fp_ieee_div_zero 0
		.amdhsa_exception_fp_ieee_overflow 0
		.amdhsa_exception_fp_ieee_underflow 0
		.amdhsa_exception_fp_ieee_inexact 0
		.amdhsa_exception_int_div_zero 0
	.end_amdhsa_kernel
	.section	.text._ZN7rocprim17ROCPRIM_400000_NS6detail17trampoline_kernelINS0_13select_configILj256ELj13ELNS0_17block_load_methodE3ELS4_3ELS4_3ELNS0_20block_scan_algorithmE0ELj4294967295EEENS1_25partition_config_selectorILNS1_17partition_subalgoE4EjNS0_10empty_typeEbEEZZNS1_14partition_implILS8_4ELb0ES6_15HIP_vector_typeIjLj2EENS0_17counting_iteratorIjlEEPS9_SG_NS0_5tupleIJPjSI_NS0_16reverse_iteratorISI_EEEEENSH_IJSG_SG_SG_EEES9_SI_JZNS1_25segmented_radix_sort_implINS0_14default_configELb0EPKaPaPKlPlN2at6native12_GLOBAL__N_18offset_tEEE10hipError_tPvRmT1_PNSt15iterator_traitsIS12_E10value_typeET2_T3_PNS13_IS18_E10value_typeET4_jRbjT5_S1E_jjP12ihipStream_tbEUljE_ZNSN_ISO_Lb0ESQ_SR_ST_SU_SY_EESZ_S10_S11_S12_S16_S17_S18_S1B_S1C_jS1D_jS1E_S1E_jjS1G_bEUljE0_EEESZ_S10_S11_S18_S1C_S1E_T6_T7_T9_mT8_S1G_bDpT10_ENKUlT_T0_E_clISt17integral_constantIbLb1EES1U_EEDaS1P_S1Q_EUlS1P_E_NS1_11comp_targetILNS1_3genE8ELNS1_11target_archE1030ELNS1_3gpuE2ELNS1_3repE0EEENS1_30default_config_static_selectorELNS0_4arch9wavefront6targetE1EEEvS12_,"axG",@progbits,_ZN7rocprim17ROCPRIM_400000_NS6detail17trampoline_kernelINS0_13select_configILj256ELj13ELNS0_17block_load_methodE3ELS4_3ELS4_3ELNS0_20block_scan_algorithmE0ELj4294967295EEENS1_25partition_config_selectorILNS1_17partition_subalgoE4EjNS0_10empty_typeEbEEZZNS1_14partition_implILS8_4ELb0ES6_15HIP_vector_typeIjLj2EENS0_17counting_iteratorIjlEEPS9_SG_NS0_5tupleIJPjSI_NS0_16reverse_iteratorISI_EEEEENSH_IJSG_SG_SG_EEES9_SI_JZNS1_25segmented_radix_sort_implINS0_14default_configELb0EPKaPaPKlPlN2at6native12_GLOBAL__N_18offset_tEEE10hipError_tPvRmT1_PNSt15iterator_traitsIS12_E10value_typeET2_T3_PNS13_IS18_E10value_typeET4_jRbjT5_S1E_jjP12ihipStream_tbEUljE_ZNSN_ISO_Lb0ESQ_SR_ST_SU_SY_EESZ_S10_S11_S12_S16_S17_S18_S1B_S1C_jS1D_jS1E_S1E_jjS1G_bEUljE0_EEESZ_S10_S11_S18_S1C_S1E_T6_T7_T9_mT8_S1G_bDpT10_ENKUlT_T0_E_clISt17integral_constantIbLb1EES1U_EEDaS1P_S1Q_EUlS1P_E_NS1_11comp_targetILNS1_3genE8ELNS1_11target_archE1030ELNS1_3gpuE2ELNS1_3repE0EEENS1_30default_config_static_selectorELNS0_4arch9wavefront6targetE1EEEvS12_,comdat
.Lfunc_end344:
	.size	_ZN7rocprim17ROCPRIM_400000_NS6detail17trampoline_kernelINS0_13select_configILj256ELj13ELNS0_17block_load_methodE3ELS4_3ELS4_3ELNS0_20block_scan_algorithmE0ELj4294967295EEENS1_25partition_config_selectorILNS1_17partition_subalgoE4EjNS0_10empty_typeEbEEZZNS1_14partition_implILS8_4ELb0ES6_15HIP_vector_typeIjLj2EENS0_17counting_iteratorIjlEEPS9_SG_NS0_5tupleIJPjSI_NS0_16reverse_iteratorISI_EEEEENSH_IJSG_SG_SG_EEES9_SI_JZNS1_25segmented_radix_sort_implINS0_14default_configELb0EPKaPaPKlPlN2at6native12_GLOBAL__N_18offset_tEEE10hipError_tPvRmT1_PNSt15iterator_traitsIS12_E10value_typeET2_T3_PNS13_IS18_E10value_typeET4_jRbjT5_S1E_jjP12ihipStream_tbEUljE_ZNSN_ISO_Lb0ESQ_SR_ST_SU_SY_EESZ_S10_S11_S12_S16_S17_S18_S1B_S1C_jS1D_jS1E_S1E_jjS1G_bEUljE0_EEESZ_S10_S11_S18_S1C_S1E_T6_T7_T9_mT8_S1G_bDpT10_ENKUlT_T0_E_clISt17integral_constantIbLb1EES1U_EEDaS1P_S1Q_EUlS1P_E_NS1_11comp_targetILNS1_3genE8ELNS1_11target_archE1030ELNS1_3gpuE2ELNS1_3repE0EEENS1_30default_config_static_selectorELNS0_4arch9wavefront6targetE1EEEvS12_, .Lfunc_end344-_ZN7rocprim17ROCPRIM_400000_NS6detail17trampoline_kernelINS0_13select_configILj256ELj13ELNS0_17block_load_methodE3ELS4_3ELS4_3ELNS0_20block_scan_algorithmE0ELj4294967295EEENS1_25partition_config_selectorILNS1_17partition_subalgoE4EjNS0_10empty_typeEbEEZZNS1_14partition_implILS8_4ELb0ES6_15HIP_vector_typeIjLj2EENS0_17counting_iteratorIjlEEPS9_SG_NS0_5tupleIJPjSI_NS0_16reverse_iteratorISI_EEEEENSH_IJSG_SG_SG_EEES9_SI_JZNS1_25segmented_radix_sort_implINS0_14default_configELb0EPKaPaPKlPlN2at6native12_GLOBAL__N_18offset_tEEE10hipError_tPvRmT1_PNSt15iterator_traitsIS12_E10value_typeET2_T3_PNS13_IS18_E10value_typeET4_jRbjT5_S1E_jjP12ihipStream_tbEUljE_ZNSN_ISO_Lb0ESQ_SR_ST_SU_SY_EESZ_S10_S11_S12_S16_S17_S18_S1B_S1C_jS1D_jS1E_S1E_jjS1G_bEUljE0_EEESZ_S10_S11_S18_S1C_S1E_T6_T7_T9_mT8_S1G_bDpT10_ENKUlT_T0_E_clISt17integral_constantIbLb1EES1U_EEDaS1P_S1Q_EUlS1P_E_NS1_11comp_targetILNS1_3genE8ELNS1_11target_archE1030ELNS1_3gpuE2ELNS1_3repE0EEENS1_30default_config_static_selectorELNS0_4arch9wavefront6targetE1EEEvS12_
                                        ; -- End function
	.section	.AMDGPU.csdata,"",@progbits
; Kernel info:
; codeLenInByte = 0
; NumSgprs: 4
; NumVgprs: 0
; NumAgprs: 0
; TotalNumVgprs: 0
; ScratchSize: 0
; MemoryBound: 0
; FloatMode: 240
; IeeeMode: 1
; LDSByteSize: 0 bytes/workgroup (compile time only)
; SGPRBlocks: 0
; VGPRBlocks: 0
; NumSGPRsForWavesPerEU: 4
; NumVGPRsForWavesPerEU: 1
; AccumOffset: 4
; Occupancy: 8
; WaveLimiterHint : 0
; COMPUTE_PGM_RSRC2:SCRATCH_EN: 0
; COMPUTE_PGM_RSRC2:USER_SGPR: 6
; COMPUTE_PGM_RSRC2:TRAP_HANDLER: 0
; COMPUTE_PGM_RSRC2:TGID_X_EN: 1
; COMPUTE_PGM_RSRC2:TGID_Y_EN: 0
; COMPUTE_PGM_RSRC2:TGID_Z_EN: 0
; COMPUTE_PGM_RSRC2:TIDIG_COMP_CNT: 0
; COMPUTE_PGM_RSRC3_GFX90A:ACCUM_OFFSET: 0
; COMPUTE_PGM_RSRC3_GFX90A:TG_SPLIT: 0
	.section	.text._ZN7rocprim17ROCPRIM_400000_NS6detail17trampoline_kernelINS0_13select_configILj256ELj13ELNS0_17block_load_methodE3ELS4_3ELS4_3ELNS0_20block_scan_algorithmE0ELj4294967295EEENS1_25partition_config_selectorILNS1_17partition_subalgoE4EjNS0_10empty_typeEbEEZZNS1_14partition_implILS8_4ELb0ES6_15HIP_vector_typeIjLj2EENS0_17counting_iteratorIjlEEPS9_SG_NS0_5tupleIJPjSI_NS0_16reverse_iteratorISI_EEEEENSH_IJSG_SG_SG_EEES9_SI_JZNS1_25segmented_radix_sort_implINS0_14default_configELb0EPKaPaPKlPlN2at6native12_GLOBAL__N_18offset_tEEE10hipError_tPvRmT1_PNSt15iterator_traitsIS12_E10value_typeET2_T3_PNS13_IS18_E10value_typeET4_jRbjT5_S1E_jjP12ihipStream_tbEUljE_ZNSN_ISO_Lb0ESQ_SR_ST_SU_SY_EESZ_S10_S11_S12_S16_S17_S18_S1B_S1C_jS1D_jS1E_S1E_jjS1G_bEUljE0_EEESZ_S10_S11_S18_S1C_S1E_T6_T7_T9_mT8_S1G_bDpT10_ENKUlT_T0_E_clISt17integral_constantIbLb1EES1T_IbLb0EEEEDaS1P_S1Q_EUlS1P_E_NS1_11comp_targetILNS1_3genE0ELNS1_11target_archE4294967295ELNS1_3gpuE0ELNS1_3repE0EEENS1_30default_config_static_selectorELNS0_4arch9wavefront6targetE1EEEvS12_,"axG",@progbits,_ZN7rocprim17ROCPRIM_400000_NS6detail17trampoline_kernelINS0_13select_configILj256ELj13ELNS0_17block_load_methodE3ELS4_3ELS4_3ELNS0_20block_scan_algorithmE0ELj4294967295EEENS1_25partition_config_selectorILNS1_17partition_subalgoE4EjNS0_10empty_typeEbEEZZNS1_14partition_implILS8_4ELb0ES6_15HIP_vector_typeIjLj2EENS0_17counting_iteratorIjlEEPS9_SG_NS0_5tupleIJPjSI_NS0_16reverse_iteratorISI_EEEEENSH_IJSG_SG_SG_EEES9_SI_JZNS1_25segmented_radix_sort_implINS0_14default_configELb0EPKaPaPKlPlN2at6native12_GLOBAL__N_18offset_tEEE10hipError_tPvRmT1_PNSt15iterator_traitsIS12_E10value_typeET2_T3_PNS13_IS18_E10value_typeET4_jRbjT5_S1E_jjP12ihipStream_tbEUljE_ZNSN_ISO_Lb0ESQ_SR_ST_SU_SY_EESZ_S10_S11_S12_S16_S17_S18_S1B_S1C_jS1D_jS1E_S1E_jjS1G_bEUljE0_EEESZ_S10_S11_S18_S1C_S1E_T6_T7_T9_mT8_S1G_bDpT10_ENKUlT_T0_E_clISt17integral_constantIbLb1EES1T_IbLb0EEEEDaS1P_S1Q_EUlS1P_E_NS1_11comp_targetILNS1_3genE0ELNS1_11target_archE4294967295ELNS1_3gpuE0ELNS1_3repE0EEENS1_30default_config_static_selectorELNS0_4arch9wavefront6targetE1EEEvS12_,comdat
	.globl	_ZN7rocprim17ROCPRIM_400000_NS6detail17trampoline_kernelINS0_13select_configILj256ELj13ELNS0_17block_load_methodE3ELS4_3ELS4_3ELNS0_20block_scan_algorithmE0ELj4294967295EEENS1_25partition_config_selectorILNS1_17partition_subalgoE4EjNS0_10empty_typeEbEEZZNS1_14partition_implILS8_4ELb0ES6_15HIP_vector_typeIjLj2EENS0_17counting_iteratorIjlEEPS9_SG_NS0_5tupleIJPjSI_NS0_16reverse_iteratorISI_EEEEENSH_IJSG_SG_SG_EEES9_SI_JZNS1_25segmented_radix_sort_implINS0_14default_configELb0EPKaPaPKlPlN2at6native12_GLOBAL__N_18offset_tEEE10hipError_tPvRmT1_PNSt15iterator_traitsIS12_E10value_typeET2_T3_PNS13_IS18_E10value_typeET4_jRbjT5_S1E_jjP12ihipStream_tbEUljE_ZNSN_ISO_Lb0ESQ_SR_ST_SU_SY_EESZ_S10_S11_S12_S16_S17_S18_S1B_S1C_jS1D_jS1E_S1E_jjS1G_bEUljE0_EEESZ_S10_S11_S18_S1C_S1E_T6_T7_T9_mT8_S1G_bDpT10_ENKUlT_T0_E_clISt17integral_constantIbLb1EES1T_IbLb0EEEEDaS1P_S1Q_EUlS1P_E_NS1_11comp_targetILNS1_3genE0ELNS1_11target_archE4294967295ELNS1_3gpuE0ELNS1_3repE0EEENS1_30default_config_static_selectorELNS0_4arch9wavefront6targetE1EEEvS12_ ; -- Begin function _ZN7rocprim17ROCPRIM_400000_NS6detail17trampoline_kernelINS0_13select_configILj256ELj13ELNS0_17block_load_methodE3ELS4_3ELS4_3ELNS0_20block_scan_algorithmE0ELj4294967295EEENS1_25partition_config_selectorILNS1_17partition_subalgoE4EjNS0_10empty_typeEbEEZZNS1_14partition_implILS8_4ELb0ES6_15HIP_vector_typeIjLj2EENS0_17counting_iteratorIjlEEPS9_SG_NS0_5tupleIJPjSI_NS0_16reverse_iteratorISI_EEEEENSH_IJSG_SG_SG_EEES9_SI_JZNS1_25segmented_radix_sort_implINS0_14default_configELb0EPKaPaPKlPlN2at6native12_GLOBAL__N_18offset_tEEE10hipError_tPvRmT1_PNSt15iterator_traitsIS12_E10value_typeET2_T3_PNS13_IS18_E10value_typeET4_jRbjT5_S1E_jjP12ihipStream_tbEUljE_ZNSN_ISO_Lb0ESQ_SR_ST_SU_SY_EESZ_S10_S11_S12_S16_S17_S18_S1B_S1C_jS1D_jS1E_S1E_jjS1G_bEUljE0_EEESZ_S10_S11_S18_S1C_S1E_T6_T7_T9_mT8_S1G_bDpT10_ENKUlT_T0_E_clISt17integral_constantIbLb1EES1T_IbLb0EEEEDaS1P_S1Q_EUlS1P_E_NS1_11comp_targetILNS1_3genE0ELNS1_11target_archE4294967295ELNS1_3gpuE0ELNS1_3repE0EEENS1_30default_config_static_selectorELNS0_4arch9wavefront6targetE1EEEvS12_
	.p2align	8
	.type	_ZN7rocprim17ROCPRIM_400000_NS6detail17trampoline_kernelINS0_13select_configILj256ELj13ELNS0_17block_load_methodE3ELS4_3ELS4_3ELNS0_20block_scan_algorithmE0ELj4294967295EEENS1_25partition_config_selectorILNS1_17partition_subalgoE4EjNS0_10empty_typeEbEEZZNS1_14partition_implILS8_4ELb0ES6_15HIP_vector_typeIjLj2EENS0_17counting_iteratorIjlEEPS9_SG_NS0_5tupleIJPjSI_NS0_16reverse_iteratorISI_EEEEENSH_IJSG_SG_SG_EEES9_SI_JZNS1_25segmented_radix_sort_implINS0_14default_configELb0EPKaPaPKlPlN2at6native12_GLOBAL__N_18offset_tEEE10hipError_tPvRmT1_PNSt15iterator_traitsIS12_E10value_typeET2_T3_PNS13_IS18_E10value_typeET4_jRbjT5_S1E_jjP12ihipStream_tbEUljE_ZNSN_ISO_Lb0ESQ_SR_ST_SU_SY_EESZ_S10_S11_S12_S16_S17_S18_S1B_S1C_jS1D_jS1E_S1E_jjS1G_bEUljE0_EEESZ_S10_S11_S18_S1C_S1E_T6_T7_T9_mT8_S1G_bDpT10_ENKUlT_T0_E_clISt17integral_constantIbLb1EES1T_IbLb0EEEEDaS1P_S1Q_EUlS1P_E_NS1_11comp_targetILNS1_3genE0ELNS1_11target_archE4294967295ELNS1_3gpuE0ELNS1_3repE0EEENS1_30default_config_static_selectorELNS0_4arch9wavefront6targetE1EEEvS12_,@function
_ZN7rocprim17ROCPRIM_400000_NS6detail17trampoline_kernelINS0_13select_configILj256ELj13ELNS0_17block_load_methodE3ELS4_3ELS4_3ELNS0_20block_scan_algorithmE0ELj4294967295EEENS1_25partition_config_selectorILNS1_17partition_subalgoE4EjNS0_10empty_typeEbEEZZNS1_14partition_implILS8_4ELb0ES6_15HIP_vector_typeIjLj2EENS0_17counting_iteratorIjlEEPS9_SG_NS0_5tupleIJPjSI_NS0_16reverse_iteratorISI_EEEEENSH_IJSG_SG_SG_EEES9_SI_JZNS1_25segmented_radix_sort_implINS0_14default_configELb0EPKaPaPKlPlN2at6native12_GLOBAL__N_18offset_tEEE10hipError_tPvRmT1_PNSt15iterator_traitsIS12_E10value_typeET2_T3_PNS13_IS18_E10value_typeET4_jRbjT5_S1E_jjP12ihipStream_tbEUljE_ZNSN_ISO_Lb0ESQ_SR_ST_SU_SY_EESZ_S10_S11_S12_S16_S17_S18_S1B_S1C_jS1D_jS1E_S1E_jjS1G_bEUljE0_EEESZ_S10_S11_S18_S1C_S1E_T6_T7_T9_mT8_S1G_bDpT10_ENKUlT_T0_E_clISt17integral_constantIbLb1EES1T_IbLb0EEEEDaS1P_S1Q_EUlS1P_E_NS1_11comp_targetILNS1_3genE0ELNS1_11target_archE4294967295ELNS1_3gpuE0ELNS1_3repE0EEENS1_30default_config_static_selectorELNS0_4arch9wavefront6targetE1EEEvS12_: ; @_ZN7rocprim17ROCPRIM_400000_NS6detail17trampoline_kernelINS0_13select_configILj256ELj13ELNS0_17block_load_methodE3ELS4_3ELS4_3ELNS0_20block_scan_algorithmE0ELj4294967295EEENS1_25partition_config_selectorILNS1_17partition_subalgoE4EjNS0_10empty_typeEbEEZZNS1_14partition_implILS8_4ELb0ES6_15HIP_vector_typeIjLj2EENS0_17counting_iteratorIjlEEPS9_SG_NS0_5tupleIJPjSI_NS0_16reverse_iteratorISI_EEEEENSH_IJSG_SG_SG_EEES9_SI_JZNS1_25segmented_radix_sort_implINS0_14default_configELb0EPKaPaPKlPlN2at6native12_GLOBAL__N_18offset_tEEE10hipError_tPvRmT1_PNSt15iterator_traitsIS12_E10value_typeET2_T3_PNS13_IS18_E10value_typeET4_jRbjT5_S1E_jjP12ihipStream_tbEUljE_ZNSN_ISO_Lb0ESQ_SR_ST_SU_SY_EESZ_S10_S11_S12_S16_S17_S18_S1B_S1C_jS1D_jS1E_S1E_jjS1G_bEUljE0_EEESZ_S10_S11_S18_S1C_S1E_T6_T7_T9_mT8_S1G_bDpT10_ENKUlT_T0_E_clISt17integral_constantIbLb1EES1T_IbLb0EEEEDaS1P_S1Q_EUlS1P_E_NS1_11comp_targetILNS1_3genE0ELNS1_11target_archE4294967295ELNS1_3gpuE0ELNS1_3repE0EEENS1_30default_config_static_selectorELNS0_4arch9wavefront6targetE1EEEvS12_
; %bb.0:
	.section	.rodata,"a",@progbits
	.p2align	6, 0x0
	.amdhsa_kernel _ZN7rocprim17ROCPRIM_400000_NS6detail17trampoline_kernelINS0_13select_configILj256ELj13ELNS0_17block_load_methodE3ELS4_3ELS4_3ELNS0_20block_scan_algorithmE0ELj4294967295EEENS1_25partition_config_selectorILNS1_17partition_subalgoE4EjNS0_10empty_typeEbEEZZNS1_14partition_implILS8_4ELb0ES6_15HIP_vector_typeIjLj2EENS0_17counting_iteratorIjlEEPS9_SG_NS0_5tupleIJPjSI_NS0_16reverse_iteratorISI_EEEEENSH_IJSG_SG_SG_EEES9_SI_JZNS1_25segmented_radix_sort_implINS0_14default_configELb0EPKaPaPKlPlN2at6native12_GLOBAL__N_18offset_tEEE10hipError_tPvRmT1_PNSt15iterator_traitsIS12_E10value_typeET2_T3_PNS13_IS18_E10value_typeET4_jRbjT5_S1E_jjP12ihipStream_tbEUljE_ZNSN_ISO_Lb0ESQ_SR_ST_SU_SY_EESZ_S10_S11_S12_S16_S17_S18_S1B_S1C_jS1D_jS1E_S1E_jjS1G_bEUljE0_EEESZ_S10_S11_S18_S1C_S1E_T6_T7_T9_mT8_S1G_bDpT10_ENKUlT_T0_E_clISt17integral_constantIbLb1EES1T_IbLb0EEEEDaS1P_S1Q_EUlS1P_E_NS1_11comp_targetILNS1_3genE0ELNS1_11target_archE4294967295ELNS1_3gpuE0ELNS1_3repE0EEENS1_30default_config_static_selectorELNS0_4arch9wavefront6targetE1EEEvS12_
		.amdhsa_group_segment_fixed_size 0
		.amdhsa_private_segment_fixed_size 0
		.amdhsa_kernarg_size 176
		.amdhsa_user_sgpr_count 6
		.amdhsa_user_sgpr_private_segment_buffer 1
		.amdhsa_user_sgpr_dispatch_ptr 0
		.amdhsa_user_sgpr_queue_ptr 0
		.amdhsa_user_sgpr_kernarg_segment_ptr 1
		.amdhsa_user_sgpr_dispatch_id 0
		.amdhsa_user_sgpr_flat_scratch_init 0
		.amdhsa_user_sgpr_kernarg_preload_length 0
		.amdhsa_user_sgpr_kernarg_preload_offset 0
		.amdhsa_user_sgpr_private_segment_size 0
		.amdhsa_uses_dynamic_stack 0
		.amdhsa_system_sgpr_private_segment_wavefront_offset 0
		.amdhsa_system_sgpr_workgroup_id_x 1
		.amdhsa_system_sgpr_workgroup_id_y 0
		.amdhsa_system_sgpr_workgroup_id_z 0
		.amdhsa_system_sgpr_workgroup_info 0
		.amdhsa_system_vgpr_workitem_id 0
		.amdhsa_next_free_vgpr 1
		.amdhsa_next_free_sgpr 0
		.amdhsa_accum_offset 4
		.amdhsa_reserve_vcc 0
		.amdhsa_reserve_flat_scratch 0
		.amdhsa_float_round_mode_32 0
		.amdhsa_float_round_mode_16_64 0
		.amdhsa_float_denorm_mode_32 3
		.amdhsa_float_denorm_mode_16_64 3
		.amdhsa_dx10_clamp 1
		.amdhsa_ieee_mode 1
		.amdhsa_fp16_overflow 0
		.amdhsa_tg_split 0
		.amdhsa_exception_fp_ieee_invalid_op 0
		.amdhsa_exception_fp_denorm_src 0
		.amdhsa_exception_fp_ieee_div_zero 0
		.amdhsa_exception_fp_ieee_overflow 0
		.amdhsa_exception_fp_ieee_underflow 0
		.amdhsa_exception_fp_ieee_inexact 0
		.amdhsa_exception_int_div_zero 0
	.end_amdhsa_kernel
	.section	.text._ZN7rocprim17ROCPRIM_400000_NS6detail17trampoline_kernelINS0_13select_configILj256ELj13ELNS0_17block_load_methodE3ELS4_3ELS4_3ELNS0_20block_scan_algorithmE0ELj4294967295EEENS1_25partition_config_selectorILNS1_17partition_subalgoE4EjNS0_10empty_typeEbEEZZNS1_14partition_implILS8_4ELb0ES6_15HIP_vector_typeIjLj2EENS0_17counting_iteratorIjlEEPS9_SG_NS0_5tupleIJPjSI_NS0_16reverse_iteratorISI_EEEEENSH_IJSG_SG_SG_EEES9_SI_JZNS1_25segmented_radix_sort_implINS0_14default_configELb0EPKaPaPKlPlN2at6native12_GLOBAL__N_18offset_tEEE10hipError_tPvRmT1_PNSt15iterator_traitsIS12_E10value_typeET2_T3_PNS13_IS18_E10value_typeET4_jRbjT5_S1E_jjP12ihipStream_tbEUljE_ZNSN_ISO_Lb0ESQ_SR_ST_SU_SY_EESZ_S10_S11_S12_S16_S17_S18_S1B_S1C_jS1D_jS1E_S1E_jjS1G_bEUljE0_EEESZ_S10_S11_S18_S1C_S1E_T6_T7_T9_mT8_S1G_bDpT10_ENKUlT_T0_E_clISt17integral_constantIbLb1EES1T_IbLb0EEEEDaS1P_S1Q_EUlS1P_E_NS1_11comp_targetILNS1_3genE0ELNS1_11target_archE4294967295ELNS1_3gpuE0ELNS1_3repE0EEENS1_30default_config_static_selectorELNS0_4arch9wavefront6targetE1EEEvS12_,"axG",@progbits,_ZN7rocprim17ROCPRIM_400000_NS6detail17trampoline_kernelINS0_13select_configILj256ELj13ELNS0_17block_load_methodE3ELS4_3ELS4_3ELNS0_20block_scan_algorithmE0ELj4294967295EEENS1_25partition_config_selectorILNS1_17partition_subalgoE4EjNS0_10empty_typeEbEEZZNS1_14partition_implILS8_4ELb0ES6_15HIP_vector_typeIjLj2EENS0_17counting_iteratorIjlEEPS9_SG_NS0_5tupleIJPjSI_NS0_16reverse_iteratorISI_EEEEENSH_IJSG_SG_SG_EEES9_SI_JZNS1_25segmented_radix_sort_implINS0_14default_configELb0EPKaPaPKlPlN2at6native12_GLOBAL__N_18offset_tEEE10hipError_tPvRmT1_PNSt15iterator_traitsIS12_E10value_typeET2_T3_PNS13_IS18_E10value_typeET4_jRbjT5_S1E_jjP12ihipStream_tbEUljE_ZNSN_ISO_Lb0ESQ_SR_ST_SU_SY_EESZ_S10_S11_S12_S16_S17_S18_S1B_S1C_jS1D_jS1E_S1E_jjS1G_bEUljE0_EEESZ_S10_S11_S18_S1C_S1E_T6_T7_T9_mT8_S1G_bDpT10_ENKUlT_T0_E_clISt17integral_constantIbLb1EES1T_IbLb0EEEEDaS1P_S1Q_EUlS1P_E_NS1_11comp_targetILNS1_3genE0ELNS1_11target_archE4294967295ELNS1_3gpuE0ELNS1_3repE0EEENS1_30default_config_static_selectorELNS0_4arch9wavefront6targetE1EEEvS12_,comdat
.Lfunc_end345:
	.size	_ZN7rocprim17ROCPRIM_400000_NS6detail17trampoline_kernelINS0_13select_configILj256ELj13ELNS0_17block_load_methodE3ELS4_3ELS4_3ELNS0_20block_scan_algorithmE0ELj4294967295EEENS1_25partition_config_selectorILNS1_17partition_subalgoE4EjNS0_10empty_typeEbEEZZNS1_14partition_implILS8_4ELb0ES6_15HIP_vector_typeIjLj2EENS0_17counting_iteratorIjlEEPS9_SG_NS0_5tupleIJPjSI_NS0_16reverse_iteratorISI_EEEEENSH_IJSG_SG_SG_EEES9_SI_JZNS1_25segmented_radix_sort_implINS0_14default_configELb0EPKaPaPKlPlN2at6native12_GLOBAL__N_18offset_tEEE10hipError_tPvRmT1_PNSt15iterator_traitsIS12_E10value_typeET2_T3_PNS13_IS18_E10value_typeET4_jRbjT5_S1E_jjP12ihipStream_tbEUljE_ZNSN_ISO_Lb0ESQ_SR_ST_SU_SY_EESZ_S10_S11_S12_S16_S17_S18_S1B_S1C_jS1D_jS1E_S1E_jjS1G_bEUljE0_EEESZ_S10_S11_S18_S1C_S1E_T6_T7_T9_mT8_S1G_bDpT10_ENKUlT_T0_E_clISt17integral_constantIbLb1EES1T_IbLb0EEEEDaS1P_S1Q_EUlS1P_E_NS1_11comp_targetILNS1_3genE0ELNS1_11target_archE4294967295ELNS1_3gpuE0ELNS1_3repE0EEENS1_30default_config_static_selectorELNS0_4arch9wavefront6targetE1EEEvS12_, .Lfunc_end345-_ZN7rocprim17ROCPRIM_400000_NS6detail17trampoline_kernelINS0_13select_configILj256ELj13ELNS0_17block_load_methodE3ELS4_3ELS4_3ELNS0_20block_scan_algorithmE0ELj4294967295EEENS1_25partition_config_selectorILNS1_17partition_subalgoE4EjNS0_10empty_typeEbEEZZNS1_14partition_implILS8_4ELb0ES6_15HIP_vector_typeIjLj2EENS0_17counting_iteratorIjlEEPS9_SG_NS0_5tupleIJPjSI_NS0_16reverse_iteratorISI_EEEEENSH_IJSG_SG_SG_EEES9_SI_JZNS1_25segmented_radix_sort_implINS0_14default_configELb0EPKaPaPKlPlN2at6native12_GLOBAL__N_18offset_tEEE10hipError_tPvRmT1_PNSt15iterator_traitsIS12_E10value_typeET2_T3_PNS13_IS18_E10value_typeET4_jRbjT5_S1E_jjP12ihipStream_tbEUljE_ZNSN_ISO_Lb0ESQ_SR_ST_SU_SY_EESZ_S10_S11_S12_S16_S17_S18_S1B_S1C_jS1D_jS1E_S1E_jjS1G_bEUljE0_EEESZ_S10_S11_S18_S1C_S1E_T6_T7_T9_mT8_S1G_bDpT10_ENKUlT_T0_E_clISt17integral_constantIbLb1EES1T_IbLb0EEEEDaS1P_S1Q_EUlS1P_E_NS1_11comp_targetILNS1_3genE0ELNS1_11target_archE4294967295ELNS1_3gpuE0ELNS1_3repE0EEENS1_30default_config_static_selectorELNS0_4arch9wavefront6targetE1EEEvS12_
                                        ; -- End function
	.section	.AMDGPU.csdata,"",@progbits
; Kernel info:
; codeLenInByte = 0
; NumSgprs: 4
; NumVgprs: 0
; NumAgprs: 0
; TotalNumVgprs: 0
; ScratchSize: 0
; MemoryBound: 0
; FloatMode: 240
; IeeeMode: 1
; LDSByteSize: 0 bytes/workgroup (compile time only)
; SGPRBlocks: 0
; VGPRBlocks: 0
; NumSGPRsForWavesPerEU: 4
; NumVGPRsForWavesPerEU: 1
; AccumOffset: 4
; Occupancy: 8
; WaveLimiterHint : 0
; COMPUTE_PGM_RSRC2:SCRATCH_EN: 0
; COMPUTE_PGM_RSRC2:USER_SGPR: 6
; COMPUTE_PGM_RSRC2:TRAP_HANDLER: 0
; COMPUTE_PGM_RSRC2:TGID_X_EN: 1
; COMPUTE_PGM_RSRC2:TGID_Y_EN: 0
; COMPUTE_PGM_RSRC2:TGID_Z_EN: 0
; COMPUTE_PGM_RSRC2:TIDIG_COMP_CNT: 0
; COMPUTE_PGM_RSRC3_GFX90A:ACCUM_OFFSET: 0
; COMPUTE_PGM_RSRC3_GFX90A:TG_SPLIT: 0
	.section	.text._ZN7rocprim17ROCPRIM_400000_NS6detail17trampoline_kernelINS0_13select_configILj256ELj13ELNS0_17block_load_methodE3ELS4_3ELS4_3ELNS0_20block_scan_algorithmE0ELj4294967295EEENS1_25partition_config_selectorILNS1_17partition_subalgoE4EjNS0_10empty_typeEbEEZZNS1_14partition_implILS8_4ELb0ES6_15HIP_vector_typeIjLj2EENS0_17counting_iteratorIjlEEPS9_SG_NS0_5tupleIJPjSI_NS0_16reverse_iteratorISI_EEEEENSH_IJSG_SG_SG_EEES9_SI_JZNS1_25segmented_radix_sort_implINS0_14default_configELb0EPKaPaPKlPlN2at6native12_GLOBAL__N_18offset_tEEE10hipError_tPvRmT1_PNSt15iterator_traitsIS12_E10value_typeET2_T3_PNS13_IS18_E10value_typeET4_jRbjT5_S1E_jjP12ihipStream_tbEUljE_ZNSN_ISO_Lb0ESQ_SR_ST_SU_SY_EESZ_S10_S11_S12_S16_S17_S18_S1B_S1C_jS1D_jS1E_S1E_jjS1G_bEUljE0_EEESZ_S10_S11_S18_S1C_S1E_T6_T7_T9_mT8_S1G_bDpT10_ENKUlT_T0_E_clISt17integral_constantIbLb1EES1T_IbLb0EEEEDaS1P_S1Q_EUlS1P_E_NS1_11comp_targetILNS1_3genE5ELNS1_11target_archE942ELNS1_3gpuE9ELNS1_3repE0EEENS1_30default_config_static_selectorELNS0_4arch9wavefront6targetE1EEEvS12_,"axG",@progbits,_ZN7rocprim17ROCPRIM_400000_NS6detail17trampoline_kernelINS0_13select_configILj256ELj13ELNS0_17block_load_methodE3ELS4_3ELS4_3ELNS0_20block_scan_algorithmE0ELj4294967295EEENS1_25partition_config_selectorILNS1_17partition_subalgoE4EjNS0_10empty_typeEbEEZZNS1_14partition_implILS8_4ELb0ES6_15HIP_vector_typeIjLj2EENS0_17counting_iteratorIjlEEPS9_SG_NS0_5tupleIJPjSI_NS0_16reverse_iteratorISI_EEEEENSH_IJSG_SG_SG_EEES9_SI_JZNS1_25segmented_radix_sort_implINS0_14default_configELb0EPKaPaPKlPlN2at6native12_GLOBAL__N_18offset_tEEE10hipError_tPvRmT1_PNSt15iterator_traitsIS12_E10value_typeET2_T3_PNS13_IS18_E10value_typeET4_jRbjT5_S1E_jjP12ihipStream_tbEUljE_ZNSN_ISO_Lb0ESQ_SR_ST_SU_SY_EESZ_S10_S11_S12_S16_S17_S18_S1B_S1C_jS1D_jS1E_S1E_jjS1G_bEUljE0_EEESZ_S10_S11_S18_S1C_S1E_T6_T7_T9_mT8_S1G_bDpT10_ENKUlT_T0_E_clISt17integral_constantIbLb1EES1T_IbLb0EEEEDaS1P_S1Q_EUlS1P_E_NS1_11comp_targetILNS1_3genE5ELNS1_11target_archE942ELNS1_3gpuE9ELNS1_3repE0EEENS1_30default_config_static_selectorELNS0_4arch9wavefront6targetE1EEEvS12_,comdat
	.globl	_ZN7rocprim17ROCPRIM_400000_NS6detail17trampoline_kernelINS0_13select_configILj256ELj13ELNS0_17block_load_methodE3ELS4_3ELS4_3ELNS0_20block_scan_algorithmE0ELj4294967295EEENS1_25partition_config_selectorILNS1_17partition_subalgoE4EjNS0_10empty_typeEbEEZZNS1_14partition_implILS8_4ELb0ES6_15HIP_vector_typeIjLj2EENS0_17counting_iteratorIjlEEPS9_SG_NS0_5tupleIJPjSI_NS0_16reverse_iteratorISI_EEEEENSH_IJSG_SG_SG_EEES9_SI_JZNS1_25segmented_radix_sort_implINS0_14default_configELb0EPKaPaPKlPlN2at6native12_GLOBAL__N_18offset_tEEE10hipError_tPvRmT1_PNSt15iterator_traitsIS12_E10value_typeET2_T3_PNS13_IS18_E10value_typeET4_jRbjT5_S1E_jjP12ihipStream_tbEUljE_ZNSN_ISO_Lb0ESQ_SR_ST_SU_SY_EESZ_S10_S11_S12_S16_S17_S18_S1B_S1C_jS1D_jS1E_S1E_jjS1G_bEUljE0_EEESZ_S10_S11_S18_S1C_S1E_T6_T7_T9_mT8_S1G_bDpT10_ENKUlT_T0_E_clISt17integral_constantIbLb1EES1T_IbLb0EEEEDaS1P_S1Q_EUlS1P_E_NS1_11comp_targetILNS1_3genE5ELNS1_11target_archE942ELNS1_3gpuE9ELNS1_3repE0EEENS1_30default_config_static_selectorELNS0_4arch9wavefront6targetE1EEEvS12_ ; -- Begin function _ZN7rocprim17ROCPRIM_400000_NS6detail17trampoline_kernelINS0_13select_configILj256ELj13ELNS0_17block_load_methodE3ELS4_3ELS4_3ELNS0_20block_scan_algorithmE0ELj4294967295EEENS1_25partition_config_selectorILNS1_17partition_subalgoE4EjNS0_10empty_typeEbEEZZNS1_14partition_implILS8_4ELb0ES6_15HIP_vector_typeIjLj2EENS0_17counting_iteratorIjlEEPS9_SG_NS0_5tupleIJPjSI_NS0_16reverse_iteratorISI_EEEEENSH_IJSG_SG_SG_EEES9_SI_JZNS1_25segmented_radix_sort_implINS0_14default_configELb0EPKaPaPKlPlN2at6native12_GLOBAL__N_18offset_tEEE10hipError_tPvRmT1_PNSt15iterator_traitsIS12_E10value_typeET2_T3_PNS13_IS18_E10value_typeET4_jRbjT5_S1E_jjP12ihipStream_tbEUljE_ZNSN_ISO_Lb0ESQ_SR_ST_SU_SY_EESZ_S10_S11_S12_S16_S17_S18_S1B_S1C_jS1D_jS1E_S1E_jjS1G_bEUljE0_EEESZ_S10_S11_S18_S1C_S1E_T6_T7_T9_mT8_S1G_bDpT10_ENKUlT_T0_E_clISt17integral_constantIbLb1EES1T_IbLb0EEEEDaS1P_S1Q_EUlS1P_E_NS1_11comp_targetILNS1_3genE5ELNS1_11target_archE942ELNS1_3gpuE9ELNS1_3repE0EEENS1_30default_config_static_selectorELNS0_4arch9wavefront6targetE1EEEvS12_
	.p2align	8
	.type	_ZN7rocprim17ROCPRIM_400000_NS6detail17trampoline_kernelINS0_13select_configILj256ELj13ELNS0_17block_load_methodE3ELS4_3ELS4_3ELNS0_20block_scan_algorithmE0ELj4294967295EEENS1_25partition_config_selectorILNS1_17partition_subalgoE4EjNS0_10empty_typeEbEEZZNS1_14partition_implILS8_4ELb0ES6_15HIP_vector_typeIjLj2EENS0_17counting_iteratorIjlEEPS9_SG_NS0_5tupleIJPjSI_NS0_16reverse_iteratorISI_EEEEENSH_IJSG_SG_SG_EEES9_SI_JZNS1_25segmented_radix_sort_implINS0_14default_configELb0EPKaPaPKlPlN2at6native12_GLOBAL__N_18offset_tEEE10hipError_tPvRmT1_PNSt15iterator_traitsIS12_E10value_typeET2_T3_PNS13_IS18_E10value_typeET4_jRbjT5_S1E_jjP12ihipStream_tbEUljE_ZNSN_ISO_Lb0ESQ_SR_ST_SU_SY_EESZ_S10_S11_S12_S16_S17_S18_S1B_S1C_jS1D_jS1E_S1E_jjS1G_bEUljE0_EEESZ_S10_S11_S18_S1C_S1E_T6_T7_T9_mT8_S1G_bDpT10_ENKUlT_T0_E_clISt17integral_constantIbLb1EES1T_IbLb0EEEEDaS1P_S1Q_EUlS1P_E_NS1_11comp_targetILNS1_3genE5ELNS1_11target_archE942ELNS1_3gpuE9ELNS1_3repE0EEENS1_30default_config_static_selectorELNS0_4arch9wavefront6targetE1EEEvS12_,@function
_ZN7rocprim17ROCPRIM_400000_NS6detail17trampoline_kernelINS0_13select_configILj256ELj13ELNS0_17block_load_methodE3ELS4_3ELS4_3ELNS0_20block_scan_algorithmE0ELj4294967295EEENS1_25partition_config_selectorILNS1_17partition_subalgoE4EjNS0_10empty_typeEbEEZZNS1_14partition_implILS8_4ELb0ES6_15HIP_vector_typeIjLj2EENS0_17counting_iteratorIjlEEPS9_SG_NS0_5tupleIJPjSI_NS0_16reverse_iteratorISI_EEEEENSH_IJSG_SG_SG_EEES9_SI_JZNS1_25segmented_radix_sort_implINS0_14default_configELb0EPKaPaPKlPlN2at6native12_GLOBAL__N_18offset_tEEE10hipError_tPvRmT1_PNSt15iterator_traitsIS12_E10value_typeET2_T3_PNS13_IS18_E10value_typeET4_jRbjT5_S1E_jjP12ihipStream_tbEUljE_ZNSN_ISO_Lb0ESQ_SR_ST_SU_SY_EESZ_S10_S11_S12_S16_S17_S18_S1B_S1C_jS1D_jS1E_S1E_jjS1G_bEUljE0_EEESZ_S10_S11_S18_S1C_S1E_T6_T7_T9_mT8_S1G_bDpT10_ENKUlT_T0_E_clISt17integral_constantIbLb1EES1T_IbLb0EEEEDaS1P_S1Q_EUlS1P_E_NS1_11comp_targetILNS1_3genE5ELNS1_11target_archE942ELNS1_3gpuE9ELNS1_3repE0EEENS1_30default_config_static_selectorELNS0_4arch9wavefront6targetE1EEEvS12_: ; @_ZN7rocprim17ROCPRIM_400000_NS6detail17trampoline_kernelINS0_13select_configILj256ELj13ELNS0_17block_load_methodE3ELS4_3ELS4_3ELNS0_20block_scan_algorithmE0ELj4294967295EEENS1_25partition_config_selectorILNS1_17partition_subalgoE4EjNS0_10empty_typeEbEEZZNS1_14partition_implILS8_4ELb0ES6_15HIP_vector_typeIjLj2EENS0_17counting_iteratorIjlEEPS9_SG_NS0_5tupleIJPjSI_NS0_16reverse_iteratorISI_EEEEENSH_IJSG_SG_SG_EEES9_SI_JZNS1_25segmented_radix_sort_implINS0_14default_configELb0EPKaPaPKlPlN2at6native12_GLOBAL__N_18offset_tEEE10hipError_tPvRmT1_PNSt15iterator_traitsIS12_E10value_typeET2_T3_PNS13_IS18_E10value_typeET4_jRbjT5_S1E_jjP12ihipStream_tbEUljE_ZNSN_ISO_Lb0ESQ_SR_ST_SU_SY_EESZ_S10_S11_S12_S16_S17_S18_S1B_S1C_jS1D_jS1E_S1E_jjS1G_bEUljE0_EEESZ_S10_S11_S18_S1C_S1E_T6_T7_T9_mT8_S1G_bDpT10_ENKUlT_T0_E_clISt17integral_constantIbLb1EES1T_IbLb0EEEEDaS1P_S1Q_EUlS1P_E_NS1_11comp_targetILNS1_3genE5ELNS1_11target_archE942ELNS1_3gpuE9ELNS1_3repE0EEENS1_30default_config_static_selectorELNS0_4arch9wavefront6targetE1EEEvS12_
; %bb.0:
	.section	.rodata,"a",@progbits
	.p2align	6, 0x0
	.amdhsa_kernel _ZN7rocprim17ROCPRIM_400000_NS6detail17trampoline_kernelINS0_13select_configILj256ELj13ELNS0_17block_load_methodE3ELS4_3ELS4_3ELNS0_20block_scan_algorithmE0ELj4294967295EEENS1_25partition_config_selectorILNS1_17partition_subalgoE4EjNS0_10empty_typeEbEEZZNS1_14partition_implILS8_4ELb0ES6_15HIP_vector_typeIjLj2EENS0_17counting_iteratorIjlEEPS9_SG_NS0_5tupleIJPjSI_NS0_16reverse_iteratorISI_EEEEENSH_IJSG_SG_SG_EEES9_SI_JZNS1_25segmented_radix_sort_implINS0_14default_configELb0EPKaPaPKlPlN2at6native12_GLOBAL__N_18offset_tEEE10hipError_tPvRmT1_PNSt15iterator_traitsIS12_E10value_typeET2_T3_PNS13_IS18_E10value_typeET4_jRbjT5_S1E_jjP12ihipStream_tbEUljE_ZNSN_ISO_Lb0ESQ_SR_ST_SU_SY_EESZ_S10_S11_S12_S16_S17_S18_S1B_S1C_jS1D_jS1E_S1E_jjS1G_bEUljE0_EEESZ_S10_S11_S18_S1C_S1E_T6_T7_T9_mT8_S1G_bDpT10_ENKUlT_T0_E_clISt17integral_constantIbLb1EES1T_IbLb0EEEEDaS1P_S1Q_EUlS1P_E_NS1_11comp_targetILNS1_3genE5ELNS1_11target_archE942ELNS1_3gpuE9ELNS1_3repE0EEENS1_30default_config_static_selectorELNS0_4arch9wavefront6targetE1EEEvS12_
		.amdhsa_group_segment_fixed_size 0
		.amdhsa_private_segment_fixed_size 0
		.amdhsa_kernarg_size 176
		.amdhsa_user_sgpr_count 6
		.amdhsa_user_sgpr_private_segment_buffer 1
		.amdhsa_user_sgpr_dispatch_ptr 0
		.amdhsa_user_sgpr_queue_ptr 0
		.amdhsa_user_sgpr_kernarg_segment_ptr 1
		.amdhsa_user_sgpr_dispatch_id 0
		.amdhsa_user_sgpr_flat_scratch_init 0
		.amdhsa_user_sgpr_kernarg_preload_length 0
		.amdhsa_user_sgpr_kernarg_preload_offset 0
		.amdhsa_user_sgpr_private_segment_size 0
		.amdhsa_uses_dynamic_stack 0
		.amdhsa_system_sgpr_private_segment_wavefront_offset 0
		.amdhsa_system_sgpr_workgroup_id_x 1
		.amdhsa_system_sgpr_workgroup_id_y 0
		.amdhsa_system_sgpr_workgroup_id_z 0
		.amdhsa_system_sgpr_workgroup_info 0
		.amdhsa_system_vgpr_workitem_id 0
		.amdhsa_next_free_vgpr 1
		.amdhsa_next_free_sgpr 0
		.amdhsa_accum_offset 4
		.amdhsa_reserve_vcc 0
		.amdhsa_reserve_flat_scratch 0
		.amdhsa_float_round_mode_32 0
		.amdhsa_float_round_mode_16_64 0
		.amdhsa_float_denorm_mode_32 3
		.amdhsa_float_denorm_mode_16_64 3
		.amdhsa_dx10_clamp 1
		.amdhsa_ieee_mode 1
		.amdhsa_fp16_overflow 0
		.amdhsa_tg_split 0
		.amdhsa_exception_fp_ieee_invalid_op 0
		.amdhsa_exception_fp_denorm_src 0
		.amdhsa_exception_fp_ieee_div_zero 0
		.amdhsa_exception_fp_ieee_overflow 0
		.amdhsa_exception_fp_ieee_underflow 0
		.amdhsa_exception_fp_ieee_inexact 0
		.amdhsa_exception_int_div_zero 0
	.end_amdhsa_kernel
	.section	.text._ZN7rocprim17ROCPRIM_400000_NS6detail17trampoline_kernelINS0_13select_configILj256ELj13ELNS0_17block_load_methodE3ELS4_3ELS4_3ELNS0_20block_scan_algorithmE0ELj4294967295EEENS1_25partition_config_selectorILNS1_17partition_subalgoE4EjNS0_10empty_typeEbEEZZNS1_14partition_implILS8_4ELb0ES6_15HIP_vector_typeIjLj2EENS0_17counting_iteratorIjlEEPS9_SG_NS0_5tupleIJPjSI_NS0_16reverse_iteratorISI_EEEEENSH_IJSG_SG_SG_EEES9_SI_JZNS1_25segmented_radix_sort_implINS0_14default_configELb0EPKaPaPKlPlN2at6native12_GLOBAL__N_18offset_tEEE10hipError_tPvRmT1_PNSt15iterator_traitsIS12_E10value_typeET2_T3_PNS13_IS18_E10value_typeET4_jRbjT5_S1E_jjP12ihipStream_tbEUljE_ZNSN_ISO_Lb0ESQ_SR_ST_SU_SY_EESZ_S10_S11_S12_S16_S17_S18_S1B_S1C_jS1D_jS1E_S1E_jjS1G_bEUljE0_EEESZ_S10_S11_S18_S1C_S1E_T6_T7_T9_mT8_S1G_bDpT10_ENKUlT_T0_E_clISt17integral_constantIbLb1EES1T_IbLb0EEEEDaS1P_S1Q_EUlS1P_E_NS1_11comp_targetILNS1_3genE5ELNS1_11target_archE942ELNS1_3gpuE9ELNS1_3repE0EEENS1_30default_config_static_selectorELNS0_4arch9wavefront6targetE1EEEvS12_,"axG",@progbits,_ZN7rocprim17ROCPRIM_400000_NS6detail17trampoline_kernelINS0_13select_configILj256ELj13ELNS0_17block_load_methodE3ELS4_3ELS4_3ELNS0_20block_scan_algorithmE0ELj4294967295EEENS1_25partition_config_selectorILNS1_17partition_subalgoE4EjNS0_10empty_typeEbEEZZNS1_14partition_implILS8_4ELb0ES6_15HIP_vector_typeIjLj2EENS0_17counting_iteratorIjlEEPS9_SG_NS0_5tupleIJPjSI_NS0_16reverse_iteratorISI_EEEEENSH_IJSG_SG_SG_EEES9_SI_JZNS1_25segmented_radix_sort_implINS0_14default_configELb0EPKaPaPKlPlN2at6native12_GLOBAL__N_18offset_tEEE10hipError_tPvRmT1_PNSt15iterator_traitsIS12_E10value_typeET2_T3_PNS13_IS18_E10value_typeET4_jRbjT5_S1E_jjP12ihipStream_tbEUljE_ZNSN_ISO_Lb0ESQ_SR_ST_SU_SY_EESZ_S10_S11_S12_S16_S17_S18_S1B_S1C_jS1D_jS1E_S1E_jjS1G_bEUljE0_EEESZ_S10_S11_S18_S1C_S1E_T6_T7_T9_mT8_S1G_bDpT10_ENKUlT_T0_E_clISt17integral_constantIbLb1EES1T_IbLb0EEEEDaS1P_S1Q_EUlS1P_E_NS1_11comp_targetILNS1_3genE5ELNS1_11target_archE942ELNS1_3gpuE9ELNS1_3repE0EEENS1_30default_config_static_selectorELNS0_4arch9wavefront6targetE1EEEvS12_,comdat
.Lfunc_end346:
	.size	_ZN7rocprim17ROCPRIM_400000_NS6detail17trampoline_kernelINS0_13select_configILj256ELj13ELNS0_17block_load_methodE3ELS4_3ELS4_3ELNS0_20block_scan_algorithmE0ELj4294967295EEENS1_25partition_config_selectorILNS1_17partition_subalgoE4EjNS0_10empty_typeEbEEZZNS1_14partition_implILS8_4ELb0ES6_15HIP_vector_typeIjLj2EENS0_17counting_iteratorIjlEEPS9_SG_NS0_5tupleIJPjSI_NS0_16reverse_iteratorISI_EEEEENSH_IJSG_SG_SG_EEES9_SI_JZNS1_25segmented_radix_sort_implINS0_14default_configELb0EPKaPaPKlPlN2at6native12_GLOBAL__N_18offset_tEEE10hipError_tPvRmT1_PNSt15iterator_traitsIS12_E10value_typeET2_T3_PNS13_IS18_E10value_typeET4_jRbjT5_S1E_jjP12ihipStream_tbEUljE_ZNSN_ISO_Lb0ESQ_SR_ST_SU_SY_EESZ_S10_S11_S12_S16_S17_S18_S1B_S1C_jS1D_jS1E_S1E_jjS1G_bEUljE0_EEESZ_S10_S11_S18_S1C_S1E_T6_T7_T9_mT8_S1G_bDpT10_ENKUlT_T0_E_clISt17integral_constantIbLb1EES1T_IbLb0EEEEDaS1P_S1Q_EUlS1P_E_NS1_11comp_targetILNS1_3genE5ELNS1_11target_archE942ELNS1_3gpuE9ELNS1_3repE0EEENS1_30default_config_static_selectorELNS0_4arch9wavefront6targetE1EEEvS12_, .Lfunc_end346-_ZN7rocprim17ROCPRIM_400000_NS6detail17trampoline_kernelINS0_13select_configILj256ELj13ELNS0_17block_load_methodE3ELS4_3ELS4_3ELNS0_20block_scan_algorithmE0ELj4294967295EEENS1_25partition_config_selectorILNS1_17partition_subalgoE4EjNS0_10empty_typeEbEEZZNS1_14partition_implILS8_4ELb0ES6_15HIP_vector_typeIjLj2EENS0_17counting_iteratorIjlEEPS9_SG_NS0_5tupleIJPjSI_NS0_16reverse_iteratorISI_EEEEENSH_IJSG_SG_SG_EEES9_SI_JZNS1_25segmented_radix_sort_implINS0_14default_configELb0EPKaPaPKlPlN2at6native12_GLOBAL__N_18offset_tEEE10hipError_tPvRmT1_PNSt15iterator_traitsIS12_E10value_typeET2_T3_PNS13_IS18_E10value_typeET4_jRbjT5_S1E_jjP12ihipStream_tbEUljE_ZNSN_ISO_Lb0ESQ_SR_ST_SU_SY_EESZ_S10_S11_S12_S16_S17_S18_S1B_S1C_jS1D_jS1E_S1E_jjS1G_bEUljE0_EEESZ_S10_S11_S18_S1C_S1E_T6_T7_T9_mT8_S1G_bDpT10_ENKUlT_T0_E_clISt17integral_constantIbLb1EES1T_IbLb0EEEEDaS1P_S1Q_EUlS1P_E_NS1_11comp_targetILNS1_3genE5ELNS1_11target_archE942ELNS1_3gpuE9ELNS1_3repE0EEENS1_30default_config_static_selectorELNS0_4arch9wavefront6targetE1EEEvS12_
                                        ; -- End function
	.section	.AMDGPU.csdata,"",@progbits
; Kernel info:
; codeLenInByte = 0
; NumSgprs: 4
; NumVgprs: 0
; NumAgprs: 0
; TotalNumVgprs: 0
; ScratchSize: 0
; MemoryBound: 0
; FloatMode: 240
; IeeeMode: 1
; LDSByteSize: 0 bytes/workgroup (compile time only)
; SGPRBlocks: 0
; VGPRBlocks: 0
; NumSGPRsForWavesPerEU: 4
; NumVGPRsForWavesPerEU: 1
; AccumOffset: 4
; Occupancy: 8
; WaveLimiterHint : 0
; COMPUTE_PGM_RSRC2:SCRATCH_EN: 0
; COMPUTE_PGM_RSRC2:USER_SGPR: 6
; COMPUTE_PGM_RSRC2:TRAP_HANDLER: 0
; COMPUTE_PGM_RSRC2:TGID_X_EN: 1
; COMPUTE_PGM_RSRC2:TGID_Y_EN: 0
; COMPUTE_PGM_RSRC2:TGID_Z_EN: 0
; COMPUTE_PGM_RSRC2:TIDIG_COMP_CNT: 0
; COMPUTE_PGM_RSRC3_GFX90A:ACCUM_OFFSET: 0
; COMPUTE_PGM_RSRC3_GFX90A:TG_SPLIT: 0
	.section	.text._ZN7rocprim17ROCPRIM_400000_NS6detail17trampoline_kernelINS0_13select_configILj256ELj13ELNS0_17block_load_methodE3ELS4_3ELS4_3ELNS0_20block_scan_algorithmE0ELj4294967295EEENS1_25partition_config_selectorILNS1_17partition_subalgoE4EjNS0_10empty_typeEbEEZZNS1_14partition_implILS8_4ELb0ES6_15HIP_vector_typeIjLj2EENS0_17counting_iteratorIjlEEPS9_SG_NS0_5tupleIJPjSI_NS0_16reverse_iteratorISI_EEEEENSH_IJSG_SG_SG_EEES9_SI_JZNS1_25segmented_radix_sort_implINS0_14default_configELb0EPKaPaPKlPlN2at6native12_GLOBAL__N_18offset_tEEE10hipError_tPvRmT1_PNSt15iterator_traitsIS12_E10value_typeET2_T3_PNS13_IS18_E10value_typeET4_jRbjT5_S1E_jjP12ihipStream_tbEUljE_ZNSN_ISO_Lb0ESQ_SR_ST_SU_SY_EESZ_S10_S11_S12_S16_S17_S18_S1B_S1C_jS1D_jS1E_S1E_jjS1G_bEUljE0_EEESZ_S10_S11_S18_S1C_S1E_T6_T7_T9_mT8_S1G_bDpT10_ENKUlT_T0_E_clISt17integral_constantIbLb1EES1T_IbLb0EEEEDaS1P_S1Q_EUlS1P_E_NS1_11comp_targetILNS1_3genE4ELNS1_11target_archE910ELNS1_3gpuE8ELNS1_3repE0EEENS1_30default_config_static_selectorELNS0_4arch9wavefront6targetE1EEEvS12_,"axG",@progbits,_ZN7rocprim17ROCPRIM_400000_NS6detail17trampoline_kernelINS0_13select_configILj256ELj13ELNS0_17block_load_methodE3ELS4_3ELS4_3ELNS0_20block_scan_algorithmE0ELj4294967295EEENS1_25partition_config_selectorILNS1_17partition_subalgoE4EjNS0_10empty_typeEbEEZZNS1_14partition_implILS8_4ELb0ES6_15HIP_vector_typeIjLj2EENS0_17counting_iteratorIjlEEPS9_SG_NS0_5tupleIJPjSI_NS0_16reverse_iteratorISI_EEEEENSH_IJSG_SG_SG_EEES9_SI_JZNS1_25segmented_radix_sort_implINS0_14default_configELb0EPKaPaPKlPlN2at6native12_GLOBAL__N_18offset_tEEE10hipError_tPvRmT1_PNSt15iterator_traitsIS12_E10value_typeET2_T3_PNS13_IS18_E10value_typeET4_jRbjT5_S1E_jjP12ihipStream_tbEUljE_ZNSN_ISO_Lb0ESQ_SR_ST_SU_SY_EESZ_S10_S11_S12_S16_S17_S18_S1B_S1C_jS1D_jS1E_S1E_jjS1G_bEUljE0_EEESZ_S10_S11_S18_S1C_S1E_T6_T7_T9_mT8_S1G_bDpT10_ENKUlT_T0_E_clISt17integral_constantIbLb1EES1T_IbLb0EEEEDaS1P_S1Q_EUlS1P_E_NS1_11comp_targetILNS1_3genE4ELNS1_11target_archE910ELNS1_3gpuE8ELNS1_3repE0EEENS1_30default_config_static_selectorELNS0_4arch9wavefront6targetE1EEEvS12_,comdat
	.globl	_ZN7rocprim17ROCPRIM_400000_NS6detail17trampoline_kernelINS0_13select_configILj256ELj13ELNS0_17block_load_methodE3ELS4_3ELS4_3ELNS0_20block_scan_algorithmE0ELj4294967295EEENS1_25partition_config_selectorILNS1_17partition_subalgoE4EjNS0_10empty_typeEbEEZZNS1_14partition_implILS8_4ELb0ES6_15HIP_vector_typeIjLj2EENS0_17counting_iteratorIjlEEPS9_SG_NS0_5tupleIJPjSI_NS0_16reverse_iteratorISI_EEEEENSH_IJSG_SG_SG_EEES9_SI_JZNS1_25segmented_radix_sort_implINS0_14default_configELb0EPKaPaPKlPlN2at6native12_GLOBAL__N_18offset_tEEE10hipError_tPvRmT1_PNSt15iterator_traitsIS12_E10value_typeET2_T3_PNS13_IS18_E10value_typeET4_jRbjT5_S1E_jjP12ihipStream_tbEUljE_ZNSN_ISO_Lb0ESQ_SR_ST_SU_SY_EESZ_S10_S11_S12_S16_S17_S18_S1B_S1C_jS1D_jS1E_S1E_jjS1G_bEUljE0_EEESZ_S10_S11_S18_S1C_S1E_T6_T7_T9_mT8_S1G_bDpT10_ENKUlT_T0_E_clISt17integral_constantIbLb1EES1T_IbLb0EEEEDaS1P_S1Q_EUlS1P_E_NS1_11comp_targetILNS1_3genE4ELNS1_11target_archE910ELNS1_3gpuE8ELNS1_3repE0EEENS1_30default_config_static_selectorELNS0_4arch9wavefront6targetE1EEEvS12_ ; -- Begin function _ZN7rocprim17ROCPRIM_400000_NS6detail17trampoline_kernelINS0_13select_configILj256ELj13ELNS0_17block_load_methodE3ELS4_3ELS4_3ELNS0_20block_scan_algorithmE0ELj4294967295EEENS1_25partition_config_selectorILNS1_17partition_subalgoE4EjNS0_10empty_typeEbEEZZNS1_14partition_implILS8_4ELb0ES6_15HIP_vector_typeIjLj2EENS0_17counting_iteratorIjlEEPS9_SG_NS0_5tupleIJPjSI_NS0_16reverse_iteratorISI_EEEEENSH_IJSG_SG_SG_EEES9_SI_JZNS1_25segmented_radix_sort_implINS0_14default_configELb0EPKaPaPKlPlN2at6native12_GLOBAL__N_18offset_tEEE10hipError_tPvRmT1_PNSt15iterator_traitsIS12_E10value_typeET2_T3_PNS13_IS18_E10value_typeET4_jRbjT5_S1E_jjP12ihipStream_tbEUljE_ZNSN_ISO_Lb0ESQ_SR_ST_SU_SY_EESZ_S10_S11_S12_S16_S17_S18_S1B_S1C_jS1D_jS1E_S1E_jjS1G_bEUljE0_EEESZ_S10_S11_S18_S1C_S1E_T6_T7_T9_mT8_S1G_bDpT10_ENKUlT_T0_E_clISt17integral_constantIbLb1EES1T_IbLb0EEEEDaS1P_S1Q_EUlS1P_E_NS1_11comp_targetILNS1_3genE4ELNS1_11target_archE910ELNS1_3gpuE8ELNS1_3repE0EEENS1_30default_config_static_selectorELNS0_4arch9wavefront6targetE1EEEvS12_
	.p2align	8
	.type	_ZN7rocprim17ROCPRIM_400000_NS6detail17trampoline_kernelINS0_13select_configILj256ELj13ELNS0_17block_load_methodE3ELS4_3ELS4_3ELNS0_20block_scan_algorithmE0ELj4294967295EEENS1_25partition_config_selectorILNS1_17partition_subalgoE4EjNS0_10empty_typeEbEEZZNS1_14partition_implILS8_4ELb0ES6_15HIP_vector_typeIjLj2EENS0_17counting_iteratorIjlEEPS9_SG_NS0_5tupleIJPjSI_NS0_16reverse_iteratorISI_EEEEENSH_IJSG_SG_SG_EEES9_SI_JZNS1_25segmented_radix_sort_implINS0_14default_configELb0EPKaPaPKlPlN2at6native12_GLOBAL__N_18offset_tEEE10hipError_tPvRmT1_PNSt15iterator_traitsIS12_E10value_typeET2_T3_PNS13_IS18_E10value_typeET4_jRbjT5_S1E_jjP12ihipStream_tbEUljE_ZNSN_ISO_Lb0ESQ_SR_ST_SU_SY_EESZ_S10_S11_S12_S16_S17_S18_S1B_S1C_jS1D_jS1E_S1E_jjS1G_bEUljE0_EEESZ_S10_S11_S18_S1C_S1E_T6_T7_T9_mT8_S1G_bDpT10_ENKUlT_T0_E_clISt17integral_constantIbLb1EES1T_IbLb0EEEEDaS1P_S1Q_EUlS1P_E_NS1_11comp_targetILNS1_3genE4ELNS1_11target_archE910ELNS1_3gpuE8ELNS1_3repE0EEENS1_30default_config_static_selectorELNS0_4arch9wavefront6targetE1EEEvS12_,@function
_ZN7rocprim17ROCPRIM_400000_NS6detail17trampoline_kernelINS0_13select_configILj256ELj13ELNS0_17block_load_methodE3ELS4_3ELS4_3ELNS0_20block_scan_algorithmE0ELj4294967295EEENS1_25partition_config_selectorILNS1_17partition_subalgoE4EjNS0_10empty_typeEbEEZZNS1_14partition_implILS8_4ELb0ES6_15HIP_vector_typeIjLj2EENS0_17counting_iteratorIjlEEPS9_SG_NS0_5tupleIJPjSI_NS0_16reverse_iteratorISI_EEEEENSH_IJSG_SG_SG_EEES9_SI_JZNS1_25segmented_radix_sort_implINS0_14default_configELb0EPKaPaPKlPlN2at6native12_GLOBAL__N_18offset_tEEE10hipError_tPvRmT1_PNSt15iterator_traitsIS12_E10value_typeET2_T3_PNS13_IS18_E10value_typeET4_jRbjT5_S1E_jjP12ihipStream_tbEUljE_ZNSN_ISO_Lb0ESQ_SR_ST_SU_SY_EESZ_S10_S11_S12_S16_S17_S18_S1B_S1C_jS1D_jS1E_S1E_jjS1G_bEUljE0_EEESZ_S10_S11_S18_S1C_S1E_T6_T7_T9_mT8_S1G_bDpT10_ENKUlT_T0_E_clISt17integral_constantIbLb1EES1T_IbLb0EEEEDaS1P_S1Q_EUlS1P_E_NS1_11comp_targetILNS1_3genE4ELNS1_11target_archE910ELNS1_3gpuE8ELNS1_3repE0EEENS1_30default_config_static_selectorELNS0_4arch9wavefront6targetE1EEEvS12_: ; @_ZN7rocprim17ROCPRIM_400000_NS6detail17trampoline_kernelINS0_13select_configILj256ELj13ELNS0_17block_load_methodE3ELS4_3ELS4_3ELNS0_20block_scan_algorithmE0ELj4294967295EEENS1_25partition_config_selectorILNS1_17partition_subalgoE4EjNS0_10empty_typeEbEEZZNS1_14partition_implILS8_4ELb0ES6_15HIP_vector_typeIjLj2EENS0_17counting_iteratorIjlEEPS9_SG_NS0_5tupleIJPjSI_NS0_16reverse_iteratorISI_EEEEENSH_IJSG_SG_SG_EEES9_SI_JZNS1_25segmented_radix_sort_implINS0_14default_configELb0EPKaPaPKlPlN2at6native12_GLOBAL__N_18offset_tEEE10hipError_tPvRmT1_PNSt15iterator_traitsIS12_E10value_typeET2_T3_PNS13_IS18_E10value_typeET4_jRbjT5_S1E_jjP12ihipStream_tbEUljE_ZNSN_ISO_Lb0ESQ_SR_ST_SU_SY_EESZ_S10_S11_S12_S16_S17_S18_S1B_S1C_jS1D_jS1E_S1E_jjS1G_bEUljE0_EEESZ_S10_S11_S18_S1C_S1E_T6_T7_T9_mT8_S1G_bDpT10_ENKUlT_T0_E_clISt17integral_constantIbLb1EES1T_IbLb0EEEEDaS1P_S1Q_EUlS1P_E_NS1_11comp_targetILNS1_3genE4ELNS1_11target_archE910ELNS1_3gpuE8ELNS1_3repE0EEENS1_30default_config_static_selectorELNS0_4arch9wavefront6targetE1EEEvS12_
; %bb.0:
	s_load_dwordx2 s[0:1], s[4:5], 0x68
	s_load_dword s7, s[4:5], 0x8
	s_load_dwordx2 s[56:57], s[4:5], 0x10
	s_load_dwordx4 s[44:47], s[4:5], 0x58
	s_mul_i32 s33, s6, 0xd00
	s_waitcnt lgkmcnt(0)
	v_mov_b32_e32 v3, s1
	v_mov_b32_e32 v2, s0
	s_load_dword s1, s[4:5], 0x80
	s_load_dwordx2 s[60:61], s[4:5], 0xa8
	s_load_dwordx8 s[36:43], s[4:5], 0x88
	s_load_dwordx4 s[48:51], s[46:47], 0x0
	s_waitcnt lgkmcnt(0)
	s_add_i32 s8, s1, -1
	s_mulk_i32 s1, 0xd00
	s_add_u32 s2, s56, s1
	s_addc_u32 s3, s57, 0
	s_cmp_eq_u32 s6, s8
	s_cselect_b64 s[30:31], -1, 0
	s_cmp_lg_u32 s6, s8
	v_cmp_lt_u64_e32 vcc, s[2:3], v[2:3]
	s_cselect_b64 s[2:3], -1, 0
	s_add_i32 s7, s7, s33
	s_or_b64 s[2:3], s[2:3], vcc
	s_add_i32 s7, s7, s56
	v_add_u32_e32 v1, s7, v0
	s_mov_b64 s[8:9], -1
	s_and_b64 vcc, exec, s[2:3]
	s_cbranch_vccz .LBB347_2
; %bb.1:
	v_add_u32_e32 v2, 0x100, v1
	v_lshlrev_b32_e32 v14, 2, v0
	v_add_u32_e32 v3, 0x200, v1
	v_add_u32_e32 v4, 0x300, v1
	;; [unrolled: 1-line block ×11, first 2 shown]
	ds_write2st64_b32 v14, v1, v2 offset1:4
	ds_write2st64_b32 v14, v3, v4 offset0:8 offset1:12
	ds_write2st64_b32 v14, v5, v6 offset0:16 offset1:20
	ds_write2st64_b32 v14, v7, v8 offset0:24 offset1:28
	ds_write2st64_b32 v14, v9, v10 offset0:32 offset1:36
	ds_write2st64_b32 v14, v11, v12 offset0:40 offset1:44
	ds_write_b32 v14, v13 offset:12288
	s_waitcnt lgkmcnt(0)
	s_barrier
	s_mov_b64 s[8:9], 0
.LBB347_2:
	s_andn2_b64 vcc, exec, s[8:9]
	s_add_i32 s1, s1, s56
	s_cbranch_vccnz .LBB347_4
; %bb.3:
	v_add_u32_e32 v2, 0x100, v1
	v_lshlrev_b32_e32 v14, 2, v0
	v_add_u32_e32 v3, 0x200, v1
	v_add_u32_e32 v4, 0x300, v1
	;; [unrolled: 1-line block ×11, first 2 shown]
	ds_write2st64_b32 v14, v1, v2 offset1:4
	ds_write2st64_b32 v14, v3, v4 offset0:8 offset1:12
	ds_write2st64_b32 v14, v5, v6 offset0:16 offset1:20
	;; [unrolled: 1-line block ×5, first 2 shown]
	ds_write_b32 v14, v13 offset:12288
	s_waitcnt lgkmcnt(0)
	s_barrier
.LBB347_4:
	v_mul_u32_u24_e32 v31, 13, v0
	v_lshlrev_b32_e32 v1, 2, v31
	s_load_dwordx4 s[52:55], s[4:5], 0x28
	s_load_dwordx2 s[34:35], s[4:5], 0x38
	s_waitcnt lgkmcnt(0)
	ds_read2_b32 v[18:19], v1 offset1:1
	ds_read2_b32 v[16:17], v1 offset0:2 offset1:3
	ds_read2_b32 v[14:15], v1 offset0:4 offset1:5
	;; [unrolled: 1-line block ×5, first 2 shown]
	ds_read_b32 v30, v1 offset:48
	v_cndmask_b32_e64 v1, 0, 1, s[2:3]
	s_sub_i32 s7, s0, s1
	v_cmp_ne_u32_e64 s[0:1], 1, v1
	s_andn2_b64 vcc, exec, s[2:3]
	s_waitcnt lgkmcnt(0)
	s_barrier
	s_cbranch_vccnz .LBB347_32
; %bb.5:
	v_add_u32_e32 v1, s37, v18
	v_add_u32_e32 v2, s39, v18
	v_mul_lo_u32 v1, v1, s36
	v_mul_lo_u32 v2, v2, s38
	v_sub_u32_e32 v1, v1, v2
	v_cmp_lt_u32_e32 vcc, s40, v1
	v_cmp_ge_u32_e64 s[2:3], s40, v1
	s_mov_b64 s[64:65], 0
	s_mov_b64 s[62:63], 0
	s_and_saveexec_b64 s[8:9], s[2:3]
; %bb.6:
	v_add_u32_e32 v1, s42, v18
	v_add_u32_e32 v2, s60, v18
	v_mul_lo_u32 v1, v1, s41
	v_mul_lo_u32 v2, v2, s43
	v_sub_u32_e32 v1, v1, v2
	v_cmp_lt_u32_e64 s[2:3], s61, v1
	s_and_b64 s[62:63], s[2:3], exec
; %bb.7:
	s_or_b64 exec, exec, s[8:9]
	v_add_u32_e32 v1, s37, v19
	v_add_u32_e32 v2, s39, v19
	v_mul_lo_u32 v1, v1, s36
	v_mul_lo_u32 v2, v2, s38
	v_sub_u32_e32 v1, v1, v2
	v_cmp_lt_u32_e64 s[2:3], s40, v1
	v_cmp_ge_u32_e64 s[8:9], s40, v1
	s_and_saveexec_b64 s[10:11], s[8:9]
; %bb.8:
	v_add_u32_e32 v1, s42, v19
	v_add_u32_e32 v2, s60, v19
	v_mul_lo_u32 v1, v1, s41
	v_mul_lo_u32 v2, v2, s43
	v_sub_u32_e32 v1, v1, v2
	v_cmp_lt_u32_e64 s[8:9], s61, v1
	s_and_b64 s[64:65], s[8:9], exec
; %bb.9:
	s_or_b64 exec, exec, s[10:11]
	v_add_u32_e32 v1, s37, v16
	v_add_u32_e32 v2, s39, v16
	v_mul_lo_u32 v1, v1, s36
	v_mul_lo_u32 v2, v2, s38
	v_sub_u32_e32 v1, v1, v2
	v_cmp_lt_u32_e64 s[26:27], s40, v1
	v_cmp_ge_u32_e64 s[8:9], s40, v1
	s_mov_b64 s[68:69], 0
	s_mov_b64 s[66:67], 0
	s_and_saveexec_b64 s[10:11], s[8:9]
; %bb.10:
	v_add_u32_e32 v1, s42, v16
	v_add_u32_e32 v2, s60, v16
	v_mul_lo_u32 v1, v1, s41
	v_mul_lo_u32 v2, v2, s43
	v_sub_u32_e32 v1, v1, v2
	v_cmp_lt_u32_e64 s[8:9], s61, v1
	s_and_b64 s[66:67], s[8:9], exec
; %bb.11:
	s_or_b64 exec, exec, s[10:11]
	v_add_u32_e32 v1, s37, v17
	v_add_u32_e32 v2, s39, v17
	v_mul_lo_u32 v1, v1, s36
	v_mul_lo_u32 v2, v2, s38
	v_sub_u32_e32 v1, v1, v2
	v_cmp_lt_u32_e64 s[8:9], s40, v1
	v_cmp_ge_u32_e64 s[10:11], s40, v1
	s_and_saveexec_b64 s[12:13], s[10:11]
; %bb.12:
	v_add_u32_e32 v1, s42, v17
	v_add_u32_e32 v2, s60, v17
	v_mul_lo_u32 v1, v1, s41
	v_mul_lo_u32 v2, v2, s43
	v_sub_u32_e32 v1, v1, v2
	v_cmp_lt_u32_e64 s[10:11], s61, v1
	s_and_b64 s[68:69], s[10:11], exec
; %bb.13:
	s_or_b64 exec, exec, s[12:13]
	v_add_u32_e32 v1, s37, v14
	v_add_u32_e32 v2, s39, v14
	v_mul_lo_u32 v1, v1, s36
	v_mul_lo_u32 v2, v2, s38
	v_sub_u32_e32 v1, v1, v2
	v_cmp_lt_u32_e64 s[10:11], s40, v1
	;; [unrolled: 38-line block ×5, first 2 shown]
	v_cmp_ge_u32_e64 s[24:25], s40, v1
	s_mov_b64 s[84:85], 0
	s_mov_b64 s[86:87], 0
	s_and_saveexec_b64 s[28:29], s[24:25]
; %bb.26:
	v_add_u32_e32 v1, s42, v8
	v_add_u32_e32 v2, s60, v8
	v_mul_lo_u32 v1, v1, s41
	v_mul_lo_u32 v2, v2, s43
	v_sub_u32_e32 v1, v1, v2
	v_cmp_lt_u32_e64 s[24:25], s61, v1
	s_and_b64 s[86:87], s[24:25], exec
; %bb.27:
	s_or_b64 exec, exec, s[28:29]
	v_add_u32_e32 v1, s37, v9
	v_add_u32_e32 v2, s39, v9
	v_mul_lo_u32 v1, v1, s36
	v_mul_lo_u32 v2, v2, s38
	v_sub_u32_e32 v1, v1, v2
	v_cmp_lt_u32_e64 s[24:25], s40, v1
	v_cmp_ge_u32_e64 s[28:29], s40, v1
	s_and_saveexec_b64 s[46:47], s[28:29]
; %bb.28:
	v_add_u32_e32 v1, s42, v9
	v_add_u32_e32 v2, s60, v9
	v_mul_lo_u32 v1, v1, s41
	v_mul_lo_u32 v2, v2, s43
	v_sub_u32_e32 v1, v1, v2
	v_cmp_lt_u32_e64 s[28:29], s61, v1
	s_and_b64 s[84:85], s[28:29], exec
; %bb.29:
	s_or_b64 exec, exec, s[46:47]
	v_add_u32_e32 v1, s37, v30
	v_add_u32_e32 v2, s39, v30
	v_mul_lo_u32 v1, v1, s36
	v_mul_lo_u32 v2, v2, s38
	v_sub_u32_e32 v1, v1, v2
	v_cmp_ge_u32_e64 s[28:29], s40, v1
	s_mov_b64 s[46:47], -1
	s_mov_b64 s[78:79], 0
	s_mov_b64 s[58:59], 0
	s_and_saveexec_b64 s[88:89], s[28:29]
; %bb.30:
	v_add_u32_e32 v1, s42, v30
	v_add_u32_e32 v2, s60, v30
	v_mul_lo_u32 v1, v1, s41
	v_mul_lo_u32 v2, v2, s43
	v_sub_u32_e32 v1, v1, v2
	v_cmp_lt_u32_e64 s[28:29], s61, v1
	s_and_b64 s[58:59], s[28:29], exec
	s_xor_b64 s[46:47], exec, -1
; %bb.31:
	s_or_b64 exec, exec, s[88:89]
	v_cndmask_b32_e64 v52, 0, 1, s[86:87]
	v_cndmask_b32_e64 v55, 0, 1, s[24:25]
	;; [unrolled: 1-line block ×22, first 2 shown]
	v_cndmask_b32_e64 v32, 0, 1, vcc
	v_cndmask_b32_e64 v54, 0, 1, s[84:85]
	s_load_dwordx2 s[12:13], s[4:5], 0x78
	s_add_i32 s18, s7, 0xd00
	s_and_b64 vcc, exec, s[78:79]
	s_cbranch_vccnz .LBB347_33
	s_branch .LBB347_86
.LBB347_32:
                                        ; implicit-def: $sgpr46_sgpr47
                                        ; implicit-def: $sgpr58_sgpr59
                                        ; implicit-def: $vgpr54
                                        ; implicit-def: $vgpr52
                                        ; implicit-def: $vgpr50
                                        ; implicit-def: $vgpr48
                                        ; implicit-def: $vgpr46
                                        ; implicit-def: $vgpr44
                                        ; implicit-def: $vgpr42
                                        ; implicit-def: $vgpr40
                                        ; implicit-def: $vgpr38
                                        ; implicit-def: $vgpr32
                                        ; implicit-def: $vgpr34
                                        ; implicit-def: $vgpr36
                                        ; implicit-def: $vgpr39
                                        ; implicit-def: $vgpr41
                                        ; implicit-def: $vgpr43
                                        ; implicit-def: $vgpr45
                                        ; implicit-def: $vgpr47
                                        ; implicit-def: $vgpr49
                                        ; implicit-def: $vgpr51
                                        ; implicit-def: $vgpr53
                                        ; implicit-def: $vgpr55
                                        ; implicit-def: $vgpr33
                                        ; implicit-def: $vgpr35
                                        ; implicit-def: $vgpr37
	s_load_dwordx2 s[12:13], s[4:5], 0x78
	s_add_i32 s18, s7, 0xd00
	s_cbranch_execz .LBB347_86
.LBB347_33:
	v_cmp_gt_u32_e32 vcc, s18, v31
	v_mov_b32_e32 v33, 0
	v_mov_b32_e32 v32, 0
	s_and_saveexec_b64 s[4:5], vcc
	s_cbranch_execz .LBB347_37
; %bb.34:
	v_add_u32_e32 v1, s37, v18
	v_add_u32_e32 v2, s39, v18
	v_mul_lo_u32 v1, v1, s36
	v_mul_lo_u32 v2, v2, s38
	v_sub_u32_e32 v1, v1, v2
	v_cmp_lt_u32_e32 vcc, s40, v1
	v_cmp_ge_u32_e64 s[2:3], s40, v1
	s_mov_b64 s[10:11], 0
	s_and_saveexec_b64 s[8:9], s[2:3]
; %bb.35:
	v_add_u32_e32 v1, s42, v18
	v_add_u32_e32 v2, s60, v18
	v_mul_lo_u32 v1, v1, s41
	v_mul_lo_u32 v2, v2, s43
	v_sub_u32_e32 v1, v1, v2
	v_cmp_lt_u32_e64 s[2:3], s61, v1
	s_and_b64 s[10:11], s[2:3], exec
; %bb.36:
	s_or_b64 exec, exec, s[8:9]
	v_cndmask_b32_e64 v32, 0, 1, vcc
	v_cndmask_b32_e64 v33, 0, 1, s[10:11]
.LBB347_37:
	s_or_b64 exec, exec, s[4:5]
	v_add_u32_e32 v1, 1, v31
	v_cmp_gt_u32_e32 vcc, s18, v1
	v_mov_b32_e32 v34, 0
	v_mov_b32_e32 v35, 0
	s_and_saveexec_b64 s[4:5], vcc
	s_cbranch_execz .LBB347_41
; %bb.38:
	v_add_u32_e32 v1, s37, v19
	v_add_u32_e32 v2, s39, v19
	v_mul_lo_u32 v1, v1, s36
	v_mul_lo_u32 v2, v2, s38
	v_sub_u32_e32 v1, v1, v2
	v_cmp_lt_u32_e32 vcc, s40, v1
	v_cmp_ge_u32_e64 s[2:3], s40, v1
	s_mov_b64 s[10:11], 0
	s_and_saveexec_b64 s[8:9], s[2:3]
; %bb.39:
	v_add_u32_e32 v1, s42, v19
	v_add_u32_e32 v2, s60, v19
	v_mul_lo_u32 v1, v1, s41
	v_mul_lo_u32 v2, v2, s43
	v_sub_u32_e32 v1, v1, v2
	v_cmp_lt_u32_e64 s[2:3], s61, v1
	s_and_b64 s[10:11], s[2:3], exec
; %bb.40:
	s_or_b64 exec, exec, s[8:9]
	v_cndmask_b32_e64 v34, 0, 1, vcc
	v_cndmask_b32_e64 v35, 0, 1, s[10:11]
.LBB347_41:
	s_or_b64 exec, exec, s[4:5]
	v_add_u32_e32 v1, 2, v31
	;; [unrolled: 30-line block ×12, first 2 shown]
	v_cmp_gt_u32_e32 vcc, s18, v1
	s_mov_b64 s[46:47], 0
	s_mov_b64 s[58:59], 0
	s_and_saveexec_b64 s[2:3], vcc
	s_cbranch_execz .LBB347_85
; %bb.82:
	v_add_u32_e32 v1, s37, v30
	v_add_u32_e32 v2, s39, v30
	v_mul_lo_u32 v1, v1, s36
	v_mul_lo_u32 v2, v2, s38
	v_sub_u32_e32 v1, v1, v2
	v_cmp_ge_u32_e32 vcc, s40, v1
	s_mov_b64 s[8:9], -1
	s_mov_b64 s[10:11], 0
	s_and_saveexec_b64 s[4:5], vcc
; %bb.83:
	v_add_u32_e32 v1, s42, v30
	v_add_u32_e32 v2, s60, v30
	v_mul_lo_u32 v1, v1, s41
	v_mul_lo_u32 v2, v2, s43
	v_sub_u32_e32 v1, v1, v2
	v_cmp_lt_u32_e32 vcc, s61, v1
	s_and_b64 s[10:11], vcc, exec
	s_xor_b64 s[8:9], exec, -1
; %bb.84:
	s_or_b64 exec, exec, s[4:5]
	s_and_b64 s[58:59], s[10:11], exec
	s_and_b64 s[46:47], s[8:9], exec
.LBB347_85:
	s_or_b64 exec, exec, s[2:3]
.LBB347_86:
	v_and_b32_e32 v63, 0xff, v33
	v_and_b32_e32 v74, 0xff, v35
	;; [unrolled: 1-line block ×5, first 2 shown]
	v_add3_u32 v2, v74, v65, v63
	v_and_b32_e32 v76, 0xff, v42
	v_and_b32_e32 v69, 0xff, v44
	v_add3_u32 v2, v2, v75, v67
	v_and_b32_e32 v62, 0xff, v32
	v_and_b32_e32 v56, 0xff, v34
	;; [unrolled: 1-line block ×5, first 2 shown]
	v_add3_u32 v2, v2, v76, v69
	v_and_b32_e32 v57, 0xff, v39
	v_and_b32_e32 v66, 0xff, v41
	;; [unrolled: 1-line block ×4, first 2 shown]
	v_add3_u32 v3, v56, v64, v62
	v_add3_u32 v2, v2, v77, v71
	v_and_b32_e32 v58, 0xff, v43
	v_and_b32_e32 v68, 0xff, v45
	;; [unrolled: 1-line block ×3, first 2 shown]
	v_cndmask_b32_e64 v1, 0, 1, s[58:59]
	v_add3_u32 v3, v3, v57, v66
	v_add3_u32 v2, v2, v78, v73
	v_and_b32_e32 v59, 0xff, v47
	v_and_b32_e32 v70, 0xff, v49
	v_add3_u32 v3, v3, v58, v68
	v_add3_u32 v86, v2, v79, v1
	v_mbcnt_lo_u32_b32 v1, -1, 0
	v_and_b32_e32 v60, 0xff, v51
	v_and_b32_e32 v72, 0xff, v53
	v_add3_u32 v3, v3, v59, v70
	v_mbcnt_hi_u32_b32 v80, -1, v1
	v_and_b32_e32 v61, 0xff, v55
	v_add3_u32 v3, v3, v60, v72
	v_cndmask_b32_e64 v4, 0, 1, s[46:47]
	v_and_b32_e32 v84, 15, v80
	s_cmp_lg_u32 s6, 0
	v_add3_u32 v85, v3, v61, v4
	v_cmp_eq_u32_e64 s[4:5], 0, v84
	v_cmp_lt_u32_e64 s[2:3], 1, v84
	v_cmp_lt_u32_e64 s[8:9], 3, v84
	;; [unrolled: 1-line block ×3, first 2 shown]
	v_and_b32_e32 v83, 16, v80
	v_cmp_lt_u32_e32 vcc, 31, v80
	v_lshrrev_b32_e32 v81, 6, v0
	v_or_b32_e32 v82, 63, v0
	s_cbranch_scc0 .LBB347_119
; %bb.87:
	v_mov_b32_dpp v1, v85 row_shr:1 row_mask:0xf bank_mask:0xf
	v_mov_b32_dpp v2, v86 row_shr:1 row_mask:0xf bank_mask:0xf
	v_add_u32_e32 v1, v1, v85
	v_add_u32_e32 v2, v2, v86
	v_cndmask_b32_e64 v2, v2, v86, s[4:5]
	v_cndmask_b32_e64 v1, v1, v85, s[4:5]
	s_nop 0
	v_mov_b32_dpp v4, v2 row_shr:2 row_mask:0xf bank_mask:0xf
	v_mov_b32_dpp v3, v1 row_shr:2 row_mask:0xf bank_mask:0xf
	v_add_u32_e32 v3, v1, v3
	v_add_u32_e32 v4, v2, v4
	v_cndmask_b32_e64 v2, v2, v4, s[2:3]
	v_cndmask_b32_e64 v1, v1, v3, s[2:3]
	s_nop 0
	v_mov_b32_dpp v4, v2 row_shr:4 row_mask:0xf bank_mask:0xf
	v_mov_b32_dpp v3, v1 row_shr:4 row_mask:0xf bank_mask:0xf
	v_add_u32_e32 v3, v1, v3
	v_add_u32_e32 v4, v2, v4
	v_cndmask_b32_e64 v2, v2, v4, s[8:9]
	v_cndmask_b32_e64 v1, v1, v3, s[8:9]
	v_cmp_eq_u32_e64 s[8:9], 0, v83
	v_mov_b32_dpp v4, v2 row_shr:8 row_mask:0xf bank_mask:0xf
	v_mov_b32_dpp v3, v1 row_shr:8 row_mask:0xf bank_mask:0xf
	v_add_u32_e32 v3, v1, v3
	v_add_u32_e32 v4, v2, v4
	v_cndmask_b32_e64 v2, v2, v4, s[10:11]
	v_cndmask_b32_e64 v1, v1, v3, s[10:11]
	s_nop 0
	v_mov_b32_dpp v4, v2 row_bcast:15 row_mask:0xf bank_mask:0xf
	v_mov_b32_dpp v3, v1 row_bcast:15 row_mask:0xf bank_mask:0xf
	v_add_u32_e32 v3, v1, v3
	v_add_u32_e32 v4, v2, v4
	v_cndmask_b32_e64 v2, v4, v2, s[8:9]
	v_cndmask_b32_e64 v1, v3, v1, s[8:9]
	s_nop 0
	v_mov_b32_dpp v4, v2 row_bcast:31 row_mask:0xf bank_mask:0xf
	v_mov_b32_dpp v3, v1 row_bcast:31 row_mask:0xf bank_mask:0xf
	v_add_u32_e32 v4, v2, v4
	v_add_u32_e32 v5, v1, v3
	v_cndmask_b32_e32 v3, v2, v4, vcc
	v_cndmask_b32_e32 v2, v1, v5, vcc
	v_cmp_eq_u32_e32 vcc, v82, v0
	s_and_saveexec_b64 s[8:9], vcc
	s_cbranch_execz .LBB347_89
; %bb.88:
	v_lshlrev_b32_e32 v1, 3, v81
	ds_write_b64 v1, v[2:3]
.LBB347_89:
	s_or_b64 exec, exec, s[8:9]
	v_cmp_gt_u32_e32 vcc, 4, v0
	s_waitcnt lgkmcnt(0)
	s_barrier
	s_and_saveexec_b64 s[8:9], vcc
	s_cbranch_execz .LBB347_91
; %bb.90:
	v_lshlrev_b32_e32 v1, 3, v0
	ds_read_b64 v[4:5], v1
	v_and_b32_e32 v6, 3, v80
	v_cmp_eq_u32_e32 vcc, 0, v6
	s_waitcnt lgkmcnt(0)
	v_mov_b32_dpp v7, v4 row_shr:1 row_mask:0xf bank_mask:0xf
	v_mov_b32_dpp v20, v5 row_shr:1 row_mask:0xf bank_mask:0xf
	v_add_u32_e32 v7, v7, v4
	v_add_u32_e32 v20, v20, v5
	v_cndmask_b32_e32 v5, v20, v5, vcc
	v_cndmask_b32_e32 v4, v7, v4, vcc
	v_cmp_lt_u32_e32 vcc, 1, v6
	v_mov_b32_dpp v20, v5 row_shr:2 row_mask:0xf bank_mask:0xf
	v_mov_b32_dpp v7, v4 row_shr:2 row_mask:0xf bank_mask:0xf
	v_cndmask_b32_e32 v6, 0, v7, vcc
	v_cndmask_b32_e32 v7, 0, v20, vcc
	v_add_u32_e32 v5, v7, v5
	v_add_u32_e32 v4, v6, v4
	ds_write_b64 v1, v[4:5]
.LBB347_91:
	s_or_b64 exec, exec, s[8:9]
	v_cmp_gt_u32_e32 vcc, 64, v0
	v_cmp_lt_u32_e64 s[8:9], 63, v0
	s_waitcnt lgkmcnt(0)
	s_barrier
	s_waitcnt lgkmcnt(0)
                                        ; implicit-def: $vgpr21
	s_and_saveexec_b64 s[10:11], s[8:9]
	s_xor_b64 s[8:9], exec, s[10:11]
	s_cbranch_execz .LBB347_93
; %bb.92:
	v_lshl_add_u32 v1, v81, 3, -8
	ds_read_b64 v[20:21], v1
	s_waitcnt lgkmcnt(0)
	v_add_u32_e32 v3, v21, v3
	v_add_u32_e32 v2, v20, v2
.LBB347_93:
	s_andn2_saveexec_b64 s[8:9], s[8:9]
; %bb.94:
                                        ; implicit-def: $vgpr20
; %bb.95:
	s_or_b64 exec, exec, s[8:9]
	v_add_u32_e32 v1, -1, v80
	v_and_b32_e32 v4, 64, v80
	v_cmp_lt_i32_e64 s[8:9], v1, v4
	v_cndmask_b32_e64 v1, v1, v80, s[8:9]
	v_lshlrev_b32_e32 v4, 2, v1
	ds_bpermute_b32 v1, v4, v2
	ds_bpermute_b32 v87, v4, v3
	v_cmp_eq_u32_e64 s[8:9], 0, v80
	s_and_saveexec_b64 s[10:11], vcc
	s_cbranch_execz .LBB347_118
; %bb.96:
	v_mov_b32_e32 v7, 0
	ds_read_b64 v[22:23], v7 offset:24
	s_and_saveexec_b64 s[14:15], s[8:9]
	s_cbranch_execz .LBB347_98
; %bb.97:
	s_add_i32 s16, s6, 64
	s_mov_b32 s17, 0
	s_lshl_b64 s[16:17], s[16:17], 4
	s_waitcnt lgkmcnt(0)
	v_and_b32_e32 v2, 0xff000000, v23
	v_and_b32_e32 v3, 0xff0000, v23
	s_add_u32 s16, s12, s16
	v_or_b32_e32 v2, v3, v2
	v_and_b32_e32 v3, 0xff00, v23
	s_addc_u32 s17, s13, s17
	v_or_b32_e32 v2, v2, v3
	v_or_b32_sdwa v5, v2, v23 dst_sel:DWORD dst_unused:UNUSED_PAD src0_sel:DWORD src1_sel:BYTE_0
	v_mov_b32_e32 v6, 1
	v_mov_b32_e32 v4, v22
	v_pk_mov_b32 v[2:3], s[16:17], s[16:17] op_sel:[0,1]
	;;#ASMSTART
	global_store_dwordx4 v[2:3], v[4:7] off	
s_waitcnt vmcnt(0)
	;;#ASMEND
.LBB347_98:
	s_or_b64 exec, exec, s[14:15]
	v_xad_u32 v24, v80, -1, s6
	v_add_u32_e32 v6, 64, v24
	v_lshlrev_b64 v[2:3], 4, v[6:7]
	v_mov_b32_e32 v4, s13
	v_add_co_u32_e32 v26, vcc, s12, v2
	v_addc_co_u32_e32 v27, vcc, v4, v3, vcc
	;;#ASMSTART
	global_load_dwordx4 v[2:5], v[26:27] off glc	
s_waitcnt vmcnt(0)
	;;#ASMEND
	v_and_b32_e32 v5, 0xff, v3
	v_and_b32_e32 v6, 0xff00, v3
	v_or3_b32 v5, 0, v5, v6
	v_or3_b32 v2, v2, 0, 0
	v_and_b32_e32 v6, 0xff000000, v3
	v_and_b32_e32 v3, 0xff0000, v3
	v_or3_b32 v3, v5, v3, v6
	v_or3_b32 v2, v2, 0, 0
	v_cmp_eq_u16_sdwa s[16:17], v4, v7 src0_sel:BYTE_0 src1_sel:DWORD
	s_and_saveexec_b64 s[14:15], s[16:17]
	s_cbranch_execz .LBB347_104
; %bb.99:
	s_mov_b32 s7, 1
	s_mov_b64 s[16:17], 0
	v_mov_b32_e32 v6, 0
.LBB347_100:                            ; =>This Loop Header: Depth=1
                                        ;     Child Loop BB347_101 Depth 2
	s_max_u32 s19, s7, 1
.LBB347_101:                            ;   Parent Loop BB347_100 Depth=1
                                        ; =>  This Inner Loop Header: Depth=2
	s_add_i32 s19, s19, -1
	s_cmp_eq_u32 s19, 0
	s_sleep 1
	s_cbranch_scc0 .LBB347_101
; %bb.102:                              ;   in Loop: Header=BB347_100 Depth=1
	s_cmp_lt_u32 s7, 32
	s_cselect_b64 s[20:21], -1, 0
	s_cmp_lg_u64 s[20:21], 0
	s_addc_u32 s7, s7, 0
	;;#ASMSTART
	global_load_dwordx4 v[2:5], v[26:27] off glc	
s_waitcnt vmcnt(0)
	;;#ASMEND
	v_cmp_ne_u16_sdwa s[20:21], v4, v6 src0_sel:BYTE_0 src1_sel:DWORD
	s_or_b64 s[16:17], s[20:21], s[16:17]
	s_andn2_b64 exec, exec, s[16:17]
	s_cbranch_execnz .LBB347_100
; %bb.103:
	s_or_b64 exec, exec, s[16:17]
.LBB347_104:
	s_or_b64 exec, exec, s[14:15]
	v_and_b32_e32 v89, 63, v80
	v_cmp_ne_u32_e32 vcc, 63, v89
	v_mov_b32_e32 v88, 2
	v_addc_co_u32_e32 v26, vcc, 0, v80, vcc
	v_cmp_eq_u16_sdwa s[14:15], v4, v88 src0_sel:BYTE_0 src1_sel:DWORD
	v_lshlrev_b64 v[6:7], v80, -1
	v_lshlrev_b32_e32 v90, 2, v26
	v_and_b32_e32 v5, s15, v7
	ds_bpermute_b32 v26, v90, v2
	ds_bpermute_b32 v27, v90, v3
	v_or_b32_e32 v5, 0x80000000, v5
	v_and_b32_e32 v25, s14, v6
	v_ffbl_b32_e32 v5, v5
	v_add_u32_e32 v5, 32, v5
	v_ffbl_b32_e32 v25, v25
	v_min_u32_e32 v5, v25, v5
	s_waitcnt lgkmcnt(1)
	v_add_u32_e32 v25, v26, v2
	s_waitcnt lgkmcnt(0)
	v_add_u32_e32 v26, v27, v3
	v_cmp_lt_u32_e32 vcc, v89, v5
	v_cndmask_b32_e32 v3, v3, v26, vcc
	v_cndmask_b32_e32 v2, v2, v25, vcc
	v_cmp_gt_u32_e32 vcc, 62, v89
	v_cndmask_b32_e64 v25, 0, 1, vcc
	v_lshlrev_b32_e32 v25, 1, v25
	v_add_lshl_u32 v91, v25, v80, 2
	ds_bpermute_b32 v25, v91, v2
	ds_bpermute_b32 v26, v91, v3
	v_add_u32_e32 v92, 2, v89
	v_cmp_gt_u32_e32 vcc, v92, v5
	v_add_u32_e32 v94, 4, v89
	s_waitcnt lgkmcnt(1)
	v_add_u32_e32 v25, v2, v25
	s_waitcnt lgkmcnt(0)
	v_add_u32_e32 v26, v3, v26
	v_cndmask_b32_e32 v3, v26, v3, vcc
	v_cndmask_b32_e32 v2, v25, v2, vcc
	v_cmp_gt_u32_e32 vcc, 60, v89
	v_cndmask_b32_e64 v25, 0, 1, vcc
	v_lshlrev_b32_e32 v25, 2, v25
	v_add_lshl_u32 v93, v25, v80, 2
	ds_bpermute_b32 v25, v93, v2
	ds_bpermute_b32 v26, v93, v3
	v_cmp_gt_u32_e32 vcc, v94, v5
	v_add_u32_e32 v96, 8, v89
	v_add_u32_e32 v98, 16, v89
	s_waitcnt lgkmcnt(1)
	v_add_u32_e32 v25, v2, v25
	s_waitcnt lgkmcnt(0)
	v_add_u32_e32 v26, v3, v26
	v_cndmask_b32_e32 v3, v26, v3, vcc
	v_cndmask_b32_e32 v2, v25, v2, vcc
	v_cmp_gt_u32_e32 vcc, 56, v89
	v_cndmask_b32_e64 v25, 0, 1, vcc
	v_lshlrev_b32_e32 v25, 3, v25
	v_add_lshl_u32 v95, v25, v80, 2
	ds_bpermute_b32 v25, v95, v2
	ds_bpermute_b32 v26, v95, v3
	v_cmp_gt_u32_e32 vcc, v96, v5
	v_add_u32_e32 v100, 32, v89
	s_waitcnt lgkmcnt(1)
	v_add_u32_e32 v25, v2, v25
	s_waitcnt lgkmcnt(0)
	v_add_u32_e32 v26, v3, v26
	v_cndmask_b32_e32 v3, v26, v3, vcc
	v_cndmask_b32_e32 v2, v25, v2, vcc
	v_cmp_gt_u32_e32 vcc, 48, v89
	v_cndmask_b32_e64 v25, 0, 1, vcc
	v_lshlrev_b32_e32 v25, 4, v25
	v_add_lshl_u32 v97, v25, v80, 2
	ds_bpermute_b32 v25, v97, v2
	ds_bpermute_b32 v26, v97, v3
	v_cmp_gt_u32_e32 vcc, v98, v5
	s_waitcnt lgkmcnt(1)
	v_add_u32_e32 v25, v2, v25
	s_waitcnt lgkmcnt(0)
	v_add_u32_e32 v26, v3, v26
	v_cndmask_b32_e32 v3, v26, v3, vcc
	v_cndmask_b32_e32 v2, v25, v2, vcc
	v_cmp_gt_u32_e32 vcc, 32, v89
	v_cndmask_b32_e64 v25, 0, 1, vcc
	v_lshlrev_b32_e32 v25, 5, v25
	v_add_lshl_u32 v99, v25, v80, 2
	ds_bpermute_b32 v25, v99, v2
	ds_bpermute_b32 v26, v99, v3
	v_cmp_le_u32_e32 vcc, v100, v5
	s_waitcnt lgkmcnt(1)
	v_cndmask_b32_e32 v5, 0, v25, vcc
	s_waitcnt lgkmcnt(0)
	v_cndmask_b32_e32 v25, 0, v26, vcc
	v_add_u32_e32 v3, v3, v25
	v_add_u32_e32 v2, v2, v5
	v_mov_b32_e32 v25, 0
	s_branch .LBB347_106
.LBB347_105:                            ;   in Loop: Header=BB347_106 Depth=1
	s_or_b64 exec, exec, s[14:15]
	v_cmp_eq_u16_sdwa s[14:15], v4, v88 src0_sel:BYTE_0 src1_sel:DWORD
	v_and_b32_e32 v5, s15, v7
	ds_bpermute_b32 v29, v90, v2
	ds_bpermute_b32 v101, v90, v3
	v_or_b32_e32 v5, 0x80000000, v5
	v_and_b32_e32 v28, s14, v6
	v_ffbl_b32_e32 v5, v5
	v_add_u32_e32 v5, 32, v5
	v_ffbl_b32_e32 v28, v28
	v_min_u32_e32 v5, v28, v5
	s_waitcnt lgkmcnt(1)
	v_add_u32_e32 v28, v29, v2
	s_waitcnt lgkmcnt(0)
	v_add_u32_e32 v29, v101, v3
	v_cmp_lt_u32_e32 vcc, v89, v5
	v_cndmask_b32_e32 v3, v3, v29, vcc
	v_cndmask_b32_e32 v2, v2, v28, vcc
	ds_bpermute_b32 v28, v91, v2
	ds_bpermute_b32 v29, v91, v3
	v_cmp_gt_u32_e32 vcc, v92, v5
	v_subrev_u32_e32 v24, 64, v24
	s_waitcnt lgkmcnt(1)
	v_add_u32_e32 v28, v2, v28
	s_waitcnt lgkmcnt(0)
	v_add_u32_e32 v29, v3, v29
	v_cndmask_b32_e32 v3, v29, v3, vcc
	v_cndmask_b32_e32 v2, v28, v2, vcc
	ds_bpermute_b32 v28, v93, v2
	ds_bpermute_b32 v29, v93, v3
	v_cmp_gt_u32_e32 vcc, v94, v5
	s_waitcnt lgkmcnt(1)
	v_add_u32_e32 v28, v2, v28
	s_waitcnt lgkmcnt(0)
	v_add_u32_e32 v29, v3, v29
	v_cndmask_b32_e32 v3, v29, v3, vcc
	v_cndmask_b32_e32 v2, v28, v2, vcc
	ds_bpermute_b32 v28, v95, v2
	ds_bpermute_b32 v29, v95, v3
	v_cmp_gt_u32_e32 vcc, v96, v5
	;; [unrolled: 9-line block ×3, first 2 shown]
	s_waitcnt lgkmcnt(1)
	v_add_u32_e32 v28, v2, v28
	s_waitcnt lgkmcnt(0)
	v_add_u32_e32 v29, v3, v29
	v_cndmask_b32_e32 v3, v29, v3, vcc
	v_cndmask_b32_e32 v2, v28, v2, vcc
	ds_bpermute_b32 v28, v99, v2
	ds_bpermute_b32 v29, v99, v3
	v_cmp_le_u32_e32 vcc, v100, v5
	s_waitcnt lgkmcnt(1)
	v_cndmask_b32_e32 v5, 0, v28, vcc
	s_waitcnt lgkmcnt(0)
	v_cndmask_b32_e32 v28, 0, v29, vcc
	v_add3_u32 v3, v28, v27, v3
	v_add3_u32 v2, v5, v26, v2
.LBB347_106:                            ; =>This Loop Header: Depth=1
                                        ;     Child Loop BB347_109 Depth 2
                                        ;       Child Loop BB347_110 Depth 3
	v_cmp_ne_u16_sdwa s[14:15], v4, v88 src0_sel:BYTE_0 src1_sel:DWORD
	v_cndmask_b32_e64 v4, 0, 1, s[14:15]
	;;#ASMSTART
	;;#ASMEND
	v_cmp_ne_u32_e32 vcc, 0, v4
	s_cmp_lg_u64 vcc, exec
	v_pk_mov_b32 v[26:27], v[2:3], v[2:3] op_sel:[0,1]
	s_cbranch_scc1 .LBB347_113
; %bb.107:                              ;   in Loop: Header=BB347_106 Depth=1
	v_lshlrev_b64 v[2:3], 4, v[24:25]
	v_mov_b32_e32 v4, s13
	v_add_co_u32_e32 v28, vcc, s12, v2
	v_addc_co_u32_e32 v29, vcc, v4, v3, vcc
	;;#ASMSTART
	global_load_dwordx4 v[2:5], v[28:29] off glc	
s_waitcnt vmcnt(0)
	;;#ASMEND
	v_and_b32_e32 v5, 0xff, v3
	v_and_b32_e32 v101, 0xff00, v3
	v_or3_b32 v5, 0, v5, v101
	v_or3_b32 v2, v2, 0, 0
	v_and_b32_e32 v101, 0xff000000, v3
	v_and_b32_e32 v3, 0xff0000, v3
	v_or3_b32 v3, v5, v3, v101
	v_or3_b32 v2, v2, 0, 0
	v_cmp_eq_u16_sdwa s[16:17], v4, v25 src0_sel:BYTE_0 src1_sel:DWORD
	s_and_saveexec_b64 s[14:15], s[16:17]
	s_cbranch_execz .LBB347_105
; %bb.108:                              ;   in Loop: Header=BB347_106 Depth=1
	s_mov_b32 s7, 1
	s_mov_b64 s[16:17], 0
.LBB347_109:                            ;   Parent Loop BB347_106 Depth=1
                                        ; =>  This Loop Header: Depth=2
                                        ;       Child Loop BB347_110 Depth 3
	s_max_u32 s19, s7, 1
.LBB347_110:                            ;   Parent Loop BB347_106 Depth=1
                                        ;     Parent Loop BB347_109 Depth=2
                                        ; =>    This Inner Loop Header: Depth=3
	s_add_i32 s19, s19, -1
	s_cmp_eq_u32 s19, 0
	s_sleep 1
	s_cbranch_scc0 .LBB347_110
; %bb.111:                              ;   in Loop: Header=BB347_109 Depth=2
	s_cmp_lt_u32 s7, 32
	s_cselect_b64 s[20:21], -1, 0
	s_cmp_lg_u64 s[20:21], 0
	s_addc_u32 s7, s7, 0
	;;#ASMSTART
	global_load_dwordx4 v[2:5], v[28:29] off glc	
s_waitcnt vmcnt(0)
	;;#ASMEND
	v_cmp_ne_u16_sdwa s[20:21], v4, v25 src0_sel:BYTE_0 src1_sel:DWORD
	s_or_b64 s[16:17], s[20:21], s[16:17]
	s_andn2_b64 exec, exec, s[16:17]
	s_cbranch_execnz .LBB347_109
; %bb.112:                              ;   in Loop: Header=BB347_106 Depth=1
	s_or_b64 exec, exec, s[16:17]
	s_branch .LBB347_105
.LBB347_113:                            ;   in Loop: Header=BB347_106 Depth=1
                                        ; implicit-def: $vgpr4
                                        ; implicit-def: $vgpr2_vgpr3
	s_cbranch_execz .LBB347_106
; %bb.114:
	s_and_saveexec_b64 s[14:15], s[8:9]
	s_cbranch_execz .LBB347_116
; %bb.115:
	s_add_i32 s6, s6, 64
	s_mov_b32 s7, 0
	v_add_u32_e32 v3, v27, v23
	s_lshl_b64 s[6:7], s[6:7], 4
	s_add_u32 s6, s12, s6
	v_and_b32_e32 v4, 0xff000000, v3
	v_and_b32_e32 v6, 0xff0000, v3
	s_addc_u32 s7, s13, s7
	v_or_b32_e32 v4, v6, v4
	v_and_b32_e32 v6, 0xff00, v3
	v_and_b32_e32 v3, 0xff, v3
	v_add_u32_e32 v2, v26, v22
	v_mov_b32_e32 v5, 0
	v_or3_b32 v3, v4, v6, v3
	v_mov_b32_e32 v4, 2
	v_pk_mov_b32 v[6:7], s[6:7], s[6:7] op_sel:[0,1]
	;;#ASMSTART
	global_store_dwordx4 v[6:7], v[2:5] off	
s_waitcnt vmcnt(0)
	;;#ASMEND
	s_movk_i32 s6, 0x3400
	v_add_u32_e64 v2, s6, 0
	ds_write2_b32 v2, v22, v23 offset1:2
	ds_write2_b32 v2, v26, v27 offset0:4 offset1:6
.LBB347_116:
	s_or_b64 exec, exec, s[14:15]
	v_cmp_eq_u32_e32 vcc, 0, v0
	s_and_b64 exec, exec, vcc
	s_cbranch_execz .LBB347_118
; %bb.117:
	v_mov_b32_e32 v2, 0
	ds_write_b64 v2, v[26:27] offset:24
.LBB347_118:
	s_or_b64 exec, exec, s[10:11]
	v_mov_b32_e32 v2, 0
	s_waitcnt lgkmcnt(0)
	s_barrier
	ds_read_b64 v[6:7], v2 offset:24
	s_movk_i32 s6, 0x3400
	v_cndmask_b32_e64 v2, v87, v21, s[8:9]
	v_cndmask_b32_e64 v1, v1, v20, s[8:9]
	v_add_u32_e64 v4, s6, 0
	s_waitcnt lgkmcnt(0)
	v_add_u32_e32 v20, v6, v1
	v_add_u32_e32 v1, v7, v2
	s_barrier
	ds_read2_b32 v[2:3], v4 offset1:2
	ds_read2_b32 v[4:5], v4 offset0:4 offset1:6
	v_cmp_eq_u32_e32 vcc, 0, v0
	v_cndmask_b32_e32 v1, v1, v7, vcc
	v_cndmask_b32_e32 v20, v20, v6, vcc
	s_branch .LBB347_129
.LBB347_119:
                                        ; implicit-def: $vgpr1
                                        ; implicit-def: $vgpr4
                                        ; implicit-def: $vgpr2
                                        ; implicit-def: $vgpr20_vgpr21
	s_cbranch_execz .LBB347_129
; %bb.120:
	s_nop 0
	v_mov_b32_dpp v1, v85 row_shr:1 row_mask:0xf bank_mask:0xf
	s_waitcnt lgkmcnt(0)
	v_mov_b32_dpp v2, v86 row_shr:1 row_mask:0xf bank_mask:0xf
	v_add_u32_e32 v1, v1, v85
	v_add_u32_e32 v2, v2, v86
	v_cndmask_b32_e64 v2, v2, v86, s[4:5]
	v_cndmask_b32_e64 v1, v1, v85, s[4:5]
	v_cmp_lt_u32_e32 vcc, 3, v84
	v_mov_b32_dpp v4, v2 row_shr:2 row_mask:0xf bank_mask:0xf
	v_mov_b32_dpp v3, v1 row_shr:2 row_mask:0xf bank_mask:0xf
	v_add_u32_e32 v3, v1, v3
	v_add_u32_e32 v4, v2, v4
	v_cndmask_b32_e64 v2, v2, v4, s[2:3]
	v_cndmask_b32_e64 v1, v1, v3, s[2:3]
	s_nop 0
	v_mov_b32_dpp v4, v2 row_shr:4 row_mask:0xf bank_mask:0xf
	v_mov_b32_dpp v3, v1 row_shr:4 row_mask:0xf bank_mask:0xf
	v_add_u32_e32 v3, v1, v3
	v_add_u32_e32 v4, v2, v4
	v_cndmask_b32_e32 v2, v2, v4, vcc
	v_cndmask_b32_e32 v1, v1, v3, vcc
	v_cmp_lt_u32_e32 vcc, 7, v84
	v_mov_b32_dpp v4, v2 row_shr:8 row_mask:0xf bank_mask:0xf
	v_mov_b32_dpp v3, v1 row_shr:8 row_mask:0xf bank_mask:0xf
	v_add_u32_e32 v3, v1, v3
	v_add_u32_e32 v4, v2, v4
	v_cndmask_b32_e32 v2, v2, v4, vcc
	v_cndmask_b32_e32 v1, v1, v3, vcc
	v_cmp_eq_u32_e32 vcc, 0, v83
	v_mov_b32_dpp v4, v2 row_bcast:15 row_mask:0xf bank_mask:0xf
	v_mov_b32_dpp v3, v1 row_bcast:15 row_mask:0xf bank_mask:0xf
	v_add_u32_e32 v3, v1, v3
	v_add_u32_e32 v4, v2, v4
	v_cndmask_b32_e32 v2, v4, v2, vcc
	v_cndmask_b32_e32 v1, v3, v1, vcc
	v_cmp_lt_u32_e32 vcc, 31, v80
	v_mov_b32_dpp v4, v2 row_bcast:31 row_mask:0xf bank_mask:0xf
	v_mov_b32_dpp v3, v1 row_bcast:31 row_mask:0xf bank_mask:0xf
	v_add_u32_e32 v4, v2, v4
	v_add_u32_e32 v5, v1, v3
	v_cndmask_b32_e32 v3, v2, v4, vcc
	v_cndmask_b32_e32 v2, v1, v5, vcc
	v_cmp_eq_u32_e32 vcc, v82, v0
	s_and_saveexec_b64 s[2:3], vcc
	s_cbranch_execz .LBB347_122
; %bb.121:
	v_lshlrev_b32_e32 v1, 3, v81
	ds_write_b64 v1, v[2:3]
.LBB347_122:
	s_or_b64 exec, exec, s[2:3]
	v_cmp_gt_u32_e32 vcc, 4, v0
	s_waitcnt lgkmcnt(0)
	s_barrier
	s_and_saveexec_b64 s[2:3], vcc
	s_cbranch_execz .LBB347_124
; %bb.123:
	v_lshlrev_b32_e32 v1, 3, v0
	ds_read_b64 v[4:5], v1
	v_and_b32_e32 v6, 3, v80
	v_cmp_eq_u32_e32 vcc, 0, v6
	s_waitcnt lgkmcnt(0)
	v_mov_b32_dpp v7, v4 row_shr:1 row_mask:0xf bank_mask:0xf
	v_mov_b32_dpp v20, v5 row_shr:1 row_mask:0xf bank_mask:0xf
	v_add_u32_e32 v7, v7, v4
	v_add_u32_e32 v20, v20, v5
	v_cndmask_b32_e32 v5, v20, v5, vcc
	v_cndmask_b32_e32 v4, v7, v4, vcc
	v_cmp_lt_u32_e32 vcc, 1, v6
	v_mov_b32_dpp v20, v5 row_shr:2 row_mask:0xf bank_mask:0xf
	v_mov_b32_dpp v7, v4 row_shr:2 row_mask:0xf bank_mask:0xf
	v_cndmask_b32_e32 v6, 0, v7, vcc
	v_cndmask_b32_e32 v7, 0, v20, vcc
	v_add_u32_e32 v5, v7, v5
	v_add_u32_e32 v4, v6, v4
	ds_write_b64 v1, v[4:5]
.LBB347_124:
	s_or_b64 exec, exec, s[2:3]
	v_cmp_lt_u32_e32 vcc, 63, v0
	v_mov_b32_e32 v4, 0
	v_mov_b32_e32 v6, 0
	v_mov_b32_e32 v7, 0
	s_waitcnt lgkmcnt(0)
	s_barrier
	s_and_saveexec_b64 s[2:3], vcc
	s_cbranch_execz .LBB347_126
; %bb.125:
	v_lshl_add_u32 v1, v81, 3, -8
	ds_read_b64 v[6:7], v1
.LBB347_126:
	s_or_b64 exec, exec, s[2:3]
	s_waitcnt lgkmcnt(0)
	v_add_u32_e32 v5, v7, v3
	v_add_u32_e32 v1, v6, v2
	v_add_u32_e32 v2, -1, v80
	v_and_b32_e32 v3, 64, v80
	v_cmp_lt_i32_e32 vcc, v2, v3
	v_cndmask_b32_e32 v2, v2, v80, vcc
	v_lshlrev_b32_e32 v20, 2, v2
	ds_read_b64 v[2:3], v4 offset:24
	ds_bpermute_b32 v1, v20, v1
	ds_bpermute_b32 v20, v20, v5
	v_cmp_eq_u32_e32 vcc, 0, v0
	s_waitcnt lgkmcnt(2)
	v_readfirstlane_b32 s4, v3
	s_and_saveexec_b64 s[2:3], vcc
	s_cbranch_execz .LBB347_128
; %bb.127:
	s_add_u32 s6, s12, 0x400
	s_mov_b32 s8, 0
	s_addc_u32 s7, s13, 0
	s_and_b32 s9, s4, 0xff000000
	s_and_b32 s11, s4, 0xff0000
	s_mov_b32 s10, s8
	s_or_b64 s[10:11], s[10:11], s[8:9]
	s_and_b32 s9, s4, 0xff00
	s_or_b64 s[10:11], s[10:11], s[8:9]
	s_and_b32 s9, s4, 0xff
	s_or_b64 s[8:9], s[10:11], s[8:9]
	v_mov_b32_e32 v3, s9
	v_mov_b32_e32 v4, 2
	v_mov_b32_e32 v5, 0
	v_pk_mov_b32 v[22:23], s[6:7], s[6:7] op_sel:[0,1]
	;;#ASMSTART
	global_store_dwordx4 v[22:23], v[2:5] off	
s_waitcnt vmcnt(0)
	;;#ASMEND
.LBB347_128:
	s_or_b64 exec, exec, s[2:3]
	v_cmp_eq_u32_e64 s[2:3], 0, v80
	s_waitcnt lgkmcnt(1)
	v_cndmask_b32_e64 v3, v1, v6, s[2:3]
	s_waitcnt lgkmcnt(0)
	v_cndmask_b32_e64 v1, v20, v7, s[2:3]
	v_mov_b32_e32 v4, 0
	v_cndmask_b32_e64 v1, v1, 0, vcc
	v_cndmask_b32_e64 v20, v3, 0, vcc
	s_barrier
	v_mov_b32_e32 v3, s4
	v_mov_b32_e32 v5, 0
.LBB347_129:
	v_add_u32_e32 v24, v1, v63
	v_add_u32_e32 v25, v24, v74
	;; [unrolled: 1-line block ×14, first 2 shown]
	v_mov_b32_e32 v7, s49
	s_waitcnt lgkmcnt(0)
	v_add_co_u32_e32 v6, vcc, s48, v4
	v_add_u32_e32 v64, v58, v68
	v_add_u32_e32 v68, v66, v71
	v_addc_co_u32_e32 v7, vcc, 0, v7, vcc
	v_add_u32_e32 v69, v68, v78
	v_mov_b32_e32 v22, s51
	v_sub_co_u32_e32 v23, vcc, s50, v2
	v_add_u32_e32 v71, v69, v73
	v_subbrev_co_u32_e32 v73, vcc, 0, v22, vcc
	v_add_co_u32_e32 v22, vcc, v23, v5
	v_addc_co_u32_e32 v23, vcc, 0, v73, vcc
	v_lshlrev_b32_e32 v73, 1, v2
	v_sub_u32_e32 v1, v1, v5
	v_add_u32_e32 v74, v73, v3
	v_sub_u32_e32 v20, v20, v4
	v_add_u32_e32 v1, v1, v2
	v_add_u32_e32 v31, v74, v31
	v_and_b32_e32 v33, 1, v33
	v_add_u32_e32 v74, v20, v1
	v_and_b32_e32 v32, 1, v32
	v_sub_u32_e32 v74, v31, v74
	v_cmp_eq_u32_e32 vcc, 1, v33
	v_cndmask_b32_e32 v1, v74, v1, vcc
	v_cmp_eq_u32_e32 vcc, 1, v32
	v_cndmask_b32_e32 v1, v1, v20, vcc
	v_lshlrev_b32_e32 v1, 2, v1
	v_sub_u32_e32 v20, v24, v5
	ds_write_b32 v1, v18
	v_sub_u32_e32 v1, v21, v4
	v_add_u32_e32 v20, v20, v2
	v_add_u32_e32 v24, v20, v1
	v_and_b32_e32 v21, 1, v35
	v_sub_u32_e32 v24, v31, v24
	v_and_b32_e32 v18, 1, v34
	v_add_u32_e32 v24, 1, v24
	v_cmp_eq_u32_e32 vcc, 1, v21
	v_cndmask_b32_e32 v20, v24, v20, vcc
	v_cmp_eq_u32_e32 vcc, 1, v18
	v_cndmask_b32_e32 v1, v20, v1, vcc
	v_lshlrev_b32_e32 v1, 2, v1
	ds_write_b32 v1, v19
	v_sub_u32_e32 v19, v25, v5
	v_sub_u32_e32 v1, v26, v4
	v_add_u32_e32 v19, v19, v2
	v_add_u32_e32 v21, v19, v1
	v_and_b32_e32 v20, 1, v37
	v_sub_u32_e32 v21, v31, v21
	v_and_b32_e32 v18, 1, v36
	v_add_u32_e32 v21, 2, v21
	v_cmp_eq_u32_e32 vcc, 1, v20
	v_cndmask_b32_e32 v19, v21, v19, vcc
	v_cmp_eq_u32_e32 vcc, 1, v18
	v_cndmask_b32_e32 v1, v19, v1, vcc
	v_lshlrev_b32_e32 v1, 2, v1
	v_sub_u32_e32 v18, v28, v5
	ds_write_b32 v1, v16
	v_sub_u32_e32 v1, v27, v4
	v_add_u32_e32 v18, v18, v2
	v_add_u32_e32 v20, v1, v18
	v_and_b32_e32 v19, 1, v38
	v_sub_u32_e32 v20, v31, v20
	v_and_b32_e32 v16, 1, v39
	v_add_u32_e32 v20, 3, v20
	v_cmp_eq_u32_e32 vcc, 1, v19
	v_cndmask_b32_e32 v18, v20, v18, vcc
	v_cmp_eq_u32_e32 vcc, 1, v16
	v_cndmask_b32_e32 v1, v18, v1, vcc
	v_lshlrev_b32_e32 v1, 2, v1
	ds_write_b32 v1, v17
	v_sub_u32_e32 v17, v29, v5
	v_sub_u32_e32 v1, v56, v4
	v_add_u32_e32 v17, v17, v2
	v_add_u32_e32 v19, v1, v17
	v_and_b32_e32 v18, 1, v40
	v_sub_u32_e32 v19, v31, v19
	v_and_b32_e32 v16, 1, v41
	v_add_u32_e32 v19, 4, v19
	;; [unrolled: 28-line block ×3, first 2 shown]
	v_cmp_eq_u32_e32 vcc, 1, v16
	v_cndmask_b32_e32 v15, v17, v15, vcc
	v_cmp_eq_u32_e32 vcc, 1, v14
	v_cndmask_b32_e32 v1, v15, v1, vcc
	v_lshlrev_b32_e32 v1, 2, v1
	v_sub_u32_e32 v14, v65, v5
	ds_write_b32 v1, v12
	v_sub_u32_e32 v1, v64, v4
	v_add_u32_e32 v14, v14, v2
	v_add_u32_e32 v16, v1, v14
	v_and_b32_e32 v15, 1, v46
	v_sub_u32_e32 v16, v31, v16
	v_and_b32_e32 v12, 1, v47
	v_add_u32_e32 v16, 7, v16
	v_cmp_eq_u32_e32 vcc, 1, v15
	v_cndmask_b32_e32 v14, v16, v14, vcc
	v_cmp_eq_u32_e32 vcc, 1, v12
	v_cndmask_b32_e32 v1, v14, v1, vcc
	v_lshlrev_b32_e32 v1, 2, v1
	v_add_u32_e32 v59, v64, v59
	ds_write_b32 v1, v13
	v_sub_u32_e32 v13, v66, v5
	v_sub_u32_e32 v1, v59, v4
	v_add_u32_e32 v13, v13, v2
	v_add_u32_e32 v15, v1, v13
	v_and_b32_e32 v14, 1, v48
	v_sub_u32_e32 v15, v31, v15
	v_and_b32_e32 v12, 1, v49
	v_add_u32_e32 v15, 8, v15
	v_cmp_eq_u32_e32 vcc, 1, v14
	v_cndmask_b32_e32 v13, v15, v13, vcc
	v_cmp_eq_u32_e32 vcc, 1, v12
	v_cndmask_b32_e32 v1, v13, v1, vcc
	v_add_u32_e32 v67, v59, v70
	v_lshlrev_b32_e32 v1, 2, v1
	v_sub_u32_e32 v12, v68, v5
	ds_write_b32 v1, v10
	v_sub_u32_e32 v1, v67, v4
	v_add_u32_e32 v12, v12, v2
	v_add_u32_e32 v14, v1, v12
	v_and_b32_e32 v13, 1, v50
	v_sub_u32_e32 v14, v31, v14
	v_and_b32_e32 v10, 1, v51
	v_add_u32_e32 v14, 9, v14
	v_cmp_eq_u32_e32 vcc, 1, v13
	v_cndmask_b32_e32 v12, v14, v12, vcc
	v_cmp_eq_u32_e32 vcc, 1, v10
	v_cndmask_b32_e32 v1, v12, v1, vcc
	v_lshlrev_b32_e32 v1, 2, v1
	v_add_u32_e32 v60, v67, v60
	ds_write_b32 v1, v11
	v_sub_u32_e32 v11, v69, v5
	v_sub_u32_e32 v1, v60, v4
	v_add_u32_e32 v11, v11, v2
	v_add_u32_e32 v13, v1, v11
	v_and_b32_e32 v12, 1, v52
	v_sub_u32_e32 v13, v31, v13
	v_and_b32_e32 v10, 1, v53
	v_add_u32_e32 v13, 10, v13
	v_cmp_eq_u32_e32 vcc, 1, v12
	v_cndmask_b32_e32 v11, v13, v11, vcc
	v_cmp_eq_u32_e32 vcc, 1, v10
	v_cndmask_b32_e32 v1, v11, v1, vcc
	v_add_u32_e32 v70, v60, v72
	v_lshlrev_b32_e32 v1, 2, v1
	v_sub_u32_e32 v10, v71, v5
	ds_write_b32 v1, v8
	v_sub_u32_e32 v1, v70, v4
	v_add_u32_e32 v10, v10, v2
	v_add_u32_e32 v12, v1, v10
	v_and_b32_e32 v11, 1, v54
	v_sub_u32_e32 v12, v31, v12
	v_and_b32_e32 v8, 1, v55
	v_add_u32_e32 v12, 11, v12
	v_cmp_eq_u32_e32 vcc, 1, v11
	v_cndmask_b32_e32 v10, v12, v10, vcc
	v_cmp_eq_u32_e32 vcc, 1, v8
	v_cndmask_b32_e32 v1, v10, v1, vcc
	v_add_u32_e32 v72, v71, v79
	v_add_u32_e32 v61, v70, v61
	v_lshlrev_b32_e32 v1, 2, v1
	ds_write_b32 v1, v9
	v_sub_u32_e32 v1, v61, v4
	v_sub_u32_e32 v4, v72, v5
	v_add_u32_e32 v4, v4, v2
	v_add_u32_e32 v8, v1, v4
	v_sub_u32_e32 v8, v31, v8
	v_add_u32_e32 v8, 12, v8
	v_cndmask_b32_e64 v4, v8, v4, s[58:59]
	v_cndmask_b32_e64 v1, v4, v1, s[46:47]
	v_lshlrev_b32_e32 v1, 2, v1
	ds_write_b32 v1, v30
	v_add_co_u32_e32 v1, vcc, v3, v73
	v_addc_co_u32_e64 v4, s[2:3], 0, 0, vcc
	v_add_co_u32_e32 v1, vcc, v1, v22
	v_addc_co_u32_e32 v4, vcc, v4, v23, vcc
	s_add_u32 s4, s56, s33
	v_add_co_u32_e32 v1, vcc, v1, v6
	s_addc_u32 s5, s57, 0
	v_addc_co_u32_e32 v4, vcc, v4, v7, vcc
	v_mov_b32_e32 v8, s5
	v_sub_co_u32_e32 v1, vcc, s4, v1
	v_subb_co_u32_e32 v4, vcc, v8, v4, vcc
	v_lshlrev_b64 v[8:9], 2, v[22:23]
	v_mov_b32_e32 v10, s55
	v_add_co_u32_e32 v8, vcc, s54, v8
	v_addc_co_u32_e32 v9, vcc, v10, v9, vcc
	v_lshlrev_b64 v[10:11], 2, v[6:7]
	v_mov_b32_e32 v13, s53
	v_add_co_u32_e32 v10, vcc, s52, v10
	s_add_u32 s6, s34, -4
	v_addc_co_u32_e32 v11, vcc, v13, v11, vcc
	s_addc_u32 s7, s35, -1
	v_add_u32_e32 v12, v2, v3
	s_and_b64 vcc, exec, s[0:1]
	s_mov_b64 s[0:1], -1
	s_waitcnt lgkmcnt(0)
	s_barrier
	s_cbranch_vccz .LBB347_133
; %bb.130:
	s_and_b64 vcc, exec, s[0:1]
	s_cbranch_vccnz .LBB347_238
.LBB347_131:
	v_cmp_eq_u32_e32 vcc, 0, v0
	s_and_b64 s[0:1], vcc, s[30:31]
	s_and_saveexec_b64 s[2:3], s[0:1]
	s_cbranch_execnz .LBB347_356
.LBB347_132:
	s_endpgm
.LBB347_133:
	v_cmp_le_u32_e32 vcc, v2, v0
	s_and_saveexec_b64 s[0:1], vcc
	s_xor_b64 s[0:1], exec, s[0:1]
	s_cbranch_execz .LBB347_139
; %bb.134:
	v_cmp_le_u32_e32 vcc, v12, v0
	s_and_saveexec_b64 s[2:3], vcc
	s_xor_b64 s[2:3], exec, s[2:3]
	s_cbranch_execz .LBB347_136
; %bb.135:
	v_lshlrev_b32_e32 v13, 2, v0
	v_add_co_u32_e32 v14, vcc, v1, v0
	ds_read_b32 v13, v13
	v_addc_co_u32_e32 v15, vcc, 0, v4, vcc
	v_lshlrev_b64 v[14:15], 2, v[14:15]
	v_mov_b32_e32 v16, s35
	v_sub_co_u32_e32 v14, vcc, s34, v14
	v_subb_co_u32_e32 v15, vcc, v16, v15, vcc
	s_waitcnt lgkmcnt(0)
	global_store_dword v[14:15], v13, off offset:-4
.LBB347_136:
	s_andn2_saveexec_b64 s[2:3], s[2:3]
	s_cbranch_execz .LBB347_138
; %bb.137:
	v_lshlrev_b32_e32 v13, 2, v0
	ds_read_b32 v14, v13
	v_readfirstlane_b32 s4, v8
	v_readfirstlane_b32 s5, v9
	s_waitcnt lgkmcnt(0)
	s_nop 3
	global_store_dword v13, v14, s[4:5]
.LBB347_138:
	s_or_b64 exec, exec, s[2:3]
.LBB347_139:
	s_andn2_saveexec_b64 s[0:1], s[0:1]
	s_cbranch_execz .LBB347_141
; %bb.140:
	v_lshlrev_b32_e32 v13, 2, v0
	ds_read_b32 v14, v13
	v_readfirstlane_b32 s2, v10
	v_readfirstlane_b32 s3, v11
	s_waitcnt lgkmcnt(0)
	s_nop 3
	global_store_dword v13, v14, s[2:3]
.LBB347_141:
	s_or_b64 exec, exec, s[0:1]
	v_or_b32_e32 v13, 0x100, v0
	v_cmp_le_u32_e32 vcc, v2, v13
	s_and_saveexec_b64 s[0:1], vcc
	s_xor_b64 s[0:1], exec, s[0:1]
	s_cbranch_execz .LBB347_147
; %bb.142:
	v_cmp_le_u32_e32 vcc, v12, v13
	s_and_saveexec_b64 s[2:3], vcc
	s_xor_b64 s[2:3], exec, s[2:3]
	s_cbranch_execz .LBB347_144
; %bb.143:
	v_lshlrev_b32_e32 v13, 2, v0
	ds_read_b32 v13, v13 offset:1024
	v_add_co_u32_e32 v14, vcc, v1, v0
	v_addc_co_u32_e32 v15, vcc, 0, v4, vcc
	v_lshlrev_b64 v[14:15], 2, v[14:15]
	v_mov_b32_e32 v16, s7
	v_sub_co_u32_e32 v14, vcc, s6, v14
	v_subb_co_u32_e32 v15, vcc, v16, v15, vcc
	s_waitcnt lgkmcnt(0)
	global_store_dword v[14:15], v13, off offset:-1024
.LBB347_144:
	s_andn2_saveexec_b64 s[2:3], s[2:3]
	s_cbranch_execz .LBB347_146
; %bb.145:
	v_lshlrev_b32_e32 v13, 2, v0
	ds_read_b32 v14, v13 offset:1024
	v_readfirstlane_b32 s4, v8
	v_readfirstlane_b32 s5, v9
	s_waitcnt lgkmcnt(0)
	s_nop 3
	global_store_dword v13, v14, s[4:5] offset:1024
.LBB347_146:
	s_or_b64 exec, exec, s[2:3]
.LBB347_147:
	s_andn2_saveexec_b64 s[0:1], s[0:1]
	s_cbranch_execz .LBB347_149
; %bb.148:
	v_lshlrev_b32_e32 v13, 2, v0
	ds_read_b32 v14, v13 offset:1024
	v_readfirstlane_b32 s2, v10
	v_readfirstlane_b32 s3, v11
	s_waitcnt lgkmcnt(0)
	s_nop 3
	global_store_dword v13, v14, s[2:3] offset:1024
.LBB347_149:
	s_or_b64 exec, exec, s[0:1]
	v_or_b32_e32 v13, 0x200, v0
	v_cmp_le_u32_e32 vcc, v2, v13
	s_and_saveexec_b64 s[0:1], vcc
	s_xor_b64 s[0:1], exec, s[0:1]
	s_cbranch_execz .LBB347_155
; %bb.150:
	v_cmp_le_u32_e32 vcc, v12, v13
	s_and_saveexec_b64 s[2:3], vcc
	s_xor_b64 s[2:3], exec, s[2:3]
	s_cbranch_execz .LBB347_152
; %bb.151:
	v_lshlrev_b32_e32 v13, 2, v0
	ds_read_b32 v13, v13 offset:2048
	v_add_co_u32_e32 v14, vcc, v1, v0
	v_addc_co_u32_e32 v15, vcc, 0, v4, vcc
	v_lshlrev_b64 v[14:15], 2, v[14:15]
	v_mov_b32_e32 v16, s7
	v_sub_co_u32_e32 v14, vcc, s6, v14
	v_subb_co_u32_e32 v15, vcc, v16, v15, vcc
	s_waitcnt lgkmcnt(0)
	global_store_dword v[14:15], v13, off offset:-2048
.LBB347_152:
	s_andn2_saveexec_b64 s[2:3], s[2:3]
	s_cbranch_execz .LBB347_154
; %bb.153:
	v_lshlrev_b32_e32 v13, 2, v0
	ds_read_b32 v14, v13 offset:2048
	v_readfirstlane_b32 s4, v8
	v_readfirstlane_b32 s5, v9
	s_waitcnt lgkmcnt(0)
	s_nop 3
	global_store_dword v13, v14, s[4:5] offset:2048
.LBB347_154:
	s_or_b64 exec, exec, s[2:3]
.LBB347_155:
	s_andn2_saveexec_b64 s[0:1], s[0:1]
	s_cbranch_execz .LBB347_157
; %bb.156:
	v_lshlrev_b32_e32 v13, 2, v0
	ds_read_b32 v14, v13 offset:2048
	v_readfirstlane_b32 s2, v10
	v_readfirstlane_b32 s3, v11
	s_waitcnt lgkmcnt(0)
	s_nop 3
	global_store_dword v13, v14, s[2:3] offset:2048
.LBB347_157:
	;; [unrolled: 47-line block ×3, first 2 shown]
	s_or_b64 exec, exec, s[0:1]
	v_or_b32_e32 v13, 0x400, v0
	v_cmp_le_u32_e32 vcc, v2, v13
	s_and_saveexec_b64 s[0:1], vcc
	s_xor_b64 s[0:1], exec, s[0:1]
	s_cbranch_execz .LBB347_171
; %bb.166:
	v_cmp_le_u32_e32 vcc, v12, v13
	s_and_saveexec_b64 s[2:3], vcc
	s_xor_b64 s[2:3], exec, s[2:3]
	s_cbranch_execz .LBB347_168
; %bb.167:
	v_lshlrev_b32_e32 v13, 2, v0
	ds_read_b32 v13, v13 offset:4096
	v_add_co_u32_e32 v14, vcc, v1, v0
	v_addc_co_u32_e32 v15, vcc, 0, v4, vcc
	v_lshlrev_b64 v[14:15], 2, v[14:15]
	v_mov_b32_e32 v16, s7
	v_sub_co_u32_e32 v14, vcc, s6, v14
	v_subb_co_u32_e32 v15, vcc, v16, v15, vcc
	s_waitcnt lgkmcnt(0)
	global_store_dword v[14:15], v13, off offset:-4096
                                        ; implicit-def: $vgpr13
.LBB347_168:
	s_andn2_saveexec_b64 s[2:3], s[2:3]
	s_cbranch_execz .LBB347_170
; %bb.169:
	v_lshlrev_b32_e32 v14, 2, v0
	ds_read_b32 v14, v14 offset:4096
	v_lshlrev_b32_e32 v13, 2, v13
	v_readfirstlane_b32 s4, v8
	v_readfirstlane_b32 s5, v9
	s_waitcnt lgkmcnt(0)
	s_nop 3
	global_store_dword v13, v14, s[4:5]
.LBB347_170:
	s_or_b64 exec, exec, s[2:3]
                                        ; implicit-def: $vgpr13
.LBB347_171:
	s_andn2_saveexec_b64 s[0:1], s[0:1]
	s_cbranch_execz .LBB347_173
; %bb.172:
	v_lshlrev_b32_e32 v14, 2, v0
	ds_read_b32 v14, v14 offset:4096
	v_lshlrev_b32_e32 v13, 2, v13
	v_readfirstlane_b32 s2, v10
	v_readfirstlane_b32 s3, v11
	s_waitcnt lgkmcnt(0)
	s_nop 3
	global_store_dword v13, v14, s[2:3]
.LBB347_173:
	s_or_b64 exec, exec, s[0:1]
	v_or_b32_e32 v13, 0x500, v0
	v_cmp_le_u32_e32 vcc, v2, v13
	s_and_saveexec_b64 s[0:1], vcc
	s_xor_b64 s[0:1], exec, s[0:1]
	s_cbranch_execz .LBB347_179
; %bb.174:
	v_cmp_le_u32_e32 vcc, v12, v13
	s_and_saveexec_b64 s[2:3], vcc
	s_xor_b64 s[2:3], exec, s[2:3]
	s_cbranch_execz .LBB347_176
; %bb.175:
	v_add_co_u32_e32 v14, vcc, v1, v13
	v_lshlrev_b32_e32 v13, 2, v0
	ds_read_b32 v13, v13 offset:5120
	v_addc_co_u32_e32 v15, vcc, 0, v4, vcc
	v_lshlrev_b64 v[14:15], 2, v[14:15]
	v_mov_b32_e32 v16, s7
	v_sub_co_u32_e32 v14, vcc, s6, v14
	v_subb_co_u32_e32 v15, vcc, v16, v15, vcc
	s_waitcnt lgkmcnt(0)
	global_store_dword v[14:15], v13, off
                                        ; implicit-def: $vgpr13
.LBB347_176:
	s_andn2_saveexec_b64 s[2:3], s[2:3]
	s_cbranch_execz .LBB347_178
; %bb.177:
	v_lshlrev_b32_e32 v14, 2, v0
	ds_read_b32 v14, v14 offset:5120
	v_lshlrev_b32_e32 v13, 2, v13
	v_readfirstlane_b32 s4, v8
	v_readfirstlane_b32 s5, v9
	s_waitcnt lgkmcnt(0)
	s_nop 3
	global_store_dword v13, v14, s[4:5]
.LBB347_178:
	s_or_b64 exec, exec, s[2:3]
                                        ; implicit-def: $vgpr13
.LBB347_179:
	s_andn2_saveexec_b64 s[0:1], s[0:1]
	s_cbranch_execz .LBB347_181
; %bb.180:
	v_lshlrev_b32_e32 v14, 2, v0
	ds_read_b32 v14, v14 offset:5120
	v_lshlrev_b32_e32 v13, 2, v13
	v_readfirstlane_b32 s2, v10
	v_readfirstlane_b32 s3, v11
	s_waitcnt lgkmcnt(0)
	s_nop 3
	global_store_dword v13, v14, s[2:3]
.LBB347_181:
	s_or_b64 exec, exec, s[0:1]
	v_or_b32_e32 v13, 0x600, v0
	v_cmp_le_u32_e32 vcc, v2, v13
	s_and_saveexec_b64 s[0:1], vcc
	s_xor_b64 s[0:1], exec, s[0:1]
	s_cbranch_execz .LBB347_187
; %bb.182:
	v_cmp_le_u32_e32 vcc, v12, v13
	s_and_saveexec_b64 s[2:3], vcc
	s_xor_b64 s[2:3], exec, s[2:3]
	s_cbranch_execz .LBB347_184
; %bb.183:
	v_add_co_u32_e32 v14, vcc, v1, v13
	v_lshlrev_b32_e32 v13, 2, v0
	ds_read_b32 v13, v13 offset:6144
	v_addc_co_u32_e32 v15, vcc, 0, v4, vcc
	v_lshlrev_b64 v[14:15], 2, v[14:15]
	v_mov_b32_e32 v16, s7
	v_sub_co_u32_e32 v14, vcc, s6, v14
	v_subb_co_u32_e32 v15, vcc, v16, v15, vcc
	s_waitcnt lgkmcnt(0)
	global_store_dword v[14:15], v13, off
                                        ; implicit-def: $vgpr13
.LBB347_184:
	s_andn2_saveexec_b64 s[2:3], s[2:3]
	s_cbranch_execz .LBB347_186
; %bb.185:
	v_lshlrev_b32_e32 v14, 2, v0
	ds_read_b32 v14, v14 offset:6144
	v_lshlrev_b32_e32 v13, 2, v13
	v_readfirstlane_b32 s4, v8
	v_readfirstlane_b32 s5, v9
	s_waitcnt lgkmcnt(0)
	s_nop 3
	global_store_dword v13, v14, s[4:5]
.LBB347_186:
	s_or_b64 exec, exec, s[2:3]
                                        ; implicit-def: $vgpr13
.LBB347_187:
	;; [unrolled: 51-line block ×8, first 2 shown]
	s_andn2_saveexec_b64 s[0:1], s[0:1]
	s_cbranch_execz .LBB347_237
; %bb.236:
	v_lshlrev_b32_e32 v14, 2, v0
	ds_read_b32 v14, v14 offset:12288
	v_lshlrev_b32_e32 v13, 2, v13
	v_readfirstlane_b32 s2, v10
	v_readfirstlane_b32 s3, v11
	s_waitcnt lgkmcnt(0)
	s_nop 3
	global_store_dword v13, v14, s[2:3]
.LBB347_237:
	s_or_b64 exec, exec, s[0:1]
	s_branch .LBB347_131
.LBB347_238:
	v_cmp_gt_u32_e32 vcc, s18, v0
	s_and_saveexec_b64 s[0:1], vcc
	s_cbranch_execz .LBB347_247
; %bb.239:
	v_cmp_le_u32_e32 vcc, v2, v0
	s_and_saveexec_b64 s[2:3], vcc
	s_xor_b64 s[2:3], exec, s[2:3]
	s_cbranch_execz .LBB347_245
; %bb.240:
	v_cmp_le_u32_e32 vcc, v12, v0
	s_and_saveexec_b64 s[4:5], vcc
	s_xor_b64 s[4:5], exec, s[4:5]
	s_cbranch_execz .LBB347_242
; %bb.241:
	v_lshlrev_b32_e32 v13, 2, v0
	v_add_co_u32_e32 v14, vcc, v1, v0
	ds_read_b32 v13, v13
	v_addc_co_u32_e32 v15, vcc, 0, v4, vcc
	v_lshlrev_b64 v[14:15], 2, v[14:15]
	v_mov_b32_e32 v16, s35
	v_sub_co_u32_e32 v14, vcc, s34, v14
	v_subb_co_u32_e32 v15, vcc, v16, v15, vcc
	s_waitcnt lgkmcnt(0)
	global_store_dword v[14:15], v13, off offset:-4
.LBB347_242:
	s_andn2_saveexec_b64 s[4:5], s[4:5]
	s_cbranch_execz .LBB347_244
; %bb.243:
	v_lshlrev_b32_e32 v13, 2, v0
	ds_read_b32 v14, v13
	v_readfirstlane_b32 s8, v8
	v_readfirstlane_b32 s9, v9
	s_waitcnt lgkmcnt(0)
	s_nop 3
	global_store_dword v13, v14, s[8:9]
.LBB347_244:
	s_or_b64 exec, exec, s[4:5]
.LBB347_245:
	s_andn2_saveexec_b64 s[2:3], s[2:3]
	s_cbranch_execz .LBB347_247
; %bb.246:
	v_lshlrev_b32_e32 v13, 2, v0
	ds_read_b32 v14, v13
	v_readfirstlane_b32 s2, v10
	v_readfirstlane_b32 s3, v11
	s_waitcnt lgkmcnt(0)
	s_nop 3
	global_store_dword v13, v14, s[2:3]
.LBB347_247:
	s_or_b64 exec, exec, s[0:1]
	v_or_b32_e32 v13, 0x100, v0
	v_cmp_gt_u32_e32 vcc, s18, v13
	s_and_saveexec_b64 s[0:1], vcc
	s_cbranch_execz .LBB347_256
; %bb.248:
	v_cmp_le_u32_e32 vcc, v2, v13
	s_and_saveexec_b64 s[2:3], vcc
	s_xor_b64 s[2:3], exec, s[2:3]
	s_cbranch_execz .LBB347_254
; %bb.249:
	v_cmp_le_u32_e32 vcc, v12, v13
	s_and_saveexec_b64 s[4:5], vcc
	s_xor_b64 s[4:5], exec, s[4:5]
	s_cbranch_execz .LBB347_251
; %bb.250:
	v_lshlrev_b32_e32 v13, 2, v0
	ds_read_b32 v13, v13 offset:1024
	v_add_co_u32_e32 v14, vcc, v1, v0
	v_addc_co_u32_e32 v15, vcc, 0, v4, vcc
	v_lshlrev_b64 v[14:15], 2, v[14:15]
	v_mov_b32_e32 v16, s7
	v_sub_co_u32_e32 v14, vcc, s6, v14
	v_subb_co_u32_e32 v15, vcc, v16, v15, vcc
	s_waitcnt lgkmcnt(0)
	global_store_dword v[14:15], v13, off offset:-1024
.LBB347_251:
	s_andn2_saveexec_b64 s[4:5], s[4:5]
	s_cbranch_execz .LBB347_253
; %bb.252:
	v_lshlrev_b32_e32 v13, 2, v0
	ds_read_b32 v14, v13 offset:1024
	v_readfirstlane_b32 s8, v8
	v_readfirstlane_b32 s9, v9
	s_waitcnt lgkmcnt(0)
	s_nop 3
	global_store_dword v13, v14, s[8:9] offset:1024
.LBB347_253:
	s_or_b64 exec, exec, s[4:5]
.LBB347_254:
	s_andn2_saveexec_b64 s[2:3], s[2:3]
	s_cbranch_execz .LBB347_256
; %bb.255:
	v_lshlrev_b32_e32 v13, 2, v0
	ds_read_b32 v14, v13 offset:1024
	v_readfirstlane_b32 s2, v10
	v_readfirstlane_b32 s3, v11
	s_waitcnt lgkmcnt(0)
	s_nop 3
	global_store_dword v13, v14, s[2:3] offset:1024
.LBB347_256:
	s_or_b64 exec, exec, s[0:1]
	v_or_b32_e32 v13, 0x200, v0
	v_cmp_gt_u32_e32 vcc, s18, v13
	s_and_saveexec_b64 s[0:1], vcc
	s_cbranch_execz .LBB347_265
; %bb.257:
	v_cmp_le_u32_e32 vcc, v2, v13
	s_and_saveexec_b64 s[2:3], vcc
	s_xor_b64 s[2:3], exec, s[2:3]
	s_cbranch_execz .LBB347_263
; %bb.258:
	v_cmp_le_u32_e32 vcc, v12, v13
	s_and_saveexec_b64 s[4:5], vcc
	s_xor_b64 s[4:5], exec, s[4:5]
	s_cbranch_execz .LBB347_260
; %bb.259:
	v_lshlrev_b32_e32 v13, 2, v0
	ds_read_b32 v13, v13 offset:2048
	v_add_co_u32_e32 v14, vcc, v1, v0
	v_addc_co_u32_e32 v15, vcc, 0, v4, vcc
	v_lshlrev_b64 v[14:15], 2, v[14:15]
	v_mov_b32_e32 v16, s7
	v_sub_co_u32_e32 v14, vcc, s6, v14
	v_subb_co_u32_e32 v15, vcc, v16, v15, vcc
	s_waitcnt lgkmcnt(0)
	global_store_dword v[14:15], v13, off offset:-2048
.LBB347_260:
	s_andn2_saveexec_b64 s[4:5], s[4:5]
	s_cbranch_execz .LBB347_262
; %bb.261:
	v_lshlrev_b32_e32 v13, 2, v0
	ds_read_b32 v14, v13 offset:2048
	v_readfirstlane_b32 s8, v8
	v_readfirstlane_b32 s9, v9
	s_waitcnt lgkmcnt(0)
	s_nop 3
	global_store_dword v13, v14, s[8:9] offset:2048
.LBB347_262:
	s_or_b64 exec, exec, s[4:5]
.LBB347_263:
	s_andn2_saveexec_b64 s[2:3], s[2:3]
	s_cbranch_execz .LBB347_265
; %bb.264:
	v_lshlrev_b32_e32 v13, 2, v0
	ds_read_b32 v14, v13 offset:2048
	v_readfirstlane_b32 s2, v10
	v_readfirstlane_b32 s3, v11
	s_waitcnt lgkmcnt(0)
	s_nop 3
	global_store_dword v13, v14, s[2:3] offset:2048
.LBB347_265:
	s_or_b64 exec, exec, s[0:1]
	v_or_b32_e32 v13, 0x300, v0
	v_cmp_gt_u32_e32 vcc, s18, v13
	s_and_saveexec_b64 s[0:1], vcc
	s_cbranch_execz .LBB347_274
; %bb.266:
	v_cmp_le_u32_e32 vcc, v2, v13
	s_and_saveexec_b64 s[2:3], vcc
	s_xor_b64 s[2:3], exec, s[2:3]
	s_cbranch_execz .LBB347_272
; %bb.267:
	v_cmp_le_u32_e32 vcc, v12, v13
	s_and_saveexec_b64 s[4:5], vcc
	s_xor_b64 s[4:5], exec, s[4:5]
	s_cbranch_execz .LBB347_269
; %bb.268:
	v_lshlrev_b32_e32 v13, 2, v0
	ds_read_b32 v13, v13 offset:3072
	v_add_co_u32_e32 v14, vcc, v1, v0
	v_addc_co_u32_e32 v15, vcc, 0, v4, vcc
	v_lshlrev_b64 v[14:15], 2, v[14:15]
	v_mov_b32_e32 v16, s7
	v_sub_co_u32_e32 v14, vcc, s6, v14
	v_subb_co_u32_e32 v15, vcc, v16, v15, vcc
	s_waitcnt lgkmcnt(0)
	global_store_dword v[14:15], v13, off offset:-3072
.LBB347_269:
	s_andn2_saveexec_b64 s[4:5], s[4:5]
	s_cbranch_execz .LBB347_271
; %bb.270:
	v_lshlrev_b32_e32 v13, 2, v0
	ds_read_b32 v14, v13 offset:3072
	v_readfirstlane_b32 s8, v8
	v_readfirstlane_b32 s9, v9
	s_waitcnt lgkmcnt(0)
	s_nop 3
	global_store_dword v13, v14, s[8:9] offset:3072
.LBB347_271:
	s_or_b64 exec, exec, s[4:5]
.LBB347_272:
	s_andn2_saveexec_b64 s[2:3], s[2:3]
	s_cbranch_execz .LBB347_274
; %bb.273:
	v_lshlrev_b32_e32 v13, 2, v0
	ds_read_b32 v14, v13 offset:3072
	v_readfirstlane_b32 s2, v10
	v_readfirstlane_b32 s3, v11
	s_waitcnt lgkmcnt(0)
	s_nop 3
	global_store_dword v13, v14, s[2:3] offset:3072
.LBB347_274:
	s_or_b64 exec, exec, s[0:1]
	v_or_b32_e32 v13, 0x400, v0
	v_cmp_gt_u32_e32 vcc, s18, v13
	s_and_saveexec_b64 s[0:1], vcc
	s_cbranch_execz .LBB347_283
; %bb.275:
	v_cmp_le_u32_e32 vcc, v2, v13
	s_and_saveexec_b64 s[2:3], vcc
	s_xor_b64 s[2:3], exec, s[2:3]
	s_cbranch_execz .LBB347_281
; %bb.276:
	v_cmp_le_u32_e32 vcc, v12, v13
	s_and_saveexec_b64 s[4:5], vcc
	s_xor_b64 s[4:5], exec, s[4:5]
	s_cbranch_execz .LBB347_278
; %bb.277:
	v_lshlrev_b32_e32 v13, 2, v0
	ds_read_b32 v13, v13 offset:4096
	v_add_co_u32_e32 v14, vcc, v1, v0
	v_addc_co_u32_e32 v15, vcc, 0, v4, vcc
	v_lshlrev_b64 v[14:15], 2, v[14:15]
	v_mov_b32_e32 v16, s7
	v_sub_co_u32_e32 v14, vcc, s6, v14
	v_subb_co_u32_e32 v15, vcc, v16, v15, vcc
	s_waitcnt lgkmcnt(0)
	global_store_dword v[14:15], v13, off offset:-4096
                                        ; implicit-def: $vgpr13
.LBB347_278:
	s_andn2_saveexec_b64 s[4:5], s[4:5]
	s_cbranch_execz .LBB347_280
; %bb.279:
	v_lshlrev_b32_e32 v14, 2, v0
	ds_read_b32 v14, v14 offset:4096
	v_lshlrev_b32_e32 v13, 2, v13
	v_readfirstlane_b32 s8, v8
	v_readfirstlane_b32 s9, v9
	s_waitcnt lgkmcnt(0)
	s_nop 3
	global_store_dword v13, v14, s[8:9]
.LBB347_280:
	s_or_b64 exec, exec, s[4:5]
                                        ; implicit-def: $vgpr13
.LBB347_281:
	s_andn2_saveexec_b64 s[2:3], s[2:3]
	s_cbranch_execz .LBB347_283
; %bb.282:
	v_lshlrev_b32_e32 v14, 2, v0
	ds_read_b32 v14, v14 offset:4096
	v_lshlrev_b32_e32 v13, 2, v13
	v_readfirstlane_b32 s2, v10
	v_readfirstlane_b32 s3, v11
	s_waitcnt lgkmcnt(0)
	s_nop 3
	global_store_dword v13, v14, s[2:3]
.LBB347_283:
	s_or_b64 exec, exec, s[0:1]
	v_or_b32_e32 v13, 0x500, v0
	v_cmp_gt_u32_e32 vcc, s18, v13
	s_and_saveexec_b64 s[0:1], vcc
	s_cbranch_execz .LBB347_292
; %bb.284:
	v_cmp_le_u32_e32 vcc, v2, v13
	s_and_saveexec_b64 s[2:3], vcc
	s_xor_b64 s[2:3], exec, s[2:3]
	s_cbranch_execz .LBB347_290
; %bb.285:
	v_cmp_le_u32_e32 vcc, v12, v13
	s_and_saveexec_b64 s[4:5], vcc
	s_xor_b64 s[4:5], exec, s[4:5]
	s_cbranch_execz .LBB347_287
; %bb.286:
	v_add_co_u32_e32 v14, vcc, v1, v13
	v_lshlrev_b32_e32 v13, 2, v0
	ds_read_b32 v13, v13 offset:5120
	v_addc_co_u32_e32 v15, vcc, 0, v4, vcc
	v_lshlrev_b64 v[14:15], 2, v[14:15]
	v_mov_b32_e32 v16, s7
	v_sub_co_u32_e32 v14, vcc, s6, v14
	v_subb_co_u32_e32 v15, vcc, v16, v15, vcc
	s_waitcnt lgkmcnt(0)
	global_store_dword v[14:15], v13, off
                                        ; implicit-def: $vgpr13
.LBB347_287:
	s_andn2_saveexec_b64 s[4:5], s[4:5]
	s_cbranch_execz .LBB347_289
; %bb.288:
	v_lshlrev_b32_e32 v14, 2, v0
	ds_read_b32 v14, v14 offset:5120
	v_lshlrev_b32_e32 v13, 2, v13
	v_readfirstlane_b32 s8, v8
	v_readfirstlane_b32 s9, v9
	s_waitcnt lgkmcnt(0)
	s_nop 3
	global_store_dword v13, v14, s[8:9]
.LBB347_289:
	s_or_b64 exec, exec, s[4:5]
                                        ; implicit-def: $vgpr13
.LBB347_290:
	s_andn2_saveexec_b64 s[2:3], s[2:3]
	s_cbranch_execz .LBB347_292
; %bb.291:
	v_lshlrev_b32_e32 v14, 2, v0
	ds_read_b32 v14, v14 offset:5120
	v_lshlrev_b32_e32 v13, 2, v13
	v_readfirstlane_b32 s2, v10
	v_readfirstlane_b32 s3, v11
	s_waitcnt lgkmcnt(0)
	s_nop 3
	global_store_dword v13, v14, s[2:3]
.LBB347_292:
	s_or_b64 exec, exec, s[0:1]
	v_or_b32_e32 v13, 0x600, v0
	v_cmp_gt_u32_e32 vcc, s18, v13
	s_and_saveexec_b64 s[0:1], vcc
	s_cbranch_execz .LBB347_301
; %bb.293:
	v_cmp_le_u32_e32 vcc, v2, v13
	s_and_saveexec_b64 s[2:3], vcc
	s_xor_b64 s[2:3], exec, s[2:3]
	s_cbranch_execz .LBB347_299
; %bb.294:
	v_cmp_le_u32_e32 vcc, v12, v13
	s_and_saveexec_b64 s[4:5], vcc
	s_xor_b64 s[4:5], exec, s[4:5]
	s_cbranch_execz .LBB347_296
; %bb.295:
	v_add_co_u32_e32 v14, vcc, v1, v13
	v_lshlrev_b32_e32 v13, 2, v0
	ds_read_b32 v13, v13 offset:6144
	v_addc_co_u32_e32 v15, vcc, 0, v4, vcc
	v_lshlrev_b64 v[14:15], 2, v[14:15]
	v_mov_b32_e32 v16, s7
	v_sub_co_u32_e32 v14, vcc, s6, v14
	v_subb_co_u32_e32 v15, vcc, v16, v15, vcc
	s_waitcnt lgkmcnt(0)
	global_store_dword v[14:15], v13, off
                                        ; implicit-def: $vgpr13
.LBB347_296:
	s_andn2_saveexec_b64 s[4:5], s[4:5]
	s_cbranch_execz .LBB347_298
; %bb.297:
	v_lshlrev_b32_e32 v14, 2, v0
	ds_read_b32 v14, v14 offset:6144
	v_lshlrev_b32_e32 v13, 2, v13
	v_readfirstlane_b32 s8, v8
	v_readfirstlane_b32 s9, v9
	s_waitcnt lgkmcnt(0)
	s_nop 3
	global_store_dword v13, v14, s[8:9]
.LBB347_298:
	s_or_b64 exec, exec, s[4:5]
                                        ; implicit-def: $vgpr13
.LBB347_299:
	s_andn2_saveexec_b64 s[2:3], s[2:3]
	s_cbranch_execz .LBB347_301
; %bb.300:
	v_lshlrev_b32_e32 v14, 2, v0
	ds_read_b32 v14, v14 offset:6144
	v_lshlrev_b32_e32 v13, 2, v13
	v_readfirstlane_b32 s2, v10
	v_readfirstlane_b32 s3, v11
	s_waitcnt lgkmcnt(0)
	s_nop 3
	global_store_dword v13, v14, s[2:3]
.LBB347_301:
	;; [unrolled: 55-line block ×7, first 2 shown]
	s_or_b64 exec, exec, s[0:1]
	v_or_b32_e32 v13, 0xc00, v0
	v_cmp_gt_u32_e32 vcc, s18, v13
	s_and_saveexec_b64 s[0:1], vcc
	s_cbranch_execz .LBB347_355
; %bb.347:
	v_cmp_le_u32_e32 vcc, v2, v13
	s_and_saveexec_b64 s[2:3], vcc
	s_xor_b64 s[2:3], exec, s[2:3]
	s_cbranch_execz .LBB347_353
; %bb.348:
	v_cmp_le_u32_e32 vcc, v12, v13
	s_and_saveexec_b64 s[4:5], vcc
	s_xor_b64 s[4:5], exec, s[4:5]
	s_cbranch_execz .LBB347_350
; %bb.349:
	v_add_co_u32_e32 v8, vcc, v1, v13
	v_lshlrev_b32_e32 v1, 2, v0
	ds_read_b32 v1, v1 offset:12288
	v_addc_co_u32_e32 v9, vcc, 0, v4, vcc
	v_lshlrev_b64 v[8:9], 2, v[8:9]
	v_mov_b32_e32 v4, s7
	v_sub_co_u32_e32 v8, vcc, s6, v8
	v_subb_co_u32_e32 v9, vcc, v4, v9, vcc
	s_waitcnt lgkmcnt(0)
	global_store_dword v[8:9], v1, off
                                        ; implicit-def: $vgpr13
                                        ; implicit-def: $vgpr8_vgpr9
.LBB347_350:
	s_andn2_saveexec_b64 s[4:5], s[4:5]
	s_cbranch_execz .LBB347_352
; %bb.351:
	v_lshlrev_b32_e32 v1, 2, v0
	ds_read_b32 v1, v1 offset:12288
	v_lshlrev_b32_e32 v4, 2, v13
	v_readfirstlane_b32 s6, v8
	v_readfirstlane_b32 s7, v9
	s_waitcnt lgkmcnt(0)
	s_nop 3
	global_store_dword v4, v1, s[6:7]
.LBB347_352:
	s_or_b64 exec, exec, s[4:5]
                                        ; implicit-def: $vgpr13
                                        ; implicit-def: $vgpr10_vgpr11
.LBB347_353:
	s_andn2_saveexec_b64 s[2:3], s[2:3]
	s_cbranch_execz .LBB347_355
; %bb.354:
	v_lshlrev_b32_e32 v1, 2, v0
	ds_read_b32 v1, v1 offset:12288
	v_lshlrev_b32_e32 v4, 2, v13
	v_readfirstlane_b32 s2, v10
	v_readfirstlane_b32 s3, v11
	s_waitcnt lgkmcnt(0)
	s_nop 3
	global_store_dword v4, v1, s[2:3]
.LBB347_355:
	s_or_b64 exec, exec, s[0:1]
	v_cmp_eq_u32_e32 vcc, 0, v0
	s_and_b64 s[0:1], vcc, s[30:31]
	s_and_saveexec_b64 s[2:3], s[0:1]
	s_cbranch_execz .LBB347_132
.LBB347_356:
	v_add_co_u32_e32 v0, vcc, v6, v2
	v_addc_co_u32_e32 v1, vcc, 0, v7, vcc
	v_mov_b32_e32 v2, s51
	v_add_co_u32_e32 v3, vcc, s50, v3
	v_addc_co_u32_e32 v6, vcc, 0, v2, vcc
	v_add_co_u32_e32 v2, vcc, v3, v5
	v_mov_b32_e32 v4, 0
	v_addc_co_u32_e32 v3, vcc, 0, v6, vcc
	global_store_dwordx4 v4, v[0:3], s[44:45]
	s_endpgm
	.section	.rodata,"a",@progbits
	.p2align	6, 0x0
	.amdhsa_kernel _ZN7rocprim17ROCPRIM_400000_NS6detail17trampoline_kernelINS0_13select_configILj256ELj13ELNS0_17block_load_methodE3ELS4_3ELS4_3ELNS0_20block_scan_algorithmE0ELj4294967295EEENS1_25partition_config_selectorILNS1_17partition_subalgoE4EjNS0_10empty_typeEbEEZZNS1_14partition_implILS8_4ELb0ES6_15HIP_vector_typeIjLj2EENS0_17counting_iteratorIjlEEPS9_SG_NS0_5tupleIJPjSI_NS0_16reverse_iteratorISI_EEEEENSH_IJSG_SG_SG_EEES9_SI_JZNS1_25segmented_radix_sort_implINS0_14default_configELb0EPKaPaPKlPlN2at6native12_GLOBAL__N_18offset_tEEE10hipError_tPvRmT1_PNSt15iterator_traitsIS12_E10value_typeET2_T3_PNS13_IS18_E10value_typeET4_jRbjT5_S1E_jjP12ihipStream_tbEUljE_ZNSN_ISO_Lb0ESQ_SR_ST_SU_SY_EESZ_S10_S11_S12_S16_S17_S18_S1B_S1C_jS1D_jS1E_S1E_jjS1G_bEUljE0_EEESZ_S10_S11_S18_S1C_S1E_T6_T7_T9_mT8_S1G_bDpT10_ENKUlT_T0_E_clISt17integral_constantIbLb1EES1T_IbLb0EEEEDaS1P_S1Q_EUlS1P_E_NS1_11comp_targetILNS1_3genE4ELNS1_11target_archE910ELNS1_3gpuE8ELNS1_3repE0EEENS1_30default_config_static_selectorELNS0_4arch9wavefront6targetE1EEEvS12_
		.amdhsa_group_segment_fixed_size 13340
		.amdhsa_private_segment_fixed_size 0
		.amdhsa_kernarg_size 176
		.amdhsa_user_sgpr_count 6
		.amdhsa_user_sgpr_private_segment_buffer 1
		.amdhsa_user_sgpr_dispatch_ptr 0
		.amdhsa_user_sgpr_queue_ptr 0
		.amdhsa_user_sgpr_kernarg_segment_ptr 1
		.amdhsa_user_sgpr_dispatch_id 0
		.amdhsa_user_sgpr_flat_scratch_init 0
		.amdhsa_user_sgpr_kernarg_preload_length 0
		.amdhsa_user_sgpr_kernarg_preload_offset 0
		.amdhsa_user_sgpr_private_segment_size 0
		.amdhsa_uses_dynamic_stack 0
		.amdhsa_system_sgpr_private_segment_wavefront_offset 0
		.amdhsa_system_sgpr_workgroup_id_x 1
		.amdhsa_system_sgpr_workgroup_id_y 0
		.amdhsa_system_sgpr_workgroup_id_z 0
		.amdhsa_system_sgpr_workgroup_info 0
		.amdhsa_system_vgpr_workitem_id 0
		.amdhsa_next_free_vgpr 102
		.amdhsa_next_free_sgpr 90
		.amdhsa_accum_offset 104
		.amdhsa_reserve_vcc 1
		.amdhsa_reserve_flat_scratch 0
		.amdhsa_float_round_mode_32 0
		.amdhsa_float_round_mode_16_64 0
		.amdhsa_float_denorm_mode_32 3
		.amdhsa_float_denorm_mode_16_64 3
		.amdhsa_dx10_clamp 1
		.amdhsa_ieee_mode 1
		.amdhsa_fp16_overflow 0
		.amdhsa_tg_split 0
		.amdhsa_exception_fp_ieee_invalid_op 0
		.amdhsa_exception_fp_denorm_src 0
		.amdhsa_exception_fp_ieee_div_zero 0
		.amdhsa_exception_fp_ieee_overflow 0
		.amdhsa_exception_fp_ieee_underflow 0
		.amdhsa_exception_fp_ieee_inexact 0
		.amdhsa_exception_int_div_zero 0
	.end_amdhsa_kernel
	.section	.text._ZN7rocprim17ROCPRIM_400000_NS6detail17trampoline_kernelINS0_13select_configILj256ELj13ELNS0_17block_load_methodE3ELS4_3ELS4_3ELNS0_20block_scan_algorithmE0ELj4294967295EEENS1_25partition_config_selectorILNS1_17partition_subalgoE4EjNS0_10empty_typeEbEEZZNS1_14partition_implILS8_4ELb0ES6_15HIP_vector_typeIjLj2EENS0_17counting_iteratorIjlEEPS9_SG_NS0_5tupleIJPjSI_NS0_16reverse_iteratorISI_EEEEENSH_IJSG_SG_SG_EEES9_SI_JZNS1_25segmented_radix_sort_implINS0_14default_configELb0EPKaPaPKlPlN2at6native12_GLOBAL__N_18offset_tEEE10hipError_tPvRmT1_PNSt15iterator_traitsIS12_E10value_typeET2_T3_PNS13_IS18_E10value_typeET4_jRbjT5_S1E_jjP12ihipStream_tbEUljE_ZNSN_ISO_Lb0ESQ_SR_ST_SU_SY_EESZ_S10_S11_S12_S16_S17_S18_S1B_S1C_jS1D_jS1E_S1E_jjS1G_bEUljE0_EEESZ_S10_S11_S18_S1C_S1E_T6_T7_T9_mT8_S1G_bDpT10_ENKUlT_T0_E_clISt17integral_constantIbLb1EES1T_IbLb0EEEEDaS1P_S1Q_EUlS1P_E_NS1_11comp_targetILNS1_3genE4ELNS1_11target_archE910ELNS1_3gpuE8ELNS1_3repE0EEENS1_30default_config_static_selectorELNS0_4arch9wavefront6targetE1EEEvS12_,"axG",@progbits,_ZN7rocprim17ROCPRIM_400000_NS6detail17trampoline_kernelINS0_13select_configILj256ELj13ELNS0_17block_load_methodE3ELS4_3ELS4_3ELNS0_20block_scan_algorithmE0ELj4294967295EEENS1_25partition_config_selectorILNS1_17partition_subalgoE4EjNS0_10empty_typeEbEEZZNS1_14partition_implILS8_4ELb0ES6_15HIP_vector_typeIjLj2EENS0_17counting_iteratorIjlEEPS9_SG_NS0_5tupleIJPjSI_NS0_16reverse_iteratorISI_EEEEENSH_IJSG_SG_SG_EEES9_SI_JZNS1_25segmented_radix_sort_implINS0_14default_configELb0EPKaPaPKlPlN2at6native12_GLOBAL__N_18offset_tEEE10hipError_tPvRmT1_PNSt15iterator_traitsIS12_E10value_typeET2_T3_PNS13_IS18_E10value_typeET4_jRbjT5_S1E_jjP12ihipStream_tbEUljE_ZNSN_ISO_Lb0ESQ_SR_ST_SU_SY_EESZ_S10_S11_S12_S16_S17_S18_S1B_S1C_jS1D_jS1E_S1E_jjS1G_bEUljE0_EEESZ_S10_S11_S18_S1C_S1E_T6_T7_T9_mT8_S1G_bDpT10_ENKUlT_T0_E_clISt17integral_constantIbLb1EES1T_IbLb0EEEEDaS1P_S1Q_EUlS1P_E_NS1_11comp_targetILNS1_3genE4ELNS1_11target_archE910ELNS1_3gpuE8ELNS1_3repE0EEENS1_30default_config_static_selectorELNS0_4arch9wavefront6targetE1EEEvS12_,comdat
.Lfunc_end347:
	.size	_ZN7rocprim17ROCPRIM_400000_NS6detail17trampoline_kernelINS0_13select_configILj256ELj13ELNS0_17block_load_methodE3ELS4_3ELS4_3ELNS0_20block_scan_algorithmE0ELj4294967295EEENS1_25partition_config_selectorILNS1_17partition_subalgoE4EjNS0_10empty_typeEbEEZZNS1_14partition_implILS8_4ELb0ES6_15HIP_vector_typeIjLj2EENS0_17counting_iteratorIjlEEPS9_SG_NS0_5tupleIJPjSI_NS0_16reverse_iteratorISI_EEEEENSH_IJSG_SG_SG_EEES9_SI_JZNS1_25segmented_radix_sort_implINS0_14default_configELb0EPKaPaPKlPlN2at6native12_GLOBAL__N_18offset_tEEE10hipError_tPvRmT1_PNSt15iterator_traitsIS12_E10value_typeET2_T3_PNS13_IS18_E10value_typeET4_jRbjT5_S1E_jjP12ihipStream_tbEUljE_ZNSN_ISO_Lb0ESQ_SR_ST_SU_SY_EESZ_S10_S11_S12_S16_S17_S18_S1B_S1C_jS1D_jS1E_S1E_jjS1G_bEUljE0_EEESZ_S10_S11_S18_S1C_S1E_T6_T7_T9_mT8_S1G_bDpT10_ENKUlT_T0_E_clISt17integral_constantIbLb1EES1T_IbLb0EEEEDaS1P_S1Q_EUlS1P_E_NS1_11comp_targetILNS1_3genE4ELNS1_11target_archE910ELNS1_3gpuE8ELNS1_3repE0EEENS1_30default_config_static_selectorELNS0_4arch9wavefront6targetE1EEEvS12_, .Lfunc_end347-_ZN7rocprim17ROCPRIM_400000_NS6detail17trampoline_kernelINS0_13select_configILj256ELj13ELNS0_17block_load_methodE3ELS4_3ELS4_3ELNS0_20block_scan_algorithmE0ELj4294967295EEENS1_25partition_config_selectorILNS1_17partition_subalgoE4EjNS0_10empty_typeEbEEZZNS1_14partition_implILS8_4ELb0ES6_15HIP_vector_typeIjLj2EENS0_17counting_iteratorIjlEEPS9_SG_NS0_5tupleIJPjSI_NS0_16reverse_iteratorISI_EEEEENSH_IJSG_SG_SG_EEES9_SI_JZNS1_25segmented_radix_sort_implINS0_14default_configELb0EPKaPaPKlPlN2at6native12_GLOBAL__N_18offset_tEEE10hipError_tPvRmT1_PNSt15iterator_traitsIS12_E10value_typeET2_T3_PNS13_IS18_E10value_typeET4_jRbjT5_S1E_jjP12ihipStream_tbEUljE_ZNSN_ISO_Lb0ESQ_SR_ST_SU_SY_EESZ_S10_S11_S12_S16_S17_S18_S1B_S1C_jS1D_jS1E_S1E_jjS1G_bEUljE0_EEESZ_S10_S11_S18_S1C_S1E_T6_T7_T9_mT8_S1G_bDpT10_ENKUlT_T0_E_clISt17integral_constantIbLb1EES1T_IbLb0EEEEDaS1P_S1Q_EUlS1P_E_NS1_11comp_targetILNS1_3genE4ELNS1_11target_archE910ELNS1_3gpuE8ELNS1_3repE0EEENS1_30default_config_static_selectorELNS0_4arch9wavefront6targetE1EEEvS12_
                                        ; -- End function
	.section	.AMDGPU.csdata,"",@progbits
; Kernel info:
; codeLenInByte = 13412
; NumSgprs: 94
; NumVgprs: 102
; NumAgprs: 0
; TotalNumVgprs: 102
; ScratchSize: 0
; MemoryBound: 0
; FloatMode: 240
; IeeeMode: 1
; LDSByteSize: 13340 bytes/workgroup (compile time only)
; SGPRBlocks: 11
; VGPRBlocks: 12
; NumSGPRsForWavesPerEU: 94
; NumVGPRsForWavesPerEU: 102
; AccumOffset: 104
; Occupancy: 4
; WaveLimiterHint : 1
; COMPUTE_PGM_RSRC2:SCRATCH_EN: 0
; COMPUTE_PGM_RSRC2:USER_SGPR: 6
; COMPUTE_PGM_RSRC2:TRAP_HANDLER: 0
; COMPUTE_PGM_RSRC2:TGID_X_EN: 1
; COMPUTE_PGM_RSRC2:TGID_Y_EN: 0
; COMPUTE_PGM_RSRC2:TGID_Z_EN: 0
; COMPUTE_PGM_RSRC2:TIDIG_COMP_CNT: 0
; COMPUTE_PGM_RSRC3_GFX90A:ACCUM_OFFSET: 25
; COMPUTE_PGM_RSRC3_GFX90A:TG_SPLIT: 0
	.section	.text._ZN7rocprim17ROCPRIM_400000_NS6detail17trampoline_kernelINS0_13select_configILj256ELj13ELNS0_17block_load_methodE3ELS4_3ELS4_3ELNS0_20block_scan_algorithmE0ELj4294967295EEENS1_25partition_config_selectorILNS1_17partition_subalgoE4EjNS0_10empty_typeEbEEZZNS1_14partition_implILS8_4ELb0ES6_15HIP_vector_typeIjLj2EENS0_17counting_iteratorIjlEEPS9_SG_NS0_5tupleIJPjSI_NS0_16reverse_iteratorISI_EEEEENSH_IJSG_SG_SG_EEES9_SI_JZNS1_25segmented_radix_sort_implINS0_14default_configELb0EPKaPaPKlPlN2at6native12_GLOBAL__N_18offset_tEEE10hipError_tPvRmT1_PNSt15iterator_traitsIS12_E10value_typeET2_T3_PNS13_IS18_E10value_typeET4_jRbjT5_S1E_jjP12ihipStream_tbEUljE_ZNSN_ISO_Lb0ESQ_SR_ST_SU_SY_EESZ_S10_S11_S12_S16_S17_S18_S1B_S1C_jS1D_jS1E_S1E_jjS1G_bEUljE0_EEESZ_S10_S11_S18_S1C_S1E_T6_T7_T9_mT8_S1G_bDpT10_ENKUlT_T0_E_clISt17integral_constantIbLb1EES1T_IbLb0EEEEDaS1P_S1Q_EUlS1P_E_NS1_11comp_targetILNS1_3genE3ELNS1_11target_archE908ELNS1_3gpuE7ELNS1_3repE0EEENS1_30default_config_static_selectorELNS0_4arch9wavefront6targetE1EEEvS12_,"axG",@progbits,_ZN7rocprim17ROCPRIM_400000_NS6detail17trampoline_kernelINS0_13select_configILj256ELj13ELNS0_17block_load_methodE3ELS4_3ELS4_3ELNS0_20block_scan_algorithmE0ELj4294967295EEENS1_25partition_config_selectorILNS1_17partition_subalgoE4EjNS0_10empty_typeEbEEZZNS1_14partition_implILS8_4ELb0ES6_15HIP_vector_typeIjLj2EENS0_17counting_iteratorIjlEEPS9_SG_NS0_5tupleIJPjSI_NS0_16reverse_iteratorISI_EEEEENSH_IJSG_SG_SG_EEES9_SI_JZNS1_25segmented_radix_sort_implINS0_14default_configELb0EPKaPaPKlPlN2at6native12_GLOBAL__N_18offset_tEEE10hipError_tPvRmT1_PNSt15iterator_traitsIS12_E10value_typeET2_T3_PNS13_IS18_E10value_typeET4_jRbjT5_S1E_jjP12ihipStream_tbEUljE_ZNSN_ISO_Lb0ESQ_SR_ST_SU_SY_EESZ_S10_S11_S12_S16_S17_S18_S1B_S1C_jS1D_jS1E_S1E_jjS1G_bEUljE0_EEESZ_S10_S11_S18_S1C_S1E_T6_T7_T9_mT8_S1G_bDpT10_ENKUlT_T0_E_clISt17integral_constantIbLb1EES1T_IbLb0EEEEDaS1P_S1Q_EUlS1P_E_NS1_11comp_targetILNS1_3genE3ELNS1_11target_archE908ELNS1_3gpuE7ELNS1_3repE0EEENS1_30default_config_static_selectorELNS0_4arch9wavefront6targetE1EEEvS12_,comdat
	.globl	_ZN7rocprim17ROCPRIM_400000_NS6detail17trampoline_kernelINS0_13select_configILj256ELj13ELNS0_17block_load_methodE3ELS4_3ELS4_3ELNS0_20block_scan_algorithmE0ELj4294967295EEENS1_25partition_config_selectorILNS1_17partition_subalgoE4EjNS0_10empty_typeEbEEZZNS1_14partition_implILS8_4ELb0ES6_15HIP_vector_typeIjLj2EENS0_17counting_iteratorIjlEEPS9_SG_NS0_5tupleIJPjSI_NS0_16reverse_iteratorISI_EEEEENSH_IJSG_SG_SG_EEES9_SI_JZNS1_25segmented_radix_sort_implINS0_14default_configELb0EPKaPaPKlPlN2at6native12_GLOBAL__N_18offset_tEEE10hipError_tPvRmT1_PNSt15iterator_traitsIS12_E10value_typeET2_T3_PNS13_IS18_E10value_typeET4_jRbjT5_S1E_jjP12ihipStream_tbEUljE_ZNSN_ISO_Lb0ESQ_SR_ST_SU_SY_EESZ_S10_S11_S12_S16_S17_S18_S1B_S1C_jS1D_jS1E_S1E_jjS1G_bEUljE0_EEESZ_S10_S11_S18_S1C_S1E_T6_T7_T9_mT8_S1G_bDpT10_ENKUlT_T0_E_clISt17integral_constantIbLb1EES1T_IbLb0EEEEDaS1P_S1Q_EUlS1P_E_NS1_11comp_targetILNS1_3genE3ELNS1_11target_archE908ELNS1_3gpuE7ELNS1_3repE0EEENS1_30default_config_static_selectorELNS0_4arch9wavefront6targetE1EEEvS12_ ; -- Begin function _ZN7rocprim17ROCPRIM_400000_NS6detail17trampoline_kernelINS0_13select_configILj256ELj13ELNS0_17block_load_methodE3ELS4_3ELS4_3ELNS0_20block_scan_algorithmE0ELj4294967295EEENS1_25partition_config_selectorILNS1_17partition_subalgoE4EjNS0_10empty_typeEbEEZZNS1_14partition_implILS8_4ELb0ES6_15HIP_vector_typeIjLj2EENS0_17counting_iteratorIjlEEPS9_SG_NS0_5tupleIJPjSI_NS0_16reverse_iteratorISI_EEEEENSH_IJSG_SG_SG_EEES9_SI_JZNS1_25segmented_radix_sort_implINS0_14default_configELb0EPKaPaPKlPlN2at6native12_GLOBAL__N_18offset_tEEE10hipError_tPvRmT1_PNSt15iterator_traitsIS12_E10value_typeET2_T3_PNS13_IS18_E10value_typeET4_jRbjT5_S1E_jjP12ihipStream_tbEUljE_ZNSN_ISO_Lb0ESQ_SR_ST_SU_SY_EESZ_S10_S11_S12_S16_S17_S18_S1B_S1C_jS1D_jS1E_S1E_jjS1G_bEUljE0_EEESZ_S10_S11_S18_S1C_S1E_T6_T7_T9_mT8_S1G_bDpT10_ENKUlT_T0_E_clISt17integral_constantIbLb1EES1T_IbLb0EEEEDaS1P_S1Q_EUlS1P_E_NS1_11comp_targetILNS1_3genE3ELNS1_11target_archE908ELNS1_3gpuE7ELNS1_3repE0EEENS1_30default_config_static_selectorELNS0_4arch9wavefront6targetE1EEEvS12_
	.p2align	8
	.type	_ZN7rocprim17ROCPRIM_400000_NS6detail17trampoline_kernelINS0_13select_configILj256ELj13ELNS0_17block_load_methodE3ELS4_3ELS4_3ELNS0_20block_scan_algorithmE0ELj4294967295EEENS1_25partition_config_selectorILNS1_17partition_subalgoE4EjNS0_10empty_typeEbEEZZNS1_14partition_implILS8_4ELb0ES6_15HIP_vector_typeIjLj2EENS0_17counting_iteratorIjlEEPS9_SG_NS0_5tupleIJPjSI_NS0_16reverse_iteratorISI_EEEEENSH_IJSG_SG_SG_EEES9_SI_JZNS1_25segmented_radix_sort_implINS0_14default_configELb0EPKaPaPKlPlN2at6native12_GLOBAL__N_18offset_tEEE10hipError_tPvRmT1_PNSt15iterator_traitsIS12_E10value_typeET2_T3_PNS13_IS18_E10value_typeET4_jRbjT5_S1E_jjP12ihipStream_tbEUljE_ZNSN_ISO_Lb0ESQ_SR_ST_SU_SY_EESZ_S10_S11_S12_S16_S17_S18_S1B_S1C_jS1D_jS1E_S1E_jjS1G_bEUljE0_EEESZ_S10_S11_S18_S1C_S1E_T6_T7_T9_mT8_S1G_bDpT10_ENKUlT_T0_E_clISt17integral_constantIbLb1EES1T_IbLb0EEEEDaS1P_S1Q_EUlS1P_E_NS1_11comp_targetILNS1_3genE3ELNS1_11target_archE908ELNS1_3gpuE7ELNS1_3repE0EEENS1_30default_config_static_selectorELNS0_4arch9wavefront6targetE1EEEvS12_,@function
_ZN7rocprim17ROCPRIM_400000_NS6detail17trampoline_kernelINS0_13select_configILj256ELj13ELNS0_17block_load_methodE3ELS4_3ELS4_3ELNS0_20block_scan_algorithmE0ELj4294967295EEENS1_25partition_config_selectorILNS1_17partition_subalgoE4EjNS0_10empty_typeEbEEZZNS1_14partition_implILS8_4ELb0ES6_15HIP_vector_typeIjLj2EENS0_17counting_iteratorIjlEEPS9_SG_NS0_5tupleIJPjSI_NS0_16reverse_iteratorISI_EEEEENSH_IJSG_SG_SG_EEES9_SI_JZNS1_25segmented_radix_sort_implINS0_14default_configELb0EPKaPaPKlPlN2at6native12_GLOBAL__N_18offset_tEEE10hipError_tPvRmT1_PNSt15iterator_traitsIS12_E10value_typeET2_T3_PNS13_IS18_E10value_typeET4_jRbjT5_S1E_jjP12ihipStream_tbEUljE_ZNSN_ISO_Lb0ESQ_SR_ST_SU_SY_EESZ_S10_S11_S12_S16_S17_S18_S1B_S1C_jS1D_jS1E_S1E_jjS1G_bEUljE0_EEESZ_S10_S11_S18_S1C_S1E_T6_T7_T9_mT8_S1G_bDpT10_ENKUlT_T0_E_clISt17integral_constantIbLb1EES1T_IbLb0EEEEDaS1P_S1Q_EUlS1P_E_NS1_11comp_targetILNS1_3genE3ELNS1_11target_archE908ELNS1_3gpuE7ELNS1_3repE0EEENS1_30default_config_static_selectorELNS0_4arch9wavefront6targetE1EEEvS12_: ; @_ZN7rocprim17ROCPRIM_400000_NS6detail17trampoline_kernelINS0_13select_configILj256ELj13ELNS0_17block_load_methodE3ELS4_3ELS4_3ELNS0_20block_scan_algorithmE0ELj4294967295EEENS1_25partition_config_selectorILNS1_17partition_subalgoE4EjNS0_10empty_typeEbEEZZNS1_14partition_implILS8_4ELb0ES6_15HIP_vector_typeIjLj2EENS0_17counting_iteratorIjlEEPS9_SG_NS0_5tupleIJPjSI_NS0_16reverse_iteratorISI_EEEEENSH_IJSG_SG_SG_EEES9_SI_JZNS1_25segmented_radix_sort_implINS0_14default_configELb0EPKaPaPKlPlN2at6native12_GLOBAL__N_18offset_tEEE10hipError_tPvRmT1_PNSt15iterator_traitsIS12_E10value_typeET2_T3_PNS13_IS18_E10value_typeET4_jRbjT5_S1E_jjP12ihipStream_tbEUljE_ZNSN_ISO_Lb0ESQ_SR_ST_SU_SY_EESZ_S10_S11_S12_S16_S17_S18_S1B_S1C_jS1D_jS1E_S1E_jjS1G_bEUljE0_EEESZ_S10_S11_S18_S1C_S1E_T6_T7_T9_mT8_S1G_bDpT10_ENKUlT_T0_E_clISt17integral_constantIbLb1EES1T_IbLb0EEEEDaS1P_S1Q_EUlS1P_E_NS1_11comp_targetILNS1_3genE3ELNS1_11target_archE908ELNS1_3gpuE7ELNS1_3repE0EEENS1_30default_config_static_selectorELNS0_4arch9wavefront6targetE1EEEvS12_
; %bb.0:
	.section	.rodata,"a",@progbits
	.p2align	6, 0x0
	.amdhsa_kernel _ZN7rocprim17ROCPRIM_400000_NS6detail17trampoline_kernelINS0_13select_configILj256ELj13ELNS0_17block_load_methodE3ELS4_3ELS4_3ELNS0_20block_scan_algorithmE0ELj4294967295EEENS1_25partition_config_selectorILNS1_17partition_subalgoE4EjNS0_10empty_typeEbEEZZNS1_14partition_implILS8_4ELb0ES6_15HIP_vector_typeIjLj2EENS0_17counting_iteratorIjlEEPS9_SG_NS0_5tupleIJPjSI_NS0_16reverse_iteratorISI_EEEEENSH_IJSG_SG_SG_EEES9_SI_JZNS1_25segmented_radix_sort_implINS0_14default_configELb0EPKaPaPKlPlN2at6native12_GLOBAL__N_18offset_tEEE10hipError_tPvRmT1_PNSt15iterator_traitsIS12_E10value_typeET2_T3_PNS13_IS18_E10value_typeET4_jRbjT5_S1E_jjP12ihipStream_tbEUljE_ZNSN_ISO_Lb0ESQ_SR_ST_SU_SY_EESZ_S10_S11_S12_S16_S17_S18_S1B_S1C_jS1D_jS1E_S1E_jjS1G_bEUljE0_EEESZ_S10_S11_S18_S1C_S1E_T6_T7_T9_mT8_S1G_bDpT10_ENKUlT_T0_E_clISt17integral_constantIbLb1EES1T_IbLb0EEEEDaS1P_S1Q_EUlS1P_E_NS1_11comp_targetILNS1_3genE3ELNS1_11target_archE908ELNS1_3gpuE7ELNS1_3repE0EEENS1_30default_config_static_selectorELNS0_4arch9wavefront6targetE1EEEvS12_
		.amdhsa_group_segment_fixed_size 0
		.amdhsa_private_segment_fixed_size 0
		.amdhsa_kernarg_size 176
		.amdhsa_user_sgpr_count 6
		.amdhsa_user_sgpr_private_segment_buffer 1
		.amdhsa_user_sgpr_dispatch_ptr 0
		.amdhsa_user_sgpr_queue_ptr 0
		.amdhsa_user_sgpr_kernarg_segment_ptr 1
		.amdhsa_user_sgpr_dispatch_id 0
		.amdhsa_user_sgpr_flat_scratch_init 0
		.amdhsa_user_sgpr_kernarg_preload_length 0
		.amdhsa_user_sgpr_kernarg_preload_offset 0
		.amdhsa_user_sgpr_private_segment_size 0
		.amdhsa_uses_dynamic_stack 0
		.amdhsa_system_sgpr_private_segment_wavefront_offset 0
		.amdhsa_system_sgpr_workgroup_id_x 1
		.amdhsa_system_sgpr_workgroup_id_y 0
		.amdhsa_system_sgpr_workgroup_id_z 0
		.amdhsa_system_sgpr_workgroup_info 0
		.amdhsa_system_vgpr_workitem_id 0
		.amdhsa_next_free_vgpr 1
		.amdhsa_next_free_sgpr 0
		.amdhsa_accum_offset 4
		.amdhsa_reserve_vcc 0
		.amdhsa_reserve_flat_scratch 0
		.amdhsa_float_round_mode_32 0
		.amdhsa_float_round_mode_16_64 0
		.amdhsa_float_denorm_mode_32 3
		.amdhsa_float_denorm_mode_16_64 3
		.amdhsa_dx10_clamp 1
		.amdhsa_ieee_mode 1
		.amdhsa_fp16_overflow 0
		.amdhsa_tg_split 0
		.amdhsa_exception_fp_ieee_invalid_op 0
		.amdhsa_exception_fp_denorm_src 0
		.amdhsa_exception_fp_ieee_div_zero 0
		.amdhsa_exception_fp_ieee_overflow 0
		.amdhsa_exception_fp_ieee_underflow 0
		.amdhsa_exception_fp_ieee_inexact 0
		.amdhsa_exception_int_div_zero 0
	.end_amdhsa_kernel
	.section	.text._ZN7rocprim17ROCPRIM_400000_NS6detail17trampoline_kernelINS0_13select_configILj256ELj13ELNS0_17block_load_methodE3ELS4_3ELS4_3ELNS0_20block_scan_algorithmE0ELj4294967295EEENS1_25partition_config_selectorILNS1_17partition_subalgoE4EjNS0_10empty_typeEbEEZZNS1_14partition_implILS8_4ELb0ES6_15HIP_vector_typeIjLj2EENS0_17counting_iteratorIjlEEPS9_SG_NS0_5tupleIJPjSI_NS0_16reverse_iteratorISI_EEEEENSH_IJSG_SG_SG_EEES9_SI_JZNS1_25segmented_radix_sort_implINS0_14default_configELb0EPKaPaPKlPlN2at6native12_GLOBAL__N_18offset_tEEE10hipError_tPvRmT1_PNSt15iterator_traitsIS12_E10value_typeET2_T3_PNS13_IS18_E10value_typeET4_jRbjT5_S1E_jjP12ihipStream_tbEUljE_ZNSN_ISO_Lb0ESQ_SR_ST_SU_SY_EESZ_S10_S11_S12_S16_S17_S18_S1B_S1C_jS1D_jS1E_S1E_jjS1G_bEUljE0_EEESZ_S10_S11_S18_S1C_S1E_T6_T7_T9_mT8_S1G_bDpT10_ENKUlT_T0_E_clISt17integral_constantIbLb1EES1T_IbLb0EEEEDaS1P_S1Q_EUlS1P_E_NS1_11comp_targetILNS1_3genE3ELNS1_11target_archE908ELNS1_3gpuE7ELNS1_3repE0EEENS1_30default_config_static_selectorELNS0_4arch9wavefront6targetE1EEEvS12_,"axG",@progbits,_ZN7rocprim17ROCPRIM_400000_NS6detail17trampoline_kernelINS0_13select_configILj256ELj13ELNS0_17block_load_methodE3ELS4_3ELS4_3ELNS0_20block_scan_algorithmE0ELj4294967295EEENS1_25partition_config_selectorILNS1_17partition_subalgoE4EjNS0_10empty_typeEbEEZZNS1_14partition_implILS8_4ELb0ES6_15HIP_vector_typeIjLj2EENS0_17counting_iteratorIjlEEPS9_SG_NS0_5tupleIJPjSI_NS0_16reverse_iteratorISI_EEEEENSH_IJSG_SG_SG_EEES9_SI_JZNS1_25segmented_radix_sort_implINS0_14default_configELb0EPKaPaPKlPlN2at6native12_GLOBAL__N_18offset_tEEE10hipError_tPvRmT1_PNSt15iterator_traitsIS12_E10value_typeET2_T3_PNS13_IS18_E10value_typeET4_jRbjT5_S1E_jjP12ihipStream_tbEUljE_ZNSN_ISO_Lb0ESQ_SR_ST_SU_SY_EESZ_S10_S11_S12_S16_S17_S18_S1B_S1C_jS1D_jS1E_S1E_jjS1G_bEUljE0_EEESZ_S10_S11_S18_S1C_S1E_T6_T7_T9_mT8_S1G_bDpT10_ENKUlT_T0_E_clISt17integral_constantIbLb1EES1T_IbLb0EEEEDaS1P_S1Q_EUlS1P_E_NS1_11comp_targetILNS1_3genE3ELNS1_11target_archE908ELNS1_3gpuE7ELNS1_3repE0EEENS1_30default_config_static_selectorELNS0_4arch9wavefront6targetE1EEEvS12_,comdat
.Lfunc_end348:
	.size	_ZN7rocprim17ROCPRIM_400000_NS6detail17trampoline_kernelINS0_13select_configILj256ELj13ELNS0_17block_load_methodE3ELS4_3ELS4_3ELNS0_20block_scan_algorithmE0ELj4294967295EEENS1_25partition_config_selectorILNS1_17partition_subalgoE4EjNS0_10empty_typeEbEEZZNS1_14partition_implILS8_4ELb0ES6_15HIP_vector_typeIjLj2EENS0_17counting_iteratorIjlEEPS9_SG_NS0_5tupleIJPjSI_NS0_16reverse_iteratorISI_EEEEENSH_IJSG_SG_SG_EEES9_SI_JZNS1_25segmented_radix_sort_implINS0_14default_configELb0EPKaPaPKlPlN2at6native12_GLOBAL__N_18offset_tEEE10hipError_tPvRmT1_PNSt15iterator_traitsIS12_E10value_typeET2_T3_PNS13_IS18_E10value_typeET4_jRbjT5_S1E_jjP12ihipStream_tbEUljE_ZNSN_ISO_Lb0ESQ_SR_ST_SU_SY_EESZ_S10_S11_S12_S16_S17_S18_S1B_S1C_jS1D_jS1E_S1E_jjS1G_bEUljE0_EEESZ_S10_S11_S18_S1C_S1E_T6_T7_T9_mT8_S1G_bDpT10_ENKUlT_T0_E_clISt17integral_constantIbLb1EES1T_IbLb0EEEEDaS1P_S1Q_EUlS1P_E_NS1_11comp_targetILNS1_3genE3ELNS1_11target_archE908ELNS1_3gpuE7ELNS1_3repE0EEENS1_30default_config_static_selectorELNS0_4arch9wavefront6targetE1EEEvS12_, .Lfunc_end348-_ZN7rocprim17ROCPRIM_400000_NS6detail17trampoline_kernelINS0_13select_configILj256ELj13ELNS0_17block_load_methodE3ELS4_3ELS4_3ELNS0_20block_scan_algorithmE0ELj4294967295EEENS1_25partition_config_selectorILNS1_17partition_subalgoE4EjNS0_10empty_typeEbEEZZNS1_14partition_implILS8_4ELb0ES6_15HIP_vector_typeIjLj2EENS0_17counting_iteratorIjlEEPS9_SG_NS0_5tupleIJPjSI_NS0_16reverse_iteratorISI_EEEEENSH_IJSG_SG_SG_EEES9_SI_JZNS1_25segmented_radix_sort_implINS0_14default_configELb0EPKaPaPKlPlN2at6native12_GLOBAL__N_18offset_tEEE10hipError_tPvRmT1_PNSt15iterator_traitsIS12_E10value_typeET2_T3_PNS13_IS18_E10value_typeET4_jRbjT5_S1E_jjP12ihipStream_tbEUljE_ZNSN_ISO_Lb0ESQ_SR_ST_SU_SY_EESZ_S10_S11_S12_S16_S17_S18_S1B_S1C_jS1D_jS1E_S1E_jjS1G_bEUljE0_EEESZ_S10_S11_S18_S1C_S1E_T6_T7_T9_mT8_S1G_bDpT10_ENKUlT_T0_E_clISt17integral_constantIbLb1EES1T_IbLb0EEEEDaS1P_S1Q_EUlS1P_E_NS1_11comp_targetILNS1_3genE3ELNS1_11target_archE908ELNS1_3gpuE7ELNS1_3repE0EEENS1_30default_config_static_selectorELNS0_4arch9wavefront6targetE1EEEvS12_
                                        ; -- End function
	.section	.AMDGPU.csdata,"",@progbits
; Kernel info:
; codeLenInByte = 0
; NumSgprs: 4
; NumVgprs: 0
; NumAgprs: 0
; TotalNumVgprs: 0
; ScratchSize: 0
; MemoryBound: 0
; FloatMode: 240
; IeeeMode: 1
; LDSByteSize: 0 bytes/workgroup (compile time only)
; SGPRBlocks: 0
; VGPRBlocks: 0
; NumSGPRsForWavesPerEU: 4
; NumVGPRsForWavesPerEU: 1
; AccumOffset: 4
; Occupancy: 8
; WaveLimiterHint : 0
; COMPUTE_PGM_RSRC2:SCRATCH_EN: 0
; COMPUTE_PGM_RSRC2:USER_SGPR: 6
; COMPUTE_PGM_RSRC2:TRAP_HANDLER: 0
; COMPUTE_PGM_RSRC2:TGID_X_EN: 1
; COMPUTE_PGM_RSRC2:TGID_Y_EN: 0
; COMPUTE_PGM_RSRC2:TGID_Z_EN: 0
; COMPUTE_PGM_RSRC2:TIDIG_COMP_CNT: 0
; COMPUTE_PGM_RSRC3_GFX90A:ACCUM_OFFSET: 0
; COMPUTE_PGM_RSRC3_GFX90A:TG_SPLIT: 0
	.section	.text._ZN7rocprim17ROCPRIM_400000_NS6detail17trampoline_kernelINS0_13select_configILj256ELj13ELNS0_17block_load_methodE3ELS4_3ELS4_3ELNS0_20block_scan_algorithmE0ELj4294967295EEENS1_25partition_config_selectorILNS1_17partition_subalgoE4EjNS0_10empty_typeEbEEZZNS1_14partition_implILS8_4ELb0ES6_15HIP_vector_typeIjLj2EENS0_17counting_iteratorIjlEEPS9_SG_NS0_5tupleIJPjSI_NS0_16reverse_iteratorISI_EEEEENSH_IJSG_SG_SG_EEES9_SI_JZNS1_25segmented_radix_sort_implINS0_14default_configELb0EPKaPaPKlPlN2at6native12_GLOBAL__N_18offset_tEEE10hipError_tPvRmT1_PNSt15iterator_traitsIS12_E10value_typeET2_T3_PNS13_IS18_E10value_typeET4_jRbjT5_S1E_jjP12ihipStream_tbEUljE_ZNSN_ISO_Lb0ESQ_SR_ST_SU_SY_EESZ_S10_S11_S12_S16_S17_S18_S1B_S1C_jS1D_jS1E_S1E_jjS1G_bEUljE0_EEESZ_S10_S11_S18_S1C_S1E_T6_T7_T9_mT8_S1G_bDpT10_ENKUlT_T0_E_clISt17integral_constantIbLb1EES1T_IbLb0EEEEDaS1P_S1Q_EUlS1P_E_NS1_11comp_targetILNS1_3genE2ELNS1_11target_archE906ELNS1_3gpuE6ELNS1_3repE0EEENS1_30default_config_static_selectorELNS0_4arch9wavefront6targetE1EEEvS12_,"axG",@progbits,_ZN7rocprim17ROCPRIM_400000_NS6detail17trampoline_kernelINS0_13select_configILj256ELj13ELNS0_17block_load_methodE3ELS4_3ELS4_3ELNS0_20block_scan_algorithmE0ELj4294967295EEENS1_25partition_config_selectorILNS1_17partition_subalgoE4EjNS0_10empty_typeEbEEZZNS1_14partition_implILS8_4ELb0ES6_15HIP_vector_typeIjLj2EENS0_17counting_iteratorIjlEEPS9_SG_NS0_5tupleIJPjSI_NS0_16reverse_iteratorISI_EEEEENSH_IJSG_SG_SG_EEES9_SI_JZNS1_25segmented_radix_sort_implINS0_14default_configELb0EPKaPaPKlPlN2at6native12_GLOBAL__N_18offset_tEEE10hipError_tPvRmT1_PNSt15iterator_traitsIS12_E10value_typeET2_T3_PNS13_IS18_E10value_typeET4_jRbjT5_S1E_jjP12ihipStream_tbEUljE_ZNSN_ISO_Lb0ESQ_SR_ST_SU_SY_EESZ_S10_S11_S12_S16_S17_S18_S1B_S1C_jS1D_jS1E_S1E_jjS1G_bEUljE0_EEESZ_S10_S11_S18_S1C_S1E_T6_T7_T9_mT8_S1G_bDpT10_ENKUlT_T0_E_clISt17integral_constantIbLb1EES1T_IbLb0EEEEDaS1P_S1Q_EUlS1P_E_NS1_11comp_targetILNS1_3genE2ELNS1_11target_archE906ELNS1_3gpuE6ELNS1_3repE0EEENS1_30default_config_static_selectorELNS0_4arch9wavefront6targetE1EEEvS12_,comdat
	.globl	_ZN7rocprim17ROCPRIM_400000_NS6detail17trampoline_kernelINS0_13select_configILj256ELj13ELNS0_17block_load_methodE3ELS4_3ELS4_3ELNS0_20block_scan_algorithmE0ELj4294967295EEENS1_25partition_config_selectorILNS1_17partition_subalgoE4EjNS0_10empty_typeEbEEZZNS1_14partition_implILS8_4ELb0ES6_15HIP_vector_typeIjLj2EENS0_17counting_iteratorIjlEEPS9_SG_NS0_5tupleIJPjSI_NS0_16reverse_iteratorISI_EEEEENSH_IJSG_SG_SG_EEES9_SI_JZNS1_25segmented_radix_sort_implINS0_14default_configELb0EPKaPaPKlPlN2at6native12_GLOBAL__N_18offset_tEEE10hipError_tPvRmT1_PNSt15iterator_traitsIS12_E10value_typeET2_T3_PNS13_IS18_E10value_typeET4_jRbjT5_S1E_jjP12ihipStream_tbEUljE_ZNSN_ISO_Lb0ESQ_SR_ST_SU_SY_EESZ_S10_S11_S12_S16_S17_S18_S1B_S1C_jS1D_jS1E_S1E_jjS1G_bEUljE0_EEESZ_S10_S11_S18_S1C_S1E_T6_T7_T9_mT8_S1G_bDpT10_ENKUlT_T0_E_clISt17integral_constantIbLb1EES1T_IbLb0EEEEDaS1P_S1Q_EUlS1P_E_NS1_11comp_targetILNS1_3genE2ELNS1_11target_archE906ELNS1_3gpuE6ELNS1_3repE0EEENS1_30default_config_static_selectorELNS0_4arch9wavefront6targetE1EEEvS12_ ; -- Begin function _ZN7rocprim17ROCPRIM_400000_NS6detail17trampoline_kernelINS0_13select_configILj256ELj13ELNS0_17block_load_methodE3ELS4_3ELS4_3ELNS0_20block_scan_algorithmE0ELj4294967295EEENS1_25partition_config_selectorILNS1_17partition_subalgoE4EjNS0_10empty_typeEbEEZZNS1_14partition_implILS8_4ELb0ES6_15HIP_vector_typeIjLj2EENS0_17counting_iteratorIjlEEPS9_SG_NS0_5tupleIJPjSI_NS0_16reverse_iteratorISI_EEEEENSH_IJSG_SG_SG_EEES9_SI_JZNS1_25segmented_radix_sort_implINS0_14default_configELb0EPKaPaPKlPlN2at6native12_GLOBAL__N_18offset_tEEE10hipError_tPvRmT1_PNSt15iterator_traitsIS12_E10value_typeET2_T3_PNS13_IS18_E10value_typeET4_jRbjT5_S1E_jjP12ihipStream_tbEUljE_ZNSN_ISO_Lb0ESQ_SR_ST_SU_SY_EESZ_S10_S11_S12_S16_S17_S18_S1B_S1C_jS1D_jS1E_S1E_jjS1G_bEUljE0_EEESZ_S10_S11_S18_S1C_S1E_T6_T7_T9_mT8_S1G_bDpT10_ENKUlT_T0_E_clISt17integral_constantIbLb1EES1T_IbLb0EEEEDaS1P_S1Q_EUlS1P_E_NS1_11comp_targetILNS1_3genE2ELNS1_11target_archE906ELNS1_3gpuE6ELNS1_3repE0EEENS1_30default_config_static_selectorELNS0_4arch9wavefront6targetE1EEEvS12_
	.p2align	8
	.type	_ZN7rocprim17ROCPRIM_400000_NS6detail17trampoline_kernelINS0_13select_configILj256ELj13ELNS0_17block_load_methodE3ELS4_3ELS4_3ELNS0_20block_scan_algorithmE0ELj4294967295EEENS1_25partition_config_selectorILNS1_17partition_subalgoE4EjNS0_10empty_typeEbEEZZNS1_14partition_implILS8_4ELb0ES6_15HIP_vector_typeIjLj2EENS0_17counting_iteratorIjlEEPS9_SG_NS0_5tupleIJPjSI_NS0_16reverse_iteratorISI_EEEEENSH_IJSG_SG_SG_EEES9_SI_JZNS1_25segmented_radix_sort_implINS0_14default_configELb0EPKaPaPKlPlN2at6native12_GLOBAL__N_18offset_tEEE10hipError_tPvRmT1_PNSt15iterator_traitsIS12_E10value_typeET2_T3_PNS13_IS18_E10value_typeET4_jRbjT5_S1E_jjP12ihipStream_tbEUljE_ZNSN_ISO_Lb0ESQ_SR_ST_SU_SY_EESZ_S10_S11_S12_S16_S17_S18_S1B_S1C_jS1D_jS1E_S1E_jjS1G_bEUljE0_EEESZ_S10_S11_S18_S1C_S1E_T6_T7_T9_mT8_S1G_bDpT10_ENKUlT_T0_E_clISt17integral_constantIbLb1EES1T_IbLb0EEEEDaS1P_S1Q_EUlS1P_E_NS1_11comp_targetILNS1_3genE2ELNS1_11target_archE906ELNS1_3gpuE6ELNS1_3repE0EEENS1_30default_config_static_selectorELNS0_4arch9wavefront6targetE1EEEvS12_,@function
_ZN7rocprim17ROCPRIM_400000_NS6detail17trampoline_kernelINS0_13select_configILj256ELj13ELNS0_17block_load_methodE3ELS4_3ELS4_3ELNS0_20block_scan_algorithmE0ELj4294967295EEENS1_25partition_config_selectorILNS1_17partition_subalgoE4EjNS0_10empty_typeEbEEZZNS1_14partition_implILS8_4ELb0ES6_15HIP_vector_typeIjLj2EENS0_17counting_iteratorIjlEEPS9_SG_NS0_5tupleIJPjSI_NS0_16reverse_iteratorISI_EEEEENSH_IJSG_SG_SG_EEES9_SI_JZNS1_25segmented_radix_sort_implINS0_14default_configELb0EPKaPaPKlPlN2at6native12_GLOBAL__N_18offset_tEEE10hipError_tPvRmT1_PNSt15iterator_traitsIS12_E10value_typeET2_T3_PNS13_IS18_E10value_typeET4_jRbjT5_S1E_jjP12ihipStream_tbEUljE_ZNSN_ISO_Lb0ESQ_SR_ST_SU_SY_EESZ_S10_S11_S12_S16_S17_S18_S1B_S1C_jS1D_jS1E_S1E_jjS1G_bEUljE0_EEESZ_S10_S11_S18_S1C_S1E_T6_T7_T9_mT8_S1G_bDpT10_ENKUlT_T0_E_clISt17integral_constantIbLb1EES1T_IbLb0EEEEDaS1P_S1Q_EUlS1P_E_NS1_11comp_targetILNS1_3genE2ELNS1_11target_archE906ELNS1_3gpuE6ELNS1_3repE0EEENS1_30default_config_static_selectorELNS0_4arch9wavefront6targetE1EEEvS12_: ; @_ZN7rocprim17ROCPRIM_400000_NS6detail17trampoline_kernelINS0_13select_configILj256ELj13ELNS0_17block_load_methodE3ELS4_3ELS4_3ELNS0_20block_scan_algorithmE0ELj4294967295EEENS1_25partition_config_selectorILNS1_17partition_subalgoE4EjNS0_10empty_typeEbEEZZNS1_14partition_implILS8_4ELb0ES6_15HIP_vector_typeIjLj2EENS0_17counting_iteratorIjlEEPS9_SG_NS0_5tupleIJPjSI_NS0_16reverse_iteratorISI_EEEEENSH_IJSG_SG_SG_EEES9_SI_JZNS1_25segmented_radix_sort_implINS0_14default_configELb0EPKaPaPKlPlN2at6native12_GLOBAL__N_18offset_tEEE10hipError_tPvRmT1_PNSt15iterator_traitsIS12_E10value_typeET2_T3_PNS13_IS18_E10value_typeET4_jRbjT5_S1E_jjP12ihipStream_tbEUljE_ZNSN_ISO_Lb0ESQ_SR_ST_SU_SY_EESZ_S10_S11_S12_S16_S17_S18_S1B_S1C_jS1D_jS1E_S1E_jjS1G_bEUljE0_EEESZ_S10_S11_S18_S1C_S1E_T6_T7_T9_mT8_S1G_bDpT10_ENKUlT_T0_E_clISt17integral_constantIbLb1EES1T_IbLb0EEEEDaS1P_S1Q_EUlS1P_E_NS1_11comp_targetILNS1_3genE2ELNS1_11target_archE906ELNS1_3gpuE6ELNS1_3repE0EEENS1_30default_config_static_selectorELNS0_4arch9wavefront6targetE1EEEvS12_
; %bb.0:
	.section	.rodata,"a",@progbits
	.p2align	6, 0x0
	.amdhsa_kernel _ZN7rocprim17ROCPRIM_400000_NS6detail17trampoline_kernelINS0_13select_configILj256ELj13ELNS0_17block_load_methodE3ELS4_3ELS4_3ELNS0_20block_scan_algorithmE0ELj4294967295EEENS1_25partition_config_selectorILNS1_17partition_subalgoE4EjNS0_10empty_typeEbEEZZNS1_14partition_implILS8_4ELb0ES6_15HIP_vector_typeIjLj2EENS0_17counting_iteratorIjlEEPS9_SG_NS0_5tupleIJPjSI_NS0_16reverse_iteratorISI_EEEEENSH_IJSG_SG_SG_EEES9_SI_JZNS1_25segmented_radix_sort_implINS0_14default_configELb0EPKaPaPKlPlN2at6native12_GLOBAL__N_18offset_tEEE10hipError_tPvRmT1_PNSt15iterator_traitsIS12_E10value_typeET2_T3_PNS13_IS18_E10value_typeET4_jRbjT5_S1E_jjP12ihipStream_tbEUljE_ZNSN_ISO_Lb0ESQ_SR_ST_SU_SY_EESZ_S10_S11_S12_S16_S17_S18_S1B_S1C_jS1D_jS1E_S1E_jjS1G_bEUljE0_EEESZ_S10_S11_S18_S1C_S1E_T6_T7_T9_mT8_S1G_bDpT10_ENKUlT_T0_E_clISt17integral_constantIbLb1EES1T_IbLb0EEEEDaS1P_S1Q_EUlS1P_E_NS1_11comp_targetILNS1_3genE2ELNS1_11target_archE906ELNS1_3gpuE6ELNS1_3repE0EEENS1_30default_config_static_selectorELNS0_4arch9wavefront6targetE1EEEvS12_
		.amdhsa_group_segment_fixed_size 0
		.amdhsa_private_segment_fixed_size 0
		.amdhsa_kernarg_size 176
		.amdhsa_user_sgpr_count 6
		.amdhsa_user_sgpr_private_segment_buffer 1
		.amdhsa_user_sgpr_dispatch_ptr 0
		.amdhsa_user_sgpr_queue_ptr 0
		.amdhsa_user_sgpr_kernarg_segment_ptr 1
		.amdhsa_user_sgpr_dispatch_id 0
		.amdhsa_user_sgpr_flat_scratch_init 0
		.amdhsa_user_sgpr_kernarg_preload_length 0
		.amdhsa_user_sgpr_kernarg_preload_offset 0
		.amdhsa_user_sgpr_private_segment_size 0
		.amdhsa_uses_dynamic_stack 0
		.amdhsa_system_sgpr_private_segment_wavefront_offset 0
		.amdhsa_system_sgpr_workgroup_id_x 1
		.amdhsa_system_sgpr_workgroup_id_y 0
		.amdhsa_system_sgpr_workgroup_id_z 0
		.amdhsa_system_sgpr_workgroup_info 0
		.amdhsa_system_vgpr_workitem_id 0
		.amdhsa_next_free_vgpr 1
		.amdhsa_next_free_sgpr 0
		.amdhsa_accum_offset 4
		.amdhsa_reserve_vcc 0
		.amdhsa_reserve_flat_scratch 0
		.amdhsa_float_round_mode_32 0
		.amdhsa_float_round_mode_16_64 0
		.amdhsa_float_denorm_mode_32 3
		.amdhsa_float_denorm_mode_16_64 3
		.amdhsa_dx10_clamp 1
		.amdhsa_ieee_mode 1
		.amdhsa_fp16_overflow 0
		.amdhsa_tg_split 0
		.amdhsa_exception_fp_ieee_invalid_op 0
		.amdhsa_exception_fp_denorm_src 0
		.amdhsa_exception_fp_ieee_div_zero 0
		.amdhsa_exception_fp_ieee_overflow 0
		.amdhsa_exception_fp_ieee_underflow 0
		.amdhsa_exception_fp_ieee_inexact 0
		.amdhsa_exception_int_div_zero 0
	.end_amdhsa_kernel
	.section	.text._ZN7rocprim17ROCPRIM_400000_NS6detail17trampoline_kernelINS0_13select_configILj256ELj13ELNS0_17block_load_methodE3ELS4_3ELS4_3ELNS0_20block_scan_algorithmE0ELj4294967295EEENS1_25partition_config_selectorILNS1_17partition_subalgoE4EjNS0_10empty_typeEbEEZZNS1_14partition_implILS8_4ELb0ES6_15HIP_vector_typeIjLj2EENS0_17counting_iteratorIjlEEPS9_SG_NS0_5tupleIJPjSI_NS0_16reverse_iteratorISI_EEEEENSH_IJSG_SG_SG_EEES9_SI_JZNS1_25segmented_radix_sort_implINS0_14default_configELb0EPKaPaPKlPlN2at6native12_GLOBAL__N_18offset_tEEE10hipError_tPvRmT1_PNSt15iterator_traitsIS12_E10value_typeET2_T3_PNS13_IS18_E10value_typeET4_jRbjT5_S1E_jjP12ihipStream_tbEUljE_ZNSN_ISO_Lb0ESQ_SR_ST_SU_SY_EESZ_S10_S11_S12_S16_S17_S18_S1B_S1C_jS1D_jS1E_S1E_jjS1G_bEUljE0_EEESZ_S10_S11_S18_S1C_S1E_T6_T7_T9_mT8_S1G_bDpT10_ENKUlT_T0_E_clISt17integral_constantIbLb1EES1T_IbLb0EEEEDaS1P_S1Q_EUlS1P_E_NS1_11comp_targetILNS1_3genE2ELNS1_11target_archE906ELNS1_3gpuE6ELNS1_3repE0EEENS1_30default_config_static_selectorELNS0_4arch9wavefront6targetE1EEEvS12_,"axG",@progbits,_ZN7rocprim17ROCPRIM_400000_NS6detail17trampoline_kernelINS0_13select_configILj256ELj13ELNS0_17block_load_methodE3ELS4_3ELS4_3ELNS0_20block_scan_algorithmE0ELj4294967295EEENS1_25partition_config_selectorILNS1_17partition_subalgoE4EjNS0_10empty_typeEbEEZZNS1_14partition_implILS8_4ELb0ES6_15HIP_vector_typeIjLj2EENS0_17counting_iteratorIjlEEPS9_SG_NS0_5tupleIJPjSI_NS0_16reverse_iteratorISI_EEEEENSH_IJSG_SG_SG_EEES9_SI_JZNS1_25segmented_radix_sort_implINS0_14default_configELb0EPKaPaPKlPlN2at6native12_GLOBAL__N_18offset_tEEE10hipError_tPvRmT1_PNSt15iterator_traitsIS12_E10value_typeET2_T3_PNS13_IS18_E10value_typeET4_jRbjT5_S1E_jjP12ihipStream_tbEUljE_ZNSN_ISO_Lb0ESQ_SR_ST_SU_SY_EESZ_S10_S11_S12_S16_S17_S18_S1B_S1C_jS1D_jS1E_S1E_jjS1G_bEUljE0_EEESZ_S10_S11_S18_S1C_S1E_T6_T7_T9_mT8_S1G_bDpT10_ENKUlT_T0_E_clISt17integral_constantIbLb1EES1T_IbLb0EEEEDaS1P_S1Q_EUlS1P_E_NS1_11comp_targetILNS1_3genE2ELNS1_11target_archE906ELNS1_3gpuE6ELNS1_3repE0EEENS1_30default_config_static_selectorELNS0_4arch9wavefront6targetE1EEEvS12_,comdat
.Lfunc_end349:
	.size	_ZN7rocprim17ROCPRIM_400000_NS6detail17trampoline_kernelINS0_13select_configILj256ELj13ELNS0_17block_load_methodE3ELS4_3ELS4_3ELNS0_20block_scan_algorithmE0ELj4294967295EEENS1_25partition_config_selectorILNS1_17partition_subalgoE4EjNS0_10empty_typeEbEEZZNS1_14partition_implILS8_4ELb0ES6_15HIP_vector_typeIjLj2EENS0_17counting_iteratorIjlEEPS9_SG_NS0_5tupleIJPjSI_NS0_16reverse_iteratorISI_EEEEENSH_IJSG_SG_SG_EEES9_SI_JZNS1_25segmented_radix_sort_implINS0_14default_configELb0EPKaPaPKlPlN2at6native12_GLOBAL__N_18offset_tEEE10hipError_tPvRmT1_PNSt15iterator_traitsIS12_E10value_typeET2_T3_PNS13_IS18_E10value_typeET4_jRbjT5_S1E_jjP12ihipStream_tbEUljE_ZNSN_ISO_Lb0ESQ_SR_ST_SU_SY_EESZ_S10_S11_S12_S16_S17_S18_S1B_S1C_jS1D_jS1E_S1E_jjS1G_bEUljE0_EEESZ_S10_S11_S18_S1C_S1E_T6_T7_T9_mT8_S1G_bDpT10_ENKUlT_T0_E_clISt17integral_constantIbLb1EES1T_IbLb0EEEEDaS1P_S1Q_EUlS1P_E_NS1_11comp_targetILNS1_3genE2ELNS1_11target_archE906ELNS1_3gpuE6ELNS1_3repE0EEENS1_30default_config_static_selectorELNS0_4arch9wavefront6targetE1EEEvS12_, .Lfunc_end349-_ZN7rocprim17ROCPRIM_400000_NS6detail17trampoline_kernelINS0_13select_configILj256ELj13ELNS0_17block_load_methodE3ELS4_3ELS4_3ELNS0_20block_scan_algorithmE0ELj4294967295EEENS1_25partition_config_selectorILNS1_17partition_subalgoE4EjNS0_10empty_typeEbEEZZNS1_14partition_implILS8_4ELb0ES6_15HIP_vector_typeIjLj2EENS0_17counting_iteratorIjlEEPS9_SG_NS0_5tupleIJPjSI_NS0_16reverse_iteratorISI_EEEEENSH_IJSG_SG_SG_EEES9_SI_JZNS1_25segmented_radix_sort_implINS0_14default_configELb0EPKaPaPKlPlN2at6native12_GLOBAL__N_18offset_tEEE10hipError_tPvRmT1_PNSt15iterator_traitsIS12_E10value_typeET2_T3_PNS13_IS18_E10value_typeET4_jRbjT5_S1E_jjP12ihipStream_tbEUljE_ZNSN_ISO_Lb0ESQ_SR_ST_SU_SY_EESZ_S10_S11_S12_S16_S17_S18_S1B_S1C_jS1D_jS1E_S1E_jjS1G_bEUljE0_EEESZ_S10_S11_S18_S1C_S1E_T6_T7_T9_mT8_S1G_bDpT10_ENKUlT_T0_E_clISt17integral_constantIbLb1EES1T_IbLb0EEEEDaS1P_S1Q_EUlS1P_E_NS1_11comp_targetILNS1_3genE2ELNS1_11target_archE906ELNS1_3gpuE6ELNS1_3repE0EEENS1_30default_config_static_selectorELNS0_4arch9wavefront6targetE1EEEvS12_
                                        ; -- End function
	.section	.AMDGPU.csdata,"",@progbits
; Kernel info:
; codeLenInByte = 0
; NumSgprs: 4
; NumVgprs: 0
; NumAgprs: 0
; TotalNumVgprs: 0
; ScratchSize: 0
; MemoryBound: 0
; FloatMode: 240
; IeeeMode: 1
; LDSByteSize: 0 bytes/workgroup (compile time only)
; SGPRBlocks: 0
; VGPRBlocks: 0
; NumSGPRsForWavesPerEU: 4
; NumVGPRsForWavesPerEU: 1
; AccumOffset: 4
; Occupancy: 8
; WaveLimiterHint : 0
; COMPUTE_PGM_RSRC2:SCRATCH_EN: 0
; COMPUTE_PGM_RSRC2:USER_SGPR: 6
; COMPUTE_PGM_RSRC2:TRAP_HANDLER: 0
; COMPUTE_PGM_RSRC2:TGID_X_EN: 1
; COMPUTE_PGM_RSRC2:TGID_Y_EN: 0
; COMPUTE_PGM_RSRC2:TGID_Z_EN: 0
; COMPUTE_PGM_RSRC2:TIDIG_COMP_CNT: 0
; COMPUTE_PGM_RSRC3_GFX90A:ACCUM_OFFSET: 0
; COMPUTE_PGM_RSRC3_GFX90A:TG_SPLIT: 0
	.section	.text._ZN7rocprim17ROCPRIM_400000_NS6detail17trampoline_kernelINS0_13select_configILj256ELj13ELNS0_17block_load_methodE3ELS4_3ELS4_3ELNS0_20block_scan_algorithmE0ELj4294967295EEENS1_25partition_config_selectorILNS1_17partition_subalgoE4EjNS0_10empty_typeEbEEZZNS1_14partition_implILS8_4ELb0ES6_15HIP_vector_typeIjLj2EENS0_17counting_iteratorIjlEEPS9_SG_NS0_5tupleIJPjSI_NS0_16reverse_iteratorISI_EEEEENSH_IJSG_SG_SG_EEES9_SI_JZNS1_25segmented_radix_sort_implINS0_14default_configELb0EPKaPaPKlPlN2at6native12_GLOBAL__N_18offset_tEEE10hipError_tPvRmT1_PNSt15iterator_traitsIS12_E10value_typeET2_T3_PNS13_IS18_E10value_typeET4_jRbjT5_S1E_jjP12ihipStream_tbEUljE_ZNSN_ISO_Lb0ESQ_SR_ST_SU_SY_EESZ_S10_S11_S12_S16_S17_S18_S1B_S1C_jS1D_jS1E_S1E_jjS1G_bEUljE0_EEESZ_S10_S11_S18_S1C_S1E_T6_T7_T9_mT8_S1G_bDpT10_ENKUlT_T0_E_clISt17integral_constantIbLb1EES1T_IbLb0EEEEDaS1P_S1Q_EUlS1P_E_NS1_11comp_targetILNS1_3genE10ELNS1_11target_archE1200ELNS1_3gpuE4ELNS1_3repE0EEENS1_30default_config_static_selectorELNS0_4arch9wavefront6targetE1EEEvS12_,"axG",@progbits,_ZN7rocprim17ROCPRIM_400000_NS6detail17trampoline_kernelINS0_13select_configILj256ELj13ELNS0_17block_load_methodE3ELS4_3ELS4_3ELNS0_20block_scan_algorithmE0ELj4294967295EEENS1_25partition_config_selectorILNS1_17partition_subalgoE4EjNS0_10empty_typeEbEEZZNS1_14partition_implILS8_4ELb0ES6_15HIP_vector_typeIjLj2EENS0_17counting_iteratorIjlEEPS9_SG_NS0_5tupleIJPjSI_NS0_16reverse_iteratorISI_EEEEENSH_IJSG_SG_SG_EEES9_SI_JZNS1_25segmented_radix_sort_implINS0_14default_configELb0EPKaPaPKlPlN2at6native12_GLOBAL__N_18offset_tEEE10hipError_tPvRmT1_PNSt15iterator_traitsIS12_E10value_typeET2_T3_PNS13_IS18_E10value_typeET4_jRbjT5_S1E_jjP12ihipStream_tbEUljE_ZNSN_ISO_Lb0ESQ_SR_ST_SU_SY_EESZ_S10_S11_S12_S16_S17_S18_S1B_S1C_jS1D_jS1E_S1E_jjS1G_bEUljE0_EEESZ_S10_S11_S18_S1C_S1E_T6_T7_T9_mT8_S1G_bDpT10_ENKUlT_T0_E_clISt17integral_constantIbLb1EES1T_IbLb0EEEEDaS1P_S1Q_EUlS1P_E_NS1_11comp_targetILNS1_3genE10ELNS1_11target_archE1200ELNS1_3gpuE4ELNS1_3repE0EEENS1_30default_config_static_selectorELNS0_4arch9wavefront6targetE1EEEvS12_,comdat
	.globl	_ZN7rocprim17ROCPRIM_400000_NS6detail17trampoline_kernelINS0_13select_configILj256ELj13ELNS0_17block_load_methodE3ELS4_3ELS4_3ELNS0_20block_scan_algorithmE0ELj4294967295EEENS1_25partition_config_selectorILNS1_17partition_subalgoE4EjNS0_10empty_typeEbEEZZNS1_14partition_implILS8_4ELb0ES6_15HIP_vector_typeIjLj2EENS0_17counting_iteratorIjlEEPS9_SG_NS0_5tupleIJPjSI_NS0_16reverse_iteratorISI_EEEEENSH_IJSG_SG_SG_EEES9_SI_JZNS1_25segmented_radix_sort_implINS0_14default_configELb0EPKaPaPKlPlN2at6native12_GLOBAL__N_18offset_tEEE10hipError_tPvRmT1_PNSt15iterator_traitsIS12_E10value_typeET2_T3_PNS13_IS18_E10value_typeET4_jRbjT5_S1E_jjP12ihipStream_tbEUljE_ZNSN_ISO_Lb0ESQ_SR_ST_SU_SY_EESZ_S10_S11_S12_S16_S17_S18_S1B_S1C_jS1D_jS1E_S1E_jjS1G_bEUljE0_EEESZ_S10_S11_S18_S1C_S1E_T6_T7_T9_mT8_S1G_bDpT10_ENKUlT_T0_E_clISt17integral_constantIbLb1EES1T_IbLb0EEEEDaS1P_S1Q_EUlS1P_E_NS1_11comp_targetILNS1_3genE10ELNS1_11target_archE1200ELNS1_3gpuE4ELNS1_3repE0EEENS1_30default_config_static_selectorELNS0_4arch9wavefront6targetE1EEEvS12_ ; -- Begin function _ZN7rocprim17ROCPRIM_400000_NS6detail17trampoline_kernelINS0_13select_configILj256ELj13ELNS0_17block_load_methodE3ELS4_3ELS4_3ELNS0_20block_scan_algorithmE0ELj4294967295EEENS1_25partition_config_selectorILNS1_17partition_subalgoE4EjNS0_10empty_typeEbEEZZNS1_14partition_implILS8_4ELb0ES6_15HIP_vector_typeIjLj2EENS0_17counting_iteratorIjlEEPS9_SG_NS0_5tupleIJPjSI_NS0_16reverse_iteratorISI_EEEEENSH_IJSG_SG_SG_EEES9_SI_JZNS1_25segmented_radix_sort_implINS0_14default_configELb0EPKaPaPKlPlN2at6native12_GLOBAL__N_18offset_tEEE10hipError_tPvRmT1_PNSt15iterator_traitsIS12_E10value_typeET2_T3_PNS13_IS18_E10value_typeET4_jRbjT5_S1E_jjP12ihipStream_tbEUljE_ZNSN_ISO_Lb0ESQ_SR_ST_SU_SY_EESZ_S10_S11_S12_S16_S17_S18_S1B_S1C_jS1D_jS1E_S1E_jjS1G_bEUljE0_EEESZ_S10_S11_S18_S1C_S1E_T6_T7_T9_mT8_S1G_bDpT10_ENKUlT_T0_E_clISt17integral_constantIbLb1EES1T_IbLb0EEEEDaS1P_S1Q_EUlS1P_E_NS1_11comp_targetILNS1_3genE10ELNS1_11target_archE1200ELNS1_3gpuE4ELNS1_3repE0EEENS1_30default_config_static_selectorELNS0_4arch9wavefront6targetE1EEEvS12_
	.p2align	8
	.type	_ZN7rocprim17ROCPRIM_400000_NS6detail17trampoline_kernelINS0_13select_configILj256ELj13ELNS0_17block_load_methodE3ELS4_3ELS4_3ELNS0_20block_scan_algorithmE0ELj4294967295EEENS1_25partition_config_selectorILNS1_17partition_subalgoE4EjNS0_10empty_typeEbEEZZNS1_14partition_implILS8_4ELb0ES6_15HIP_vector_typeIjLj2EENS0_17counting_iteratorIjlEEPS9_SG_NS0_5tupleIJPjSI_NS0_16reverse_iteratorISI_EEEEENSH_IJSG_SG_SG_EEES9_SI_JZNS1_25segmented_radix_sort_implINS0_14default_configELb0EPKaPaPKlPlN2at6native12_GLOBAL__N_18offset_tEEE10hipError_tPvRmT1_PNSt15iterator_traitsIS12_E10value_typeET2_T3_PNS13_IS18_E10value_typeET4_jRbjT5_S1E_jjP12ihipStream_tbEUljE_ZNSN_ISO_Lb0ESQ_SR_ST_SU_SY_EESZ_S10_S11_S12_S16_S17_S18_S1B_S1C_jS1D_jS1E_S1E_jjS1G_bEUljE0_EEESZ_S10_S11_S18_S1C_S1E_T6_T7_T9_mT8_S1G_bDpT10_ENKUlT_T0_E_clISt17integral_constantIbLb1EES1T_IbLb0EEEEDaS1P_S1Q_EUlS1P_E_NS1_11comp_targetILNS1_3genE10ELNS1_11target_archE1200ELNS1_3gpuE4ELNS1_3repE0EEENS1_30default_config_static_selectorELNS0_4arch9wavefront6targetE1EEEvS12_,@function
_ZN7rocprim17ROCPRIM_400000_NS6detail17trampoline_kernelINS0_13select_configILj256ELj13ELNS0_17block_load_methodE3ELS4_3ELS4_3ELNS0_20block_scan_algorithmE0ELj4294967295EEENS1_25partition_config_selectorILNS1_17partition_subalgoE4EjNS0_10empty_typeEbEEZZNS1_14partition_implILS8_4ELb0ES6_15HIP_vector_typeIjLj2EENS0_17counting_iteratorIjlEEPS9_SG_NS0_5tupleIJPjSI_NS0_16reverse_iteratorISI_EEEEENSH_IJSG_SG_SG_EEES9_SI_JZNS1_25segmented_radix_sort_implINS0_14default_configELb0EPKaPaPKlPlN2at6native12_GLOBAL__N_18offset_tEEE10hipError_tPvRmT1_PNSt15iterator_traitsIS12_E10value_typeET2_T3_PNS13_IS18_E10value_typeET4_jRbjT5_S1E_jjP12ihipStream_tbEUljE_ZNSN_ISO_Lb0ESQ_SR_ST_SU_SY_EESZ_S10_S11_S12_S16_S17_S18_S1B_S1C_jS1D_jS1E_S1E_jjS1G_bEUljE0_EEESZ_S10_S11_S18_S1C_S1E_T6_T7_T9_mT8_S1G_bDpT10_ENKUlT_T0_E_clISt17integral_constantIbLb1EES1T_IbLb0EEEEDaS1P_S1Q_EUlS1P_E_NS1_11comp_targetILNS1_3genE10ELNS1_11target_archE1200ELNS1_3gpuE4ELNS1_3repE0EEENS1_30default_config_static_selectorELNS0_4arch9wavefront6targetE1EEEvS12_: ; @_ZN7rocprim17ROCPRIM_400000_NS6detail17trampoline_kernelINS0_13select_configILj256ELj13ELNS0_17block_load_methodE3ELS4_3ELS4_3ELNS0_20block_scan_algorithmE0ELj4294967295EEENS1_25partition_config_selectorILNS1_17partition_subalgoE4EjNS0_10empty_typeEbEEZZNS1_14partition_implILS8_4ELb0ES6_15HIP_vector_typeIjLj2EENS0_17counting_iteratorIjlEEPS9_SG_NS0_5tupleIJPjSI_NS0_16reverse_iteratorISI_EEEEENSH_IJSG_SG_SG_EEES9_SI_JZNS1_25segmented_radix_sort_implINS0_14default_configELb0EPKaPaPKlPlN2at6native12_GLOBAL__N_18offset_tEEE10hipError_tPvRmT1_PNSt15iterator_traitsIS12_E10value_typeET2_T3_PNS13_IS18_E10value_typeET4_jRbjT5_S1E_jjP12ihipStream_tbEUljE_ZNSN_ISO_Lb0ESQ_SR_ST_SU_SY_EESZ_S10_S11_S12_S16_S17_S18_S1B_S1C_jS1D_jS1E_S1E_jjS1G_bEUljE0_EEESZ_S10_S11_S18_S1C_S1E_T6_T7_T9_mT8_S1G_bDpT10_ENKUlT_T0_E_clISt17integral_constantIbLb1EES1T_IbLb0EEEEDaS1P_S1Q_EUlS1P_E_NS1_11comp_targetILNS1_3genE10ELNS1_11target_archE1200ELNS1_3gpuE4ELNS1_3repE0EEENS1_30default_config_static_selectorELNS0_4arch9wavefront6targetE1EEEvS12_
; %bb.0:
	.section	.rodata,"a",@progbits
	.p2align	6, 0x0
	.amdhsa_kernel _ZN7rocprim17ROCPRIM_400000_NS6detail17trampoline_kernelINS0_13select_configILj256ELj13ELNS0_17block_load_methodE3ELS4_3ELS4_3ELNS0_20block_scan_algorithmE0ELj4294967295EEENS1_25partition_config_selectorILNS1_17partition_subalgoE4EjNS0_10empty_typeEbEEZZNS1_14partition_implILS8_4ELb0ES6_15HIP_vector_typeIjLj2EENS0_17counting_iteratorIjlEEPS9_SG_NS0_5tupleIJPjSI_NS0_16reverse_iteratorISI_EEEEENSH_IJSG_SG_SG_EEES9_SI_JZNS1_25segmented_radix_sort_implINS0_14default_configELb0EPKaPaPKlPlN2at6native12_GLOBAL__N_18offset_tEEE10hipError_tPvRmT1_PNSt15iterator_traitsIS12_E10value_typeET2_T3_PNS13_IS18_E10value_typeET4_jRbjT5_S1E_jjP12ihipStream_tbEUljE_ZNSN_ISO_Lb0ESQ_SR_ST_SU_SY_EESZ_S10_S11_S12_S16_S17_S18_S1B_S1C_jS1D_jS1E_S1E_jjS1G_bEUljE0_EEESZ_S10_S11_S18_S1C_S1E_T6_T7_T9_mT8_S1G_bDpT10_ENKUlT_T0_E_clISt17integral_constantIbLb1EES1T_IbLb0EEEEDaS1P_S1Q_EUlS1P_E_NS1_11comp_targetILNS1_3genE10ELNS1_11target_archE1200ELNS1_3gpuE4ELNS1_3repE0EEENS1_30default_config_static_selectorELNS0_4arch9wavefront6targetE1EEEvS12_
		.amdhsa_group_segment_fixed_size 0
		.amdhsa_private_segment_fixed_size 0
		.amdhsa_kernarg_size 176
		.amdhsa_user_sgpr_count 6
		.amdhsa_user_sgpr_private_segment_buffer 1
		.amdhsa_user_sgpr_dispatch_ptr 0
		.amdhsa_user_sgpr_queue_ptr 0
		.amdhsa_user_sgpr_kernarg_segment_ptr 1
		.amdhsa_user_sgpr_dispatch_id 0
		.amdhsa_user_sgpr_flat_scratch_init 0
		.amdhsa_user_sgpr_kernarg_preload_length 0
		.amdhsa_user_sgpr_kernarg_preload_offset 0
		.amdhsa_user_sgpr_private_segment_size 0
		.amdhsa_uses_dynamic_stack 0
		.amdhsa_system_sgpr_private_segment_wavefront_offset 0
		.amdhsa_system_sgpr_workgroup_id_x 1
		.amdhsa_system_sgpr_workgroup_id_y 0
		.amdhsa_system_sgpr_workgroup_id_z 0
		.amdhsa_system_sgpr_workgroup_info 0
		.amdhsa_system_vgpr_workitem_id 0
		.amdhsa_next_free_vgpr 1
		.amdhsa_next_free_sgpr 0
		.amdhsa_accum_offset 4
		.amdhsa_reserve_vcc 0
		.amdhsa_reserve_flat_scratch 0
		.amdhsa_float_round_mode_32 0
		.amdhsa_float_round_mode_16_64 0
		.amdhsa_float_denorm_mode_32 3
		.amdhsa_float_denorm_mode_16_64 3
		.amdhsa_dx10_clamp 1
		.amdhsa_ieee_mode 1
		.amdhsa_fp16_overflow 0
		.amdhsa_tg_split 0
		.amdhsa_exception_fp_ieee_invalid_op 0
		.amdhsa_exception_fp_denorm_src 0
		.amdhsa_exception_fp_ieee_div_zero 0
		.amdhsa_exception_fp_ieee_overflow 0
		.amdhsa_exception_fp_ieee_underflow 0
		.amdhsa_exception_fp_ieee_inexact 0
		.amdhsa_exception_int_div_zero 0
	.end_amdhsa_kernel
	.section	.text._ZN7rocprim17ROCPRIM_400000_NS6detail17trampoline_kernelINS0_13select_configILj256ELj13ELNS0_17block_load_methodE3ELS4_3ELS4_3ELNS0_20block_scan_algorithmE0ELj4294967295EEENS1_25partition_config_selectorILNS1_17partition_subalgoE4EjNS0_10empty_typeEbEEZZNS1_14partition_implILS8_4ELb0ES6_15HIP_vector_typeIjLj2EENS0_17counting_iteratorIjlEEPS9_SG_NS0_5tupleIJPjSI_NS0_16reverse_iteratorISI_EEEEENSH_IJSG_SG_SG_EEES9_SI_JZNS1_25segmented_radix_sort_implINS0_14default_configELb0EPKaPaPKlPlN2at6native12_GLOBAL__N_18offset_tEEE10hipError_tPvRmT1_PNSt15iterator_traitsIS12_E10value_typeET2_T3_PNS13_IS18_E10value_typeET4_jRbjT5_S1E_jjP12ihipStream_tbEUljE_ZNSN_ISO_Lb0ESQ_SR_ST_SU_SY_EESZ_S10_S11_S12_S16_S17_S18_S1B_S1C_jS1D_jS1E_S1E_jjS1G_bEUljE0_EEESZ_S10_S11_S18_S1C_S1E_T6_T7_T9_mT8_S1G_bDpT10_ENKUlT_T0_E_clISt17integral_constantIbLb1EES1T_IbLb0EEEEDaS1P_S1Q_EUlS1P_E_NS1_11comp_targetILNS1_3genE10ELNS1_11target_archE1200ELNS1_3gpuE4ELNS1_3repE0EEENS1_30default_config_static_selectorELNS0_4arch9wavefront6targetE1EEEvS12_,"axG",@progbits,_ZN7rocprim17ROCPRIM_400000_NS6detail17trampoline_kernelINS0_13select_configILj256ELj13ELNS0_17block_load_methodE3ELS4_3ELS4_3ELNS0_20block_scan_algorithmE0ELj4294967295EEENS1_25partition_config_selectorILNS1_17partition_subalgoE4EjNS0_10empty_typeEbEEZZNS1_14partition_implILS8_4ELb0ES6_15HIP_vector_typeIjLj2EENS0_17counting_iteratorIjlEEPS9_SG_NS0_5tupleIJPjSI_NS0_16reverse_iteratorISI_EEEEENSH_IJSG_SG_SG_EEES9_SI_JZNS1_25segmented_radix_sort_implINS0_14default_configELb0EPKaPaPKlPlN2at6native12_GLOBAL__N_18offset_tEEE10hipError_tPvRmT1_PNSt15iterator_traitsIS12_E10value_typeET2_T3_PNS13_IS18_E10value_typeET4_jRbjT5_S1E_jjP12ihipStream_tbEUljE_ZNSN_ISO_Lb0ESQ_SR_ST_SU_SY_EESZ_S10_S11_S12_S16_S17_S18_S1B_S1C_jS1D_jS1E_S1E_jjS1G_bEUljE0_EEESZ_S10_S11_S18_S1C_S1E_T6_T7_T9_mT8_S1G_bDpT10_ENKUlT_T0_E_clISt17integral_constantIbLb1EES1T_IbLb0EEEEDaS1P_S1Q_EUlS1P_E_NS1_11comp_targetILNS1_3genE10ELNS1_11target_archE1200ELNS1_3gpuE4ELNS1_3repE0EEENS1_30default_config_static_selectorELNS0_4arch9wavefront6targetE1EEEvS12_,comdat
.Lfunc_end350:
	.size	_ZN7rocprim17ROCPRIM_400000_NS6detail17trampoline_kernelINS0_13select_configILj256ELj13ELNS0_17block_load_methodE3ELS4_3ELS4_3ELNS0_20block_scan_algorithmE0ELj4294967295EEENS1_25partition_config_selectorILNS1_17partition_subalgoE4EjNS0_10empty_typeEbEEZZNS1_14partition_implILS8_4ELb0ES6_15HIP_vector_typeIjLj2EENS0_17counting_iteratorIjlEEPS9_SG_NS0_5tupleIJPjSI_NS0_16reverse_iteratorISI_EEEEENSH_IJSG_SG_SG_EEES9_SI_JZNS1_25segmented_radix_sort_implINS0_14default_configELb0EPKaPaPKlPlN2at6native12_GLOBAL__N_18offset_tEEE10hipError_tPvRmT1_PNSt15iterator_traitsIS12_E10value_typeET2_T3_PNS13_IS18_E10value_typeET4_jRbjT5_S1E_jjP12ihipStream_tbEUljE_ZNSN_ISO_Lb0ESQ_SR_ST_SU_SY_EESZ_S10_S11_S12_S16_S17_S18_S1B_S1C_jS1D_jS1E_S1E_jjS1G_bEUljE0_EEESZ_S10_S11_S18_S1C_S1E_T6_T7_T9_mT8_S1G_bDpT10_ENKUlT_T0_E_clISt17integral_constantIbLb1EES1T_IbLb0EEEEDaS1P_S1Q_EUlS1P_E_NS1_11comp_targetILNS1_3genE10ELNS1_11target_archE1200ELNS1_3gpuE4ELNS1_3repE0EEENS1_30default_config_static_selectorELNS0_4arch9wavefront6targetE1EEEvS12_, .Lfunc_end350-_ZN7rocprim17ROCPRIM_400000_NS6detail17trampoline_kernelINS0_13select_configILj256ELj13ELNS0_17block_load_methodE3ELS4_3ELS4_3ELNS0_20block_scan_algorithmE0ELj4294967295EEENS1_25partition_config_selectorILNS1_17partition_subalgoE4EjNS0_10empty_typeEbEEZZNS1_14partition_implILS8_4ELb0ES6_15HIP_vector_typeIjLj2EENS0_17counting_iteratorIjlEEPS9_SG_NS0_5tupleIJPjSI_NS0_16reverse_iteratorISI_EEEEENSH_IJSG_SG_SG_EEES9_SI_JZNS1_25segmented_radix_sort_implINS0_14default_configELb0EPKaPaPKlPlN2at6native12_GLOBAL__N_18offset_tEEE10hipError_tPvRmT1_PNSt15iterator_traitsIS12_E10value_typeET2_T3_PNS13_IS18_E10value_typeET4_jRbjT5_S1E_jjP12ihipStream_tbEUljE_ZNSN_ISO_Lb0ESQ_SR_ST_SU_SY_EESZ_S10_S11_S12_S16_S17_S18_S1B_S1C_jS1D_jS1E_S1E_jjS1G_bEUljE0_EEESZ_S10_S11_S18_S1C_S1E_T6_T7_T9_mT8_S1G_bDpT10_ENKUlT_T0_E_clISt17integral_constantIbLb1EES1T_IbLb0EEEEDaS1P_S1Q_EUlS1P_E_NS1_11comp_targetILNS1_3genE10ELNS1_11target_archE1200ELNS1_3gpuE4ELNS1_3repE0EEENS1_30default_config_static_selectorELNS0_4arch9wavefront6targetE1EEEvS12_
                                        ; -- End function
	.section	.AMDGPU.csdata,"",@progbits
; Kernel info:
; codeLenInByte = 0
; NumSgprs: 4
; NumVgprs: 0
; NumAgprs: 0
; TotalNumVgprs: 0
; ScratchSize: 0
; MemoryBound: 0
; FloatMode: 240
; IeeeMode: 1
; LDSByteSize: 0 bytes/workgroup (compile time only)
; SGPRBlocks: 0
; VGPRBlocks: 0
; NumSGPRsForWavesPerEU: 4
; NumVGPRsForWavesPerEU: 1
; AccumOffset: 4
; Occupancy: 8
; WaveLimiterHint : 0
; COMPUTE_PGM_RSRC2:SCRATCH_EN: 0
; COMPUTE_PGM_RSRC2:USER_SGPR: 6
; COMPUTE_PGM_RSRC2:TRAP_HANDLER: 0
; COMPUTE_PGM_RSRC2:TGID_X_EN: 1
; COMPUTE_PGM_RSRC2:TGID_Y_EN: 0
; COMPUTE_PGM_RSRC2:TGID_Z_EN: 0
; COMPUTE_PGM_RSRC2:TIDIG_COMP_CNT: 0
; COMPUTE_PGM_RSRC3_GFX90A:ACCUM_OFFSET: 0
; COMPUTE_PGM_RSRC3_GFX90A:TG_SPLIT: 0
	.section	.text._ZN7rocprim17ROCPRIM_400000_NS6detail17trampoline_kernelINS0_13select_configILj256ELj13ELNS0_17block_load_methodE3ELS4_3ELS4_3ELNS0_20block_scan_algorithmE0ELj4294967295EEENS1_25partition_config_selectorILNS1_17partition_subalgoE4EjNS0_10empty_typeEbEEZZNS1_14partition_implILS8_4ELb0ES6_15HIP_vector_typeIjLj2EENS0_17counting_iteratorIjlEEPS9_SG_NS0_5tupleIJPjSI_NS0_16reverse_iteratorISI_EEEEENSH_IJSG_SG_SG_EEES9_SI_JZNS1_25segmented_radix_sort_implINS0_14default_configELb0EPKaPaPKlPlN2at6native12_GLOBAL__N_18offset_tEEE10hipError_tPvRmT1_PNSt15iterator_traitsIS12_E10value_typeET2_T3_PNS13_IS18_E10value_typeET4_jRbjT5_S1E_jjP12ihipStream_tbEUljE_ZNSN_ISO_Lb0ESQ_SR_ST_SU_SY_EESZ_S10_S11_S12_S16_S17_S18_S1B_S1C_jS1D_jS1E_S1E_jjS1G_bEUljE0_EEESZ_S10_S11_S18_S1C_S1E_T6_T7_T9_mT8_S1G_bDpT10_ENKUlT_T0_E_clISt17integral_constantIbLb1EES1T_IbLb0EEEEDaS1P_S1Q_EUlS1P_E_NS1_11comp_targetILNS1_3genE9ELNS1_11target_archE1100ELNS1_3gpuE3ELNS1_3repE0EEENS1_30default_config_static_selectorELNS0_4arch9wavefront6targetE1EEEvS12_,"axG",@progbits,_ZN7rocprim17ROCPRIM_400000_NS6detail17trampoline_kernelINS0_13select_configILj256ELj13ELNS0_17block_load_methodE3ELS4_3ELS4_3ELNS0_20block_scan_algorithmE0ELj4294967295EEENS1_25partition_config_selectorILNS1_17partition_subalgoE4EjNS0_10empty_typeEbEEZZNS1_14partition_implILS8_4ELb0ES6_15HIP_vector_typeIjLj2EENS0_17counting_iteratorIjlEEPS9_SG_NS0_5tupleIJPjSI_NS0_16reverse_iteratorISI_EEEEENSH_IJSG_SG_SG_EEES9_SI_JZNS1_25segmented_radix_sort_implINS0_14default_configELb0EPKaPaPKlPlN2at6native12_GLOBAL__N_18offset_tEEE10hipError_tPvRmT1_PNSt15iterator_traitsIS12_E10value_typeET2_T3_PNS13_IS18_E10value_typeET4_jRbjT5_S1E_jjP12ihipStream_tbEUljE_ZNSN_ISO_Lb0ESQ_SR_ST_SU_SY_EESZ_S10_S11_S12_S16_S17_S18_S1B_S1C_jS1D_jS1E_S1E_jjS1G_bEUljE0_EEESZ_S10_S11_S18_S1C_S1E_T6_T7_T9_mT8_S1G_bDpT10_ENKUlT_T0_E_clISt17integral_constantIbLb1EES1T_IbLb0EEEEDaS1P_S1Q_EUlS1P_E_NS1_11comp_targetILNS1_3genE9ELNS1_11target_archE1100ELNS1_3gpuE3ELNS1_3repE0EEENS1_30default_config_static_selectorELNS0_4arch9wavefront6targetE1EEEvS12_,comdat
	.globl	_ZN7rocprim17ROCPRIM_400000_NS6detail17trampoline_kernelINS0_13select_configILj256ELj13ELNS0_17block_load_methodE3ELS4_3ELS4_3ELNS0_20block_scan_algorithmE0ELj4294967295EEENS1_25partition_config_selectorILNS1_17partition_subalgoE4EjNS0_10empty_typeEbEEZZNS1_14partition_implILS8_4ELb0ES6_15HIP_vector_typeIjLj2EENS0_17counting_iteratorIjlEEPS9_SG_NS0_5tupleIJPjSI_NS0_16reverse_iteratorISI_EEEEENSH_IJSG_SG_SG_EEES9_SI_JZNS1_25segmented_radix_sort_implINS0_14default_configELb0EPKaPaPKlPlN2at6native12_GLOBAL__N_18offset_tEEE10hipError_tPvRmT1_PNSt15iterator_traitsIS12_E10value_typeET2_T3_PNS13_IS18_E10value_typeET4_jRbjT5_S1E_jjP12ihipStream_tbEUljE_ZNSN_ISO_Lb0ESQ_SR_ST_SU_SY_EESZ_S10_S11_S12_S16_S17_S18_S1B_S1C_jS1D_jS1E_S1E_jjS1G_bEUljE0_EEESZ_S10_S11_S18_S1C_S1E_T6_T7_T9_mT8_S1G_bDpT10_ENKUlT_T0_E_clISt17integral_constantIbLb1EES1T_IbLb0EEEEDaS1P_S1Q_EUlS1P_E_NS1_11comp_targetILNS1_3genE9ELNS1_11target_archE1100ELNS1_3gpuE3ELNS1_3repE0EEENS1_30default_config_static_selectorELNS0_4arch9wavefront6targetE1EEEvS12_ ; -- Begin function _ZN7rocprim17ROCPRIM_400000_NS6detail17trampoline_kernelINS0_13select_configILj256ELj13ELNS0_17block_load_methodE3ELS4_3ELS4_3ELNS0_20block_scan_algorithmE0ELj4294967295EEENS1_25partition_config_selectorILNS1_17partition_subalgoE4EjNS0_10empty_typeEbEEZZNS1_14partition_implILS8_4ELb0ES6_15HIP_vector_typeIjLj2EENS0_17counting_iteratorIjlEEPS9_SG_NS0_5tupleIJPjSI_NS0_16reverse_iteratorISI_EEEEENSH_IJSG_SG_SG_EEES9_SI_JZNS1_25segmented_radix_sort_implINS0_14default_configELb0EPKaPaPKlPlN2at6native12_GLOBAL__N_18offset_tEEE10hipError_tPvRmT1_PNSt15iterator_traitsIS12_E10value_typeET2_T3_PNS13_IS18_E10value_typeET4_jRbjT5_S1E_jjP12ihipStream_tbEUljE_ZNSN_ISO_Lb0ESQ_SR_ST_SU_SY_EESZ_S10_S11_S12_S16_S17_S18_S1B_S1C_jS1D_jS1E_S1E_jjS1G_bEUljE0_EEESZ_S10_S11_S18_S1C_S1E_T6_T7_T9_mT8_S1G_bDpT10_ENKUlT_T0_E_clISt17integral_constantIbLb1EES1T_IbLb0EEEEDaS1P_S1Q_EUlS1P_E_NS1_11comp_targetILNS1_3genE9ELNS1_11target_archE1100ELNS1_3gpuE3ELNS1_3repE0EEENS1_30default_config_static_selectorELNS0_4arch9wavefront6targetE1EEEvS12_
	.p2align	8
	.type	_ZN7rocprim17ROCPRIM_400000_NS6detail17trampoline_kernelINS0_13select_configILj256ELj13ELNS0_17block_load_methodE3ELS4_3ELS4_3ELNS0_20block_scan_algorithmE0ELj4294967295EEENS1_25partition_config_selectorILNS1_17partition_subalgoE4EjNS0_10empty_typeEbEEZZNS1_14partition_implILS8_4ELb0ES6_15HIP_vector_typeIjLj2EENS0_17counting_iteratorIjlEEPS9_SG_NS0_5tupleIJPjSI_NS0_16reverse_iteratorISI_EEEEENSH_IJSG_SG_SG_EEES9_SI_JZNS1_25segmented_radix_sort_implINS0_14default_configELb0EPKaPaPKlPlN2at6native12_GLOBAL__N_18offset_tEEE10hipError_tPvRmT1_PNSt15iterator_traitsIS12_E10value_typeET2_T3_PNS13_IS18_E10value_typeET4_jRbjT5_S1E_jjP12ihipStream_tbEUljE_ZNSN_ISO_Lb0ESQ_SR_ST_SU_SY_EESZ_S10_S11_S12_S16_S17_S18_S1B_S1C_jS1D_jS1E_S1E_jjS1G_bEUljE0_EEESZ_S10_S11_S18_S1C_S1E_T6_T7_T9_mT8_S1G_bDpT10_ENKUlT_T0_E_clISt17integral_constantIbLb1EES1T_IbLb0EEEEDaS1P_S1Q_EUlS1P_E_NS1_11comp_targetILNS1_3genE9ELNS1_11target_archE1100ELNS1_3gpuE3ELNS1_3repE0EEENS1_30default_config_static_selectorELNS0_4arch9wavefront6targetE1EEEvS12_,@function
_ZN7rocprim17ROCPRIM_400000_NS6detail17trampoline_kernelINS0_13select_configILj256ELj13ELNS0_17block_load_methodE3ELS4_3ELS4_3ELNS0_20block_scan_algorithmE0ELj4294967295EEENS1_25partition_config_selectorILNS1_17partition_subalgoE4EjNS0_10empty_typeEbEEZZNS1_14partition_implILS8_4ELb0ES6_15HIP_vector_typeIjLj2EENS0_17counting_iteratorIjlEEPS9_SG_NS0_5tupleIJPjSI_NS0_16reverse_iteratorISI_EEEEENSH_IJSG_SG_SG_EEES9_SI_JZNS1_25segmented_radix_sort_implINS0_14default_configELb0EPKaPaPKlPlN2at6native12_GLOBAL__N_18offset_tEEE10hipError_tPvRmT1_PNSt15iterator_traitsIS12_E10value_typeET2_T3_PNS13_IS18_E10value_typeET4_jRbjT5_S1E_jjP12ihipStream_tbEUljE_ZNSN_ISO_Lb0ESQ_SR_ST_SU_SY_EESZ_S10_S11_S12_S16_S17_S18_S1B_S1C_jS1D_jS1E_S1E_jjS1G_bEUljE0_EEESZ_S10_S11_S18_S1C_S1E_T6_T7_T9_mT8_S1G_bDpT10_ENKUlT_T0_E_clISt17integral_constantIbLb1EES1T_IbLb0EEEEDaS1P_S1Q_EUlS1P_E_NS1_11comp_targetILNS1_3genE9ELNS1_11target_archE1100ELNS1_3gpuE3ELNS1_3repE0EEENS1_30default_config_static_selectorELNS0_4arch9wavefront6targetE1EEEvS12_: ; @_ZN7rocprim17ROCPRIM_400000_NS6detail17trampoline_kernelINS0_13select_configILj256ELj13ELNS0_17block_load_methodE3ELS4_3ELS4_3ELNS0_20block_scan_algorithmE0ELj4294967295EEENS1_25partition_config_selectorILNS1_17partition_subalgoE4EjNS0_10empty_typeEbEEZZNS1_14partition_implILS8_4ELb0ES6_15HIP_vector_typeIjLj2EENS0_17counting_iteratorIjlEEPS9_SG_NS0_5tupleIJPjSI_NS0_16reverse_iteratorISI_EEEEENSH_IJSG_SG_SG_EEES9_SI_JZNS1_25segmented_radix_sort_implINS0_14default_configELb0EPKaPaPKlPlN2at6native12_GLOBAL__N_18offset_tEEE10hipError_tPvRmT1_PNSt15iterator_traitsIS12_E10value_typeET2_T3_PNS13_IS18_E10value_typeET4_jRbjT5_S1E_jjP12ihipStream_tbEUljE_ZNSN_ISO_Lb0ESQ_SR_ST_SU_SY_EESZ_S10_S11_S12_S16_S17_S18_S1B_S1C_jS1D_jS1E_S1E_jjS1G_bEUljE0_EEESZ_S10_S11_S18_S1C_S1E_T6_T7_T9_mT8_S1G_bDpT10_ENKUlT_T0_E_clISt17integral_constantIbLb1EES1T_IbLb0EEEEDaS1P_S1Q_EUlS1P_E_NS1_11comp_targetILNS1_3genE9ELNS1_11target_archE1100ELNS1_3gpuE3ELNS1_3repE0EEENS1_30default_config_static_selectorELNS0_4arch9wavefront6targetE1EEEvS12_
; %bb.0:
	.section	.rodata,"a",@progbits
	.p2align	6, 0x0
	.amdhsa_kernel _ZN7rocprim17ROCPRIM_400000_NS6detail17trampoline_kernelINS0_13select_configILj256ELj13ELNS0_17block_load_methodE3ELS4_3ELS4_3ELNS0_20block_scan_algorithmE0ELj4294967295EEENS1_25partition_config_selectorILNS1_17partition_subalgoE4EjNS0_10empty_typeEbEEZZNS1_14partition_implILS8_4ELb0ES6_15HIP_vector_typeIjLj2EENS0_17counting_iteratorIjlEEPS9_SG_NS0_5tupleIJPjSI_NS0_16reverse_iteratorISI_EEEEENSH_IJSG_SG_SG_EEES9_SI_JZNS1_25segmented_radix_sort_implINS0_14default_configELb0EPKaPaPKlPlN2at6native12_GLOBAL__N_18offset_tEEE10hipError_tPvRmT1_PNSt15iterator_traitsIS12_E10value_typeET2_T3_PNS13_IS18_E10value_typeET4_jRbjT5_S1E_jjP12ihipStream_tbEUljE_ZNSN_ISO_Lb0ESQ_SR_ST_SU_SY_EESZ_S10_S11_S12_S16_S17_S18_S1B_S1C_jS1D_jS1E_S1E_jjS1G_bEUljE0_EEESZ_S10_S11_S18_S1C_S1E_T6_T7_T9_mT8_S1G_bDpT10_ENKUlT_T0_E_clISt17integral_constantIbLb1EES1T_IbLb0EEEEDaS1P_S1Q_EUlS1P_E_NS1_11comp_targetILNS1_3genE9ELNS1_11target_archE1100ELNS1_3gpuE3ELNS1_3repE0EEENS1_30default_config_static_selectorELNS0_4arch9wavefront6targetE1EEEvS12_
		.amdhsa_group_segment_fixed_size 0
		.amdhsa_private_segment_fixed_size 0
		.amdhsa_kernarg_size 176
		.amdhsa_user_sgpr_count 6
		.amdhsa_user_sgpr_private_segment_buffer 1
		.amdhsa_user_sgpr_dispatch_ptr 0
		.amdhsa_user_sgpr_queue_ptr 0
		.amdhsa_user_sgpr_kernarg_segment_ptr 1
		.amdhsa_user_sgpr_dispatch_id 0
		.amdhsa_user_sgpr_flat_scratch_init 0
		.amdhsa_user_sgpr_kernarg_preload_length 0
		.amdhsa_user_sgpr_kernarg_preload_offset 0
		.amdhsa_user_sgpr_private_segment_size 0
		.amdhsa_uses_dynamic_stack 0
		.amdhsa_system_sgpr_private_segment_wavefront_offset 0
		.amdhsa_system_sgpr_workgroup_id_x 1
		.amdhsa_system_sgpr_workgroup_id_y 0
		.amdhsa_system_sgpr_workgroup_id_z 0
		.amdhsa_system_sgpr_workgroup_info 0
		.amdhsa_system_vgpr_workitem_id 0
		.amdhsa_next_free_vgpr 1
		.amdhsa_next_free_sgpr 0
		.amdhsa_accum_offset 4
		.amdhsa_reserve_vcc 0
		.amdhsa_reserve_flat_scratch 0
		.amdhsa_float_round_mode_32 0
		.amdhsa_float_round_mode_16_64 0
		.amdhsa_float_denorm_mode_32 3
		.amdhsa_float_denorm_mode_16_64 3
		.amdhsa_dx10_clamp 1
		.amdhsa_ieee_mode 1
		.amdhsa_fp16_overflow 0
		.amdhsa_tg_split 0
		.amdhsa_exception_fp_ieee_invalid_op 0
		.amdhsa_exception_fp_denorm_src 0
		.amdhsa_exception_fp_ieee_div_zero 0
		.amdhsa_exception_fp_ieee_overflow 0
		.amdhsa_exception_fp_ieee_underflow 0
		.amdhsa_exception_fp_ieee_inexact 0
		.amdhsa_exception_int_div_zero 0
	.end_amdhsa_kernel
	.section	.text._ZN7rocprim17ROCPRIM_400000_NS6detail17trampoline_kernelINS0_13select_configILj256ELj13ELNS0_17block_load_methodE3ELS4_3ELS4_3ELNS0_20block_scan_algorithmE0ELj4294967295EEENS1_25partition_config_selectorILNS1_17partition_subalgoE4EjNS0_10empty_typeEbEEZZNS1_14partition_implILS8_4ELb0ES6_15HIP_vector_typeIjLj2EENS0_17counting_iteratorIjlEEPS9_SG_NS0_5tupleIJPjSI_NS0_16reverse_iteratorISI_EEEEENSH_IJSG_SG_SG_EEES9_SI_JZNS1_25segmented_radix_sort_implINS0_14default_configELb0EPKaPaPKlPlN2at6native12_GLOBAL__N_18offset_tEEE10hipError_tPvRmT1_PNSt15iterator_traitsIS12_E10value_typeET2_T3_PNS13_IS18_E10value_typeET4_jRbjT5_S1E_jjP12ihipStream_tbEUljE_ZNSN_ISO_Lb0ESQ_SR_ST_SU_SY_EESZ_S10_S11_S12_S16_S17_S18_S1B_S1C_jS1D_jS1E_S1E_jjS1G_bEUljE0_EEESZ_S10_S11_S18_S1C_S1E_T6_T7_T9_mT8_S1G_bDpT10_ENKUlT_T0_E_clISt17integral_constantIbLb1EES1T_IbLb0EEEEDaS1P_S1Q_EUlS1P_E_NS1_11comp_targetILNS1_3genE9ELNS1_11target_archE1100ELNS1_3gpuE3ELNS1_3repE0EEENS1_30default_config_static_selectorELNS0_4arch9wavefront6targetE1EEEvS12_,"axG",@progbits,_ZN7rocprim17ROCPRIM_400000_NS6detail17trampoline_kernelINS0_13select_configILj256ELj13ELNS0_17block_load_methodE3ELS4_3ELS4_3ELNS0_20block_scan_algorithmE0ELj4294967295EEENS1_25partition_config_selectorILNS1_17partition_subalgoE4EjNS0_10empty_typeEbEEZZNS1_14partition_implILS8_4ELb0ES6_15HIP_vector_typeIjLj2EENS0_17counting_iteratorIjlEEPS9_SG_NS0_5tupleIJPjSI_NS0_16reverse_iteratorISI_EEEEENSH_IJSG_SG_SG_EEES9_SI_JZNS1_25segmented_radix_sort_implINS0_14default_configELb0EPKaPaPKlPlN2at6native12_GLOBAL__N_18offset_tEEE10hipError_tPvRmT1_PNSt15iterator_traitsIS12_E10value_typeET2_T3_PNS13_IS18_E10value_typeET4_jRbjT5_S1E_jjP12ihipStream_tbEUljE_ZNSN_ISO_Lb0ESQ_SR_ST_SU_SY_EESZ_S10_S11_S12_S16_S17_S18_S1B_S1C_jS1D_jS1E_S1E_jjS1G_bEUljE0_EEESZ_S10_S11_S18_S1C_S1E_T6_T7_T9_mT8_S1G_bDpT10_ENKUlT_T0_E_clISt17integral_constantIbLb1EES1T_IbLb0EEEEDaS1P_S1Q_EUlS1P_E_NS1_11comp_targetILNS1_3genE9ELNS1_11target_archE1100ELNS1_3gpuE3ELNS1_3repE0EEENS1_30default_config_static_selectorELNS0_4arch9wavefront6targetE1EEEvS12_,comdat
.Lfunc_end351:
	.size	_ZN7rocprim17ROCPRIM_400000_NS6detail17trampoline_kernelINS0_13select_configILj256ELj13ELNS0_17block_load_methodE3ELS4_3ELS4_3ELNS0_20block_scan_algorithmE0ELj4294967295EEENS1_25partition_config_selectorILNS1_17partition_subalgoE4EjNS0_10empty_typeEbEEZZNS1_14partition_implILS8_4ELb0ES6_15HIP_vector_typeIjLj2EENS0_17counting_iteratorIjlEEPS9_SG_NS0_5tupleIJPjSI_NS0_16reverse_iteratorISI_EEEEENSH_IJSG_SG_SG_EEES9_SI_JZNS1_25segmented_radix_sort_implINS0_14default_configELb0EPKaPaPKlPlN2at6native12_GLOBAL__N_18offset_tEEE10hipError_tPvRmT1_PNSt15iterator_traitsIS12_E10value_typeET2_T3_PNS13_IS18_E10value_typeET4_jRbjT5_S1E_jjP12ihipStream_tbEUljE_ZNSN_ISO_Lb0ESQ_SR_ST_SU_SY_EESZ_S10_S11_S12_S16_S17_S18_S1B_S1C_jS1D_jS1E_S1E_jjS1G_bEUljE0_EEESZ_S10_S11_S18_S1C_S1E_T6_T7_T9_mT8_S1G_bDpT10_ENKUlT_T0_E_clISt17integral_constantIbLb1EES1T_IbLb0EEEEDaS1P_S1Q_EUlS1P_E_NS1_11comp_targetILNS1_3genE9ELNS1_11target_archE1100ELNS1_3gpuE3ELNS1_3repE0EEENS1_30default_config_static_selectorELNS0_4arch9wavefront6targetE1EEEvS12_, .Lfunc_end351-_ZN7rocprim17ROCPRIM_400000_NS6detail17trampoline_kernelINS0_13select_configILj256ELj13ELNS0_17block_load_methodE3ELS4_3ELS4_3ELNS0_20block_scan_algorithmE0ELj4294967295EEENS1_25partition_config_selectorILNS1_17partition_subalgoE4EjNS0_10empty_typeEbEEZZNS1_14partition_implILS8_4ELb0ES6_15HIP_vector_typeIjLj2EENS0_17counting_iteratorIjlEEPS9_SG_NS0_5tupleIJPjSI_NS0_16reverse_iteratorISI_EEEEENSH_IJSG_SG_SG_EEES9_SI_JZNS1_25segmented_radix_sort_implINS0_14default_configELb0EPKaPaPKlPlN2at6native12_GLOBAL__N_18offset_tEEE10hipError_tPvRmT1_PNSt15iterator_traitsIS12_E10value_typeET2_T3_PNS13_IS18_E10value_typeET4_jRbjT5_S1E_jjP12ihipStream_tbEUljE_ZNSN_ISO_Lb0ESQ_SR_ST_SU_SY_EESZ_S10_S11_S12_S16_S17_S18_S1B_S1C_jS1D_jS1E_S1E_jjS1G_bEUljE0_EEESZ_S10_S11_S18_S1C_S1E_T6_T7_T9_mT8_S1G_bDpT10_ENKUlT_T0_E_clISt17integral_constantIbLb1EES1T_IbLb0EEEEDaS1P_S1Q_EUlS1P_E_NS1_11comp_targetILNS1_3genE9ELNS1_11target_archE1100ELNS1_3gpuE3ELNS1_3repE0EEENS1_30default_config_static_selectorELNS0_4arch9wavefront6targetE1EEEvS12_
                                        ; -- End function
	.section	.AMDGPU.csdata,"",@progbits
; Kernel info:
; codeLenInByte = 0
; NumSgprs: 4
; NumVgprs: 0
; NumAgprs: 0
; TotalNumVgprs: 0
; ScratchSize: 0
; MemoryBound: 0
; FloatMode: 240
; IeeeMode: 1
; LDSByteSize: 0 bytes/workgroup (compile time only)
; SGPRBlocks: 0
; VGPRBlocks: 0
; NumSGPRsForWavesPerEU: 4
; NumVGPRsForWavesPerEU: 1
; AccumOffset: 4
; Occupancy: 8
; WaveLimiterHint : 0
; COMPUTE_PGM_RSRC2:SCRATCH_EN: 0
; COMPUTE_PGM_RSRC2:USER_SGPR: 6
; COMPUTE_PGM_RSRC2:TRAP_HANDLER: 0
; COMPUTE_PGM_RSRC2:TGID_X_EN: 1
; COMPUTE_PGM_RSRC2:TGID_Y_EN: 0
; COMPUTE_PGM_RSRC2:TGID_Z_EN: 0
; COMPUTE_PGM_RSRC2:TIDIG_COMP_CNT: 0
; COMPUTE_PGM_RSRC3_GFX90A:ACCUM_OFFSET: 0
; COMPUTE_PGM_RSRC3_GFX90A:TG_SPLIT: 0
	.section	.text._ZN7rocprim17ROCPRIM_400000_NS6detail17trampoline_kernelINS0_13select_configILj256ELj13ELNS0_17block_load_methodE3ELS4_3ELS4_3ELNS0_20block_scan_algorithmE0ELj4294967295EEENS1_25partition_config_selectorILNS1_17partition_subalgoE4EjNS0_10empty_typeEbEEZZNS1_14partition_implILS8_4ELb0ES6_15HIP_vector_typeIjLj2EENS0_17counting_iteratorIjlEEPS9_SG_NS0_5tupleIJPjSI_NS0_16reverse_iteratorISI_EEEEENSH_IJSG_SG_SG_EEES9_SI_JZNS1_25segmented_radix_sort_implINS0_14default_configELb0EPKaPaPKlPlN2at6native12_GLOBAL__N_18offset_tEEE10hipError_tPvRmT1_PNSt15iterator_traitsIS12_E10value_typeET2_T3_PNS13_IS18_E10value_typeET4_jRbjT5_S1E_jjP12ihipStream_tbEUljE_ZNSN_ISO_Lb0ESQ_SR_ST_SU_SY_EESZ_S10_S11_S12_S16_S17_S18_S1B_S1C_jS1D_jS1E_S1E_jjS1G_bEUljE0_EEESZ_S10_S11_S18_S1C_S1E_T6_T7_T9_mT8_S1G_bDpT10_ENKUlT_T0_E_clISt17integral_constantIbLb1EES1T_IbLb0EEEEDaS1P_S1Q_EUlS1P_E_NS1_11comp_targetILNS1_3genE8ELNS1_11target_archE1030ELNS1_3gpuE2ELNS1_3repE0EEENS1_30default_config_static_selectorELNS0_4arch9wavefront6targetE1EEEvS12_,"axG",@progbits,_ZN7rocprim17ROCPRIM_400000_NS6detail17trampoline_kernelINS0_13select_configILj256ELj13ELNS0_17block_load_methodE3ELS4_3ELS4_3ELNS0_20block_scan_algorithmE0ELj4294967295EEENS1_25partition_config_selectorILNS1_17partition_subalgoE4EjNS0_10empty_typeEbEEZZNS1_14partition_implILS8_4ELb0ES6_15HIP_vector_typeIjLj2EENS0_17counting_iteratorIjlEEPS9_SG_NS0_5tupleIJPjSI_NS0_16reverse_iteratorISI_EEEEENSH_IJSG_SG_SG_EEES9_SI_JZNS1_25segmented_radix_sort_implINS0_14default_configELb0EPKaPaPKlPlN2at6native12_GLOBAL__N_18offset_tEEE10hipError_tPvRmT1_PNSt15iterator_traitsIS12_E10value_typeET2_T3_PNS13_IS18_E10value_typeET4_jRbjT5_S1E_jjP12ihipStream_tbEUljE_ZNSN_ISO_Lb0ESQ_SR_ST_SU_SY_EESZ_S10_S11_S12_S16_S17_S18_S1B_S1C_jS1D_jS1E_S1E_jjS1G_bEUljE0_EEESZ_S10_S11_S18_S1C_S1E_T6_T7_T9_mT8_S1G_bDpT10_ENKUlT_T0_E_clISt17integral_constantIbLb1EES1T_IbLb0EEEEDaS1P_S1Q_EUlS1P_E_NS1_11comp_targetILNS1_3genE8ELNS1_11target_archE1030ELNS1_3gpuE2ELNS1_3repE0EEENS1_30default_config_static_selectorELNS0_4arch9wavefront6targetE1EEEvS12_,comdat
	.globl	_ZN7rocprim17ROCPRIM_400000_NS6detail17trampoline_kernelINS0_13select_configILj256ELj13ELNS0_17block_load_methodE3ELS4_3ELS4_3ELNS0_20block_scan_algorithmE0ELj4294967295EEENS1_25partition_config_selectorILNS1_17partition_subalgoE4EjNS0_10empty_typeEbEEZZNS1_14partition_implILS8_4ELb0ES6_15HIP_vector_typeIjLj2EENS0_17counting_iteratorIjlEEPS9_SG_NS0_5tupleIJPjSI_NS0_16reverse_iteratorISI_EEEEENSH_IJSG_SG_SG_EEES9_SI_JZNS1_25segmented_radix_sort_implINS0_14default_configELb0EPKaPaPKlPlN2at6native12_GLOBAL__N_18offset_tEEE10hipError_tPvRmT1_PNSt15iterator_traitsIS12_E10value_typeET2_T3_PNS13_IS18_E10value_typeET4_jRbjT5_S1E_jjP12ihipStream_tbEUljE_ZNSN_ISO_Lb0ESQ_SR_ST_SU_SY_EESZ_S10_S11_S12_S16_S17_S18_S1B_S1C_jS1D_jS1E_S1E_jjS1G_bEUljE0_EEESZ_S10_S11_S18_S1C_S1E_T6_T7_T9_mT8_S1G_bDpT10_ENKUlT_T0_E_clISt17integral_constantIbLb1EES1T_IbLb0EEEEDaS1P_S1Q_EUlS1P_E_NS1_11comp_targetILNS1_3genE8ELNS1_11target_archE1030ELNS1_3gpuE2ELNS1_3repE0EEENS1_30default_config_static_selectorELNS0_4arch9wavefront6targetE1EEEvS12_ ; -- Begin function _ZN7rocprim17ROCPRIM_400000_NS6detail17trampoline_kernelINS0_13select_configILj256ELj13ELNS0_17block_load_methodE3ELS4_3ELS4_3ELNS0_20block_scan_algorithmE0ELj4294967295EEENS1_25partition_config_selectorILNS1_17partition_subalgoE4EjNS0_10empty_typeEbEEZZNS1_14partition_implILS8_4ELb0ES6_15HIP_vector_typeIjLj2EENS0_17counting_iteratorIjlEEPS9_SG_NS0_5tupleIJPjSI_NS0_16reverse_iteratorISI_EEEEENSH_IJSG_SG_SG_EEES9_SI_JZNS1_25segmented_radix_sort_implINS0_14default_configELb0EPKaPaPKlPlN2at6native12_GLOBAL__N_18offset_tEEE10hipError_tPvRmT1_PNSt15iterator_traitsIS12_E10value_typeET2_T3_PNS13_IS18_E10value_typeET4_jRbjT5_S1E_jjP12ihipStream_tbEUljE_ZNSN_ISO_Lb0ESQ_SR_ST_SU_SY_EESZ_S10_S11_S12_S16_S17_S18_S1B_S1C_jS1D_jS1E_S1E_jjS1G_bEUljE0_EEESZ_S10_S11_S18_S1C_S1E_T6_T7_T9_mT8_S1G_bDpT10_ENKUlT_T0_E_clISt17integral_constantIbLb1EES1T_IbLb0EEEEDaS1P_S1Q_EUlS1P_E_NS1_11comp_targetILNS1_3genE8ELNS1_11target_archE1030ELNS1_3gpuE2ELNS1_3repE0EEENS1_30default_config_static_selectorELNS0_4arch9wavefront6targetE1EEEvS12_
	.p2align	8
	.type	_ZN7rocprim17ROCPRIM_400000_NS6detail17trampoline_kernelINS0_13select_configILj256ELj13ELNS0_17block_load_methodE3ELS4_3ELS4_3ELNS0_20block_scan_algorithmE0ELj4294967295EEENS1_25partition_config_selectorILNS1_17partition_subalgoE4EjNS0_10empty_typeEbEEZZNS1_14partition_implILS8_4ELb0ES6_15HIP_vector_typeIjLj2EENS0_17counting_iteratorIjlEEPS9_SG_NS0_5tupleIJPjSI_NS0_16reverse_iteratorISI_EEEEENSH_IJSG_SG_SG_EEES9_SI_JZNS1_25segmented_radix_sort_implINS0_14default_configELb0EPKaPaPKlPlN2at6native12_GLOBAL__N_18offset_tEEE10hipError_tPvRmT1_PNSt15iterator_traitsIS12_E10value_typeET2_T3_PNS13_IS18_E10value_typeET4_jRbjT5_S1E_jjP12ihipStream_tbEUljE_ZNSN_ISO_Lb0ESQ_SR_ST_SU_SY_EESZ_S10_S11_S12_S16_S17_S18_S1B_S1C_jS1D_jS1E_S1E_jjS1G_bEUljE0_EEESZ_S10_S11_S18_S1C_S1E_T6_T7_T9_mT8_S1G_bDpT10_ENKUlT_T0_E_clISt17integral_constantIbLb1EES1T_IbLb0EEEEDaS1P_S1Q_EUlS1P_E_NS1_11comp_targetILNS1_3genE8ELNS1_11target_archE1030ELNS1_3gpuE2ELNS1_3repE0EEENS1_30default_config_static_selectorELNS0_4arch9wavefront6targetE1EEEvS12_,@function
_ZN7rocprim17ROCPRIM_400000_NS6detail17trampoline_kernelINS0_13select_configILj256ELj13ELNS0_17block_load_methodE3ELS4_3ELS4_3ELNS0_20block_scan_algorithmE0ELj4294967295EEENS1_25partition_config_selectorILNS1_17partition_subalgoE4EjNS0_10empty_typeEbEEZZNS1_14partition_implILS8_4ELb0ES6_15HIP_vector_typeIjLj2EENS0_17counting_iteratorIjlEEPS9_SG_NS0_5tupleIJPjSI_NS0_16reverse_iteratorISI_EEEEENSH_IJSG_SG_SG_EEES9_SI_JZNS1_25segmented_radix_sort_implINS0_14default_configELb0EPKaPaPKlPlN2at6native12_GLOBAL__N_18offset_tEEE10hipError_tPvRmT1_PNSt15iterator_traitsIS12_E10value_typeET2_T3_PNS13_IS18_E10value_typeET4_jRbjT5_S1E_jjP12ihipStream_tbEUljE_ZNSN_ISO_Lb0ESQ_SR_ST_SU_SY_EESZ_S10_S11_S12_S16_S17_S18_S1B_S1C_jS1D_jS1E_S1E_jjS1G_bEUljE0_EEESZ_S10_S11_S18_S1C_S1E_T6_T7_T9_mT8_S1G_bDpT10_ENKUlT_T0_E_clISt17integral_constantIbLb1EES1T_IbLb0EEEEDaS1P_S1Q_EUlS1P_E_NS1_11comp_targetILNS1_3genE8ELNS1_11target_archE1030ELNS1_3gpuE2ELNS1_3repE0EEENS1_30default_config_static_selectorELNS0_4arch9wavefront6targetE1EEEvS12_: ; @_ZN7rocprim17ROCPRIM_400000_NS6detail17trampoline_kernelINS0_13select_configILj256ELj13ELNS0_17block_load_methodE3ELS4_3ELS4_3ELNS0_20block_scan_algorithmE0ELj4294967295EEENS1_25partition_config_selectorILNS1_17partition_subalgoE4EjNS0_10empty_typeEbEEZZNS1_14partition_implILS8_4ELb0ES6_15HIP_vector_typeIjLj2EENS0_17counting_iteratorIjlEEPS9_SG_NS0_5tupleIJPjSI_NS0_16reverse_iteratorISI_EEEEENSH_IJSG_SG_SG_EEES9_SI_JZNS1_25segmented_radix_sort_implINS0_14default_configELb0EPKaPaPKlPlN2at6native12_GLOBAL__N_18offset_tEEE10hipError_tPvRmT1_PNSt15iterator_traitsIS12_E10value_typeET2_T3_PNS13_IS18_E10value_typeET4_jRbjT5_S1E_jjP12ihipStream_tbEUljE_ZNSN_ISO_Lb0ESQ_SR_ST_SU_SY_EESZ_S10_S11_S12_S16_S17_S18_S1B_S1C_jS1D_jS1E_S1E_jjS1G_bEUljE0_EEESZ_S10_S11_S18_S1C_S1E_T6_T7_T9_mT8_S1G_bDpT10_ENKUlT_T0_E_clISt17integral_constantIbLb1EES1T_IbLb0EEEEDaS1P_S1Q_EUlS1P_E_NS1_11comp_targetILNS1_3genE8ELNS1_11target_archE1030ELNS1_3gpuE2ELNS1_3repE0EEENS1_30default_config_static_selectorELNS0_4arch9wavefront6targetE1EEEvS12_
; %bb.0:
	.section	.rodata,"a",@progbits
	.p2align	6, 0x0
	.amdhsa_kernel _ZN7rocprim17ROCPRIM_400000_NS6detail17trampoline_kernelINS0_13select_configILj256ELj13ELNS0_17block_load_methodE3ELS4_3ELS4_3ELNS0_20block_scan_algorithmE0ELj4294967295EEENS1_25partition_config_selectorILNS1_17partition_subalgoE4EjNS0_10empty_typeEbEEZZNS1_14partition_implILS8_4ELb0ES6_15HIP_vector_typeIjLj2EENS0_17counting_iteratorIjlEEPS9_SG_NS0_5tupleIJPjSI_NS0_16reverse_iteratorISI_EEEEENSH_IJSG_SG_SG_EEES9_SI_JZNS1_25segmented_radix_sort_implINS0_14default_configELb0EPKaPaPKlPlN2at6native12_GLOBAL__N_18offset_tEEE10hipError_tPvRmT1_PNSt15iterator_traitsIS12_E10value_typeET2_T3_PNS13_IS18_E10value_typeET4_jRbjT5_S1E_jjP12ihipStream_tbEUljE_ZNSN_ISO_Lb0ESQ_SR_ST_SU_SY_EESZ_S10_S11_S12_S16_S17_S18_S1B_S1C_jS1D_jS1E_S1E_jjS1G_bEUljE0_EEESZ_S10_S11_S18_S1C_S1E_T6_T7_T9_mT8_S1G_bDpT10_ENKUlT_T0_E_clISt17integral_constantIbLb1EES1T_IbLb0EEEEDaS1P_S1Q_EUlS1P_E_NS1_11comp_targetILNS1_3genE8ELNS1_11target_archE1030ELNS1_3gpuE2ELNS1_3repE0EEENS1_30default_config_static_selectorELNS0_4arch9wavefront6targetE1EEEvS12_
		.amdhsa_group_segment_fixed_size 0
		.amdhsa_private_segment_fixed_size 0
		.amdhsa_kernarg_size 176
		.amdhsa_user_sgpr_count 6
		.amdhsa_user_sgpr_private_segment_buffer 1
		.amdhsa_user_sgpr_dispatch_ptr 0
		.amdhsa_user_sgpr_queue_ptr 0
		.amdhsa_user_sgpr_kernarg_segment_ptr 1
		.amdhsa_user_sgpr_dispatch_id 0
		.amdhsa_user_sgpr_flat_scratch_init 0
		.amdhsa_user_sgpr_kernarg_preload_length 0
		.amdhsa_user_sgpr_kernarg_preload_offset 0
		.amdhsa_user_sgpr_private_segment_size 0
		.amdhsa_uses_dynamic_stack 0
		.amdhsa_system_sgpr_private_segment_wavefront_offset 0
		.amdhsa_system_sgpr_workgroup_id_x 1
		.amdhsa_system_sgpr_workgroup_id_y 0
		.amdhsa_system_sgpr_workgroup_id_z 0
		.amdhsa_system_sgpr_workgroup_info 0
		.amdhsa_system_vgpr_workitem_id 0
		.amdhsa_next_free_vgpr 1
		.amdhsa_next_free_sgpr 0
		.amdhsa_accum_offset 4
		.amdhsa_reserve_vcc 0
		.amdhsa_reserve_flat_scratch 0
		.amdhsa_float_round_mode_32 0
		.amdhsa_float_round_mode_16_64 0
		.amdhsa_float_denorm_mode_32 3
		.amdhsa_float_denorm_mode_16_64 3
		.amdhsa_dx10_clamp 1
		.amdhsa_ieee_mode 1
		.amdhsa_fp16_overflow 0
		.amdhsa_tg_split 0
		.amdhsa_exception_fp_ieee_invalid_op 0
		.amdhsa_exception_fp_denorm_src 0
		.amdhsa_exception_fp_ieee_div_zero 0
		.amdhsa_exception_fp_ieee_overflow 0
		.amdhsa_exception_fp_ieee_underflow 0
		.amdhsa_exception_fp_ieee_inexact 0
		.amdhsa_exception_int_div_zero 0
	.end_amdhsa_kernel
	.section	.text._ZN7rocprim17ROCPRIM_400000_NS6detail17trampoline_kernelINS0_13select_configILj256ELj13ELNS0_17block_load_methodE3ELS4_3ELS4_3ELNS0_20block_scan_algorithmE0ELj4294967295EEENS1_25partition_config_selectorILNS1_17partition_subalgoE4EjNS0_10empty_typeEbEEZZNS1_14partition_implILS8_4ELb0ES6_15HIP_vector_typeIjLj2EENS0_17counting_iteratorIjlEEPS9_SG_NS0_5tupleIJPjSI_NS0_16reverse_iteratorISI_EEEEENSH_IJSG_SG_SG_EEES9_SI_JZNS1_25segmented_radix_sort_implINS0_14default_configELb0EPKaPaPKlPlN2at6native12_GLOBAL__N_18offset_tEEE10hipError_tPvRmT1_PNSt15iterator_traitsIS12_E10value_typeET2_T3_PNS13_IS18_E10value_typeET4_jRbjT5_S1E_jjP12ihipStream_tbEUljE_ZNSN_ISO_Lb0ESQ_SR_ST_SU_SY_EESZ_S10_S11_S12_S16_S17_S18_S1B_S1C_jS1D_jS1E_S1E_jjS1G_bEUljE0_EEESZ_S10_S11_S18_S1C_S1E_T6_T7_T9_mT8_S1G_bDpT10_ENKUlT_T0_E_clISt17integral_constantIbLb1EES1T_IbLb0EEEEDaS1P_S1Q_EUlS1P_E_NS1_11comp_targetILNS1_3genE8ELNS1_11target_archE1030ELNS1_3gpuE2ELNS1_3repE0EEENS1_30default_config_static_selectorELNS0_4arch9wavefront6targetE1EEEvS12_,"axG",@progbits,_ZN7rocprim17ROCPRIM_400000_NS6detail17trampoline_kernelINS0_13select_configILj256ELj13ELNS0_17block_load_methodE3ELS4_3ELS4_3ELNS0_20block_scan_algorithmE0ELj4294967295EEENS1_25partition_config_selectorILNS1_17partition_subalgoE4EjNS0_10empty_typeEbEEZZNS1_14partition_implILS8_4ELb0ES6_15HIP_vector_typeIjLj2EENS0_17counting_iteratorIjlEEPS9_SG_NS0_5tupleIJPjSI_NS0_16reverse_iteratorISI_EEEEENSH_IJSG_SG_SG_EEES9_SI_JZNS1_25segmented_radix_sort_implINS0_14default_configELb0EPKaPaPKlPlN2at6native12_GLOBAL__N_18offset_tEEE10hipError_tPvRmT1_PNSt15iterator_traitsIS12_E10value_typeET2_T3_PNS13_IS18_E10value_typeET4_jRbjT5_S1E_jjP12ihipStream_tbEUljE_ZNSN_ISO_Lb0ESQ_SR_ST_SU_SY_EESZ_S10_S11_S12_S16_S17_S18_S1B_S1C_jS1D_jS1E_S1E_jjS1G_bEUljE0_EEESZ_S10_S11_S18_S1C_S1E_T6_T7_T9_mT8_S1G_bDpT10_ENKUlT_T0_E_clISt17integral_constantIbLb1EES1T_IbLb0EEEEDaS1P_S1Q_EUlS1P_E_NS1_11comp_targetILNS1_3genE8ELNS1_11target_archE1030ELNS1_3gpuE2ELNS1_3repE0EEENS1_30default_config_static_selectorELNS0_4arch9wavefront6targetE1EEEvS12_,comdat
.Lfunc_end352:
	.size	_ZN7rocprim17ROCPRIM_400000_NS6detail17trampoline_kernelINS0_13select_configILj256ELj13ELNS0_17block_load_methodE3ELS4_3ELS4_3ELNS0_20block_scan_algorithmE0ELj4294967295EEENS1_25partition_config_selectorILNS1_17partition_subalgoE4EjNS0_10empty_typeEbEEZZNS1_14partition_implILS8_4ELb0ES6_15HIP_vector_typeIjLj2EENS0_17counting_iteratorIjlEEPS9_SG_NS0_5tupleIJPjSI_NS0_16reverse_iteratorISI_EEEEENSH_IJSG_SG_SG_EEES9_SI_JZNS1_25segmented_radix_sort_implINS0_14default_configELb0EPKaPaPKlPlN2at6native12_GLOBAL__N_18offset_tEEE10hipError_tPvRmT1_PNSt15iterator_traitsIS12_E10value_typeET2_T3_PNS13_IS18_E10value_typeET4_jRbjT5_S1E_jjP12ihipStream_tbEUljE_ZNSN_ISO_Lb0ESQ_SR_ST_SU_SY_EESZ_S10_S11_S12_S16_S17_S18_S1B_S1C_jS1D_jS1E_S1E_jjS1G_bEUljE0_EEESZ_S10_S11_S18_S1C_S1E_T6_T7_T9_mT8_S1G_bDpT10_ENKUlT_T0_E_clISt17integral_constantIbLb1EES1T_IbLb0EEEEDaS1P_S1Q_EUlS1P_E_NS1_11comp_targetILNS1_3genE8ELNS1_11target_archE1030ELNS1_3gpuE2ELNS1_3repE0EEENS1_30default_config_static_selectorELNS0_4arch9wavefront6targetE1EEEvS12_, .Lfunc_end352-_ZN7rocprim17ROCPRIM_400000_NS6detail17trampoline_kernelINS0_13select_configILj256ELj13ELNS0_17block_load_methodE3ELS4_3ELS4_3ELNS0_20block_scan_algorithmE0ELj4294967295EEENS1_25partition_config_selectorILNS1_17partition_subalgoE4EjNS0_10empty_typeEbEEZZNS1_14partition_implILS8_4ELb0ES6_15HIP_vector_typeIjLj2EENS0_17counting_iteratorIjlEEPS9_SG_NS0_5tupleIJPjSI_NS0_16reverse_iteratorISI_EEEEENSH_IJSG_SG_SG_EEES9_SI_JZNS1_25segmented_radix_sort_implINS0_14default_configELb0EPKaPaPKlPlN2at6native12_GLOBAL__N_18offset_tEEE10hipError_tPvRmT1_PNSt15iterator_traitsIS12_E10value_typeET2_T3_PNS13_IS18_E10value_typeET4_jRbjT5_S1E_jjP12ihipStream_tbEUljE_ZNSN_ISO_Lb0ESQ_SR_ST_SU_SY_EESZ_S10_S11_S12_S16_S17_S18_S1B_S1C_jS1D_jS1E_S1E_jjS1G_bEUljE0_EEESZ_S10_S11_S18_S1C_S1E_T6_T7_T9_mT8_S1G_bDpT10_ENKUlT_T0_E_clISt17integral_constantIbLb1EES1T_IbLb0EEEEDaS1P_S1Q_EUlS1P_E_NS1_11comp_targetILNS1_3genE8ELNS1_11target_archE1030ELNS1_3gpuE2ELNS1_3repE0EEENS1_30default_config_static_selectorELNS0_4arch9wavefront6targetE1EEEvS12_
                                        ; -- End function
	.section	.AMDGPU.csdata,"",@progbits
; Kernel info:
; codeLenInByte = 0
; NumSgprs: 4
; NumVgprs: 0
; NumAgprs: 0
; TotalNumVgprs: 0
; ScratchSize: 0
; MemoryBound: 0
; FloatMode: 240
; IeeeMode: 1
; LDSByteSize: 0 bytes/workgroup (compile time only)
; SGPRBlocks: 0
; VGPRBlocks: 0
; NumSGPRsForWavesPerEU: 4
; NumVGPRsForWavesPerEU: 1
; AccumOffset: 4
; Occupancy: 8
; WaveLimiterHint : 0
; COMPUTE_PGM_RSRC2:SCRATCH_EN: 0
; COMPUTE_PGM_RSRC2:USER_SGPR: 6
; COMPUTE_PGM_RSRC2:TRAP_HANDLER: 0
; COMPUTE_PGM_RSRC2:TGID_X_EN: 1
; COMPUTE_PGM_RSRC2:TGID_Y_EN: 0
; COMPUTE_PGM_RSRC2:TGID_Z_EN: 0
; COMPUTE_PGM_RSRC2:TIDIG_COMP_CNT: 0
; COMPUTE_PGM_RSRC3_GFX90A:ACCUM_OFFSET: 0
; COMPUTE_PGM_RSRC3_GFX90A:TG_SPLIT: 0
	.section	.text._ZN7rocprim17ROCPRIM_400000_NS6detail17trampoline_kernelINS0_13select_configILj256ELj13ELNS0_17block_load_methodE3ELS4_3ELS4_3ELNS0_20block_scan_algorithmE0ELj4294967295EEENS1_25partition_config_selectorILNS1_17partition_subalgoE4EjNS0_10empty_typeEbEEZZNS1_14partition_implILS8_4ELb0ES6_15HIP_vector_typeIjLj2EENS0_17counting_iteratorIjlEEPS9_SG_NS0_5tupleIJPjSI_NS0_16reverse_iteratorISI_EEEEENSH_IJSG_SG_SG_EEES9_SI_JZNS1_25segmented_radix_sort_implINS0_14default_configELb0EPKaPaPKlPlN2at6native12_GLOBAL__N_18offset_tEEE10hipError_tPvRmT1_PNSt15iterator_traitsIS12_E10value_typeET2_T3_PNS13_IS18_E10value_typeET4_jRbjT5_S1E_jjP12ihipStream_tbEUljE_ZNSN_ISO_Lb0ESQ_SR_ST_SU_SY_EESZ_S10_S11_S12_S16_S17_S18_S1B_S1C_jS1D_jS1E_S1E_jjS1G_bEUljE0_EEESZ_S10_S11_S18_S1C_S1E_T6_T7_T9_mT8_S1G_bDpT10_ENKUlT_T0_E_clISt17integral_constantIbLb0EES1T_IbLb1EEEEDaS1P_S1Q_EUlS1P_E_NS1_11comp_targetILNS1_3genE0ELNS1_11target_archE4294967295ELNS1_3gpuE0ELNS1_3repE0EEENS1_30default_config_static_selectorELNS0_4arch9wavefront6targetE1EEEvS12_,"axG",@progbits,_ZN7rocprim17ROCPRIM_400000_NS6detail17trampoline_kernelINS0_13select_configILj256ELj13ELNS0_17block_load_methodE3ELS4_3ELS4_3ELNS0_20block_scan_algorithmE0ELj4294967295EEENS1_25partition_config_selectorILNS1_17partition_subalgoE4EjNS0_10empty_typeEbEEZZNS1_14partition_implILS8_4ELb0ES6_15HIP_vector_typeIjLj2EENS0_17counting_iteratorIjlEEPS9_SG_NS0_5tupleIJPjSI_NS0_16reverse_iteratorISI_EEEEENSH_IJSG_SG_SG_EEES9_SI_JZNS1_25segmented_radix_sort_implINS0_14default_configELb0EPKaPaPKlPlN2at6native12_GLOBAL__N_18offset_tEEE10hipError_tPvRmT1_PNSt15iterator_traitsIS12_E10value_typeET2_T3_PNS13_IS18_E10value_typeET4_jRbjT5_S1E_jjP12ihipStream_tbEUljE_ZNSN_ISO_Lb0ESQ_SR_ST_SU_SY_EESZ_S10_S11_S12_S16_S17_S18_S1B_S1C_jS1D_jS1E_S1E_jjS1G_bEUljE0_EEESZ_S10_S11_S18_S1C_S1E_T6_T7_T9_mT8_S1G_bDpT10_ENKUlT_T0_E_clISt17integral_constantIbLb0EES1T_IbLb1EEEEDaS1P_S1Q_EUlS1P_E_NS1_11comp_targetILNS1_3genE0ELNS1_11target_archE4294967295ELNS1_3gpuE0ELNS1_3repE0EEENS1_30default_config_static_selectorELNS0_4arch9wavefront6targetE1EEEvS12_,comdat
	.globl	_ZN7rocprim17ROCPRIM_400000_NS6detail17trampoline_kernelINS0_13select_configILj256ELj13ELNS0_17block_load_methodE3ELS4_3ELS4_3ELNS0_20block_scan_algorithmE0ELj4294967295EEENS1_25partition_config_selectorILNS1_17partition_subalgoE4EjNS0_10empty_typeEbEEZZNS1_14partition_implILS8_4ELb0ES6_15HIP_vector_typeIjLj2EENS0_17counting_iteratorIjlEEPS9_SG_NS0_5tupleIJPjSI_NS0_16reverse_iteratorISI_EEEEENSH_IJSG_SG_SG_EEES9_SI_JZNS1_25segmented_radix_sort_implINS0_14default_configELb0EPKaPaPKlPlN2at6native12_GLOBAL__N_18offset_tEEE10hipError_tPvRmT1_PNSt15iterator_traitsIS12_E10value_typeET2_T3_PNS13_IS18_E10value_typeET4_jRbjT5_S1E_jjP12ihipStream_tbEUljE_ZNSN_ISO_Lb0ESQ_SR_ST_SU_SY_EESZ_S10_S11_S12_S16_S17_S18_S1B_S1C_jS1D_jS1E_S1E_jjS1G_bEUljE0_EEESZ_S10_S11_S18_S1C_S1E_T6_T7_T9_mT8_S1G_bDpT10_ENKUlT_T0_E_clISt17integral_constantIbLb0EES1T_IbLb1EEEEDaS1P_S1Q_EUlS1P_E_NS1_11comp_targetILNS1_3genE0ELNS1_11target_archE4294967295ELNS1_3gpuE0ELNS1_3repE0EEENS1_30default_config_static_selectorELNS0_4arch9wavefront6targetE1EEEvS12_ ; -- Begin function _ZN7rocprim17ROCPRIM_400000_NS6detail17trampoline_kernelINS0_13select_configILj256ELj13ELNS0_17block_load_methodE3ELS4_3ELS4_3ELNS0_20block_scan_algorithmE0ELj4294967295EEENS1_25partition_config_selectorILNS1_17partition_subalgoE4EjNS0_10empty_typeEbEEZZNS1_14partition_implILS8_4ELb0ES6_15HIP_vector_typeIjLj2EENS0_17counting_iteratorIjlEEPS9_SG_NS0_5tupleIJPjSI_NS0_16reverse_iteratorISI_EEEEENSH_IJSG_SG_SG_EEES9_SI_JZNS1_25segmented_radix_sort_implINS0_14default_configELb0EPKaPaPKlPlN2at6native12_GLOBAL__N_18offset_tEEE10hipError_tPvRmT1_PNSt15iterator_traitsIS12_E10value_typeET2_T3_PNS13_IS18_E10value_typeET4_jRbjT5_S1E_jjP12ihipStream_tbEUljE_ZNSN_ISO_Lb0ESQ_SR_ST_SU_SY_EESZ_S10_S11_S12_S16_S17_S18_S1B_S1C_jS1D_jS1E_S1E_jjS1G_bEUljE0_EEESZ_S10_S11_S18_S1C_S1E_T6_T7_T9_mT8_S1G_bDpT10_ENKUlT_T0_E_clISt17integral_constantIbLb0EES1T_IbLb1EEEEDaS1P_S1Q_EUlS1P_E_NS1_11comp_targetILNS1_3genE0ELNS1_11target_archE4294967295ELNS1_3gpuE0ELNS1_3repE0EEENS1_30default_config_static_selectorELNS0_4arch9wavefront6targetE1EEEvS12_
	.p2align	8
	.type	_ZN7rocprim17ROCPRIM_400000_NS6detail17trampoline_kernelINS0_13select_configILj256ELj13ELNS0_17block_load_methodE3ELS4_3ELS4_3ELNS0_20block_scan_algorithmE0ELj4294967295EEENS1_25partition_config_selectorILNS1_17partition_subalgoE4EjNS0_10empty_typeEbEEZZNS1_14partition_implILS8_4ELb0ES6_15HIP_vector_typeIjLj2EENS0_17counting_iteratorIjlEEPS9_SG_NS0_5tupleIJPjSI_NS0_16reverse_iteratorISI_EEEEENSH_IJSG_SG_SG_EEES9_SI_JZNS1_25segmented_radix_sort_implINS0_14default_configELb0EPKaPaPKlPlN2at6native12_GLOBAL__N_18offset_tEEE10hipError_tPvRmT1_PNSt15iterator_traitsIS12_E10value_typeET2_T3_PNS13_IS18_E10value_typeET4_jRbjT5_S1E_jjP12ihipStream_tbEUljE_ZNSN_ISO_Lb0ESQ_SR_ST_SU_SY_EESZ_S10_S11_S12_S16_S17_S18_S1B_S1C_jS1D_jS1E_S1E_jjS1G_bEUljE0_EEESZ_S10_S11_S18_S1C_S1E_T6_T7_T9_mT8_S1G_bDpT10_ENKUlT_T0_E_clISt17integral_constantIbLb0EES1T_IbLb1EEEEDaS1P_S1Q_EUlS1P_E_NS1_11comp_targetILNS1_3genE0ELNS1_11target_archE4294967295ELNS1_3gpuE0ELNS1_3repE0EEENS1_30default_config_static_selectorELNS0_4arch9wavefront6targetE1EEEvS12_,@function
_ZN7rocprim17ROCPRIM_400000_NS6detail17trampoline_kernelINS0_13select_configILj256ELj13ELNS0_17block_load_methodE3ELS4_3ELS4_3ELNS0_20block_scan_algorithmE0ELj4294967295EEENS1_25partition_config_selectorILNS1_17partition_subalgoE4EjNS0_10empty_typeEbEEZZNS1_14partition_implILS8_4ELb0ES6_15HIP_vector_typeIjLj2EENS0_17counting_iteratorIjlEEPS9_SG_NS0_5tupleIJPjSI_NS0_16reverse_iteratorISI_EEEEENSH_IJSG_SG_SG_EEES9_SI_JZNS1_25segmented_radix_sort_implINS0_14default_configELb0EPKaPaPKlPlN2at6native12_GLOBAL__N_18offset_tEEE10hipError_tPvRmT1_PNSt15iterator_traitsIS12_E10value_typeET2_T3_PNS13_IS18_E10value_typeET4_jRbjT5_S1E_jjP12ihipStream_tbEUljE_ZNSN_ISO_Lb0ESQ_SR_ST_SU_SY_EESZ_S10_S11_S12_S16_S17_S18_S1B_S1C_jS1D_jS1E_S1E_jjS1G_bEUljE0_EEESZ_S10_S11_S18_S1C_S1E_T6_T7_T9_mT8_S1G_bDpT10_ENKUlT_T0_E_clISt17integral_constantIbLb0EES1T_IbLb1EEEEDaS1P_S1Q_EUlS1P_E_NS1_11comp_targetILNS1_3genE0ELNS1_11target_archE4294967295ELNS1_3gpuE0ELNS1_3repE0EEENS1_30default_config_static_selectorELNS0_4arch9wavefront6targetE1EEEvS12_: ; @_ZN7rocprim17ROCPRIM_400000_NS6detail17trampoline_kernelINS0_13select_configILj256ELj13ELNS0_17block_load_methodE3ELS4_3ELS4_3ELNS0_20block_scan_algorithmE0ELj4294967295EEENS1_25partition_config_selectorILNS1_17partition_subalgoE4EjNS0_10empty_typeEbEEZZNS1_14partition_implILS8_4ELb0ES6_15HIP_vector_typeIjLj2EENS0_17counting_iteratorIjlEEPS9_SG_NS0_5tupleIJPjSI_NS0_16reverse_iteratorISI_EEEEENSH_IJSG_SG_SG_EEES9_SI_JZNS1_25segmented_radix_sort_implINS0_14default_configELb0EPKaPaPKlPlN2at6native12_GLOBAL__N_18offset_tEEE10hipError_tPvRmT1_PNSt15iterator_traitsIS12_E10value_typeET2_T3_PNS13_IS18_E10value_typeET4_jRbjT5_S1E_jjP12ihipStream_tbEUljE_ZNSN_ISO_Lb0ESQ_SR_ST_SU_SY_EESZ_S10_S11_S12_S16_S17_S18_S1B_S1C_jS1D_jS1E_S1E_jjS1G_bEUljE0_EEESZ_S10_S11_S18_S1C_S1E_T6_T7_T9_mT8_S1G_bDpT10_ENKUlT_T0_E_clISt17integral_constantIbLb0EES1T_IbLb1EEEEDaS1P_S1Q_EUlS1P_E_NS1_11comp_targetILNS1_3genE0ELNS1_11target_archE4294967295ELNS1_3gpuE0ELNS1_3repE0EEENS1_30default_config_static_selectorELNS0_4arch9wavefront6targetE1EEEvS12_
; %bb.0:
	.section	.rodata,"a",@progbits
	.p2align	6, 0x0
	.amdhsa_kernel _ZN7rocprim17ROCPRIM_400000_NS6detail17trampoline_kernelINS0_13select_configILj256ELj13ELNS0_17block_load_methodE3ELS4_3ELS4_3ELNS0_20block_scan_algorithmE0ELj4294967295EEENS1_25partition_config_selectorILNS1_17partition_subalgoE4EjNS0_10empty_typeEbEEZZNS1_14partition_implILS8_4ELb0ES6_15HIP_vector_typeIjLj2EENS0_17counting_iteratorIjlEEPS9_SG_NS0_5tupleIJPjSI_NS0_16reverse_iteratorISI_EEEEENSH_IJSG_SG_SG_EEES9_SI_JZNS1_25segmented_radix_sort_implINS0_14default_configELb0EPKaPaPKlPlN2at6native12_GLOBAL__N_18offset_tEEE10hipError_tPvRmT1_PNSt15iterator_traitsIS12_E10value_typeET2_T3_PNS13_IS18_E10value_typeET4_jRbjT5_S1E_jjP12ihipStream_tbEUljE_ZNSN_ISO_Lb0ESQ_SR_ST_SU_SY_EESZ_S10_S11_S12_S16_S17_S18_S1B_S1C_jS1D_jS1E_S1E_jjS1G_bEUljE0_EEESZ_S10_S11_S18_S1C_S1E_T6_T7_T9_mT8_S1G_bDpT10_ENKUlT_T0_E_clISt17integral_constantIbLb0EES1T_IbLb1EEEEDaS1P_S1Q_EUlS1P_E_NS1_11comp_targetILNS1_3genE0ELNS1_11target_archE4294967295ELNS1_3gpuE0ELNS1_3repE0EEENS1_30default_config_static_selectorELNS0_4arch9wavefront6targetE1EEEvS12_
		.amdhsa_group_segment_fixed_size 0
		.amdhsa_private_segment_fixed_size 0
		.amdhsa_kernarg_size 184
		.amdhsa_user_sgpr_count 6
		.amdhsa_user_sgpr_private_segment_buffer 1
		.amdhsa_user_sgpr_dispatch_ptr 0
		.amdhsa_user_sgpr_queue_ptr 0
		.amdhsa_user_sgpr_kernarg_segment_ptr 1
		.amdhsa_user_sgpr_dispatch_id 0
		.amdhsa_user_sgpr_flat_scratch_init 0
		.amdhsa_user_sgpr_kernarg_preload_length 0
		.amdhsa_user_sgpr_kernarg_preload_offset 0
		.amdhsa_user_sgpr_private_segment_size 0
		.amdhsa_uses_dynamic_stack 0
		.amdhsa_system_sgpr_private_segment_wavefront_offset 0
		.amdhsa_system_sgpr_workgroup_id_x 1
		.amdhsa_system_sgpr_workgroup_id_y 0
		.amdhsa_system_sgpr_workgroup_id_z 0
		.amdhsa_system_sgpr_workgroup_info 0
		.amdhsa_system_vgpr_workitem_id 0
		.amdhsa_next_free_vgpr 1
		.amdhsa_next_free_sgpr 0
		.amdhsa_accum_offset 4
		.amdhsa_reserve_vcc 0
		.amdhsa_reserve_flat_scratch 0
		.amdhsa_float_round_mode_32 0
		.amdhsa_float_round_mode_16_64 0
		.amdhsa_float_denorm_mode_32 3
		.amdhsa_float_denorm_mode_16_64 3
		.amdhsa_dx10_clamp 1
		.amdhsa_ieee_mode 1
		.amdhsa_fp16_overflow 0
		.amdhsa_tg_split 0
		.amdhsa_exception_fp_ieee_invalid_op 0
		.amdhsa_exception_fp_denorm_src 0
		.amdhsa_exception_fp_ieee_div_zero 0
		.amdhsa_exception_fp_ieee_overflow 0
		.amdhsa_exception_fp_ieee_underflow 0
		.amdhsa_exception_fp_ieee_inexact 0
		.amdhsa_exception_int_div_zero 0
	.end_amdhsa_kernel
	.section	.text._ZN7rocprim17ROCPRIM_400000_NS6detail17trampoline_kernelINS0_13select_configILj256ELj13ELNS0_17block_load_methodE3ELS4_3ELS4_3ELNS0_20block_scan_algorithmE0ELj4294967295EEENS1_25partition_config_selectorILNS1_17partition_subalgoE4EjNS0_10empty_typeEbEEZZNS1_14partition_implILS8_4ELb0ES6_15HIP_vector_typeIjLj2EENS0_17counting_iteratorIjlEEPS9_SG_NS0_5tupleIJPjSI_NS0_16reverse_iteratorISI_EEEEENSH_IJSG_SG_SG_EEES9_SI_JZNS1_25segmented_radix_sort_implINS0_14default_configELb0EPKaPaPKlPlN2at6native12_GLOBAL__N_18offset_tEEE10hipError_tPvRmT1_PNSt15iterator_traitsIS12_E10value_typeET2_T3_PNS13_IS18_E10value_typeET4_jRbjT5_S1E_jjP12ihipStream_tbEUljE_ZNSN_ISO_Lb0ESQ_SR_ST_SU_SY_EESZ_S10_S11_S12_S16_S17_S18_S1B_S1C_jS1D_jS1E_S1E_jjS1G_bEUljE0_EEESZ_S10_S11_S18_S1C_S1E_T6_T7_T9_mT8_S1G_bDpT10_ENKUlT_T0_E_clISt17integral_constantIbLb0EES1T_IbLb1EEEEDaS1P_S1Q_EUlS1P_E_NS1_11comp_targetILNS1_3genE0ELNS1_11target_archE4294967295ELNS1_3gpuE0ELNS1_3repE0EEENS1_30default_config_static_selectorELNS0_4arch9wavefront6targetE1EEEvS12_,"axG",@progbits,_ZN7rocprim17ROCPRIM_400000_NS6detail17trampoline_kernelINS0_13select_configILj256ELj13ELNS0_17block_load_methodE3ELS4_3ELS4_3ELNS0_20block_scan_algorithmE0ELj4294967295EEENS1_25partition_config_selectorILNS1_17partition_subalgoE4EjNS0_10empty_typeEbEEZZNS1_14partition_implILS8_4ELb0ES6_15HIP_vector_typeIjLj2EENS0_17counting_iteratorIjlEEPS9_SG_NS0_5tupleIJPjSI_NS0_16reverse_iteratorISI_EEEEENSH_IJSG_SG_SG_EEES9_SI_JZNS1_25segmented_radix_sort_implINS0_14default_configELb0EPKaPaPKlPlN2at6native12_GLOBAL__N_18offset_tEEE10hipError_tPvRmT1_PNSt15iterator_traitsIS12_E10value_typeET2_T3_PNS13_IS18_E10value_typeET4_jRbjT5_S1E_jjP12ihipStream_tbEUljE_ZNSN_ISO_Lb0ESQ_SR_ST_SU_SY_EESZ_S10_S11_S12_S16_S17_S18_S1B_S1C_jS1D_jS1E_S1E_jjS1G_bEUljE0_EEESZ_S10_S11_S18_S1C_S1E_T6_T7_T9_mT8_S1G_bDpT10_ENKUlT_T0_E_clISt17integral_constantIbLb0EES1T_IbLb1EEEEDaS1P_S1Q_EUlS1P_E_NS1_11comp_targetILNS1_3genE0ELNS1_11target_archE4294967295ELNS1_3gpuE0ELNS1_3repE0EEENS1_30default_config_static_selectorELNS0_4arch9wavefront6targetE1EEEvS12_,comdat
.Lfunc_end353:
	.size	_ZN7rocprim17ROCPRIM_400000_NS6detail17trampoline_kernelINS0_13select_configILj256ELj13ELNS0_17block_load_methodE3ELS4_3ELS4_3ELNS0_20block_scan_algorithmE0ELj4294967295EEENS1_25partition_config_selectorILNS1_17partition_subalgoE4EjNS0_10empty_typeEbEEZZNS1_14partition_implILS8_4ELb0ES6_15HIP_vector_typeIjLj2EENS0_17counting_iteratorIjlEEPS9_SG_NS0_5tupleIJPjSI_NS0_16reverse_iteratorISI_EEEEENSH_IJSG_SG_SG_EEES9_SI_JZNS1_25segmented_radix_sort_implINS0_14default_configELb0EPKaPaPKlPlN2at6native12_GLOBAL__N_18offset_tEEE10hipError_tPvRmT1_PNSt15iterator_traitsIS12_E10value_typeET2_T3_PNS13_IS18_E10value_typeET4_jRbjT5_S1E_jjP12ihipStream_tbEUljE_ZNSN_ISO_Lb0ESQ_SR_ST_SU_SY_EESZ_S10_S11_S12_S16_S17_S18_S1B_S1C_jS1D_jS1E_S1E_jjS1G_bEUljE0_EEESZ_S10_S11_S18_S1C_S1E_T6_T7_T9_mT8_S1G_bDpT10_ENKUlT_T0_E_clISt17integral_constantIbLb0EES1T_IbLb1EEEEDaS1P_S1Q_EUlS1P_E_NS1_11comp_targetILNS1_3genE0ELNS1_11target_archE4294967295ELNS1_3gpuE0ELNS1_3repE0EEENS1_30default_config_static_selectorELNS0_4arch9wavefront6targetE1EEEvS12_, .Lfunc_end353-_ZN7rocprim17ROCPRIM_400000_NS6detail17trampoline_kernelINS0_13select_configILj256ELj13ELNS0_17block_load_methodE3ELS4_3ELS4_3ELNS0_20block_scan_algorithmE0ELj4294967295EEENS1_25partition_config_selectorILNS1_17partition_subalgoE4EjNS0_10empty_typeEbEEZZNS1_14partition_implILS8_4ELb0ES6_15HIP_vector_typeIjLj2EENS0_17counting_iteratorIjlEEPS9_SG_NS0_5tupleIJPjSI_NS0_16reverse_iteratorISI_EEEEENSH_IJSG_SG_SG_EEES9_SI_JZNS1_25segmented_radix_sort_implINS0_14default_configELb0EPKaPaPKlPlN2at6native12_GLOBAL__N_18offset_tEEE10hipError_tPvRmT1_PNSt15iterator_traitsIS12_E10value_typeET2_T3_PNS13_IS18_E10value_typeET4_jRbjT5_S1E_jjP12ihipStream_tbEUljE_ZNSN_ISO_Lb0ESQ_SR_ST_SU_SY_EESZ_S10_S11_S12_S16_S17_S18_S1B_S1C_jS1D_jS1E_S1E_jjS1G_bEUljE0_EEESZ_S10_S11_S18_S1C_S1E_T6_T7_T9_mT8_S1G_bDpT10_ENKUlT_T0_E_clISt17integral_constantIbLb0EES1T_IbLb1EEEEDaS1P_S1Q_EUlS1P_E_NS1_11comp_targetILNS1_3genE0ELNS1_11target_archE4294967295ELNS1_3gpuE0ELNS1_3repE0EEENS1_30default_config_static_selectorELNS0_4arch9wavefront6targetE1EEEvS12_
                                        ; -- End function
	.section	.AMDGPU.csdata,"",@progbits
; Kernel info:
; codeLenInByte = 0
; NumSgprs: 4
; NumVgprs: 0
; NumAgprs: 0
; TotalNumVgprs: 0
; ScratchSize: 0
; MemoryBound: 0
; FloatMode: 240
; IeeeMode: 1
; LDSByteSize: 0 bytes/workgroup (compile time only)
; SGPRBlocks: 0
; VGPRBlocks: 0
; NumSGPRsForWavesPerEU: 4
; NumVGPRsForWavesPerEU: 1
; AccumOffset: 4
; Occupancy: 8
; WaveLimiterHint : 0
; COMPUTE_PGM_RSRC2:SCRATCH_EN: 0
; COMPUTE_PGM_RSRC2:USER_SGPR: 6
; COMPUTE_PGM_RSRC2:TRAP_HANDLER: 0
; COMPUTE_PGM_RSRC2:TGID_X_EN: 1
; COMPUTE_PGM_RSRC2:TGID_Y_EN: 0
; COMPUTE_PGM_RSRC2:TGID_Z_EN: 0
; COMPUTE_PGM_RSRC2:TIDIG_COMP_CNT: 0
; COMPUTE_PGM_RSRC3_GFX90A:ACCUM_OFFSET: 0
; COMPUTE_PGM_RSRC3_GFX90A:TG_SPLIT: 0
	.section	.text._ZN7rocprim17ROCPRIM_400000_NS6detail17trampoline_kernelINS0_13select_configILj256ELj13ELNS0_17block_load_methodE3ELS4_3ELS4_3ELNS0_20block_scan_algorithmE0ELj4294967295EEENS1_25partition_config_selectorILNS1_17partition_subalgoE4EjNS0_10empty_typeEbEEZZNS1_14partition_implILS8_4ELb0ES6_15HIP_vector_typeIjLj2EENS0_17counting_iteratorIjlEEPS9_SG_NS0_5tupleIJPjSI_NS0_16reverse_iteratorISI_EEEEENSH_IJSG_SG_SG_EEES9_SI_JZNS1_25segmented_radix_sort_implINS0_14default_configELb0EPKaPaPKlPlN2at6native12_GLOBAL__N_18offset_tEEE10hipError_tPvRmT1_PNSt15iterator_traitsIS12_E10value_typeET2_T3_PNS13_IS18_E10value_typeET4_jRbjT5_S1E_jjP12ihipStream_tbEUljE_ZNSN_ISO_Lb0ESQ_SR_ST_SU_SY_EESZ_S10_S11_S12_S16_S17_S18_S1B_S1C_jS1D_jS1E_S1E_jjS1G_bEUljE0_EEESZ_S10_S11_S18_S1C_S1E_T6_T7_T9_mT8_S1G_bDpT10_ENKUlT_T0_E_clISt17integral_constantIbLb0EES1T_IbLb1EEEEDaS1P_S1Q_EUlS1P_E_NS1_11comp_targetILNS1_3genE5ELNS1_11target_archE942ELNS1_3gpuE9ELNS1_3repE0EEENS1_30default_config_static_selectorELNS0_4arch9wavefront6targetE1EEEvS12_,"axG",@progbits,_ZN7rocprim17ROCPRIM_400000_NS6detail17trampoline_kernelINS0_13select_configILj256ELj13ELNS0_17block_load_methodE3ELS4_3ELS4_3ELNS0_20block_scan_algorithmE0ELj4294967295EEENS1_25partition_config_selectorILNS1_17partition_subalgoE4EjNS0_10empty_typeEbEEZZNS1_14partition_implILS8_4ELb0ES6_15HIP_vector_typeIjLj2EENS0_17counting_iteratorIjlEEPS9_SG_NS0_5tupleIJPjSI_NS0_16reverse_iteratorISI_EEEEENSH_IJSG_SG_SG_EEES9_SI_JZNS1_25segmented_radix_sort_implINS0_14default_configELb0EPKaPaPKlPlN2at6native12_GLOBAL__N_18offset_tEEE10hipError_tPvRmT1_PNSt15iterator_traitsIS12_E10value_typeET2_T3_PNS13_IS18_E10value_typeET4_jRbjT5_S1E_jjP12ihipStream_tbEUljE_ZNSN_ISO_Lb0ESQ_SR_ST_SU_SY_EESZ_S10_S11_S12_S16_S17_S18_S1B_S1C_jS1D_jS1E_S1E_jjS1G_bEUljE0_EEESZ_S10_S11_S18_S1C_S1E_T6_T7_T9_mT8_S1G_bDpT10_ENKUlT_T0_E_clISt17integral_constantIbLb0EES1T_IbLb1EEEEDaS1P_S1Q_EUlS1P_E_NS1_11comp_targetILNS1_3genE5ELNS1_11target_archE942ELNS1_3gpuE9ELNS1_3repE0EEENS1_30default_config_static_selectorELNS0_4arch9wavefront6targetE1EEEvS12_,comdat
	.globl	_ZN7rocprim17ROCPRIM_400000_NS6detail17trampoline_kernelINS0_13select_configILj256ELj13ELNS0_17block_load_methodE3ELS4_3ELS4_3ELNS0_20block_scan_algorithmE0ELj4294967295EEENS1_25partition_config_selectorILNS1_17partition_subalgoE4EjNS0_10empty_typeEbEEZZNS1_14partition_implILS8_4ELb0ES6_15HIP_vector_typeIjLj2EENS0_17counting_iteratorIjlEEPS9_SG_NS0_5tupleIJPjSI_NS0_16reverse_iteratorISI_EEEEENSH_IJSG_SG_SG_EEES9_SI_JZNS1_25segmented_radix_sort_implINS0_14default_configELb0EPKaPaPKlPlN2at6native12_GLOBAL__N_18offset_tEEE10hipError_tPvRmT1_PNSt15iterator_traitsIS12_E10value_typeET2_T3_PNS13_IS18_E10value_typeET4_jRbjT5_S1E_jjP12ihipStream_tbEUljE_ZNSN_ISO_Lb0ESQ_SR_ST_SU_SY_EESZ_S10_S11_S12_S16_S17_S18_S1B_S1C_jS1D_jS1E_S1E_jjS1G_bEUljE0_EEESZ_S10_S11_S18_S1C_S1E_T6_T7_T9_mT8_S1G_bDpT10_ENKUlT_T0_E_clISt17integral_constantIbLb0EES1T_IbLb1EEEEDaS1P_S1Q_EUlS1P_E_NS1_11comp_targetILNS1_3genE5ELNS1_11target_archE942ELNS1_3gpuE9ELNS1_3repE0EEENS1_30default_config_static_selectorELNS0_4arch9wavefront6targetE1EEEvS12_ ; -- Begin function _ZN7rocprim17ROCPRIM_400000_NS6detail17trampoline_kernelINS0_13select_configILj256ELj13ELNS0_17block_load_methodE3ELS4_3ELS4_3ELNS0_20block_scan_algorithmE0ELj4294967295EEENS1_25partition_config_selectorILNS1_17partition_subalgoE4EjNS0_10empty_typeEbEEZZNS1_14partition_implILS8_4ELb0ES6_15HIP_vector_typeIjLj2EENS0_17counting_iteratorIjlEEPS9_SG_NS0_5tupleIJPjSI_NS0_16reverse_iteratorISI_EEEEENSH_IJSG_SG_SG_EEES9_SI_JZNS1_25segmented_radix_sort_implINS0_14default_configELb0EPKaPaPKlPlN2at6native12_GLOBAL__N_18offset_tEEE10hipError_tPvRmT1_PNSt15iterator_traitsIS12_E10value_typeET2_T3_PNS13_IS18_E10value_typeET4_jRbjT5_S1E_jjP12ihipStream_tbEUljE_ZNSN_ISO_Lb0ESQ_SR_ST_SU_SY_EESZ_S10_S11_S12_S16_S17_S18_S1B_S1C_jS1D_jS1E_S1E_jjS1G_bEUljE0_EEESZ_S10_S11_S18_S1C_S1E_T6_T7_T9_mT8_S1G_bDpT10_ENKUlT_T0_E_clISt17integral_constantIbLb0EES1T_IbLb1EEEEDaS1P_S1Q_EUlS1P_E_NS1_11comp_targetILNS1_3genE5ELNS1_11target_archE942ELNS1_3gpuE9ELNS1_3repE0EEENS1_30default_config_static_selectorELNS0_4arch9wavefront6targetE1EEEvS12_
	.p2align	8
	.type	_ZN7rocprim17ROCPRIM_400000_NS6detail17trampoline_kernelINS0_13select_configILj256ELj13ELNS0_17block_load_methodE3ELS4_3ELS4_3ELNS0_20block_scan_algorithmE0ELj4294967295EEENS1_25partition_config_selectorILNS1_17partition_subalgoE4EjNS0_10empty_typeEbEEZZNS1_14partition_implILS8_4ELb0ES6_15HIP_vector_typeIjLj2EENS0_17counting_iteratorIjlEEPS9_SG_NS0_5tupleIJPjSI_NS0_16reverse_iteratorISI_EEEEENSH_IJSG_SG_SG_EEES9_SI_JZNS1_25segmented_radix_sort_implINS0_14default_configELb0EPKaPaPKlPlN2at6native12_GLOBAL__N_18offset_tEEE10hipError_tPvRmT1_PNSt15iterator_traitsIS12_E10value_typeET2_T3_PNS13_IS18_E10value_typeET4_jRbjT5_S1E_jjP12ihipStream_tbEUljE_ZNSN_ISO_Lb0ESQ_SR_ST_SU_SY_EESZ_S10_S11_S12_S16_S17_S18_S1B_S1C_jS1D_jS1E_S1E_jjS1G_bEUljE0_EEESZ_S10_S11_S18_S1C_S1E_T6_T7_T9_mT8_S1G_bDpT10_ENKUlT_T0_E_clISt17integral_constantIbLb0EES1T_IbLb1EEEEDaS1P_S1Q_EUlS1P_E_NS1_11comp_targetILNS1_3genE5ELNS1_11target_archE942ELNS1_3gpuE9ELNS1_3repE0EEENS1_30default_config_static_selectorELNS0_4arch9wavefront6targetE1EEEvS12_,@function
_ZN7rocprim17ROCPRIM_400000_NS6detail17trampoline_kernelINS0_13select_configILj256ELj13ELNS0_17block_load_methodE3ELS4_3ELS4_3ELNS0_20block_scan_algorithmE0ELj4294967295EEENS1_25partition_config_selectorILNS1_17partition_subalgoE4EjNS0_10empty_typeEbEEZZNS1_14partition_implILS8_4ELb0ES6_15HIP_vector_typeIjLj2EENS0_17counting_iteratorIjlEEPS9_SG_NS0_5tupleIJPjSI_NS0_16reverse_iteratorISI_EEEEENSH_IJSG_SG_SG_EEES9_SI_JZNS1_25segmented_radix_sort_implINS0_14default_configELb0EPKaPaPKlPlN2at6native12_GLOBAL__N_18offset_tEEE10hipError_tPvRmT1_PNSt15iterator_traitsIS12_E10value_typeET2_T3_PNS13_IS18_E10value_typeET4_jRbjT5_S1E_jjP12ihipStream_tbEUljE_ZNSN_ISO_Lb0ESQ_SR_ST_SU_SY_EESZ_S10_S11_S12_S16_S17_S18_S1B_S1C_jS1D_jS1E_S1E_jjS1G_bEUljE0_EEESZ_S10_S11_S18_S1C_S1E_T6_T7_T9_mT8_S1G_bDpT10_ENKUlT_T0_E_clISt17integral_constantIbLb0EES1T_IbLb1EEEEDaS1P_S1Q_EUlS1P_E_NS1_11comp_targetILNS1_3genE5ELNS1_11target_archE942ELNS1_3gpuE9ELNS1_3repE0EEENS1_30default_config_static_selectorELNS0_4arch9wavefront6targetE1EEEvS12_: ; @_ZN7rocprim17ROCPRIM_400000_NS6detail17trampoline_kernelINS0_13select_configILj256ELj13ELNS0_17block_load_methodE3ELS4_3ELS4_3ELNS0_20block_scan_algorithmE0ELj4294967295EEENS1_25partition_config_selectorILNS1_17partition_subalgoE4EjNS0_10empty_typeEbEEZZNS1_14partition_implILS8_4ELb0ES6_15HIP_vector_typeIjLj2EENS0_17counting_iteratorIjlEEPS9_SG_NS0_5tupleIJPjSI_NS0_16reverse_iteratorISI_EEEEENSH_IJSG_SG_SG_EEES9_SI_JZNS1_25segmented_radix_sort_implINS0_14default_configELb0EPKaPaPKlPlN2at6native12_GLOBAL__N_18offset_tEEE10hipError_tPvRmT1_PNSt15iterator_traitsIS12_E10value_typeET2_T3_PNS13_IS18_E10value_typeET4_jRbjT5_S1E_jjP12ihipStream_tbEUljE_ZNSN_ISO_Lb0ESQ_SR_ST_SU_SY_EESZ_S10_S11_S12_S16_S17_S18_S1B_S1C_jS1D_jS1E_S1E_jjS1G_bEUljE0_EEESZ_S10_S11_S18_S1C_S1E_T6_T7_T9_mT8_S1G_bDpT10_ENKUlT_T0_E_clISt17integral_constantIbLb0EES1T_IbLb1EEEEDaS1P_S1Q_EUlS1P_E_NS1_11comp_targetILNS1_3genE5ELNS1_11target_archE942ELNS1_3gpuE9ELNS1_3repE0EEENS1_30default_config_static_selectorELNS0_4arch9wavefront6targetE1EEEvS12_
; %bb.0:
	.section	.rodata,"a",@progbits
	.p2align	6, 0x0
	.amdhsa_kernel _ZN7rocprim17ROCPRIM_400000_NS6detail17trampoline_kernelINS0_13select_configILj256ELj13ELNS0_17block_load_methodE3ELS4_3ELS4_3ELNS0_20block_scan_algorithmE0ELj4294967295EEENS1_25partition_config_selectorILNS1_17partition_subalgoE4EjNS0_10empty_typeEbEEZZNS1_14partition_implILS8_4ELb0ES6_15HIP_vector_typeIjLj2EENS0_17counting_iteratorIjlEEPS9_SG_NS0_5tupleIJPjSI_NS0_16reverse_iteratorISI_EEEEENSH_IJSG_SG_SG_EEES9_SI_JZNS1_25segmented_radix_sort_implINS0_14default_configELb0EPKaPaPKlPlN2at6native12_GLOBAL__N_18offset_tEEE10hipError_tPvRmT1_PNSt15iterator_traitsIS12_E10value_typeET2_T3_PNS13_IS18_E10value_typeET4_jRbjT5_S1E_jjP12ihipStream_tbEUljE_ZNSN_ISO_Lb0ESQ_SR_ST_SU_SY_EESZ_S10_S11_S12_S16_S17_S18_S1B_S1C_jS1D_jS1E_S1E_jjS1G_bEUljE0_EEESZ_S10_S11_S18_S1C_S1E_T6_T7_T9_mT8_S1G_bDpT10_ENKUlT_T0_E_clISt17integral_constantIbLb0EES1T_IbLb1EEEEDaS1P_S1Q_EUlS1P_E_NS1_11comp_targetILNS1_3genE5ELNS1_11target_archE942ELNS1_3gpuE9ELNS1_3repE0EEENS1_30default_config_static_selectorELNS0_4arch9wavefront6targetE1EEEvS12_
		.amdhsa_group_segment_fixed_size 0
		.amdhsa_private_segment_fixed_size 0
		.amdhsa_kernarg_size 184
		.amdhsa_user_sgpr_count 6
		.amdhsa_user_sgpr_private_segment_buffer 1
		.amdhsa_user_sgpr_dispatch_ptr 0
		.amdhsa_user_sgpr_queue_ptr 0
		.amdhsa_user_sgpr_kernarg_segment_ptr 1
		.amdhsa_user_sgpr_dispatch_id 0
		.amdhsa_user_sgpr_flat_scratch_init 0
		.amdhsa_user_sgpr_kernarg_preload_length 0
		.amdhsa_user_sgpr_kernarg_preload_offset 0
		.amdhsa_user_sgpr_private_segment_size 0
		.amdhsa_uses_dynamic_stack 0
		.amdhsa_system_sgpr_private_segment_wavefront_offset 0
		.amdhsa_system_sgpr_workgroup_id_x 1
		.amdhsa_system_sgpr_workgroup_id_y 0
		.amdhsa_system_sgpr_workgroup_id_z 0
		.amdhsa_system_sgpr_workgroup_info 0
		.amdhsa_system_vgpr_workitem_id 0
		.amdhsa_next_free_vgpr 1
		.amdhsa_next_free_sgpr 0
		.amdhsa_accum_offset 4
		.amdhsa_reserve_vcc 0
		.amdhsa_reserve_flat_scratch 0
		.amdhsa_float_round_mode_32 0
		.amdhsa_float_round_mode_16_64 0
		.amdhsa_float_denorm_mode_32 3
		.amdhsa_float_denorm_mode_16_64 3
		.amdhsa_dx10_clamp 1
		.amdhsa_ieee_mode 1
		.amdhsa_fp16_overflow 0
		.amdhsa_tg_split 0
		.amdhsa_exception_fp_ieee_invalid_op 0
		.amdhsa_exception_fp_denorm_src 0
		.amdhsa_exception_fp_ieee_div_zero 0
		.amdhsa_exception_fp_ieee_overflow 0
		.amdhsa_exception_fp_ieee_underflow 0
		.amdhsa_exception_fp_ieee_inexact 0
		.amdhsa_exception_int_div_zero 0
	.end_amdhsa_kernel
	.section	.text._ZN7rocprim17ROCPRIM_400000_NS6detail17trampoline_kernelINS0_13select_configILj256ELj13ELNS0_17block_load_methodE3ELS4_3ELS4_3ELNS0_20block_scan_algorithmE0ELj4294967295EEENS1_25partition_config_selectorILNS1_17partition_subalgoE4EjNS0_10empty_typeEbEEZZNS1_14partition_implILS8_4ELb0ES6_15HIP_vector_typeIjLj2EENS0_17counting_iteratorIjlEEPS9_SG_NS0_5tupleIJPjSI_NS0_16reverse_iteratorISI_EEEEENSH_IJSG_SG_SG_EEES9_SI_JZNS1_25segmented_radix_sort_implINS0_14default_configELb0EPKaPaPKlPlN2at6native12_GLOBAL__N_18offset_tEEE10hipError_tPvRmT1_PNSt15iterator_traitsIS12_E10value_typeET2_T3_PNS13_IS18_E10value_typeET4_jRbjT5_S1E_jjP12ihipStream_tbEUljE_ZNSN_ISO_Lb0ESQ_SR_ST_SU_SY_EESZ_S10_S11_S12_S16_S17_S18_S1B_S1C_jS1D_jS1E_S1E_jjS1G_bEUljE0_EEESZ_S10_S11_S18_S1C_S1E_T6_T7_T9_mT8_S1G_bDpT10_ENKUlT_T0_E_clISt17integral_constantIbLb0EES1T_IbLb1EEEEDaS1P_S1Q_EUlS1P_E_NS1_11comp_targetILNS1_3genE5ELNS1_11target_archE942ELNS1_3gpuE9ELNS1_3repE0EEENS1_30default_config_static_selectorELNS0_4arch9wavefront6targetE1EEEvS12_,"axG",@progbits,_ZN7rocprim17ROCPRIM_400000_NS6detail17trampoline_kernelINS0_13select_configILj256ELj13ELNS0_17block_load_methodE3ELS4_3ELS4_3ELNS0_20block_scan_algorithmE0ELj4294967295EEENS1_25partition_config_selectorILNS1_17partition_subalgoE4EjNS0_10empty_typeEbEEZZNS1_14partition_implILS8_4ELb0ES6_15HIP_vector_typeIjLj2EENS0_17counting_iteratorIjlEEPS9_SG_NS0_5tupleIJPjSI_NS0_16reverse_iteratorISI_EEEEENSH_IJSG_SG_SG_EEES9_SI_JZNS1_25segmented_radix_sort_implINS0_14default_configELb0EPKaPaPKlPlN2at6native12_GLOBAL__N_18offset_tEEE10hipError_tPvRmT1_PNSt15iterator_traitsIS12_E10value_typeET2_T3_PNS13_IS18_E10value_typeET4_jRbjT5_S1E_jjP12ihipStream_tbEUljE_ZNSN_ISO_Lb0ESQ_SR_ST_SU_SY_EESZ_S10_S11_S12_S16_S17_S18_S1B_S1C_jS1D_jS1E_S1E_jjS1G_bEUljE0_EEESZ_S10_S11_S18_S1C_S1E_T6_T7_T9_mT8_S1G_bDpT10_ENKUlT_T0_E_clISt17integral_constantIbLb0EES1T_IbLb1EEEEDaS1P_S1Q_EUlS1P_E_NS1_11comp_targetILNS1_3genE5ELNS1_11target_archE942ELNS1_3gpuE9ELNS1_3repE0EEENS1_30default_config_static_selectorELNS0_4arch9wavefront6targetE1EEEvS12_,comdat
.Lfunc_end354:
	.size	_ZN7rocprim17ROCPRIM_400000_NS6detail17trampoline_kernelINS0_13select_configILj256ELj13ELNS0_17block_load_methodE3ELS4_3ELS4_3ELNS0_20block_scan_algorithmE0ELj4294967295EEENS1_25partition_config_selectorILNS1_17partition_subalgoE4EjNS0_10empty_typeEbEEZZNS1_14partition_implILS8_4ELb0ES6_15HIP_vector_typeIjLj2EENS0_17counting_iteratorIjlEEPS9_SG_NS0_5tupleIJPjSI_NS0_16reverse_iteratorISI_EEEEENSH_IJSG_SG_SG_EEES9_SI_JZNS1_25segmented_radix_sort_implINS0_14default_configELb0EPKaPaPKlPlN2at6native12_GLOBAL__N_18offset_tEEE10hipError_tPvRmT1_PNSt15iterator_traitsIS12_E10value_typeET2_T3_PNS13_IS18_E10value_typeET4_jRbjT5_S1E_jjP12ihipStream_tbEUljE_ZNSN_ISO_Lb0ESQ_SR_ST_SU_SY_EESZ_S10_S11_S12_S16_S17_S18_S1B_S1C_jS1D_jS1E_S1E_jjS1G_bEUljE0_EEESZ_S10_S11_S18_S1C_S1E_T6_T7_T9_mT8_S1G_bDpT10_ENKUlT_T0_E_clISt17integral_constantIbLb0EES1T_IbLb1EEEEDaS1P_S1Q_EUlS1P_E_NS1_11comp_targetILNS1_3genE5ELNS1_11target_archE942ELNS1_3gpuE9ELNS1_3repE0EEENS1_30default_config_static_selectorELNS0_4arch9wavefront6targetE1EEEvS12_, .Lfunc_end354-_ZN7rocprim17ROCPRIM_400000_NS6detail17trampoline_kernelINS0_13select_configILj256ELj13ELNS0_17block_load_methodE3ELS4_3ELS4_3ELNS0_20block_scan_algorithmE0ELj4294967295EEENS1_25partition_config_selectorILNS1_17partition_subalgoE4EjNS0_10empty_typeEbEEZZNS1_14partition_implILS8_4ELb0ES6_15HIP_vector_typeIjLj2EENS0_17counting_iteratorIjlEEPS9_SG_NS0_5tupleIJPjSI_NS0_16reverse_iteratorISI_EEEEENSH_IJSG_SG_SG_EEES9_SI_JZNS1_25segmented_radix_sort_implINS0_14default_configELb0EPKaPaPKlPlN2at6native12_GLOBAL__N_18offset_tEEE10hipError_tPvRmT1_PNSt15iterator_traitsIS12_E10value_typeET2_T3_PNS13_IS18_E10value_typeET4_jRbjT5_S1E_jjP12ihipStream_tbEUljE_ZNSN_ISO_Lb0ESQ_SR_ST_SU_SY_EESZ_S10_S11_S12_S16_S17_S18_S1B_S1C_jS1D_jS1E_S1E_jjS1G_bEUljE0_EEESZ_S10_S11_S18_S1C_S1E_T6_T7_T9_mT8_S1G_bDpT10_ENKUlT_T0_E_clISt17integral_constantIbLb0EES1T_IbLb1EEEEDaS1P_S1Q_EUlS1P_E_NS1_11comp_targetILNS1_3genE5ELNS1_11target_archE942ELNS1_3gpuE9ELNS1_3repE0EEENS1_30default_config_static_selectorELNS0_4arch9wavefront6targetE1EEEvS12_
                                        ; -- End function
	.section	.AMDGPU.csdata,"",@progbits
; Kernel info:
; codeLenInByte = 0
; NumSgprs: 4
; NumVgprs: 0
; NumAgprs: 0
; TotalNumVgprs: 0
; ScratchSize: 0
; MemoryBound: 0
; FloatMode: 240
; IeeeMode: 1
; LDSByteSize: 0 bytes/workgroup (compile time only)
; SGPRBlocks: 0
; VGPRBlocks: 0
; NumSGPRsForWavesPerEU: 4
; NumVGPRsForWavesPerEU: 1
; AccumOffset: 4
; Occupancy: 8
; WaveLimiterHint : 0
; COMPUTE_PGM_RSRC2:SCRATCH_EN: 0
; COMPUTE_PGM_RSRC2:USER_SGPR: 6
; COMPUTE_PGM_RSRC2:TRAP_HANDLER: 0
; COMPUTE_PGM_RSRC2:TGID_X_EN: 1
; COMPUTE_PGM_RSRC2:TGID_Y_EN: 0
; COMPUTE_PGM_RSRC2:TGID_Z_EN: 0
; COMPUTE_PGM_RSRC2:TIDIG_COMP_CNT: 0
; COMPUTE_PGM_RSRC3_GFX90A:ACCUM_OFFSET: 0
; COMPUTE_PGM_RSRC3_GFX90A:TG_SPLIT: 0
	.section	.text._ZN7rocprim17ROCPRIM_400000_NS6detail17trampoline_kernelINS0_13select_configILj256ELj13ELNS0_17block_load_methodE3ELS4_3ELS4_3ELNS0_20block_scan_algorithmE0ELj4294967295EEENS1_25partition_config_selectorILNS1_17partition_subalgoE4EjNS0_10empty_typeEbEEZZNS1_14partition_implILS8_4ELb0ES6_15HIP_vector_typeIjLj2EENS0_17counting_iteratorIjlEEPS9_SG_NS0_5tupleIJPjSI_NS0_16reverse_iteratorISI_EEEEENSH_IJSG_SG_SG_EEES9_SI_JZNS1_25segmented_radix_sort_implINS0_14default_configELb0EPKaPaPKlPlN2at6native12_GLOBAL__N_18offset_tEEE10hipError_tPvRmT1_PNSt15iterator_traitsIS12_E10value_typeET2_T3_PNS13_IS18_E10value_typeET4_jRbjT5_S1E_jjP12ihipStream_tbEUljE_ZNSN_ISO_Lb0ESQ_SR_ST_SU_SY_EESZ_S10_S11_S12_S16_S17_S18_S1B_S1C_jS1D_jS1E_S1E_jjS1G_bEUljE0_EEESZ_S10_S11_S18_S1C_S1E_T6_T7_T9_mT8_S1G_bDpT10_ENKUlT_T0_E_clISt17integral_constantIbLb0EES1T_IbLb1EEEEDaS1P_S1Q_EUlS1P_E_NS1_11comp_targetILNS1_3genE4ELNS1_11target_archE910ELNS1_3gpuE8ELNS1_3repE0EEENS1_30default_config_static_selectorELNS0_4arch9wavefront6targetE1EEEvS12_,"axG",@progbits,_ZN7rocprim17ROCPRIM_400000_NS6detail17trampoline_kernelINS0_13select_configILj256ELj13ELNS0_17block_load_methodE3ELS4_3ELS4_3ELNS0_20block_scan_algorithmE0ELj4294967295EEENS1_25partition_config_selectorILNS1_17partition_subalgoE4EjNS0_10empty_typeEbEEZZNS1_14partition_implILS8_4ELb0ES6_15HIP_vector_typeIjLj2EENS0_17counting_iteratorIjlEEPS9_SG_NS0_5tupleIJPjSI_NS0_16reverse_iteratorISI_EEEEENSH_IJSG_SG_SG_EEES9_SI_JZNS1_25segmented_radix_sort_implINS0_14default_configELb0EPKaPaPKlPlN2at6native12_GLOBAL__N_18offset_tEEE10hipError_tPvRmT1_PNSt15iterator_traitsIS12_E10value_typeET2_T3_PNS13_IS18_E10value_typeET4_jRbjT5_S1E_jjP12ihipStream_tbEUljE_ZNSN_ISO_Lb0ESQ_SR_ST_SU_SY_EESZ_S10_S11_S12_S16_S17_S18_S1B_S1C_jS1D_jS1E_S1E_jjS1G_bEUljE0_EEESZ_S10_S11_S18_S1C_S1E_T6_T7_T9_mT8_S1G_bDpT10_ENKUlT_T0_E_clISt17integral_constantIbLb0EES1T_IbLb1EEEEDaS1P_S1Q_EUlS1P_E_NS1_11comp_targetILNS1_3genE4ELNS1_11target_archE910ELNS1_3gpuE8ELNS1_3repE0EEENS1_30default_config_static_selectorELNS0_4arch9wavefront6targetE1EEEvS12_,comdat
	.globl	_ZN7rocprim17ROCPRIM_400000_NS6detail17trampoline_kernelINS0_13select_configILj256ELj13ELNS0_17block_load_methodE3ELS4_3ELS4_3ELNS0_20block_scan_algorithmE0ELj4294967295EEENS1_25partition_config_selectorILNS1_17partition_subalgoE4EjNS0_10empty_typeEbEEZZNS1_14partition_implILS8_4ELb0ES6_15HIP_vector_typeIjLj2EENS0_17counting_iteratorIjlEEPS9_SG_NS0_5tupleIJPjSI_NS0_16reverse_iteratorISI_EEEEENSH_IJSG_SG_SG_EEES9_SI_JZNS1_25segmented_radix_sort_implINS0_14default_configELb0EPKaPaPKlPlN2at6native12_GLOBAL__N_18offset_tEEE10hipError_tPvRmT1_PNSt15iterator_traitsIS12_E10value_typeET2_T3_PNS13_IS18_E10value_typeET4_jRbjT5_S1E_jjP12ihipStream_tbEUljE_ZNSN_ISO_Lb0ESQ_SR_ST_SU_SY_EESZ_S10_S11_S12_S16_S17_S18_S1B_S1C_jS1D_jS1E_S1E_jjS1G_bEUljE0_EEESZ_S10_S11_S18_S1C_S1E_T6_T7_T9_mT8_S1G_bDpT10_ENKUlT_T0_E_clISt17integral_constantIbLb0EES1T_IbLb1EEEEDaS1P_S1Q_EUlS1P_E_NS1_11comp_targetILNS1_3genE4ELNS1_11target_archE910ELNS1_3gpuE8ELNS1_3repE0EEENS1_30default_config_static_selectorELNS0_4arch9wavefront6targetE1EEEvS12_ ; -- Begin function _ZN7rocprim17ROCPRIM_400000_NS6detail17trampoline_kernelINS0_13select_configILj256ELj13ELNS0_17block_load_methodE3ELS4_3ELS4_3ELNS0_20block_scan_algorithmE0ELj4294967295EEENS1_25partition_config_selectorILNS1_17partition_subalgoE4EjNS0_10empty_typeEbEEZZNS1_14partition_implILS8_4ELb0ES6_15HIP_vector_typeIjLj2EENS0_17counting_iteratorIjlEEPS9_SG_NS0_5tupleIJPjSI_NS0_16reverse_iteratorISI_EEEEENSH_IJSG_SG_SG_EEES9_SI_JZNS1_25segmented_radix_sort_implINS0_14default_configELb0EPKaPaPKlPlN2at6native12_GLOBAL__N_18offset_tEEE10hipError_tPvRmT1_PNSt15iterator_traitsIS12_E10value_typeET2_T3_PNS13_IS18_E10value_typeET4_jRbjT5_S1E_jjP12ihipStream_tbEUljE_ZNSN_ISO_Lb0ESQ_SR_ST_SU_SY_EESZ_S10_S11_S12_S16_S17_S18_S1B_S1C_jS1D_jS1E_S1E_jjS1G_bEUljE0_EEESZ_S10_S11_S18_S1C_S1E_T6_T7_T9_mT8_S1G_bDpT10_ENKUlT_T0_E_clISt17integral_constantIbLb0EES1T_IbLb1EEEEDaS1P_S1Q_EUlS1P_E_NS1_11comp_targetILNS1_3genE4ELNS1_11target_archE910ELNS1_3gpuE8ELNS1_3repE0EEENS1_30default_config_static_selectorELNS0_4arch9wavefront6targetE1EEEvS12_
	.p2align	8
	.type	_ZN7rocprim17ROCPRIM_400000_NS6detail17trampoline_kernelINS0_13select_configILj256ELj13ELNS0_17block_load_methodE3ELS4_3ELS4_3ELNS0_20block_scan_algorithmE0ELj4294967295EEENS1_25partition_config_selectorILNS1_17partition_subalgoE4EjNS0_10empty_typeEbEEZZNS1_14partition_implILS8_4ELb0ES6_15HIP_vector_typeIjLj2EENS0_17counting_iteratorIjlEEPS9_SG_NS0_5tupleIJPjSI_NS0_16reverse_iteratorISI_EEEEENSH_IJSG_SG_SG_EEES9_SI_JZNS1_25segmented_radix_sort_implINS0_14default_configELb0EPKaPaPKlPlN2at6native12_GLOBAL__N_18offset_tEEE10hipError_tPvRmT1_PNSt15iterator_traitsIS12_E10value_typeET2_T3_PNS13_IS18_E10value_typeET4_jRbjT5_S1E_jjP12ihipStream_tbEUljE_ZNSN_ISO_Lb0ESQ_SR_ST_SU_SY_EESZ_S10_S11_S12_S16_S17_S18_S1B_S1C_jS1D_jS1E_S1E_jjS1G_bEUljE0_EEESZ_S10_S11_S18_S1C_S1E_T6_T7_T9_mT8_S1G_bDpT10_ENKUlT_T0_E_clISt17integral_constantIbLb0EES1T_IbLb1EEEEDaS1P_S1Q_EUlS1P_E_NS1_11comp_targetILNS1_3genE4ELNS1_11target_archE910ELNS1_3gpuE8ELNS1_3repE0EEENS1_30default_config_static_selectorELNS0_4arch9wavefront6targetE1EEEvS12_,@function
_ZN7rocprim17ROCPRIM_400000_NS6detail17trampoline_kernelINS0_13select_configILj256ELj13ELNS0_17block_load_methodE3ELS4_3ELS4_3ELNS0_20block_scan_algorithmE0ELj4294967295EEENS1_25partition_config_selectorILNS1_17partition_subalgoE4EjNS0_10empty_typeEbEEZZNS1_14partition_implILS8_4ELb0ES6_15HIP_vector_typeIjLj2EENS0_17counting_iteratorIjlEEPS9_SG_NS0_5tupleIJPjSI_NS0_16reverse_iteratorISI_EEEEENSH_IJSG_SG_SG_EEES9_SI_JZNS1_25segmented_radix_sort_implINS0_14default_configELb0EPKaPaPKlPlN2at6native12_GLOBAL__N_18offset_tEEE10hipError_tPvRmT1_PNSt15iterator_traitsIS12_E10value_typeET2_T3_PNS13_IS18_E10value_typeET4_jRbjT5_S1E_jjP12ihipStream_tbEUljE_ZNSN_ISO_Lb0ESQ_SR_ST_SU_SY_EESZ_S10_S11_S12_S16_S17_S18_S1B_S1C_jS1D_jS1E_S1E_jjS1G_bEUljE0_EEESZ_S10_S11_S18_S1C_S1E_T6_T7_T9_mT8_S1G_bDpT10_ENKUlT_T0_E_clISt17integral_constantIbLb0EES1T_IbLb1EEEEDaS1P_S1Q_EUlS1P_E_NS1_11comp_targetILNS1_3genE4ELNS1_11target_archE910ELNS1_3gpuE8ELNS1_3repE0EEENS1_30default_config_static_selectorELNS0_4arch9wavefront6targetE1EEEvS12_: ; @_ZN7rocprim17ROCPRIM_400000_NS6detail17trampoline_kernelINS0_13select_configILj256ELj13ELNS0_17block_load_methodE3ELS4_3ELS4_3ELNS0_20block_scan_algorithmE0ELj4294967295EEENS1_25partition_config_selectorILNS1_17partition_subalgoE4EjNS0_10empty_typeEbEEZZNS1_14partition_implILS8_4ELb0ES6_15HIP_vector_typeIjLj2EENS0_17counting_iteratorIjlEEPS9_SG_NS0_5tupleIJPjSI_NS0_16reverse_iteratorISI_EEEEENSH_IJSG_SG_SG_EEES9_SI_JZNS1_25segmented_radix_sort_implINS0_14default_configELb0EPKaPaPKlPlN2at6native12_GLOBAL__N_18offset_tEEE10hipError_tPvRmT1_PNSt15iterator_traitsIS12_E10value_typeET2_T3_PNS13_IS18_E10value_typeET4_jRbjT5_S1E_jjP12ihipStream_tbEUljE_ZNSN_ISO_Lb0ESQ_SR_ST_SU_SY_EESZ_S10_S11_S12_S16_S17_S18_S1B_S1C_jS1D_jS1E_S1E_jjS1G_bEUljE0_EEESZ_S10_S11_S18_S1C_S1E_T6_T7_T9_mT8_S1G_bDpT10_ENKUlT_T0_E_clISt17integral_constantIbLb0EES1T_IbLb1EEEEDaS1P_S1Q_EUlS1P_E_NS1_11comp_targetILNS1_3genE4ELNS1_11target_archE910ELNS1_3gpuE8ELNS1_3repE0EEENS1_30default_config_static_selectorELNS0_4arch9wavefront6targetE1EEEvS12_
; %bb.0:
	s_load_dwordx2 s[48:49], s[4:5], 0x10
	s_load_dwordx4 s[44:47], s[4:5], 0x28
	s_load_dwordx2 s[34:35], s[4:5], 0x38
	s_load_dwordx4 s[28:31], s[4:5], 0x58
	s_load_dwordx2 s[2:3], s[4:5], 0x68
	s_load_dwordx2 s[50:51], s[4:5], 0x78
	;; [unrolled: 1-line block ×3, first 2 shown]
	s_load_dwordx8 s[36:43], s[4:5], 0x90
	v_cmp_eq_u32_e64 s[0:1], 0, v0
	s_and_saveexec_b64 s[6:7], s[0:1]
	s_cbranch_execz .LBB355_4
; %bb.1:
	s_mov_b64 s[10:11], exec
	v_mbcnt_lo_u32_b32 v1, s10, 0
	v_mbcnt_hi_u32_b32 v1, s11, v1
	v_cmp_eq_u32_e32 vcc, 0, v1
                                        ; implicit-def: $vgpr2
	s_and_saveexec_b64 s[8:9], vcc
	s_cbranch_execz .LBB355_3
; %bb.2:
	s_load_dwordx2 s[12:13], s[4:5], 0x88
	s_bcnt1_i32_b64 s10, s[10:11]
	v_mov_b32_e32 v2, 0
	v_mov_b32_e32 v3, s10
	s_waitcnt lgkmcnt(0)
	global_atomic_add v2, v2, v3, s[12:13] glc
.LBB355_3:
	s_or_b64 exec, exec, s[8:9]
	s_waitcnt vmcnt(0)
	v_readfirstlane_b32 s8, v2
	v_add_u32_e32 v1, s8, v1
	v_mov_b32_e32 v2, 0
	ds_write_b32 v2, v1
.LBB355_4:
	s_or_b64 exec, exec, s[6:7]
	v_mov_b32_e32 v1, 0
	s_load_dword s7, s[4:5], 0x8
	s_load_dword s6, s[4:5], 0x80
	s_waitcnt lgkmcnt(0)
	s_barrier
	ds_read_b32 v8, v1
	s_waitcnt lgkmcnt(0)
	s_barrier
	global_load_dwordx4 v[2:5], v1, s[30:31]
	v_mov_b32_e32 v7, s3
	s_movk_i32 s3, 0xd00
	s_add_i32 s8, s7, s48
	v_mul_lo_u32 v34, v8, s3
	s_add_i32 s7, s6, -1
	s_mul_i32 s3, s6, 0xd00
	s_add_u32 s4, s48, s3
	v_readfirstlane_b32 s33, v8
	s_addc_u32 s5, s49, 0
	s_cmp_eq_u32 s33, s7
	v_mov_b32_e32 v6, s2
	s_cselect_b64 s[30:31], -1, 0
	s_cmp_lg_u32 s33, s7
	v_cmp_lt_u64_e32 vcc, s[4:5], v[6:7]
	s_cselect_b64 s[4:5], -1, 0
	s_or_b64 s[4:5], vcc, s[4:5]
	v_add_u32_e32 v1, s8, v34
	s_mov_b64 s[6:7], -1
	s_and_b64 vcc, exec, s[4:5]
	v_add_u32_e32 v1, v1, v0
	s_cbranch_vccz .LBB355_6
; %bb.5:
	v_add_u32_e32 v6, 0x100, v1
	v_lshlrev_b32_e32 v18, 2, v0
	v_add_u32_e32 v7, 0x200, v1
	v_add_u32_e32 v8, 0x300, v1
	;; [unrolled: 1-line block ×11, first 2 shown]
	ds_write2st64_b32 v18, v1, v6 offset1:4
	ds_write2st64_b32 v18, v7, v8 offset0:8 offset1:12
	ds_write2st64_b32 v18, v9, v10 offset0:16 offset1:20
	;; [unrolled: 1-line block ×5, first 2 shown]
	ds_write_b32 v18, v17 offset:12288
	s_waitcnt lgkmcnt(0)
	s_barrier
	s_mov_b64 s[6:7], 0
.LBB355_6:
	s_andn2_b64 vcc, exec, s[6:7]
	s_add_i32 s3, s3, s48
	s_cbranch_vccnz .LBB355_8
; %bb.7:
	v_add_u32_e32 v6, 0x100, v1
	v_lshlrev_b32_e32 v18, 2, v0
	v_add_u32_e32 v7, 0x200, v1
	v_add_u32_e32 v8, 0x300, v1
	;; [unrolled: 1-line block ×11, first 2 shown]
	ds_write2st64_b32 v18, v1, v6 offset1:4
	ds_write2st64_b32 v18, v7, v8 offset0:8 offset1:12
	ds_write2st64_b32 v18, v9, v10 offset0:16 offset1:20
	;; [unrolled: 1-line block ×5, first 2 shown]
	ds_write_b32 v18, v17 offset:12288
	s_waitcnt lgkmcnt(0)
	s_barrier
.LBB355_8:
	v_mul_u32_u24_e32 v36, 13, v0
	v_lshlrev_b32_e32 v1, 2, v36
	ds_read2_b32 v[22:23], v1 offset1:1
	ds_read2_b32 v[20:21], v1 offset0:2 offset1:3
	ds_read2_b32 v[18:19], v1 offset0:4 offset1:5
	;; [unrolled: 1-line block ×5, first 2 shown]
	ds_read_b32 v35, v1 offset:48
	v_cndmask_b32_e64 v1, 0, 1, s[4:5]
	s_sub_i32 s86, s2, s3
	v_cmp_ne_u32_e64 s[2:3], 1, v1
	s_andn2_b64 vcc, exec, s[4:5]
	s_waitcnt lgkmcnt(0)
	s_barrier
	s_cbranch_vccnz .LBB355_36
; %bb.9:
	v_add_u32_e32 v1, s37, v22
	v_add_u32_e32 v6, s39, v22
	v_mul_lo_u32 v1, v1, s36
	v_mul_lo_u32 v6, v6, s38
	v_sub_u32_e32 v1, v1, v6
	v_cmp_lt_u32_e32 vcc, s40, v1
	v_cmp_ge_u32_e64 s[4:5], s40, v1
	s_mov_b64 s[60:61], 0
	s_mov_b64 s[58:59], 0
	s_and_saveexec_b64 s[6:7], s[4:5]
; %bb.10:
	v_add_u32_e32 v1, s42, v22
	v_add_u32_e32 v6, s56, v22
	v_mul_lo_u32 v1, v1, s41
	v_mul_lo_u32 v6, v6, s43
	v_sub_u32_e32 v1, v1, v6
	v_cmp_lt_u32_e64 s[4:5], s57, v1
	s_and_b64 s[58:59], s[4:5], exec
; %bb.11:
	s_or_b64 exec, exec, s[6:7]
	v_add_u32_e32 v1, s37, v23
	v_add_u32_e32 v6, s39, v23
	v_mul_lo_u32 v1, v1, s36
	v_mul_lo_u32 v6, v6, s38
	v_sub_u32_e32 v1, v1, v6
	v_cmp_lt_u32_e64 s[4:5], s40, v1
	v_cmp_ge_u32_e64 s[6:7], s40, v1
	s_and_saveexec_b64 s[8:9], s[6:7]
; %bb.12:
	v_add_u32_e32 v1, s42, v23
	v_add_u32_e32 v6, s56, v23
	v_mul_lo_u32 v1, v1, s41
	v_mul_lo_u32 v6, v6, s43
	v_sub_u32_e32 v1, v1, v6
	v_cmp_lt_u32_e64 s[6:7], s57, v1
	s_and_b64 s[60:61], s[6:7], exec
; %bb.13:
	s_or_b64 exec, exec, s[8:9]
	v_add_u32_e32 v1, s37, v20
	v_add_u32_e32 v6, s39, v20
	v_mul_lo_u32 v1, v1, s36
	v_mul_lo_u32 v6, v6, s38
	v_sub_u32_e32 v1, v1, v6
	v_cmp_lt_u32_e64 s[6:7], s40, v1
	v_cmp_ge_u32_e64 s[8:9], s40, v1
	s_mov_b64 s[64:65], 0
	s_mov_b64 s[62:63], 0
	s_and_saveexec_b64 s[10:11], s[8:9]
; %bb.14:
	v_add_u32_e32 v1, s42, v20
	v_add_u32_e32 v6, s56, v20
	v_mul_lo_u32 v1, v1, s41
	v_mul_lo_u32 v6, v6, s43
	v_sub_u32_e32 v1, v1, v6
	v_cmp_lt_u32_e64 s[8:9], s57, v1
	s_and_b64 s[62:63], s[8:9], exec
; %bb.15:
	s_or_b64 exec, exec, s[10:11]
	v_add_u32_e32 v1, s37, v21
	v_add_u32_e32 v6, s39, v21
	v_mul_lo_u32 v1, v1, s36
	v_mul_lo_u32 v6, v6, s38
	v_sub_u32_e32 v1, v1, v6
	v_cmp_lt_u32_e64 s[8:9], s40, v1
	v_cmp_ge_u32_e64 s[10:11], s40, v1
	s_and_saveexec_b64 s[12:13], s[10:11]
; %bb.16:
	v_add_u32_e32 v1, s42, v21
	v_add_u32_e32 v6, s56, v21
	v_mul_lo_u32 v1, v1, s41
	v_mul_lo_u32 v6, v6, s43
	v_sub_u32_e32 v1, v1, v6
	v_cmp_lt_u32_e64 s[10:11], s57, v1
	s_and_b64 s[64:65], s[10:11], exec
; %bb.17:
	s_or_b64 exec, exec, s[12:13]
	v_add_u32_e32 v1, s37, v18
	v_add_u32_e32 v6, s39, v18
	v_mul_lo_u32 v1, v1, s36
	v_mul_lo_u32 v6, v6, s38
	v_sub_u32_e32 v1, v1, v6
	v_cmp_lt_u32_e64 s[10:11], s40, v1
	;; [unrolled: 38-line block ×5, first 2 shown]
	v_cmp_ge_u32_e64 s[24:25], s40, v1
	s_mov_b64 s[80:81], 0
	s_mov_b64 s[82:83], 0
	s_and_saveexec_b64 s[26:27], s[24:25]
; %bb.30:
	v_add_u32_e32 v1, s42, v12
	v_add_u32_e32 v6, s56, v12
	v_mul_lo_u32 v1, v1, s41
	v_mul_lo_u32 v6, v6, s43
	v_sub_u32_e32 v1, v1, v6
	v_cmp_lt_u32_e64 s[24:25], s57, v1
	s_and_b64 s[82:83], s[24:25], exec
; %bb.31:
	s_or_b64 exec, exec, s[26:27]
	v_add_u32_e32 v1, s37, v13
	v_add_u32_e32 v6, s39, v13
	v_mul_lo_u32 v1, v1, s36
	v_mul_lo_u32 v6, v6, s38
	v_sub_u32_e32 v1, v1, v6
	v_cmp_lt_u32_e64 s[24:25], s40, v1
	v_cmp_ge_u32_e64 s[26:27], s40, v1
	s_and_saveexec_b64 s[52:53], s[26:27]
; %bb.32:
	v_add_u32_e32 v1, s42, v13
	v_add_u32_e32 v6, s56, v13
	v_mul_lo_u32 v1, v1, s41
	v_mul_lo_u32 v6, v6, s43
	v_sub_u32_e32 v1, v1, v6
	v_cmp_lt_u32_e64 s[26:27], s57, v1
	s_and_b64 s[80:81], s[26:27], exec
; %bb.33:
	s_or_b64 exec, exec, s[52:53]
	v_add_u32_e32 v1, s37, v35
	v_add_u32_e32 v6, s39, v35
	v_mul_lo_u32 v1, v1, s36
	v_mul_lo_u32 v6, v6, s38
	v_sub_u32_e32 v1, v1, v6
	v_cmp_ge_u32_e64 s[26:27], s40, v1
	s_mov_b64 s[52:53], -1
	s_mov_b64 s[74:75], 0
	s_mov_b64 s[54:55], 0
	s_and_saveexec_b64 s[84:85], s[26:27]
; %bb.34:
	v_add_u32_e32 v1, s42, v35
	v_add_u32_e32 v6, s56, v35
	v_mul_lo_u32 v1, v1, s41
	v_mul_lo_u32 v6, v6, s43
	v_sub_u32_e32 v1, v1, v6
	v_cmp_lt_u32_e64 s[26:27], s57, v1
	s_and_b64 s[54:55], s[26:27], exec
	s_xor_b64 s[52:53], exec, -1
; %bb.35:
	s_or_b64 exec, exec, s[84:85]
	v_cndmask_b32_e64 v57, 0, 1, s[82:83]
	v_cndmask_b32_e64 v60, 0, 1, s[24:25]
	;; [unrolled: 1-line block ×22, first 2 shown]
	v_cndmask_b32_e64 v37, 0, 1, vcc
	v_cndmask_b32_e64 v59, 0, 1, s[80:81]
	s_add_i32 s16, s86, 0xd00
	s_and_b64 vcc, exec, s[74:75]
	s_cbranch_vccnz .LBB355_37
	s_branch .LBB355_90
.LBB355_36:
                                        ; implicit-def: $sgpr52_sgpr53
                                        ; implicit-def: $sgpr54_sgpr55
                                        ; implicit-def: $vgpr59
                                        ; implicit-def: $vgpr57
                                        ; implicit-def: $vgpr55
                                        ; implicit-def: $vgpr53
                                        ; implicit-def: $vgpr51
                                        ; implicit-def: $vgpr49
                                        ; implicit-def: $vgpr47
                                        ; implicit-def: $vgpr45
                                        ; implicit-def: $vgpr43
                                        ; implicit-def: $vgpr37
                                        ; implicit-def: $vgpr39
                                        ; implicit-def: $vgpr41
                                        ; implicit-def: $vgpr44
                                        ; implicit-def: $vgpr46
                                        ; implicit-def: $vgpr48
                                        ; implicit-def: $vgpr50
                                        ; implicit-def: $vgpr52
                                        ; implicit-def: $vgpr54
                                        ; implicit-def: $vgpr56
                                        ; implicit-def: $vgpr58
                                        ; implicit-def: $vgpr60
                                        ; implicit-def: $vgpr38
                                        ; implicit-def: $vgpr40
                                        ; implicit-def: $vgpr42
	s_add_i32 s16, s86, 0xd00
	s_cbranch_execz .LBB355_90
.LBB355_37:
	v_cmp_gt_u32_e32 vcc, s16, v36
	v_mov_b32_e32 v38, 0
	v_mov_b32_e32 v37, 0
	s_and_saveexec_b64 s[6:7], vcc
	s_cbranch_execz .LBB355_41
; %bb.38:
	v_add_u32_e32 v1, s37, v22
	v_add_u32_e32 v6, s39, v22
	v_mul_lo_u32 v1, v1, s36
	v_mul_lo_u32 v6, v6, s38
	v_sub_u32_e32 v1, v1, v6
	v_cmp_lt_u32_e32 vcc, s40, v1
	v_cmp_ge_u32_e64 s[4:5], s40, v1
	s_mov_b64 s[10:11], 0
	s_and_saveexec_b64 s[8:9], s[4:5]
; %bb.39:
	v_add_u32_e32 v1, s42, v22
	v_add_u32_e32 v6, s56, v22
	v_mul_lo_u32 v1, v1, s41
	v_mul_lo_u32 v6, v6, s43
	v_sub_u32_e32 v1, v1, v6
	v_cmp_lt_u32_e64 s[4:5], s57, v1
	s_and_b64 s[10:11], s[4:5], exec
; %bb.40:
	s_or_b64 exec, exec, s[8:9]
	v_cndmask_b32_e64 v37, 0, 1, vcc
	v_cndmask_b32_e64 v38, 0, 1, s[10:11]
.LBB355_41:
	s_or_b64 exec, exec, s[6:7]
	v_add_u32_e32 v1, 1, v36
	v_cmp_gt_u32_e32 vcc, s16, v1
	v_mov_b32_e32 v39, 0
	v_mov_b32_e32 v40, 0
	s_and_saveexec_b64 s[6:7], vcc
	s_cbranch_execz .LBB355_45
; %bb.42:
	v_add_u32_e32 v1, s37, v23
	v_add_u32_e32 v6, s39, v23
	v_mul_lo_u32 v1, v1, s36
	v_mul_lo_u32 v6, v6, s38
	v_sub_u32_e32 v1, v1, v6
	v_cmp_lt_u32_e32 vcc, s40, v1
	v_cmp_ge_u32_e64 s[4:5], s40, v1
	s_mov_b64 s[10:11], 0
	s_and_saveexec_b64 s[8:9], s[4:5]
; %bb.43:
	v_add_u32_e32 v1, s42, v23
	v_add_u32_e32 v6, s56, v23
	v_mul_lo_u32 v1, v1, s41
	v_mul_lo_u32 v6, v6, s43
	v_sub_u32_e32 v1, v1, v6
	v_cmp_lt_u32_e64 s[4:5], s57, v1
	s_and_b64 s[10:11], s[4:5], exec
; %bb.44:
	s_or_b64 exec, exec, s[8:9]
	v_cndmask_b32_e64 v39, 0, 1, vcc
	v_cndmask_b32_e64 v40, 0, 1, s[10:11]
.LBB355_45:
	s_or_b64 exec, exec, s[6:7]
	v_add_u32_e32 v1, 2, v36
	;; [unrolled: 30-line block ×12, first 2 shown]
	v_cmp_gt_u32_e32 vcc, s16, v1
	s_mov_b64 s[52:53], 0
	s_mov_b64 s[54:55], 0
	s_and_saveexec_b64 s[4:5], vcc
	s_cbranch_execz .LBB355_89
; %bb.86:
	v_add_u32_e32 v1, s37, v35
	v_add_u32_e32 v6, s39, v35
	v_mul_lo_u32 v1, v1, s36
	v_mul_lo_u32 v6, v6, s38
	v_sub_u32_e32 v1, v1, v6
	v_cmp_ge_u32_e32 vcc, s40, v1
	s_mov_b64 s[8:9], -1
	s_mov_b64 s[10:11], 0
	s_and_saveexec_b64 s[6:7], vcc
; %bb.87:
	v_add_u32_e32 v1, s42, v35
	v_add_u32_e32 v6, s56, v35
	v_mul_lo_u32 v1, v1, s41
	v_mul_lo_u32 v6, v6, s43
	v_sub_u32_e32 v1, v1, v6
	v_cmp_lt_u32_e32 vcc, s57, v1
	s_and_b64 s[10:11], vcc, exec
	s_xor_b64 s[8:9], exec, -1
; %bb.88:
	s_or_b64 exec, exec, s[6:7]
	s_and_b64 s[54:55], s[10:11], exec
	s_and_b64 s[52:53], s[8:9], exec
.LBB355_89:
	s_or_b64 exec, exec, s[4:5]
.LBB355_90:
	v_and_b32_e32 v68, 0xff, v38
	v_and_b32_e32 v79, 0xff, v40
	;; [unrolled: 1-line block ×5, first 2 shown]
	v_add3_u32 v6, v79, v70, v68
	v_and_b32_e32 v81, 0xff, v47
	v_and_b32_e32 v74, 0xff, v49
	v_add3_u32 v6, v6, v80, v72
	v_and_b32_e32 v67, 0xff, v37
	v_and_b32_e32 v61, 0xff, v39
	;; [unrolled: 1-line block ×5, first 2 shown]
	v_add3_u32 v6, v6, v81, v74
	v_and_b32_e32 v62, 0xff, v44
	v_and_b32_e32 v71, 0xff, v46
	;; [unrolled: 1-line block ×4, first 2 shown]
	v_add3_u32 v7, v61, v69, v67
	v_add3_u32 v6, v6, v82, v76
	v_and_b32_e32 v63, 0xff, v48
	v_and_b32_e32 v73, 0xff, v50
	;; [unrolled: 1-line block ×3, first 2 shown]
	v_cndmask_b32_e64 v1, 0, 1, s[54:55]
	v_add3_u32 v7, v7, v62, v71
	v_add3_u32 v6, v6, v83, v78
	v_and_b32_e32 v64, 0xff, v52
	v_and_b32_e32 v75, 0xff, v54
	v_add3_u32 v7, v7, v63, v73
	v_add3_u32 v91, v6, v84, v1
	v_mbcnt_lo_u32_b32 v1, -1, 0
	v_and_b32_e32 v65, 0xff, v56
	v_and_b32_e32 v77, 0xff, v58
	v_add3_u32 v7, v7, v64, v75
	v_mbcnt_hi_u32_b32 v85, -1, v1
	v_and_b32_e32 v66, 0xff, v60
	v_add3_u32 v7, v7, v65, v77
	v_cndmask_b32_e64 v8, 0, 1, s[52:53]
	v_and_b32_e32 v89, 15, v85
	s_cmp_lg_u32 s33, 0
	v_add3_u32 v90, v7, v66, v8
	v_cmp_eq_u32_e64 s[6:7], 0, v89
	v_cmp_lt_u32_e64 s[4:5], 1, v89
	v_cmp_lt_u32_e64 s[10:11], 3, v89
	;; [unrolled: 1-line block ×3, first 2 shown]
	v_and_b32_e32 v88, 16, v85
	v_cmp_lt_u32_e32 vcc, 31, v85
	v_lshrrev_b32_e32 v86, 6, v0
	v_or_b32_e32 v87, 63, v0
	s_cbranch_scc0 .LBB355_119
; %bb.91:
	v_mov_b32_dpp v1, v90 row_shr:1 row_mask:0xf bank_mask:0xf
	v_mov_b32_dpp v6, v91 row_shr:1 row_mask:0xf bank_mask:0xf
	v_add_u32_e32 v1, v1, v90
	v_add_u32_e32 v6, v6, v91
	v_cndmask_b32_e64 v6, v6, v91, s[6:7]
	v_cndmask_b32_e64 v1, v1, v90, s[6:7]
	s_nop 0
	v_mov_b32_dpp v8, v6 row_shr:2 row_mask:0xf bank_mask:0xf
	v_mov_b32_dpp v7, v1 row_shr:2 row_mask:0xf bank_mask:0xf
	v_add_u32_e32 v7, v1, v7
	v_add_u32_e32 v8, v6, v8
	v_cndmask_b32_e64 v6, v6, v8, s[4:5]
	v_cndmask_b32_e64 v1, v1, v7, s[4:5]
	s_nop 0
	;; [unrolled: 7-line block ×3, first 2 shown]
	v_mov_b32_dpp v8, v6 row_shr:8 row_mask:0xf bank_mask:0xf
	v_mov_b32_dpp v7, v1 row_shr:8 row_mask:0xf bank_mask:0xf
	v_add_u32_e32 v7, v1, v7
	v_add_u32_e32 v8, v6, v8
	v_cndmask_b32_e64 v6, v6, v8, s[8:9]
	v_cndmask_b32_e64 v1, v1, v7, s[8:9]
	v_cmp_eq_u32_e64 s[8:9], 0, v88
	v_mov_b32_dpp v8, v6 row_bcast:15 row_mask:0xf bank_mask:0xf
	v_mov_b32_dpp v7, v1 row_bcast:15 row_mask:0xf bank_mask:0xf
	v_add_u32_e32 v7, v1, v7
	v_add_u32_e32 v8, v6, v8
	v_cndmask_b32_e64 v6, v8, v6, s[8:9]
	v_cndmask_b32_e64 v1, v7, v1, s[8:9]
	s_nop 0
	v_mov_b32_dpp v8, v6 row_bcast:31 row_mask:0xf bank_mask:0xf
	v_mov_b32_dpp v7, v1 row_bcast:31 row_mask:0xf bank_mask:0xf
	v_add_u32_e32 v8, v6, v8
	v_add_u32_e32 v9, v1, v7
	v_cndmask_b32_e32 v7, v6, v8, vcc
	v_cndmask_b32_e32 v6, v1, v9, vcc
	v_cmp_eq_u32_e32 vcc, v87, v0
	s_and_saveexec_b64 s[8:9], vcc
	s_cbranch_execz .LBB355_93
; %bb.92:
	v_lshlrev_b32_e32 v1, 3, v86
	ds_write_b64 v1, v[6:7]
.LBB355_93:
	s_or_b64 exec, exec, s[8:9]
	v_cmp_gt_u32_e32 vcc, 4, v0
	s_waitcnt lgkmcnt(0)
	s_barrier
	s_and_saveexec_b64 s[8:9], vcc
	s_cbranch_execz .LBB355_95
; %bb.94:
	v_lshlrev_b32_e32 v1, 3, v0
	ds_read_b64 v[8:9], v1
	v_and_b32_e32 v10, 3, v85
	v_cmp_eq_u32_e32 vcc, 0, v10
	s_waitcnt lgkmcnt(0)
	v_mov_b32_dpp v11, v8 row_shr:1 row_mask:0xf bank_mask:0xf
	v_mov_b32_dpp v24, v9 row_shr:1 row_mask:0xf bank_mask:0xf
	v_add_u32_e32 v11, v11, v8
	v_add_u32_e32 v24, v24, v9
	v_cndmask_b32_e32 v9, v24, v9, vcc
	v_cndmask_b32_e32 v8, v11, v8, vcc
	v_cmp_lt_u32_e32 vcc, 1, v10
	v_mov_b32_dpp v24, v9 row_shr:2 row_mask:0xf bank_mask:0xf
	v_mov_b32_dpp v11, v8 row_shr:2 row_mask:0xf bank_mask:0xf
	v_cndmask_b32_e32 v10, 0, v11, vcc
	v_cndmask_b32_e32 v11, 0, v24, vcc
	v_add_u32_e32 v9, v11, v9
	v_add_u32_e32 v8, v10, v8
	ds_write_b64 v1, v[8:9]
.LBB355_95:
	s_or_b64 exec, exec, s[8:9]
	v_cmp_gt_u32_e32 vcc, 64, v0
	v_cmp_lt_u32_e64 s[8:9], 63, v0
	s_waitcnt lgkmcnt(0)
	s_barrier
	s_waitcnt lgkmcnt(0)
                                        ; implicit-def: $vgpr25
	s_and_saveexec_b64 s[10:11], s[8:9]
	s_xor_b64 s[8:9], exec, s[10:11]
	s_cbranch_execz .LBB355_97
; %bb.96:
	v_lshl_add_u32 v1, v86, 3, -8
	ds_read_b64 v[24:25], v1
	s_waitcnt lgkmcnt(0)
	v_add_u32_e32 v7, v25, v7
	v_add_u32_e32 v6, v24, v6
.LBB355_97:
	s_andn2_saveexec_b64 s[8:9], s[8:9]
; %bb.98:
                                        ; implicit-def: $vgpr24
; %bb.99:
	s_or_b64 exec, exec, s[8:9]
	v_add_u32_e32 v1, -1, v85
	v_and_b32_e32 v8, 64, v85
	v_cmp_lt_i32_e64 s[8:9], v1, v8
	v_cndmask_b32_e64 v1, v1, v85, s[8:9]
	v_lshlrev_b32_e32 v8, 2, v1
	ds_bpermute_b32 v1, v8, v6
	ds_bpermute_b32 v92, v8, v7
	v_cmp_eq_u32_e64 s[8:9], 0, v85
	s_and_saveexec_b64 s[10:11], vcc
	s_cbranch_execz .LBB355_118
; %bb.100:
	v_mov_b32_e32 v11, 0
	ds_read_b64 v[26:27], v11 offset:24
	s_and_saveexec_b64 s[12:13], s[8:9]
	s_cbranch_execz .LBB355_102
; %bb.101:
	s_add_i32 s14, s33, 64
	s_mov_b32 s15, 0
	s_lshl_b64 s[14:15], s[14:15], 4
	s_waitcnt lgkmcnt(0)
	v_and_b32_e32 v6, 0xff000000, v27
	v_and_b32_e32 v7, 0xff0000, v27
	s_add_u32 s14, s50, s14
	v_or_b32_e32 v6, v7, v6
	v_and_b32_e32 v7, 0xff00, v27
	s_addc_u32 s15, s51, s15
	v_or_b32_e32 v6, v6, v7
	v_or_b32_sdwa v9, v6, v27 dst_sel:DWORD dst_unused:UNUSED_PAD src0_sel:DWORD src1_sel:BYTE_0
	v_mov_b32_e32 v10, 1
	v_mov_b32_e32 v8, v26
	v_pk_mov_b32 v[6:7], s[14:15], s[14:15] op_sel:[0,1]
	;;#ASMSTART
	global_store_dwordx4 v[6:7], v[8:11] off	
s_waitcnt vmcnt(0)
	;;#ASMEND
.LBB355_102:
	s_or_b64 exec, exec, s[12:13]
	v_xad_u32 v28, v85, -1, s33
	v_add_u32_e32 v10, 64, v28
	v_lshlrev_b64 v[6:7], 4, v[10:11]
	v_mov_b32_e32 v8, s51
	v_add_co_u32_e32 v30, vcc, s50, v6
	v_addc_co_u32_e32 v31, vcc, v8, v7, vcc
	;;#ASMSTART
	global_load_dwordx4 v[6:9], v[30:31] off glc	
s_waitcnt vmcnt(0)
	;;#ASMEND
	v_and_b32_e32 v9, 0xff, v7
	v_and_b32_e32 v10, 0xff00, v7
	v_or3_b32 v9, 0, v9, v10
	v_or3_b32 v6, v6, 0, 0
	v_and_b32_e32 v10, 0xff000000, v7
	v_and_b32_e32 v7, 0xff0000, v7
	v_or3_b32 v7, v9, v7, v10
	v_or3_b32 v6, v6, 0, 0
	v_cmp_eq_u16_sdwa s[14:15], v8, v11 src0_sel:BYTE_0 src1_sel:DWORD
	s_and_saveexec_b64 s[12:13], s[14:15]
	s_cbranch_execz .LBB355_106
; %bb.103:
	s_mov_b64 s[14:15], 0
	v_mov_b32_e32 v10, 0
.LBB355_104:                            ; =>This Inner Loop Header: Depth=1
	;;#ASMSTART
	global_load_dwordx4 v[6:9], v[30:31] off glc	
s_waitcnt vmcnt(0)
	;;#ASMEND
	v_cmp_ne_u16_sdwa s[18:19], v8, v10 src0_sel:BYTE_0 src1_sel:DWORD
	s_or_b64 s[14:15], s[18:19], s[14:15]
	s_andn2_b64 exec, exec, s[14:15]
	s_cbranch_execnz .LBB355_104
; %bb.105:
	s_or_b64 exec, exec, s[14:15]
.LBB355_106:
	s_or_b64 exec, exec, s[12:13]
	v_and_b32_e32 v94, 63, v85
	v_cmp_ne_u32_e32 vcc, 63, v94
	v_mov_b32_e32 v93, 2
	v_addc_co_u32_e32 v30, vcc, 0, v85, vcc
	v_cmp_eq_u16_sdwa s[12:13], v8, v93 src0_sel:BYTE_0 src1_sel:DWORD
	v_lshlrev_b64 v[10:11], v85, -1
	v_lshlrev_b32_e32 v95, 2, v30
	v_and_b32_e32 v9, s13, v11
	ds_bpermute_b32 v30, v95, v6
	ds_bpermute_b32 v31, v95, v7
	v_or_b32_e32 v9, 0x80000000, v9
	v_and_b32_e32 v29, s12, v10
	v_ffbl_b32_e32 v9, v9
	v_add_u32_e32 v9, 32, v9
	v_ffbl_b32_e32 v29, v29
	v_min_u32_e32 v9, v29, v9
	s_waitcnt lgkmcnt(1)
	v_add_u32_e32 v29, v30, v6
	s_waitcnt lgkmcnt(0)
	v_add_u32_e32 v30, v31, v7
	v_cmp_lt_u32_e32 vcc, v94, v9
	v_cndmask_b32_e32 v7, v7, v30, vcc
	v_cndmask_b32_e32 v6, v6, v29, vcc
	v_cmp_gt_u32_e32 vcc, 62, v94
	v_cndmask_b32_e64 v29, 0, 1, vcc
	v_lshlrev_b32_e32 v29, 1, v29
	v_add_lshl_u32 v96, v29, v85, 2
	ds_bpermute_b32 v29, v96, v6
	ds_bpermute_b32 v30, v96, v7
	v_add_u32_e32 v97, 2, v94
	v_cmp_gt_u32_e32 vcc, v97, v9
	v_add_u32_e32 v99, 4, v94
	s_waitcnt lgkmcnt(1)
	v_add_u32_e32 v29, v6, v29
	s_waitcnt lgkmcnt(0)
	v_add_u32_e32 v30, v7, v30
	v_cndmask_b32_e32 v7, v30, v7, vcc
	v_cndmask_b32_e32 v6, v29, v6, vcc
	v_cmp_gt_u32_e32 vcc, 60, v94
	v_cndmask_b32_e64 v29, 0, 1, vcc
	v_lshlrev_b32_e32 v29, 2, v29
	v_add_lshl_u32 v98, v29, v85, 2
	ds_bpermute_b32 v29, v98, v6
	ds_bpermute_b32 v30, v98, v7
	v_cmp_gt_u32_e32 vcc, v99, v9
	v_add_u32_e32 v101, 8, v94
	v_add_u32_e32 v103, 16, v94
	s_waitcnt lgkmcnt(1)
	v_add_u32_e32 v29, v6, v29
	s_waitcnt lgkmcnt(0)
	v_add_u32_e32 v30, v7, v30
	v_cndmask_b32_e32 v7, v30, v7, vcc
	v_cndmask_b32_e32 v6, v29, v6, vcc
	v_cmp_gt_u32_e32 vcc, 56, v94
	v_cndmask_b32_e64 v29, 0, 1, vcc
	v_lshlrev_b32_e32 v29, 3, v29
	v_add_lshl_u32 v100, v29, v85, 2
	ds_bpermute_b32 v29, v100, v6
	ds_bpermute_b32 v30, v100, v7
	v_cmp_gt_u32_e32 vcc, v101, v9
	v_add_u32_e32 v105, 32, v94
	s_waitcnt lgkmcnt(1)
	v_add_u32_e32 v29, v6, v29
	s_waitcnt lgkmcnt(0)
	v_add_u32_e32 v30, v7, v30
	v_cndmask_b32_e32 v7, v30, v7, vcc
	v_cndmask_b32_e32 v6, v29, v6, vcc
	v_cmp_gt_u32_e32 vcc, 48, v94
	v_cndmask_b32_e64 v29, 0, 1, vcc
	v_lshlrev_b32_e32 v29, 4, v29
	v_add_lshl_u32 v102, v29, v85, 2
	ds_bpermute_b32 v29, v102, v6
	ds_bpermute_b32 v30, v102, v7
	v_cmp_gt_u32_e32 vcc, v103, v9
	s_waitcnt lgkmcnt(1)
	v_add_u32_e32 v29, v6, v29
	s_waitcnt lgkmcnt(0)
	v_add_u32_e32 v30, v7, v30
	v_cndmask_b32_e32 v7, v30, v7, vcc
	v_cndmask_b32_e32 v6, v29, v6, vcc
	v_cmp_gt_u32_e32 vcc, 32, v94
	v_cndmask_b32_e64 v29, 0, 1, vcc
	v_lshlrev_b32_e32 v29, 5, v29
	v_add_lshl_u32 v104, v29, v85, 2
	ds_bpermute_b32 v29, v104, v6
	ds_bpermute_b32 v30, v104, v7
	v_cmp_le_u32_e32 vcc, v105, v9
	s_waitcnt lgkmcnt(1)
	v_cndmask_b32_e32 v9, 0, v29, vcc
	s_waitcnt lgkmcnt(0)
	v_cndmask_b32_e32 v29, 0, v30, vcc
	v_add_u32_e32 v7, v7, v29
	v_add_u32_e32 v6, v6, v9
	v_mov_b32_e32 v29, 0
	s_branch .LBB355_108
.LBB355_107:                            ;   in Loop: Header=BB355_108 Depth=1
	s_or_b64 exec, exec, s[12:13]
	v_cmp_eq_u16_sdwa s[12:13], v8, v93 src0_sel:BYTE_0 src1_sel:DWORD
	v_and_b32_e32 v9, s13, v11
	ds_bpermute_b32 v33, v95, v6
	ds_bpermute_b32 v106, v95, v7
	v_or_b32_e32 v9, 0x80000000, v9
	v_and_b32_e32 v32, s12, v10
	v_ffbl_b32_e32 v9, v9
	v_add_u32_e32 v9, 32, v9
	v_ffbl_b32_e32 v32, v32
	v_min_u32_e32 v9, v32, v9
	s_waitcnt lgkmcnt(1)
	v_add_u32_e32 v32, v33, v6
	s_waitcnt lgkmcnt(0)
	v_add_u32_e32 v33, v106, v7
	v_cmp_lt_u32_e32 vcc, v94, v9
	v_cndmask_b32_e32 v7, v7, v33, vcc
	v_cndmask_b32_e32 v6, v6, v32, vcc
	ds_bpermute_b32 v32, v96, v6
	ds_bpermute_b32 v33, v96, v7
	v_cmp_gt_u32_e32 vcc, v97, v9
	v_subrev_u32_e32 v28, 64, v28
	s_waitcnt lgkmcnt(1)
	v_add_u32_e32 v32, v6, v32
	s_waitcnt lgkmcnt(0)
	v_add_u32_e32 v33, v7, v33
	v_cndmask_b32_e32 v7, v33, v7, vcc
	v_cndmask_b32_e32 v6, v32, v6, vcc
	ds_bpermute_b32 v32, v98, v6
	ds_bpermute_b32 v33, v98, v7
	v_cmp_gt_u32_e32 vcc, v99, v9
	s_waitcnt lgkmcnt(1)
	v_add_u32_e32 v32, v6, v32
	s_waitcnt lgkmcnt(0)
	v_add_u32_e32 v33, v7, v33
	v_cndmask_b32_e32 v7, v33, v7, vcc
	v_cndmask_b32_e32 v6, v32, v6, vcc
	ds_bpermute_b32 v32, v100, v6
	ds_bpermute_b32 v33, v100, v7
	v_cmp_gt_u32_e32 vcc, v101, v9
	;; [unrolled: 9-line block ×3, first 2 shown]
	s_waitcnt lgkmcnt(1)
	v_add_u32_e32 v32, v6, v32
	s_waitcnt lgkmcnt(0)
	v_add_u32_e32 v33, v7, v33
	v_cndmask_b32_e32 v7, v33, v7, vcc
	v_cndmask_b32_e32 v6, v32, v6, vcc
	ds_bpermute_b32 v32, v104, v6
	ds_bpermute_b32 v33, v104, v7
	v_cmp_le_u32_e32 vcc, v105, v9
	s_waitcnt lgkmcnt(1)
	v_cndmask_b32_e32 v9, 0, v32, vcc
	s_waitcnt lgkmcnt(0)
	v_cndmask_b32_e32 v32, 0, v33, vcc
	v_add3_u32 v7, v32, v31, v7
	v_add3_u32 v6, v9, v30, v6
.LBB355_108:                            ; =>This Loop Header: Depth=1
                                        ;     Child Loop BB355_111 Depth 2
	v_cmp_ne_u16_sdwa s[12:13], v8, v93 src0_sel:BYTE_0 src1_sel:DWORD
	v_cndmask_b32_e64 v8, 0, 1, s[12:13]
	;;#ASMSTART
	;;#ASMEND
	v_cmp_ne_u32_e32 vcc, 0, v8
	s_cmp_lg_u64 vcc, exec
	v_pk_mov_b32 v[30:31], v[6:7], v[6:7] op_sel:[0,1]
	s_cbranch_scc1 .LBB355_113
; %bb.109:                              ;   in Loop: Header=BB355_108 Depth=1
	v_lshlrev_b64 v[6:7], 4, v[28:29]
	v_mov_b32_e32 v8, s51
	v_add_co_u32_e32 v32, vcc, s50, v6
	v_addc_co_u32_e32 v33, vcc, v8, v7, vcc
	;;#ASMSTART
	global_load_dwordx4 v[6:9], v[32:33] off glc	
s_waitcnt vmcnt(0)
	;;#ASMEND
	v_and_b32_e32 v9, 0xff, v7
	v_and_b32_e32 v106, 0xff00, v7
	v_or3_b32 v9, 0, v9, v106
	v_or3_b32 v6, v6, 0, 0
	v_and_b32_e32 v106, 0xff000000, v7
	v_and_b32_e32 v7, 0xff0000, v7
	v_or3_b32 v7, v9, v7, v106
	v_or3_b32 v6, v6, 0, 0
	v_cmp_eq_u16_sdwa s[14:15], v8, v29 src0_sel:BYTE_0 src1_sel:DWORD
	s_and_saveexec_b64 s[12:13], s[14:15]
	s_cbranch_execz .LBB355_107
; %bb.110:                              ;   in Loop: Header=BB355_108 Depth=1
	s_mov_b64 s[14:15], 0
.LBB355_111:                            ;   Parent Loop BB355_108 Depth=1
                                        ; =>  This Inner Loop Header: Depth=2
	;;#ASMSTART
	global_load_dwordx4 v[6:9], v[32:33] off glc	
s_waitcnt vmcnt(0)
	;;#ASMEND
	v_cmp_ne_u16_sdwa s[18:19], v8, v29 src0_sel:BYTE_0 src1_sel:DWORD
	s_or_b64 s[14:15], s[18:19], s[14:15]
	s_andn2_b64 exec, exec, s[14:15]
	s_cbranch_execnz .LBB355_111
; %bb.112:                              ;   in Loop: Header=BB355_108 Depth=1
	s_or_b64 exec, exec, s[14:15]
	s_branch .LBB355_107
.LBB355_113:                            ;   in Loop: Header=BB355_108 Depth=1
                                        ; implicit-def: $vgpr8
                                        ; implicit-def: $vgpr6_vgpr7
	s_cbranch_execz .LBB355_108
; %bb.114:
	s_and_saveexec_b64 s[12:13], s[8:9]
	s_cbranch_execz .LBB355_116
; %bb.115:
	s_add_i32 s14, s33, 64
	s_mov_b32 s15, 0
	v_add_u32_e32 v7, v31, v27
	s_lshl_b64 s[14:15], s[14:15], 4
	s_add_u32 s14, s50, s14
	v_and_b32_e32 v8, 0xff000000, v7
	v_and_b32_e32 v10, 0xff0000, v7
	s_addc_u32 s15, s51, s15
	v_or_b32_e32 v8, v10, v8
	v_and_b32_e32 v10, 0xff00, v7
	v_and_b32_e32 v7, 0xff, v7
	v_add_u32_e32 v6, v30, v26
	v_mov_b32_e32 v9, 0
	v_or3_b32 v7, v8, v10, v7
	v_mov_b32_e32 v8, 2
	v_pk_mov_b32 v[10:11], s[14:15], s[14:15] op_sel:[0,1]
	;;#ASMSTART
	global_store_dwordx4 v[10:11], v[6:9] off	
s_waitcnt vmcnt(0)
	;;#ASMEND
	s_movk_i32 s14, 0x3400
	v_add_u32_e64 v6, s14, 0
	ds_write2_b32 v6, v26, v27 offset1:2
	ds_write2_b32 v6, v30, v31 offset0:4 offset1:6
.LBB355_116:
	s_or_b64 exec, exec, s[12:13]
	s_and_b64 exec, exec, s[0:1]
	s_cbranch_execz .LBB355_118
; %bb.117:
	v_mov_b32_e32 v6, 0
	ds_write_b64 v6, v[30:31] offset:24
.LBB355_118:
	s_or_b64 exec, exec, s[10:11]
	v_mov_b32_e32 v6, 0
	s_waitcnt lgkmcnt(0)
	s_barrier
	ds_read_b64 v[10:11], v6 offset:24
	v_cndmask_b32_e64 v25, v92, v25, s[8:9]
	v_cndmask_b32_e64 v1, v1, v24, s[8:9]
	s_movk_i32 s8, 0x3400
	s_waitcnt lgkmcnt(0)
	v_add_u32_e32 v24, v10, v1
	v_add_u32_e64 v1, s8, 0
	s_barrier
	ds_read2_b32 v[6:7], v1 offset1:2
	ds_read2_b32 v[8:9], v1 offset0:4 offset1:6
	v_add_u32_e32 v1, v11, v25
	v_cndmask_b32_e64 v1, v1, v11, s[0:1]
	v_cndmask_b32_e64 v10, v24, v10, s[0:1]
	s_branch .LBB355_129
.LBB355_119:
                                        ; implicit-def: $vgpr1
                                        ; implicit-def: $vgpr8
                                        ; implicit-def: $vgpr6
                                        ; implicit-def: $vgpr10_vgpr11
	s_cbranch_execz .LBB355_129
; %bb.120:
	s_nop 0
	v_mov_b32_dpp v1, v90 row_shr:1 row_mask:0xf bank_mask:0xf
	s_waitcnt lgkmcnt(1)
	v_mov_b32_dpp v6, v91 row_shr:1 row_mask:0xf bank_mask:0xf
	v_add_u32_e32 v1, v1, v90
	v_add_u32_e32 v6, v6, v91
	v_cndmask_b32_e64 v6, v6, v91, s[6:7]
	v_cndmask_b32_e64 v1, v1, v90, s[6:7]
	v_cmp_lt_u32_e32 vcc, 3, v89
	s_waitcnt lgkmcnt(0)
	v_mov_b32_dpp v8, v6 row_shr:2 row_mask:0xf bank_mask:0xf
	v_mov_b32_dpp v7, v1 row_shr:2 row_mask:0xf bank_mask:0xf
	v_add_u32_e32 v7, v1, v7
	v_add_u32_e32 v8, v6, v8
	v_cndmask_b32_e64 v6, v6, v8, s[4:5]
	v_cndmask_b32_e64 v1, v1, v7, s[4:5]
	s_nop 0
	v_mov_b32_dpp v8, v6 row_shr:4 row_mask:0xf bank_mask:0xf
	v_mov_b32_dpp v7, v1 row_shr:4 row_mask:0xf bank_mask:0xf
	v_add_u32_e32 v7, v1, v7
	v_add_u32_e32 v8, v6, v8
	v_cndmask_b32_e32 v6, v6, v8, vcc
	v_cndmask_b32_e32 v1, v1, v7, vcc
	v_cmp_lt_u32_e32 vcc, 7, v89
	v_mov_b32_dpp v8, v6 row_shr:8 row_mask:0xf bank_mask:0xf
	v_mov_b32_dpp v7, v1 row_shr:8 row_mask:0xf bank_mask:0xf
	v_add_u32_e32 v7, v1, v7
	v_add_u32_e32 v8, v6, v8
	v_cndmask_b32_e32 v6, v6, v8, vcc
	v_cndmask_b32_e32 v1, v1, v7, vcc
	v_cmp_eq_u32_e32 vcc, 0, v88
	v_mov_b32_dpp v8, v6 row_bcast:15 row_mask:0xf bank_mask:0xf
	v_mov_b32_dpp v7, v1 row_bcast:15 row_mask:0xf bank_mask:0xf
	v_add_u32_e32 v7, v1, v7
	v_add_u32_e32 v8, v6, v8
	v_cndmask_b32_e32 v6, v8, v6, vcc
	v_cndmask_b32_e32 v1, v7, v1, vcc
	v_cmp_lt_u32_e32 vcc, 31, v85
	v_mov_b32_dpp v8, v6 row_bcast:31 row_mask:0xf bank_mask:0xf
	v_mov_b32_dpp v7, v1 row_bcast:31 row_mask:0xf bank_mask:0xf
	v_add_u32_e32 v8, v6, v8
	v_add_u32_e32 v9, v1, v7
	v_cndmask_b32_e32 v7, v6, v8, vcc
	v_cndmask_b32_e32 v6, v1, v9, vcc
	v_cmp_eq_u32_e32 vcc, v87, v0
	s_and_saveexec_b64 s[4:5], vcc
	s_cbranch_execz .LBB355_122
; %bb.121:
	v_lshlrev_b32_e32 v1, 3, v86
	ds_write_b64 v1, v[6:7]
.LBB355_122:
	s_or_b64 exec, exec, s[4:5]
	v_cmp_gt_u32_e32 vcc, 4, v0
	s_waitcnt lgkmcnt(0)
	s_barrier
	s_and_saveexec_b64 s[4:5], vcc
	s_cbranch_execz .LBB355_124
; %bb.123:
	v_lshlrev_b32_e32 v1, 3, v0
	ds_read_b64 v[8:9], v1
	v_and_b32_e32 v10, 3, v85
	v_cmp_eq_u32_e32 vcc, 0, v10
	s_waitcnt lgkmcnt(0)
	v_mov_b32_dpp v11, v8 row_shr:1 row_mask:0xf bank_mask:0xf
	v_mov_b32_dpp v24, v9 row_shr:1 row_mask:0xf bank_mask:0xf
	v_add_u32_e32 v11, v11, v8
	v_add_u32_e32 v24, v24, v9
	v_cndmask_b32_e32 v9, v24, v9, vcc
	v_cndmask_b32_e32 v8, v11, v8, vcc
	v_cmp_lt_u32_e32 vcc, 1, v10
	v_mov_b32_dpp v24, v9 row_shr:2 row_mask:0xf bank_mask:0xf
	v_mov_b32_dpp v11, v8 row_shr:2 row_mask:0xf bank_mask:0xf
	v_cndmask_b32_e32 v10, 0, v11, vcc
	v_cndmask_b32_e32 v11, 0, v24, vcc
	v_add_u32_e32 v9, v11, v9
	v_add_u32_e32 v8, v10, v8
	ds_write_b64 v1, v[8:9]
.LBB355_124:
	s_or_b64 exec, exec, s[4:5]
	v_cmp_lt_u32_e32 vcc, 63, v0
	v_mov_b32_e32 v8, 0
	v_mov_b32_e32 v10, 0
	;; [unrolled: 1-line block ×3, first 2 shown]
	s_waitcnt lgkmcnt(0)
	s_barrier
	s_and_saveexec_b64 s[4:5], vcc
	s_cbranch_execz .LBB355_126
; %bb.125:
	v_lshl_add_u32 v1, v86, 3, -8
	ds_read_b64 v[10:11], v1
.LBB355_126:
	s_or_b64 exec, exec, s[4:5]
	s_waitcnt lgkmcnt(0)
	v_add_u32_e32 v9, v11, v7
	v_add_u32_e32 v1, v10, v6
	v_add_u32_e32 v6, -1, v85
	v_and_b32_e32 v7, 64, v85
	v_cmp_lt_i32_e32 vcc, v6, v7
	v_cndmask_b32_e32 v6, v6, v85, vcc
	v_lshlrev_b32_e32 v24, 2, v6
	ds_read_b64 v[6:7], v8 offset:24
	ds_bpermute_b32 v1, v24, v1
	ds_bpermute_b32 v24, v24, v9
	s_waitcnt lgkmcnt(2)
	v_readfirstlane_b32 s6, v7
	s_and_saveexec_b64 s[4:5], s[0:1]
	s_cbranch_execz .LBB355_128
; %bb.127:
	s_add_u32 s8, s50, 0x400
	s_mov_b32 s10, 0
	s_addc_u32 s9, s51, 0
	s_and_b32 s11, s6, 0xff000000
	s_and_b32 s13, s6, 0xff0000
	s_mov_b32 s12, s10
	s_or_b64 s[12:13], s[12:13], s[10:11]
	s_and_b32 s11, s6, 0xff00
	s_or_b64 s[12:13], s[12:13], s[10:11]
	s_and_b32 s11, s6, 0xff
	s_or_b64 s[10:11], s[12:13], s[10:11]
	v_mov_b32_e32 v7, s11
	v_mov_b32_e32 v8, 2
	;; [unrolled: 1-line block ×3, first 2 shown]
	v_pk_mov_b32 v[26:27], s[8:9], s[8:9] op_sel:[0,1]
	;;#ASMSTART
	global_store_dwordx4 v[26:27], v[6:9] off	
s_waitcnt vmcnt(0)
	;;#ASMEND
.LBB355_128:
	s_or_b64 exec, exec, s[4:5]
	v_cmp_eq_u32_e32 vcc, 0, v85
	s_waitcnt lgkmcnt(1)
	v_cndmask_b32_e32 v7, v1, v10, vcc
	s_waitcnt lgkmcnt(0)
	v_cndmask_b32_e32 v1, v24, v11, vcc
	v_mov_b32_e32 v8, 0
	v_cndmask_b32_e64 v1, v1, 0, s[0:1]
	v_cndmask_b32_e64 v10, v7, 0, s[0:1]
	s_barrier
	v_mov_b32_e32 v7, s6
	v_mov_b32_e32 v9, 0
.LBB355_129:
	v_add_u32_e32 v11, v10, v67
	v_add_u32_e32 v26, v1, v68
	;; [unrolled: 1-line block ×13, first 2 shown]
	s_waitcnt vmcnt(0) lgkmcnt(0)
	v_add_co_u32_e32 v2, vcc, v2, v8
	v_add_u32_e32 v68, v62, v74
	v_add_u32_e32 v64, v67, v64
	v_addc_co_u32_e32 v3, vcc, 0, v3, vcc
	v_add_u32_e32 v69, v68, v82
	v_add_u32_e32 v70, v64, v75
	v_sub_co_u32_e32 v24, vcc, v4, v6
	v_add_u32_e32 v71, v69, v76
	v_add_u32_e32 v65, v70, v65
	v_subbrev_co_u32_e32 v25, vcc, 0, v5, vcc
	v_lshlrev_b32_e32 v76, 1, v6
	v_sub_u32_e32 v1, v1, v9
	v_add_u32_e32 v73, v65, v77
	v_add_co_u32_e32 v24, vcc, v24, v9
	v_add_u32_e32 v77, v76, v7
	v_sub_u32_e32 v10, v10, v8
	v_add_u32_e32 v1, v1, v6
	v_addc_co_u32_e32 v25, vcc, 0, v25, vcc
	v_add_u32_e32 v36, v77, v36
	v_and_b32_e32 v38, 1, v38
	v_add_u32_e32 v77, v10, v1
	v_and_b32_e32 v37, 1, v37
	v_sub_u32_e32 v77, v36, v77
	v_cmp_eq_u32_e32 vcc, 1, v38
	v_cndmask_b32_e32 v1, v77, v1, vcc
	v_cmp_eq_u32_e32 vcc, 1, v37
	v_cndmask_b32_e32 v1, v1, v10, vcc
	v_lshlrev_b32_e32 v1, 2, v1
	ds_write_b32 v1, v22
	v_sub_u32_e32 v1, v11, v8
	v_sub_u32_e32 v11, v26, v9
	v_add_u32_e32 v11, v11, v6
	v_add_u32_e32 v26, v11, v1
	v_and_b32_e32 v22, 1, v40
	v_sub_u32_e32 v26, v36, v26
	v_and_b32_e32 v10, 1, v39
	v_add_u32_e32 v26, 1, v26
	v_cmp_eq_u32_e32 vcc, 1, v22
	v_cndmask_b32_e32 v11, v26, v11, vcc
	v_cmp_eq_u32_e32 vcc, 1, v10
	v_cndmask_b32_e32 v1, v11, v1, vcc
	v_lshlrev_b32_e32 v1, 2, v1
	v_sub_u32_e32 v11, v27, v9
	ds_write_b32 v1, v23
	v_sub_u32_e32 v1, v28, v8
	v_add_u32_e32 v11, v11, v6
	v_add_u32_e32 v23, v11, v1
	v_and_b32_e32 v22, 1, v42
	v_sub_u32_e32 v23, v36, v23
	v_and_b32_e32 v10, 1, v41
	v_add_u32_e32 v23, 2, v23
	v_cmp_eq_u32_e32 vcc, 1, v22
	v_cndmask_b32_e32 v11, v23, v11, vcc
	v_cmp_eq_u32_e32 vcc, 1, v10
	v_cndmask_b32_e32 v1, v11, v1, vcc
	v_lshlrev_b32_e32 v1, 2, v1
	v_sub_u32_e32 v11, v30, v9
	ds_write_b32 v1, v20
	;; [unrolled: 14-line block ×8, first 2 shown]
	v_sub_u32_e32 v1, v70, v8
	v_add_u32_e32 v11, v11, v6
	v_add_u32_e32 v16, v1, v11
	v_and_b32_e32 v14, 1, v55
	v_sub_u32_e32 v16, v36, v16
	v_and_b32_e32 v10, 1, v56
	v_add_u32_e32 v16, 9, v16
	v_cmp_eq_u32_e32 vcc, 1, v14
	v_cndmask_b32_e32 v11, v16, v11, vcc
	v_cmp_eq_u32_e32 vcc, 1, v10
	v_add_u32_e32 v72, v71, v83
	v_cndmask_b32_e32 v1, v11, v1, vcc
	v_lshlrev_b32_e32 v1, 2, v1
	v_sub_u32_e32 v11, v72, v9
	ds_write_b32 v1, v15
	v_sub_u32_e32 v1, v65, v8
	v_add_u32_e32 v11, v11, v6
	v_add_u32_e32 v15, v1, v11
	v_and_b32_e32 v14, 1, v57
	v_sub_u32_e32 v15, v36, v15
	v_and_b32_e32 v10, 1, v58
	v_add_u32_e32 v15, 10, v15
	v_cmp_eq_u32_e32 vcc, 1, v14
	v_cndmask_b32_e32 v11, v15, v11, vcc
	v_cmp_eq_u32_e32 vcc, 1, v10
	v_add_u32_e32 v74, v72, v78
	v_cndmask_b32_e32 v1, v11, v1, vcc
	v_lshlrev_b32_e32 v1, 2, v1
	v_sub_u32_e32 v11, v74, v9
	ds_write_b32 v1, v12
	v_sub_u32_e32 v1, v73, v8
	v_add_u32_e32 v11, v11, v6
	v_add_u32_e32 v14, v1, v11
	v_and_b32_e32 v12, 1, v59
	v_sub_u32_e32 v14, v36, v14
	v_and_b32_e32 v10, 1, v60
	v_add_u32_e32 v14, 11, v14
	v_cmp_eq_u32_e32 vcc, 1, v12
	v_cndmask_b32_e32 v11, v14, v11, vcc
	v_cmp_eq_u32_e32 vcc, 1, v10
	v_cndmask_b32_e32 v1, v11, v1, vcc
	v_add_u32_e32 v75, v74, v84
	v_add_u32_e32 v66, v73, v66
	v_lshlrev_b32_e32 v1, 2, v1
	ds_write_b32 v1, v13
	v_sub_u32_e32 v1, v66, v8
	v_sub_u32_e32 v8, v75, v9
	v_add_u32_e32 v8, v8, v6
	v_add_u32_e32 v10, v1, v8
	v_sub_u32_e32 v10, v36, v10
	v_add_u32_e32 v10, 12, v10
	v_cndmask_b32_e64 v8, v10, v8, s[54:55]
	v_cndmask_b32_e64 v1, v8, v1, s[52:53]
	v_lshlrev_b32_e32 v1, 2, v1
	ds_write_b32 v1, v35
	v_mov_b32_e32 v1, s49
	v_add_co_u32_e32 v8, vcc, s48, v34
	v_addc_co_u32_e32 v10, vcc, 0, v1, vcc
	v_add_co_u32_e32 v1, vcc, v7, v76
	v_addc_co_u32_e64 v11, s[4:5], 0, 0, vcc
	v_add_co_u32_e32 v1, vcc, v1, v24
	v_addc_co_u32_e32 v11, vcc, v11, v25, vcc
	v_add_co_u32_e32 v1, vcc, v1, v2
	v_addc_co_u32_e32 v11, vcc, v11, v3, vcc
	v_sub_co_u32_e32 v1, vcc, v8, v1
	v_subb_co_u32_e32 v8, vcc, v10, v11, vcc
	v_lshlrev_b64 v[10:11], 2, v[24:25]
	v_mov_b32_e32 v12, s47
	v_add_co_u32_e32 v10, vcc, s46, v10
	v_addc_co_u32_e32 v11, vcc, v12, v11, vcc
	v_lshlrev_b64 v[12:13], 2, v[2:3]
	v_mov_b32_e32 v15, s45
	v_add_co_u32_e32 v12, vcc, s44, v12
	s_add_u32 s8, s34, -4
	v_addc_co_u32_e32 v13, vcc, v15, v13, vcc
	s_addc_u32 s9, s35, -1
	v_add_u32_e32 v14, v6, v7
	s_and_b64 vcc, exec, s[2:3]
	s_mov_b64 s[2:3], -1
	s_waitcnt lgkmcnt(0)
	s_barrier
	s_cbranch_vccz .LBB355_133
; %bb.130:
	s_and_b64 vcc, exec, s[2:3]
	s_cbranch_vccnz .LBB355_238
.LBB355_131:
	s_and_b64 s[0:1], s[0:1], s[30:31]
	s_and_saveexec_b64 s[2:3], s[0:1]
	s_cbranch_execnz .LBB355_356
.LBB355_132:
	s_endpgm
.LBB355_133:
	v_cmp_le_u32_e32 vcc, v6, v0
	s_and_saveexec_b64 s[2:3], vcc
	s_xor_b64 s[2:3], exec, s[2:3]
	s_cbranch_execz .LBB355_139
; %bb.134:
	v_cmp_le_u32_e32 vcc, v14, v0
	s_and_saveexec_b64 s[4:5], vcc
	s_xor_b64 s[4:5], exec, s[4:5]
	s_cbranch_execz .LBB355_136
; %bb.135:
	v_lshlrev_b32_e32 v15, 2, v0
	v_add_co_u32_e32 v16, vcc, v1, v0
	ds_read_b32 v15, v15
	v_addc_co_u32_e32 v17, vcc, 0, v8, vcc
	v_lshlrev_b64 v[16:17], 2, v[16:17]
	v_mov_b32_e32 v18, s35
	v_sub_co_u32_e32 v16, vcc, s34, v16
	v_subb_co_u32_e32 v17, vcc, v18, v17, vcc
	s_waitcnt lgkmcnt(0)
	global_store_dword v[16:17], v15, off offset:-4
.LBB355_136:
	s_andn2_saveexec_b64 s[4:5], s[4:5]
	s_cbranch_execz .LBB355_138
; %bb.137:
	v_lshlrev_b32_e32 v15, 2, v0
	ds_read_b32 v16, v15
	v_readfirstlane_b32 s6, v10
	v_readfirstlane_b32 s7, v11
	s_waitcnt lgkmcnt(0)
	s_nop 3
	global_store_dword v15, v16, s[6:7]
.LBB355_138:
	s_or_b64 exec, exec, s[4:5]
.LBB355_139:
	s_andn2_saveexec_b64 s[2:3], s[2:3]
	s_cbranch_execz .LBB355_141
; %bb.140:
	v_lshlrev_b32_e32 v15, 2, v0
	ds_read_b32 v16, v15
	v_readfirstlane_b32 s4, v12
	v_readfirstlane_b32 s5, v13
	s_waitcnt lgkmcnt(0)
	s_nop 3
	global_store_dword v15, v16, s[4:5]
.LBB355_141:
	s_or_b64 exec, exec, s[2:3]
	v_or_b32_e32 v15, 0x100, v0
	v_cmp_le_u32_e32 vcc, v6, v15
	s_and_saveexec_b64 s[2:3], vcc
	s_xor_b64 s[2:3], exec, s[2:3]
	s_cbranch_execz .LBB355_147
; %bb.142:
	v_cmp_le_u32_e32 vcc, v14, v15
	s_and_saveexec_b64 s[4:5], vcc
	s_xor_b64 s[4:5], exec, s[4:5]
	s_cbranch_execz .LBB355_144
; %bb.143:
	v_lshlrev_b32_e32 v15, 2, v0
	ds_read_b32 v15, v15 offset:1024
	v_add_co_u32_e32 v16, vcc, v1, v0
	v_addc_co_u32_e32 v17, vcc, 0, v8, vcc
	v_lshlrev_b64 v[16:17], 2, v[16:17]
	v_mov_b32_e32 v18, s9
	v_sub_co_u32_e32 v16, vcc, s8, v16
	v_subb_co_u32_e32 v17, vcc, v18, v17, vcc
	s_waitcnt lgkmcnt(0)
	global_store_dword v[16:17], v15, off offset:-1024
.LBB355_144:
	s_andn2_saveexec_b64 s[4:5], s[4:5]
	s_cbranch_execz .LBB355_146
; %bb.145:
	v_lshlrev_b32_e32 v15, 2, v0
	ds_read_b32 v16, v15 offset:1024
	v_readfirstlane_b32 s6, v10
	v_readfirstlane_b32 s7, v11
	s_waitcnt lgkmcnt(0)
	s_nop 3
	global_store_dword v15, v16, s[6:7] offset:1024
.LBB355_146:
	s_or_b64 exec, exec, s[4:5]
.LBB355_147:
	s_andn2_saveexec_b64 s[2:3], s[2:3]
	s_cbranch_execz .LBB355_149
; %bb.148:
	v_lshlrev_b32_e32 v15, 2, v0
	ds_read_b32 v16, v15 offset:1024
	v_readfirstlane_b32 s4, v12
	v_readfirstlane_b32 s5, v13
	s_waitcnt lgkmcnt(0)
	s_nop 3
	global_store_dword v15, v16, s[4:5] offset:1024
.LBB355_149:
	s_or_b64 exec, exec, s[2:3]
	v_or_b32_e32 v15, 0x200, v0
	v_cmp_le_u32_e32 vcc, v6, v15
	s_and_saveexec_b64 s[2:3], vcc
	s_xor_b64 s[2:3], exec, s[2:3]
	s_cbranch_execz .LBB355_155
; %bb.150:
	v_cmp_le_u32_e32 vcc, v14, v15
	s_and_saveexec_b64 s[4:5], vcc
	s_xor_b64 s[4:5], exec, s[4:5]
	s_cbranch_execz .LBB355_152
; %bb.151:
	v_lshlrev_b32_e32 v15, 2, v0
	ds_read_b32 v15, v15 offset:2048
	v_add_co_u32_e32 v16, vcc, v1, v0
	v_addc_co_u32_e32 v17, vcc, 0, v8, vcc
	v_lshlrev_b64 v[16:17], 2, v[16:17]
	v_mov_b32_e32 v18, s9
	v_sub_co_u32_e32 v16, vcc, s8, v16
	v_subb_co_u32_e32 v17, vcc, v18, v17, vcc
	s_waitcnt lgkmcnt(0)
	global_store_dword v[16:17], v15, off offset:-2048
.LBB355_152:
	s_andn2_saveexec_b64 s[4:5], s[4:5]
	s_cbranch_execz .LBB355_154
; %bb.153:
	v_lshlrev_b32_e32 v15, 2, v0
	ds_read_b32 v16, v15 offset:2048
	v_readfirstlane_b32 s6, v10
	v_readfirstlane_b32 s7, v11
	s_waitcnt lgkmcnt(0)
	s_nop 3
	global_store_dword v15, v16, s[6:7] offset:2048
.LBB355_154:
	s_or_b64 exec, exec, s[4:5]
.LBB355_155:
	s_andn2_saveexec_b64 s[2:3], s[2:3]
	s_cbranch_execz .LBB355_157
; %bb.156:
	v_lshlrev_b32_e32 v15, 2, v0
	ds_read_b32 v16, v15 offset:2048
	v_readfirstlane_b32 s4, v12
	v_readfirstlane_b32 s5, v13
	s_waitcnt lgkmcnt(0)
	s_nop 3
	global_store_dword v15, v16, s[4:5] offset:2048
.LBB355_157:
	;; [unrolled: 47-line block ×3, first 2 shown]
	s_or_b64 exec, exec, s[2:3]
	v_or_b32_e32 v15, 0x400, v0
	v_cmp_le_u32_e32 vcc, v6, v15
	s_and_saveexec_b64 s[2:3], vcc
	s_xor_b64 s[2:3], exec, s[2:3]
	s_cbranch_execz .LBB355_171
; %bb.166:
	v_cmp_le_u32_e32 vcc, v14, v15
	s_and_saveexec_b64 s[4:5], vcc
	s_xor_b64 s[4:5], exec, s[4:5]
	s_cbranch_execz .LBB355_168
; %bb.167:
	v_lshlrev_b32_e32 v15, 2, v0
	ds_read_b32 v15, v15 offset:4096
	v_add_co_u32_e32 v16, vcc, v1, v0
	v_addc_co_u32_e32 v17, vcc, 0, v8, vcc
	v_lshlrev_b64 v[16:17], 2, v[16:17]
	v_mov_b32_e32 v18, s9
	v_sub_co_u32_e32 v16, vcc, s8, v16
	v_subb_co_u32_e32 v17, vcc, v18, v17, vcc
	s_waitcnt lgkmcnt(0)
	global_store_dword v[16:17], v15, off offset:-4096
                                        ; implicit-def: $vgpr15
.LBB355_168:
	s_andn2_saveexec_b64 s[4:5], s[4:5]
	s_cbranch_execz .LBB355_170
; %bb.169:
	v_lshlrev_b32_e32 v16, 2, v0
	ds_read_b32 v16, v16 offset:4096
	v_lshlrev_b32_e32 v15, 2, v15
	v_readfirstlane_b32 s6, v10
	v_readfirstlane_b32 s7, v11
	s_waitcnt lgkmcnt(0)
	s_nop 3
	global_store_dword v15, v16, s[6:7]
.LBB355_170:
	s_or_b64 exec, exec, s[4:5]
                                        ; implicit-def: $vgpr15
.LBB355_171:
	s_andn2_saveexec_b64 s[2:3], s[2:3]
	s_cbranch_execz .LBB355_173
; %bb.172:
	v_lshlrev_b32_e32 v16, 2, v0
	ds_read_b32 v16, v16 offset:4096
	v_lshlrev_b32_e32 v15, 2, v15
	v_readfirstlane_b32 s4, v12
	v_readfirstlane_b32 s5, v13
	s_waitcnt lgkmcnt(0)
	s_nop 3
	global_store_dword v15, v16, s[4:5]
.LBB355_173:
	s_or_b64 exec, exec, s[2:3]
	v_or_b32_e32 v15, 0x500, v0
	v_cmp_le_u32_e32 vcc, v6, v15
	s_and_saveexec_b64 s[2:3], vcc
	s_xor_b64 s[2:3], exec, s[2:3]
	s_cbranch_execz .LBB355_179
; %bb.174:
	v_cmp_le_u32_e32 vcc, v14, v15
	s_and_saveexec_b64 s[4:5], vcc
	s_xor_b64 s[4:5], exec, s[4:5]
	s_cbranch_execz .LBB355_176
; %bb.175:
	v_add_co_u32_e32 v16, vcc, v1, v15
	v_lshlrev_b32_e32 v15, 2, v0
	ds_read_b32 v15, v15 offset:5120
	v_addc_co_u32_e32 v17, vcc, 0, v8, vcc
	v_lshlrev_b64 v[16:17], 2, v[16:17]
	v_mov_b32_e32 v18, s9
	v_sub_co_u32_e32 v16, vcc, s8, v16
	v_subb_co_u32_e32 v17, vcc, v18, v17, vcc
	s_waitcnt lgkmcnt(0)
	global_store_dword v[16:17], v15, off
                                        ; implicit-def: $vgpr15
.LBB355_176:
	s_andn2_saveexec_b64 s[4:5], s[4:5]
	s_cbranch_execz .LBB355_178
; %bb.177:
	v_lshlrev_b32_e32 v16, 2, v0
	ds_read_b32 v16, v16 offset:5120
	v_lshlrev_b32_e32 v15, 2, v15
	v_readfirstlane_b32 s6, v10
	v_readfirstlane_b32 s7, v11
	s_waitcnt lgkmcnt(0)
	s_nop 3
	global_store_dword v15, v16, s[6:7]
.LBB355_178:
	s_or_b64 exec, exec, s[4:5]
                                        ; implicit-def: $vgpr15
.LBB355_179:
	s_andn2_saveexec_b64 s[2:3], s[2:3]
	s_cbranch_execz .LBB355_181
; %bb.180:
	v_lshlrev_b32_e32 v16, 2, v0
	ds_read_b32 v16, v16 offset:5120
	v_lshlrev_b32_e32 v15, 2, v15
	v_readfirstlane_b32 s4, v12
	v_readfirstlane_b32 s5, v13
	s_waitcnt lgkmcnt(0)
	s_nop 3
	global_store_dword v15, v16, s[4:5]
.LBB355_181:
	s_or_b64 exec, exec, s[2:3]
	v_or_b32_e32 v15, 0x600, v0
	v_cmp_le_u32_e32 vcc, v6, v15
	s_and_saveexec_b64 s[2:3], vcc
	s_xor_b64 s[2:3], exec, s[2:3]
	s_cbranch_execz .LBB355_187
; %bb.182:
	v_cmp_le_u32_e32 vcc, v14, v15
	s_and_saveexec_b64 s[4:5], vcc
	s_xor_b64 s[4:5], exec, s[4:5]
	s_cbranch_execz .LBB355_184
; %bb.183:
	v_add_co_u32_e32 v16, vcc, v1, v15
	v_lshlrev_b32_e32 v15, 2, v0
	ds_read_b32 v15, v15 offset:6144
	v_addc_co_u32_e32 v17, vcc, 0, v8, vcc
	v_lshlrev_b64 v[16:17], 2, v[16:17]
	v_mov_b32_e32 v18, s9
	v_sub_co_u32_e32 v16, vcc, s8, v16
	v_subb_co_u32_e32 v17, vcc, v18, v17, vcc
	s_waitcnt lgkmcnt(0)
	global_store_dword v[16:17], v15, off
                                        ; implicit-def: $vgpr15
.LBB355_184:
	s_andn2_saveexec_b64 s[4:5], s[4:5]
	s_cbranch_execz .LBB355_186
; %bb.185:
	v_lshlrev_b32_e32 v16, 2, v0
	ds_read_b32 v16, v16 offset:6144
	v_lshlrev_b32_e32 v15, 2, v15
	v_readfirstlane_b32 s6, v10
	v_readfirstlane_b32 s7, v11
	s_waitcnt lgkmcnt(0)
	s_nop 3
	global_store_dword v15, v16, s[6:7]
.LBB355_186:
	s_or_b64 exec, exec, s[4:5]
                                        ; implicit-def: $vgpr15
.LBB355_187:
	;; [unrolled: 51-line block ×8, first 2 shown]
	s_andn2_saveexec_b64 s[2:3], s[2:3]
	s_cbranch_execz .LBB355_237
; %bb.236:
	v_lshlrev_b32_e32 v16, 2, v0
	ds_read_b32 v16, v16 offset:12288
	v_lshlrev_b32_e32 v15, 2, v15
	v_readfirstlane_b32 s4, v12
	v_readfirstlane_b32 s5, v13
	s_waitcnt lgkmcnt(0)
	s_nop 3
	global_store_dword v15, v16, s[4:5]
.LBB355_237:
	s_or_b64 exec, exec, s[2:3]
	s_branch .LBB355_131
.LBB355_238:
	v_cmp_gt_u32_e32 vcc, s16, v0
	s_and_saveexec_b64 s[2:3], vcc
	s_cbranch_execz .LBB355_247
; %bb.239:
	v_cmp_le_u32_e32 vcc, v6, v0
	s_and_saveexec_b64 s[4:5], vcc
	s_xor_b64 s[4:5], exec, s[4:5]
	s_cbranch_execz .LBB355_245
; %bb.240:
	v_cmp_le_u32_e32 vcc, v14, v0
	s_and_saveexec_b64 s[6:7], vcc
	s_xor_b64 s[6:7], exec, s[6:7]
	s_cbranch_execz .LBB355_242
; %bb.241:
	v_lshlrev_b32_e32 v15, 2, v0
	v_add_co_u32_e32 v16, vcc, v1, v0
	ds_read_b32 v15, v15
	v_addc_co_u32_e32 v17, vcc, 0, v8, vcc
	v_lshlrev_b64 v[16:17], 2, v[16:17]
	v_mov_b32_e32 v18, s35
	v_sub_co_u32_e32 v16, vcc, s34, v16
	v_subb_co_u32_e32 v17, vcc, v18, v17, vcc
	s_waitcnt lgkmcnt(0)
	global_store_dword v[16:17], v15, off offset:-4
.LBB355_242:
	s_andn2_saveexec_b64 s[6:7], s[6:7]
	s_cbranch_execz .LBB355_244
; %bb.243:
	v_lshlrev_b32_e32 v15, 2, v0
	ds_read_b32 v16, v15
	v_readfirstlane_b32 s10, v10
	v_readfirstlane_b32 s11, v11
	s_waitcnt lgkmcnt(0)
	s_nop 3
	global_store_dword v15, v16, s[10:11]
.LBB355_244:
	s_or_b64 exec, exec, s[6:7]
.LBB355_245:
	s_andn2_saveexec_b64 s[4:5], s[4:5]
	s_cbranch_execz .LBB355_247
; %bb.246:
	v_lshlrev_b32_e32 v15, 2, v0
	ds_read_b32 v16, v15
	v_readfirstlane_b32 s4, v12
	v_readfirstlane_b32 s5, v13
	s_waitcnt lgkmcnt(0)
	s_nop 3
	global_store_dword v15, v16, s[4:5]
.LBB355_247:
	s_or_b64 exec, exec, s[2:3]
	v_or_b32_e32 v15, 0x100, v0
	v_cmp_gt_u32_e32 vcc, s16, v15
	s_and_saveexec_b64 s[2:3], vcc
	s_cbranch_execz .LBB355_256
; %bb.248:
	v_cmp_le_u32_e32 vcc, v6, v15
	s_and_saveexec_b64 s[4:5], vcc
	s_xor_b64 s[4:5], exec, s[4:5]
	s_cbranch_execz .LBB355_254
; %bb.249:
	v_cmp_le_u32_e32 vcc, v14, v15
	s_and_saveexec_b64 s[6:7], vcc
	s_xor_b64 s[6:7], exec, s[6:7]
	s_cbranch_execz .LBB355_251
; %bb.250:
	v_lshlrev_b32_e32 v15, 2, v0
	ds_read_b32 v15, v15 offset:1024
	v_add_co_u32_e32 v16, vcc, v1, v0
	v_addc_co_u32_e32 v17, vcc, 0, v8, vcc
	v_lshlrev_b64 v[16:17], 2, v[16:17]
	v_mov_b32_e32 v18, s9
	v_sub_co_u32_e32 v16, vcc, s8, v16
	v_subb_co_u32_e32 v17, vcc, v18, v17, vcc
	s_waitcnt lgkmcnt(0)
	global_store_dword v[16:17], v15, off offset:-1024
.LBB355_251:
	s_andn2_saveexec_b64 s[6:7], s[6:7]
	s_cbranch_execz .LBB355_253
; %bb.252:
	v_lshlrev_b32_e32 v15, 2, v0
	ds_read_b32 v16, v15 offset:1024
	v_readfirstlane_b32 s10, v10
	v_readfirstlane_b32 s11, v11
	s_waitcnt lgkmcnt(0)
	s_nop 3
	global_store_dword v15, v16, s[10:11] offset:1024
.LBB355_253:
	s_or_b64 exec, exec, s[6:7]
.LBB355_254:
	s_andn2_saveexec_b64 s[4:5], s[4:5]
	s_cbranch_execz .LBB355_256
; %bb.255:
	v_lshlrev_b32_e32 v15, 2, v0
	ds_read_b32 v16, v15 offset:1024
	v_readfirstlane_b32 s4, v12
	v_readfirstlane_b32 s5, v13
	s_waitcnt lgkmcnt(0)
	s_nop 3
	global_store_dword v15, v16, s[4:5] offset:1024
.LBB355_256:
	s_or_b64 exec, exec, s[2:3]
	v_or_b32_e32 v15, 0x200, v0
	v_cmp_gt_u32_e32 vcc, s16, v15
	s_and_saveexec_b64 s[2:3], vcc
	s_cbranch_execz .LBB355_265
; %bb.257:
	v_cmp_le_u32_e32 vcc, v6, v15
	s_and_saveexec_b64 s[4:5], vcc
	s_xor_b64 s[4:5], exec, s[4:5]
	s_cbranch_execz .LBB355_263
; %bb.258:
	v_cmp_le_u32_e32 vcc, v14, v15
	s_and_saveexec_b64 s[6:7], vcc
	s_xor_b64 s[6:7], exec, s[6:7]
	s_cbranch_execz .LBB355_260
; %bb.259:
	v_lshlrev_b32_e32 v15, 2, v0
	ds_read_b32 v15, v15 offset:2048
	v_add_co_u32_e32 v16, vcc, v1, v0
	v_addc_co_u32_e32 v17, vcc, 0, v8, vcc
	v_lshlrev_b64 v[16:17], 2, v[16:17]
	v_mov_b32_e32 v18, s9
	v_sub_co_u32_e32 v16, vcc, s8, v16
	v_subb_co_u32_e32 v17, vcc, v18, v17, vcc
	s_waitcnt lgkmcnt(0)
	global_store_dword v[16:17], v15, off offset:-2048
.LBB355_260:
	s_andn2_saveexec_b64 s[6:7], s[6:7]
	s_cbranch_execz .LBB355_262
; %bb.261:
	v_lshlrev_b32_e32 v15, 2, v0
	ds_read_b32 v16, v15 offset:2048
	v_readfirstlane_b32 s10, v10
	v_readfirstlane_b32 s11, v11
	s_waitcnt lgkmcnt(0)
	s_nop 3
	global_store_dword v15, v16, s[10:11] offset:2048
.LBB355_262:
	s_or_b64 exec, exec, s[6:7]
.LBB355_263:
	s_andn2_saveexec_b64 s[4:5], s[4:5]
	s_cbranch_execz .LBB355_265
; %bb.264:
	v_lshlrev_b32_e32 v15, 2, v0
	ds_read_b32 v16, v15 offset:2048
	v_readfirstlane_b32 s4, v12
	v_readfirstlane_b32 s5, v13
	s_waitcnt lgkmcnt(0)
	s_nop 3
	global_store_dword v15, v16, s[4:5] offset:2048
.LBB355_265:
	s_or_b64 exec, exec, s[2:3]
	v_or_b32_e32 v15, 0x300, v0
	v_cmp_gt_u32_e32 vcc, s16, v15
	s_and_saveexec_b64 s[2:3], vcc
	s_cbranch_execz .LBB355_274
; %bb.266:
	v_cmp_le_u32_e32 vcc, v6, v15
	s_and_saveexec_b64 s[4:5], vcc
	s_xor_b64 s[4:5], exec, s[4:5]
	s_cbranch_execz .LBB355_272
; %bb.267:
	v_cmp_le_u32_e32 vcc, v14, v15
	s_and_saveexec_b64 s[6:7], vcc
	s_xor_b64 s[6:7], exec, s[6:7]
	s_cbranch_execz .LBB355_269
; %bb.268:
	v_lshlrev_b32_e32 v15, 2, v0
	ds_read_b32 v15, v15 offset:3072
	v_add_co_u32_e32 v16, vcc, v1, v0
	v_addc_co_u32_e32 v17, vcc, 0, v8, vcc
	v_lshlrev_b64 v[16:17], 2, v[16:17]
	v_mov_b32_e32 v18, s9
	v_sub_co_u32_e32 v16, vcc, s8, v16
	v_subb_co_u32_e32 v17, vcc, v18, v17, vcc
	s_waitcnt lgkmcnt(0)
	global_store_dword v[16:17], v15, off offset:-3072
.LBB355_269:
	s_andn2_saveexec_b64 s[6:7], s[6:7]
	s_cbranch_execz .LBB355_271
; %bb.270:
	v_lshlrev_b32_e32 v15, 2, v0
	ds_read_b32 v16, v15 offset:3072
	v_readfirstlane_b32 s10, v10
	v_readfirstlane_b32 s11, v11
	s_waitcnt lgkmcnt(0)
	s_nop 3
	global_store_dword v15, v16, s[10:11] offset:3072
.LBB355_271:
	s_or_b64 exec, exec, s[6:7]
.LBB355_272:
	s_andn2_saveexec_b64 s[4:5], s[4:5]
	s_cbranch_execz .LBB355_274
; %bb.273:
	v_lshlrev_b32_e32 v15, 2, v0
	ds_read_b32 v16, v15 offset:3072
	v_readfirstlane_b32 s4, v12
	v_readfirstlane_b32 s5, v13
	s_waitcnt lgkmcnt(0)
	s_nop 3
	global_store_dword v15, v16, s[4:5] offset:3072
.LBB355_274:
	s_or_b64 exec, exec, s[2:3]
	v_or_b32_e32 v15, 0x400, v0
	v_cmp_gt_u32_e32 vcc, s16, v15
	s_and_saveexec_b64 s[2:3], vcc
	s_cbranch_execz .LBB355_283
; %bb.275:
	v_cmp_le_u32_e32 vcc, v6, v15
	s_and_saveexec_b64 s[4:5], vcc
	s_xor_b64 s[4:5], exec, s[4:5]
	s_cbranch_execz .LBB355_281
; %bb.276:
	v_cmp_le_u32_e32 vcc, v14, v15
	s_and_saveexec_b64 s[6:7], vcc
	s_xor_b64 s[6:7], exec, s[6:7]
	s_cbranch_execz .LBB355_278
; %bb.277:
	v_lshlrev_b32_e32 v15, 2, v0
	ds_read_b32 v15, v15 offset:4096
	v_add_co_u32_e32 v16, vcc, v1, v0
	v_addc_co_u32_e32 v17, vcc, 0, v8, vcc
	v_lshlrev_b64 v[16:17], 2, v[16:17]
	v_mov_b32_e32 v18, s9
	v_sub_co_u32_e32 v16, vcc, s8, v16
	v_subb_co_u32_e32 v17, vcc, v18, v17, vcc
	s_waitcnt lgkmcnt(0)
	global_store_dword v[16:17], v15, off offset:-4096
                                        ; implicit-def: $vgpr15
.LBB355_278:
	s_andn2_saveexec_b64 s[6:7], s[6:7]
	s_cbranch_execz .LBB355_280
; %bb.279:
	v_lshlrev_b32_e32 v16, 2, v0
	ds_read_b32 v16, v16 offset:4096
	v_lshlrev_b32_e32 v15, 2, v15
	v_readfirstlane_b32 s10, v10
	v_readfirstlane_b32 s11, v11
	s_waitcnt lgkmcnt(0)
	s_nop 3
	global_store_dword v15, v16, s[10:11]
.LBB355_280:
	s_or_b64 exec, exec, s[6:7]
                                        ; implicit-def: $vgpr15
.LBB355_281:
	s_andn2_saveexec_b64 s[4:5], s[4:5]
	s_cbranch_execz .LBB355_283
; %bb.282:
	v_lshlrev_b32_e32 v16, 2, v0
	ds_read_b32 v16, v16 offset:4096
	v_lshlrev_b32_e32 v15, 2, v15
	v_readfirstlane_b32 s4, v12
	v_readfirstlane_b32 s5, v13
	s_waitcnt lgkmcnt(0)
	s_nop 3
	global_store_dword v15, v16, s[4:5]
.LBB355_283:
	s_or_b64 exec, exec, s[2:3]
	v_or_b32_e32 v15, 0x500, v0
	v_cmp_gt_u32_e32 vcc, s16, v15
	s_and_saveexec_b64 s[2:3], vcc
	s_cbranch_execz .LBB355_292
; %bb.284:
	v_cmp_le_u32_e32 vcc, v6, v15
	s_and_saveexec_b64 s[4:5], vcc
	s_xor_b64 s[4:5], exec, s[4:5]
	s_cbranch_execz .LBB355_290
; %bb.285:
	v_cmp_le_u32_e32 vcc, v14, v15
	s_and_saveexec_b64 s[6:7], vcc
	s_xor_b64 s[6:7], exec, s[6:7]
	s_cbranch_execz .LBB355_287
; %bb.286:
	v_add_co_u32_e32 v16, vcc, v1, v15
	v_lshlrev_b32_e32 v15, 2, v0
	ds_read_b32 v15, v15 offset:5120
	v_addc_co_u32_e32 v17, vcc, 0, v8, vcc
	v_lshlrev_b64 v[16:17], 2, v[16:17]
	v_mov_b32_e32 v18, s9
	v_sub_co_u32_e32 v16, vcc, s8, v16
	v_subb_co_u32_e32 v17, vcc, v18, v17, vcc
	s_waitcnt lgkmcnt(0)
	global_store_dword v[16:17], v15, off
                                        ; implicit-def: $vgpr15
.LBB355_287:
	s_andn2_saveexec_b64 s[6:7], s[6:7]
	s_cbranch_execz .LBB355_289
; %bb.288:
	v_lshlrev_b32_e32 v16, 2, v0
	ds_read_b32 v16, v16 offset:5120
	v_lshlrev_b32_e32 v15, 2, v15
	v_readfirstlane_b32 s10, v10
	v_readfirstlane_b32 s11, v11
	s_waitcnt lgkmcnt(0)
	s_nop 3
	global_store_dword v15, v16, s[10:11]
.LBB355_289:
	s_or_b64 exec, exec, s[6:7]
                                        ; implicit-def: $vgpr15
.LBB355_290:
	s_andn2_saveexec_b64 s[4:5], s[4:5]
	s_cbranch_execz .LBB355_292
; %bb.291:
	v_lshlrev_b32_e32 v16, 2, v0
	ds_read_b32 v16, v16 offset:5120
	v_lshlrev_b32_e32 v15, 2, v15
	v_readfirstlane_b32 s4, v12
	v_readfirstlane_b32 s5, v13
	s_waitcnt lgkmcnt(0)
	s_nop 3
	global_store_dword v15, v16, s[4:5]
.LBB355_292:
	s_or_b64 exec, exec, s[2:3]
	v_or_b32_e32 v15, 0x600, v0
	v_cmp_gt_u32_e32 vcc, s16, v15
	s_and_saveexec_b64 s[2:3], vcc
	s_cbranch_execz .LBB355_301
; %bb.293:
	v_cmp_le_u32_e32 vcc, v6, v15
	s_and_saveexec_b64 s[4:5], vcc
	s_xor_b64 s[4:5], exec, s[4:5]
	s_cbranch_execz .LBB355_299
; %bb.294:
	v_cmp_le_u32_e32 vcc, v14, v15
	s_and_saveexec_b64 s[6:7], vcc
	s_xor_b64 s[6:7], exec, s[6:7]
	s_cbranch_execz .LBB355_296
; %bb.295:
	v_add_co_u32_e32 v16, vcc, v1, v15
	v_lshlrev_b32_e32 v15, 2, v0
	ds_read_b32 v15, v15 offset:6144
	v_addc_co_u32_e32 v17, vcc, 0, v8, vcc
	v_lshlrev_b64 v[16:17], 2, v[16:17]
	v_mov_b32_e32 v18, s9
	v_sub_co_u32_e32 v16, vcc, s8, v16
	v_subb_co_u32_e32 v17, vcc, v18, v17, vcc
	s_waitcnt lgkmcnt(0)
	global_store_dword v[16:17], v15, off
                                        ; implicit-def: $vgpr15
.LBB355_296:
	s_andn2_saveexec_b64 s[6:7], s[6:7]
	s_cbranch_execz .LBB355_298
; %bb.297:
	v_lshlrev_b32_e32 v16, 2, v0
	ds_read_b32 v16, v16 offset:6144
	v_lshlrev_b32_e32 v15, 2, v15
	v_readfirstlane_b32 s10, v10
	v_readfirstlane_b32 s11, v11
	s_waitcnt lgkmcnt(0)
	s_nop 3
	global_store_dword v15, v16, s[10:11]
.LBB355_298:
	s_or_b64 exec, exec, s[6:7]
                                        ; implicit-def: $vgpr15
.LBB355_299:
	s_andn2_saveexec_b64 s[4:5], s[4:5]
	s_cbranch_execz .LBB355_301
; %bb.300:
	v_lshlrev_b32_e32 v16, 2, v0
	ds_read_b32 v16, v16 offset:6144
	v_lshlrev_b32_e32 v15, 2, v15
	v_readfirstlane_b32 s4, v12
	v_readfirstlane_b32 s5, v13
	s_waitcnt lgkmcnt(0)
	s_nop 3
	global_store_dword v15, v16, s[4:5]
.LBB355_301:
	;; [unrolled: 55-line block ×7, first 2 shown]
	s_or_b64 exec, exec, s[2:3]
	v_or_b32_e32 v15, 0xc00, v0
	v_cmp_gt_u32_e32 vcc, s16, v15
	s_and_saveexec_b64 s[2:3], vcc
	s_cbranch_execz .LBB355_355
; %bb.347:
	v_cmp_le_u32_e32 vcc, v6, v15
	s_and_saveexec_b64 s[4:5], vcc
	s_xor_b64 s[4:5], exec, s[4:5]
	s_cbranch_execz .LBB355_353
; %bb.348:
	v_cmp_le_u32_e32 vcc, v14, v15
	s_and_saveexec_b64 s[6:7], vcc
	s_xor_b64 s[6:7], exec, s[6:7]
	s_cbranch_execz .LBB355_350
; %bb.349:
	v_add_co_u32_e32 v10, vcc, v1, v15
	v_lshlrev_b32_e32 v0, 2, v0
	v_addc_co_u32_e32 v11, vcc, 0, v8, vcc
	ds_read_b32 v8, v0 offset:12288
	v_lshlrev_b64 v[0:1], 2, v[10:11]
	v_mov_b32_e32 v10, s9
	v_sub_co_u32_e32 v0, vcc, s8, v0
	v_subb_co_u32_e32 v1, vcc, v10, v1, vcc
	s_waitcnt lgkmcnt(0)
	global_store_dword v[0:1], v8, off
                                        ; implicit-def: $vgpr0
                                        ; implicit-def: $vgpr15
                                        ; implicit-def: $vgpr10_vgpr11
.LBB355_350:
	s_andn2_saveexec_b64 s[6:7], s[6:7]
	s_cbranch_execz .LBB355_352
; %bb.351:
	v_lshlrev_b32_e32 v0, 2, v0
	ds_read_b32 v0, v0 offset:12288
	v_lshlrev_b32_e32 v1, 2, v15
	v_readfirstlane_b32 s8, v10
	v_readfirstlane_b32 s9, v11
	s_waitcnt lgkmcnt(0)
	s_nop 3
	global_store_dword v1, v0, s[8:9]
.LBB355_352:
	s_or_b64 exec, exec, s[6:7]
                                        ; implicit-def: $vgpr0
                                        ; implicit-def: $vgpr15
                                        ; implicit-def: $vgpr12_vgpr13
.LBB355_353:
	s_andn2_saveexec_b64 s[4:5], s[4:5]
	s_cbranch_execz .LBB355_355
; %bb.354:
	v_lshlrev_b32_e32 v0, 2, v0
	ds_read_b32 v0, v0 offset:12288
	v_lshlrev_b32_e32 v1, 2, v15
	v_readfirstlane_b32 s4, v12
	v_readfirstlane_b32 s5, v13
	s_waitcnt lgkmcnt(0)
	s_nop 3
	global_store_dword v1, v0, s[4:5]
.LBB355_355:
	s_or_b64 exec, exec, s[2:3]
	s_and_b64 s[0:1], s[0:1], s[30:31]
	s_and_saveexec_b64 s[2:3], s[0:1]
	s_cbranch_execz .LBB355_132
.LBB355_356:
	v_add_co_u32_e32 v0, vcc, v2, v6
	v_addc_co_u32_e32 v1, vcc, 0, v3, vcc
	v_add_co_u32_e32 v2, vcc, v4, v7
	v_addc_co_u32_e32 v3, vcc, 0, v5, vcc
	v_add_co_u32_e32 v2, vcc, v2, v9
	v_mov_b32_e32 v8, 0
	v_addc_co_u32_e32 v3, vcc, 0, v3, vcc
	global_store_dwordx4 v8, v[0:3], s[28:29]
	s_endpgm
	.section	.rodata,"a",@progbits
	.p2align	6, 0x0
	.amdhsa_kernel _ZN7rocprim17ROCPRIM_400000_NS6detail17trampoline_kernelINS0_13select_configILj256ELj13ELNS0_17block_load_methodE3ELS4_3ELS4_3ELNS0_20block_scan_algorithmE0ELj4294967295EEENS1_25partition_config_selectorILNS1_17partition_subalgoE4EjNS0_10empty_typeEbEEZZNS1_14partition_implILS8_4ELb0ES6_15HIP_vector_typeIjLj2EENS0_17counting_iteratorIjlEEPS9_SG_NS0_5tupleIJPjSI_NS0_16reverse_iteratorISI_EEEEENSH_IJSG_SG_SG_EEES9_SI_JZNS1_25segmented_radix_sort_implINS0_14default_configELb0EPKaPaPKlPlN2at6native12_GLOBAL__N_18offset_tEEE10hipError_tPvRmT1_PNSt15iterator_traitsIS12_E10value_typeET2_T3_PNS13_IS18_E10value_typeET4_jRbjT5_S1E_jjP12ihipStream_tbEUljE_ZNSN_ISO_Lb0ESQ_SR_ST_SU_SY_EESZ_S10_S11_S12_S16_S17_S18_S1B_S1C_jS1D_jS1E_S1E_jjS1G_bEUljE0_EEESZ_S10_S11_S18_S1C_S1E_T6_T7_T9_mT8_S1G_bDpT10_ENKUlT_T0_E_clISt17integral_constantIbLb0EES1T_IbLb1EEEEDaS1P_S1Q_EUlS1P_E_NS1_11comp_targetILNS1_3genE4ELNS1_11target_archE910ELNS1_3gpuE8ELNS1_3repE0EEENS1_30default_config_static_selectorELNS0_4arch9wavefront6targetE1EEEvS12_
		.amdhsa_group_segment_fixed_size 13340
		.amdhsa_private_segment_fixed_size 0
		.amdhsa_kernarg_size 184
		.amdhsa_user_sgpr_count 6
		.amdhsa_user_sgpr_private_segment_buffer 1
		.amdhsa_user_sgpr_dispatch_ptr 0
		.amdhsa_user_sgpr_queue_ptr 0
		.amdhsa_user_sgpr_kernarg_segment_ptr 1
		.amdhsa_user_sgpr_dispatch_id 0
		.amdhsa_user_sgpr_flat_scratch_init 0
		.amdhsa_user_sgpr_kernarg_preload_length 0
		.amdhsa_user_sgpr_kernarg_preload_offset 0
		.amdhsa_user_sgpr_private_segment_size 0
		.amdhsa_uses_dynamic_stack 0
		.amdhsa_system_sgpr_private_segment_wavefront_offset 0
		.amdhsa_system_sgpr_workgroup_id_x 1
		.amdhsa_system_sgpr_workgroup_id_y 0
		.amdhsa_system_sgpr_workgroup_id_z 0
		.amdhsa_system_sgpr_workgroup_info 0
		.amdhsa_system_vgpr_workitem_id 0
		.amdhsa_next_free_vgpr 107
		.amdhsa_next_free_sgpr 87
		.amdhsa_accum_offset 108
		.amdhsa_reserve_vcc 1
		.amdhsa_reserve_flat_scratch 0
		.amdhsa_float_round_mode_32 0
		.amdhsa_float_round_mode_16_64 0
		.amdhsa_float_denorm_mode_32 3
		.amdhsa_float_denorm_mode_16_64 3
		.amdhsa_dx10_clamp 1
		.amdhsa_ieee_mode 1
		.amdhsa_fp16_overflow 0
		.amdhsa_tg_split 0
		.amdhsa_exception_fp_ieee_invalid_op 0
		.amdhsa_exception_fp_denorm_src 0
		.amdhsa_exception_fp_ieee_div_zero 0
		.amdhsa_exception_fp_ieee_overflow 0
		.amdhsa_exception_fp_ieee_underflow 0
		.amdhsa_exception_fp_ieee_inexact 0
		.amdhsa_exception_int_div_zero 0
	.end_amdhsa_kernel
	.section	.text._ZN7rocprim17ROCPRIM_400000_NS6detail17trampoline_kernelINS0_13select_configILj256ELj13ELNS0_17block_load_methodE3ELS4_3ELS4_3ELNS0_20block_scan_algorithmE0ELj4294967295EEENS1_25partition_config_selectorILNS1_17partition_subalgoE4EjNS0_10empty_typeEbEEZZNS1_14partition_implILS8_4ELb0ES6_15HIP_vector_typeIjLj2EENS0_17counting_iteratorIjlEEPS9_SG_NS0_5tupleIJPjSI_NS0_16reverse_iteratorISI_EEEEENSH_IJSG_SG_SG_EEES9_SI_JZNS1_25segmented_radix_sort_implINS0_14default_configELb0EPKaPaPKlPlN2at6native12_GLOBAL__N_18offset_tEEE10hipError_tPvRmT1_PNSt15iterator_traitsIS12_E10value_typeET2_T3_PNS13_IS18_E10value_typeET4_jRbjT5_S1E_jjP12ihipStream_tbEUljE_ZNSN_ISO_Lb0ESQ_SR_ST_SU_SY_EESZ_S10_S11_S12_S16_S17_S18_S1B_S1C_jS1D_jS1E_S1E_jjS1G_bEUljE0_EEESZ_S10_S11_S18_S1C_S1E_T6_T7_T9_mT8_S1G_bDpT10_ENKUlT_T0_E_clISt17integral_constantIbLb0EES1T_IbLb1EEEEDaS1P_S1Q_EUlS1P_E_NS1_11comp_targetILNS1_3genE4ELNS1_11target_archE910ELNS1_3gpuE8ELNS1_3repE0EEENS1_30default_config_static_selectorELNS0_4arch9wavefront6targetE1EEEvS12_,"axG",@progbits,_ZN7rocprim17ROCPRIM_400000_NS6detail17trampoline_kernelINS0_13select_configILj256ELj13ELNS0_17block_load_methodE3ELS4_3ELS4_3ELNS0_20block_scan_algorithmE0ELj4294967295EEENS1_25partition_config_selectorILNS1_17partition_subalgoE4EjNS0_10empty_typeEbEEZZNS1_14partition_implILS8_4ELb0ES6_15HIP_vector_typeIjLj2EENS0_17counting_iteratorIjlEEPS9_SG_NS0_5tupleIJPjSI_NS0_16reverse_iteratorISI_EEEEENSH_IJSG_SG_SG_EEES9_SI_JZNS1_25segmented_radix_sort_implINS0_14default_configELb0EPKaPaPKlPlN2at6native12_GLOBAL__N_18offset_tEEE10hipError_tPvRmT1_PNSt15iterator_traitsIS12_E10value_typeET2_T3_PNS13_IS18_E10value_typeET4_jRbjT5_S1E_jjP12ihipStream_tbEUljE_ZNSN_ISO_Lb0ESQ_SR_ST_SU_SY_EESZ_S10_S11_S12_S16_S17_S18_S1B_S1C_jS1D_jS1E_S1E_jjS1G_bEUljE0_EEESZ_S10_S11_S18_S1C_S1E_T6_T7_T9_mT8_S1G_bDpT10_ENKUlT_T0_E_clISt17integral_constantIbLb0EES1T_IbLb1EEEEDaS1P_S1Q_EUlS1P_E_NS1_11comp_targetILNS1_3genE4ELNS1_11target_archE910ELNS1_3gpuE8ELNS1_3repE0EEENS1_30default_config_static_selectorELNS0_4arch9wavefront6targetE1EEEvS12_,comdat
.Lfunc_end355:
	.size	_ZN7rocprim17ROCPRIM_400000_NS6detail17trampoline_kernelINS0_13select_configILj256ELj13ELNS0_17block_load_methodE3ELS4_3ELS4_3ELNS0_20block_scan_algorithmE0ELj4294967295EEENS1_25partition_config_selectorILNS1_17partition_subalgoE4EjNS0_10empty_typeEbEEZZNS1_14partition_implILS8_4ELb0ES6_15HIP_vector_typeIjLj2EENS0_17counting_iteratorIjlEEPS9_SG_NS0_5tupleIJPjSI_NS0_16reverse_iteratorISI_EEEEENSH_IJSG_SG_SG_EEES9_SI_JZNS1_25segmented_radix_sort_implINS0_14default_configELb0EPKaPaPKlPlN2at6native12_GLOBAL__N_18offset_tEEE10hipError_tPvRmT1_PNSt15iterator_traitsIS12_E10value_typeET2_T3_PNS13_IS18_E10value_typeET4_jRbjT5_S1E_jjP12ihipStream_tbEUljE_ZNSN_ISO_Lb0ESQ_SR_ST_SU_SY_EESZ_S10_S11_S12_S16_S17_S18_S1B_S1C_jS1D_jS1E_S1E_jjS1G_bEUljE0_EEESZ_S10_S11_S18_S1C_S1E_T6_T7_T9_mT8_S1G_bDpT10_ENKUlT_T0_E_clISt17integral_constantIbLb0EES1T_IbLb1EEEEDaS1P_S1Q_EUlS1P_E_NS1_11comp_targetILNS1_3genE4ELNS1_11target_archE910ELNS1_3gpuE8ELNS1_3repE0EEENS1_30default_config_static_selectorELNS0_4arch9wavefront6targetE1EEEvS12_, .Lfunc_end355-_ZN7rocprim17ROCPRIM_400000_NS6detail17trampoline_kernelINS0_13select_configILj256ELj13ELNS0_17block_load_methodE3ELS4_3ELS4_3ELNS0_20block_scan_algorithmE0ELj4294967295EEENS1_25partition_config_selectorILNS1_17partition_subalgoE4EjNS0_10empty_typeEbEEZZNS1_14partition_implILS8_4ELb0ES6_15HIP_vector_typeIjLj2EENS0_17counting_iteratorIjlEEPS9_SG_NS0_5tupleIJPjSI_NS0_16reverse_iteratorISI_EEEEENSH_IJSG_SG_SG_EEES9_SI_JZNS1_25segmented_radix_sort_implINS0_14default_configELb0EPKaPaPKlPlN2at6native12_GLOBAL__N_18offset_tEEE10hipError_tPvRmT1_PNSt15iterator_traitsIS12_E10value_typeET2_T3_PNS13_IS18_E10value_typeET4_jRbjT5_S1E_jjP12ihipStream_tbEUljE_ZNSN_ISO_Lb0ESQ_SR_ST_SU_SY_EESZ_S10_S11_S12_S16_S17_S18_S1B_S1C_jS1D_jS1E_S1E_jjS1G_bEUljE0_EEESZ_S10_S11_S18_S1C_S1E_T6_T7_T9_mT8_S1G_bDpT10_ENKUlT_T0_E_clISt17integral_constantIbLb0EES1T_IbLb1EEEEDaS1P_S1Q_EUlS1P_E_NS1_11comp_targetILNS1_3genE4ELNS1_11target_archE910ELNS1_3gpuE8ELNS1_3repE0EEENS1_30default_config_static_selectorELNS0_4arch9wavefront6targetE1EEEvS12_
                                        ; -- End function
	.section	.AMDGPU.csdata,"",@progbits
; Kernel info:
; codeLenInByte = 13432
; NumSgprs: 91
; NumVgprs: 107
; NumAgprs: 0
; TotalNumVgprs: 107
; ScratchSize: 0
; MemoryBound: 0
; FloatMode: 240
; IeeeMode: 1
; LDSByteSize: 13340 bytes/workgroup (compile time only)
; SGPRBlocks: 11
; VGPRBlocks: 13
; NumSGPRsForWavesPerEU: 91
; NumVGPRsForWavesPerEU: 107
; AccumOffset: 108
; Occupancy: 4
; WaveLimiterHint : 1
; COMPUTE_PGM_RSRC2:SCRATCH_EN: 0
; COMPUTE_PGM_RSRC2:USER_SGPR: 6
; COMPUTE_PGM_RSRC2:TRAP_HANDLER: 0
; COMPUTE_PGM_RSRC2:TGID_X_EN: 1
; COMPUTE_PGM_RSRC2:TGID_Y_EN: 0
; COMPUTE_PGM_RSRC2:TGID_Z_EN: 0
; COMPUTE_PGM_RSRC2:TIDIG_COMP_CNT: 0
; COMPUTE_PGM_RSRC3_GFX90A:ACCUM_OFFSET: 26
; COMPUTE_PGM_RSRC3_GFX90A:TG_SPLIT: 0
	.section	.text._ZN7rocprim17ROCPRIM_400000_NS6detail17trampoline_kernelINS0_13select_configILj256ELj13ELNS0_17block_load_methodE3ELS4_3ELS4_3ELNS0_20block_scan_algorithmE0ELj4294967295EEENS1_25partition_config_selectorILNS1_17partition_subalgoE4EjNS0_10empty_typeEbEEZZNS1_14partition_implILS8_4ELb0ES6_15HIP_vector_typeIjLj2EENS0_17counting_iteratorIjlEEPS9_SG_NS0_5tupleIJPjSI_NS0_16reverse_iteratorISI_EEEEENSH_IJSG_SG_SG_EEES9_SI_JZNS1_25segmented_radix_sort_implINS0_14default_configELb0EPKaPaPKlPlN2at6native12_GLOBAL__N_18offset_tEEE10hipError_tPvRmT1_PNSt15iterator_traitsIS12_E10value_typeET2_T3_PNS13_IS18_E10value_typeET4_jRbjT5_S1E_jjP12ihipStream_tbEUljE_ZNSN_ISO_Lb0ESQ_SR_ST_SU_SY_EESZ_S10_S11_S12_S16_S17_S18_S1B_S1C_jS1D_jS1E_S1E_jjS1G_bEUljE0_EEESZ_S10_S11_S18_S1C_S1E_T6_T7_T9_mT8_S1G_bDpT10_ENKUlT_T0_E_clISt17integral_constantIbLb0EES1T_IbLb1EEEEDaS1P_S1Q_EUlS1P_E_NS1_11comp_targetILNS1_3genE3ELNS1_11target_archE908ELNS1_3gpuE7ELNS1_3repE0EEENS1_30default_config_static_selectorELNS0_4arch9wavefront6targetE1EEEvS12_,"axG",@progbits,_ZN7rocprim17ROCPRIM_400000_NS6detail17trampoline_kernelINS0_13select_configILj256ELj13ELNS0_17block_load_methodE3ELS4_3ELS4_3ELNS0_20block_scan_algorithmE0ELj4294967295EEENS1_25partition_config_selectorILNS1_17partition_subalgoE4EjNS0_10empty_typeEbEEZZNS1_14partition_implILS8_4ELb0ES6_15HIP_vector_typeIjLj2EENS0_17counting_iteratorIjlEEPS9_SG_NS0_5tupleIJPjSI_NS0_16reverse_iteratorISI_EEEEENSH_IJSG_SG_SG_EEES9_SI_JZNS1_25segmented_radix_sort_implINS0_14default_configELb0EPKaPaPKlPlN2at6native12_GLOBAL__N_18offset_tEEE10hipError_tPvRmT1_PNSt15iterator_traitsIS12_E10value_typeET2_T3_PNS13_IS18_E10value_typeET4_jRbjT5_S1E_jjP12ihipStream_tbEUljE_ZNSN_ISO_Lb0ESQ_SR_ST_SU_SY_EESZ_S10_S11_S12_S16_S17_S18_S1B_S1C_jS1D_jS1E_S1E_jjS1G_bEUljE0_EEESZ_S10_S11_S18_S1C_S1E_T6_T7_T9_mT8_S1G_bDpT10_ENKUlT_T0_E_clISt17integral_constantIbLb0EES1T_IbLb1EEEEDaS1P_S1Q_EUlS1P_E_NS1_11comp_targetILNS1_3genE3ELNS1_11target_archE908ELNS1_3gpuE7ELNS1_3repE0EEENS1_30default_config_static_selectorELNS0_4arch9wavefront6targetE1EEEvS12_,comdat
	.globl	_ZN7rocprim17ROCPRIM_400000_NS6detail17trampoline_kernelINS0_13select_configILj256ELj13ELNS0_17block_load_methodE3ELS4_3ELS4_3ELNS0_20block_scan_algorithmE0ELj4294967295EEENS1_25partition_config_selectorILNS1_17partition_subalgoE4EjNS0_10empty_typeEbEEZZNS1_14partition_implILS8_4ELb0ES6_15HIP_vector_typeIjLj2EENS0_17counting_iteratorIjlEEPS9_SG_NS0_5tupleIJPjSI_NS0_16reverse_iteratorISI_EEEEENSH_IJSG_SG_SG_EEES9_SI_JZNS1_25segmented_radix_sort_implINS0_14default_configELb0EPKaPaPKlPlN2at6native12_GLOBAL__N_18offset_tEEE10hipError_tPvRmT1_PNSt15iterator_traitsIS12_E10value_typeET2_T3_PNS13_IS18_E10value_typeET4_jRbjT5_S1E_jjP12ihipStream_tbEUljE_ZNSN_ISO_Lb0ESQ_SR_ST_SU_SY_EESZ_S10_S11_S12_S16_S17_S18_S1B_S1C_jS1D_jS1E_S1E_jjS1G_bEUljE0_EEESZ_S10_S11_S18_S1C_S1E_T6_T7_T9_mT8_S1G_bDpT10_ENKUlT_T0_E_clISt17integral_constantIbLb0EES1T_IbLb1EEEEDaS1P_S1Q_EUlS1P_E_NS1_11comp_targetILNS1_3genE3ELNS1_11target_archE908ELNS1_3gpuE7ELNS1_3repE0EEENS1_30default_config_static_selectorELNS0_4arch9wavefront6targetE1EEEvS12_ ; -- Begin function _ZN7rocprim17ROCPRIM_400000_NS6detail17trampoline_kernelINS0_13select_configILj256ELj13ELNS0_17block_load_methodE3ELS4_3ELS4_3ELNS0_20block_scan_algorithmE0ELj4294967295EEENS1_25partition_config_selectorILNS1_17partition_subalgoE4EjNS0_10empty_typeEbEEZZNS1_14partition_implILS8_4ELb0ES6_15HIP_vector_typeIjLj2EENS0_17counting_iteratorIjlEEPS9_SG_NS0_5tupleIJPjSI_NS0_16reverse_iteratorISI_EEEEENSH_IJSG_SG_SG_EEES9_SI_JZNS1_25segmented_radix_sort_implINS0_14default_configELb0EPKaPaPKlPlN2at6native12_GLOBAL__N_18offset_tEEE10hipError_tPvRmT1_PNSt15iterator_traitsIS12_E10value_typeET2_T3_PNS13_IS18_E10value_typeET4_jRbjT5_S1E_jjP12ihipStream_tbEUljE_ZNSN_ISO_Lb0ESQ_SR_ST_SU_SY_EESZ_S10_S11_S12_S16_S17_S18_S1B_S1C_jS1D_jS1E_S1E_jjS1G_bEUljE0_EEESZ_S10_S11_S18_S1C_S1E_T6_T7_T9_mT8_S1G_bDpT10_ENKUlT_T0_E_clISt17integral_constantIbLb0EES1T_IbLb1EEEEDaS1P_S1Q_EUlS1P_E_NS1_11comp_targetILNS1_3genE3ELNS1_11target_archE908ELNS1_3gpuE7ELNS1_3repE0EEENS1_30default_config_static_selectorELNS0_4arch9wavefront6targetE1EEEvS12_
	.p2align	8
	.type	_ZN7rocprim17ROCPRIM_400000_NS6detail17trampoline_kernelINS0_13select_configILj256ELj13ELNS0_17block_load_methodE3ELS4_3ELS4_3ELNS0_20block_scan_algorithmE0ELj4294967295EEENS1_25partition_config_selectorILNS1_17partition_subalgoE4EjNS0_10empty_typeEbEEZZNS1_14partition_implILS8_4ELb0ES6_15HIP_vector_typeIjLj2EENS0_17counting_iteratorIjlEEPS9_SG_NS0_5tupleIJPjSI_NS0_16reverse_iteratorISI_EEEEENSH_IJSG_SG_SG_EEES9_SI_JZNS1_25segmented_radix_sort_implINS0_14default_configELb0EPKaPaPKlPlN2at6native12_GLOBAL__N_18offset_tEEE10hipError_tPvRmT1_PNSt15iterator_traitsIS12_E10value_typeET2_T3_PNS13_IS18_E10value_typeET4_jRbjT5_S1E_jjP12ihipStream_tbEUljE_ZNSN_ISO_Lb0ESQ_SR_ST_SU_SY_EESZ_S10_S11_S12_S16_S17_S18_S1B_S1C_jS1D_jS1E_S1E_jjS1G_bEUljE0_EEESZ_S10_S11_S18_S1C_S1E_T6_T7_T9_mT8_S1G_bDpT10_ENKUlT_T0_E_clISt17integral_constantIbLb0EES1T_IbLb1EEEEDaS1P_S1Q_EUlS1P_E_NS1_11comp_targetILNS1_3genE3ELNS1_11target_archE908ELNS1_3gpuE7ELNS1_3repE0EEENS1_30default_config_static_selectorELNS0_4arch9wavefront6targetE1EEEvS12_,@function
_ZN7rocprim17ROCPRIM_400000_NS6detail17trampoline_kernelINS0_13select_configILj256ELj13ELNS0_17block_load_methodE3ELS4_3ELS4_3ELNS0_20block_scan_algorithmE0ELj4294967295EEENS1_25partition_config_selectorILNS1_17partition_subalgoE4EjNS0_10empty_typeEbEEZZNS1_14partition_implILS8_4ELb0ES6_15HIP_vector_typeIjLj2EENS0_17counting_iteratorIjlEEPS9_SG_NS0_5tupleIJPjSI_NS0_16reverse_iteratorISI_EEEEENSH_IJSG_SG_SG_EEES9_SI_JZNS1_25segmented_radix_sort_implINS0_14default_configELb0EPKaPaPKlPlN2at6native12_GLOBAL__N_18offset_tEEE10hipError_tPvRmT1_PNSt15iterator_traitsIS12_E10value_typeET2_T3_PNS13_IS18_E10value_typeET4_jRbjT5_S1E_jjP12ihipStream_tbEUljE_ZNSN_ISO_Lb0ESQ_SR_ST_SU_SY_EESZ_S10_S11_S12_S16_S17_S18_S1B_S1C_jS1D_jS1E_S1E_jjS1G_bEUljE0_EEESZ_S10_S11_S18_S1C_S1E_T6_T7_T9_mT8_S1G_bDpT10_ENKUlT_T0_E_clISt17integral_constantIbLb0EES1T_IbLb1EEEEDaS1P_S1Q_EUlS1P_E_NS1_11comp_targetILNS1_3genE3ELNS1_11target_archE908ELNS1_3gpuE7ELNS1_3repE0EEENS1_30default_config_static_selectorELNS0_4arch9wavefront6targetE1EEEvS12_: ; @_ZN7rocprim17ROCPRIM_400000_NS6detail17trampoline_kernelINS0_13select_configILj256ELj13ELNS0_17block_load_methodE3ELS4_3ELS4_3ELNS0_20block_scan_algorithmE0ELj4294967295EEENS1_25partition_config_selectorILNS1_17partition_subalgoE4EjNS0_10empty_typeEbEEZZNS1_14partition_implILS8_4ELb0ES6_15HIP_vector_typeIjLj2EENS0_17counting_iteratorIjlEEPS9_SG_NS0_5tupleIJPjSI_NS0_16reverse_iteratorISI_EEEEENSH_IJSG_SG_SG_EEES9_SI_JZNS1_25segmented_radix_sort_implINS0_14default_configELb0EPKaPaPKlPlN2at6native12_GLOBAL__N_18offset_tEEE10hipError_tPvRmT1_PNSt15iterator_traitsIS12_E10value_typeET2_T3_PNS13_IS18_E10value_typeET4_jRbjT5_S1E_jjP12ihipStream_tbEUljE_ZNSN_ISO_Lb0ESQ_SR_ST_SU_SY_EESZ_S10_S11_S12_S16_S17_S18_S1B_S1C_jS1D_jS1E_S1E_jjS1G_bEUljE0_EEESZ_S10_S11_S18_S1C_S1E_T6_T7_T9_mT8_S1G_bDpT10_ENKUlT_T0_E_clISt17integral_constantIbLb0EES1T_IbLb1EEEEDaS1P_S1Q_EUlS1P_E_NS1_11comp_targetILNS1_3genE3ELNS1_11target_archE908ELNS1_3gpuE7ELNS1_3repE0EEENS1_30default_config_static_selectorELNS0_4arch9wavefront6targetE1EEEvS12_
; %bb.0:
	.section	.rodata,"a",@progbits
	.p2align	6, 0x0
	.amdhsa_kernel _ZN7rocprim17ROCPRIM_400000_NS6detail17trampoline_kernelINS0_13select_configILj256ELj13ELNS0_17block_load_methodE3ELS4_3ELS4_3ELNS0_20block_scan_algorithmE0ELj4294967295EEENS1_25partition_config_selectorILNS1_17partition_subalgoE4EjNS0_10empty_typeEbEEZZNS1_14partition_implILS8_4ELb0ES6_15HIP_vector_typeIjLj2EENS0_17counting_iteratorIjlEEPS9_SG_NS0_5tupleIJPjSI_NS0_16reverse_iteratorISI_EEEEENSH_IJSG_SG_SG_EEES9_SI_JZNS1_25segmented_radix_sort_implINS0_14default_configELb0EPKaPaPKlPlN2at6native12_GLOBAL__N_18offset_tEEE10hipError_tPvRmT1_PNSt15iterator_traitsIS12_E10value_typeET2_T3_PNS13_IS18_E10value_typeET4_jRbjT5_S1E_jjP12ihipStream_tbEUljE_ZNSN_ISO_Lb0ESQ_SR_ST_SU_SY_EESZ_S10_S11_S12_S16_S17_S18_S1B_S1C_jS1D_jS1E_S1E_jjS1G_bEUljE0_EEESZ_S10_S11_S18_S1C_S1E_T6_T7_T9_mT8_S1G_bDpT10_ENKUlT_T0_E_clISt17integral_constantIbLb0EES1T_IbLb1EEEEDaS1P_S1Q_EUlS1P_E_NS1_11comp_targetILNS1_3genE3ELNS1_11target_archE908ELNS1_3gpuE7ELNS1_3repE0EEENS1_30default_config_static_selectorELNS0_4arch9wavefront6targetE1EEEvS12_
		.amdhsa_group_segment_fixed_size 0
		.amdhsa_private_segment_fixed_size 0
		.amdhsa_kernarg_size 184
		.amdhsa_user_sgpr_count 6
		.amdhsa_user_sgpr_private_segment_buffer 1
		.amdhsa_user_sgpr_dispatch_ptr 0
		.amdhsa_user_sgpr_queue_ptr 0
		.amdhsa_user_sgpr_kernarg_segment_ptr 1
		.amdhsa_user_sgpr_dispatch_id 0
		.amdhsa_user_sgpr_flat_scratch_init 0
		.amdhsa_user_sgpr_kernarg_preload_length 0
		.amdhsa_user_sgpr_kernarg_preload_offset 0
		.amdhsa_user_sgpr_private_segment_size 0
		.amdhsa_uses_dynamic_stack 0
		.amdhsa_system_sgpr_private_segment_wavefront_offset 0
		.amdhsa_system_sgpr_workgroup_id_x 1
		.amdhsa_system_sgpr_workgroup_id_y 0
		.amdhsa_system_sgpr_workgroup_id_z 0
		.amdhsa_system_sgpr_workgroup_info 0
		.amdhsa_system_vgpr_workitem_id 0
		.amdhsa_next_free_vgpr 1
		.amdhsa_next_free_sgpr 0
		.amdhsa_accum_offset 4
		.amdhsa_reserve_vcc 0
		.amdhsa_reserve_flat_scratch 0
		.amdhsa_float_round_mode_32 0
		.amdhsa_float_round_mode_16_64 0
		.amdhsa_float_denorm_mode_32 3
		.amdhsa_float_denorm_mode_16_64 3
		.amdhsa_dx10_clamp 1
		.amdhsa_ieee_mode 1
		.amdhsa_fp16_overflow 0
		.amdhsa_tg_split 0
		.amdhsa_exception_fp_ieee_invalid_op 0
		.amdhsa_exception_fp_denorm_src 0
		.amdhsa_exception_fp_ieee_div_zero 0
		.amdhsa_exception_fp_ieee_overflow 0
		.amdhsa_exception_fp_ieee_underflow 0
		.amdhsa_exception_fp_ieee_inexact 0
		.amdhsa_exception_int_div_zero 0
	.end_amdhsa_kernel
	.section	.text._ZN7rocprim17ROCPRIM_400000_NS6detail17trampoline_kernelINS0_13select_configILj256ELj13ELNS0_17block_load_methodE3ELS4_3ELS4_3ELNS0_20block_scan_algorithmE0ELj4294967295EEENS1_25partition_config_selectorILNS1_17partition_subalgoE4EjNS0_10empty_typeEbEEZZNS1_14partition_implILS8_4ELb0ES6_15HIP_vector_typeIjLj2EENS0_17counting_iteratorIjlEEPS9_SG_NS0_5tupleIJPjSI_NS0_16reverse_iteratorISI_EEEEENSH_IJSG_SG_SG_EEES9_SI_JZNS1_25segmented_radix_sort_implINS0_14default_configELb0EPKaPaPKlPlN2at6native12_GLOBAL__N_18offset_tEEE10hipError_tPvRmT1_PNSt15iterator_traitsIS12_E10value_typeET2_T3_PNS13_IS18_E10value_typeET4_jRbjT5_S1E_jjP12ihipStream_tbEUljE_ZNSN_ISO_Lb0ESQ_SR_ST_SU_SY_EESZ_S10_S11_S12_S16_S17_S18_S1B_S1C_jS1D_jS1E_S1E_jjS1G_bEUljE0_EEESZ_S10_S11_S18_S1C_S1E_T6_T7_T9_mT8_S1G_bDpT10_ENKUlT_T0_E_clISt17integral_constantIbLb0EES1T_IbLb1EEEEDaS1P_S1Q_EUlS1P_E_NS1_11comp_targetILNS1_3genE3ELNS1_11target_archE908ELNS1_3gpuE7ELNS1_3repE0EEENS1_30default_config_static_selectorELNS0_4arch9wavefront6targetE1EEEvS12_,"axG",@progbits,_ZN7rocprim17ROCPRIM_400000_NS6detail17trampoline_kernelINS0_13select_configILj256ELj13ELNS0_17block_load_methodE3ELS4_3ELS4_3ELNS0_20block_scan_algorithmE0ELj4294967295EEENS1_25partition_config_selectorILNS1_17partition_subalgoE4EjNS0_10empty_typeEbEEZZNS1_14partition_implILS8_4ELb0ES6_15HIP_vector_typeIjLj2EENS0_17counting_iteratorIjlEEPS9_SG_NS0_5tupleIJPjSI_NS0_16reverse_iteratorISI_EEEEENSH_IJSG_SG_SG_EEES9_SI_JZNS1_25segmented_radix_sort_implINS0_14default_configELb0EPKaPaPKlPlN2at6native12_GLOBAL__N_18offset_tEEE10hipError_tPvRmT1_PNSt15iterator_traitsIS12_E10value_typeET2_T3_PNS13_IS18_E10value_typeET4_jRbjT5_S1E_jjP12ihipStream_tbEUljE_ZNSN_ISO_Lb0ESQ_SR_ST_SU_SY_EESZ_S10_S11_S12_S16_S17_S18_S1B_S1C_jS1D_jS1E_S1E_jjS1G_bEUljE0_EEESZ_S10_S11_S18_S1C_S1E_T6_T7_T9_mT8_S1G_bDpT10_ENKUlT_T0_E_clISt17integral_constantIbLb0EES1T_IbLb1EEEEDaS1P_S1Q_EUlS1P_E_NS1_11comp_targetILNS1_3genE3ELNS1_11target_archE908ELNS1_3gpuE7ELNS1_3repE0EEENS1_30default_config_static_selectorELNS0_4arch9wavefront6targetE1EEEvS12_,comdat
.Lfunc_end356:
	.size	_ZN7rocprim17ROCPRIM_400000_NS6detail17trampoline_kernelINS0_13select_configILj256ELj13ELNS0_17block_load_methodE3ELS4_3ELS4_3ELNS0_20block_scan_algorithmE0ELj4294967295EEENS1_25partition_config_selectorILNS1_17partition_subalgoE4EjNS0_10empty_typeEbEEZZNS1_14partition_implILS8_4ELb0ES6_15HIP_vector_typeIjLj2EENS0_17counting_iteratorIjlEEPS9_SG_NS0_5tupleIJPjSI_NS0_16reverse_iteratorISI_EEEEENSH_IJSG_SG_SG_EEES9_SI_JZNS1_25segmented_radix_sort_implINS0_14default_configELb0EPKaPaPKlPlN2at6native12_GLOBAL__N_18offset_tEEE10hipError_tPvRmT1_PNSt15iterator_traitsIS12_E10value_typeET2_T3_PNS13_IS18_E10value_typeET4_jRbjT5_S1E_jjP12ihipStream_tbEUljE_ZNSN_ISO_Lb0ESQ_SR_ST_SU_SY_EESZ_S10_S11_S12_S16_S17_S18_S1B_S1C_jS1D_jS1E_S1E_jjS1G_bEUljE0_EEESZ_S10_S11_S18_S1C_S1E_T6_T7_T9_mT8_S1G_bDpT10_ENKUlT_T0_E_clISt17integral_constantIbLb0EES1T_IbLb1EEEEDaS1P_S1Q_EUlS1P_E_NS1_11comp_targetILNS1_3genE3ELNS1_11target_archE908ELNS1_3gpuE7ELNS1_3repE0EEENS1_30default_config_static_selectorELNS0_4arch9wavefront6targetE1EEEvS12_, .Lfunc_end356-_ZN7rocprim17ROCPRIM_400000_NS6detail17trampoline_kernelINS0_13select_configILj256ELj13ELNS0_17block_load_methodE3ELS4_3ELS4_3ELNS0_20block_scan_algorithmE0ELj4294967295EEENS1_25partition_config_selectorILNS1_17partition_subalgoE4EjNS0_10empty_typeEbEEZZNS1_14partition_implILS8_4ELb0ES6_15HIP_vector_typeIjLj2EENS0_17counting_iteratorIjlEEPS9_SG_NS0_5tupleIJPjSI_NS0_16reverse_iteratorISI_EEEEENSH_IJSG_SG_SG_EEES9_SI_JZNS1_25segmented_radix_sort_implINS0_14default_configELb0EPKaPaPKlPlN2at6native12_GLOBAL__N_18offset_tEEE10hipError_tPvRmT1_PNSt15iterator_traitsIS12_E10value_typeET2_T3_PNS13_IS18_E10value_typeET4_jRbjT5_S1E_jjP12ihipStream_tbEUljE_ZNSN_ISO_Lb0ESQ_SR_ST_SU_SY_EESZ_S10_S11_S12_S16_S17_S18_S1B_S1C_jS1D_jS1E_S1E_jjS1G_bEUljE0_EEESZ_S10_S11_S18_S1C_S1E_T6_T7_T9_mT8_S1G_bDpT10_ENKUlT_T0_E_clISt17integral_constantIbLb0EES1T_IbLb1EEEEDaS1P_S1Q_EUlS1P_E_NS1_11comp_targetILNS1_3genE3ELNS1_11target_archE908ELNS1_3gpuE7ELNS1_3repE0EEENS1_30default_config_static_selectorELNS0_4arch9wavefront6targetE1EEEvS12_
                                        ; -- End function
	.section	.AMDGPU.csdata,"",@progbits
; Kernel info:
; codeLenInByte = 0
; NumSgprs: 4
; NumVgprs: 0
; NumAgprs: 0
; TotalNumVgprs: 0
; ScratchSize: 0
; MemoryBound: 0
; FloatMode: 240
; IeeeMode: 1
; LDSByteSize: 0 bytes/workgroup (compile time only)
; SGPRBlocks: 0
; VGPRBlocks: 0
; NumSGPRsForWavesPerEU: 4
; NumVGPRsForWavesPerEU: 1
; AccumOffset: 4
; Occupancy: 8
; WaveLimiterHint : 0
; COMPUTE_PGM_RSRC2:SCRATCH_EN: 0
; COMPUTE_PGM_RSRC2:USER_SGPR: 6
; COMPUTE_PGM_RSRC2:TRAP_HANDLER: 0
; COMPUTE_PGM_RSRC2:TGID_X_EN: 1
; COMPUTE_PGM_RSRC2:TGID_Y_EN: 0
; COMPUTE_PGM_RSRC2:TGID_Z_EN: 0
; COMPUTE_PGM_RSRC2:TIDIG_COMP_CNT: 0
; COMPUTE_PGM_RSRC3_GFX90A:ACCUM_OFFSET: 0
; COMPUTE_PGM_RSRC3_GFX90A:TG_SPLIT: 0
	.section	.text._ZN7rocprim17ROCPRIM_400000_NS6detail17trampoline_kernelINS0_13select_configILj256ELj13ELNS0_17block_load_methodE3ELS4_3ELS4_3ELNS0_20block_scan_algorithmE0ELj4294967295EEENS1_25partition_config_selectorILNS1_17partition_subalgoE4EjNS0_10empty_typeEbEEZZNS1_14partition_implILS8_4ELb0ES6_15HIP_vector_typeIjLj2EENS0_17counting_iteratorIjlEEPS9_SG_NS0_5tupleIJPjSI_NS0_16reverse_iteratorISI_EEEEENSH_IJSG_SG_SG_EEES9_SI_JZNS1_25segmented_radix_sort_implINS0_14default_configELb0EPKaPaPKlPlN2at6native12_GLOBAL__N_18offset_tEEE10hipError_tPvRmT1_PNSt15iterator_traitsIS12_E10value_typeET2_T3_PNS13_IS18_E10value_typeET4_jRbjT5_S1E_jjP12ihipStream_tbEUljE_ZNSN_ISO_Lb0ESQ_SR_ST_SU_SY_EESZ_S10_S11_S12_S16_S17_S18_S1B_S1C_jS1D_jS1E_S1E_jjS1G_bEUljE0_EEESZ_S10_S11_S18_S1C_S1E_T6_T7_T9_mT8_S1G_bDpT10_ENKUlT_T0_E_clISt17integral_constantIbLb0EES1T_IbLb1EEEEDaS1P_S1Q_EUlS1P_E_NS1_11comp_targetILNS1_3genE2ELNS1_11target_archE906ELNS1_3gpuE6ELNS1_3repE0EEENS1_30default_config_static_selectorELNS0_4arch9wavefront6targetE1EEEvS12_,"axG",@progbits,_ZN7rocprim17ROCPRIM_400000_NS6detail17trampoline_kernelINS0_13select_configILj256ELj13ELNS0_17block_load_methodE3ELS4_3ELS4_3ELNS0_20block_scan_algorithmE0ELj4294967295EEENS1_25partition_config_selectorILNS1_17partition_subalgoE4EjNS0_10empty_typeEbEEZZNS1_14partition_implILS8_4ELb0ES6_15HIP_vector_typeIjLj2EENS0_17counting_iteratorIjlEEPS9_SG_NS0_5tupleIJPjSI_NS0_16reverse_iteratorISI_EEEEENSH_IJSG_SG_SG_EEES9_SI_JZNS1_25segmented_radix_sort_implINS0_14default_configELb0EPKaPaPKlPlN2at6native12_GLOBAL__N_18offset_tEEE10hipError_tPvRmT1_PNSt15iterator_traitsIS12_E10value_typeET2_T3_PNS13_IS18_E10value_typeET4_jRbjT5_S1E_jjP12ihipStream_tbEUljE_ZNSN_ISO_Lb0ESQ_SR_ST_SU_SY_EESZ_S10_S11_S12_S16_S17_S18_S1B_S1C_jS1D_jS1E_S1E_jjS1G_bEUljE0_EEESZ_S10_S11_S18_S1C_S1E_T6_T7_T9_mT8_S1G_bDpT10_ENKUlT_T0_E_clISt17integral_constantIbLb0EES1T_IbLb1EEEEDaS1P_S1Q_EUlS1P_E_NS1_11comp_targetILNS1_3genE2ELNS1_11target_archE906ELNS1_3gpuE6ELNS1_3repE0EEENS1_30default_config_static_selectorELNS0_4arch9wavefront6targetE1EEEvS12_,comdat
	.globl	_ZN7rocprim17ROCPRIM_400000_NS6detail17trampoline_kernelINS0_13select_configILj256ELj13ELNS0_17block_load_methodE3ELS4_3ELS4_3ELNS0_20block_scan_algorithmE0ELj4294967295EEENS1_25partition_config_selectorILNS1_17partition_subalgoE4EjNS0_10empty_typeEbEEZZNS1_14partition_implILS8_4ELb0ES6_15HIP_vector_typeIjLj2EENS0_17counting_iteratorIjlEEPS9_SG_NS0_5tupleIJPjSI_NS0_16reverse_iteratorISI_EEEEENSH_IJSG_SG_SG_EEES9_SI_JZNS1_25segmented_radix_sort_implINS0_14default_configELb0EPKaPaPKlPlN2at6native12_GLOBAL__N_18offset_tEEE10hipError_tPvRmT1_PNSt15iterator_traitsIS12_E10value_typeET2_T3_PNS13_IS18_E10value_typeET4_jRbjT5_S1E_jjP12ihipStream_tbEUljE_ZNSN_ISO_Lb0ESQ_SR_ST_SU_SY_EESZ_S10_S11_S12_S16_S17_S18_S1B_S1C_jS1D_jS1E_S1E_jjS1G_bEUljE0_EEESZ_S10_S11_S18_S1C_S1E_T6_T7_T9_mT8_S1G_bDpT10_ENKUlT_T0_E_clISt17integral_constantIbLb0EES1T_IbLb1EEEEDaS1P_S1Q_EUlS1P_E_NS1_11comp_targetILNS1_3genE2ELNS1_11target_archE906ELNS1_3gpuE6ELNS1_3repE0EEENS1_30default_config_static_selectorELNS0_4arch9wavefront6targetE1EEEvS12_ ; -- Begin function _ZN7rocprim17ROCPRIM_400000_NS6detail17trampoline_kernelINS0_13select_configILj256ELj13ELNS0_17block_load_methodE3ELS4_3ELS4_3ELNS0_20block_scan_algorithmE0ELj4294967295EEENS1_25partition_config_selectorILNS1_17partition_subalgoE4EjNS0_10empty_typeEbEEZZNS1_14partition_implILS8_4ELb0ES6_15HIP_vector_typeIjLj2EENS0_17counting_iteratorIjlEEPS9_SG_NS0_5tupleIJPjSI_NS0_16reverse_iteratorISI_EEEEENSH_IJSG_SG_SG_EEES9_SI_JZNS1_25segmented_radix_sort_implINS0_14default_configELb0EPKaPaPKlPlN2at6native12_GLOBAL__N_18offset_tEEE10hipError_tPvRmT1_PNSt15iterator_traitsIS12_E10value_typeET2_T3_PNS13_IS18_E10value_typeET4_jRbjT5_S1E_jjP12ihipStream_tbEUljE_ZNSN_ISO_Lb0ESQ_SR_ST_SU_SY_EESZ_S10_S11_S12_S16_S17_S18_S1B_S1C_jS1D_jS1E_S1E_jjS1G_bEUljE0_EEESZ_S10_S11_S18_S1C_S1E_T6_T7_T9_mT8_S1G_bDpT10_ENKUlT_T0_E_clISt17integral_constantIbLb0EES1T_IbLb1EEEEDaS1P_S1Q_EUlS1P_E_NS1_11comp_targetILNS1_3genE2ELNS1_11target_archE906ELNS1_3gpuE6ELNS1_3repE0EEENS1_30default_config_static_selectorELNS0_4arch9wavefront6targetE1EEEvS12_
	.p2align	8
	.type	_ZN7rocprim17ROCPRIM_400000_NS6detail17trampoline_kernelINS0_13select_configILj256ELj13ELNS0_17block_load_methodE3ELS4_3ELS4_3ELNS0_20block_scan_algorithmE0ELj4294967295EEENS1_25partition_config_selectorILNS1_17partition_subalgoE4EjNS0_10empty_typeEbEEZZNS1_14partition_implILS8_4ELb0ES6_15HIP_vector_typeIjLj2EENS0_17counting_iteratorIjlEEPS9_SG_NS0_5tupleIJPjSI_NS0_16reverse_iteratorISI_EEEEENSH_IJSG_SG_SG_EEES9_SI_JZNS1_25segmented_radix_sort_implINS0_14default_configELb0EPKaPaPKlPlN2at6native12_GLOBAL__N_18offset_tEEE10hipError_tPvRmT1_PNSt15iterator_traitsIS12_E10value_typeET2_T3_PNS13_IS18_E10value_typeET4_jRbjT5_S1E_jjP12ihipStream_tbEUljE_ZNSN_ISO_Lb0ESQ_SR_ST_SU_SY_EESZ_S10_S11_S12_S16_S17_S18_S1B_S1C_jS1D_jS1E_S1E_jjS1G_bEUljE0_EEESZ_S10_S11_S18_S1C_S1E_T6_T7_T9_mT8_S1G_bDpT10_ENKUlT_T0_E_clISt17integral_constantIbLb0EES1T_IbLb1EEEEDaS1P_S1Q_EUlS1P_E_NS1_11comp_targetILNS1_3genE2ELNS1_11target_archE906ELNS1_3gpuE6ELNS1_3repE0EEENS1_30default_config_static_selectorELNS0_4arch9wavefront6targetE1EEEvS12_,@function
_ZN7rocprim17ROCPRIM_400000_NS6detail17trampoline_kernelINS0_13select_configILj256ELj13ELNS0_17block_load_methodE3ELS4_3ELS4_3ELNS0_20block_scan_algorithmE0ELj4294967295EEENS1_25partition_config_selectorILNS1_17partition_subalgoE4EjNS0_10empty_typeEbEEZZNS1_14partition_implILS8_4ELb0ES6_15HIP_vector_typeIjLj2EENS0_17counting_iteratorIjlEEPS9_SG_NS0_5tupleIJPjSI_NS0_16reverse_iteratorISI_EEEEENSH_IJSG_SG_SG_EEES9_SI_JZNS1_25segmented_radix_sort_implINS0_14default_configELb0EPKaPaPKlPlN2at6native12_GLOBAL__N_18offset_tEEE10hipError_tPvRmT1_PNSt15iterator_traitsIS12_E10value_typeET2_T3_PNS13_IS18_E10value_typeET4_jRbjT5_S1E_jjP12ihipStream_tbEUljE_ZNSN_ISO_Lb0ESQ_SR_ST_SU_SY_EESZ_S10_S11_S12_S16_S17_S18_S1B_S1C_jS1D_jS1E_S1E_jjS1G_bEUljE0_EEESZ_S10_S11_S18_S1C_S1E_T6_T7_T9_mT8_S1G_bDpT10_ENKUlT_T0_E_clISt17integral_constantIbLb0EES1T_IbLb1EEEEDaS1P_S1Q_EUlS1P_E_NS1_11comp_targetILNS1_3genE2ELNS1_11target_archE906ELNS1_3gpuE6ELNS1_3repE0EEENS1_30default_config_static_selectorELNS0_4arch9wavefront6targetE1EEEvS12_: ; @_ZN7rocprim17ROCPRIM_400000_NS6detail17trampoline_kernelINS0_13select_configILj256ELj13ELNS0_17block_load_methodE3ELS4_3ELS4_3ELNS0_20block_scan_algorithmE0ELj4294967295EEENS1_25partition_config_selectorILNS1_17partition_subalgoE4EjNS0_10empty_typeEbEEZZNS1_14partition_implILS8_4ELb0ES6_15HIP_vector_typeIjLj2EENS0_17counting_iteratorIjlEEPS9_SG_NS0_5tupleIJPjSI_NS0_16reverse_iteratorISI_EEEEENSH_IJSG_SG_SG_EEES9_SI_JZNS1_25segmented_radix_sort_implINS0_14default_configELb0EPKaPaPKlPlN2at6native12_GLOBAL__N_18offset_tEEE10hipError_tPvRmT1_PNSt15iterator_traitsIS12_E10value_typeET2_T3_PNS13_IS18_E10value_typeET4_jRbjT5_S1E_jjP12ihipStream_tbEUljE_ZNSN_ISO_Lb0ESQ_SR_ST_SU_SY_EESZ_S10_S11_S12_S16_S17_S18_S1B_S1C_jS1D_jS1E_S1E_jjS1G_bEUljE0_EEESZ_S10_S11_S18_S1C_S1E_T6_T7_T9_mT8_S1G_bDpT10_ENKUlT_T0_E_clISt17integral_constantIbLb0EES1T_IbLb1EEEEDaS1P_S1Q_EUlS1P_E_NS1_11comp_targetILNS1_3genE2ELNS1_11target_archE906ELNS1_3gpuE6ELNS1_3repE0EEENS1_30default_config_static_selectorELNS0_4arch9wavefront6targetE1EEEvS12_
; %bb.0:
	.section	.rodata,"a",@progbits
	.p2align	6, 0x0
	.amdhsa_kernel _ZN7rocprim17ROCPRIM_400000_NS6detail17trampoline_kernelINS0_13select_configILj256ELj13ELNS0_17block_load_methodE3ELS4_3ELS4_3ELNS0_20block_scan_algorithmE0ELj4294967295EEENS1_25partition_config_selectorILNS1_17partition_subalgoE4EjNS0_10empty_typeEbEEZZNS1_14partition_implILS8_4ELb0ES6_15HIP_vector_typeIjLj2EENS0_17counting_iteratorIjlEEPS9_SG_NS0_5tupleIJPjSI_NS0_16reverse_iteratorISI_EEEEENSH_IJSG_SG_SG_EEES9_SI_JZNS1_25segmented_radix_sort_implINS0_14default_configELb0EPKaPaPKlPlN2at6native12_GLOBAL__N_18offset_tEEE10hipError_tPvRmT1_PNSt15iterator_traitsIS12_E10value_typeET2_T3_PNS13_IS18_E10value_typeET4_jRbjT5_S1E_jjP12ihipStream_tbEUljE_ZNSN_ISO_Lb0ESQ_SR_ST_SU_SY_EESZ_S10_S11_S12_S16_S17_S18_S1B_S1C_jS1D_jS1E_S1E_jjS1G_bEUljE0_EEESZ_S10_S11_S18_S1C_S1E_T6_T7_T9_mT8_S1G_bDpT10_ENKUlT_T0_E_clISt17integral_constantIbLb0EES1T_IbLb1EEEEDaS1P_S1Q_EUlS1P_E_NS1_11comp_targetILNS1_3genE2ELNS1_11target_archE906ELNS1_3gpuE6ELNS1_3repE0EEENS1_30default_config_static_selectorELNS0_4arch9wavefront6targetE1EEEvS12_
		.amdhsa_group_segment_fixed_size 0
		.amdhsa_private_segment_fixed_size 0
		.amdhsa_kernarg_size 184
		.amdhsa_user_sgpr_count 6
		.amdhsa_user_sgpr_private_segment_buffer 1
		.amdhsa_user_sgpr_dispatch_ptr 0
		.amdhsa_user_sgpr_queue_ptr 0
		.amdhsa_user_sgpr_kernarg_segment_ptr 1
		.amdhsa_user_sgpr_dispatch_id 0
		.amdhsa_user_sgpr_flat_scratch_init 0
		.amdhsa_user_sgpr_kernarg_preload_length 0
		.amdhsa_user_sgpr_kernarg_preload_offset 0
		.amdhsa_user_sgpr_private_segment_size 0
		.amdhsa_uses_dynamic_stack 0
		.amdhsa_system_sgpr_private_segment_wavefront_offset 0
		.amdhsa_system_sgpr_workgroup_id_x 1
		.amdhsa_system_sgpr_workgroup_id_y 0
		.amdhsa_system_sgpr_workgroup_id_z 0
		.amdhsa_system_sgpr_workgroup_info 0
		.amdhsa_system_vgpr_workitem_id 0
		.amdhsa_next_free_vgpr 1
		.amdhsa_next_free_sgpr 0
		.amdhsa_accum_offset 4
		.amdhsa_reserve_vcc 0
		.amdhsa_reserve_flat_scratch 0
		.amdhsa_float_round_mode_32 0
		.amdhsa_float_round_mode_16_64 0
		.amdhsa_float_denorm_mode_32 3
		.amdhsa_float_denorm_mode_16_64 3
		.amdhsa_dx10_clamp 1
		.amdhsa_ieee_mode 1
		.amdhsa_fp16_overflow 0
		.amdhsa_tg_split 0
		.amdhsa_exception_fp_ieee_invalid_op 0
		.amdhsa_exception_fp_denorm_src 0
		.amdhsa_exception_fp_ieee_div_zero 0
		.amdhsa_exception_fp_ieee_overflow 0
		.amdhsa_exception_fp_ieee_underflow 0
		.amdhsa_exception_fp_ieee_inexact 0
		.amdhsa_exception_int_div_zero 0
	.end_amdhsa_kernel
	.section	.text._ZN7rocprim17ROCPRIM_400000_NS6detail17trampoline_kernelINS0_13select_configILj256ELj13ELNS0_17block_load_methodE3ELS4_3ELS4_3ELNS0_20block_scan_algorithmE0ELj4294967295EEENS1_25partition_config_selectorILNS1_17partition_subalgoE4EjNS0_10empty_typeEbEEZZNS1_14partition_implILS8_4ELb0ES6_15HIP_vector_typeIjLj2EENS0_17counting_iteratorIjlEEPS9_SG_NS0_5tupleIJPjSI_NS0_16reverse_iteratorISI_EEEEENSH_IJSG_SG_SG_EEES9_SI_JZNS1_25segmented_radix_sort_implINS0_14default_configELb0EPKaPaPKlPlN2at6native12_GLOBAL__N_18offset_tEEE10hipError_tPvRmT1_PNSt15iterator_traitsIS12_E10value_typeET2_T3_PNS13_IS18_E10value_typeET4_jRbjT5_S1E_jjP12ihipStream_tbEUljE_ZNSN_ISO_Lb0ESQ_SR_ST_SU_SY_EESZ_S10_S11_S12_S16_S17_S18_S1B_S1C_jS1D_jS1E_S1E_jjS1G_bEUljE0_EEESZ_S10_S11_S18_S1C_S1E_T6_T7_T9_mT8_S1G_bDpT10_ENKUlT_T0_E_clISt17integral_constantIbLb0EES1T_IbLb1EEEEDaS1P_S1Q_EUlS1P_E_NS1_11comp_targetILNS1_3genE2ELNS1_11target_archE906ELNS1_3gpuE6ELNS1_3repE0EEENS1_30default_config_static_selectorELNS0_4arch9wavefront6targetE1EEEvS12_,"axG",@progbits,_ZN7rocprim17ROCPRIM_400000_NS6detail17trampoline_kernelINS0_13select_configILj256ELj13ELNS0_17block_load_methodE3ELS4_3ELS4_3ELNS0_20block_scan_algorithmE0ELj4294967295EEENS1_25partition_config_selectorILNS1_17partition_subalgoE4EjNS0_10empty_typeEbEEZZNS1_14partition_implILS8_4ELb0ES6_15HIP_vector_typeIjLj2EENS0_17counting_iteratorIjlEEPS9_SG_NS0_5tupleIJPjSI_NS0_16reverse_iteratorISI_EEEEENSH_IJSG_SG_SG_EEES9_SI_JZNS1_25segmented_radix_sort_implINS0_14default_configELb0EPKaPaPKlPlN2at6native12_GLOBAL__N_18offset_tEEE10hipError_tPvRmT1_PNSt15iterator_traitsIS12_E10value_typeET2_T3_PNS13_IS18_E10value_typeET4_jRbjT5_S1E_jjP12ihipStream_tbEUljE_ZNSN_ISO_Lb0ESQ_SR_ST_SU_SY_EESZ_S10_S11_S12_S16_S17_S18_S1B_S1C_jS1D_jS1E_S1E_jjS1G_bEUljE0_EEESZ_S10_S11_S18_S1C_S1E_T6_T7_T9_mT8_S1G_bDpT10_ENKUlT_T0_E_clISt17integral_constantIbLb0EES1T_IbLb1EEEEDaS1P_S1Q_EUlS1P_E_NS1_11comp_targetILNS1_3genE2ELNS1_11target_archE906ELNS1_3gpuE6ELNS1_3repE0EEENS1_30default_config_static_selectorELNS0_4arch9wavefront6targetE1EEEvS12_,comdat
.Lfunc_end357:
	.size	_ZN7rocprim17ROCPRIM_400000_NS6detail17trampoline_kernelINS0_13select_configILj256ELj13ELNS0_17block_load_methodE3ELS4_3ELS4_3ELNS0_20block_scan_algorithmE0ELj4294967295EEENS1_25partition_config_selectorILNS1_17partition_subalgoE4EjNS0_10empty_typeEbEEZZNS1_14partition_implILS8_4ELb0ES6_15HIP_vector_typeIjLj2EENS0_17counting_iteratorIjlEEPS9_SG_NS0_5tupleIJPjSI_NS0_16reverse_iteratorISI_EEEEENSH_IJSG_SG_SG_EEES9_SI_JZNS1_25segmented_radix_sort_implINS0_14default_configELb0EPKaPaPKlPlN2at6native12_GLOBAL__N_18offset_tEEE10hipError_tPvRmT1_PNSt15iterator_traitsIS12_E10value_typeET2_T3_PNS13_IS18_E10value_typeET4_jRbjT5_S1E_jjP12ihipStream_tbEUljE_ZNSN_ISO_Lb0ESQ_SR_ST_SU_SY_EESZ_S10_S11_S12_S16_S17_S18_S1B_S1C_jS1D_jS1E_S1E_jjS1G_bEUljE0_EEESZ_S10_S11_S18_S1C_S1E_T6_T7_T9_mT8_S1G_bDpT10_ENKUlT_T0_E_clISt17integral_constantIbLb0EES1T_IbLb1EEEEDaS1P_S1Q_EUlS1P_E_NS1_11comp_targetILNS1_3genE2ELNS1_11target_archE906ELNS1_3gpuE6ELNS1_3repE0EEENS1_30default_config_static_selectorELNS0_4arch9wavefront6targetE1EEEvS12_, .Lfunc_end357-_ZN7rocprim17ROCPRIM_400000_NS6detail17trampoline_kernelINS0_13select_configILj256ELj13ELNS0_17block_load_methodE3ELS4_3ELS4_3ELNS0_20block_scan_algorithmE0ELj4294967295EEENS1_25partition_config_selectorILNS1_17partition_subalgoE4EjNS0_10empty_typeEbEEZZNS1_14partition_implILS8_4ELb0ES6_15HIP_vector_typeIjLj2EENS0_17counting_iteratorIjlEEPS9_SG_NS0_5tupleIJPjSI_NS0_16reverse_iteratorISI_EEEEENSH_IJSG_SG_SG_EEES9_SI_JZNS1_25segmented_radix_sort_implINS0_14default_configELb0EPKaPaPKlPlN2at6native12_GLOBAL__N_18offset_tEEE10hipError_tPvRmT1_PNSt15iterator_traitsIS12_E10value_typeET2_T3_PNS13_IS18_E10value_typeET4_jRbjT5_S1E_jjP12ihipStream_tbEUljE_ZNSN_ISO_Lb0ESQ_SR_ST_SU_SY_EESZ_S10_S11_S12_S16_S17_S18_S1B_S1C_jS1D_jS1E_S1E_jjS1G_bEUljE0_EEESZ_S10_S11_S18_S1C_S1E_T6_T7_T9_mT8_S1G_bDpT10_ENKUlT_T0_E_clISt17integral_constantIbLb0EES1T_IbLb1EEEEDaS1P_S1Q_EUlS1P_E_NS1_11comp_targetILNS1_3genE2ELNS1_11target_archE906ELNS1_3gpuE6ELNS1_3repE0EEENS1_30default_config_static_selectorELNS0_4arch9wavefront6targetE1EEEvS12_
                                        ; -- End function
	.section	.AMDGPU.csdata,"",@progbits
; Kernel info:
; codeLenInByte = 0
; NumSgprs: 4
; NumVgprs: 0
; NumAgprs: 0
; TotalNumVgprs: 0
; ScratchSize: 0
; MemoryBound: 0
; FloatMode: 240
; IeeeMode: 1
; LDSByteSize: 0 bytes/workgroup (compile time only)
; SGPRBlocks: 0
; VGPRBlocks: 0
; NumSGPRsForWavesPerEU: 4
; NumVGPRsForWavesPerEU: 1
; AccumOffset: 4
; Occupancy: 8
; WaveLimiterHint : 0
; COMPUTE_PGM_RSRC2:SCRATCH_EN: 0
; COMPUTE_PGM_RSRC2:USER_SGPR: 6
; COMPUTE_PGM_RSRC2:TRAP_HANDLER: 0
; COMPUTE_PGM_RSRC2:TGID_X_EN: 1
; COMPUTE_PGM_RSRC2:TGID_Y_EN: 0
; COMPUTE_PGM_RSRC2:TGID_Z_EN: 0
; COMPUTE_PGM_RSRC2:TIDIG_COMP_CNT: 0
; COMPUTE_PGM_RSRC3_GFX90A:ACCUM_OFFSET: 0
; COMPUTE_PGM_RSRC3_GFX90A:TG_SPLIT: 0
	.section	.text._ZN7rocprim17ROCPRIM_400000_NS6detail17trampoline_kernelINS0_13select_configILj256ELj13ELNS0_17block_load_methodE3ELS4_3ELS4_3ELNS0_20block_scan_algorithmE0ELj4294967295EEENS1_25partition_config_selectorILNS1_17partition_subalgoE4EjNS0_10empty_typeEbEEZZNS1_14partition_implILS8_4ELb0ES6_15HIP_vector_typeIjLj2EENS0_17counting_iteratorIjlEEPS9_SG_NS0_5tupleIJPjSI_NS0_16reverse_iteratorISI_EEEEENSH_IJSG_SG_SG_EEES9_SI_JZNS1_25segmented_radix_sort_implINS0_14default_configELb0EPKaPaPKlPlN2at6native12_GLOBAL__N_18offset_tEEE10hipError_tPvRmT1_PNSt15iterator_traitsIS12_E10value_typeET2_T3_PNS13_IS18_E10value_typeET4_jRbjT5_S1E_jjP12ihipStream_tbEUljE_ZNSN_ISO_Lb0ESQ_SR_ST_SU_SY_EESZ_S10_S11_S12_S16_S17_S18_S1B_S1C_jS1D_jS1E_S1E_jjS1G_bEUljE0_EEESZ_S10_S11_S18_S1C_S1E_T6_T7_T9_mT8_S1G_bDpT10_ENKUlT_T0_E_clISt17integral_constantIbLb0EES1T_IbLb1EEEEDaS1P_S1Q_EUlS1P_E_NS1_11comp_targetILNS1_3genE10ELNS1_11target_archE1200ELNS1_3gpuE4ELNS1_3repE0EEENS1_30default_config_static_selectorELNS0_4arch9wavefront6targetE1EEEvS12_,"axG",@progbits,_ZN7rocprim17ROCPRIM_400000_NS6detail17trampoline_kernelINS0_13select_configILj256ELj13ELNS0_17block_load_methodE3ELS4_3ELS4_3ELNS0_20block_scan_algorithmE0ELj4294967295EEENS1_25partition_config_selectorILNS1_17partition_subalgoE4EjNS0_10empty_typeEbEEZZNS1_14partition_implILS8_4ELb0ES6_15HIP_vector_typeIjLj2EENS0_17counting_iteratorIjlEEPS9_SG_NS0_5tupleIJPjSI_NS0_16reverse_iteratorISI_EEEEENSH_IJSG_SG_SG_EEES9_SI_JZNS1_25segmented_radix_sort_implINS0_14default_configELb0EPKaPaPKlPlN2at6native12_GLOBAL__N_18offset_tEEE10hipError_tPvRmT1_PNSt15iterator_traitsIS12_E10value_typeET2_T3_PNS13_IS18_E10value_typeET4_jRbjT5_S1E_jjP12ihipStream_tbEUljE_ZNSN_ISO_Lb0ESQ_SR_ST_SU_SY_EESZ_S10_S11_S12_S16_S17_S18_S1B_S1C_jS1D_jS1E_S1E_jjS1G_bEUljE0_EEESZ_S10_S11_S18_S1C_S1E_T6_T7_T9_mT8_S1G_bDpT10_ENKUlT_T0_E_clISt17integral_constantIbLb0EES1T_IbLb1EEEEDaS1P_S1Q_EUlS1P_E_NS1_11comp_targetILNS1_3genE10ELNS1_11target_archE1200ELNS1_3gpuE4ELNS1_3repE0EEENS1_30default_config_static_selectorELNS0_4arch9wavefront6targetE1EEEvS12_,comdat
	.globl	_ZN7rocprim17ROCPRIM_400000_NS6detail17trampoline_kernelINS0_13select_configILj256ELj13ELNS0_17block_load_methodE3ELS4_3ELS4_3ELNS0_20block_scan_algorithmE0ELj4294967295EEENS1_25partition_config_selectorILNS1_17partition_subalgoE4EjNS0_10empty_typeEbEEZZNS1_14partition_implILS8_4ELb0ES6_15HIP_vector_typeIjLj2EENS0_17counting_iteratorIjlEEPS9_SG_NS0_5tupleIJPjSI_NS0_16reverse_iteratorISI_EEEEENSH_IJSG_SG_SG_EEES9_SI_JZNS1_25segmented_radix_sort_implINS0_14default_configELb0EPKaPaPKlPlN2at6native12_GLOBAL__N_18offset_tEEE10hipError_tPvRmT1_PNSt15iterator_traitsIS12_E10value_typeET2_T3_PNS13_IS18_E10value_typeET4_jRbjT5_S1E_jjP12ihipStream_tbEUljE_ZNSN_ISO_Lb0ESQ_SR_ST_SU_SY_EESZ_S10_S11_S12_S16_S17_S18_S1B_S1C_jS1D_jS1E_S1E_jjS1G_bEUljE0_EEESZ_S10_S11_S18_S1C_S1E_T6_T7_T9_mT8_S1G_bDpT10_ENKUlT_T0_E_clISt17integral_constantIbLb0EES1T_IbLb1EEEEDaS1P_S1Q_EUlS1P_E_NS1_11comp_targetILNS1_3genE10ELNS1_11target_archE1200ELNS1_3gpuE4ELNS1_3repE0EEENS1_30default_config_static_selectorELNS0_4arch9wavefront6targetE1EEEvS12_ ; -- Begin function _ZN7rocprim17ROCPRIM_400000_NS6detail17trampoline_kernelINS0_13select_configILj256ELj13ELNS0_17block_load_methodE3ELS4_3ELS4_3ELNS0_20block_scan_algorithmE0ELj4294967295EEENS1_25partition_config_selectorILNS1_17partition_subalgoE4EjNS0_10empty_typeEbEEZZNS1_14partition_implILS8_4ELb0ES6_15HIP_vector_typeIjLj2EENS0_17counting_iteratorIjlEEPS9_SG_NS0_5tupleIJPjSI_NS0_16reverse_iteratorISI_EEEEENSH_IJSG_SG_SG_EEES9_SI_JZNS1_25segmented_radix_sort_implINS0_14default_configELb0EPKaPaPKlPlN2at6native12_GLOBAL__N_18offset_tEEE10hipError_tPvRmT1_PNSt15iterator_traitsIS12_E10value_typeET2_T3_PNS13_IS18_E10value_typeET4_jRbjT5_S1E_jjP12ihipStream_tbEUljE_ZNSN_ISO_Lb0ESQ_SR_ST_SU_SY_EESZ_S10_S11_S12_S16_S17_S18_S1B_S1C_jS1D_jS1E_S1E_jjS1G_bEUljE0_EEESZ_S10_S11_S18_S1C_S1E_T6_T7_T9_mT8_S1G_bDpT10_ENKUlT_T0_E_clISt17integral_constantIbLb0EES1T_IbLb1EEEEDaS1P_S1Q_EUlS1P_E_NS1_11comp_targetILNS1_3genE10ELNS1_11target_archE1200ELNS1_3gpuE4ELNS1_3repE0EEENS1_30default_config_static_selectorELNS0_4arch9wavefront6targetE1EEEvS12_
	.p2align	8
	.type	_ZN7rocprim17ROCPRIM_400000_NS6detail17trampoline_kernelINS0_13select_configILj256ELj13ELNS0_17block_load_methodE3ELS4_3ELS4_3ELNS0_20block_scan_algorithmE0ELj4294967295EEENS1_25partition_config_selectorILNS1_17partition_subalgoE4EjNS0_10empty_typeEbEEZZNS1_14partition_implILS8_4ELb0ES6_15HIP_vector_typeIjLj2EENS0_17counting_iteratorIjlEEPS9_SG_NS0_5tupleIJPjSI_NS0_16reverse_iteratorISI_EEEEENSH_IJSG_SG_SG_EEES9_SI_JZNS1_25segmented_radix_sort_implINS0_14default_configELb0EPKaPaPKlPlN2at6native12_GLOBAL__N_18offset_tEEE10hipError_tPvRmT1_PNSt15iterator_traitsIS12_E10value_typeET2_T3_PNS13_IS18_E10value_typeET4_jRbjT5_S1E_jjP12ihipStream_tbEUljE_ZNSN_ISO_Lb0ESQ_SR_ST_SU_SY_EESZ_S10_S11_S12_S16_S17_S18_S1B_S1C_jS1D_jS1E_S1E_jjS1G_bEUljE0_EEESZ_S10_S11_S18_S1C_S1E_T6_T7_T9_mT8_S1G_bDpT10_ENKUlT_T0_E_clISt17integral_constantIbLb0EES1T_IbLb1EEEEDaS1P_S1Q_EUlS1P_E_NS1_11comp_targetILNS1_3genE10ELNS1_11target_archE1200ELNS1_3gpuE4ELNS1_3repE0EEENS1_30default_config_static_selectorELNS0_4arch9wavefront6targetE1EEEvS12_,@function
_ZN7rocprim17ROCPRIM_400000_NS6detail17trampoline_kernelINS0_13select_configILj256ELj13ELNS0_17block_load_methodE3ELS4_3ELS4_3ELNS0_20block_scan_algorithmE0ELj4294967295EEENS1_25partition_config_selectorILNS1_17partition_subalgoE4EjNS0_10empty_typeEbEEZZNS1_14partition_implILS8_4ELb0ES6_15HIP_vector_typeIjLj2EENS0_17counting_iteratorIjlEEPS9_SG_NS0_5tupleIJPjSI_NS0_16reverse_iteratorISI_EEEEENSH_IJSG_SG_SG_EEES9_SI_JZNS1_25segmented_radix_sort_implINS0_14default_configELb0EPKaPaPKlPlN2at6native12_GLOBAL__N_18offset_tEEE10hipError_tPvRmT1_PNSt15iterator_traitsIS12_E10value_typeET2_T3_PNS13_IS18_E10value_typeET4_jRbjT5_S1E_jjP12ihipStream_tbEUljE_ZNSN_ISO_Lb0ESQ_SR_ST_SU_SY_EESZ_S10_S11_S12_S16_S17_S18_S1B_S1C_jS1D_jS1E_S1E_jjS1G_bEUljE0_EEESZ_S10_S11_S18_S1C_S1E_T6_T7_T9_mT8_S1G_bDpT10_ENKUlT_T0_E_clISt17integral_constantIbLb0EES1T_IbLb1EEEEDaS1P_S1Q_EUlS1P_E_NS1_11comp_targetILNS1_3genE10ELNS1_11target_archE1200ELNS1_3gpuE4ELNS1_3repE0EEENS1_30default_config_static_selectorELNS0_4arch9wavefront6targetE1EEEvS12_: ; @_ZN7rocprim17ROCPRIM_400000_NS6detail17trampoline_kernelINS0_13select_configILj256ELj13ELNS0_17block_load_methodE3ELS4_3ELS4_3ELNS0_20block_scan_algorithmE0ELj4294967295EEENS1_25partition_config_selectorILNS1_17partition_subalgoE4EjNS0_10empty_typeEbEEZZNS1_14partition_implILS8_4ELb0ES6_15HIP_vector_typeIjLj2EENS0_17counting_iteratorIjlEEPS9_SG_NS0_5tupleIJPjSI_NS0_16reverse_iteratorISI_EEEEENSH_IJSG_SG_SG_EEES9_SI_JZNS1_25segmented_radix_sort_implINS0_14default_configELb0EPKaPaPKlPlN2at6native12_GLOBAL__N_18offset_tEEE10hipError_tPvRmT1_PNSt15iterator_traitsIS12_E10value_typeET2_T3_PNS13_IS18_E10value_typeET4_jRbjT5_S1E_jjP12ihipStream_tbEUljE_ZNSN_ISO_Lb0ESQ_SR_ST_SU_SY_EESZ_S10_S11_S12_S16_S17_S18_S1B_S1C_jS1D_jS1E_S1E_jjS1G_bEUljE0_EEESZ_S10_S11_S18_S1C_S1E_T6_T7_T9_mT8_S1G_bDpT10_ENKUlT_T0_E_clISt17integral_constantIbLb0EES1T_IbLb1EEEEDaS1P_S1Q_EUlS1P_E_NS1_11comp_targetILNS1_3genE10ELNS1_11target_archE1200ELNS1_3gpuE4ELNS1_3repE0EEENS1_30default_config_static_selectorELNS0_4arch9wavefront6targetE1EEEvS12_
; %bb.0:
	.section	.rodata,"a",@progbits
	.p2align	6, 0x0
	.amdhsa_kernel _ZN7rocprim17ROCPRIM_400000_NS6detail17trampoline_kernelINS0_13select_configILj256ELj13ELNS0_17block_load_methodE3ELS4_3ELS4_3ELNS0_20block_scan_algorithmE0ELj4294967295EEENS1_25partition_config_selectorILNS1_17partition_subalgoE4EjNS0_10empty_typeEbEEZZNS1_14partition_implILS8_4ELb0ES6_15HIP_vector_typeIjLj2EENS0_17counting_iteratorIjlEEPS9_SG_NS0_5tupleIJPjSI_NS0_16reverse_iteratorISI_EEEEENSH_IJSG_SG_SG_EEES9_SI_JZNS1_25segmented_radix_sort_implINS0_14default_configELb0EPKaPaPKlPlN2at6native12_GLOBAL__N_18offset_tEEE10hipError_tPvRmT1_PNSt15iterator_traitsIS12_E10value_typeET2_T3_PNS13_IS18_E10value_typeET4_jRbjT5_S1E_jjP12ihipStream_tbEUljE_ZNSN_ISO_Lb0ESQ_SR_ST_SU_SY_EESZ_S10_S11_S12_S16_S17_S18_S1B_S1C_jS1D_jS1E_S1E_jjS1G_bEUljE0_EEESZ_S10_S11_S18_S1C_S1E_T6_T7_T9_mT8_S1G_bDpT10_ENKUlT_T0_E_clISt17integral_constantIbLb0EES1T_IbLb1EEEEDaS1P_S1Q_EUlS1P_E_NS1_11comp_targetILNS1_3genE10ELNS1_11target_archE1200ELNS1_3gpuE4ELNS1_3repE0EEENS1_30default_config_static_selectorELNS0_4arch9wavefront6targetE1EEEvS12_
		.amdhsa_group_segment_fixed_size 0
		.amdhsa_private_segment_fixed_size 0
		.amdhsa_kernarg_size 184
		.amdhsa_user_sgpr_count 6
		.amdhsa_user_sgpr_private_segment_buffer 1
		.amdhsa_user_sgpr_dispatch_ptr 0
		.amdhsa_user_sgpr_queue_ptr 0
		.amdhsa_user_sgpr_kernarg_segment_ptr 1
		.amdhsa_user_sgpr_dispatch_id 0
		.amdhsa_user_sgpr_flat_scratch_init 0
		.amdhsa_user_sgpr_kernarg_preload_length 0
		.amdhsa_user_sgpr_kernarg_preload_offset 0
		.amdhsa_user_sgpr_private_segment_size 0
		.amdhsa_uses_dynamic_stack 0
		.amdhsa_system_sgpr_private_segment_wavefront_offset 0
		.amdhsa_system_sgpr_workgroup_id_x 1
		.amdhsa_system_sgpr_workgroup_id_y 0
		.amdhsa_system_sgpr_workgroup_id_z 0
		.amdhsa_system_sgpr_workgroup_info 0
		.amdhsa_system_vgpr_workitem_id 0
		.amdhsa_next_free_vgpr 1
		.amdhsa_next_free_sgpr 0
		.amdhsa_accum_offset 4
		.amdhsa_reserve_vcc 0
		.amdhsa_reserve_flat_scratch 0
		.amdhsa_float_round_mode_32 0
		.amdhsa_float_round_mode_16_64 0
		.amdhsa_float_denorm_mode_32 3
		.amdhsa_float_denorm_mode_16_64 3
		.amdhsa_dx10_clamp 1
		.amdhsa_ieee_mode 1
		.amdhsa_fp16_overflow 0
		.amdhsa_tg_split 0
		.amdhsa_exception_fp_ieee_invalid_op 0
		.amdhsa_exception_fp_denorm_src 0
		.amdhsa_exception_fp_ieee_div_zero 0
		.amdhsa_exception_fp_ieee_overflow 0
		.amdhsa_exception_fp_ieee_underflow 0
		.amdhsa_exception_fp_ieee_inexact 0
		.amdhsa_exception_int_div_zero 0
	.end_amdhsa_kernel
	.section	.text._ZN7rocprim17ROCPRIM_400000_NS6detail17trampoline_kernelINS0_13select_configILj256ELj13ELNS0_17block_load_methodE3ELS4_3ELS4_3ELNS0_20block_scan_algorithmE0ELj4294967295EEENS1_25partition_config_selectorILNS1_17partition_subalgoE4EjNS0_10empty_typeEbEEZZNS1_14partition_implILS8_4ELb0ES6_15HIP_vector_typeIjLj2EENS0_17counting_iteratorIjlEEPS9_SG_NS0_5tupleIJPjSI_NS0_16reverse_iteratorISI_EEEEENSH_IJSG_SG_SG_EEES9_SI_JZNS1_25segmented_radix_sort_implINS0_14default_configELb0EPKaPaPKlPlN2at6native12_GLOBAL__N_18offset_tEEE10hipError_tPvRmT1_PNSt15iterator_traitsIS12_E10value_typeET2_T3_PNS13_IS18_E10value_typeET4_jRbjT5_S1E_jjP12ihipStream_tbEUljE_ZNSN_ISO_Lb0ESQ_SR_ST_SU_SY_EESZ_S10_S11_S12_S16_S17_S18_S1B_S1C_jS1D_jS1E_S1E_jjS1G_bEUljE0_EEESZ_S10_S11_S18_S1C_S1E_T6_T7_T9_mT8_S1G_bDpT10_ENKUlT_T0_E_clISt17integral_constantIbLb0EES1T_IbLb1EEEEDaS1P_S1Q_EUlS1P_E_NS1_11comp_targetILNS1_3genE10ELNS1_11target_archE1200ELNS1_3gpuE4ELNS1_3repE0EEENS1_30default_config_static_selectorELNS0_4arch9wavefront6targetE1EEEvS12_,"axG",@progbits,_ZN7rocprim17ROCPRIM_400000_NS6detail17trampoline_kernelINS0_13select_configILj256ELj13ELNS0_17block_load_methodE3ELS4_3ELS4_3ELNS0_20block_scan_algorithmE0ELj4294967295EEENS1_25partition_config_selectorILNS1_17partition_subalgoE4EjNS0_10empty_typeEbEEZZNS1_14partition_implILS8_4ELb0ES6_15HIP_vector_typeIjLj2EENS0_17counting_iteratorIjlEEPS9_SG_NS0_5tupleIJPjSI_NS0_16reverse_iteratorISI_EEEEENSH_IJSG_SG_SG_EEES9_SI_JZNS1_25segmented_radix_sort_implINS0_14default_configELb0EPKaPaPKlPlN2at6native12_GLOBAL__N_18offset_tEEE10hipError_tPvRmT1_PNSt15iterator_traitsIS12_E10value_typeET2_T3_PNS13_IS18_E10value_typeET4_jRbjT5_S1E_jjP12ihipStream_tbEUljE_ZNSN_ISO_Lb0ESQ_SR_ST_SU_SY_EESZ_S10_S11_S12_S16_S17_S18_S1B_S1C_jS1D_jS1E_S1E_jjS1G_bEUljE0_EEESZ_S10_S11_S18_S1C_S1E_T6_T7_T9_mT8_S1G_bDpT10_ENKUlT_T0_E_clISt17integral_constantIbLb0EES1T_IbLb1EEEEDaS1P_S1Q_EUlS1P_E_NS1_11comp_targetILNS1_3genE10ELNS1_11target_archE1200ELNS1_3gpuE4ELNS1_3repE0EEENS1_30default_config_static_selectorELNS0_4arch9wavefront6targetE1EEEvS12_,comdat
.Lfunc_end358:
	.size	_ZN7rocprim17ROCPRIM_400000_NS6detail17trampoline_kernelINS0_13select_configILj256ELj13ELNS0_17block_load_methodE3ELS4_3ELS4_3ELNS0_20block_scan_algorithmE0ELj4294967295EEENS1_25partition_config_selectorILNS1_17partition_subalgoE4EjNS0_10empty_typeEbEEZZNS1_14partition_implILS8_4ELb0ES6_15HIP_vector_typeIjLj2EENS0_17counting_iteratorIjlEEPS9_SG_NS0_5tupleIJPjSI_NS0_16reverse_iteratorISI_EEEEENSH_IJSG_SG_SG_EEES9_SI_JZNS1_25segmented_radix_sort_implINS0_14default_configELb0EPKaPaPKlPlN2at6native12_GLOBAL__N_18offset_tEEE10hipError_tPvRmT1_PNSt15iterator_traitsIS12_E10value_typeET2_T3_PNS13_IS18_E10value_typeET4_jRbjT5_S1E_jjP12ihipStream_tbEUljE_ZNSN_ISO_Lb0ESQ_SR_ST_SU_SY_EESZ_S10_S11_S12_S16_S17_S18_S1B_S1C_jS1D_jS1E_S1E_jjS1G_bEUljE0_EEESZ_S10_S11_S18_S1C_S1E_T6_T7_T9_mT8_S1G_bDpT10_ENKUlT_T0_E_clISt17integral_constantIbLb0EES1T_IbLb1EEEEDaS1P_S1Q_EUlS1P_E_NS1_11comp_targetILNS1_3genE10ELNS1_11target_archE1200ELNS1_3gpuE4ELNS1_3repE0EEENS1_30default_config_static_selectorELNS0_4arch9wavefront6targetE1EEEvS12_, .Lfunc_end358-_ZN7rocprim17ROCPRIM_400000_NS6detail17trampoline_kernelINS0_13select_configILj256ELj13ELNS0_17block_load_methodE3ELS4_3ELS4_3ELNS0_20block_scan_algorithmE0ELj4294967295EEENS1_25partition_config_selectorILNS1_17partition_subalgoE4EjNS0_10empty_typeEbEEZZNS1_14partition_implILS8_4ELb0ES6_15HIP_vector_typeIjLj2EENS0_17counting_iteratorIjlEEPS9_SG_NS0_5tupleIJPjSI_NS0_16reverse_iteratorISI_EEEEENSH_IJSG_SG_SG_EEES9_SI_JZNS1_25segmented_radix_sort_implINS0_14default_configELb0EPKaPaPKlPlN2at6native12_GLOBAL__N_18offset_tEEE10hipError_tPvRmT1_PNSt15iterator_traitsIS12_E10value_typeET2_T3_PNS13_IS18_E10value_typeET4_jRbjT5_S1E_jjP12ihipStream_tbEUljE_ZNSN_ISO_Lb0ESQ_SR_ST_SU_SY_EESZ_S10_S11_S12_S16_S17_S18_S1B_S1C_jS1D_jS1E_S1E_jjS1G_bEUljE0_EEESZ_S10_S11_S18_S1C_S1E_T6_T7_T9_mT8_S1G_bDpT10_ENKUlT_T0_E_clISt17integral_constantIbLb0EES1T_IbLb1EEEEDaS1P_S1Q_EUlS1P_E_NS1_11comp_targetILNS1_3genE10ELNS1_11target_archE1200ELNS1_3gpuE4ELNS1_3repE0EEENS1_30default_config_static_selectorELNS0_4arch9wavefront6targetE1EEEvS12_
                                        ; -- End function
	.section	.AMDGPU.csdata,"",@progbits
; Kernel info:
; codeLenInByte = 0
; NumSgprs: 4
; NumVgprs: 0
; NumAgprs: 0
; TotalNumVgprs: 0
; ScratchSize: 0
; MemoryBound: 0
; FloatMode: 240
; IeeeMode: 1
; LDSByteSize: 0 bytes/workgroup (compile time only)
; SGPRBlocks: 0
; VGPRBlocks: 0
; NumSGPRsForWavesPerEU: 4
; NumVGPRsForWavesPerEU: 1
; AccumOffset: 4
; Occupancy: 8
; WaveLimiterHint : 0
; COMPUTE_PGM_RSRC2:SCRATCH_EN: 0
; COMPUTE_PGM_RSRC2:USER_SGPR: 6
; COMPUTE_PGM_RSRC2:TRAP_HANDLER: 0
; COMPUTE_PGM_RSRC2:TGID_X_EN: 1
; COMPUTE_PGM_RSRC2:TGID_Y_EN: 0
; COMPUTE_PGM_RSRC2:TGID_Z_EN: 0
; COMPUTE_PGM_RSRC2:TIDIG_COMP_CNT: 0
; COMPUTE_PGM_RSRC3_GFX90A:ACCUM_OFFSET: 0
; COMPUTE_PGM_RSRC3_GFX90A:TG_SPLIT: 0
	.section	.text._ZN7rocprim17ROCPRIM_400000_NS6detail17trampoline_kernelINS0_13select_configILj256ELj13ELNS0_17block_load_methodE3ELS4_3ELS4_3ELNS0_20block_scan_algorithmE0ELj4294967295EEENS1_25partition_config_selectorILNS1_17partition_subalgoE4EjNS0_10empty_typeEbEEZZNS1_14partition_implILS8_4ELb0ES6_15HIP_vector_typeIjLj2EENS0_17counting_iteratorIjlEEPS9_SG_NS0_5tupleIJPjSI_NS0_16reverse_iteratorISI_EEEEENSH_IJSG_SG_SG_EEES9_SI_JZNS1_25segmented_radix_sort_implINS0_14default_configELb0EPKaPaPKlPlN2at6native12_GLOBAL__N_18offset_tEEE10hipError_tPvRmT1_PNSt15iterator_traitsIS12_E10value_typeET2_T3_PNS13_IS18_E10value_typeET4_jRbjT5_S1E_jjP12ihipStream_tbEUljE_ZNSN_ISO_Lb0ESQ_SR_ST_SU_SY_EESZ_S10_S11_S12_S16_S17_S18_S1B_S1C_jS1D_jS1E_S1E_jjS1G_bEUljE0_EEESZ_S10_S11_S18_S1C_S1E_T6_T7_T9_mT8_S1G_bDpT10_ENKUlT_T0_E_clISt17integral_constantIbLb0EES1T_IbLb1EEEEDaS1P_S1Q_EUlS1P_E_NS1_11comp_targetILNS1_3genE9ELNS1_11target_archE1100ELNS1_3gpuE3ELNS1_3repE0EEENS1_30default_config_static_selectorELNS0_4arch9wavefront6targetE1EEEvS12_,"axG",@progbits,_ZN7rocprim17ROCPRIM_400000_NS6detail17trampoline_kernelINS0_13select_configILj256ELj13ELNS0_17block_load_methodE3ELS4_3ELS4_3ELNS0_20block_scan_algorithmE0ELj4294967295EEENS1_25partition_config_selectorILNS1_17partition_subalgoE4EjNS0_10empty_typeEbEEZZNS1_14partition_implILS8_4ELb0ES6_15HIP_vector_typeIjLj2EENS0_17counting_iteratorIjlEEPS9_SG_NS0_5tupleIJPjSI_NS0_16reverse_iteratorISI_EEEEENSH_IJSG_SG_SG_EEES9_SI_JZNS1_25segmented_radix_sort_implINS0_14default_configELb0EPKaPaPKlPlN2at6native12_GLOBAL__N_18offset_tEEE10hipError_tPvRmT1_PNSt15iterator_traitsIS12_E10value_typeET2_T3_PNS13_IS18_E10value_typeET4_jRbjT5_S1E_jjP12ihipStream_tbEUljE_ZNSN_ISO_Lb0ESQ_SR_ST_SU_SY_EESZ_S10_S11_S12_S16_S17_S18_S1B_S1C_jS1D_jS1E_S1E_jjS1G_bEUljE0_EEESZ_S10_S11_S18_S1C_S1E_T6_T7_T9_mT8_S1G_bDpT10_ENKUlT_T0_E_clISt17integral_constantIbLb0EES1T_IbLb1EEEEDaS1P_S1Q_EUlS1P_E_NS1_11comp_targetILNS1_3genE9ELNS1_11target_archE1100ELNS1_3gpuE3ELNS1_3repE0EEENS1_30default_config_static_selectorELNS0_4arch9wavefront6targetE1EEEvS12_,comdat
	.globl	_ZN7rocprim17ROCPRIM_400000_NS6detail17trampoline_kernelINS0_13select_configILj256ELj13ELNS0_17block_load_methodE3ELS4_3ELS4_3ELNS0_20block_scan_algorithmE0ELj4294967295EEENS1_25partition_config_selectorILNS1_17partition_subalgoE4EjNS0_10empty_typeEbEEZZNS1_14partition_implILS8_4ELb0ES6_15HIP_vector_typeIjLj2EENS0_17counting_iteratorIjlEEPS9_SG_NS0_5tupleIJPjSI_NS0_16reverse_iteratorISI_EEEEENSH_IJSG_SG_SG_EEES9_SI_JZNS1_25segmented_radix_sort_implINS0_14default_configELb0EPKaPaPKlPlN2at6native12_GLOBAL__N_18offset_tEEE10hipError_tPvRmT1_PNSt15iterator_traitsIS12_E10value_typeET2_T3_PNS13_IS18_E10value_typeET4_jRbjT5_S1E_jjP12ihipStream_tbEUljE_ZNSN_ISO_Lb0ESQ_SR_ST_SU_SY_EESZ_S10_S11_S12_S16_S17_S18_S1B_S1C_jS1D_jS1E_S1E_jjS1G_bEUljE0_EEESZ_S10_S11_S18_S1C_S1E_T6_T7_T9_mT8_S1G_bDpT10_ENKUlT_T0_E_clISt17integral_constantIbLb0EES1T_IbLb1EEEEDaS1P_S1Q_EUlS1P_E_NS1_11comp_targetILNS1_3genE9ELNS1_11target_archE1100ELNS1_3gpuE3ELNS1_3repE0EEENS1_30default_config_static_selectorELNS0_4arch9wavefront6targetE1EEEvS12_ ; -- Begin function _ZN7rocprim17ROCPRIM_400000_NS6detail17trampoline_kernelINS0_13select_configILj256ELj13ELNS0_17block_load_methodE3ELS4_3ELS4_3ELNS0_20block_scan_algorithmE0ELj4294967295EEENS1_25partition_config_selectorILNS1_17partition_subalgoE4EjNS0_10empty_typeEbEEZZNS1_14partition_implILS8_4ELb0ES6_15HIP_vector_typeIjLj2EENS0_17counting_iteratorIjlEEPS9_SG_NS0_5tupleIJPjSI_NS0_16reverse_iteratorISI_EEEEENSH_IJSG_SG_SG_EEES9_SI_JZNS1_25segmented_radix_sort_implINS0_14default_configELb0EPKaPaPKlPlN2at6native12_GLOBAL__N_18offset_tEEE10hipError_tPvRmT1_PNSt15iterator_traitsIS12_E10value_typeET2_T3_PNS13_IS18_E10value_typeET4_jRbjT5_S1E_jjP12ihipStream_tbEUljE_ZNSN_ISO_Lb0ESQ_SR_ST_SU_SY_EESZ_S10_S11_S12_S16_S17_S18_S1B_S1C_jS1D_jS1E_S1E_jjS1G_bEUljE0_EEESZ_S10_S11_S18_S1C_S1E_T6_T7_T9_mT8_S1G_bDpT10_ENKUlT_T0_E_clISt17integral_constantIbLb0EES1T_IbLb1EEEEDaS1P_S1Q_EUlS1P_E_NS1_11comp_targetILNS1_3genE9ELNS1_11target_archE1100ELNS1_3gpuE3ELNS1_3repE0EEENS1_30default_config_static_selectorELNS0_4arch9wavefront6targetE1EEEvS12_
	.p2align	8
	.type	_ZN7rocprim17ROCPRIM_400000_NS6detail17trampoline_kernelINS0_13select_configILj256ELj13ELNS0_17block_load_methodE3ELS4_3ELS4_3ELNS0_20block_scan_algorithmE0ELj4294967295EEENS1_25partition_config_selectorILNS1_17partition_subalgoE4EjNS0_10empty_typeEbEEZZNS1_14partition_implILS8_4ELb0ES6_15HIP_vector_typeIjLj2EENS0_17counting_iteratorIjlEEPS9_SG_NS0_5tupleIJPjSI_NS0_16reverse_iteratorISI_EEEEENSH_IJSG_SG_SG_EEES9_SI_JZNS1_25segmented_radix_sort_implINS0_14default_configELb0EPKaPaPKlPlN2at6native12_GLOBAL__N_18offset_tEEE10hipError_tPvRmT1_PNSt15iterator_traitsIS12_E10value_typeET2_T3_PNS13_IS18_E10value_typeET4_jRbjT5_S1E_jjP12ihipStream_tbEUljE_ZNSN_ISO_Lb0ESQ_SR_ST_SU_SY_EESZ_S10_S11_S12_S16_S17_S18_S1B_S1C_jS1D_jS1E_S1E_jjS1G_bEUljE0_EEESZ_S10_S11_S18_S1C_S1E_T6_T7_T9_mT8_S1G_bDpT10_ENKUlT_T0_E_clISt17integral_constantIbLb0EES1T_IbLb1EEEEDaS1P_S1Q_EUlS1P_E_NS1_11comp_targetILNS1_3genE9ELNS1_11target_archE1100ELNS1_3gpuE3ELNS1_3repE0EEENS1_30default_config_static_selectorELNS0_4arch9wavefront6targetE1EEEvS12_,@function
_ZN7rocprim17ROCPRIM_400000_NS6detail17trampoline_kernelINS0_13select_configILj256ELj13ELNS0_17block_load_methodE3ELS4_3ELS4_3ELNS0_20block_scan_algorithmE0ELj4294967295EEENS1_25partition_config_selectorILNS1_17partition_subalgoE4EjNS0_10empty_typeEbEEZZNS1_14partition_implILS8_4ELb0ES6_15HIP_vector_typeIjLj2EENS0_17counting_iteratorIjlEEPS9_SG_NS0_5tupleIJPjSI_NS0_16reverse_iteratorISI_EEEEENSH_IJSG_SG_SG_EEES9_SI_JZNS1_25segmented_radix_sort_implINS0_14default_configELb0EPKaPaPKlPlN2at6native12_GLOBAL__N_18offset_tEEE10hipError_tPvRmT1_PNSt15iterator_traitsIS12_E10value_typeET2_T3_PNS13_IS18_E10value_typeET4_jRbjT5_S1E_jjP12ihipStream_tbEUljE_ZNSN_ISO_Lb0ESQ_SR_ST_SU_SY_EESZ_S10_S11_S12_S16_S17_S18_S1B_S1C_jS1D_jS1E_S1E_jjS1G_bEUljE0_EEESZ_S10_S11_S18_S1C_S1E_T6_T7_T9_mT8_S1G_bDpT10_ENKUlT_T0_E_clISt17integral_constantIbLb0EES1T_IbLb1EEEEDaS1P_S1Q_EUlS1P_E_NS1_11comp_targetILNS1_3genE9ELNS1_11target_archE1100ELNS1_3gpuE3ELNS1_3repE0EEENS1_30default_config_static_selectorELNS0_4arch9wavefront6targetE1EEEvS12_: ; @_ZN7rocprim17ROCPRIM_400000_NS6detail17trampoline_kernelINS0_13select_configILj256ELj13ELNS0_17block_load_methodE3ELS4_3ELS4_3ELNS0_20block_scan_algorithmE0ELj4294967295EEENS1_25partition_config_selectorILNS1_17partition_subalgoE4EjNS0_10empty_typeEbEEZZNS1_14partition_implILS8_4ELb0ES6_15HIP_vector_typeIjLj2EENS0_17counting_iteratorIjlEEPS9_SG_NS0_5tupleIJPjSI_NS0_16reverse_iteratorISI_EEEEENSH_IJSG_SG_SG_EEES9_SI_JZNS1_25segmented_radix_sort_implINS0_14default_configELb0EPKaPaPKlPlN2at6native12_GLOBAL__N_18offset_tEEE10hipError_tPvRmT1_PNSt15iterator_traitsIS12_E10value_typeET2_T3_PNS13_IS18_E10value_typeET4_jRbjT5_S1E_jjP12ihipStream_tbEUljE_ZNSN_ISO_Lb0ESQ_SR_ST_SU_SY_EESZ_S10_S11_S12_S16_S17_S18_S1B_S1C_jS1D_jS1E_S1E_jjS1G_bEUljE0_EEESZ_S10_S11_S18_S1C_S1E_T6_T7_T9_mT8_S1G_bDpT10_ENKUlT_T0_E_clISt17integral_constantIbLb0EES1T_IbLb1EEEEDaS1P_S1Q_EUlS1P_E_NS1_11comp_targetILNS1_3genE9ELNS1_11target_archE1100ELNS1_3gpuE3ELNS1_3repE0EEENS1_30default_config_static_selectorELNS0_4arch9wavefront6targetE1EEEvS12_
; %bb.0:
	.section	.rodata,"a",@progbits
	.p2align	6, 0x0
	.amdhsa_kernel _ZN7rocprim17ROCPRIM_400000_NS6detail17trampoline_kernelINS0_13select_configILj256ELj13ELNS0_17block_load_methodE3ELS4_3ELS4_3ELNS0_20block_scan_algorithmE0ELj4294967295EEENS1_25partition_config_selectorILNS1_17partition_subalgoE4EjNS0_10empty_typeEbEEZZNS1_14partition_implILS8_4ELb0ES6_15HIP_vector_typeIjLj2EENS0_17counting_iteratorIjlEEPS9_SG_NS0_5tupleIJPjSI_NS0_16reverse_iteratorISI_EEEEENSH_IJSG_SG_SG_EEES9_SI_JZNS1_25segmented_radix_sort_implINS0_14default_configELb0EPKaPaPKlPlN2at6native12_GLOBAL__N_18offset_tEEE10hipError_tPvRmT1_PNSt15iterator_traitsIS12_E10value_typeET2_T3_PNS13_IS18_E10value_typeET4_jRbjT5_S1E_jjP12ihipStream_tbEUljE_ZNSN_ISO_Lb0ESQ_SR_ST_SU_SY_EESZ_S10_S11_S12_S16_S17_S18_S1B_S1C_jS1D_jS1E_S1E_jjS1G_bEUljE0_EEESZ_S10_S11_S18_S1C_S1E_T6_T7_T9_mT8_S1G_bDpT10_ENKUlT_T0_E_clISt17integral_constantIbLb0EES1T_IbLb1EEEEDaS1P_S1Q_EUlS1P_E_NS1_11comp_targetILNS1_3genE9ELNS1_11target_archE1100ELNS1_3gpuE3ELNS1_3repE0EEENS1_30default_config_static_selectorELNS0_4arch9wavefront6targetE1EEEvS12_
		.amdhsa_group_segment_fixed_size 0
		.amdhsa_private_segment_fixed_size 0
		.amdhsa_kernarg_size 184
		.amdhsa_user_sgpr_count 6
		.amdhsa_user_sgpr_private_segment_buffer 1
		.amdhsa_user_sgpr_dispatch_ptr 0
		.amdhsa_user_sgpr_queue_ptr 0
		.amdhsa_user_sgpr_kernarg_segment_ptr 1
		.amdhsa_user_sgpr_dispatch_id 0
		.amdhsa_user_sgpr_flat_scratch_init 0
		.amdhsa_user_sgpr_kernarg_preload_length 0
		.amdhsa_user_sgpr_kernarg_preload_offset 0
		.amdhsa_user_sgpr_private_segment_size 0
		.amdhsa_uses_dynamic_stack 0
		.amdhsa_system_sgpr_private_segment_wavefront_offset 0
		.amdhsa_system_sgpr_workgroup_id_x 1
		.amdhsa_system_sgpr_workgroup_id_y 0
		.amdhsa_system_sgpr_workgroup_id_z 0
		.amdhsa_system_sgpr_workgroup_info 0
		.amdhsa_system_vgpr_workitem_id 0
		.amdhsa_next_free_vgpr 1
		.amdhsa_next_free_sgpr 0
		.amdhsa_accum_offset 4
		.amdhsa_reserve_vcc 0
		.amdhsa_reserve_flat_scratch 0
		.amdhsa_float_round_mode_32 0
		.amdhsa_float_round_mode_16_64 0
		.amdhsa_float_denorm_mode_32 3
		.amdhsa_float_denorm_mode_16_64 3
		.amdhsa_dx10_clamp 1
		.amdhsa_ieee_mode 1
		.amdhsa_fp16_overflow 0
		.amdhsa_tg_split 0
		.amdhsa_exception_fp_ieee_invalid_op 0
		.amdhsa_exception_fp_denorm_src 0
		.amdhsa_exception_fp_ieee_div_zero 0
		.amdhsa_exception_fp_ieee_overflow 0
		.amdhsa_exception_fp_ieee_underflow 0
		.amdhsa_exception_fp_ieee_inexact 0
		.amdhsa_exception_int_div_zero 0
	.end_amdhsa_kernel
	.section	.text._ZN7rocprim17ROCPRIM_400000_NS6detail17trampoline_kernelINS0_13select_configILj256ELj13ELNS0_17block_load_methodE3ELS4_3ELS4_3ELNS0_20block_scan_algorithmE0ELj4294967295EEENS1_25partition_config_selectorILNS1_17partition_subalgoE4EjNS0_10empty_typeEbEEZZNS1_14partition_implILS8_4ELb0ES6_15HIP_vector_typeIjLj2EENS0_17counting_iteratorIjlEEPS9_SG_NS0_5tupleIJPjSI_NS0_16reverse_iteratorISI_EEEEENSH_IJSG_SG_SG_EEES9_SI_JZNS1_25segmented_radix_sort_implINS0_14default_configELb0EPKaPaPKlPlN2at6native12_GLOBAL__N_18offset_tEEE10hipError_tPvRmT1_PNSt15iterator_traitsIS12_E10value_typeET2_T3_PNS13_IS18_E10value_typeET4_jRbjT5_S1E_jjP12ihipStream_tbEUljE_ZNSN_ISO_Lb0ESQ_SR_ST_SU_SY_EESZ_S10_S11_S12_S16_S17_S18_S1B_S1C_jS1D_jS1E_S1E_jjS1G_bEUljE0_EEESZ_S10_S11_S18_S1C_S1E_T6_T7_T9_mT8_S1G_bDpT10_ENKUlT_T0_E_clISt17integral_constantIbLb0EES1T_IbLb1EEEEDaS1P_S1Q_EUlS1P_E_NS1_11comp_targetILNS1_3genE9ELNS1_11target_archE1100ELNS1_3gpuE3ELNS1_3repE0EEENS1_30default_config_static_selectorELNS0_4arch9wavefront6targetE1EEEvS12_,"axG",@progbits,_ZN7rocprim17ROCPRIM_400000_NS6detail17trampoline_kernelINS0_13select_configILj256ELj13ELNS0_17block_load_methodE3ELS4_3ELS4_3ELNS0_20block_scan_algorithmE0ELj4294967295EEENS1_25partition_config_selectorILNS1_17partition_subalgoE4EjNS0_10empty_typeEbEEZZNS1_14partition_implILS8_4ELb0ES6_15HIP_vector_typeIjLj2EENS0_17counting_iteratorIjlEEPS9_SG_NS0_5tupleIJPjSI_NS0_16reverse_iteratorISI_EEEEENSH_IJSG_SG_SG_EEES9_SI_JZNS1_25segmented_radix_sort_implINS0_14default_configELb0EPKaPaPKlPlN2at6native12_GLOBAL__N_18offset_tEEE10hipError_tPvRmT1_PNSt15iterator_traitsIS12_E10value_typeET2_T3_PNS13_IS18_E10value_typeET4_jRbjT5_S1E_jjP12ihipStream_tbEUljE_ZNSN_ISO_Lb0ESQ_SR_ST_SU_SY_EESZ_S10_S11_S12_S16_S17_S18_S1B_S1C_jS1D_jS1E_S1E_jjS1G_bEUljE0_EEESZ_S10_S11_S18_S1C_S1E_T6_T7_T9_mT8_S1G_bDpT10_ENKUlT_T0_E_clISt17integral_constantIbLb0EES1T_IbLb1EEEEDaS1P_S1Q_EUlS1P_E_NS1_11comp_targetILNS1_3genE9ELNS1_11target_archE1100ELNS1_3gpuE3ELNS1_3repE0EEENS1_30default_config_static_selectorELNS0_4arch9wavefront6targetE1EEEvS12_,comdat
.Lfunc_end359:
	.size	_ZN7rocprim17ROCPRIM_400000_NS6detail17trampoline_kernelINS0_13select_configILj256ELj13ELNS0_17block_load_methodE3ELS4_3ELS4_3ELNS0_20block_scan_algorithmE0ELj4294967295EEENS1_25partition_config_selectorILNS1_17partition_subalgoE4EjNS0_10empty_typeEbEEZZNS1_14partition_implILS8_4ELb0ES6_15HIP_vector_typeIjLj2EENS0_17counting_iteratorIjlEEPS9_SG_NS0_5tupleIJPjSI_NS0_16reverse_iteratorISI_EEEEENSH_IJSG_SG_SG_EEES9_SI_JZNS1_25segmented_radix_sort_implINS0_14default_configELb0EPKaPaPKlPlN2at6native12_GLOBAL__N_18offset_tEEE10hipError_tPvRmT1_PNSt15iterator_traitsIS12_E10value_typeET2_T3_PNS13_IS18_E10value_typeET4_jRbjT5_S1E_jjP12ihipStream_tbEUljE_ZNSN_ISO_Lb0ESQ_SR_ST_SU_SY_EESZ_S10_S11_S12_S16_S17_S18_S1B_S1C_jS1D_jS1E_S1E_jjS1G_bEUljE0_EEESZ_S10_S11_S18_S1C_S1E_T6_T7_T9_mT8_S1G_bDpT10_ENKUlT_T0_E_clISt17integral_constantIbLb0EES1T_IbLb1EEEEDaS1P_S1Q_EUlS1P_E_NS1_11comp_targetILNS1_3genE9ELNS1_11target_archE1100ELNS1_3gpuE3ELNS1_3repE0EEENS1_30default_config_static_selectorELNS0_4arch9wavefront6targetE1EEEvS12_, .Lfunc_end359-_ZN7rocprim17ROCPRIM_400000_NS6detail17trampoline_kernelINS0_13select_configILj256ELj13ELNS0_17block_load_methodE3ELS4_3ELS4_3ELNS0_20block_scan_algorithmE0ELj4294967295EEENS1_25partition_config_selectorILNS1_17partition_subalgoE4EjNS0_10empty_typeEbEEZZNS1_14partition_implILS8_4ELb0ES6_15HIP_vector_typeIjLj2EENS0_17counting_iteratorIjlEEPS9_SG_NS0_5tupleIJPjSI_NS0_16reverse_iteratorISI_EEEEENSH_IJSG_SG_SG_EEES9_SI_JZNS1_25segmented_radix_sort_implINS0_14default_configELb0EPKaPaPKlPlN2at6native12_GLOBAL__N_18offset_tEEE10hipError_tPvRmT1_PNSt15iterator_traitsIS12_E10value_typeET2_T3_PNS13_IS18_E10value_typeET4_jRbjT5_S1E_jjP12ihipStream_tbEUljE_ZNSN_ISO_Lb0ESQ_SR_ST_SU_SY_EESZ_S10_S11_S12_S16_S17_S18_S1B_S1C_jS1D_jS1E_S1E_jjS1G_bEUljE0_EEESZ_S10_S11_S18_S1C_S1E_T6_T7_T9_mT8_S1G_bDpT10_ENKUlT_T0_E_clISt17integral_constantIbLb0EES1T_IbLb1EEEEDaS1P_S1Q_EUlS1P_E_NS1_11comp_targetILNS1_3genE9ELNS1_11target_archE1100ELNS1_3gpuE3ELNS1_3repE0EEENS1_30default_config_static_selectorELNS0_4arch9wavefront6targetE1EEEvS12_
                                        ; -- End function
	.section	.AMDGPU.csdata,"",@progbits
; Kernel info:
; codeLenInByte = 0
; NumSgprs: 4
; NumVgprs: 0
; NumAgprs: 0
; TotalNumVgprs: 0
; ScratchSize: 0
; MemoryBound: 0
; FloatMode: 240
; IeeeMode: 1
; LDSByteSize: 0 bytes/workgroup (compile time only)
; SGPRBlocks: 0
; VGPRBlocks: 0
; NumSGPRsForWavesPerEU: 4
; NumVGPRsForWavesPerEU: 1
; AccumOffset: 4
; Occupancy: 8
; WaveLimiterHint : 0
; COMPUTE_PGM_RSRC2:SCRATCH_EN: 0
; COMPUTE_PGM_RSRC2:USER_SGPR: 6
; COMPUTE_PGM_RSRC2:TRAP_HANDLER: 0
; COMPUTE_PGM_RSRC2:TGID_X_EN: 1
; COMPUTE_PGM_RSRC2:TGID_Y_EN: 0
; COMPUTE_PGM_RSRC2:TGID_Z_EN: 0
; COMPUTE_PGM_RSRC2:TIDIG_COMP_CNT: 0
; COMPUTE_PGM_RSRC3_GFX90A:ACCUM_OFFSET: 0
; COMPUTE_PGM_RSRC3_GFX90A:TG_SPLIT: 0
	.section	.text._ZN7rocprim17ROCPRIM_400000_NS6detail17trampoline_kernelINS0_13select_configILj256ELj13ELNS0_17block_load_methodE3ELS4_3ELS4_3ELNS0_20block_scan_algorithmE0ELj4294967295EEENS1_25partition_config_selectorILNS1_17partition_subalgoE4EjNS0_10empty_typeEbEEZZNS1_14partition_implILS8_4ELb0ES6_15HIP_vector_typeIjLj2EENS0_17counting_iteratorIjlEEPS9_SG_NS0_5tupleIJPjSI_NS0_16reverse_iteratorISI_EEEEENSH_IJSG_SG_SG_EEES9_SI_JZNS1_25segmented_radix_sort_implINS0_14default_configELb0EPKaPaPKlPlN2at6native12_GLOBAL__N_18offset_tEEE10hipError_tPvRmT1_PNSt15iterator_traitsIS12_E10value_typeET2_T3_PNS13_IS18_E10value_typeET4_jRbjT5_S1E_jjP12ihipStream_tbEUljE_ZNSN_ISO_Lb0ESQ_SR_ST_SU_SY_EESZ_S10_S11_S12_S16_S17_S18_S1B_S1C_jS1D_jS1E_S1E_jjS1G_bEUljE0_EEESZ_S10_S11_S18_S1C_S1E_T6_T7_T9_mT8_S1G_bDpT10_ENKUlT_T0_E_clISt17integral_constantIbLb0EES1T_IbLb1EEEEDaS1P_S1Q_EUlS1P_E_NS1_11comp_targetILNS1_3genE8ELNS1_11target_archE1030ELNS1_3gpuE2ELNS1_3repE0EEENS1_30default_config_static_selectorELNS0_4arch9wavefront6targetE1EEEvS12_,"axG",@progbits,_ZN7rocprim17ROCPRIM_400000_NS6detail17trampoline_kernelINS0_13select_configILj256ELj13ELNS0_17block_load_methodE3ELS4_3ELS4_3ELNS0_20block_scan_algorithmE0ELj4294967295EEENS1_25partition_config_selectorILNS1_17partition_subalgoE4EjNS0_10empty_typeEbEEZZNS1_14partition_implILS8_4ELb0ES6_15HIP_vector_typeIjLj2EENS0_17counting_iteratorIjlEEPS9_SG_NS0_5tupleIJPjSI_NS0_16reverse_iteratorISI_EEEEENSH_IJSG_SG_SG_EEES9_SI_JZNS1_25segmented_radix_sort_implINS0_14default_configELb0EPKaPaPKlPlN2at6native12_GLOBAL__N_18offset_tEEE10hipError_tPvRmT1_PNSt15iterator_traitsIS12_E10value_typeET2_T3_PNS13_IS18_E10value_typeET4_jRbjT5_S1E_jjP12ihipStream_tbEUljE_ZNSN_ISO_Lb0ESQ_SR_ST_SU_SY_EESZ_S10_S11_S12_S16_S17_S18_S1B_S1C_jS1D_jS1E_S1E_jjS1G_bEUljE0_EEESZ_S10_S11_S18_S1C_S1E_T6_T7_T9_mT8_S1G_bDpT10_ENKUlT_T0_E_clISt17integral_constantIbLb0EES1T_IbLb1EEEEDaS1P_S1Q_EUlS1P_E_NS1_11comp_targetILNS1_3genE8ELNS1_11target_archE1030ELNS1_3gpuE2ELNS1_3repE0EEENS1_30default_config_static_selectorELNS0_4arch9wavefront6targetE1EEEvS12_,comdat
	.globl	_ZN7rocprim17ROCPRIM_400000_NS6detail17trampoline_kernelINS0_13select_configILj256ELj13ELNS0_17block_load_methodE3ELS4_3ELS4_3ELNS0_20block_scan_algorithmE0ELj4294967295EEENS1_25partition_config_selectorILNS1_17partition_subalgoE4EjNS0_10empty_typeEbEEZZNS1_14partition_implILS8_4ELb0ES6_15HIP_vector_typeIjLj2EENS0_17counting_iteratorIjlEEPS9_SG_NS0_5tupleIJPjSI_NS0_16reverse_iteratorISI_EEEEENSH_IJSG_SG_SG_EEES9_SI_JZNS1_25segmented_radix_sort_implINS0_14default_configELb0EPKaPaPKlPlN2at6native12_GLOBAL__N_18offset_tEEE10hipError_tPvRmT1_PNSt15iterator_traitsIS12_E10value_typeET2_T3_PNS13_IS18_E10value_typeET4_jRbjT5_S1E_jjP12ihipStream_tbEUljE_ZNSN_ISO_Lb0ESQ_SR_ST_SU_SY_EESZ_S10_S11_S12_S16_S17_S18_S1B_S1C_jS1D_jS1E_S1E_jjS1G_bEUljE0_EEESZ_S10_S11_S18_S1C_S1E_T6_T7_T9_mT8_S1G_bDpT10_ENKUlT_T0_E_clISt17integral_constantIbLb0EES1T_IbLb1EEEEDaS1P_S1Q_EUlS1P_E_NS1_11comp_targetILNS1_3genE8ELNS1_11target_archE1030ELNS1_3gpuE2ELNS1_3repE0EEENS1_30default_config_static_selectorELNS0_4arch9wavefront6targetE1EEEvS12_ ; -- Begin function _ZN7rocprim17ROCPRIM_400000_NS6detail17trampoline_kernelINS0_13select_configILj256ELj13ELNS0_17block_load_methodE3ELS4_3ELS4_3ELNS0_20block_scan_algorithmE0ELj4294967295EEENS1_25partition_config_selectorILNS1_17partition_subalgoE4EjNS0_10empty_typeEbEEZZNS1_14partition_implILS8_4ELb0ES6_15HIP_vector_typeIjLj2EENS0_17counting_iteratorIjlEEPS9_SG_NS0_5tupleIJPjSI_NS0_16reverse_iteratorISI_EEEEENSH_IJSG_SG_SG_EEES9_SI_JZNS1_25segmented_radix_sort_implINS0_14default_configELb0EPKaPaPKlPlN2at6native12_GLOBAL__N_18offset_tEEE10hipError_tPvRmT1_PNSt15iterator_traitsIS12_E10value_typeET2_T3_PNS13_IS18_E10value_typeET4_jRbjT5_S1E_jjP12ihipStream_tbEUljE_ZNSN_ISO_Lb0ESQ_SR_ST_SU_SY_EESZ_S10_S11_S12_S16_S17_S18_S1B_S1C_jS1D_jS1E_S1E_jjS1G_bEUljE0_EEESZ_S10_S11_S18_S1C_S1E_T6_T7_T9_mT8_S1G_bDpT10_ENKUlT_T0_E_clISt17integral_constantIbLb0EES1T_IbLb1EEEEDaS1P_S1Q_EUlS1P_E_NS1_11comp_targetILNS1_3genE8ELNS1_11target_archE1030ELNS1_3gpuE2ELNS1_3repE0EEENS1_30default_config_static_selectorELNS0_4arch9wavefront6targetE1EEEvS12_
	.p2align	8
	.type	_ZN7rocprim17ROCPRIM_400000_NS6detail17trampoline_kernelINS0_13select_configILj256ELj13ELNS0_17block_load_methodE3ELS4_3ELS4_3ELNS0_20block_scan_algorithmE0ELj4294967295EEENS1_25partition_config_selectorILNS1_17partition_subalgoE4EjNS0_10empty_typeEbEEZZNS1_14partition_implILS8_4ELb0ES6_15HIP_vector_typeIjLj2EENS0_17counting_iteratorIjlEEPS9_SG_NS0_5tupleIJPjSI_NS0_16reverse_iteratorISI_EEEEENSH_IJSG_SG_SG_EEES9_SI_JZNS1_25segmented_radix_sort_implINS0_14default_configELb0EPKaPaPKlPlN2at6native12_GLOBAL__N_18offset_tEEE10hipError_tPvRmT1_PNSt15iterator_traitsIS12_E10value_typeET2_T3_PNS13_IS18_E10value_typeET4_jRbjT5_S1E_jjP12ihipStream_tbEUljE_ZNSN_ISO_Lb0ESQ_SR_ST_SU_SY_EESZ_S10_S11_S12_S16_S17_S18_S1B_S1C_jS1D_jS1E_S1E_jjS1G_bEUljE0_EEESZ_S10_S11_S18_S1C_S1E_T6_T7_T9_mT8_S1G_bDpT10_ENKUlT_T0_E_clISt17integral_constantIbLb0EES1T_IbLb1EEEEDaS1P_S1Q_EUlS1P_E_NS1_11comp_targetILNS1_3genE8ELNS1_11target_archE1030ELNS1_3gpuE2ELNS1_3repE0EEENS1_30default_config_static_selectorELNS0_4arch9wavefront6targetE1EEEvS12_,@function
_ZN7rocprim17ROCPRIM_400000_NS6detail17trampoline_kernelINS0_13select_configILj256ELj13ELNS0_17block_load_methodE3ELS4_3ELS4_3ELNS0_20block_scan_algorithmE0ELj4294967295EEENS1_25partition_config_selectorILNS1_17partition_subalgoE4EjNS0_10empty_typeEbEEZZNS1_14partition_implILS8_4ELb0ES6_15HIP_vector_typeIjLj2EENS0_17counting_iteratorIjlEEPS9_SG_NS0_5tupleIJPjSI_NS0_16reverse_iteratorISI_EEEEENSH_IJSG_SG_SG_EEES9_SI_JZNS1_25segmented_radix_sort_implINS0_14default_configELb0EPKaPaPKlPlN2at6native12_GLOBAL__N_18offset_tEEE10hipError_tPvRmT1_PNSt15iterator_traitsIS12_E10value_typeET2_T3_PNS13_IS18_E10value_typeET4_jRbjT5_S1E_jjP12ihipStream_tbEUljE_ZNSN_ISO_Lb0ESQ_SR_ST_SU_SY_EESZ_S10_S11_S12_S16_S17_S18_S1B_S1C_jS1D_jS1E_S1E_jjS1G_bEUljE0_EEESZ_S10_S11_S18_S1C_S1E_T6_T7_T9_mT8_S1G_bDpT10_ENKUlT_T0_E_clISt17integral_constantIbLb0EES1T_IbLb1EEEEDaS1P_S1Q_EUlS1P_E_NS1_11comp_targetILNS1_3genE8ELNS1_11target_archE1030ELNS1_3gpuE2ELNS1_3repE0EEENS1_30default_config_static_selectorELNS0_4arch9wavefront6targetE1EEEvS12_: ; @_ZN7rocprim17ROCPRIM_400000_NS6detail17trampoline_kernelINS0_13select_configILj256ELj13ELNS0_17block_load_methodE3ELS4_3ELS4_3ELNS0_20block_scan_algorithmE0ELj4294967295EEENS1_25partition_config_selectorILNS1_17partition_subalgoE4EjNS0_10empty_typeEbEEZZNS1_14partition_implILS8_4ELb0ES6_15HIP_vector_typeIjLj2EENS0_17counting_iteratorIjlEEPS9_SG_NS0_5tupleIJPjSI_NS0_16reverse_iteratorISI_EEEEENSH_IJSG_SG_SG_EEES9_SI_JZNS1_25segmented_radix_sort_implINS0_14default_configELb0EPKaPaPKlPlN2at6native12_GLOBAL__N_18offset_tEEE10hipError_tPvRmT1_PNSt15iterator_traitsIS12_E10value_typeET2_T3_PNS13_IS18_E10value_typeET4_jRbjT5_S1E_jjP12ihipStream_tbEUljE_ZNSN_ISO_Lb0ESQ_SR_ST_SU_SY_EESZ_S10_S11_S12_S16_S17_S18_S1B_S1C_jS1D_jS1E_S1E_jjS1G_bEUljE0_EEESZ_S10_S11_S18_S1C_S1E_T6_T7_T9_mT8_S1G_bDpT10_ENKUlT_T0_E_clISt17integral_constantIbLb0EES1T_IbLb1EEEEDaS1P_S1Q_EUlS1P_E_NS1_11comp_targetILNS1_3genE8ELNS1_11target_archE1030ELNS1_3gpuE2ELNS1_3repE0EEENS1_30default_config_static_selectorELNS0_4arch9wavefront6targetE1EEEvS12_
; %bb.0:
	.section	.rodata,"a",@progbits
	.p2align	6, 0x0
	.amdhsa_kernel _ZN7rocprim17ROCPRIM_400000_NS6detail17trampoline_kernelINS0_13select_configILj256ELj13ELNS0_17block_load_methodE3ELS4_3ELS4_3ELNS0_20block_scan_algorithmE0ELj4294967295EEENS1_25partition_config_selectorILNS1_17partition_subalgoE4EjNS0_10empty_typeEbEEZZNS1_14partition_implILS8_4ELb0ES6_15HIP_vector_typeIjLj2EENS0_17counting_iteratorIjlEEPS9_SG_NS0_5tupleIJPjSI_NS0_16reverse_iteratorISI_EEEEENSH_IJSG_SG_SG_EEES9_SI_JZNS1_25segmented_radix_sort_implINS0_14default_configELb0EPKaPaPKlPlN2at6native12_GLOBAL__N_18offset_tEEE10hipError_tPvRmT1_PNSt15iterator_traitsIS12_E10value_typeET2_T3_PNS13_IS18_E10value_typeET4_jRbjT5_S1E_jjP12ihipStream_tbEUljE_ZNSN_ISO_Lb0ESQ_SR_ST_SU_SY_EESZ_S10_S11_S12_S16_S17_S18_S1B_S1C_jS1D_jS1E_S1E_jjS1G_bEUljE0_EEESZ_S10_S11_S18_S1C_S1E_T6_T7_T9_mT8_S1G_bDpT10_ENKUlT_T0_E_clISt17integral_constantIbLb0EES1T_IbLb1EEEEDaS1P_S1Q_EUlS1P_E_NS1_11comp_targetILNS1_3genE8ELNS1_11target_archE1030ELNS1_3gpuE2ELNS1_3repE0EEENS1_30default_config_static_selectorELNS0_4arch9wavefront6targetE1EEEvS12_
		.amdhsa_group_segment_fixed_size 0
		.amdhsa_private_segment_fixed_size 0
		.amdhsa_kernarg_size 184
		.amdhsa_user_sgpr_count 6
		.amdhsa_user_sgpr_private_segment_buffer 1
		.amdhsa_user_sgpr_dispatch_ptr 0
		.amdhsa_user_sgpr_queue_ptr 0
		.amdhsa_user_sgpr_kernarg_segment_ptr 1
		.amdhsa_user_sgpr_dispatch_id 0
		.amdhsa_user_sgpr_flat_scratch_init 0
		.amdhsa_user_sgpr_kernarg_preload_length 0
		.amdhsa_user_sgpr_kernarg_preload_offset 0
		.amdhsa_user_sgpr_private_segment_size 0
		.amdhsa_uses_dynamic_stack 0
		.amdhsa_system_sgpr_private_segment_wavefront_offset 0
		.amdhsa_system_sgpr_workgroup_id_x 1
		.amdhsa_system_sgpr_workgroup_id_y 0
		.amdhsa_system_sgpr_workgroup_id_z 0
		.amdhsa_system_sgpr_workgroup_info 0
		.amdhsa_system_vgpr_workitem_id 0
		.amdhsa_next_free_vgpr 1
		.amdhsa_next_free_sgpr 0
		.amdhsa_accum_offset 4
		.amdhsa_reserve_vcc 0
		.amdhsa_reserve_flat_scratch 0
		.amdhsa_float_round_mode_32 0
		.amdhsa_float_round_mode_16_64 0
		.amdhsa_float_denorm_mode_32 3
		.amdhsa_float_denorm_mode_16_64 3
		.amdhsa_dx10_clamp 1
		.amdhsa_ieee_mode 1
		.amdhsa_fp16_overflow 0
		.amdhsa_tg_split 0
		.amdhsa_exception_fp_ieee_invalid_op 0
		.amdhsa_exception_fp_denorm_src 0
		.amdhsa_exception_fp_ieee_div_zero 0
		.amdhsa_exception_fp_ieee_overflow 0
		.amdhsa_exception_fp_ieee_underflow 0
		.amdhsa_exception_fp_ieee_inexact 0
		.amdhsa_exception_int_div_zero 0
	.end_amdhsa_kernel
	.section	.text._ZN7rocprim17ROCPRIM_400000_NS6detail17trampoline_kernelINS0_13select_configILj256ELj13ELNS0_17block_load_methodE3ELS4_3ELS4_3ELNS0_20block_scan_algorithmE0ELj4294967295EEENS1_25partition_config_selectorILNS1_17partition_subalgoE4EjNS0_10empty_typeEbEEZZNS1_14partition_implILS8_4ELb0ES6_15HIP_vector_typeIjLj2EENS0_17counting_iteratorIjlEEPS9_SG_NS0_5tupleIJPjSI_NS0_16reverse_iteratorISI_EEEEENSH_IJSG_SG_SG_EEES9_SI_JZNS1_25segmented_radix_sort_implINS0_14default_configELb0EPKaPaPKlPlN2at6native12_GLOBAL__N_18offset_tEEE10hipError_tPvRmT1_PNSt15iterator_traitsIS12_E10value_typeET2_T3_PNS13_IS18_E10value_typeET4_jRbjT5_S1E_jjP12ihipStream_tbEUljE_ZNSN_ISO_Lb0ESQ_SR_ST_SU_SY_EESZ_S10_S11_S12_S16_S17_S18_S1B_S1C_jS1D_jS1E_S1E_jjS1G_bEUljE0_EEESZ_S10_S11_S18_S1C_S1E_T6_T7_T9_mT8_S1G_bDpT10_ENKUlT_T0_E_clISt17integral_constantIbLb0EES1T_IbLb1EEEEDaS1P_S1Q_EUlS1P_E_NS1_11comp_targetILNS1_3genE8ELNS1_11target_archE1030ELNS1_3gpuE2ELNS1_3repE0EEENS1_30default_config_static_selectorELNS0_4arch9wavefront6targetE1EEEvS12_,"axG",@progbits,_ZN7rocprim17ROCPRIM_400000_NS6detail17trampoline_kernelINS0_13select_configILj256ELj13ELNS0_17block_load_methodE3ELS4_3ELS4_3ELNS0_20block_scan_algorithmE0ELj4294967295EEENS1_25partition_config_selectorILNS1_17partition_subalgoE4EjNS0_10empty_typeEbEEZZNS1_14partition_implILS8_4ELb0ES6_15HIP_vector_typeIjLj2EENS0_17counting_iteratorIjlEEPS9_SG_NS0_5tupleIJPjSI_NS0_16reverse_iteratorISI_EEEEENSH_IJSG_SG_SG_EEES9_SI_JZNS1_25segmented_radix_sort_implINS0_14default_configELb0EPKaPaPKlPlN2at6native12_GLOBAL__N_18offset_tEEE10hipError_tPvRmT1_PNSt15iterator_traitsIS12_E10value_typeET2_T3_PNS13_IS18_E10value_typeET4_jRbjT5_S1E_jjP12ihipStream_tbEUljE_ZNSN_ISO_Lb0ESQ_SR_ST_SU_SY_EESZ_S10_S11_S12_S16_S17_S18_S1B_S1C_jS1D_jS1E_S1E_jjS1G_bEUljE0_EEESZ_S10_S11_S18_S1C_S1E_T6_T7_T9_mT8_S1G_bDpT10_ENKUlT_T0_E_clISt17integral_constantIbLb0EES1T_IbLb1EEEEDaS1P_S1Q_EUlS1P_E_NS1_11comp_targetILNS1_3genE8ELNS1_11target_archE1030ELNS1_3gpuE2ELNS1_3repE0EEENS1_30default_config_static_selectorELNS0_4arch9wavefront6targetE1EEEvS12_,comdat
.Lfunc_end360:
	.size	_ZN7rocprim17ROCPRIM_400000_NS6detail17trampoline_kernelINS0_13select_configILj256ELj13ELNS0_17block_load_methodE3ELS4_3ELS4_3ELNS0_20block_scan_algorithmE0ELj4294967295EEENS1_25partition_config_selectorILNS1_17partition_subalgoE4EjNS0_10empty_typeEbEEZZNS1_14partition_implILS8_4ELb0ES6_15HIP_vector_typeIjLj2EENS0_17counting_iteratorIjlEEPS9_SG_NS0_5tupleIJPjSI_NS0_16reverse_iteratorISI_EEEEENSH_IJSG_SG_SG_EEES9_SI_JZNS1_25segmented_radix_sort_implINS0_14default_configELb0EPKaPaPKlPlN2at6native12_GLOBAL__N_18offset_tEEE10hipError_tPvRmT1_PNSt15iterator_traitsIS12_E10value_typeET2_T3_PNS13_IS18_E10value_typeET4_jRbjT5_S1E_jjP12ihipStream_tbEUljE_ZNSN_ISO_Lb0ESQ_SR_ST_SU_SY_EESZ_S10_S11_S12_S16_S17_S18_S1B_S1C_jS1D_jS1E_S1E_jjS1G_bEUljE0_EEESZ_S10_S11_S18_S1C_S1E_T6_T7_T9_mT8_S1G_bDpT10_ENKUlT_T0_E_clISt17integral_constantIbLb0EES1T_IbLb1EEEEDaS1P_S1Q_EUlS1P_E_NS1_11comp_targetILNS1_3genE8ELNS1_11target_archE1030ELNS1_3gpuE2ELNS1_3repE0EEENS1_30default_config_static_selectorELNS0_4arch9wavefront6targetE1EEEvS12_, .Lfunc_end360-_ZN7rocprim17ROCPRIM_400000_NS6detail17trampoline_kernelINS0_13select_configILj256ELj13ELNS0_17block_load_methodE3ELS4_3ELS4_3ELNS0_20block_scan_algorithmE0ELj4294967295EEENS1_25partition_config_selectorILNS1_17partition_subalgoE4EjNS0_10empty_typeEbEEZZNS1_14partition_implILS8_4ELb0ES6_15HIP_vector_typeIjLj2EENS0_17counting_iteratorIjlEEPS9_SG_NS0_5tupleIJPjSI_NS0_16reverse_iteratorISI_EEEEENSH_IJSG_SG_SG_EEES9_SI_JZNS1_25segmented_radix_sort_implINS0_14default_configELb0EPKaPaPKlPlN2at6native12_GLOBAL__N_18offset_tEEE10hipError_tPvRmT1_PNSt15iterator_traitsIS12_E10value_typeET2_T3_PNS13_IS18_E10value_typeET4_jRbjT5_S1E_jjP12ihipStream_tbEUljE_ZNSN_ISO_Lb0ESQ_SR_ST_SU_SY_EESZ_S10_S11_S12_S16_S17_S18_S1B_S1C_jS1D_jS1E_S1E_jjS1G_bEUljE0_EEESZ_S10_S11_S18_S1C_S1E_T6_T7_T9_mT8_S1G_bDpT10_ENKUlT_T0_E_clISt17integral_constantIbLb0EES1T_IbLb1EEEEDaS1P_S1Q_EUlS1P_E_NS1_11comp_targetILNS1_3genE8ELNS1_11target_archE1030ELNS1_3gpuE2ELNS1_3repE0EEENS1_30default_config_static_selectorELNS0_4arch9wavefront6targetE1EEEvS12_
                                        ; -- End function
	.section	.AMDGPU.csdata,"",@progbits
; Kernel info:
; codeLenInByte = 0
; NumSgprs: 4
; NumVgprs: 0
; NumAgprs: 0
; TotalNumVgprs: 0
; ScratchSize: 0
; MemoryBound: 0
; FloatMode: 240
; IeeeMode: 1
; LDSByteSize: 0 bytes/workgroup (compile time only)
; SGPRBlocks: 0
; VGPRBlocks: 0
; NumSGPRsForWavesPerEU: 4
; NumVGPRsForWavesPerEU: 1
; AccumOffset: 4
; Occupancy: 8
; WaveLimiterHint : 0
; COMPUTE_PGM_RSRC2:SCRATCH_EN: 0
; COMPUTE_PGM_RSRC2:USER_SGPR: 6
; COMPUTE_PGM_RSRC2:TRAP_HANDLER: 0
; COMPUTE_PGM_RSRC2:TGID_X_EN: 1
; COMPUTE_PGM_RSRC2:TGID_Y_EN: 0
; COMPUTE_PGM_RSRC2:TGID_Z_EN: 0
; COMPUTE_PGM_RSRC2:TIDIG_COMP_CNT: 0
; COMPUTE_PGM_RSRC3_GFX90A:ACCUM_OFFSET: 0
; COMPUTE_PGM_RSRC3_GFX90A:TG_SPLIT: 0
	.section	.text._ZN7rocprim17ROCPRIM_400000_NS6detail17trampoline_kernelINS0_13select_configILj256ELj13ELNS0_17block_load_methodE3ELS4_3ELS4_3ELNS0_20block_scan_algorithmE0ELj4294967295EEENS1_25partition_config_selectorILNS1_17partition_subalgoE3EjNS0_10empty_typeEbEEZZNS1_14partition_implILS8_3ELb0ES6_jNS0_17counting_iteratorIjlEEPS9_SE_NS0_5tupleIJPjSE_EEENSF_IJSE_SE_EEES9_SG_JZNS1_25segmented_radix_sort_implINS0_14default_configELb0EPKaPaPKlPlN2at6native12_GLOBAL__N_18offset_tEEE10hipError_tPvRmT1_PNSt15iterator_traitsISY_E10value_typeET2_T3_PNSZ_IS14_E10value_typeET4_jRbjT5_S1A_jjP12ihipStream_tbEUljE_EEESV_SW_SX_S14_S18_S1A_T6_T7_T9_mT8_S1C_bDpT10_ENKUlT_T0_E_clISt17integral_constantIbLb0EES1P_EEDaS1K_S1L_EUlS1K_E_NS1_11comp_targetILNS1_3genE0ELNS1_11target_archE4294967295ELNS1_3gpuE0ELNS1_3repE0EEENS1_30default_config_static_selectorELNS0_4arch9wavefront6targetE1EEEvSY_,"axG",@progbits,_ZN7rocprim17ROCPRIM_400000_NS6detail17trampoline_kernelINS0_13select_configILj256ELj13ELNS0_17block_load_methodE3ELS4_3ELS4_3ELNS0_20block_scan_algorithmE0ELj4294967295EEENS1_25partition_config_selectorILNS1_17partition_subalgoE3EjNS0_10empty_typeEbEEZZNS1_14partition_implILS8_3ELb0ES6_jNS0_17counting_iteratorIjlEEPS9_SE_NS0_5tupleIJPjSE_EEENSF_IJSE_SE_EEES9_SG_JZNS1_25segmented_radix_sort_implINS0_14default_configELb0EPKaPaPKlPlN2at6native12_GLOBAL__N_18offset_tEEE10hipError_tPvRmT1_PNSt15iterator_traitsISY_E10value_typeET2_T3_PNSZ_IS14_E10value_typeET4_jRbjT5_S1A_jjP12ihipStream_tbEUljE_EEESV_SW_SX_S14_S18_S1A_T6_T7_T9_mT8_S1C_bDpT10_ENKUlT_T0_E_clISt17integral_constantIbLb0EES1P_EEDaS1K_S1L_EUlS1K_E_NS1_11comp_targetILNS1_3genE0ELNS1_11target_archE4294967295ELNS1_3gpuE0ELNS1_3repE0EEENS1_30default_config_static_selectorELNS0_4arch9wavefront6targetE1EEEvSY_,comdat
	.globl	_ZN7rocprim17ROCPRIM_400000_NS6detail17trampoline_kernelINS0_13select_configILj256ELj13ELNS0_17block_load_methodE3ELS4_3ELS4_3ELNS0_20block_scan_algorithmE0ELj4294967295EEENS1_25partition_config_selectorILNS1_17partition_subalgoE3EjNS0_10empty_typeEbEEZZNS1_14partition_implILS8_3ELb0ES6_jNS0_17counting_iteratorIjlEEPS9_SE_NS0_5tupleIJPjSE_EEENSF_IJSE_SE_EEES9_SG_JZNS1_25segmented_radix_sort_implINS0_14default_configELb0EPKaPaPKlPlN2at6native12_GLOBAL__N_18offset_tEEE10hipError_tPvRmT1_PNSt15iterator_traitsISY_E10value_typeET2_T3_PNSZ_IS14_E10value_typeET4_jRbjT5_S1A_jjP12ihipStream_tbEUljE_EEESV_SW_SX_S14_S18_S1A_T6_T7_T9_mT8_S1C_bDpT10_ENKUlT_T0_E_clISt17integral_constantIbLb0EES1P_EEDaS1K_S1L_EUlS1K_E_NS1_11comp_targetILNS1_3genE0ELNS1_11target_archE4294967295ELNS1_3gpuE0ELNS1_3repE0EEENS1_30default_config_static_selectorELNS0_4arch9wavefront6targetE1EEEvSY_ ; -- Begin function _ZN7rocprim17ROCPRIM_400000_NS6detail17trampoline_kernelINS0_13select_configILj256ELj13ELNS0_17block_load_methodE3ELS4_3ELS4_3ELNS0_20block_scan_algorithmE0ELj4294967295EEENS1_25partition_config_selectorILNS1_17partition_subalgoE3EjNS0_10empty_typeEbEEZZNS1_14partition_implILS8_3ELb0ES6_jNS0_17counting_iteratorIjlEEPS9_SE_NS0_5tupleIJPjSE_EEENSF_IJSE_SE_EEES9_SG_JZNS1_25segmented_radix_sort_implINS0_14default_configELb0EPKaPaPKlPlN2at6native12_GLOBAL__N_18offset_tEEE10hipError_tPvRmT1_PNSt15iterator_traitsISY_E10value_typeET2_T3_PNSZ_IS14_E10value_typeET4_jRbjT5_S1A_jjP12ihipStream_tbEUljE_EEESV_SW_SX_S14_S18_S1A_T6_T7_T9_mT8_S1C_bDpT10_ENKUlT_T0_E_clISt17integral_constantIbLb0EES1P_EEDaS1K_S1L_EUlS1K_E_NS1_11comp_targetILNS1_3genE0ELNS1_11target_archE4294967295ELNS1_3gpuE0ELNS1_3repE0EEENS1_30default_config_static_selectorELNS0_4arch9wavefront6targetE1EEEvSY_
	.p2align	8
	.type	_ZN7rocprim17ROCPRIM_400000_NS6detail17trampoline_kernelINS0_13select_configILj256ELj13ELNS0_17block_load_methodE3ELS4_3ELS4_3ELNS0_20block_scan_algorithmE0ELj4294967295EEENS1_25partition_config_selectorILNS1_17partition_subalgoE3EjNS0_10empty_typeEbEEZZNS1_14partition_implILS8_3ELb0ES6_jNS0_17counting_iteratorIjlEEPS9_SE_NS0_5tupleIJPjSE_EEENSF_IJSE_SE_EEES9_SG_JZNS1_25segmented_radix_sort_implINS0_14default_configELb0EPKaPaPKlPlN2at6native12_GLOBAL__N_18offset_tEEE10hipError_tPvRmT1_PNSt15iterator_traitsISY_E10value_typeET2_T3_PNSZ_IS14_E10value_typeET4_jRbjT5_S1A_jjP12ihipStream_tbEUljE_EEESV_SW_SX_S14_S18_S1A_T6_T7_T9_mT8_S1C_bDpT10_ENKUlT_T0_E_clISt17integral_constantIbLb0EES1P_EEDaS1K_S1L_EUlS1K_E_NS1_11comp_targetILNS1_3genE0ELNS1_11target_archE4294967295ELNS1_3gpuE0ELNS1_3repE0EEENS1_30default_config_static_selectorELNS0_4arch9wavefront6targetE1EEEvSY_,@function
_ZN7rocprim17ROCPRIM_400000_NS6detail17trampoline_kernelINS0_13select_configILj256ELj13ELNS0_17block_load_methodE3ELS4_3ELS4_3ELNS0_20block_scan_algorithmE0ELj4294967295EEENS1_25partition_config_selectorILNS1_17partition_subalgoE3EjNS0_10empty_typeEbEEZZNS1_14partition_implILS8_3ELb0ES6_jNS0_17counting_iteratorIjlEEPS9_SE_NS0_5tupleIJPjSE_EEENSF_IJSE_SE_EEES9_SG_JZNS1_25segmented_radix_sort_implINS0_14default_configELb0EPKaPaPKlPlN2at6native12_GLOBAL__N_18offset_tEEE10hipError_tPvRmT1_PNSt15iterator_traitsISY_E10value_typeET2_T3_PNSZ_IS14_E10value_typeET4_jRbjT5_S1A_jjP12ihipStream_tbEUljE_EEESV_SW_SX_S14_S18_S1A_T6_T7_T9_mT8_S1C_bDpT10_ENKUlT_T0_E_clISt17integral_constantIbLb0EES1P_EEDaS1K_S1L_EUlS1K_E_NS1_11comp_targetILNS1_3genE0ELNS1_11target_archE4294967295ELNS1_3gpuE0ELNS1_3repE0EEENS1_30default_config_static_selectorELNS0_4arch9wavefront6targetE1EEEvSY_: ; @_ZN7rocprim17ROCPRIM_400000_NS6detail17trampoline_kernelINS0_13select_configILj256ELj13ELNS0_17block_load_methodE3ELS4_3ELS4_3ELNS0_20block_scan_algorithmE0ELj4294967295EEENS1_25partition_config_selectorILNS1_17partition_subalgoE3EjNS0_10empty_typeEbEEZZNS1_14partition_implILS8_3ELb0ES6_jNS0_17counting_iteratorIjlEEPS9_SE_NS0_5tupleIJPjSE_EEENSF_IJSE_SE_EEES9_SG_JZNS1_25segmented_radix_sort_implINS0_14default_configELb0EPKaPaPKlPlN2at6native12_GLOBAL__N_18offset_tEEE10hipError_tPvRmT1_PNSt15iterator_traitsISY_E10value_typeET2_T3_PNSZ_IS14_E10value_typeET4_jRbjT5_S1A_jjP12ihipStream_tbEUljE_EEESV_SW_SX_S14_S18_S1A_T6_T7_T9_mT8_S1C_bDpT10_ENKUlT_T0_E_clISt17integral_constantIbLb0EES1P_EEDaS1K_S1L_EUlS1K_E_NS1_11comp_targetILNS1_3genE0ELNS1_11target_archE4294967295ELNS1_3gpuE0ELNS1_3repE0EEENS1_30default_config_static_selectorELNS0_4arch9wavefront6targetE1EEEvSY_
; %bb.0:
	.section	.rodata,"a",@progbits
	.p2align	6, 0x0
	.amdhsa_kernel _ZN7rocprim17ROCPRIM_400000_NS6detail17trampoline_kernelINS0_13select_configILj256ELj13ELNS0_17block_load_methodE3ELS4_3ELS4_3ELNS0_20block_scan_algorithmE0ELj4294967295EEENS1_25partition_config_selectorILNS1_17partition_subalgoE3EjNS0_10empty_typeEbEEZZNS1_14partition_implILS8_3ELb0ES6_jNS0_17counting_iteratorIjlEEPS9_SE_NS0_5tupleIJPjSE_EEENSF_IJSE_SE_EEES9_SG_JZNS1_25segmented_radix_sort_implINS0_14default_configELb0EPKaPaPKlPlN2at6native12_GLOBAL__N_18offset_tEEE10hipError_tPvRmT1_PNSt15iterator_traitsISY_E10value_typeET2_T3_PNSZ_IS14_E10value_typeET4_jRbjT5_S1A_jjP12ihipStream_tbEUljE_EEESV_SW_SX_S14_S18_S1A_T6_T7_T9_mT8_S1C_bDpT10_ENKUlT_T0_E_clISt17integral_constantIbLb0EES1P_EEDaS1K_S1L_EUlS1K_E_NS1_11comp_targetILNS1_3genE0ELNS1_11target_archE4294967295ELNS1_3gpuE0ELNS1_3repE0EEENS1_30default_config_static_selectorELNS0_4arch9wavefront6targetE1EEEvSY_
		.amdhsa_group_segment_fixed_size 0
		.amdhsa_private_segment_fixed_size 0
		.amdhsa_kernarg_size 144
		.amdhsa_user_sgpr_count 6
		.amdhsa_user_sgpr_private_segment_buffer 1
		.amdhsa_user_sgpr_dispatch_ptr 0
		.amdhsa_user_sgpr_queue_ptr 0
		.amdhsa_user_sgpr_kernarg_segment_ptr 1
		.amdhsa_user_sgpr_dispatch_id 0
		.amdhsa_user_sgpr_flat_scratch_init 0
		.amdhsa_user_sgpr_kernarg_preload_length 0
		.amdhsa_user_sgpr_kernarg_preload_offset 0
		.amdhsa_user_sgpr_private_segment_size 0
		.amdhsa_uses_dynamic_stack 0
		.amdhsa_system_sgpr_private_segment_wavefront_offset 0
		.amdhsa_system_sgpr_workgroup_id_x 1
		.amdhsa_system_sgpr_workgroup_id_y 0
		.amdhsa_system_sgpr_workgroup_id_z 0
		.amdhsa_system_sgpr_workgroup_info 0
		.amdhsa_system_vgpr_workitem_id 0
		.amdhsa_next_free_vgpr 1
		.amdhsa_next_free_sgpr 0
		.amdhsa_accum_offset 4
		.amdhsa_reserve_vcc 0
		.amdhsa_reserve_flat_scratch 0
		.amdhsa_float_round_mode_32 0
		.amdhsa_float_round_mode_16_64 0
		.amdhsa_float_denorm_mode_32 3
		.amdhsa_float_denorm_mode_16_64 3
		.amdhsa_dx10_clamp 1
		.amdhsa_ieee_mode 1
		.amdhsa_fp16_overflow 0
		.amdhsa_tg_split 0
		.amdhsa_exception_fp_ieee_invalid_op 0
		.amdhsa_exception_fp_denorm_src 0
		.amdhsa_exception_fp_ieee_div_zero 0
		.amdhsa_exception_fp_ieee_overflow 0
		.amdhsa_exception_fp_ieee_underflow 0
		.amdhsa_exception_fp_ieee_inexact 0
		.amdhsa_exception_int_div_zero 0
	.end_amdhsa_kernel
	.section	.text._ZN7rocprim17ROCPRIM_400000_NS6detail17trampoline_kernelINS0_13select_configILj256ELj13ELNS0_17block_load_methodE3ELS4_3ELS4_3ELNS0_20block_scan_algorithmE0ELj4294967295EEENS1_25partition_config_selectorILNS1_17partition_subalgoE3EjNS0_10empty_typeEbEEZZNS1_14partition_implILS8_3ELb0ES6_jNS0_17counting_iteratorIjlEEPS9_SE_NS0_5tupleIJPjSE_EEENSF_IJSE_SE_EEES9_SG_JZNS1_25segmented_radix_sort_implINS0_14default_configELb0EPKaPaPKlPlN2at6native12_GLOBAL__N_18offset_tEEE10hipError_tPvRmT1_PNSt15iterator_traitsISY_E10value_typeET2_T3_PNSZ_IS14_E10value_typeET4_jRbjT5_S1A_jjP12ihipStream_tbEUljE_EEESV_SW_SX_S14_S18_S1A_T6_T7_T9_mT8_S1C_bDpT10_ENKUlT_T0_E_clISt17integral_constantIbLb0EES1P_EEDaS1K_S1L_EUlS1K_E_NS1_11comp_targetILNS1_3genE0ELNS1_11target_archE4294967295ELNS1_3gpuE0ELNS1_3repE0EEENS1_30default_config_static_selectorELNS0_4arch9wavefront6targetE1EEEvSY_,"axG",@progbits,_ZN7rocprim17ROCPRIM_400000_NS6detail17trampoline_kernelINS0_13select_configILj256ELj13ELNS0_17block_load_methodE3ELS4_3ELS4_3ELNS0_20block_scan_algorithmE0ELj4294967295EEENS1_25partition_config_selectorILNS1_17partition_subalgoE3EjNS0_10empty_typeEbEEZZNS1_14partition_implILS8_3ELb0ES6_jNS0_17counting_iteratorIjlEEPS9_SE_NS0_5tupleIJPjSE_EEENSF_IJSE_SE_EEES9_SG_JZNS1_25segmented_radix_sort_implINS0_14default_configELb0EPKaPaPKlPlN2at6native12_GLOBAL__N_18offset_tEEE10hipError_tPvRmT1_PNSt15iterator_traitsISY_E10value_typeET2_T3_PNSZ_IS14_E10value_typeET4_jRbjT5_S1A_jjP12ihipStream_tbEUljE_EEESV_SW_SX_S14_S18_S1A_T6_T7_T9_mT8_S1C_bDpT10_ENKUlT_T0_E_clISt17integral_constantIbLb0EES1P_EEDaS1K_S1L_EUlS1K_E_NS1_11comp_targetILNS1_3genE0ELNS1_11target_archE4294967295ELNS1_3gpuE0ELNS1_3repE0EEENS1_30default_config_static_selectorELNS0_4arch9wavefront6targetE1EEEvSY_,comdat
.Lfunc_end361:
	.size	_ZN7rocprim17ROCPRIM_400000_NS6detail17trampoline_kernelINS0_13select_configILj256ELj13ELNS0_17block_load_methodE3ELS4_3ELS4_3ELNS0_20block_scan_algorithmE0ELj4294967295EEENS1_25partition_config_selectorILNS1_17partition_subalgoE3EjNS0_10empty_typeEbEEZZNS1_14partition_implILS8_3ELb0ES6_jNS0_17counting_iteratorIjlEEPS9_SE_NS0_5tupleIJPjSE_EEENSF_IJSE_SE_EEES9_SG_JZNS1_25segmented_radix_sort_implINS0_14default_configELb0EPKaPaPKlPlN2at6native12_GLOBAL__N_18offset_tEEE10hipError_tPvRmT1_PNSt15iterator_traitsISY_E10value_typeET2_T3_PNSZ_IS14_E10value_typeET4_jRbjT5_S1A_jjP12ihipStream_tbEUljE_EEESV_SW_SX_S14_S18_S1A_T6_T7_T9_mT8_S1C_bDpT10_ENKUlT_T0_E_clISt17integral_constantIbLb0EES1P_EEDaS1K_S1L_EUlS1K_E_NS1_11comp_targetILNS1_3genE0ELNS1_11target_archE4294967295ELNS1_3gpuE0ELNS1_3repE0EEENS1_30default_config_static_selectorELNS0_4arch9wavefront6targetE1EEEvSY_, .Lfunc_end361-_ZN7rocprim17ROCPRIM_400000_NS6detail17trampoline_kernelINS0_13select_configILj256ELj13ELNS0_17block_load_methodE3ELS4_3ELS4_3ELNS0_20block_scan_algorithmE0ELj4294967295EEENS1_25partition_config_selectorILNS1_17partition_subalgoE3EjNS0_10empty_typeEbEEZZNS1_14partition_implILS8_3ELb0ES6_jNS0_17counting_iteratorIjlEEPS9_SE_NS0_5tupleIJPjSE_EEENSF_IJSE_SE_EEES9_SG_JZNS1_25segmented_radix_sort_implINS0_14default_configELb0EPKaPaPKlPlN2at6native12_GLOBAL__N_18offset_tEEE10hipError_tPvRmT1_PNSt15iterator_traitsISY_E10value_typeET2_T3_PNSZ_IS14_E10value_typeET4_jRbjT5_S1A_jjP12ihipStream_tbEUljE_EEESV_SW_SX_S14_S18_S1A_T6_T7_T9_mT8_S1C_bDpT10_ENKUlT_T0_E_clISt17integral_constantIbLb0EES1P_EEDaS1K_S1L_EUlS1K_E_NS1_11comp_targetILNS1_3genE0ELNS1_11target_archE4294967295ELNS1_3gpuE0ELNS1_3repE0EEENS1_30default_config_static_selectorELNS0_4arch9wavefront6targetE1EEEvSY_
                                        ; -- End function
	.section	.AMDGPU.csdata,"",@progbits
; Kernel info:
; codeLenInByte = 0
; NumSgprs: 4
; NumVgprs: 0
; NumAgprs: 0
; TotalNumVgprs: 0
; ScratchSize: 0
; MemoryBound: 0
; FloatMode: 240
; IeeeMode: 1
; LDSByteSize: 0 bytes/workgroup (compile time only)
; SGPRBlocks: 0
; VGPRBlocks: 0
; NumSGPRsForWavesPerEU: 4
; NumVGPRsForWavesPerEU: 1
; AccumOffset: 4
; Occupancy: 8
; WaveLimiterHint : 0
; COMPUTE_PGM_RSRC2:SCRATCH_EN: 0
; COMPUTE_PGM_RSRC2:USER_SGPR: 6
; COMPUTE_PGM_RSRC2:TRAP_HANDLER: 0
; COMPUTE_PGM_RSRC2:TGID_X_EN: 1
; COMPUTE_PGM_RSRC2:TGID_Y_EN: 0
; COMPUTE_PGM_RSRC2:TGID_Z_EN: 0
; COMPUTE_PGM_RSRC2:TIDIG_COMP_CNT: 0
; COMPUTE_PGM_RSRC3_GFX90A:ACCUM_OFFSET: 0
; COMPUTE_PGM_RSRC3_GFX90A:TG_SPLIT: 0
	.section	.text._ZN7rocprim17ROCPRIM_400000_NS6detail17trampoline_kernelINS0_13select_configILj256ELj13ELNS0_17block_load_methodE3ELS4_3ELS4_3ELNS0_20block_scan_algorithmE0ELj4294967295EEENS1_25partition_config_selectorILNS1_17partition_subalgoE3EjNS0_10empty_typeEbEEZZNS1_14partition_implILS8_3ELb0ES6_jNS0_17counting_iteratorIjlEEPS9_SE_NS0_5tupleIJPjSE_EEENSF_IJSE_SE_EEES9_SG_JZNS1_25segmented_radix_sort_implINS0_14default_configELb0EPKaPaPKlPlN2at6native12_GLOBAL__N_18offset_tEEE10hipError_tPvRmT1_PNSt15iterator_traitsISY_E10value_typeET2_T3_PNSZ_IS14_E10value_typeET4_jRbjT5_S1A_jjP12ihipStream_tbEUljE_EEESV_SW_SX_S14_S18_S1A_T6_T7_T9_mT8_S1C_bDpT10_ENKUlT_T0_E_clISt17integral_constantIbLb0EES1P_EEDaS1K_S1L_EUlS1K_E_NS1_11comp_targetILNS1_3genE5ELNS1_11target_archE942ELNS1_3gpuE9ELNS1_3repE0EEENS1_30default_config_static_selectorELNS0_4arch9wavefront6targetE1EEEvSY_,"axG",@progbits,_ZN7rocprim17ROCPRIM_400000_NS6detail17trampoline_kernelINS0_13select_configILj256ELj13ELNS0_17block_load_methodE3ELS4_3ELS4_3ELNS0_20block_scan_algorithmE0ELj4294967295EEENS1_25partition_config_selectorILNS1_17partition_subalgoE3EjNS0_10empty_typeEbEEZZNS1_14partition_implILS8_3ELb0ES6_jNS0_17counting_iteratorIjlEEPS9_SE_NS0_5tupleIJPjSE_EEENSF_IJSE_SE_EEES9_SG_JZNS1_25segmented_radix_sort_implINS0_14default_configELb0EPKaPaPKlPlN2at6native12_GLOBAL__N_18offset_tEEE10hipError_tPvRmT1_PNSt15iterator_traitsISY_E10value_typeET2_T3_PNSZ_IS14_E10value_typeET4_jRbjT5_S1A_jjP12ihipStream_tbEUljE_EEESV_SW_SX_S14_S18_S1A_T6_T7_T9_mT8_S1C_bDpT10_ENKUlT_T0_E_clISt17integral_constantIbLb0EES1P_EEDaS1K_S1L_EUlS1K_E_NS1_11comp_targetILNS1_3genE5ELNS1_11target_archE942ELNS1_3gpuE9ELNS1_3repE0EEENS1_30default_config_static_selectorELNS0_4arch9wavefront6targetE1EEEvSY_,comdat
	.globl	_ZN7rocprim17ROCPRIM_400000_NS6detail17trampoline_kernelINS0_13select_configILj256ELj13ELNS0_17block_load_methodE3ELS4_3ELS4_3ELNS0_20block_scan_algorithmE0ELj4294967295EEENS1_25partition_config_selectorILNS1_17partition_subalgoE3EjNS0_10empty_typeEbEEZZNS1_14partition_implILS8_3ELb0ES6_jNS0_17counting_iteratorIjlEEPS9_SE_NS0_5tupleIJPjSE_EEENSF_IJSE_SE_EEES9_SG_JZNS1_25segmented_radix_sort_implINS0_14default_configELb0EPKaPaPKlPlN2at6native12_GLOBAL__N_18offset_tEEE10hipError_tPvRmT1_PNSt15iterator_traitsISY_E10value_typeET2_T3_PNSZ_IS14_E10value_typeET4_jRbjT5_S1A_jjP12ihipStream_tbEUljE_EEESV_SW_SX_S14_S18_S1A_T6_T7_T9_mT8_S1C_bDpT10_ENKUlT_T0_E_clISt17integral_constantIbLb0EES1P_EEDaS1K_S1L_EUlS1K_E_NS1_11comp_targetILNS1_3genE5ELNS1_11target_archE942ELNS1_3gpuE9ELNS1_3repE0EEENS1_30default_config_static_selectorELNS0_4arch9wavefront6targetE1EEEvSY_ ; -- Begin function _ZN7rocprim17ROCPRIM_400000_NS6detail17trampoline_kernelINS0_13select_configILj256ELj13ELNS0_17block_load_methodE3ELS4_3ELS4_3ELNS0_20block_scan_algorithmE0ELj4294967295EEENS1_25partition_config_selectorILNS1_17partition_subalgoE3EjNS0_10empty_typeEbEEZZNS1_14partition_implILS8_3ELb0ES6_jNS0_17counting_iteratorIjlEEPS9_SE_NS0_5tupleIJPjSE_EEENSF_IJSE_SE_EEES9_SG_JZNS1_25segmented_radix_sort_implINS0_14default_configELb0EPKaPaPKlPlN2at6native12_GLOBAL__N_18offset_tEEE10hipError_tPvRmT1_PNSt15iterator_traitsISY_E10value_typeET2_T3_PNSZ_IS14_E10value_typeET4_jRbjT5_S1A_jjP12ihipStream_tbEUljE_EEESV_SW_SX_S14_S18_S1A_T6_T7_T9_mT8_S1C_bDpT10_ENKUlT_T0_E_clISt17integral_constantIbLb0EES1P_EEDaS1K_S1L_EUlS1K_E_NS1_11comp_targetILNS1_3genE5ELNS1_11target_archE942ELNS1_3gpuE9ELNS1_3repE0EEENS1_30default_config_static_selectorELNS0_4arch9wavefront6targetE1EEEvSY_
	.p2align	8
	.type	_ZN7rocprim17ROCPRIM_400000_NS6detail17trampoline_kernelINS0_13select_configILj256ELj13ELNS0_17block_load_methodE3ELS4_3ELS4_3ELNS0_20block_scan_algorithmE0ELj4294967295EEENS1_25partition_config_selectorILNS1_17partition_subalgoE3EjNS0_10empty_typeEbEEZZNS1_14partition_implILS8_3ELb0ES6_jNS0_17counting_iteratorIjlEEPS9_SE_NS0_5tupleIJPjSE_EEENSF_IJSE_SE_EEES9_SG_JZNS1_25segmented_radix_sort_implINS0_14default_configELb0EPKaPaPKlPlN2at6native12_GLOBAL__N_18offset_tEEE10hipError_tPvRmT1_PNSt15iterator_traitsISY_E10value_typeET2_T3_PNSZ_IS14_E10value_typeET4_jRbjT5_S1A_jjP12ihipStream_tbEUljE_EEESV_SW_SX_S14_S18_S1A_T6_T7_T9_mT8_S1C_bDpT10_ENKUlT_T0_E_clISt17integral_constantIbLb0EES1P_EEDaS1K_S1L_EUlS1K_E_NS1_11comp_targetILNS1_3genE5ELNS1_11target_archE942ELNS1_3gpuE9ELNS1_3repE0EEENS1_30default_config_static_selectorELNS0_4arch9wavefront6targetE1EEEvSY_,@function
_ZN7rocprim17ROCPRIM_400000_NS6detail17trampoline_kernelINS0_13select_configILj256ELj13ELNS0_17block_load_methodE3ELS4_3ELS4_3ELNS0_20block_scan_algorithmE0ELj4294967295EEENS1_25partition_config_selectorILNS1_17partition_subalgoE3EjNS0_10empty_typeEbEEZZNS1_14partition_implILS8_3ELb0ES6_jNS0_17counting_iteratorIjlEEPS9_SE_NS0_5tupleIJPjSE_EEENSF_IJSE_SE_EEES9_SG_JZNS1_25segmented_radix_sort_implINS0_14default_configELb0EPKaPaPKlPlN2at6native12_GLOBAL__N_18offset_tEEE10hipError_tPvRmT1_PNSt15iterator_traitsISY_E10value_typeET2_T3_PNSZ_IS14_E10value_typeET4_jRbjT5_S1A_jjP12ihipStream_tbEUljE_EEESV_SW_SX_S14_S18_S1A_T6_T7_T9_mT8_S1C_bDpT10_ENKUlT_T0_E_clISt17integral_constantIbLb0EES1P_EEDaS1K_S1L_EUlS1K_E_NS1_11comp_targetILNS1_3genE5ELNS1_11target_archE942ELNS1_3gpuE9ELNS1_3repE0EEENS1_30default_config_static_selectorELNS0_4arch9wavefront6targetE1EEEvSY_: ; @_ZN7rocprim17ROCPRIM_400000_NS6detail17trampoline_kernelINS0_13select_configILj256ELj13ELNS0_17block_load_methodE3ELS4_3ELS4_3ELNS0_20block_scan_algorithmE0ELj4294967295EEENS1_25partition_config_selectorILNS1_17partition_subalgoE3EjNS0_10empty_typeEbEEZZNS1_14partition_implILS8_3ELb0ES6_jNS0_17counting_iteratorIjlEEPS9_SE_NS0_5tupleIJPjSE_EEENSF_IJSE_SE_EEES9_SG_JZNS1_25segmented_radix_sort_implINS0_14default_configELb0EPKaPaPKlPlN2at6native12_GLOBAL__N_18offset_tEEE10hipError_tPvRmT1_PNSt15iterator_traitsISY_E10value_typeET2_T3_PNSZ_IS14_E10value_typeET4_jRbjT5_S1A_jjP12ihipStream_tbEUljE_EEESV_SW_SX_S14_S18_S1A_T6_T7_T9_mT8_S1C_bDpT10_ENKUlT_T0_E_clISt17integral_constantIbLb0EES1P_EEDaS1K_S1L_EUlS1K_E_NS1_11comp_targetILNS1_3genE5ELNS1_11target_archE942ELNS1_3gpuE9ELNS1_3repE0EEENS1_30default_config_static_selectorELNS0_4arch9wavefront6targetE1EEEvSY_
; %bb.0:
	.section	.rodata,"a",@progbits
	.p2align	6, 0x0
	.amdhsa_kernel _ZN7rocprim17ROCPRIM_400000_NS6detail17trampoline_kernelINS0_13select_configILj256ELj13ELNS0_17block_load_methodE3ELS4_3ELS4_3ELNS0_20block_scan_algorithmE0ELj4294967295EEENS1_25partition_config_selectorILNS1_17partition_subalgoE3EjNS0_10empty_typeEbEEZZNS1_14partition_implILS8_3ELb0ES6_jNS0_17counting_iteratorIjlEEPS9_SE_NS0_5tupleIJPjSE_EEENSF_IJSE_SE_EEES9_SG_JZNS1_25segmented_radix_sort_implINS0_14default_configELb0EPKaPaPKlPlN2at6native12_GLOBAL__N_18offset_tEEE10hipError_tPvRmT1_PNSt15iterator_traitsISY_E10value_typeET2_T3_PNSZ_IS14_E10value_typeET4_jRbjT5_S1A_jjP12ihipStream_tbEUljE_EEESV_SW_SX_S14_S18_S1A_T6_T7_T9_mT8_S1C_bDpT10_ENKUlT_T0_E_clISt17integral_constantIbLb0EES1P_EEDaS1K_S1L_EUlS1K_E_NS1_11comp_targetILNS1_3genE5ELNS1_11target_archE942ELNS1_3gpuE9ELNS1_3repE0EEENS1_30default_config_static_selectorELNS0_4arch9wavefront6targetE1EEEvSY_
		.amdhsa_group_segment_fixed_size 0
		.amdhsa_private_segment_fixed_size 0
		.amdhsa_kernarg_size 144
		.amdhsa_user_sgpr_count 6
		.amdhsa_user_sgpr_private_segment_buffer 1
		.amdhsa_user_sgpr_dispatch_ptr 0
		.amdhsa_user_sgpr_queue_ptr 0
		.amdhsa_user_sgpr_kernarg_segment_ptr 1
		.amdhsa_user_sgpr_dispatch_id 0
		.amdhsa_user_sgpr_flat_scratch_init 0
		.amdhsa_user_sgpr_kernarg_preload_length 0
		.amdhsa_user_sgpr_kernarg_preload_offset 0
		.amdhsa_user_sgpr_private_segment_size 0
		.amdhsa_uses_dynamic_stack 0
		.amdhsa_system_sgpr_private_segment_wavefront_offset 0
		.amdhsa_system_sgpr_workgroup_id_x 1
		.amdhsa_system_sgpr_workgroup_id_y 0
		.amdhsa_system_sgpr_workgroup_id_z 0
		.amdhsa_system_sgpr_workgroup_info 0
		.amdhsa_system_vgpr_workitem_id 0
		.amdhsa_next_free_vgpr 1
		.amdhsa_next_free_sgpr 0
		.amdhsa_accum_offset 4
		.amdhsa_reserve_vcc 0
		.amdhsa_reserve_flat_scratch 0
		.amdhsa_float_round_mode_32 0
		.amdhsa_float_round_mode_16_64 0
		.amdhsa_float_denorm_mode_32 3
		.amdhsa_float_denorm_mode_16_64 3
		.amdhsa_dx10_clamp 1
		.amdhsa_ieee_mode 1
		.amdhsa_fp16_overflow 0
		.amdhsa_tg_split 0
		.amdhsa_exception_fp_ieee_invalid_op 0
		.amdhsa_exception_fp_denorm_src 0
		.amdhsa_exception_fp_ieee_div_zero 0
		.amdhsa_exception_fp_ieee_overflow 0
		.amdhsa_exception_fp_ieee_underflow 0
		.amdhsa_exception_fp_ieee_inexact 0
		.amdhsa_exception_int_div_zero 0
	.end_amdhsa_kernel
	.section	.text._ZN7rocprim17ROCPRIM_400000_NS6detail17trampoline_kernelINS0_13select_configILj256ELj13ELNS0_17block_load_methodE3ELS4_3ELS4_3ELNS0_20block_scan_algorithmE0ELj4294967295EEENS1_25partition_config_selectorILNS1_17partition_subalgoE3EjNS0_10empty_typeEbEEZZNS1_14partition_implILS8_3ELb0ES6_jNS0_17counting_iteratorIjlEEPS9_SE_NS0_5tupleIJPjSE_EEENSF_IJSE_SE_EEES9_SG_JZNS1_25segmented_radix_sort_implINS0_14default_configELb0EPKaPaPKlPlN2at6native12_GLOBAL__N_18offset_tEEE10hipError_tPvRmT1_PNSt15iterator_traitsISY_E10value_typeET2_T3_PNSZ_IS14_E10value_typeET4_jRbjT5_S1A_jjP12ihipStream_tbEUljE_EEESV_SW_SX_S14_S18_S1A_T6_T7_T9_mT8_S1C_bDpT10_ENKUlT_T0_E_clISt17integral_constantIbLb0EES1P_EEDaS1K_S1L_EUlS1K_E_NS1_11comp_targetILNS1_3genE5ELNS1_11target_archE942ELNS1_3gpuE9ELNS1_3repE0EEENS1_30default_config_static_selectorELNS0_4arch9wavefront6targetE1EEEvSY_,"axG",@progbits,_ZN7rocprim17ROCPRIM_400000_NS6detail17trampoline_kernelINS0_13select_configILj256ELj13ELNS0_17block_load_methodE3ELS4_3ELS4_3ELNS0_20block_scan_algorithmE0ELj4294967295EEENS1_25partition_config_selectorILNS1_17partition_subalgoE3EjNS0_10empty_typeEbEEZZNS1_14partition_implILS8_3ELb0ES6_jNS0_17counting_iteratorIjlEEPS9_SE_NS0_5tupleIJPjSE_EEENSF_IJSE_SE_EEES9_SG_JZNS1_25segmented_radix_sort_implINS0_14default_configELb0EPKaPaPKlPlN2at6native12_GLOBAL__N_18offset_tEEE10hipError_tPvRmT1_PNSt15iterator_traitsISY_E10value_typeET2_T3_PNSZ_IS14_E10value_typeET4_jRbjT5_S1A_jjP12ihipStream_tbEUljE_EEESV_SW_SX_S14_S18_S1A_T6_T7_T9_mT8_S1C_bDpT10_ENKUlT_T0_E_clISt17integral_constantIbLb0EES1P_EEDaS1K_S1L_EUlS1K_E_NS1_11comp_targetILNS1_3genE5ELNS1_11target_archE942ELNS1_3gpuE9ELNS1_3repE0EEENS1_30default_config_static_selectorELNS0_4arch9wavefront6targetE1EEEvSY_,comdat
.Lfunc_end362:
	.size	_ZN7rocprim17ROCPRIM_400000_NS6detail17trampoline_kernelINS0_13select_configILj256ELj13ELNS0_17block_load_methodE3ELS4_3ELS4_3ELNS0_20block_scan_algorithmE0ELj4294967295EEENS1_25partition_config_selectorILNS1_17partition_subalgoE3EjNS0_10empty_typeEbEEZZNS1_14partition_implILS8_3ELb0ES6_jNS0_17counting_iteratorIjlEEPS9_SE_NS0_5tupleIJPjSE_EEENSF_IJSE_SE_EEES9_SG_JZNS1_25segmented_radix_sort_implINS0_14default_configELb0EPKaPaPKlPlN2at6native12_GLOBAL__N_18offset_tEEE10hipError_tPvRmT1_PNSt15iterator_traitsISY_E10value_typeET2_T3_PNSZ_IS14_E10value_typeET4_jRbjT5_S1A_jjP12ihipStream_tbEUljE_EEESV_SW_SX_S14_S18_S1A_T6_T7_T9_mT8_S1C_bDpT10_ENKUlT_T0_E_clISt17integral_constantIbLb0EES1P_EEDaS1K_S1L_EUlS1K_E_NS1_11comp_targetILNS1_3genE5ELNS1_11target_archE942ELNS1_3gpuE9ELNS1_3repE0EEENS1_30default_config_static_selectorELNS0_4arch9wavefront6targetE1EEEvSY_, .Lfunc_end362-_ZN7rocprim17ROCPRIM_400000_NS6detail17trampoline_kernelINS0_13select_configILj256ELj13ELNS0_17block_load_methodE3ELS4_3ELS4_3ELNS0_20block_scan_algorithmE0ELj4294967295EEENS1_25partition_config_selectorILNS1_17partition_subalgoE3EjNS0_10empty_typeEbEEZZNS1_14partition_implILS8_3ELb0ES6_jNS0_17counting_iteratorIjlEEPS9_SE_NS0_5tupleIJPjSE_EEENSF_IJSE_SE_EEES9_SG_JZNS1_25segmented_radix_sort_implINS0_14default_configELb0EPKaPaPKlPlN2at6native12_GLOBAL__N_18offset_tEEE10hipError_tPvRmT1_PNSt15iterator_traitsISY_E10value_typeET2_T3_PNSZ_IS14_E10value_typeET4_jRbjT5_S1A_jjP12ihipStream_tbEUljE_EEESV_SW_SX_S14_S18_S1A_T6_T7_T9_mT8_S1C_bDpT10_ENKUlT_T0_E_clISt17integral_constantIbLb0EES1P_EEDaS1K_S1L_EUlS1K_E_NS1_11comp_targetILNS1_3genE5ELNS1_11target_archE942ELNS1_3gpuE9ELNS1_3repE0EEENS1_30default_config_static_selectorELNS0_4arch9wavefront6targetE1EEEvSY_
                                        ; -- End function
	.section	.AMDGPU.csdata,"",@progbits
; Kernel info:
; codeLenInByte = 0
; NumSgprs: 4
; NumVgprs: 0
; NumAgprs: 0
; TotalNumVgprs: 0
; ScratchSize: 0
; MemoryBound: 0
; FloatMode: 240
; IeeeMode: 1
; LDSByteSize: 0 bytes/workgroup (compile time only)
; SGPRBlocks: 0
; VGPRBlocks: 0
; NumSGPRsForWavesPerEU: 4
; NumVGPRsForWavesPerEU: 1
; AccumOffset: 4
; Occupancy: 8
; WaveLimiterHint : 0
; COMPUTE_PGM_RSRC2:SCRATCH_EN: 0
; COMPUTE_PGM_RSRC2:USER_SGPR: 6
; COMPUTE_PGM_RSRC2:TRAP_HANDLER: 0
; COMPUTE_PGM_RSRC2:TGID_X_EN: 1
; COMPUTE_PGM_RSRC2:TGID_Y_EN: 0
; COMPUTE_PGM_RSRC2:TGID_Z_EN: 0
; COMPUTE_PGM_RSRC2:TIDIG_COMP_CNT: 0
; COMPUTE_PGM_RSRC3_GFX90A:ACCUM_OFFSET: 0
; COMPUTE_PGM_RSRC3_GFX90A:TG_SPLIT: 0
	.section	.text._ZN7rocprim17ROCPRIM_400000_NS6detail17trampoline_kernelINS0_13select_configILj256ELj13ELNS0_17block_load_methodE3ELS4_3ELS4_3ELNS0_20block_scan_algorithmE0ELj4294967295EEENS1_25partition_config_selectorILNS1_17partition_subalgoE3EjNS0_10empty_typeEbEEZZNS1_14partition_implILS8_3ELb0ES6_jNS0_17counting_iteratorIjlEEPS9_SE_NS0_5tupleIJPjSE_EEENSF_IJSE_SE_EEES9_SG_JZNS1_25segmented_radix_sort_implINS0_14default_configELb0EPKaPaPKlPlN2at6native12_GLOBAL__N_18offset_tEEE10hipError_tPvRmT1_PNSt15iterator_traitsISY_E10value_typeET2_T3_PNSZ_IS14_E10value_typeET4_jRbjT5_S1A_jjP12ihipStream_tbEUljE_EEESV_SW_SX_S14_S18_S1A_T6_T7_T9_mT8_S1C_bDpT10_ENKUlT_T0_E_clISt17integral_constantIbLb0EES1P_EEDaS1K_S1L_EUlS1K_E_NS1_11comp_targetILNS1_3genE4ELNS1_11target_archE910ELNS1_3gpuE8ELNS1_3repE0EEENS1_30default_config_static_selectorELNS0_4arch9wavefront6targetE1EEEvSY_,"axG",@progbits,_ZN7rocprim17ROCPRIM_400000_NS6detail17trampoline_kernelINS0_13select_configILj256ELj13ELNS0_17block_load_methodE3ELS4_3ELS4_3ELNS0_20block_scan_algorithmE0ELj4294967295EEENS1_25partition_config_selectorILNS1_17partition_subalgoE3EjNS0_10empty_typeEbEEZZNS1_14partition_implILS8_3ELb0ES6_jNS0_17counting_iteratorIjlEEPS9_SE_NS0_5tupleIJPjSE_EEENSF_IJSE_SE_EEES9_SG_JZNS1_25segmented_radix_sort_implINS0_14default_configELb0EPKaPaPKlPlN2at6native12_GLOBAL__N_18offset_tEEE10hipError_tPvRmT1_PNSt15iterator_traitsISY_E10value_typeET2_T3_PNSZ_IS14_E10value_typeET4_jRbjT5_S1A_jjP12ihipStream_tbEUljE_EEESV_SW_SX_S14_S18_S1A_T6_T7_T9_mT8_S1C_bDpT10_ENKUlT_T0_E_clISt17integral_constantIbLb0EES1P_EEDaS1K_S1L_EUlS1K_E_NS1_11comp_targetILNS1_3genE4ELNS1_11target_archE910ELNS1_3gpuE8ELNS1_3repE0EEENS1_30default_config_static_selectorELNS0_4arch9wavefront6targetE1EEEvSY_,comdat
	.globl	_ZN7rocprim17ROCPRIM_400000_NS6detail17trampoline_kernelINS0_13select_configILj256ELj13ELNS0_17block_load_methodE3ELS4_3ELS4_3ELNS0_20block_scan_algorithmE0ELj4294967295EEENS1_25partition_config_selectorILNS1_17partition_subalgoE3EjNS0_10empty_typeEbEEZZNS1_14partition_implILS8_3ELb0ES6_jNS0_17counting_iteratorIjlEEPS9_SE_NS0_5tupleIJPjSE_EEENSF_IJSE_SE_EEES9_SG_JZNS1_25segmented_radix_sort_implINS0_14default_configELb0EPKaPaPKlPlN2at6native12_GLOBAL__N_18offset_tEEE10hipError_tPvRmT1_PNSt15iterator_traitsISY_E10value_typeET2_T3_PNSZ_IS14_E10value_typeET4_jRbjT5_S1A_jjP12ihipStream_tbEUljE_EEESV_SW_SX_S14_S18_S1A_T6_T7_T9_mT8_S1C_bDpT10_ENKUlT_T0_E_clISt17integral_constantIbLb0EES1P_EEDaS1K_S1L_EUlS1K_E_NS1_11comp_targetILNS1_3genE4ELNS1_11target_archE910ELNS1_3gpuE8ELNS1_3repE0EEENS1_30default_config_static_selectorELNS0_4arch9wavefront6targetE1EEEvSY_ ; -- Begin function _ZN7rocprim17ROCPRIM_400000_NS6detail17trampoline_kernelINS0_13select_configILj256ELj13ELNS0_17block_load_methodE3ELS4_3ELS4_3ELNS0_20block_scan_algorithmE0ELj4294967295EEENS1_25partition_config_selectorILNS1_17partition_subalgoE3EjNS0_10empty_typeEbEEZZNS1_14partition_implILS8_3ELb0ES6_jNS0_17counting_iteratorIjlEEPS9_SE_NS0_5tupleIJPjSE_EEENSF_IJSE_SE_EEES9_SG_JZNS1_25segmented_radix_sort_implINS0_14default_configELb0EPKaPaPKlPlN2at6native12_GLOBAL__N_18offset_tEEE10hipError_tPvRmT1_PNSt15iterator_traitsISY_E10value_typeET2_T3_PNSZ_IS14_E10value_typeET4_jRbjT5_S1A_jjP12ihipStream_tbEUljE_EEESV_SW_SX_S14_S18_S1A_T6_T7_T9_mT8_S1C_bDpT10_ENKUlT_T0_E_clISt17integral_constantIbLb0EES1P_EEDaS1K_S1L_EUlS1K_E_NS1_11comp_targetILNS1_3genE4ELNS1_11target_archE910ELNS1_3gpuE8ELNS1_3repE0EEENS1_30default_config_static_selectorELNS0_4arch9wavefront6targetE1EEEvSY_
	.p2align	8
	.type	_ZN7rocprim17ROCPRIM_400000_NS6detail17trampoline_kernelINS0_13select_configILj256ELj13ELNS0_17block_load_methodE3ELS4_3ELS4_3ELNS0_20block_scan_algorithmE0ELj4294967295EEENS1_25partition_config_selectorILNS1_17partition_subalgoE3EjNS0_10empty_typeEbEEZZNS1_14partition_implILS8_3ELb0ES6_jNS0_17counting_iteratorIjlEEPS9_SE_NS0_5tupleIJPjSE_EEENSF_IJSE_SE_EEES9_SG_JZNS1_25segmented_radix_sort_implINS0_14default_configELb0EPKaPaPKlPlN2at6native12_GLOBAL__N_18offset_tEEE10hipError_tPvRmT1_PNSt15iterator_traitsISY_E10value_typeET2_T3_PNSZ_IS14_E10value_typeET4_jRbjT5_S1A_jjP12ihipStream_tbEUljE_EEESV_SW_SX_S14_S18_S1A_T6_T7_T9_mT8_S1C_bDpT10_ENKUlT_T0_E_clISt17integral_constantIbLb0EES1P_EEDaS1K_S1L_EUlS1K_E_NS1_11comp_targetILNS1_3genE4ELNS1_11target_archE910ELNS1_3gpuE8ELNS1_3repE0EEENS1_30default_config_static_selectorELNS0_4arch9wavefront6targetE1EEEvSY_,@function
_ZN7rocprim17ROCPRIM_400000_NS6detail17trampoline_kernelINS0_13select_configILj256ELj13ELNS0_17block_load_methodE3ELS4_3ELS4_3ELNS0_20block_scan_algorithmE0ELj4294967295EEENS1_25partition_config_selectorILNS1_17partition_subalgoE3EjNS0_10empty_typeEbEEZZNS1_14partition_implILS8_3ELb0ES6_jNS0_17counting_iteratorIjlEEPS9_SE_NS0_5tupleIJPjSE_EEENSF_IJSE_SE_EEES9_SG_JZNS1_25segmented_radix_sort_implINS0_14default_configELb0EPKaPaPKlPlN2at6native12_GLOBAL__N_18offset_tEEE10hipError_tPvRmT1_PNSt15iterator_traitsISY_E10value_typeET2_T3_PNSZ_IS14_E10value_typeET4_jRbjT5_S1A_jjP12ihipStream_tbEUljE_EEESV_SW_SX_S14_S18_S1A_T6_T7_T9_mT8_S1C_bDpT10_ENKUlT_T0_E_clISt17integral_constantIbLb0EES1P_EEDaS1K_S1L_EUlS1K_E_NS1_11comp_targetILNS1_3genE4ELNS1_11target_archE910ELNS1_3gpuE8ELNS1_3repE0EEENS1_30default_config_static_selectorELNS0_4arch9wavefront6targetE1EEEvSY_: ; @_ZN7rocprim17ROCPRIM_400000_NS6detail17trampoline_kernelINS0_13select_configILj256ELj13ELNS0_17block_load_methodE3ELS4_3ELS4_3ELNS0_20block_scan_algorithmE0ELj4294967295EEENS1_25partition_config_selectorILNS1_17partition_subalgoE3EjNS0_10empty_typeEbEEZZNS1_14partition_implILS8_3ELb0ES6_jNS0_17counting_iteratorIjlEEPS9_SE_NS0_5tupleIJPjSE_EEENSF_IJSE_SE_EEES9_SG_JZNS1_25segmented_radix_sort_implINS0_14default_configELb0EPKaPaPKlPlN2at6native12_GLOBAL__N_18offset_tEEE10hipError_tPvRmT1_PNSt15iterator_traitsISY_E10value_typeET2_T3_PNSZ_IS14_E10value_typeET4_jRbjT5_S1A_jjP12ihipStream_tbEUljE_EEESV_SW_SX_S14_S18_S1A_T6_T7_T9_mT8_S1C_bDpT10_ENKUlT_T0_E_clISt17integral_constantIbLb0EES1P_EEDaS1K_S1L_EUlS1K_E_NS1_11comp_targetILNS1_3genE4ELNS1_11target_archE910ELNS1_3gpuE8ELNS1_3repE0EEENS1_30default_config_static_selectorELNS0_4arch9wavefront6targetE1EEEvSY_
; %bb.0:
	s_load_dwordx2 s[26:27], s[4:5], 0x58
	s_load_dwordx4 s[20:23], s[4:5], 0x48
	s_load_dword s13, s[4:5], 0x8
	s_load_dwordx2 s[28:29], s[4:5], 0x10
	s_load_dword s12, s[4:5], 0x70
	s_load_dword s7, s[4:5], 0x88
	s_load_dwordx4 s[8:11], s[4:5], 0x78
	s_waitcnt lgkmcnt(0)
	s_load_dwordx2 s[30:31], s[22:23], 0x0
	v_pk_mov_b32 v[2:3], s[26:27], s[26:27] op_sel:[0,1]
	s_add_i32 s2, s12, -1
	s_mulk_i32 s12, 0xd00
	s_add_u32 s0, s28, s12
	s_addc_u32 s1, s29, 0
	s_cmp_eq_u32 s6, s2
	s_cselect_b64 s[22:23], -1, 0
	s_cmp_lg_u32 s6, s2
	s_mul_i32 s42, s6, 0xd00
	v_cmp_lt_u64_e32 vcc, s[0:1], v[2:3]
	s_cselect_b64 s[0:1], -1, 0
	s_or_b64 s[2:3], s[0:1], vcc
	s_add_i32 s0, s13, s42
	s_add_i32 s0, s0, s28
	v_add_u32_e32 v2, s0, v0
	s_mov_b64 s[0:1], -1
	s_and_b64 vcc, exec, s[2:3]
	v_lshlrev_b32_e32 v1, 2, v0
	s_cbranch_vccz .LBB363_2
; %bb.1:
	v_add_u32_e32 v3, 0x100, v2
	v_add_u32_e32 v4, 0x200, v2
	v_add_u32_e32 v5, 0x300, v2
	v_add_u32_e32 v6, 0x400, v2
	v_add_u32_e32 v7, 0x500, v2
	v_add_u32_e32 v8, 0x600, v2
	v_add_u32_e32 v9, 0x700, v2
	v_add_u32_e32 v10, 0x800, v2
	v_add_u32_e32 v11, 0x900, v2
	v_add_u32_e32 v12, 0xa00, v2
	v_add_u32_e32 v13, 0xb00, v2
	v_add_u32_e32 v14, 0xc00, v2
	ds_write2st64_b32 v1, v2, v3 offset1:4
	ds_write2st64_b32 v1, v4, v5 offset0:8 offset1:12
	ds_write2st64_b32 v1, v6, v7 offset0:16 offset1:20
	;; [unrolled: 1-line block ×5, first 2 shown]
	ds_write_b32 v1, v14 offset:12288
	s_waitcnt lgkmcnt(0)
	s_barrier
	s_mov_b64 s[0:1], 0
.LBB363_2:
	s_andn2_b64 vcc, exec, s[0:1]
	s_add_i32 s12, s12, s28
	s_cbranch_vccnz .LBB363_4
; %bb.3:
	v_add_u32_e32 v3, 0x100, v2
	v_add_u32_e32 v4, 0x200, v2
	;; [unrolled: 1-line block ×12, first 2 shown]
	ds_write2st64_b32 v1, v2, v3 offset1:4
	ds_write2st64_b32 v1, v4, v5 offset0:8 offset1:12
	ds_write2st64_b32 v1, v6, v7 offset0:16 offset1:20
	;; [unrolled: 1-line block ×5, first 2 shown]
	ds_write_b32 v1, v14 offset:12288
	s_waitcnt lgkmcnt(0)
	s_barrier
.LBB363_4:
	v_mul_u32_u24_e32 v33, 13, v0
	v_lshlrev_b32_e32 v2, 2, v33
	s_waitcnt lgkmcnt(0)
	ds_read2_b32 v[30:31], v2 offset1:1
	ds_read2_b32 v[28:29], v2 offset0:2 offset1:3
	ds_read2_b32 v[26:27], v2 offset0:4 offset1:5
	;; [unrolled: 1-line block ×5, first 2 shown]
	ds_read_b32 v32, v2 offset:48
	v_cndmask_b32_e64 v2, 0, 1, s[2:3]
	s_sub_i32 s33, s26, s12
	v_cmp_ne_u32_e64 s[0:1], 1, v2
	s_andn2_b64 vcc, exec, s[2:3]
	s_waitcnt lgkmcnt(0)
	s_barrier
	s_cbranch_vccnz .LBB363_6
; %bb.5:
	v_add_u32_e32 v2, s9, v30
	v_add_u32_e32 v3, s11, v30
	v_mul_lo_u32 v2, v2, s8
	v_mul_lo_u32 v3, v3, s10
	v_sub_u32_e32 v2, v2, v3
	v_add_u32_e32 v3, s9, v31
	v_add_u32_e32 v4, s11, v31
	v_mul_lo_u32 v3, v3, s8
	v_mul_lo_u32 v4, v4, s10
	v_sub_u32_e32 v3, v3, v4
	;; [unrolled: 5-line block ×6, first 2 shown]
	v_add_u32_e32 v8, s9, v24
	v_add_u32_e32 v9, s11, v24
	v_mul_lo_u32 v8, v8, s8
	v_mul_lo_u32 v9, v9, s10
	v_cmp_lt_u32_e32 vcc, s7, v2
	v_sub_u32_e32 v8, v8, v9
	v_add_u32_e32 v9, s9, v25
	v_add_u32_e32 v10, s11, v25
	v_cndmask_b32_e64 v2, 0, 1, vcc
	v_cmp_lt_u32_e32 vcc, s7, v3
	v_mul_lo_u32 v9, v9, s8
	v_mul_lo_u32 v10, v10, s10
	v_cndmask_b32_e64 v3, 0, 1, vcc
	v_cmp_lt_u32_e32 vcc, s7, v4
	v_sub_u32_e32 v9, v9, v10
	v_add_u32_e32 v10, s9, v22
	v_add_u32_e32 v11, s11, v22
	v_cndmask_b32_e64 v4, 0, 1, vcc
	v_cmp_lt_u32_e32 vcc, s7, v5
	v_mul_lo_u32 v10, v10, s8
	v_mul_lo_u32 v11, v11, s10
	v_cndmask_b32_e64 v5, 0, 1, vcc
	;; [unrolled: 9-line block ×4, first 2 shown]
	v_cmp_lt_u32_e32 vcc, s7, v10
	v_sub_u32_e32 v12, v12, v13
	v_add_u32_e32 v13, s9, v21
	v_add_u32_e32 v14, s11, v21
	v_lshlrev_b16_e32 v3, 8, v3
	v_cndmask_b32_e64 v10, 0, 1, vcc
	v_cmp_lt_u32_e32 vcc, s7, v11
	v_mul_lo_u32 v13, v13, s8
	v_mul_lo_u32 v14, v14, s10
	v_or_b32_e32 v2, v2, v3
	v_lshlrev_b16_e32 v3, 8, v5
	v_cndmask_b32_e64 v11, 0, 1, vcc
	v_cmp_lt_u32_e32 vcc, s7, v12
	v_sub_u32_e32 v13, v13, v14
	v_or_b32_sdwa v3, v4, v3 dst_sel:WORD_1 dst_unused:UNUSED_PAD src0_sel:DWORD src1_sel:DWORD
	v_cndmask_b32_e64 v12, 0, 1, vcc
	v_cmp_lt_u32_e32 vcc, s7, v13
	v_add_u32_e32 v14, s9, v32
	v_add_u32_e32 v15, s11, v32
	v_or_b32_sdwa v37, v2, v3 dst_sel:DWORD dst_unused:UNUSED_PAD src0_sel:WORD_0 src1_sel:DWORD
	v_lshlrev_b16_e32 v2, 8, v7
	v_lshlrev_b16_e32 v3, 8, v9
	v_cndmask_b32_e64 v13, 0, 1, vcc
	v_mul_lo_u32 v14, v14, s8
	v_mul_lo_u32 v15, v15, s10
	v_or_b32_e32 v2, v6, v2
	v_or_b32_sdwa v3, v8, v3 dst_sel:WORD_1 dst_unused:UNUSED_PAD src0_sel:DWORD src1_sel:DWORD
	v_sub_u32_e32 v14, v14, v15
	v_or_b32_sdwa v36, v2, v3 dst_sel:DWORD dst_unused:UNUSED_PAD src0_sel:WORD_0 src1_sel:DWORD
	v_lshlrev_b16_e32 v2, 8, v11
	v_lshlrev_b16_e32 v3, 8, v13
	v_cmp_lt_u32_e32 vcc, s7, v14
	v_or_b32_e32 v2, v10, v2
	v_or_b32_sdwa v3, v12, v3 dst_sel:WORD_1 dst_unused:UNUSED_PAD src0_sel:DWORD src1_sel:DWORD
	v_cndmask_b32_e64 v34, 0, 1, vcc
	v_or_b32_sdwa v35, v2, v3 dst_sel:DWORD dst_unused:UNUSED_PAD src0_sel:WORD_0 src1_sel:DWORD
	s_mov_b64 s[2:3], 0
	s_branch .LBB363_7
.LBB363_6:
	s_mov_b64 s[2:3], -1
                                        ; implicit-def: $vgpr34
                                        ; implicit-def: $vgpr35
                                        ; implicit-def: $vgpr36
                                        ; implicit-def: $vgpr37
.LBB363_7:
	s_load_dwordx2 s[24:25], s[4:5], 0x28
	s_load_dwordx2 s[34:35], s[4:5], 0x68
	s_andn2_b64 vcc, exec, s[2:3]
	s_addk_i32 s33, 0xd00
	s_cbranch_vccnz .LBB363_35
; %bb.8:
	v_cmp_gt_u32_e32 vcc, s33, v33
	v_mov_b32_e32 v3, 0
	v_mov_b32_e32 v2, 0
	s_and_saveexec_b64 s[2:3], vcc
; %bb.9:
	v_add_u32_e32 v2, s9, v30
	v_add_u32_e32 v4, s11, v30
	v_mul_lo_u32 v2, v2, s8
	v_mul_lo_u32 v4, v4, s10
	v_sub_u32_e32 v2, v2, v4
	v_cmp_lt_u32_e32 vcc, s7, v2
	v_cndmask_b32_e64 v2, 0, 1, vcc
; %bb.10:
	s_or_b64 exec, exec, s[2:3]
	v_add_u32_e32 v4, 1, v33
	v_cmp_gt_u32_e32 vcc, s33, v4
	s_and_saveexec_b64 s[2:3], vcc
; %bb.11:
	v_add_u32_e32 v3, s9, v31
	v_add_u32_e32 v4, s11, v31
	v_mul_lo_u32 v3, v3, s8
	v_mul_lo_u32 v4, v4, s10
	v_sub_u32_e32 v3, v3, v4
	v_cmp_lt_u32_e32 vcc, s7, v3
	v_cndmask_b32_e64 v3, 0, 1, vcc
; %bb.12:
	s_or_b64 exec, exec, s[2:3]
	v_add_u32_e32 v4, 2, v33
	v_cmp_gt_u32_e32 vcc, s33, v4
	v_mov_b32_e32 v5, 0
	v_mov_b32_e32 v4, 0
	s_and_saveexec_b64 s[2:3], vcc
; %bb.13:
	v_add_u32_e32 v4, s9, v28
	v_add_u32_e32 v6, s11, v28
	v_mul_lo_u32 v4, v4, s8
	v_mul_lo_u32 v6, v6, s10
	v_sub_u32_e32 v4, v4, v6
	v_cmp_lt_u32_e32 vcc, s7, v4
	v_cndmask_b32_e64 v4, 0, 1, vcc
; %bb.14:
	s_or_b64 exec, exec, s[2:3]
	v_add_u32_e32 v6, 3, v33
	v_cmp_gt_u32_e32 vcc, s33, v6
	s_and_saveexec_b64 s[2:3], vcc
; %bb.15:
	v_add_u32_e32 v5, s9, v29
	v_add_u32_e32 v6, s11, v29
	v_mul_lo_u32 v5, v5, s8
	v_mul_lo_u32 v6, v6, s10
	v_sub_u32_e32 v5, v5, v6
	v_cmp_lt_u32_e32 vcc, s7, v5
	v_cndmask_b32_e64 v5, 0, 1, vcc
; %bb.16:
	s_or_b64 exec, exec, s[2:3]
	v_add_u32_e32 v6, 4, v33
	;; [unrolled: 28-line block ×6, first 2 shown]
	v_cmp_gt_u32_e32 vcc, s33, v14
	v_mov_b32_e32 v34, 0
	s_and_saveexec_b64 s[2:3], vcc
; %bb.33:
	v_add_u32_e32 v14, s9, v32
	v_add_u32_e32 v15, s11, v32
	v_mul_lo_u32 v14, v14, s8
	v_mul_lo_u32 v15, v15, s10
	v_sub_u32_e32 v14, v14, v15
	v_cmp_lt_u32_e32 vcc, s7, v14
	v_cndmask_b32_e64 v34, 0, 1, vcc
; %bb.34:
	s_or_b64 exec, exec, s[2:3]
	v_lshlrev_b16_e32 v3, 8, v3
	v_or_b32_e32 v2, v2, v3
	v_lshlrev_b16_e32 v3, 8, v5
	v_or_b32_sdwa v3, v4, v3 dst_sel:WORD_1 dst_unused:UNUSED_PAD src0_sel:DWORD src1_sel:DWORD
	v_or_b32_sdwa v37, v2, v3 dst_sel:DWORD dst_unused:UNUSED_PAD src0_sel:WORD_0 src1_sel:DWORD
	v_lshlrev_b16_e32 v2, 8, v7
	v_lshlrev_b16_e32 v3, 8, v9
	v_or_b32_e32 v2, v6, v2
	v_or_b32_sdwa v3, v8, v3 dst_sel:WORD_1 dst_unused:UNUSED_PAD src0_sel:DWORD src1_sel:DWORD
	v_or_b32_sdwa v36, v2, v3 dst_sel:DWORD dst_unused:UNUSED_PAD src0_sel:WORD_0 src1_sel:DWORD
	v_lshlrev_b16_e32 v2, 8, v11
	v_lshlrev_b16_e32 v3, 8, v13
	v_or_b32_e32 v2, v10, v2
	v_or_b32_sdwa v3, v12, v3 dst_sel:WORD_1 dst_unused:UNUSED_PAD src0_sel:DWORD src1_sel:DWORD
	v_or_b32_sdwa v35, v2, v3 dst_sel:DWORD dst_unused:UNUSED_PAD src0_sel:WORD_0 src1_sel:DWORD
.LBB363_35:
	v_and_b32_e32 v41, 0xff, v37
	v_bfe_u32 v42, v37, 8, 8
	v_bfe_u32 v43, v37, 16, 8
	v_lshrrev_b32_e32 v40, 24, v37
	v_and_b32_e32 v44, 0xff, v36
	v_add3_u32 v3, v42, v41, v43
	v_bfe_u32 v45, v36, 8, 8
	v_bfe_u32 v46, v36, 16, 8
	v_add3_u32 v3, v3, v40, v44
	v_lshrrev_b32_e32 v39, 24, v36
	v_and_b32_e32 v47, 0xff, v35
	v_add3_u32 v3, v3, v45, v46
	v_bfe_u32 v48, v35, 8, 8
	v_bfe_u32 v49, v35, 16, 8
	v_add3_u32 v3, v3, v39, v47
	v_lshrrev_b32_e32 v38, 24, v35
	v_and_b32_e32 v2, 0xff, v34
	v_add3_u32 v3, v3, v48, v49
	v_add3_u32 v52, v3, v38, v2
	v_mbcnt_lo_u32_b32 v2, -1, 0
	v_mbcnt_hi_u32_b32 v50, -1, v2
	v_and_b32_e32 v2, 15, v50
	v_cmp_eq_u32_e64 s[14:15], 0, v2
	v_cmp_lt_u32_e64 s[12:13], 1, v2
	v_cmp_lt_u32_e64 s[10:11], 3, v2
	v_cmp_lt_u32_e64 s[8:9], 7, v2
	v_and_b32_e32 v2, 16, v50
	v_cmp_eq_u32_e64 s[18:19], 0, v2
	v_or_b32_e32 v2, 63, v0
	s_cmp_lg_u32 s6, 0
	v_cmp_lt_u32_e64 s[2:3], 31, v50
	v_lshrrev_b32_e32 v51, 6, v0
	v_cmp_eq_u32_e64 s[4:5], v2, v0
	s_cbranch_scc0 .LBB363_62
; %bb.36:
	v_mov_b32_dpp v2, v52 row_shr:1 row_mask:0xf bank_mask:0xf
	v_cndmask_b32_e64 v2, v2, 0, s[14:15]
	v_add_u32_e32 v2, v2, v52
	s_nop 1
	v_mov_b32_dpp v3, v2 row_shr:2 row_mask:0xf bank_mask:0xf
	v_cndmask_b32_e64 v3, 0, v3, s[12:13]
	v_add_u32_e32 v2, v2, v3
	s_nop 1
	;; [unrolled: 4-line block ×4, first 2 shown]
	v_mov_b32_dpp v3, v2 row_bcast:15 row_mask:0xf bank_mask:0xf
	v_cndmask_b32_e64 v3, v3, 0, s[18:19]
	v_add_u32_e32 v2, v2, v3
	s_nop 1
	v_mov_b32_dpp v3, v2 row_bcast:31 row_mask:0xf bank_mask:0xf
	v_cndmask_b32_e64 v3, 0, v3, s[2:3]
	v_add_u32_e32 v2, v2, v3
	s_and_saveexec_b64 s[16:17], s[4:5]
	s_cbranch_execz .LBB363_38
; %bb.37:
	v_lshlrev_b32_e32 v3, 2, v51
	ds_write_b32 v3, v2
.LBB363_38:
	s_or_b64 exec, exec, s[16:17]
	v_cmp_gt_u32_e32 vcc, 4, v0
	s_waitcnt lgkmcnt(0)
	s_barrier
	s_and_saveexec_b64 s[16:17], vcc
	s_cbranch_execz .LBB363_40
; %bb.39:
	ds_read_b32 v3, v1
	v_and_b32_e32 v4, 3, v50
	v_cmp_ne_u32_e32 vcc, 0, v4
	s_waitcnt lgkmcnt(0)
	v_mov_b32_dpp v5, v3 row_shr:1 row_mask:0xf bank_mask:0xf
	v_cndmask_b32_e32 v5, 0, v5, vcc
	v_add_u32_e32 v3, v5, v3
	v_cmp_lt_u32_e32 vcc, 1, v4
	s_nop 0
	v_mov_b32_dpp v5, v3 row_shr:2 row_mask:0xf bank_mask:0xf
	v_cndmask_b32_e32 v4, 0, v5, vcc
	v_add_u32_e32 v3, v3, v4
	ds_write_b32 v1, v3
.LBB363_40:
	s_or_b64 exec, exec, s[16:17]
	v_cmp_gt_u32_e32 vcc, 64, v0
	v_cmp_lt_u32_e64 s[16:17], 63, v0
	s_waitcnt lgkmcnt(0)
	s_barrier
	s_waitcnt lgkmcnt(0)
                                        ; implicit-def: $vgpr12
	s_and_saveexec_b64 s[36:37], s[16:17]
	s_cbranch_execz .LBB363_42
; %bb.41:
	v_lshl_add_u32 v3, v51, 2, -4
	ds_read_b32 v12, v3
	s_waitcnt lgkmcnt(0)
	v_add_u32_e32 v2, v12, v2
.LBB363_42:
	s_or_b64 exec, exec, s[36:37]
	v_add_u32_e32 v3, -1, v50
	v_and_b32_e32 v4, 64, v50
	v_cmp_lt_i32_e64 s[16:17], v3, v4
	v_cndmask_b32_e64 v3, v3, v50, s[16:17]
	v_lshlrev_b32_e32 v3, 2, v3
	ds_bpermute_b32 v13, v3, v2
	v_cmp_eq_u32_e64 s[16:17], 0, v50
	s_and_saveexec_b64 s[36:37], vcc
	s_cbranch_execz .LBB363_61
; %bb.43:
	v_mov_b32_e32 v9, 0
	ds_read_b32 v2, v9 offset:12
	s_and_saveexec_b64 s[38:39], s[16:17]
	s_cbranch_execz .LBB363_45
; %bb.44:
	s_add_i32 s40, s6, 64
	s_mov_b32 s41, 0
	s_lshl_b64 s[40:41], s[40:41], 3
	s_add_u32 s40, s34, s40
	v_mov_b32_e32 v3, 1
	s_addc_u32 s41, s35, s41
	s_waitcnt lgkmcnt(0)
	global_store_dwordx2 v9, v[2:3], s[40:41]
.LBB363_45:
	s_or_b64 exec, exec, s[38:39]
	v_xad_u32 v4, v50, -1, s6
	v_add_u32_e32 v8, 64, v4
	v_lshlrev_b64 v[6:7], 3, v[8:9]
	v_mov_b32_e32 v3, s35
	v_add_co_u32_e32 v10, vcc, s34, v6
	v_addc_co_u32_e32 v11, vcc, v3, v7, vcc
	global_load_dwordx2 v[6:7], v[10:11], off glc
	s_waitcnt vmcnt(0)
	v_cmp_eq_u16_sdwa s[40:41], v7, v9 src0_sel:BYTE_0 src1_sel:DWORD
	s_and_saveexec_b64 s[38:39], s[40:41]
	s_cbranch_execz .LBB363_49
; %bb.46:
	s_mov_b64 s[40:41], 0
	v_mov_b32_e32 v3, 0
.LBB363_47:                             ; =>This Inner Loop Header: Depth=1
	global_load_dwordx2 v[6:7], v[10:11], off glc
	s_waitcnt vmcnt(0)
	v_cmp_ne_u16_sdwa s[44:45], v7, v3 src0_sel:BYTE_0 src1_sel:DWORD
	s_or_b64 s[40:41], s[44:45], s[40:41]
	s_andn2_b64 exec, exec, s[40:41]
	s_cbranch_execnz .LBB363_47
; %bb.48:
	s_or_b64 exec, exec, s[40:41]
.LBB363_49:
	s_or_b64 exec, exec, s[38:39]
	v_and_b32_e32 v14, 63, v50
	v_mov_b32_e32 v3, 2
	v_cmp_ne_u32_e32 vcc, 63, v14
	v_cmp_eq_u16_sdwa s[38:39], v7, v3 src0_sel:BYTE_0 src1_sel:DWORD
	v_lshlrev_b64 v[8:9], v50, -1
	v_addc_co_u32_e32 v11, vcc, 0, v50, vcc
	v_and_b32_e32 v5, s39, v9
	v_lshlrev_b32_e32 v15, 2, v11
	v_or_b32_e32 v5, 0x80000000, v5
	ds_bpermute_b32 v11, v15, v6
	v_and_b32_e32 v10, s38, v8
	v_ffbl_b32_e32 v5, v5
	v_add_u32_e32 v5, 32, v5
	v_ffbl_b32_e32 v10, v10
	v_min_u32_e32 v5, v10, v5
	v_cmp_lt_u32_e32 vcc, v14, v5
	s_waitcnt lgkmcnt(0)
	v_cndmask_b32_e32 v10, 0, v11, vcc
	v_cmp_gt_u32_e32 vcc, 62, v14
	v_add_u32_e32 v6, v10, v6
	v_cndmask_b32_e64 v10, 0, 1, vcc
	v_lshlrev_b32_e32 v10, 1, v10
	v_add_lshl_u32 v16, v10, v50, 2
	ds_bpermute_b32 v10, v16, v6
	v_add_u32_e32 v17, 2, v14
	v_cmp_le_u32_e32 vcc, v17, v5
	v_add_u32_e32 v19, 4, v14
	v_add_u32_e32 v54, 8, v14
	s_waitcnt lgkmcnt(0)
	v_cndmask_b32_e32 v10, 0, v10, vcc
	v_cmp_gt_u32_e32 vcc, 60, v14
	v_add_u32_e32 v6, v6, v10
	v_cndmask_b32_e64 v10, 0, 1, vcc
	v_lshlrev_b32_e32 v10, 2, v10
	v_add_lshl_u32 v18, v10, v50, 2
	ds_bpermute_b32 v10, v18, v6
	v_cmp_le_u32_e32 vcc, v19, v5
	v_add_u32_e32 v57, 16, v14
	v_add_u32_e32 v59, 32, v14
	s_waitcnt lgkmcnt(0)
	v_cndmask_b32_e32 v10, 0, v10, vcc
	v_cmp_gt_u32_e32 vcc, 56, v14
	v_add_u32_e32 v6, v6, v10
	v_cndmask_b32_e64 v10, 0, 1, vcc
	v_lshlrev_b32_e32 v10, 3, v10
	v_add_lshl_u32 v53, v10, v50, 2
	ds_bpermute_b32 v10, v53, v6
	v_cmp_le_u32_e32 vcc, v54, v5
	s_waitcnt lgkmcnt(0)
	v_cndmask_b32_e32 v10, 0, v10, vcc
	v_cmp_gt_u32_e32 vcc, 48, v14
	v_add_u32_e32 v6, v6, v10
	v_cndmask_b32_e64 v10, 0, 1, vcc
	v_lshlrev_b32_e32 v10, 4, v10
	v_add_lshl_u32 v56, v10, v50, 2
	ds_bpermute_b32 v10, v56, v6
	v_cmp_le_u32_e32 vcc, v57, v5
	;; [unrolled: 9-line block ×3, first 2 shown]
	s_waitcnt lgkmcnt(0)
	v_cndmask_b32_e32 v5, 0, v10, vcc
	v_add_u32_e32 v6, v6, v5
	v_mov_b32_e32 v5, 0
	s_branch .LBB363_51
.LBB363_50:                             ;   in Loop: Header=BB363_51 Depth=1
	s_or_b64 exec, exec, s[38:39]
	v_cmp_eq_u16_sdwa s[38:39], v7, v3 src0_sel:BYTE_0 src1_sel:DWORD
	v_and_b32_e32 v10, s39, v9
	v_or_b32_e32 v10, 0x80000000, v10
	ds_bpermute_b32 v60, v15, v6
	v_and_b32_e32 v11, s38, v8
	v_ffbl_b32_e32 v10, v10
	v_add_u32_e32 v10, 32, v10
	v_ffbl_b32_e32 v11, v11
	v_min_u32_e32 v10, v11, v10
	v_cmp_lt_u32_e32 vcc, v14, v10
	s_waitcnt lgkmcnt(0)
	v_cndmask_b32_e32 v11, 0, v60, vcc
	v_add_u32_e32 v6, v11, v6
	ds_bpermute_b32 v11, v16, v6
	v_cmp_le_u32_e32 vcc, v17, v10
	v_subrev_u32_e32 v4, 64, v4
	s_waitcnt lgkmcnt(0)
	v_cndmask_b32_e32 v11, 0, v11, vcc
	v_add_u32_e32 v6, v6, v11
	ds_bpermute_b32 v11, v18, v6
	v_cmp_le_u32_e32 vcc, v19, v10
	s_waitcnt lgkmcnt(0)
	v_cndmask_b32_e32 v11, 0, v11, vcc
	v_add_u32_e32 v6, v6, v11
	ds_bpermute_b32 v11, v53, v6
	v_cmp_le_u32_e32 vcc, v54, v10
	;; [unrolled: 5-line block ×4, first 2 shown]
	s_waitcnt lgkmcnt(0)
	v_cndmask_b32_e32 v10, 0, v11, vcc
	v_add3_u32 v6, v10, v55, v6
.LBB363_51:                             ; =>This Loop Header: Depth=1
                                        ;     Child Loop BB363_54 Depth 2
	v_cmp_ne_u16_sdwa s[38:39], v7, v3 src0_sel:BYTE_0 src1_sel:DWORD
	v_cndmask_b32_e64 v7, 0, 1, s[38:39]
	;;#ASMSTART
	;;#ASMEND
	v_cmp_ne_u32_e32 vcc, 0, v7
	s_cmp_lg_u64 vcc, exec
	v_mov_b32_e32 v55, v6
	s_cbranch_scc1 .LBB363_56
; %bb.52:                               ;   in Loop: Header=BB363_51 Depth=1
	v_lshlrev_b64 v[6:7], 3, v[4:5]
	v_mov_b32_e32 v11, s35
	v_add_co_u32_e32 v10, vcc, s34, v6
	v_addc_co_u32_e32 v11, vcc, v11, v7, vcc
	global_load_dwordx2 v[6:7], v[10:11], off glc
	s_waitcnt vmcnt(0)
	v_cmp_eq_u16_sdwa s[40:41], v7, v5 src0_sel:BYTE_0 src1_sel:DWORD
	s_and_saveexec_b64 s[38:39], s[40:41]
	s_cbranch_execz .LBB363_50
; %bb.53:                               ;   in Loop: Header=BB363_51 Depth=1
	s_mov_b64 s[40:41], 0
.LBB363_54:                             ;   Parent Loop BB363_51 Depth=1
                                        ; =>  This Inner Loop Header: Depth=2
	global_load_dwordx2 v[6:7], v[10:11], off glc
	s_waitcnt vmcnt(0)
	v_cmp_ne_u16_sdwa s[44:45], v7, v5 src0_sel:BYTE_0 src1_sel:DWORD
	s_or_b64 s[40:41], s[44:45], s[40:41]
	s_andn2_b64 exec, exec, s[40:41]
	s_cbranch_execnz .LBB363_54
; %bb.55:                               ;   in Loop: Header=BB363_51 Depth=1
	s_or_b64 exec, exec, s[40:41]
	s_branch .LBB363_50
.LBB363_56:                             ;   in Loop: Header=BB363_51 Depth=1
                                        ; implicit-def: $vgpr6
                                        ; implicit-def: $vgpr7
	s_cbranch_execz .LBB363_51
; %bb.57:
	s_and_saveexec_b64 s[38:39], s[16:17]
	s_cbranch_execz .LBB363_59
; %bb.58:
	s_add_i32 s6, s6, 64
	s_mov_b32 s7, 0
	s_lshl_b64 s[6:7], s[6:7], 3
	s_add_u32 s6, s34, s6
	v_add_u32_e32 v4, v55, v2
	v_mov_b32_e32 v5, 2
	s_addc_u32 s7, s35, s7
	v_mov_b32_e32 v3, 0
	global_store_dwordx2 v3, v[4:5], s[6:7]
	s_movk_i32 s6, 0x3400
	v_add_u32_e64 v3, s6, 0
	ds_write2_b32 v3, v2, v55 offset1:2
.LBB363_59:
	s_or_b64 exec, exec, s[38:39]
	v_cmp_eq_u32_e32 vcc, 0, v0
	s_and_b64 exec, exec, vcc
	s_cbranch_execz .LBB363_61
; %bb.60:
	v_mov_b32_e32 v2, 0
	ds_write_b32 v2, v55 offset:12
.LBB363_61:
	s_or_b64 exec, exec, s[36:37]
	v_mov_b32_e32 v2, 0
	s_waitcnt lgkmcnt(0)
	s_barrier
	ds_read_b32 v2, v2 offset:12
	v_cndmask_b32_e64 v3, v13, v12, s[16:17]
	v_cmp_ne_u32_e32 vcc, 0, v0
	v_cndmask_b32_e32 v3, 0, v3, vcc
	s_movk_i32 s6, 0x3400
	s_waitcnt lgkmcnt(0)
	v_add_u32_e32 v2, v2, v3
	v_add_u32_e32 v3, v2, v41
	;; [unrolled: 1-line block ×8, first 2 shown]
	v_add_u32_e64 v12, s6, 0
	v_add_u32_e32 v10, v9, v39
	s_barrier
	ds_read2_b32 v[18:19], v12 offset1:2
	v_add_u32_e32 v11, v10, v47
	v_add_u32_e32 v12, v11, v48
	;; [unrolled: 1-line block ×4, first 2 shown]
	s_branch .LBB363_72
.LBB363_62:
                                        ; implicit-def: $vgpr19
                                        ; implicit-def: $vgpr2_vgpr3_vgpr4_vgpr5_vgpr6_vgpr7_vgpr8_vgpr9_vgpr10_vgpr11_vgpr12_vgpr13_vgpr14_vgpr15_vgpr16_vgpr17
	s_cbranch_execz .LBB363_72
; %bb.63:
	s_nop 0
	v_mov_b32_dpp v2, v52 row_shr:1 row_mask:0xf bank_mask:0xf
	v_cndmask_b32_e64 v2, v2, 0, s[14:15]
	v_add_u32_e32 v2, v2, v52
	s_nop 1
	v_mov_b32_dpp v3, v2 row_shr:2 row_mask:0xf bank_mask:0xf
	v_cndmask_b32_e64 v3, 0, v3, s[12:13]
	v_add_u32_e32 v2, v2, v3
	;; [unrolled: 4-line block ×4, first 2 shown]
	s_nop 1
	v_mov_b32_dpp v3, v2 row_bcast:15 row_mask:0xf bank_mask:0xf
	v_cndmask_b32_e64 v3, v3, 0, s[18:19]
	v_add_u32_e32 v2, v2, v3
	s_nop 1
	v_mov_b32_dpp v3, v2 row_bcast:31 row_mask:0xf bank_mask:0xf
	v_cndmask_b32_e64 v3, 0, v3, s[2:3]
	v_add_u32_e32 v2, v2, v3
	s_and_saveexec_b64 s[2:3], s[4:5]
	s_cbranch_execz .LBB363_65
; %bb.64:
	v_lshlrev_b32_e32 v3, 2, v51
	ds_write_b32 v3, v2
.LBB363_65:
	s_or_b64 exec, exec, s[2:3]
	v_cmp_gt_u32_e32 vcc, 4, v0
	s_waitcnt lgkmcnt(0)
	s_barrier
	s_and_saveexec_b64 s[2:3], vcc
	s_cbranch_execz .LBB363_67
; %bb.66:
	ds_read_b32 v3, v1
	v_and_b32_e32 v4, 3, v50
	v_cmp_ne_u32_e32 vcc, 0, v4
	s_waitcnt lgkmcnt(0)
	v_mov_b32_dpp v5, v3 row_shr:1 row_mask:0xf bank_mask:0xf
	v_cndmask_b32_e32 v5, 0, v5, vcc
	v_add_u32_e32 v3, v5, v3
	v_cmp_lt_u32_e32 vcc, 1, v4
	s_nop 0
	v_mov_b32_dpp v5, v3 row_shr:2 row_mask:0xf bank_mask:0xf
	v_cndmask_b32_e32 v4, 0, v5, vcc
	v_add_u32_e32 v3, v3, v4
	ds_write_b32 v1, v3
.LBB363_67:
	s_or_b64 exec, exec, s[2:3]
	v_cmp_lt_u32_e32 vcc, 63, v0
	v_mov_b32_e32 v4, 0
	v_mov_b32_e32 v3, 0
	s_waitcnt lgkmcnt(0)
	s_barrier
	s_and_saveexec_b64 s[2:3], vcc
	s_cbranch_execz .LBB363_69
; %bb.68:
	v_lshl_add_u32 v3, v51, 2, -4
	ds_read_b32 v3, v3
.LBB363_69:
	s_or_b64 exec, exec, s[2:3]
	v_add_u32_e32 v5, -1, v50
	v_and_b32_e32 v6, 64, v50
	v_cmp_lt_i32_e32 vcc, v5, v6
	v_cndmask_b32_e32 v5, v5, v50, vcc
	s_waitcnt lgkmcnt(0)
	v_add_u32_e32 v2, v3, v2
	v_lshlrev_b32_e32 v5, 2, v5
	ds_bpermute_b32 v2, v5, v2
	ds_read_b32 v18, v4 offset:12
	v_cmp_eq_u32_e32 vcc, 0, v0
	s_and_saveexec_b64 s[2:3], vcc
	s_cbranch_execz .LBB363_71
; %bb.70:
	v_mov_b32_e32 v4, 0
	v_mov_b32_e32 v19, 2
	s_waitcnt lgkmcnt(0)
	global_store_dwordx2 v4, v[18:19], s[34:35] offset:512
.LBB363_71:
	s_or_b64 exec, exec, s[2:3]
	v_cmp_eq_u32_e64 s[2:3], 0, v50
	s_waitcnt lgkmcnt(1)
	v_cndmask_b32_e64 v2, v2, v3, s[2:3]
	v_cndmask_b32_e64 v2, v2, 0, vcc
	v_add_u32_e32 v3, v2, v41
	v_add_u32_e32 v4, v3, v42
	;; [unrolled: 1-line block ×11, first 2 shown]
	v_mov_b32_e32 v19, 0
	v_add_u32_e32 v14, v13, v38
	s_waitcnt lgkmcnt(0)
	s_barrier
.LBB363_72:
	s_waitcnt lgkmcnt(0)
	v_add_u32_e32 v33, v18, v33
	v_sub_u32_e32 v2, v2, v19
	v_and_b32_e32 v42, 1, v37
	v_sub_u32_e32 v41, v33, v2
	v_cmp_eq_u32_e32 vcc, 1, v42
	v_cndmask_b32_e32 v2, v41, v2, vcc
	v_lshlrev_b32_e32 v2, 2, v2
	v_lshrrev_b32_e32 v17, 8, v37
	ds_write_b32 v2, v30
	v_sub_u32_e32 v2, v3, v19
	v_sub_u32_e32 v3, v33, v2
	v_and_b32_e32 v17, 1, v17
	v_add_u32_e32 v3, 1, v3
	v_cmp_eq_u32_e32 vcc, 1, v17
	v_cndmask_b32_e32 v2, v3, v2, vcc
	v_lshlrev_b32_e32 v2, 2, v2
	ds_write_b32 v2, v31
	v_sub_u32_e32 v2, v4, v19
	v_mov_b32_e32 v4, 1
	v_sub_u32_e32 v3, v33, v2
	v_and_b32_sdwa v17, v4, v37 dst_sel:DWORD dst_unused:UNUSED_PAD src0_sel:DWORD src1_sel:WORD_1
	v_add_u32_e32 v3, 2, v3
	v_cmp_eq_u32_e32 vcc, 1, v17
	v_cndmask_b32_e32 v2, v3, v2, vcc
	v_lshlrev_b32_e32 v2, 2, v2
	ds_write_b32 v2, v28
	v_sub_u32_e32 v2, v5, v19
	v_sub_u32_e32 v3, v33, v2
	v_and_b32_e32 v5, 1, v40
	v_add_u32_e32 v3, 3, v3
	v_cmp_eq_u32_e32 vcc, 1, v5
	v_cndmask_b32_e32 v2, v3, v2, vcc
	v_lshlrev_b32_e32 v2, 2, v2
	ds_write_b32 v2, v29
	v_sub_u32_e32 v2, v6, v19
	v_sub_u32_e32 v3, v33, v2
	v_and_b32_e32 v5, 1, v36
	v_add_u32_e32 v3, 4, v3
	v_cmp_eq_u32_e32 vcc, 1, v5
	v_cndmask_b32_e32 v2, v3, v2, vcc
	v_lshlrev_b32_e32 v2, 2, v2
	v_lshrrev_b32_e32 v16, 8, v36
	ds_write_b32 v2, v26
	v_sub_u32_e32 v2, v7, v19
	v_sub_u32_e32 v3, v33, v2
	v_and_b32_e32 v5, 1, v16
	v_add_u32_e32 v3, 5, v3
	v_cmp_eq_u32_e32 vcc, 1, v5
	v_cndmask_b32_e32 v2, v3, v2, vcc
	v_lshlrev_b32_e32 v2, 2, v2
	ds_write_b32 v2, v27
	v_sub_u32_e32 v2, v8, v19
	v_sub_u32_e32 v3, v33, v2
	v_and_b32_sdwa v5, v4, v36 dst_sel:DWORD dst_unused:UNUSED_PAD src0_sel:DWORD src1_sel:WORD_1
	v_add_u32_e32 v3, 6, v3
	v_cmp_eq_u32_e32 vcc, 1, v5
	v_cndmask_b32_e32 v2, v3, v2, vcc
	v_lshlrev_b32_e32 v2, 2, v2
	ds_write_b32 v2, v24
	v_sub_u32_e32 v2, v9, v19
	v_sub_u32_e32 v3, v33, v2
	v_and_b32_e32 v5, 1, v39
	v_add_u32_e32 v3, 7, v3
	v_cmp_eq_u32_e32 vcc, 1, v5
	v_cndmask_b32_e32 v2, v3, v2, vcc
	v_lshlrev_b32_e32 v2, 2, v2
	ds_write_b32 v2, v25
	v_sub_u32_e32 v2, v10, v19
	v_sub_u32_e32 v3, v33, v2
	v_and_b32_e32 v5, 1, v35
	v_add_u32_e32 v3, 8, v3
	v_cmp_eq_u32_e32 vcc, 1, v5
	v_cndmask_b32_e32 v2, v3, v2, vcc
	v_lshlrev_b32_e32 v2, 2, v2
	v_lshrrev_b32_e32 v15, 8, v35
	ds_write_b32 v2, v22
	v_sub_u32_e32 v2, v11, v19
	v_sub_u32_e32 v3, v33, v2
	v_and_b32_e32 v5, 1, v15
	v_add_u32_e32 v3, 9, v3
	v_cmp_eq_u32_e32 vcc, 1, v5
	v_cndmask_b32_e32 v2, v3, v2, vcc
	v_lshlrev_b32_e32 v2, 2, v2
	ds_write_b32 v2, v23
	v_sub_u32_e32 v2, v12, v19
	v_sub_u32_e32 v3, v33, v2
	v_and_b32_sdwa v4, v4, v35 dst_sel:DWORD dst_unused:UNUSED_PAD src0_sel:DWORD src1_sel:WORD_1
	v_add_u32_e32 v3, 10, v3
	v_cmp_eq_u32_e32 vcc, 1, v4
	v_cndmask_b32_e32 v2, v3, v2, vcc
	v_lshlrev_b32_e32 v2, 2, v2
	ds_write_b32 v2, v20
	v_sub_u32_e32 v2, v13, v19
	v_sub_u32_e32 v3, v33, v2
	v_and_b32_e32 v4, 1, v38
	v_add_u32_e32 v3, 11, v3
	v_cmp_eq_u32_e32 vcc, 1, v4
	v_cndmask_b32_e32 v2, v3, v2, vcc
	v_lshlrev_b32_e32 v2, 2, v2
	ds_write_b32 v2, v21
	v_sub_u32_e32 v2, v14, v19
	v_sub_u32_e32 v3, v33, v2
	v_and_b32_e32 v4, 1, v34
	v_add_u32_e32 v3, 12, v3
	v_cmp_eq_u32_e32 vcc, 1, v4
	v_cndmask_b32_e32 v2, v3, v2, vcc
	s_add_u32 s2, s28, s42
	v_lshlrev_b32_e32 v2, 2, v2
	s_addc_u32 s3, s29, 0
	ds_write_b32 v2, v32
	s_waitcnt lgkmcnt(0)
	s_barrier
	ds_read2st64_b32 v[12:13], v1 offset1:4
	ds_read2st64_b32 v[10:11], v1 offset0:8 offset1:12
	ds_read2st64_b32 v[8:9], v1 offset0:16 offset1:20
	;; [unrolled: 1-line block ×5, first 2 shown]
	ds_read_b32 v17, v1 offset:12288
	v_mov_b32_e32 v14, s31
	v_add_co_u32_e32 v1, vcc, s30, v19
	s_sub_u32 s2, s26, s2
	v_addc_co_u32_e32 v16, vcc, 0, v14, vcc
	s_subb_u32 s3, s27, s3
	v_mov_b32_e32 v14, s3
	v_add_co_u32_e32 v15, vcc, s2, v18
	v_addc_co_u32_e32 v14, vcc, 0, v14, vcc
	s_and_b64 vcc, exec, s[0:1]
	v_add_co_u32_e64 v19, s[0:1], v15, v1
	v_or_b32_e32 v32, 0x100, v0
	v_or_b32_e32 v31, 0x200, v0
	;; [unrolled: 1-line block ×12, first 2 shown]
	v_addc_co_u32_e64 v21, s[0:1], v14, v16, s[0:1]
	s_cbranch_vccnz .LBB363_126
; %bb.73:
	v_cmp_ge_u32_e32 vcc, v0, v18
                                        ; implicit-def: $vgpr14_vgpr15
	s_and_saveexec_b64 s[0:1], vcc
	s_xor_b64 s[0:1], exec, s[0:1]
; %bb.74:
	v_not_b32_e32 v14, v0
	v_ashrrev_i32_e32 v15, 31, v14
	v_add_co_u32_e32 v14, vcc, v19, v14
	v_addc_co_u32_e32 v15, vcc, v21, v15, vcc
; %bb.75:
	s_andn2_saveexec_b64 s[0:1], s[0:1]
; %bb.76:
	v_add_co_u32_e32 v14, vcc, v1, v0
	v_addc_co_u32_e32 v15, vcc, 0, v16, vcc
; %bb.77:
	s_or_b64 exec, exec, s[0:1]
	v_lshlrev_b64 v[14:15], 2, v[14:15]
	v_mov_b32_e32 v33, s25
	v_add_co_u32_e32 v14, vcc, s24, v14
	v_addc_co_u32_e32 v15, vcc, v33, v15, vcc
	v_cmp_ge_u32_e32 vcc, v32, v18
	s_waitcnt lgkmcnt(6)
	global_store_dword v[14:15], v12, off
                                        ; implicit-def: $vgpr14_vgpr15
	s_and_saveexec_b64 s[0:1], vcc
	s_xor_b64 s[0:1], exec, s[0:1]
; %bb.78:
	v_xor_b32_e32 v14, 0xfffffeff, v0
	v_ashrrev_i32_e32 v15, 31, v14
	v_add_co_u32_e32 v14, vcc, v19, v14
	v_addc_co_u32_e32 v15, vcc, v21, v15, vcc
; %bb.79:
	s_andn2_saveexec_b64 s[0:1], s[0:1]
; %bb.80:
	v_add_co_u32_e32 v14, vcc, v1, v32
	v_addc_co_u32_e32 v15, vcc, 0, v16, vcc
; %bb.81:
	s_or_b64 exec, exec, s[0:1]
	v_lshlrev_b64 v[14:15], 2, v[14:15]
	v_mov_b32_e32 v33, s25
	v_add_co_u32_e32 v14, vcc, s24, v14
	v_addc_co_u32_e32 v15, vcc, v33, v15, vcc
	v_cmp_ge_u32_e32 vcc, v31, v18
	global_store_dword v[14:15], v13, off
                                        ; implicit-def: $vgpr14_vgpr15
	s_and_saveexec_b64 s[0:1], vcc
	s_xor_b64 s[0:1], exec, s[0:1]
; %bb.82:
	v_xor_b32_e32 v14, 0xfffffdff, v0
	v_ashrrev_i32_e32 v15, 31, v14
	v_add_co_u32_e32 v14, vcc, v19, v14
	v_addc_co_u32_e32 v15, vcc, v21, v15, vcc
; %bb.83:
	s_andn2_saveexec_b64 s[0:1], s[0:1]
; %bb.84:
	v_add_co_u32_e32 v14, vcc, v1, v31
	v_addc_co_u32_e32 v15, vcc, 0, v16, vcc
; %bb.85:
	s_or_b64 exec, exec, s[0:1]
	v_lshlrev_b64 v[14:15], 2, v[14:15]
	v_mov_b32_e32 v33, s25
	v_add_co_u32_e32 v14, vcc, s24, v14
	v_addc_co_u32_e32 v15, vcc, v33, v15, vcc
	v_cmp_ge_u32_e32 vcc, v30, v18
	s_waitcnt lgkmcnt(5)
	global_store_dword v[14:15], v10, off
                                        ; implicit-def: $vgpr14_vgpr15
	s_and_saveexec_b64 s[0:1], vcc
	s_xor_b64 s[0:1], exec, s[0:1]
; %bb.86:
	v_xor_b32_e32 v14, 0xfffffcff, v0
	v_ashrrev_i32_e32 v15, 31, v14
	v_add_co_u32_e32 v14, vcc, v19, v14
	v_addc_co_u32_e32 v15, vcc, v21, v15, vcc
; %bb.87:
	s_andn2_saveexec_b64 s[0:1], s[0:1]
; %bb.88:
	v_add_co_u32_e32 v14, vcc, v1, v30
	v_addc_co_u32_e32 v15, vcc, 0, v16, vcc
; %bb.89:
	s_or_b64 exec, exec, s[0:1]
	v_lshlrev_b64 v[14:15], 2, v[14:15]
	v_mov_b32_e32 v33, s25
	v_add_co_u32_e32 v14, vcc, s24, v14
	v_addc_co_u32_e32 v15, vcc, v33, v15, vcc
	v_cmp_ge_u32_e32 vcc, v29, v18
	global_store_dword v[14:15], v11, off
                                        ; implicit-def: $vgpr14_vgpr15
	s_and_saveexec_b64 s[0:1], vcc
	s_xor_b64 s[0:1], exec, s[0:1]
; %bb.90:
	v_xor_b32_e32 v14, 0xfffffbff, v0
	;; [unrolled: 43-line block ×6, first 2 shown]
	v_ashrrev_i32_e32 v15, 31, v14
	v_add_co_u32_e32 v14, vcc, v19, v14
	v_addc_co_u32_e32 v15, vcc, v21, v15, vcc
; %bb.123:
	s_andn2_saveexec_b64 s[0:1], s[0:1]
; %bb.124:
	v_add_co_u32_e32 v14, vcc, v1, v20
	v_addc_co_u32_e32 v15, vcc, 0, v16, vcc
; %bb.125:
	s_or_b64 exec, exec, s[0:1]
	s_mov_b64 s[0:1], -1
	s_branch .LBB363_206
.LBB363_126:
	s_mov_b64 s[0:1], 0
                                        ; implicit-def: $vgpr14_vgpr15
	s_cbranch_execz .LBB363_206
; %bb.127:
	v_cmp_gt_u32_e32 vcc, s33, v0
	s_and_saveexec_b64 s[2:3], vcc
	s_cbranch_execz .LBB363_163
; %bb.128:
	v_cmp_ge_u32_e32 vcc, v0, v18
                                        ; implicit-def: $vgpr14_vgpr15
	s_and_saveexec_b64 s[4:5], vcc
	s_xor_b64 s[4:5], exec, s[4:5]
; %bb.129:
	v_not_b32_e32 v14, v0
	v_ashrrev_i32_e32 v15, 31, v14
	v_add_co_u32_e32 v14, vcc, v19, v14
	v_addc_co_u32_e32 v15, vcc, v21, v15, vcc
; %bb.130:
	s_andn2_saveexec_b64 s[4:5], s[4:5]
; %bb.131:
	v_add_co_u32_e32 v14, vcc, v1, v0
	v_addc_co_u32_e32 v15, vcc, 0, v16, vcc
; %bb.132:
	s_or_b64 exec, exec, s[4:5]
	v_lshlrev_b64 v[14:15], 2, v[14:15]
	v_mov_b32_e32 v33, s25
	v_add_co_u32_e32 v14, vcc, s24, v14
	v_addc_co_u32_e32 v15, vcc, v33, v15, vcc
	s_waitcnt lgkmcnt(6)
	global_store_dword v[14:15], v12, off
	s_or_b64 exec, exec, s[2:3]
	v_cmp_gt_u32_e32 vcc, s33, v32
	s_and_saveexec_b64 s[2:3], vcc
	s_cbranch_execnz .LBB363_164
.LBB363_133:
	s_or_b64 exec, exec, s[2:3]
	v_cmp_gt_u32_e32 vcc, s33, v31
	s_and_saveexec_b64 s[2:3], vcc
	s_cbranch_execz .LBB363_169
.LBB363_134:
	v_cmp_ge_u32_e32 vcc, v31, v18
                                        ; implicit-def: $vgpr12_vgpr13
	s_and_saveexec_b64 s[4:5], vcc
	s_xor_b64 s[4:5], exec, s[4:5]
	s_cbranch_execz .LBB363_136
; %bb.135:
	s_waitcnt lgkmcnt(6)
	v_xor_b32_e32 v12, 0xfffffdff, v0
	v_ashrrev_i32_e32 v13, 31, v12
	v_add_co_u32_e32 v12, vcc, v19, v12
	v_addc_co_u32_e32 v13, vcc, v21, v13, vcc
                                        ; implicit-def: $vgpr31
.LBB363_136:
	s_andn2_saveexec_b64 s[4:5], s[4:5]
	s_cbranch_execz .LBB363_138
; %bb.137:
	s_waitcnt lgkmcnt(6)
	v_add_co_u32_e32 v12, vcc, v1, v31
	v_addc_co_u32_e32 v13, vcc, 0, v16, vcc
.LBB363_138:
	s_or_b64 exec, exec, s[4:5]
	s_waitcnt lgkmcnt(6)
	v_lshlrev_b64 v[12:13], 2, v[12:13]
	v_mov_b32_e32 v14, s25
	v_add_co_u32_e32 v12, vcc, s24, v12
	v_addc_co_u32_e32 v13, vcc, v14, v13, vcc
	s_waitcnt lgkmcnt(5)
	global_store_dword v[12:13], v10, off
	s_or_b64 exec, exec, s[2:3]
	v_cmp_gt_u32_e32 vcc, s33, v30
	s_and_saveexec_b64 s[2:3], vcc
	s_cbranch_execnz .LBB363_170
.LBB363_139:
	s_or_b64 exec, exec, s[2:3]
	v_cmp_gt_u32_e32 vcc, s33, v29
	s_and_saveexec_b64 s[2:3], vcc
	s_cbranch_execz .LBB363_175
.LBB363_140:
	v_cmp_ge_u32_e32 vcc, v29, v18
                                        ; implicit-def: $vgpr10_vgpr11
	s_and_saveexec_b64 s[4:5], vcc
	s_xor_b64 s[4:5], exec, s[4:5]
	s_cbranch_execz .LBB363_142
; %bb.141:
	s_waitcnt lgkmcnt(5)
	v_xor_b32_e32 v10, 0xfffffbff, v0
	v_ashrrev_i32_e32 v11, 31, v10
	v_add_co_u32_e32 v10, vcc, v19, v10
	v_addc_co_u32_e32 v11, vcc, v21, v11, vcc
                                        ; implicit-def: $vgpr29
.LBB363_142:
	s_andn2_saveexec_b64 s[4:5], s[4:5]
	s_cbranch_execz .LBB363_144
; %bb.143:
	s_waitcnt lgkmcnt(5)
	v_add_co_u32_e32 v10, vcc, v1, v29
	v_addc_co_u32_e32 v11, vcc, 0, v16, vcc
.LBB363_144:
	s_or_b64 exec, exec, s[4:5]
	s_waitcnt lgkmcnt(5)
	v_lshlrev_b64 v[10:11], 2, v[10:11]
	v_mov_b32_e32 v12, s25
	v_add_co_u32_e32 v10, vcc, s24, v10
	v_addc_co_u32_e32 v11, vcc, v12, v11, vcc
	s_waitcnt lgkmcnt(4)
	global_store_dword v[10:11], v8, off
	s_or_b64 exec, exec, s[2:3]
	v_cmp_gt_u32_e32 vcc, s33, v28
	s_and_saveexec_b64 s[2:3], vcc
	s_cbranch_execnz .LBB363_176
.LBB363_145:
	s_or_b64 exec, exec, s[2:3]
	v_cmp_gt_u32_e32 vcc, s33, v27
	s_and_saveexec_b64 s[2:3], vcc
	s_cbranch_execz .LBB363_181
.LBB363_146:
	v_cmp_ge_u32_e32 vcc, v27, v18
                                        ; implicit-def: $vgpr8_vgpr9
	s_and_saveexec_b64 s[4:5], vcc
	s_xor_b64 s[4:5], exec, s[4:5]
	s_cbranch_execz .LBB363_148
; %bb.147:
	s_waitcnt lgkmcnt(4)
	v_xor_b32_e32 v8, 0xfffff9ff, v0
	v_ashrrev_i32_e32 v9, 31, v8
	v_add_co_u32_e32 v8, vcc, v19, v8
	v_addc_co_u32_e32 v9, vcc, v21, v9, vcc
                                        ; implicit-def: $vgpr27
.LBB363_148:
	s_andn2_saveexec_b64 s[4:5], s[4:5]
	s_cbranch_execz .LBB363_150
; %bb.149:
	s_waitcnt lgkmcnt(4)
	v_add_co_u32_e32 v8, vcc, v1, v27
	v_addc_co_u32_e32 v9, vcc, 0, v16, vcc
.LBB363_150:
	s_or_b64 exec, exec, s[4:5]
	s_waitcnt lgkmcnt(4)
	v_lshlrev_b64 v[8:9], 2, v[8:9]
	v_mov_b32_e32 v10, s25
	v_add_co_u32_e32 v8, vcc, s24, v8
	v_addc_co_u32_e32 v9, vcc, v10, v9, vcc
	s_waitcnt lgkmcnt(3)
	global_store_dword v[8:9], v6, off
	s_or_b64 exec, exec, s[2:3]
	v_cmp_gt_u32_e32 vcc, s33, v26
	s_and_saveexec_b64 s[2:3], vcc
	s_cbranch_execnz .LBB363_182
.LBB363_151:
	s_or_b64 exec, exec, s[2:3]
	v_cmp_gt_u32_e32 vcc, s33, v25
	s_and_saveexec_b64 s[2:3], vcc
	s_cbranch_execz .LBB363_187
.LBB363_152:
	v_cmp_ge_u32_e32 vcc, v25, v18
                                        ; implicit-def: $vgpr6_vgpr7
	s_and_saveexec_b64 s[4:5], vcc
	s_xor_b64 s[4:5], exec, s[4:5]
	s_cbranch_execz .LBB363_154
; %bb.153:
	s_waitcnt lgkmcnt(3)
	v_xor_b32_e32 v6, 0xfffff7ff, v0
	v_ashrrev_i32_e32 v7, 31, v6
	v_add_co_u32_e32 v6, vcc, v19, v6
	v_addc_co_u32_e32 v7, vcc, v21, v7, vcc
                                        ; implicit-def: $vgpr25
.LBB363_154:
	s_andn2_saveexec_b64 s[4:5], s[4:5]
	s_cbranch_execz .LBB363_156
; %bb.155:
	s_waitcnt lgkmcnt(3)
	v_add_co_u32_e32 v6, vcc, v1, v25
	v_addc_co_u32_e32 v7, vcc, 0, v16, vcc
.LBB363_156:
	s_or_b64 exec, exec, s[4:5]
	s_waitcnt lgkmcnt(3)
	v_lshlrev_b64 v[6:7], 2, v[6:7]
	v_mov_b32_e32 v8, s25
	v_add_co_u32_e32 v6, vcc, s24, v6
	v_addc_co_u32_e32 v7, vcc, v8, v7, vcc
	s_waitcnt lgkmcnt(2)
	global_store_dword v[6:7], v4, off
	s_or_b64 exec, exec, s[2:3]
	v_cmp_gt_u32_e32 vcc, s33, v24
	s_and_saveexec_b64 s[2:3], vcc
	s_cbranch_execnz .LBB363_188
.LBB363_157:
	s_or_b64 exec, exec, s[2:3]
	v_cmp_gt_u32_e32 vcc, s33, v23
	s_and_saveexec_b64 s[2:3], vcc
	s_cbranch_execz .LBB363_193
.LBB363_158:
	v_cmp_ge_u32_e32 vcc, v23, v18
                                        ; implicit-def: $vgpr4_vgpr5
	s_and_saveexec_b64 s[4:5], vcc
	s_xor_b64 s[4:5], exec, s[4:5]
	s_cbranch_execz .LBB363_160
; %bb.159:
	s_waitcnt lgkmcnt(2)
	v_xor_b32_e32 v4, 0xfffff5ff, v0
	v_ashrrev_i32_e32 v5, 31, v4
	v_add_co_u32_e32 v4, vcc, v19, v4
	v_addc_co_u32_e32 v5, vcc, v21, v5, vcc
                                        ; implicit-def: $vgpr23
.LBB363_160:
	s_andn2_saveexec_b64 s[4:5], s[4:5]
	s_cbranch_execz .LBB363_162
; %bb.161:
	s_waitcnt lgkmcnt(2)
	v_add_co_u32_e32 v4, vcc, v1, v23
	v_addc_co_u32_e32 v5, vcc, 0, v16, vcc
.LBB363_162:
	s_or_b64 exec, exec, s[4:5]
	s_waitcnt lgkmcnt(2)
	v_lshlrev_b64 v[4:5], 2, v[4:5]
	v_mov_b32_e32 v6, s25
	v_add_co_u32_e32 v4, vcc, s24, v4
	v_addc_co_u32_e32 v5, vcc, v6, v5, vcc
	s_waitcnt lgkmcnt(1)
	global_store_dword v[4:5], v2, off
	s_or_b64 exec, exec, s[2:3]
	v_cmp_gt_u32_e32 vcc, s33, v22
	s_and_saveexec_b64 s[2:3], vcc
	s_cbranch_execz .LBB363_199
	s_branch .LBB363_194
.LBB363_163:
	s_or_b64 exec, exec, s[2:3]
	v_cmp_gt_u32_e32 vcc, s33, v32
	s_and_saveexec_b64 s[2:3], vcc
	s_cbranch_execz .LBB363_133
.LBB363_164:
	v_cmp_ge_u32_e32 vcc, v32, v18
                                        ; implicit-def: $vgpr14_vgpr15
	s_and_saveexec_b64 s[4:5], vcc
	s_xor_b64 s[4:5], exec, s[4:5]
	s_cbranch_execz .LBB363_166
; %bb.165:
	s_waitcnt lgkmcnt(6)
	v_xor_b32_e32 v12, 0xfffffeff, v0
	v_ashrrev_i32_e32 v15, 31, v12
	v_add_co_u32_e32 v14, vcc, v19, v12
	v_addc_co_u32_e32 v15, vcc, v21, v15, vcc
                                        ; implicit-def: $vgpr32
.LBB363_166:
	s_andn2_saveexec_b64 s[4:5], s[4:5]
; %bb.167:
	v_add_co_u32_e32 v14, vcc, v1, v32
	v_addc_co_u32_e32 v15, vcc, 0, v16, vcc
; %bb.168:
	s_or_b64 exec, exec, s[4:5]
	v_lshlrev_b64 v[14:15], 2, v[14:15]
	s_waitcnt lgkmcnt(6)
	v_mov_b32_e32 v12, s25
	v_add_co_u32_e32 v14, vcc, s24, v14
	v_addc_co_u32_e32 v15, vcc, v12, v15, vcc
	global_store_dword v[14:15], v13, off
	s_or_b64 exec, exec, s[2:3]
	v_cmp_gt_u32_e32 vcc, s33, v31
	s_and_saveexec_b64 s[2:3], vcc
	s_cbranch_execnz .LBB363_134
.LBB363_169:
	s_or_b64 exec, exec, s[2:3]
	v_cmp_gt_u32_e32 vcc, s33, v30
	s_and_saveexec_b64 s[2:3], vcc
	s_cbranch_execz .LBB363_139
.LBB363_170:
	v_cmp_ge_u32_e32 vcc, v30, v18
                                        ; implicit-def: $vgpr12_vgpr13
	s_and_saveexec_b64 s[4:5], vcc
	s_xor_b64 s[4:5], exec, s[4:5]
	s_cbranch_execz .LBB363_172
; %bb.171:
	s_waitcnt lgkmcnt(5)
	v_xor_b32_e32 v10, 0xfffffcff, v0
	v_ashrrev_i32_e32 v13, 31, v10
	v_add_co_u32_e32 v12, vcc, v19, v10
	v_addc_co_u32_e32 v13, vcc, v21, v13, vcc
                                        ; implicit-def: $vgpr30
.LBB363_172:
	s_andn2_saveexec_b64 s[4:5], s[4:5]
	s_cbranch_execz .LBB363_174
; %bb.173:
	s_waitcnt lgkmcnt(6)
	v_add_co_u32_e32 v12, vcc, v1, v30
	v_addc_co_u32_e32 v13, vcc, 0, v16, vcc
.LBB363_174:
	s_or_b64 exec, exec, s[4:5]
	s_waitcnt lgkmcnt(6)
	v_lshlrev_b64 v[12:13], 2, v[12:13]
	s_waitcnt lgkmcnt(5)
	v_mov_b32_e32 v10, s25
	v_add_co_u32_e32 v12, vcc, s24, v12
	v_addc_co_u32_e32 v13, vcc, v10, v13, vcc
	global_store_dword v[12:13], v11, off
	s_or_b64 exec, exec, s[2:3]
	v_cmp_gt_u32_e32 vcc, s33, v29
	s_and_saveexec_b64 s[2:3], vcc
	s_cbranch_execnz .LBB363_140
.LBB363_175:
	s_or_b64 exec, exec, s[2:3]
	v_cmp_gt_u32_e32 vcc, s33, v28
	s_and_saveexec_b64 s[2:3], vcc
	s_cbranch_execz .LBB363_145
.LBB363_176:
	v_cmp_ge_u32_e32 vcc, v28, v18
                                        ; implicit-def: $vgpr10_vgpr11
	s_and_saveexec_b64 s[4:5], vcc
	s_xor_b64 s[4:5], exec, s[4:5]
	s_cbranch_execz .LBB363_178
; %bb.177:
	s_waitcnt lgkmcnt(4)
	v_xor_b32_e32 v8, 0xfffffaff, v0
	v_ashrrev_i32_e32 v11, 31, v8
	v_add_co_u32_e32 v10, vcc, v19, v8
	v_addc_co_u32_e32 v11, vcc, v21, v11, vcc
                                        ; implicit-def: $vgpr28
.LBB363_178:
	s_andn2_saveexec_b64 s[4:5], s[4:5]
	s_cbranch_execz .LBB363_180
; %bb.179:
	s_waitcnt lgkmcnt(5)
	v_add_co_u32_e32 v10, vcc, v1, v28
	v_addc_co_u32_e32 v11, vcc, 0, v16, vcc
.LBB363_180:
	s_or_b64 exec, exec, s[4:5]
	s_waitcnt lgkmcnt(5)
	v_lshlrev_b64 v[10:11], 2, v[10:11]
	s_waitcnt lgkmcnt(4)
	v_mov_b32_e32 v8, s25
	v_add_co_u32_e32 v10, vcc, s24, v10
	v_addc_co_u32_e32 v11, vcc, v8, v11, vcc
	global_store_dword v[10:11], v9, off
	s_or_b64 exec, exec, s[2:3]
	v_cmp_gt_u32_e32 vcc, s33, v27
	s_and_saveexec_b64 s[2:3], vcc
	s_cbranch_execnz .LBB363_146
.LBB363_181:
	s_or_b64 exec, exec, s[2:3]
	v_cmp_gt_u32_e32 vcc, s33, v26
	s_and_saveexec_b64 s[2:3], vcc
	s_cbranch_execz .LBB363_151
.LBB363_182:
	v_cmp_ge_u32_e32 vcc, v26, v18
                                        ; implicit-def: $vgpr8_vgpr9
	s_and_saveexec_b64 s[4:5], vcc
	s_xor_b64 s[4:5], exec, s[4:5]
	s_cbranch_execz .LBB363_184
; %bb.183:
	s_waitcnt lgkmcnt(3)
	v_xor_b32_e32 v6, 0xfffff8ff, v0
	v_ashrrev_i32_e32 v9, 31, v6
	v_add_co_u32_e32 v8, vcc, v19, v6
	v_addc_co_u32_e32 v9, vcc, v21, v9, vcc
                                        ; implicit-def: $vgpr26
.LBB363_184:
	s_andn2_saveexec_b64 s[4:5], s[4:5]
	s_cbranch_execz .LBB363_186
; %bb.185:
	s_waitcnt lgkmcnt(4)
	v_add_co_u32_e32 v8, vcc, v1, v26
	v_addc_co_u32_e32 v9, vcc, 0, v16, vcc
.LBB363_186:
	s_or_b64 exec, exec, s[4:5]
	s_waitcnt lgkmcnt(4)
	v_lshlrev_b64 v[8:9], 2, v[8:9]
	s_waitcnt lgkmcnt(3)
	v_mov_b32_e32 v6, s25
	v_add_co_u32_e32 v8, vcc, s24, v8
	v_addc_co_u32_e32 v9, vcc, v6, v9, vcc
	global_store_dword v[8:9], v7, off
	s_or_b64 exec, exec, s[2:3]
	v_cmp_gt_u32_e32 vcc, s33, v25
	s_and_saveexec_b64 s[2:3], vcc
	s_cbranch_execnz .LBB363_152
.LBB363_187:
	s_or_b64 exec, exec, s[2:3]
	v_cmp_gt_u32_e32 vcc, s33, v24
	s_and_saveexec_b64 s[2:3], vcc
	s_cbranch_execz .LBB363_157
.LBB363_188:
	v_cmp_ge_u32_e32 vcc, v24, v18
                                        ; implicit-def: $vgpr6_vgpr7
	s_and_saveexec_b64 s[4:5], vcc
	s_xor_b64 s[4:5], exec, s[4:5]
	s_cbranch_execz .LBB363_190
; %bb.189:
	s_waitcnt lgkmcnt(2)
	v_xor_b32_e32 v4, 0xfffff6ff, v0
	v_ashrrev_i32_e32 v7, 31, v4
	v_add_co_u32_e32 v6, vcc, v19, v4
	v_addc_co_u32_e32 v7, vcc, v21, v7, vcc
                                        ; implicit-def: $vgpr24
.LBB363_190:
	s_andn2_saveexec_b64 s[4:5], s[4:5]
	s_cbranch_execz .LBB363_192
; %bb.191:
	s_waitcnt lgkmcnt(3)
	v_add_co_u32_e32 v6, vcc, v1, v24
	v_addc_co_u32_e32 v7, vcc, 0, v16, vcc
.LBB363_192:
	s_or_b64 exec, exec, s[4:5]
	s_waitcnt lgkmcnt(3)
	v_lshlrev_b64 v[6:7], 2, v[6:7]
	s_waitcnt lgkmcnt(2)
	v_mov_b32_e32 v4, s25
	v_add_co_u32_e32 v6, vcc, s24, v6
	v_addc_co_u32_e32 v7, vcc, v4, v7, vcc
	global_store_dword v[6:7], v5, off
	s_or_b64 exec, exec, s[2:3]
	v_cmp_gt_u32_e32 vcc, s33, v23
	s_and_saveexec_b64 s[2:3], vcc
	s_cbranch_execnz .LBB363_158
.LBB363_193:
	s_or_b64 exec, exec, s[2:3]
	v_cmp_gt_u32_e32 vcc, s33, v22
	s_and_saveexec_b64 s[2:3], vcc
	s_cbranch_execz .LBB363_199
.LBB363_194:
	v_cmp_ge_u32_e32 vcc, v22, v18
                                        ; implicit-def: $vgpr4_vgpr5
	s_and_saveexec_b64 s[4:5], vcc
	s_xor_b64 s[4:5], exec, s[4:5]
	s_cbranch_execz .LBB363_196
; %bb.195:
	s_waitcnt lgkmcnt(1)
	v_xor_b32_e32 v2, 0xfffff4ff, v0
	v_ashrrev_i32_e32 v5, 31, v2
	v_add_co_u32_e32 v4, vcc, v19, v2
	v_addc_co_u32_e32 v5, vcc, v21, v5, vcc
                                        ; implicit-def: $vgpr22
.LBB363_196:
	s_andn2_saveexec_b64 s[4:5], s[4:5]
	s_cbranch_execz .LBB363_198
; %bb.197:
	s_waitcnt lgkmcnt(2)
	v_add_co_u32_e32 v4, vcc, v1, v22
	v_addc_co_u32_e32 v5, vcc, 0, v16, vcc
.LBB363_198:
	s_or_b64 exec, exec, s[4:5]
	s_waitcnt lgkmcnt(2)
	v_lshlrev_b64 v[4:5], 2, v[4:5]
	s_waitcnt lgkmcnt(1)
	v_mov_b32_e32 v2, s25
	v_add_co_u32_e32 v4, vcc, s24, v4
	v_addc_co_u32_e32 v5, vcc, v2, v5, vcc
	global_store_dword v[4:5], v3, off
.LBB363_199:
	s_or_b64 exec, exec, s[2:3]
	v_cmp_gt_u32_e32 vcc, s33, v20
                                        ; implicit-def: $vgpr14_vgpr15
	s_and_saveexec_b64 s[2:3], vcc
	s_cbranch_execz .LBB363_205
; %bb.200:
	v_cmp_ge_u32_e32 vcc, v20, v18
                                        ; implicit-def: $vgpr14_vgpr15
	s_and_saveexec_b64 s[4:5], vcc
	s_xor_b64 s[4:5], exec, s[4:5]
	s_cbranch_execz .LBB363_202
; %bb.201:
	s_waitcnt lgkmcnt(1)
	v_xor_b32_e32 v2, 0xfffff3ff, v0
	v_ashrrev_i32_e32 v3, 31, v2
	v_add_co_u32_e32 v14, vcc, v19, v2
	v_addc_co_u32_e32 v15, vcc, v21, v3, vcc
                                        ; implicit-def: $vgpr20
.LBB363_202:
	s_andn2_saveexec_b64 s[4:5], s[4:5]
; %bb.203:
	v_add_co_u32_e32 v14, vcc, v1, v20
	v_addc_co_u32_e32 v15, vcc, 0, v16, vcc
; %bb.204:
	s_or_b64 exec, exec, s[4:5]
	s_or_b64 s[0:1], s[0:1], exec
.LBB363_205:
	s_or_b64 exec, exec, s[2:3]
.LBB363_206:
	s_and_saveexec_b64 s[2:3], s[0:1]
	s_cbranch_execz .LBB363_208
; %bb.207:
	s_waitcnt lgkmcnt(1)
	v_lshlrev_b64 v[2:3], 2, v[14:15]
	v_mov_b32_e32 v4, s25
	v_add_co_u32_e32 v2, vcc, s24, v2
	v_addc_co_u32_e32 v3, vcc, v4, v3, vcc
	s_waitcnt lgkmcnt(0)
	global_store_dword v[2:3], v17, off
.LBB363_208:
	s_or_b64 exec, exec, s[2:3]
	v_cmp_eq_u32_e32 vcc, 0, v0
	s_and_b64 s[0:1], vcc, s[22:23]
	s_and_saveexec_b64 s[2:3], s[0:1]
	s_cbranch_execz .LBB363_210
; %bb.209:
	v_add_co_u32_e32 v0, vcc, v1, v18
	s_waitcnt lgkmcnt(1)
	v_mov_b32_e32 v2, 0
	v_addc_co_u32_e32 v1, vcc, 0, v16, vcc
	global_store_dwordx2 v2, v[0:1], s[20:21]
.LBB363_210:
	s_endpgm
	.section	.rodata,"a",@progbits
	.p2align	6, 0x0
	.amdhsa_kernel _ZN7rocprim17ROCPRIM_400000_NS6detail17trampoline_kernelINS0_13select_configILj256ELj13ELNS0_17block_load_methodE3ELS4_3ELS4_3ELNS0_20block_scan_algorithmE0ELj4294967295EEENS1_25partition_config_selectorILNS1_17partition_subalgoE3EjNS0_10empty_typeEbEEZZNS1_14partition_implILS8_3ELb0ES6_jNS0_17counting_iteratorIjlEEPS9_SE_NS0_5tupleIJPjSE_EEENSF_IJSE_SE_EEES9_SG_JZNS1_25segmented_radix_sort_implINS0_14default_configELb0EPKaPaPKlPlN2at6native12_GLOBAL__N_18offset_tEEE10hipError_tPvRmT1_PNSt15iterator_traitsISY_E10value_typeET2_T3_PNSZ_IS14_E10value_typeET4_jRbjT5_S1A_jjP12ihipStream_tbEUljE_EEESV_SW_SX_S14_S18_S1A_T6_T7_T9_mT8_S1C_bDpT10_ENKUlT_T0_E_clISt17integral_constantIbLb0EES1P_EEDaS1K_S1L_EUlS1K_E_NS1_11comp_targetILNS1_3genE4ELNS1_11target_archE910ELNS1_3gpuE8ELNS1_3repE0EEENS1_30default_config_static_selectorELNS0_4arch9wavefront6targetE1EEEvSY_
		.amdhsa_group_segment_fixed_size 13324
		.amdhsa_private_segment_fixed_size 0
		.amdhsa_kernarg_size 144
		.amdhsa_user_sgpr_count 6
		.amdhsa_user_sgpr_private_segment_buffer 1
		.amdhsa_user_sgpr_dispatch_ptr 0
		.amdhsa_user_sgpr_queue_ptr 0
		.amdhsa_user_sgpr_kernarg_segment_ptr 1
		.amdhsa_user_sgpr_dispatch_id 0
		.amdhsa_user_sgpr_flat_scratch_init 0
		.amdhsa_user_sgpr_kernarg_preload_length 0
		.amdhsa_user_sgpr_kernarg_preload_offset 0
		.amdhsa_user_sgpr_private_segment_size 0
		.amdhsa_uses_dynamic_stack 0
		.amdhsa_system_sgpr_private_segment_wavefront_offset 0
		.amdhsa_system_sgpr_workgroup_id_x 1
		.amdhsa_system_sgpr_workgroup_id_y 0
		.amdhsa_system_sgpr_workgroup_id_z 0
		.amdhsa_system_sgpr_workgroup_info 0
		.amdhsa_system_vgpr_workitem_id 0
		.amdhsa_next_free_vgpr 61
		.amdhsa_next_free_sgpr 46
		.amdhsa_accum_offset 64
		.amdhsa_reserve_vcc 1
		.amdhsa_reserve_flat_scratch 0
		.amdhsa_float_round_mode_32 0
		.amdhsa_float_round_mode_16_64 0
		.amdhsa_float_denorm_mode_32 3
		.amdhsa_float_denorm_mode_16_64 3
		.amdhsa_dx10_clamp 1
		.amdhsa_ieee_mode 1
		.amdhsa_fp16_overflow 0
		.amdhsa_tg_split 0
		.amdhsa_exception_fp_ieee_invalid_op 0
		.amdhsa_exception_fp_denorm_src 0
		.amdhsa_exception_fp_ieee_div_zero 0
		.amdhsa_exception_fp_ieee_overflow 0
		.amdhsa_exception_fp_ieee_underflow 0
		.amdhsa_exception_fp_ieee_inexact 0
		.amdhsa_exception_int_div_zero 0
	.end_amdhsa_kernel
	.section	.text._ZN7rocprim17ROCPRIM_400000_NS6detail17trampoline_kernelINS0_13select_configILj256ELj13ELNS0_17block_load_methodE3ELS4_3ELS4_3ELNS0_20block_scan_algorithmE0ELj4294967295EEENS1_25partition_config_selectorILNS1_17partition_subalgoE3EjNS0_10empty_typeEbEEZZNS1_14partition_implILS8_3ELb0ES6_jNS0_17counting_iteratorIjlEEPS9_SE_NS0_5tupleIJPjSE_EEENSF_IJSE_SE_EEES9_SG_JZNS1_25segmented_radix_sort_implINS0_14default_configELb0EPKaPaPKlPlN2at6native12_GLOBAL__N_18offset_tEEE10hipError_tPvRmT1_PNSt15iterator_traitsISY_E10value_typeET2_T3_PNSZ_IS14_E10value_typeET4_jRbjT5_S1A_jjP12ihipStream_tbEUljE_EEESV_SW_SX_S14_S18_S1A_T6_T7_T9_mT8_S1C_bDpT10_ENKUlT_T0_E_clISt17integral_constantIbLb0EES1P_EEDaS1K_S1L_EUlS1K_E_NS1_11comp_targetILNS1_3genE4ELNS1_11target_archE910ELNS1_3gpuE8ELNS1_3repE0EEENS1_30default_config_static_selectorELNS0_4arch9wavefront6targetE1EEEvSY_,"axG",@progbits,_ZN7rocprim17ROCPRIM_400000_NS6detail17trampoline_kernelINS0_13select_configILj256ELj13ELNS0_17block_load_methodE3ELS4_3ELS4_3ELNS0_20block_scan_algorithmE0ELj4294967295EEENS1_25partition_config_selectorILNS1_17partition_subalgoE3EjNS0_10empty_typeEbEEZZNS1_14partition_implILS8_3ELb0ES6_jNS0_17counting_iteratorIjlEEPS9_SE_NS0_5tupleIJPjSE_EEENSF_IJSE_SE_EEES9_SG_JZNS1_25segmented_radix_sort_implINS0_14default_configELb0EPKaPaPKlPlN2at6native12_GLOBAL__N_18offset_tEEE10hipError_tPvRmT1_PNSt15iterator_traitsISY_E10value_typeET2_T3_PNSZ_IS14_E10value_typeET4_jRbjT5_S1A_jjP12ihipStream_tbEUljE_EEESV_SW_SX_S14_S18_S1A_T6_T7_T9_mT8_S1C_bDpT10_ENKUlT_T0_E_clISt17integral_constantIbLb0EES1P_EEDaS1K_S1L_EUlS1K_E_NS1_11comp_targetILNS1_3genE4ELNS1_11target_archE910ELNS1_3gpuE8ELNS1_3repE0EEENS1_30default_config_static_selectorELNS0_4arch9wavefront6targetE1EEEvSY_,comdat
.Lfunc_end363:
	.size	_ZN7rocprim17ROCPRIM_400000_NS6detail17trampoline_kernelINS0_13select_configILj256ELj13ELNS0_17block_load_methodE3ELS4_3ELS4_3ELNS0_20block_scan_algorithmE0ELj4294967295EEENS1_25partition_config_selectorILNS1_17partition_subalgoE3EjNS0_10empty_typeEbEEZZNS1_14partition_implILS8_3ELb0ES6_jNS0_17counting_iteratorIjlEEPS9_SE_NS0_5tupleIJPjSE_EEENSF_IJSE_SE_EEES9_SG_JZNS1_25segmented_radix_sort_implINS0_14default_configELb0EPKaPaPKlPlN2at6native12_GLOBAL__N_18offset_tEEE10hipError_tPvRmT1_PNSt15iterator_traitsISY_E10value_typeET2_T3_PNSZ_IS14_E10value_typeET4_jRbjT5_S1A_jjP12ihipStream_tbEUljE_EEESV_SW_SX_S14_S18_S1A_T6_T7_T9_mT8_S1C_bDpT10_ENKUlT_T0_E_clISt17integral_constantIbLb0EES1P_EEDaS1K_S1L_EUlS1K_E_NS1_11comp_targetILNS1_3genE4ELNS1_11target_archE910ELNS1_3gpuE8ELNS1_3repE0EEENS1_30default_config_static_selectorELNS0_4arch9wavefront6targetE1EEEvSY_, .Lfunc_end363-_ZN7rocprim17ROCPRIM_400000_NS6detail17trampoline_kernelINS0_13select_configILj256ELj13ELNS0_17block_load_methodE3ELS4_3ELS4_3ELNS0_20block_scan_algorithmE0ELj4294967295EEENS1_25partition_config_selectorILNS1_17partition_subalgoE3EjNS0_10empty_typeEbEEZZNS1_14partition_implILS8_3ELb0ES6_jNS0_17counting_iteratorIjlEEPS9_SE_NS0_5tupleIJPjSE_EEENSF_IJSE_SE_EEES9_SG_JZNS1_25segmented_radix_sort_implINS0_14default_configELb0EPKaPaPKlPlN2at6native12_GLOBAL__N_18offset_tEEE10hipError_tPvRmT1_PNSt15iterator_traitsISY_E10value_typeET2_T3_PNSZ_IS14_E10value_typeET4_jRbjT5_S1A_jjP12ihipStream_tbEUljE_EEESV_SW_SX_S14_S18_S1A_T6_T7_T9_mT8_S1C_bDpT10_ENKUlT_T0_E_clISt17integral_constantIbLb0EES1P_EEDaS1K_S1L_EUlS1K_E_NS1_11comp_targetILNS1_3genE4ELNS1_11target_archE910ELNS1_3gpuE8ELNS1_3repE0EEENS1_30default_config_static_selectorELNS0_4arch9wavefront6targetE1EEEvSY_
                                        ; -- End function
	.section	.AMDGPU.csdata,"",@progbits
; Kernel info:
; codeLenInByte = 7676
; NumSgprs: 50
; NumVgprs: 61
; NumAgprs: 0
; TotalNumVgprs: 61
; ScratchSize: 0
; MemoryBound: 0
; FloatMode: 240
; IeeeMode: 1
; LDSByteSize: 13324 bytes/workgroup (compile time only)
; SGPRBlocks: 6
; VGPRBlocks: 7
; NumSGPRsForWavesPerEU: 50
; NumVGPRsForWavesPerEU: 61
; AccumOffset: 64
; Occupancy: 4
; WaveLimiterHint : 0
; COMPUTE_PGM_RSRC2:SCRATCH_EN: 0
; COMPUTE_PGM_RSRC2:USER_SGPR: 6
; COMPUTE_PGM_RSRC2:TRAP_HANDLER: 0
; COMPUTE_PGM_RSRC2:TGID_X_EN: 1
; COMPUTE_PGM_RSRC2:TGID_Y_EN: 0
; COMPUTE_PGM_RSRC2:TGID_Z_EN: 0
; COMPUTE_PGM_RSRC2:TIDIG_COMP_CNT: 0
; COMPUTE_PGM_RSRC3_GFX90A:ACCUM_OFFSET: 15
; COMPUTE_PGM_RSRC3_GFX90A:TG_SPLIT: 0
	.section	.text._ZN7rocprim17ROCPRIM_400000_NS6detail17trampoline_kernelINS0_13select_configILj256ELj13ELNS0_17block_load_methodE3ELS4_3ELS4_3ELNS0_20block_scan_algorithmE0ELj4294967295EEENS1_25partition_config_selectorILNS1_17partition_subalgoE3EjNS0_10empty_typeEbEEZZNS1_14partition_implILS8_3ELb0ES6_jNS0_17counting_iteratorIjlEEPS9_SE_NS0_5tupleIJPjSE_EEENSF_IJSE_SE_EEES9_SG_JZNS1_25segmented_radix_sort_implINS0_14default_configELb0EPKaPaPKlPlN2at6native12_GLOBAL__N_18offset_tEEE10hipError_tPvRmT1_PNSt15iterator_traitsISY_E10value_typeET2_T3_PNSZ_IS14_E10value_typeET4_jRbjT5_S1A_jjP12ihipStream_tbEUljE_EEESV_SW_SX_S14_S18_S1A_T6_T7_T9_mT8_S1C_bDpT10_ENKUlT_T0_E_clISt17integral_constantIbLb0EES1P_EEDaS1K_S1L_EUlS1K_E_NS1_11comp_targetILNS1_3genE3ELNS1_11target_archE908ELNS1_3gpuE7ELNS1_3repE0EEENS1_30default_config_static_selectorELNS0_4arch9wavefront6targetE1EEEvSY_,"axG",@progbits,_ZN7rocprim17ROCPRIM_400000_NS6detail17trampoline_kernelINS0_13select_configILj256ELj13ELNS0_17block_load_methodE3ELS4_3ELS4_3ELNS0_20block_scan_algorithmE0ELj4294967295EEENS1_25partition_config_selectorILNS1_17partition_subalgoE3EjNS0_10empty_typeEbEEZZNS1_14partition_implILS8_3ELb0ES6_jNS0_17counting_iteratorIjlEEPS9_SE_NS0_5tupleIJPjSE_EEENSF_IJSE_SE_EEES9_SG_JZNS1_25segmented_radix_sort_implINS0_14default_configELb0EPKaPaPKlPlN2at6native12_GLOBAL__N_18offset_tEEE10hipError_tPvRmT1_PNSt15iterator_traitsISY_E10value_typeET2_T3_PNSZ_IS14_E10value_typeET4_jRbjT5_S1A_jjP12ihipStream_tbEUljE_EEESV_SW_SX_S14_S18_S1A_T6_T7_T9_mT8_S1C_bDpT10_ENKUlT_T0_E_clISt17integral_constantIbLb0EES1P_EEDaS1K_S1L_EUlS1K_E_NS1_11comp_targetILNS1_3genE3ELNS1_11target_archE908ELNS1_3gpuE7ELNS1_3repE0EEENS1_30default_config_static_selectorELNS0_4arch9wavefront6targetE1EEEvSY_,comdat
	.globl	_ZN7rocprim17ROCPRIM_400000_NS6detail17trampoline_kernelINS0_13select_configILj256ELj13ELNS0_17block_load_methodE3ELS4_3ELS4_3ELNS0_20block_scan_algorithmE0ELj4294967295EEENS1_25partition_config_selectorILNS1_17partition_subalgoE3EjNS0_10empty_typeEbEEZZNS1_14partition_implILS8_3ELb0ES6_jNS0_17counting_iteratorIjlEEPS9_SE_NS0_5tupleIJPjSE_EEENSF_IJSE_SE_EEES9_SG_JZNS1_25segmented_radix_sort_implINS0_14default_configELb0EPKaPaPKlPlN2at6native12_GLOBAL__N_18offset_tEEE10hipError_tPvRmT1_PNSt15iterator_traitsISY_E10value_typeET2_T3_PNSZ_IS14_E10value_typeET4_jRbjT5_S1A_jjP12ihipStream_tbEUljE_EEESV_SW_SX_S14_S18_S1A_T6_T7_T9_mT8_S1C_bDpT10_ENKUlT_T0_E_clISt17integral_constantIbLb0EES1P_EEDaS1K_S1L_EUlS1K_E_NS1_11comp_targetILNS1_3genE3ELNS1_11target_archE908ELNS1_3gpuE7ELNS1_3repE0EEENS1_30default_config_static_selectorELNS0_4arch9wavefront6targetE1EEEvSY_ ; -- Begin function _ZN7rocprim17ROCPRIM_400000_NS6detail17trampoline_kernelINS0_13select_configILj256ELj13ELNS0_17block_load_methodE3ELS4_3ELS4_3ELNS0_20block_scan_algorithmE0ELj4294967295EEENS1_25partition_config_selectorILNS1_17partition_subalgoE3EjNS0_10empty_typeEbEEZZNS1_14partition_implILS8_3ELb0ES6_jNS0_17counting_iteratorIjlEEPS9_SE_NS0_5tupleIJPjSE_EEENSF_IJSE_SE_EEES9_SG_JZNS1_25segmented_radix_sort_implINS0_14default_configELb0EPKaPaPKlPlN2at6native12_GLOBAL__N_18offset_tEEE10hipError_tPvRmT1_PNSt15iterator_traitsISY_E10value_typeET2_T3_PNSZ_IS14_E10value_typeET4_jRbjT5_S1A_jjP12ihipStream_tbEUljE_EEESV_SW_SX_S14_S18_S1A_T6_T7_T9_mT8_S1C_bDpT10_ENKUlT_T0_E_clISt17integral_constantIbLb0EES1P_EEDaS1K_S1L_EUlS1K_E_NS1_11comp_targetILNS1_3genE3ELNS1_11target_archE908ELNS1_3gpuE7ELNS1_3repE0EEENS1_30default_config_static_selectorELNS0_4arch9wavefront6targetE1EEEvSY_
	.p2align	8
	.type	_ZN7rocprim17ROCPRIM_400000_NS6detail17trampoline_kernelINS0_13select_configILj256ELj13ELNS0_17block_load_methodE3ELS4_3ELS4_3ELNS0_20block_scan_algorithmE0ELj4294967295EEENS1_25partition_config_selectorILNS1_17partition_subalgoE3EjNS0_10empty_typeEbEEZZNS1_14partition_implILS8_3ELb0ES6_jNS0_17counting_iteratorIjlEEPS9_SE_NS0_5tupleIJPjSE_EEENSF_IJSE_SE_EEES9_SG_JZNS1_25segmented_radix_sort_implINS0_14default_configELb0EPKaPaPKlPlN2at6native12_GLOBAL__N_18offset_tEEE10hipError_tPvRmT1_PNSt15iterator_traitsISY_E10value_typeET2_T3_PNSZ_IS14_E10value_typeET4_jRbjT5_S1A_jjP12ihipStream_tbEUljE_EEESV_SW_SX_S14_S18_S1A_T6_T7_T9_mT8_S1C_bDpT10_ENKUlT_T0_E_clISt17integral_constantIbLb0EES1P_EEDaS1K_S1L_EUlS1K_E_NS1_11comp_targetILNS1_3genE3ELNS1_11target_archE908ELNS1_3gpuE7ELNS1_3repE0EEENS1_30default_config_static_selectorELNS0_4arch9wavefront6targetE1EEEvSY_,@function
_ZN7rocprim17ROCPRIM_400000_NS6detail17trampoline_kernelINS0_13select_configILj256ELj13ELNS0_17block_load_methodE3ELS4_3ELS4_3ELNS0_20block_scan_algorithmE0ELj4294967295EEENS1_25partition_config_selectorILNS1_17partition_subalgoE3EjNS0_10empty_typeEbEEZZNS1_14partition_implILS8_3ELb0ES6_jNS0_17counting_iteratorIjlEEPS9_SE_NS0_5tupleIJPjSE_EEENSF_IJSE_SE_EEES9_SG_JZNS1_25segmented_radix_sort_implINS0_14default_configELb0EPKaPaPKlPlN2at6native12_GLOBAL__N_18offset_tEEE10hipError_tPvRmT1_PNSt15iterator_traitsISY_E10value_typeET2_T3_PNSZ_IS14_E10value_typeET4_jRbjT5_S1A_jjP12ihipStream_tbEUljE_EEESV_SW_SX_S14_S18_S1A_T6_T7_T9_mT8_S1C_bDpT10_ENKUlT_T0_E_clISt17integral_constantIbLb0EES1P_EEDaS1K_S1L_EUlS1K_E_NS1_11comp_targetILNS1_3genE3ELNS1_11target_archE908ELNS1_3gpuE7ELNS1_3repE0EEENS1_30default_config_static_selectorELNS0_4arch9wavefront6targetE1EEEvSY_: ; @_ZN7rocprim17ROCPRIM_400000_NS6detail17trampoline_kernelINS0_13select_configILj256ELj13ELNS0_17block_load_methodE3ELS4_3ELS4_3ELNS0_20block_scan_algorithmE0ELj4294967295EEENS1_25partition_config_selectorILNS1_17partition_subalgoE3EjNS0_10empty_typeEbEEZZNS1_14partition_implILS8_3ELb0ES6_jNS0_17counting_iteratorIjlEEPS9_SE_NS0_5tupleIJPjSE_EEENSF_IJSE_SE_EEES9_SG_JZNS1_25segmented_radix_sort_implINS0_14default_configELb0EPKaPaPKlPlN2at6native12_GLOBAL__N_18offset_tEEE10hipError_tPvRmT1_PNSt15iterator_traitsISY_E10value_typeET2_T3_PNSZ_IS14_E10value_typeET4_jRbjT5_S1A_jjP12ihipStream_tbEUljE_EEESV_SW_SX_S14_S18_S1A_T6_T7_T9_mT8_S1C_bDpT10_ENKUlT_T0_E_clISt17integral_constantIbLb0EES1P_EEDaS1K_S1L_EUlS1K_E_NS1_11comp_targetILNS1_3genE3ELNS1_11target_archE908ELNS1_3gpuE7ELNS1_3repE0EEENS1_30default_config_static_selectorELNS0_4arch9wavefront6targetE1EEEvSY_
; %bb.0:
	.section	.rodata,"a",@progbits
	.p2align	6, 0x0
	.amdhsa_kernel _ZN7rocprim17ROCPRIM_400000_NS6detail17trampoline_kernelINS0_13select_configILj256ELj13ELNS0_17block_load_methodE3ELS4_3ELS4_3ELNS0_20block_scan_algorithmE0ELj4294967295EEENS1_25partition_config_selectorILNS1_17partition_subalgoE3EjNS0_10empty_typeEbEEZZNS1_14partition_implILS8_3ELb0ES6_jNS0_17counting_iteratorIjlEEPS9_SE_NS0_5tupleIJPjSE_EEENSF_IJSE_SE_EEES9_SG_JZNS1_25segmented_radix_sort_implINS0_14default_configELb0EPKaPaPKlPlN2at6native12_GLOBAL__N_18offset_tEEE10hipError_tPvRmT1_PNSt15iterator_traitsISY_E10value_typeET2_T3_PNSZ_IS14_E10value_typeET4_jRbjT5_S1A_jjP12ihipStream_tbEUljE_EEESV_SW_SX_S14_S18_S1A_T6_T7_T9_mT8_S1C_bDpT10_ENKUlT_T0_E_clISt17integral_constantIbLb0EES1P_EEDaS1K_S1L_EUlS1K_E_NS1_11comp_targetILNS1_3genE3ELNS1_11target_archE908ELNS1_3gpuE7ELNS1_3repE0EEENS1_30default_config_static_selectorELNS0_4arch9wavefront6targetE1EEEvSY_
		.amdhsa_group_segment_fixed_size 0
		.amdhsa_private_segment_fixed_size 0
		.amdhsa_kernarg_size 144
		.amdhsa_user_sgpr_count 6
		.amdhsa_user_sgpr_private_segment_buffer 1
		.amdhsa_user_sgpr_dispatch_ptr 0
		.amdhsa_user_sgpr_queue_ptr 0
		.amdhsa_user_sgpr_kernarg_segment_ptr 1
		.amdhsa_user_sgpr_dispatch_id 0
		.amdhsa_user_sgpr_flat_scratch_init 0
		.amdhsa_user_sgpr_kernarg_preload_length 0
		.amdhsa_user_sgpr_kernarg_preload_offset 0
		.amdhsa_user_sgpr_private_segment_size 0
		.amdhsa_uses_dynamic_stack 0
		.amdhsa_system_sgpr_private_segment_wavefront_offset 0
		.amdhsa_system_sgpr_workgroup_id_x 1
		.amdhsa_system_sgpr_workgroup_id_y 0
		.amdhsa_system_sgpr_workgroup_id_z 0
		.amdhsa_system_sgpr_workgroup_info 0
		.amdhsa_system_vgpr_workitem_id 0
		.amdhsa_next_free_vgpr 1
		.amdhsa_next_free_sgpr 0
		.amdhsa_accum_offset 4
		.amdhsa_reserve_vcc 0
		.amdhsa_reserve_flat_scratch 0
		.amdhsa_float_round_mode_32 0
		.amdhsa_float_round_mode_16_64 0
		.amdhsa_float_denorm_mode_32 3
		.amdhsa_float_denorm_mode_16_64 3
		.amdhsa_dx10_clamp 1
		.amdhsa_ieee_mode 1
		.amdhsa_fp16_overflow 0
		.amdhsa_tg_split 0
		.amdhsa_exception_fp_ieee_invalid_op 0
		.amdhsa_exception_fp_denorm_src 0
		.amdhsa_exception_fp_ieee_div_zero 0
		.amdhsa_exception_fp_ieee_overflow 0
		.amdhsa_exception_fp_ieee_underflow 0
		.amdhsa_exception_fp_ieee_inexact 0
		.amdhsa_exception_int_div_zero 0
	.end_amdhsa_kernel
	.section	.text._ZN7rocprim17ROCPRIM_400000_NS6detail17trampoline_kernelINS0_13select_configILj256ELj13ELNS0_17block_load_methodE3ELS4_3ELS4_3ELNS0_20block_scan_algorithmE0ELj4294967295EEENS1_25partition_config_selectorILNS1_17partition_subalgoE3EjNS0_10empty_typeEbEEZZNS1_14partition_implILS8_3ELb0ES6_jNS0_17counting_iteratorIjlEEPS9_SE_NS0_5tupleIJPjSE_EEENSF_IJSE_SE_EEES9_SG_JZNS1_25segmented_radix_sort_implINS0_14default_configELb0EPKaPaPKlPlN2at6native12_GLOBAL__N_18offset_tEEE10hipError_tPvRmT1_PNSt15iterator_traitsISY_E10value_typeET2_T3_PNSZ_IS14_E10value_typeET4_jRbjT5_S1A_jjP12ihipStream_tbEUljE_EEESV_SW_SX_S14_S18_S1A_T6_T7_T9_mT8_S1C_bDpT10_ENKUlT_T0_E_clISt17integral_constantIbLb0EES1P_EEDaS1K_S1L_EUlS1K_E_NS1_11comp_targetILNS1_3genE3ELNS1_11target_archE908ELNS1_3gpuE7ELNS1_3repE0EEENS1_30default_config_static_selectorELNS0_4arch9wavefront6targetE1EEEvSY_,"axG",@progbits,_ZN7rocprim17ROCPRIM_400000_NS6detail17trampoline_kernelINS0_13select_configILj256ELj13ELNS0_17block_load_methodE3ELS4_3ELS4_3ELNS0_20block_scan_algorithmE0ELj4294967295EEENS1_25partition_config_selectorILNS1_17partition_subalgoE3EjNS0_10empty_typeEbEEZZNS1_14partition_implILS8_3ELb0ES6_jNS0_17counting_iteratorIjlEEPS9_SE_NS0_5tupleIJPjSE_EEENSF_IJSE_SE_EEES9_SG_JZNS1_25segmented_radix_sort_implINS0_14default_configELb0EPKaPaPKlPlN2at6native12_GLOBAL__N_18offset_tEEE10hipError_tPvRmT1_PNSt15iterator_traitsISY_E10value_typeET2_T3_PNSZ_IS14_E10value_typeET4_jRbjT5_S1A_jjP12ihipStream_tbEUljE_EEESV_SW_SX_S14_S18_S1A_T6_T7_T9_mT8_S1C_bDpT10_ENKUlT_T0_E_clISt17integral_constantIbLb0EES1P_EEDaS1K_S1L_EUlS1K_E_NS1_11comp_targetILNS1_3genE3ELNS1_11target_archE908ELNS1_3gpuE7ELNS1_3repE0EEENS1_30default_config_static_selectorELNS0_4arch9wavefront6targetE1EEEvSY_,comdat
.Lfunc_end364:
	.size	_ZN7rocprim17ROCPRIM_400000_NS6detail17trampoline_kernelINS0_13select_configILj256ELj13ELNS0_17block_load_methodE3ELS4_3ELS4_3ELNS0_20block_scan_algorithmE0ELj4294967295EEENS1_25partition_config_selectorILNS1_17partition_subalgoE3EjNS0_10empty_typeEbEEZZNS1_14partition_implILS8_3ELb0ES6_jNS0_17counting_iteratorIjlEEPS9_SE_NS0_5tupleIJPjSE_EEENSF_IJSE_SE_EEES9_SG_JZNS1_25segmented_radix_sort_implINS0_14default_configELb0EPKaPaPKlPlN2at6native12_GLOBAL__N_18offset_tEEE10hipError_tPvRmT1_PNSt15iterator_traitsISY_E10value_typeET2_T3_PNSZ_IS14_E10value_typeET4_jRbjT5_S1A_jjP12ihipStream_tbEUljE_EEESV_SW_SX_S14_S18_S1A_T6_T7_T9_mT8_S1C_bDpT10_ENKUlT_T0_E_clISt17integral_constantIbLb0EES1P_EEDaS1K_S1L_EUlS1K_E_NS1_11comp_targetILNS1_3genE3ELNS1_11target_archE908ELNS1_3gpuE7ELNS1_3repE0EEENS1_30default_config_static_selectorELNS0_4arch9wavefront6targetE1EEEvSY_, .Lfunc_end364-_ZN7rocprim17ROCPRIM_400000_NS6detail17trampoline_kernelINS0_13select_configILj256ELj13ELNS0_17block_load_methodE3ELS4_3ELS4_3ELNS0_20block_scan_algorithmE0ELj4294967295EEENS1_25partition_config_selectorILNS1_17partition_subalgoE3EjNS0_10empty_typeEbEEZZNS1_14partition_implILS8_3ELb0ES6_jNS0_17counting_iteratorIjlEEPS9_SE_NS0_5tupleIJPjSE_EEENSF_IJSE_SE_EEES9_SG_JZNS1_25segmented_radix_sort_implINS0_14default_configELb0EPKaPaPKlPlN2at6native12_GLOBAL__N_18offset_tEEE10hipError_tPvRmT1_PNSt15iterator_traitsISY_E10value_typeET2_T3_PNSZ_IS14_E10value_typeET4_jRbjT5_S1A_jjP12ihipStream_tbEUljE_EEESV_SW_SX_S14_S18_S1A_T6_T7_T9_mT8_S1C_bDpT10_ENKUlT_T0_E_clISt17integral_constantIbLb0EES1P_EEDaS1K_S1L_EUlS1K_E_NS1_11comp_targetILNS1_3genE3ELNS1_11target_archE908ELNS1_3gpuE7ELNS1_3repE0EEENS1_30default_config_static_selectorELNS0_4arch9wavefront6targetE1EEEvSY_
                                        ; -- End function
	.section	.AMDGPU.csdata,"",@progbits
; Kernel info:
; codeLenInByte = 0
; NumSgprs: 4
; NumVgprs: 0
; NumAgprs: 0
; TotalNumVgprs: 0
; ScratchSize: 0
; MemoryBound: 0
; FloatMode: 240
; IeeeMode: 1
; LDSByteSize: 0 bytes/workgroup (compile time only)
; SGPRBlocks: 0
; VGPRBlocks: 0
; NumSGPRsForWavesPerEU: 4
; NumVGPRsForWavesPerEU: 1
; AccumOffset: 4
; Occupancy: 8
; WaveLimiterHint : 0
; COMPUTE_PGM_RSRC2:SCRATCH_EN: 0
; COMPUTE_PGM_RSRC2:USER_SGPR: 6
; COMPUTE_PGM_RSRC2:TRAP_HANDLER: 0
; COMPUTE_PGM_RSRC2:TGID_X_EN: 1
; COMPUTE_PGM_RSRC2:TGID_Y_EN: 0
; COMPUTE_PGM_RSRC2:TGID_Z_EN: 0
; COMPUTE_PGM_RSRC2:TIDIG_COMP_CNT: 0
; COMPUTE_PGM_RSRC3_GFX90A:ACCUM_OFFSET: 0
; COMPUTE_PGM_RSRC3_GFX90A:TG_SPLIT: 0
	.section	.text._ZN7rocprim17ROCPRIM_400000_NS6detail17trampoline_kernelINS0_13select_configILj256ELj13ELNS0_17block_load_methodE3ELS4_3ELS4_3ELNS0_20block_scan_algorithmE0ELj4294967295EEENS1_25partition_config_selectorILNS1_17partition_subalgoE3EjNS0_10empty_typeEbEEZZNS1_14partition_implILS8_3ELb0ES6_jNS0_17counting_iteratorIjlEEPS9_SE_NS0_5tupleIJPjSE_EEENSF_IJSE_SE_EEES9_SG_JZNS1_25segmented_radix_sort_implINS0_14default_configELb0EPKaPaPKlPlN2at6native12_GLOBAL__N_18offset_tEEE10hipError_tPvRmT1_PNSt15iterator_traitsISY_E10value_typeET2_T3_PNSZ_IS14_E10value_typeET4_jRbjT5_S1A_jjP12ihipStream_tbEUljE_EEESV_SW_SX_S14_S18_S1A_T6_T7_T9_mT8_S1C_bDpT10_ENKUlT_T0_E_clISt17integral_constantIbLb0EES1P_EEDaS1K_S1L_EUlS1K_E_NS1_11comp_targetILNS1_3genE2ELNS1_11target_archE906ELNS1_3gpuE6ELNS1_3repE0EEENS1_30default_config_static_selectorELNS0_4arch9wavefront6targetE1EEEvSY_,"axG",@progbits,_ZN7rocprim17ROCPRIM_400000_NS6detail17trampoline_kernelINS0_13select_configILj256ELj13ELNS0_17block_load_methodE3ELS4_3ELS4_3ELNS0_20block_scan_algorithmE0ELj4294967295EEENS1_25partition_config_selectorILNS1_17partition_subalgoE3EjNS0_10empty_typeEbEEZZNS1_14partition_implILS8_3ELb0ES6_jNS0_17counting_iteratorIjlEEPS9_SE_NS0_5tupleIJPjSE_EEENSF_IJSE_SE_EEES9_SG_JZNS1_25segmented_radix_sort_implINS0_14default_configELb0EPKaPaPKlPlN2at6native12_GLOBAL__N_18offset_tEEE10hipError_tPvRmT1_PNSt15iterator_traitsISY_E10value_typeET2_T3_PNSZ_IS14_E10value_typeET4_jRbjT5_S1A_jjP12ihipStream_tbEUljE_EEESV_SW_SX_S14_S18_S1A_T6_T7_T9_mT8_S1C_bDpT10_ENKUlT_T0_E_clISt17integral_constantIbLb0EES1P_EEDaS1K_S1L_EUlS1K_E_NS1_11comp_targetILNS1_3genE2ELNS1_11target_archE906ELNS1_3gpuE6ELNS1_3repE0EEENS1_30default_config_static_selectorELNS0_4arch9wavefront6targetE1EEEvSY_,comdat
	.globl	_ZN7rocprim17ROCPRIM_400000_NS6detail17trampoline_kernelINS0_13select_configILj256ELj13ELNS0_17block_load_methodE3ELS4_3ELS4_3ELNS0_20block_scan_algorithmE0ELj4294967295EEENS1_25partition_config_selectorILNS1_17partition_subalgoE3EjNS0_10empty_typeEbEEZZNS1_14partition_implILS8_3ELb0ES6_jNS0_17counting_iteratorIjlEEPS9_SE_NS0_5tupleIJPjSE_EEENSF_IJSE_SE_EEES9_SG_JZNS1_25segmented_radix_sort_implINS0_14default_configELb0EPKaPaPKlPlN2at6native12_GLOBAL__N_18offset_tEEE10hipError_tPvRmT1_PNSt15iterator_traitsISY_E10value_typeET2_T3_PNSZ_IS14_E10value_typeET4_jRbjT5_S1A_jjP12ihipStream_tbEUljE_EEESV_SW_SX_S14_S18_S1A_T6_T7_T9_mT8_S1C_bDpT10_ENKUlT_T0_E_clISt17integral_constantIbLb0EES1P_EEDaS1K_S1L_EUlS1K_E_NS1_11comp_targetILNS1_3genE2ELNS1_11target_archE906ELNS1_3gpuE6ELNS1_3repE0EEENS1_30default_config_static_selectorELNS0_4arch9wavefront6targetE1EEEvSY_ ; -- Begin function _ZN7rocprim17ROCPRIM_400000_NS6detail17trampoline_kernelINS0_13select_configILj256ELj13ELNS0_17block_load_methodE3ELS4_3ELS4_3ELNS0_20block_scan_algorithmE0ELj4294967295EEENS1_25partition_config_selectorILNS1_17partition_subalgoE3EjNS0_10empty_typeEbEEZZNS1_14partition_implILS8_3ELb0ES6_jNS0_17counting_iteratorIjlEEPS9_SE_NS0_5tupleIJPjSE_EEENSF_IJSE_SE_EEES9_SG_JZNS1_25segmented_radix_sort_implINS0_14default_configELb0EPKaPaPKlPlN2at6native12_GLOBAL__N_18offset_tEEE10hipError_tPvRmT1_PNSt15iterator_traitsISY_E10value_typeET2_T3_PNSZ_IS14_E10value_typeET4_jRbjT5_S1A_jjP12ihipStream_tbEUljE_EEESV_SW_SX_S14_S18_S1A_T6_T7_T9_mT8_S1C_bDpT10_ENKUlT_T0_E_clISt17integral_constantIbLb0EES1P_EEDaS1K_S1L_EUlS1K_E_NS1_11comp_targetILNS1_3genE2ELNS1_11target_archE906ELNS1_3gpuE6ELNS1_3repE0EEENS1_30default_config_static_selectorELNS0_4arch9wavefront6targetE1EEEvSY_
	.p2align	8
	.type	_ZN7rocprim17ROCPRIM_400000_NS6detail17trampoline_kernelINS0_13select_configILj256ELj13ELNS0_17block_load_methodE3ELS4_3ELS4_3ELNS0_20block_scan_algorithmE0ELj4294967295EEENS1_25partition_config_selectorILNS1_17partition_subalgoE3EjNS0_10empty_typeEbEEZZNS1_14partition_implILS8_3ELb0ES6_jNS0_17counting_iteratorIjlEEPS9_SE_NS0_5tupleIJPjSE_EEENSF_IJSE_SE_EEES9_SG_JZNS1_25segmented_radix_sort_implINS0_14default_configELb0EPKaPaPKlPlN2at6native12_GLOBAL__N_18offset_tEEE10hipError_tPvRmT1_PNSt15iterator_traitsISY_E10value_typeET2_T3_PNSZ_IS14_E10value_typeET4_jRbjT5_S1A_jjP12ihipStream_tbEUljE_EEESV_SW_SX_S14_S18_S1A_T6_T7_T9_mT8_S1C_bDpT10_ENKUlT_T0_E_clISt17integral_constantIbLb0EES1P_EEDaS1K_S1L_EUlS1K_E_NS1_11comp_targetILNS1_3genE2ELNS1_11target_archE906ELNS1_3gpuE6ELNS1_3repE0EEENS1_30default_config_static_selectorELNS0_4arch9wavefront6targetE1EEEvSY_,@function
_ZN7rocprim17ROCPRIM_400000_NS6detail17trampoline_kernelINS0_13select_configILj256ELj13ELNS0_17block_load_methodE3ELS4_3ELS4_3ELNS0_20block_scan_algorithmE0ELj4294967295EEENS1_25partition_config_selectorILNS1_17partition_subalgoE3EjNS0_10empty_typeEbEEZZNS1_14partition_implILS8_3ELb0ES6_jNS0_17counting_iteratorIjlEEPS9_SE_NS0_5tupleIJPjSE_EEENSF_IJSE_SE_EEES9_SG_JZNS1_25segmented_radix_sort_implINS0_14default_configELb0EPKaPaPKlPlN2at6native12_GLOBAL__N_18offset_tEEE10hipError_tPvRmT1_PNSt15iterator_traitsISY_E10value_typeET2_T3_PNSZ_IS14_E10value_typeET4_jRbjT5_S1A_jjP12ihipStream_tbEUljE_EEESV_SW_SX_S14_S18_S1A_T6_T7_T9_mT8_S1C_bDpT10_ENKUlT_T0_E_clISt17integral_constantIbLb0EES1P_EEDaS1K_S1L_EUlS1K_E_NS1_11comp_targetILNS1_3genE2ELNS1_11target_archE906ELNS1_3gpuE6ELNS1_3repE0EEENS1_30default_config_static_selectorELNS0_4arch9wavefront6targetE1EEEvSY_: ; @_ZN7rocprim17ROCPRIM_400000_NS6detail17trampoline_kernelINS0_13select_configILj256ELj13ELNS0_17block_load_methodE3ELS4_3ELS4_3ELNS0_20block_scan_algorithmE0ELj4294967295EEENS1_25partition_config_selectorILNS1_17partition_subalgoE3EjNS0_10empty_typeEbEEZZNS1_14partition_implILS8_3ELb0ES6_jNS0_17counting_iteratorIjlEEPS9_SE_NS0_5tupleIJPjSE_EEENSF_IJSE_SE_EEES9_SG_JZNS1_25segmented_radix_sort_implINS0_14default_configELb0EPKaPaPKlPlN2at6native12_GLOBAL__N_18offset_tEEE10hipError_tPvRmT1_PNSt15iterator_traitsISY_E10value_typeET2_T3_PNSZ_IS14_E10value_typeET4_jRbjT5_S1A_jjP12ihipStream_tbEUljE_EEESV_SW_SX_S14_S18_S1A_T6_T7_T9_mT8_S1C_bDpT10_ENKUlT_T0_E_clISt17integral_constantIbLb0EES1P_EEDaS1K_S1L_EUlS1K_E_NS1_11comp_targetILNS1_3genE2ELNS1_11target_archE906ELNS1_3gpuE6ELNS1_3repE0EEENS1_30default_config_static_selectorELNS0_4arch9wavefront6targetE1EEEvSY_
; %bb.0:
	.section	.rodata,"a",@progbits
	.p2align	6, 0x0
	.amdhsa_kernel _ZN7rocprim17ROCPRIM_400000_NS6detail17trampoline_kernelINS0_13select_configILj256ELj13ELNS0_17block_load_methodE3ELS4_3ELS4_3ELNS0_20block_scan_algorithmE0ELj4294967295EEENS1_25partition_config_selectorILNS1_17partition_subalgoE3EjNS0_10empty_typeEbEEZZNS1_14partition_implILS8_3ELb0ES6_jNS0_17counting_iteratorIjlEEPS9_SE_NS0_5tupleIJPjSE_EEENSF_IJSE_SE_EEES9_SG_JZNS1_25segmented_radix_sort_implINS0_14default_configELb0EPKaPaPKlPlN2at6native12_GLOBAL__N_18offset_tEEE10hipError_tPvRmT1_PNSt15iterator_traitsISY_E10value_typeET2_T3_PNSZ_IS14_E10value_typeET4_jRbjT5_S1A_jjP12ihipStream_tbEUljE_EEESV_SW_SX_S14_S18_S1A_T6_T7_T9_mT8_S1C_bDpT10_ENKUlT_T0_E_clISt17integral_constantIbLb0EES1P_EEDaS1K_S1L_EUlS1K_E_NS1_11comp_targetILNS1_3genE2ELNS1_11target_archE906ELNS1_3gpuE6ELNS1_3repE0EEENS1_30default_config_static_selectorELNS0_4arch9wavefront6targetE1EEEvSY_
		.amdhsa_group_segment_fixed_size 0
		.amdhsa_private_segment_fixed_size 0
		.amdhsa_kernarg_size 144
		.amdhsa_user_sgpr_count 6
		.amdhsa_user_sgpr_private_segment_buffer 1
		.amdhsa_user_sgpr_dispatch_ptr 0
		.amdhsa_user_sgpr_queue_ptr 0
		.amdhsa_user_sgpr_kernarg_segment_ptr 1
		.amdhsa_user_sgpr_dispatch_id 0
		.amdhsa_user_sgpr_flat_scratch_init 0
		.amdhsa_user_sgpr_kernarg_preload_length 0
		.amdhsa_user_sgpr_kernarg_preload_offset 0
		.amdhsa_user_sgpr_private_segment_size 0
		.amdhsa_uses_dynamic_stack 0
		.amdhsa_system_sgpr_private_segment_wavefront_offset 0
		.amdhsa_system_sgpr_workgroup_id_x 1
		.amdhsa_system_sgpr_workgroup_id_y 0
		.amdhsa_system_sgpr_workgroup_id_z 0
		.amdhsa_system_sgpr_workgroup_info 0
		.amdhsa_system_vgpr_workitem_id 0
		.amdhsa_next_free_vgpr 1
		.amdhsa_next_free_sgpr 0
		.amdhsa_accum_offset 4
		.amdhsa_reserve_vcc 0
		.amdhsa_reserve_flat_scratch 0
		.amdhsa_float_round_mode_32 0
		.amdhsa_float_round_mode_16_64 0
		.amdhsa_float_denorm_mode_32 3
		.amdhsa_float_denorm_mode_16_64 3
		.amdhsa_dx10_clamp 1
		.amdhsa_ieee_mode 1
		.amdhsa_fp16_overflow 0
		.amdhsa_tg_split 0
		.amdhsa_exception_fp_ieee_invalid_op 0
		.amdhsa_exception_fp_denorm_src 0
		.amdhsa_exception_fp_ieee_div_zero 0
		.amdhsa_exception_fp_ieee_overflow 0
		.amdhsa_exception_fp_ieee_underflow 0
		.amdhsa_exception_fp_ieee_inexact 0
		.amdhsa_exception_int_div_zero 0
	.end_amdhsa_kernel
	.section	.text._ZN7rocprim17ROCPRIM_400000_NS6detail17trampoline_kernelINS0_13select_configILj256ELj13ELNS0_17block_load_methodE3ELS4_3ELS4_3ELNS0_20block_scan_algorithmE0ELj4294967295EEENS1_25partition_config_selectorILNS1_17partition_subalgoE3EjNS0_10empty_typeEbEEZZNS1_14partition_implILS8_3ELb0ES6_jNS0_17counting_iteratorIjlEEPS9_SE_NS0_5tupleIJPjSE_EEENSF_IJSE_SE_EEES9_SG_JZNS1_25segmented_radix_sort_implINS0_14default_configELb0EPKaPaPKlPlN2at6native12_GLOBAL__N_18offset_tEEE10hipError_tPvRmT1_PNSt15iterator_traitsISY_E10value_typeET2_T3_PNSZ_IS14_E10value_typeET4_jRbjT5_S1A_jjP12ihipStream_tbEUljE_EEESV_SW_SX_S14_S18_S1A_T6_T7_T9_mT8_S1C_bDpT10_ENKUlT_T0_E_clISt17integral_constantIbLb0EES1P_EEDaS1K_S1L_EUlS1K_E_NS1_11comp_targetILNS1_3genE2ELNS1_11target_archE906ELNS1_3gpuE6ELNS1_3repE0EEENS1_30default_config_static_selectorELNS0_4arch9wavefront6targetE1EEEvSY_,"axG",@progbits,_ZN7rocprim17ROCPRIM_400000_NS6detail17trampoline_kernelINS0_13select_configILj256ELj13ELNS0_17block_load_methodE3ELS4_3ELS4_3ELNS0_20block_scan_algorithmE0ELj4294967295EEENS1_25partition_config_selectorILNS1_17partition_subalgoE3EjNS0_10empty_typeEbEEZZNS1_14partition_implILS8_3ELb0ES6_jNS0_17counting_iteratorIjlEEPS9_SE_NS0_5tupleIJPjSE_EEENSF_IJSE_SE_EEES9_SG_JZNS1_25segmented_radix_sort_implINS0_14default_configELb0EPKaPaPKlPlN2at6native12_GLOBAL__N_18offset_tEEE10hipError_tPvRmT1_PNSt15iterator_traitsISY_E10value_typeET2_T3_PNSZ_IS14_E10value_typeET4_jRbjT5_S1A_jjP12ihipStream_tbEUljE_EEESV_SW_SX_S14_S18_S1A_T6_T7_T9_mT8_S1C_bDpT10_ENKUlT_T0_E_clISt17integral_constantIbLb0EES1P_EEDaS1K_S1L_EUlS1K_E_NS1_11comp_targetILNS1_3genE2ELNS1_11target_archE906ELNS1_3gpuE6ELNS1_3repE0EEENS1_30default_config_static_selectorELNS0_4arch9wavefront6targetE1EEEvSY_,comdat
.Lfunc_end365:
	.size	_ZN7rocprim17ROCPRIM_400000_NS6detail17trampoline_kernelINS0_13select_configILj256ELj13ELNS0_17block_load_methodE3ELS4_3ELS4_3ELNS0_20block_scan_algorithmE0ELj4294967295EEENS1_25partition_config_selectorILNS1_17partition_subalgoE3EjNS0_10empty_typeEbEEZZNS1_14partition_implILS8_3ELb0ES6_jNS0_17counting_iteratorIjlEEPS9_SE_NS0_5tupleIJPjSE_EEENSF_IJSE_SE_EEES9_SG_JZNS1_25segmented_radix_sort_implINS0_14default_configELb0EPKaPaPKlPlN2at6native12_GLOBAL__N_18offset_tEEE10hipError_tPvRmT1_PNSt15iterator_traitsISY_E10value_typeET2_T3_PNSZ_IS14_E10value_typeET4_jRbjT5_S1A_jjP12ihipStream_tbEUljE_EEESV_SW_SX_S14_S18_S1A_T6_T7_T9_mT8_S1C_bDpT10_ENKUlT_T0_E_clISt17integral_constantIbLb0EES1P_EEDaS1K_S1L_EUlS1K_E_NS1_11comp_targetILNS1_3genE2ELNS1_11target_archE906ELNS1_3gpuE6ELNS1_3repE0EEENS1_30default_config_static_selectorELNS0_4arch9wavefront6targetE1EEEvSY_, .Lfunc_end365-_ZN7rocprim17ROCPRIM_400000_NS6detail17trampoline_kernelINS0_13select_configILj256ELj13ELNS0_17block_load_methodE3ELS4_3ELS4_3ELNS0_20block_scan_algorithmE0ELj4294967295EEENS1_25partition_config_selectorILNS1_17partition_subalgoE3EjNS0_10empty_typeEbEEZZNS1_14partition_implILS8_3ELb0ES6_jNS0_17counting_iteratorIjlEEPS9_SE_NS0_5tupleIJPjSE_EEENSF_IJSE_SE_EEES9_SG_JZNS1_25segmented_radix_sort_implINS0_14default_configELb0EPKaPaPKlPlN2at6native12_GLOBAL__N_18offset_tEEE10hipError_tPvRmT1_PNSt15iterator_traitsISY_E10value_typeET2_T3_PNSZ_IS14_E10value_typeET4_jRbjT5_S1A_jjP12ihipStream_tbEUljE_EEESV_SW_SX_S14_S18_S1A_T6_T7_T9_mT8_S1C_bDpT10_ENKUlT_T0_E_clISt17integral_constantIbLb0EES1P_EEDaS1K_S1L_EUlS1K_E_NS1_11comp_targetILNS1_3genE2ELNS1_11target_archE906ELNS1_3gpuE6ELNS1_3repE0EEENS1_30default_config_static_selectorELNS0_4arch9wavefront6targetE1EEEvSY_
                                        ; -- End function
	.section	.AMDGPU.csdata,"",@progbits
; Kernel info:
; codeLenInByte = 0
; NumSgprs: 4
; NumVgprs: 0
; NumAgprs: 0
; TotalNumVgprs: 0
; ScratchSize: 0
; MemoryBound: 0
; FloatMode: 240
; IeeeMode: 1
; LDSByteSize: 0 bytes/workgroup (compile time only)
; SGPRBlocks: 0
; VGPRBlocks: 0
; NumSGPRsForWavesPerEU: 4
; NumVGPRsForWavesPerEU: 1
; AccumOffset: 4
; Occupancy: 8
; WaveLimiterHint : 0
; COMPUTE_PGM_RSRC2:SCRATCH_EN: 0
; COMPUTE_PGM_RSRC2:USER_SGPR: 6
; COMPUTE_PGM_RSRC2:TRAP_HANDLER: 0
; COMPUTE_PGM_RSRC2:TGID_X_EN: 1
; COMPUTE_PGM_RSRC2:TGID_Y_EN: 0
; COMPUTE_PGM_RSRC2:TGID_Z_EN: 0
; COMPUTE_PGM_RSRC2:TIDIG_COMP_CNT: 0
; COMPUTE_PGM_RSRC3_GFX90A:ACCUM_OFFSET: 0
; COMPUTE_PGM_RSRC3_GFX90A:TG_SPLIT: 0
	.section	.text._ZN7rocprim17ROCPRIM_400000_NS6detail17trampoline_kernelINS0_13select_configILj256ELj13ELNS0_17block_load_methodE3ELS4_3ELS4_3ELNS0_20block_scan_algorithmE0ELj4294967295EEENS1_25partition_config_selectorILNS1_17partition_subalgoE3EjNS0_10empty_typeEbEEZZNS1_14partition_implILS8_3ELb0ES6_jNS0_17counting_iteratorIjlEEPS9_SE_NS0_5tupleIJPjSE_EEENSF_IJSE_SE_EEES9_SG_JZNS1_25segmented_radix_sort_implINS0_14default_configELb0EPKaPaPKlPlN2at6native12_GLOBAL__N_18offset_tEEE10hipError_tPvRmT1_PNSt15iterator_traitsISY_E10value_typeET2_T3_PNSZ_IS14_E10value_typeET4_jRbjT5_S1A_jjP12ihipStream_tbEUljE_EEESV_SW_SX_S14_S18_S1A_T6_T7_T9_mT8_S1C_bDpT10_ENKUlT_T0_E_clISt17integral_constantIbLb0EES1P_EEDaS1K_S1L_EUlS1K_E_NS1_11comp_targetILNS1_3genE10ELNS1_11target_archE1200ELNS1_3gpuE4ELNS1_3repE0EEENS1_30default_config_static_selectorELNS0_4arch9wavefront6targetE1EEEvSY_,"axG",@progbits,_ZN7rocprim17ROCPRIM_400000_NS6detail17trampoline_kernelINS0_13select_configILj256ELj13ELNS0_17block_load_methodE3ELS4_3ELS4_3ELNS0_20block_scan_algorithmE0ELj4294967295EEENS1_25partition_config_selectorILNS1_17partition_subalgoE3EjNS0_10empty_typeEbEEZZNS1_14partition_implILS8_3ELb0ES6_jNS0_17counting_iteratorIjlEEPS9_SE_NS0_5tupleIJPjSE_EEENSF_IJSE_SE_EEES9_SG_JZNS1_25segmented_radix_sort_implINS0_14default_configELb0EPKaPaPKlPlN2at6native12_GLOBAL__N_18offset_tEEE10hipError_tPvRmT1_PNSt15iterator_traitsISY_E10value_typeET2_T3_PNSZ_IS14_E10value_typeET4_jRbjT5_S1A_jjP12ihipStream_tbEUljE_EEESV_SW_SX_S14_S18_S1A_T6_T7_T9_mT8_S1C_bDpT10_ENKUlT_T0_E_clISt17integral_constantIbLb0EES1P_EEDaS1K_S1L_EUlS1K_E_NS1_11comp_targetILNS1_3genE10ELNS1_11target_archE1200ELNS1_3gpuE4ELNS1_3repE0EEENS1_30default_config_static_selectorELNS0_4arch9wavefront6targetE1EEEvSY_,comdat
	.globl	_ZN7rocprim17ROCPRIM_400000_NS6detail17trampoline_kernelINS0_13select_configILj256ELj13ELNS0_17block_load_methodE3ELS4_3ELS4_3ELNS0_20block_scan_algorithmE0ELj4294967295EEENS1_25partition_config_selectorILNS1_17partition_subalgoE3EjNS0_10empty_typeEbEEZZNS1_14partition_implILS8_3ELb0ES6_jNS0_17counting_iteratorIjlEEPS9_SE_NS0_5tupleIJPjSE_EEENSF_IJSE_SE_EEES9_SG_JZNS1_25segmented_radix_sort_implINS0_14default_configELb0EPKaPaPKlPlN2at6native12_GLOBAL__N_18offset_tEEE10hipError_tPvRmT1_PNSt15iterator_traitsISY_E10value_typeET2_T3_PNSZ_IS14_E10value_typeET4_jRbjT5_S1A_jjP12ihipStream_tbEUljE_EEESV_SW_SX_S14_S18_S1A_T6_T7_T9_mT8_S1C_bDpT10_ENKUlT_T0_E_clISt17integral_constantIbLb0EES1P_EEDaS1K_S1L_EUlS1K_E_NS1_11comp_targetILNS1_3genE10ELNS1_11target_archE1200ELNS1_3gpuE4ELNS1_3repE0EEENS1_30default_config_static_selectorELNS0_4arch9wavefront6targetE1EEEvSY_ ; -- Begin function _ZN7rocprim17ROCPRIM_400000_NS6detail17trampoline_kernelINS0_13select_configILj256ELj13ELNS0_17block_load_methodE3ELS4_3ELS4_3ELNS0_20block_scan_algorithmE0ELj4294967295EEENS1_25partition_config_selectorILNS1_17partition_subalgoE3EjNS0_10empty_typeEbEEZZNS1_14partition_implILS8_3ELb0ES6_jNS0_17counting_iteratorIjlEEPS9_SE_NS0_5tupleIJPjSE_EEENSF_IJSE_SE_EEES9_SG_JZNS1_25segmented_radix_sort_implINS0_14default_configELb0EPKaPaPKlPlN2at6native12_GLOBAL__N_18offset_tEEE10hipError_tPvRmT1_PNSt15iterator_traitsISY_E10value_typeET2_T3_PNSZ_IS14_E10value_typeET4_jRbjT5_S1A_jjP12ihipStream_tbEUljE_EEESV_SW_SX_S14_S18_S1A_T6_T7_T9_mT8_S1C_bDpT10_ENKUlT_T0_E_clISt17integral_constantIbLb0EES1P_EEDaS1K_S1L_EUlS1K_E_NS1_11comp_targetILNS1_3genE10ELNS1_11target_archE1200ELNS1_3gpuE4ELNS1_3repE0EEENS1_30default_config_static_selectorELNS0_4arch9wavefront6targetE1EEEvSY_
	.p2align	8
	.type	_ZN7rocprim17ROCPRIM_400000_NS6detail17trampoline_kernelINS0_13select_configILj256ELj13ELNS0_17block_load_methodE3ELS4_3ELS4_3ELNS0_20block_scan_algorithmE0ELj4294967295EEENS1_25partition_config_selectorILNS1_17partition_subalgoE3EjNS0_10empty_typeEbEEZZNS1_14partition_implILS8_3ELb0ES6_jNS0_17counting_iteratorIjlEEPS9_SE_NS0_5tupleIJPjSE_EEENSF_IJSE_SE_EEES9_SG_JZNS1_25segmented_radix_sort_implINS0_14default_configELb0EPKaPaPKlPlN2at6native12_GLOBAL__N_18offset_tEEE10hipError_tPvRmT1_PNSt15iterator_traitsISY_E10value_typeET2_T3_PNSZ_IS14_E10value_typeET4_jRbjT5_S1A_jjP12ihipStream_tbEUljE_EEESV_SW_SX_S14_S18_S1A_T6_T7_T9_mT8_S1C_bDpT10_ENKUlT_T0_E_clISt17integral_constantIbLb0EES1P_EEDaS1K_S1L_EUlS1K_E_NS1_11comp_targetILNS1_3genE10ELNS1_11target_archE1200ELNS1_3gpuE4ELNS1_3repE0EEENS1_30default_config_static_selectorELNS0_4arch9wavefront6targetE1EEEvSY_,@function
_ZN7rocprim17ROCPRIM_400000_NS6detail17trampoline_kernelINS0_13select_configILj256ELj13ELNS0_17block_load_methodE3ELS4_3ELS4_3ELNS0_20block_scan_algorithmE0ELj4294967295EEENS1_25partition_config_selectorILNS1_17partition_subalgoE3EjNS0_10empty_typeEbEEZZNS1_14partition_implILS8_3ELb0ES6_jNS0_17counting_iteratorIjlEEPS9_SE_NS0_5tupleIJPjSE_EEENSF_IJSE_SE_EEES9_SG_JZNS1_25segmented_radix_sort_implINS0_14default_configELb0EPKaPaPKlPlN2at6native12_GLOBAL__N_18offset_tEEE10hipError_tPvRmT1_PNSt15iterator_traitsISY_E10value_typeET2_T3_PNSZ_IS14_E10value_typeET4_jRbjT5_S1A_jjP12ihipStream_tbEUljE_EEESV_SW_SX_S14_S18_S1A_T6_T7_T9_mT8_S1C_bDpT10_ENKUlT_T0_E_clISt17integral_constantIbLb0EES1P_EEDaS1K_S1L_EUlS1K_E_NS1_11comp_targetILNS1_3genE10ELNS1_11target_archE1200ELNS1_3gpuE4ELNS1_3repE0EEENS1_30default_config_static_selectorELNS0_4arch9wavefront6targetE1EEEvSY_: ; @_ZN7rocprim17ROCPRIM_400000_NS6detail17trampoline_kernelINS0_13select_configILj256ELj13ELNS0_17block_load_methodE3ELS4_3ELS4_3ELNS0_20block_scan_algorithmE0ELj4294967295EEENS1_25partition_config_selectorILNS1_17partition_subalgoE3EjNS0_10empty_typeEbEEZZNS1_14partition_implILS8_3ELb0ES6_jNS0_17counting_iteratorIjlEEPS9_SE_NS0_5tupleIJPjSE_EEENSF_IJSE_SE_EEES9_SG_JZNS1_25segmented_radix_sort_implINS0_14default_configELb0EPKaPaPKlPlN2at6native12_GLOBAL__N_18offset_tEEE10hipError_tPvRmT1_PNSt15iterator_traitsISY_E10value_typeET2_T3_PNSZ_IS14_E10value_typeET4_jRbjT5_S1A_jjP12ihipStream_tbEUljE_EEESV_SW_SX_S14_S18_S1A_T6_T7_T9_mT8_S1C_bDpT10_ENKUlT_T0_E_clISt17integral_constantIbLb0EES1P_EEDaS1K_S1L_EUlS1K_E_NS1_11comp_targetILNS1_3genE10ELNS1_11target_archE1200ELNS1_3gpuE4ELNS1_3repE0EEENS1_30default_config_static_selectorELNS0_4arch9wavefront6targetE1EEEvSY_
; %bb.0:
	.section	.rodata,"a",@progbits
	.p2align	6, 0x0
	.amdhsa_kernel _ZN7rocprim17ROCPRIM_400000_NS6detail17trampoline_kernelINS0_13select_configILj256ELj13ELNS0_17block_load_methodE3ELS4_3ELS4_3ELNS0_20block_scan_algorithmE0ELj4294967295EEENS1_25partition_config_selectorILNS1_17partition_subalgoE3EjNS0_10empty_typeEbEEZZNS1_14partition_implILS8_3ELb0ES6_jNS0_17counting_iteratorIjlEEPS9_SE_NS0_5tupleIJPjSE_EEENSF_IJSE_SE_EEES9_SG_JZNS1_25segmented_radix_sort_implINS0_14default_configELb0EPKaPaPKlPlN2at6native12_GLOBAL__N_18offset_tEEE10hipError_tPvRmT1_PNSt15iterator_traitsISY_E10value_typeET2_T3_PNSZ_IS14_E10value_typeET4_jRbjT5_S1A_jjP12ihipStream_tbEUljE_EEESV_SW_SX_S14_S18_S1A_T6_T7_T9_mT8_S1C_bDpT10_ENKUlT_T0_E_clISt17integral_constantIbLb0EES1P_EEDaS1K_S1L_EUlS1K_E_NS1_11comp_targetILNS1_3genE10ELNS1_11target_archE1200ELNS1_3gpuE4ELNS1_3repE0EEENS1_30default_config_static_selectorELNS0_4arch9wavefront6targetE1EEEvSY_
		.amdhsa_group_segment_fixed_size 0
		.amdhsa_private_segment_fixed_size 0
		.amdhsa_kernarg_size 144
		.amdhsa_user_sgpr_count 6
		.amdhsa_user_sgpr_private_segment_buffer 1
		.amdhsa_user_sgpr_dispatch_ptr 0
		.amdhsa_user_sgpr_queue_ptr 0
		.amdhsa_user_sgpr_kernarg_segment_ptr 1
		.amdhsa_user_sgpr_dispatch_id 0
		.amdhsa_user_sgpr_flat_scratch_init 0
		.amdhsa_user_sgpr_kernarg_preload_length 0
		.amdhsa_user_sgpr_kernarg_preload_offset 0
		.amdhsa_user_sgpr_private_segment_size 0
		.amdhsa_uses_dynamic_stack 0
		.amdhsa_system_sgpr_private_segment_wavefront_offset 0
		.amdhsa_system_sgpr_workgroup_id_x 1
		.amdhsa_system_sgpr_workgroup_id_y 0
		.amdhsa_system_sgpr_workgroup_id_z 0
		.amdhsa_system_sgpr_workgroup_info 0
		.amdhsa_system_vgpr_workitem_id 0
		.amdhsa_next_free_vgpr 1
		.amdhsa_next_free_sgpr 0
		.amdhsa_accum_offset 4
		.amdhsa_reserve_vcc 0
		.amdhsa_reserve_flat_scratch 0
		.amdhsa_float_round_mode_32 0
		.amdhsa_float_round_mode_16_64 0
		.amdhsa_float_denorm_mode_32 3
		.amdhsa_float_denorm_mode_16_64 3
		.amdhsa_dx10_clamp 1
		.amdhsa_ieee_mode 1
		.amdhsa_fp16_overflow 0
		.amdhsa_tg_split 0
		.amdhsa_exception_fp_ieee_invalid_op 0
		.amdhsa_exception_fp_denorm_src 0
		.amdhsa_exception_fp_ieee_div_zero 0
		.amdhsa_exception_fp_ieee_overflow 0
		.amdhsa_exception_fp_ieee_underflow 0
		.amdhsa_exception_fp_ieee_inexact 0
		.amdhsa_exception_int_div_zero 0
	.end_amdhsa_kernel
	.section	.text._ZN7rocprim17ROCPRIM_400000_NS6detail17trampoline_kernelINS0_13select_configILj256ELj13ELNS0_17block_load_methodE3ELS4_3ELS4_3ELNS0_20block_scan_algorithmE0ELj4294967295EEENS1_25partition_config_selectorILNS1_17partition_subalgoE3EjNS0_10empty_typeEbEEZZNS1_14partition_implILS8_3ELb0ES6_jNS0_17counting_iteratorIjlEEPS9_SE_NS0_5tupleIJPjSE_EEENSF_IJSE_SE_EEES9_SG_JZNS1_25segmented_radix_sort_implINS0_14default_configELb0EPKaPaPKlPlN2at6native12_GLOBAL__N_18offset_tEEE10hipError_tPvRmT1_PNSt15iterator_traitsISY_E10value_typeET2_T3_PNSZ_IS14_E10value_typeET4_jRbjT5_S1A_jjP12ihipStream_tbEUljE_EEESV_SW_SX_S14_S18_S1A_T6_T7_T9_mT8_S1C_bDpT10_ENKUlT_T0_E_clISt17integral_constantIbLb0EES1P_EEDaS1K_S1L_EUlS1K_E_NS1_11comp_targetILNS1_3genE10ELNS1_11target_archE1200ELNS1_3gpuE4ELNS1_3repE0EEENS1_30default_config_static_selectorELNS0_4arch9wavefront6targetE1EEEvSY_,"axG",@progbits,_ZN7rocprim17ROCPRIM_400000_NS6detail17trampoline_kernelINS0_13select_configILj256ELj13ELNS0_17block_load_methodE3ELS4_3ELS4_3ELNS0_20block_scan_algorithmE0ELj4294967295EEENS1_25partition_config_selectorILNS1_17partition_subalgoE3EjNS0_10empty_typeEbEEZZNS1_14partition_implILS8_3ELb0ES6_jNS0_17counting_iteratorIjlEEPS9_SE_NS0_5tupleIJPjSE_EEENSF_IJSE_SE_EEES9_SG_JZNS1_25segmented_radix_sort_implINS0_14default_configELb0EPKaPaPKlPlN2at6native12_GLOBAL__N_18offset_tEEE10hipError_tPvRmT1_PNSt15iterator_traitsISY_E10value_typeET2_T3_PNSZ_IS14_E10value_typeET4_jRbjT5_S1A_jjP12ihipStream_tbEUljE_EEESV_SW_SX_S14_S18_S1A_T6_T7_T9_mT8_S1C_bDpT10_ENKUlT_T0_E_clISt17integral_constantIbLb0EES1P_EEDaS1K_S1L_EUlS1K_E_NS1_11comp_targetILNS1_3genE10ELNS1_11target_archE1200ELNS1_3gpuE4ELNS1_3repE0EEENS1_30default_config_static_selectorELNS0_4arch9wavefront6targetE1EEEvSY_,comdat
.Lfunc_end366:
	.size	_ZN7rocprim17ROCPRIM_400000_NS6detail17trampoline_kernelINS0_13select_configILj256ELj13ELNS0_17block_load_methodE3ELS4_3ELS4_3ELNS0_20block_scan_algorithmE0ELj4294967295EEENS1_25partition_config_selectorILNS1_17partition_subalgoE3EjNS0_10empty_typeEbEEZZNS1_14partition_implILS8_3ELb0ES6_jNS0_17counting_iteratorIjlEEPS9_SE_NS0_5tupleIJPjSE_EEENSF_IJSE_SE_EEES9_SG_JZNS1_25segmented_radix_sort_implINS0_14default_configELb0EPKaPaPKlPlN2at6native12_GLOBAL__N_18offset_tEEE10hipError_tPvRmT1_PNSt15iterator_traitsISY_E10value_typeET2_T3_PNSZ_IS14_E10value_typeET4_jRbjT5_S1A_jjP12ihipStream_tbEUljE_EEESV_SW_SX_S14_S18_S1A_T6_T7_T9_mT8_S1C_bDpT10_ENKUlT_T0_E_clISt17integral_constantIbLb0EES1P_EEDaS1K_S1L_EUlS1K_E_NS1_11comp_targetILNS1_3genE10ELNS1_11target_archE1200ELNS1_3gpuE4ELNS1_3repE0EEENS1_30default_config_static_selectorELNS0_4arch9wavefront6targetE1EEEvSY_, .Lfunc_end366-_ZN7rocprim17ROCPRIM_400000_NS6detail17trampoline_kernelINS0_13select_configILj256ELj13ELNS0_17block_load_methodE3ELS4_3ELS4_3ELNS0_20block_scan_algorithmE0ELj4294967295EEENS1_25partition_config_selectorILNS1_17partition_subalgoE3EjNS0_10empty_typeEbEEZZNS1_14partition_implILS8_3ELb0ES6_jNS0_17counting_iteratorIjlEEPS9_SE_NS0_5tupleIJPjSE_EEENSF_IJSE_SE_EEES9_SG_JZNS1_25segmented_radix_sort_implINS0_14default_configELb0EPKaPaPKlPlN2at6native12_GLOBAL__N_18offset_tEEE10hipError_tPvRmT1_PNSt15iterator_traitsISY_E10value_typeET2_T3_PNSZ_IS14_E10value_typeET4_jRbjT5_S1A_jjP12ihipStream_tbEUljE_EEESV_SW_SX_S14_S18_S1A_T6_T7_T9_mT8_S1C_bDpT10_ENKUlT_T0_E_clISt17integral_constantIbLb0EES1P_EEDaS1K_S1L_EUlS1K_E_NS1_11comp_targetILNS1_3genE10ELNS1_11target_archE1200ELNS1_3gpuE4ELNS1_3repE0EEENS1_30default_config_static_selectorELNS0_4arch9wavefront6targetE1EEEvSY_
                                        ; -- End function
	.section	.AMDGPU.csdata,"",@progbits
; Kernel info:
; codeLenInByte = 0
; NumSgprs: 4
; NumVgprs: 0
; NumAgprs: 0
; TotalNumVgprs: 0
; ScratchSize: 0
; MemoryBound: 0
; FloatMode: 240
; IeeeMode: 1
; LDSByteSize: 0 bytes/workgroup (compile time only)
; SGPRBlocks: 0
; VGPRBlocks: 0
; NumSGPRsForWavesPerEU: 4
; NumVGPRsForWavesPerEU: 1
; AccumOffset: 4
; Occupancy: 8
; WaveLimiterHint : 0
; COMPUTE_PGM_RSRC2:SCRATCH_EN: 0
; COMPUTE_PGM_RSRC2:USER_SGPR: 6
; COMPUTE_PGM_RSRC2:TRAP_HANDLER: 0
; COMPUTE_PGM_RSRC2:TGID_X_EN: 1
; COMPUTE_PGM_RSRC2:TGID_Y_EN: 0
; COMPUTE_PGM_RSRC2:TGID_Z_EN: 0
; COMPUTE_PGM_RSRC2:TIDIG_COMP_CNT: 0
; COMPUTE_PGM_RSRC3_GFX90A:ACCUM_OFFSET: 0
; COMPUTE_PGM_RSRC3_GFX90A:TG_SPLIT: 0
	.section	.text._ZN7rocprim17ROCPRIM_400000_NS6detail17trampoline_kernelINS0_13select_configILj256ELj13ELNS0_17block_load_methodE3ELS4_3ELS4_3ELNS0_20block_scan_algorithmE0ELj4294967295EEENS1_25partition_config_selectorILNS1_17partition_subalgoE3EjNS0_10empty_typeEbEEZZNS1_14partition_implILS8_3ELb0ES6_jNS0_17counting_iteratorIjlEEPS9_SE_NS0_5tupleIJPjSE_EEENSF_IJSE_SE_EEES9_SG_JZNS1_25segmented_radix_sort_implINS0_14default_configELb0EPKaPaPKlPlN2at6native12_GLOBAL__N_18offset_tEEE10hipError_tPvRmT1_PNSt15iterator_traitsISY_E10value_typeET2_T3_PNSZ_IS14_E10value_typeET4_jRbjT5_S1A_jjP12ihipStream_tbEUljE_EEESV_SW_SX_S14_S18_S1A_T6_T7_T9_mT8_S1C_bDpT10_ENKUlT_T0_E_clISt17integral_constantIbLb0EES1P_EEDaS1K_S1L_EUlS1K_E_NS1_11comp_targetILNS1_3genE9ELNS1_11target_archE1100ELNS1_3gpuE3ELNS1_3repE0EEENS1_30default_config_static_selectorELNS0_4arch9wavefront6targetE1EEEvSY_,"axG",@progbits,_ZN7rocprim17ROCPRIM_400000_NS6detail17trampoline_kernelINS0_13select_configILj256ELj13ELNS0_17block_load_methodE3ELS4_3ELS4_3ELNS0_20block_scan_algorithmE0ELj4294967295EEENS1_25partition_config_selectorILNS1_17partition_subalgoE3EjNS0_10empty_typeEbEEZZNS1_14partition_implILS8_3ELb0ES6_jNS0_17counting_iteratorIjlEEPS9_SE_NS0_5tupleIJPjSE_EEENSF_IJSE_SE_EEES9_SG_JZNS1_25segmented_radix_sort_implINS0_14default_configELb0EPKaPaPKlPlN2at6native12_GLOBAL__N_18offset_tEEE10hipError_tPvRmT1_PNSt15iterator_traitsISY_E10value_typeET2_T3_PNSZ_IS14_E10value_typeET4_jRbjT5_S1A_jjP12ihipStream_tbEUljE_EEESV_SW_SX_S14_S18_S1A_T6_T7_T9_mT8_S1C_bDpT10_ENKUlT_T0_E_clISt17integral_constantIbLb0EES1P_EEDaS1K_S1L_EUlS1K_E_NS1_11comp_targetILNS1_3genE9ELNS1_11target_archE1100ELNS1_3gpuE3ELNS1_3repE0EEENS1_30default_config_static_selectorELNS0_4arch9wavefront6targetE1EEEvSY_,comdat
	.globl	_ZN7rocprim17ROCPRIM_400000_NS6detail17trampoline_kernelINS0_13select_configILj256ELj13ELNS0_17block_load_methodE3ELS4_3ELS4_3ELNS0_20block_scan_algorithmE0ELj4294967295EEENS1_25partition_config_selectorILNS1_17partition_subalgoE3EjNS0_10empty_typeEbEEZZNS1_14partition_implILS8_3ELb0ES6_jNS0_17counting_iteratorIjlEEPS9_SE_NS0_5tupleIJPjSE_EEENSF_IJSE_SE_EEES9_SG_JZNS1_25segmented_radix_sort_implINS0_14default_configELb0EPKaPaPKlPlN2at6native12_GLOBAL__N_18offset_tEEE10hipError_tPvRmT1_PNSt15iterator_traitsISY_E10value_typeET2_T3_PNSZ_IS14_E10value_typeET4_jRbjT5_S1A_jjP12ihipStream_tbEUljE_EEESV_SW_SX_S14_S18_S1A_T6_T7_T9_mT8_S1C_bDpT10_ENKUlT_T0_E_clISt17integral_constantIbLb0EES1P_EEDaS1K_S1L_EUlS1K_E_NS1_11comp_targetILNS1_3genE9ELNS1_11target_archE1100ELNS1_3gpuE3ELNS1_3repE0EEENS1_30default_config_static_selectorELNS0_4arch9wavefront6targetE1EEEvSY_ ; -- Begin function _ZN7rocprim17ROCPRIM_400000_NS6detail17trampoline_kernelINS0_13select_configILj256ELj13ELNS0_17block_load_methodE3ELS4_3ELS4_3ELNS0_20block_scan_algorithmE0ELj4294967295EEENS1_25partition_config_selectorILNS1_17partition_subalgoE3EjNS0_10empty_typeEbEEZZNS1_14partition_implILS8_3ELb0ES6_jNS0_17counting_iteratorIjlEEPS9_SE_NS0_5tupleIJPjSE_EEENSF_IJSE_SE_EEES9_SG_JZNS1_25segmented_radix_sort_implINS0_14default_configELb0EPKaPaPKlPlN2at6native12_GLOBAL__N_18offset_tEEE10hipError_tPvRmT1_PNSt15iterator_traitsISY_E10value_typeET2_T3_PNSZ_IS14_E10value_typeET4_jRbjT5_S1A_jjP12ihipStream_tbEUljE_EEESV_SW_SX_S14_S18_S1A_T6_T7_T9_mT8_S1C_bDpT10_ENKUlT_T0_E_clISt17integral_constantIbLb0EES1P_EEDaS1K_S1L_EUlS1K_E_NS1_11comp_targetILNS1_3genE9ELNS1_11target_archE1100ELNS1_3gpuE3ELNS1_3repE0EEENS1_30default_config_static_selectorELNS0_4arch9wavefront6targetE1EEEvSY_
	.p2align	8
	.type	_ZN7rocprim17ROCPRIM_400000_NS6detail17trampoline_kernelINS0_13select_configILj256ELj13ELNS0_17block_load_methodE3ELS4_3ELS4_3ELNS0_20block_scan_algorithmE0ELj4294967295EEENS1_25partition_config_selectorILNS1_17partition_subalgoE3EjNS0_10empty_typeEbEEZZNS1_14partition_implILS8_3ELb0ES6_jNS0_17counting_iteratorIjlEEPS9_SE_NS0_5tupleIJPjSE_EEENSF_IJSE_SE_EEES9_SG_JZNS1_25segmented_radix_sort_implINS0_14default_configELb0EPKaPaPKlPlN2at6native12_GLOBAL__N_18offset_tEEE10hipError_tPvRmT1_PNSt15iterator_traitsISY_E10value_typeET2_T3_PNSZ_IS14_E10value_typeET4_jRbjT5_S1A_jjP12ihipStream_tbEUljE_EEESV_SW_SX_S14_S18_S1A_T6_T7_T9_mT8_S1C_bDpT10_ENKUlT_T0_E_clISt17integral_constantIbLb0EES1P_EEDaS1K_S1L_EUlS1K_E_NS1_11comp_targetILNS1_3genE9ELNS1_11target_archE1100ELNS1_3gpuE3ELNS1_3repE0EEENS1_30default_config_static_selectorELNS0_4arch9wavefront6targetE1EEEvSY_,@function
_ZN7rocprim17ROCPRIM_400000_NS6detail17trampoline_kernelINS0_13select_configILj256ELj13ELNS0_17block_load_methodE3ELS4_3ELS4_3ELNS0_20block_scan_algorithmE0ELj4294967295EEENS1_25partition_config_selectorILNS1_17partition_subalgoE3EjNS0_10empty_typeEbEEZZNS1_14partition_implILS8_3ELb0ES6_jNS0_17counting_iteratorIjlEEPS9_SE_NS0_5tupleIJPjSE_EEENSF_IJSE_SE_EEES9_SG_JZNS1_25segmented_radix_sort_implINS0_14default_configELb0EPKaPaPKlPlN2at6native12_GLOBAL__N_18offset_tEEE10hipError_tPvRmT1_PNSt15iterator_traitsISY_E10value_typeET2_T3_PNSZ_IS14_E10value_typeET4_jRbjT5_S1A_jjP12ihipStream_tbEUljE_EEESV_SW_SX_S14_S18_S1A_T6_T7_T9_mT8_S1C_bDpT10_ENKUlT_T0_E_clISt17integral_constantIbLb0EES1P_EEDaS1K_S1L_EUlS1K_E_NS1_11comp_targetILNS1_3genE9ELNS1_11target_archE1100ELNS1_3gpuE3ELNS1_3repE0EEENS1_30default_config_static_selectorELNS0_4arch9wavefront6targetE1EEEvSY_: ; @_ZN7rocprim17ROCPRIM_400000_NS6detail17trampoline_kernelINS0_13select_configILj256ELj13ELNS0_17block_load_methodE3ELS4_3ELS4_3ELNS0_20block_scan_algorithmE0ELj4294967295EEENS1_25partition_config_selectorILNS1_17partition_subalgoE3EjNS0_10empty_typeEbEEZZNS1_14partition_implILS8_3ELb0ES6_jNS0_17counting_iteratorIjlEEPS9_SE_NS0_5tupleIJPjSE_EEENSF_IJSE_SE_EEES9_SG_JZNS1_25segmented_radix_sort_implINS0_14default_configELb0EPKaPaPKlPlN2at6native12_GLOBAL__N_18offset_tEEE10hipError_tPvRmT1_PNSt15iterator_traitsISY_E10value_typeET2_T3_PNSZ_IS14_E10value_typeET4_jRbjT5_S1A_jjP12ihipStream_tbEUljE_EEESV_SW_SX_S14_S18_S1A_T6_T7_T9_mT8_S1C_bDpT10_ENKUlT_T0_E_clISt17integral_constantIbLb0EES1P_EEDaS1K_S1L_EUlS1K_E_NS1_11comp_targetILNS1_3genE9ELNS1_11target_archE1100ELNS1_3gpuE3ELNS1_3repE0EEENS1_30default_config_static_selectorELNS0_4arch9wavefront6targetE1EEEvSY_
; %bb.0:
	.section	.rodata,"a",@progbits
	.p2align	6, 0x0
	.amdhsa_kernel _ZN7rocprim17ROCPRIM_400000_NS6detail17trampoline_kernelINS0_13select_configILj256ELj13ELNS0_17block_load_methodE3ELS4_3ELS4_3ELNS0_20block_scan_algorithmE0ELj4294967295EEENS1_25partition_config_selectorILNS1_17partition_subalgoE3EjNS0_10empty_typeEbEEZZNS1_14partition_implILS8_3ELb0ES6_jNS0_17counting_iteratorIjlEEPS9_SE_NS0_5tupleIJPjSE_EEENSF_IJSE_SE_EEES9_SG_JZNS1_25segmented_radix_sort_implINS0_14default_configELb0EPKaPaPKlPlN2at6native12_GLOBAL__N_18offset_tEEE10hipError_tPvRmT1_PNSt15iterator_traitsISY_E10value_typeET2_T3_PNSZ_IS14_E10value_typeET4_jRbjT5_S1A_jjP12ihipStream_tbEUljE_EEESV_SW_SX_S14_S18_S1A_T6_T7_T9_mT8_S1C_bDpT10_ENKUlT_T0_E_clISt17integral_constantIbLb0EES1P_EEDaS1K_S1L_EUlS1K_E_NS1_11comp_targetILNS1_3genE9ELNS1_11target_archE1100ELNS1_3gpuE3ELNS1_3repE0EEENS1_30default_config_static_selectorELNS0_4arch9wavefront6targetE1EEEvSY_
		.amdhsa_group_segment_fixed_size 0
		.amdhsa_private_segment_fixed_size 0
		.amdhsa_kernarg_size 144
		.amdhsa_user_sgpr_count 6
		.amdhsa_user_sgpr_private_segment_buffer 1
		.amdhsa_user_sgpr_dispatch_ptr 0
		.amdhsa_user_sgpr_queue_ptr 0
		.amdhsa_user_sgpr_kernarg_segment_ptr 1
		.amdhsa_user_sgpr_dispatch_id 0
		.amdhsa_user_sgpr_flat_scratch_init 0
		.amdhsa_user_sgpr_kernarg_preload_length 0
		.amdhsa_user_sgpr_kernarg_preload_offset 0
		.amdhsa_user_sgpr_private_segment_size 0
		.amdhsa_uses_dynamic_stack 0
		.amdhsa_system_sgpr_private_segment_wavefront_offset 0
		.amdhsa_system_sgpr_workgroup_id_x 1
		.amdhsa_system_sgpr_workgroup_id_y 0
		.amdhsa_system_sgpr_workgroup_id_z 0
		.amdhsa_system_sgpr_workgroup_info 0
		.amdhsa_system_vgpr_workitem_id 0
		.amdhsa_next_free_vgpr 1
		.amdhsa_next_free_sgpr 0
		.amdhsa_accum_offset 4
		.amdhsa_reserve_vcc 0
		.amdhsa_reserve_flat_scratch 0
		.amdhsa_float_round_mode_32 0
		.amdhsa_float_round_mode_16_64 0
		.amdhsa_float_denorm_mode_32 3
		.amdhsa_float_denorm_mode_16_64 3
		.amdhsa_dx10_clamp 1
		.amdhsa_ieee_mode 1
		.amdhsa_fp16_overflow 0
		.amdhsa_tg_split 0
		.amdhsa_exception_fp_ieee_invalid_op 0
		.amdhsa_exception_fp_denorm_src 0
		.amdhsa_exception_fp_ieee_div_zero 0
		.amdhsa_exception_fp_ieee_overflow 0
		.amdhsa_exception_fp_ieee_underflow 0
		.amdhsa_exception_fp_ieee_inexact 0
		.amdhsa_exception_int_div_zero 0
	.end_amdhsa_kernel
	.section	.text._ZN7rocprim17ROCPRIM_400000_NS6detail17trampoline_kernelINS0_13select_configILj256ELj13ELNS0_17block_load_methodE3ELS4_3ELS4_3ELNS0_20block_scan_algorithmE0ELj4294967295EEENS1_25partition_config_selectorILNS1_17partition_subalgoE3EjNS0_10empty_typeEbEEZZNS1_14partition_implILS8_3ELb0ES6_jNS0_17counting_iteratorIjlEEPS9_SE_NS0_5tupleIJPjSE_EEENSF_IJSE_SE_EEES9_SG_JZNS1_25segmented_radix_sort_implINS0_14default_configELb0EPKaPaPKlPlN2at6native12_GLOBAL__N_18offset_tEEE10hipError_tPvRmT1_PNSt15iterator_traitsISY_E10value_typeET2_T3_PNSZ_IS14_E10value_typeET4_jRbjT5_S1A_jjP12ihipStream_tbEUljE_EEESV_SW_SX_S14_S18_S1A_T6_T7_T9_mT8_S1C_bDpT10_ENKUlT_T0_E_clISt17integral_constantIbLb0EES1P_EEDaS1K_S1L_EUlS1K_E_NS1_11comp_targetILNS1_3genE9ELNS1_11target_archE1100ELNS1_3gpuE3ELNS1_3repE0EEENS1_30default_config_static_selectorELNS0_4arch9wavefront6targetE1EEEvSY_,"axG",@progbits,_ZN7rocprim17ROCPRIM_400000_NS6detail17trampoline_kernelINS0_13select_configILj256ELj13ELNS0_17block_load_methodE3ELS4_3ELS4_3ELNS0_20block_scan_algorithmE0ELj4294967295EEENS1_25partition_config_selectorILNS1_17partition_subalgoE3EjNS0_10empty_typeEbEEZZNS1_14partition_implILS8_3ELb0ES6_jNS0_17counting_iteratorIjlEEPS9_SE_NS0_5tupleIJPjSE_EEENSF_IJSE_SE_EEES9_SG_JZNS1_25segmented_radix_sort_implINS0_14default_configELb0EPKaPaPKlPlN2at6native12_GLOBAL__N_18offset_tEEE10hipError_tPvRmT1_PNSt15iterator_traitsISY_E10value_typeET2_T3_PNSZ_IS14_E10value_typeET4_jRbjT5_S1A_jjP12ihipStream_tbEUljE_EEESV_SW_SX_S14_S18_S1A_T6_T7_T9_mT8_S1C_bDpT10_ENKUlT_T0_E_clISt17integral_constantIbLb0EES1P_EEDaS1K_S1L_EUlS1K_E_NS1_11comp_targetILNS1_3genE9ELNS1_11target_archE1100ELNS1_3gpuE3ELNS1_3repE0EEENS1_30default_config_static_selectorELNS0_4arch9wavefront6targetE1EEEvSY_,comdat
.Lfunc_end367:
	.size	_ZN7rocprim17ROCPRIM_400000_NS6detail17trampoline_kernelINS0_13select_configILj256ELj13ELNS0_17block_load_methodE3ELS4_3ELS4_3ELNS0_20block_scan_algorithmE0ELj4294967295EEENS1_25partition_config_selectorILNS1_17partition_subalgoE3EjNS0_10empty_typeEbEEZZNS1_14partition_implILS8_3ELb0ES6_jNS0_17counting_iteratorIjlEEPS9_SE_NS0_5tupleIJPjSE_EEENSF_IJSE_SE_EEES9_SG_JZNS1_25segmented_radix_sort_implINS0_14default_configELb0EPKaPaPKlPlN2at6native12_GLOBAL__N_18offset_tEEE10hipError_tPvRmT1_PNSt15iterator_traitsISY_E10value_typeET2_T3_PNSZ_IS14_E10value_typeET4_jRbjT5_S1A_jjP12ihipStream_tbEUljE_EEESV_SW_SX_S14_S18_S1A_T6_T7_T9_mT8_S1C_bDpT10_ENKUlT_T0_E_clISt17integral_constantIbLb0EES1P_EEDaS1K_S1L_EUlS1K_E_NS1_11comp_targetILNS1_3genE9ELNS1_11target_archE1100ELNS1_3gpuE3ELNS1_3repE0EEENS1_30default_config_static_selectorELNS0_4arch9wavefront6targetE1EEEvSY_, .Lfunc_end367-_ZN7rocprim17ROCPRIM_400000_NS6detail17trampoline_kernelINS0_13select_configILj256ELj13ELNS0_17block_load_methodE3ELS4_3ELS4_3ELNS0_20block_scan_algorithmE0ELj4294967295EEENS1_25partition_config_selectorILNS1_17partition_subalgoE3EjNS0_10empty_typeEbEEZZNS1_14partition_implILS8_3ELb0ES6_jNS0_17counting_iteratorIjlEEPS9_SE_NS0_5tupleIJPjSE_EEENSF_IJSE_SE_EEES9_SG_JZNS1_25segmented_radix_sort_implINS0_14default_configELb0EPKaPaPKlPlN2at6native12_GLOBAL__N_18offset_tEEE10hipError_tPvRmT1_PNSt15iterator_traitsISY_E10value_typeET2_T3_PNSZ_IS14_E10value_typeET4_jRbjT5_S1A_jjP12ihipStream_tbEUljE_EEESV_SW_SX_S14_S18_S1A_T6_T7_T9_mT8_S1C_bDpT10_ENKUlT_T0_E_clISt17integral_constantIbLb0EES1P_EEDaS1K_S1L_EUlS1K_E_NS1_11comp_targetILNS1_3genE9ELNS1_11target_archE1100ELNS1_3gpuE3ELNS1_3repE0EEENS1_30default_config_static_selectorELNS0_4arch9wavefront6targetE1EEEvSY_
                                        ; -- End function
	.section	.AMDGPU.csdata,"",@progbits
; Kernel info:
; codeLenInByte = 0
; NumSgprs: 4
; NumVgprs: 0
; NumAgprs: 0
; TotalNumVgprs: 0
; ScratchSize: 0
; MemoryBound: 0
; FloatMode: 240
; IeeeMode: 1
; LDSByteSize: 0 bytes/workgroup (compile time only)
; SGPRBlocks: 0
; VGPRBlocks: 0
; NumSGPRsForWavesPerEU: 4
; NumVGPRsForWavesPerEU: 1
; AccumOffset: 4
; Occupancy: 8
; WaveLimiterHint : 0
; COMPUTE_PGM_RSRC2:SCRATCH_EN: 0
; COMPUTE_PGM_RSRC2:USER_SGPR: 6
; COMPUTE_PGM_RSRC2:TRAP_HANDLER: 0
; COMPUTE_PGM_RSRC2:TGID_X_EN: 1
; COMPUTE_PGM_RSRC2:TGID_Y_EN: 0
; COMPUTE_PGM_RSRC2:TGID_Z_EN: 0
; COMPUTE_PGM_RSRC2:TIDIG_COMP_CNT: 0
; COMPUTE_PGM_RSRC3_GFX90A:ACCUM_OFFSET: 0
; COMPUTE_PGM_RSRC3_GFX90A:TG_SPLIT: 0
	.section	.text._ZN7rocprim17ROCPRIM_400000_NS6detail17trampoline_kernelINS0_13select_configILj256ELj13ELNS0_17block_load_methodE3ELS4_3ELS4_3ELNS0_20block_scan_algorithmE0ELj4294967295EEENS1_25partition_config_selectorILNS1_17partition_subalgoE3EjNS0_10empty_typeEbEEZZNS1_14partition_implILS8_3ELb0ES6_jNS0_17counting_iteratorIjlEEPS9_SE_NS0_5tupleIJPjSE_EEENSF_IJSE_SE_EEES9_SG_JZNS1_25segmented_radix_sort_implINS0_14default_configELb0EPKaPaPKlPlN2at6native12_GLOBAL__N_18offset_tEEE10hipError_tPvRmT1_PNSt15iterator_traitsISY_E10value_typeET2_T3_PNSZ_IS14_E10value_typeET4_jRbjT5_S1A_jjP12ihipStream_tbEUljE_EEESV_SW_SX_S14_S18_S1A_T6_T7_T9_mT8_S1C_bDpT10_ENKUlT_T0_E_clISt17integral_constantIbLb0EES1P_EEDaS1K_S1L_EUlS1K_E_NS1_11comp_targetILNS1_3genE8ELNS1_11target_archE1030ELNS1_3gpuE2ELNS1_3repE0EEENS1_30default_config_static_selectorELNS0_4arch9wavefront6targetE1EEEvSY_,"axG",@progbits,_ZN7rocprim17ROCPRIM_400000_NS6detail17trampoline_kernelINS0_13select_configILj256ELj13ELNS0_17block_load_methodE3ELS4_3ELS4_3ELNS0_20block_scan_algorithmE0ELj4294967295EEENS1_25partition_config_selectorILNS1_17partition_subalgoE3EjNS0_10empty_typeEbEEZZNS1_14partition_implILS8_3ELb0ES6_jNS0_17counting_iteratorIjlEEPS9_SE_NS0_5tupleIJPjSE_EEENSF_IJSE_SE_EEES9_SG_JZNS1_25segmented_radix_sort_implINS0_14default_configELb0EPKaPaPKlPlN2at6native12_GLOBAL__N_18offset_tEEE10hipError_tPvRmT1_PNSt15iterator_traitsISY_E10value_typeET2_T3_PNSZ_IS14_E10value_typeET4_jRbjT5_S1A_jjP12ihipStream_tbEUljE_EEESV_SW_SX_S14_S18_S1A_T6_T7_T9_mT8_S1C_bDpT10_ENKUlT_T0_E_clISt17integral_constantIbLb0EES1P_EEDaS1K_S1L_EUlS1K_E_NS1_11comp_targetILNS1_3genE8ELNS1_11target_archE1030ELNS1_3gpuE2ELNS1_3repE0EEENS1_30default_config_static_selectorELNS0_4arch9wavefront6targetE1EEEvSY_,comdat
	.globl	_ZN7rocprim17ROCPRIM_400000_NS6detail17trampoline_kernelINS0_13select_configILj256ELj13ELNS0_17block_load_methodE3ELS4_3ELS4_3ELNS0_20block_scan_algorithmE0ELj4294967295EEENS1_25partition_config_selectorILNS1_17partition_subalgoE3EjNS0_10empty_typeEbEEZZNS1_14partition_implILS8_3ELb0ES6_jNS0_17counting_iteratorIjlEEPS9_SE_NS0_5tupleIJPjSE_EEENSF_IJSE_SE_EEES9_SG_JZNS1_25segmented_radix_sort_implINS0_14default_configELb0EPKaPaPKlPlN2at6native12_GLOBAL__N_18offset_tEEE10hipError_tPvRmT1_PNSt15iterator_traitsISY_E10value_typeET2_T3_PNSZ_IS14_E10value_typeET4_jRbjT5_S1A_jjP12ihipStream_tbEUljE_EEESV_SW_SX_S14_S18_S1A_T6_T7_T9_mT8_S1C_bDpT10_ENKUlT_T0_E_clISt17integral_constantIbLb0EES1P_EEDaS1K_S1L_EUlS1K_E_NS1_11comp_targetILNS1_3genE8ELNS1_11target_archE1030ELNS1_3gpuE2ELNS1_3repE0EEENS1_30default_config_static_selectorELNS0_4arch9wavefront6targetE1EEEvSY_ ; -- Begin function _ZN7rocprim17ROCPRIM_400000_NS6detail17trampoline_kernelINS0_13select_configILj256ELj13ELNS0_17block_load_methodE3ELS4_3ELS4_3ELNS0_20block_scan_algorithmE0ELj4294967295EEENS1_25partition_config_selectorILNS1_17partition_subalgoE3EjNS0_10empty_typeEbEEZZNS1_14partition_implILS8_3ELb0ES6_jNS0_17counting_iteratorIjlEEPS9_SE_NS0_5tupleIJPjSE_EEENSF_IJSE_SE_EEES9_SG_JZNS1_25segmented_radix_sort_implINS0_14default_configELb0EPKaPaPKlPlN2at6native12_GLOBAL__N_18offset_tEEE10hipError_tPvRmT1_PNSt15iterator_traitsISY_E10value_typeET2_T3_PNSZ_IS14_E10value_typeET4_jRbjT5_S1A_jjP12ihipStream_tbEUljE_EEESV_SW_SX_S14_S18_S1A_T6_T7_T9_mT8_S1C_bDpT10_ENKUlT_T0_E_clISt17integral_constantIbLb0EES1P_EEDaS1K_S1L_EUlS1K_E_NS1_11comp_targetILNS1_3genE8ELNS1_11target_archE1030ELNS1_3gpuE2ELNS1_3repE0EEENS1_30default_config_static_selectorELNS0_4arch9wavefront6targetE1EEEvSY_
	.p2align	8
	.type	_ZN7rocprim17ROCPRIM_400000_NS6detail17trampoline_kernelINS0_13select_configILj256ELj13ELNS0_17block_load_methodE3ELS4_3ELS4_3ELNS0_20block_scan_algorithmE0ELj4294967295EEENS1_25partition_config_selectorILNS1_17partition_subalgoE3EjNS0_10empty_typeEbEEZZNS1_14partition_implILS8_3ELb0ES6_jNS0_17counting_iteratorIjlEEPS9_SE_NS0_5tupleIJPjSE_EEENSF_IJSE_SE_EEES9_SG_JZNS1_25segmented_radix_sort_implINS0_14default_configELb0EPKaPaPKlPlN2at6native12_GLOBAL__N_18offset_tEEE10hipError_tPvRmT1_PNSt15iterator_traitsISY_E10value_typeET2_T3_PNSZ_IS14_E10value_typeET4_jRbjT5_S1A_jjP12ihipStream_tbEUljE_EEESV_SW_SX_S14_S18_S1A_T6_T7_T9_mT8_S1C_bDpT10_ENKUlT_T0_E_clISt17integral_constantIbLb0EES1P_EEDaS1K_S1L_EUlS1K_E_NS1_11comp_targetILNS1_3genE8ELNS1_11target_archE1030ELNS1_3gpuE2ELNS1_3repE0EEENS1_30default_config_static_selectorELNS0_4arch9wavefront6targetE1EEEvSY_,@function
_ZN7rocprim17ROCPRIM_400000_NS6detail17trampoline_kernelINS0_13select_configILj256ELj13ELNS0_17block_load_methodE3ELS4_3ELS4_3ELNS0_20block_scan_algorithmE0ELj4294967295EEENS1_25partition_config_selectorILNS1_17partition_subalgoE3EjNS0_10empty_typeEbEEZZNS1_14partition_implILS8_3ELb0ES6_jNS0_17counting_iteratorIjlEEPS9_SE_NS0_5tupleIJPjSE_EEENSF_IJSE_SE_EEES9_SG_JZNS1_25segmented_radix_sort_implINS0_14default_configELb0EPKaPaPKlPlN2at6native12_GLOBAL__N_18offset_tEEE10hipError_tPvRmT1_PNSt15iterator_traitsISY_E10value_typeET2_T3_PNSZ_IS14_E10value_typeET4_jRbjT5_S1A_jjP12ihipStream_tbEUljE_EEESV_SW_SX_S14_S18_S1A_T6_T7_T9_mT8_S1C_bDpT10_ENKUlT_T0_E_clISt17integral_constantIbLb0EES1P_EEDaS1K_S1L_EUlS1K_E_NS1_11comp_targetILNS1_3genE8ELNS1_11target_archE1030ELNS1_3gpuE2ELNS1_3repE0EEENS1_30default_config_static_selectorELNS0_4arch9wavefront6targetE1EEEvSY_: ; @_ZN7rocprim17ROCPRIM_400000_NS6detail17trampoline_kernelINS0_13select_configILj256ELj13ELNS0_17block_load_methodE3ELS4_3ELS4_3ELNS0_20block_scan_algorithmE0ELj4294967295EEENS1_25partition_config_selectorILNS1_17partition_subalgoE3EjNS0_10empty_typeEbEEZZNS1_14partition_implILS8_3ELb0ES6_jNS0_17counting_iteratorIjlEEPS9_SE_NS0_5tupleIJPjSE_EEENSF_IJSE_SE_EEES9_SG_JZNS1_25segmented_radix_sort_implINS0_14default_configELb0EPKaPaPKlPlN2at6native12_GLOBAL__N_18offset_tEEE10hipError_tPvRmT1_PNSt15iterator_traitsISY_E10value_typeET2_T3_PNSZ_IS14_E10value_typeET4_jRbjT5_S1A_jjP12ihipStream_tbEUljE_EEESV_SW_SX_S14_S18_S1A_T6_T7_T9_mT8_S1C_bDpT10_ENKUlT_T0_E_clISt17integral_constantIbLb0EES1P_EEDaS1K_S1L_EUlS1K_E_NS1_11comp_targetILNS1_3genE8ELNS1_11target_archE1030ELNS1_3gpuE2ELNS1_3repE0EEENS1_30default_config_static_selectorELNS0_4arch9wavefront6targetE1EEEvSY_
; %bb.0:
	.section	.rodata,"a",@progbits
	.p2align	6, 0x0
	.amdhsa_kernel _ZN7rocprim17ROCPRIM_400000_NS6detail17trampoline_kernelINS0_13select_configILj256ELj13ELNS0_17block_load_methodE3ELS4_3ELS4_3ELNS0_20block_scan_algorithmE0ELj4294967295EEENS1_25partition_config_selectorILNS1_17partition_subalgoE3EjNS0_10empty_typeEbEEZZNS1_14partition_implILS8_3ELb0ES6_jNS0_17counting_iteratorIjlEEPS9_SE_NS0_5tupleIJPjSE_EEENSF_IJSE_SE_EEES9_SG_JZNS1_25segmented_radix_sort_implINS0_14default_configELb0EPKaPaPKlPlN2at6native12_GLOBAL__N_18offset_tEEE10hipError_tPvRmT1_PNSt15iterator_traitsISY_E10value_typeET2_T3_PNSZ_IS14_E10value_typeET4_jRbjT5_S1A_jjP12ihipStream_tbEUljE_EEESV_SW_SX_S14_S18_S1A_T6_T7_T9_mT8_S1C_bDpT10_ENKUlT_T0_E_clISt17integral_constantIbLb0EES1P_EEDaS1K_S1L_EUlS1K_E_NS1_11comp_targetILNS1_3genE8ELNS1_11target_archE1030ELNS1_3gpuE2ELNS1_3repE0EEENS1_30default_config_static_selectorELNS0_4arch9wavefront6targetE1EEEvSY_
		.amdhsa_group_segment_fixed_size 0
		.amdhsa_private_segment_fixed_size 0
		.amdhsa_kernarg_size 144
		.amdhsa_user_sgpr_count 6
		.amdhsa_user_sgpr_private_segment_buffer 1
		.amdhsa_user_sgpr_dispatch_ptr 0
		.amdhsa_user_sgpr_queue_ptr 0
		.amdhsa_user_sgpr_kernarg_segment_ptr 1
		.amdhsa_user_sgpr_dispatch_id 0
		.amdhsa_user_sgpr_flat_scratch_init 0
		.amdhsa_user_sgpr_kernarg_preload_length 0
		.amdhsa_user_sgpr_kernarg_preload_offset 0
		.amdhsa_user_sgpr_private_segment_size 0
		.amdhsa_uses_dynamic_stack 0
		.amdhsa_system_sgpr_private_segment_wavefront_offset 0
		.amdhsa_system_sgpr_workgroup_id_x 1
		.amdhsa_system_sgpr_workgroup_id_y 0
		.amdhsa_system_sgpr_workgroup_id_z 0
		.amdhsa_system_sgpr_workgroup_info 0
		.amdhsa_system_vgpr_workitem_id 0
		.amdhsa_next_free_vgpr 1
		.amdhsa_next_free_sgpr 0
		.amdhsa_accum_offset 4
		.amdhsa_reserve_vcc 0
		.amdhsa_reserve_flat_scratch 0
		.amdhsa_float_round_mode_32 0
		.amdhsa_float_round_mode_16_64 0
		.amdhsa_float_denorm_mode_32 3
		.amdhsa_float_denorm_mode_16_64 3
		.amdhsa_dx10_clamp 1
		.amdhsa_ieee_mode 1
		.amdhsa_fp16_overflow 0
		.amdhsa_tg_split 0
		.amdhsa_exception_fp_ieee_invalid_op 0
		.amdhsa_exception_fp_denorm_src 0
		.amdhsa_exception_fp_ieee_div_zero 0
		.amdhsa_exception_fp_ieee_overflow 0
		.amdhsa_exception_fp_ieee_underflow 0
		.amdhsa_exception_fp_ieee_inexact 0
		.amdhsa_exception_int_div_zero 0
	.end_amdhsa_kernel
	.section	.text._ZN7rocprim17ROCPRIM_400000_NS6detail17trampoline_kernelINS0_13select_configILj256ELj13ELNS0_17block_load_methodE3ELS4_3ELS4_3ELNS0_20block_scan_algorithmE0ELj4294967295EEENS1_25partition_config_selectorILNS1_17partition_subalgoE3EjNS0_10empty_typeEbEEZZNS1_14partition_implILS8_3ELb0ES6_jNS0_17counting_iteratorIjlEEPS9_SE_NS0_5tupleIJPjSE_EEENSF_IJSE_SE_EEES9_SG_JZNS1_25segmented_radix_sort_implINS0_14default_configELb0EPKaPaPKlPlN2at6native12_GLOBAL__N_18offset_tEEE10hipError_tPvRmT1_PNSt15iterator_traitsISY_E10value_typeET2_T3_PNSZ_IS14_E10value_typeET4_jRbjT5_S1A_jjP12ihipStream_tbEUljE_EEESV_SW_SX_S14_S18_S1A_T6_T7_T9_mT8_S1C_bDpT10_ENKUlT_T0_E_clISt17integral_constantIbLb0EES1P_EEDaS1K_S1L_EUlS1K_E_NS1_11comp_targetILNS1_3genE8ELNS1_11target_archE1030ELNS1_3gpuE2ELNS1_3repE0EEENS1_30default_config_static_selectorELNS0_4arch9wavefront6targetE1EEEvSY_,"axG",@progbits,_ZN7rocprim17ROCPRIM_400000_NS6detail17trampoline_kernelINS0_13select_configILj256ELj13ELNS0_17block_load_methodE3ELS4_3ELS4_3ELNS0_20block_scan_algorithmE0ELj4294967295EEENS1_25partition_config_selectorILNS1_17partition_subalgoE3EjNS0_10empty_typeEbEEZZNS1_14partition_implILS8_3ELb0ES6_jNS0_17counting_iteratorIjlEEPS9_SE_NS0_5tupleIJPjSE_EEENSF_IJSE_SE_EEES9_SG_JZNS1_25segmented_radix_sort_implINS0_14default_configELb0EPKaPaPKlPlN2at6native12_GLOBAL__N_18offset_tEEE10hipError_tPvRmT1_PNSt15iterator_traitsISY_E10value_typeET2_T3_PNSZ_IS14_E10value_typeET4_jRbjT5_S1A_jjP12ihipStream_tbEUljE_EEESV_SW_SX_S14_S18_S1A_T6_T7_T9_mT8_S1C_bDpT10_ENKUlT_T0_E_clISt17integral_constantIbLb0EES1P_EEDaS1K_S1L_EUlS1K_E_NS1_11comp_targetILNS1_3genE8ELNS1_11target_archE1030ELNS1_3gpuE2ELNS1_3repE0EEENS1_30default_config_static_selectorELNS0_4arch9wavefront6targetE1EEEvSY_,comdat
.Lfunc_end368:
	.size	_ZN7rocprim17ROCPRIM_400000_NS6detail17trampoline_kernelINS0_13select_configILj256ELj13ELNS0_17block_load_methodE3ELS4_3ELS4_3ELNS0_20block_scan_algorithmE0ELj4294967295EEENS1_25partition_config_selectorILNS1_17partition_subalgoE3EjNS0_10empty_typeEbEEZZNS1_14partition_implILS8_3ELb0ES6_jNS0_17counting_iteratorIjlEEPS9_SE_NS0_5tupleIJPjSE_EEENSF_IJSE_SE_EEES9_SG_JZNS1_25segmented_radix_sort_implINS0_14default_configELb0EPKaPaPKlPlN2at6native12_GLOBAL__N_18offset_tEEE10hipError_tPvRmT1_PNSt15iterator_traitsISY_E10value_typeET2_T3_PNSZ_IS14_E10value_typeET4_jRbjT5_S1A_jjP12ihipStream_tbEUljE_EEESV_SW_SX_S14_S18_S1A_T6_T7_T9_mT8_S1C_bDpT10_ENKUlT_T0_E_clISt17integral_constantIbLb0EES1P_EEDaS1K_S1L_EUlS1K_E_NS1_11comp_targetILNS1_3genE8ELNS1_11target_archE1030ELNS1_3gpuE2ELNS1_3repE0EEENS1_30default_config_static_selectorELNS0_4arch9wavefront6targetE1EEEvSY_, .Lfunc_end368-_ZN7rocprim17ROCPRIM_400000_NS6detail17trampoline_kernelINS0_13select_configILj256ELj13ELNS0_17block_load_methodE3ELS4_3ELS4_3ELNS0_20block_scan_algorithmE0ELj4294967295EEENS1_25partition_config_selectorILNS1_17partition_subalgoE3EjNS0_10empty_typeEbEEZZNS1_14partition_implILS8_3ELb0ES6_jNS0_17counting_iteratorIjlEEPS9_SE_NS0_5tupleIJPjSE_EEENSF_IJSE_SE_EEES9_SG_JZNS1_25segmented_radix_sort_implINS0_14default_configELb0EPKaPaPKlPlN2at6native12_GLOBAL__N_18offset_tEEE10hipError_tPvRmT1_PNSt15iterator_traitsISY_E10value_typeET2_T3_PNSZ_IS14_E10value_typeET4_jRbjT5_S1A_jjP12ihipStream_tbEUljE_EEESV_SW_SX_S14_S18_S1A_T6_T7_T9_mT8_S1C_bDpT10_ENKUlT_T0_E_clISt17integral_constantIbLb0EES1P_EEDaS1K_S1L_EUlS1K_E_NS1_11comp_targetILNS1_3genE8ELNS1_11target_archE1030ELNS1_3gpuE2ELNS1_3repE0EEENS1_30default_config_static_selectorELNS0_4arch9wavefront6targetE1EEEvSY_
                                        ; -- End function
	.section	.AMDGPU.csdata,"",@progbits
; Kernel info:
; codeLenInByte = 0
; NumSgprs: 4
; NumVgprs: 0
; NumAgprs: 0
; TotalNumVgprs: 0
; ScratchSize: 0
; MemoryBound: 0
; FloatMode: 240
; IeeeMode: 1
; LDSByteSize: 0 bytes/workgroup (compile time only)
; SGPRBlocks: 0
; VGPRBlocks: 0
; NumSGPRsForWavesPerEU: 4
; NumVGPRsForWavesPerEU: 1
; AccumOffset: 4
; Occupancy: 8
; WaveLimiterHint : 0
; COMPUTE_PGM_RSRC2:SCRATCH_EN: 0
; COMPUTE_PGM_RSRC2:USER_SGPR: 6
; COMPUTE_PGM_RSRC2:TRAP_HANDLER: 0
; COMPUTE_PGM_RSRC2:TGID_X_EN: 1
; COMPUTE_PGM_RSRC2:TGID_Y_EN: 0
; COMPUTE_PGM_RSRC2:TGID_Z_EN: 0
; COMPUTE_PGM_RSRC2:TIDIG_COMP_CNT: 0
; COMPUTE_PGM_RSRC3_GFX90A:ACCUM_OFFSET: 0
; COMPUTE_PGM_RSRC3_GFX90A:TG_SPLIT: 0
	.section	.text._ZN7rocprim17ROCPRIM_400000_NS6detail17trampoline_kernelINS0_13select_configILj256ELj13ELNS0_17block_load_methodE3ELS4_3ELS4_3ELNS0_20block_scan_algorithmE0ELj4294967295EEENS1_25partition_config_selectorILNS1_17partition_subalgoE3EjNS0_10empty_typeEbEEZZNS1_14partition_implILS8_3ELb0ES6_jNS0_17counting_iteratorIjlEEPS9_SE_NS0_5tupleIJPjSE_EEENSF_IJSE_SE_EEES9_SG_JZNS1_25segmented_radix_sort_implINS0_14default_configELb0EPKaPaPKlPlN2at6native12_GLOBAL__N_18offset_tEEE10hipError_tPvRmT1_PNSt15iterator_traitsISY_E10value_typeET2_T3_PNSZ_IS14_E10value_typeET4_jRbjT5_S1A_jjP12ihipStream_tbEUljE_EEESV_SW_SX_S14_S18_S1A_T6_T7_T9_mT8_S1C_bDpT10_ENKUlT_T0_E_clISt17integral_constantIbLb1EES1P_EEDaS1K_S1L_EUlS1K_E_NS1_11comp_targetILNS1_3genE0ELNS1_11target_archE4294967295ELNS1_3gpuE0ELNS1_3repE0EEENS1_30default_config_static_selectorELNS0_4arch9wavefront6targetE1EEEvSY_,"axG",@progbits,_ZN7rocprim17ROCPRIM_400000_NS6detail17trampoline_kernelINS0_13select_configILj256ELj13ELNS0_17block_load_methodE3ELS4_3ELS4_3ELNS0_20block_scan_algorithmE0ELj4294967295EEENS1_25partition_config_selectorILNS1_17partition_subalgoE3EjNS0_10empty_typeEbEEZZNS1_14partition_implILS8_3ELb0ES6_jNS0_17counting_iteratorIjlEEPS9_SE_NS0_5tupleIJPjSE_EEENSF_IJSE_SE_EEES9_SG_JZNS1_25segmented_radix_sort_implINS0_14default_configELb0EPKaPaPKlPlN2at6native12_GLOBAL__N_18offset_tEEE10hipError_tPvRmT1_PNSt15iterator_traitsISY_E10value_typeET2_T3_PNSZ_IS14_E10value_typeET4_jRbjT5_S1A_jjP12ihipStream_tbEUljE_EEESV_SW_SX_S14_S18_S1A_T6_T7_T9_mT8_S1C_bDpT10_ENKUlT_T0_E_clISt17integral_constantIbLb1EES1P_EEDaS1K_S1L_EUlS1K_E_NS1_11comp_targetILNS1_3genE0ELNS1_11target_archE4294967295ELNS1_3gpuE0ELNS1_3repE0EEENS1_30default_config_static_selectorELNS0_4arch9wavefront6targetE1EEEvSY_,comdat
	.globl	_ZN7rocprim17ROCPRIM_400000_NS6detail17trampoline_kernelINS0_13select_configILj256ELj13ELNS0_17block_load_methodE3ELS4_3ELS4_3ELNS0_20block_scan_algorithmE0ELj4294967295EEENS1_25partition_config_selectorILNS1_17partition_subalgoE3EjNS0_10empty_typeEbEEZZNS1_14partition_implILS8_3ELb0ES6_jNS0_17counting_iteratorIjlEEPS9_SE_NS0_5tupleIJPjSE_EEENSF_IJSE_SE_EEES9_SG_JZNS1_25segmented_radix_sort_implINS0_14default_configELb0EPKaPaPKlPlN2at6native12_GLOBAL__N_18offset_tEEE10hipError_tPvRmT1_PNSt15iterator_traitsISY_E10value_typeET2_T3_PNSZ_IS14_E10value_typeET4_jRbjT5_S1A_jjP12ihipStream_tbEUljE_EEESV_SW_SX_S14_S18_S1A_T6_T7_T9_mT8_S1C_bDpT10_ENKUlT_T0_E_clISt17integral_constantIbLb1EES1P_EEDaS1K_S1L_EUlS1K_E_NS1_11comp_targetILNS1_3genE0ELNS1_11target_archE4294967295ELNS1_3gpuE0ELNS1_3repE0EEENS1_30default_config_static_selectorELNS0_4arch9wavefront6targetE1EEEvSY_ ; -- Begin function _ZN7rocprim17ROCPRIM_400000_NS6detail17trampoline_kernelINS0_13select_configILj256ELj13ELNS0_17block_load_methodE3ELS4_3ELS4_3ELNS0_20block_scan_algorithmE0ELj4294967295EEENS1_25partition_config_selectorILNS1_17partition_subalgoE3EjNS0_10empty_typeEbEEZZNS1_14partition_implILS8_3ELb0ES6_jNS0_17counting_iteratorIjlEEPS9_SE_NS0_5tupleIJPjSE_EEENSF_IJSE_SE_EEES9_SG_JZNS1_25segmented_radix_sort_implINS0_14default_configELb0EPKaPaPKlPlN2at6native12_GLOBAL__N_18offset_tEEE10hipError_tPvRmT1_PNSt15iterator_traitsISY_E10value_typeET2_T3_PNSZ_IS14_E10value_typeET4_jRbjT5_S1A_jjP12ihipStream_tbEUljE_EEESV_SW_SX_S14_S18_S1A_T6_T7_T9_mT8_S1C_bDpT10_ENKUlT_T0_E_clISt17integral_constantIbLb1EES1P_EEDaS1K_S1L_EUlS1K_E_NS1_11comp_targetILNS1_3genE0ELNS1_11target_archE4294967295ELNS1_3gpuE0ELNS1_3repE0EEENS1_30default_config_static_selectorELNS0_4arch9wavefront6targetE1EEEvSY_
	.p2align	8
	.type	_ZN7rocprim17ROCPRIM_400000_NS6detail17trampoline_kernelINS0_13select_configILj256ELj13ELNS0_17block_load_methodE3ELS4_3ELS4_3ELNS0_20block_scan_algorithmE0ELj4294967295EEENS1_25partition_config_selectorILNS1_17partition_subalgoE3EjNS0_10empty_typeEbEEZZNS1_14partition_implILS8_3ELb0ES6_jNS0_17counting_iteratorIjlEEPS9_SE_NS0_5tupleIJPjSE_EEENSF_IJSE_SE_EEES9_SG_JZNS1_25segmented_radix_sort_implINS0_14default_configELb0EPKaPaPKlPlN2at6native12_GLOBAL__N_18offset_tEEE10hipError_tPvRmT1_PNSt15iterator_traitsISY_E10value_typeET2_T3_PNSZ_IS14_E10value_typeET4_jRbjT5_S1A_jjP12ihipStream_tbEUljE_EEESV_SW_SX_S14_S18_S1A_T6_T7_T9_mT8_S1C_bDpT10_ENKUlT_T0_E_clISt17integral_constantIbLb1EES1P_EEDaS1K_S1L_EUlS1K_E_NS1_11comp_targetILNS1_3genE0ELNS1_11target_archE4294967295ELNS1_3gpuE0ELNS1_3repE0EEENS1_30default_config_static_selectorELNS0_4arch9wavefront6targetE1EEEvSY_,@function
_ZN7rocprim17ROCPRIM_400000_NS6detail17trampoline_kernelINS0_13select_configILj256ELj13ELNS0_17block_load_methodE3ELS4_3ELS4_3ELNS0_20block_scan_algorithmE0ELj4294967295EEENS1_25partition_config_selectorILNS1_17partition_subalgoE3EjNS0_10empty_typeEbEEZZNS1_14partition_implILS8_3ELb0ES6_jNS0_17counting_iteratorIjlEEPS9_SE_NS0_5tupleIJPjSE_EEENSF_IJSE_SE_EEES9_SG_JZNS1_25segmented_radix_sort_implINS0_14default_configELb0EPKaPaPKlPlN2at6native12_GLOBAL__N_18offset_tEEE10hipError_tPvRmT1_PNSt15iterator_traitsISY_E10value_typeET2_T3_PNSZ_IS14_E10value_typeET4_jRbjT5_S1A_jjP12ihipStream_tbEUljE_EEESV_SW_SX_S14_S18_S1A_T6_T7_T9_mT8_S1C_bDpT10_ENKUlT_T0_E_clISt17integral_constantIbLb1EES1P_EEDaS1K_S1L_EUlS1K_E_NS1_11comp_targetILNS1_3genE0ELNS1_11target_archE4294967295ELNS1_3gpuE0ELNS1_3repE0EEENS1_30default_config_static_selectorELNS0_4arch9wavefront6targetE1EEEvSY_: ; @_ZN7rocprim17ROCPRIM_400000_NS6detail17trampoline_kernelINS0_13select_configILj256ELj13ELNS0_17block_load_methodE3ELS4_3ELS4_3ELNS0_20block_scan_algorithmE0ELj4294967295EEENS1_25partition_config_selectorILNS1_17partition_subalgoE3EjNS0_10empty_typeEbEEZZNS1_14partition_implILS8_3ELb0ES6_jNS0_17counting_iteratorIjlEEPS9_SE_NS0_5tupleIJPjSE_EEENSF_IJSE_SE_EEES9_SG_JZNS1_25segmented_radix_sort_implINS0_14default_configELb0EPKaPaPKlPlN2at6native12_GLOBAL__N_18offset_tEEE10hipError_tPvRmT1_PNSt15iterator_traitsISY_E10value_typeET2_T3_PNSZ_IS14_E10value_typeET4_jRbjT5_S1A_jjP12ihipStream_tbEUljE_EEESV_SW_SX_S14_S18_S1A_T6_T7_T9_mT8_S1C_bDpT10_ENKUlT_T0_E_clISt17integral_constantIbLb1EES1P_EEDaS1K_S1L_EUlS1K_E_NS1_11comp_targetILNS1_3genE0ELNS1_11target_archE4294967295ELNS1_3gpuE0ELNS1_3repE0EEENS1_30default_config_static_selectorELNS0_4arch9wavefront6targetE1EEEvSY_
; %bb.0:
	.section	.rodata,"a",@progbits
	.p2align	6, 0x0
	.amdhsa_kernel _ZN7rocprim17ROCPRIM_400000_NS6detail17trampoline_kernelINS0_13select_configILj256ELj13ELNS0_17block_load_methodE3ELS4_3ELS4_3ELNS0_20block_scan_algorithmE0ELj4294967295EEENS1_25partition_config_selectorILNS1_17partition_subalgoE3EjNS0_10empty_typeEbEEZZNS1_14partition_implILS8_3ELb0ES6_jNS0_17counting_iteratorIjlEEPS9_SE_NS0_5tupleIJPjSE_EEENSF_IJSE_SE_EEES9_SG_JZNS1_25segmented_radix_sort_implINS0_14default_configELb0EPKaPaPKlPlN2at6native12_GLOBAL__N_18offset_tEEE10hipError_tPvRmT1_PNSt15iterator_traitsISY_E10value_typeET2_T3_PNSZ_IS14_E10value_typeET4_jRbjT5_S1A_jjP12ihipStream_tbEUljE_EEESV_SW_SX_S14_S18_S1A_T6_T7_T9_mT8_S1C_bDpT10_ENKUlT_T0_E_clISt17integral_constantIbLb1EES1P_EEDaS1K_S1L_EUlS1K_E_NS1_11comp_targetILNS1_3genE0ELNS1_11target_archE4294967295ELNS1_3gpuE0ELNS1_3repE0EEENS1_30default_config_static_selectorELNS0_4arch9wavefront6targetE1EEEvSY_
		.amdhsa_group_segment_fixed_size 0
		.amdhsa_private_segment_fixed_size 0
		.amdhsa_kernarg_size 152
		.amdhsa_user_sgpr_count 6
		.amdhsa_user_sgpr_private_segment_buffer 1
		.amdhsa_user_sgpr_dispatch_ptr 0
		.amdhsa_user_sgpr_queue_ptr 0
		.amdhsa_user_sgpr_kernarg_segment_ptr 1
		.amdhsa_user_sgpr_dispatch_id 0
		.amdhsa_user_sgpr_flat_scratch_init 0
		.amdhsa_user_sgpr_kernarg_preload_length 0
		.amdhsa_user_sgpr_kernarg_preload_offset 0
		.amdhsa_user_sgpr_private_segment_size 0
		.amdhsa_uses_dynamic_stack 0
		.amdhsa_system_sgpr_private_segment_wavefront_offset 0
		.amdhsa_system_sgpr_workgroup_id_x 1
		.amdhsa_system_sgpr_workgroup_id_y 0
		.amdhsa_system_sgpr_workgroup_id_z 0
		.amdhsa_system_sgpr_workgroup_info 0
		.amdhsa_system_vgpr_workitem_id 0
		.amdhsa_next_free_vgpr 1
		.amdhsa_next_free_sgpr 0
		.amdhsa_accum_offset 4
		.amdhsa_reserve_vcc 0
		.amdhsa_reserve_flat_scratch 0
		.amdhsa_float_round_mode_32 0
		.amdhsa_float_round_mode_16_64 0
		.amdhsa_float_denorm_mode_32 3
		.amdhsa_float_denorm_mode_16_64 3
		.amdhsa_dx10_clamp 1
		.amdhsa_ieee_mode 1
		.amdhsa_fp16_overflow 0
		.amdhsa_tg_split 0
		.amdhsa_exception_fp_ieee_invalid_op 0
		.amdhsa_exception_fp_denorm_src 0
		.amdhsa_exception_fp_ieee_div_zero 0
		.amdhsa_exception_fp_ieee_overflow 0
		.amdhsa_exception_fp_ieee_underflow 0
		.amdhsa_exception_fp_ieee_inexact 0
		.amdhsa_exception_int_div_zero 0
	.end_amdhsa_kernel
	.section	.text._ZN7rocprim17ROCPRIM_400000_NS6detail17trampoline_kernelINS0_13select_configILj256ELj13ELNS0_17block_load_methodE3ELS4_3ELS4_3ELNS0_20block_scan_algorithmE0ELj4294967295EEENS1_25partition_config_selectorILNS1_17partition_subalgoE3EjNS0_10empty_typeEbEEZZNS1_14partition_implILS8_3ELb0ES6_jNS0_17counting_iteratorIjlEEPS9_SE_NS0_5tupleIJPjSE_EEENSF_IJSE_SE_EEES9_SG_JZNS1_25segmented_radix_sort_implINS0_14default_configELb0EPKaPaPKlPlN2at6native12_GLOBAL__N_18offset_tEEE10hipError_tPvRmT1_PNSt15iterator_traitsISY_E10value_typeET2_T3_PNSZ_IS14_E10value_typeET4_jRbjT5_S1A_jjP12ihipStream_tbEUljE_EEESV_SW_SX_S14_S18_S1A_T6_T7_T9_mT8_S1C_bDpT10_ENKUlT_T0_E_clISt17integral_constantIbLb1EES1P_EEDaS1K_S1L_EUlS1K_E_NS1_11comp_targetILNS1_3genE0ELNS1_11target_archE4294967295ELNS1_3gpuE0ELNS1_3repE0EEENS1_30default_config_static_selectorELNS0_4arch9wavefront6targetE1EEEvSY_,"axG",@progbits,_ZN7rocprim17ROCPRIM_400000_NS6detail17trampoline_kernelINS0_13select_configILj256ELj13ELNS0_17block_load_methodE3ELS4_3ELS4_3ELNS0_20block_scan_algorithmE0ELj4294967295EEENS1_25partition_config_selectorILNS1_17partition_subalgoE3EjNS0_10empty_typeEbEEZZNS1_14partition_implILS8_3ELb0ES6_jNS0_17counting_iteratorIjlEEPS9_SE_NS0_5tupleIJPjSE_EEENSF_IJSE_SE_EEES9_SG_JZNS1_25segmented_radix_sort_implINS0_14default_configELb0EPKaPaPKlPlN2at6native12_GLOBAL__N_18offset_tEEE10hipError_tPvRmT1_PNSt15iterator_traitsISY_E10value_typeET2_T3_PNSZ_IS14_E10value_typeET4_jRbjT5_S1A_jjP12ihipStream_tbEUljE_EEESV_SW_SX_S14_S18_S1A_T6_T7_T9_mT8_S1C_bDpT10_ENKUlT_T0_E_clISt17integral_constantIbLb1EES1P_EEDaS1K_S1L_EUlS1K_E_NS1_11comp_targetILNS1_3genE0ELNS1_11target_archE4294967295ELNS1_3gpuE0ELNS1_3repE0EEENS1_30default_config_static_selectorELNS0_4arch9wavefront6targetE1EEEvSY_,comdat
.Lfunc_end369:
	.size	_ZN7rocprim17ROCPRIM_400000_NS6detail17trampoline_kernelINS0_13select_configILj256ELj13ELNS0_17block_load_methodE3ELS4_3ELS4_3ELNS0_20block_scan_algorithmE0ELj4294967295EEENS1_25partition_config_selectorILNS1_17partition_subalgoE3EjNS0_10empty_typeEbEEZZNS1_14partition_implILS8_3ELb0ES6_jNS0_17counting_iteratorIjlEEPS9_SE_NS0_5tupleIJPjSE_EEENSF_IJSE_SE_EEES9_SG_JZNS1_25segmented_radix_sort_implINS0_14default_configELb0EPKaPaPKlPlN2at6native12_GLOBAL__N_18offset_tEEE10hipError_tPvRmT1_PNSt15iterator_traitsISY_E10value_typeET2_T3_PNSZ_IS14_E10value_typeET4_jRbjT5_S1A_jjP12ihipStream_tbEUljE_EEESV_SW_SX_S14_S18_S1A_T6_T7_T9_mT8_S1C_bDpT10_ENKUlT_T0_E_clISt17integral_constantIbLb1EES1P_EEDaS1K_S1L_EUlS1K_E_NS1_11comp_targetILNS1_3genE0ELNS1_11target_archE4294967295ELNS1_3gpuE0ELNS1_3repE0EEENS1_30default_config_static_selectorELNS0_4arch9wavefront6targetE1EEEvSY_, .Lfunc_end369-_ZN7rocprim17ROCPRIM_400000_NS6detail17trampoline_kernelINS0_13select_configILj256ELj13ELNS0_17block_load_methodE3ELS4_3ELS4_3ELNS0_20block_scan_algorithmE0ELj4294967295EEENS1_25partition_config_selectorILNS1_17partition_subalgoE3EjNS0_10empty_typeEbEEZZNS1_14partition_implILS8_3ELb0ES6_jNS0_17counting_iteratorIjlEEPS9_SE_NS0_5tupleIJPjSE_EEENSF_IJSE_SE_EEES9_SG_JZNS1_25segmented_radix_sort_implINS0_14default_configELb0EPKaPaPKlPlN2at6native12_GLOBAL__N_18offset_tEEE10hipError_tPvRmT1_PNSt15iterator_traitsISY_E10value_typeET2_T3_PNSZ_IS14_E10value_typeET4_jRbjT5_S1A_jjP12ihipStream_tbEUljE_EEESV_SW_SX_S14_S18_S1A_T6_T7_T9_mT8_S1C_bDpT10_ENKUlT_T0_E_clISt17integral_constantIbLb1EES1P_EEDaS1K_S1L_EUlS1K_E_NS1_11comp_targetILNS1_3genE0ELNS1_11target_archE4294967295ELNS1_3gpuE0ELNS1_3repE0EEENS1_30default_config_static_selectorELNS0_4arch9wavefront6targetE1EEEvSY_
                                        ; -- End function
	.section	.AMDGPU.csdata,"",@progbits
; Kernel info:
; codeLenInByte = 0
; NumSgprs: 4
; NumVgprs: 0
; NumAgprs: 0
; TotalNumVgprs: 0
; ScratchSize: 0
; MemoryBound: 0
; FloatMode: 240
; IeeeMode: 1
; LDSByteSize: 0 bytes/workgroup (compile time only)
; SGPRBlocks: 0
; VGPRBlocks: 0
; NumSGPRsForWavesPerEU: 4
; NumVGPRsForWavesPerEU: 1
; AccumOffset: 4
; Occupancy: 8
; WaveLimiterHint : 0
; COMPUTE_PGM_RSRC2:SCRATCH_EN: 0
; COMPUTE_PGM_RSRC2:USER_SGPR: 6
; COMPUTE_PGM_RSRC2:TRAP_HANDLER: 0
; COMPUTE_PGM_RSRC2:TGID_X_EN: 1
; COMPUTE_PGM_RSRC2:TGID_Y_EN: 0
; COMPUTE_PGM_RSRC2:TGID_Z_EN: 0
; COMPUTE_PGM_RSRC2:TIDIG_COMP_CNT: 0
; COMPUTE_PGM_RSRC3_GFX90A:ACCUM_OFFSET: 0
; COMPUTE_PGM_RSRC3_GFX90A:TG_SPLIT: 0
	.section	.text._ZN7rocprim17ROCPRIM_400000_NS6detail17trampoline_kernelINS0_13select_configILj256ELj13ELNS0_17block_load_methodE3ELS4_3ELS4_3ELNS0_20block_scan_algorithmE0ELj4294967295EEENS1_25partition_config_selectorILNS1_17partition_subalgoE3EjNS0_10empty_typeEbEEZZNS1_14partition_implILS8_3ELb0ES6_jNS0_17counting_iteratorIjlEEPS9_SE_NS0_5tupleIJPjSE_EEENSF_IJSE_SE_EEES9_SG_JZNS1_25segmented_radix_sort_implINS0_14default_configELb0EPKaPaPKlPlN2at6native12_GLOBAL__N_18offset_tEEE10hipError_tPvRmT1_PNSt15iterator_traitsISY_E10value_typeET2_T3_PNSZ_IS14_E10value_typeET4_jRbjT5_S1A_jjP12ihipStream_tbEUljE_EEESV_SW_SX_S14_S18_S1A_T6_T7_T9_mT8_S1C_bDpT10_ENKUlT_T0_E_clISt17integral_constantIbLb1EES1P_EEDaS1K_S1L_EUlS1K_E_NS1_11comp_targetILNS1_3genE5ELNS1_11target_archE942ELNS1_3gpuE9ELNS1_3repE0EEENS1_30default_config_static_selectorELNS0_4arch9wavefront6targetE1EEEvSY_,"axG",@progbits,_ZN7rocprim17ROCPRIM_400000_NS6detail17trampoline_kernelINS0_13select_configILj256ELj13ELNS0_17block_load_methodE3ELS4_3ELS4_3ELNS0_20block_scan_algorithmE0ELj4294967295EEENS1_25partition_config_selectorILNS1_17partition_subalgoE3EjNS0_10empty_typeEbEEZZNS1_14partition_implILS8_3ELb0ES6_jNS0_17counting_iteratorIjlEEPS9_SE_NS0_5tupleIJPjSE_EEENSF_IJSE_SE_EEES9_SG_JZNS1_25segmented_radix_sort_implINS0_14default_configELb0EPKaPaPKlPlN2at6native12_GLOBAL__N_18offset_tEEE10hipError_tPvRmT1_PNSt15iterator_traitsISY_E10value_typeET2_T3_PNSZ_IS14_E10value_typeET4_jRbjT5_S1A_jjP12ihipStream_tbEUljE_EEESV_SW_SX_S14_S18_S1A_T6_T7_T9_mT8_S1C_bDpT10_ENKUlT_T0_E_clISt17integral_constantIbLb1EES1P_EEDaS1K_S1L_EUlS1K_E_NS1_11comp_targetILNS1_3genE5ELNS1_11target_archE942ELNS1_3gpuE9ELNS1_3repE0EEENS1_30default_config_static_selectorELNS0_4arch9wavefront6targetE1EEEvSY_,comdat
	.globl	_ZN7rocprim17ROCPRIM_400000_NS6detail17trampoline_kernelINS0_13select_configILj256ELj13ELNS0_17block_load_methodE3ELS4_3ELS4_3ELNS0_20block_scan_algorithmE0ELj4294967295EEENS1_25partition_config_selectorILNS1_17partition_subalgoE3EjNS0_10empty_typeEbEEZZNS1_14partition_implILS8_3ELb0ES6_jNS0_17counting_iteratorIjlEEPS9_SE_NS0_5tupleIJPjSE_EEENSF_IJSE_SE_EEES9_SG_JZNS1_25segmented_radix_sort_implINS0_14default_configELb0EPKaPaPKlPlN2at6native12_GLOBAL__N_18offset_tEEE10hipError_tPvRmT1_PNSt15iterator_traitsISY_E10value_typeET2_T3_PNSZ_IS14_E10value_typeET4_jRbjT5_S1A_jjP12ihipStream_tbEUljE_EEESV_SW_SX_S14_S18_S1A_T6_T7_T9_mT8_S1C_bDpT10_ENKUlT_T0_E_clISt17integral_constantIbLb1EES1P_EEDaS1K_S1L_EUlS1K_E_NS1_11comp_targetILNS1_3genE5ELNS1_11target_archE942ELNS1_3gpuE9ELNS1_3repE0EEENS1_30default_config_static_selectorELNS0_4arch9wavefront6targetE1EEEvSY_ ; -- Begin function _ZN7rocprim17ROCPRIM_400000_NS6detail17trampoline_kernelINS0_13select_configILj256ELj13ELNS0_17block_load_methodE3ELS4_3ELS4_3ELNS0_20block_scan_algorithmE0ELj4294967295EEENS1_25partition_config_selectorILNS1_17partition_subalgoE3EjNS0_10empty_typeEbEEZZNS1_14partition_implILS8_3ELb0ES6_jNS0_17counting_iteratorIjlEEPS9_SE_NS0_5tupleIJPjSE_EEENSF_IJSE_SE_EEES9_SG_JZNS1_25segmented_radix_sort_implINS0_14default_configELb0EPKaPaPKlPlN2at6native12_GLOBAL__N_18offset_tEEE10hipError_tPvRmT1_PNSt15iterator_traitsISY_E10value_typeET2_T3_PNSZ_IS14_E10value_typeET4_jRbjT5_S1A_jjP12ihipStream_tbEUljE_EEESV_SW_SX_S14_S18_S1A_T6_T7_T9_mT8_S1C_bDpT10_ENKUlT_T0_E_clISt17integral_constantIbLb1EES1P_EEDaS1K_S1L_EUlS1K_E_NS1_11comp_targetILNS1_3genE5ELNS1_11target_archE942ELNS1_3gpuE9ELNS1_3repE0EEENS1_30default_config_static_selectorELNS0_4arch9wavefront6targetE1EEEvSY_
	.p2align	8
	.type	_ZN7rocprim17ROCPRIM_400000_NS6detail17trampoline_kernelINS0_13select_configILj256ELj13ELNS0_17block_load_methodE3ELS4_3ELS4_3ELNS0_20block_scan_algorithmE0ELj4294967295EEENS1_25partition_config_selectorILNS1_17partition_subalgoE3EjNS0_10empty_typeEbEEZZNS1_14partition_implILS8_3ELb0ES6_jNS0_17counting_iteratorIjlEEPS9_SE_NS0_5tupleIJPjSE_EEENSF_IJSE_SE_EEES9_SG_JZNS1_25segmented_radix_sort_implINS0_14default_configELb0EPKaPaPKlPlN2at6native12_GLOBAL__N_18offset_tEEE10hipError_tPvRmT1_PNSt15iterator_traitsISY_E10value_typeET2_T3_PNSZ_IS14_E10value_typeET4_jRbjT5_S1A_jjP12ihipStream_tbEUljE_EEESV_SW_SX_S14_S18_S1A_T6_T7_T9_mT8_S1C_bDpT10_ENKUlT_T0_E_clISt17integral_constantIbLb1EES1P_EEDaS1K_S1L_EUlS1K_E_NS1_11comp_targetILNS1_3genE5ELNS1_11target_archE942ELNS1_3gpuE9ELNS1_3repE0EEENS1_30default_config_static_selectorELNS0_4arch9wavefront6targetE1EEEvSY_,@function
_ZN7rocprim17ROCPRIM_400000_NS6detail17trampoline_kernelINS0_13select_configILj256ELj13ELNS0_17block_load_methodE3ELS4_3ELS4_3ELNS0_20block_scan_algorithmE0ELj4294967295EEENS1_25partition_config_selectorILNS1_17partition_subalgoE3EjNS0_10empty_typeEbEEZZNS1_14partition_implILS8_3ELb0ES6_jNS0_17counting_iteratorIjlEEPS9_SE_NS0_5tupleIJPjSE_EEENSF_IJSE_SE_EEES9_SG_JZNS1_25segmented_radix_sort_implINS0_14default_configELb0EPKaPaPKlPlN2at6native12_GLOBAL__N_18offset_tEEE10hipError_tPvRmT1_PNSt15iterator_traitsISY_E10value_typeET2_T3_PNSZ_IS14_E10value_typeET4_jRbjT5_S1A_jjP12ihipStream_tbEUljE_EEESV_SW_SX_S14_S18_S1A_T6_T7_T9_mT8_S1C_bDpT10_ENKUlT_T0_E_clISt17integral_constantIbLb1EES1P_EEDaS1K_S1L_EUlS1K_E_NS1_11comp_targetILNS1_3genE5ELNS1_11target_archE942ELNS1_3gpuE9ELNS1_3repE0EEENS1_30default_config_static_selectorELNS0_4arch9wavefront6targetE1EEEvSY_: ; @_ZN7rocprim17ROCPRIM_400000_NS6detail17trampoline_kernelINS0_13select_configILj256ELj13ELNS0_17block_load_methodE3ELS4_3ELS4_3ELNS0_20block_scan_algorithmE0ELj4294967295EEENS1_25partition_config_selectorILNS1_17partition_subalgoE3EjNS0_10empty_typeEbEEZZNS1_14partition_implILS8_3ELb0ES6_jNS0_17counting_iteratorIjlEEPS9_SE_NS0_5tupleIJPjSE_EEENSF_IJSE_SE_EEES9_SG_JZNS1_25segmented_radix_sort_implINS0_14default_configELb0EPKaPaPKlPlN2at6native12_GLOBAL__N_18offset_tEEE10hipError_tPvRmT1_PNSt15iterator_traitsISY_E10value_typeET2_T3_PNSZ_IS14_E10value_typeET4_jRbjT5_S1A_jjP12ihipStream_tbEUljE_EEESV_SW_SX_S14_S18_S1A_T6_T7_T9_mT8_S1C_bDpT10_ENKUlT_T0_E_clISt17integral_constantIbLb1EES1P_EEDaS1K_S1L_EUlS1K_E_NS1_11comp_targetILNS1_3genE5ELNS1_11target_archE942ELNS1_3gpuE9ELNS1_3repE0EEENS1_30default_config_static_selectorELNS0_4arch9wavefront6targetE1EEEvSY_
; %bb.0:
	.section	.rodata,"a",@progbits
	.p2align	6, 0x0
	.amdhsa_kernel _ZN7rocprim17ROCPRIM_400000_NS6detail17trampoline_kernelINS0_13select_configILj256ELj13ELNS0_17block_load_methodE3ELS4_3ELS4_3ELNS0_20block_scan_algorithmE0ELj4294967295EEENS1_25partition_config_selectorILNS1_17partition_subalgoE3EjNS0_10empty_typeEbEEZZNS1_14partition_implILS8_3ELb0ES6_jNS0_17counting_iteratorIjlEEPS9_SE_NS0_5tupleIJPjSE_EEENSF_IJSE_SE_EEES9_SG_JZNS1_25segmented_radix_sort_implINS0_14default_configELb0EPKaPaPKlPlN2at6native12_GLOBAL__N_18offset_tEEE10hipError_tPvRmT1_PNSt15iterator_traitsISY_E10value_typeET2_T3_PNSZ_IS14_E10value_typeET4_jRbjT5_S1A_jjP12ihipStream_tbEUljE_EEESV_SW_SX_S14_S18_S1A_T6_T7_T9_mT8_S1C_bDpT10_ENKUlT_T0_E_clISt17integral_constantIbLb1EES1P_EEDaS1K_S1L_EUlS1K_E_NS1_11comp_targetILNS1_3genE5ELNS1_11target_archE942ELNS1_3gpuE9ELNS1_3repE0EEENS1_30default_config_static_selectorELNS0_4arch9wavefront6targetE1EEEvSY_
		.amdhsa_group_segment_fixed_size 0
		.amdhsa_private_segment_fixed_size 0
		.amdhsa_kernarg_size 152
		.amdhsa_user_sgpr_count 6
		.amdhsa_user_sgpr_private_segment_buffer 1
		.amdhsa_user_sgpr_dispatch_ptr 0
		.amdhsa_user_sgpr_queue_ptr 0
		.amdhsa_user_sgpr_kernarg_segment_ptr 1
		.amdhsa_user_sgpr_dispatch_id 0
		.amdhsa_user_sgpr_flat_scratch_init 0
		.amdhsa_user_sgpr_kernarg_preload_length 0
		.amdhsa_user_sgpr_kernarg_preload_offset 0
		.amdhsa_user_sgpr_private_segment_size 0
		.amdhsa_uses_dynamic_stack 0
		.amdhsa_system_sgpr_private_segment_wavefront_offset 0
		.amdhsa_system_sgpr_workgroup_id_x 1
		.amdhsa_system_sgpr_workgroup_id_y 0
		.amdhsa_system_sgpr_workgroup_id_z 0
		.amdhsa_system_sgpr_workgroup_info 0
		.amdhsa_system_vgpr_workitem_id 0
		.amdhsa_next_free_vgpr 1
		.amdhsa_next_free_sgpr 0
		.amdhsa_accum_offset 4
		.amdhsa_reserve_vcc 0
		.amdhsa_reserve_flat_scratch 0
		.amdhsa_float_round_mode_32 0
		.amdhsa_float_round_mode_16_64 0
		.amdhsa_float_denorm_mode_32 3
		.amdhsa_float_denorm_mode_16_64 3
		.amdhsa_dx10_clamp 1
		.amdhsa_ieee_mode 1
		.amdhsa_fp16_overflow 0
		.amdhsa_tg_split 0
		.amdhsa_exception_fp_ieee_invalid_op 0
		.amdhsa_exception_fp_denorm_src 0
		.amdhsa_exception_fp_ieee_div_zero 0
		.amdhsa_exception_fp_ieee_overflow 0
		.amdhsa_exception_fp_ieee_underflow 0
		.amdhsa_exception_fp_ieee_inexact 0
		.amdhsa_exception_int_div_zero 0
	.end_amdhsa_kernel
	.section	.text._ZN7rocprim17ROCPRIM_400000_NS6detail17trampoline_kernelINS0_13select_configILj256ELj13ELNS0_17block_load_methodE3ELS4_3ELS4_3ELNS0_20block_scan_algorithmE0ELj4294967295EEENS1_25partition_config_selectorILNS1_17partition_subalgoE3EjNS0_10empty_typeEbEEZZNS1_14partition_implILS8_3ELb0ES6_jNS0_17counting_iteratorIjlEEPS9_SE_NS0_5tupleIJPjSE_EEENSF_IJSE_SE_EEES9_SG_JZNS1_25segmented_radix_sort_implINS0_14default_configELb0EPKaPaPKlPlN2at6native12_GLOBAL__N_18offset_tEEE10hipError_tPvRmT1_PNSt15iterator_traitsISY_E10value_typeET2_T3_PNSZ_IS14_E10value_typeET4_jRbjT5_S1A_jjP12ihipStream_tbEUljE_EEESV_SW_SX_S14_S18_S1A_T6_T7_T9_mT8_S1C_bDpT10_ENKUlT_T0_E_clISt17integral_constantIbLb1EES1P_EEDaS1K_S1L_EUlS1K_E_NS1_11comp_targetILNS1_3genE5ELNS1_11target_archE942ELNS1_3gpuE9ELNS1_3repE0EEENS1_30default_config_static_selectorELNS0_4arch9wavefront6targetE1EEEvSY_,"axG",@progbits,_ZN7rocprim17ROCPRIM_400000_NS6detail17trampoline_kernelINS0_13select_configILj256ELj13ELNS0_17block_load_methodE3ELS4_3ELS4_3ELNS0_20block_scan_algorithmE0ELj4294967295EEENS1_25partition_config_selectorILNS1_17partition_subalgoE3EjNS0_10empty_typeEbEEZZNS1_14partition_implILS8_3ELb0ES6_jNS0_17counting_iteratorIjlEEPS9_SE_NS0_5tupleIJPjSE_EEENSF_IJSE_SE_EEES9_SG_JZNS1_25segmented_radix_sort_implINS0_14default_configELb0EPKaPaPKlPlN2at6native12_GLOBAL__N_18offset_tEEE10hipError_tPvRmT1_PNSt15iterator_traitsISY_E10value_typeET2_T3_PNSZ_IS14_E10value_typeET4_jRbjT5_S1A_jjP12ihipStream_tbEUljE_EEESV_SW_SX_S14_S18_S1A_T6_T7_T9_mT8_S1C_bDpT10_ENKUlT_T0_E_clISt17integral_constantIbLb1EES1P_EEDaS1K_S1L_EUlS1K_E_NS1_11comp_targetILNS1_3genE5ELNS1_11target_archE942ELNS1_3gpuE9ELNS1_3repE0EEENS1_30default_config_static_selectorELNS0_4arch9wavefront6targetE1EEEvSY_,comdat
.Lfunc_end370:
	.size	_ZN7rocprim17ROCPRIM_400000_NS6detail17trampoline_kernelINS0_13select_configILj256ELj13ELNS0_17block_load_methodE3ELS4_3ELS4_3ELNS0_20block_scan_algorithmE0ELj4294967295EEENS1_25partition_config_selectorILNS1_17partition_subalgoE3EjNS0_10empty_typeEbEEZZNS1_14partition_implILS8_3ELb0ES6_jNS0_17counting_iteratorIjlEEPS9_SE_NS0_5tupleIJPjSE_EEENSF_IJSE_SE_EEES9_SG_JZNS1_25segmented_radix_sort_implINS0_14default_configELb0EPKaPaPKlPlN2at6native12_GLOBAL__N_18offset_tEEE10hipError_tPvRmT1_PNSt15iterator_traitsISY_E10value_typeET2_T3_PNSZ_IS14_E10value_typeET4_jRbjT5_S1A_jjP12ihipStream_tbEUljE_EEESV_SW_SX_S14_S18_S1A_T6_T7_T9_mT8_S1C_bDpT10_ENKUlT_T0_E_clISt17integral_constantIbLb1EES1P_EEDaS1K_S1L_EUlS1K_E_NS1_11comp_targetILNS1_3genE5ELNS1_11target_archE942ELNS1_3gpuE9ELNS1_3repE0EEENS1_30default_config_static_selectorELNS0_4arch9wavefront6targetE1EEEvSY_, .Lfunc_end370-_ZN7rocprim17ROCPRIM_400000_NS6detail17trampoline_kernelINS0_13select_configILj256ELj13ELNS0_17block_load_methodE3ELS4_3ELS4_3ELNS0_20block_scan_algorithmE0ELj4294967295EEENS1_25partition_config_selectorILNS1_17partition_subalgoE3EjNS0_10empty_typeEbEEZZNS1_14partition_implILS8_3ELb0ES6_jNS0_17counting_iteratorIjlEEPS9_SE_NS0_5tupleIJPjSE_EEENSF_IJSE_SE_EEES9_SG_JZNS1_25segmented_radix_sort_implINS0_14default_configELb0EPKaPaPKlPlN2at6native12_GLOBAL__N_18offset_tEEE10hipError_tPvRmT1_PNSt15iterator_traitsISY_E10value_typeET2_T3_PNSZ_IS14_E10value_typeET4_jRbjT5_S1A_jjP12ihipStream_tbEUljE_EEESV_SW_SX_S14_S18_S1A_T6_T7_T9_mT8_S1C_bDpT10_ENKUlT_T0_E_clISt17integral_constantIbLb1EES1P_EEDaS1K_S1L_EUlS1K_E_NS1_11comp_targetILNS1_3genE5ELNS1_11target_archE942ELNS1_3gpuE9ELNS1_3repE0EEENS1_30default_config_static_selectorELNS0_4arch9wavefront6targetE1EEEvSY_
                                        ; -- End function
	.section	.AMDGPU.csdata,"",@progbits
; Kernel info:
; codeLenInByte = 0
; NumSgprs: 4
; NumVgprs: 0
; NumAgprs: 0
; TotalNumVgprs: 0
; ScratchSize: 0
; MemoryBound: 0
; FloatMode: 240
; IeeeMode: 1
; LDSByteSize: 0 bytes/workgroup (compile time only)
; SGPRBlocks: 0
; VGPRBlocks: 0
; NumSGPRsForWavesPerEU: 4
; NumVGPRsForWavesPerEU: 1
; AccumOffset: 4
; Occupancy: 8
; WaveLimiterHint : 0
; COMPUTE_PGM_RSRC2:SCRATCH_EN: 0
; COMPUTE_PGM_RSRC2:USER_SGPR: 6
; COMPUTE_PGM_RSRC2:TRAP_HANDLER: 0
; COMPUTE_PGM_RSRC2:TGID_X_EN: 1
; COMPUTE_PGM_RSRC2:TGID_Y_EN: 0
; COMPUTE_PGM_RSRC2:TGID_Z_EN: 0
; COMPUTE_PGM_RSRC2:TIDIG_COMP_CNT: 0
; COMPUTE_PGM_RSRC3_GFX90A:ACCUM_OFFSET: 0
; COMPUTE_PGM_RSRC3_GFX90A:TG_SPLIT: 0
	.section	.text._ZN7rocprim17ROCPRIM_400000_NS6detail17trampoline_kernelINS0_13select_configILj256ELj13ELNS0_17block_load_methodE3ELS4_3ELS4_3ELNS0_20block_scan_algorithmE0ELj4294967295EEENS1_25partition_config_selectorILNS1_17partition_subalgoE3EjNS0_10empty_typeEbEEZZNS1_14partition_implILS8_3ELb0ES6_jNS0_17counting_iteratorIjlEEPS9_SE_NS0_5tupleIJPjSE_EEENSF_IJSE_SE_EEES9_SG_JZNS1_25segmented_radix_sort_implINS0_14default_configELb0EPKaPaPKlPlN2at6native12_GLOBAL__N_18offset_tEEE10hipError_tPvRmT1_PNSt15iterator_traitsISY_E10value_typeET2_T3_PNSZ_IS14_E10value_typeET4_jRbjT5_S1A_jjP12ihipStream_tbEUljE_EEESV_SW_SX_S14_S18_S1A_T6_T7_T9_mT8_S1C_bDpT10_ENKUlT_T0_E_clISt17integral_constantIbLb1EES1P_EEDaS1K_S1L_EUlS1K_E_NS1_11comp_targetILNS1_3genE4ELNS1_11target_archE910ELNS1_3gpuE8ELNS1_3repE0EEENS1_30default_config_static_selectorELNS0_4arch9wavefront6targetE1EEEvSY_,"axG",@progbits,_ZN7rocprim17ROCPRIM_400000_NS6detail17trampoline_kernelINS0_13select_configILj256ELj13ELNS0_17block_load_methodE3ELS4_3ELS4_3ELNS0_20block_scan_algorithmE0ELj4294967295EEENS1_25partition_config_selectorILNS1_17partition_subalgoE3EjNS0_10empty_typeEbEEZZNS1_14partition_implILS8_3ELb0ES6_jNS0_17counting_iteratorIjlEEPS9_SE_NS0_5tupleIJPjSE_EEENSF_IJSE_SE_EEES9_SG_JZNS1_25segmented_radix_sort_implINS0_14default_configELb0EPKaPaPKlPlN2at6native12_GLOBAL__N_18offset_tEEE10hipError_tPvRmT1_PNSt15iterator_traitsISY_E10value_typeET2_T3_PNSZ_IS14_E10value_typeET4_jRbjT5_S1A_jjP12ihipStream_tbEUljE_EEESV_SW_SX_S14_S18_S1A_T6_T7_T9_mT8_S1C_bDpT10_ENKUlT_T0_E_clISt17integral_constantIbLb1EES1P_EEDaS1K_S1L_EUlS1K_E_NS1_11comp_targetILNS1_3genE4ELNS1_11target_archE910ELNS1_3gpuE8ELNS1_3repE0EEENS1_30default_config_static_selectorELNS0_4arch9wavefront6targetE1EEEvSY_,comdat
	.globl	_ZN7rocprim17ROCPRIM_400000_NS6detail17trampoline_kernelINS0_13select_configILj256ELj13ELNS0_17block_load_methodE3ELS4_3ELS4_3ELNS0_20block_scan_algorithmE0ELj4294967295EEENS1_25partition_config_selectorILNS1_17partition_subalgoE3EjNS0_10empty_typeEbEEZZNS1_14partition_implILS8_3ELb0ES6_jNS0_17counting_iteratorIjlEEPS9_SE_NS0_5tupleIJPjSE_EEENSF_IJSE_SE_EEES9_SG_JZNS1_25segmented_radix_sort_implINS0_14default_configELb0EPKaPaPKlPlN2at6native12_GLOBAL__N_18offset_tEEE10hipError_tPvRmT1_PNSt15iterator_traitsISY_E10value_typeET2_T3_PNSZ_IS14_E10value_typeET4_jRbjT5_S1A_jjP12ihipStream_tbEUljE_EEESV_SW_SX_S14_S18_S1A_T6_T7_T9_mT8_S1C_bDpT10_ENKUlT_T0_E_clISt17integral_constantIbLb1EES1P_EEDaS1K_S1L_EUlS1K_E_NS1_11comp_targetILNS1_3genE4ELNS1_11target_archE910ELNS1_3gpuE8ELNS1_3repE0EEENS1_30default_config_static_selectorELNS0_4arch9wavefront6targetE1EEEvSY_ ; -- Begin function _ZN7rocprim17ROCPRIM_400000_NS6detail17trampoline_kernelINS0_13select_configILj256ELj13ELNS0_17block_load_methodE3ELS4_3ELS4_3ELNS0_20block_scan_algorithmE0ELj4294967295EEENS1_25partition_config_selectorILNS1_17partition_subalgoE3EjNS0_10empty_typeEbEEZZNS1_14partition_implILS8_3ELb0ES6_jNS0_17counting_iteratorIjlEEPS9_SE_NS0_5tupleIJPjSE_EEENSF_IJSE_SE_EEES9_SG_JZNS1_25segmented_radix_sort_implINS0_14default_configELb0EPKaPaPKlPlN2at6native12_GLOBAL__N_18offset_tEEE10hipError_tPvRmT1_PNSt15iterator_traitsISY_E10value_typeET2_T3_PNSZ_IS14_E10value_typeET4_jRbjT5_S1A_jjP12ihipStream_tbEUljE_EEESV_SW_SX_S14_S18_S1A_T6_T7_T9_mT8_S1C_bDpT10_ENKUlT_T0_E_clISt17integral_constantIbLb1EES1P_EEDaS1K_S1L_EUlS1K_E_NS1_11comp_targetILNS1_3genE4ELNS1_11target_archE910ELNS1_3gpuE8ELNS1_3repE0EEENS1_30default_config_static_selectorELNS0_4arch9wavefront6targetE1EEEvSY_
	.p2align	8
	.type	_ZN7rocprim17ROCPRIM_400000_NS6detail17trampoline_kernelINS0_13select_configILj256ELj13ELNS0_17block_load_methodE3ELS4_3ELS4_3ELNS0_20block_scan_algorithmE0ELj4294967295EEENS1_25partition_config_selectorILNS1_17partition_subalgoE3EjNS0_10empty_typeEbEEZZNS1_14partition_implILS8_3ELb0ES6_jNS0_17counting_iteratorIjlEEPS9_SE_NS0_5tupleIJPjSE_EEENSF_IJSE_SE_EEES9_SG_JZNS1_25segmented_radix_sort_implINS0_14default_configELb0EPKaPaPKlPlN2at6native12_GLOBAL__N_18offset_tEEE10hipError_tPvRmT1_PNSt15iterator_traitsISY_E10value_typeET2_T3_PNSZ_IS14_E10value_typeET4_jRbjT5_S1A_jjP12ihipStream_tbEUljE_EEESV_SW_SX_S14_S18_S1A_T6_T7_T9_mT8_S1C_bDpT10_ENKUlT_T0_E_clISt17integral_constantIbLb1EES1P_EEDaS1K_S1L_EUlS1K_E_NS1_11comp_targetILNS1_3genE4ELNS1_11target_archE910ELNS1_3gpuE8ELNS1_3repE0EEENS1_30default_config_static_selectorELNS0_4arch9wavefront6targetE1EEEvSY_,@function
_ZN7rocprim17ROCPRIM_400000_NS6detail17trampoline_kernelINS0_13select_configILj256ELj13ELNS0_17block_load_methodE3ELS4_3ELS4_3ELNS0_20block_scan_algorithmE0ELj4294967295EEENS1_25partition_config_selectorILNS1_17partition_subalgoE3EjNS0_10empty_typeEbEEZZNS1_14partition_implILS8_3ELb0ES6_jNS0_17counting_iteratorIjlEEPS9_SE_NS0_5tupleIJPjSE_EEENSF_IJSE_SE_EEES9_SG_JZNS1_25segmented_radix_sort_implINS0_14default_configELb0EPKaPaPKlPlN2at6native12_GLOBAL__N_18offset_tEEE10hipError_tPvRmT1_PNSt15iterator_traitsISY_E10value_typeET2_T3_PNSZ_IS14_E10value_typeET4_jRbjT5_S1A_jjP12ihipStream_tbEUljE_EEESV_SW_SX_S14_S18_S1A_T6_T7_T9_mT8_S1C_bDpT10_ENKUlT_T0_E_clISt17integral_constantIbLb1EES1P_EEDaS1K_S1L_EUlS1K_E_NS1_11comp_targetILNS1_3genE4ELNS1_11target_archE910ELNS1_3gpuE8ELNS1_3repE0EEENS1_30default_config_static_selectorELNS0_4arch9wavefront6targetE1EEEvSY_: ; @_ZN7rocprim17ROCPRIM_400000_NS6detail17trampoline_kernelINS0_13select_configILj256ELj13ELNS0_17block_load_methodE3ELS4_3ELS4_3ELNS0_20block_scan_algorithmE0ELj4294967295EEENS1_25partition_config_selectorILNS1_17partition_subalgoE3EjNS0_10empty_typeEbEEZZNS1_14partition_implILS8_3ELb0ES6_jNS0_17counting_iteratorIjlEEPS9_SE_NS0_5tupleIJPjSE_EEENSF_IJSE_SE_EEES9_SG_JZNS1_25segmented_radix_sort_implINS0_14default_configELb0EPKaPaPKlPlN2at6native12_GLOBAL__N_18offset_tEEE10hipError_tPvRmT1_PNSt15iterator_traitsISY_E10value_typeET2_T3_PNSZ_IS14_E10value_typeET4_jRbjT5_S1A_jjP12ihipStream_tbEUljE_EEESV_SW_SX_S14_S18_S1A_T6_T7_T9_mT8_S1C_bDpT10_ENKUlT_T0_E_clISt17integral_constantIbLb1EES1P_EEDaS1K_S1L_EUlS1K_E_NS1_11comp_targetILNS1_3genE4ELNS1_11target_archE910ELNS1_3gpuE8ELNS1_3repE0EEENS1_30default_config_static_selectorELNS0_4arch9wavefront6targetE1EEEvSY_
; %bb.0:
	s_load_dwordx2 s[28:29], s[4:5], 0x10
	s_load_dwordx2 s[24:25], s[4:5], 0x28
	;; [unrolled: 1-line block ×3, first 2 shown]
	s_load_dwordx4 s[20:23], s[4:5], 0x48
	s_load_dword s14, s[4:5], 0x90
	s_load_dwordx2 s[30:31], s[4:5], 0x68
	s_load_dwordx4 s[8:11], s[4:5], 0x80
	v_cmp_eq_u32_e64 s[0:1], 0, v0
	s_and_saveexec_b64 s[2:3], s[0:1]
	s_cbranch_execz .LBB371_4
; %bb.1:
	s_mov_b64 s[12:13], exec
	v_mbcnt_lo_u32_b32 v1, s12, 0
	v_mbcnt_hi_u32_b32 v1, s13, v1
	v_cmp_eq_u32_e32 vcc, 0, v1
                                        ; implicit-def: $vgpr2
	s_and_saveexec_b64 s[6:7], vcc
	s_cbranch_execz .LBB371_3
; %bb.2:
	s_load_dwordx2 s[16:17], s[4:5], 0x78
	s_bcnt1_i32_b64 s12, s[12:13]
	v_mov_b32_e32 v2, 0
	v_mov_b32_e32 v3, s12
	s_waitcnt lgkmcnt(0)
	global_atomic_add v2, v2, v3, s[16:17] glc
.LBB371_3:
	s_or_b64 exec, exec, s[6:7]
	s_waitcnt vmcnt(0)
	v_readfirstlane_b32 s6, v2
	v_add_u32_e32 v1, s6, v1
	v_mov_b32_e32 v2, 0
	ds_write_b32 v2, v1
.LBB371_4:
	s_or_b64 exec, exec, s[2:3]
	v_mov_b32_e32 v1, 0
	s_load_dword s2, s[4:5], 0x8
	s_load_dword s6, s[4:5], 0x70
	s_waitcnt lgkmcnt(0)
	s_barrier
	ds_read_b32 v2, v1
	s_waitcnt lgkmcnt(0)
	s_barrier
	global_load_dwordx2 v[20:21], v1, s[22:23]
	s_add_i32 s7, s2, s28
	s_movk_i32 s2, 0xd00
	s_add_i32 s4, s6, -1
	s_mulk_i32 s6, 0xd00
	v_mul_lo_u32 v1, v2, s2
	s_add_u32 s2, s28, s6
	v_readfirstlane_b32 s40, v2
	s_addc_u32 s3, s29, 0
	s_cmp_eq_u32 s40, s4
	v_pk_mov_b32 v[2:3], s[26:27], s[26:27] op_sel:[0,1]
	s_cselect_b64 s[22:23], -1, 0
	s_cmp_lg_u32 s40, s4
	v_cmp_lt_u64_e32 vcc, s[2:3], v[2:3]
	s_cselect_b64 s[2:3], -1, 0
	s_or_b64 s[4:5], vcc, s[2:3]
	v_add_u32_e32 v2, s7, v1
	s_mov_b64 s[2:3], -1
	s_and_b64 vcc, exec, s[4:5]
	v_add_u32_e32 v2, v2, v0
	v_lshlrev_b32_e32 v34, 2, v0
	s_cbranch_vccz .LBB371_6
; %bb.5:
	v_add_u32_e32 v3, 0x100, v2
	v_add_u32_e32 v4, 0x200, v2
	;; [unrolled: 1-line block ×12, first 2 shown]
	ds_write2st64_b32 v34, v2, v3 offset1:4
	ds_write2st64_b32 v34, v4, v5 offset0:8 offset1:12
	ds_write2st64_b32 v34, v6, v7 offset0:16 offset1:20
	;; [unrolled: 1-line block ×5, first 2 shown]
	ds_write_b32 v34, v14 offset:12288
	s_waitcnt lgkmcnt(0)
	s_barrier
	s_mov_b64 s[2:3], 0
.LBB371_6:
	s_andn2_b64 vcc, exec, s[2:3]
	s_add_i32 s6, s6, s28
	s_cbranch_vccnz .LBB371_8
; %bb.7:
	v_add_u32_e32 v3, 0x100, v2
	v_add_u32_e32 v4, 0x200, v2
	;; [unrolled: 1-line block ×12, first 2 shown]
	ds_write2st64_b32 v34, v2, v3 offset1:4
	ds_write2st64_b32 v34, v4, v5 offset0:8 offset1:12
	ds_write2st64_b32 v34, v6, v7 offset0:16 offset1:20
	;; [unrolled: 1-line block ×5, first 2 shown]
	ds_write_b32 v34, v14 offset:12288
	s_waitcnt lgkmcnt(0)
	s_barrier
.LBB371_8:
	v_mul_u32_u24_e32 v36, 13, v0
	v_lshlrev_b32_e32 v2, 2, v36
	ds_read2_b32 v[32:33], v2 offset1:1
	ds_read2_b32 v[30:31], v2 offset0:2 offset1:3
	ds_read2_b32 v[28:29], v2 offset0:4 offset1:5
	;; [unrolled: 1-line block ×5, first 2 shown]
	ds_read_b32 v35, v2 offset:48
	v_cndmask_b32_e64 v2, 0, 1, s[4:5]
	s_sub_i32 s33, s26, s6
	v_cmp_ne_u32_e64 s[2:3], 1, v2
	s_andn2_b64 vcc, exec, s[4:5]
	s_waitcnt lgkmcnt(0)
	s_barrier
	s_cbranch_vccnz .LBB371_10
; %bb.9:
	v_add_u32_e32 v2, s9, v32
	v_add_u32_e32 v3, s11, v32
	v_mul_lo_u32 v2, v2, s8
	v_mul_lo_u32 v3, v3, s10
	v_sub_u32_e32 v2, v2, v3
	v_add_u32_e32 v3, s9, v33
	v_add_u32_e32 v4, s11, v33
	v_mul_lo_u32 v3, v3, s8
	v_mul_lo_u32 v4, v4, s10
	v_sub_u32_e32 v3, v3, v4
	;; [unrolled: 5-line block ×6, first 2 shown]
	v_add_u32_e32 v8, s9, v26
	v_add_u32_e32 v9, s11, v26
	v_mul_lo_u32 v8, v8, s8
	v_mul_lo_u32 v9, v9, s10
	v_cmp_lt_u32_e32 vcc, s14, v2
	v_sub_u32_e32 v8, v8, v9
	v_add_u32_e32 v9, s9, v27
	v_add_u32_e32 v10, s11, v27
	v_cndmask_b32_e64 v2, 0, 1, vcc
	v_cmp_lt_u32_e32 vcc, s14, v3
	v_mul_lo_u32 v9, v9, s8
	v_mul_lo_u32 v10, v10, s10
	v_cndmask_b32_e64 v3, 0, 1, vcc
	v_cmp_lt_u32_e32 vcc, s14, v4
	v_sub_u32_e32 v9, v9, v10
	v_add_u32_e32 v10, s9, v24
	v_add_u32_e32 v11, s11, v24
	v_cndmask_b32_e64 v4, 0, 1, vcc
	v_cmp_lt_u32_e32 vcc, s14, v5
	v_mul_lo_u32 v10, v10, s8
	v_mul_lo_u32 v11, v11, s10
	v_cndmask_b32_e64 v5, 0, 1, vcc
	;; [unrolled: 9-line block ×4, first 2 shown]
	v_cmp_lt_u32_e32 vcc, s14, v10
	v_sub_u32_e32 v12, v12, v13
	v_add_u32_e32 v13, s9, v23
	v_add_u32_e32 v14, s11, v23
	v_lshlrev_b16_e32 v3, 8, v3
	v_cndmask_b32_e64 v10, 0, 1, vcc
	v_cmp_lt_u32_e32 vcc, s14, v11
	v_mul_lo_u32 v13, v13, s8
	v_mul_lo_u32 v14, v14, s10
	v_or_b32_e32 v2, v2, v3
	v_lshlrev_b16_e32 v3, 8, v5
	v_cndmask_b32_e64 v11, 0, 1, vcc
	v_cmp_lt_u32_e32 vcc, s14, v12
	v_sub_u32_e32 v13, v13, v14
	v_or_b32_sdwa v3, v4, v3 dst_sel:WORD_1 dst_unused:UNUSED_PAD src0_sel:DWORD src1_sel:DWORD
	v_cndmask_b32_e64 v12, 0, 1, vcc
	v_cmp_lt_u32_e32 vcc, s14, v13
	v_add_u32_e32 v14, s9, v35
	v_add_u32_e32 v15, s11, v35
	v_or_b32_sdwa v40, v2, v3 dst_sel:DWORD dst_unused:UNUSED_PAD src0_sel:WORD_0 src1_sel:DWORD
	v_lshlrev_b16_e32 v2, 8, v7
	v_lshlrev_b16_e32 v3, 8, v9
	v_cndmask_b32_e64 v13, 0, 1, vcc
	v_mul_lo_u32 v14, v14, s8
	v_mul_lo_u32 v15, v15, s10
	v_or_b32_e32 v2, v6, v2
	v_or_b32_sdwa v3, v8, v3 dst_sel:WORD_1 dst_unused:UNUSED_PAD src0_sel:DWORD src1_sel:DWORD
	v_sub_u32_e32 v14, v14, v15
	v_or_b32_sdwa v39, v2, v3 dst_sel:DWORD dst_unused:UNUSED_PAD src0_sel:WORD_0 src1_sel:DWORD
	v_lshlrev_b16_e32 v2, 8, v11
	v_lshlrev_b16_e32 v3, 8, v13
	v_cmp_lt_u32_e32 vcc, s14, v14
	v_or_b32_e32 v2, v10, v2
	v_or_b32_sdwa v3, v12, v3 dst_sel:WORD_1 dst_unused:UNUSED_PAD src0_sel:DWORD src1_sel:DWORD
	v_cndmask_b32_e64 v37, 0, 1, vcc
	v_or_b32_sdwa v38, v2, v3 dst_sel:DWORD dst_unused:UNUSED_PAD src0_sel:WORD_0 src1_sel:DWORD
	s_addk_i32 s33, 0xd00
	s_cbranch_execz .LBB371_11
	s_branch .LBB371_38
.LBB371_10:
                                        ; implicit-def: $vgpr37
                                        ; implicit-def: $vgpr38
                                        ; implicit-def: $vgpr39
                                        ; implicit-def: $vgpr40
	s_addk_i32 s33, 0xd00
.LBB371_11:
	v_cmp_gt_u32_e32 vcc, s33, v36
	v_mov_b32_e32 v3, 0
	v_mov_b32_e32 v2, 0
	s_and_saveexec_b64 s[4:5], vcc
; %bb.12:
	v_add_u32_e32 v2, s9, v32
	v_add_u32_e32 v4, s11, v32
	v_mul_lo_u32 v2, v2, s8
	v_mul_lo_u32 v4, v4, s10
	v_sub_u32_e32 v2, v2, v4
	v_cmp_lt_u32_e32 vcc, s14, v2
	v_cndmask_b32_e64 v2, 0, 1, vcc
; %bb.13:
	s_or_b64 exec, exec, s[4:5]
	v_add_u32_e32 v4, 1, v36
	v_cmp_gt_u32_e32 vcc, s33, v4
	s_and_saveexec_b64 s[4:5], vcc
; %bb.14:
	v_add_u32_e32 v3, s9, v33
	v_add_u32_e32 v4, s11, v33
	v_mul_lo_u32 v3, v3, s8
	v_mul_lo_u32 v4, v4, s10
	v_sub_u32_e32 v3, v3, v4
	v_cmp_lt_u32_e32 vcc, s14, v3
	v_cndmask_b32_e64 v3, 0, 1, vcc
; %bb.15:
	s_or_b64 exec, exec, s[4:5]
	v_add_u32_e32 v4, 2, v36
	v_cmp_gt_u32_e32 vcc, s33, v4
	v_mov_b32_e32 v5, 0
	v_mov_b32_e32 v4, 0
	s_and_saveexec_b64 s[4:5], vcc
; %bb.16:
	v_add_u32_e32 v4, s9, v30
	v_add_u32_e32 v6, s11, v30
	v_mul_lo_u32 v4, v4, s8
	v_mul_lo_u32 v6, v6, s10
	v_sub_u32_e32 v4, v4, v6
	v_cmp_lt_u32_e32 vcc, s14, v4
	v_cndmask_b32_e64 v4, 0, 1, vcc
; %bb.17:
	s_or_b64 exec, exec, s[4:5]
	v_add_u32_e32 v6, 3, v36
	v_cmp_gt_u32_e32 vcc, s33, v6
	s_and_saveexec_b64 s[4:5], vcc
; %bb.18:
	v_add_u32_e32 v5, s9, v31
	v_add_u32_e32 v6, s11, v31
	v_mul_lo_u32 v5, v5, s8
	v_mul_lo_u32 v6, v6, s10
	v_sub_u32_e32 v5, v5, v6
	v_cmp_lt_u32_e32 vcc, s14, v5
	v_cndmask_b32_e64 v5, 0, 1, vcc
; %bb.19:
	s_or_b64 exec, exec, s[4:5]
	v_add_u32_e32 v6, 4, v36
	;; [unrolled: 28-line block ×6, first 2 shown]
	v_cmp_gt_u32_e32 vcc, s33, v14
	v_mov_b32_e32 v37, 0
	s_and_saveexec_b64 s[4:5], vcc
; %bb.36:
	v_add_u32_e32 v14, s9, v35
	v_add_u32_e32 v15, s11, v35
	v_mul_lo_u32 v14, v14, s8
	v_mul_lo_u32 v15, v15, s10
	v_sub_u32_e32 v14, v14, v15
	v_cmp_lt_u32_e32 vcc, s14, v14
	v_cndmask_b32_e64 v37, 0, 1, vcc
; %bb.37:
	s_or_b64 exec, exec, s[4:5]
	v_lshlrev_b16_e32 v3, 8, v3
	v_or_b32_e32 v2, v2, v3
	v_lshlrev_b16_e32 v3, 8, v5
	v_or_b32_sdwa v3, v4, v3 dst_sel:WORD_1 dst_unused:UNUSED_PAD src0_sel:DWORD src1_sel:DWORD
	v_or_b32_sdwa v40, v2, v3 dst_sel:DWORD dst_unused:UNUSED_PAD src0_sel:WORD_0 src1_sel:DWORD
	v_lshlrev_b16_e32 v2, 8, v7
	v_lshlrev_b16_e32 v3, 8, v9
	v_or_b32_e32 v2, v6, v2
	v_or_b32_sdwa v3, v8, v3 dst_sel:WORD_1 dst_unused:UNUSED_PAD src0_sel:DWORD src1_sel:DWORD
	v_or_b32_sdwa v39, v2, v3 dst_sel:DWORD dst_unused:UNUSED_PAD src0_sel:WORD_0 src1_sel:DWORD
	v_lshlrev_b16_e32 v2, 8, v11
	v_lshlrev_b16_e32 v3, 8, v13
	v_or_b32_e32 v2, v10, v2
	v_or_b32_sdwa v3, v12, v3 dst_sel:WORD_1 dst_unused:UNUSED_PAD src0_sel:DWORD src1_sel:DWORD
	v_or_b32_sdwa v38, v2, v3 dst_sel:DWORD dst_unused:UNUSED_PAD src0_sel:WORD_0 src1_sel:DWORD
.LBB371_38:
	v_and_b32_e32 v44, 0xff, v40
	v_bfe_u32 v45, v40, 8, 8
	v_bfe_u32 v46, v40, 16, 8
	v_lshrrev_b32_e32 v43, 24, v40
	v_and_b32_e32 v47, 0xff, v39
	v_add3_u32 v3, v45, v44, v46
	v_bfe_u32 v48, v39, 8, 8
	v_bfe_u32 v49, v39, 16, 8
	v_add3_u32 v3, v3, v43, v47
	v_lshrrev_b32_e32 v42, 24, v39
	v_and_b32_e32 v50, 0xff, v38
	v_add3_u32 v3, v3, v48, v49
	v_bfe_u32 v51, v38, 8, 8
	v_bfe_u32 v52, v38, 16, 8
	v_add3_u32 v3, v3, v42, v50
	v_lshrrev_b32_e32 v41, 24, v38
	v_and_b32_e32 v2, 0xff, v37
	v_add3_u32 v3, v3, v51, v52
	v_add3_u32 v55, v3, v41, v2
	v_mbcnt_lo_u32_b32 v2, -1, 0
	v_mbcnt_hi_u32_b32 v53, -1, v2
	v_and_b32_e32 v2, 15, v53
	v_cmp_eq_u32_e64 s[16:17], 0, v2
	v_cmp_lt_u32_e64 s[14:15], 1, v2
	v_cmp_lt_u32_e64 s[12:13], 3, v2
	;; [unrolled: 1-line block ×3, first 2 shown]
	v_and_b32_e32 v2, 16, v53
	v_cmp_eq_u32_e64 s[8:9], 0, v2
	v_or_b32_e32 v2, 63, v0
	s_cmp_lg_u32 s40, 0
	v_cmp_lt_u32_e64 s[4:5], 31, v53
	v_lshrrev_b32_e32 v54, 6, v0
	v_cmp_eq_u32_e64 s[6:7], v2, v0
	s_cbranch_scc0 .LBB371_69
; %bb.39:
	v_mov_b32_dpp v2, v55 row_shr:1 row_mask:0xf bank_mask:0xf
	v_cndmask_b32_e64 v2, v2, 0, s[16:17]
	v_add_u32_e32 v2, v2, v55
	s_nop 1
	v_mov_b32_dpp v3, v2 row_shr:2 row_mask:0xf bank_mask:0xf
	v_cndmask_b32_e64 v3, 0, v3, s[14:15]
	v_add_u32_e32 v2, v2, v3
	s_nop 1
	;; [unrolled: 4-line block ×4, first 2 shown]
	v_mov_b32_dpp v3, v2 row_bcast:15 row_mask:0xf bank_mask:0xf
	v_cndmask_b32_e64 v3, v3, 0, s[8:9]
	v_add_u32_e32 v2, v2, v3
	s_nop 1
	v_mov_b32_dpp v3, v2 row_bcast:31 row_mask:0xf bank_mask:0xf
	v_cndmask_b32_e64 v3, 0, v3, s[4:5]
	v_add_u32_e32 v2, v2, v3
	s_and_saveexec_b64 s[18:19], s[6:7]
	s_cbranch_execz .LBB371_41
; %bb.40:
	v_lshlrev_b32_e32 v3, 2, v54
	ds_write_b32 v3, v2
.LBB371_41:
	s_or_b64 exec, exec, s[18:19]
	v_cmp_gt_u32_e32 vcc, 4, v0
	s_waitcnt lgkmcnt(0)
	s_barrier
	s_and_saveexec_b64 s[18:19], vcc
	s_cbranch_execz .LBB371_43
; %bb.42:
	ds_read_b32 v3, v34
	v_and_b32_e32 v4, 3, v53
	v_cmp_ne_u32_e32 vcc, 0, v4
	s_waitcnt lgkmcnt(0)
	v_mov_b32_dpp v5, v3 row_shr:1 row_mask:0xf bank_mask:0xf
	v_cndmask_b32_e32 v5, 0, v5, vcc
	v_add_u32_e32 v3, v5, v3
	v_cmp_lt_u32_e32 vcc, 1, v4
	s_nop 0
	v_mov_b32_dpp v5, v3 row_shr:2 row_mask:0xf bank_mask:0xf
	v_cndmask_b32_e32 v4, 0, v5, vcc
	v_add_u32_e32 v3, v3, v4
	ds_write_b32 v34, v3
.LBB371_43:
	s_or_b64 exec, exec, s[18:19]
	v_cmp_gt_u32_e32 vcc, 64, v0
	v_cmp_lt_u32_e64 s[18:19], 63, v0
	s_waitcnt lgkmcnt(0)
	s_barrier
	s_waitcnt lgkmcnt(0)
                                        ; implicit-def: $vgpr12
	s_and_saveexec_b64 s[34:35], s[18:19]
	s_cbranch_execz .LBB371_45
; %bb.44:
	v_lshl_add_u32 v3, v54, 2, -4
	ds_read_b32 v12, v3
	s_waitcnt lgkmcnt(0)
	v_add_u32_e32 v2, v12, v2
.LBB371_45:
	s_or_b64 exec, exec, s[34:35]
	v_add_u32_e32 v3, -1, v53
	v_and_b32_e32 v4, 64, v53
	v_cmp_lt_i32_e64 s[18:19], v3, v4
	v_cndmask_b32_e64 v3, v3, v53, s[18:19]
	v_lshlrev_b32_e32 v3, 2, v3
	ds_bpermute_b32 v13, v3, v2
	v_cmp_eq_u32_e64 s[18:19], 0, v53
	s_and_saveexec_b64 s[34:35], vcc
	s_cbranch_execz .LBB371_68
; %bb.46:
	v_mov_b32_e32 v11, 0
	ds_read_b32 v2, v11 offset:12
	s_and_saveexec_b64 s[36:37], s[18:19]
	s_cbranch_execz .LBB371_48
; %bb.47:
	s_add_i32 s38, s40, 64
	s_mov_b32 s39, 0
	s_lshl_b64 s[38:39], s[38:39], 3
	s_add_u32 s38, s30, s38
	v_mov_b32_e32 v3, 1
	s_addc_u32 s39, s31, s39
	s_waitcnt lgkmcnt(0)
	global_store_dwordx2 v11, v[2:3], s[38:39]
.LBB371_48:
	s_or_b64 exec, exec, s[36:37]
	v_xad_u32 v4, v53, -1, s40
	v_add_u32_e32 v10, 64, v4
	v_lshlrev_b64 v[6:7], 3, v[10:11]
	v_mov_b32_e32 v3, s31
	v_add_co_u32_e32 v6, vcc, s30, v6
	v_addc_co_u32_e32 v7, vcc, v3, v7, vcc
	global_load_dwordx2 v[8:9], v[6:7], off glc
	s_waitcnt vmcnt(0)
	v_cmp_eq_u16_sdwa s[38:39], v9, v11 src0_sel:BYTE_0 src1_sel:DWORD
	s_and_saveexec_b64 s[36:37], s[38:39]
	s_cbranch_execz .LBB371_54
; %bb.49:
	s_mov_b32 s41, 1
	s_mov_b64 s[38:39], 0
	v_mov_b32_e32 v3, 0
.LBB371_50:                             ; =>This Loop Header: Depth=1
                                        ;     Child Loop BB371_51 Depth 2
	s_max_u32 s42, s41, 1
.LBB371_51:                             ;   Parent Loop BB371_50 Depth=1
                                        ; =>  This Inner Loop Header: Depth=2
	s_add_i32 s42, s42, -1
	s_cmp_eq_u32 s42, 0
	s_sleep 1
	s_cbranch_scc0 .LBB371_51
; %bb.52:                               ;   in Loop: Header=BB371_50 Depth=1
	global_load_dwordx2 v[8:9], v[6:7], off glc
	s_cmp_lt_u32 s41, 32
	s_cselect_b64 s[42:43], -1, 0
	s_cmp_lg_u64 s[42:43], 0
	s_addc_u32 s41, s41, 0
	s_waitcnt vmcnt(0)
	v_cmp_ne_u16_sdwa s[42:43], v9, v3 src0_sel:BYTE_0 src1_sel:DWORD
	s_or_b64 s[38:39], s[42:43], s[38:39]
	s_andn2_b64 exec, exec, s[38:39]
	s_cbranch_execnz .LBB371_50
; %bb.53:
	s_or_b64 exec, exec, s[38:39]
.LBB371_54:
	s_or_b64 exec, exec, s[36:37]
	v_and_b32_e32 v14, 63, v53
	v_mov_b32_e32 v3, 2
	v_cmp_ne_u32_e32 vcc, 63, v14
	v_cmp_eq_u16_sdwa s[36:37], v9, v3 src0_sel:BYTE_0 src1_sel:DWORD
	v_lshlrev_b64 v[6:7], v53, -1
	v_addc_co_u32_e32 v11, vcc, 0, v53, vcc
	v_and_b32_e32 v5, s37, v7
	v_lshlrev_b32_e32 v15, 2, v11
	v_or_b32_e32 v5, 0x80000000, v5
	ds_bpermute_b32 v11, v15, v8
	v_and_b32_e32 v10, s36, v6
	v_ffbl_b32_e32 v5, v5
	v_add_u32_e32 v5, 32, v5
	v_ffbl_b32_e32 v10, v10
	v_min_u32_e32 v5, v10, v5
	v_cmp_lt_u32_e32 vcc, v14, v5
	s_waitcnt lgkmcnt(0)
	v_cndmask_b32_e32 v10, 0, v11, vcc
	v_cmp_gt_u32_e32 vcc, 62, v14
	v_add_u32_e32 v8, v10, v8
	v_cndmask_b32_e64 v10, 0, 1, vcc
	v_lshlrev_b32_e32 v10, 1, v10
	v_add_lshl_u32 v16, v10, v53, 2
	ds_bpermute_b32 v10, v16, v8
	v_add_u32_e32 v17, 2, v14
	v_cmp_le_u32_e32 vcc, v17, v5
	v_add_u32_e32 v19, 4, v14
	v_add_u32_e32 v57, 8, v14
	s_waitcnt lgkmcnt(0)
	v_cndmask_b32_e32 v10, 0, v10, vcc
	v_cmp_gt_u32_e32 vcc, 60, v14
	v_add_u32_e32 v8, v8, v10
	v_cndmask_b32_e64 v10, 0, 1, vcc
	v_lshlrev_b32_e32 v10, 2, v10
	v_add_lshl_u32 v18, v10, v53, 2
	ds_bpermute_b32 v10, v18, v8
	v_cmp_le_u32_e32 vcc, v19, v5
	v_add_u32_e32 v60, 16, v14
	v_add_u32_e32 v62, 32, v14
	s_waitcnt lgkmcnt(0)
	v_cndmask_b32_e32 v10, 0, v10, vcc
	v_cmp_gt_u32_e32 vcc, 56, v14
	v_add_u32_e32 v8, v8, v10
	v_cndmask_b32_e64 v10, 0, 1, vcc
	v_lshlrev_b32_e32 v10, 3, v10
	v_add_lshl_u32 v56, v10, v53, 2
	ds_bpermute_b32 v10, v56, v8
	v_cmp_le_u32_e32 vcc, v57, v5
	s_waitcnt lgkmcnt(0)
	v_cndmask_b32_e32 v10, 0, v10, vcc
	v_cmp_gt_u32_e32 vcc, 48, v14
	v_add_u32_e32 v8, v8, v10
	v_cndmask_b32_e64 v10, 0, 1, vcc
	v_lshlrev_b32_e32 v10, 4, v10
	v_add_lshl_u32 v59, v10, v53, 2
	ds_bpermute_b32 v10, v59, v8
	v_cmp_le_u32_e32 vcc, v60, v5
	;; [unrolled: 9-line block ×3, first 2 shown]
	s_waitcnt lgkmcnt(0)
	v_cndmask_b32_e32 v5, 0, v10, vcc
	v_add_u32_e32 v8, v8, v5
	v_mov_b32_e32 v5, 0
	s_branch .LBB371_56
.LBB371_55:                             ;   in Loop: Header=BB371_56 Depth=1
	s_or_b64 exec, exec, s[36:37]
	v_cmp_eq_u16_sdwa s[36:37], v9, v3 src0_sel:BYTE_0 src1_sel:DWORD
	v_and_b32_e32 v10, s37, v7
	v_or_b32_e32 v10, 0x80000000, v10
	ds_bpermute_b32 v63, v15, v8
	v_and_b32_e32 v11, s36, v6
	v_ffbl_b32_e32 v10, v10
	v_add_u32_e32 v10, 32, v10
	v_ffbl_b32_e32 v11, v11
	v_min_u32_e32 v10, v11, v10
	v_cmp_lt_u32_e32 vcc, v14, v10
	s_waitcnt lgkmcnt(0)
	v_cndmask_b32_e32 v11, 0, v63, vcc
	v_add_u32_e32 v8, v11, v8
	ds_bpermute_b32 v11, v16, v8
	v_cmp_le_u32_e32 vcc, v17, v10
	v_subrev_u32_e32 v4, 64, v4
	s_waitcnt lgkmcnt(0)
	v_cndmask_b32_e32 v11, 0, v11, vcc
	v_add_u32_e32 v8, v8, v11
	ds_bpermute_b32 v11, v18, v8
	v_cmp_le_u32_e32 vcc, v19, v10
	s_waitcnt lgkmcnt(0)
	v_cndmask_b32_e32 v11, 0, v11, vcc
	v_add_u32_e32 v8, v8, v11
	ds_bpermute_b32 v11, v56, v8
	v_cmp_le_u32_e32 vcc, v57, v10
	;; [unrolled: 5-line block ×4, first 2 shown]
	s_waitcnt lgkmcnt(0)
	v_cndmask_b32_e32 v10, 0, v11, vcc
	v_add3_u32 v8, v10, v58, v8
.LBB371_56:                             ; =>This Loop Header: Depth=1
                                        ;     Child Loop BB371_59 Depth 2
                                        ;       Child Loop BB371_60 Depth 3
	v_cmp_ne_u16_sdwa s[36:37], v9, v3 src0_sel:BYTE_0 src1_sel:DWORD
	v_cndmask_b32_e64 v9, 0, 1, s[36:37]
	;;#ASMSTART
	;;#ASMEND
	v_cmp_ne_u32_e32 vcc, 0, v9
	s_cmp_lg_u64 vcc, exec
	v_mov_b32_e32 v58, v8
	s_cbranch_scc1 .LBB371_63
; %bb.57:                               ;   in Loop: Header=BB371_56 Depth=1
	v_lshlrev_b64 v[8:9], 3, v[4:5]
	v_mov_b32_e32 v11, s31
	v_add_co_u32_e32 v10, vcc, s30, v8
	v_addc_co_u32_e32 v11, vcc, v11, v9, vcc
	global_load_dwordx2 v[8:9], v[10:11], off glc
	s_waitcnt vmcnt(0)
	v_cmp_eq_u16_sdwa s[38:39], v9, v5 src0_sel:BYTE_0 src1_sel:DWORD
	s_and_saveexec_b64 s[36:37], s[38:39]
	s_cbranch_execz .LBB371_55
; %bb.58:                               ;   in Loop: Header=BB371_56 Depth=1
	s_mov_b32 s41, 1
	s_mov_b64 s[38:39], 0
.LBB371_59:                             ;   Parent Loop BB371_56 Depth=1
                                        ; =>  This Loop Header: Depth=2
                                        ;       Child Loop BB371_60 Depth 3
	s_max_u32 s42, s41, 1
.LBB371_60:                             ;   Parent Loop BB371_56 Depth=1
                                        ;     Parent Loop BB371_59 Depth=2
                                        ; =>    This Inner Loop Header: Depth=3
	s_add_i32 s42, s42, -1
	s_cmp_eq_u32 s42, 0
	s_sleep 1
	s_cbranch_scc0 .LBB371_60
; %bb.61:                               ;   in Loop: Header=BB371_59 Depth=2
	global_load_dwordx2 v[8:9], v[10:11], off glc
	s_cmp_lt_u32 s41, 32
	s_cselect_b64 s[42:43], -1, 0
	s_cmp_lg_u64 s[42:43], 0
	s_addc_u32 s41, s41, 0
	s_waitcnt vmcnt(0)
	v_cmp_ne_u16_sdwa s[42:43], v9, v5 src0_sel:BYTE_0 src1_sel:DWORD
	s_or_b64 s[38:39], s[42:43], s[38:39]
	s_andn2_b64 exec, exec, s[38:39]
	s_cbranch_execnz .LBB371_59
; %bb.62:                               ;   in Loop: Header=BB371_56 Depth=1
	s_or_b64 exec, exec, s[38:39]
	s_branch .LBB371_55
.LBB371_63:                             ;   in Loop: Header=BB371_56 Depth=1
                                        ; implicit-def: $vgpr8
                                        ; implicit-def: $vgpr9
	s_cbranch_execz .LBB371_56
; %bb.64:
	s_and_saveexec_b64 s[36:37], s[18:19]
	s_cbranch_execz .LBB371_66
; %bb.65:
	s_add_i32 s38, s40, 64
	s_mov_b32 s39, 0
	s_lshl_b64 s[38:39], s[38:39], 3
	s_add_u32 s38, s30, s38
	v_add_u32_e32 v4, v58, v2
	v_mov_b32_e32 v5, 2
	s_addc_u32 s39, s31, s39
	v_mov_b32_e32 v3, 0
	global_store_dwordx2 v3, v[4:5], s[38:39]
	s_movk_i32 s38, 0x3400
	v_add_u32_e64 v3, s38, 0
	ds_write2_b32 v3, v2, v58 offset1:2
.LBB371_66:
	s_or_b64 exec, exec, s[36:37]
	s_and_b64 exec, exec, s[0:1]
	s_cbranch_execz .LBB371_68
; %bb.67:
	v_mov_b32_e32 v2, 0
	ds_write_b32 v2, v58 offset:12
.LBB371_68:
	s_or_b64 exec, exec, s[34:35]
	v_mov_b32_e32 v2, 0
	s_waitcnt lgkmcnt(0)
	s_barrier
	ds_read_b32 v2, v2 offset:12
	v_cndmask_b32_e64 v3, v13, v12, s[18:19]
	v_cndmask_b32_e64 v3, v3, 0, s[0:1]
	s_movk_i32 s18, 0x3400
	v_add_u32_e64 v12, s18, 0
	s_waitcnt lgkmcnt(0)
	v_add_u32_e32 v2, v2, v3
	v_add_u32_e32 v3, v2, v44
	;; [unrolled: 1-line block ×9, first 2 shown]
	s_barrier
	ds_read2_b32 v[18:19], v12 offset1:2
	v_add_u32_e32 v11, v10, v50
	v_add_u32_e32 v12, v11, v51
	;; [unrolled: 1-line block ×4, first 2 shown]
	s_branch .LBB371_79
.LBB371_69:
                                        ; implicit-def: $vgpr19
                                        ; implicit-def: $vgpr2_vgpr3_vgpr4_vgpr5_vgpr6_vgpr7_vgpr8_vgpr9_vgpr10_vgpr11_vgpr12_vgpr13_vgpr14_vgpr15_vgpr16_vgpr17
	s_cbranch_execz .LBB371_79
; %bb.70:
	s_nop 0
	v_mov_b32_dpp v2, v55 row_shr:1 row_mask:0xf bank_mask:0xf
	v_cndmask_b32_e64 v2, v2, 0, s[16:17]
	v_add_u32_e32 v2, v2, v55
	s_nop 1
	v_mov_b32_dpp v3, v2 row_shr:2 row_mask:0xf bank_mask:0xf
	v_cndmask_b32_e64 v3, 0, v3, s[14:15]
	v_add_u32_e32 v2, v2, v3
	;; [unrolled: 4-line block ×4, first 2 shown]
	s_nop 1
	v_mov_b32_dpp v3, v2 row_bcast:15 row_mask:0xf bank_mask:0xf
	v_cndmask_b32_e64 v3, v3, 0, s[8:9]
	v_add_u32_e32 v2, v2, v3
	s_nop 1
	v_mov_b32_dpp v3, v2 row_bcast:31 row_mask:0xf bank_mask:0xf
	v_cndmask_b32_e64 v3, 0, v3, s[4:5]
	v_add_u32_e32 v2, v2, v3
	s_and_saveexec_b64 s[4:5], s[6:7]
	s_cbranch_execz .LBB371_72
; %bb.71:
	v_lshlrev_b32_e32 v3, 2, v54
	ds_write_b32 v3, v2
.LBB371_72:
	s_or_b64 exec, exec, s[4:5]
	v_cmp_gt_u32_e32 vcc, 4, v0
	s_waitcnt lgkmcnt(0)
	s_barrier
	s_and_saveexec_b64 s[4:5], vcc
	s_cbranch_execz .LBB371_74
; %bb.73:
	ds_read_b32 v3, v34
	v_and_b32_e32 v4, 3, v53
	v_cmp_ne_u32_e32 vcc, 0, v4
	s_waitcnt lgkmcnt(0)
	v_mov_b32_dpp v5, v3 row_shr:1 row_mask:0xf bank_mask:0xf
	v_cndmask_b32_e32 v5, 0, v5, vcc
	v_add_u32_e32 v3, v5, v3
	v_cmp_lt_u32_e32 vcc, 1, v4
	s_nop 0
	v_mov_b32_dpp v5, v3 row_shr:2 row_mask:0xf bank_mask:0xf
	v_cndmask_b32_e32 v4, 0, v5, vcc
	v_add_u32_e32 v3, v3, v4
	ds_write_b32 v34, v3
.LBB371_74:
	s_or_b64 exec, exec, s[4:5]
	v_cmp_lt_u32_e32 vcc, 63, v0
	v_mov_b32_e32 v4, 0
	v_mov_b32_e32 v3, 0
	s_waitcnt lgkmcnt(0)
	s_barrier
	s_and_saveexec_b64 s[4:5], vcc
	s_cbranch_execz .LBB371_76
; %bb.75:
	v_lshl_add_u32 v3, v54, 2, -4
	ds_read_b32 v3, v3
.LBB371_76:
	s_or_b64 exec, exec, s[4:5]
	v_add_u32_e32 v5, -1, v53
	v_and_b32_e32 v6, 64, v53
	v_cmp_lt_i32_e32 vcc, v5, v6
	v_cndmask_b32_e32 v5, v5, v53, vcc
	s_waitcnt lgkmcnt(0)
	v_add_u32_e32 v2, v3, v2
	v_lshlrev_b32_e32 v5, 2, v5
	ds_bpermute_b32 v2, v5, v2
	ds_read_b32 v18, v4 offset:12
	s_and_saveexec_b64 s[4:5], s[0:1]
	s_cbranch_execz .LBB371_78
; %bb.77:
	v_mov_b32_e32 v4, 0
	v_mov_b32_e32 v19, 2
	s_waitcnt lgkmcnt(0)
	global_store_dwordx2 v4, v[18:19], s[30:31] offset:512
.LBB371_78:
	s_or_b64 exec, exec, s[4:5]
	v_cmp_eq_u32_e32 vcc, 0, v53
	s_waitcnt lgkmcnt(1)
	v_cndmask_b32_e32 v2, v2, v3, vcc
	v_cndmask_b32_e64 v2, v2, 0, s[0:1]
	v_add_u32_e32 v3, v2, v44
	v_add_u32_e32 v4, v3, v45
	;; [unrolled: 1-line block ×11, first 2 shown]
	v_mov_b32_e32 v19, 0
	v_add_u32_e32 v14, v13, v41
	s_waitcnt lgkmcnt(0)
	s_barrier
.LBB371_79:
	s_waitcnt lgkmcnt(0)
	v_add_u32_e32 v36, v18, v36
	v_sub_u32_e32 v2, v2, v19
	v_and_b32_e32 v45, 1, v40
	v_sub_u32_e32 v44, v36, v2
	v_cmp_eq_u32_e32 vcc, 1, v45
	v_cndmask_b32_e32 v2, v44, v2, vcc
	v_lshlrev_b32_e32 v2, 2, v2
	v_lshrrev_b32_e32 v17, 8, v40
	ds_write_b32 v2, v32
	v_sub_u32_e32 v2, v3, v19
	v_sub_u32_e32 v3, v36, v2
	v_and_b32_e32 v17, 1, v17
	v_add_u32_e32 v3, 1, v3
	v_cmp_eq_u32_e32 vcc, 1, v17
	v_cndmask_b32_e32 v2, v3, v2, vcc
	v_lshlrev_b32_e32 v2, 2, v2
	ds_write_b32 v2, v33
	v_sub_u32_e32 v2, v4, v19
	v_mov_b32_e32 v4, 1
	v_sub_u32_e32 v3, v36, v2
	v_and_b32_sdwa v17, v4, v40 dst_sel:DWORD dst_unused:UNUSED_PAD src0_sel:DWORD src1_sel:WORD_1
	v_add_u32_e32 v3, 2, v3
	v_cmp_eq_u32_e32 vcc, 1, v17
	v_cndmask_b32_e32 v2, v3, v2, vcc
	v_lshlrev_b32_e32 v2, 2, v2
	ds_write_b32 v2, v30
	v_sub_u32_e32 v2, v5, v19
	v_sub_u32_e32 v3, v36, v2
	v_and_b32_e32 v5, 1, v43
	v_add_u32_e32 v3, 3, v3
	v_cmp_eq_u32_e32 vcc, 1, v5
	v_cndmask_b32_e32 v2, v3, v2, vcc
	v_lshlrev_b32_e32 v2, 2, v2
	ds_write_b32 v2, v31
	v_sub_u32_e32 v2, v6, v19
	v_sub_u32_e32 v3, v36, v2
	v_and_b32_e32 v5, 1, v39
	v_add_u32_e32 v3, 4, v3
	v_cmp_eq_u32_e32 vcc, 1, v5
	v_cndmask_b32_e32 v2, v3, v2, vcc
	v_lshlrev_b32_e32 v2, 2, v2
	v_lshrrev_b32_e32 v16, 8, v39
	ds_write_b32 v2, v28
	v_sub_u32_e32 v2, v7, v19
	v_sub_u32_e32 v3, v36, v2
	v_and_b32_e32 v5, 1, v16
	v_add_u32_e32 v3, 5, v3
	v_cmp_eq_u32_e32 vcc, 1, v5
	v_cndmask_b32_e32 v2, v3, v2, vcc
	v_lshlrev_b32_e32 v2, 2, v2
	ds_write_b32 v2, v29
	v_sub_u32_e32 v2, v8, v19
	v_sub_u32_e32 v3, v36, v2
	v_and_b32_sdwa v5, v4, v39 dst_sel:DWORD dst_unused:UNUSED_PAD src0_sel:DWORD src1_sel:WORD_1
	v_add_u32_e32 v3, 6, v3
	v_cmp_eq_u32_e32 vcc, 1, v5
	v_cndmask_b32_e32 v2, v3, v2, vcc
	v_lshlrev_b32_e32 v2, 2, v2
	ds_write_b32 v2, v26
	v_sub_u32_e32 v2, v9, v19
	v_sub_u32_e32 v3, v36, v2
	v_and_b32_e32 v5, 1, v42
	v_add_u32_e32 v3, 7, v3
	v_cmp_eq_u32_e32 vcc, 1, v5
	v_cndmask_b32_e32 v2, v3, v2, vcc
	v_lshlrev_b32_e32 v2, 2, v2
	ds_write_b32 v2, v27
	v_sub_u32_e32 v2, v10, v19
	v_sub_u32_e32 v3, v36, v2
	v_and_b32_e32 v5, 1, v38
	v_add_u32_e32 v3, 8, v3
	v_cmp_eq_u32_e32 vcc, 1, v5
	v_cndmask_b32_e32 v2, v3, v2, vcc
	v_lshlrev_b32_e32 v2, 2, v2
	v_lshrrev_b32_e32 v15, 8, v38
	ds_write_b32 v2, v24
	v_sub_u32_e32 v2, v11, v19
	v_sub_u32_e32 v3, v36, v2
	v_and_b32_e32 v5, 1, v15
	v_add_u32_e32 v3, 9, v3
	v_cmp_eq_u32_e32 vcc, 1, v5
	v_cndmask_b32_e32 v2, v3, v2, vcc
	v_lshlrev_b32_e32 v2, 2, v2
	ds_write_b32 v2, v25
	v_sub_u32_e32 v2, v12, v19
	v_sub_u32_e32 v3, v36, v2
	v_and_b32_sdwa v4, v4, v38 dst_sel:DWORD dst_unused:UNUSED_PAD src0_sel:DWORD src1_sel:WORD_1
	v_add_u32_e32 v3, 10, v3
	v_cmp_eq_u32_e32 vcc, 1, v4
	v_cndmask_b32_e32 v2, v3, v2, vcc
	v_lshlrev_b32_e32 v2, 2, v2
	ds_write_b32 v2, v22
	v_sub_u32_e32 v2, v13, v19
	v_sub_u32_e32 v3, v36, v2
	v_and_b32_e32 v4, 1, v41
	v_add_u32_e32 v3, 11, v3
	v_cmp_eq_u32_e32 vcc, 1, v4
	v_cndmask_b32_e32 v2, v3, v2, vcc
	v_lshlrev_b32_e32 v2, 2, v2
	ds_write_b32 v2, v23
	v_sub_u32_e32 v2, v14, v19
	v_sub_u32_e32 v3, v36, v2
	v_and_b32_e32 v4, 1, v37
	v_add_u32_e32 v3, 12, v3
	v_cmp_eq_u32_e32 vcc, 1, v4
	v_cndmask_b32_e32 v2, v3, v2, vcc
	s_waitcnt vmcnt(0)
	v_add_co_u32_e32 v16, vcc, v20, v19
	v_addc_co_u32_e32 v17, vcc, 0, v21, vcc
	v_mov_b32_e32 v14, s29
	v_add_co_u32_e32 v1, vcc, s28, v1
	v_addc_co_u32_e32 v14, vcc, 0, v14, vcc
	v_lshlrev_b32_e32 v2, 2, v2
	v_mov_b32_e32 v15, s27
	v_sub_co_u32_e32 v1, vcc, s26, v1
	ds_write_b32 v2, v35
	s_waitcnt lgkmcnt(0)
	s_barrier
	ds_read2st64_b32 v[12:13], v34 offset1:4
	ds_read2st64_b32 v[10:11], v34 offset0:8 offset1:12
	ds_read2st64_b32 v[8:9], v34 offset0:16 offset1:20
	;; [unrolled: 1-line block ×5, first 2 shown]
	ds_read_b32 v22, v34 offset:12288
	v_subb_co_u32_e32 v14, vcc, v15, v14, vcc
	v_add_co_u32_e32 v1, vcc, v1, v18
	v_addc_co_u32_e32 v14, vcc, 0, v14, vcc
	s_and_b64 vcc, exec, s[2:3]
	v_add_co_u32_e64 v1, s[2:3], v1, v16
	v_or_b32_e32 v35, 0x100, v0
	v_or_b32_e32 v33, 0x200, v0
	v_or_b32_e32 v32, 0x300, v0
	v_or_b32_e32 v31, 0x400, v0
	v_or_b32_e32 v30, 0x500, v0
	v_or_b32_e32 v29, 0x600, v0
	v_or_b32_e32 v28, 0x700, v0
	v_or_b32_e32 v27, 0x800, v0
	v_or_b32_e32 v26, 0x900, v0
	v_or_b32_e32 v25, 0xa00, v0
	v_or_b32_e32 v24, 0xb00, v0
	v_or_b32_e32 v23, 0xc00, v0
	v_addc_co_u32_e64 v19, s[2:3], v14, v17, s[2:3]
	s_cbranch_vccnz .LBB371_136
; %bb.80:
	v_cmp_ge_u32_e32 vcc, v0, v18
                                        ; implicit-def: $vgpr14_vgpr15
	s_and_saveexec_b64 s[2:3], vcc
	s_xor_b64 s[2:3], exec, s[2:3]
; %bb.81:
	v_not_b32_e32 v14, v0
	v_ashrrev_i32_e32 v15, 31, v14
	v_add_co_u32_e32 v14, vcc, v1, v14
	v_addc_co_u32_e32 v15, vcc, v19, v15, vcc
; %bb.82:
	s_andn2_saveexec_b64 s[2:3], s[2:3]
; %bb.83:
	v_add_co_u32_e32 v14, vcc, v16, v0
	v_addc_co_u32_e32 v15, vcc, 0, v17, vcc
; %bb.84:
	s_or_b64 exec, exec, s[2:3]
	v_lshlrev_b64 v[14:15], 2, v[14:15]
	v_mov_b32_e32 v20, s25
	v_add_co_u32_e32 v14, vcc, s24, v14
	v_addc_co_u32_e32 v15, vcc, v20, v15, vcc
	v_cmp_ge_u32_e32 vcc, v35, v18
	s_waitcnt lgkmcnt(6)
	global_store_dword v[14:15], v12, off
                                        ; implicit-def: $vgpr14_vgpr15
	s_and_saveexec_b64 s[2:3], vcc
	s_xor_b64 s[2:3], exec, s[2:3]
; %bb.85:
	v_xor_b32_e32 v14, 0xfffffeff, v0
	v_ashrrev_i32_e32 v15, 31, v14
	v_add_co_u32_e32 v14, vcc, v1, v14
	v_addc_co_u32_e32 v15, vcc, v19, v15, vcc
; %bb.86:
	s_andn2_saveexec_b64 s[2:3], s[2:3]
; %bb.87:
	v_add_co_u32_e32 v14, vcc, v16, v35
	v_addc_co_u32_e32 v15, vcc, 0, v17, vcc
; %bb.88:
	s_or_b64 exec, exec, s[2:3]
	v_lshlrev_b64 v[14:15], 2, v[14:15]
	v_mov_b32_e32 v20, s25
	v_add_co_u32_e32 v14, vcc, s24, v14
	v_addc_co_u32_e32 v15, vcc, v20, v15, vcc
	v_cmp_ge_u32_e32 vcc, v33, v18
	global_store_dword v[14:15], v13, off
                                        ; implicit-def: $vgpr14_vgpr15
	s_and_saveexec_b64 s[2:3], vcc
	s_xor_b64 s[2:3], exec, s[2:3]
; %bb.89:
	v_xor_b32_e32 v14, 0xfffffdff, v0
	v_ashrrev_i32_e32 v15, 31, v14
	v_add_co_u32_e32 v14, vcc, v1, v14
	v_addc_co_u32_e32 v15, vcc, v19, v15, vcc
; %bb.90:
	s_andn2_saveexec_b64 s[2:3], s[2:3]
; %bb.91:
	v_add_co_u32_e32 v14, vcc, v16, v33
	v_addc_co_u32_e32 v15, vcc, 0, v17, vcc
; %bb.92:
	s_or_b64 exec, exec, s[2:3]
	v_lshlrev_b64 v[14:15], 2, v[14:15]
	v_mov_b32_e32 v20, s25
	v_add_co_u32_e32 v14, vcc, s24, v14
	v_addc_co_u32_e32 v15, vcc, v20, v15, vcc
	v_cmp_ge_u32_e32 vcc, v32, v18
	s_waitcnt lgkmcnt(5)
	global_store_dword v[14:15], v10, off
                                        ; implicit-def: $vgpr14_vgpr15
	s_and_saveexec_b64 s[2:3], vcc
	s_xor_b64 s[2:3], exec, s[2:3]
; %bb.93:
	v_xor_b32_e32 v14, 0xfffffcff, v0
	v_ashrrev_i32_e32 v15, 31, v14
	v_add_co_u32_e32 v14, vcc, v1, v14
	v_addc_co_u32_e32 v15, vcc, v19, v15, vcc
; %bb.94:
	s_andn2_saveexec_b64 s[2:3], s[2:3]
; %bb.95:
	v_add_co_u32_e32 v14, vcc, v16, v32
	v_addc_co_u32_e32 v15, vcc, 0, v17, vcc
; %bb.96:
	s_or_b64 exec, exec, s[2:3]
	v_lshlrev_b64 v[14:15], 2, v[14:15]
	v_mov_b32_e32 v20, s25
	v_add_co_u32_e32 v14, vcc, s24, v14
	v_addc_co_u32_e32 v15, vcc, v20, v15, vcc
	v_cmp_ge_u32_e32 vcc, v31, v18
	global_store_dword v[14:15], v11, off
                                        ; implicit-def: $vgpr14_vgpr15
	s_and_saveexec_b64 s[2:3], vcc
	s_xor_b64 s[2:3], exec, s[2:3]
; %bb.97:
	v_xor_b32_e32 v14, 0xfffffbff, v0
	;; [unrolled: 43-line block ×6, first 2 shown]
	v_ashrrev_i32_e32 v15, 31, v14
	v_add_co_u32_e32 v14, vcc, v1, v14
	v_addc_co_u32_e32 v15, vcc, v19, v15, vcc
; %bb.130:
	s_andn2_saveexec_b64 s[2:3], s[2:3]
; %bb.131:
	v_add_co_u32_e32 v14, vcc, v16, v23
	v_addc_co_u32_e32 v15, vcc, 0, v17, vcc
; %bb.132:
	s_or_b64 exec, exec, s[2:3]
	s_mov_b64 s[2:3], -1
.LBB371_133:
	s_and_saveexec_b64 s[4:5], s[2:3]
	s_cbranch_execz .LBB371_216
.LBB371_134:
	v_lshlrev_b64 v[0:1], 2, v[14:15]
	s_waitcnt lgkmcnt(1)
	v_mov_b32_e32 v2, s25
	v_add_co_u32_e32 v0, vcc, s24, v0
	v_addc_co_u32_e32 v1, vcc, v2, v1, vcc
	s_waitcnt lgkmcnt(0)
	global_store_dword v[0:1], v22, off
	s_or_b64 exec, exec, s[4:5]
	s_and_b64 s[0:1], s[0:1], s[22:23]
	s_and_saveexec_b64 s[2:3], s[0:1]
	s_cbranch_execnz .LBB371_217
.LBB371_135:
	s_endpgm
.LBB371_136:
	s_mov_b64 s[2:3], 0
                                        ; implicit-def: $vgpr14_vgpr15
	s_cbranch_execz .LBB371_133
; %bb.137:
	v_cmp_gt_u32_e32 vcc, s33, v0
	s_and_saveexec_b64 s[4:5], vcc
	s_cbranch_execz .LBB371_173
; %bb.138:
	v_cmp_ge_u32_e32 vcc, v0, v18
                                        ; implicit-def: $vgpr14_vgpr15
	s_and_saveexec_b64 s[6:7], vcc
	s_xor_b64 s[6:7], exec, s[6:7]
; %bb.139:
	v_not_b32_e32 v14, v0
	v_ashrrev_i32_e32 v15, 31, v14
	v_add_co_u32_e32 v14, vcc, v1, v14
	v_addc_co_u32_e32 v15, vcc, v19, v15, vcc
; %bb.140:
	s_andn2_saveexec_b64 s[6:7], s[6:7]
; %bb.141:
	v_add_co_u32_e32 v14, vcc, v16, v0
	v_addc_co_u32_e32 v15, vcc, 0, v17, vcc
; %bb.142:
	s_or_b64 exec, exec, s[6:7]
	v_lshlrev_b64 v[14:15], 2, v[14:15]
	v_mov_b32_e32 v20, s25
	v_add_co_u32_e32 v14, vcc, s24, v14
	v_addc_co_u32_e32 v15, vcc, v20, v15, vcc
	s_waitcnt lgkmcnt(6)
	global_store_dword v[14:15], v12, off
	s_or_b64 exec, exec, s[4:5]
	v_cmp_gt_u32_e32 vcc, s33, v35
	s_and_saveexec_b64 s[4:5], vcc
	s_cbranch_execnz .LBB371_174
.LBB371_143:
	s_or_b64 exec, exec, s[4:5]
	v_cmp_gt_u32_e32 vcc, s33, v33
	s_and_saveexec_b64 s[4:5], vcc
	s_cbranch_execz .LBB371_179
.LBB371_144:
	v_cmp_ge_u32_e32 vcc, v33, v18
                                        ; implicit-def: $vgpr12_vgpr13
	s_and_saveexec_b64 s[6:7], vcc
	s_xor_b64 s[6:7], exec, s[6:7]
	s_cbranch_execz .LBB371_146
; %bb.145:
	s_waitcnt lgkmcnt(6)
	v_xor_b32_e32 v12, 0xfffffdff, v0
	v_ashrrev_i32_e32 v13, 31, v12
	v_add_co_u32_e32 v12, vcc, v1, v12
	v_addc_co_u32_e32 v13, vcc, v19, v13, vcc
                                        ; implicit-def: $vgpr33
.LBB371_146:
	s_andn2_saveexec_b64 s[6:7], s[6:7]
	s_cbranch_execz .LBB371_148
; %bb.147:
	s_waitcnt lgkmcnt(6)
	v_add_co_u32_e32 v12, vcc, v16, v33
	v_addc_co_u32_e32 v13, vcc, 0, v17, vcc
.LBB371_148:
	s_or_b64 exec, exec, s[6:7]
	s_waitcnt lgkmcnt(6)
	v_lshlrev_b64 v[12:13], 2, v[12:13]
	v_mov_b32_e32 v14, s25
	v_add_co_u32_e32 v12, vcc, s24, v12
	v_addc_co_u32_e32 v13, vcc, v14, v13, vcc
	s_waitcnt lgkmcnt(5)
	global_store_dword v[12:13], v10, off
	s_or_b64 exec, exec, s[4:5]
	v_cmp_gt_u32_e32 vcc, s33, v32
	s_and_saveexec_b64 s[4:5], vcc
	s_cbranch_execnz .LBB371_180
.LBB371_149:
	s_or_b64 exec, exec, s[4:5]
	v_cmp_gt_u32_e32 vcc, s33, v31
	s_and_saveexec_b64 s[4:5], vcc
	s_cbranch_execz .LBB371_185
.LBB371_150:
	v_cmp_ge_u32_e32 vcc, v31, v18
                                        ; implicit-def: $vgpr10_vgpr11
	s_and_saveexec_b64 s[6:7], vcc
	s_xor_b64 s[6:7], exec, s[6:7]
	s_cbranch_execz .LBB371_152
; %bb.151:
	s_waitcnt lgkmcnt(5)
	v_xor_b32_e32 v10, 0xfffffbff, v0
	v_ashrrev_i32_e32 v11, 31, v10
	v_add_co_u32_e32 v10, vcc, v1, v10
	v_addc_co_u32_e32 v11, vcc, v19, v11, vcc
                                        ; implicit-def: $vgpr31
.LBB371_152:
	s_andn2_saveexec_b64 s[6:7], s[6:7]
	s_cbranch_execz .LBB371_154
; %bb.153:
	s_waitcnt lgkmcnt(5)
	v_add_co_u32_e32 v10, vcc, v16, v31
	v_addc_co_u32_e32 v11, vcc, 0, v17, vcc
.LBB371_154:
	s_or_b64 exec, exec, s[6:7]
	s_waitcnt lgkmcnt(5)
	v_lshlrev_b64 v[10:11], 2, v[10:11]
	v_mov_b32_e32 v12, s25
	v_add_co_u32_e32 v10, vcc, s24, v10
	v_addc_co_u32_e32 v11, vcc, v12, v11, vcc
	s_waitcnt lgkmcnt(4)
	global_store_dword v[10:11], v8, off
	s_or_b64 exec, exec, s[4:5]
	v_cmp_gt_u32_e32 vcc, s33, v30
	s_and_saveexec_b64 s[4:5], vcc
	s_cbranch_execnz .LBB371_186
.LBB371_155:
	s_or_b64 exec, exec, s[4:5]
	v_cmp_gt_u32_e32 vcc, s33, v29
	s_and_saveexec_b64 s[4:5], vcc
	s_cbranch_execz .LBB371_191
.LBB371_156:
	v_cmp_ge_u32_e32 vcc, v29, v18
                                        ; implicit-def: $vgpr8_vgpr9
	s_and_saveexec_b64 s[6:7], vcc
	s_xor_b64 s[6:7], exec, s[6:7]
	s_cbranch_execz .LBB371_158
; %bb.157:
	s_waitcnt lgkmcnt(4)
	v_xor_b32_e32 v8, 0xfffff9ff, v0
	v_ashrrev_i32_e32 v9, 31, v8
	v_add_co_u32_e32 v8, vcc, v1, v8
	v_addc_co_u32_e32 v9, vcc, v19, v9, vcc
                                        ; implicit-def: $vgpr29
.LBB371_158:
	s_andn2_saveexec_b64 s[6:7], s[6:7]
	s_cbranch_execz .LBB371_160
; %bb.159:
	s_waitcnt lgkmcnt(4)
	v_add_co_u32_e32 v8, vcc, v16, v29
	v_addc_co_u32_e32 v9, vcc, 0, v17, vcc
.LBB371_160:
	s_or_b64 exec, exec, s[6:7]
	s_waitcnt lgkmcnt(4)
	v_lshlrev_b64 v[8:9], 2, v[8:9]
	v_mov_b32_e32 v10, s25
	v_add_co_u32_e32 v8, vcc, s24, v8
	v_addc_co_u32_e32 v9, vcc, v10, v9, vcc
	s_waitcnt lgkmcnt(3)
	global_store_dword v[8:9], v6, off
	s_or_b64 exec, exec, s[4:5]
	v_cmp_gt_u32_e32 vcc, s33, v28
	s_and_saveexec_b64 s[4:5], vcc
	s_cbranch_execnz .LBB371_192
.LBB371_161:
	s_or_b64 exec, exec, s[4:5]
	v_cmp_gt_u32_e32 vcc, s33, v27
	s_and_saveexec_b64 s[4:5], vcc
	s_cbranch_execz .LBB371_197
.LBB371_162:
	v_cmp_ge_u32_e32 vcc, v27, v18
                                        ; implicit-def: $vgpr6_vgpr7
	s_and_saveexec_b64 s[6:7], vcc
	s_xor_b64 s[6:7], exec, s[6:7]
	s_cbranch_execz .LBB371_164
; %bb.163:
	s_waitcnt lgkmcnt(3)
	v_xor_b32_e32 v6, 0xfffff7ff, v0
	v_ashrrev_i32_e32 v7, 31, v6
	v_add_co_u32_e32 v6, vcc, v1, v6
	v_addc_co_u32_e32 v7, vcc, v19, v7, vcc
                                        ; implicit-def: $vgpr27
.LBB371_164:
	s_andn2_saveexec_b64 s[6:7], s[6:7]
	s_cbranch_execz .LBB371_166
; %bb.165:
	s_waitcnt lgkmcnt(3)
	v_add_co_u32_e32 v6, vcc, v16, v27
	v_addc_co_u32_e32 v7, vcc, 0, v17, vcc
.LBB371_166:
	s_or_b64 exec, exec, s[6:7]
	s_waitcnt lgkmcnt(3)
	v_lshlrev_b64 v[6:7], 2, v[6:7]
	v_mov_b32_e32 v8, s25
	v_add_co_u32_e32 v6, vcc, s24, v6
	v_addc_co_u32_e32 v7, vcc, v8, v7, vcc
	s_waitcnt lgkmcnt(2)
	global_store_dword v[6:7], v4, off
	s_or_b64 exec, exec, s[4:5]
	v_cmp_gt_u32_e32 vcc, s33, v26
	s_and_saveexec_b64 s[4:5], vcc
	s_cbranch_execnz .LBB371_198
.LBB371_167:
	s_or_b64 exec, exec, s[4:5]
	v_cmp_gt_u32_e32 vcc, s33, v25
	s_and_saveexec_b64 s[4:5], vcc
	s_cbranch_execz .LBB371_203
.LBB371_168:
	v_cmp_ge_u32_e32 vcc, v25, v18
                                        ; implicit-def: $vgpr4_vgpr5
	s_and_saveexec_b64 s[6:7], vcc
	s_xor_b64 s[6:7], exec, s[6:7]
	s_cbranch_execz .LBB371_170
; %bb.169:
	s_waitcnt lgkmcnt(2)
	v_xor_b32_e32 v4, 0xfffff5ff, v0
	v_ashrrev_i32_e32 v5, 31, v4
	v_add_co_u32_e32 v4, vcc, v1, v4
	v_addc_co_u32_e32 v5, vcc, v19, v5, vcc
                                        ; implicit-def: $vgpr25
.LBB371_170:
	s_andn2_saveexec_b64 s[6:7], s[6:7]
	s_cbranch_execz .LBB371_172
; %bb.171:
	s_waitcnt lgkmcnt(2)
	v_add_co_u32_e32 v4, vcc, v16, v25
	v_addc_co_u32_e32 v5, vcc, 0, v17, vcc
.LBB371_172:
	s_or_b64 exec, exec, s[6:7]
	s_waitcnt lgkmcnt(2)
	v_lshlrev_b64 v[4:5], 2, v[4:5]
	v_mov_b32_e32 v6, s25
	v_add_co_u32_e32 v4, vcc, s24, v4
	v_addc_co_u32_e32 v5, vcc, v6, v5, vcc
	s_waitcnt lgkmcnt(1)
	global_store_dword v[4:5], v2, off
	s_or_b64 exec, exec, s[4:5]
	v_cmp_gt_u32_e32 vcc, s33, v24
	s_and_saveexec_b64 s[4:5], vcc
	s_cbranch_execz .LBB371_209
	s_branch .LBB371_204
.LBB371_173:
	s_or_b64 exec, exec, s[4:5]
	v_cmp_gt_u32_e32 vcc, s33, v35
	s_and_saveexec_b64 s[4:5], vcc
	s_cbranch_execz .LBB371_143
.LBB371_174:
	v_cmp_ge_u32_e32 vcc, v35, v18
                                        ; implicit-def: $vgpr14_vgpr15
	s_and_saveexec_b64 s[6:7], vcc
	s_xor_b64 s[6:7], exec, s[6:7]
	s_cbranch_execz .LBB371_176
; %bb.175:
	s_waitcnt lgkmcnt(6)
	v_xor_b32_e32 v12, 0xfffffeff, v0
	v_ashrrev_i32_e32 v15, 31, v12
	v_add_co_u32_e32 v14, vcc, v1, v12
	v_addc_co_u32_e32 v15, vcc, v19, v15, vcc
                                        ; implicit-def: $vgpr35
.LBB371_176:
	s_andn2_saveexec_b64 s[6:7], s[6:7]
; %bb.177:
	v_add_co_u32_e32 v14, vcc, v16, v35
	v_addc_co_u32_e32 v15, vcc, 0, v17, vcc
; %bb.178:
	s_or_b64 exec, exec, s[6:7]
	v_lshlrev_b64 v[14:15], 2, v[14:15]
	s_waitcnt lgkmcnt(6)
	v_mov_b32_e32 v12, s25
	v_add_co_u32_e32 v14, vcc, s24, v14
	v_addc_co_u32_e32 v15, vcc, v12, v15, vcc
	global_store_dword v[14:15], v13, off
	s_or_b64 exec, exec, s[4:5]
	v_cmp_gt_u32_e32 vcc, s33, v33
	s_and_saveexec_b64 s[4:5], vcc
	s_cbranch_execnz .LBB371_144
.LBB371_179:
	s_or_b64 exec, exec, s[4:5]
	v_cmp_gt_u32_e32 vcc, s33, v32
	s_and_saveexec_b64 s[4:5], vcc
	s_cbranch_execz .LBB371_149
.LBB371_180:
	v_cmp_ge_u32_e32 vcc, v32, v18
                                        ; implicit-def: $vgpr12_vgpr13
	s_and_saveexec_b64 s[6:7], vcc
	s_xor_b64 s[6:7], exec, s[6:7]
	s_cbranch_execz .LBB371_182
; %bb.181:
	s_waitcnt lgkmcnt(5)
	v_xor_b32_e32 v10, 0xfffffcff, v0
	v_ashrrev_i32_e32 v13, 31, v10
	v_add_co_u32_e32 v12, vcc, v1, v10
	v_addc_co_u32_e32 v13, vcc, v19, v13, vcc
                                        ; implicit-def: $vgpr32
.LBB371_182:
	s_andn2_saveexec_b64 s[6:7], s[6:7]
	s_cbranch_execz .LBB371_184
; %bb.183:
	s_waitcnt lgkmcnt(6)
	v_add_co_u32_e32 v12, vcc, v16, v32
	v_addc_co_u32_e32 v13, vcc, 0, v17, vcc
.LBB371_184:
	s_or_b64 exec, exec, s[6:7]
	s_waitcnt lgkmcnt(6)
	v_lshlrev_b64 v[12:13], 2, v[12:13]
	s_waitcnt lgkmcnt(5)
	v_mov_b32_e32 v10, s25
	v_add_co_u32_e32 v12, vcc, s24, v12
	v_addc_co_u32_e32 v13, vcc, v10, v13, vcc
	global_store_dword v[12:13], v11, off
	s_or_b64 exec, exec, s[4:5]
	v_cmp_gt_u32_e32 vcc, s33, v31
	s_and_saveexec_b64 s[4:5], vcc
	s_cbranch_execnz .LBB371_150
.LBB371_185:
	s_or_b64 exec, exec, s[4:5]
	v_cmp_gt_u32_e32 vcc, s33, v30
	s_and_saveexec_b64 s[4:5], vcc
	s_cbranch_execz .LBB371_155
.LBB371_186:
	v_cmp_ge_u32_e32 vcc, v30, v18
                                        ; implicit-def: $vgpr10_vgpr11
	s_and_saveexec_b64 s[6:7], vcc
	s_xor_b64 s[6:7], exec, s[6:7]
	s_cbranch_execz .LBB371_188
; %bb.187:
	s_waitcnt lgkmcnt(4)
	v_xor_b32_e32 v8, 0xfffffaff, v0
	v_ashrrev_i32_e32 v11, 31, v8
	v_add_co_u32_e32 v10, vcc, v1, v8
	v_addc_co_u32_e32 v11, vcc, v19, v11, vcc
                                        ; implicit-def: $vgpr30
.LBB371_188:
	s_andn2_saveexec_b64 s[6:7], s[6:7]
	s_cbranch_execz .LBB371_190
; %bb.189:
	s_waitcnt lgkmcnt(5)
	v_add_co_u32_e32 v10, vcc, v16, v30
	v_addc_co_u32_e32 v11, vcc, 0, v17, vcc
.LBB371_190:
	s_or_b64 exec, exec, s[6:7]
	s_waitcnt lgkmcnt(5)
	v_lshlrev_b64 v[10:11], 2, v[10:11]
	s_waitcnt lgkmcnt(4)
	v_mov_b32_e32 v8, s25
	v_add_co_u32_e32 v10, vcc, s24, v10
	v_addc_co_u32_e32 v11, vcc, v8, v11, vcc
	global_store_dword v[10:11], v9, off
	s_or_b64 exec, exec, s[4:5]
	v_cmp_gt_u32_e32 vcc, s33, v29
	s_and_saveexec_b64 s[4:5], vcc
	s_cbranch_execnz .LBB371_156
.LBB371_191:
	s_or_b64 exec, exec, s[4:5]
	v_cmp_gt_u32_e32 vcc, s33, v28
	s_and_saveexec_b64 s[4:5], vcc
	s_cbranch_execz .LBB371_161
.LBB371_192:
	v_cmp_ge_u32_e32 vcc, v28, v18
                                        ; implicit-def: $vgpr8_vgpr9
	s_and_saveexec_b64 s[6:7], vcc
	s_xor_b64 s[6:7], exec, s[6:7]
	s_cbranch_execz .LBB371_194
; %bb.193:
	s_waitcnt lgkmcnt(3)
	v_xor_b32_e32 v6, 0xfffff8ff, v0
	v_ashrrev_i32_e32 v9, 31, v6
	v_add_co_u32_e32 v8, vcc, v1, v6
	v_addc_co_u32_e32 v9, vcc, v19, v9, vcc
                                        ; implicit-def: $vgpr28
.LBB371_194:
	s_andn2_saveexec_b64 s[6:7], s[6:7]
	s_cbranch_execz .LBB371_196
; %bb.195:
	s_waitcnt lgkmcnt(4)
	v_add_co_u32_e32 v8, vcc, v16, v28
	v_addc_co_u32_e32 v9, vcc, 0, v17, vcc
.LBB371_196:
	s_or_b64 exec, exec, s[6:7]
	s_waitcnt lgkmcnt(4)
	v_lshlrev_b64 v[8:9], 2, v[8:9]
	s_waitcnt lgkmcnt(3)
	v_mov_b32_e32 v6, s25
	v_add_co_u32_e32 v8, vcc, s24, v8
	v_addc_co_u32_e32 v9, vcc, v6, v9, vcc
	global_store_dword v[8:9], v7, off
	s_or_b64 exec, exec, s[4:5]
	v_cmp_gt_u32_e32 vcc, s33, v27
	s_and_saveexec_b64 s[4:5], vcc
	s_cbranch_execnz .LBB371_162
.LBB371_197:
	s_or_b64 exec, exec, s[4:5]
	v_cmp_gt_u32_e32 vcc, s33, v26
	s_and_saveexec_b64 s[4:5], vcc
	s_cbranch_execz .LBB371_167
.LBB371_198:
	v_cmp_ge_u32_e32 vcc, v26, v18
                                        ; implicit-def: $vgpr6_vgpr7
	s_and_saveexec_b64 s[6:7], vcc
	s_xor_b64 s[6:7], exec, s[6:7]
	s_cbranch_execz .LBB371_200
; %bb.199:
	s_waitcnt lgkmcnt(2)
	v_xor_b32_e32 v4, 0xfffff6ff, v0
	v_ashrrev_i32_e32 v7, 31, v4
	v_add_co_u32_e32 v6, vcc, v1, v4
	v_addc_co_u32_e32 v7, vcc, v19, v7, vcc
                                        ; implicit-def: $vgpr26
.LBB371_200:
	s_andn2_saveexec_b64 s[6:7], s[6:7]
	s_cbranch_execz .LBB371_202
; %bb.201:
	s_waitcnt lgkmcnt(3)
	v_add_co_u32_e32 v6, vcc, v16, v26
	v_addc_co_u32_e32 v7, vcc, 0, v17, vcc
.LBB371_202:
	s_or_b64 exec, exec, s[6:7]
	s_waitcnt lgkmcnt(3)
	v_lshlrev_b64 v[6:7], 2, v[6:7]
	s_waitcnt lgkmcnt(2)
	v_mov_b32_e32 v4, s25
	v_add_co_u32_e32 v6, vcc, s24, v6
	v_addc_co_u32_e32 v7, vcc, v4, v7, vcc
	global_store_dword v[6:7], v5, off
	s_or_b64 exec, exec, s[4:5]
	v_cmp_gt_u32_e32 vcc, s33, v25
	s_and_saveexec_b64 s[4:5], vcc
	s_cbranch_execnz .LBB371_168
.LBB371_203:
	s_or_b64 exec, exec, s[4:5]
	v_cmp_gt_u32_e32 vcc, s33, v24
	s_and_saveexec_b64 s[4:5], vcc
	s_cbranch_execz .LBB371_209
.LBB371_204:
	v_cmp_ge_u32_e32 vcc, v24, v18
                                        ; implicit-def: $vgpr4_vgpr5
	s_and_saveexec_b64 s[6:7], vcc
	s_xor_b64 s[6:7], exec, s[6:7]
	s_cbranch_execz .LBB371_206
; %bb.205:
	s_waitcnt lgkmcnt(1)
	v_xor_b32_e32 v2, 0xfffff4ff, v0
	v_ashrrev_i32_e32 v5, 31, v2
	v_add_co_u32_e32 v4, vcc, v1, v2
	v_addc_co_u32_e32 v5, vcc, v19, v5, vcc
                                        ; implicit-def: $vgpr24
.LBB371_206:
	s_andn2_saveexec_b64 s[6:7], s[6:7]
	s_cbranch_execz .LBB371_208
; %bb.207:
	s_waitcnt lgkmcnt(2)
	v_add_co_u32_e32 v4, vcc, v16, v24
	v_addc_co_u32_e32 v5, vcc, 0, v17, vcc
.LBB371_208:
	s_or_b64 exec, exec, s[6:7]
	s_waitcnt lgkmcnt(2)
	v_lshlrev_b64 v[4:5], 2, v[4:5]
	s_waitcnt lgkmcnt(1)
	v_mov_b32_e32 v2, s25
	v_add_co_u32_e32 v4, vcc, s24, v4
	v_addc_co_u32_e32 v5, vcc, v2, v5, vcc
	global_store_dword v[4:5], v3, off
.LBB371_209:
	s_or_b64 exec, exec, s[4:5]
	v_cmp_gt_u32_e32 vcc, s33, v23
                                        ; implicit-def: $vgpr14_vgpr15
	s_and_saveexec_b64 s[4:5], vcc
	s_cbranch_execz .LBB371_215
; %bb.210:
	v_cmp_ge_u32_e32 vcc, v23, v18
                                        ; implicit-def: $vgpr14_vgpr15
	s_and_saveexec_b64 s[6:7], vcc
	s_xor_b64 s[6:7], exec, s[6:7]
	s_cbranch_execz .LBB371_212
; %bb.211:
	v_xor_b32_e32 v0, 0xfffff3ff, v0
	s_waitcnt lgkmcnt(1)
	v_ashrrev_i32_e32 v2, 31, v0
	v_add_co_u32_e32 v14, vcc, v1, v0
	v_addc_co_u32_e32 v15, vcc, v19, v2, vcc
                                        ; implicit-def: $vgpr23
.LBB371_212:
	s_andn2_saveexec_b64 s[6:7], s[6:7]
; %bb.213:
	v_add_co_u32_e32 v14, vcc, v16, v23
	v_addc_co_u32_e32 v15, vcc, 0, v17, vcc
; %bb.214:
	s_or_b64 exec, exec, s[6:7]
	s_or_b64 s[2:3], s[2:3], exec
.LBB371_215:
	s_or_b64 exec, exec, s[4:5]
	s_and_saveexec_b64 s[4:5], s[2:3]
	s_cbranch_execnz .LBB371_134
.LBB371_216:
	s_or_b64 exec, exec, s[4:5]
	s_and_b64 s[0:1], s[0:1], s[22:23]
	s_and_saveexec_b64 s[2:3], s[0:1]
	s_cbranch_execz .LBB371_135
.LBB371_217:
	v_add_co_u32_e32 v0, vcc, v16, v18
	s_waitcnt lgkmcnt(1)
	v_mov_b32_e32 v2, 0
	v_addc_co_u32_e32 v1, vcc, 0, v17, vcc
	global_store_dwordx2 v2, v[0:1], s[20:21]
	s_endpgm
	.section	.rodata,"a",@progbits
	.p2align	6, 0x0
	.amdhsa_kernel _ZN7rocprim17ROCPRIM_400000_NS6detail17trampoline_kernelINS0_13select_configILj256ELj13ELNS0_17block_load_methodE3ELS4_3ELS4_3ELNS0_20block_scan_algorithmE0ELj4294967295EEENS1_25partition_config_selectorILNS1_17partition_subalgoE3EjNS0_10empty_typeEbEEZZNS1_14partition_implILS8_3ELb0ES6_jNS0_17counting_iteratorIjlEEPS9_SE_NS0_5tupleIJPjSE_EEENSF_IJSE_SE_EEES9_SG_JZNS1_25segmented_radix_sort_implINS0_14default_configELb0EPKaPaPKlPlN2at6native12_GLOBAL__N_18offset_tEEE10hipError_tPvRmT1_PNSt15iterator_traitsISY_E10value_typeET2_T3_PNSZ_IS14_E10value_typeET4_jRbjT5_S1A_jjP12ihipStream_tbEUljE_EEESV_SW_SX_S14_S18_S1A_T6_T7_T9_mT8_S1C_bDpT10_ENKUlT_T0_E_clISt17integral_constantIbLb1EES1P_EEDaS1K_S1L_EUlS1K_E_NS1_11comp_targetILNS1_3genE4ELNS1_11target_archE910ELNS1_3gpuE8ELNS1_3repE0EEENS1_30default_config_static_selectorELNS0_4arch9wavefront6targetE1EEEvSY_
		.amdhsa_group_segment_fixed_size 13324
		.amdhsa_private_segment_fixed_size 0
		.amdhsa_kernarg_size 152
		.amdhsa_user_sgpr_count 6
		.amdhsa_user_sgpr_private_segment_buffer 1
		.amdhsa_user_sgpr_dispatch_ptr 0
		.amdhsa_user_sgpr_queue_ptr 0
		.amdhsa_user_sgpr_kernarg_segment_ptr 1
		.amdhsa_user_sgpr_dispatch_id 0
		.amdhsa_user_sgpr_flat_scratch_init 0
		.amdhsa_user_sgpr_kernarg_preload_length 0
		.amdhsa_user_sgpr_kernarg_preload_offset 0
		.amdhsa_user_sgpr_private_segment_size 0
		.amdhsa_uses_dynamic_stack 0
		.amdhsa_system_sgpr_private_segment_wavefront_offset 0
		.amdhsa_system_sgpr_workgroup_id_x 1
		.amdhsa_system_sgpr_workgroup_id_y 0
		.amdhsa_system_sgpr_workgroup_id_z 0
		.amdhsa_system_sgpr_workgroup_info 0
		.amdhsa_system_vgpr_workitem_id 0
		.amdhsa_next_free_vgpr 64
		.amdhsa_next_free_sgpr 44
		.amdhsa_accum_offset 64
		.amdhsa_reserve_vcc 1
		.amdhsa_reserve_flat_scratch 0
		.amdhsa_float_round_mode_32 0
		.amdhsa_float_round_mode_16_64 0
		.amdhsa_float_denorm_mode_32 3
		.amdhsa_float_denorm_mode_16_64 3
		.amdhsa_dx10_clamp 1
		.amdhsa_ieee_mode 1
		.amdhsa_fp16_overflow 0
		.amdhsa_tg_split 0
		.amdhsa_exception_fp_ieee_invalid_op 0
		.amdhsa_exception_fp_denorm_src 0
		.amdhsa_exception_fp_ieee_div_zero 0
		.amdhsa_exception_fp_ieee_overflow 0
		.amdhsa_exception_fp_ieee_underflow 0
		.amdhsa_exception_fp_ieee_inexact 0
		.amdhsa_exception_int_div_zero 0
	.end_amdhsa_kernel
	.section	.text._ZN7rocprim17ROCPRIM_400000_NS6detail17trampoline_kernelINS0_13select_configILj256ELj13ELNS0_17block_load_methodE3ELS4_3ELS4_3ELNS0_20block_scan_algorithmE0ELj4294967295EEENS1_25partition_config_selectorILNS1_17partition_subalgoE3EjNS0_10empty_typeEbEEZZNS1_14partition_implILS8_3ELb0ES6_jNS0_17counting_iteratorIjlEEPS9_SE_NS0_5tupleIJPjSE_EEENSF_IJSE_SE_EEES9_SG_JZNS1_25segmented_radix_sort_implINS0_14default_configELb0EPKaPaPKlPlN2at6native12_GLOBAL__N_18offset_tEEE10hipError_tPvRmT1_PNSt15iterator_traitsISY_E10value_typeET2_T3_PNSZ_IS14_E10value_typeET4_jRbjT5_S1A_jjP12ihipStream_tbEUljE_EEESV_SW_SX_S14_S18_S1A_T6_T7_T9_mT8_S1C_bDpT10_ENKUlT_T0_E_clISt17integral_constantIbLb1EES1P_EEDaS1K_S1L_EUlS1K_E_NS1_11comp_targetILNS1_3genE4ELNS1_11target_archE910ELNS1_3gpuE8ELNS1_3repE0EEENS1_30default_config_static_selectorELNS0_4arch9wavefront6targetE1EEEvSY_,"axG",@progbits,_ZN7rocprim17ROCPRIM_400000_NS6detail17trampoline_kernelINS0_13select_configILj256ELj13ELNS0_17block_load_methodE3ELS4_3ELS4_3ELNS0_20block_scan_algorithmE0ELj4294967295EEENS1_25partition_config_selectorILNS1_17partition_subalgoE3EjNS0_10empty_typeEbEEZZNS1_14partition_implILS8_3ELb0ES6_jNS0_17counting_iteratorIjlEEPS9_SE_NS0_5tupleIJPjSE_EEENSF_IJSE_SE_EEES9_SG_JZNS1_25segmented_radix_sort_implINS0_14default_configELb0EPKaPaPKlPlN2at6native12_GLOBAL__N_18offset_tEEE10hipError_tPvRmT1_PNSt15iterator_traitsISY_E10value_typeET2_T3_PNSZ_IS14_E10value_typeET4_jRbjT5_S1A_jjP12ihipStream_tbEUljE_EEESV_SW_SX_S14_S18_S1A_T6_T7_T9_mT8_S1C_bDpT10_ENKUlT_T0_E_clISt17integral_constantIbLb1EES1P_EEDaS1K_S1L_EUlS1K_E_NS1_11comp_targetILNS1_3genE4ELNS1_11target_archE910ELNS1_3gpuE8ELNS1_3repE0EEENS1_30default_config_static_selectorELNS0_4arch9wavefront6targetE1EEEvSY_,comdat
.Lfunc_end371:
	.size	_ZN7rocprim17ROCPRIM_400000_NS6detail17trampoline_kernelINS0_13select_configILj256ELj13ELNS0_17block_load_methodE3ELS4_3ELS4_3ELNS0_20block_scan_algorithmE0ELj4294967295EEENS1_25partition_config_selectorILNS1_17partition_subalgoE3EjNS0_10empty_typeEbEEZZNS1_14partition_implILS8_3ELb0ES6_jNS0_17counting_iteratorIjlEEPS9_SE_NS0_5tupleIJPjSE_EEENSF_IJSE_SE_EEES9_SG_JZNS1_25segmented_radix_sort_implINS0_14default_configELb0EPKaPaPKlPlN2at6native12_GLOBAL__N_18offset_tEEE10hipError_tPvRmT1_PNSt15iterator_traitsISY_E10value_typeET2_T3_PNSZ_IS14_E10value_typeET4_jRbjT5_S1A_jjP12ihipStream_tbEUljE_EEESV_SW_SX_S14_S18_S1A_T6_T7_T9_mT8_S1C_bDpT10_ENKUlT_T0_E_clISt17integral_constantIbLb1EES1P_EEDaS1K_S1L_EUlS1K_E_NS1_11comp_targetILNS1_3genE4ELNS1_11target_archE910ELNS1_3gpuE8ELNS1_3repE0EEENS1_30default_config_static_selectorELNS0_4arch9wavefront6targetE1EEEvSY_, .Lfunc_end371-_ZN7rocprim17ROCPRIM_400000_NS6detail17trampoline_kernelINS0_13select_configILj256ELj13ELNS0_17block_load_methodE3ELS4_3ELS4_3ELNS0_20block_scan_algorithmE0ELj4294967295EEENS1_25partition_config_selectorILNS1_17partition_subalgoE3EjNS0_10empty_typeEbEEZZNS1_14partition_implILS8_3ELb0ES6_jNS0_17counting_iteratorIjlEEPS9_SE_NS0_5tupleIJPjSE_EEENSF_IJSE_SE_EEES9_SG_JZNS1_25segmented_radix_sort_implINS0_14default_configELb0EPKaPaPKlPlN2at6native12_GLOBAL__N_18offset_tEEE10hipError_tPvRmT1_PNSt15iterator_traitsISY_E10value_typeET2_T3_PNSZ_IS14_E10value_typeET4_jRbjT5_S1A_jjP12ihipStream_tbEUljE_EEESV_SW_SX_S14_S18_S1A_T6_T7_T9_mT8_S1C_bDpT10_ENKUlT_T0_E_clISt17integral_constantIbLb1EES1P_EEDaS1K_S1L_EUlS1K_E_NS1_11comp_targetILNS1_3genE4ELNS1_11target_archE910ELNS1_3gpuE8ELNS1_3repE0EEENS1_30default_config_static_selectorELNS0_4arch9wavefront6targetE1EEEvSY_
                                        ; -- End function
	.section	.AMDGPU.csdata,"",@progbits
; Kernel info:
; codeLenInByte = 7896
; NumSgprs: 48
; NumVgprs: 64
; NumAgprs: 0
; TotalNumVgprs: 64
; ScratchSize: 0
; MemoryBound: 0
; FloatMode: 240
; IeeeMode: 1
; LDSByteSize: 13324 bytes/workgroup (compile time only)
; SGPRBlocks: 5
; VGPRBlocks: 7
; NumSGPRsForWavesPerEU: 48
; NumVGPRsForWavesPerEU: 64
; AccumOffset: 64
; Occupancy: 4
; WaveLimiterHint : 0
; COMPUTE_PGM_RSRC2:SCRATCH_EN: 0
; COMPUTE_PGM_RSRC2:USER_SGPR: 6
; COMPUTE_PGM_RSRC2:TRAP_HANDLER: 0
; COMPUTE_PGM_RSRC2:TGID_X_EN: 1
; COMPUTE_PGM_RSRC2:TGID_Y_EN: 0
; COMPUTE_PGM_RSRC2:TGID_Z_EN: 0
; COMPUTE_PGM_RSRC2:TIDIG_COMP_CNT: 0
; COMPUTE_PGM_RSRC3_GFX90A:ACCUM_OFFSET: 15
; COMPUTE_PGM_RSRC3_GFX90A:TG_SPLIT: 0
	.section	.text._ZN7rocprim17ROCPRIM_400000_NS6detail17trampoline_kernelINS0_13select_configILj256ELj13ELNS0_17block_load_methodE3ELS4_3ELS4_3ELNS0_20block_scan_algorithmE0ELj4294967295EEENS1_25partition_config_selectorILNS1_17partition_subalgoE3EjNS0_10empty_typeEbEEZZNS1_14partition_implILS8_3ELb0ES6_jNS0_17counting_iteratorIjlEEPS9_SE_NS0_5tupleIJPjSE_EEENSF_IJSE_SE_EEES9_SG_JZNS1_25segmented_radix_sort_implINS0_14default_configELb0EPKaPaPKlPlN2at6native12_GLOBAL__N_18offset_tEEE10hipError_tPvRmT1_PNSt15iterator_traitsISY_E10value_typeET2_T3_PNSZ_IS14_E10value_typeET4_jRbjT5_S1A_jjP12ihipStream_tbEUljE_EEESV_SW_SX_S14_S18_S1A_T6_T7_T9_mT8_S1C_bDpT10_ENKUlT_T0_E_clISt17integral_constantIbLb1EES1P_EEDaS1K_S1L_EUlS1K_E_NS1_11comp_targetILNS1_3genE3ELNS1_11target_archE908ELNS1_3gpuE7ELNS1_3repE0EEENS1_30default_config_static_selectorELNS0_4arch9wavefront6targetE1EEEvSY_,"axG",@progbits,_ZN7rocprim17ROCPRIM_400000_NS6detail17trampoline_kernelINS0_13select_configILj256ELj13ELNS0_17block_load_methodE3ELS4_3ELS4_3ELNS0_20block_scan_algorithmE0ELj4294967295EEENS1_25partition_config_selectorILNS1_17partition_subalgoE3EjNS0_10empty_typeEbEEZZNS1_14partition_implILS8_3ELb0ES6_jNS0_17counting_iteratorIjlEEPS9_SE_NS0_5tupleIJPjSE_EEENSF_IJSE_SE_EEES9_SG_JZNS1_25segmented_radix_sort_implINS0_14default_configELb0EPKaPaPKlPlN2at6native12_GLOBAL__N_18offset_tEEE10hipError_tPvRmT1_PNSt15iterator_traitsISY_E10value_typeET2_T3_PNSZ_IS14_E10value_typeET4_jRbjT5_S1A_jjP12ihipStream_tbEUljE_EEESV_SW_SX_S14_S18_S1A_T6_T7_T9_mT8_S1C_bDpT10_ENKUlT_T0_E_clISt17integral_constantIbLb1EES1P_EEDaS1K_S1L_EUlS1K_E_NS1_11comp_targetILNS1_3genE3ELNS1_11target_archE908ELNS1_3gpuE7ELNS1_3repE0EEENS1_30default_config_static_selectorELNS0_4arch9wavefront6targetE1EEEvSY_,comdat
	.globl	_ZN7rocprim17ROCPRIM_400000_NS6detail17trampoline_kernelINS0_13select_configILj256ELj13ELNS0_17block_load_methodE3ELS4_3ELS4_3ELNS0_20block_scan_algorithmE0ELj4294967295EEENS1_25partition_config_selectorILNS1_17partition_subalgoE3EjNS0_10empty_typeEbEEZZNS1_14partition_implILS8_3ELb0ES6_jNS0_17counting_iteratorIjlEEPS9_SE_NS0_5tupleIJPjSE_EEENSF_IJSE_SE_EEES9_SG_JZNS1_25segmented_radix_sort_implINS0_14default_configELb0EPKaPaPKlPlN2at6native12_GLOBAL__N_18offset_tEEE10hipError_tPvRmT1_PNSt15iterator_traitsISY_E10value_typeET2_T3_PNSZ_IS14_E10value_typeET4_jRbjT5_S1A_jjP12ihipStream_tbEUljE_EEESV_SW_SX_S14_S18_S1A_T6_T7_T9_mT8_S1C_bDpT10_ENKUlT_T0_E_clISt17integral_constantIbLb1EES1P_EEDaS1K_S1L_EUlS1K_E_NS1_11comp_targetILNS1_3genE3ELNS1_11target_archE908ELNS1_3gpuE7ELNS1_3repE0EEENS1_30default_config_static_selectorELNS0_4arch9wavefront6targetE1EEEvSY_ ; -- Begin function _ZN7rocprim17ROCPRIM_400000_NS6detail17trampoline_kernelINS0_13select_configILj256ELj13ELNS0_17block_load_methodE3ELS4_3ELS4_3ELNS0_20block_scan_algorithmE0ELj4294967295EEENS1_25partition_config_selectorILNS1_17partition_subalgoE3EjNS0_10empty_typeEbEEZZNS1_14partition_implILS8_3ELb0ES6_jNS0_17counting_iteratorIjlEEPS9_SE_NS0_5tupleIJPjSE_EEENSF_IJSE_SE_EEES9_SG_JZNS1_25segmented_radix_sort_implINS0_14default_configELb0EPKaPaPKlPlN2at6native12_GLOBAL__N_18offset_tEEE10hipError_tPvRmT1_PNSt15iterator_traitsISY_E10value_typeET2_T3_PNSZ_IS14_E10value_typeET4_jRbjT5_S1A_jjP12ihipStream_tbEUljE_EEESV_SW_SX_S14_S18_S1A_T6_T7_T9_mT8_S1C_bDpT10_ENKUlT_T0_E_clISt17integral_constantIbLb1EES1P_EEDaS1K_S1L_EUlS1K_E_NS1_11comp_targetILNS1_3genE3ELNS1_11target_archE908ELNS1_3gpuE7ELNS1_3repE0EEENS1_30default_config_static_selectorELNS0_4arch9wavefront6targetE1EEEvSY_
	.p2align	8
	.type	_ZN7rocprim17ROCPRIM_400000_NS6detail17trampoline_kernelINS0_13select_configILj256ELj13ELNS0_17block_load_methodE3ELS4_3ELS4_3ELNS0_20block_scan_algorithmE0ELj4294967295EEENS1_25partition_config_selectorILNS1_17partition_subalgoE3EjNS0_10empty_typeEbEEZZNS1_14partition_implILS8_3ELb0ES6_jNS0_17counting_iteratorIjlEEPS9_SE_NS0_5tupleIJPjSE_EEENSF_IJSE_SE_EEES9_SG_JZNS1_25segmented_radix_sort_implINS0_14default_configELb0EPKaPaPKlPlN2at6native12_GLOBAL__N_18offset_tEEE10hipError_tPvRmT1_PNSt15iterator_traitsISY_E10value_typeET2_T3_PNSZ_IS14_E10value_typeET4_jRbjT5_S1A_jjP12ihipStream_tbEUljE_EEESV_SW_SX_S14_S18_S1A_T6_T7_T9_mT8_S1C_bDpT10_ENKUlT_T0_E_clISt17integral_constantIbLb1EES1P_EEDaS1K_S1L_EUlS1K_E_NS1_11comp_targetILNS1_3genE3ELNS1_11target_archE908ELNS1_3gpuE7ELNS1_3repE0EEENS1_30default_config_static_selectorELNS0_4arch9wavefront6targetE1EEEvSY_,@function
_ZN7rocprim17ROCPRIM_400000_NS6detail17trampoline_kernelINS0_13select_configILj256ELj13ELNS0_17block_load_methodE3ELS4_3ELS4_3ELNS0_20block_scan_algorithmE0ELj4294967295EEENS1_25partition_config_selectorILNS1_17partition_subalgoE3EjNS0_10empty_typeEbEEZZNS1_14partition_implILS8_3ELb0ES6_jNS0_17counting_iteratorIjlEEPS9_SE_NS0_5tupleIJPjSE_EEENSF_IJSE_SE_EEES9_SG_JZNS1_25segmented_radix_sort_implINS0_14default_configELb0EPKaPaPKlPlN2at6native12_GLOBAL__N_18offset_tEEE10hipError_tPvRmT1_PNSt15iterator_traitsISY_E10value_typeET2_T3_PNSZ_IS14_E10value_typeET4_jRbjT5_S1A_jjP12ihipStream_tbEUljE_EEESV_SW_SX_S14_S18_S1A_T6_T7_T9_mT8_S1C_bDpT10_ENKUlT_T0_E_clISt17integral_constantIbLb1EES1P_EEDaS1K_S1L_EUlS1K_E_NS1_11comp_targetILNS1_3genE3ELNS1_11target_archE908ELNS1_3gpuE7ELNS1_3repE0EEENS1_30default_config_static_selectorELNS0_4arch9wavefront6targetE1EEEvSY_: ; @_ZN7rocprim17ROCPRIM_400000_NS6detail17trampoline_kernelINS0_13select_configILj256ELj13ELNS0_17block_load_methodE3ELS4_3ELS4_3ELNS0_20block_scan_algorithmE0ELj4294967295EEENS1_25partition_config_selectorILNS1_17partition_subalgoE3EjNS0_10empty_typeEbEEZZNS1_14partition_implILS8_3ELb0ES6_jNS0_17counting_iteratorIjlEEPS9_SE_NS0_5tupleIJPjSE_EEENSF_IJSE_SE_EEES9_SG_JZNS1_25segmented_radix_sort_implINS0_14default_configELb0EPKaPaPKlPlN2at6native12_GLOBAL__N_18offset_tEEE10hipError_tPvRmT1_PNSt15iterator_traitsISY_E10value_typeET2_T3_PNSZ_IS14_E10value_typeET4_jRbjT5_S1A_jjP12ihipStream_tbEUljE_EEESV_SW_SX_S14_S18_S1A_T6_T7_T9_mT8_S1C_bDpT10_ENKUlT_T0_E_clISt17integral_constantIbLb1EES1P_EEDaS1K_S1L_EUlS1K_E_NS1_11comp_targetILNS1_3genE3ELNS1_11target_archE908ELNS1_3gpuE7ELNS1_3repE0EEENS1_30default_config_static_selectorELNS0_4arch9wavefront6targetE1EEEvSY_
; %bb.0:
	.section	.rodata,"a",@progbits
	.p2align	6, 0x0
	.amdhsa_kernel _ZN7rocprim17ROCPRIM_400000_NS6detail17trampoline_kernelINS0_13select_configILj256ELj13ELNS0_17block_load_methodE3ELS4_3ELS4_3ELNS0_20block_scan_algorithmE0ELj4294967295EEENS1_25partition_config_selectorILNS1_17partition_subalgoE3EjNS0_10empty_typeEbEEZZNS1_14partition_implILS8_3ELb0ES6_jNS0_17counting_iteratorIjlEEPS9_SE_NS0_5tupleIJPjSE_EEENSF_IJSE_SE_EEES9_SG_JZNS1_25segmented_radix_sort_implINS0_14default_configELb0EPKaPaPKlPlN2at6native12_GLOBAL__N_18offset_tEEE10hipError_tPvRmT1_PNSt15iterator_traitsISY_E10value_typeET2_T3_PNSZ_IS14_E10value_typeET4_jRbjT5_S1A_jjP12ihipStream_tbEUljE_EEESV_SW_SX_S14_S18_S1A_T6_T7_T9_mT8_S1C_bDpT10_ENKUlT_T0_E_clISt17integral_constantIbLb1EES1P_EEDaS1K_S1L_EUlS1K_E_NS1_11comp_targetILNS1_3genE3ELNS1_11target_archE908ELNS1_3gpuE7ELNS1_3repE0EEENS1_30default_config_static_selectorELNS0_4arch9wavefront6targetE1EEEvSY_
		.amdhsa_group_segment_fixed_size 0
		.amdhsa_private_segment_fixed_size 0
		.amdhsa_kernarg_size 152
		.amdhsa_user_sgpr_count 6
		.amdhsa_user_sgpr_private_segment_buffer 1
		.amdhsa_user_sgpr_dispatch_ptr 0
		.amdhsa_user_sgpr_queue_ptr 0
		.amdhsa_user_sgpr_kernarg_segment_ptr 1
		.amdhsa_user_sgpr_dispatch_id 0
		.amdhsa_user_sgpr_flat_scratch_init 0
		.amdhsa_user_sgpr_kernarg_preload_length 0
		.amdhsa_user_sgpr_kernarg_preload_offset 0
		.amdhsa_user_sgpr_private_segment_size 0
		.amdhsa_uses_dynamic_stack 0
		.amdhsa_system_sgpr_private_segment_wavefront_offset 0
		.amdhsa_system_sgpr_workgroup_id_x 1
		.amdhsa_system_sgpr_workgroup_id_y 0
		.amdhsa_system_sgpr_workgroup_id_z 0
		.amdhsa_system_sgpr_workgroup_info 0
		.amdhsa_system_vgpr_workitem_id 0
		.amdhsa_next_free_vgpr 1
		.amdhsa_next_free_sgpr 0
		.amdhsa_accum_offset 4
		.amdhsa_reserve_vcc 0
		.amdhsa_reserve_flat_scratch 0
		.amdhsa_float_round_mode_32 0
		.amdhsa_float_round_mode_16_64 0
		.amdhsa_float_denorm_mode_32 3
		.amdhsa_float_denorm_mode_16_64 3
		.amdhsa_dx10_clamp 1
		.amdhsa_ieee_mode 1
		.amdhsa_fp16_overflow 0
		.amdhsa_tg_split 0
		.amdhsa_exception_fp_ieee_invalid_op 0
		.amdhsa_exception_fp_denorm_src 0
		.amdhsa_exception_fp_ieee_div_zero 0
		.amdhsa_exception_fp_ieee_overflow 0
		.amdhsa_exception_fp_ieee_underflow 0
		.amdhsa_exception_fp_ieee_inexact 0
		.amdhsa_exception_int_div_zero 0
	.end_amdhsa_kernel
	.section	.text._ZN7rocprim17ROCPRIM_400000_NS6detail17trampoline_kernelINS0_13select_configILj256ELj13ELNS0_17block_load_methodE3ELS4_3ELS4_3ELNS0_20block_scan_algorithmE0ELj4294967295EEENS1_25partition_config_selectorILNS1_17partition_subalgoE3EjNS0_10empty_typeEbEEZZNS1_14partition_implILS8_3ELb0ES6_jNS0_17counting_iteratorIjlEEPS9_SE_NS0_5tupleIJPjSE_EEENSF_IJSE_SE_EEES9_SG_JZNS1_25segmented_radix_sort_implINS0_14default_configELb0EPKaPaPKlPlN2at6native12_GLOBAL__N_18offset_tEEE10hipError_tPvRmT1_PNSt15iterator_traitsISY_E10value_typeET2_T3_PNSZ_IS14_E10value_typeET4_jRbjT5_S1A_jjP12ihipStream_tbEUljE_EEESV_SW_SX_S14_S18_S1A_T6_T7_T9_mT8_S1C_bDpT10_ENKUlT_T0_E_clISt17integral_constantIbLb1EES1P_EEDaS1K_S1L_EUlS1K_E_NS1_11comp_targetILNS1_3genE3ELNS1_11target_archE908ELNS1_3gpuE7ELNS1_3repE0EEENS1_30default_config_static_selectorELNS0_4arch9wavefront6targetE1EEEvSY_,"axG",@progbits,_ZN7rocprim17ROCPRIM_400000_NS6detail17trampoline_kernelINS0_13select_configILj256ELj13ELNS0_17block_load_methodE3ELS4_3ELS4_3ELNS0_20block_scan_algorithmE0ELj4294967295EEENS1_25partition_config_selectorILNS1_17partition_subalgoE3EjNS0_10empty_typeEbEEZZNS1_14partition_implILS8_3ELb0ES6_jNS0_17counting_iteratorIjlEEPS9_SE_NS0_5tupleIJPjSE_EEENSF_IJSE_SE_EEES9_SG_JZNS1_25segmented_radix_sort_implINS0_14default_configELb0EPKaPaPKlPlN2at6native12_GLOBAL__N_18offset_tEEE10hipError_tPvRmT1_PNSt15iterator_traitsISY_E10value_typeET2_T3_PNSZ_IS14_E10value_typeET4_jRbjT5_S1A_jjP12ihipStream_tbEUljE_EEESV_SW_SX_S14_S18_S1A_T6_T7_T9_mT8_S1C_bDpT10_ENKUlT_T0_E_clISt17integral_constantIbLb1EES1P_EEDaS1K_S1L_EUlS1K_E_NS1_11comp_targetILNS1_3genE3ELNS1_11target_archE908ELNS1_3gpuE7ELNS1_3repE0EEENS1_30default_config_static_selectorELNS0_4arch9wavefront6targetE1EEEvSY_,comdat
.Lfunc_end372:
	.size	_ZN7rocprim17ROCPRIM_400000_NS6detail17trampoline_kernelINS0_13select_configILj256ELj13ELNS0_17block_load_methodE3ELS4_3ELS4_3ELNS0_20block_scan_algorithmE0ELj4294967295EEENS1_25partition_config_selectorILNS1_17partition_subalgoE3EjNS0_10empty_typeEbEEZZNS1_14partition_implILS8_3ELb0ES6_jNS0_17counting_iteratorIjlEEPS9_SE_NS0_5tupleIJPjSE_EEENSF_IJSE_SE_EEES9_SG_JZNS1_25segmented_radix_sort_implINS0_14default_configELb0EPKaPaPKlPlN2at6native12_GLOBAL__N_18offset_tEEE10hipError_tPvRmT1_PNSt15iterator_traitsISY_E10value_typeET2_T3_PNSZ_IS14_E10value_typeET4_jRbjT5_S1A_jjP12ihipStream_tbEUljE_EEESV_SW_SX_S14_S18_S1A_T6_T7_T9_mT8_S1C_bDpT10_ENKUlT_T0_E_clISt17integral_constantIbLb1EES1P_EEDaS1K_S1L_EUlS1K_E_NS1_11comp_targetILNS1_3genE3ELNS1_11target_archE908ELNS1_3gpuE7ELNS1_3repE0EEENS1_30default_config_static_selectorELNS0_4arch9wavefront6targetE1EEEvSY_, .Lfunc_end372-_ZN7rocprim17ROCPRIM_400000_NS6detail17trampoline_kernelINS0_13select_configILj256ELj13ELNS0_17block_load_methodE3ELS4_3ELS4_3ELNS0_20block_scan_algorithmE0ELj4294967295EEENS1_25partition_config_selectorILNS1_17partition_subalgoE3EjNS0_10empty_typeEbEEZZNS1_14partition_implILS8_3ELb0ES6_jNS0_17counting_iteratorIjlEEPS9_SE_NS0_5tupleIJPjSE_EEENSF_IJSE_SE_EEES9_SG_JZNS1_25segmented_radix_sort_implINS0_14default_configELb0EPKaPaPKlPlN2at6native12_GLOBAL__N_18offset_tEEE10hipError_tPvRmT1_PNSt15iterator_traitsISY_E10value_typeET2_T3_PNSZ_IS14_E10value_typeET4_jRbjT5_S1A_jjP12ihipStream_tbEUljE_EEESV_SW_SX_S14_S18_S1A_T6_T7_T9_mT8_S1C_bDpT10_ENKUlT_T0_E_clISt17integral_constantIbLb1EES1P_EEDaS1K_S1L_EUlS1K_E_NS1_11comp_targetILNS1_3genE3ELNS1_11target_archE908ELNS1_3gpuE7ELNS1_3repE0EEENS1_30default_config_static_selectorELNS0_4arch9wavefront6targetE1EEEvSY_
                                        ; -- End function
	.section	.AMDGPU.csdata,"",@progbits
; Kernel info:
; codeLenInByte = 0
; NumSgprs: 4
; NumVgprs: 0
; NumAgprs: 0
; TotalNumVgprs: 0
; ScratchSize: 0
; MemoryBound: 0
; FloatMode: 240
; IeeeMode: 1
; LDSByteSize: 0 bytes/workgroup (compile time only)
; SGPRBlocks: 0
; VGPRBlocks: 0
; NumSGPRsForWavesPerEU: 4
; NumVGPRsForWavesPerEU: 1
; AccumOffset: 4
; Occupancy: 8
; WaveLimiterHint : 0
; COMPUTE_PGM_RSRC2:SCRATCH_EN: 0
; COMPUTE_PGM_RSRC2:USER_SGPR: 6
; COMPUTE_PGM_RSRC2:TRAP_HANDLER: 0
; COMPUTE_PGM_RSRC2:TGID_X_EN: 1
; COMPUTE_PGM_RSRC2:TGID_Y_EN: 0
; COMPUTE_PGM_RSRC2:TGID_Z_EN: 0
; COMPUTE_PGM_RSRC2:TIDIG_COMP_CNT: 0
; COMPUTE_PGM_RSRC3_GFX90A:ACCUM_OFFSET: 0
; COMPUTE_PGM_RSRC3_GFX90A:TG_SPLIT: 0
	.section	.text._ZN7rocprim17ROCPRIM_400000_NS6detail17trampoline_kernelINS0_13select_configILj256ELj13ELNS0_17block_load_methodE3ELS4_3ELS4_3ELNS0_20block_scan_algorithmE0ELj4294967295EEENS1_25partition_config_selectorILNS1_17partition_subalgoE3EjNS0_10empty_typeEbEEZZNS1_14partition_implILS8_3ELb0ES6_jNS0_17counting_iteratorIjlEEPS9_SE_NS0_5tupleIJPjSE_EEENSF_IJSE_SE_EEES9_SG_JZNS1_25segmented_radix_sort_implINS0_14default_configELb0EPKaPaPKlPlN2at6native12_GLOBAL__N_18offset_tEEE10hipError_tPvRmT1_PNSt15iterator_traitsISY_E10value_typeET2_T3_PNSZ_IS14_E10value_typeET4_jRbjT5_S1A_jjP12ihipStream_tbEUljE_EEESV_SW_SX_S14_S18_S1A_T6_T7_T9_mT8_S1C_bDpT10_ENKUlT_T0_E_clISt17integral_constantIbLb1EES1P_EEDaS1K_S1L_EUlS1K_E_NS1_11comp_targetILNS1_3genE2ELNS1_11target_archE906ELNS1_3gpuE6ELNS1_3repE0EEENS1_30default_config_static_selectorELNS0_4arch9wavefront6targetE1EEEvSY_,"axG",@progbits,_ZN7rocprim17ROCPRIM_400000_NS6detail17trampoline_kernelINS0_13select_configILj256ELj13ELNS0_17block_load_methodE3ELS4_3ELS4_3ELNS0_20block_scan_algorithmE0ELj4294967295EEENS1_25partition_config_selectorILNS1_17partition_subalgoE3EjNS0_10empty_typeEbEEZZNS1_14partition_implILS8_3ELb0ES6_jNS0_17counting_iteratorIjlEEPS9_SE_NS0_5tupleIJPjSE_EEENSF_IJSE_SE_EEES9_SG_JZNS1_25segmented_radix_sort_implINS0_14default_configELb0EPKaPaPKlPlN2at6native12_GLOBAL__N_18offset_tEEE10hipError_tPvRmT1_PNSt15iterator_traitsISY_E10value_typeET2_T3_PNSZ_IS14_E10value_typeET4_jRbjT5_S1A_jjP12ihipStream_tbEUljE_EEESV_SW_SX_S14_S18_S1A_T6_T7_T9_mT8_S1C_bDpT10_ENKUlT_T0_E_clISt17integral_constantIbLb1EES1P_EEDaS1K_S1L_EUlS1K_E_NS1_11comp_targetILNS1_3genE2ELNS1_11target_archE906ELNS1_3gpuE6ELNS1_3repE0EEENS1_30default_config_static_selectorELNS0_4arch9wavefront6targetE1EEEvSY_,comdat
	.globl	_ZN7rocprim17ROCPRIM_400000_NS6detail17trampoline_kernelINS0_13select_configILj256ELj13ELNS0_17block_load_methodE3ELS4_3ELS4_3ELNS0_20block_scan_algorithmE0ELj4294967295EEENS1_25partition_config_selectorILNS1_17partition_subalgoE3EjNS0_10empty_typeEbEEZZNS1_14partition_implILS8_3ELb0ES6_jNS0_17counting_iteratorIjlEEPS9_SE_NS0_5tupleIJPjSE_EEENSF_IJSE_SE_EEES9_SG_JZNS1_25segmented_radix_sort_implINS0_14default_configELb0EPKaPaPKlPlN2at6native12_GLOBAL__N_18offset_tEEE10hipError_tPvRmT1_PNSt15iterator_traitsISY_E10value_typeET2_T3_PNSZ_IS14_E10value_typeET4_jRbjT5_S1A_jjP12ihipStream_tbEUljE_EEESV_SW_SX_S14_S18_S1A_T6_T7_T9_mT8_S1C_bDpT10_ENKUlT_T0_E_clISt17integral_constantIbLb1EES1P_EEDaS1K_S1L_EUlS1K_E_NS1_11comp_targetILNS1_3genE2ELNS1_11target_archE906ELNS1_3gpuE6ELNS1_3repE0EEENS1_30default_config_static_selectorELNS0_4arch9wavefront6targetE1EEEvSY_ ; -- Begin function _ZN7rocprim17ROCPRIM_400000_NS6detail17trampoline_kernelINS0_13select_configILj256ELj13ELNS0_17block_load_methodE3ELS4_3ELS4_3ELNS0_20block_scan_algorithmE0ELj4294967295EEENS1_25partition_config_selectorILNS1_17partition_subalgoE3EjNS0_10empty_typeEbEEZZNS1_14partition_implILS8_3ELb0ES6_jNS0_17counting_iteratorIjlEEPS9_SE_NS0_5tupleIJPjSE_EEENSF_IJSE_SE_EEES9_SG_JZNS1_25segmented_radix_sort_implINS0_14default_configELb0EPKaPaPKlPlN2at6native12_GLOBAL__N_18offset_tEEE10hipError_tPvRmT1_PNSt15iterator_traitsISY_E10value_typeET2_T3_PNSZ_IS14_E10value_typeET4_jRbjT5_S1A_jjP12ihipStream_tbEUljE_EEESV_SW_SX_S14_S18_S1A_T6_T7_T9_mT8_S1C_bDpT10_ENKUlT_T0_E_clISt17integral_constantIbLb1EES1P_EEDaS1K_S1L_EUlS1K_E_NS1_11comp_targetILNS1_3genE2ELNS1_11target_archE906ELNS1_3gpuE6ELNS1_3repE0EEENS1_30default_config_static_selectorELNS0_4arch9wavefront6targetE1EEEvSY_
	.p2align	8
	.type	_ZN7rocprim17ROCPRIM_400000_NS6detail17trampoline_kernelINS0_13select_configILj256ELj13ELNS0_17block_load_methodE3ELS4_3ELS4_3ELNS0_20block_scan_algorithmE0ELj4294967295EEENS1_25partition_config_selectorILNS1_17partition_subalgoE3EjNS0_10empty_typeEbEEZZNS1_14partition_implILS8_3ELb0ES6_jNS0_17counting_iteratorIjlEEPS9_SE_NS0_5tupleIJPjSE_EEENSF_IJSE_SE_EEES9_SG_JZNS1_25segmented_radix_sort_implINS0_14default_configELb0EPKaPaPKlPlN2at6native12_GLOBAL__N_18offset_tEEE10hipError_tPvRmT1_PNSt15iterator_traitsISY_E10value_typeET2_T3_PNSZ_IS14_E10value_typeET4_jRbjT5_S1A_jjP12ihipStream_tbEUljE_EEESV_SW_SX_S14_S18_S1A_T6_T7_T9_mT8_S1C_bDpT10_ENKUlT_T0_E_clISt17integral_constantIbLb1EES1P_EEDaS1K_S1L_EUlS1K_E_NS1_11comp_targetILNS1_3genE2ELNS1_11target_archE906ELNS1_3gpuE6ELNS1_3repE0EEENS1_30default_config_static_selectorELNS0_4arch9wavefront6targetE1EEEvSY_,@function
_ZN7rocprim17ROCPRIM_400000_NS6detail17trampoline_kernelINS0_13select_configILj256ELj13ELNS0_17block_load_methodE3ELS4_3ELS4_3ELNS0_20block_scan_algorithmE0ELj4294967295EEENS1_25partition_config_selectorILNS1_17partition_subalgoE3EjNS0_10empty_typeEbEEZZNS1_14partition_implILS8_3ELb0ES6_jNS0_17counting_iteratorIjlEEPS9_SE_NS0_5tupleIJPjSE_EEENSF_IJSE_SE_EEES9_SG_JZNS1_25segmented_radix_sort_implINS0_14default_configELb0EPKaPaPKlPlN2at6native12_GLOBAL__N_18offset_tEEE10hipError_tPvRmT1_PNSt15iterator_traitsISY_E10value_typeET2_T3_PNSZ_IS14_E10value_typeET4_jRbjT5_S1A_jjP12ihipStream_tbEUljE_EEESV_SW_SX_S14_S18_S1A_T6_T7_T9_mT8_S1C_bDpT10_ENKUlT_T0_E_clISt17integral_constantIbLb1EES1P_EEDaS1K_S1L_EUlS1K_E_NS1_11comp_targetILNS1_3genE2ELNS1_11target_archE906ELNS1_3gpuE6ELNS1_3repE0EEENS1_30default_config_static_selectorELNS0_4arch9wavefront6targetE1EEEvSY_: ; @_ZN7rocprim17ROCPRIM_400000_NS6detail17trampoline_kernelINS0_13select_configILj256ELj13ELNS0_17block_load_methodE3ELS4_3ELS4_3ELNS0_20block_scan_algorithmE0ELj4294967295EEENS1_25partition_config_selectorILNS1_17partition_subalgoE3EjNS0_10empty_typeEbEEZZNS1_14partition_implILS8_3ELb0ES6_jNS0_17counting_iteratorIjlEEPS9_SE_NS0_5tupleIJPjSE_EEENSF_IJSE_SE_EEES9_SG_JZNS1_25segmented_radix_sort_implINS0_14default_configELb0EPKaPaPKlPlN2at6native12_GLOBAL__N_18offset_tEEE10hipError_tPvRmT1_PNSt15iterator_traitsISY_E10value_typeET2_T3_PNSZ_IS14_E10value_typeET4_jRbjT5_S1A_jjP12ihipStream_tbEUljE_EEESV_SW_SX_S14_S18_S1A_T6_T7_T9_mT8_S1C_bDpT10_ENKUlT_T0_E_clISt17integral_constantIbLb1EES1P_EEDaS1K_S1L_EUlS1K_E_NS1_11comp_targetILNS1_3genE2ELNS1_11target_archE906ELNS1_3gpuE6ELNS1_3repE0EEENS1_30default_config_static_selectorELNS0_4arch9wavefront6targetE1EEEvSY_
; %bb.0:
	.section	.rodata,"a",@progbits
	.p2align	6, 0x0
	.amdhsa_kernel _ZN7rocprim17ROCPRIM_400000_NS6detail17trampoline_kernelINS0_13select_configILj256ELj13ELNS0_17block_load_methodE3ELS4_3ELS4_3ELNS0_20block_scan_algorithmE0ELj4294967295EEENS1_25partition_config_selectorILNS1_17partition_subalgoE3EjNS0_10empty_typeEbEEZZNS1_14partition_implILS8_3ELb0ES6_jNS0_17counting_iteratorIjlEEPS9_SE_NS0_5tupleIJPjSE_EEENSF_IJSE_SE_EEES9_SG_JZNS1_25segmented_radix_sort_implINS0_14default_configELb0EPKaPaPKlPlN2at6native12_GLOBAL__N_18offset_tEEE10hipError_tPvRmT1_PNSt15iterator_traitsISY_E10value_typeET2_T3_PNSZ_IS14_E10value_typeET4_jRbjT5_S1A_jjP12ihipStream_tbEUljE_EEESV_SW_SX_S14_S18_S1A_T6_T7_T9_mT8_S1C_bDpT10_ENKUlT_T0_E_clISt17integral_constantIbLb1EES1P_EEDaS1K_S1L_EUlS1K_E_NS1_11comp_targetILNS1_3genE2ELNS1_11target_archE906ELNS1_3gpuE6ELNS1_3repE0EEENS1_30default_config_static_selectorELNS0_4arch9wavefront6targetE1EEEvSY_
		.amdhsa_group_segment_fixed_size 0
		.amdhsa_private_segment_fixed_size 0
		.amdhsa_kernarg_size 152
		.amdhsa_user_sgpr_count 6
		.amdhsa_user_sgpr_private_segment_buffer 1
		.amdhsa_user_sgpr_dispatch_ptr 0
		.amdhsa_user_sgpr_queue_ptr 0
		.amdhsa_user_sgpr_kernarg_segment_ptr 1
		.amdhsa_user_sgpr_dispatch_id 0
		.amdhsa_user_sgpr_flat_scratch_init 0
		.amdhsa_user_sgpr_kernarg_preload_length 0
		.amdhsa_user_sgpr_kernarg_preload_offset 0
		.amdhsa_user_sgpr_private_segment_size 0
		.amdhsa_uses_dynamic_stack 0
		.amdhsa_system_sgpr_private_segment_wavefront_offset 0
		.amdhsa_system_sgpr_workgroup_id_x 1
		.amdhsa_system_sgpr_workgroup_id_y 0
		.amdhsa_system_sgpr_workgroup_id_z 0
		.amdhsa_system_sgpr_workgroup_info 0
		.amdhsa_system_vgpr_workitem_id 0
		.amdhsa_next_free_vgpr 1
		.amdhsa_next_free_sgpr 0
		.amdhsa_accum_offset 4
		.amdhsa_reserve_vcc 0
		.amdhsa_reserve_flat_scratch 0
		.amdhsa_float_round_mode_32 0
		.amdhsa_float_round_mode_16_64 0
		.amdhsa_float_denorm_mode_32 3
		.amdhsa_float_denorm_mode_16_64 3
		.amdhsa_dx10_clamp 1
		.amdhsa_ieee_mode 1
		.amdhsa_fp16_overflow 0
		.amdhsa_tg_split 0
		.amdhsa_exception_fp_ieee_invalid_op 0
		.amdhsa_exception_fp_denorm_src 0
		.amdhsa_exception_fp_ieee_div_zero 0
		.amdhsa_exception_fp_ieee_overflow 0
		.amdhsa_exception_fp_ieee_underflow 0
		.amdhsa_exception_fp_ieee_inexact 0
		.amdhsa_exception_int_div_zero 0
	.end_amdhsa_kernel
	.section	.text._ZN7rocprim17ROCPRIM_400000_NS6detail17trampoline_kernelINS0_13select_configILj256ELj13ELNS0_17block_load_methodE3ELS4_3ELS4_3ELNS0_20block_scan_algorithmE0ELj4294967295EEENS1_25partition_config_selectorILNS1_17partition_subalgoE3EjNS0_10empty_typeEbEEZZNS1_14partition_implILS8_3ELb0ES6_jNS0_17counting_iteratorIjlEEPS9_SE_NS0_5tupleIJPjSE_EEENSF_IJSE_SE_EEES9_SG_JZNS1_25segmented_radix_sort_implINS0_14default_configELb0EPKaPaPKlPlN2at6native12_GLOBAL__N_18offset_tEEE10hipError_tPvRmT1_PNSt15iterator_traitsISY_E10value_typeET2_T3_PNSZ_IS14_E10value_typeET4_jRbjT5_S1A_jjP12ihipStream_tbEUljE_EEESV_SW_SX_S14_S18_S1A_T6_T7_T9_mT8_S1C_bDpT10_ENKUlT_T0_E_clISt17integral_constantIbLb1EES1P_EEDaS1K_S1L_EUlS1K_E_NS1_11comp_targetILNS1_3genE2ELNS1_11target_archE906ELNS1_3gpuE6ELNS1_3repE0EEENS1_30default_config_static_selectorELNS0_4arch9wavefront6targetE1EEEvSY_,"axG",@progbits,_ZN7rocprim17ROCPRIM_400000_NS6detail17trampoline_kernelINS0_13select_configILj256ELj13ELNS0_17block_load_methodE3ELS4_3ELS4_3ELNS0_20block_scan_algorithmE0ELj4294967295EEENS1_25partition_config_selectorILNS1_17partition_subalgoE3EjNS0_10empty_typeEbEEZZNS1_14partition_implILS8_3ELb0ES6_jNS0_17counting_iteratorIjlEEPS9_SE_NS0_5tupleIJPjSE_EEENSF_IJSE_SE_EEES9_SG_JZNS1_25segmented_radix_sort_implINS0_14default_configELb0EPKaPaPKlPlN2at6native12_GLOBAL__N_18offset_tEEE10hipError_tPvRmT1_PNSt15iterator_traitsISY_E10value_typeET2_T3_PNSZ_IS14_E10value_typeET4_jRbjT5_S1A_jjP12ihipStream_tbEUljE_EEESV_SW_SX_S14_S18_S1A_T6_T7_T9_mT8_S1C_bDpT10_ENKUlT_T0_E_clISt17integral_constantIbLb1EES1P_EEDaS1K_S1L_EUlS1K_E_NS1_11comp_targetILNS1_3genE2ELNS1_11target_archE906ELNS1_3gpuE6ELNS1_3repE0EEENS1_30default_config_static_selectorELNS0_4arch9wavefront6targetE1EEEvSY_,comdat
.Lfunc_end373:
	.size	_ZN7rocprim17ROCPRIM_400000_NS6detail17trampoline_kernelINS0_13select_configILj256ELj13ELNS0_17block_load_methodE3ELS4_3ELS4_3ELNS0_20block_scan_algorithmE0ELj4294967295EEENS1_25partition_config_selectorILNS1_17partition_subalgoE3EjNS0_10empty_typeEbEEZZNS1_14partition_implILS8_3ELb0ES6_jNS0_17counting_iteratorIjlEEPS9_SE_NS0_5tupleIJPjSE_EEENSF_IJSE_SE_EEES9_SG_JZNS1_25segmented_radix_sort_implINS0_14default_configELb0EPKaPaPKlPlN2at6native12_GLOBAL__N_18offset_tEEE10hipError_tPvRmT1_PNSt15iterator_traitsISY_E10value_typeET2_T3_PNSZ_IS14_E10value_typeET4_jRbjT5_S1A_jjP12ihipStream_tbEUljE_EEESV_SW_SX_S14_S18_S1A_T6_T7_T9_mT8_S1C_bDpT10_ENKUlT_T0_E_clISt17integral_constantIbLb1EES1P_EEDaS1K_S1L_EUlS1K_E_NS1_11comp_targetILNS1_3genE2ELNS1_11target_archE906ELNS1_3gpuE6ELNS1_3repE0EEENS1_30default_config_static_selectorELNS0_4arch9wavefront6targetE1EEEvSY_, .Lfunc_end373-_ZN7rocprim17ROCPRIM_400000_NS6detail17trampoline_kernelINS0_13select_configILj256ELj13ELNS0_17block_load_methodE3ELS4_3ELS4_3ELNS0_20block_scan_algorithmE0ELj4294967295EEENS1_25partition_config_selectorILNS1_17partition_subalgoE3EjNS0_10empty_typeEbEEZZNS1_14partition_implILS8_3ELb0ES6_jNS0_17counting_iteratorIjlEEPS9_SE_NS0_5tupleIJPjSE_EEENSF_IJSE_SE_EEES9_SG_JZNS1_25segmented_radix_sort_implINS0_14default_configELb0EPKaPaPKlPlN2at6native12_GLOBAL__N_18offset_tEEE10hipError_tPvRmT1_PNSt15iterator_traitsISY_E10value_typeET2_T3_PNSZ_IS14_E10value_typeET4_jRbjT5_S1A_jjP12ihipStream_tbEUljE_EEESV_SW_SX_S14_S18_S1A_T6_T7_T9_mT8_S1C_bDpT10_ENKUlT_T0_E_clISt17integral_constantIbLb1EES1P_EEDaS1K_S1L_EUlS1K_E_NS1_11comp_targetILNS1_3genE2ELNS1_11target_archE906ELNS1_3gpuE6ELNS1_3repE0EEENS1_30default_config_static_selectorELNS0_4arch9wavefront6targetE1EEEvSY_
                                        ; -- End function
	.section	.AMDGPU.csdata,"",@progbits
; Kernel info:
; codeLenInByte = 0
; NumSgprs: 4
; NumVgprs: 0
; NumAgprs: 0
; TotalNumVgprs: 0
; ScratchSize: 0
; MemoryBound: 0
; FloatMode: 240
; IeeeMode: 1
; LDSByteSize: 0 bytes/workgroup (compile time only)
; SGPRBlocks: 0
; VGPRBlocks: 0
; NumSGPRsForWavesPerEU: 4
; NumVGPRsForWavesPerEU: 1
; AccumOffset: 4
; Occupancy: 8
; WaveLimiterHint : 0
; COMPUTE_PGM_RSRC2:SCRATCH_EN: 0
; COMPUTE_PGM_RSRC2:USER_SGPR: 6
; COMPUTE_PGM_RSRC2:TRAP_HANDLER: 0
; COMPUTE_PGM_RSRC2:TGID_X_EN: 1
; COMPUTE_PGM_RSRC2:TGID_Y_EN: 0
; COMPUTE_PGM_RSRC2:TGID_Z_EN: 0
; COMPUTE_PGM_RSRC2:TIDIG_COMP_CNT: 0
; COMPUTE_PGM_RSRC3_GFX90A:ACCUM_OFFSET: 0
; COMPUTE_PGM_RSRC3_GFX90A:TG_SPLIT: 0
	.section	.text._ZN7rocprim17ROCPRIM_400000_NS6detail17trampoline_kernelINS0_13select_configILj256ELj13ELNS0_17block_load_methodE3ELS4_3ELS4_3ELNS0_20block_scan_algorithmE0ELj4294967295EEENS1_25partition_config_selectorILNS1_17partition_subalgoE3EjNS0_10empty_typeEbEEZZNS1_14partition_implILS8_3ELb0ES6_jNS0_17counting_iteratorIjlEEPS9_SE_NS0_5tupleIJPjSE_EEENSF_IJSE_SE_EEES9_SG_JZNS1_25segmented_radix_sort_implINS0_14default_configELb0EPKaPaPKlPlN2at6native12_GLOBAL__N_18offset_tEEE10hipError_tPvRmT1_PNSt15iterator_traitsISY_E10value_typeET2_T3_PNSZ_IS14_E10value_typeET4_jRbjT5_S1A_jjP12ihipStream_tbEUljE_EEESV_SW_SX_S14_S18_S1A_T6_T7_T9_mT8_S1C_bDpT10_ENKUlT_T0_E_clISt17integral_constantIbLb1EES1P_EEDaS1K_S1L_EUlS1K_E_NS1_11comp_targetILNS1_3genE10ELNS1_11target_archE1200ELNS1_3gpuE4ELNS1_3repE0EEENS1_30default_config_static_selectorELNS0_4arch9wavefront6targetE1EEEvSY_,"axG",@progbits,_ZN7rocprim17ROCPRIM_400000_NS6detail17trampoline_kernelINS0_13select_configILj256ELj13ELNS0_17block_load_methodE3ELS4_3ELS4_3ELNS0_20block_scan_algorithmE0ELj4294967295EEENS1_25partition_config_selectorILNS1_17partition_subalgoE3EjNS0_10empty_typeEbEEZZNS1_14partition_implILS8_3ELb0ES6_jNS0_17counting_iteratorIjlEEPS9_SE_NS0_5tupleIJPjSE_EEENSF_IJSE_SE_EEES9_SG_JZNS1_25segmented_radix_sort_implINS0_14default_configELb0EPKaPaPKlPlN2at6native12_GLOBAL__N_18offset_tEEE10hipError_tPvRmT1_PNSt15iterator_traitsISY_E10value_typeET2_T3_PNSZ_IS14_E10value_typeET4_jRbjT5_S1A_jjP12ihipStream_tbEUljE_EEESV_SW_SX_S14_S18_S1A_T6_T7_T9_mT8_S1C_bDpT10_ENKUlT_T0_E_clISt17integral_constantIbLb1EES1P_EEDaS1K_S1L_EUlS1K_E_NS1_11comp_targetILNS1_3genE10ELNS1_11target_archE1200ELNS1_3gpuE4ELNS1_3repE0EEENS1_30default_config_static_selectorELNS0_4arch9wavefront6targetE1EEEvSY_,comdat
	.globl	_ZN7rocprim17ROCPRIM_400000_NS6detail17trampoline_kernelINS0_13select_configILj256ELj13ELNS0_17block_load_methodE3ELS4_3ELS4_3ELNS0_20block_scan_algorithmE0ELj4294967295EEENS1_25partition_config_selectorILNS1_17partition_subalgoE3EjNS0_10empty_typeEbEEZZNS1_14partition_implILS8_3ELb0ES6_jNS0_17counting_iteratorIjlEEPS9_SE_NS0_5tupleIJPjSE_EEENSF_IJSE_SE_EEES9_SG_JZNS1_25segmented_radix_sort_implINS0_14default_configELb0EPKaPaPKlPlN2at6native12_GLOBAL__N_18offset_tEEE10hipError_tPvRmT1_PNSt15iterator_traitsISY_E10value_typeET2_T3_PNSZ_IS14_E10value_typeET4_jRbjT5_S1A_jjP12ihipStream_tbEUljE_EEESV_SW_SX_S14_S18_S1A_T6_T7_T9_mT8_S1C_bDpT10_ENKUlT_T0_E_clISt17integral_constantIbLb1EES1P_EEDaS1K_S1L_EUlS1K_E_NS1_11comp_targetILNS1_3genE10ELNS1_11target_archE1200ELNS1_3gpuE4ELNS1_3repE0EEENS1_30default_config_static_selectorELNS0_4arch9wavefront6targetE1EEEvSY_ ; -- Begin function _ZN7rocprim17ROCPRIM_400000_NS6detail17trampoline_kernelINS0_13select_configILj256ELj13ELNS0_17block_load_methodE3ELS4_3ELS4_3ELNS0_20block_scan_algorithmE0ELj4294967295EEENS1_25partition_config_selectorILNS1_17partition_subalgoE3EjNS0_10empty_typeEbEEZZNS1_14partition_implILS8_3ELb0ES6_jNS0_17counting_iteratorIjlEEPS9_SE_NS0_5tupleIJPjSE_EEENSF_IJSE_SE_EEES9_SG_JZNS1_25segmented_radix_sort_implINS0_14default_configELb0EPKaPaPKlPlN2at6native12_GLOBAL__N_18offset_tEEE10hipError_tPvRmT1_PNSt15iterator_traitsISY_E10value_typeET2_T3_PNSZ_IS14_E10value_typeET4_jRbjT5_S1A_jjP12ihipStream_tbEUljE_EEESV_SW_SX_S14_S18_S1A_T6_T7_T9_mT8_S1C_bDpT10_ENKUlT_T0_E_clISt17integral_constantIbLb1EES1P_EEDaS1K_S1L_EUlS1K_E_NS1_11comp_targetILNS1_3genE10ELNS1_11target_archE1200ELNS1_3gpuE4ELNS1_3repE0EEENS1_30default_config_static_selectorELNS0_4arch9wavefront6targetE1EEEvSY_
	.p2align	8
	.type	_ZN7rocprim17ROCPRIM_400000_NS6detail17trampoline_kernelINS0_13select_configILj256ELj13ELNS0_17block_load_methodE3ELS4_3ELS4_3ELNS0_20block_scan_algorithmE0ELj4294967295EEENS1_25partition_config_selectorILNS1_17partition_subalgoE3EjNS0_10empty_typeEbEEZZNS1_14partition_implILS8_3ELb0ES6_jNS0_17counting_iteratorIjlEEPS9_SE_NS0_5tupleIJPjSE_EEENSF_IJSE_SE_EEES9_SG_JZNS1_25segmented_radix_sort_implINS0_14default_configELb0EPKaPaPKlPlN2at6native12_GLOBAL__N_18offset_tEEE10hipError_tPvRmT1_PNSt15iterator_traitsISY_E10value_typeET2_T3_PNSZ_IS14_E10value_typeET4_jRbjT5_S1A_jjP12ihipStream_tbEUljE_EEESV_SW_SX_S14_S18_S1A_T6_T7_T9_mT8_S1C_bDpT10_ENKUlT_T0_E_clISt17integral_constantIbLb1EES1P_EEDaS1K_S1L_EUlS1K_E_NS1_11comp_targetILNS1_3genE10ELNS1_11target_archE1200ELNS1_3gpuE4ELNS1_3repE0EEENS1_30default_config_static_selectorELNS0_4arch9wavefront6targetE1EEEvSY_,@function
_ZN7rocprim17ROCPRIM_400000_NS6detail17trampoline_kernelINS0_13select_configILj256ELj13ELNS0_17block_load_methodE3ELS4_3ELS4_3ELNS0_20block_scan_algorithmE0ELj4294967295EEENS1_25partition_config_selectorILNS1_17partition_subalgoE3EjNS0_10empty_typeEbEEZZNS1_14partition_implILS8_3ELb0ES6_jNS0_17counting_iteratorIjlEEPS9_SE_NS0_5tupleIJPjSE_EEENSF_IJSE_SE_EEES9_SG_JZNS1_25segmented_radix_sort_implINS0_14default_configELb0EPKaPaPKlPlN2at6native12_GLOBAL__N_18offset_tEEE10hipError_tPvRmT1_PNSt15iterator_traitsISY_E10value_typeET2_T3_PNSZ_IS14_E10value_typeET4_jRbjT5_S1A_jjP12ihipStream_tbEUljE_EEESV_SW_SX_S14_S18_S1A_T6_T7_T9_mT8_S1C_bDpT10_ENKUlT_T0_E_clISt17integral_constantIbLb1EES1P_EEDaS1K_S1L_EUlS1K_E_NS1_11comp_targetILNS1_3genE10ELNS1_11target_archE1200ELNS1_3gpuE4ELNS1_3repE0EEENS1_30default_config_static_selectorELNS0_4arch9wavefront6targetE1EEEvSY_: ; @_ZN7rocprim17ROCPRIM_400000_NS6detail17trampoline_kernelINS0_13select_configILj256ELj13ELNS0_17block_load_methodE3ELS4_3ELS4_3ELNS0_20block_scan_algorithmE0ELj4294967295EEENS1_25partition_config_selectorILNS1_17partition_subalgoE3EjNS0_10empty_typeEbEEZZNS1_14partition_implILS8_3ELb0ES6_jNS0_17counting_iteratorIjlEEPS9_SE_NS0_5tupleIJPjSE_EEENSF_IJSE_SE_EEES9_SG_JZNS1_25segmented_radix_sort_implINS0_14default_configELb0EPKaPaPKlPlN2at6native12_GLOBAL__N_18offset_tEEE10hipError_tPvRmT1_PNSt15iterator_traitsISY_E10value_typeET2_T3_PNSZ_IS14_E10value_typeET4_jRbjT5_S1A_jjP12ihipStream_tbEUljE_EEESV_SW_SX_S14_S18_S1A_T6_T7_T9_mT8_S1C_bDpT10_ENKUlT_T0_E_clISt17integral_constantIbLb1EES1P_EEDaS1K_S1L_EUlS1K_E_NS1_11comp_targetILNS1_3genE10ELNS1_11target_archE1200ELNS1_3gpuE4ELNS1_3repE0EEENS1_30default_config_static_selectorELNS0_4arch9wavefront6targetE1EEEvSY_
; %bb.0:
	.section	.rodata,"a",@progbits
	.p2align	6, 0x0
	.amdhsa_kernel _ZN7rocprim17ROCPRIM_400000_NS6detail17trampoline_kernelINS0_13select_configILj256ELj13ELNS0_17block_load_methodE3ELS4_3ELS4_3ELNS0_20block_scan_algorithmE0ELj4294967295EEENS1_25partition_config_selectorILNS1_17partition_subalgoE3EjNS0_10empty_typeEbEEZZNS1_14partition_implILS8_3ELb0ES6_jNS0_17counting_iteratorIjlEEPS9_SE_NS0_5tupleIJPjSE_EEENSF_IJSE_SE_EEES9_SG_JZNS1_25segmented_radix_sort_implINS0_14default_configELb0EPKaPaPKlPlN2at6native12_GLOBAL__N_18offset_tEEE10hipError_tPvRmT1_PNSt15iterator_traitsISY_E10value_typeET2_T3_PNSZ_IS14_E10value_typeET4_jRbjT5_S1A_jjP12ihipStream_tbEUljE_EEESV_SW_SX_S14_S18_S1A_T6_T7_T9_mT8_S1C_bDpT10_ENKUlT_T0_E_clISt17integral_constantIbLb1EES1P_EEDaS1K_S1L_EUlS1K_E_NS1_11comp_targetILNS1_3genE10ELNS1_11target_archE1200ELNS1_3gpuE4ELNS1_3repE0EEENS1_30default_config_static_selectorELNS0_4arch9wavefront6targetE1EEEvSY_
		.amdhsa_group_segment_fixed_size 0
		.amdhsa_private_segment_fixed_size 0
		.amdhsa_kernarg_size 152
		.amdhsa_user_sgpr_count 6
		.amdhsa_user_sgpr_private_segment_buffer 1
		.amdhsa_user_sgpr_dispatch_ptr 0
		.amdhsa_user_sgpr_queue_ptr 0
		.amdhsa_user_sgpr_kernarg_segment_ptr 1
		.amdhsa_user_sgpr_dispatch_id 0
		.amdhsa_user_sgpr_flat_scratch_init 0
		.amdhsa_user_sgpr_kernarg_preload_length 0
		.amdhsa_user_sgpr_kernarg_preload_offset 0
		.amdhsa_user_sgpr_private_segment_size 0
		.amdhsa_uses_dynamic_stack 0
		.amdhsa_system_sgpr_private_segment_wavefront_offset 0
		.amdhsa_system_sgpr_workgroup_id_x 1
		.amdhsa_system_sgpr_workgroup_id_y 0
		.amdhsa_system_sgpr_workgroup_id_z 0
		.amdhsa_system_sgpr_workgroup_info 0
		.amdhsa_system_vgpr_workitem_id 0
		.amdhsa_next_free_vgpr 1
		.amdhsa_next_free_sgpr 0
		.amdhsa_accum_offset 4
		.amdhsa_reserve_vcc 0
		.amdhsa_reserve_flat_scratch 0
		.amdhsa_float_round_mode_32 0
		.amdhsa_float_round_mode_16_64 0
		.amdhsa_float_denorm_mode_32 3
		.amdhsa_float_denorm_mode_16_64 3
		.amdhsa_dx10_clamp 1
		.amdhsa_ieee_mode 1
		.amdhsa_fp16_overflow 0
		.amdhsa_tg_split 0
		.amdhsa_exception_fp_ieee_invalid_op 0
		.amdhsa_exception_fp_denorm_src 0
		.amdhsa_exception_fp_ieee_div_zero 0
		.amdhsa_exception_fp_ieee_overflow 0
		.amdhsa_exception_fp_ieee_underflow 0
		.amdhsa_exception_fp_ieee_inexact 0
		.amdhsa_exception_int_div_zero 0
	.end_amdhsa_kernel
	.section	.text._ZN7rocprim17ROCPRIM_400000_NS6detail17trampoline_kernelINS0_13select_configILj256ELj13ELNS0_17block_load_methodE3ELS4_3ELS4_3ELNS0_20block_scan_algorithmE0ELj4294967295EEENS1_25partition_config_selectorILNS1_17partition_subalgoE3EjNS0_10empty_typeEbEEZZNS1_14partition_implILS8_3ELb0ES6_jNS0_17counting_iteratorIjlEEPS9_SE_NS0_5tupleIJPjSE_EEENSF_IJSE_SE_EEES9_SG_JZNS1_25segmented_radix_sort_implINS0_14default_configELb0EPKaPaPKlPlN2at6native12_GLOBAL__N_18offset_tEEE10hipError_tPvRmT1_PNSt15iterator_traitsISY_E10value_typeET2_T3_PNSZ_IS14_E10value_typeET4_jRbjT5_S1A_jjP12ihipStream_tbEUljE_EEESV_SW_SX_S14_S18_S1A_T6_T7_T9_mT8_S1C_bDpT10_ENKUlT_T0_E_clISt17integral_constantIbLb1EES1P_EEDaS1K_S1L_EUlS1K_E_NS1_11comp_targetILNS1_3genE10ELNS1_11target_archE1200ELNS1_3gpuE4ELNS1_3repE0EEENS1_30default_config_static_selectorELNS0_4arch9wavefront6targetE1EEEvSY_,"axG",@progbits,_ZN7rocprim17ROCPRIM_400000_NS6detail17trampoline_kernelINS0_13select_configILj256ELj13ELNS0_17block_load_methodE3ELS4_3ELS4_3ELNS0_20block_scan_algorithmE0ELj4294967295EEENS1_25partition_config_selectorILNS1_17partition_subalgoE3EjNS0_10empty_typeEbEEZZNS1_14partition_implILS8_3ELb0ES6_jNS0_17counting_iteratorIjlEEPS9_SE_NS0_5tupleIJPjSE_EEENSF_IJSE_SE_EEES9_SG_JZNS1_25segmented_radix_sort_implINS0_14default_configELb0EPKaPaPKlPlN2at6native12_GLOBAL__N_18offset_tEEE10hipError_tPvRmT1_PNSt15iterator_traitsISY_E10value_typeET2_T3_PNSZ_IS14_E10value_typeET4_jRbjT5_S1A_jjP12ihipStream_tbEUljE_EEESV_SW_SX_S14_S18_S1A_T6_T7_T9_mT8_S1C_bDpT10_ENKUlT_T0_E_clISt17integral_constantIbLb1EES1P_EEDaS1K_S1L_EUlS1K_E_NS1_11comp_targetILNS1_3genE10ELNS1_11target_archE1200ELNS1_3gpuE4ELNS1_3repE0EEENS1_30default_config_static_selectorELNS0_4arch9wavefront6targetE1EEEvSY_,comdat
.Lfunc_end374:
	.size	_ZN7rocprim17ROCPRIM_400000_NS6detail17trampoline_kernelINS0_13select_configILj256ELj13ELNS0_17block_load_methodE3ELS4_3ELS4_3ELNS0_20block_scan_algorithmE0ELj4294967295EEENS1_25partition_config_selectorILNS1_17partition_subalgoE3EjNS0_10empty_typeEbEEZZNS1_14partition_implILS8_3ELb0ES6_jNS0_17counting_iteratorIjlEEPS9_SE_NS0_5tupleIJPjSE_EEENSF_IJSE_SE_EEES9_SG_JZNS1_25segmented_radix_sort_implINS0_14default_configELb0EPKaPaPKlPlN2at6native12_GLOBAL__N_18offset_tEEE10hipError_tPvRmT1_PNSt15iterator_traitsISY_E10value_typeET2_T3_PNSZ_IS14_E10value_typeET4_jRbjT5_S1A_jjP12ihipStream_tbEUljE_EEESV_SW_SX_S14_S18_S1A_T6_T7_T9_mT8_S1C_bDpT10_ENKUlT_T0_E_clISt17integral_constantIbLb1EES1P_EEDaS1K_S1L_EUlS1K_E_NS1_11comp_targetILNS1_3genE10ELNS1_11target_archE1200ELNS1_3gpuE4ELNS1_3repE0EEENS1_30default_config_static_selectorELNS0_4arch9wavefront6targetE1EEEvSY_, .Lfunc_end374-_ZN7rocprim17ROCPRIM_400000_NS6detail17trampoline_kernelINS0_13select_configILj256ELj13ELNS0_17block_load_methodE3ELS4_3ELS4_3ELNS0_20block_scan_algorithmE0ELj4294967295EEENS1_25partition_config_selectorILNS1_17partition_subalgoE3EjNS0_10empty_typeEbEEZZNS1_14partition_implILS8_3ELb0ES6_jNS0_17counting_iteratorIjlEEPS9_SE_NS0_5tupleIJPjSE_EEENSF_IJSE_SE_EEES9_SG_JZNS1_25segmented_radix_sort_implINS0_14default_configELb0EPKaPaPKlPlN2at6native12_GLOBAL__N_18offset_tEEE10hipError_tPvRmT1_PNSt15iterator_traitsISY_E10value_typeET2_T3_PNSZ_IS14_E10value_typeET4_jRbjT5_S1A_jjP12ihipStream_tbEUljE_EEESV_SW_SX_S14_S18_S1A_T6_T7_T9_mT8_S1C_bDpT10_ENKUlT_T0_E_clISt17integral_constantIbLb1EES1P_EEDaS1K_S1L_EUlS1K_E_NS1_11comp_targetILNS1_3genE10ELNS1_11target_archE1200ELNS1_3gpuE4ELNS1_3repE0EEENS1_30default_config_static_selectorELNS0_4arch9wavefront6targetE1EEEvSY_
                                        ; -- End function
	.section	.AMDGPU.csdata,"",@progbits
; Kernel info:
; codeLenInByte = 0
; NumSgprs: 4
; NumVgprs: 0
; NumAgprs: 0
; TotalNumVgprs: 0
; ScratchSize: 0
; MemoryBound: 0
; FloatMode: 240
; IeeeMode: 1
; LDSByteSize: 0 bytes/workgroup (compile time only)
; SGPRBlocks: 0
; VGPRBlocks: 0
; NumSGPRsForWavesPerEU: 4
; NumVGPRsForWavesPerEU: 1
; AccumOffset: 4
; Occupancy: 8
; WaveLimiterHint : 0
; COMPUTE_PGM_RSRC2:SCRATCH_EN: 0
; COMPUTE_PGM_RSRC2:USER_SGPR: 6
; COMPUTE_PGM_RSRC2:TRAP_HANDLER: 0
; COMPUTE_PGM_RSRC2:TGID_X_EN: 1
; COMPUTE_PGM_RSRC2:TGID_Y_EN: 0
; COMPUTE_PGM_RSRC2:TGID_Z_EN: 0
; COMPUTE_PGM_RSRC2:TIDIG_COMP_CNT: 0
; COMPUTE_PGM_RSRC3_GFX90A:ACCUM_OFFSET: 0
; COMPUTE_PGM_RSRC3_GFX90A:TG_SPLIT: 0
	.section	.text._ZN7rocprim17ROCPRIM_400000_NS6detail17trampoline_kernelINS0_13select_configILj256ELj13ELNS0_17block_load_methodE3ELS4_3ELS4_3ELNS0_20block_scan_algorithmE0ELj4294967295EEENS1_25partition_config_selectorILNS1_17partition_subalgoE3EjNS0_10empty_typeEbEEZZNS1_14partition_implILS8_3ELb0ES6_jNS0_17counting_iteratorIjlEEPS9_SE_NS0_5tupleIJPjSE_EEENSF_IJSE_SE_EEES9_SG_JZNS1_25segmented_radix_sort_implINS0_14default_configELb0EPKaPaPKlPlN2at6native12_GLOBAL__N_18offset_tEEE10hipError_tPvRmT1_PNSt15iterator_traitsISY_E10value_typeET2_T3_PNSZ_IS14_E10value_typeET4_jRbjT5_S1A_jjP12ihipStream_tbEUljE_EEESV_SW_SX_S14_S18_S1A_T6_T7_T9_mT8_S1C_bDpT10_ENKUlT_T0_E_clISt17integral_constantIbLb1EES1P_EEDaS1K_S1L_EUlS1K_E_NS1_11comp_targetILNS1_3genE9ELNS1_11target_archE1100ELNS1_3gpuE3ELNS1_3repE0EEENS1_30default_config_static_selectorELNS0_4arch9wavefront6targetE1EEEvSY_,"axG",@progbits,_ZN7rocprim17ROCPRIM_400000_NS6detail17trampoline_kernelINS0_13select_configILj256ELj13ELNS0_17block_load_methodE3ELS4_3ELS4_3ELNS0_20block_scan_algorithmE0ELj4294967295EEENS1_25partition_config_selectorILNS1_17partition_subalgoE3EjNS0_10empty_typeEbEEZZNS1_14partition_implILS8_3ELb0ES6_jNS0_17counting_iteratorIjlEEPS9_SE_NS0_5tupleIJPjSE_EEENSF_IJSE_SE_EEES9_SG_JZNS1_25segmented_radix_sort_implINS0_14default_configELb0EPKaPaPKlPlN2at6native12_GLOBAL__N_18offset_tEEE10hipError_tPvRmT1_PNSt15iterator_traitsISY_E10value_typeET2_T3_PNSZ_IS14_E10value_typeET4_jRbjT5_S1A_jjP12ihipStream_tbEUljE_EEESV_SW_SX_S14_S18_S1A_T6_T7_T9_mT8_S1C_bDpT10_ENKUlT_T0_E_clISt17integral_constantIbLb1EES1P_EEDaS1K_S1L_EUlS1K_E_NS1_11comp_targetILNS1_3genE9ELNS1_11target_archE1100ELNS1_3gpuE3ELNS1_3repE0EEENS1_30default_config_static_selectorELNS0_4arch9wavefront6targetE1EEEvSY_,comdat
	.globl	_ZN7rocprim17ROCPRIM_400000_NS6detail17trampoline_kernelINS0_13select_configILj256ELj13ELNS0_17block_load_methodE3ELS4_3ELS4_3ELNS0_20block_scan_algorithmE0ELj4294967295EEENS1_25partition_config_selectorILNS1_17partition_subalgoE3EjNS0_10empty_typeEbEEZZNS1_14partition_implILS8_3ELb0ES6_jNS0_17counting_iteratorIjlEEPS9_SE_NS0_5tupleIJPjSE_EEENSF_IJSE_SE_EEES9_SG_JZNS1_25segmented_radix_sort_implINS0_14default_configELb0EPKaPaPKlPlN2at6native12_GLOBAL__N_18offset_tEEE10hipError_tPvRmT1_PNSt15iterator_traitsISY_E10value_typeET2_T3_PNSZ_IS14_E10value_typeET4_jRbjT5_S1A_jjP12ihipStream_tbEUljE_EEESV_SW_SX_S14_S18_S1A_T6_T7_T9_mT8_S1C_bDpT10_ENKUlT_T0_E_clISt17integral_constantIbLb1EES1P_EEDaS1K_S1L_EUlS1K_E_NS1_11comp_targetILNS1_3genE9ELNS1_11target_archE1100ELNS1_3gpuE3ELNS1_3repE0EEENS1_30default_config_static_selectorELNS0_4arch9wavefront6targetE1EEEvSY_ ; -- Begin function _ZN7rocprim17ROCPRIM_400000_NS6detail17trampoline_kernelINS0_13select_configILj256ELj13ELNS0_17block_load_methodE3ELS4_3ELS4_3ELNS0_20block_scan_algorithmE0ELj4294967295EEENS1_25partition_config_selectorILNS1_17partition_subalgoE3EjNS0_10empty_typeEbEEZZNS1_14partition_implILS8_3ELb0ES6_jNS0_17counting_iteratorIjlEEPS9_SE_NS0_5tupleIJPjSE_EEENSF_IJSE_SE_EEES9_SG_JZNS1_25segmented_radix_sort_implINS0_14default_configELb0EPKaPaPKlPlN2at6native12_GLOBAL__N_18offset_tEEE10hipError_tPvRmT1_PNSt15iterator_traitsISY_E10value_typeET2_T3_PNSZ_IS14_E10value_typeET4_jRbjT5_S1A_jjP12ihipStream_tbEUljE_EEESV_SW_SX_S14_S18_S1A_T6_T7_T9_mT8_S1C_bDpT10_ENKUlT_T0_E_clISt17integral_constantIbLb1EES1P_EEDaS1K_S1L_EUlS1K_E_NS1_11comp_targetILNS1_3genE9ELNS1_11target_archE1100ELNS1_3gpuE3ELNS1_3repE0EEENS1_30default_config_static_selectorELNS0_4arch9wavefront6targetE1EEEvSY_
	.p2align	8
	.type	_ZN7rocprim17ROCPRIM_400000_NS6detail17trampoline_kernelINS0_13select_configILj256ELj13ELNS0_17block_load_methodE3ELS4_3ELS4_3ELNS0_20block_scan_algorithmE0ELj4294967295EEENS1_25partition_config_selectorILNS1_17partition_subalgoE3EjNS0_10empty_typeEbEEZZNS1_14partition_implILS8_3ELb0ES6_jNS0_17counting_iteratorIjlEEPS9_SE_NS0_5tupleIJPjSE_EEENSF_IJSE_SE_EEES9_SG_JZNS1_25segmented_radix_sort_implINS0_14default_configELb0EPKaPaPKlPlN2at6native12_GLOBAL__N_18offset_tEEE10hipError_tPvRmT1_PNSt15iterator_traitsISY_E10value_typeET2_T3_PNSZ_IS14_E10value_typeET4_jRbjT5_S1A_jjP12ihipStream_tbEUljE_EEESV_SW_SX_S14_S18_S1A_T6_T7_T9_mT8_S1C_bDpT10_ENKUlT_T0_E_clISt17integral_constantIbLb1EES1P_EEDaS1K_S1L_EUlS1K_E_NS1_11comp_targetILNS1_3genE9ELNS1_11target_archE1100ELNS1_3gpuE3ELNS1_3repE0EEENS1_30default_config_static_selectorELNS0_4arch9wavefront6targetE1EEEvSY_,@function
_ZN7rocprim17ROCPRIM_400000_NS6detail17trampoline_kernelINS0_13select_configILj256ELj13ELNS0_17block_load_methodE3ELS4_3ELS4_3ELNS0_20block_scan_algorithmE0ELj4294967295EEENS1_25partition_config_selectorILNS1_17partition_subalgoE3EjNS0_10empty_typeEbEEZZNS1_14partition_implILS8_3ELb0ES6_jNS0_17counting_iteratorIjlEEPS9_SE_NS0_5tupleIJPjSE_EEENSF_IJSE_SE_EEES9_SG_JZNS1_25segmented_radix_sort_implINS0_14default_configELb0EPKaPaPKlPlN2at6native12_GLOBAL__N_18offset_tEEE10hipError_tPvRmT1_PNSt15iterator_traitsISY_E10value_typeET2_T3_PNSZ_IS14_E10value_typeET4_jRbjT5_S1A_jjP12ihipStream_tbEUljE_EEESV_SW_SX_S14_S18_S1A_T6_T7_T9_mT8_S1C_bDpT10_ENKUlT_T0_E_clISt17integral_constantIbLb1EES1P_EEDaS1K_S1L_EUlS1K_E_NS1_11comp_targetILNS1_3genE9ELNS1_11target_archE1100ELNS1_3gpuE3ELNS1_3repE0EEENS1_30default_config_static_selectorELNS0_4arch9wavefront6targetE1EEEvSY_: ; @_ZN7rocprim17ROCPRIM_400000_NS6detail17trampoline_kernelINS0_13select_configILj256ELj13ELNS0_17block_load_methodE3ELS4_3ELS4_3ELNS0_20block_scan_algorithmE0ELj4294967295EEENS1_25partition_config_selectorILNS1_17partition_subalgoE3EjNS0_10empty_typeEbEEZZNS1_14partition_implILS8_3ELb0ES6_jNS0_17counting_iteratorIjlEEPS9_SE_NS0_5tupleIJPjSE_EEENSF_IJSE_SE_EEES9_SG_JZNS1_25segmented_radix_sort_implINS0_14default_configELb0EPKaPaPKlPlN2at6native12_GLOBAL__N_18offset_tEEE10hipError_tPvRmT1_PNSt15iterator_traitsISY_E10value_typeET2_T3_PNSZ_IS14_E10value_typeET4_jRbjT5_S1A_jjP12ihipStream_tbEUljE_EEESV_SW_SX_S14_S18_S1A_T6_T7_T9_mT8_S1C_bDpT10_ENKUlT_T0_E_clISt17integral_constantIbLb1EES1P_EEDaS1K_S1L_EUlS1K_E_NS1_11comp_targetILNS1_3genE9ELNS1_11target_archE1100ELNS1_3gpuE3ELNS1_3repE0EEENS1_30default_config_static_selectorELNS0_4arch9wavefront6targetE1EEEvSY_
; %bb.0:
	.section	.rodata,"a",@progbits
	.p2align	6, 0x0
	.amdhsa_kernel _ZN7rocprim17ROCPRIM_400000_NS6detail17trampoline_kernelINS0_13select_configILj256ELj13ELNS0_17block_load_methodE3ELS4_3ELS4_3ELNS0_20block_scan_algorithmE0ELj4294967295EEENS1_25partition_config_selectorILNS1_17partition_subalgoE3EjNS0_10empty_typeEbEEZZNS1_14partition_implILS8_3ELb0ES6_jNS0_17counting_iteratorIjlEEPS9_SE_NS0_5tupleIJPjSE_EEENSF_IJSE_SE_EEES9_SG_JZNS1_25segmented_radix_sort_implINS0_14default_configELb0EPKaPaPKlPlN2at6native12_GLOBAL__N_18offset_tEEE10hipError_tPvRmT1_PNSt15iterator_traitsISY_E10value_typeET2_T3_PNSZ_IS14_E10value_typeET4_jRbjT5_S1A_jjP12ihipStream_tbEUljE_EEESV_SW_SX_S14_S18_S1A_T6_T7_T9_mT8_S1C_bDpT10_ENKUlT_T0_E_clISt17integral_constantIbLb1EES1P_EEDaS1K_S1L_EUlS1K_E_NS1_11comp_targetILNS1_3genE9ELNS1_11target_archE1100ELNS1_3gpuE3ELNS1_3repE0EEENS1_30default_config_static_selectorELNS0_4arch9wavefront6targetE1EEEvSY_
		.amdhsa_group_segment_fixed_size 0
		.amdhsa_private_segment_fixed_size 0
		.amdhsa_kernarg_size 152
		.amdhsa_user_sgpr_count 6
		.amdhsa_user_sgpr_private_segment_buffer 1
		.amdhsa_user_sgpr_dispatch_ptr 0
		.amdhsa_user_sgpr_queue_ptr 0
		.amdhsa_user_sgpr_kernarg_segment_ptr 1
		.amdhsa_user_sgpr_dispatch_id 0
		.amdhsa_user_sgpr_flat_scratch_init 0
		.amdhsa_user_sgpr_kernarg_preload_length 0
		.amdhsa_user_sgpr_kernarg_preload_offset 0
		.amdhsa_user_sgpr_private_segment_size 0
		.amdhsa_uses_dynamic_stack 0
		.amdhsa_system_sgpr_private_segment_wavefront_offset 0
		.amdhsa_system_sgpr_workgroup_id_x 1
		.amdhsa_system_sgpr_workgroup_id_y 0
		.amdhsa_system_sgpr_workgroup_id_z 0
		.amdhsa_system_sgpr_workgroup_info 0
		.amdhsa_system_vgpr_workitem_id 0
		.amdhsa_next_free_vgpr 1
		.amdhsa_next_free_sgpr 0
		.amdhsa_accum_offset 4
		.amdhsa_reserve_vcc 0
		.amdhsa_reserve_flat_scratch 0
		.amdhsa_float_round_mode_32 0
		.amdhsa_float_round_mode_16_64 0
		.amdhsa_float_denorm_mode_32 3
		.amdhsa_float_denorm_mode_16_64 3
		.amdhsa_dx10_clamp 1
		.amdhsa_ieee_mode 1
		.amdhsa_fp16_overflow 0
		.amdhsa_tg_split 0
		.amdhsa_exception_fp_ieee_invalid_op 0
		.amdhsa_exception_fp_denorm_src 0
		.amdhsa_exception_fp_ieee_div_zero 0
		.amdhsa_exception_fp_ieee_overflow 0
		.amdhsa_exception_fp_ieee_underflow 0
		.amdhsa_exception_fp_ieee_inexact 0
		.amdhsa_exception_int_div_zero 0
	.end_amdhsa_kernel
	.section	.text._ZN7rocprim17ROCPRIM_400000_NS6detail17trampoline_kernelINS0_13select_configILj256ELj13ELNS0_17block_load_methodE3ELS4_3ELS4_3ELNS0_20block_scan_algorithmE0ELj4294967295EEENS1_25partition_config_selectorILNS1_17partition_subalgoE3EjNS0_10empty_typeEbEEZZNS1_14partition_implILS8_3ELb0ES6_jNS0_17counting_iteratorIjlEEPS9_SE_NS0_5tupleIJPjSE_EEENSF_IJSE_SE_EEES9_SG_JZNS1_25segmented_radix_sort_implINS0_14default_configELb0EPKaPaPKlPlN2at6native12_GLOBAL__N_18offset_tEEE10hipError_tPvRmT1_PNSt15iterator_traitsISY_E10value_typeET2_T3_PNSZ_IS14_E10value_typeET4_jRbjT5_S1A_jjP12ihipStream_tbEUljE_EEESV_SW_SX_S14_S18_S1A_T6_T7_T9_mT8_S1C_bDpT10_ENKUlT_T0_E_clISt17integral_constantIbLb1EES1P_EEDaS1K_S1L_EUlS1K_E_NS1_11comp_targetILNS1_3genE9ELNS1_11target_archE1100ELNS1_3gpuE3ELNS1_3repE0EEENS1_30default_config_static_selectorELNS0_4arch9wavefront6targetE1EEEvSY_,"axG",@progbits,_ZN7rocprim17ROCPRIM_400000_NS6detail17trampoline_kernelINS0_13select_configILj256ELj13ELNS0_17block_load_methodE3ELS4_3ELS4_3ELNS0_20block_scan_algorithmE0ELj4294967295EEENS1_25partition_config_selectorILNS1_17partition_subalgoE3EjNS0_10empty_typeEbEEZZNS1_14partition_implILS8_3ELb0ES6_jNS0_17counting_iteratorIjlEEPS9_SE_NS0_5tupleIJPjSE_EEENSF_IJSE_SE_EEES9_SG_JZNS1_25segmented_radix_sort_implINS0_14default_configELb0EPKaPaPKlPlN2at6native12_GLOBAL__N_18offset_tEEE10hipError_tPvRmT1_PNSt15iterator_traitsISY_E10value_typeET2_T3_PNSZ_IS14_E10value_typeET4_jRbjT5_S1A_jjP12ihipStream_tbEUljE_EEESV_SW_SX_S14_S18_S1A_T6_T7_T9_mT8_S1C_bDpT10_ENKUlT_T0_E_clISt17integral_constantIbLb1EES1P_EEDaS1K_S1L_EUlS1K_E_NS1_11comp_targetILNS1_3genE9ELNS1_11target_archE1100ELNS1_3gpuE3ELNS1_3repE0EEENS1_30default_config_static_selectorELNS0_4arch9wavefront6targetE1EEEvSY_,comdat
.Lfunc_end375:
	.size	_ZN7rocprim17ROCPRIM_400000_NS6detail17trampoline_kernelINS0_13select_configILj256ELj13ELNS0_17block_load_methodE3ELS4_3ELS4_3ELNS0_20block_scan_algorithmE0ELj4294967295EEENS1_25partition_config_selectorILNS1_17partition_subalgoE3EjNS0_10empty_typeEbEEZZNS1_14partition_implILS8_3ELb0ES6_jNS0_17counting_iteratorIjlEEPS9_SE_NS0_5tupleIJPjSE_EEENSF_IJSE_SE_EEES9_SG_JZNS1_25segmented_radix_sort_implINS0_14default_configELb0EPKaPaPKlPlN2at6native12_GLOBAL__N_18offset_tEEE10hipError_tPvRmT1_PNSt15iterator_traitsISY_E10value_typeET2_T3_PNSZ_IS14_E10value_typeET4_jRbjT5_S1A_jjP12ihipStream_tbEUljE_EEESV_SW_SX_S14_S18_S1A_T6_T7_T9_mT8_S1C_bDpT10_ENKUlT_T0_E_clISt17integral_constantIbLb1EES1P_EEDaS1K_S1L_EUlS1K_E_NS1_11comp_targetILNS1_3genE9ELNS1_11target_archE1100ELNS1_3gpuE3ELNS1_3repE0EEENS1_30default_config_static_selectorELNS0_4arch9wavefront6targetE1EEEvSY_, .Lfunc_end375-_ZN7rocprim17ROCPRIM_400000_NS6detail17trampoline_kernelINS0_13select_configILj256ELj13ELNS0_17block_load_methodE3ELS4_3ELS4_3ELNS0_20block_scan_algorithmE0ELj4294967295EEENS1_25partition_config_selectorILNS1_17partition_subalgoE3EjNS0_10empty_typeEbEEZZNS1_14partition_implILS8_3ELb0ES6_jNS0_17counting_iteratorIjlEEPS9_SE_NS0_5tupleIJPjSE_EEENSF_IJSE_SE_EEES9_SG_JZNS1_25segmented_radix_sort_implINS0_14default_configELb0EPKaPaPKlPlN2at6native12_GLOBAL__N_18offset_tEEE10hipError_tPvRmT1_PNSt15iterator_traitsISY_E10value_typeET2_T3_PNSZ_IS14_E10value_typeET4_jRbjT5_S1A_jjP12ihipStream_tbEUljE_EEESV_SW_SX_S14_S18_S1A_T6_T7_T9_mT8_S1C_bDpT10_ENKUlT_T0_E_clISt17integral_constantIbLb1EES1P_EEDaS1K_S1L_EUlS1K_E_NS1_11comp_targetILNS1_3genE9ELNS1_11target_archE1100ELNS1_3gpuE3ELNS1_3repE0EEENS1_30default_config_static_selectorELNS0_4arch9wavefront6targetE1EEEvSY_
                                        ; -- End function
	.section	.AMDGPU.csdata,"",@progbits
; Kernel info:
; codeLenInByte = 0
; NumSgprs: 4
; NumVgprs: 0
; NumAgprs: 0
; TotalNumVgprs: 0
; ScratchSize: 0
; MemoryBound: 0
; FloatMode: 240
; IeeeMode: 1
; LDSByteSize: 0 bytes/workgroup (compile time only)
; SGPRBlocks: 0
; VGPRBlocks: 0
; NumSGPRsForWavesPerEU: 4
; NumVGPRsForWavesPerEU: 1
; AccumOffset: 4
; Occupancy: 8
; WaveLimiterHint : 0
; COMPUTE_PGM_RSRC2:SCRATCH_EN: 0
; COMPUTE_PGM_RSRC2:USER_SGPR: 6
; COMPUTE_PGM_RSRC2:TRAP_HANDLER: 0
; COMPUTE_PGM_RSRC2:TGID_X_EN: 1
; COMPUTE_PGM_RSRC2:TGID_Y_EN: 0
; COMPUTE_PGM_RSRC2:TGID_Z_EN: 0
; COMPUTE_PGM_RSRC2:TIDIG_COMP_CNT: 0
; COMPUTE_PGM_RSRC3_GFX90A:ACCUM_OFFSET: 0
; COMPUTE_PGM_RSRC3_GFX90A:TG_SPLIT: 0
	.section	.text._ZN7rocprim17ROCPRIM_400000_NS6detail17trampoline_kernelINS0_13select_configILj256ELj13ELNS0_17block_load_methodE3ELS4_3ELS4_3ELNS0_20block_scan_algorithmE0ELj4294967295EEENS1_25partition_config_selectorILNS1_17partition_subalgoE3EjNS0_10empty_typeEbEEZZNS1_14partition_implILS8_3ELb0ES6_jNS0_17counting_iteratorIjlEEPS9_SE_NS0_5tupleIJPjSE_EEENSF_IJSE_SE_EEES9_SG_JZNS1_25segmented_radix_sort_implINS0_14default_configELb0EPKaPaPKlPlN2at6native12_GLOBAL__N_18offset_tEEE10hipError_tPvRmT1_PNSt15iterator_traitsISY_E10value_typeET2_T3_PNSZ_IS14_E10value_typeET4_jRbjT5_S1A_jjP12ihipStream_tbEUljE_EEESV_SW_SX_S14_S18_S1A_T6_T7_T9_mT8_S1C_bDpT10_ENKUlT_T0_E_clISt17integral_constantIbLb1EES1P_EEDaS1K_S1L_EUlS1K_E_NS1_11comp_targetILNS1_3genE8ELNS1_11target_archE1030ELNS1_3gpuE2ELNS1_3repE0EEENS1_30default_config_static_selectorELNS0_4arch9wavefront6targetE1EEEvSY_,"axG",@progbits,_ZN7rocprim17ROCPRIM_400000_NS6detail17trampoline_kernelINS0_13select_configILj256ELj13ELNS0_17block_load_methodE3ELS4_3ELS4_3ELNS0_20block_scan_algorithmE0ELj4294967295EEENS1_25partition_config_selectorILNS1_17partition_subalgoE3EjNS0_10empty_typeEbEEZZNS1_14partition_implILS8_3ELb0ES6_jNS0_17counting_iteratorIjlEEPS9_SE_NS0_5tupleIJPjSE_EEENSF_IJSE_SE_EEES9_SG_JZNS1_25segmented_radix_sort_implINS0_14default_configELb0EPKaPaPKlPlN2at6native12_GLOBAL__N_18offset_tEEE10hipError_tPvRmT1_PNSt15iterator_traitsISY_E10value_typeET2_T3_PNSZ_IS14_E10value_typeET4_jRbjT5_S1A_jjP12ihipStream_tbEUljE_EEESV_SW_SX_S14_S18_S1A_T6_T7_T9_mT8_S1C_bDpT10_ENKUlT_T0_E_clISt17integral_constantIbLb1EES1P_EEDaS1K_S1L_EUlS1K_E_NS1_11comp_targetILNS1_3genE8ELNS1_11target_archE1030ELNS1_3gpuE2ELNS1_3repE0EEENS1_30default_config_static_selectorELNS0_4arch9wavefront6targetE1EEEvSY_,comdat
	.globl	_ZN7rocprim17ROCPRIM_400000_NS6detail17trampoline_kernelINS0_13select_configILj256ELj13ELNS0_17block_load_methodE3ELS4_3ELS4_3ELNS0_20block_scan_algorithmE0ELj4294967295EEENS1_25partition_config_selectorILNS1_17partition_subalgoE3EjNS0_10empty_typeEbEEZZNS1_14partition_implILS8_3ELb0ES6_jNS0_17counting_iteratorIjlEEPS9_SE_NS0_5tupleIJPjSE_EEENSF_IJSE_SE_EEES9_SG_JZNS1_25segmented_radix_sort_implINS0_14default_configELb0EPKaPaPKlPlN2at6native12_GLOBAL__N_18offset_tEEE10hipError_tPvRmT1_PNSt15iterator_traitsISY_E10value_typeET2_T3_PNSZ_IS14_E10value_typeET4_jRbjT5_S1A_jjP12ihipStream_tbEUljE_EEESV_SW_SX_S14_S18_S1A_T6_T7_T9_mT8_S1C_bDpT10_ENKUlT_T0_E_clISt17integral_constantIbLb1EES1P_EEDaS1K_S1L_EUlS1K_E_NS1_11comp_targetILNS1_3genE8ELNS1_11target_archE1030ELNS1_3gpuE2ELNS1_3repE0EEENS1_30default_config_static_selectorELNS0_4arch9wavefront6targetE1EEEvSY_ ; -- Begin function _ZN7rocprim17ROCPRIM_400000_NS6detail17trampoline_kernelINS0_13select_configILj256ELj13ELNS0_17block_load_methodE3ELS4_3ELS4_3ELNS0_20block_scan_algorithmE0ELj4294967295EEENS1_25partition_config_selectorILNS1_17partition_subalgoE3EjNS0_10empty_typeEbEEZZNS1_14partition_implILS8_3ELb0ES6_jNS0_17counting_iteratorIjlEEPS9_SE_NS0_5tupleIJPjSE_EEENSF_IJSE_SE_EEES9_SG_JZNS1_25segmented_radix_sort_implINS0_14default_configELb0EPKaPaPKlPlN2at6native12_GLOBAL__N_18offset_tEEE10hipError_tPvRmT1_PNSt15iterator_traitsISY_E10value_typeET2_T3_PNSZ_IS14_E10value_typeET4_jRbjT5_S1A_jjP12ihipStream_tbEUljE_EEESV_SW_SX_S14_S18_S1A_T6_T7_T9_mT8_S1C_bDpT10_ENKUlT_T0_E_clISt17integral_constantIbLb1EES1P_EEDaS1K_S1L_EUlS1K_E_NS1_11comp_targetILNS1_3genE8ELNS1_11target_archE1030ELNS1_3gpuE2ELNS1_3repE0EEENS1_30default_config_static_selectorELNS0_4arch9wavefront6targetE1EEEvSY_
	.p2align	8
	.type	_ZN7rocprim17ROCPRIM_400000_NS6detail17trampoline_kernelINS0_13select_configILj256ELj13ELNS0_17block_load_methodE3ELS4_3ELS4_3ELNS0_20block_scan_algorithmE0ELj4294967295EEENS1_25partition_config_selectorILNS1_17partition_subalgoE3EjNS0_10empty_typeEbEEZZNS1_14partition_implILS8_3ELb0ES6_jNS0_17counting_iteratorIjlEEPS9_SE_NS0_5tupleIJPjSE_EEENSF_IJSE_SE_EEES9_SG_JZNS1_25segmented_radix_sort_implINS0_14default_configELb0EPKaPaPKlPlN2at6native12_GLOBAL__N_18offset_tEEE10hipError_tPvRmT1_PNSt15iterator_traitsISY_E10value_typeET2_T3_PNSZ_IS14_E10value_typeET4_jRbjT5_S1A_jjP12ihipStream_tbEUljE_EEESV_SW_SX_S14_S18_S1A_T6_T7_T9_mT8_S1C_bDpT10_ENKUlT_T0_E_clISt17integral_constantIbLb1EES1P_EEDaS1K_S1L_EUlS1K_E_NS1_11comp_targetILNS1_3genE8ELNS1_11target_archE1030ELNS1_3gpuE2ELNS1_3repE0EEENS1_30default_config_static_selectorELNS0_4arch9wavefront6targetE1EEEvSY_,@function
_ZN7rocprim17ROCPRIM_400000_NS6detail17trampoline_kernelINS0_13select_configILj256ELj13ELNS0_17block_load_methodE3ELS4_3ELS4_3ELNS0_20block_scan_algorithmE0ELj4294967295EEENS1_25partition_config_selectorILNS1_17partition_subalgoE3EjNS0_10empty_typeEbEEZZNS1_14partition_implILS8_3ELb0ES6_jNS0_17counting_iteratorIjlEEPS9_SE_NS0_5tupleIJPjSE_EEENSF_IJSE_SE_EEES9_SG_JZNS1_25segmented_radix_sort_implINS0_14default_configELb0EPKaPaPKlPlN2at6native12_GLOBAL__N_18offset_tEEE10hipError_tPvRmT1_PNSt15iterator_traitsISY_E10value_typeET2_T3_PNSZ_IS14_E10value_typeET4_jRbjT5_S1A_jjP12ihipStream_tbEUljE_EEESV_SW_SX_S14_S18_S1A_T6_T7_T9_mT8_S1C_bDpT10_ENKUlT_T0_E_clISt17integral_constantIbLb1EES1P_EEDaS1K_S1L_EUlS1K_E_NS1_11comp_targetILNS1_3genE8ELNS1_11target_archE1030ELNS1_3gpuE2ELNS1_3repE0EEENS1_30default_config_static_selectorELNS0_4arch9wavefront6targetE1EEEvSY_: ; @_ZN7rocprim17ROCPRIM_400000_NS6detail17trampoline_kernelINS0_13select_configILj256ELj13ELNS0_17block_load_methodE3ELS4_3ELS4_3ELNS0_20block_scan_algorithmE0ELj4294967295EEENS1_25partition_config_selectorILNS1_17partition_subalgoE3EjNS0_10empty_typeEbEEZZNS1_14partition_implILS8_3ELb0ES6_jNS0_17counting_iteratorIjlEEPS9_SE_NS0_5tupleIJPjSE_EEENSF_IJSE_SE_EEES9_SG_JZNS1_25segmented_radix_sort_implINS0_14default_configELb0EPKaPaPKlPlN2at6native12_GLOBAL__N_18offset_tEEE10hipError_tPvRmT1_PNSt15iterator_traitsISY_E10value_typeET2_T3_PNSZ_IS14_E10value_typeET4_jRbjT5_S1A_jjP12ihipStream_tbEUljE_EEESV_SW_SX_S14_S18_S1A_T6_T7_T9_mT8_S1C_bDpT10_ENKUlT_T0_E_clISt17integral_constantIbLb1EES1P_EEDaS1K_S1L_EUlS1K_E_NS1_11comp_targetILNS1_3genE8ELNS1_11target_archE1030ELNS1_3gpuE2ELNS1_3repE0EEENS1_30default_config_static_selectorELNS0_4arch9wavefront6targetE1EEEvSY_
; %bb.0:
	.section	.rodata,"a",@progbits
	.p2align	6, 0x0
	.amdhsa_kernel _ZN7rocprim17ROCPRIM_400000_NS6detail17trampoline_kernelINS0_13select_configILj256ELj13ELNS0_17block_load_methodE3ELS4_3ELS4_3ELNS0_20block_scan_algorithmE0ELj4294967295EEENS1_25partition_config_selectorILNS1_17partition_subalgoE3EjNS0_10empty_typeEbEEZZNS1_14partition_implILS8_3ELb0ES6_jNS0_17counting_iteratorIjlEEPS9_SE_NS0_5tupleIJPjSE_EEENSF_IJSE_SE_EEES9_SG_JZNS1_25segmented_radix_sort_implINS0_14default_configELb0EPKaPaPKlPlN2at6native12_GLOBAL__N_18offset_tEEE10hipError_tPvRmT1_PNSt15iterator_traitsISY_E10value_typeET2_T3_PNSZ_IS14_E10value_typeET4_jRbjT5_S1A_jjP12ihipStream_tbEUljE_EEESV_SW_SX_S14_S18_S1A_T6_T7_T9_mT8_S1C_bDpT10_ENKUlT_T0_E_clISt17integral_constantIbLb1EES1P_EEDaS1K_S1L_EUlS1K_E_NS1_11comp_targetILNS1_3genE8ELNS1_11target_archE1030ELNS1_3gpuE2ELNS1_3repE0EEENS1_30default_config_static_selectorELNS0_4arch9wavefront6targetE1EEEvSY_
		.amdhsa_group_segment_fixed_size 0
		.amdhsa_private_segment_fixed_size 0
		.amdhsa_kernarg_size 152
		.amdhsa_user_sgpr_count 6
		.amdhsa_user_sgpr_private_segment_buffer 1
		.amdhsa_user_sgpr_dispatch_ptr 0
		.amdhsa_user_sgpr_queue_ptr 0
		.amdhsa_user_sgpr_kernarg_segment_ptr 1
		.amdhsa_user_sgpr_dispatch_id 0
		.amdhsa_user_sgpr_flat_scratch_init 0
		.amdhsa_user_sgpr_kernarg_preload_length 0
		.amdhsa_user_sgpr_kernarg_preload_offset 0
		.amdhsa_user_sgpr_private_segment_size 0
		.amdhsa_uses_dynamic_stack 0
		.amdhsa_system_sgpr_private_segment_wavefront_offset 0
		.amdhsa_system_sgpr_workgroup_id_x 1
		.amdhsa_system_sgpr_workgroup_id_y 0
		.amdhsa_system_sgpr_workgroup_id_z 0
		.amdhsa_system_sgpr_workgroup_info 0
		.amdhsa_system_vgpr_workitem_id 0
		.amdhsa_next_free_vgpr 1
		.amdhsa_next_free_sgpr 0
		.amdhsa_accum_offset 4
		.amdhsa_reserve_vcc 0
		.amdhsa_reserve_flat_scratch 0
		.amdhsa_float_round_mode_32 0
		.amdhsa_float_round_mode_16_64 0
		.amdhsa_float_denorm_mode_32 3
		.amdhsa_float_denorm_mode_16_64 3
		.amdhsa_dx10_clamp 1
		.amdhsa_ieee_mode 1
		.amdhsa_fp16_overflow 0
		.amdhsa_tg_split 0
		.amdhsa_exception_fp_ieee_invalid_op 0
		.amdhsa_exception_fp_denorm_src 0
		.amdhsa_exception_fp_ieee_div_zero 0
		.amdhsa_exception_fp_ieee_overflow 0
		.amdhsa_exception_fp_ieee_underflow 0
		.amdhsa_exception_fp_ieee_inexact 0
		.amdhsa_exception_int_div_zero 0
	.end_amdhsa_kernel
	.section	.text._ZN7rocprim17ROCPRIM_400000_NS6detail17trampoline_kernelINS0_13select_configILj256ELj13ELNS0_17block_load_methodE3ELS4_3ELS4_3ELNS0_20block_scan_algorithmE0ELj4294967295EEENS1_25partition_config_selectorILNS1_17partition_subalgoE3EjNS0_10empty_typeEbEEZZNS1_14partition_implILS8_3ELb0ES6_jNS0_17counting_iteratorIjlEEPS9_SE_NS0_5tupleIJPjSE_EEENSF_IJSE_SE_EEES9_SG_JZNS1_25segmented_radix_sort_implINS0_14default_configELb0EPKaPaPKlPlN2at6native12_GLOBAL__N_18offset_tEEE10hipError_tPvRmT1_PNSt15iterator_traitsISY_E10value_typeET2_T3_PNSZ_IS14_E10value_typeET4_jRbjT5_S1A_jjP12ihipStream_tbEUljE_EEESV_SW_SX_S14_S18_S1A_T6_T7_T9_mT8_S1C_bDpT10_ENKUlT_T0_E_clISt17integral_constantIbLb1EES1P_EEDaS1K_S1L_EUlS1K_E_NS1_11comp_targetILNS1_3genE8ELNS1_11target_archE1030ELNS1_3gpuE2ELNS1_3repE0EEENS1_30default_config_static_selectorELNS0_4arch9wavefront6targetE1EEEvSY_,"axG",@progbits,_ZN7rocprim17ROCPRIM_400000_NS6detail17trampoline_kernelINS0_13select_configILj256ELj13ELNS0_17block_load_methodE3ELS4_3ELS4_3ELNS0_20block_scan_algorithmE0ELj4294967295EEENS1_25partition_config_selectorILNS1_17partition_subalgoE3EjNS0_10empty_typeEbEEZZNS1_14partition_implILS8_3ELb0ES6_jNS0_17counting_iteratorIjlEEPS9_SE_NS0_5tupleIJPjSE_EEENSF_IJSE_SE_EEES9_SG_JZNS1_25segmented_radix_sort_implINS0_14default_configELb0EPKaPaPKlPlN2at6native12_GLOBAL__N_18offset_tEEE10hipError_tPvRmT1_PNSt15iterator_traitsISY_E10value_typeET2_T3_PNSZ_IS14_E10value_typeET4_jRbjT5_S1A_jjP12ihipStream_tbEUljE_EEESV_SW_SX_S14_S18_S1A_T6_T7_T9_mT8_S1C_bDpT10_ENKUlT_T0_E_clISt17integral_constantIbLb1EES1P_EEDaS1K_S1L_EUlS1K_E_NS1_11comp_targetILNS1_3genE8ELNS1_11target_archE1030ELNS1_3gpuE2ELNS1_3repE0EEENS1_30default_config_static_selectorELNS0_4arch9wavefront6targetE1EEEvSY_,comdat
.Lfunc_end376:
	.size	_ZN7rocprim17ROCPRIM_400000_NS6detail17trampoline_kernelINS0_13select_configILj256ELj13ELNS0_17block_load_methodE3ELS4_3ELS4_3ELNS0_20block_scan_algorithmE0ELj4294967295EEENS1_25partition_config_selectorILNS1_17partition_subalgoE3EjNS0_10empty_typeEbEEZZNS1_14partition_implILS8_3ELb0ES6_jNS0_17counting_iteratorIjlEEPS9_SE_NS0_5tupleIJPjSE_EEENSF_IJSE_SE_EEES9_SG_JZNS1_25segmented_radix_sort_implINS0_14default_configELb0EPKaPaPKlPlN2at6native12_GLOBAL__N_18offset_tEEE10hipError_tPvRmT1_PNSt15iterator_traitsISY_E10value_typeET2_T3_PNSZ_IS14_E10value_typeET4_jRbjT5_S1A_jjP12ihipStream_tbEUljE_EEESV_SW_SX_S14_S18_S1A_T6_T7_T9_mT8_S1C_bDpT10_ENKUlT_T0_E_clISt17integral_constantIbLb1EES1P_EEDaS1K_S1L_EUlS1K_E_NS1_11comp_targetILNS1_3genE8ELNS1_11target_archE1030ELNS1_3gpuE2ELNS1_3repE0EEENS1_30default_config_static_selectorELNS0_4arch9wavefront6targetE1EEEvSY_, .Lfunc_end376-_ZN7rocprim17ROCPRIM_400000_NS6detail17trampoline_kernelINS0_13select_configILj256ELj13ELNS0_17block_load_methodE3ELS4_3ELS4_3ELNS0_20block_scan_algorithmE0ELj4294967295EEENS1_25partition_config_selectorILNS1_17partition_subalgoE3EjNS0_10empty_typeEbEEZZNS1_14partition_implILS8_3ELb0ES6_jNS0_17counting_iteratorIjlEEPS9_SE_NS0_5tupleIJPjSE_EEENSF_IJSE_SE_EEES9_SG_JZNS1_25segmented_radix_sort_implINS0_14default_configELb0EPKaPaPKlPlN2at6native12_GLOBAL__N_18offset_tEEE10hipError_tPvRmT1_PNSt15iterator_traitsISY_E10value_typeET2_T3_PNSZ_IS14_E10value_typeET4_jRbjT5_S1A_jjP12ihipStream_tbEUljE_EEESV_SW_SX_S14_S18_S1A_T6_T7_T9_mT8_S1C_bDpT10_ENKUlT_T0_E_clISt17integral_constantIbLb1EES1P_EEDaS1K_S1L_EUlS1K_E_NS1_11comp_targetILNS1_3genE8ELNS1_11target_archE1030ELNS1_3gpuE2ELNS1_3repE0EEENS1_30default_config_static_selectorELNS0_4arch9wavefront6targetE1EEEvSY_
                                        ; -- End function
	.section	.AMDGPU.csdata,"",@progbits
; Kernel info:
; codeLenInByte = 0
; NumSgprs: 4
; NumVgprs: 0
; NumAgprs: 0
; TotalNumVgprs: 0
; ScratchSize: 0
; MemoryBound: 0
; FloatMode: 240
; IeeeMode: 1
; LDSByteSize: 0 bytes/workgroup (compile time only)
; SGPRBlocks: 0
; VGPRBlocks: 0
; NumSGPRsForWavesPerEU: 4
; NumVGPRsForWavesPerEU: 1
; AccumOffset: 4
; Occupancy: 8
; WaveLimiterHint : 0
; COMPUTE_PGM_RSRC2:SCRATCH_EN: 0
; COMPUTE_PGM_RSRC2:USER_SGPR: 6
; COMPUTE_PGM_RSRC2:TRAP_HANDLER: 0
; COMPUTE_PGM_RSRC2:TGID_X_EN: 1
; COMPUTE_PGM_RSRC2:TGID_Y_EN: 0
; COMPUTE_PGM_RSRC2:TGID_Z_EN: 0
; COMPUTE_PGM_RSRC2:TIDIG_COMP_CNT: 0
; COMPUTE_PGM_RSRC3_GFX90A:ACCUM_OFFSET: 0
; COMPUTE_PGM_RSRC3_GFX90A:TG_SPLIT: 0
	.section	.text._ZN7rocprim17ROCPRIM_400000_NS6detail17trampoline_kernelINS0_13select_configILj256ELj13ELNS0_17block_load_methodE3ELS4_3ELS4_3ELNS0_20block_scan_algorithmE0ELj4294967295EEENS1_25partition_config_selectorILNS1_17partition_subalgoE3EjNS0_10empty_typeEbEEZZNS1_14partition_implILS8_3ELb0ES6_jNS0_17counting_iteratorIjlEEPS9_SE_NS0_5tupleIJPjSE_EEENSF_IJSE_SE_EEES9_SG_JZNS1_25segmented_radix_sort_implINS0_14default_configELb0EPKaPaPKlPlN2at6native12_GLOBAL__N_18offset_tEEE10hipError_tPvRmT1_PNSt15iterator_traitsISY_E10value_typeET2_T3_PNSZ_IS14_E10value_typeET4_jRbjT5_S1A_jjP12ihipStream_tbEUljE_EEESV_SW_SX_S14_S18_S1A_T6_T7_T9_mT8_S1C_bDpT10_ENKUlT_T0_E_clISt17integral_constantIbLb1EES1O_IbLb0EEEEDaS1K_S1L_EUlS1K_E_NS1_11comp_targetILNS1_3genE0ELNS1_11target_archE4294967295ELNS1_3gpuE0ELNS1_3repE0EEENS1_30default_config_static_selectorELNS0_4arch9wavefront6targetE1EEEvSY_,"axG",@progbits,_ZN7rocprim17ROCPRIM_400000_NS6detail17trampoline_kernelINS0_13select_configILj256ELj13ELNS0_17block_load_methodE3ELS4_3ELS4_3ELNS0_20block_scan_algorithmE0ELj4294967295EEENS1_25partition_config_selectorILNS1_17partition_subalgoE3EjNS0_10empty_typeEbEEZZNS1_14partition_implILS8_3ELb0ES6_jNS0_17counting_iteratorIjlEEPS9_SE_NS0_5tupleIJPjSE_EEENSF_IJSE_SE_EEES9_SG_JZNS1_25segmented_radix_sort_implINS0_14default_configELb0EPKaPaPKlPlN2at6native12_GLOBAL__N_18offset_tEEE10hipError_tPvRmT1_PNSt15iterator_traitsISY_E10value_typeET2_T3_PNSZ_IS14_E10value_typeET4_jRbjT5_S1A_jjP12ihipStream_tbEUljE_EEESV_SW_SX_S14_S18_S1A_T6_T7_T9_mT8_S1C_bDpT10_ENKUlT_T0_E_clISt17integral_constantIbLb1EES1O_IbLb0EEEEDaS1K_S1L_EUlS1K_E_NS1_11comp_targetILNS1_3genE0ELNS1_11target_archE4294967295ELNS1_3gpuE0ELNS1_3repE0EEENS1_30default_config_static_selectorELNS0_4arch9wavefront6targetE1EEEvSY_,comdat
	.globl	_ZN7rocprim17ROCPRIM_400000_NS6detail17trampoline_kernelINS0_13select_configILj256ELj13ELNS0_17block_load_methodE3ELS4_3ELS4_3ELNS0_20block_scan_algorithmE0ELj4294967295EEENS1_25partition_config_selectorILNS1_17partition_subalgoE3EjNS0_10empty_typeEbEEZZNS1_14partition_implILS8_3ELb0ES6_jNS0_17counting_iteratorIjlEEPS9_SE_NS0_5tupleIJPjSE_EEENSF_IJSE_SE_EEES9_SG_JZNS1_25segmented_radix_sort_implINS0_14default_configELb0EPKaPaPKlPlN2at6native12_GLOBAL__N_18offset_tEEE10hipError_tPvRmT1_PNSt15iterator_traitsISY_E10value_typeET2_T3_PNSZ_IS14_E10value_typeET4_jRbjT5_S1A_jjP12ihipStream_tbEUljE_EEESV_SW_SX_S14_S18_S1A_T6_T7_T9_mT8_S1C_bDpT10_ENKUlT_T0_E_clISt17integral_constantIbLb1EES1O_IbLb0EEEEDaS1K_S1L_EUlS1K_E_NS1_11comp_targetILNS1_3genE0ELNS1_11target_archE4294967295ELNS1_3gpuE0ELNS1_3repE0EEENS1_30default_config_static_selectorELNS0_4arch9wavefront6targetE1EEEvSY_ ; -- Begin function _ZN7rocprim17ROCPRIM_400000_NS6detail17trampoline_kernelINS0_13select_configILj256ELj13ELNS0_17block_load_methodE3ELS4_3ELS4_3ELNS0_20block_scan_algorithmE0ELj4294967295EEENS1_25partition_config_selectorILNS1_17partition_subalgoE3EjNS0_10empty_typeEbEEZZNS1_14partition_implILS8_3ELb0ES6_jNS0_17counting_iteratorIjlEEPS9_SE_NS0_5tupleIJPjSE_EEENSF_IJSE_SE_EEES9_SG_JZNS1_25segmented_radix_sort_implINS0_14default_configELb0EPKaPaPKlPlN2at6native12_GLOBAL__N_18offset_tEEE10hipError_tPvRmT1_PNSt15iterator_traitsISY_E10value_typeET2_T3_PNSZ_IS14_E10value_typeET4_jRbjT5_S1A_jjP12ihipStream_tbEUljE_EEESV_SW_SX_S14_S18_S1A_T6_T7_T9_mT8_S1C_bDpT10_ENKUlT_T0_E_clISt17integral_constantIbLb1EES1O_IbLb0EEEEDaS1K_S1L_EUlS1K_E_NS1_11comp_targetILNS1_3genE0ELNS1_11target_archE4294967295ELNS1_3gpuE0ELNS1_3repE0EEENS1_30default_config_static_selectorELNS0_4arch9wavefront6targetE1EEEvSY_
	.p2align	8
	.type	_ZN7rocprim17ROCPRIM_400000_NS6detail17trampoline_kernelINS0_13select_configILj256ELj13ELNS0_17block_load_methodE3ELS4_3ELS4_3ELNS0_20block_scan_algorithmE0ELj4294967295EEENS1_25partition_config_selectorILNS1_17partition_subalgoE3EjNS0_10empty_typeEbEEZZNS1_14partition_implILS8_3ELb0ES6_jNS0_17counting_iteratorIjlEEPS9_SE_NS0_5tupleIJPjSE_EEENSF_IJSE_SE_EEES9_SG_JZNS1_25segmented_radix_sort_implINS0_14default_configELb0EPKaPaPKlPlN2at6native12_GLOBAL__N_18offset_tEEE10hipError_tPvRmT1_PNSt15iterator_traitsISY_E10value_typeET2_T3_PNSZ_IS14_E10value_typeET4_jRbjT5_S1A_jjP12ihipStream_tbEUljE_EEESV_SW_SX_S14_S18_S1A_T6_T7_T9_mT8_S1C_bDpT10_ENKUlT_T0_E_clISt17integral_constantIbLb1EES1O_IbLb0EEEEDaS1K_S1L_EUlS1K_E_NS1_11comp_targetILNS1_3genE0ELNS1_11target_archE4294967295ELNS1_3gpuE0ELNS1_3repE0EEENS1_30default_config_static_selectorELNS0_4arch9wavefront6targetE1EEEvSY_,@function
_ZN7rocprim17ROCPRIM_400000_NS6detail17trampoline_kernelINS0_13select_configILj256ELj13ELNS0_17block_load_methodE3ELS4_3ELS4_3ELNS0_20block_scan_algorithmE0ELj4294967295EEENS1_25partition_config_selectorILNS1_17partition_subalgoE3EjNS0_10empty_typeEbEEZZNS1_14partition_implILS8_3ELb0ES6_jNS0_17counting_iteratorIjlEEPS9_SE_NS0_5tupleIJPjSE_EEENSF_IJSE_SE_EEES9_SG_JZNS1_25segmented_radix_sort_implINS0_14default_configELb0EPKaPaPKlPlN2at6native12_GLOBAL__N_18offset_tEEE10hipError_tPvRmT1_PNSt15iterator_traitsISY_E10value_typeET2_T3_PNSZ_IS14_E10value_typeET4_jRbjT5_S1A_jjP12ihipStream_tbEUljE_EEESV_SW_SX_S14_S18_S1A_T6_T7_T9_mT8_S1C_bDpT10_ENKUlT_T0_E_clISt17integral_constantIbLb1EES1O_IbLb0EEEEDaS1K_S1L_EUlS1K_E_NS1_11comp_targetILNS1_3genE0ELNS1_11target_archE4294967295ELNS1_3gpuE0ELNS1_3repE0EEENS1_30default_config_static_selectorELNS0_4arch9wavefront6targetE1EEEvSY_: ; @_ZN7rocprim17ROCPRIM_400000_NS6detail17trampoline_kernelINS0_13select_configILj256ELj13ELNS0_17block_load_methodE3ELS4_3ELS4_3ELNS0_20block_scan_algorithmE0ELj4294967295EEENS1_25partition_config_selectorILNS1_17partition_subalgoE3EjNS0_10empty_typeEbEEZZNS1_14partition_implILS8_3ELb0ES6_jNS0_17counting_iteratorIjlEEPS9_SE_NS0_5tupleIJPjSE_EEENSF_IJSE_SE_EEES9_SG_JZNS1_25segmented_radix_sort_implINS0_14default_configELb0EPKaPaPKlPlN2at6native12_GLOBAL__N_18offset_tEEE10hipError_tPvRmT1_PNSt15iterator_traitsISY_E10value_typeET2_T3_PNSZ_IS14_E10value_typeET4_jRbjT5_S1A_jjP12ihipStream_tbEUljE_EEESV_SW_SX_S14_S18_S1A_T6_T7_T9_mT8_S1C_bDpT10_ENKUlT_T0_E_clISt17integral_constantIbLb1EES1O_IbLb0EEEEDaS1K_S1L_EUlS1K_E_NS1_11comp_targetILNS1_3genE0ELNS1_11target_archE4294967295ELNS1_3gpuE0ELNS1_3repE0EEENS1_30default_config_static_selectorELNS0_4arch9wavefront6targetE1EEEvSY_
; %bb.0:
	.section	.rodata,"a",@progbits
	.p2align	6, 0x0
	.amdhsa_kernel _ZN7rocprim17ROCPRIM_400000_NS6detail17trampoline_kernelINS0_13select_configILj256ELj13ELNS0_17block_load_methodE3ELS4_3ELS4_3ELNS0_20block_scan_algorithmE0ELj4294967295EEENS1_25partition_config_selectorILNS1_17partition_subalgoE3EjNS0_10empty_typeEbEEZZNS1_14partition_implILS8_3ELb0ES6_jNS0_17counting_iteratorIjlEEPS9_SE_NS0_5tupleIJPjSE_EEENSF_IJSE_SE_EEES9_SG_JZNS1_25segmented_radix_sort_implINS0_14default_configELb0EPKaPaPKlPlN2at6native12_GLOBAL__N_18offset_tEEE10hipError_tPvRmT1_PNSt15iterator_traitsISY_E10value_typeET2_T3_PNSZ_IS14_E10value_typeET4_jRbjT5_S1A_jjP12ihipStream_tbEUljE_EEESV_SW_SX_S14_S18_S1A_T6_T7_T9_mT8_S1C_bDpT10_ENKUlT_T0_E_clISt17integral_constantIbLb1EES1O_IbLb0EEEEDaS1K_S1L_EUlS1K_E_NS1_11comp_targetILNS1_3genE0ELNS1_11target_archE4294967295ELNS1_3gpuE0ELNS1_3repE0EEENS1_30default_config_static_selectorELNS0_4arch9wavefront6targetE1EEEvSY_
		.amdhsa_group_segment_fixed_size 0
		.amdhsa_private_segment_fixed_size 0
		.amdhsa_kernarg_size 144
		.amdhsa_user_sgpr_count 6
		.amdhsa_user_sgpr_private_segment_buffer 1
		.amdhsa_user_sgpr_dispatch_ptr 0
		.amdhsa_user_sgpr_queue_ptr 0
		.amdhsa_user_sgpr_kernarg_segment_ptr 1
		.amdhsa_user_sgpr_dispatch_id 0
		.amdhsa_user_sgpr_flat_scratch_init 0
		.amdhsa_user_sgpr_kernarg_preload_length 0
		.amdhsa_user_sgpr_kernarg_preload_offset 0
		.amdhsa_user_sgpr_private_segment_size 0
		.amdhsa_uses_dynamic_stack 0
		.amdhsa_system_sgpr_private_segment_wavefront_offset 0
		.amdhsa_system_sgpr_workgroup_id_x 1
		.amdhsa_system_sgpr_workgroup_id_y 0
		.amdhsa_system_sgpr_workgroup_id_z 0
		.amdhsa_system_sgpr_workgroup_info 0
		.amdhsa_system_vgpr_workitem_id 0
		.amdhsa_next_free_vgpr 1
		.amdhsa_next_free_sgpr 0
		.amdhsa_accum_offset 4
		.amdhsa_reserve_vcc 0
		.amdhsa_reserve_flat_scratch 0
		.amdhsa_float_round_mode_32 0
		.amdhsa_float_round_mode_16_64 0
		.amdhsa_float_denorm_mode_32 3
		.amdhsa_float_denorm_mode_16_64 3
		.amdhsa_dx10_clamp 1
		.amdhsa_ieee_mode 1
		.amdhsa_fp16_overflow 0
		.amdhsa_tg_split 0
		.amdhsa_exception_fp_ieee_invalid_op 0
		.amdhsa_exception_fp_denorm_src 0
		.amdhsa_exception_fp_ieee_div_zero 0
		.amdhsa_exception_fp_ieee_overflow 0
		.amdhsa_exception_fp_ieee_underflow 0
		.amdhsa_exception_fp_ieee_inexact 0
		.amdhsa_exception_int_div_zero 0
	.end_amdhsa_kernel
	.section	.text._ZN7rocprim17ROCPRIM_400000_NS6detail17trampoline_kernelINS0_13select_configILj256ELj13ELNS0_17block_load_methodE3ELS4_3ELS4_3ELNS0_20block_scan_algorithmE0ELj4294967295EEENS1_25partition_config_selectorILNS1_17partition_subalgoE3EjNS0_10empty_typeEbEEZZNS1_14partition_implILS8_3ELb0ES6_jNS0_17counting_iteratorIjlEEPS9_SE_NS0_5tupleIJPjSE_EEENSF_IJSE_SE_EEES9_SG_JZNS1_25segmented_radix_sort_implINS0_14default_configELb0EPKaPaPKlPlN2at6native12_GLOBAL__N_18offset_tEEE10hipError_tPvRmT1_PNSt15iterator_traitsISY_E10value_typeET2_T3_PNSZ_IS14_E10value_typeET4_jRbjT5_S1A_jjP12ihipStream_tbEUljE_EEESV_SW_SX_S14_S18_S1A_T6_T7_T9_mT8_S1C_bDpT10_ENKUlT_T0_E_clISt17integral_constantIbLb1EES1O_IbLb0EEEEDaS1K_S1L_EUlS1K_E_NS1_11comp_targetILNS1_3genE0ELNS1_11target_archE4294967295ELNS1_3gpuE0ELNS1_3repE0EEENS1_30default_config_static_selectorELNS0_4arch9wavefront6targetE1EEEvSY_,"axG",@progbits,_ZN7rocprim17ROCPRIM_400000_NS6detail17trampoline_kernelINS0_13select_configILj256ELj13ELNS0_17block_load_methodE3ELS4_3ELS4_3ELNS0_20block_scan_algorithmE0ELj4294967295EEENS1_25partition_config_selectorILNS1_17partition_subalgoE3EjNS0_10empty_typeEbEEZZNS1_14partition_implILS8_3ELb0ES6_jNS0_17counting_iteratorIjlEEPS9_SE_NS0_5tupleIJPjSE_EEENSF_IJSE_SE_EEES9_SG_JZNS1_25segmented_radix_sort_implINS0_14default_configELb0EPKaPaPKlPlN2at6native12_GLOBAL__N_18offset_tEEE10hipError_tPvRmT1_PNSt15iterator_traitsISY_E10value_typeET2_T3_PNSZ_IS14_E10value_typeET4_jRbjT5_S1A_jjP12ihipStream_tbEUljE_EEESV_SW_SX_S14_S18_S1A_T6_T7_T9_mT8_S1C_bDpT10_ENKUlT_T0_E_clISt17integral_constantIbLb1EES1O_IbLb0EEEEDaS1K_S1L_EUlS1K_E_NS1_11comp_targetILNS1_3genE0ELNS1_11target_archE4294967295ELNS1_3gpuE0ELNS1_3repE0EEENS1_30default_config_static_selectorELNS0_4arch9wavefront6targetE1EEEvSY_,comdat
.Lfunc_end377:
	.size	_ZN7rocprim17ROCPRIM_400000_NS6detail17trampoline_kernelINS0_13select_configILj256ELj13ELNS0_17block_load_methodE3ELS4_3ELS4_3ELNS0_20block_scan_algorithmE0ELj4294967295EEENS1_25partition_config_selectorILNS1_17partition_subalgoE3EjNS0_10empty_typeEbEEZZNS1_14partition_implILS8_3ELb0ES6_jNS0_17counting_iteratorIjlEEPS9_SE_NS0_5tupleIJPjSE_EEENSF_IJSE_SE_EEES9_SG_JZNS1_25segmented_radix_sort_implINS0_14default_configELb0EPKaPaPKlPlN2at6native12_GLOBAL__N_18offset_tEEE10hipError_tPvRmT1_PNSt15iterator_traitsISY_E10value_typeET2_T3_PNSZ_IS14_E10value_typeET4_jRbjT5_S1A_jjP12ihipStream_tbEUljE_EEESV_SW_SX_S14_S18_S1A_T6_T7_T9_mT8_S1C_bDpT10_ENKUlT_T0_E_clISt17integral_constantIbLb1EES1O_IbLb0EEEEDaS1K_S1L_EUlS1K_E_NS1_11comp_targetILNS1_3genE0ELNS1_11target_archE4294967295ELNS1_3gpuE0ELNS1_3repE0EEENS1_30default_config_static_selectorELNS0_4arch9wavefront6targetE1EEEvSY_, .Lfunc_end377-_ZN7rocprim17ROCPRIM_400000_NS6detail17trampoline_kernelINS0_13select_configILj256ELj13ELNS0_17block_load_methodE3ELS4_3ELS4_3ELNS0_20block_scan_algorithmE0ELj4294967295EEENS1_25partition_config_selectorILNS1_17partition_subalgoE3EjNS0_10empty_typeEbEEZZNS1_14partition_implILS8_3ELb0ES6_jNS0_17counting_iteratorIjlEEPS9_SE_NS0_5tupleIJPjSE_EEENSF_IJSE_SE_EEES9_SG_JZNS1_25segmented_radix_sort_implINS0_14default_configELb0EPKaPaPKlPlN2at6native12_GLOBAL__N_18offset_tEEE10hipError_tPvRmT1_PNSt15iterator_traitsISY_E10value_typeET2_T3_PNSZ_IS14_E10value_typeET4_jRbjT5_S1A_jjP12ihipStream_tbEUljE_EEESV_SW_SX_S14_S18_S1A_T6_T7_T9_mT8_S1C_bDpT10_ENKUlT_T0_E_clISt17integral_constantIbLb1EES1O_IbLb0EEEEDaS1K_S1L_EUlS1K_E_NS1_11comp_targetILNS1_3genE0ELNS1_11target_archE4294967295ELNS1_3gpuE0ELNS1_3repE0EEENS1_30default_config_static_selectorELNS0_4arch9wavefront6targetE1EEEvSY_
                                        ; -- End function
	.section	.AMDGPU.csdata,"",@progbits
; Kernel info:
; codeLenInByte = 0
; NumSgprs: 4
; NumVgprs: 0
; NumAgprs: 0
; TotalNumVgprs: 0
; ScratchSize: 0
; MemoryBound: 0
; FloatMode: 240
; IeeeMode: 1
; LDSByteSize: 0 bytes/workgroup (compile time only)
; SGPRBlocks: 0
; VGPRBlocks: 0
; NumSGPRsForWavesPerEU: 4
; NumVGPRsForWavesPerEU: 1
; AccumOffset: 4
; Occupancy: 8
; WaveLimiterHint : 0
; COMPUTE_PGM_RSRC2:SCRATCH_EN: 0
; COMPUTE_PGM_RSRC2:USER_SGPR: 6
; COMPUTE_PGM_RSRC2:TRAP_HANDLER: 0
; COMPUTE_PGM_RSRC2:TGID_X_EN: 1
; COMPUTE_PGM_RSRC2:TGID_Y_EN: 0
; COMPUTE_PGM_RSRC2:TGID_Z_EN: 0
; COMPUTE_PGM_RSRC2:TIDIG_COMP_CNT: 0
; COMPUTE_PGM_RSRC3_GFX90A:ACCUM_OFFSET: 0
; COMPUTE_PGM_RSRC3_GFX90A:TG_SPLIT: 0
	.section	.text._ZN7rocprim17ROCPRIM_400000_NS6detail17trampoline_kernelINS0_13select_configILj256ELj13ELNS0_17block_load_methodE3ELS4_3ELS4_3ELNS0_20block_scan_algorithmE0ELj4294967295EEENS1_25partition_config_selectorILNS1_17partition_subalgoE3EjNS0_10empty_typeEbEEZZNS1_14partition_implILS8_3ELb0ES6_jNS0_17counting_iteratorIjlEEPS9_SE_NS0_5tupleIJPjSE_EEENSF_IJSE_SE_EEES9_SG_JZNS1_25segmented_radix_sort_implINS0_14default_configELb0EPKaPaPKlPlN2at6native12_GLOBAL__N_18offset_tEEE10hipError_tPvRmT1_PNSt15iterator_traitsISY_E10value_typeET2_T3_PNSZ_IS14_E10value_typeET4_jRbjT5_S1A_jjP12ihipStream_tbEUljE_EEESV_SW_SX_S14_S18_S1A_T6_T7_T9_mT8_S1C_bDpT10_ENKUlT_T0_E_clISt17integral_constantIbLb1EES1O_IbLb0EEEEDaS1K_S1L_EUlS1K_E_NS1_11comp_targetILNS1_3genE5ELNS1_11target_archE942ELNS1_3gpuE9ELNS1_3repE0EEENS1_30default_config_static_selectorELNS0_4arch9wavefront6targetE1EEEvSY_,"axG",@progbits,_ZN7rocprim17ROCPRIM_400000_NS6detail17trampoline_kernelINS0_13select_configILj256ELj13ELNS0_17block_load_methodE3ELS4_3ELS4_3ELNS0_20block_scan_algorithmE0ELj4294967295EEENS1_25partition_config_selectorILNS1_17partition_subalgoE3EjNS0_10empty_typeEbEEZZNS1_14partition_implILS8_3ELb0ES6_jNS0_17counting_iteratorIjlEEPS9_SE_NS0_5tupleIJPjSE_EEENSF_IJSE_SE_EEES9_SG_JZNS1_25segmented_radix_sort_implINS0_14default_configELb0EPKaPaPKlPlN2at6native12_GLOBAL__N_18offset_tEEE10hipError_tPvRmT1_PNSt15iterator_traitsISY_E10value_typeET2_T3_PNSZ_IS14_E10value_typeET4_jRbjT5_S1A_jjP12ihipStream_tbEUljE_EEESV_SW_SX_S14_S18_S1A_T6_T7_T9_mT8_S1C_bDpT10_ENKUlT_T0_E_clISt17integral_constantIbLb1EES1O_IbLb0EEEEDaS1K_S1L_EUlS1K_E_NS1_11comp_targetILNS1_3genE5ELNS1_11target_archE942ELNS1_3gpuE9ELNS1_3repE0EEENS1_30default_config_static_selectorELNS0_4arch9wavefront6targetE1EEEvSY_,comdat
	.globl	_ZN7rocprim17ROCPRIM_400000_NS6detail17trampoline_kernelINS0_13select_configILj256ELj13ELNS0_17block_load_methodE3ELS4_3ELS4_3ELNS0_20block_scan_algorithmE0ELj4294967295EEENS1_25partition_config_selectorILNS1_17partition_subalgoE3EjNS0_10empty_typeEbEEZZNS1_14partition_implILS8_3ELb0ES6_jNS0_17counting_iteratorIjlEEPS9_SE_NS0_5tupleIJPjSE_EEENSF_IJSE_SE_EEES9_SG_JZNS1_25segmented_radix_sort_implINS0_14default_configELb0EPKaPaPKlPlN2at6native12_GLOBAL__N_18offset_tEEE10hipError_tPvRmT1_PNSt15iterator_traitsISY_E10value_typeET2_T3_PNSZ_IS14_E10value_typeET4_jRbjT5_S1A_jjP12ihipStream_tbEUljE_EEESV_SW_SX_S14_S18_S1A_T6_T7_T9_mT8_S1C_bDpT10_ENKUlT_T0_E_clISt17integral_constantIbLb1EES1O_IbLb0EEEEDaS1K_S1L_EUlS1K_E_NS1_11comp_targetILNS1_3genE5ELNS1_11target_archE942ELNS1_3gpuE9ELNS1_3repE0EEENS1_30default_config_static_selectorELNS0_4arch9wavefront6targetE1EEEvSY_ ; -- Begin function _ZN7rocprim17ROCPRIM_400000_NS6detail17trampoline_kernelINS0_13select_configILj256ELj13ELNS0_17block_load_methodE3ELS4_3ELS4_3ELNS0_20block_scan_algorithmE0ELj4294967295EEENS1_25partition_config_selectorILNS1_17partition_subalgoE3EjNS0_10empty_typeEbEEZZNS1_14partition_implILS8_3ELb0ES6_jNS0_17counting_iteratorIjlEEPS9_SE_NS0_5tupleIJPjSE_EEENSF_IJSE_SE_EEES9_SG_JZNS1_25segmented_radix_sort_implINS0_14default_configELb0EPKaPaPKlPlN2at6native12_GLOBAL__N_18offset_tEEE10hipError_tPvRmT1_PNSt15iterator_traitsISY_E10value_typeET2_T3_PNSZ_IS14_E10value_typeET4_jRbjT5_S1A_jjP12ihipStream_tbEUljE_EEESV_SW_SX_S14_S18_S1A_T6_T7_T9_mT8_S1C_bDpT10_ENKUlT_T0_E_clISt17integral_constantIbLb1EES1O_IbLb0EEEEDaS1K_S1L_EUlS1K_E_NS1_11comp_targetILNS1_3genE5ELNS1_11target_archE942ELNS1_3gpuE9ELNS1_3repE0EEENS1_30default_config_static_selectorELNS0_4arch9wavefront6targetE1EEEvSY_
	.p2align	8
	.type	_ZN7rocprim17ROCPRIM_400000_NS6detail17trampoline_kernelINS0_13select_configILj256ELj13ELNS0_17block_load_methodE3ELS4_3ELS4_3ELNS0_20block_scan_algorithmE0ELj4294967295EEENS1_25partition_config_selectorILNS1_17partition_subalgoE3EjNS0_10empty_typeEbEEZZNS1_14partition_implILS8_3ELb0ES6_jNS0_17counting_iteratorIjlEEPS9_SE_NS0_5tupleIJPjSE_EEENSF_IJSE_SE_EEES9_SG_JZNS1_25segmented_radix_sort_implINS0_14default_configELb0EPKaPaPKlPlN2at6native12_GLOBAL__N_18offset_tEEE10hipError_tPvRmT1_PNSt15iterator_traitsISY_E10value_typeET2_T3_PNSZ_IS14_E10value_typeET4_jRbjT5_S1A_jjP12ihipStream_tbEUljE_EEESV_SW_SX_S14_S18_S1A_T6_T7_T9_mT8_S1C_bDpT10_ENKUlT_T0_E_clISt17integral_constantIbLb1EES1O_IbLb0EEEEDaS1K_S1L_EUlS1K_E_NS1_11comp_targetILNS1_3genE5ELNS1_11target_archE942ELNS1_3gpuE9ELNS1_3repE0EEENS1_30default_config_static_selectorELNS0_4arch9wavefront6targetE1EEEvSY_,@function
_ZN7rocprim17ROCPRIM_400000_NS6detail17trampoline_kernelINS0_13select_configILj256ELj13ELNS0_17block_load_methodE3ELS4_3ELS4_3ELNS0_20block_scan_algorithmE0ELj4294967295EEENS1_25partition_config_selectorILNS1_17partition_subalgoE3EjNS0_10empty_typeEbEEZZNS1_14partition_implILS8_3ELb0ES6_jNS0_17counting_iteratorIjlEEPS9_SE_NS0_5tupleIJPjSE_EEENSF_IJSE_SE_EEES9_SG_JZNS1_25segmented_radix_sort_implINS0_14default_configELb0EPKaPaPKlPlN2at6native12_GLOBAL__N_18offset_tEEE10hipError_tPvRmT1_PNSt15iterator_traitsISY_E10value_typeET2_T3_PNSZ_IS14_E10value_typeET4_jRbjT5_S1A_jjP12ihipStream_tbEUljE_EEESV_SW_SX_S14_S18_S1A_T6_T7_T9_mT8_S1C_bDpT10_ENKUlT_T0_E_clISt17integral_constantIbLb1EES1O_IbLb0EEEEDaS1K_S1L_EUlS1K_E_NS1_11comp_targetILNS1_3genE5ELNS1_11target_archE942ELNS1_3gpuE9ELNS1_3repE0EEENS1_30default_config_static_selectorELNS0_4arch9wavefront6targetE1EEEvSY_: ; @_ZN7rocprim17ROCPRIM_400000_NS6detail17trampoline_kernelINS0_13select_configILj256ELj13ELNS0_17block_load_methodE3ELS4_3ELS4_3ELNS0_20block_scan_algorithmE0ELj4294967295EEENS1_25partition_config_selectorILNS1_17partition_subalgoE3EjNS0_10empty_typeEbEEZZNS1_14partition_implILS8_3ELb0ES6_jNS0_17counting_iteratorIjlEEPS9_SE_NS0_5tupleIJPjSE_EEENSF_IJSE_SE_EEES9_SG_JZNS1_25segmented_radix_sort_implINS0_14default_configELb0EPKaPaPKlPlN2at6native12_GLOBAL__N_18offset_tEEE10hipError_tPvRmT1_PNSt15iterator_traitsISY_E10value_typeET2_T3_PNSZ_IS14_E10value_typeET4_jRbjT5_S1A_jjP12ihipStream_tbEUljE_EEESV_SW_SX_S14_S18_S1A_T6_T7_T9_mT8_S1C_bDpT10_ENKUlT_T0_E_clISt17integral_constantIbLb1EES1O_IbLb0EEEEDaS1K_S1L_EUlS1K_E_NS1_11comp_targetILNS1_3genE5ELNS1_11target_archE942ELNS1_3gpuE9ELNS1_3repE0EEENS1_30default_config_static_selectorELNS0_4arch9wavefront6targetE1EEEvSY_
; %bb.0:
	.section	.rodata,"a",@progbits
	.p2align	6, 0x0
	.amdhsa_kernel _ZN7rocprim17ROCPRIM_400000_NS6detail17trampoline_kernelINS0_13select_configILj256ELj13ELNS0_17block_load_methodE3ELS4_3ELS4_3ELNS0_20block_scan_algorithmE0ELj4294967295EEENS1_25partition_config_selectorILNS1_17partition_subalgoE3EjNS0_10empty_typeEbEEZZNS1_14partition_implILS8_3ELb0ES6_jNS0_17counting_iteratorIjlEEPS9_SE_NS0_5tupleIJPjSE_EEENSF_IJSE_SE_EEES9_SG_JZNS1_25segmented_radix_sort_implINS0_14default_configELb0EPKaPaPKlPlN2at6native12_GLOBAL__N_18offset_tEEE10hipError_tPvRmT1_PNSt15iterator_traitsISY_E10value_typeET2_T3_PNSZ_IS14_E10value_typeET4_jRbjT5_S1A_jjP12ihipStream_tbEUljE_EEESV_SW_SX_S14_S18_S1A_T6_T7_T9_mT8_S1C_bDpT10_ENKUlT_T0_E_clISt17integral_constantIbLb1EES1O_IbLb0EEEEDaS1K_S1L_EUlS1K_E_NS1_11comp_targetILNS1_3genE5ELNS1_11target_archE942ELNS1_3gpuE9ELNS1_3repE0EEENS1_30default_config_static_selectorELNS0_4arch9wavefront6targetE1EEEvSY_
		.amdhsa_group_segment_fixed_size 0
		.amdhsa_private_segment_fixed_size 0
		.amdhsa_kernarg_size 144
		.amdhsa_user_sgpr_count 6
		.amdhsa_user_sgpr_private_segment_buffer 1
		.amdhsa_user_sgpr_dispatch_ptr 0
		.amdhsa_user_sgpr_queue_ptr 0
		.amdhsa_user_sgpr_kernarg_segment_ptr 1
		.amdhsa_user_sgpr_dispatch_id 0
		.amdhsa_user_sgpr_flat_scratch_init 0
		.amdhsa_user_sgpr_kernarg_preload_length 0
		.amdhsa_user_sgpr_kernarg_preload_offset 0
		.amdhsa_user_sgpr_private_segment_size 0
		.amdhsa_uses_dynamic_stack 0
		.amdhsa_system_sgpr_private_segment_wavefront_offset 0
		.amdhsa_system_sgpr_workgroup_id_x 1
		.amdhsa_system_sgpr_workgroup_id_y 0
		.amdhsa_system_sgpr_workgroup_id_z 0
		.amdhsa_system_sgpr_workgroup_info 0
		.amdhsa_system_vgpr_workitem_id 0
		.amdhsa_next_free_vgpr 1
		.amdhsa_next_free_sgpr 0
		.amdhsa_accum_offset 4
		.amdhsa_reserve_vcc 0
		.amdhsa_reserve_flat_scratch 0
		.amdhsa_float_round_mode_32 0
		.amdhsa_float_round_mode_16_64 0
		.amdhsa_float_denorm_mode_32 3
		.amdhsa_float_denorm_mode_16_64 3
		.amdhsa_dx10_clamp 1
		.amdhsa_ieee_mode 1
		.amdhsa_fp16_overflow 0
		.amdhsa_tg_split 0
		.amdhsa_exception_fp_ieee_invalid_op 0
		.amdhsa_exception_fp_denorm_src 0
		.amdhsa_exception_fp_ieee_div_zero 0
		.amdhsa_exception_fp_ieee_overflow 0
		.amdhsa_exception_fp_ieee_underflow 0
		.amdhsa_exception_fp_ieee_inexact 0
		.amdhsa_exception_int_div_zero 0
	.end_amdhsa_kernel
	.section	.text._ZN7rocprim17ROCPRIM_400000_NS6detail17trampoline_kernelINS0_13select_configILj256ELj13ELNS0_17block_load_methodE3ELS4_3ELS4_3ELNS0_20block_scan_algorithmE0ELj4294967295EEENS1_25partition_config_selectorILNS1_17partition_subalgoE3EjNS0_10empty_typeEbEEZZNS1_14partition_implILS8_3ELb0ES6_jNS0_17counting_iteratorIjlEEPS9_SE_NS0_5tupleIJPjSE_EEENSF_IJSE_SE_EEES9_SG_JZNS1_25segmented_radix_sort_implINS0_14default_configELb0EPKaPaPKlPlN2at6native12_GLOBAL__N_18offset_tEEE10hipError_tPvRmT1_PNSt15iterator_traitsISY_E10value_typeET2_T3_PNSZ_IS14_E10value_typeET4_jRbjT5_S1A_jjP12ihipStream_tbEUljE_EEESV_SW_SX_S14_S18_S1A_T6_T7_T9_mT8_S1C_bDpT10_ENKUlT_T0_E_clISt17integral_constantIbLb1EES1O_IbLb0EEEEDaS1K_S1L_EUlS1K_E_NS1_11comp_targetILNS1_3genE5ELNS1_11target_archE942ELNS1_3gpuE9ELNS1_3repE0EEENS1_30default_config_static_selectorELNS0_4arch9wavefront6targetE1EEEvSY_,"axG",@progbits,_ZN7rocprim17ROCPRIM_400000_NS6detail17trampoline_kernelINS0_13select_configILj256ELj13ELNS0_17block_load_methodE3ELS4_3ELS4_3ELNS0_20block_scan_algorithmE0ELj4294967295EEENS1_25partition_config_selectorILNS1_17partition_subalgoE3EjNS0_10empty_typeEbEEZZNS1_14partition_implILS8_3ELb0ES6_jNS0_17counting_iteratorIjlEEPS9_SE_NS0_5tupleIJPjSE_EEENSF_IJSE_SE_EEES9_SG_JZNS1_25segmented_radix_sort_implINS0_14default_configELb0EPKaPaPKlPlN2at6native12_GLOBAL__N_18offset_tEEE10hipError_tPvRmT1_PNSt15iterator_traitsISY_E10value_typeET2_T3_PNSZ_IS14_E10value_typeET4_jRbjT5_S1A_jjP12ihipStream_tbEUljE_EEESV_SW_SX_S14_S18_S1A_T6_T7_T9_mT8_S1C_bDpT10_ENKUlT_T0_E_clISt17integral_constantIbLb1EES1O_IbLb0EEEEDaS1K_S1L_EUlS1K_E_NS1_11comp_targetILNS1_3genE5ELNS1_11target_archE942ELNS1_3gpuE9ELNS1_3repE0EEENS1_30default_config_static_selectorELNS0_4arch9wavefront6targetE1EEEvSY_,comdat
.Lfunc_end378:
	.size	_ZN7rocprim17ROCPRIM_400000_NS6detail17trampoline_kernelINS0_13select_configILj256ELj13ELNS0_17block_load_methodE3ELS4_3ELS4_3ELNS0_20block_scan_algorithmE0ELj4294967295EEENS1_25partition_config_selectorILNS1_17partition_subalgoE3EjNS0_10empty_typeEbEEZZNS1_14partition_implILS8_3ELb0ES6_jNS0_17counting_iteratorIjlEEPS9_SE_NS0_5tupleIJPjSE_EEENSF_IJSE_SE_EEES9_SG_JZNS1_25segmented_radix_sort_implINS0_14default_configELb0EPKaPaPKlPlN2at6native12_GLOBAL__N_18offset_tEEE10hipError_tPvRmT1_PNSt15iterator_traitsISY_E10value_typeET2_T3_PNSZ_IS14_E10value_typeET4_jRbjT5_S1A_jjP12ihipStream_tbEUljE_EEESV_SW_SX_S14_S18_S1A_T6_T7_T9_mT8_S1C_bDpT10_ENKUlT_T0_E_clISt17integral_constantIbLb1EES1O_IbLb0EEEEDaS1K_S1L_EUlS1K_E_NS1_11comp_targetILNS1_3genE5ELNS1_11target_archE942ELNS1_3gpuE9ELNS1_3repE0EEENS1_30default_config_static_selectorELNS0_4arch9wavefront6targetE1EEEvSY_, .Lfunc_end378-_ZN7rocprim17ROCPRIM_400000_NS6detail17trampoline_kernelINS0_13select_configILj256ELj13ELNS0_17block_load_methodE3ELS4_3ELS4_3ELNS0_20block_scan_algorithmE0ELj4294967295EEENS1_25partition_config_selectorILNS1_17partition_subalgoE3EjNS0_10empty_typeEbEEZZNS1_14partition_implILS8_3ELb0ES6_jNS0_17counting_iteratorIjlEEPS9_SE_NS0_5tupleIJPjSE_EEENSF_IJSE_SE_EEES9_SG_JZNS1_25segmented_radix_sort_implINS0_14default_configELb0EPKaPaPKlPlN2at6native12_GLOBAL__N_18offset_tEEE10hipError_tPvRmT1_PNSt15iterator_traitsISY_E10value_typeET2_T3_PNSZ_IS14_E10value_typeET4_jRbjT5_S1A_jjP12ihipStream_tbEUljE_EEESV_SW_SX_S14_S18_S1A_T6_T7_T9_mT8_S1C_bDpT10_ENKUlT_T0_E_clISt17integral_constantIbLb1EES1O_IbLb0EEEEDaS1K_S1L_EUlS1K_E_NS1_11comp_targetILNS1_3genE5ELNS1_11target_archE942ELNS1_3gpuE9ELNS1_3repE0EEENS1_30default_config_static_selectorELNS0_4arch9wavefront6targetE1EEEvSY_
                                        ; -- End function
	.section	.AMDGPU.csdata,"",@progbits
; Kernel info:
; codeLenInByte = 0
; NumSgprs: 4
; NumVgprs: 0
; NumAgprs: 0
; TotalNumVgprs: 0
; ScratchSize: 0
; MemoryBound: 0
; FloatMode: 240
; IeeeMode: 1
; LDSByteSize: 0 bytes/workgroup (compile time only)
; SGPRBlocks: 0
; VGPRBlocks: 0
; NumSGPRsForWavesPerEU: 4
; NumVGPRsForWavesPerEU: 1
; AccumOffset: 4
; Occupancy: 8
; WaveLimiterHint : 0
; COMPUTE_PGM_RSRC2:SCRATCH_EN: 0
; COMPUTE_PGM_RSRC2:USER_SGPR: 6
; COMPUTE_PGM_RSRC2:TRAP_HANDLER: 0
; COMPUTE_PGM_RSRC2:TGID_X_EN: 1
; COMPUTE_PGM_RSRC2:TGID_Y_EN: 0
; COMPUTE_PGM_RSRC2:TGID_Z_EN: 0
; COMPUTE_PGM_RSRC2:TIDIG_COMP_CNT: 0
; COMPUTE_PGM_RSRC3_GFX90A:ACCUM_OFFSET: 0
; COMPUTE_PGM_RSRC3_GFX90A:TG_SPLIT: 0
	.section	.text._ZN7rocprim17ROCPRIM_400000_NS6detail17trampoline_kernelINS0_13select_configILj256ELj13ELNS0_17block_load_methodE3ELS4_3ELS4_3ELNS0_20block_scan_algorithmE0ELj4294967295EEENS1_25partition_config_selectorILNS1_17partition_subalgoE3EjNS0_10empty_typeEbEEZZNS1_14partition_implILS8_3ELb0ES6_jNS0_17counting_iteratorIjlEEPS9_SE_NS0_5tupleIJPjSE_EEENSF_IJSE_SE_EEES9_SG_JZNS1_25segmented_radix_sort_implINS0_14default_configELb0EPKaPaPKlPlN2at6native12_GLOBAL__N_18offset_tEEE10hipError_tPvRmT1_PNSt15iterator_traitsISY_E10value_typeET2_T3_PNSZ_IS14_E10value_typeET4_jRbjT5_S1A_jjP12ihipStream_tbEUljE_EEESV_SW_SX_S14_S18_S1A_T6_T7_T9_mT8_S1C_bDpT10_ENKUlT_T0_E_clISt17integral_constantIbLb1EES1O_IbLb0EEEEDaS1K_S1L_EUlS1K_E_NS1_11comp_targetILNS1_3genE4ELNS1_11target_archE910ELNS1_3gpuE8ELNS1_3repE0EEENS1_30default_config_static_selectorELNS0_4arch9wavefront6targetE1EEEvSY_,"axG",@progbits,_ZN7rocprim17ROCPRIM_400000_NS6detail17trampoline_kernelINS0_13select_configILj256ELj13ELNS0_17block_load_methodE3ELS4_3ELS4_3ELNS0_20block_scan_algorithmE0ELj4294967295EEENS1_25partition_config_selectorILNS1_17partition_subalgoE3EjNS0_10empty_typeEbEEZZNS1_14partition_implILS8_3ELb0ES6_jNS0_17counting_iteratorIjlEEPS9_SE_NS0_5tupleIJPjSE_EEENSF_IJSE_SE_EEES9_SG_JZNS1_25segmented_radix_sort_implINS0_14default_configELb0EPKaPaPKlPlN2at6native12_GLOBAL__N_18offset_tEEE10hipError_tPvRmT1_PNSt15iterator_traitsISY_E10value_typeET2_T3_PNSZ_IS14_E10value_typeET4_jRbjT5_S1A_jjP12ihipStream_tbEUljE_EEESV_SW_SX_S14_S18_S1A_T6_T7_T9_mT8_S1C_bDpT10_ENKUlT_T0_E_clISt17integral_constantIbLb1EES1O_IbLb0EEEEDaS1K_S1L_EUlS1K_E_NS1_11comp_targetILNS1_3genE4ELNS1_11target_archE910ELNS1_3gpuE8ELNS1_3repE0EEENS1_30default_config_static_selectorELNS0_4arch9wavefront6targetE1EEEvSY_,comdat
	.globl	_ZN7rocprim17ROCPRIM_400000_NS6detail17trampoline_kernelINS0_13select_configILj256ELj13ELNS0_17block_load_methodE3ELS4_3ELS4_3ELNS0_20block_scan_algorithmE0ELj4294967295EEENS1_25partition_config_selectorILNS1_17partition_subalgoE3EjNS0_10empty_typeEbEEZZNS1_14partition_implILS8_3ELb0ES6_jNS0_17counting_iteratorIjlEEPS9_SE_NS0_5tupleIJPjSE_EEENSF_IJSE_SE_EEES9_SG_JZNS1_25segmented_radix_sort_implINS0_14default_configELb0EPKaPaPKlPlN2at6native12_GLOBAL__N_18offset_tEEE10hipError_tPvRmT1_PNSt15iterator_traitsISY_E10value_typeET2_T3_PNSZ_IS14_E10value_typeET4_jRbjT5_S1A_jjP12ihipStream_tbEUljE_EEESV_SW_SX_S14_S18_S1A_T6_T7_T9_mT8_S1C_bDpT10_ENKUlT_T0_E_clISt17integral_constantIbLb1EES1O_IbLb0EEEEDaS1K_S1L_EUlS1K_E_NS1_11comp_targetILNS1_3genE4ELNS1_11target_archE910ELNS1_3gpuE8ELNS1_3repE0EEENS1_30default_config_static_selectorELNS0_4arch9wavefront6targetE1EEEvSY_ ; -- Begin function _ZN7rocprim17ROCPRIM_400000_NS6detail17trampoline_kernelINS0_13select_configILj256ELj13ELNS0_17block_load_methodE3ELS4_3ELS4_3ELNS0_20block_scan_algorithmE0ELj4294967295EEENS1_25partition_config_selectorILNS1_17partition_subalgoE3EjNS0_10empty_typeEbEEZZNS1_14partition_implILS8_3ELb0ES6_jNS0_17counting_iteratorIjlEEPS9_SE_NS0_5tupleIJPjSE_EEENSF_IJSE_SE_EEES9_SG_JZNS1_25segmented_radix_sort_implINS0_14default_configELb0EPKaPaPKlPlN2at6native12_GLOBAL__N_18offset_tEEE10hipError_tPvRmT1_PNSt15iterator_traitsISY_E10value_typeET2_T3_PNSZ_IS14_E10value_typeET4_jRbjT5_S1A_jjP12ihipStream_tbEUljE_EEESV_SW_SX_S14_S18_S1A_T6_T7_T9_mT8_S1C_bDpT10_ENKUlT_T0_E_clISt17integral_constantIbLb1EES1O_IbLb0EEEEDaS1K_S1L_EUlS1K_E_NS1_11comp_targetILNS1_3genE4ELNS1_11target_archE910ELNS1_3gpuE8ELNS1_3repE0EEENS1_30default_config_static_selectorELNS0_4arch9wavefront6targetE1EEEvSY_
	.p2align	8
	.type	_ZN7rocprim17ROCPRIM_400000_NS6detail17trampoline_kernelINS0_13select_configILj256ELj13ELNS0_17block_load_methodE3ELS4_3ELS4_3ELNS0_20block_scan_algorithmE0ELj4294967295EEENS1_25partition_config_selectorILNS1_17partition_subalgoE3EjNS0_10empty_typeEbEEZZNS1_14partition_implILS8_3ELb0ES6_jNS0_17counting_iteratorIjlEEPS9_SE_NS0_5tupleIJPjSE_EEENSF_IJSE_SE_EEES9_SG_JZNS1_25segmented_radix_sort_implINS0_14default_configELb0EPKaPaPKlPlN2at6native12_GLOBAL__N_18offset_tEEE10hipError_tPvRmT1_PNSt15iterator_traitsISY_E10value_typeET2_T3_PNSZ_IS14_E10value_typeET4_jRbjT5_S1A_jjP12ihipStream_tbEUljE_EEESV_SW_SX_S14_S18_S1A_T6_T7_T9_mT8_S1C_bDpT10_ENKUlT_T0_E_clISt17integral_constantIbLb1EES1O_IbLb0EEEEDaS1K_S1L_EUlS1K_E_NS1_11comp_targetILNS1_3genE4ELNS1_11target_archE910ELNS1_3gpuE8ELNS1_3repE0EEENS1_30default_config_static_selectorELNS0_4arch9wavefront6targetE1EEEvSY_,@function
_ZN7rocprim17ROCPRIM_400000_NS6detail17trampoline_kernelINS0_13select_configILj256ELj13ELNS0_17block_load_methodE3ELS4_3ELS4_3ELNS0_20block_scan_algorithmE0ELj4294967295EEENS1_25partition_config_selectorILNS1_17partition_subalgoE3EjNS0_10empty_typeEbEEZZNS1_14partition_implILS8_3ELb0ES6_jNS0_17counting_iteratorIjlEEPS9_SE_NS0_5tupleIJPjSE_EEENSF_IJSE_SE_EEES9_SG_JZNS1_25segmented_radix_sort_implINS0_14default_configELb0EPKaPaPKlPlN2at6native12_GLOBAL__N_18offset_tEEE10hipError_tPvRmT1_PNSt15iterator_traitsISY_E10value_typeET2_T3_PNSZ_IS14_E10value_typeET4_jRbjT5_S1A_jjP12ihipStream_tbEUljE_EEESV_SW_SX_S14_S18_S1A_T6_T7_T9_mT8_S1C_bDpT10_ENKUlT_T0_E_clISt17integral_constantIbLb1EES1O_IbLb0EEEEDaS1K_S1L_EUlS1K_E_NS1_11comp_targetILNS1_3genE4ELNS1_11target_archE910ELNS1_3gpuE8ELNS1_3repE0EEENS1_30default_config_static_selectorELNS0_4arch9wavefront6targetE1EEEvSY_: ; @_ZN7rocprim17ROCPRIM_400000_NS6detail17trampoline_kernelINS0_13select_configILj256ELj13ELNS0_17block_load_methodE3ELS4_3ELS4_3ELNS0_20block_scan_algorithmE0ELj4294967295EEENS1_25partition_config_selectorILNS1_17partition_subalgoE3EjNS0_10empty_typeEbEEZZNS1_14partition_implILS8_3ELb0ES6_jNS0_17counting_iteratorIjlEEPS9_SE_NS0_5tupleIJPjSE_EEENSF_IJSE_SE_EEES9_SG_JZNS1_25segmented_radix_sort_implINS0_14default_configELb0EPKaPaPKlPlN2at6native12_GLOBAL__N_18offset_tEEE10hipError_tPvRmT1_PNSt15iterator_traitsISY_E10value_typeET2_T3_PNSZ_IS14_E10value_typeET4_jRbjT5_S1A_jjP12ihipStream_tbEUljE_EEESV_SW_SX_S14_S18_S1A_T6_T7_T9_mT8_S1C_bDpT10_ENKUlT_T0_E_clISt17integral_constantIbLb1EES1O_IbLb0EEEEDaS1K_S1L_EUlS1K_E_NS1_11comp_targetILNS1_3genE4ELNS1_11target_archE910ELNS1_3gpuE8ELNS1_3repE0EEENS1_30default_config_static_selectorELNS0_4arch9wavefront6targetE1EEEvSY_
; %bb.0:
	s_load_dwordx2 s[26:27], s[4:5], 0x58
	s_load_dwordx4 s[20:23], s[4:5], 0x48
	s_load_dword s13, s[4:5], 0x8
	s_load_dwordx2 s[28:29], s[4:5], 0x10
	s_load_dword s12, s[4:5], 0x70
	s_load_dword s7, s[4:5], 0x88
	s_load_dwordx4 s[8:11], s[4:5], 0x78
	s_waitcnt lgkmcnt(0)
	s_load_dwordx2 s[30:31], s[22:23], 0x0
	v_pk_mov_b32 v[2:3], s[26:27], s[26:27] op_sel:[0,1]
	s_add_i32 s2, s12, -1
	s_mulk_i32 s12, 0xd00
	s_add_u32 s0, s28, s12
	s_addc_u32 s1, s29, 0
	s_cmp_eq_u32 s6, s2
	s_cselect_b64 s[22:23], -1, 0
	s_cmp_lg_u32 s6, s2
	s_mul_i32 s42, s6, 0xd00
	v_cmp_lt_u64_e32 vcc, s[0:1], v[2:3]
	s_cselect_b64 s[0:1], -1, 0
	s_or_b64 s[2:3], s[0:1], vcc
	s_add_i32 s0, s13, s42
	s_add_i32 s0, s0, s28
	v_add_u32_e32 v2, s0, v0
	s_mov_b64 s[0:1], -1
	s_and_b64 vcc, exec, s[2:3]
	v_lshlrev_b32_e32 v1, 2, v0
	s_cbranch_vccz .LBB379_2
; %bb.1:
	v_add_u32_e32 v3, 0x100, v2
	v_add_u32_e32 v4, 0x200, v2
	;; [unrolled: 1-line block ×12, first 2 shown]
	ds_write2st64_b32 v1, v2, v3 offset1:4
	ds_write2st64_b32 v1, v4, v5 offset0:8 offset1:12
	ds_write2st64_b32 v1, v6, v7 offset0:16 offset1:20
	;; [unrolled: 1-line block ×5, first 2 shown]
	ds_write_b32 v1, v14 offset:12288
	s_waitcnt lgkmcnt(0)
	s_barrier
	s_mov_b64 s[0:1], 0
.LBB379_2:
	s_andn2_b64 vcc, exec, s[0:1]
	s_add_i32 s12, s12, s28
	s_cbranch_vccnz .LBB379_4
; %bb.3:
	v_add_u32_e32 v3, 0x100, v2
	v_add_u32_e32 v4, 0x200, v2
	;; [unrolled: 1-line block ×12, first 2 shown]
	ds_write2st64_b32 v1, v2, v3 offset1:4
	ds_write2st64_b32 v1, v4, v5 offset0:8 offset1:12
	ds_write2st64_b32 v1, v6, v7 offset0:16 offset1:20
	;; [unrolled: 1-line block ×5, first 2 shown]
	ds_write_b32 v1, v14 offset:12288
	s_waitcnt lgkmcnt(0)
	s_barrier
.LBB379_4:
	v_mul_u32_u24_e32 v33, 13, v0
	v_lshlrev_b32_e32 v2, 2, v33
	s_waitcnt lgkmcnt(0)
	ds_read2_b32 v[30:31], v2 offset1:1
	ds_read2_b32 v[28:29], v2 offset0:2 offset1:3
	ds_read2_b32 v[26:27], v2 offset0:4 offset1:5
	;; [unrolled: 1-line block ×5, first 2 shown]
	ds_read_b32 v32, v2 offset:48
	v_cndmask_b32_e64 v2, 0, 1, s[2:3]
	s_sub_i32 s33, s26, s12
	v_cmp_ne_u32_e64 s[0:1], 1, v2
	s_andn2_b64 vcc, exec, s[2:3]
	s_waitcnt lgkmcnt(0)
	s_barrier
	s_cbranch_vccnz .LBB379_6
; %bb.5:
	v_add_u32_e32 v2, s9, v30
	v_add_u32_e32 v3, s11, v30
	v_mul_lo_u32 v2, v2, s8
	v_mul_lo_u32 v3, v3, s10
	v_sub_u32_e32 v2, v2, v3
	v_add_u32_e32 v3, s9, v31
	v_add_u32_e32 v4, s11, v31
	v_mul_lo_u32 v3, v3, s8
	v_mul_lo_u32 v4, v4, s10
	v_sub_u32_e32 v3, v3, v4
	;; [unrolled: 5-line block ×6, first 2 shown]
	v_add_u32_e32 v8, s9, v24
	v_add_u32_e32 v9, s11, v24
	v_mul_lo_u32 v8, v8, s8
	v_mul_lo_u32 v9, v9, s10
	v_cmp_lt_u32_e32 vcc, s7, v2
	v_sub_u32_e32 v8, v8, v9
	v_add_u32_e32 v9, s9, v25
	v_add_u32_e32 v10, s11, v25
	v_cndmask_b32_e64 v2, 0, 1, vcc
	v_cmp_lt_u32_e32 vcc, s7, v3
	v_mul_lo_u32 v9, v9, s8
	v_mul_lo_u32 v10, v10, s10
	v_cndmask_b32_e64 v3, 0, 1, vcc
	v_cmp_lt_u32_e32 vcc, s7, v4
	v_sub_u32_e32 v9, v9, v10
	v_add_u32_e32 v10, s9, v22
	v_add_u32_e32 v11, s11, v22
	v_cndmask_b32_e64 v4, 0, 1, vcc
	v_cmp_lt_u32_e32 vcc, s7, v5
	v_mul_lo_u32 v10, v10, s8
	v_mul_lo_u32 v11, v11, s10
	v_cndmask_b32_e64 v5, 0, 1, vcc
	;; [unrolled: 9-line block ×4, first 2 shown]
	v_cmp_lt_u32_e32 vcc, s7, v10
	v_sub_u32_e32 v12, v12, v13
	v_add_u32_e32 v13, s9, v21
	v_add_u32_e32 v14, s11, v21
	v_lshlrev_b16_e32 v3, 8, v3
	v_cndmask_b32_e64 v10, 0, 1, vcc
	v_cmp_lt_u32_e32 vcc, s7, v11
	v_mul_lo_u32 v13, v13, s8
	v_mul_lo_u32 v14, v14, s10
	v_or_b32_e32 v2, v2, v3
	v_lshlrev_b16_e32 v3, 8, v5
	v_cndmask_b32_e64 v11, 0, 1, vcc
	v_cmp_lt_u32_e32 vcc, s7, v12
	v_sub_u32_e32 v13, v13, v14
	v_or_b32_sdwa v3, v4, v3 dst_sel:WORD_1 dst_unused:UNUSED_PAD src0_sel:DWORD src1_sel:DWORD
	v_cndmask_b32_e64 v12, 0, 1, vcc
	v_cmp_lt_u32_e32 vcc, s7, v13
	v_add_u32_e32 v14, s9, v32
	v_add_u32_e32 v15, s11, v32
	v_or_b32_sdwa v37, v2, v3 dst_sel:DWORD dst_unused:UNUSED_PAD src0_sel:WORD_0 src1_sel:DWORD
	v_lshlrev_b16_e32 v2, 8, v7
	v_lshlrev_b16_e32 v3, 8, v9
	v_cndmask_b32_e64 v13, 0, 1, vcc
	v_mul_lo_u32 v14, v14, s8
	v_mul_lo_u32 v15, v15, s10
	v_or_b32_e32 v2, v6, v2
	v_or_b32_sdwa v3, v8, v3 dst_sel:WORD_1 dst_unused:UNUSED_PAD src0_sel:DWORD src1_sel:DWORD
	v_sub_u32_e32 v14, v14, v15
	v_or_b32_sdwa v36, v2, v3 dst_sel:DWORD dst_unused:UNUSED_PAD src0_sel:WORD_0 src1_sel:DWORD
	v_lshlrev_b16_e32 v2, 8, v11
	v_lshlrev_b16_e32 v3, 8, v13
	v_cmp_lt_u32_e32 vcc, s7, v14
	v_or_b32_e32 v2, v10, v2
	v_or_b32_sdwa v3, v12, v3 dst_sel:WORD_1 dst_unused:UNUSED_PAD src0_sel:DWORD src1_sel:DWORD
	v_cndmask_b32_e64 v34, 0, 1, vcc
	v_or_b32_sdwa v35, v2, v3 dst_sel:DWORD dst_unused:UNUSED_PAD src0_sel:WORD_0 src1_sel:DWORD
	s_mov_b64 s[2:3], 0
	s_branch .LBB379_7
.LBB379_6:
	s_mov_b64 s[2:3], -1
                                        ; implicit-def: $vgpr34
                                        ; implicit-def: $vgpr35
                                        ; implicit-def: $vgpr36
                                        ; implicit-def: $vgpr37
.LBB379_7:
	s_load_dwordx2 s[24:25], s[4:5], 0x28
	s_load_dwordx2 s[34:35], s[4:5], 0x68
	s_andn2_b64 vcc, exec, s[2:3]
	s_addk_i32 s33, 0xd00
	s_cbranch_vccnz .LBB379_35
; %bb.8:
	v_cmp_gt_u32_e32 vcc, s33, v33
	v_mov_b32_e32 v3, 0
	v_mov_b32_e32 v2, 0
	s_and_saveexec_b64 s[2:3], vcc
; %bb.9:
	v_add_u32_e32 v2, s9, v30
	v_add_u32_e32 v4, s11, v30
	v_mul_lo_u32 v2, v2, s8
	v_mul_lo_u32 v4, v4, s10
	v_sub_u32_e32 v2, v2, v4
	v_cmp_lt_u32_e32 vcc, s7, v2
	v_cndmask_b32_e64 v2, 0, 1, vcc
; %bb.10:
	s_or_b64 exec, exec, s[2:3]
	v_add_u32_e32 v4, 1, v33
	v_cmp_gt_u32_e32 vcc, s33, v4
	s_and_saveexec_b64 s[2:3], vcc
; %bb.11:
	v_add_u32_e32 v3, s9, v31
	v_add_u32_e32 v4, s11, v31
	v_mul_lo_u32 v3, v3, s8
	v_mul_lo_u32 v4, v4, s10
	v_sub_u32_e32 v3, v3, v4
	v_cmp_lt_u32_e32 vcc, s7, v3
	v_cndmask_b32_e64 v3, 0, 1, vcc
; %bb.12:
	s_or_b64 exec, exec, s[2:3]
	v_add_u32_e32 v4, 2, v33
	v_cmp_gt_u32_e32 vcc, s33, v4
	v_mov_b32_e32 v5, 0
	v_mov_b32_e32 v4, 0
	s_and_saveexec_b64 s[2:3], vcc
; %bb.13:
	v_add_u32_e32 v4, s9, v28
	v_add_u32_e32 v6, s11, v28
	v_mul_lo_u32 v4, v4, s8
	v_mul_lo_u32 v6, v6, s10
	v_sub_u32_e32 v4, v4, v6
	v_cmp_lt_u32_e32 vcc, s7, v4
	v_cndmask_b32_e64 v4, 0, 1, vcc
; %bb.14:
	s_or_b64 exec, exec, s[2:3]
	v_add_u32_e32 v6, 3, v33
	v_cmp_gt_u32_e32 vcc, s33, v6
	s_and_saveexec_b64 s[2:3], vcc
; %bb.15:
	v_add_u32_e32 v5, s9, v29
	v_add_u32_e32 v6, s11, v29
	v_mul_lo_u32 v5, v5, s8
	v_mul_lo_u32 v6, v6, s10
	v_sub_u32_e32 v5, v5, v6
	v_cmp_lt_u32_e32 vcc, s7, v5
	v_cndmask_b32_e64 v5, 0, 1, vcc
; %bb.16:
	s_or_b64 exec, exec, s[2:3]
	v_add_u32_e32 v6, 4, v33
	;; [unrolled: 28-line block ×6, first 2 shown]
	v_cmp_gt_u32_e32 vcc, s33, v14
	v_mov_b32_e32 v34, 0
	s_and_saveexec_b64 s[2:3], vcc
; %bb.33:
	v_add_u32_e32 v14, s9, v32
	v_add_u32_e32 v15, s11, v32
	v_mul_lo_u32 v14, v14, s8
	v_mul_lo_u32 v15, v15, s10
	v_sub_u32_e32 v14, v14, v15
	v_cmp_lt_u32_e32 vcc, s7, v14
	v_cndmask_b32_e64 v34, 0, 1, vcc
; %bb.34:
	s_or_b64 exec, exec, s[2:3]
	v_lshlrev_b16_e32 v3, 8, v3
	v_or_b32_e32 v2, v2, v3
	v_lshlrev_b16_e32 v3, 8, v5
	v_or_b32_sdwa v3, v4, v3 dst_sel:WORD_1 dst_unused:UNUSED_PAD src0_sel:DWORD src1_sel:DWORD
	v_or_b32_sdwa v37, v2, v3 dst_sel:DWORD dst_unused:UNUSED_PAD src0_sel:WORD_0 src1_sel:DWORD
	v_lshlrev_b16_e32 v2, 8, v7
	v_lshlrev_b16_e32 v3, 8, v9
	v_or_b32_e32 v2, v6, v2
	v_or_b32_sdwa v3, v8, v3 dst_sel:WORD_1 dst_unused:UNUSED_PAD src0_sel:DWORD src1_sel:DWORD
	v_or_b32_sdwa v36, v2, v3 dst_sel:DWORD dst_unused:UNUSED_PAD src0_sel:WORD_0 src1_sel:DWORD
	v_lshlrev_b16_e32 v2, 8, v11
	v_lshlrev_b16_e32 v3, 8, v13
	v_or_b32_e32 v2, v10, v2
	v_or_b32_sdwa v3, v12, v3 dst_sel:WORD_1 dst_unused:UNUSED_PAD src0_sel:DWORD src1_sel:DWORD
	v_or_b32_sdwa v35, v2, v3 dst_sel:DWORD dst_unused:UNUSED_PAD src0_sel:WORD_0 src1_sel:DWORD
.LBB379_35:
	v_and_b32_e32 v41, 0xff, v37
	v_bfe_u32 v42, v37, 8, 8
	v_bfe_u32 v43, v37, 16, 8
	v_lshrrev_b32_e32 v40, 24, v37
	v_and_b32_e32 v44, 0xff, v36
	v_add3_u32 v3, v42, v41, v43
	v_bfe_u32 v45, v36, 8, 8
	v_bfe_u32 v46, v36, 16, 8
	v_add3_u32 v3, v3, v40, v44
	v_lshrrev_b32_e32 v39, 24, v36
	v_and_b32_e32 v47, 0xff, v35
	v_add3_u32 v3, v3, v45, v46
	v_bfe_u32 v48, v35, 8, 8
	v_bfe_u32 v49, v35, 16, 8
	v_add3_u32 v3, v3, v39, v47
	v_lshrrev_b32_e32 v38, 24, v35
	v_and_b32_e32 v2, 0xff, v34
	v_add3_u32 v3, v3, v48, v49
	v_add3_u32 v52, v3, v38, v2
	v_mbcnt_lo_u32_b32 v2, -1, 0
	v_mbcnt_hi_u32_b32 v50, -1, v2
	v_and_b32_e32 v2, 15, v50
	v_cmp_eq_u32_e64 s[14:15], 0, v2
	v_cmp_lt_u32_e64 s[12:13], 1, v2
	v_cmp_lt_u32_e64 s[10:11], 3, v2
	v_cmp_lt_u32_e64 s[8:9], 7, v2
	v_and_b32_e32 v2, 16, v50
	v_cmp_eq_u32_e64 s[18:19], 0, v2
	v_or_b32_e32 v2, 63, v0
	s_cmp_lg_u32 s6, 0
	v_cmp_lt_u32_e64 s[2:3], 31, v50
	v_lshrrev_b32_e32 v51, 6, v0
	v_cmp_eq_u32_e64 s[4:5], v2, v0
	s_cbranch_scc0 .LBB379_66
; %bb.36:
	v_mov_b32_dpp v2, v52 row_shr:1 row_mask:0xf bank_mask:0xf
	v_cndmask_b32_e64 v2, v2, 0, s[14:15]
	v_add_u32_e32 v2, v2, v52
	s_nop 1
	v_mov_b32_dpp v3, v2 row_shr:2 row_mask:0xf bank_mask:0xf
	v_cndmask_b32_e64 v3, 0, v3, s[12:13]
	v_add_u32_e32 v2, v2, v3
	s_nop 1
	;; [unrolled: 4-line block ×4, first 2 shown]
	v_mov_b32_dpp v3, v2 row_bcast:15 row_mask:0xf bank_mask:0xf
	v_cndmask_b32_e64 v3, v3, 0, s[18:19]
	v_add_u32_e32 v2, v2, v3
	s_nop 1
	v_mov_b32_dpp v3, v2 row_bcast:31 row_mask:0xf bank_mask:0xf
	v_cndmask_b32_e64 v3, 0, v3, s[2:3]
	v_add_u32_e32 v2, v2, v3
	s_and_saveexec_b64 s[16:17], s[4:5]
	s_cbranch_execz .LBB379_38
; %bb.37:
	v_lshlrev_b32_e32 v3, 2, v51
	ds_write_b32 v3, v2
.LBB379_38:
	s_or_b64 exec, exec, s[16:17]
	v_cmp_gt_u32_e32 vcc, 4, v0
	s_waitcnt lgkmcnt(0)
	s_barrier
	s_and_saveexec_b64 s[16:17], vcc
	s_cbranch_execz .LBB379_40
; %bb.39:
	ds_read_b32 v3, v1
	v_and_b32_e32 v4, 3, v50
	v_cmp_ne_u32_e32 vcc, 0, v4
	s_waitcnt lgkmcnt(0)
	v_mov_b32_dpp v5, v3 row_shr:1 row_mask:0xf bank_mask:0xf
	v_cndmask_b32_e32 v5, 0, v5, vcc
	v_add_u32_e32 v3, v5, v3
	v_cmp_lt_u32_e32 vcc, 1, v4
	s_nop 0
	v_mov_b32_dpp v5, v3 row_shr:2 row_mask:0xf bank_mask:0xf
	v_cndmask_b32_e32 v4, 0, v5, vcc
	v_add_u32_e32 v3, v3, v4
	ds_write_b32 v1, v3
.LBB379_40:
	s_or_b64 exec, exec, s[16:17]
	v_cmp_gt_u32_e32 vcc, 64, v0
	v_cmp_lt_u32_e64 s[16:17], 63, v0
	s_waitcnt lgkmcnt(0)
	s_barrier
	s_waitcnt lgkmcnt(0)
                                        ; implicit-def: $vgpr12
	s_and_saveexec_b64 s[36:37], s[16:17]
	s_cbranch_execz .LBB379_42
; %bb.41:
	v_lshl_add_u32 v3, v51, 2, -4
	ds_read_b32 v12, v3
	s_waitcnt lgkmcnt(0)
	v_add_u32_e32 v2, v12, v2
.LBB379_42:
	s_or_b64 exec, exec, s[36:37]
	v_add_u32_e32 v3, -1, v50
	v_and_b32_e32 v4, 64, v50
	v_cmp_lt_i32_e64 s[16:17], v3, v4
	v_cndmask_b32_e64 v3, v3, v50, s[16:17]
	v_lshlrev_b32_e32 v3, 2, v3
	ds_bpermute_b32 v13, v3, v2
	v_cmp_eq_u32_e64 s[16:17], 0, v50
	s_and_saveexec_b64 s[36:37], vcc
	s_cbranch_execz .LBB379_65
; %bb.43:
	v_mov_b32_e32 v11, 0
	ds_read_b32 v2, v11 offset:12
	s_and_saveexec_b64 s[38:39], s[16:17]
	s_cbranch_execz .LBB379_45
; %bb.44:
	s_add_i32 s40, s6, 64
	s_mov_b32 s41, 0
	s_lshl_b64 s[40:41], s[40:41], 3
	s_add_u32 s40, s34, s40
	v_mov_b32_e32 v3, 1
	s_addc_u32 s41, s35, s41
	s_waitcnt lgkmcnt(0)
	global_store_dwordx2 v11, v[2:3], s[40:41]
.LBB379_45:
	s_or_b64 exec, exec, s[38:39]
	v_xad_u32 v4, v50, -1, s6
	v_add_u32_e32 v10, 64, v4
	v_lshlrev_b64 v[6:7], 3, v[10:11]
	v_mov_b32_e32 v3, s35
	v_add_co_u32_e32 v6, vcc, s34, v6
	v_addc_co_u32_e32 v7, vcc, v3, v7, vcc
	global_load_dwordx2 v[8:9], v[6:7], off glc
	s_waitcnt vmcnt(0)
	v_cmp_eq_u16_sdwa s[40:41], v9, v11 src0_sel:BYTE_0 src1_sel:DWORD
	s_and_saveexec_b64 s[38:39], s[40:41]
	s_cbranch_execz .LBB379_51
; %bb.46:
	s_mov_b32 s7, 1
	s_mov_b64 s[40:41], 0
	v_mov_b32_e32 v3, 0
.LBB379_47:                             ; =>This Loop Header: Depth=1
                                        ;     Child Loop BB379_48 Depth 2
	s_max_u32 s43, s7, 1
.LBB379_48:                             ;   Parent Loop BB379_47 Depth=1
                                        ; =>  This Inner Loop Header: Depth=2
	s_add_i32 s43, s43, -1
	s_cmp_eq_u32 s43, 0
	s_sleep 1
	s_cbranch_scc0 .LBB379_48
; %bb.49:                               ;   in Loop: Header=BB379_47 Depth=1
	global_load_dwordx2 v[8:9], v[6:7], off glc
	s_cmp_lt_u32 s7, 32
	s_cselect_b64 s[44:45], -1, 0
	s_cmp_lg_u64 s[44:45], 0
	s_addc_u32 s7, s7, 0
	s_waitcnt vmcnt(0)
	v_cmp_ne_u16_sdwa s[44:45], v9, v3 src0_sel:BYTE_0 src1_sel:DWORD
	s_or_b64 s[40:41], s[44:45], s[40:41]
	s_andn2_b64 exec, exec, s[40:41]
	s_cbranch_execnz .LBB379_47
; %bb.50:
	s_or_b64 exec, exec, s[40:41]
.LBB379_51:
	s_or_b64 exec, exec, s[38:39]
	v_and_b32_e32 v14, 63, v50
	v_mov_b32_e32 v3, 2
	v_cmp_ne_u32_e32 vcc, 63, v14
	v_cmp_eq_u16_sdwa s[38:39], v9, v3 src0_sel:BYTE_0 src1_sel:DWORD
	v_lshlrev_b64 v[6:7], v50, -1
	v_addc_co_u32_e32 v11, vcc, 0, v50, vcc
	v_and_b32_e32 v5, s39, v7
	v_lshlrev_b32_e32 v15, 2, v11
	v_or_b32_e32 v5, 0x80000000, v5
	ds_bpermute_b32 v11, v15, v8
	v_and_b32_e32 v10, s38, v6
	v_ffbl_b32_e32 v5, v5
	v_add_u32_e32 v5, 32, v5
	v_ffbl_b32_e32 v10, v10
	v_min_u32_e32 v5, v10, v5
	v_cmp_lt_u32_e32 vcc, v14, v5
	s_waitcnt lgkmcnt(0)
	v_cndmask_b32_e32 v10, 0, v11, vcc
	v_cmp_gt_u32_e32 vcc, 62, v14
	v_add_u32_e32 v8, v10, v8
	v_cndmask_b32_e64 v10, 0, 1, vcc
	v_lshlrev_b32_e32 v10, 1, v10
	v_add_lshl_u32 v16, v10, v50, 2
	ds_bpermute_b32 v10, v16, v8
	v_add_u32_e32 v17, 2, v14
	v_cmp_le_u32_e32 vcc, v17, v5
	v_add_u32_e32 v19, 4, v14
	v_add_u32_e32 v54, 8, v14
	s_waitcnt lgkmcnt(0)
	v_cndmask_b32_e32 v10, 0, v10, vcc
	v_cmp_gt_u32_e32 vcc, 60, v14
	v_add_u32_e32 v8, v8, v10
	v_cndmask_b32_e64 v10, 0, 1, vcc
	v_lshlrev_b32_e32 v10, 2, v10
	v_add_lshl_u32 v18, v10, v50, 2
	ds_bpermute_b32 v10, v18, v8
	v_cmp_le_u32_e32 vcc, v19, v5
	v_add_u32_e32 v57, 16, v14
	v_add_u32_e32 v59, 32, v14
	s_waitcnt lgkmcnt(0)
	v_cndmask_b32_e32 v10, 0, v10, vcc
	v_cmp_gt_u32_e32 vcc, 56, v14
	v_add_u32_e32 v8, v8, v10
	v_cndmask_b32_e64 v10, 0, 1, vcc
	v_lshlrev_b32_e32 v10, 3, v10
	v_add_lshl_u32 v53, v10, v50, 2
	ds_bpermute_b32 v10, v53, v8
	v_cmp_le_u32_e32 vcc, v54, v5
	s_waitcnt lgkmcnt(0)
	v_cndmask_b32_e32 v10, 0, v10, vcc
	v_cmp_gt_u32_e32 vcc, 48, v14
	v_add_u32_e32 v8, v8, v10
	v_cndmask_b32_e64 v10, 0, 1, vcc
	v_lshlrev_b32_e32 v10, 4, v10
	v_add_lshl_u32 v56, v10, v50, 2
	ds_bpermute_b32 v10, v56, v8
	v_cmp_le_u32_e32 vcc, v57, v5
	;; [unrolled: 9-line block ×3, first 2 shown]
	s_waitcnt lgkmcnt(0)
	v_cndmask_b32_e32 v5, 0, v10, vcc
	v_add_u32_e32 v8, v8, v5
	v_mov_b32_e32 v5, 0
	s_branch .LBB379_53
.LBB379_52:                             ;   in Loop: Header=BB379_53 Depth=1
	s_or_b64 exec, exec, s[38:39]
	v_cmp_eq_u16_sdwa s[38:39], v9, v3 src0_sel:BYTE_0 src1_sel:DWORD
	v_and_b32_e32 v10, s39, v7
	v_or_b32_e32 v10, 0x80000000, v10
	ds_bpermute_b32 v60, v15, v8
	v_and_b32_e32 v11, s38, v6
	v_ffbl_b32_e32 v10, v10
	v_add_u32_e32 v10, 32, v10
	v_ffbl_b32_e32 v11, v11
	v_min_u32_e32 v10, v11, v10
	v_cmp_lt_u32_e32 vcc, v14, v10
	s_waitcnt lgkmcnt(0)
	v_cndmask_b32_e32 v11, 0, v60, vcc
	v_add_u32_e32 v8, v11, v8
	ds_bpermute_b32 v11, v16, v8
	v_cmp_le_u32_e32 vcc, v17, v10
	v_subrev_u32_e32 v4, 64, v4
	s_waitcnt lgkmcnt(0)
	v_cndmask_b32_e32 v11, 0, v11, vcc
	v_add_u32_e32 v8, v8, v11
	ds_bpermute_b32 v11, v18, v8
	v_cmp_le_u32_e32 vcc, v19, v10
	s_waitcnt lgkmcnt(0)
	v_cndmask_b32_e32 v11, 0, v11, vcc
	v_add_u32_e32 v8, v8, v11
	ds_bpermute_b32 v11, v53, v8
	v_cmp_le_u32_e32 vcc, v54, v10
	;; [unrolled: 5-line block ×4, first 2 shown]
	s_waitcnt lgkmcnt(0)
	v_cndmask_b32_e32 v10, 0, v11, vcc
	v_add3_u32 v8, v10, v55, v8
.LBB379_53:                             ; =>This Loop Header: Depth=1
                                        ;     Child Loop BB379_56 Depth 2
                                        ;       Child Loop BB379_57 Depth 3
	v_cmp_ne_u16_sdwa s[38:39], v9, v3 src0_sel:BYTE_0 src1_sel:DWORD
	v_cndmask_b32_e64 v9, 0, 1, s[38:39]
	;;#ASMSTART
	;;#ASMEND
	v_cmp_ne_u32_e32 vcc, 0, v9
	s_cmp_lg_u64 vcc, exec
	v_mov_b32_e32 v55, v8
	s_cbranch_scc1 .LBB379_60
; %bb.54:                               ;   in Loop: Header=BB379_53 Depth=1
	v_lshlrev_b64 v[8:9], 3, v[4:5]
	v_mov_b32_e32 v11, s35
	v_add_co_u32_e32 v10, vcc, s34, v8
	v_addc_co_u32_e32 v11, vcc, v11, v9, vcc
	global_load_dwordx2 v[8:9], v[10:11], off glc
	s_waitcnt vmcnt(0)
	v_cmp_eq_u16_sdwa s[40:41], v9, v5 src0_sel:BYTE_0 src1_sel:DWORD
	s_and_saveexec_b64 s[38:39], s[40:41]
	s_cbranch_execz .LBB379_52
; %bb.55:                               ;   in Loop: Header=BB379_53 Depth=1
	s_mov_b32 s7, 1
	s_mov_b64 s[40:41], 0
.LBB379_56:                             ;   Parent Loop BB379_53 Depth=1
                                        ; =>  This Loop Header: Depth=2
                                        ;       Child Loop BB379_57 Depth 3
	s_max_u32 s43, s7, 1
.LBB379_57:                             ;   Parent Loop BB379_53 Depth=1
                                        ;     Parent Loop BB379_56 Depth=2
                                        ; =>    This Inner Loop Header: Depth=3
	s_add_i32 s43, s43, -1
	s_cmp_eq_u32 s43, 0
	s_sleep 1
	s_cbranch_scc0 .LBB379_57
; %bb.58:                               ;   in Loop: Header=BB379_56 Depth=2
	global_load_dwordx2 v[8:9], v[10:11], off glc
	s_cmp_lt_u32 s7, 32
	s_cselect_b64 s[44:45], -1, 0
	s_cmp_lg_u64 s[44:45], 0
	s_addc_u32 s7, s7, 0
	s_waitcnt vmcnt(0)
	v_cmp_ne_u16_sdwa s[44:45], v9, v5 src0_sel:BYTE_0 src1_sel:DWORD
	s_or_b64 s[40:41], s[44:45], s[40:41]
	s_andn2_b64 exec, exec, s[40:41]
	s_cbranch_execnz .LBB379_56
; %bb.59:                               ;   in Loop: Header=BB379_53 Depth=1
	s_or_b64 exec, exec, s[40:41]
	s_branch .LBB379_52
.LBB379_60:                             ;   in Loop: Header=BB379_53 Depth=1
                                        ; implicit-def: $vgpr8
                                        ; implicit-def: $vgpr9
	s_cbranch_execz .LBB379_53
; %bb.61:
	s_and_saveexec_b64 s[38:39], s[16:17]
	s_cbranch_execz .LBB379_63
; %bb.62:
	s_add_i32 s6, s6, 64
	s_mov_b32 s7, 0
	s_lshl_b64 s[6:7], s[6:7], 3
	s_add_u32 s6, s34, s6
	v_add_u32_e32 v4, v55, v2
	v_mov_b32_e32 v5, 2
	s_addc_u32 s7, s35, s7
	v_mov_b32_e32 v3, 0
	global_store_dwordx2 v3, v[4:5], s[6:7]
	s_movk_i32 s6, 0x3400
	v_add_u32_e64 v3, s6, 0
	ds_write2_b32 v3, v2, v55 offset1:2
.LBB379_63:
	s_or_b64 exec, exec, s[38:39]
	v_cmp_eq_u32_e32 vcc, 0, v0
	s_and_b64 exec, exec, vcc
	s_cbranch_execz .LBB379_65
; %bb.64:
	v_mov_b32_e32 v2, 0
	ds_write_b32 v2, v55 offset:12
.LBB379_65:
	s_or_b64 exec, exec, s[36:37]
	v_mov_b32_e32 v2, 0
	s_waitcnt lgkmcnt(0)
	s_barrier
	ds_read_b32 v2, v2 offset:12
	v_cndmask_b32_e64 v3, v13, v12, s[16:17]
	v_cmp_ne_u32_e32 vcc, 0, v0
	v_cndmask_b32_e32 v3, 0, v3, vcc
	s_movk_i32 s6, 0x3400
	s_waitcnt lgkmcnt(0)
	v_add_u32_e32 v2, v2, v3
	v_add_u32_e32 v3, v2, v41
	;; [unrolled: 1-line block ×8, first 2 shown]
	v_add_u32_e64 v12, s6, 0
	v_add_u32_e32 v10, v9, v39
	s_barrier
	ds_read2_b32 v[18:19], v12 offset1:2
	v_add_u32_e32 v11, v10, v47
	v_add_u32_e32 v12, v11, v48
	v_add_u32_e32 v13, v12, v49
	v_add_u32_e32 v14, v13, v38
	s_branch .LBB379_76
.LBB379_66:
                                        ; implicit-def: $vgpr19
                                        ; implicit-def: $vgpr2_vgpr3_vgpr4_vgpr5_vgpr6_vgpr7_vgpr8_vgpr9_vgpr10_vgpr11_vgpr12_vgpr13_vgpr14_vgpr15_vgpr16_vgpr17
	s_cbranch_execz .LBB379_76
; %bb.67:
	s_nop 0
	v_mov_b32_dpp v2, v52 row_shr:1 row_mask:0xf bank_mask:0xf
	v_cndmask_b32_e64 v2, v2, 0, s[14:15]
	v_add_u32_e32 v2, v2, v52
	s_nop 1
	v_mov_b32_dpp v3, v2 row_shr:2 row_mask:0xf bank_mask:0xf
	v_cndmask_b32_e64 v3, 0, v3, s[12:13]
	v_add_u32_e32 v2, v2, v3
	;; [unrolled: 4-line block ×4, first 2 shown]
	s_nop 1
	v_mov_b32_dpp v3, v2 row_bcast:15 row_mask:0xf bank_mask:0xf
	v_cndmask_b32_e64 v3, v3, 0, s[18:19]
	v_add_u32_e32 v2, v2, v3
	s_nop 1
	v_mov_b32_dpp v3, v2 row_bcast:31 row_mask:0xf bank_mask:0xf
	v_cndmask_b32_e64 v3, 0, v3, s[2:3]
	v_add_u32_e32 v2, v2, v3
	s_and_saveexec_b64 s[2:3], s[4:5]
	s_cbranch_execz .LBB379_69
; %bb.68:
	v_lshlrev_b32_e32 v3, 2, v51
	ds_write_b32 v3, v2
.LBB379_69:
	s_or_b64 exec, exec, s[2:3]
	v_cmp_gt_u32_e32 vcc, 4, v0
	s_waitcnt lgkmcnt(0)
	s_barrier
	s_and_saveexec_b64 s[2:3], vcc
	s_cbranch_execz .LBB379_71
; %bb.70:
	ds_read_b32 v3, v1
	v_and_b32_e32 v4, 3, v50
	v_cmp_ne_u32_e32 vcc, 0, v4
	s_waitcnt lgkmcnt(0)
	v_mov_b32_dpp v5, v3 row_shr:1 row_mask:0xf bank_mask:0xf
	v_cndmask_b32_e32 v5, 0, v5, vcc
	v_add_u32_e32 v3, v5, v3
	v_cmp_lt_u32_e32 vcc, 1, v4
	s_nop 0
	v_mov_b32_dpp v5, v3 row_shr:2 row_mask:0xf bank_mask:0xf
	v_cndmask_b32_e32 v4, 0, v5, vcc
	v_add_u32_e32 v3, v3, v4
	ds_write_b32 v1, v3
.LBB379_71:
	s_or_b64 exec, exec, s[2:3]
	v_cmp_lt_u32_e32 vcc, 63, v0
	v_mov_b32_e32 v4, 0
	v_mov_b32_e32 v3, 0
	s_waitcnt lgkmcnt(0)
	s_barrier
	s_and_saveexec_b64 s[2:3], vcc
	s_cbranch_execz .LBB379_73
; %bb.72:
	v_lshl_add_u32 v3, v51, 2, -4
	ds_read_b32 v3, v3
.LBB379_73:
	s_or_b64 exec, exec, s[2:3]
	v_add_u32_e32 v5, -1, v50
	v_and_b32_e32 v6, 64, v50
	v_cmp_lt_i32_e32 vcc, v5, v6
	v_cndmask_b32_e32 v5, v5, v50, vcc
	s_waitcnt lgkmcnt(0)
	v_add_u32_e32 v2, v3, v2
	v_lshlrev_b32_e32 v5, 2, v5
	ds_bpermute_b32 v2, v5, v2
	ds_read_b32 v18, v4 offset:12
	v_cmp_eq_u32_e32 vcc, 0, v0
	s_and_saveexec_b64 s[2:3], vcc
	s_cbranch_execz .LBB379_75
; %bb.74:
	v_mov_b32_e32 v4, 0
	v_mov_b32_e32 v19, 2
	s_waitcnt lgkmcnt(0)
	global_store_dwordx2 v4, v[18:19], s[34:35] offset:512
.LBB379_75:
	s_or_b64 exec, exec, s[2:3]
	v_cmp_eq_u32_e64 s[2:3], 0, v50
	s_waitcnt lgkmcnt(1)
	v_cndmask_b32_e64 v2, v2, v3, s[2:3]
	v_cndmask_b32_e64 v2, v2, 0, vcc
	v_add_u32_e32 v3, v2, v41
	v_add_u32_e32 v4, v3, v42
	;; [unrolled: 1-line block ×11, first 2 shown]
	v_mov_b32_e32 v19, 0
	v_add_u32_e32 v14, v13, v38
	s_waitcnt lgkmcnt(0)
	s_barrier
.LBB379_76:
	s_waitcnt lgkmcnt(0)
	v_add_u32_e32 v33, v18, v33
	v_sub_u32_e32 v2, v2, v19
	v_and_b32_e32 v42, 1, v37
	v_sub_u32_e32 v41, v33, v2
	v_cmp_eq_u32_e32 vcc, 1, v42
	v_cndmask_b32_e32 v2, v41, v2, vcc
	v_lshlrev_b32_e32 v2, 2, v2
	v_lshrrev_b32_e32 v17, 8, v37
	ds_write_b32 v2, v30
	v_sub_u32_e32 v2, v3, v19
	v_sub_u32_e32 v3, v33, v2
	v_and_b32_e32 v17, 1, v17
	v_add_u32_e32 v3, 1, v3
	v_cmp_eq_u32_e32 vcc, 1, v17
	v_cndmask_b32_e32 v2, v3, v2, vcc
	v_lshlrev_b32_e32 v2, 2, v2
	ds_write_b32 v2, v31
	v_sub_u32_e32 v2, v4, v19
	v_mov_b32_e32 v4, 1
	v_sub_u32_e32 v3, v33, v2
	v_and_b32_sdwa v17, v4, v37 dst_sel:DWORD dst_unused:UNUSED_PAD src0_sel:DWORD src1_sel:WORD_1
	v_add_u32_e32 v3, 2, v3
	v_cmp_eq_u32_e32 vcc, 1, v17
	v_cndmask_b32_e32 v2, v3, v2, vcc
	v_lshlrev_b32_e32 v2, 2, v2
	ds_write_b32 v2, v28
	v_sub_u32_e32 v2, v5, v19
	v_sub_u32_e32 v3, v33, v2
	v_and_b32_e32 v5, 1, v40
	v_add_u32_e32 v3, 3, v3
	v_cmp_eq_u32_e32 vcc, 1, v5
	v_cndmask_b32_e32 v2, v3, v2, vcc
	v_lshlrev_b32_e32 v2, 2, v2
	ds_write_b32 v2, v29
	v_sub_u32_e32 v2, v6, v19
	v_sub_u32_e32 v3, v33, v2
	v_and_b32_e32 v5, 1, v36
	v_add_u32_e32 v3, 4, v3
	v_cmp_eq_u32_e32 vcc, 1, v5
	v_cndmask_b32_e32 v2, v3, v2, vcc
	v_lshlrev_b32_e32 v2, 2, v2
	v_lshrrev_b32_e32 v16, 8, v36
	ds_write_b32 v2, v26
	v_sub_u32_e32 v2, v7, v19
	v_sub_u32_e32 v3, v33, v2
	v_and_b32_e32 v5, 1, v16
	v_add_u32_e32 v3, 5, v3
	v_cmp_eq_u32_e32 vcc, 1, v5
	v_cndmask_b32_e32 v2, v3, v2, vcc
	v_lshlrev_b32_e32 v2, 2, v2
	ds_write_b32 v2, v27
	v_sub_u32_e32 v2, v8, v19
	v_sub_u32_e32 v3, v33, v2
	v_and_b32_sdwa v5, v4, v36 dst_sel:DWORD dst_unused:UNUSED_PAD src0_sel:DWORD src1_sel:WORD_1
	v_add_u32_e32 v3, 6, v3
	v_cmp_eq_u32_e32 vcc, 1, v5
	v_cndmask_b32_e32 v2, v3, v2, vcc
	v_lshlrev_b32_e32 v2, 2, v2
	ds_write_b32 v2, v24
	v_sub_u32_e32 v2, v9, v19
	v_sub_u32_e32 v3, v33, v2
	v_and_b32_e32 v5, 1, v39
	v_add_u32_e32 v3, 7, v3
	v_cmp_eq_u32_e32 vcc, 1, v5
	v_cndmask_b32_e32 v2, v3, v2, vcc
	v_lshlrev_b32_e32 v2, 2, v2
	ds_write_b32 v2, v25
	v_sub_u32_e32 v2, v10, v19
	v_sub_u32_e32 v3, v33, v2
	v_and_b32_e32 v5, 1, v35
	v_add_u32_e32 v3, 8, v3
	v_cmp_eq_u32_e32 vcc, 1, v5
	v_cndmask_b32_e32 v2, v3, v2, vcc
	v_lshlrev_b32_e32 v2, 2, v2
	v_lshrrev_b32_e32 v15, 8, v35
	ds_write_b32 v2, v22
	v_sub_u32_e32 v2, v11, v19
	v_sub_u32_e32 v3, v33, v2
	v_and_b32_e32 v5, 1, v15
	v_add_u32_e32 v3, 9, v3
	v_cmp_eq_u32_e32 vcc, 1, v5
	v_cndmask_b32_e32 v2, v3, v2, vcc
	v_lshlrev_b32_e32 v2, 2, v2
	ds_write_b32 v2, v23
	v_sub_u32_e32 v2, v12, v19
	v_sub_u32_e32 v3, v33, v2
	v_and_b32_sdwa v4, v4, v35 dst_sel:DWORD dst_unused:UNUSED_PAD src0_sel:DWORD src1_sel:WORD_1
	v_add_u32_e32 v3, 10, v3
	v_cmp_eq_u32_e32 vcc, 1, v4
	v_cndmask_b32_e32 v2, v3, v2, vcc
	v_lshlrev_b32_e32 v2, 2, v2
	ds_write_b32 v2, v20
	v_sub_u32_e32 v2, v13, v19
	v_sub_u32_e32 v3, v33, v2
	v_and_b32_e32 v4, 1, v38
	v_add_u32_e32 v3, 11, v3
	v_cmp_eq_u32_e32 vcc, 1, v4
	v_cndmask_b32_e32 v2, v3, v2, vcc
	v_lshlrev_b32_e32 v2, 2, v2
	ds_write_b32 v2, v21
	v_sub_u32_e32 v2, v14, v19
	v_sub_u32_e32 v3, v33, v2
	v_and_b32_e32 v4, 1, v34
	v_add_u32_e32 v3, 12, v3
	v_cmp_eq_u32_e32 vcc, 1, v4
	v_cndmask_b32_e32 v2, v3, v2, vcc
	s_add_u32 s2, s28, s42
	v_lshlrev_b32_e32 v2, 2, v2
	s_addc_u32 s3, s29, 0
	ds_write_b32 v2, v32
	s_waitcnt lgkmcnt(0)
	s_barrier
	ds_read2st64_b32 v[12:13], v1 offset1:4
	ds_read2st64_b32 v[10:11], v1 offset0:8 offset1:12
	ds_read2st64_b32 v[8:9], v1 offset0:16 offset1:20
	;; [unrolled: 1-line block ×5, first 2 shown]
	ds_read_b32 v17, v1 offset:12288
	v_mov_b32_e32 v14, s31
	v_add_co_u32_e32 v1, vcc, s30, v19
	s_sub_u32 s2, s26, s2
	v_addc_co_u32_e32 v16, vcc, 0, v14, vcc
	s_subb_u32 s3, s27, s3
	v_mov_b32_e32 v14, s3
	v_add_co_u32_e32 v15, vcc, s2, v18
	v_addc_co_u32_e32 v14, vcc, 0, v14, vcc
	s_and_b64 vcc, exec, s[0:1]
	v_add_co_u32_e64 v19, s[0:1], v15, v1
	v_or_b32_e32 v32, 0x100, v0
	v_or_b32_e32 v31, 0x200, v0
	;; [unrolled: 1-line block ×12, first 2 shown]
	v_addc_co_u32_e64 v21, s[0:1], v14, v16, s[0:1]
	s_cbranch_vccnz .LBB379_130
; %bb.77:
	v_cmp_ge_u32_e32 vcc, v0, v18
                                        ; implicit-def: $vgpr14_vgpr15
	s_and_saveexec_b64 s[0:1], vcc
	s_xor_b64 s[0:1], exec, s[0:1]
; %bb.78:
	v_not_b32_e32 v14, v0
	v_ashrrev_i32_e32 v15, 31, v14
	v_add_co_u32_e32 v14, vcc, v19, v14
	v_addc_co_u32_e32 v15, vcc, v21, v15, vcc
; %bb.79:
	s_andn2_saveexec_b64 s[0:1], s[0:1]
; %bb.80:
	v_add_co_u32_e32 v14, vcc, v1, v0
	v_addc_co_u32_e32 v15, vcc, 0, v16, vcc
; %bb.81:
	s_or_b64 exec, exec, s[0:1]
	v_lshlrev_b64 v[14:15], 2, v[14:15]
	v_mov_b32_e32 v33, s25
	v_add_co_u32_e32 v14, vcc, s24, v14
	v_addc_co_u32_e32 v15, vcc, v33, v15, vcc
	v_cmp_ge_u32_e32 vcc, v32, v18
	s_waitcnt lgkmcnt(6)
	global_store_dword v[14:15], v12, off
                                        ; implicit-def: $vgpr14_vgpr15
	s_and_saveexec_b64 s[0:1], vcc
	s_xor_b64 s[0:1], exec, s[0:1]
; %bb.82:
	v_xor_b32_e32 v14, 0xfffffeff, v0
	v_ashrrev_i32_e32 v15, 31, v14
	v_add_co_u32_e32 v14, vcc, v19, v14
	v_addc_co_u32_e32 v15, vcc, v21, v15, vcc
; %bb.83:
	s_andn2_saveexec_b64 s[0:1], s[0:1]
; %bb.84:
	v_add_co_u32_e32 v14, vcc, v1, v32
	v_addc_co_u32_e32 v15, vcc, 0, v16, vcc
; %bb.85:
	s_or_b64 exec, exec, s[0:1]
	v_lshlrev_b64 v[14:15], 2, v[14:15]
	v_mov_b32_e32 v33, s25
	v_add_co_u32_e32 v14, vcc, s24, v14
	v_addc_co_u32_e32 v15, vcc, v33, v15, vcc
	v_cmp_ge_u32_e32 vcc, v31, v18
	global_store_dword v[14:15], v13, off
                                        ; implicit-def: $vgpr14_vgpr15
	s_and_saveexec_b64 s[0:1], vcc
	s_xor_b64 s[0:1], exec, s[0:1]
; %bb.86:
	v_xor_b32_e32 v14, 0xfffffdff, v0
	v_ashrrev_i32_e32 v15, 31, v14
	v_add_co_u32_e32 v14, vcc, v19, v14
	v_addc_co_u32_e32 v15, vcc, v21, v15, vcc
; %bb.87:
	s_andn2_saveexec_b64 s[0:1], s[0:1]
; %bb.88:
	v_add_co_u32_e32 v14, vcc, v1, v31
	v_addc_co_u32_e32 v15, vcc, 0, v16, vcc
; %bb.89:
	s_or_b64 exec, exec, s[0:1]
	v_lshlrev_b64 v[14:15], 2, v[14:15]
	v_mov_b32_e32 v33, s25
	v_add_co_u32_e32 v14, vcc, s24, v14
	v_addc_co_u32_e32 v15, vcc, v33, v15, vcc
	v_cmp_ge_u32_e32 vcc, v30, v18
	s_waitcnt lgkmcnt(5)
	global_store_dword v[14:15], v10, off
                                        ; implicit-def: $vgpr14_vgpr15
	s_and_saveexec_b64 s[0:1], vcc
	s_xor_b64 s[0:1], exec, s[0:1]
; %bb.90:
	v_xor_b32_e32 v14, 0xfffffcff, v0
	v_ashrrev_i32_e32 v15, 31, v14
	v_add_co_u32_e32 v14, vcc, v19, v14
	v_addc_co_u32_e32 v15, vcc, v21, v15, vcc
; %bb.91:
	s_andn2_saveexec_b64 s[0:1], s[0:1]
; %bb.92:
	v_add_co_u32_e32 v14, vcc, v1, v30
	v_addc_co_u32_e32 v15, vcc, 0, v16, vcc
; %bb.93:
	s_or_b64 exec, exec, s[0:1]
	v_lshlrev_b64 v[14:15], 2, v[14:15]
	v_mov_b32_e32 v33, s25
	v_add_co_u32_e32 v14, vcc, s24, v14
	v_addc_co_u32_e32 v15, vcc, v33, v15, vcc
	v_cmp_ge_u32_e32 vcc, v29, v18
	global_store_dword v[14:15], v11, off
                                        ; implicit-def: $vgpr14_vgpr15
	s_and_saveexec_b64 s[0:1], vcc
	s_xor_b64 s[0:1], exec, s[0:1]
; %bb.94:
	v_xor_b32_e32 v14, 0xfffffbff, v0
	;; [unrolled: 43-line block ×6, first 2 shown]
	v_ashrrev_i32_e32 v15, 31, v14
	v_add_co_u32_e32 v14, vcc, v19, v14
	v_addc_co_u32_e32 v15, vcc, v21, v15, vcc
; %bb.127:
	s_andn2_saveexec_b64 s[0:1], s[0:1]
; %bb.128:
	v_add_co_u32_e32 v14, vcc, v1, v20
	v_addc_co_u32_e32 v15, vcc, 0, v16, vcc
; %bb.129:
	s_or_b64 exec, exec, s[0:1]
	s_mov_b64 s[0:1], -1
	s_branch .LBB379_210
.LBB379_130:
	s_mov_b64 s[0:1], 0
                                        ; implicit-def: $vgpr14_vgpr15
	s_cbranch_execz .LBB379_210
; %bb.131:
	v_cmp_gt_u32_e32 vcc, s33, v0
	s_and_saveexec_b64 s[2:3], vcc
	s_cbranch_execz .LBB379_167
; %bb.132:
	v_cmp_ge_u32_e32 vcc, v0, v18
                                        ; implicit-def: $vgpr14_vgpr15
	s_and_saveexec_b64 s[4:5], vcc
	s_xor_b64 s[4:5], exec, s[4:5]
; %bb.133:
	v_not_b32_e32 v14, v0
	v_ashrrev_i32_e32 v15, 31, v14
	v_add_co_u32_e32 v14, vcc, v19, v14
	v_addc_co_u32_e32 v15, vcc, v21, v15, vcc
; %bb.134:
	s_andn2_saveexec_b64 s[4:5], s[4:5]
; %bb.135:
	v_add_co_u32_e32 v14, vcc, v1, v0
	v_addc_co_u32_e32 v15, vcc, 0, v16, vcc
; %bb.136:
	s_or_b64 exec, exec, s[4:5]
	v_lshlrev_b64 v[14:15], 2, v[14:15]
	v_mov_b32_e32 v33, s25
	v_add_co_u32_e32 v14, vcc, s24, v14
	v_addc_co_u32_e32 v15, vcc, v33, v15, vcc
	s_waitcnt lgkmcnt(6)
	global_store_dword v[14:15], v12, off
	s_or_b64 exec, exec, s[2:3]
	v_cmp_gt_u32_e32 vcc, s33, v32
	s_and_saveexec_b64 s[2:3], vcc
	s_cbranch_execnz .LBB379_168
.LBB379_137:
	s_or_b64 exec, exec, s[2:3]
	v_cmp_gt_u32_e32 vcc, s33, v31
	s_and_saveexec_b64 s[2:3], vcc
	s_cbranch_execz .LBB379_173
.LBB379_138:
	v_cmp_ge_u32_e32 vcc, v31, v18
                                        ; implicit-def: $vgpr12_vgpr13
	s_and_saveexec_b64 s[4:5], vcc
	s_xor_b64 s[4:5], exec, s[4:5]
	s_cbranch_execz .LBB379_140
; %bb.139:
	s_waitcnt lgkmcnt(6)
	v_xor_b32_e32 v12, 0xfffffdff, v0
	v_ashrrev_i32_e32 v13, 31, v12
	v_add_co_u32_e32 v12, vcc, v19, v12
	v_addc_co_u32_e32 v13, vcc, v21, v13, vcc
                                        ; implicit-def: $vgpr31
.LBB379_140:
	s_andn2_saveexec_b64 s[4:5], s[4:5]
	s_cbranch_execz .LBB379_142
; %bb.141:
	s_waitcnt lgkmcnt(6)
	v_add_co_u32_e32 v12, vcc, v1, v31
	v_addc_co_u32_e32 v13, vcc, 0, v16, vcc
.LBB379_142:
	s_or_b64 exec, exec, s[4:5]
	s_waitcnt lgkmcnt(6)
	v_lshlrev_b64 v[12:13], 2, v[12:13]
	v_mov_b32_e32 v14, s25
	v_add_co_u32_e32 v12, vcc, s24, v12
	v_addc_co_u32_e32 v13, vcc, v14, v13, vcc
	s_waitcnt lgkmcnt(5)
	global_store_dword v[12:13], v10, off
	s_or_b64 exec, exec, s[2:3]
	v_cmp_gt_u32_e32 vcc, s33, v30
	s_and_saveexec_b64 s[2:3], vcc
	s_cbranch_execnz .LBB379_174
.LBB379_143:
	s_or_b64 exec, exec, s[2:3]
	v_cmp_gt_u32_e32 vcc, s33, v29
	s_and_saveexec_b64 s[2:3], vcc
	s_cbranch_execz .LBB379_179
.LBB379_144:
	v_cmp_ge_u32_e32 vcc, v29, v18
                                        ; implicit-def: $vgpr10_vgpr11
	s_and_saveexec_b64 s[4:5], vcc
	s_xor_b64 s[4:5], exec, s[4:5]
	s_cbranch_execz .LBB379_146
; %bb.145:
	s_waitcnt lgkmcnt(5)
	v_xor_b32_e32 v10, 0xfffffbff, v0
	v_ashrrev_i32_e32 v11, 31, v10
	v_add_co_u32_e32 v10, vcc, v19, v10
	v_addc_co_u32_e32 v11, vcc, v21, v11, vcc
                                        ; implicit-def: $vgpr29
.LBB379_146:
	s_andn2_saveexec_b64 s[4:5], s[4:5]
	s_cbranch_execz .LBB379_148
; %bb.147:
	s_waitcnt lgkmcnt(5)
	v_add_co_u32_e32 v10, vcc, v1, v29
	v_addc_co_u32_e32 v11, vcc, 0, v16, vcc
.LBB379_148:
	s_or_b64 exec, exec, s[4:5]
	s_waitcnt lgkmcnt(5)
	v_lshlrev_b64 v[10:11], 2, v[10:11]
	v_mov_b32_e32 v12, s25
	v_add_co_u32_e32 v10, vcc, s24, v10
	v_addc_co_u32_e32 v11, vcc, v12, v11, vcc
	s_waitcnt lgkmcnt(4)
	global_store_dword v[10:11], v8, off
	s_or_b64 exec, exec, s[2:3]
	v_cmp_gt_u32_e32 vcc, s33, v28
	s_and_saveexec_b64 s[2:3], vcc
	s_cbranch_execnz .LBB379_180
.LBB379_149:
	s_or_b64 exec, exec, s[2:3]
	v_cmp_gt_u32_e32 vcc, s33, v27
	s_and_saveexec_b64 s[2:3], vcc
	s_cbranch_execz .LBB379_185
.LBB379_150:
	v_cmp_ge_u32_e32 vcc, v27, v18
                                        ; implicit-def: $vgpr8_vgpr9
	s_and_saveexec_b64 s[4:5], vcc
	s_xor_b64 s[4:5], exec, s[4:5]
	s_cbranch_execz .LBB379_152
; %bb.151:
	s_waitcnt lgkmcnt(4)
	v_xor_b32_e32 v8, 0xfffff9ff, v0
	v_ashrrev_i32_e32 v9, 31, v8
	v_add_co_u32_e32 v8, vcc, v19, v8
	v_addc_co_u32_e32 v9, vcc, v21, v9, vcc
                                        ; implicit-def: $vgpr27
.LBB379_152:
	s_andn2_saveexec_b64 s[4:5], s[4:5]
	s_cbranch_execz .LBB379_154
; %bb.153:
	s_waitcnt lgkmcnt(4)
	v_add_co_u32_e32 v8, vcc, v1, v27
	v_addc_co_u32_e32 v9, vcc, 0, v16, vcc
.LBB379_154:
	s_or_b64 exec, exec, s[4:5]
	s_waitcnt lgkmcnt(4)
	v_lshlrev_b64 v[8:9], 2, v[8:9]
	v_mov_b32_e32 v10, s25
	v_add_co_u32_e32 v8, vcc, s24, v8
	v_addc_co_u32_e32 v9, vcc, v10, v9, vcc
	s_waitcnt lgkmcnt(3)
	global_store_dword v[8:9], v6, off
	s_or_b64 exec, exec, s[2:3]
	v_cmp_gt_u32_e32 vcc, s33, v26
	s_and_saveexec_b64 s[2:3], vcc
	s_cbranch_execnz .LBB379_186
.LBB379_155:
	s_or_b64 exec, exec, s[2:3]
	v_cmp_gt_u32_e32 vcc, s33, v25
	s_and_saveexec_b64 s[2:3], vcc
	s_cbranch_execz .LBB379_191
.LBB379_156:
	v_cmp_ge_u32_e32 vcc, v25, v18
                                        ; implicit-def: $vgpr6_vgpr7
	s_and_saveexec_b64 s[4:5], vcc
	s_xor_b64 s[4:5], exec, s[4:5]
	s_cbranch_execz .LBB379_158
; %bb.157:
	s_waitcnt lgkmcnt(3)
	v_xor_b32_e32 v6, 0xfffff7ff, v0
	v_ashrrev_i32_e32 v7, 31, v6
	v_add_co_u32_e32 v6, vcc, v19, v6
	v_addc_co_u32_e32 v7, vcc, v21, v7, vcc
                                        ; implicit-def: $vgpr25
.LBB379_158:
	s_andn2_saveexec_b64 s[4:5], s[4:5]
	s_cbranch_execz .LBB379_160
; %bb.159:
	s_waitcnt lgkmcnt(3)
	v_add_co_u32_e32 v6, vcc, v1, v25
	v_addc_co_u32_e32 v7, vcc, 0, v16, vcc
.LBB379_160:
	s_or_b64 exec, exec, s[4:5]
	s_waitcnt lgkmcnt(3)
	v_lshlrev_b64 v[6:7], 2, v[6:7]
	v_mov_b32_e32 v8, s25
	v_add_co_u32_e32 v6, vcc, s24, v6
	v_addc_co_u32_e32 v7, vcc, v8, v7, vcc
	s_waitcnt lgkmcnt(2)
	global_store_dword v[6:7], v4, off
	s_or_b64 exec, exec, s[2:3]
	v_cmp_gt_u32_e32 vcc, s33, v24
	s_and_saveexec_b64 s[2:3], vcc
	s_cbranch_execnz .LBB379_192
.LBB379_161:
	s_or_b64 exec, exec, s[2:3]
	v_cmp_gt_u32_e32 vcc, s33, v23
	s_and_saveexec_b64 s[2:3], vcc
	s_cbranch_execz .LBB379_197
.LBB379_162:
	v_cmp_ge_u32_e32 vcc, v23, v18
                                        ; implicit-def: $vgpr4_vgpr5
	s_and_saveexec_b64 s[4:5], vcc
	s_xor_b64 s[4:5], exec, s[4:5]
	s_cbranch_execz .LBB379_164
; %bb.163:
	s_waitcnt lgkmcnt(2)
	v_xor_b32_e32 v4, 0xfffff5ff, v0
	v_ashrrev_i32_e32 v5, 31, v4
	v_add_co_u32_e32 v4, vcc, v19, v4
	v_addc_co_u32_e32 v5, vcc, v21, v5, vcc
                                        ; implicit-def: $vgpr23
.LBB379_164:
	s_andn2_saveexec_b64 s[4:5], s[4:5]
	s_cbranch_execz .LBB379_166
; %bb.165:
	s_waitcnt lgkmcnt(2)
	v_add_co_u32_e32 v4, vcc, v1, v23
	v_addc_co_u32_e32 v5, vcc, 0, v16, vcc
.LBB379_166:
	s_or_b64 exec, exec, s[4:5]
	s_waitcnt lgkmcnt(2)
	v_lshlrev_b64 v[4:5], 2, v[4:5]
	v_mov_b32_e32 v6, s25
	v_add_co_u32_e32 v4, vcc, s24, v4
	v_addc_co_u32_e32 v5, vcc, v6, v5, vcc
	s_waitcnt lgkmcnt(1)
	global_store_dword v[4:5], v2, off
	s_or_b64 exec, exec, s[2:3]
	v_cmp_gt_u32_e32 vcc, s33, v22
	s_and_saveexec_b64 s[2:3], vcc
	s_cbranch_execz .LBB379_203
	s_branch .LBB379_198
.LBB379_167:
	s_or_b64 exec, exec, s[2:3]
	v_cmp_gt_u32_e32 vcc, s33, v32
	s_and_saveexec_b64 s[2:3], vcc
	s_cbranch_execz .LBB379_137
.LBB379_168:
	v_cmp_ge_u32_e32 vcc, v32, v18
                                        ; implicit-def: $vgpr14_vgpr15
	s_and_saveexec_b64 s[4:5], vcc
	s_xor_b64 s[4:5], exec, s[4:5]
	s_cbranch_execz .LBB379_170
; %bb.169:
	s_waitcnt lgkmcnt(6)
	v_xor_b32_e32 v12, 0xfffffeff, v0
	v_ashrrev_i32_e32 v15, 31, v12
	v_add_co_u32_e32 v14, vcc, v19, v12
	v_addc_co_u32_e32 v15, vcc, v21, v15, vcc
                                        ; implicit-def: $vgpr32
.LBB379_170:
	s_andn2_saveexec_b64 s[4:5], s[4:5]
; %bb.171:
	v_add_co_u32_e32 v14, vcc, v1, v32
	v_addc_co_u32_e32 v15, vcc, 0, v16, vcc
; %bb.172:
	s_or_b64 exec, exec, s[4:5]
	v_lshlrev_b64 v[14:15], 2, v[14:15]
	s_waitcnt lgkmcnt(6)
	v_mov_b32_e32 v12, s25
	v_add_co_u32_e32 v14, vcc, s24, v14
	v_addc_co_u32_e32 v15, vcc, v12, v15, vcc
	global_store_dword v[14:15], v13, off
	s_or_b64 exec, exec, s[2:3]
	v_cmp_gt_u32_e32 vcc, s33, v31
	s_and_saveexec_b64 s[2:3], vcc
	s_cbranch_execnz .LBB379_138
.LBB379_173:
	s_or_b64 exec, exec, s[2:3]
	v_cmp_gt_u32_e32 vcc, s33, v30
	s_and_saveexec_b64 s[2:3], vcc
	s_cbranch_execz .LBB379_143
.LBB379_174:
	v_cmp_ge_u32_e32 vcc, v30, v18
                                        ; implicit-def: $vgpr12_vgpr13
	s_and_saveexec_b64 s[4:5], vcc
	s_xor_b64 s[4:5], exec, s[4:5]
	s_cbranch_execz .LBB379_176
; %bb.175:
	s_waitcnt lgkmcnt(5)
	v_xor_b32_e32 v10, 0xfffffcff, v0
	v_ashrrev_i32_e32 v13, 31, v10
	v_add_co_u32_e32 v12, vcc, v19, v10
	v_addc_co_u32_e32 v13, vcc, v21, v13, vcc
                                        ; implicit-def: $vgpr30
.LBB379_176:
	s_andn2_saveexec_b64 s[4:5], s[4:5]
	s_cbranch_execz .LBB379_178
; %bb.177:
	s_waitcnt lgkmcnt(6)
	v_add_co_u32_e32 v12, vcc, v1, v30
	v_addc_co_u32_e32 v13, vcc, 0, v16, vcc
.LBB379_178:
	s_or_b64 exec, exec, s[4:5]
	s_waitcnt lgkmcnt(6)
	v_lshlrev_b64 v[12:13], 2, v[12:13]
	s_waitcnt lgkmcnt(5)
	v_mov_b32_e32 v10, s25
	v_add_co_u32_e32 v12, vcc, s24, v12
	v_addc_co_u32_e32 v13, vcc, v10, v13, vcc
	global_store_dword v[12:13], v11, off
	s_or_b64 exec, exec, s[2:3]
	v_cmp_gt_u32_e32 vcc, s33, v29
	s_and_saveexec_b64 s[2:3], vcc
	s_cbranch_execnz .LBB379_144
.LBB379_179:
	s_or_b64 exec, exec, s[2:3]
	v_cmp_gt_u32_e32 vcc, s33, v28
	s_and_saveexec_b64 s[2:3], vcc
	s_cbranch_execz .LBB379_149
.LBB379_180:
	v_cmp_ge_u32_e32 vcc, v28, v18
                                        ; implicit-def: $vgpr10_vgpr11
	s_and_saveexec_b64 s[4:5], vcc
	s_xor_b64 s[4:5], exec, s[4:5]
	s_cbranch_execz .LBB379_182
; %bb.181:
	s_waitcnt lgkmcnt(4)
	v_xor_b32_e32 v8, 0xfffffaff, v0
	v_ashrrev_i32_e32 v11, 31, v8
	v_add_co_u32_e32 v10, vcc, v19, v8
	v_addc_co_u32_e32 v11, vcc, v21, v11, vcc
                                        ; implicit-def: $vgpr28
.LBB379_182:
	s_andn2_saveexec_b64 s[4:5], s[4:5]
	s_cbranch_execz .LBB379_184
; %bb.183:
	s_waitcnt lgkmcnt(5)
	v_add_co_u32_e32 v10, vcc, v1, v28
	v_addc_co_u32_e32 v11, vcc, 0, v16, vcc
.LBB379_184:
	s_or_b64 exec, exec, s[4:5]
	s_waitcnt lgkmcnt(5)
	v_lshlrev_b64 v[10:11], 2, v[10:11]
	s_waitcnt lgkmcnt(4)
	v_mov_b32_e32 v8, s25
	v_add_co_u32_e32 v10, vcc, s24, v10
	v_addc_co_u32_e32 v11, vcc, v8, v11, vcc
	global_store_dword v[10:11], v9, off
	s_or_b64 exec, exec, s[2:3]
	v_cmp_gt_u32_e32 vcc, s33, v27
	s_and_saveexec_b64 s[2:3], vcc
	s_cbranch_execnz .LBB379_150
.LBB379_185:
	s_or_b64 exec, exec, s[2:3]
	v_cmp_gt_u32_e32 vcc, s33, v26
	s_and_saveexec_b64 s[2:3], vcc
	s_cbranch_execz .LBB379_155
.LBB379_186:
	v_cmp_ge_u32_e32 vcc, v26, v18
                                        ; implicit-def: $vgpr8_vgpr9
	s_and_saveexec_b64 s[4:5], vcc
	s_xor_b64 s[4:5], exec, s[4:5]
	s_cbranch_execz .LBB379_188
; %bb.187:
	s_waitcnt lgkmcnt(3)
	v_xor_b32_e32 v6, 0xfffff8ff, v0
	v_ashrrev_i32_e32 v9, 31, v6
	v_add_co_u32_e32 v8, vcc, v19, v6
	v_addc_co_u32_e32 v9, vcc, v21, v9, vcc
                                        ; implicit-def: $vgpr26
.LBB379_188:
	s_andn2_saveexec_b64 s[4:5], s[4:5]
	s_cbranch_execz .LBB379_190
; %bb.189:
	s_waitcnt lgkmcnt(4)
	v_add_co_u32_e32 v8, vcc, v1, v26
	v_addc_co_u32_e32 v9, vcc, 0, v16, vcc
.LBB379_190:
	s_or_b64 exec, exec, s[4:5]
	s_waitcnt lgkmcnt(4)
	v_lshlrev_b64 v[8:9], 2, v[8:9]
	s_waitcnt lgkmcnt(3)
	v_mov_b32_e32 v6, s25
	v_add_co_u32_e32 v8, vcc, s24, v8
	v_addc_co_u32_e32 v9, vcc, v6, v9, vcc
	global_store_dword v[8:9], v7, off
	s_or_b64 exec, exec, s[2:3]
	v_cmp_gt_u32_e32 vcc, s33, v25
	s_and_saveexec_b64 s[2:3], vcc
	s_cbranch_execnz .LBB379_156
.LBB379_191:
	s_or_b64 exec, exec, s[2:3]
	v_cmp_gt_u32_e32 vcc, s33, v24
	s_and_saveexec_b64 s[2:3], vcc
	s_cbranch_execz .LBB379_161
.LBB379_192:
	v_cmp_ge_u32_e32 vcc, v24, v18
                                        ; implicit-def: $vgpr6_vgpr7
	s_and_saveexec_b64 s[4:5], vcc
	s_xor_b64 s[4:5], exec, s[4:5]
	s_cbranch_execz .LBB379_194
; %bb.193:
	s_waitcnt lgkmcnt(2)
	v_xor_b32_e32 v4, 0xfffff6ff, v0
	v_ashrrev_i32_e32 v7, 31, v4
	v_add_co_u32_e32 v6, vcc, v19, v4
	v_addc_co_u32_e32 v7, vcc, v21, v7, vcc
                                        ; implicit-def: $vgpr24
.LBB379_194:
	s_andn2_saveexec_b64 s[4:5], s[4:5]
	s_cbranch_execz .LBB379_196
; %bb.195:
	s_waitcnt lgkmcnt(3)
	v_add_co_u32_e32 v6, vcc, v1, v24
	v_addc_co_u32_e32 v7, vcc, 0, v16, vcc
.LBB379_196:
	s_or_b64 exec, exec, s[4:5]
	s_waitcnt lgkmcnt(3)
	v_lshlrev_b64 v[6:7], 2, v[6:7]
	s_waitcnt lgkmcnt(2)
	v_mov_b32_e32 v4, s25
	v_add_co_u32_e32 v6, vcc, s24, v6
	v_addc_co_u32_e32 v7, vcc, v4, v7, vcc
	global_store_dword v[6:7], v5, off
	s_or_b64 exec, exec, s[2:3]
	v_cmp_gt_u32_e32 vcc, s33, v23
	s_and_saveexec_b64 s[2:3], vcc
	s_cbranch_execnz .LBB379_162
.LBB379_197:
	s_or_b64 exec, exec, s[2:3]
	v_cmp_gt_u32_e32 vcc, s33, v22
	s_and_saveexec_b64 s[2:3], vcc
	s_cbranch_execz .LBB379_203
.LBB379_198:
	v_cmp_ge_u32_e32 vcc, v22, v18
                                        ; implicit-def: $vgpr4_vgpr5
	s_and_saveexec_b64 s[4:5], vcc
	s_xor_b64 s[4:5], exec, s[4:5]
	s_cbranch_execz .LBB379_200
; %bb.199:
	s_waitcnt lgkmcnt(1)
	v_xor_b32_e32 v2, 0xfffff4ff, v0
	v_ashrrev_i32_e32 v5, 31, v2
	v_add_co_u32_e32 v4, vcc, v19, v2
	v_addc_co_u32_e32 v5, vcc, v21, v5, vcc
                                        ; implicit-def: $vgpr22
.LBB379_200:
	s_andn2_saveexec_b64 s[4:5], s[4:5]
	s_cbranch_execz .LBB379_202
; %bb.201:
	s_waitcnt lgkmcnt(2)
	v_add_co_u32_e32 v4, vcc, v1, v22
	v_addc_co_u32_e32 v5, vcc, 0, v16, vcc
.LBB379_202:
	s_or_b64 exec, exec, s[4:5]
	s_waitcnt lgkmcnt(2)
	v_lshlrev_b64 v[4:5], 2, v[4:5]
	s_waitcnt lgkmcnt(1)
	v_mov_b32_e32 v2, s25
	v_add_co_u32_e32 v4, vcc, s24, v4
	v_addc_co_u32_e32 v5, vcc, v2, v5, vcc
	global_store_dword v[4:5], v3, off
.LBB379_203:
	s_or_b64 exec, exec, s[2:3]
	v_cmp_gt_u32_e32 vcc, s33, v20
                                        ; implicit-def: $vgpr14_vgpr15
	s_and_saveexec_b64 s[2:3], vcc
	s_cbranch_execz .LBB379_209
; %bb.204:
	v_cmp_ge_u32_e32 vcc, v20, v18
                                        ; implicit-def: $vgpr14_vgpr15
	s_and_saveexec_b64 s[4:5], vcc
	s_xor_b64 s[4:5], exec, s[4:5]
	s_cbranch_execz .LBB379_206
; %bb.205:
	s_waitcnt lgkmcnt(1)
	v_xor_b32_e32 v2, 0xfffff3ff, v0
	v_ashrrev_i32_e32 v3, 31, v2
	v_add_co_u32_e32 v14, vcc, v19, v2
	v_addc_co_u32_e32 v15, vcc, v21, v3, vcc
                                        ; implicit-def: $vgpr20
.LBB379_206:
	s_andn2_saveexec_b64 s[4:5], s[4:5]
; %bb.207:
	v_add_co_u32_e32 v14, vcc, v1, v20
	v_addc_co_u32_e32 v15, vcc, 0, v16, vcc
; %bb.208:
	s_or_b64 exec, exec, s[4:5]
	s_or_b64 s[0:1], s[0:1], exec
.LBB379_209:
	s_or_b64 exec, exec, s[2:3]
.LBB379_210:
	s_and_saveexec_b64 s[2:3], s[0:1]
	s_cbranch_execz .LBB379_212
; %bb.211:
	s_waitcnt lgkmcnt(1)
	v_lshlrev_b64 v[2:3], 2, v[14:15]
	v_mov_b32_e32 v4, s25
	v_add_co_u32_e32 v2, vcc, s24, v2
	v_addc_co_u32_e32 v3, vcc, v4, v3, vcc
	s_waitcnt lgkmcnt(0)
	global_store_dword v[2:3], v17, off
.LBB379_212:
	s_or_b64 exec, exec, s[2:3]
	v_cmp_eq_u32_e32 vcc, 0, v0
	s_and_b64 s[0:1], vcc, s[22:23]
	s_and_saveexec_b64 s[2:3], s[0:1]
	s_cbranch_execz .LBB379_214
; %bb.213:
	v_add_co_u32_e32 v0, vcc, v1, v18
	s_waitcnt lgkmcnt(1)
	v_mov_b32_e32 v2, 0
	v_addc_co_u32_e32 v1, vcc, 0, v16, vcc
	global_store_dwordx2 v2, v[0:1], s[20:21]
.LBB379_214:
	s_endpgm
	.section	.rodata,"a",@progbits
	.p2align	6, 0x0
	.amdhsa_kernel _ZN7rocprim17ROCPRIM_400000_NS6detail17trampoline_kernelINS0_13select_configILj256ELj13ELNS0_17block_load_methodE3ELS4_3ELS4_3ELNS0_20block_scan_algorithmE0ELj4294967295EEENS1_25partition_config_selectorILNS1_17partition_subalgoE3EjNS0_10empty_typeEbEEZZNS1_14partition_implILS8_3ELb0ES6_jNS0_17counting_iteratorIjlEEPS9_SE_NS0_5tupleIJPjSE_EEENSF_IJSE_SE_EEES9_SG_JZNS1_25segmented_radix_sort_implINS0_14default_configELb0EPKaPaPKlPlN2at6native12_GLOBAL__N_18offset_tEEE10hipError_tPvRmT1_PNSt15iterator_traitsISY_E10value_typeET2_T3_PNSZ_IS14_E10value_typeET4_jRbjT5_S1A_jjP12ihipStream_tbEUljE_EEESV_SW_SX_S14_S18_S1A_T6_T7_T9_mT8_S1C_bDpT10_ENKUlT_T0_E_clISt17integral_constantIbLb1EES1O_IbLb0EEEEDaS1K_S1L_EUlS1K_E_NS1_11comp_targetILNS1_3genE4ELNS1_11target_archE910ELNS1_3gpuE8ELNS1_3repE0EEENS1_30default_config_static_selectorELNS0_4arch9wavefront6targetE1EEEvSY_
		.amdhsa_group_segment_fixed_size 13324
		.amdhsa_private_segment_fixed_size 0
		.amdhsa_kernarg_size 144
		.amdhsa_user_sgpr_count 6
		.amdhsa_user_sgpr_private_segment_buffer 1
		.amdhsa_user_sgpr_dispatch_ptr 0
		.amdhsa_user_sgpr_queue_ptr 0
		.amdhsa_user_sgpr_kernarg_segment_ptr 1
		.amdhsa_user_sgpr_dispatch_id 0
		.amdhsa_user_sgpr_flat_scratch_init 0
		.amdhsa_user_sgpr_kernarg_preload_length 0
		.amdhsa_user_sgpr_kernarg_preload_offset 0
		.amdhsa_user_sgpr_private_segment_size 0
		.amdhsa_uses_dynamic_stack 0
		.amdhsa_system_sgpr_private_segment_wavefront_offset 0
		.amdhsa_system_sgpr_workgroup_id_x 1
		.amdhsa_system_sgpr_workgroup_id_y 0
		.amdhsa_system_sgpr_workgroup_id_z 0
		.amdhsa_system_sgpr_workgroup_info 0
		.amdhsa_system_vgpr_workitem_id 0
		.amdhsa_next_free_vgpr 61
		.amdhsa_next_free_sgpr 46
		.amdhsa_accum_offset 64
		.amdhsa_reserve_vcc 1
		.amdhsa_reserve_flat_scratch 0
		.amdhsa_float_round_mode_32 0
		.amdhsa_float_round_mode_16_64 0
		.amdhsa_float_denorm_mode_32 3
		.amdhsa_float_denorm_mode_16_64 3
		.amdhsa_dx10_clamp 1
		.amdhsa_ieee_mode 1
		.amdhsa_fp16_overflow 0
		.amdhsa_tg_split 0
		.amdhsa_exception_fp_ieee_invalid_op 0
		.amdhsa_exception_fp_denorm_src 0
		.amdhsa_exception_fp_ieee_div_zero 0
		.amdhsa_exception_fp_ieee_overflow 0
		.amdhsa_exception_fp_ieee_underflow 0
		.amdhsa_exception_fp_ieee_inexact 0
		.amdhsa_exception_int_div_zero 0
	.end_amdhsa_kernel
	.section	.text._ZN7rocprim17ROCPRIM_400000_NS6detail17trampoline_kernelINS0_13select_configILj256ELj13ELNS0_17block_load_methodE3ELS4_3ELS4_3ELNS0_20block_scan_algorithmE0ELj4294967295EEENS1_25partition_config_selectorILNS1_17partition_subalgoE3EjNS0_10empty_typeEbEEZZNS1_14partition_implILS8_3ELb0ES6_jNS0_17counting_iteratorIjlEEPS9_SE_NS0_5tupleIJPjSE_EEENSF_IJSE_SE_EEES9_SG_JZNS1_25segmented_radix_sort_implINS0_14default_configELb0EPKaPaPKlPlN2at6native12_GLOBAL__N_18offset_tEEE10hipError_tPvRmT1_PNSt15iterator_traitsISY_E10value_typeET2_T3_PNSZ_IS14_E10value_typeET4_jRbjT5_S1A_jjP12ihipStream_tbEUljE_EEESV_SW_SX_S14_S18_S1A_T6_T7_T9_mT8_S1C_bDpT10_ENKUlT_T0_E_clISt17integral_constantIbLb1EES1O_IbLb0EEEEDaS1K_S1L_EUlS1K_E_NS1_11comp_targetILNS1_3genE4ELNS1_11target_archE910ELNS1_3gpuE8ELNS1_3repE0EEENS1_30default_config_static_selectorELNS0_4arch9wavefront6targetE1EEEvSY_,"axG",@progbits,_ZN7rocprim17ROCPRIM_400000_NS6detail17trampoline_kernelINS0_13select_configILj256ELj13ELNS0_17block_load_methodE3ELS4_3ELS4_3ELNS0_20block_scan_algorithmE0ELj4294967295EEENS1_25partition_config_selectorILNS1_17partition_subalgoE3EjNS0_10empty_typeEbEEZZNS1_14partition_implILS8_3ELb0ES6_jNS0_17counting_iteratorIjlEEPS9_SE_NS0_5tupleIJPjSE_EEENSF_IJSE_SE_EEES9_SG_JZNS1_25segmented_radix_sort_implINS0_14default_configELb0EPKaPaPKlPlN2at6native12_GLOBAL__N_18offset_tEEE10hipError_tPvRmT1_PNSt15iterator_traitsISY_E10value_typeET2_T3_PNSZ_IS14_E10value_typeET4_jRbjT5_S1A_jjP12ihipStream_tbEUljE_EEESV_SW_SX_S14_S18_S1A_T6_T7_T9_mT8_S1C_bDpT10_ENKUlT_T0_E_clISt17integral_constantIbLb1EES1O_IbLb0EEEEDaS1K_S1L_EUlS1K_E_NS1_11comp_targetILNS1_3genE4ELNS1_11target_archE910ELNS1_3gpuE8ELNS1_3repE0EEENS1_30default_config_static_selectorELNS0_4arch9wavefront6targetE1EEEvSY_,comdat
.Lfunc_end379:
	.size	_ZN7rocprim17ROCPRIM_400000_NS6detail17trampoline_kernelINS0_13select_configILj256ELj13ELNS0_17block_load_methodE3ELS4_3ELS4_3ELNS0_20block_scan_algorithmE0ELj4294967295EEENS1_25partition_config_selectorILNS1_17partition_subalgoE3EjNS0_10empty_typeEbEEZZNS1_14partition_implILS8_3ELb0ES6_jNS0_17counting_iteratorIjlEEPS9_SE_NS0_5tupleIJPjSE_EEENSF_IJSE_SE_EEES9_SG_JZNS1_25segmented_radix_sort_implINS0_14default_configELb0EPKaPaPKlPlN2at6native12_GLOBAL__N_18offset_tEEE10hipError_tPvRmT1_PNSt15iterator_traitsISY_E10value_typeET2_T3_PNSZ_IS14_E10value_typeET4_jRbjT5_S1A_jjP12ihipStream_tbEUljE_EEESV_SW_SX_S14_S18_S1A_T6_T7_T9_mT8_S1C_bDpT10_ENKUlT_T0_E_clISt17integral_constantIbLb1EES1O_IbLb0EEEEDaS1K_S1L_EUlS1K_E_NS1_11comp_targetILNS1_3genE4ELNS1_11target_archE910ELNS1_3gpuE8ELNS1_3repE0EEENS1_30default_config_static_selectorELNS0_4arch9wavefront6targetE1EEEvSY_, .Lfunc_end379-_ZN7rocprim17ROCPRIM_400000_NS6detail17trampoline_kernelINS0_13select_configILj256ELj13ELNS0_17block_load_methodE3ELS4_3ELS4_3ELNS0_20block_scan_algorithmE0ELj4294967295EEENS1_25partition_config_selectorILNS1_17partition_subalgoE3EjNS0_10empty_typeEbEEZZNS1_14partition_implILS8_3ELb0ES6_jNS0_17counting_iteratorIjlEEPS9_SE_NS0_5tupleIJPjSE_EEENSF_IJSE_SE_EEES9_SG_JZNS1_25segmented_radix_sort_implINS0_14default_configELb0EPKaPaPKlPlN2at6native12_GLOBAL__N_18offset_tEEE10hipError_tPvRmT1_PNSt15iterator_traitsISY_E10value_typeET2_T3_PNSZ_IS14_E10value_typeET4_jRbjT5_S1A_jjP12ihipStream_tbEUljE_EEESV_SW_SX_S14_S18_S1A_T6_T7_T9_mT8_S1C_bDpT10_ENKUlT_T0_E_clISt17integral_constantIbLb1EES1O_IbLb0EEEEDaS1K_S1L_EUlS1K_E_NS1_11comp_targetILNS1_3genE4ELNS1_11target_archE910ELNS1_3gpuE8ELNS1_3repE0EEENS1_30default_config_static_selectorELNS0_4arch9wavefront6targetE1EEEvSY_
                                        ; -- End function
	.section	.AMDGPU.csdata,"",@progbits
; Kernel info:
; codeLenInByte = 7756
; NumSgprs: 50
; NumVgprs: 61
; NumAgprs: 0
; TotalNumVgprs: 61
; ScratchSize: 0
; MemoryBound: 0
; FloatMode: 240
; IeeeMode: 1
; LDSByteSize: 13324 bytes/workgroup (compile time only)
; SGPRBlocks: 6
; VGPRBlocks: 7
; NumSGPRsForWavesPerEU: 50
; NumVGPRsForWavesPerEU: 61
; AccumOffset: 64
; Occupancy: 4
; WaveLimiterHint : 0
; COMPUTE_PGM_RSRC2:SCRATCH_EN: 0
; COMPUTE_PGM_RSRC2:USER_SGPR: 6
; COMPUTE_PGM_RSRC2:TRAP_HANDLER: 0
; COMPUTE_PGM_RSRC2:TGID_X_EN: 1
; COMPUTE_PGM_RSRC2:TGID_Y_EN: 0
; COMPUTE_PGM_RSRC2:TGID_Z_EN: 0
; COMPUTE_PGM_RSRC2:TIDIG_COMP_CNT: 0
; COMPUTE_PGM_RSRC3_GFX90A:ACCUM_OFFSET: 15
; COMPUTE_PGM_RSRC3_GFX90A:TG_SPLIT: 0
	.section	.text._ZN7rocprim17ROCPRIM_400000_NS6detail17trampoline_kernelINS0_13select_configILj256ELj13ELNS0_17block_load_methodE3ELS4_3ELS4_3ELNS0_20block_scan_algorithmE0ELj4294967295EEENS1_25partition_config_selectorILNS1_17partition_subalgoE3EjNS0_10empty_typeEbEEZZNS1_14partition_implILS8_3ELb0ES6_jNS0_17counting_iteratorIjlEEPS9_SE_NS0_5tupleIJPjSE_EEENSF_IJSE_SE_EEES9_SG_JZNS1_25segmented_radix_sort_implINS0_14default_configELb0EPKaPaPKlPlN2at6native12_GLOBAL__N_18offset_tEEE10hipError_tPvRmT1_PNSt15iterator_traitsISY_E10value_typeET2_T3_PNSZ_IS14_E10value_typeET4_jRbjT5_S1A_jjP12ihipStream_tbEUljE_EEESV_SW_SX_S14_S18_S1A_T6_T7_T9_mT8_S1C_bDpT10_ENKUlT_T0_E_clISt17integral_constantIbLb1EES1O_IbLb0EEEEDaS1K_S1L_EUlS1K_E_NS1_11comp_targetILNS1_3genE3ELNS1_11target_archE908ELNS1_3gpuE7ELNS1_3repE0EEENS1_30default_config_static_selectorELNS0_4arch9wavefront6targetE1EEEvSY_,"axG",@progbits,_ZN7rocprim17ROCPRIM_400000_NS6detail17trampoline_kernelINS0_13select_configILj256ELj13ELNS0_17block_load_methodE3ELS4_3ELS4_3ELNS0_20block_scan_algorithmE0ELj4294967295EEENS1_25partition_config_selectorILNS1_17partition_subalgoE3EjNS0_10empty_typeEbEEZZNS1_14partition_implILS8_3ELb0ES6_jNS0_17counting_iteratorIjlEEPS9_SE_NS0_5tupleIJPjSE_EEENSF_IJSE_SE_EEES9_SG_JZNS1_25segmented_radix_sort_implINS0_14default_configELb0EPKaPaPKlPlN2at6native12_GLOBAL__N_18offset_tEEE10hipError_tPvRmT1_PNSt15iterator_traitsISY_E10value_typeET2_T3_PNSZ_IS14_E10value_typeET4_jRbjT5_S1A_jjP12ihipStream_tbEUljE_EEESV_SW_SX_S14_S18_S1A_T6_T7_T9_mT8_S1C_bDpT10_ENKUlT_T0_E_clISt17integral_constantIbLb1EES1O_IbLb0EEEEDaS1K_S1L_EUlS1K_E_NS1_11comp_targetILNS1_3genE3ELNS1_11target_archE908ELNS1_3gpuE7ELNS1_3repE0EEENS1_30default_config_static_selectorELNS0_4arch9wavefront6targetE1EEEvSY_,comdat
	.globl	_ZN7rocprim17ROCPRIM_400000_NS6detail17trampoline_kernelINS0_13select_configILj256ELj13ELNS0_17block_load_methodE3ELS4_3ELS4_3ELNS0_20block_scan_algorithmE0ELj4294967295EEENS1_25partition_config_selectorILNS1_17partition_subalgoE3EjNS0_10empty_typeEbEEZZNS1_14partition_implILS8_3ELb0ES6_jNS0_17counting_iteratorIjlEEPS9_SE_NS0_5tupleIJPjSE_EEENSF_IJSE_SE_EEES9_SG_JZNS1_25segmented_radix_sort_implINS0_14default_configELb0EPKaPaPKlPlN2at6native12_GLOBAL__N_18offset_tEEE10hipError_tPvRmT1_PNSt15iterator_traitsISY_E10value_typeET2_T3_PNSZ_IS14_E10value_typeET4_jRbjT5_S1A_jjP12ihipStream_tbEUljE_EEESV_SW_SX_S14_S18_S1A_T6_T7_T9_mT8_S1C_bDpT10_ENKUlT_T0_E_clISt17integral_constantIbLb1EES1O_IbLb0EEEEDaS1K_S1L_EUlS1K_E_NS1_11comp_targetILNS1_3genE3ELNS1_11target_archE908ELNS1_3gpuE7ELNS1_3repE0EEENS1_30default_config_static_selectorELNS0_4arch9wavefront6targetE1EEEvSY_ ; -- Begin function _ZN7rocprim17ROCPRIM_400000_NS6detail17trampoline_kernelINS0_13select_configILj256ELj13ELNS0_17block_load_methodE3ELS4_3ELS4_3ELNS0_20block_scan_algorithmE0ELj4294967295EEENS1_25partition_config_selectorILNS1_17partition_subalgoE3EjNS0_10empty_typeEbEEZZNS1_14partition_implILS8_3ELb0ES6_jNS0_17counting_iteratorIjlEEPS9_SE_NS0_5tupleIJPjSE_EEENSF_IJSE_SE_EEES9_SG_JZNS1_25segmented_radix_sort_implINS0_14default_configELb0EPKaPaPKlPlN2at6native12_GLOBAL__N_18offset_tEEE10hipError_tPvRmT1_PNSt15iterator_traitsISY_E10value_typeET2_T3_PNSZ_IS14_E10value_typeET4_jRbjT5_S1A_jjP12ihipStream_tbEUljE_EEESV_SW_SX_S14_S18_S1A_T6_T7_T9_mT8_S1C_bDpT10_ENKUlT_T0_E_clISt17integral_constantIbLb1EES1O_IbLb0EEEEDaS1K_S1L_EUlS1K_E_NS1_11comp_targetILNS1_3genE3ELNS1_11target_archE908ELNS1_3gpuE7ELNS1_3repE0EEENS1_30default_config_static_selectorELNS0_4arch9wavefront6targetE1EEEvSY_
	.p2align	8
	.type	_ZN7rocprim17ROCPRIM_400000_NS6detail17trampoline_kernelINS0_13select_configILj256ELj13ELNS0_17block_load_methodE3ELS4_3ELS4_3ELNS0_20block_scan_algorithmE0ELj4294967295EEENS1_25partition_config_selectorILNS1_17partition_subalgoE3EjNS0_10empty_typeEbEEZZNS1_14partition_implILS8_3ELb0ES6_jNS0_17counting_iteratorIjlEEPS9_SE_NS0_5tupleIJPjSE_EEENSF_IJSE_SE_EEES9_SG_JZNS1_25segmented_radix_sort_implINS0_14default_configELb0EPKaPaPKlPlN2at6native12_GLOBAL__N_18offset_tEEE10hipError_tPvRmT1_PNSt15iterator_traitsISY_E10value_typeET2_T3_PNSZ_IS14_E10value_typeET4_jRbjT5_S1A_jjP12ihipStream_tbEUljE_EEESV_SW_SX_S14_S18_S1A_T6_T7_T9_mT8_S1C_bDpT10_ENKUlT_T0_E_clISt17integral_constantIbLb1EES1O_IbLb0EEEEDaS1K_S1L_EUlS1K_E_NS1_11comp_targetILNS1_3genE3ELNS1_11target_archE908ELNS1_3gpuE7ELNS1_3repE0EEENS1_30default_config_static_selectorELNS0_4arch9wavefront6targetE1EEEvSY_,@function
_ZN7rocprim17ROCPRIM_400000_NS6detail17trampoline_kernelINS0_13select_configILj256ELj13ELNS0_17block_load_methodE3ELS4_3ELS4_3ELNS0_20block_scan_algorithmE0ELj4294967295EEENS1_25partition_config_selectorILNS1_17partition_subalgoE3EjNS0_10empty_typeEbEEZZNS1_14partition_implILS8_3ELb0ES6_jNS0_17counting_iteratorIjlEEPS9_SE_NS0_5tupleIJPjSE_EEENSF_IJSE_SE_EEES9_SG_JZNS1_25segmented_radix_sort_implINS0_14default_configELb0EPKaPaPKlPlN2at6native12_GLOBAL__N_18offset_tEEE10hipError_tPvRmT1_PNSt15iterator_traitsISY_E10value_typeET2_T3_PNSZ_IS14_E10value_typeET4_jRbjT5_S1A_jjP12ihipStream_tbEUljE_EEESV_SW_SX_S14_S18_S1A_T6_T7_T9_mT8_S1C_bDpT10_ENKUlT_T0_E_clISt17integral_constantIbLb1EES1O_IbLb0EEEEDaS1K_S1L_EUlS1K_E_NS1_11comp_targetILNS1_3genE3ELNS1_11target_archE908ELNS1_3gpuE7ELNS1_3repE0EEENS1_30default_config_static_selectorELNS0_4arch9wavefront6targetE1EEEvSY_: ; @_ZN7rocprim17ROCPRIM_400000_NS6detail17trampoline_kernelINS0_13select_configILj256ELj13ELNS0_17block_load_methodE3ELS4_3ELS4_3ELNS0_20block_scan_algorithmE0ELj4294967295EEENS1_25partition_config_selectorILNS1_17partition_subalgoE3EjNS0_10empty_typeEbEEZZNS1_14partition_implILS8_3ELb0ES6_jNS0_17counting_iteratorIjlEEPS9_SE_NS0_5tupleIJPjSE_EEENSF_IJSE_SE_EEES9_SG_JZNS1_25segmented_radix_sort_implINS0_14default_configELb0EPKaPaPKlPlN2at6native12_GLOBAL__N_18offset_tEEE10hipError_tPvRmT1_PNSt15iterator_traitsISY_E10value_typeET2_T3_PNSZ_IS14_E10value_typeET4_jRbjT5_S1A_jjP12ihipStream_tbEUljE_EEESV_SW_SX_S14_S18_S1A_T6_T7_T9_mT8_S1C_bDpT10_ENKUlT_T0_E_clISt17integral_constantIbLb1EES1O_IbLb0EEEEDaS1K_S1L_EUlS1K_E_NS1_11comp_targetILNS1_3genE3ELNS1_11target_archE908ELNS1_3gpuE7ELNS1_3repE0EEENS1_30default_config_static_selectorELNS0_4arch9wavefront6targetE1EEEvSY_
; %bb.0:
	.section	.rodata,"a",@progbits
	.p2align	6, 0x0
	.amdhsa_kernel _ZN7rocprim17ROCPRIM_400000_NS6detail17trampoline_kernelINS0_13select_configILj256ELj13ELNS0_17block_load_methodE3ELS4_3ELS4_3ELNS0_20block_scan_algorithmE0ELj4294967295EEENS1_25partition_config_selectorILNS1_17partition_subalgoE3EjNS0_10empty_typeEbEEZZNS1_14partition_implILS8_3ELb0ES6_jNS0_17counting_iteratorIjlEEPS9_SE_NS0_5tupleIJPjSE_EEENSF_IJSE_SE_EEES9_SG_JZNS1_25segmented_radix_sort_implINS0_14default_configELb0EPKaPaPKlPlN2at6native12_GLOBAL__N_18offset_tEEE10hipError_tPvRmT1_PNSt15iterator_traitsISY_E10value_typeET2_T3_PNSZ_IS14_E10value_typeET4_jRbjT5_S1A_jjP12ihipStream_tbEUljE_EEESV_SW_SX_S14_S18_S1A_T6_T7_T9_mT8_S1C_bDpT10_ENKUlT_T0_E_clISt17integral_constantIbLb1EES1O_IbLb0EEEEDaS1K_S1L_EUlS1K_E_NS1_11comp_targetILNS1_3genE3ELNS1_11target_archE908ELNS1_3gpuE7ELNS1_3repE0EEENS1_30default_config_static_selectorELNS0_4arch9wavefront6targetE1EEEvSY_
		.amdhsa_group_segment_fixed_size 0
		.amdhsa_private_segment_fixed_size 0
		.amdhsa_kernarg_size 144
		.amdhsa_user_sgpr_count 6
		.amdhsa_user_sgpr_private_segment_buffer 1
		.amdhsa_user_sgpr_dispatch_ptr 0
		.amdhsa_user_sgpr_queue_ptr 0
		.amdhsa_user_sgpr_kernarg_segment_ptr 1
		.amdhsa_user_sgpr_dispatch_id 0
		.amdhsa_user_sgpr_flat_scratch_init 0
		.amdhsa_user_sgpr_kernarg_preload_length 0
		.amdhsa_user_sgpr_kernarg_preload_offset 0
		.amdhsa_user_sgpr_private_segment_size 0
		.amdhsa_uses_dynamic_stack 0
		.amdhsa_system_sgpr_private_segment_wavefront_offset 0
		.amdhsa_system_sgpr_workgroup_id_x 1
		.amdhsa_system_sgpr_workgroup_id_y 0
		.amdhsa_system_sgpr_workgroup_id_z 0
		.amdhsa_system_sgpr_workgroup_info 0
		.amdhsa_system_vgpr_workitem_id 0
		.amdhsa_next_free_vgpr 1
		.amdhsa_next_free_sgpr 0
		.amdhsa_accum_offset 4
		.amdhsa_reserve_vcc 0
		.amdhsa_reserve_flat_scratch 0
		.amdhsa_float_round_mode_32 0
		.amdhsa_float_round_mode_16_64 0
		.amdhsa_float_denorm_mode_32 3
		.amdhsa_float_denorm_mode_16_64 3
		.amdhsa_dx10_clamp 1
		.amdhsa_ieee_mode 1
		.amdhsa_fp16_overflow 0
		.amdhsa_tg_split 0
		.amdhsa_exception_fp_ieee_invalid_op 0
		.amdhsa_exception_fp_denorm_src 0
		.amdhsa_exception_fp_ieee_div_zero 0
		.amdhsa_exception_fp_ieee_overflow 0
		.amdhsa_exception_fp_ieee_underflow 0
		.amdhsa_exception_fp_ieee_inexact 0
		.amdhsa_exception_int_div_zero 0
	.end_amdhsa_kernel
	.section	.text._ZN7rocprim17ROCPRIM_400000_NS6detail17trampoline_kernelINS0_13select_configILj256ELj13ELNS0_17block_load_methodE3ELS4_3ELS4_3ELNS0_20block_scan_algorithmE0ELj4294967295EEENS1_25partition_config_selectorILNS1_17partition_subalgoE3EjNS0_10empty_typeEbEEZZNS1_14partition_implILS8_3ELb0ES6_jNS0_17counting_iteratorIjlEEPS9_SE_NS0_5tupleIJPjSE_EEENSF_IJSE_SE_EEES9_SG_JZNS1_25segmented_radix_sort_implINS0_14default_configELb0EPKaPaPKlPlN2at6native12_GLOBAL__N_18offset_tEEE10hipError_tPvRmT1_PNSt15iterator_traitsISY_E10value_typeET2_T3_PNSZ_IS14_E10value_typeET4_jRbjT5_S1A_jjP12ihipStream_tbEUljE_EEESV_SW_SX_S14_S18_S1A_T6_T7_T9_mT8_S1C_bDpT10_ENKUlT_T0_E_clISt17integral_constantIbLb1EES1O_IbLb0EEEEDaS1K_S1L_EUlS1K_E_NS1_11comp_targetILNS1_3genE3ELNS1_11target_archE908ELNS1_3gpuE7ELNS1_3repE0EEENS1_30default_config_static_selectorELNS0_4arch9wavefront6targetE1EEEvSY_,"axG",@progbits,_ZN7rocprim17ROCPRIM_400000_NS6detail17trampoline_kernelINS0_13select_configILj256ELj13ELNS0_17block_load_methodE3ELS4_3ELS4_3ELNS0_20block_scan_algorithmE0ELj4294967295EEENS1_25partition_config_selectorILNS1_17partition_subalgoE3EjNS0_10empty_typeEbEEZZNS1_14partition_implILS8_3ELb0ES6_jNS0_17counting_iteratorIjlEEPS9_SE_NS0_5tupleIJPjSE_EEENSF_IJSE_SE_EEES9_SG_JZNS1_25segmented_radix_sort_implINS0_14default_configELb0EPKaPaPKlPlN2at6native12_GLOBAL__N_18offset_tEEE10hipError_tPvRmT1_PNSt15iterator_traitsISY_E10value_typeET2_T3_PNSZ_IS14_E10value_typeET4_jRbjT5_S1A_jjP12ihipStream_tbEUljE_EEESV_SW_SX_S14_S18_S1A_T6_T7_T9_mT8_S1C_bDpT10_ENKUlT_T0_E_clISt17integral_constantIbLb1EES1O_IbLb0EEEEDaS1K_S1L_EUlS1K_E_NS1_11comp_targetILNS1_3genE3ELNS1_11target_archE908ELNS1_3gpuE7ELNS1_3repE0EEENS1_30default_config_static_selectorELNS0_4arch9wavefront6targetE1EEEvSY_,comdat
.Lfunc_end380:
	.size	_ZN7rocprim17ROCPRIM_400000_NS6detail17trampoline_kernelINS0_13select_configILj256ELj13ELNS0_17block_load_methodE3ELS4_3ELS4_3ELNS0_20block_scan_algorithmE0ELj4294967295EEENS1_25partition_config_selectorILNS1_17partition_subalgoE3EjNS0_10empty_typeEbEEZZNS1_14partition_implILS8_3ELb0ES6_jNS0_17counting_iteratorIjlEEPS9_SE_NS0_5tupleIJPjSE_EEENSF_IJSE_SE_EEES9_SG_JZNS1_25segmented_radix_sort_implINS0_14default_configELb0EPKaPaPKlPlN2at6native12_GLOBAL__N_18offset_tEEE10hipError_tPvRmT1_PNSt15iterator_traitsISY_E10value_typeET2_T3_PNSZ_IS14_E10value_typeET4_jRbjT5_S1A_jjP12ihipStream_tbEUljE_EEESV_SW_SX_S14_S18_S1A_T6_T7_T9_mT8_S1C_bDpT10_ENKUlT_T0_E_clISt17integral_constantIbLb1EES1O_IbLb0EEEEDaS1K_S1L_EUlS1K_E_NS1_11comp_targetILNS1_3genE3ELNS1_11target_archE908ELNS1_3gpuE7ELNS1_3repE0EEENS1_30default_config_static_selectorELNS0_4arch9wavefront6targetE1EEEvSY_, .Lfunc_end380-_ZN7rocprim17ROCPRIM_400000_NS6detail17trampoline_kernelINS0_13select_configILj256ELj13ELNS0_17block_load_methodE3ELS4_3ELS4_3ELNS0_20block_scan_algorithmE0ELj4294967295EEENS1_25partition_config_selectorILNS1_17partition_subalgoE3EjNS0_10empty_typeEbEEZZNS1_14partition_implILS8_3ELb0ES6_jNS0_17counting_iteratorIjlEEPS9_SE_NS0_5tupleIJPjSE_EEENSF_IJSE_SE_EEES9_SG_JZNS1_25segmented_radix_sort_implINS0_14default_configELb0EPKaPaPKlPlN2at6native12_GLOBAL__N_18offset_tEEE10hipError_tPvRmT1_PNSt15iterator_traitsISY_E10value_typeET2_T3_PNSZ_IS14_E10value_typeET4_jRbjT5_S1A_jjP12ihipStream_tbEUljE_EEESV_SW_SX_S14_S18_S1A_T6_T7_T9_mT8_S1C_bDpT10_ENKUlT_T0_E_clISt17integral_constantIbLb1EES1O_IbLb0EEEEDaS1K_S1L_EUlS1K_E_NS1_11comp_targetILNS1_3genE3ELNS1_11target_archE908ELNS1_3gpuE7ELNS1_3repE0EEENS1_30default_config_static_selectorELNS0_4arch9wavefront6targetE1EEEvSY_
                                        ; -- End function
	.section	.AMDGPU.csdata,"",@progbits
; Kernel info:
; codeLenInByte = 0
; NumSgprs: 4
; NumVgprs: 0
; NumAgprs: 0
; TotalNumVgprs: 0
; ScratchSize: 0
; MemoryBound: 0
; FloatMode: 240
; IeeeMode: 1
; LDSByteSize: 0 bytes/workgroup (compile time only)
; SGPRBlocks: 0
; VGPRBlocks: 0
; NumSGPRsForWavesPerEU: 4
; NumVGPRsForWavesPerEU: 1
; AccumOffset: 4
; Occupancy: 8
; WaveLimiterHint : 0
; COMPUTE_PGM_RSRC2:SCRATCH_EN: 0
; COMPUTE_PGM_RSRC2:USER_SGPR: 6
; COMPUTE_PGM_RSRC2:TRAP_HANDLER: 0
; COMPUTE_PGM_RSRC2:TGID_X_EN: 1
; COMPUTE_PGM_RSRC2:TGID_Y_EN: 0
; COMPUTE_PGM_RSRC2:TGID_Z_EN: 0
; COMPUTE_PGM_RSRC2:TIDIG_COMP_CNT: 0
; COMPUTE_PGM_RSRC3_GFX90A:ACCUM_OFFSET: 0
; COMPUTE_PGM_RSRC3_GFX90A:TG_SPLIT: 0
	.section	.text._ZN7rocprim17ROCPRIM_400000_NS6detail17trampoline_kernelINS0_13select_configILj256ELj13ELNS0_17block_load_methodE3ELS4_3ELS4_3ELNS0_20block_scan_algorithmE0ELj4294967295EEENS1_25partition_config_selectorILNS1_17partition_subalgoE3EjNS0_10empty_typeEbEEZZNS1_14partition_implILS8_3ELb0ES6_jNS0_17counting_iteratorIjlEEPS9_SE_NS0_5tupleIJPjSE_EEENSF_IJSE_SE_EEES9_SG_JZNS1_25segmented_radix_sort_implINS0_14default_configELb0EPKaPaPKlPlN2at6native12_GLOBAL__N_18offset_tEEE10hipError_tPvRmT1_PNSt15iterator_traitsISY_E10value_typeET2_T3_PNSZ_IS14_E10value_typeET4_jRbjT5_S1A_jjP12ihipStream_tbEUljE_EEESV_SW_SX_S14_S18_S1A_T6_T7_T9_mT8_S1C_bDpT10_ENKUlT_T0_E_clISt17integral_constantIbLb1EES1O_IbLb0EEEEDaS1K_S1L_EUlS1K_E_NS1_11comp_targetILNS1_3genE2ELNS1_11target_archE906ELNS1_3gpuE6ELNS1_3repE0EEENS1_30default_config_static_selectorELNS0_4arch9wavefront6targetE1EEEvSY_,"axG",@progbits,_ZN7rocprim17ROCPRIM_400000_NS6detail17trampoline_kernelINS0_13select_configILj256ELj13ELNS0_17block_load_methodE3ELS4_3ELS4_3ELNS0_20block_scan_algorithmE0ELj4294967295EEENS1_25partition_config_selectorILNS1_17partition_subalgoE3EjNS0_10empty_typeEbEEZZNS1_14partition_implILS8_3ELb0ES6_jNS0_17counting_iteratorIjlEEPS9_SE_NS0_5tupleIJPjSE_EEENSF_IJSE_SE_EEES9_SG_JZNS1_25segmented_radix_sort_implINS0_14default_configELb0EPKaPaPKlPlN2at6native12_GLOBAL__N_18offset_tEEE10hipError_tPvRmT1_PNSt15iterator_traitsISY_E10value_typeET2_T3_PNSZ_IS14_E10value_typeET4_jRbjT5_S1A_jjP12ihipStream_tbEUljE_EEESV_SW_SX_S14_S18_S1A_T6_T7_T9_mT8_S1C_bDpT10_ENKUlT_T0_E_clISt17integral_constantIbLb1EES1O_IbLb0EEEEDaS1K_S1L_EUlS1K_E_NS1_11comp_targetILNS1_3genE2ELNS1_11target_archE906ELNS1_3gpuE6ELNS1_3repE0EEENS1_30default_config_static_selectorELNS0_4arch9wavefront6targetE1EEEvSY_,comdat
	.globl	_ZN7rocprim17ROCPRIM_400000_NS6detail17trampoline_kernelINS0_13select_configILj256ELj13ELNS0_17block_load_methodE3ELS4_3ELS4_3ELNS0_20block_scan_algorithmE0ELj4294967295EEENS1_25partition_config_selectorILNS1_17partition_subalgoE3EjNS0_10empty_typeEbEEZZNS1_14partition_implILS8_3ELb0ES6_jNS0_17counting_iteratorIjlEEPS9_SE_NS0_5tupleIJPjSE_EEENSF_IJSE_SE_EEES9_SG_JZNS1_25segmented_radix_sort_implINS0_14default_configELb0EPKaPaPKlPlN2at6native12_GLOBAL__N_18offset_tEEE10hipError_tPvRmT1_PNSt15iterator_traitsISY_E10value_typeET2_T3_PNSZ_IS14_E10value_typeET4_jRbjT5_S1A_jjP12ihipStream_tbEUljE_EEESV_SW_SX_S14_S18_S1A_T6_T7_T9_mT8_S1C_bDpT10_ENKUlT_T0_E_clISt17integral_constantIbLb1EES1O_IbLb0EEEEDaS1K_S1L_EUlS1K_E_NS1_11comp_targetILNS1_3genE2ELNS1_11target_archE906ELNS1_3gpuE6ELNS1_3repE0EEENS1_30default_config_static_selectorELNS0_4arch9wavefront6targetE1EEEvSY_ ; -- Begin function _ZN7rocprim17ROCPRIM_400000_NS6detail17trampoline_kernelINS0_13select_configILj256ELj13ELNS0_17block_load_methodE3ELS4_3ELS4_3ELNS0_20block_scan_algorithmE0ELj4294967295EEENS1_25partition_config_selectorILNS1_17partition_subalgoE3EjNS0_10empty_typeEbEEZZNS1_14partition_implILS8_3ELb0ES6_jNS0_17counting_iteratorIjlEEPS9_SE_NS0_5tupleIJPjSE_EEENSF_IJSE_SE_EEES9_SG_JZNS1_25segmented_radix_sort_implINS0_14default_configELb0EPKaPaPKlPlN2at6native12_GLOBAL__N_18offset_tEEE10hipError_tPvRmT1_PNSt15iterator_traitsISY_E10value_typeET2_T3_PNSZ_IS14_E10value_typeET4_jRbjT5_S1A_jjP12ihipStream_tbEUljE_EEESV_SW_SX_S14_S18_S1A_T6_T7_T9_mT8_S1C_bDpT10_ENKUlT_T0_E_clISt17integral_constantIbLb1EES1O_IbLb0EEEEDaS1K_S1L_EUlS1K_E_NS1_11comp_targetILNS1_3genE2ELNS1_11target_archE906ELNS1_3gpuE6ELNS1_3repE0EEENS1_30default_config_static_selectorELNS0_4arch9wavefront6targetE1EEEvSY_
	.p2align	8
	.type	_ZN7rocprim17ROCPRIM_400000_NS6detail17trampoline_kernelINS0_13select_configILj256ELj13ELNS0_17block_load_methodE3ELS4_3ELS4_3ELNS0_20block_scan_algorithmE0ELj4294967295EEENS1_25partition_config_selectorILNS1_17partition_subalgoE3EjNS0_10empty_typeEbEEZZNS1_14partition_implILS8_3ELb0ES6_jNS0_17counting_iteratorIjlEEPS9_SE_NS0_5tupleIJPjSE_EEENSF_IJSE_SE_EEES9_SG_JZNS1_25segmented_radix_sort_implINS0_14default_configELb0EPKaPaPKlPlN2at6native12_GLOBAL__N_18offset_tEEE10hipError_tPvRmT1_PNSt15iterator_traitsISY_E10value_typeET2_T3_PNSZ_IS14_E10value_typeET4_jRbjT5_S1A_jjP12ihipStream_tbEUljE_EEESV_SW_SX_S14_S18_S1A_T6_T7_T9_mT8_S1C_bDpT10_ENKUlT_T0_E_clISt17integral_constantIbLb1EES1O_IbLb0EEEEDaS1K_S1L_EUlS1K_E_NS1_11comp_targetILNS1_3genE2ELNS1_11target_archE906ELNS1_3gpuE6ELNS1_3repE0EEENS1_30default_config_static_selectorELNS0_4arch9wavefront6targetE1EEEvSY_,@function
_ZN7rocprim17ROCPRIM_400000_NS6detail17trampoline_kernelINS0_13select_configILj256ELj13ELNS0_17block_load_methodE3ELS4_3ELS4_3ELNS0_20block_scan_algorithmE0ELj4294967295EEENS1_25partition_config_selectorILNS1_17partition_subalgoE3EjNS0_10empty_typeEbEEZZNS1_14partition_implILS8_3ELb0ES6_jNS0_17counting_iteratorIjlEEPS9_SE_NS0_5tupleIJPjSE_EEENSF_IJSE_SE_EEES9_SG_JZNS1_25segmented_radix_sort_implINS0_14default_configELb0EPKaPaPKlPlN2at6native12_GLOBAL__N_18offset_tEEE10hipError_tPvRmT1_PNSt15iterator_traitsISY_E10value_typeET2_T3_PNSZ_IS14_E10value_typeET4_jRbjT5_S1A_jjP12ihipStream_tbEUljE_EEESV_SW_SX_S14_S18_S1A_T6_T7_T9_mT8_S1C_bDpT10_ENKUlT_T0_E_clISt17integral_constantIbLb1EES1O_IbLb0EEEEDaS1K_S1L_EUlS1K_E_NS1_11comp_targetILNS1_3genE2ELNS1_11target_archE906ELNS1_3gpuE6ELNS1_3repE0EEENS1_30default_config_static_selectorELNS0_4arch9wavefront6targetE1EEEvSY_: ; @_ZN7rocprim17ROCPRIM_400000_NS6detail17trampoline_kernelINS0_13select_configILj256ELj13ELNS0_17block_load_methodE3ELS4_3ELS4_3ELNS0_20block_scan_algorithmE0ELj4294967295EEENS1_25partition_config_selectorILNS1_17partition_subalgoE3EjNS0_10empty_typeEbEEZZNS1_14partition_implILS8_3ELb0ES6_jNS0_17counting_iteratorIjlEEPS9_SE_NS0_5tupleIJPjSE_EEENSF_IJSE_SE_EEES9_SG_JZNS1_25segmented_radix_sort_implINS0_14default_configELb0EPKaPaPKlPlN2at6native12_GLOBAL__N_18offset_tEEE10hipError_tPvRmT1_PNSt15iterator_traitsISY_E10value_typeET2_T3_PNSZ_IS14_E10value_typeET4_jRbjT5_S1A_jjP12ihipStream_tbEUljE_EEESV_SW_SX_S14_S18_S1A_T6_T7_T9_mT8_S1C_bDpT10_ENKUlT_T0_E_clISt17integral_constantIbLb1EES1O_IbLb0EEEEDaS1K_S1L_EUlS1K_E_NS1_11comp_targetILNS1_3genE2ELNS1_11target_archE906ELNS1_3gpuE6ELNS1_3repE0EEENS1_30default_config_static_selectorELNS0_4arch9wavefront6targetE1EEEvSY_
; %bb.0:
	.section	.rodata,"a",@progbits
	.p2align	6, 0x0
	.amdhsa_kernel _ZN7rocprim17ROCPRIM_400000_NS6detail17trampoline_kernelINS0_13select_configILj256ELj13ELNS0_17block_load_methodE3ELS4_3ELS4_3ELNS0_20block_scan_algorithmE0ELj4294967295EEENS1_25partition_config_selectorILNS1_17partition_subalgoE3EjNS0_10empty_typeEbEEZZNS1_14partition_implILS8_3ELb0ES6_jNS0_17counting_iteratorIjlEEPS9_SE_NS0_5tupleIJPjSE_EEENSF_IJSE_SE_EEES9_SG_JZNS1_25segmented_radix_sort_implINS0_14default_configELb0EPKaPaPKlPlN2at6native12_GLOBAL__N_18offset_tEEE10hipError_tPvRmT1_PNSt15iterator_traitsISY_E10value_typeET2_T3_PNSZ_IS14_E10value_typeET4_jRbjT5_S1A_jjP12ihipStream_tbEUljE_EEESV_SW_SX_S14_S18_S1A_T6_T7_T9_mT8_S1C_bDpT10_ENKUlT_T0_E_clISt17integral_constantIbLb1EES1O_IbLb0EEEEDaS1K_S1L_EUlS1K_E_NS1_11comp_targetILNS1_3genE2ELNS1_11target_archE906ELNS1_3gpuE6ELNS1_3repE0EEENS1_30default_config_static_selectorELNS0_4arch9wavefront6targetE1EEEvSY_
		.amdhsa_group_segment_fixed_size 0
		.amdhsa_private_segment_fixed_size 0
		.amdhsa_kernarg_size 144
		.amdhsa_user_sgpr_count 6
		.amdhsa_user_sgpr_private_segment_buffer 1
		.amdhsa_user_sgpr_dispatch_ptr 0
		.amdhsa_user_sgpr_queue_ptr 0
		.amdhsa_user_sgpr_kernarg_segment_ptr 1
		.amdhsa_user_sgpr_dispatch_id 0
		.amdhsa_user_sgpr_flat_scratch_init 0
		.amdhsa_user_sgpr_kernarg_preload_length 0
		.amdhsa_user_sgpr_kernarg_preload_offset 0
		.amdhsa_user_sgpr_private_segment_size 0
		.amdhsa_uses_dynamic_stack 0
		.amdhsa_system_sgpr_private_segment_wavefront_offset 0
		.amdhsa_system_sgpr_workgroup_id_x 1
		.amdhsa_system_sgpr_workgroup_id_y 0
		.amdhsa_system_sgpr_workgroup_id_z 0
		.amdhsa_system_sgpr_workgroup_info 0
		.amdhsa_system_vgpr_workitem_id 0
		.amdhsa_next_free_vgpr 1
		.amdhsa_next_free_sgpr 0
		.amdhsa_accum_offset 4
		.amdhsa_reserve_vcc 0
		.amdhsa_reserve_flat_scratch 0
		.amdhsa_float_round_mode_32 0
		.amdhsa_float_round_mode_16_64 0
		.amdhsa_float_denorm_mode_32 3
		.amdhsa_float_denorm_mode_16_64 3
		.amdhsa_dx10_clamp 1
		.amdhsa_ieee_mode 1
		.amdhsa_fp16_overflow 0
		.amdhsa_tg_split 0
		.amdhsa_exception_fp_ieee_invalid_op 0
		.amdhsa_exception_fp_denorm_src 0
		.amdhsa_exception_fp_ieee_div_zero 0
		.amdhsa_exception_fp_ieee_overflow 0
		.amdhsa_exception_fp_ieee_underflow 0
		.amdhsa_exception_fp_ieee_inexact 0
		.amdhsa_exception_int_div_zero 0
	.end_amdhsa_kernel
	.section	.text._ZN7rocprim17ROCPRIM_400000_NS6detail17trampoline_kernelINS0_13select_configILj256ELj13ELNS0_17block_load_methodE3ELS4_3ELS4_3ELNS0_20block_scan_algorithmE0ELj4294967295EEENS1_25partition_config_selectorILNS1_17partition_subalgoE3EjNS0_10empty_typeEbEEZZNS1_14partition_implILS8_3ELb0ES6_jNS0_17counting_iteratorIjlEEPS9_SE_NS0_5tupleIJPjSE_EEENSF_IJSE_SE_EEES9_SG_JZNS1_25segmented_radix_sort_implINS0_14default_configELb0EPKaPaPKlPlN2at6native12_GLOBAL__N_18offset_tEEE10hipError_tPvRmT1_PNSt15iterator_traitsISY_E10value_typeET2_T3_PNSZ_IS14_E10value_typeET4_jRbjT5_S1A_jjP12ihipStream_tbEUljE_EEESV_SW_SX_S14_S18_S1A_T6_T7_T9_mT8_S1C_bDpT10_ENKUlT_T0_E_clISt17integral_constantIbLb1EES1O_IbLb0EEEEDaS1K_S1L_EUlS1K_E_NS1_11comp_targetILNS1_3genE2ELNS1_11target_archE906ELNS1_3gpuE6ELNS1_3repE0EEENS1_30default_config_static_selectorELNS0_4arch9wavefront6targetE1EEEvSY_,"axG",@progbits,_ZN7rocprim17ROCPRIM_400000_NS6detail17trampoline_kernelINS0_13select_configILj256ELj13ELNS0_17block_load_methodE3ELS4_3ELS4_3ELNS0_20block_scan_algorithmE0ELj4294967295EEENS1_25partition_config_selectorILNS1_17partition_subalgoE3EjNS0_10empty_typeEbEEZZNS1_14partition_implILS8_3ELb0ES6_jNS0_17counting_iteratorIjlEEPS9_SE_NS0_5tupleIJPjSE_EEENSF_IJSE_SE_EEES9_SG_JZNS1_25segmented_radix_sort_implINS0_14default_configELb0EPKaPaPKlPlN2at6native12_GLOBAL__N_18offset_tEEE10hipError_tPvRmT1_PNSt15iterator_traitsISY_E10value_typeET2_T3_PNSZ_IS14_E10value_typeET4_jRbjT5_S1A_jjP12ihipStream_tbEUljE_EEESV_SW_SX_S14_S18_S1A_T6_T7_T9_mT8_S1C_bDpT10_ENKUlT_T0_E_clISt17integral_constantIbLb1EES1O_IbLb0EEEEDaS1K_S1L_EUlS1K_E_NS1_11comp_targetILNS1_3genE2ELNS1_11target_archE906ELNS1_3gpuE6ELNS1_3repE0EEENS1_30default_config_static_selectorELNS0_4arch9wavefront6targetE1EEEvSY_,comdat
.Lfunc_end381:
	.size	_ZN7rocprim17ROCPRIM_400000_NS6detail17trampoline_kernelINS0_13select_configILj256ELj13ELNS0_17block_load_methodE3ELS4_3ELS4_3ELNS0_20block_scan_algorithmE0ELj4294967295EEENS1_25partition_config_selectorILNS1_17partition_subalgoE3EjNS0_10empty_typeEbEEZZNS1_14partition_implILS8_3ELb0ES6_jNS0_17counting_iteratorIjlEEPS9_SE_NS0_5tupleIJPjSE_EEENSF_IJSE_SE_EEES9_SG_JZNS1_25segmented_radix_sort_implINS0_14default_configELb0EPKaPaPKlPlN2at6native12_GLOBAL__N_18offset_tEEE10hipError_tPvRmT1_PNSt15iterator_traitsISY_E10value_typeET2_T3_PNSZ_IS14_E10value_typeET4_jRbjT5_S1A_jjP12ihipStream_tbEUljE_EEESV_SW_SX_S14_S18_S1A_T6_T7_T9_mT8_S1C_bDpT10_ENKUlT_T0_E_clISt17integral_constantIbLb1EES1O_IbLb0EEEEDaS1K_S1L_EUlS1K_E_NS1_11comp_targetILNS1_3genE2ELNS1_11target_archE906ELNS1_3gpuE6ELNS1_3repE0EEENS1_30default_config_static_selectorELNS0_4arch9wavefront6targetE1EEEvSY_, .Lfunc_end381-_ZN7rocprim17ROCPRIM_400000_NS6detail17trampoline_kernelINS0_13select_configILj256ELj13ELNS0_17block_load_methodE3ELS4_3ELS4_3ELNS0_20block_scan_algorithmE0ELj4294967295EEENS1_25partition_config_selectorILNS1_17partition_subalgoE3EjNS0_10empty_typeEbEEZZNS1_14partition_implILS8_3ELb0ES6_jNS0_17counting_iteratorIjlEEPS9_SE_NS0_5tupleIJPjSE_EEENSF_IJSE_SE_EEES9_SG_JZNS1_25segmented_radix_sort_implINS0_14default_configELb0EPKaPaPKlPlN2at6native12_GLOBAL__N_18offset_tEEE10hipError_tPvRmT1_PNSt15iterator_traitsISY_E10value_typeET2_T3_PNSZ_IS14_E10value_typeET4_jRbjT5_S1A_jjP12ihipStream_tbEUljE_EEESV_SW_SX_S14_S18_S1A_T6_T7_T9_mT8_S1C_bDpT10_ENKUlT_T0_E_clISt17integral_constantIbLb1EES1O_IbLb0EEEEDaS1K_S1L_EUlS1K_E_NS1_11comp_targetILNS1_3genE2ELNS1_11target_archE906ELNS1_3gpuE6ELNS1_3repE0EEENS1_30default_config_static_selectorELNS0_4arch9wavefront6targetE1EEEvSY_
                                        ; -- End function
	.section	.AMDGPU.csdata,"",@progbits
; Kernel info:
; codeLenInByte = 0
; NumSgprs: 4
; NumVgprs: 0
; NumAgprs: 0
; TotalNumVgprs: 0
; ScratchSize: 0
; MemoryBound: 0
; FloatMode: 240
; IeeeMode: 1
; LDSByteSize: 0 bytes/workgroup (compile time only)
; SGPRBlocks: 0
; VGPRBlocks: 0
; NumSGPRsForWavesPerEU: 4
; NumVGPRsForWavesPerEU: 1
; AccumOffset: 4
; Occupancy: 8
; WaveLimiterHint : 0
; COMPUTE_PGM_RSRC2:SCRATCH_EN: 0
; COMPUTE_PGM_RSRC2:USER_SGPR: 6
; COMPUTE_PGM_RSRC2:TRAP_HANDLER: 0
; COMPUTE_PGM_RSRC2:TGID_X_EN: 1
; COMPUTE_PGM_RSRC2:TGID_Y_EN: 0
; COMPUTE_PGM_RSRC2:TGID_Z_EN: 0
; COMPUTE_PGM_RSRC2:TIDIG_COMP_CNT: 0
; COMPUTE_PGM_RSRC3_GFX90A:ACCUM_OFFSET: 0
; COMPUTE_PGM_RSRC3_GFX90A:TG_SPLIT: 0
	.section	.text._ZN7rocprim17ROCPRIM_400000_NS6detail17trampoline_kernelINS0_13select_configILj256ELj13ELNS0_17block_load_methodE3ELS4_3ELS4_3ELNS0_20block_scan_algorithmE0ELj4294967295EEENS1_25partition_config_selectorILNS1_17partition_subalgoE3EjNS0_10empty_typeEbEEZZNS1_14partition_implILS8_3ELb0ES6_jNS0_17counting_iteratorIjlEEPS9_SE_NS0_5tupleIJPjSE_EEENSF_IJSE_SE_EEES9_SG_JZNS1_25segmented_radix_sort_implINS0_14default_configELb0EPKaPaPKlPlN2at6native12_GLOBAL__N_18offset_tEEE10hipError_tPvRmT1_PNSt15iterator_traitsISY_E10value_typeET2_T3_PNSZ_IS14_E10value_typeET4_jRbjT5_S1A_jjP12ihipStream_tbEUljE_EEESV_SW_SX_S14_S18_S1A_T6_T7_T9_mT8_S1C_bDpT10_ENKUlT_T0_E_clISt17integral_constantIbLb1EES1O_IbLb0EEEEDaS1K_S1L_EUlS1K_E_NS1_11comp_targetILNS1_3genE10ELNS1_11target_archE1200ELNS1_3gpuE4ELNS1_3repE0EEENS1_30default_config_static_selectorELNS0_4arch9wavefront6targetE1EEEvSY_,"axG",@progbits,_ZN7rocprim17ROCPRIM_400000_NS6detail17trampoline_kernelINS0_13select_configILj256ELj13ELNS0_17block_load_methodE3ELS4_3ELS4_3ELNS0_20block_scan_algorithmE0ELj4294967295EEENS1_25partition_config_selectorILNS1_17partition_subalgoE3EjNS0_10empty_typeEbEEZZNS1_14partition_implILS8_3ELb0ES6_jNS0_17counting_iteratorIjlEEPS9_SE_NS0_5tupleIJPjSE_EEENSF_IJSE_SE_EEES9_SG_JZNS1_25segmented_radix_sort_implINS0_14default_configELb0EPKaPaPKlPlN2at6native12_GLOBAL__N_18offset_tEEE10hipError_tPvRmT1_PNSt15iterator_traitsISY_E10value_typeET2_T3_PNSZ_IS14_E10value_typeET4_jRbjT5_S1A_jjP12ihipStream_tbEUljE_EEESV_SW_SX_S14_S18_S1A_T6_T7_T9_mT8_S1C_bDpT10_ENKUlT_T0_E_clISt17integral_constantIbLb1EES1O_IbLb0EEEEDaS1K_S1L_EUlS1K_E_NS1_11comp_targetILNS1_3genE10ELNS1_11target_archE1200ELNS1_3gpuE4ELNS1_3repE0EEENS1_30default_config_static_selectorELNS0_4arch9wavefront6targetE1EEEvSY_,comdat
	.globl	_ZN7rocprim17ROCPRIM_400000_NS6detail17trampoline_kernelINS0_13select_configILj256ELj13ELNS0_17block_load_methodE3ELS4_3ELS4_3ELNS0_20block_scan_algorithmE0ELj4294967295EEENS1_25partition_config_selectorILNS1_17partition_subalgoE3EjNS0_10empty_typeEbEEZZNS1_14partition_implILS8_3ELb0ES6_jNS0_17counting_iteratorIjlEEPS9_SE_NS0_5tupleIJPjSE_EEENSF_IJSE_SE_EEES9_SG_JZNS1_25segmented_radix_sort_implINS0_14default_configELb0EPKaPaPKlPlN2at6native12_GLOBAL__N_18offset_tEEE10hipError_tPvRmT1_PNSt15iterator_traitsISY_E10value_typeET2_T3_PNSZ_IS14_E10value_typeET4_jRbjT5_S1A_jjP12ihipStream_tbEUljE_EEESV_SW_SX_S14_S18_S1A_T6_T7_T9_mT8_S1C_bDpT10_ENKUlT_T0_E_clISt17integral_constantIbLb1EES1O_IbLb0EEEEDaS1K_S1L_EUlS1K_E_NS1_11comp_targetILNS1_3genE10ELNS1_11target_archE1200ELNS1_3gpuE4ELNS1_3repE0EEENS1_30default_config_static_selectorELNS0_4arch9wavefront6targetE1EEEvSY_ ; -- Begin function _ZN7rocprim17ROCPRIM_400000_NS6detail17trampoline_kernelINS0_13select_configILj256ELj13ELNS0_17block_load_methodE3ELS4_3ELS4_3ELNS0_20block_scan_algorithmE0ELj4294967295EEENS1_25partition_config_selectorILNS1_17partition_subalgoE3EjNS0_10empty_typeEbEEZZNS1_14partition_implILS8_3ELb0ES6_jNS0_17counting_iteratorIjlEEPS9_SE_NS0_5tupleIJPjSE_EEENSF_IJSE_SE_EEES9_SG_JZNS1_25segmented_radix_sort_implINS0_14default_configELb0EPKaPaPKlPlN2at6native12_GLOBAL__N_18offset_tEEE10hipError_tPvRmT1_PNSt15iterator_traitsISY_E10value_typeET2_T3_PNSZ_IS14_E10value_typeET4_jRbjT5_S1A_jjP12ihipStream_tbEUljE_EEESV_SW_SX_S14_S18_S1A_T6_T7_T9_mT8_S1C_bDpT10_ENKUlT_T0_E_clISt17integral_constantIbLb1EES1O_IbLb0EEEEDaS1K_S1L_EUlS1K_E_NS1_11comp_targetILNS1_3genE10ELNS1_11target_archE1200ELNS1_3gpuE4ELNS1_3repE0EEENS1_30default_config_static_selectorELNS0_4arch9wavefront6targetE1EEEvSY_
	.p2align	8
	.type	_ZN7rocprim17ROCPRIM_400000_NS6detail17trampoline_kernelINS0_13select_configILj256ELj13ELNS0_17block_load_methodE3ELS4_3ELS4_3ELNS0_20block_scan_algorithmE0ELj4294967295EEENS1_25partition_config_selectorILNS1_17partition_subalgoE3EjNS0_10empty_typeEbEEZZNS1_14partition_implILS8_3ELb0ES6_jNS0_17counting_iteratorIjlEEPS9_SE_NS0_5tupleIJPjSE_EEENSF_IJSE_SE_EEES9_SG_JZNS1_25segmented_radix_sort_implINS0_14default_configELb0EPKaPaPKlPlN2at6native12_GLOBAL__N_18offset_tEEE10hipError_tPvRmT1_PNSt15iterator_traitsISY_E10value_typeET2_T3_PNSZ_IS14_E10value_typeET4_jRbjT5_S1A_jjP12ihipStream_tbEUljE_EEESV_SW_SX_S14_S18_S1A_T6_T7_T9_mT8_S1C_bDpT10_ENKUlT_T0_E_clISt17integral_constantIbLb1EES1O_IbLb0EEEEDaS1K_S1L_EUlS1K_E_NS1_11comp_targetILNS1_3genE10ELNS1_11target_archE1200ELNS1_3gpuE4ELNS1_3repE0EEENS1_30default_config_static_selectorELNS0_4arch9wavefront6targetE1EEEvSY_,@function
_ZN7rocprim17ROCPRIM_400000_NS6detail17trampoline_kernelINS0_13select_configILj256ELj13ELNS0_17block_load_methodE3ELS4_3ELS4_3ELNS0_20block_scan_algorithmE0ELj4294967295EEENS1_25partition_config_selectorILNS1_17partition_subalgoE3EjNS0_10empty_typeEbEEZZNS1_14partition_implILS8_3ELb0ES6_jNS0_17counting_iteratorIjlEEPS9_SE_NS0_5tupleIJPjSE_EEENSF_IJSE_SE_EEES9_SG_JZNS1_25segmented_radix_sort_implINS0_14default_configELb0EPKaPaPKlPlN2at6native12_GLOBAL__N_18offset_tEEE10hipError_tPvRmT1_PNSt15iterator_traitsISY_E10value_typeET2_T3_PNSZ_IS14_E10value_typeET4_jRbjT5_S1A_jjP12ihipStream_tbEUljE_EEESV_SW_SX_S14_S18_S1A_T6_T7_T9_mT8_S1C_bDpT10_ENKUlT_T0_E_clISt17integral_constantIbLb1EES1O_IbLb0EEEEDaS1K_S1L_EUlS1K_E_NS1_11comp_targetILNS1_3genE10ELNS1_11target_archE1200ELNS1_3gpuE4ELNS1_3repE0EEENS1_30default_config_static_selectorELNS0_4arch9wavefront6targetE1EEEvSY_: ; @_ZN7rocprim17ROCPRIM_400000_NS6detail17trampoline_kernelINS0_13select_configILj256ELj13ELNS0_17block_load_methodE3ELS4_3ELS4_3ELNS0_20block_scan_algorithmE0ELj4294967295EEENS1_25partition_config_selectorILNS1_17partition_subalgoE3EjNS0_10empty_typeEbEEZZNS1_14partition_implILS8_3ELb0ES6_jNS0_17counting_iteratorIjlEEPS9_SE_NS0_5tupleIJPjSE_EEENSF_IJSE_SE_EEES9_SG_JZNS1_25segmented_radix_sort_implINS0_14default_configELb0EPKaPaPKlPlN2at6native12_GLOBAL__N_18offset_tEEE10hipError_tPvRmT1_PNSt15iterator_traitsISY_E10value_typeET2_T3_PNSZ_IS14_E10value_typeET4_jRbjT5_S1A_jjP12ihipStream_tbEUljE_EEESV_SW_SX_S14_S18_S1A_T6_T7_T9_mT8_S1C_bDpT10_ENKUlT_T0_E_clISt17integral_constantIbLb1EES1O_IbLb0EEEEDaS1K_S1L_EUlS1K_E_NS1_11comp_targetILNS1_3genE10ELNS1_11target_archE1200ELNS1_3gpuE4ELNS1_3repE0EEENS1_30default_config_static_selectorELNS0_4arch9wavefront6targetE1EEEvSY_
; %bb.0:
	.section	.rodata,"a",@progbits
	.p2align	6, 0x0
	.amdhsa_kernel _ZN7rocprim17ROCPRIM_400000_NS6detail17trampoline_kernelINS0_13select_configILj256ELj13ELNS0_17block_load_methodE3ELS4_3ELS4_3ELNS0_20block_scan_algorithmE0ELj4294967295EEENS1_25partition_config_selectorILNS1_17partition_subalgoE3EjNS0_10empty_typeEbEEZZNS1_14partition_implILS8_3ELb0ES6_jNS0_17counting_iteratorIjlEEPS9_SE_NS0_5tupleIJPjSE_EEENSF_IJSE_SE_EEES9_SG_JZNS1_25segmented_radix_sort_implINS0_14default_configELb0EPKaPaPKlPlN2at6native12_GLOBAL__N_18offset_tEEE10hipError_tPvRmT1_PNSt15iterator_traitsISY_E10value_typeET2_T3_PNSZ_IS14_E10value_typeET4_jRbjT5_S1A_jjP12ihipStream_tbEUljE_EEESV_SW_SX_S14_S18_S1A_T6_T7_T9_mT8_S1C_bDpT10_ENKUlT_T0_E_clISt17integral_constantIbLb1EES1O_IbLb0EEEEDaS1K_S1L_EUlS1K_E_NS1_11comp_targetILNS1_3genE10ELNS1_11target_archE1200ELNS1_3gpuE4ELNS1_3repE0EEENS1_30default_config_static_selectorELNS0_4arch9wavefront6targetE1EEEvSY_
		.amdhsa_group_segment_fixed_size 0
		.amdhsa_private_segment_fixed_size 0
		.amdhsa_kernarg_size 144
		.amdhsa_user_sgpr_count 6
		.amdhsa_user_sgpr_private_segment_buffer 1
		.amdhsa_user_sgpr_dispatch_ptr 0
		.amdhsa_user_sgpr_queue_ptr 0
		.amdhsa_user_sgpr_kernarg_segment_ptr 1
		.amdhsa_user_sgpr_dispatch_id 0
		.amdhsa_user_sgpr_flat_scratch_init 0
		.amdhsa_user_sgpr_kernarg_preload_length 0
		.amdhsa_user_sgpr_kernarg_preload_offset 0
		.amdhsa_user_sgpr_private_segment_size 0
		.amdhsa_uses_dynamic_stack 0
		.amdhsa_system_sgpr_private_segment_wavefront_offset 0
		.amdhsa_system_sgpr_workgroup_id_x 1
		.amdhsa_system_sgpr_workgroup_id_y 0
		.amdhsa_system_sgpr_workgroup_id_z 0
		.amdhsa_system_sgpr_workgroup_info 0
		.amdhsa_system_vgpr_workitem_id 0
		.amdhsa_next_free_vgpr 1
		.amdhsa_next_free_sgpr 0
		.amdhsa_accum_offset 4
		.amdhsa_reserve_vcc 0
		.amdhsa_reserve_flat_scratch 0
		.amdhsa_float_round_mode_32 0
		.amdhsa_float_round_mode_16_64 0
		.amdhsa_float_denorm_mode_32 3
		.amdhsa_float_denorm_mode_16_64 3
		.amdhsa_dx10_clamp 1
		.amdhsa_ieee_mode 1
		.amdhsa_fp16_overflow 0
		.amdhsa_tg_split 0
		.amdhsa_exception_fp_ieee_invalid_op 0
		.amdhsa_exception_fp_denorm_src 0
		.amdhsa_exception_fp_ieee_div_zero 0
		.amdhsa_exception_fp_ieee_overflow 0
		.amdhsa_exception_fp_ieee_underflow 0
		.amdhsa_exception_fp_ieee_inexact 0
		.amdhsa_exception_int_div_zero 0
	.end_amdhsa_kernel
	.section	.text._ZN7rocprim17ROCPRIM_400000_NS6detail17trampoline_kernelINS0_13select_configILj256ELj13ELNS0_17block_load_methodE3ELS4_3ELS4_3ELNS0_20block_scan_algorithmE0ELj4294967295EEENS1_25partition_config_selectorILNS1_17partition_subalgoE3EjNS0_10empty_typeEbEEZZNS1_14partition_implILS8_3ELb0ES6_jNS0_17counting_iteratorIjlEEPS9_SE_NS0_5tupleIJPjSE_EEENSF_IJSE_SE_EEES9_SG_JZNS1_25segmented_radix_sort_implINS0_14default_configELb0EPKaPaPKlPlN2at6native12_GLOBAL__N_18offset_tEEE10hipError_tPvRmT1_PNSt15iterator_traitsISY_E10value_typeET2_T3_PNSZ_IS14_E10value_typeET4_jRbjT5_S1A_jjP12ihipStream_tbEUljE_EEESV_SW_SX_S14_S18_S1A_T6_T7_T9_mT8_S1C_bDpT10_ENKUlT_T0_E_clISt17integral_constantIbLb1EES1O_IbLb0EEEEDaS1K_S1L_EUlS1K_E_NS1_11comp_targetILNS1_3genE10ELNS1_11target_archE1200ELNS1_3gpuE4ELNS1_3repE0EEENS1_30default_config_static_selectorELNS0_4arch9wavefront6targetE1EEEvSY_,"axG",@progbits,_ZN7rocprim17ROCPRIM_400000_NS6detail17trampoline_kernelINS0_13select_configILj256ELj13ELNS0_17block_load_methodE3ELS4_3ELS4_3ELNS0_20block_scan_algorithmE0ELj4294967295EEENS1_25partition_config_selectorILNS1_17partition_subalgoE3EjNS0_10empty_typeEbEEZZNS1_14partition_implILS8_3ELb0ES6_jNS0_17counting_iteratorIjlEEPS9_SE_NS0_5tupleIJPjSE_EEENSF_IJSE_SE_EEES9_SG_JZNS1_25segmented_radix_sort_implINS0_14default_configELb0EPKaPaPKlPlN2at6native12_GLOBAL__N_18offset_tEEE10hipError_tPvRmT1_PNSt15iterator_traitsISY_E10value_typeET2_T3_PNSZ_IS14_E10value_typeET4_jRbjT5_S1A_jjP12ihipStream_tbEUljE_EEESV_SW_SX_S14_S18_S1A_T6_T7_T9_mT8_S1C_bDpT10_ENKUlT_T0_E_clISt17integral_constantIbLb1EES1O_IbLb0EEEEDaS1K_S1L_EUlS1K_E_NS1_11comp_targetILNS1_3genE10ELNS1_11target_archE1200ELNS1_3gpuE4ELNS1_3repE0EEENS1_30default_config_static_selectorELNS0_4arch9wavefront6targetE1EEEvSY_,comdat
.Lfunc_end382:
	.size	_ZN7rocprim17ROCPRIM_400000_NS6detail17trampoline_kernelINS0_13select_configILj256ELj13ELNS0_17block_load_methodE3ELS4_3ELS4_3ELNS0_20block_scan_algorithmE0ELj4294967295EEENS1_25partition_config_selectorILNS1_17partition_subalgoE3EjNS0_10empty_typeEbEEZZNS1_14partition_implILS8_3ELb0ES6_jNS0_17counting_iteratorIjlEEPS9_SE_NS0_5tupleIJPjSE_EEENSF_IJSE_SE_EEES9_SG_JZNS1_25segmented_radix_sort_implINS0_14default_configELb0EPKaPaPKlPlN2at6native12_GLOBAL__N_18offset_tEEE10hipError_tPvRmT1_PNSt15iterator_traitsISY_E10value_typeET2_T3_PNSZ_IS14_E10value_typeET4_jRbjT5_S1A_jjP12ihipStream_tbEUljE_EEESV_SW_SX_S14_S18_S1A_T6_T7_T9_mT8_S1C_bDpT10_ENKUlT_T0_E_clISt17integral_constantIbLb1EES1O_IbLb0EEEEDaS1K_S1L_EUlS1K_E_NS1_11comp_targetILNS1_3genE10ELNS1_11target_archE1200ELNS1_3gpuE4ELNS1_3repE0EEENS1_30default_config_static_selectorELNS0_4arch9wavefront6targetE1EEEvSY_, .Lfunc_end382-_ZN7rocprim17ROCPRIM_400000_NS6detail17trampoline_kernelINS0_13select_configILj256ELj13ELNS0_17block_load_methodE3ELS4_3ELS4_3ELNS0_20block_scan_algorithmE0ELj4294967295EEENS1_25partition_config_selectorILNS1_17partition_subalgoE3EjNS0_10empty_typeEbEEZZNS1_14partition_implILS8_3ELb0ES6_jNS0_17counting_iteratorIjlEEPS9_SE_NS0_5tupleIJPjSE_EEENSF_IJSE_SE_EEES9_SG_JZNS1_25segmented_radix_sort_implINS0_14default_configELb0EPKaPaPKlPlN2at6native12_GLOBAL__N_18offset_tEEE10hipError_tPvRmT1_PNSt15iterator_traitsISY_E10value_typeET2_T3_PNSZ_IS14_E10value_typeET4_jRbjT5_S1A_jjP12ihipStream_tbEUljE_EEESV_SW_SX_S14_S18_S1A_T6_T7_T9_mT8_S1C_bDpT10_ENKUlT_T0_E_clISt17integral_constantIbLb1EES1O_IbLb0EEEEDaS1K_S1L_EUlS1K_E_NS1_11comp_targetILNS1_3genE10ELNS1_11target_archE1200ELNS1_3gpuE4ELNS1_3repE0EEENS1_30default_config_static_selectorELNS0_4arch9wavefront6targetE1EEEvSY_
                                        ; -- End function
	.section	.AMDGPU.csdata,"",@progbits
; Kernel info:
; codeLenInByte = 0
; NumSgprs: 4
; NumVgprs: 0
; NumAgprs: 0
; TotalNumVgprs: 0
; ScratchSize: 0
; MemoryBound: 0
; FloatMode: 240
; IeeeMode: 1
; LDSByteSize: 0 bytes/workgroup (compile time only)
; SGPRBlocks: 0
; VGPRBlocks: 0
; NumSGPRsForWavesPerEU: 4
; NumVGPRsForWavesPerEU: 1
; AccumOffset: 4
; Occupancy: 8
; WaveLimiterHint : 0
; COMPUTE_PGM_RSRC2:SCRATCH_EN: 0
; COMPUTE_PGM_RSRC2:USER_SGPR: 6
; COMPUTE_PGM_RSRC2:TRAP_HANDLER: 0
; COMPUTE_PGM_RSRC2:TGID_X_EN: 1
; COMPUTE_PGM_RSRC2:TGID_Y_EN: 0
; COMPUTE_PGM_RSRC2:TGID_Z_EN: 0
; COMPUTE_PGM_RSRC2:TIDIG_COMP_CNT: 0
; COMPUTE_PGM_RSRC3_GFX90A:ACCUM_OFFSET: 0
; COMPUTE_PGM_RSRC3_GFX90A:TG_SPLIT: 0
	.section	.text._ZN7rocprim17ROCPRIM_400000_NS6detail17trampoline_kernelINS0_13select_configILj256ELj13ELNS0_17block_load_methodE3ELS4_3ELS4_3ELNS0_20block_scan_algorithmE0ELj4294967295EEENS1_25partition_config_selectorILNS1_17partition_subalgoE3EjNS0_10empty_typeEbEEZZNS1_14partition_implILS8_3ELb0ES6_jNS0_17counting_iteratorIjlEEPS9_SE_NS0_5tupleIJPjSE_EEENSF_IJSE_SE_EEES9_SG_JZNS1_25segmented_radix_sort_implINS0_14default_configELb0EPKaPaPKlPlN2at6native12_GLOBAL__N_18offset_tEEE10hipError_tPvRmT1_PNSt15iterator_traitsISY_E10value_typeET2_T3_PNSZ_IS14_E10value_typeET4_jRbjT5_S1A_jjP12ihipStream_tbEUljE_EEESV_SW_SX_S14_S18_S1A_T6_T7_T9_mT8_S1C_bDpT10_ENKUlT_T0_E_clISt17integral_constantIbLb1EES1O_IbLb0EEEEDaS1K_S1L_EUlS1K_E_NS1_11comp_targetILNS1_3genE9ELNS1_11target_archE1100ELNS1_3gpuE3ELNS1_3repE0EEENS1_30default_config_static_selectorELNS0_4arch9wavefront6targetE1EEEvSY_,"axG",@progbits,_ZN7rocprim17ROCPRIM_400000_NS6detail17trampoline_kernelINS0_13select_configILj256ELj13ELNS0_17block_load_methodE3ELS4_3ELS4_3ELNS0_20block_scan_algorithmE0ELj4294967295EEENS1_25partition_config_selectorILNS1_17partition_subalgoE3EjNS0_10empty_typeEbEEZZNS1_14partition_implILS8_3ELb0ES6_jNS0_17counting_iteratorIjlEEPS9_SE_NS0_5tupleIJPjSE_EEENSF_IJSE_SE_EEES9_SG_JZNS1_25segmented_radix_sort_implINS0_14default_configELb0EPKaPaPKlPlN2at6native12_GLOBAL__N_18offset_tEEE10hipError_tPvRmT1_PNSt15iterator_traitsISY_E10value_typeET2_T3_PNSZ_IS14_E10value_typeET4_jRbjT5_S1A_jjP12ihipStream_tbEUljE_EEESV_SW_SX_S14_S18_S1A_T6_T7_T9_mT8_S1C_bDpT10_ENKUlT_T0_E_clISt17integral_constantIbLb1EES1O_IbLb0EEEEDaS1K_S1L_EUlS1K_E_NS1_11comp_targetILNS1_3genE9ELNS1_11target_archE1100ELNS1_3gpuE3ELNS1_3repE0EEENS1_30default_config_static_selectorELNS0_4arch9wavefront6targetE1EEEvSY_,comdat
	.globl	_ZN7rocprim17ROCPRIM_400000_NS6detail17trampoline_kernelINS0_13select_configILj256ELj13ELNS0_17block_load_methodE3ELS4_3ELS4_3ELNS0_20block_scan_algorithmE0ELj4294967295EEENS1_25partition_config_selectorILNS1_17partition_subalgoE3EjNS0_10empty_typeEbEEZZNS1_14partition_implILS8_3ELb0ES6_jNS0_17counting_iteratorIjlEEPS9_SE_NS0_5tupleIJPjSE_EEENSF_IJSE_SE_EEES9_SG_JZNS1_25segmented_radix_sort_implINS0_14default_configELb0EPKaPaPKlPlN2at6native12_GLOBAL__N_18offset_tEEE10hipError_tPvRmT1_PNSt15iterator_traitsISY_E10value_typeET2_T3_PNSZ_IS14_E10value_typeET4_jRbjT5_S1A_jjP12ihipStream_tbEUljE_EEESV_SW_SX_S14_S18_S1A_T6_T7_T9_mT8_S1C_bDpT10_ENKUlT_T0_E_clISt17integral_constantIbLb1EES1O_IbLb0EEEEDaS1K_S1L_EUlS1K_E_NS1_11comp_targetILNS1_3genE9ELNS1_11target_archE1100ELNS1_3gpuE3ELNS1_3repE0EEENS1_30default_config_static_selectorELNS0_4arch9wavefront6targetE1EEEvSY_ ; -- Begin function _ZN7rocprim17ROCPRIM_400000_NS6detail17trampoline_kernelINS0_13select_configILj256ELj13ELNS0_17block_load_methodE3ELS4_3ELS4_3ELNS0_20block_scan_algorithmE0ELj4294967295EEENS1_25partition_config_selectorILNS1_17partition_subalgoE3EjNS0_10empty_typeEbEEZZNS1_14partition_implILS8_3ELb0ES6_jNS0_17counting_iteratorIjlEEPS9_SE_NS0_5tupleIJPjSE_EEENSF_IJSE_SE_EEES9_SG_JZNS1_25segmented_radix_sort_implINS0_14default_configELb0EPKaPaPKlPlN2at6native12_GLOBAL__N_18offset_tEEE10hipError_tPvRmT1_PNSt15iterator_traitsISY_E10value_typeET2_T3_PNSZ_IS14_E10value_typeET4_jRbjT5_S1A_jjP12ihipStream_tbEUljE_EEESV_SW_SX_S14_S18_S1A_T6_T7_T9_mT8_S1C_bDpT10_ENKUlT_T0_E_clISt17integral_constantIbLb1EES1O_IbLb0EEEEDaS1K_S1L_EUlS1K_E_NS1_11comp_targetILNS1_3genE9ELNS1_11target_archE1100ELNS1_3gpuE3ELNS1_3repE0EEENS1_30default_config_static_selectorELNS0_4arch9wavefront6targetE1EEEvSY_
	.p2align	8
	.type	_ZN7rocprim17ROCPRIM_400000_NS6detail17trampoline_kernelINS0_13select_configILj256ELj13ELNS0_17block_load_methodE3ELS4_3ELS4_3ELNS0_20block_scan_algorithmE0ELj4294967295EEENS1_25partition_config_selectorILNS1_17partition_subalgoE3EjNS0_10empty_typeEbEEZZNS1_14partition_implILS8_3ELb0ES6_jNS0_17counting_iteratorIjlEEPS9_SE_NS0_5tupleIJPjSE_EEENSF_IJSE_SE_EEES9_SG_JZNS1_25segmented_radix_sort_implINS0_14default_configELb0EPKaPaPKlPlN2at6native12_GLOBAL__N_18offset_tEEE10hipError_tPvRmT1_PNSt15iterator_traitsISY_E10value_typeET2_T3_PNSZ_IS14_E10value_typeET4_jRbjT5_S1A_jjP12ihipStream_tbEUljE_EEESV_SW_SX_S14_S18_S1A_T6_T7_T9_mT8_S1C_bDpT10_ENKUlT_T0_E_clISt17integral_constantIbLb1EES1O_IbLb0EEEEDaS1K_S1L_EUlS1K_E_NS1_11comp_targetILNS1_3genE9ELNS1_11target_archE1100ELNS1_3gpuE3ELNS1_3repE0EEENS1_30default_config_static_selectorELNS0_4arch9wavefront6targetE1EEEvSY_,@function
_ZN7rocprim17ROCPRIM_400000_NS6detail17trampoline_kernelINS0_13select_configILj256ELj13ELNS0_17block_load_methodE3ELS4_3ELS4_3ELNS0_20block_scan_algorithmE0ELj4294967295EEENS1_25partition_config_selectorILNS1_17partition_subalgoE3EjNS0_10empty_typeEbEEZZNS1_14partition_implILS8_3ELb0ES6_jNS0_17counting_iteratorIjlEEPS9_SE_NS0_5tupleIJPjSE_EEENSF_IJSE_SE_EEES9_SG_JZNS1_25segmented_radix_sort_implINS0_14default_configELb0EPKaPaPKlPlN2at6native12_GLOBAL__N_18offset_tEEE10hipError_tPvRmT1_PNSt15iterator_traitsISY_E10value_typeET2_T3_PNSZ_IS14_E10value_typeET4_jRbjT5_S1A_jjP12ihipStream_tbEUljE_EEESV_SW_SX_S14_S18_S1A_T6_T7_T9_mT8_S1C_bDpT10_ENKUlT_T0_E_clISt17integral_constantIbLb1EES1O_IbLb0EEEEDaS1K_S1L_EUlS1K_E_NS1_11comp_targetILNS1_3genE9ELNS1_11target_archE1100ELNS1_3gpuE3ELNS1_3repE0EEENS1_30default_config_static_selectorELNS0_4arch9wavefront6targetE1EEEvSY_: ; @_ZN7rocprim17ROCPRIM_400000_NS6detail17trampoline_kernelINS0_13select_configILj256ELj13ELNS0_17block_load_methodE3ELS4_3ELS4_3ELNS0_20block_scan_algorithmE0ELj4294967295EEENS1_25partition_config_selectorILNS1_17partition_subalgoE3EjNS0_10empty_typeEbEEZZNS1_14partition_implILS8_3ELb0ES6_jNS0_17counting_iteratorIjlEEPS9_SE_NS0_5tupleIJPjSE_EEENSF_IJSE_SE_EEES9_SG_JZNS1_25segmented_radix_sort_implINS0_14default_configELb0EPKaPaPKlPlN2at6native12_GLOBAL__N_18offset_tEEE10hipError_tPvRmT1_PNSt15iterator_traitsISY_E10value_typeET2_T3_PNSZ_IS14_E10value_typeET4_jRbjT5_S1A_jjP12ihipStream_tbEUljE_EEESV_SW_SX_S14_S18_S1A_T6_T7_T9_mT8_S1C_bDpT10_ENKUlT_T0_E_clISt17integral_constantIbLb1EES1O_IbLb0EEEEDaS1K_S1L_EUlS1K_E_NS1_11comp_targetILNS1_3genE9ELNS1_11target_archE1100ELNS1_3gpuE3ELNS1_3repE0EEENS1_30default_config_static_selectorELNS0_4arch9wavefront6targetE1EEEvSY_
; %bb.0:
	.section	.rodata,"a",@progbits
	.p2align	6, 0x0
	.amdhsa_kernel _ZN7rocprim17ROCPRIM_400000_NS6detail17trampoline_kernelINS0_13select_configILj256ELj13ELNS0_17block_load_methodE3ELS4_3ELS4_3ELNS0_20block_scan_algorithmE0ELj4294967295EEENS1_25partition_config_selectorILNS1_17partition_subalgoE3EjNS0_10empty_typeEbEEZZNS1_14partition_implILS8_3ELb0ES6_jNS0_17counting_iteratorIjlEEPS9_SE_NS0_5tupleIJPjSE_EEENSF_IJSE_SE_EEES9_SG_JZNS1_25segmented_radix_sort_implINS0_14default_configELb0EPKaPaPKlPlN2at6native12_GLOBAL__N_18offset_tEEE10hipError_tPvRmT1_PNSt15iterator_traitsISY_E10value_typeET2_T3_PNSZ_IS14_E10value_typeET4_jRbjT5_S1A_jjP12ihipStream_tbEUljE_EEESV_SW_SX_S14_S18_S1A_T6_T7_T9_mT8_S1C_bDpT10_ENKUlT_T0_E_clISt17integral_constantIbLb1EES1O_IbLb0EEEEDaS1K_S1L_EUlS1K_E_NS1_11comp_targetILNS1_3genE9ELNS1_11target_archE1100ELNS1_3gpuE3ELNS1_3repE0EEENS1_30default_config_static_selectorELNS0_4arch9wavefront6targetE1EEEvSY_
		.amdhsa_group_segment_fixed_size 0
		.amdhsa_private_segment_fixed_size 0
		.amdhsa_kernarg_size 144
		.amdhsa_user_sgpr_count 6
		.amdhsa_user_sgpr_private_segment_buffer 1
		.amdhsa_user_sgpr_dispatch_ptr 0
		.amdhsa_user_sgpr_queue_ptr 0
		.amdhsa_user_sgpr_kernarg_segment_ptr 1
		.amdhsa_user_sgpr_dispatch_id 0
		.amdhsa_user_sgpr_flat_scratch_init 0
		.amdhsa_user_sgpr_kernarg_preload_length 0
		.amdhsa_user_sgpr_kernarg_preload_offset 0
		.amdhsa_user_sgpr_private_segment_size 0
		.amdhsa_uses_dynamic_stack 0
		.amdhsa_system_sgpr_private_segment_wavefront_offset 0
		.amdhsa_system_sgpr_workgroup_id_x 1
		.amdhsa_system_sgpr_workgroup_id_y 0
		.amdhsa_system_sgpr_workgroup_id_z 0
		.amdhsa_system_sgpr_workgroup_info 0
		.amdhsa_system_vgpr_workitem_id 0
		.amdhsa_next_free_vgpr 1
		.amdhsa_next_free_sgpr 0
		.amdhsa_accum_offset 4
		.amdhsa_reserve_vcc 0
		.amdhsa_reserve_flat_scratch 0
		.amdhsa_float_round_mode_32 0
		.amdhsa_float_round_mode_16_64 0
		.amdhsa_float_denorm_mode_32 3
		.amdhsa_float_denorm_mode_16_64 3
		.amdhsa_dx10_clamp 1
		.amdhsa_ieee_mode 1
		.amdhsa_fp16_overflow 0
		.amdhsa_tg_split 0
		.amdhsa_exception_fp_ieee_invalid_op 0
		.amdhsa_exception_fp_denorm_src 0
		.amdhsa_exception_fp_ieee_div_zero 0
		.amdhsa_exception_fp_ieee_overflow 0
		.amdhsa_exception_fp_ieee_underflow 0
		.amdhsa_exception_fp_ieee_inexact 0
		.amdhsa_exception_int_div_zero 0
	.end_amdhsa_kernel
	.section	.text._ZN7rocprim17ROCPRIM_400000_NS6detail17trampoline_kernelINS0_13select_configILj256ELj13ELNS0_17block_load_methodE3ELS4_3ELS4_3ELNS0_20block_scan_algorithmE0ELj4294967295EEENS1_25partition_config_selectorILNS1_17partition_subalgoE3EjNS0_10empty_typeEbEEZZNS1_14partition_implILS8_3ELb0ES6_jNS0_17counting_iteratorIjlEEPS9_SE_NS0_5tupleIJPjSE_EEENSF_IJSE_SE_EEES9_SG_JZNS1_25segmented_radix_sort_implINS0_14default_configELb0EPKaPaPKlPlN2at6native12_GLOBAL__N_18offset_tEEE10hipError_tPvRmT1_PNSt15iterator_traitsISY_E10value_typeET2_T3_PNSZ_IS14_E10value_typeET4_jRbjT5_S1A_jjP12ihipStream_tbEUljE_EEESV_SW_SX_S14_S18_S1A_T6_T7_T9_mT8_S1C_bDpT10_ENKUlT_T0_E_clISt17integral_constantIbLb1EES1O_IbLb0EEEEDaS1K_S1L_EUlS1K_E_NS1_11comp_targetILNS1_3genE9ELNS1_11target_archE1100ELNS1_3gpuE3ELNS1_3repE0EEENS1_30default_config_static_selectorELNS0_4arch9wavefront6targetE1EEEvSY_,"axG",@progbits,_ZN7rocprim17ROCPRIM_400000_NS6detail17trampoline_kernelINS0_13select_configILj256ELj13ELNS0_17block_load_methodE3ELS4_3ELS4_3ELNS0_20block_scan_algorithmE0ELj4294967295EEENS1_25partition_config_selectorILNS1_17partition_subalgoE3EjNS0_10empty_typeEbEEZZNS1_14partition_implILS8_3ELb0ES6_jNS0_17counting_iteratorIjlEEPS9_SE_NS0_5tupleIJPjSE_EEENSF_IJSE_SE_EEES9_SG_JZNS1_25segmented_radix_sort_implINS0_14default_configELb0EPKaPaPKlPlN2at6native12_GLOBAL__N_18offset_tEEE10hipError_tPvRmT1_PNSt15iterator_traitsISY_E10value_typeET2_T3_PNSZ_IS14_E10value_typeET4_jRbjT5_S1A_jjP12ihipStream_tbEUljE_EEESV_SW_SX_S14_S18_S1A_T6_T7_T9_mT8_S1C_bDpT10_ENKUlT_T0_E_clISt17integral_constantIbLb1EES1O_IbLb0EEEEDaS1K_S1L_EUlS1K_E_NS1_11comp_targetILNS1_3genE9ELNS1_11target_archE1100ELNS1_3gpuE3ELNS1_3repE0EEENS1_30default_config_static_selectorELNS0_4arch9wavefront6targetE1EEEvSY_,comdat
.Lfunc_end383:
	.size	_ZN7rocprim17ROCPRIM_400000_NS6detail17trampoline_kernelINS0_13select_configILj256ELj13ELNS0_17block_load_methodE3ELS4_3ELS4_3ELNS0_20block_scan_algorithmE0ELj4294967295EEENS1_25partition_config_selectorILNS1_17partition_subalgoE3EjNS0_10empty_typeEbEEZZNS1_14partition_implILS8_3ELb0ES6_jNS0_17counting_iteratorIjlEEPS9_SE_NS0_5tupleIJPjSE_EEENSF_IJSE_SE_EEES9_SG_JZNS1_25segmented_radix_sort_implINS0_14default_configELb0EPKaPaPKlPlN2at6native12_GLOBAL__N_18offset_tEEE10hipError_tPvRmT1_PNSt15iterator_traitsISY_E10value_typeET2_T3_PNSZ_IS14_E10value_typeET4_jRbjT5_S1A_jjP12ihipStream_tbEUljE_EEESV_SW_SX_S14_S18_S1A_T6_T7_T9_mT8_S1C_bDpT10_ENKUlT_T0_E_clISt17integral_constantIbLb1EES1O_IbLb0EEEEDaS1K_S1L_EUlS1K_E_NS1_11comp_targetILNS1_3genE9ELNS1_11target_archE1100ELNS1_3gpuE3ELNS1_3repE0EEENS1_30default_config_static_selectorELNS0_4arch9wavefront6targetE1EEEvSY_, .Lfunc_end383-_ZN7rocprim17ROCPRIM_400000_NS6detail17trampoline_kernelINS0_13select_configILj256ELj13ELNS0_17block_load_methodE3ELS4_3ELS4_3ELNS0_20block_scan_algorithmE0ELj4294967295EEENS1_25partition_config_selectorILNS1_17partition_subalgoE3EjNS0_10empty_typeEbEEZZNS1_14partition_implILS8_3ELb0ES6_jNS0_17counting_iteratorIjlEEPS9_SE_NS0_5tupleIJPjSE_EEENSF_IJSE_SE_EEES9_SG_JZNS1_25segmented_radix_sort_implINS0_14default_configELb0EPKaPaPKlPlN2at6native12_GLOBAL__N_18offset_tEEE10hipError_tPvRmT1_PNSt15iterator_traitsISY_E10value_typeET2_T3_PNSZ_IS14_E10value_typeET4_jRbjT5_S1A_jjP12ihipStream_tbEUljE_EEESV_SW_SX_S14_S18_S1A_T6_T7_T9_mT8_S1C_bDpT10_ENKUlT_T0_E_clISt17integral_constantIbLb1EES1O_IbLb0EEEEDaS1K_S1L_EUlS1K_E_NS1_11comp_targetILNS1_3genE9ELNS1_11target_archE1100ELNS1_3gpuE3ELNS1_3repE0EEENS1_30default_config_static_selectorELNS0_4arch9wavefront6targetE1EEEvSY_
                                        ; -- End function
	.section	.AMDGPU.csdata,"",@progbits
; Kernel info:
; codeLenInByte = 0
; NumSgprs: 4
; NumVgprs: 0
; NumAgprs: 0
; TotalNumVgprs: 0
; ScratchSize: 0
; MemoryBound: 0
; FloatMode: 240
; IeeeMode: 1
; LDSByteSize: 0 bytes/workgroup (compile time only)
; SGPRBlocks: 0
; VGPRBlocks: 0
; NumSGPRsForWavesPerEU: 4
; NumVGPRsForWavesPerEU: 1
; AccumOffset: 4
; Occupancy: 8
; WaveLimiterHint : 0
; COMPUTE_PGM_RSRC2:SCRATCH_EN: 0
; COMPUTE_PGM_RSRC2:USER_SGPR: 6
; COMPUTE_PGM_RSRC2:TRAP_HANDLER: 0
; COMPUTE_PGM_RSRC2:TGID_X_EN: 1
; COMPUTE_PGM_RSRC2:TGID_Y_EN: 0
; COMPUTE_PGM_RSRC2:TGID_Z_EN: 0
; COMPUTE_PGM_RSRC2:TIDIG_COMP_CNT: 0
; COMPUTE_PGM_RSRC3_GFX90A:ACCUM_OFFSET: 0
; COMPUTE_PGM_RSRC3_GFX90A:TG_SPLIT: 0
	.section	.text._ZN7rocprim17ROCPRIM_400000_NS6detail17trampoline_kernelINS0_13select_configILj256ELj13ELNS0_17block_load_methodE3ELS4_3ELS4_3ELNS0_20block_scan_algorithmE0ELj4294967295EEENS1_25partition_config_selectorILNS1_17partition_subalgoE3EjNS0_10empty_typeEbEEZZNS1_14partition_implILS8_3ELb0ES6_jNS0_17counting_iteratorIjlEEPS9_SE_NS0_5tupleIJPjSE_EEENSF_IJSE_SE_EEES9_SG_JZNS1_25segmented_radix_sort_implINS0_14default_configELb0EPKaPaPKlPlN2at6native12_GLOBAL__N_18offset_tEEE10hipError_tPvRmT1_PNSt15iterator_traitsISY_E10value_typeET2_T3_PNSZ_IS14_E10value_typeET4_jRbjT5_S1A_jjP12ihipStream_tbEUljE_EEESV_SW_SX_S14_S18_S1A_T6_T7_T9_mT8_S1C_bDpT10_ENKUlT_T0_E_clISt17integral_constantIbLb1EES1O_IbLb0EEEEDaS1K_S1L_EUlS1K_E_NS1_11comp_targetILNS1_3genE8ELNS1_11target_archE1030ELNS1_3gpuE2ELNS1_3repE0EEENS1_30default_config_static_selectorELNS0_4arch9wavefront6targetE1EEEvSY_,"axG",@progbits,_ZN7rocprim17ROCPRIM_400000_NS6detail17trampoline_kernelINS0_13select_configILj256ELj13ELNS0_17block_load_methodE3ELS4_3ELS4_3ELNS0_20block_scan_algorithmE0ELj4294967295EEENS1_25partition_config_selectorILNS1_17partition_subalgoE3EjNS0_10empty_typeEbEEZZNS1_14partition_implILS8_3ELb0ES6_jNS0_17counting_iteratorIjlEEPS9_SE_NS0_5tupleIJPjSE_EEENSF_IJSE_SE_EEES9_SG_JZNS1_25segmented_radix_sort_implINS0_14default_configELb0EPKaPaPKlPlN2at6native12_GLOBAL__N_18offset_tEEE10hipError_tPvRmT1_PNSt15iterator_traitsISY_E10value_typeET2_T3_PNSZ_IS14_E10value_typeET4_jRbjT5_S1A_jjP12ihipStream_tbEUljE_EEESV_SW_SX_S14_S18_S1A_T6_T7_T9_mT8_S1C_bDpT10_ENKUlT_T0_E_clISt17integral_constantIbLb1EES1O_IbLb0EEEEDaS1K_S1L_EUlS1K_E_NS1_11comp_targetILNS1_3genE8ELNS1_11target_archE1030ELNS1_3gpuE2ELNS1_3repE0EEENS1_30default_config_static_selectorELNS0_4arch9wavefront6targetE1EEEvSY_,comdat
	.globl	_ZN7rocprim17ROCPRIM_400000_NS6detail17trampoline_kernelINS0_13select_configILj256ELj13ELNS0_17block_load_methodE3ELS4_3ELS4_3ELNS0_20block_scan_algorithmE0ELj4294967295EEENS1_25partition_config_selectorILNS1_17partition_subalgoE3EjNS0_10empty_typeEbEEZZNS1_14partition_implILS8_3ELb0ES6_jNS0_17counting_iteratorIjlEEPS9_SE_NS0_5tupleIJPjSE_EEENSF_IJSE_SE_EEES9_SG_JZNS1_25segmented_radix_sort_implINS0_14default_configELb0EPKaPaPKlPlN2at6native12_GLOBAL__N_18offset_tEEE10hipError_tPvRmT1_PNSt15iterator_traitsISY_E10value_typeET2_T3_PNSZ_IS14_E10value_typeET4_jRbjT5_S1A_jjP12ihipStream_tbEUljE_EEESV_SW_SX_S14_S18_S1A_T6_T7_T9_mT8_S1C_bDpT10_ENKUlT_T0_E_clISt17integral_constantIbLb1EES1O_IbLb0EEEEDaS1K_S1L_EUlS1K_E_NS1_11comp_targetILNS1_3genE8ELNS1_11target_archE1030ELNS1_3gpuE2ELNS1_3repE0EEENS1_30default_config_static_selectorELNS0_4arch9wavefront6targetE1EEEvSY_ ; -- Begin function _ZN7rocprim17ROCPRIM_400000_NS6detail17trampoline_kernelINS0_13select_configILj256ELj13ELNS0_17block_load_methodE3ELS4_3ELS4_3ELNS0_20block_scan_algorithmE0ELj4294967295EEENS1_25partition_config_selectorILNS1_17partition_subalgoE3EjNS0_10empty_typeEbEEZZNS1_14partition_implILS8_3ELb0ES6_jNS0_17counting_iteratorIjlEEPS9_SE_NS0_5tupleIJPjSE_EEENSF_IJSE_SE_EEES9_SG_JZNS1_25segmented_radix_sort_implINS0_14default_configELb0EPKaPaPKlPlN2at6native12_GLOBAL__N_18offset_tEEE10hipError_tPvRmT1_PNSt15iterator_traitsISY_E10value_typeET2_T3_PNSZ_IS14_E10value_typeET4_jRbjT5_S1A_jjP12ihipStream_tbEUljE_EEESV_SW_SX_S14_S18_S1A_T6_T7_T9_mT8_S1C_bDpT10_ENKUlT_T0_E_clISt17integral_constantIbLb1EES1O_IbLb0EEEEDaS1K_S1L_EUlS1K_E_NS1_11comp_targetILNS1_3genE8ELNS1_11target_archE1030ELNS1_3gpuE2ELNS1_3repE0EEENS1_30default_config_static_selectorELNS0_4arch9wavefront6targetE1EEEvSY_
	.p2align	8
	.type	_ZN7rocprim17ROCPRIM_400000_NS6detail17trampoline_kernelINS0_13select_configILj256ELj13ELNS0_17block_load_methodE3ELS4_3ELS4_3ELNS0_20block_scan_algorithmE0ELj4294967295EEENS1_25partition_config_selectorILNS1_17partition_subalgoE3EjNS0_10empty_typeEbEEZZNS1_14partition_implILS8_3ELb0ES6_jNS0_17counting_iteratorIjlEEPS9_SE_NS0_5tupleIJPjSE_EEENSF_IJSE_SE_EEES9_SG_JZNS1_25segmented_radix_sort_implINS0_14default_configELb0EPKaPaPKlPlN2at6native12_GLOBAL__N_18offset_tEEE10hipError_tPvRmT1_PNSt15iterator_traitsISY_E10value_typeET2_T3_PNSZ_IS14_E10value_typeET4_jRbjT5_S1A_jjP12ihipStream_tbEUljE_EEESV_SW_SX_S14_S18_S1A_T6_T7_T9_mT8_S1C_bDpT10_ENKUlT_T0_E_clISt17integral_constantIbLb1EES1O_IbLb0EEEEDaS1K_S1L_EUlS1K_E_NS1_11comp_targetILNS1_3genE8ELNS1_11target_archE1030ELNS1_3gpuE2ELNS1_3repE0EEENS1_30default_config_static_selectorELNS0_4arch9wavefront6targetE1EEEvSY_,@function
_ZN7rocprim17ROCPRIM_400000_NS6detail17trampoline_kernelINS0_13select_configILj256ELj13ELNS0_17block_load_methodE3ELS4_3ELS4_3ELNS0_20block_scan_algorithmE0ELj4294967295EEENS1_25partition_config_selectorILNS1_17partition_subalgoE3EjNS0_10empty_typeEbEEZZNS1_14partition_implILS8_3ELb0ES6_jNS0_17counting_iteratorIjlEEPS9_SE_NS0_5tupleIJPjSE_EEENSF_IJSE_SE_EEES9_SG_JZNS1_25segmented_radix_sort_implINS0_14default_configELb0EPKaPaPKlPlN2at6native12_GLOBAL__N_18offset_tEEE10hipError_tPvRmT1_PNSt15iterator_traitsISY_E10value_typeET2_T3_PNSZ_IS14_E10value_typeET4_jRbjT5_S1A_jjP12ihipStream_tbEUljE_EEESV_SW_SX_S14_S18_S1A_T6_T7_T9_mT8_S1C_bDpT10_ENKUlT_T0_E_clISt17integral_constantIbLb1EES1O_IbLb0EEEEDaS1K_S1L_EUlS1K_E_NS1_11comp_targetILNS1_3genE8ELNS1_11target_archE1030ELNS1_3gpuE2ELNS1_3repE0EEENS1_30default_config_static_selectorELNS0_4arch9wavefront6targetE1EEEvSY_: ; @_ZN7rocprim17ROCPRIM_400000_NS6detail17trampoline_kernelINS0_13select_configILj256ELj13ELNS0_17block_load_methodE3ELS4_3ELS4_3ELNS0_20block_scan_algorithmE0ELj4294967295EEENS1_25partition_config_selectorILNS1_17partition_subalgoE3EjNS0_10empty_typeEbEEZZNS1_14partition_implILS8_3ELb0ES6_jNS0_17counting_iteratorIjlEEPS9_SE_NS0_5tupleIJPjSE_EEENSF_IJSE_SE_EEES9_SG_JZNS1_25segmented_radix_sort_implINS0_14default_configELb0EPKaPaPKlPlN2at6native12_GLOBAL__N_18offset_tEEE10hipError_tPvRmT1_PNSt15iterator_traitsISY_E10value_typeET2_T3_PNSZ_IS14_E10value_typeET4_jRbjT5_S1A_jjP12ihipStream_tbEUljE_EEESV_SW_SX_S14_S18_S1A_T6_T7_T9_mT8_S1C_bDpT10_ENKUlT_T0_E_clISt17integral_constantIbLb1EES1O_IbLb0EEEEDaS1K_S1L_EUlS1K_E_NS1_11comp_targetILNS1_3genE8ELNS1_11target_archE1030ELNS1_3gpuE2ELNS1_3repE0EEENS1_30default_config_static_selectorELNS0_4arch9wavefront6targetE1EEEvSY_
; %bb.0:
	.section	.rodata,"a",@progbits
	.p2align	6, 0x0
	.amdhsa_kernel _ZN7rocprim17ROCPRIM_400000_NS6detail17trampoline_kernelINS0_13select_configILj256ELj13ELNS0_17block_load_methodE3ELS4_3ELS4_3ELNS0_20block_scan_algorithmE0ELj4294967295EEENS1_25partition_config_selectorILNS1_17partition_subalgoE3EjNS0_10empty_typeEbEEZZNS1_14partition_implILS8_3ELb0ES6_jNS0_17counting_iteratorIjlEEPS9_SE_NS0_5tupleIJPjSE_EEENSF_IJSE_SE_EEES9_SG_JZNS1_25segmented_radix_sort_implINS0_14default_configELb0EPKaPaPKlPlN2at6native12_GLOBAL__N_18offset_tEEE10hipError_tPvRmT1_PNSt15iterator_traitsISY_E10value_typeET2_T3_PNSZ_IS14_E10value_typeET4_jRbjT5_S1A_jjP12ihipStream_tbEUljE_EEESV_SW_SX_S14_S18_S1A_T6_T7_T9_mT8_S1C_bDpT10_ENKUlT_T0_E_clISt17integral_constantIbLb1EES1O_IbLb0EEEEDaS1K_S1L_EUlS1K_E_NS1_11comp_targetILNS1_3genE8ELNS1_11target_archE1030ELNS1_3gpuE2ELNS1_3repE0EEENS1_30default_config_static_selectorELNS0_4arch9wavefront6targetE1EEEvSY_
		.amdhsa_group_segment_fixed_size 0
		.amdhsa_private_segment_fixed_size 0
		.amdhsa_kernarg_size 144
		.amdhsa_user_sgpr_count 6
		.amdhsa_user_sgpr_private_segment_buffer 1
		.amdhsa_user_sgpr_dispatch_ptr 0
		.amdhsa_user_sgpr_queue_ptr 0
		.amdhsa_user_sgpr_kernarg_segment_ptr 1
		.amdhsa_user_sgpr_dispatch_id 0
		.amdhsa_user_sgpr_flat_scratch_init 0
		.amdhsa_user_sgpr_kernarg_preload_length 0
		.amdhsa_user_sgpr_kernarg_preload_offset 0
		.amdhsa_user_sgpr_private_segment_size 0
		.amdhsa_uses_dynamic_stack 0
		.amdhsa_system_sgpr_private_segment_wavefront_offset 0
		.amdhsa_system_sgpr_workgroup_id_x 1
		.amdhsa_system_sgpr_workgroup_id_y 0
		.amdhsa_system_sgpr_workgroup_id_z 0
		.amdhsa_system_sgpr_workgroup_info 0
		.amdhsa_system_vgpr_workitem_id 0
		.amdhsa_next_free_vgpr 1
		.amdhsa_next_free_sgpr 0
		.amdhsa_accum_offset 4
		.amdhsa_reserve_vcc 0
		.amdhsa_reserve_flat_scratch 0
		.amdhsa_float_round_mode_32 0
		.amdhsa_float_round_mode_16_64 0
		.amdhsa_float_denorm_mode_32 3
		.amdhsa_float_denorm_mode_16_64 3
		.amdhsa_dx10_clamp 1
		.amdhsa_ieee_mode 1
		.amdhsa_fp16_overflow 0
		.amdhsa_tg_split 0
		.amdhsa_exception_fp_ieee_invalid_op 0
		.amdhsa_exception_fp_denorm_src 0
		.amdhsa_exception_fp_ieee_div_zero 0
		.amdhsa_exception_fp_ieee_overflow 0
		.amdhsa_exception_fp_ieee_underflow 0
		.amdhsa_exception_fp_ieee_inexact 0
		.amdhsa_exception_int_div_zero 0
	.end_amdhsa_kernel
	.section	.text._ZN7rocprim17ROCPRIM_400000_NS6detail17trampoline_kernelINS0_13select_configILj256ELj13ELNS0_17block_load_methodE3ELS4_3ELS4_3ELNS0_20block_scan_algorithmE0ELj4294967295EEENS1_25partition_config_selectorILNS1_17partition_subalgoE3EjNS0_10empty_typeEbEEZZNS1_14partition_implILS8_3ELb0ES6_jNS0_17counting_iteratorIjlEEPS9_SE_NS0_5tupleIJPjSE_EEENSF_IJSE_SE_EEES9_SG_JZNS1_25segmented_radix_sort_implINS0_14default_configELb0EPKaPaPKlPlN2at6native12_GLOBAL__N_18offset_tEEE10hipError_tPvRmT1_PNSt15iterator_traitsISY_E10value_typeET2_T3_PNSZ_IS14_E10value_typeET4_jRbjT5_S1A_jjP12ihipStream_tbEUljE_EEESV_SW_SX_S14_S18_S1A_T6_T7_T9_mT8_S1C_bDpT10_ENKUlT_T0_E_clISt17integral_constantIbLb1EES1O_IbLb0EEEEDaS1K_S1L_EUlS1K_E_NS1_11comp_targetILNS1_3genE8ELNS1_11target_archE1030ELNS1_3gpuE2ELNS1_3repE0EEENS1_30default_config_static_selectorELNS0_4arch9wavefront6targetE1EEEvSY_,"axG",@progbits,_ZN7rocprim17ROCPRIM_400000_NS6detail17trampoline_kernelINS0_13select_configILj256ELj13ELNS0_17block_load_methodE3ELS4_3ELS4_3ELNS0_20block_scan_algorithmE0ELj4294967295EEENS1_25partition_config_selectorILNS1_17partition_subalgoE3EjNS0_10empty_typeEbEEZZNS1_14partition_implILS8_3ELb0ES6_jNS0_17counting_iteratorIjlEEPS9_SE_NS0_5tupleIJPjSE_EEENSF_IJSE_SE_EEES9_SG_JZNS1_25segmented_radix_sort_implINS0_14default_configELb0EPKaPaPKlPlN2at6native12_GLOBAL__N_18offset_tEEE10hipError_tPvRmT1_PNSt15iterator_traitsISY_E10value_typeET2_T3_PNSZ_IS14_E10value_typeET4_jRbjT5_S1A_jjP12ihipStream_tbEUljE_EEESV_SW_SX_S14_S18_S1A_T6_T7_T9_mT8_S1C_bDpT10_ENKUlT_T0_E_clISt17integral_constantIbLb1EES1O_IbLb0EEEEDaS1K_S1L_EUlS1K_E_NS1_11comp_targetILNS1_3genE8ELNS1_11target_archE1030ELNS1_3gpuE2ELNS1_3repE0EEENS1_30default_config_static_selectorELNS0_4arch9wavefront6targetE1EEEvSY_,comdat
.Lfunc_end384:
	.size	_ZN7rocprim17ROCPRIM_400000_NS6detail17trampoline_kernelINS0_13select_configILj256ELj13ELNS0_17block_load_methodE3ELS4_3ELS4_3ELNS0_20block_scan_algorithmE0ELj4294967295EEENS1_25partition_config_selectorILNS1_17partition_subalgoE3EjNS0_10empty_typeEbEEZZNS1_14partition_implILS8_3ELb0ES6_jNS0_17counting_iteratorIjlEEPS9_SE_NS0_5tupleIJPjSE_EEENSF_IJSE_SE_EEES9_SG_JZNS1_25segmented_radix_sort_implINS0_14default_configELb0EPKaPaPKlPlN2at6native12_GLOBAL__N_18offset_tEEE10hipError_tPvRmT1_PNSt15iterator_traitsISY_E10value_typeET2_T3_PNSZ_IS14_E10value_typeET4_jRbjT5_S1A_jjP12ihipStream_tbEUljE_EEESV_SW_SX_S14_S18_S1A_T6_T7_T9_mT8_S1C_bDpT10_ENKUlT_T0_E_clISt17integral_constantIbLb1EES1O_IbLb0EEEEDaS1K_S1L_EUlS1K_E_NS1_11comp_targetILNS1_3genE8ELNS1_11target_archE1030ELNS1_3gpuE2ELNS1_3repE0EEENS1_30default_config_static_selectorELNS0_4arch9wavefront6targetE1EEEvSY_, .Lfunc_end384-_ZN7rocprim17ROCPRIM_400000_NS6detail17trampoline_kernelINS0_13select_configILj256ELj13ELNS0_17block_load_methodE3ELS4_3ELS4_3ELNS0_20block_scan_algorithmE0ELj4294967295EEENS1_25partition_config_selectorILNS1_17partition_subalgoE3EjNS0_10empty_typeEbEEZZNS1_14partition_implILS8_3ELb0ES6_jNS0_17counting_iteratorIjlEEPS9_SE_NS0_5tupleIJPjSE_EEENSF_IJSE_SE_EEES9_SG_JZNS1_25segmented_radix_sort_implINS0_14default_configELb0EPKaPaPKlPlN2at6native12_GLOBAL__N_18offset_tEEE10hipError_tPvRmT1_PNSt15iterator_traitsISY_E10value_typeET2_T3_PNSZ_IS14_E10value_typeET4_jRbjT5_S1A_jjP12ihipStream_tbEUljE_EEESV_SW_SX_S14_S18_S1A_T6_T7_T9_mT8_S1C_bDpT10_ENKUlT_T0_E_clISt17integral_constantIbLb1EES1O_IbLb0EEEEDaS1K_S1L_EUlS1K_E_NS1_11comp_targetILNS1_3genE8ELNS1_11target_archE1030ELNS1_3gpuE2ELNS1_3repE0EEENS1_30default_config_static_selectorELNS0_4arch9wavefront6targetE1EEEvSY_
                                        ; -- End function
	.section	.AMDGPU.csdata,"",@progbits
; Kernel info:
; codeLenInByte = 0
; NumSgprs: 4
; NumVgprs: 0
; NumAgprs: 0
; TotalNumVgprs: 0
; ScratchSize: 0
; MemoryBound: 0
; FloatMode: 240
; IeeeMode: 1
; LDSByteSize: 0 bytes/workgroup (compile time only)
; SGPRBlocks: 0
; VGPRBlocks: 0
; NumSGPRsForWavesPerEU: 4
; NumVGPRsForWavesPerEU: 1
; AccumOffset: 4
; Occupancy: 8
; WaveLimiterHint : 0
; COMPUTE_PGM_RSRC2:SCRATCH_EN: 0
; COMPUTE_PGM_RSRC2:USER_SGPR: 6
; COMPUTE_PGM_RSRC2:TRAP_HANDLER: 0
; COMPUTE_PGM_RSRC2:TGID_X_EN: 1
; COMPUTE_PGM_RSRC2:TGID_Y_EN: 0
; COMPUTE_PGM_RSRC2:TGID_Z_EN: 0
; COMPUTE_PGM_RSRC2:TIDIG_COMP_CNT: 0
; COMPUTE_PGM_RSRC3_GFX90A:ACCUM_OFFSET: 0
; COMPUTE_PGM_RSRC3_GFX90A:TG_SPLIT: 0
	.section	.text._ZN7rocprim17ROCPRIM_400000_NS6detail17trampoline_kernelINS0_13select_configILj256ELj13ELNS0_17block_load_methodE3ELS4_3ELS4_3ELNS0_20block_scan_algorithmE0ELj4294967295EEENS1_25partition_config_selectorILNS1_17partition_subalgoE3EjNS0_10empty_typeEbEEZZNS1_14partition_implILS8_3ELb0ES6_jNS0_17counting_iteratorIjlEEPS9_SE_NS0_5tupleIJPjSE_EEENSF_IJSE_SE_EEES9_SG_JZNS1_25segmented_radix_sort_implINS0_14default_configELb0EPKaPaPKlPlN2at6native12_GLOBAL__N_18offset_tEEE10hipError_tPvRmT1_PNSt15iterator_traitsISY_E10value_typeET2_T3_PNSZ_IS14_E10value_typeET4_jRbjT5_S1A_jjP12ihipStream_tbEUljE_EEESV_SW_SX_S14_S18_S1A_T6_T7_T9_mT8_S1C_bDpT10_ENKUlT_T0_E_clISt17integral_constantIbLb0EES1O_IbLb1EEEEDaS1K_S1L_EUlS1K_E_NS1_11comp_targetILNS1_3genE0ELNS1_11target_archE4294967295ELNS1_3gpuE0ELNS1_3repE0EEENS1_30default_config_static_selectorELNS0_4arch9wavefront6targetE1EEEvSY_,"axG",@progbits,_ZN7rocprim17ROCPRIM_400000_NS6detail17trampoline_kernelINS0_13select_configILj256ELj13ELNS0_17block_load_methodE3ELS4_3ELS4_3ELNS0_20block_scan_algorithmE0ELj4294967295EEENS1_25partition_config_selectorILNS1_17partition_subalgoE3EjNS0_10empty_typeEbEEZZNS1_14partition_implILS8_3ELb0ES6_jNS0_17counting_iteratorIjlEEPS9_SE_NS0_5tupleIJPjSE_EEENSF_IJSE_SE_EEES9_SG_JZNS1_25segmented_radix_sort_implINS0_14default_configELb0EPKaPaPKlPlN2at6native12_GLOBAL__N_18offset_tEEE10hipError_tPvRmT1_PNSt15iterator_traitsISY_E10value_typeET2_T3_PNSZ_IS14_E10value_typeET4_jRbjT5_S1A_jjP12ihipStream_tbEUljE_EEESV_SW_SX_S14_S18_S1A_T6_T7_T9_mT8_S1C_bDpT10_ENKUlT_T0_E_clISt17integral_constantIbLb0EES1O_IbLb1EEEEDaS1K_S1L_EUlS1K_E_NS1_11comp_targetILNS1_3genE0ELNS1_11target_archE4294967295ELNS1_3gpuE0ELNS1_3repE0EEENS1_30default_config_static_selectorELNS0_4arch9wavefront6targetE1EEEvSY_,comdat
	.globl	_ZN7rocprim17ROCPRIM_400000_NS6detail17trampoline_kernelINS0_13select_configILj256ELj13ELNS0_17block_load_methodE3ELS4_3ELS4_3ELNS0_20block_scan_algorithmE0ELj4294967295EEENS1_25partition_config_selectorILNS1_17partition_subalgoE3EjNS0_10empty_typeEbEEZZNS1_14partition_implILS8_3ELb0ES6_jNS0_17counting_iteratorIjlEEPS9_SE_NS0_5tupleIJPjSE_EEENSF_IJSE_SE_EEES9_SG_JZNS1_25segmented_radix_sort_implINS0_14default_configELb0EPKaPaPKlPlN2at6native12_GLOBAL__N_18offset_tEEE10hipError_tPvRmT1_PNSt15iterator_traitsISY_E10value_typeET2_T3_PNSZ_IS14_E10value_typeET4_jRbjT5_S1A_jjP12ihipStream_tbEUljE_EEESV_SW_SX_S14_S18_S1A_T6_T7_T9_mT8_S1C_bDpT10_ENKUlT_T0_E_clISt17integral_constantIbLb0EES1O_IbLb1EEEEDaS1K_S1L_EUlS1K_E_NS1_11comp_targetILNS1_3genE0ELNS1_11target_archE4294967295ELNS1_3gpuE0ELNS1_3repE0EEENS1_30default_config_static_selectorELNS0_4arch9wavefront6targetE1EEEvSY_ ; -- Begin function _ZN7rocprim17ROCPRIM_400000_NS6detail17trampoline_kernelINS0_13select_configILj256ELj13ELNS0_17block_load_methodE3ELS4_3ELS4_3ELNS0_20block_scan_algorithmE0ELj4294967295EEENS1_25partition_config_selectorILNS1_17partition_subalgoE3EjNS0_10empty_typeEbEEZZNS1_14partition_implILS8_3ELb0ES6_jNS0_17counting_iteratorIjlEEPS9_SE_NS0_5tupleIJPjSE_EEENSF_IJSE_SE_EEES9_SG_JZNS1_25segmented_radix_sort_implINS0_14default_configELb0EPKaPaPKlPlN2at6native12_GLOBAL__N_18offset_tEEE10hipError_tPvRmT1_PNSt15iterator_traitsISY_E10value_typeET2_T3_PNSZ_IS14_E10value_typeET4_jRbjT5_S1A_jjP12ihipStream_tbEUljE_EEESV_SW_SX_S14_S18_S1A_T6_T7_T9_mT8_S1C_bDpT10_ENKUlT_T0_E_clISt17integral_constantIbLb0EES1O_IbLb1EEEEDaS1K_S1L_EUlS1K_E_NS1_11comp_targetILNS1_3genE0ELNS1_11target_archE4294967295ELNS1_3gpuE0ELNS1_3repE0EEENS1_30default_config_static_selectorELNS0_4arch9wavefront6targetE1EEEvSY_
	.p2align	8
	.type	_ZN7rocprim17ROCPRIM_400000_NS6detail17trampoline_kernelINS0_13select_configILj256ELj13ELNS0_17block_load_methodE3ELS4_3ELS4_3ELNS0_20block_scan_algorithmE0ELj4294967295EEENS1_25partition_config_selectorILNS1_17partition_subalgoE3EjNS0_10empty_typeEbEEZZNS1_14partition_implILS8_3ELb0ES6_jNS0_17counting_iteratorIjlEEPS9_SE_NS0_5tupleIJPjSE_EEENSF_IJSE_SE_EEES9_SG_JZNS1_25segmented_radix_sort_implINS0_14default_configELb0EPKaPaPKlPlN2at6native12_GLOBAL__N_18offset_tEEE10hipError_tPvRmT1_PNSt15iterator_traitsISY_E10value_typeET2_T3_PNSZ_IS14_E10value_typeET4_jRbjT5_S1A_jjP12ihipStream_tbEUljE_EEESV_SW_SX_S14_S18_S1A_T6_T7_T9_mT8_S1C_bDpT10_ENKUlT_T0_E_clISt17integral_constantIbLb0EES1O_IbLb1EEEEDaS1K_S1L_EUlS1K_E_NS1_11comp_targetILNS1_3genE0ELNS1_11target_archE4294967295ELNS1_3gpuE0ELNS1_3repE0EEENS1_30default_config_static_selectorELNS0_4arch9wavefront6targetE1EEEvSY_,@function
_ZN7rocprim17ROCPRIM_400000_NS6detail17trampoline_kernelINS0_13select_configILj256ELj13ELNS0_17block_load_methodE3ELS4_3ELS4_3ELNS0_20block_scan_algorithmE0ELj4294967295EEENS1_25partition_config_selectorILNS1_17partition_subalgoE3EjNS0_10empty_typeEbEEZZNS1_14partition_implILS8_3ELb0ES6_jNS0_17counting_iteratorIjlEEPS9_SE_NS0_5tupleIJPjSE_EEENSF_IJSE_SE_EEES9_SG_JZNS1_25segmented_radix_sort_implINS0_14default_configELb0EPKaPaPKlPlN2at6native12_GLOBAL__N_18offset_tEEE10hipError_tPvRmT1_PNSt15iterator_traitsISY_E10value_typeET2_T3_PNSZ_IS14_E10value_typeET4_jRbjT5_S1A_jjP12ihipStream_tbEUljE_EEESV_SW_SX_S14_S18_S1A_T6_T7_T9_mT8_S1C_bDpT10_ENKUlT_T0_E_clISt17integral_constantIbLb0EES1O_IbLb1EEEEDaS1K_S1L_EUlS1K_E_NS1_11comp_targetILNS1_3genE0ELNS1_11target_archE4294967295ELNS1_3gpuE0ELNS1_3repE0EEENS1_30default_config_static_selectorELNS0_4arch9wavefront6targetE1EEEvSY_: ; @_ZN7rocprim17ROCPRIM_400000_NS6detail17trampoline_kernelINS0_13select_configILj256ELj13ELNS0_17block_load_methodE3ELS4_3ELS4_3ELNS0_20block_scan_algorithmE0ELj4294967295EEENS1_25partition_config_selectorILNS1_17partition_subalgoE3EjNS0_10empty_typeEbEEZZNS1_14partition_implILS8_3ELb0ES6_jNS0_17counting_iteratorIjlEEPS9_SE_NS0_5tupleIJPjSE_EEENSF_IJSE_SE_EEES9_SG_JZNS1_25segmented_radix_sort_implINS0_14default_configELb0EPKaPaPKlPlN2at6native12_GLOBAL__N_18offset_tEEE10hipError_tPvRmT1_PNSt15iterator_traitsISY_E10value_typeET2_T3_PNSZ_IS14_E10value_typeET4_jRbjT5_S1A_jjP12ihipStream_tbEUljE_EEESV_SW_SX_S14_S18_S1A_T6_T7_T9_mT8_S1C_bDpT10_ENKUlT_T0_E_clISt17integral_constantIbLb0EES1O_IbLb1EEEEDaS1K_S1L_EUlS1K_E_NS1_11comp_targetILNS1_3genE0ELNS1_11target_archE4294967295ELNS1_3gpuE0ELNS1_3repE0EEENS1_30default_config_static_selectorELNS0_4arch9wavefront6targetE1EEEvSY_
; %bb.0:
	.section	.rodata,"a",@progbits
	.p2align	6, 0x0
	.amdhsa_kernel _ZN7rocprim17ROCPRIM_400000_NS6detail17trampoline_kernelINS0_13select_configILj256ELj13ELNS0_17block_load_methodE3ELS4_3ELS4_3ELNS0_20block_scan_algorithmE0ELj4294967295EEENS1_25partition_config_selectorILNS1_17partition_subalgoE3EjNS0_10empty_typeEbEEZZNS1_14partition_implILS8_3ELb0ES6_jNS0_17counting_iteratorIjlEEPS9_SE_NS0_5tupleIJPjSE_EEENSF_IJSE_SE_EEES9_SG_JZNS1_25segmented_radix_sort_implINS0_14default_configELb0EPKaPaPKlPlN2at6native12_GLOBAL__N_18offset_tEEE10hipError_tPvRmT1_PNSt15iterator_traitsISY_E10value_typeET2_T3_PNSZ_IS14_E10value_typeET4_jRbjT5_S1A_jjP12ihipStream_tbEUljE_EEESV_SW_SX_S14_S18_S1A_T6_T7_T9_mT8_S1C_bDpT10_ENKUlT_T0_E_clISt17integral_constantIbLb0EES1O_IbLb1EEEEDaS1K_S1L_EUlS1K_E_NS1_11comp_targetILNS1_3genE0ELNS1_11target_archE4294967295ELNS1_3gpuE0ELNS1_3repE0EEENS1_30default_config_static_selectorELNS0_4arch9wavefront6targetE1EEEvSY_
		.amdhsa_group_segment_fixed_size 0
		.amdhsa_private_segment_fixed_size 0
		.amdhsa_kernarg_size 152
		.amdhsa_user_sgpr_count 6
		.amdhsa_user_sgpr_private_segment_buffer 1
		.amdhsa_user_sgpr_dispatch_ptr 0
		.amdhsa_user_sgpr_queue_ptr 0
		.amdhsa_user_sgpr_kernarg_segment_ptr 1
		.amdhsa_user_sgpr_dispatch_id 0
		.amdhsa_user_sgpr_flat_scratch_init 0
		.amdhsa_user_sgpr_kernarg_preload_length 0
		.amdhsa_user_sgpr_kernarg_preload_offset 0
		.amdhsa_user_sgpr_private_segment_size 0
		.amdhsa_uses_dynamic_stack 0
		.amdhsa_system_sgpr_private_segment_wavefront_offset 0
		.amdhsa_system_sgpr_workgroup_id_x 1
		.amdhsa_system_sgpr_workgroup_id_y 0
		.amdhsa_system_sgpr_workgroup_id_z 0
		.amdhsa_system_sgpr_workgroup_info 0
		.amdhsa_system_vgpr_workitem_id 0
		.amdhsa_next_free_vgpr 1
		.amdhsa_next_free_sgpr 0
		.amdhsa_accum_offset 4
		.amdhsa_reserve_vcc 0
		.amdhsa_reserve_flat_scratch 0
		.amdhsa_float_round_mode_32 0
		.amdhsa_float_round_mode_16_64 0
		.amdhsa_float_denorm_mode_32 3
		.amdhsa_float_denorm_mode_16_64 3
		.amdhsa_dx10_clamp 1
		.amdhsa_ieee_mode 1
		.amdhsa_fp16_overflow 0
		.amdhsa_tg_split 0
		.amdhsa_exception_fp_ieee_invalid_op 0
		.amdhsa_exception_fp_denorm_src 0
		.amdhsa_exception_fp_ieee_div_zero 0
		.amdhsa_exception_fp_ieee_overflow 0
		.amdhsa_exception_fp_ieee_underflow 0
		.amdhsa_exception_fp_ieee_inexact 0
		.amdhsa_exception_int_div_zero 0
	.end_amdhsa_kernel
	.section	.text._ZN7rocprim17ROCPRIM_400000_NS6detail17trampoline_kernelINS0_13select_configILj256ELj13ELNS0_17block_load_methodE3ELS4_3ELS4_3ELNS0_20block_scan_algorithmE0ELj4294967295EEENS1_25partition_config_selectorILNS1_17partition_subalgoE3EjNS0_10empty_typeEbEEZZNS1_14partition_implILS8_3ELb0ES6_jNS0_17counting_iteratorIjlEEPS9_SE_NS0_5tupleIJPjSE_EEENSF_IJSE_SE_EEES9_SG_JZNS1_25segmented_radix_sort_implINS0_14default_configELb0EPKaPaPKlPlN2at6native12_GLOBAL__N_18offset_tEEE10hipError_tPvRmT1_PNSt15iterator_traitsISY_E10value_typeET2_T3_PNSZ_IS14_E10value_typeET4_jRbjT5_S1A_jjP12ihipStream_tbEUljE_EEESV_SW_SX_S14_S18_S1A_T6_T7_T9_mT8_S1C_bDpT10_ENKUlT_T0_E_clISt17integral_constantIbLb0EES1O_IbLb1EEEEDaS1K_S1L_EUlS1K_E_NS1_11comp_targetILNS1_3genE0ELNS1_11target_archE4294967295ELNS1_3gpuE0ELNS1_3repE0EEENS1_30default_config_static_selectorELNS0_4arch9wavefront6targetE1EEEvSY_,"axG",@progbits,_ZN7rocprim17ROCPRIM_400000_NS6detail17trampoline_kernelINS0_13select_configILj256ELj13ELNS0_17block_load_methodE3ELS4_3ELS4_3ELNS0_20block_scan_algorithmE0ELj4294967295EEENS1_25partition_config_selectorILNS1_17partition_subalgoE3EjNS0_10empty_typeEbEEZZNS1_14partition_implILS8_3ELb0ES6_jNS0_17counting_iteratorIjlEEPS9_SE_NS0_5tupleIJPjSE_EEENSF_IJSE_SE_EEES9_SG_JZNS1_25segmented_radix_sort_implINS0_14default_configELb0EPKaPaPKlPlN2at6native12_GLOBAL__N_18offset_tEEE10hipError_tPvRmT1_PNSt15iterator_traitsISY_E10value_typeET2_T3_PNSZ_IS14_E10value_typeET4_jRbjT5_S1A_jjP12ihipStream_tbEUljE_EEESV_SW_SX_S14_S18_S1A_T6_T7_T9_mT8_S1C_bDpT10_ENKUlT_T0_E_clISt17integral_constantIbLb0EES1O_IbLb1EEEEDaS1K_S1L_EUlS1K_E_NS1_11comp_targetILNS1_3genE0ELNS1_11target_archE4294967295ELNS1_3gpuE0ELNS1_3repE0EEENS1_30default_config_static_selectorELNS0_4arch9wavefront6targetE1EEEvSY_,comdat
.Lfunc_end385:
	.size	_ZN7rocprim17ROCPRIM_400000_NS6detail17trampoline_kernelINS0_13select_configILj256ELj13ELNS0_17block_load_methodE3ELS4_3ELS4_3ELNS0_20block_scan_algorithmE0ELj4294967295EEENS1_25partition_config_selectorILNS1_17partition_subalgoE3EjNS0_10empty_typeEbEEZZNS1_14partition_implILS8_3ELb0ES6_jNS0_17counting_iteratorIjlEEPS9_SE_NS0_5tupleIJPjSE_EEENSF_IJSE_SE_EEES9_SG_JZNS1_25segmented_radix_sort_implINS0_14default_configELb0EPKaPaPKlPlN2at6native12_GLOBAL__N_18offset_tEEE10hipError_tPvRmT1_PNSt15iterator_traitsISY_E10value_typeET2_T3_PNSZ_IS14_E10value_typeET4_jRbjT5_S1A_jjP12ihipStream_tbEUljE_EEESV_SW_SX_S14_S18_S1A_T6_T7_T9_mT8_S1C_bDpT10_ENKUlT_T0_E_clISt17integral_constantIbLb0EES1O_IbLb1EEEEDaS1K_S1L_EUlS1K_E_NS1_11comp_targetILNS1_3genE0ELNS1_11target_archE4294967295ELNS1_3gpuE0ELNS1_3repE0EEENS1_30default_config_static_selectorELNS0_4arch9wavefront6targetE1EEEvSY_, .Lfunc_end385-_ZN7rocprim17ROCPRIM_400000_NS6detail17trampoline_kernelINS0_13select_configILj256ELj13ELNS0_17block_load_methodE3ELS4_3ELS4_3ELNS0_20block_scan_algorithmE0ELj4294967295EEENS1_25partition_config_selectorILNS1_17partition_subalgoE3EjNS0_10empty_typeEbEEZZNS1_14partition_implILS8_3ELb0ES6_jNS0_17counting_iteratorIjlEEPS9_SE_NS0_5tupleIJPjSE_EEENSF_IJSE_SE_EEES9_SG_JZNS1_25segmented_radix_sort_implINS0_14default_configELb0EPKaPaPKlPlN2at6native12_GLOBAL__N_18offset_tEEE10hipError_tPvRmT1_PNSt15iterator_traitsISY_E10value_typeET2_T3_PNSZ_IS14_E10value_typeET4_jRbjT5_S1A_jjP12ihipStream_tbEUljE_EEESV_SW_SX_S14_S18_S1A_T6_T7_T9_mT8_S1C_bDpT10_ENKUlT_T0_E_clISt17integral_constantIbLb0EES1O_IbLb1EEEEDaS1K_S1L_EUlS1K_E_NS1_11comp_targetILNS1_3genE0ELNS1_11target_archE4294967295ELNS1_3gpuE0ELNS1_3repE0EEENS1_30default_config_static_selectorELNS0_4arch9wavefront6targetE1EEEvSY_
                                        ; -- End function
	.section	.AMDGPU.csdata,"",@progbits
; Kernel info:
; codeLenInByte = 0
; NumSgprs: 4
; NumVgprs: 0
; NumAgprs: 0
; TotalNumVgprs: 0
; ScratchSize: 0
; MemoryBound: 0
; FloatMode: 240
; IeeeMode: 1
; LDSByteSize: 0 bytes/workgroup (compile time only)
; SGPRBlocks: 0
; VGPRBlocks: 0
; NumSGPRsForWavesPerEU: 4
; NumVGPRsForWavesPerEU: 1
; AccumOffset: 4
; Occupancy: 8
; WaveLimiterHint : 0
; COMPUTE_PGM_RSRC2:SCRATCH_EN: 0
; COMPUTE_PGM_RSRC2:USER_SGPR: 6
; COMPUTE_PGM_RSRC2:TRAP_HANDLER: 0
; COMPUTE_PGM_RSRC2:TGID_X_EN: 1
; COMPUTE_PGM_RSRC2:TGID_Y_EN: 0
; COMPUTE_PGM_RSRC2:TGID_Z_EN: 0
; COMPUTE_PGM_RSRC2:TIDIG_COMP_CNT: 0
; COMPUTE_PGM_RSRC3_GFX90A:ACCUM_OFFSET: 0
; COMPUTE_PGM_RSRC3_GFX90A:TG_SPLIT: 0
	.section	.text._ZN7rocprim17ROCPRIM_400000_NS6detail17trampoline_kernelINS0_13select_configILj256ELj13ELNS0_17block_load_methodE3ELS4_3ELS4_3ELNS0_20block_scan_algorithmE0ELj4294967295EEENS1_25partition_config_selectorILNS1_17partition_subalgoE3EjNS0_10empty_typeEbEEZZNS1_14partition_implILS8_3ELb0ES6_jNS0_17counting_iteratorIjlEEPS9_SE_NS0_5tupleIJPjSE_EEENSF_IJSE_SE_EEES9_SG_JZNS1_25segmented_radix_sort_implINS0_14default_configELb0EPKaPaPKlPlN2at6native12_GLOBAL__N_18offset_tEEE10hipError_tPvRmT1_PNSt15iterator_traitsISY_E10value_typeET2_T3_PNSZ_IS14_E10value_typeET4_jRbjT5_S1A_jjP12ihipStream_tbEUljE_EEESV_SW_SX_S14_S18_S1A_T6_T7_T9_mT8_S1C_bDpT10_ENKUlT_T0_E_clISt17integral_constantIbLb0EES1O_IbLb1EEEEDaS1K_S1L_EUlS1K_E_NS1_11comp_targetILNS1_3genE5ELNS1_11target_archE942ELNS1_3gpuE9ELNS1_3repE0EEENS1_30default_config_static_selectorELNS0_4arch9wavefront6targetE1EEEvSY_,"axG",@progbits,_ZN7rocprim17ROCPRIM_400000_NS6detail17trampoline_kernelINS0_13select_configILj256ELj13ELNS0_17block_load_methodE3ELS4_3ELS4_3ELNS0_20block_scan_algorithmE0ELj4294967295EEENS1_25partition_config_selectorILNS1_17partition_subalgoE3EjNS0_10empty_typeEbEEZZNS1_14partition_implILS8_3ELb0ES6_jNS0_17counting_iteratorIjlEEPS9_SE_NS0_5tupleIJPjSE_EEENSF_IJSE_SE_EEES9_SG_JZNS1_25segmented_radix_sort_implINS0_14default_configELb0EPKaPaPKlPlN2at6native12_GLOBAL__N_18offset_tEEE10hipError_tPvRmT1_PNSt15iterator_traitsISY_E10value_typeET2_T3_PNSZ_IS14_E10value_typeET4_jRbjT5_S1A_jjP12ihipStream_tbEUljE_EEESV_SW_SX_S14_S18_S1A_T6_T7_T9_mT8_S1C_bDpT10_ENKUlT_T0_E_clISt17integral_constantIbLb0EES1O_IbLb1EEEEDaS1K_S1L_EUlS1K_E_NS1_11comp_targetILNS1_3genE5ELNS1_11target_archE942ELNS1_3gpuE9ELNS1_3repE0EEENS1_30default_config_static_selectorELNS0_4arch9wavefront6targetE1EEEvSY_,comdat
	.globl	_ZN7rocprim17ROCPRIM_400000_NS6detail17trampoline_kernelINS0_13select_configILj256ELj13ELNS0_17block_load_methodE3ELS4_3ELS4_3ELNS0_20block_scan_algorithmE0ELj4294967295EEENS1_25partition_config_selectorILNS1_17partition_subalgoE3EjNS0_10empty_typeEbEEZZNS1_14partition_implILS8_3ELb0ES6_jNS0_17counting_iteratorIjlEEPS9_SE_NS0_5tupleIJPjSE_EEENSF_IJSE_SE_EEES9_SG_JZNS1_25segmented_radix_sort_implINS0_14default_configELb0EPKaPaPKlPlN2at6native12_GLOBAL__N_18offset_tEEE10hipError_tPvRmT1_PNSt15iterator_traitsISY_E10value_typeET2_T3_PNSZ_IS14_E10value_typeET4_jRbjT5_S1A_jjP12ihipStream_tbEUljE_EEESV_SW_SX_S14_S18_S1A_T6_T7_T9_mT8_S1C_bDpT10_ENKUlT_T0_E_clISt17integral_constantIbLb0EES1O_IbLb1EEEEDaS1K_S1L_EUlS1K_E_NS1_11comp_targetILNS1_3genE5ELNS1_11target_archE942ELNS1_3gpuE9ELNS1_3repE0EEENS1_30default_config_static_selectorELNS0_4arch9wavefront6targetE1EEEvSY_ ; -- Begin function _ZN7rocprim17ROCPRIM_400000_NS6detail17trampoline_kernelINS0_13select_configILj256ELj13ELNS0_17block_load_methodE3ELS4_3ELS4_3ELNS0_20block_scan_algorithmE0ELj4294967295EEENS1_25partition_config_selectorILNS1_17partition_subalgoE3EjNS0_10empty_typeEbEEZZNS1_14partition_implILS8_3ELb0ES6_jNS0_17counting_iteratorIjlEEPS9_SE_NS0_5tupleIJPjSE_EEENSF_IJSE_SE_EEES9_SG_JZNS1_25segmented_radix_sort_implINS0_14default_configELb0EPKaPaPKlPlN2at6native12_GLOBAL__N_18offset_tEEE10hipError_tPvRmT1_PNSt15iterator_traitsISY_E10value_typeET2_T3_PNSZ_IS14_E10value_typeET4_jRbjT5_S1A_jjP12ihipStream_tbEUljE_EEESV_SW_SX_S14_S18_S1A_T6_T7_T9_mT8_S1C_bDpT10_ENKUlT_T0_E_clISt17integral_constantIbLb0EES1O_IbLb1EEEEDaS1K_S1L_EUlS1K_E_NS1_11comp_targetILNS1_3genE5ELNS1_11target_archE942ELNS1_3gpuE9ELNS1_3repE0EEENS1_30default_config_static_selectorELNS0_4arch9wavefront6targetE1EEEvSY_
	.p2align	8
	.type	_ZN7rocprim17ROCPRIM_400000_NS6detail17trampoline_kernelINS0_13select_configILj256ELj13ELNS0_17block_load_methodE3ELS4_3ELS4_3ELNS0_20block_scan_algorithmE0ELj4294967295EEENS1_25partition_config_selectorILNS1_17partition_subalgoE3EjNS0_10empty_typeEbEEZZNS1_14partition_implILS8_3ELb0ES6_jNS0_17counting_iteratorIjlEEPS9_SE_NS0_5tupleIJPjSE_EEENSF_IJSE_SE_EEES9_SG_JZNS1_25segmented_radix_sort_implINS0_14default_configELb0EPKaPaPKlPlN2at6native12_GLOBAL__N_18offset_tEEE10hipError_tPvRmT1_PNSt15iterator_traitsISY_E10value_typeET2_T3_PNSZ_IS14_E10value_typeET4_jRbjT5_S1A_jjP12ihipStream_tbEUljE_EEESV_SW_SX_S14_S18_S1A_T6_T7_T9_mT8_S1C_bDpT10_ENKUlT_T0_E_clISt17integral_constantIbLb0EES1O_IbLb1EEEEDaS1K_S1L_EUlS1K_E_NS1_11comp_targetILNS1_3genE5ELNS1_11target_archE942ELNS1_3gpuE9ELNS1_3repE0EEENS1_30default_config_static_selectorELNS0_4arch9wavefront6targetE1EEEvSY_,@function
_ZN7rocprim17ROCPRIM_400000_NS6detail17trampoline_kernelINS0_13select_configILj256ELj13ELNS0_17block_load_methodE3ELS4_3ELS4_3ELNS0_20block_scan_algorithmE0ELj4294967295EEENS1_25partition_config_selectorILNS1_17partition_subalgoE3EjNS0_10empty_typeEbEEZZNS1_14partition_implILS8_3ELb0ES6_jNS0_17counting_iteratorIjlEEPS9_SE_NS0_5tupleIJPjSE_EEENSF_IJSE_SE_EEES9_SG_JZNS1_25segmented_radix_sort_implINS0_14default_configELb0EPKaPaPKlPlN2at6native12_GLOBAL__N_18offset_tEEE10hipError_tPvRmT1_PNSt15iterator_traitsISY_E10value_typeET2_T3_PNSZ_IS14_E10value_typeET4_jRbjT5_S1A_jjP12ihipStream_tbEUljE_EEESV_SW_SX_S14_S18_S1A_T6_T7_T9_mT8_S1C_bDpT10_ENKUlT_T0_E_clISt17integral_constantIbLb0EES1O_IbLb1EEEEDaS1K_S1L_EUlS1K_E_NS1_11comp_targetILNS1_3genE5ELNS1_11target_archE942ELNS1_3gpuE9ELNS1_3repE0EEENS1_30default_config_static_selectorELNS0_4arch9wavefront6targetE1EEEvSY_: ; @_ZN7rocprim17ROCPRIM_400000_NS6detail17trampoline_kernelINS0_13select_configILj256ELj13ELNS0_17block_load_methodE3ELS4_3ELS4_3ELNS0_20block_scan_algorithmE0ELj4294967295EEENS1_25partition_config_selectorILNS1_17partition_subalgoE3EjNS0_10empty_typeEbEEZZNS1_14partition_implILS8_3ELb0ES6_jNS0_17counting_iteratorIjlEEPS9_SE_NS0_5tupleIJPjSE_EEENSF_IJSE_SE_EEES9_SG_JZNS1_25segmented_radix_sort_implINS0_14default_configELb0EPKaPaPKlPlN2at6native12_GLOBAL__N_18offset_tEEE10hipError_tPvRmT1_PNSt15iterator_traitsISY_E10value_typeET2_T3_PNSZ_IS14_E10value_typeET4_jRbjT5_S1A_jjP12ihipStream_tbEUljE_EEESV_SW_SX_S14_S18_S1A_T6_T7_T9_mT8_S1C_bDpT10_ENKUlT_T0_E_clISt17integral_constantIbLb0EES1O_IbLb1EEEEDaS1K_S1L_EUlS1K_E_NS1_11comp_targetILNS1_3genE5ELNS1_11target_archE942ELNS1_3gpuE9ELNS1_3repE0EEENS1_30default_config_static_selectorELNS0_4arch9wavefront6targetE1EEEvSY_
; %bb.0:
	.section	.rodata,"a",@progbits
	.p2align	6, 0x0
	.amdhsa_kernel _ZN7rocprim17ROCPRIM_400000_NS6detail17trampoline_kernelINS0_13select_configILj256ELj13ELNS0_17block_load_methodE3ELS4_3ELS4_3ELNS0_20block_scan_algorithmE0ELj4294967295EEENS1_25partition_config_selectorILNS1_17partition_subalgoE3EjNS0_10empty_typeEbEEZZNS1_14partition_implILS8_3ELb0ES6_jNS0_17counting_iteratorIjlEEPS9_SE_NS0_5tupleIJPjSE_EEENSF_IJSE_SE_EEES9_SG_JZNS1_25segmented_radix_sort_implINS0_14default_configELb0EPKaPaPKlPlN2at6native12_GLOBAL__N_18offset_tEEE10hipError_tPvRmT1_PNSt15iterator_traitsISY_E10value_typeET2_T3_PNSZ_IS14_E10value_typeET4_jRbjT5_S1A_jjP12ihipStream_tbEUljE_EEESV_SW_SX_S14_S18_S1A_T6_T7_T9_mT8_S1C_bDpT10_ENKUlT_T0_E_clISt17integral_constantIbLb0EES1O_IbLb1EEEEDaS1K_S1L_EUlS1K_E_NS1_11comp_targetILNS1_3genE5ELNS1_11target_archE942ELNS1_3gpuE9ELNS1_3repE0EEENS1_30default_config_static_selectorELNS0_4arch9wavefront6targetE1EEEvSY_
		.amdhsa_group_segment_fixed_size 0
		.amdhsa_private_segment_fixed_size 0
		.amdhsa_kernarg_size 152
		.amdhsa_user_sgpr_count 6
		.amdhsa_user_sgpr_private_segment_buffer 1
		.amdhsa_user_sgpr_dispatch_ptr 0
		.amdhsa_user_sgpr_queue_ptr 0
		.amdhsa_user_sgpr_kernarg_segment_ptr 1
		.amdhsa_user_sgpr_dispatch_id 0
		.amdhsa_user_sgpr_flat_scratch_init 0
		.amdhsa_user_sgpr_kernarg_preload_length 0
		.amdhsa_user_sgpr_kernarg_preload_offset 0
		.amdhsa_user_sgpr_private_segment_size 0
		.amdhsa_uses_dynamic_stack 0
		.amdhsa_system_sgpr_private_segment_wavefront_offset 0
		.amdhsa_system_sgpr_workgroup_id_x 1
		.amdhsa_system_sgpr_workgroup_id_y 0
		.amdhsa_system_sgpr_workgroup_id_z 0
		.amdhsa_system_sgpr_workgroup_info 0
		.amdhsa_system_vgpr_workitem_id 0
		.amdhsa_next_free_vgpr 1
		.amdhsa_next_free_sgpr 0
		.amdhsa_accum_offset 4
		.amdhsa_reserve_vcc 0
		.amdhsa_reserve_flat_scratch 0
		.amdhsa_float_round_mode_32 0
		.amdhsa_float_round_mode_16_64 0
		.amdhsa_float_denorm_mode_32 3
		.amdhsa_float_denorm_mode_16_64 3
		.amdhsa_dx10_clamp 1
		.amdhsa_ieee_mode 1
		.amdhsa_fp16_overflow 0
		.amdhsa_tg_split 0
		.amdhsa_exception_fp_ieee_invalid_op 0
		.amdhsa_exception_fp_denorm_src 0
		.amdhsa_exception_fp_ieee_div_zero 0
		.amdhsa_exception_fp_ieee_overflow 0
		.amdhsa_exception_fp_ieee_underflow 0
		.amdhsa_exception_fp_ieee_inexact 0
		.amdhsa_exception_int_div_zero 0
	.end_amdhsa_kernel
	.section	.text._ZN7rocprim17ROCPRIM_400000_NS6detail17trampoline_kernelINS0_13select_configILj256ELj13ELNS0_17block_load_methodE3ELS4_3ELS4_3ELNS0_20block_scan_algorithmE0ELj4294967295EEENS1_25partition_config_selectorILNS1_17partition_subalgoE3EjNS0_10empty_typeEbEEZZNS1_14partition_implILS8_3ELb0ES6_jNS0_17counting_iteratorIjlEEPS9_SE_NS0_5tupleIJPjSE_EEENSF_IJSE_SE_EEES9_SG_JZNS1_25segmented_radix_sort_implINS0_14default_configELb0EPKaPaPKlPlN2at6native12_GLOBAL__N_18offset_tEEE10hipError_tPvRmT1_PNSt15iterator_traitsISY_E10value_typeET2_T3_PNSZ_IS14_E10value_typeET4_jRbjT5_S1A_jjP12ihipStream_tbEUljE_EEESV_SW_SX_S14_S18_S1A_T6_T7_T9_mT8_S1C_bDpT10_ENKUlT_T0_E_clISt17integral_constantIbLb0EES1O_IbLb1EEEEDaS1K_S1L_EUlS1K_E_NS1_11comp_targetILNS1_3genE5ELNS1_11target_archE942ELNS1_3gpuE9ELNS1_3repE0EEENS1_30default_config_static_selectorELNS0_4arch9wavefront6targetE1EEEvSY_,"axG",@progbits,_ZN7rocprim17ROCPRIM_400000_NS6detail17trampoline_kernelINS0_13select_configILj256ELj13ELNS0_17block_load_methodE3ELS4_3ELS4_3ELNS0_20block_scan_algorithmE0ELj4294967295EEENS1_25partition_config_selectorILNS1_17partition_subalgoE3EjNS0_10empty_typeEbEEZZNS1_14partition_implILS8_3ELb0ES6_jNS0_17counting_iteratorIjlEEPS9_SE_NS0_5tupleIJPjSE_EEENSF_IJSE_SE_EEES9_SG_JZNS1_25segmented_radix_sort_implINS0_14default_configELb0EPKaPaPKlPlN2at6native12_GLOBAL__N_18offset_tEEE10hipError_tPvRmT1_PNSt15iterator_traitsISY_E10value_typeET2_T3_PNSZ_IS14_E10value_typeET4_jRbjT5_S1A_jjP12ihipStream_tbEUljE_EEESV_SW_SX_S14_S18_S1A_T6_T7_T9_mT8_S1C_bDpT10_ENKUlT_T0_E_clISt17integral_constantIbLb0EES1O_IbLb1EEEEDaS1K_S1L_EUlS1K_E_NS1_11comp_targetILNS1_3genE5ELNS1_11target_archE942ELNS1_3gpuE9ELNS1_3repE0EEENS1_30default_config_static_selectorELNS0_4arch9wavefront6targetE1EEEvSY_,comdat
.Lfunc_end386:
	.size	_ZN7rocprim17ROCPRIM_400000_NS6detail17trampoline_kernelINS0_13select_configILj256ELj13ELNS0_17block_load_methodE3ELS4_3ELS4_3ELNS0_20block_scan_algorithmE0ELj4294967295EEENS1_25partition_config_selectorILNS1_17partition_subalgoE3EjNS0_10empty_typeEbEEZZNS1_14partition_implILS8_3ELb0ES6_jNS0_17counting_iteratorIjlEEPS9_SE_NS0_5tupleIJPjSE_EEENSF_IJSE_SE_EEES9_SG_JZNS1_25segmented_radix_sort_implINS0_14default_configELb0EPKaPaPKlPlN2at6native12_GLOBAL__N_18offset_tEEE10hipError_tPvRmT1_PNSt15iterator_traitsISY_E10value_typeET2_T3_PNSZ_IS14_E10value_typeET4_jRbjT5_S1A_jjP12ihipStream_tbEUljE_EEESV_SW_SX_S14_S18_S1A_T6_T7_T9_mT8_S1C_bDpT10_ENKUlT_T0_E_clISt17integral_constantIbLb0EES1O_IbLb1EEEEDaS1K_S1L_EUlS1K_E_NS1_11comp_targetILNS1_3genE5ELNS1_11target_archE942ELNS1_3gpuE9ELNS1_3repE0EEENS1_30default_config_static_selectorELNS0_4arch9wavefront6targetE1EEEvSY_, .Lfunc_end386-_ZN7rocprim17ROCPRIM_400000_NS6detail17trampoline_kernelINS0_13select_configILj256ELj13ELNS0_17block_load_methodE3ELS4_3ELS4_3ELNS0_20block_scan_algorithmE0ELj4294967295EEENS1_25partition_config_selectorILNS1_17partition_subalgoE3EjNS0_10empty_typeEbEEZZNS1_14partition_implILS8_3ELb0ES6_jNS0_17counting_iteratorIjlEEPS9_SE_NS0_5tupleIJPjSE_EEENSF_IJSE_SE_EEES9_SG_JZNS1_25segmented_radix_sort_implINS0_14default_configELb0EPKaPaPKlPlN2at6native12_GLOBAL__N_18offset_tEEE10hipError_tPvRmT1_PNSt15iterator_traitsISY_E10value_typeET2_T3_PNSZ_IS14_E10value_typeET4_jRbjT5_S1A_jjP12ihipStream_tbEUljE_EEESV_SW_SX_S14_S18_S1A_T6_T7_T9_mT8_S1C_bDpT10_ENKUlT_T0_E_clISt17integral_constantIbLb0EES1O_IbLb1EEEEDaS1K_S1L_EUlS1K_E_NS1_11comp_targetILNS1_3genE5ELNS1_11target_archE942ELNS1_3gpuE9ELNS1_3repE0EEENS1_30default_config_static_selectorELNS0_4arch9wavefront6targetE1EEEvSY_
                                        ; -- End function
	.section	.AMDGPU.csdata,"",@progbits
; Kernel info:
; codeLenInByte = 0
; NumSgprs: 4
; NumVgprs: 0
; NumAgprs: 0
; TotalNumVgprs: 0
; ScratchSize: 0
; MemoryBound: 0
; FloatMode: 240
; IeeeMode: 1
; LDSByteSize: 0 bytes/workgroup (compile time only)
; SGPRBlocks: 0
; VGPRBlocks: 0
; NumSGPRsForWavesPerEU: 4
; NumVGPRsForWavesPerEU: 1
; AccumOffset: 4
; Occupancy: 8
; WaveLimiterHint : 0
; COMPUTE_PGM_RSRC2:SCRATCH_EN: 0
; COMPUTE_PGM_RSRC2:USER_SGPR: 6
; COMPUTE_PGM_RSRC2:TRAP_HANDLER: 0
; COMPUTE_PGM_RSRC2:TGID_X_EN: 1
; COMPUTE_PGM_RSRC2:TGID_Y_EN: 0
; COMPUTE_PGM_RSRC2:TGID_Z_EN: 0
; COMPUTE_PGM_RSRC2:TIDIG_COMP_CNT: 0
; COMPUTE_PGM_RSRC3_GFX90A:ACCUM_OFFSET: 0
; COMPUTE_PGM_RSRC3_GFX90A:TG_SPLIT: 0
	.section	.text._ZN7rocprim17ROCPRIM_400000_NS6detail17trampoline_kernelINS0_13select_configILj256ELj13ELNS0_17block_load_methodE3ELS4_3ELS4_3ELNS0_20block_scan_algorithmE0ELj4294967295EEENS1_25partition_config_selectorILNS1_17partition_subalgoE3EjNS0_10empty_typeEbEEZZNS1_14partition_implILS8_3ELb0ES6_jNS0_17counting_iteratorIjlEEPS9_SE_NS0_5tupleIJPjSE_EEENSF_IJSE_SE_EEES9_SG_JZNS1_25segmented_radix_sort_implINS0_14default_configELb0EPKaPaPKlPlN2at6native12_GLOBAL__N_18offset_tEEE10hipError_tPvRmT1_PNSt15iterator_traitsISY_E10value_typeET2_T3_PNSZ_IS14_E10value_typeET4_jRbjT5_S1A_jjP12ihipStream_tbEUljE_EEESV_SW_SX_S14_S18_S1A_T6_T7_T9_mT8_S1C_bDpT10_ENKUlT_T0_E_clISt17integral_constantIbLb0EES1O_IbLb1EEEEDaS1K_S1L_EUlS1K_E_NS1_11comp_targetILNS1_3genE4ELNS1_11target_archE910ELNS1_3gpuE8ELNS1_3repE0EEENS1_30default_config_static_selectorELNS0_4arch9wavefront6targetE1EEEvSY_,"axG",@progbits,_ZN7rocprim17ROCPRIM_400000_NS6detail17trampoline_kernelINS0_13select_configILj256ELj13ELNS0_17block_load_methodE3ELS4_3ELS4_3ELNS0_20block_scan_algorithmE0ELj4294967295EEENS1_25partition_config_selectorILNS1_17partition_subalgoE3EjNS0_10empty_typeEbEEZZNS1_14partition_implILS8_3ELb0ES6_jNS0_17counting_iteratorIjlEEPS9_SE_NS0_5tupleIJPjSE_EEENSF_IJSE_SE_EEES9_SG_JZNS1_25segmented_radix_sort_implINS0_14default_configELb0EPKaPaPKlPlN2at6native12_GLOBAL__N_18offset_tEEE10hipError_tPvRmT1_PNSt15iterator_traitsISY_E10value_typeET2_T3_PNSZ_IS14_E10value_typeET4_jRbjT5_S1A_jjP12ihipStream_tbEUljE_EEESV_SW_SX_S14_S18_S1A_T6_T7_T9_mT8_S1C_bDpT10_ENKUlT_T0_E_clISt17integral_constantIbLb0EES1O_IbLb1EEEEDaS1K_S1L_EUlS1K_E_NS1_11comp_targetILNS1_3genE4ELNS1_11target_archE910ELNS1_3gpuE8ELNS1_3repE0EEENS1_30default_config_static_selectorELNS0_4arch9wavefront6targetE1EEEvSY_,comdat
	.globl	_ZN7rocprim17ROCPRIM_400000_NS6detail17trampoline_kernelINS0_13select_configILj256ELj13ELNS0_17block_load_methodE3ELS4_3ELS4_3ELNS0_20block_scan_algorithmE0ELj4294967295EEENS1_25partition_config_selectorILNS1_17partition_subalgoE3EjNS0_10empty_typeEbEEZZNS1_14partition_implILS8_3ELb0ES6_jNS0_17counting_iteratorIjlEEPS9_SE_NS0_5tupleIJPjSE_EEENSF_IJSE_SE_EEES9_SG_JZNS1_25segmented_radix_sort_implINS0_14default_configELb0EPKaPaPKlPlN2at6native12_GLOBAL__N_18offset_tEEE10hipError_tPvRmT1_PNSt15iterator_traitsISY_E10value_typeET2_T3_PNSZ_IS14_E10value_typeET4_jRbjT5_S1A_jjP12ihipStream_tbEUljE_EEESV_SW_SX_S14_S18_S1A_T6_T7_T9_mT8_S1C_bDpT10_ENKUlT_T0_E_clISt17integral_constantIbLb0EES1O_IbLb1EEEEDaS1K_S1L_EUlS1K_E_NS1_11comp_targetILNS1_3genE4ELNS1_11target_archE910ELNS1_3gpuE8ELNS1_3repE0EEENS1_30default_config_static_selectorELNS0_4arch9wavefront6targetE1EEEvSY_ ; -- Begin function _ZN7rocprim17ROCPRIM_400000_NS6detail17trampoline_kernelINS0_13select_configILj256ELj13ELNS0_17block_load_methodE3ELS4_3ELS4_3ELNS0_20block_scan_algorithmE0ELj4294967295EEENS1_25partition_config_selectorILNS1_17partition_subalgoE3EjNS0_10empty_typeEbEEZZNS1_14partition_implILS8_3ELb0ES6_jNS0_17counting_iteratorIjlEEPS9_SE_NS0_5tupleIJPjSE_EEENSF_IJSE_SE_EEES9_SG_JZNS1_25segmented_radix_sort_implINS0_14default_configELb0EPKaPaPKlPlN2at6native12_GLOBAL__N_18offset_tEEE10hipError_tPvRmT1_PNSt15iterator_traitsISY_E10value_typeET2_T3_PNSZ_IS14_E10value_typeET4_jRbjT5_S1A_jjP12ihipStream_tbEUljE_EEESV_SW_SX_S14_S18_S1A_T6_T7_T9_mT8_S1C_bDpT10_ENKUlT_T0_E_clISt17integral_constantIbLb0EES1O_IbLb1EEEEDaS1K_S1L_EUlS1K_E_NS1_11comp_targetILNS1_3genE4ELNS1_11target_archE910ELNS1_3gpuE8ELNS1_3repE0EEENS1_30default_config_static_selectorELNS0_4arch9wavefront6targetE1EEEvSY_
	.p2align	8
	.type	_ZN7rocprim17ROCPRIM_400000_NS6detail17trampoline_kernelINS0_13select_configILj256ELj13ELNS0_17block_load_methodE3ELS4_3ELS4_3ELNS0_20block_scan_algorithmE0ELj4294967295EEENS1_25partition_config_selectorILNS1_17partition_subalgoE3EjNS0_10empty_typeEbEEZZNS1_14partition_implILS8_3ELb0ES6_jNS0_17counting_iteratorIjlEEPS9_SE_NS0_5tupleIJPjSE_EEENSF_IJSE_SE_EEES9_SG_JZNS1_25segmented_radix_sort_implINS0_14default_configELb0EPKaPaPKlPlN2at6native12_GLOBAL__N_18offset_tEEE10hipError_tPvRmT1_PNSt15iterator_traitsISY_E10value_typeET2_T3_PNSZ_IS14_E10value_typeET4_jRbjT5_S1A_jjP12ihipStream_tbEUljE_EEESV_SW_SX_S14_S18_S1A_T6_T7_T9_mT8_S1C_bDpT10_ENKUlT_T0_E_clISt17integral_constantIbLb0EES1O_IbLb1EEEEDaS1K_S1L_EUlS1K_E_NS1_11comp_targetILNS1_3genE4ELNS1_11target_archE910ELNS1_3gpuE8ELNS1_3repE0EEENS1_30default_config_static_selectorELNS0_4arch9wavefront6targetE1EEEvSY_,@function
_ZN7rocprim17ROCPRIM_400000_NS6detail17trampoline_kernelINS0_13select_configILj256ELj13ELNS0_17block_load_methodE3ELS4_3ELS4_3ELNS0_20block_scan_algorithmE0ELj4294967295EEENS1_25partition_config_selectorILNS1_17partition_subalgoE3EjNS0_10empty_typeEbEEZZNS1_14partition_implILS8_3ELb0ES6_jNS0_17counting_iteratorIjlEEPS9_SE_NS0_5tupleIJPjSE_EEENSF_IJSE_SE_EEES9_SG_JZNS1_25segmented_radix_sort_implINS0_14default_configELb0EPKaPaPKlPlN2at6native12_GLOBAL__N_18offset_tEEE10hipError_tPvRmT1_PNSt15iterator_traitsISY_E10value_typeET2_T3_PNSZ_IS14_E10value_typeET4_jRbjT5_S1A_jjP12ihipStream_tbEUljE_EEESV_SW_SX_S14_S18_S1A_T6_T7_T9_mT8_S1C_bDpT10_ENKUlT_T0_E_clISt17integral_constantIbLb0EES1O_IbLb1EEEEDaS1K_S1L_EUlS1K_E_NS1_11comp_targetILNS1_3genE4ELNS1_11target_archE910ELNS1_3gpuE8ELNS1_3repE0EEENS1_30default_config_static_selectorELNS0_4arch9wavefront6targetE1EEEvSY_: ; @_ZN7rocprim17ROCPRIM_400000_NS6detail17trampoline_kernelINS0_13select_configILj256ELj13ELNS0_17block_load_methodE3ELS4_3ELS4_3ELNS0_20block_scan_algorithmE0ELj4294967295EEENS1_25partition_config_selectorILNS1_17partition_subalgoE3EjNS0_10empty_typeEbEEZZNS1_14partition_implILS8_3ELb0ES6_jNS0_17counting_iteratorIjlEEPS9_SE_NS0_5tupleIJPjSE_EEENSF_IJSE_SE_EEES9_SG_JZNS1_25segmented_radix_sort_implINS0_14default_configELb0EPKaPaPKlPlN2at6native12_GLOBAL__N_18offset_tEEE10hipError_tPvRmT1_PNSt15iterator_traitsISY_E10value_typeET2_T3_PNSZ_IS14_E10value_typeET4_jRbjT5_S1A_jjP12ihipStream_tbEUljE_EEESV_SW_SX_S14_S18_S1A_T6_T7_T9_mT8_S1C_bDpT10_ENKUlT_T0_E_clISt17integral_constantIbLb0EES1O_IbLb1EEEEDaS1K_S1L_EUlS1K_E_NS1_11comp_targetILNS1_3genE4ELNS1_11target_archE910ELNS1_3gpuE8ELNS1_3repE0EEENS1_30default_config_static_selectorELNS0_4arch9wavefront6targetE1EEEvSY_
; %bb.0:
	s_load_dwordx2 s[28:29], s[4:5], 0x10
	s_load_dwordx2 s[24:25], s[4:5], 0x28
	;; [unrolled: 1-line block ×3, first 2 shown]
	s_load_dwordx4 s[20:23], s[4:5], 0x48
	s_load_dword s14, s[4:5], 0x90
	s_load_dwordx2 s[30:31], s[4:5], 0x68
	s_load_dwordx4 s[8:11], s[4:5], 0x80
	v_cmp_eq_u32_e64 s[0:1], 0, v0
	s_and_saveexec_b64 s[2:3], s[0:1]
	s_cbranch_execz .LBB387_4
; %bb.1:
	s_mov_b64 s[12:13], exec
	v_mbcnt_lo_u32_b32 v1, s12, 0
	v_mbcnt_hi_u32_b32 v1, s13, v1
	v_cmp_eq_u32_e32 vcc, 0, v1
                                        ; implicit-def: $vgpr2
	s_and_saveexec_b64 s[6:7], vcc
	s_cbranch_execz .LBB387_3
; %bb.2:
	s_load_dwordx2 s[16:17], s[4:5], 0x78
	s_bcnt1_i32_b64 s12, s[12:13]
	v_mov_b32_e32 v2, 0
	v_mov_b32_e32 v3, s12
	s_waitcnt lgkmcnt(0)
	global_atomic_add v2, v2, v3, s[16:17] glc
.LBB387_3:
	s_or_b64 exec, exec, s[6:7]
	s_waitcnt vmcnt(0)
	v_readfirstlane_b32 s6, v2
	v_add_u32_e32 v1, s6, v1
	v_mov_b32_e32 v2, 0
	ds_write_b32 v2, v1
.LBB387_4:
	s_or_b64 exec, exec, s[2:3]
	v_mov_b32_e32 v1, 0
	s_load_dword s2, s[4:5], 0x8
	s_load_dword s6, s[4:5], 0x70
	s_waitcnt lgkmcnt(0)
	s_barrier
	ds_read_b32 v2, v1
	s_waitcnt lgkmcnt(0)
	s_barrier
	global_load_dwordx2 v[20:21], v1, s[22:23]
	s_add_i32 s7, s2, s28
	s_movk_i32 s2, 0xd00
	s_add_i32 s4, s6, -1
	s_mulk_i32 s6, 0xd00
	v_mul_lo_u32 v34, v2, s2
	s_add_u32 s2, s28, s6
	v_readfirstlane_b32 s40, v2
	s_addc_u32 s3, s29, 0
	s_cmp_eq_u32 s40, s4
	v_pk_mov_b32 v[2:3], s[26:27], s[26:27] op_sel:[0,1]
	s_cselect_b64 s[22:23], -1, 0
	s_cmp_lg_u32 s40, s4
	v_cmp_lt_u64_e32 vcc, s[2:3], v[2:3]
	s_cselect_b64 s[2:3], -1, 0
	s_or_b64 s[4:5], vcc, s[2:3]
	v_add_u32_e32 v1, s7, v34
	s_mov_b64 s[2:3], -1
	s_and_b64 vcc, exec, s[4:5]
	v_add_u32_e32 v2, v1, v0
	v_lshlrev_b32_e32 v1, 2, v0
	s_cbranch_vccz .LBB387_6
; %bb.5:
	v_add_u32_e32 v3, 0x100, v2
	v_add_u32_e32 v4, 0x200, v2
	;; [unrolled: 1-line block ×12, first 2 shown]
	ds_write2st64_b32 v1, v2, v3 offset1:4
	ds_write2st64_b32 v1, v4, v5 offset0:8 offset1:12
	ds_write2st64_b32 v1, v6, v7 offset0:16 offset1:20
	;; [unrolled: 1-line block ×5, first 2 shown]
	ds_write_b32 v1, v14 offset:12288
	s_waitcnt lgkmcnt(0)
	s_barrier
	s_mov_b64 s[2:3], 0
.LBB387_6:
	s_andn2_b64 vcc, exec, s[2:3]
	s_add_i32 s6, s6, s28
	s_cbranch_vccnz .LBB387_8
; %bb.7:
	v_add_u32_e32 v3, 0x100, v2
	v_add_u32_e32 v4, 0x200, v2
	;; [unrolled: 1-line block ×12, first 2 shown]
	ds_write2st64_b32 v1, v2, v3 offset1:4
	ds_write2st64_b32 v1, v4, v5 offset0:8 offset1:12
	ds_write2st64_b32 v1, v6, v7 offset0:16 offset1:20
	;; [unrolled: 1-line block ×5, first 2 shown]
	ds_write_b32 v1, v14 offset:12288
	s_waitcnt lgkmcnt(0)
	s_barrier
.LBB387_8:
	v_mul_u32_u24_e32 v36, 13, v0
	v_lshlrev_b32_e32 v2, 2, v36
	ds_read2_b32 v[32:33], v2 offset1:1
	ds_read2_b32 v[30:31], v2 offset0:2 offset1:3
	ds_read2_b32 v[28:29], v2 offset0:4 offset1:5
	;; [unrolled: 1-line block ×5, first 2 shown]
	ds_read_b32 v35, v2 offset:48
	v_cndmask_b32_e64 v2, 0, 1, s[4:5]
	s_sub_i32 s33, s26, s6
	v_cmp_ne_u32_e64 s[2:3], 1, v2
	s_andn2_b64 vcc, exec, s[4:5]
	s_waitcnt lgkmcnt(0)
	s_barrier
	s_cbranch_vccnz .LBB387_10
; %bb.9:
	v_add_u32_e32 v2, s9, v32
	v_add_u32_e32 v3, s11, v32
	v_mul_lo_u32 v2, v2, s8
	v_mul_lo_u32 v3, v3, s10
	v_sub_u32_e32 v2, v2, v3
	v_add_u32_e32 v3, s9, v33
	v_add_u32_e32 v4, s11, v33
	v_mul_lo_u32 v3, v3, s8
	v_mul_lo_u32 v4, v4, s10
	v_sub_u32_e32 v3, v3, v4
	;; [unrolled: 5-line block ×6, first 2 shown]
	v_add_u32_e32 v8, s9, v26
	v_add_u32_e32 v9, s11, v26
	v_mul_lo_u32 v8, v8, s8
	v_mul_lo_u32 v9, v9, s10
	v_cmp_lt_u32_e32 vcc, s14, v2
	v_sub_u32_e32 v8, v8, v9
	v_add_u32_e32 v9, s9, v27
	v_add_u32_e32 v10, s11, v27
	v_cndmask_b32_e64 v2, 0, 1, vcc
	v_cmp_lt_u32_e32 vcc, s14, v3
	v_mul_lo_u32 v9, v9, s8
	v_mul_lo_u32 v10, v10, s10
	v_cndmask_b32_e64 v3, 0, 1, vcc
	v_cmp_lt_u32_e32 vcc, s14, v4
	v_sub_u32_e32 v9, v9, v10
	v_add_u32_e32 v10, s9, v24
	v_add_u32_e32 v11, s11, v24
	v_cndmask_b32_e64 v4, 0, 1, vcc
	v_cmp_lt_u32_e32 vcc, s14, v5
	v_mul_lo_u32 v10, v10, s8
	v_mul_lo_u32 v11, v11, s10
	v_cndmask_b32_e64 v5, 0, 1, vcc
	;; [unrolled: 9-line block ×4, first 2 shown]
	v_cmp_lt_u32_e32 vcc, s14, v10
	v_sub_u32_e32 v12, v12, v13
	v_add_u32_e32 v13, s9, v23
	v_add_u32_e32 v14, s11, v23
	v_lshlrev_b16_e32 v3, 8, v3
	v_cndmask_b32_e64 v10, 0, 1, vcc
	v_cmp_lt_u32_e32 vcc, s14, v11
	v_mul_lo_u32 v13, v13, s8
	v_mul_lo_u32 v14, v14, s10
	v_or_b32_e32 v2, v2, v3
	v_lshlrev_b16_e32 v3, 8, v5
	v_cndmask_b32_e64 v11, 0, 1, vcc
	v_cmp_lt_u32_e32 vcc, s14, v12
	v_sub_u32_e32 v13, v13, v14
	v_or_b32_sdwa v3, v4, v3 dst_sel:WORD_1 dst_unused:UNUSED_PAD src0_sel:DWORD src1_sel:DWORD
	v_cndmask_b32_e64 v12, 0, 1, vcc
	v_cmp_lt_u32_e32 vcc, s14, v13
	v_add_u32_e32 v14, s9, v35
	v_add_u32_e32 v15, s11, v35
	v_or_b32_sdwa v40, v2, v3 dst_sel:DWORD dst_unused:UNUSED_PAD src0_sel:WORD_0 src1_sel:DWORD
	v_lshlrev_b16_e32 v2, 8, v7
	v_lshlrev_b16_e32 v3, 8, v9
	v_cndmask_b32_e64 v13, 0, 1, vcc
	v_mul_lo_u32 v14, v14, s8
	v_mul_lo_u32 v15, v15, s10
	v_or_b32_e32 v2, v6, v2
	v_or_b32_sdwa v3, v8, v3 dst_sel:WORD_1 dst_unused:UNUSED_PAD src0_sel:DWORD src1_sel:DWORD
	v_sub_u32_e32 v14, v14, v15
	v_or_b32_sdwa v39, v2, v3 dst_sel:DWORD dst_unused:UNUSED_PAD src0_sel:WORD_0 src1_sel:DWORD
	v_lshlrev_b16_e32 v2, 8, v11
	v_lshlrev_b16_e32 v3, 8, v13
	v_cmp_lt_u32_e32 vcc, s14, v14
	v_or_b32_e32 v2, v10, v2
	v_or_b32_sdwa v3, v12, v3 dst_sel:WORD_1 dst_unused:UNUSED_PAD src0_sel:DWORD src1_sel:DWORD
	v_cndmask_b32_e64 v37, 0, 1, vcc
	v_or_b32_sdwa v38, v2, v3 dst_sel:DWORD dst_unused:UNUSED_PAD src0_sel:WORD_0 src1_sel:DWORD
	s_addk_i32 s33, 0xd00
	s_cbranch_execz .LBB387_11
	s_branch .LBB387_38
.LBB387_10:
                                        ; implicit-def: $vgpr37
                                        ; implicit-def: $vgpr38
                                        ; implicit-def: $vgpr39
                                        ; implicit-def: $vgpr40
	s_addk_i32 s33, 0xd00
.LBB387_11:
	v_cmp_gt_u32_e32 vcc, s33, v36
	v_mov_b32_e32 v3, 0
	v_mov_b32_e32 v2, 0
	s_and_saveexec_b64 s[4:5], vcc
; %bb.12:
	v_add_u32_e32 v2, s9, v32
	v_add_u32_e32 v4, s11, v32
	v_mul_lo_u32 v2, v2, s8
	v_mul_lo_u32 v4, v4, s10
	v_sub_u32_e32 v2, v2, v4
	v_cmp_lt_u32_e32 vcc, s14, v2
	v_cndmask_b32_e64 v2, 0, 1, vcc
; %bb.13:
	s_or_b64 exec, exec, s[4:5]
	v_add_u32_e32 v4, 1, v36
	v_cmp_gt_u32_e32 vcc, s33, v4
	s_and_saveexec_b64 s[4:5], vcc
; %bb.14:
	v_add_u32_e32 v3, s9, v33
	v_add_u32_e32 v4, s11, v33
	v_mul_lo_u32 v3, v3, s8
	v_mul_lo_u32 v4, v4, s10
	v_sub_u32_e32 v3, v3, v4
	v_cmp_lt_u32_e32 vcc, s14, v3
	v_cndmask_b32_e64 v3, 0, 1, vcc
; %bb.15:
	s_or_b64 exec, exec, s[4:5]
	v_add_u32_e32 v4, 2, v36
	v_cmp_gt_u32_e32 vcc, s33, v4
	v_mov_b32_e32 v5, 0
	v_mov_b32_e32 v4, 0
	s_and_saveexec_b64 s[4:5], vcc
; %bb.16:
	v_add_u32_e32 v4, s9, v30
	v_add_u32_e32 v6, s11, v30
	v_mul_lo_u32 v4, v4, s8
	v_mul_lo_u32 v6, v6, s10
	v_sub_u32_e32 v4, v4, v6
	v_cmp_lt_u32_e32 vcc, s14, v4
	v_cndmask_b32_e64 v4, 0, 1, vcc
; %bb.17:
	s_or_b64 exec, exec, s[4:5]
	v_add_u32_e32 v6, 3, v36
	v_cmp_gt_u32_e32 vcc, s33, v6
	s_and_saveexec_b64 s[4:5], vcc
; %bb.18:
	v_add_u32_e32 v5, s9, v31
	v_add_u32_e32 v6, s11, v31
	v_mul_lo_u32 v5, v5, s8
	v_mul_lo_u32 v6, v6, s10
	v_sub_u32_e32 v5, v5, v6
	v_cmp_lt_u32_e32 vcc, s14, v5
	v_cndmask_b32_e64 v5, 0, 1, vcc
; %bb.19:
	s_or_b64 exec, exec, s[4:5]
	v_add_u32_e32 v6, 4, v36
	;; [unrolled: 28-line block ×6, first 2 shown]
	v_cmp_gt_u32_e32 vcc, s33, v14
	v_mov_b32_e32 v37, 0
	s_and_saveexec_b64 s[4:5], vcc
; %bb.36:
	v_add_u32_e32 v14, s9, v35
	v_add_u32_e32 v15, s11, v35
	v_mul_lo_u32 v14, v14, s8
	v_mul_lo_u32 v15, v15, s10
	v_sub_u32_e32 v14, v14, v15
	v_cmp_lt_u32_e32 vcc, s14, v14
	v_cndmask_b32_e64 v37, 0, 1, vcc
; %bb.37:
	s_or_b64 exec, exec, s[4:5]
	v_lshlrev_b16_e32 v3, 8, v3
	v_or_b32_e32 v2, v2, v3
	v_lshlrev_b16_e32 v3, 8, v5
	v_or_b32_sdwa v3, v4, v3 dst_sel:WORD_1 dst_unused:UNUSED_PAD src0_sel:DWORD src1_sel:DWORD
	v_or_b32_sdwa v40, v2, v3 dst_sel:DWORD dst_unused:UNUSED_PAD src0_sel:WORD_0 src1_sel:DWORD
	v_lshlrev_b16_e32 v2, 8, v7
	v_lshlrev_b16_e32 v3, 8, v9
	v_or_b32_e32 v2, v6, v2
	v_or_b32_sdwa v3, v8, v3 dst_sel:WORD_1 dst_unused:UNUSED_PAD src0_sel:DWORD src1_sel:DWORD
	v_or_b32_sdwa v39, v2, v3 dst_sel:DWORD dst_unused:UNUSED_PAD src0_sel:WORD_0 src1_sel:DWORD
	v_lshlrev_b16_e32 v2, 8, v11
	v_lshlrev_b16_e32 v3, 8, v13
	v_or_b32_e32 v2, v10, v2
	v_or_b32_sdwa v3, v12, v3 dst_sel:WORD_1 dst_unused:UNUSED_PAD src0_sel:DWORD src1_sel:DWORD
	v_or_b32_sdwa v38, v2, v3 dst_sel:DWORD dst_unused:UNUSED_PAD src0_sel:WORD_0 src1_sel:DWORD
.LBB387_38:
	v_and_b32_e32 v44, 0xff, v40
	v_bfe_u32 v45, v40, 8, 8
	v_bfe_u32 v46, v40, 16, 8
	v_lshrrev_b32_e32 v43, 24, v40
	v_and_b32_e32 v47, 0xff, v39
	v_add3_u32 v3, v45, v44, v46
	v_bfe_u32 v48, v39, 8, 8
	v_bfe_u32 v49, v39, 16, 8
	v_add3_u32 v3, v3, v43, v47
	v_lshrrev_b32_e32 v42, 24, v39
	v_and_b32_e32 v50, 0xff, v38
	v_add3_u32 v3, v3, v48, v49
	v_bfe_u32 v51, v38, 8, 8
	v_bfe_u32 v52, v38, 16, 8
	v_add3_u32 v3, v3, v42, v50
	v_lshrrev_b32_e32 v41, 24, v38
	v_and_b32_e32 v2, 0xff, v37
	v_add3_u32 v3, v3, v51, v52
	v_add3_u32 v55, v3, v41, v2
	v_mbcnt_lo_u32_b32 v2, -1, 0
	v_mbcnt_hi_u32_b32 v53, -1, v2
	v_and_b32_e32 v2, 15, v53
	v_cmp_eq_u32_e64 s[16:17], 0, v2
	v_cmp_lt_u32_e64 s[14:15], 1, v2
	v_cmp_lt_u32_e64 s[12:13], 3, v2
	;; [unrolled: 1-line block ×3, first 2 shown]
	v_and_b32_e32 v2, 16, v53
	v_cmp_eq_u32_e64 s[8:9], 0, v2
	v_or_b32_e32 v2, 63, v0
	s_cmp_lg_u32 s40, 0
	v_cmp_lt_u32_e64 s[4:5], 31, v53
	v_lshrrev_b32_e32 v54, 6, v0
	v_cmp_eq_u32_e64 s[6:7], v2, v0
	s_cbranch_scc0 .LBB387_65
; %bb.39:
	v_mov_b32_dpp v2, v55 row_shr:1 row_mask:0xf bank_mask:0xf
	v_cndmask_b32_e64 v2, v2, 0, s[16:17]
	v_add_u32_e32 v2, v2, v55
	s_nop 1
	v_mov_b32_dpp v3, v2 row_shr:2 row_mask:0xf bank_mask:0xf
	v_cndmask_b32_e64 v3, 0, v3, s[14:15]
	v_add_u32_e32 v2, v2, v3
	s_nop 1
	;; [unrolled: 4-line block ×4, first 2 shown]
	v_mov_b32_dpp v3, v2 row_bcast:15 row_mask:0xf bank_mask:0xf
	v_cndmask_b32_e64 v3, v3, 0, s[8:9]
	v_add_u32_e32 v2, v2, v3
	s_nop 1
	v_mov_b32_dpp v3, v2 row_bcast:31 row_mask:0xf bank_mask:0xf
	v_cndmask_b32_e64 v3, 0, v3, s[4:5]
	v_add_u32_e32 v2, v2, v3
	s_and_saveexec_b64 s[18:19], s[6:7]
	s_cbranch_execz .LBB387_41
; %bb.40:
	v_lshlrev_b32_e32 v3, 2, v54
	ds_write_b32 v3, v2
.LBB387_41:
	s_or_b64 exec, exec, s[18:19]
	v_cmp_gt_u32_e32 vcc, 4, v0
	s_waitcnt lgkmcnt(0)
	s_barrier
	s_and_saveexec_b64 s[18:19], vcc
	s_cbranch_execz .LBB387_43
; %bb.42:
	ds_read_b32 v3, v1
	v_and_b32_e32 v4, 3, v53
	v_cmp_ne_u32_e32 vcc, 0, v4
	s_waitcnt lgkmcnt(0)
	v_mov_b32_dpp v5, v3 row_shr:1 row_mask:0xf bank_mask:0xf
	v_cndmask_b32_e32 v5, 0, v5, vcc
	v_add_u32_e32 v3, v5, v3
	v_cmp_lt_u32_e32 vcc, 1, v4
	s_nop 0
	v_mov_b32_dpp v5, v3 row_shr:2 row_mask:0xf bank_mask:0xf
	v_cndmask_b32_e32 v4, 0, v5, vcc
	v_add_u32_e32 v3, v3, v4
	ds_write_b32 v1, v3
.LBB387_43:
	s_or_b64 exec, exec, s[18:19]
	v_cmp_gt_u32_e32 vcc, 64, v0
	v_cmp_lt_u32_e64 s[18:19], 63, v0
	s_waitcnt lgkmcnt(0)
	s_barrier
	s_waitcnt lgkmcnt(0)
                                        ; implicit-def: $vgpr12
	s_and_saveexec_b64 s[34:35], s[18:19]
	s_cbranch_execz .LBB387_45
; %bb.44:
	v_lshl_add_u32 v3, v54, 2, -4
	ds_read_b32 v12, v3
	s_waitcnt lgkmcnt(0)
	v_add_u32_e32 v2, v12, v2
.LBB387_45:
	s_or_b64 exec, exec, s[34:35]
	v_add_u32_e32 v3, -1, v53
	v_and_b32_e32 v4, 64, v53
	v_cmp_lt_i32_e64 s[18:19], v3, v4
	v_cndmask_b32_e64 v3, v3, v53, s[18:19]
	v_lshlrev_b32_e32 v3, 2, v3
	ds_bpermute_b32 v13, v3, v2
	v_cmp_eq_u32_e64 s[18:19], 0, v53
	s_and_saveexec_b64 s[34:35], vcc
	s_cbranch_execz .LBB387_64
; %bb.46:
	v_mov_b32_e32 v9, 0
	ds_read_b32 v2, v9 offset:12
	s_and_saveexec_b64 s[36:37], s[18:19]
	s_cbranch_execz .LBB387_48
; %bb.47:
	s_add_i32 s38, s40, 64
	s_mov_b32 s39, 0
	s_lshl_b64 s[38:39], s[38:39], 3
	s_add_u32 s38, s30, s38
	v_mov_b32_e32 v3, 1
	s_addc_u32 s39, s31, s39
	s_waitcnt lgkmcnt(0)
	global_store_dwordx2 v9, v[2:3], s[38:39]
.LBB387_48:
	s_or_b64 exec, exec, s[36:37]
	v_xad_u32 v4, v53, -1, s40
	v_add_u32_e32 v8, 64, v4
	v_lshlrev_b64 v[6:7], 3, v[8:9]
	v_mov_b32_e32 v3, s31
	v_add_co_u32_e32 v10, vcc, s30, v6
	v_addc_co_u32_e32 v11, vcc, v3, v7, vcc
	global_load_dwordx2 v[6:7], v[10:11], off glc
	s_waitcnt vmcnt(0)
	v_cmp_eq_u16_sdwa s[38:39], v7, v9 src0_sel:BYTE_0 src1_sel:DWORD
	s_and_saveexec_b64 s[36:37], s[38:39]
	s_cbranch_execz .LBB387_52
; %bb.49:
	s_mov_b64 s[38:39], 0
	v_mov_b32_e32 v3, 0
.LBB387_50:                             ; =>This Inner Loop Header: Depth=1
	global_load_dwordx2 v[6:7], v[10:11], off glc
	s_waitcnt vmcnt(0)
	v_cmp_ne_u16_sdwa s[42:43], v7, v3 src0_sel:BYTE_0 src1_sel:DWORD
	s_or_b64 s[38:39], s[42:43], s[38:39]
	s_andn2_b64 exec, exec, s[38:39]
	s_cbranch_execnz .LBB387_50
; %bb.51:
	s_or_b64 exec, exec, s[38:39]
.LBB387_52:
	s_or_b64 exec, exec, s[36:37]
	v_and_b32_e32 v14, 63, v53
	v_mov_b32_e32 v3, 2
	v_cmp_ne_u32_e32 vcc, 63, v14
	v_cmp_eq_u16_sdwa s[36:37], v7, v3 src0_sel:BYTE_0 src1_sel:DWORD
	v_lshlrev_b64 v[8:9], v53, -1
	v_addc_co_u32_e32 v11, vcc, 0, v53, vcc
	v_and_b32_e32 v5, s37, v9
	v_lshlrev_b32_e32 v15, 2, v11
	v_or_b32_e32 v5, 0x80000000, v5
	ds_bpermute_b32 v11, v15, v6
	v_and_b32_e32 v10, s36, v8
	v_ffbl_b32_e32 v5, v5
	v_add_u32_e32 v5, 32, v5
	v_ffbl_b32_e32 v10, v10
	v_min_u32_e32 v5, v10, v5
	v_cmp_lt_u32_e32 vcc, v14, v5
	s_waitcnt lgkmcnt(0)
	v_cndmask_b32_e32 v10, 0, v11, vcc
	v_cmp_gt_u32_e32 vcc, 62, v14
	v_add_u32_e32 v6, v10, v6
	v_cndmask_b32_e64 v10, 0, 1, vcc
	v_lshlrev_b32_e32 v10, 1, v10
	v_add_lshl_u32 v16, v10, v53, 2
	ds_bpermute_b32 v10, v16, v6
	v_add_u32_e32 v17, 2, v14
	v_cmp_le_u32_e32 vcc, v17, v5
	v_add_u32_e32 v19, 4, v14
	v_add_u32_e32 v57, 8, v14
	s_waitcnt lgkmcnt(0)
	v_cndmask_b32_e32 v10, 0, v10, vcc
	v_cmp_gt_u32_e32 vcc, 60, v14
	v_add_u32_e32 v6, v6, v10
	v_cndmask_b32_e64 v10, 0, 1, vcc
	v_lshlrev_b32_e32 v10, 2, v10
	v_add_lshl_u32 v18, v10, v53, 2
	ds_bpermute_b32 v10, v18, v6
	v_cmp_le_u32_e32 vcc, v19, v5
	v_add_u32_e32 v60, 16, v14
	v_add_u32_e32 v62, 32, v14
	s_waitcnt lgkmcnt(0)
	v_cndmask_b32_e32 v10, 0, v10, vcc
	v_cmp_gt_u32_e32 vcc, 56, v14
	v_add_u32_e32 v6, v6, v10
	v_cndmask_b32_e64 v10, 0, 1, vcc
	v_lshlrev_b32_e32 v10, 3, v10
	v_add_lshl_u32 v56, v10, v53, 2
	ds_bpermute_b32 v10, v56, v6
	v_cmp_le_u32_e32 vcc, v57, v5
	s_waitcnt lgkmcnt(0)
	v_cndmask_b32_e32 v10, 0, v10, vcc
	v_cmp_gt_u32_e32 vcc, 48, v14
	v_add_u32_e32 v6, v6, v10
	v_cndmask_b32_e64 v10, 0, 1, vcc
	v_lshlrev_b32_e32 v10, 4, v10
	v_add_lshl_u32 v59, v10, v53, 2
	ds_bpermute_b32 v10, v59, v6
	v_cmp_le_u32_e32 vcc, v60, v5
	;; [unrolled: 9-line block ×3, first 2 shown]
	s_waitcnt lgkmcnt(0)
	v_cndmask_b32_e32 v5, 0, v10, vcc
	v_add_u32_e32 v6, v6, v5
	v_mov_b32_e32 v5, 0
	s_branch .LBB387_54
.LBB387_53:                             ;   in Loop: Header=BB387_54 Depth=1
	s_or_b64 exec, exec, s[36:37]
	v_cmp_eq_u16_sdwa s[36:37], v7, v3 src0_sel:BYTE_0 src1_sel:DWORD
	v_and_b32_e32 v10, s37, v9
	v_or_b32_e32 v10, 0x80000000, v10
	ds_bpermute_b32 v63, v15, v6
	v_and_b32_e32 v11, s36, v8
	v_ffbl_b32_e32 v10, v10
	v_add_u32_e32 v10, 32, v10
	v_ffbl_b32_e32 v11, v11
	v_min_u32_e32 v10, v11, v10
	v_cmp_lt_u32_e32 vcc, v14, v10
	s_waitcnt lgkmcnt(0)
	v_cndmask_b32_e32 v11, 0, v63, vcc
	v_add_u32_e32 v6, v11, v6
	ds_bpermute_b32 v11, v16, v6
	v_cmp_le_u32_e32 vcc, v17, v10
	v_subrev_u32_e32 v4, 64, v4
	s_waitcnt lgkmcnt(0)
	v_cndmask_b32_e32 v11, 0, v11, vcc
	v_add_u32_e32 v6, v6, v11
	ds_bpermute_b32 v11, v18, v6
	v_cmp_le_u32_e32 vcc, v19, v10
	s_waitcnt lgkmcnt(0)
	v_cndmask_b32_e32 v11, 0, v11, vcc
	v_add_u32_e32 v6, v6, v11
	ds_bpermute_b32 v11, v56, v6
	v_cmp_le_u32_e32 vcc, v57, v10
	;; [unrolled: 5-line block ×4, first 2 shown]
	s_waitcnt lgkmcnt(0)
	v_cndmask_b32_e32 v10, 0, v11, vcc
	v_add3_u32 v6, v10, v58, v6
.LBB387_54:                             ; =>This Loop Header: Depth=1
                                        ;     Child Loop BB387_57 Depth 2
	v_cmp_ne_u16_sdwa s[36:37], v7, v3 src0_sel:BYTE_0 src1_sel:DWORD
	v_cndmask_b32_e64 v7, 0, 1, s[36:37]
	;;#ASMSTART
	;;#ASMEND
	v_cmp_ne_u32_e32 vcc, 0, v7
	s_cmp_lg_u64 vcc, exec
	v_mov_b32_e32 v58, v6
	s_cbranch_scc1 .LBB387_59
; %bb.55:                               ;   in Loop: Header=BB387_54 Depth=1
	v_lshlrev_b64 v[6:7], 3, v[4:5]
	v_mov_b32_e32 v11, s31
	v_add_co_u32_e32 v10, vcc, s30, v6
	v_addc_co_u32_e32 v11, vcc, v11, v7, vcc
	global_load_dwordx2 v[6:7], v[10:11], off glc
	s_waitcnt vmcnt(0)
	v_cmp_eq_u16_sdwa s[38:39], v7, v5 src0_sel:BYTE_0 src1_sel:DWORD
	s_and_saveexec_b64 s[36:37], s[38:39]
	s_cbranch_execz .LBB387_53
; %bb.56:                               ;   in Loop: Header=BB387_54 Depth=1
	s_mov_b64 s[38:39], 0
.LBB387_57:                             ;   Parent Loop BB387_54 Depth=1
                                        ; =>  This Inner Loop Header: Depth=2
	global_load_dwordx2 v[6:7], v[10:11], off glc
	s_waitcnt vmcnt(0)
	v_cmp_ne_u16_sdwa s[42:43], v7, v5 src0_sel:BYTE_0 src1_sel:DWORD
	s_or_b64 s[38:39], s[42:43], s[38:39]
	s_andn2_b64 exec, exec, s[38:39]
	s_cbranch_execnz .LBB387_57
; %bb.58:                               ;   in Loop: Header=BB387_54 Depth=1
	s_or_b64 exec, exec, s[38:39]
	s_branch .LBB387_53
.LBB387_59:                             ;   in Loop: Header=BB387_54 Depth=1
                                        ; implicit-def: $vgpr6
                                        ; implicit-def: $vgpr7
	s_cbranch_execz .LBB387_54
; %bb.60:
	s_and_saveexec_b64 s[36:37], s[18:19]
	s_cbranch_execz .LBB387_62
; %bb.61:
	s_add_i32 s38, s40, 64
	s_mov_b32 s39, 0
	s_lshl_b64 s[38:39], s[38:39], 3
	s_add_u32 s38, s30, s38
	v_add_u32_e32 v4, v58, v2
	v_mov_b32_e32 v5, 2
	s_addc_u32 s39, s31, s39
	v_mov_b32_e32 v3, 0
	global_store_dwordx2 v3, v[4:5], s[38:39]
	s_movk_i32 s38, 0x3400
	v_add_u32_e64 v3, s38, 0
	ds_write2_b32 v3, v2, v58 offset1:2
.LBB387_62:
	s_or_b64 exec, exec, s[36:37]
	s_and_b64 exec, exec, s[0:1]
	s_cbranch_execz .LBB387_64
; %bb.63:
	v_mov_b32_e32 v2, 0
	ds_write_b32 v2, v58 offset:12
.LBB387_64:
	s_or_b64 exec, exec, s[34:35]
	v_mov_b32_e32 v2, 0
	s_waitcnt lgkmcnt(0)
	s_barrier
	ds_read_b32 v2, v2 offset:12
	v_cndmask_b32_e64 v3, v13, v12, s[18:19]
	v_cndmask_b32_e64 v3, v3, 0, s[0:1]
	s_movk_i32 s18, 0x3400
	v_add_u32_e64 v12, s18, 0
	s_waitcnt lgkmcnt(0)
	v_add_u32_e32 v2, v2, v3
	v_add_u32_e32 v3, v2, v44
	;; [unrolled: 1-line block ×9, first 2 shown]
	s_barrier
	ds_read2_b32 v[18:19], v12 offset1:2
	v_add_u32_e32 v11, v10, v50
	v_add_u32_e32 v12, v11, v51
	;; [unrolled: 1-line block ×4, first 2 shown]
	s_branch .LBB387_75
.LBB387_65:
                                        ; implicit-def: $vgpr19
                                        ; implicit-def: $vgpr2_vgpr3_vgpr4_vgpr5_vgpr6_vgpr7_vgpr8_vgpr9_vgpr10_vgpr11_vgpr12_vgpr13_vgpr14_vgpr15_vgpr16_vgpr17
	s_cbranch_execz .LBB387_75
; %bb.66:
	s_nop 0
	v_mov_b32_dpp v2, v55 row_shr:1 row_mask:0xf bank_mask:0xf
	v_cndmask_b32_e64 v2, v2, 0, s[16:17]
	v_add_u32_e32 v2, v2, v55
	s_nop 1
	v_mov_b32_dpp v3, v2 row_shr:2 row_mask:0xf bank_mask:0xf
	v_cndmask_b32_e64 v3, 0, v3, s[14:15]
	v_add_u32_e32 v2, v2, v3
	;; [unrolled: 4-line block ×4, first 2 shown]
	s_nop 1
	v_mov_b32_dpp v3, v2 row_bcast:15 row_mask:0xf bank_mask:0xf
	v_cndmask_b32_e64 v3, v3, 0, s[8:9]
	v_add_u32_e32 v2, v2, v3
	s_nop 1
	v_mov_b32_dpp v3, v2 row_bcast:31 row_mask:0xf bank_mask:0xf
	v_cndmask_b32_e64 v3, 0, v3, s[4:5]
	v_add_u32_e32 v2, v2, v3
	s_and_saveexec_b64 s[4:5], s[6:7]
	s_cbranch_execz .LBB387_68
; %bb.67:
	v_lshlrev_b32_e32 v3, 2, v54
	ds_write_b32 v3, v2
.LBB387_68:
	s_or_b64 exec, exec, s[4:5]
	v_cmp_gt_u32_e32 vcc, 4, v0
	s_waitcnt lgkmcnt(0)
	s_barrier
	s_and_saveexec_b64 s[4:5], vcc
	s_cbranch_execz .LBB387_70
; %bb.69:
	ds_read_b32 v3, v1
	v_and_b32_e32 v4, 3, v53
	v_cmp_ne_u32_e32 vcc, 0, v4
	s_waitcnt lgkmcnt(0)
	v_mov_b32_dpp v5, v3 row_shr:1 row_mask:0xf bank_mask:0xf
	v_cndmask_b32_e32 v5, 0, v5, vcc
	v_add_u32_e32 v3, v5, v3
	v_cmp_lt_u32_e32 vcc, 1, v4
	s_nop 0
	v_mov_b32_dpp v5, v3 row_shr:2 row_mask:0xf bank_mask:0xf
	v_cndmask_b32_e32 v4, 0, v5, vcc
	v_add_u32_e32 v3, v3, v4
	ds_write_b32 v1, v3
.LBB387_70:
	s_or_b64 exec, exec, s[4:5]
	v_cmp_lt_u32_e32 vcc, 63, v0
	v_mov_b32_e32 v4, 0
	v_mov_b32_e32 v3, 0
	s_waitcnt lgkmcnt(0)
	s_barrier
	s_and_saveexec_b64 s[4:5], vcc
	s_cbranch_execz .LBB387_72
; %bb.71:
	v_lshl_add_u32 v3, v54, 2, -4
	ds_read_b32 v3, v3
.LBB387_72:
	s_or_b64 exec, exec, s[4:5]
	v_add_u32_e32 v5, -1, v53
	v_and_b32_e32 v6, 64, v53
	v_cmp_lt_i32_e32 vcc, v5, v6
	v_cndmask_b32_e32 v5, v5, v53, vcc
	s_waitcnt lgkmcnt(0)
	v_add_u32_e32 v2, v3, v2
	v_lshlrev_b32_e32 v5, 2, v5
	ds_bpermute_b32 v2, v5, v2
	ds_read_b32 v18, v4 offset:12
	s_and_saveexec_b64 s[4:5], s[0:1]
	s_cbranch_execz .LBB387_74
; %bb.73:
	v_mov_b32_e32 v4, 0
	v_mov_b32_e32 v19, 2
	s_waitcnt lgkmcnt(0)
	global_store_dwordx2 v4, v[18:19], s[30:31] offset:512
.LBB387_74:
	s_or_b64 exec, exec, s[4:5]
	v_cmp_eq_u32_e32 vcc, 0, v53
	s_waitcnt lgkmcnt(1)
	v_cndmask_b32_e32 v2, v2, v3, vcc
	v_cndmask_b32_e64 v2, v2, 0, s[0:1]
	v_add_u32_e32 v3, v2, v44
	v_add_u32_e32 v4, v3, v45
	;; [unrolled: 1-line block ×11, first 2 shown]
	v_mov_b32_e32 v19, 0
	v_add_u32_e32 v14, v13, v41
	s_waitcnt lgkmcnt(0)
	s_barrier
.LBB387_75:
	s_waitcnt lgkmcnt(0)
	v_add_u32_e32 v36, v18, v36
	v_sub_u32_e32 v2, v2, v19
	v_and_b32_e32 v45, 1, v40
	v_sub_u32_e32 v44, v36, v2
	v_cmp_eq_u32_e32 vcc, 1, v45
	v_cndmask_b32_e32 v2, v44, v2, vcc
	v_lshlrev_b32_e32 v2, 2, v2
	v_lshrrev_b32_e32 v17, 8, v40
	ds_write_b32 v2, v32
	v_sub_u32_e32 v2, v3, v19
	v_sub_u32_e32 v3, v36, v2
	v_and_b32_e32 v17, 1, v17
	v_add_u32_e32 v3, 1, v3
	v_cmp_eq_u32_e32 vcc, 1, v17
	v_cndmask_b32_e32 v2, v3, v2, vcc
	v_lshlrev_b32_e32 v2, 2, v2
	ds_write_b32 v2, v33
	v_sub_u32_e32 v2, v4, v19
	v_mov_b32_e32 v4, 1
	v_sub_u32_e32 v3, v36, v2
	v_and_b32_sdwa v17, v4, v40 dst_sel:DWORD dst_unused:UNUSED_PAD src0_sel:DWORD src1_sel:WORD_1
	v_add_u32_e32 v3, 2, v3
	v_cmp_eq_u32_e32 vcc, 1, v17
	v_cndmask_b32_e32 v2, v3, v2, vcc
	v_lshlrev_b32_e32 v2, 2, v2
	ds_write_b32 v2, v30
	v_sub_u32_e32 v2, v5, v19
	v_sub_u32_e32 v3, v36, v2
	v_and_b32_e32 v5, 1, v43
	v_add_u32_e32 v3, 3, v3
	v_cmp_eq_u32_e32 vcc, 1, v5
	v_cndmask_b32_e32 v2, v3, v2, vcc
	v_lshlrev_b32_e32 v2, 2, v2
	ds_write_b32 v2, v31
	v_sub_u32_e32 v2, v6, v19
	v_sub_u32_e32 v3, v36, v2
	v_and_b32_e32 v5, 1, v39
	v_add_u32_e32 v3, 4, v3
	v_cmp_eq_u32_e32 vcc, 1, v5
	v_cndmask_b32_e32 v2, v3, v2, vcc
	v_lshlrev_b32_e32 v2, 2, v2
	v_lshrrev_b32_e32 v16, 8, v39
	ds_write_b32 v2, v28
	v_sub_u32_e32 v2, v7, v19
	v_sub_u32_e32 v3, v36, v2
	v_and_b32_e32 v5, 1, v16
	v_add_u32_e32 v3, 5, v3
	v_cmp_eq_u32_e32 vcc, 1, v5
	v_cndmask_b32_e32 v2, v3, v2, vcc
	v_lshlrev_b32_e32 v2, 2, v2
	ds_write_b32 v2, v29
	v_sub_u32_e32 v2, v8, v19
	v_sub_u32_e32 v3, v36, v2
	v_and_b32_sdwa v5, v4, v39 dst_sel:DWORD dst_unused:UNUSED_PAD src0_sel:DWORD src1_sel:WORD_1
	v_add_u32_e32 v3, 6, v3
	v_cmp_eq_u32_e32 vcc, 1, v5
	v_cndmask_b32_e32 v2, v3, v2, vcc
	v_lshlrev_b32_e32 v2, 2, v2
	ds_write_b32 v2, v26
	v_sub_u32_e32 v2, v9, v19
	v_sub_u32_e32 v3, v36, v2
	v_and_b32_e32 v5, 1, v42
	v_add_u32_e32 v3, 7, v3
	v_cmp_eq_u32_e32 vcc, 1, v5
	v_cndmask_b32_e32 v2, v3, v2, vcc
	v_lshlrev_b32_e32 v2, 2, v2
	ds_write_b32 v2, v27
	v_sub_u32_e32 v2, v10, v19
	v_sub_u32_e32 v3, v36, v2
	v_and_b32_e32 v5, 1, v38
	v_add_u32_e32 v3, 8, v3
	v_cmp_eq_u32_e32 vcc, 1, v5
	v_cndmask_b32_e32 v2, v3, v2, vcc
	v_lshlrev_b32_e32 v2, 2, v2
	v_lshrrev_b32_e32 v15, 8, v38
	ds_write_b32 v2, v24
	v_sub_u32_e32 v2, v11, v19
	v_sub_u32_e32 v3, v36, v2
	v_and_b32_e32 v5, 1, v15
	v_add_u32_e32 v3, 9, v3
	v_cmp_eq_u32_e32 vcc, 1, v5
	v_cndmask_b32_e32 v2, v3, v2, vcc
	v_lshlrev_b32_e32 v2, 2, v2
	ds_write_b32 v2, v25
	v_sub_u32_e32 v2, v12, v19
	v_sub_u32_e32 v3, v36, v2
	v_and_b32_sdwa v4, v4, v38 dst_sel:DWORD dst_unused:UNUSED_PAD src0_sel:DWORD src1_sel:WORD_1
	v_add_u32_e32 v3, 10, v3
	v_cmp_eq_u32_e32 vcc, 1, v4
	v_cndmask_b32_e32 v2, v3, v2, vcc
	v_lshlrev_b32_e32 v2, 2, v2
	ds_write_b32 v2, v22
	v_sub_u32_e32 v2, v13, v19
	v_sub_u32_e32 v3, v36, v2
	v_and_b32_e32 v4, 1, v41
	v_add_u32_e32 v3, 11, v3
	v_cmp_eq_u32_e32 vcc, 1, v4
	v_cndmask_b32_e32 v2, v3, v2, vcc
	v_lshlrev_b32_e32 v2, 2, v2
	ds_write_b32 v2, v23
	v_sub_u32_e32 v2, v14, v19
	v_sub_u32_e32 v3, v36, v2
	v_and_b32_e32 v4, 1, v37
	v_add_u32_e32 v3, 12, v3
	v_cmp_eq_u32_e32 vcc, 1, v4
	v_cndmask_b32_e32 v2, v3, v2, vcc
	v_lshlrev_b32_e32 v2, 2, v2
	ds_write_b32 v2, v35
	s_waitcnt lgkmcnt(0)
	s_barrier
	ds_read2st64_b32 v[12:13], v1 offset1:4
	ds_read2st64_b32 v[10:11], v1 offset0:8 offset1:12
	ds_read2st64_b32 v[8:9], v1 offset0:16 offset1:20
	;; [unrolled: 1-line block ×5, first 2 shown]
	ds_read_b32 v17, v1 offset:12288
	s_waitcnt vmcnt(0)
	v_add_co_u32_e32 v1, vcc, v20, v19
	v_addc_co_u32_e32 v16, vcc, 0, v21, vcc
	v_mov_b32_e32 v14, s29
	v_add_co_u32_e32 v15, vcc, s28, v34
	v_addc_co_u32_e32 v14, vcc, 0, v14, vcc
	v_mov_b32_e32 v19, s27
	v_sub_co_u32_e32 v15, vcc, s26, v15
	v_subb_co_u32_e32 v14, vcc, v19, v14, vcc
	v_add_co_u32_e32 v15, vcc, v15, v18
	v_addc_co_u32_e32 v14, vcc, 0, v14, vcc
	s_and_b64 vcc, exec, s[2:3]
	v_add_co_u32_e64 v19, s[2:3], v15, v1
	v_or_b32_e32 v33, 0x100, v0
	v_or_b32_e32 v32, 0x200, v0
	;; [unrolled: 1-line block ×12, first 2 shown]
	v_addc_co_u32_e64 v20, s[2:3], v14, v16, s[2:3]
	s_cbranch_vccnz .LBB387_132
; %bb.76:
	v_cmp_ge_u32_e32 vcc, v0, v18
                                        ; implicit-def: $vgpr14_vgpr15
	s_and_saveexec_b64 s[2:3], vcc
	s_xor_b64 s[2:3], exec, s[2:3]
; %bb.77:
	v_not_b32_e32 v14, v0
	v_ashrrev_i32_e32 v15, 31, v14
	v_add_co_u32_e32 v14, vcc, v19, v14
	v_addc_co_u32_e32 v15, vcc, v20, v15, vcc
; %bb.78:
	s_andn2_saveexec_b64 s[2:3], s[2:3]
; %bb.79:
	v_add_co_u32_e32 v14, vcc, v1, v0
	v_addc_co_u32_e32 v15, vcc, 0, v16, vcc
; %bb.80:
	s_or_b64 exec, exec, s[2:3]
	v_lshlrev_b64 v[14:15], 2, v[14:15]
	v_mov_b32_e32 v21, s25
	v_add_co_u32_e32 v14, vcc, s24, v14
	v_addc_co_u32_e32 v15, vcc, v21, v15, vcc
	v_cmp_ge_u32_e32 vcc, v33, v18
	s_waitcnt lgkmcnt(6)
	global_store_dword v[14:15], v12, off
                                        ; implicit-def: $vgpr14_vgpr15
	s_and_saveexec_b64 s[2:3], vcc
	s_xor_b64 s[2:3], exec, s[2:3]
; %bb.81:
	v_xor_b32_e32 v14, 0xfffffeff, v0
	v_ashrrev_i32_e32 v15, 31, v14
	v_add_co_u32_e32 v14, vcc, v19, v14
	v_addc_co_u32_e32 v15, vcc, v20, v15, vcc
; %bb.82:
	s_andn2_saveexec_b64 s[2:3], s[2:3]
; %bb.83:
	v_add_co_u32_e32 v14, vcc, v1, v33
	v_addc_co_u32_e32 v15, vcc, 0, v16, vcc
; %bb.84:
	s_or_b64 exec, exec, s[2:3]
	v_lshlrev_b64 v[14:15], 2, v[14:15]
	v_mov_b32_e32 v21, s25
	v_add_co_u32_e32 v14, vcc, s24, v14
	v_addc_co_u32_e32 v15, vcc, v21, v15, vcc
	v_cmp_ge_u32_e32 vcc, v32, v18
	global_store_dword v[14:15], v13, off
                                        ; implicit-def: $vgpr14_vgpr15
	s_and_saveexec_b64 s[2:3], vcc
	s_xor_b64 s[2:3], exec, s[2:3]
; %bb.85:
	v_xor_b32_e32 v14, 0xfffffdff, v0
	v_ashrrev_i32_e32 v15, 31, v14
	v_add_co_u32_e32 v14, vcc, v19, v14
	v_addc_co_u32_e32 v15, vcc, v20, v15, vcc
; %bb.86:
	s_andn2_saveexec_b64 s[2:3], s[2:3]
; %bb.87:
	v_add_co_u32_e32 v14, vcc, v1, v32
	v_addc_co_u32_e32 v15, vcc, 0, v16, vcc
; %bb.88:
	s_or_b64 exec, exec, s[2:3]
	v_lshlrev_b64 v[14:15], 2, v[14:15]
	v_mov_b32_e32 v21, s25
	v_add_co_u32_e32 v14, vcc, s24, v14
	v_addc_co_u32_e32 v15, vcc, v21, v15, vcc
	v_cmp_ge_u32_e32 vcc, v31, v18
	s_waitcnt lgkmcnt(5)
	global_store_dword v[14:15], v10, off
                                        ; implicit-def: $vgpr14_vgpr15
	s_and_saveexec_b64 s[2:3], vcc
	s_xor_b64 s[2:3], exec, s[2:3]
; %bb.89:
	v_xor_b32_e32 v14, 0xfffffcff, v0
	v_ashrrev_i32_e32 v15, 31, v14
	v_add_co_u32_e32 v14, vcc, v19, v14
	v_addc_co_u32_e32 v15, vcc, v20, v15, vcc
; %bb.90:
	s_andn2_saveexec_b64 s[2:3], s[2:3]
; %bb.91:
	v_add_co_u32_e32 v14, vcc, v1, v31
	v_addc_co_u32_e32 v15, vcc, 0, v16, vcc
; %bb.92:
	s_or_b64 exec, exec, s[2:3]
	v_lshlrev_b64 v[14:15], 2, v[14:15]
	v_mov_b32_e32 v21, s25
	v_add_co_u32_e32 v14, vcc, s24, v14
	v_addc_co_u32_e32 v15, vcc, v21, v15, vcc
	v_cmp_ge_u32_e32 vcc, v30, v18
	global_store_dword v[14:15], v11, off
                                        ; implicit-def: $vgpr14_vgpr15
	s_and_saveexec_b64 s[2:3], vcc
	s_xor_b64 s[2:3], exec, s[2:3]
; %bb.93:
	v_xor_b32_e32 v14, 0xfffffbff, v0
	;; [unrolled: 43-line block ×6, first 2 shown]
	v_ashrrev_i32_e32 v15, 31, v14
	v_add_co_u32_e32 v14, vcc, v19, v14
	v_addc_co_u32_e32 v15, vcc, v20, v15, vcc
; %bb.126:
	s_andn2_saveexec_b64 s[2:3], s[2:3]
; %bb.127:
	v_add_co_u32_e32 v14, vcc, v1, v22
	v_addc_co_u32_e32 v15, vcc, 0, v16, vcc
; %bb.128:
	s_or_b64 exec, exec, s[2:3]
	s_mov_b64 s[2:3], -1
.LBB387_129:
	s_and_saveexec_b64 s[4:5], s[2:3]
	s_cbranch_execz .LBB387_212
.LBB387_130:
	s_waitcnt lgkmcnt(1)
	v_lshlrev_b64 v[2:3], 2, v[14:15]
	v_mov_b32_e32 v0, s25
	v_add_co_u32_e32 v2, vcc, s24, v2
	v_addc_co_u32_e32 v3, vcc, v0, v3, vcc
	s_waitcnt lgkmcnt(0)
	global_store_dword v[2:3], v17, off
	s_or_b64 exec, exec, s[4:5]
	s_and_b64 s[0:1], s[0:1], s[22:23]
	s_and_saveexec_b64 s[2:3], s[0:1]
	s_cbranch_execnz .LBB387_213
.LBB387_131:
	s_endpgm
.LBB387_132:
	s_mov_b64 s[2:3], 0
                                        ; implicit-def: $vgpr14_vgpr15
	s_cbranch_execz .LBB387_129
; %bb.133:
	v_cmp_gt_u32_e32 vcc, s33, v0
	s_and_saveexec_b64 s[4:5], vcc
	s_cbranch_execz .LBB387_169
; %bb.134:
	v_cmp_ge_u32_e32 vcc, v0, v18
                                        ; implicit-def: $vgpr14_vgpr15
	s_and_saveexec_b64 s[6:7], vcc
	s_xor_b64 s[6:7], exec, s[6:7]
; %bb.135:
	v_not_b32_e32 v14, v0
	v_ashrrev_i32_e32 v15, 31, v14
	v_add_co_u32_e32 v14, vcc, v19, v14
	v_addc_co_u32_e32 v15, vcc, v20, v15, vcc
; %bb.136:
	s_andn2_saveexec_b64 s[6:7], s[6:7]
; %bb.137:
	v_add_co_u32_e32 v14, vcc, v1, v0
	v_addc_co_u32_e32 v15, vcc, 0, v16, vcc
; %bb.138:
	s_or_b64 exec, exec, s[6:7]
	v_lshlrev_b64 v[14:15], 2, v[14:15]
	v_mov_b32_e32 v21, s25
	v_add_co_u32_e32 v14, vcc, s24, v14
	v_addc_co_u32_e32 v15, vcc, v21, v15, vcc
	s_waitcnt lgkmcnt(6)
	global_store_dword v[14:15], v12, off
	s_or_b64 exec, exec, s[4:5]
	v_cmp_gt_u32_e32 vcc, s33, v33
	s_and_saveexec_b64 s[4:5], vcc
	s_cbranch_execnz .LBB387_170
.LBB387_139:
	s_or_b64 exec, exec, s[4:5]
	v_cmp_gt_u32_e32 vcc, s33, v32
	s_and_saveexec_b64 s[4:5], vcc
	s_cbranch_execz .LBB387_175
.LBB387_140:
	v_cmp_ge_u32_e32 vcc, v32, v18
                                        ; implicit-def: $vgpr12_vgpr13
	s_and_saveexec_b64 s[6:7], vcc
	s_xor_b64 s[6:7], exec, s[6:7]
	s_cbranch_execz .LBB387_142
; %bb.141:
	s_waitcnt lgkmcnt(6)
	v_xor_b32_e32 v12, 0xfffffdff, v0
	v_ashrrev_i32_e32 v13, 31, v12
	v_add_co_u32_e32 v12, vcc, v19, v12
	v_addc_co_u32_e32 v13, vcc, v20, v13, vcc
                                        ; implicit-def: $vgpr32
.LBB387_142:
	s_andn2_saveexec_b64 s[6:7], s[6:7]
	s_cbranch_execz .LBB387_144
; %bb.143:
	s_waitcnt lgkmcnt(6)
	v_add_co_u32_e32 v12, vcc, v1, v32
	v_addc_co_u32_e32 v13, vcc, 0, v16, vcc
.LBB387_144:
	s_or_b64 exec, exec, s[6:7]
	s_waitcnt lgkmcnt(6)
	v_lshlrev_b64 v[12:13], 2, v[12:13]
	v_mov_b32_e32 v14, s25
	v_add_co_u32_e32 v12, vcc, s24, v12
	v_addc_co_u32_e32 v13, vcc, v14, v13, vcc
	s_waitcnt lgkmcnt(5)
	global_store_dword v[12:13], v10, off
	s_or_b64 exec, exec, s[4:5]
	v_cmp_gt_u32_e32 vcc, s33, v31
	s_and_saveexec_b64 s[4:5], vcc
	s_cbranch_execnz .LBB387_176
.LBB387_145:
	s_or_b64 exec, exec, s[4:5]
	v_cmp_gt_u32_e32 vcc, s33, v30
	s_and_saveexec_b64 s[4:5], vcc
	s_cbranch_execz .LBB387_181
.LBB387_146:
	v_cmp_ge_u32_e32 vcc, v30, v18
                                        ; implicit-def: $vgpr10_vgpr11
	s_and_saveexec_b64 s[6:7], vcc
	s_xor_b64 s[6:7], exec, s[6:7]
	s_cbranch_execz .LBB387_148
; %bb.147:
	s_waitcnt lgkmcnt(5)
	v_xor_b32_e32 v10, 0xfffffbff, v0
	v_ashrrev_i32_e32 v11, 31, v10
	v_add_co_u32_e32 v10, vcc, v19, v10
	v_addc_co_u32_e32 v11, vcc, v20, v11, vcc
                                        ; implicit-def: $vgpr30
.LBB387_148:
	s_andn2_saveexec_b64 s[6:7], s[6:7]
	s_cbranch_execz .LBB387_150
; %bb.149:
	s_waitcnt lgkmcnt(5)
	v_add_co_u32_e32 v10, vcc, v1, v30
	v_addc_co_u32_e32 v11, vcc, 0, v16, vcc
.LBB387_150:
	s_or_b64 exec, exec, s[6:7]
	s_waitcnt lgkmcnt(5)
	v_lshlrev_b64 v[10:11], 2, v[10:11]
	v_mov_b32_e32 v12, s25
	v_add_co_u32_e32 v10, vcc, s24, v10
	v_addc_co_u32_e32 v11, vcc, v12, v11, vcc
	s_waitcnt lgkmcnt(4)
	global_store_dword v[10:11], v8, off
	s_or_b64 exec, exec, s[4:5]
	v_cmp_gt_u32_e32 vcc, s33, v29
	s_and_saveexec_b64 s[4:5], vcc
	s_cbranch_execnz .LBB387_182
.LBB387_151:
	s_or_b64 exec, exec, s[4:5]
	v_cmp_gt_u32_e32 vcc, s33, v28
	s_and_saveexec_b64 s[4:5], vcc
	s_cbranch_execz .LBB387_187
.LBB387_152:
	v_cmp_ge_u32_e32 vcc, v28, v18
                                        ; implicit-def: $vgpr8_vgpr9
	s_and_saveexec_b64 s[6:7], vcc
	s_xor_b64 s[6:7], exec, s[6:7]
	s_cbranch_execz .LBB387_154
; %bb.153:
	s_waitcnt lgkmcnt(4)
	v_xor_b32_e32 v8, 0xfffff9ff, v0
	v_ashrrev_i32_e32 v9, 31, v8
	v_add_co_u32_e32 v8, vcc, v19, v8
	v_addc_co_u32_e32 v9, vcc, v20, v9, vcc
                                        ; implicit-def: $vgpr28
.LBB387_154:
	s_andn2_saveexec_b64 s[6:7], s[6:7]
	s_cbranch_execz .LBB387_156
; %bb.155:
	s_waitcnt lgkmcnt(4)
	v_add_co_u32_e32 v8, vcc, v1, v28
	v_addc_co_u32_e32 v9, vcc, 0, v16, vcc
.LBB387_156:
	s_or_b64 exec, exec, s[6:7]
	s_waitcnt lgkmcnt(4)
	v_lshlrev_b64 v[8:9], 2, v[8:9]
	v_mov_b32_e32 v10, s25
	v_add_co_u32_e32 v8, vcc, s24, v8
	v_addc_co_u32_e32 v9, vcc, v10, v9, vcc
	s_waitcnt lgkmcnt(3)
	global_store_dword v[8:9], v6, off
	s_or_b64 exec, exec, s[4:5]
	v_cmp_gt_u32_e32 vcc, s33, v27
	s_and_saveexec_b64 s[4:5], vcc
	s_cbranch_execnz .LBB387_188
.LBB387_157:
	s_or_b64 exec, exec, s[4:5]
	v_cmp_gt_u32_e32 vcc, s33, v26
	s_and_saveexec_b64 s[4:5], vcc
	s_cbranch_execz .LBB387_193
.LBB387_158:
	v_cmp_ge_u32_e32 vcc, v26, v18
                                        ; implicit-def: $vgpr6_vgpr7
	s_and_saveexec_b64 s[6:7], vcc
	s_xor_b64 s[6:7], exec, s[6:7]
	s_cbranch_execz .LBB387_160
; %bb.159:
	s_waitcnt lgkmcnt(3)
	v_xor_b32_e32 v6, 0xfffff7ff, v0
	v_ashrrev_i32_e32 v7, 31, v6
	v_add_co_u32_e32 v6, vcc, v19, v6
	v_addc_co_u32_e32 v7, vcc, v20, v7, vcc
                                        ; implicit-def: $vgpr26
.LBB387_160:
	s_andn2_saveexec_b64 s[6:7], s[6:7]
	s_cbranch_execz .LBB387_162
; %bb.161:
	s_waitcnt lgkmcnt(3)
	v_add_co_u32_e32 v6, vcc, v1, v26
	v_addc_co_u32_e32 v7, vcc, 0, v16, vcc
.LBB387_162:
	s_or_b64 exec, exec, s[6:7]
	s_waitcnt lgkmcnt(3)
	v_lshlrev_b64 v[6:7], 2, v[6:7]
	v_mov_b32_e32 v8, s25
	v_add_co_u32_e32 v6, vcc, s24, v6
	v_addc_co_u32_e32 v7, vcc, v8, v7, vcc
	s_waitcnt lgkmcnt(2)
	global_store_dword v[6:7], v4, off
	s_or_b64 exec, exec, s[4:5]
	v_cmp_gt_u32_e32 vcc, s33, v25
	s_and_saveexec_b64 s[4:5], vcc
	s_cbranch_execnz .LBB387_194
.LBB387_163:
	s_or_b64 exec, exec, s[4:5]
	v_cmp_gt_u32_e32 vcc, s33, v24
	s_and_saveexec_b64 s[4:5], vcc
	s_cbranch_execz .LBB387_199
.LBB387_164:
	v_cmp_ge_u32_e32 vcc, v24, v18
                                        ; implicit-def: $vgpr4_vgpr5
	s_and_saveexec_b64 s[6:7], vcc
	s_xor_b64 s[6:7], exec, s[6:7]
	s_cbranch_execz .LBB387_166
; %bb.165:
	s_waitcnt lgkmcnt(2)
	v_xor_b32_e32 v4, 0xfffff5ff, v0
	v_ashrrev_i32_e32 v5, 31, v4
	v_add_co_u32_e32 v4, vcc, v19, v4
	v_addc_co_u32_e32 v5, vcc, v20, v5, vcc
                                        ; implicit-def: $vgpr24
.LBB387_166:
	s_andn2_saveexec_b64 s[6:7], s[6:7]
	s_cbranch_execz .LBB387_168
; %bb.167:
	s_waitcnt lgkmcnt(2)
	v_add_co_u32_e32 v4, vcc, v1, v24
	v_addc_co_u32_e32 v5, vcc, 0, v16, vcc
.LBB387_168:
	s_or_b64 exec, exec, s[6:7]
	s_waitcnt lgkmcnt(2)
	v_lshlrev_b64 v[4:5], 2, v[4:5]
	v_mov_b32_e32 v6, s25
	v_add_co_u32_e32 v4, vcc, s24, v4
	v_addc_co_u32_e32 v5, vcc, v6, v5, vcc
	s_waitcnt lgkmcnt(1)
	global_store_dword v[4:5], v2, off
	s_or_b64 exec, exec, s[4:5]
	v_cmp_gt_u32_e32 vcc, s33, v23
	s_and_saveexec_b64 s[4:5], vcc
	s_cbranch_execz .LBB387_205
	s_branch .LBB387_200
.LBB387_169:
	s_or_b64 exec, exec, s[4:5]
	v_cmp_gt_u32_e32 vcc, s33, v33
	s_and_saveexec_b64 s[4:5], vcc
	s_cbranch_execz .LBB387_139
.LBB387_170:
	v_cmp_ge_u32_e32 vcc, v33, v18
                                        ; implicit-def: $vgpr14_vgpr15
	s_and_saveexec_b64 s[6:7], vcc
	s_xor_b64 s[6:7], exec, s[6:7]
	s_cbranch_execz .LBB387_172
; %bb.171:
	s_waitcnt lgkmcnt(6)
	v_xor_b32_e32 v12, 0xfffffeff, v0
	v_ashrrev_i32_e32 v15, 31, v12
	v_add_co_u32_e32 v14, vcc, v19, v12
	v_addc_co_u32_e32 v15, vcc, v20, v15, vcc
                                        ; implicit-def: $vgpr33
.LBB387_172:
	s_andn2_saveexec_b64 s[6:7], s[6:7]
; %bb.173:
	v_add_co_u32_e32 v14, vcc, v1, v33
	v_addc_co_u32_e32 v15, vcc, 0, v16, vcc
; %bb.174:
	s_or_b64 exec, exec, s[6:7]
	v_lshlrev_b64 v[14:15], 2, v[14:15]
	s_waitcnt lgkmcnt(6)
	v_mov_b32_e32 v12, s25
	v_add_co_u32_e32 v14, vcc, s24, v14
	v_addc_co_u32_e32 v15, vcc, v12, v15, vcc
	global_store_dword v[14:15], v13, off
	s_or_b64 exec, exec, s[4:5]
	v_cmp_gt_u32_e32 vcc, s33, v32
	s_and_saveexec_b64 s[4:5], vcc
	s_cbranch_execnz .LBB387_140
.LBB387_175:
	s_or_b64 exec, exec, s[4:5]
	v_cmp_gt_u32_e32 vcc, s33, v31
	s_and_saveexec_b64 s[4:5], vcc
	s_cbranch_execz .LBB387_145
.LBB387_176:
	v_cmp_ge_u32_e32 vcc, v31, v18
                                        ; implicit-def: $vgpr12_vgpr13
	s_and_saveexec_b64 s[6:7], vcc
	s_xor_b64 s[6:7], exec, s[6:7]
	s_cbranch_execz .LBB387_178
; %bb.177:
	s_waitcnt lgkmcnt(5)
	v_xor_b32_e32 v10, 0xfffffcff, v0
	v_ashrrev_i32_e32 v13, 31, v10
	v_add_co_u32_e32 v12, vcc, v19, v10
	v_addc_co_u32_e32 v13, vcc, v20, v13, vcc
                                        ; implicit-def: $vgpr31
.LBB387_178:
	s_andn2_saveexec_b64 s[6:7], s[6:7]
	s_cbranch_execz .LBB387_180
; %bb.179:
	s_waitcnt lgkmcnt(6)
	v_add_co_u32_e32 v12, vcc, v1, v31
	v_addc_co_u32_e32 v13, vcc, 0, v16, vcc
.LBB387_180:
	s_or_b64 exec, exec, s[6:7]
	s_waitcnt lgkmcnt(6)
	v_lshlrev_b64 v[12:13], 2, v[12:13]
	s_waitcnt lgkmcnt(5)
	v_mov_b32_e32 v10, s25
	v_add_co_u32_e32 v12, vcc, s24, v12
	v_addc_co_u32_e32 v13, vcc, v10, v13, vcc
	global_store_dword v[12:13], v11, off
	s_or_b64 exec, exec, s[4:5]
	v_cmp_gt_u32_e32 vcc, s33, v30
	s_and_saveexec_b64 s[4:5], vcc
	s_cbranch_execnz .LBB387_146
.LBB387_181:
	s_or_b64 exec, exec, s[4:5]
	v_cmp_gt_u32_e32 vcc, s33, v29
	s_and_saveexec_b64 s[4:5], vcc
	s_cbranch_execz .LBB387_151
.LBB387_182:
	v_cmp_ge_u32_e32 vcc, v29, v18
                                        ; implicit-def: $vgpr10_vgpr11
	s_and_saveexec_b64 s[6:7], vcc
	s_xor_b64 s[6:7], exec, s[6:7]
	s_cbranch_execz .LBB387_184
; %bb.183:
	s_waitcnt lgkmcnt(4)
	v_xor_b32_e32 v8, 0xfffffaff, v0
	v_ashrrev_i32_e32 v11, 31, v8
	v_add_co_u32_e32 v10, vcc, v19, v8
	v_addc_co_u32_e32 v11, vcc, v20, v11, vcc
                                        ; implicit-def: $vgpr29
.LBB387_184:
	s_andn2_saveexec_b64 s[6:7], s[6:7]
	s_cbranch_execz .LBB387_186
; %bb.185:
	s_waitcnt lgkmcnt(5)
	v_add_co_u32_e32 v10, vcc, v1, v29
	v_addc_co_u32_e32 v11, vcc, 0, v16, vcc
.LBB387_186:
	s_or_b64 exec, exec, s[6:7]
	s_waitcnt lgkmcnt(5)
	v_lshlrev_b64 v[10:11], 2, v[10:11]
	s_waitcnt lgkmcnt(4)
	v_mov_b32_e32 v8, s25
	v_add_co_u32_e32 v10, vcc, s24, v10
	v_addc_co_u32_e32 v11, vcc, v8, v11, vcc
	global_store_dword v[10:11], v9, off
	s_or_b64 exec, exec, s[4:5]
	v_cmp_gt_u32_e32 vcc, s33, v28
	s_and_saveexec_b64 s[4:5], vcc
	s_cbranch_execnz .LBB387_152
.LBB387_187:
	s_or_b64 exec, exec, s[4:5]
	v_cmp_gt_u32_e32 vcc, s33, v27
	s_and_saveexec_b64 s[4:5], vcc
	s_cbranch_execz .LBB387_157
.LBB387_188:
	v_cmp_ge_u32_e32 vcc, v27, v18
                                        ; implicit-def: $vgpr8_vgpr9
	s_and_saveexec_b64 s[6:7], vcc
	s_xor_b64 s[6:7], exec, s[6:7]
	s_cbranch_execz .LBB387_190
; %bb.189:
	s_waitcnt lgkmcnt(3)
	v_xor_b32_e32 v6, 0xfffff8ff, v0
	v_ashrrev_i32_e32 v9, 31, v6
	v_add_co_u32_e32 v8, vcc, v19, v6
	v_addc_co_u32_e32 v9, vcc, v20, v9, vcc
                                        ; implicit-def: $vgpr27
.LBB387_190:
	s_andn2_saveexec_b64 s[6:7], s[6:7]
	s_cbranch_execz .LBB387_192
; %bb.191:
	s_waitcnt lgkmcnt(4)
	v_add_co_u32_e32 v8, vcc, v1, v27
	v_addc_co_u32_e32 v9, vcc, 0, v16, vcc
.LBB387_192:
	s_or_b64 exec, exec, s[6:7]
	s_waitcnt lgkmcnt(4)
	v_lshlrev_b64 v[8:9], 2, v[8:9]
	s_waitcnt lgkmcnt(3)
	v_mov_b32_e32 v6, s25
	v_add_co_u32_e32 v8, vcc, s24, v8
	v_addc_co_u32_e32 v9, vcc, v6, v9, vcc
	global_store_dword v[8:9], v7, off
	s_or_b64 exec, exec, s[4:5]
	v_cmp_gt_u32_e32 vcc, s33, v26
	s_and_saveexec_b64 s[4:5], vcc
	s_cbranch_execnz .LBB387_158
.LBB387_193:
	s_or_b64 exec, exec, s[4:5]
	v_cmp_gt_u32_e32 vcc, s33, v25
	s_and_saveexec_b64 s[4:5], vcc
	s_cbranch_execz .LBB387_163
.LBB387_194:
	v_cmp_ge_u32_e32 vcc, v25, v18
                                        ; implicit-def: $vgpr6_vgpr7
	s_and_saveexec_b64 s[6:7], vcc
	s_xor_b64 s[6:7], exec, s[6:7]
	s_cbranch_execz .LBB387_196
; %bb.195:
	s_waitcnt lgkmcnt(2)
	v_xor_b32_e32 v4, 0xfffff6ff, v0
	v_ashrrev_i32_e32 v7, 31, v4
	v_add_co_u32_e32 v6, vcc, v19, v4
	v_addc_co_u32_e32 v7, vcc, v20, v7, vcc
                                        ; implicit-def: $vgpr25
.LBB387_196:
	s_andn2_saveexec_b64 s[6:7], s[6:7]
	s_cbranch_execz .LBB387_198
; %bb.197:
	s_waitcnt lgkmcnt(3)
	v_add_co_u32_e32 v6, vcc, v1, v25
	v_addc_co_u32_e32 v7, vcc, 0, v16, vcc
.LBB387_198:
	s_or_b64 exec, exec, s[6:7]
	s_waitcnt lgkmcnt(3)
	v_lshlrev_b64 v[6:7], 2, v[6:7]
	s_waitcnt lgkmcnt(2)
	v_mov_b32_e32 v4, s25
	v_add_co_u32_e32 v6, vcc, s24, v6
	v_addc_co_u32_e32 v7, vcc, v4, v7, vcc
	global_store_dword v[6:7], v5, off
	s_or_b64 exec, exec, s[4:5]
	v_cmp_gt_u32_e32 vcc, s33, v24
	s_and_saveexec_b64 s[4:5], vcc
	s_cbranch_execnz .LBB387_164
.LBB387_199:
	s_or_b64 exec, exec, s[4:5]
	v_cmp_gt_u32_e32 vcc, s33, v23
	s_and_saveexec_b64 s[4:5], vcc
	s_cbranch_execz .LBB387_205
.LBB387_200:
	v_cmp_ge_u32_e32 vcc, v23, v18
                                        ; implicit-def: $vgpr4_vgpr5
	s_and_saveexec_b64 s[6:7], vcc
	s_xor_b64 s[6:7], exec, s[6:7]
	s_cbranch_execz .LBB387_202
; %bb.201:
	s_waitcnt lgkmcnt(1)
	v_xor_b32_e32 v2, 0xfffff4ff, v0
	v_ashrrev_i32_e32 v5, 31, v2
	v_add_co_u32_e32 v4, vcc, v19, v2
	v_addc_co_u32_e32 v5, vcc, v20, v5, vcc
                                        ; implicit-def: $vgpr23
.LBB387_202:
	s_andn2_saveexec_b64 s[6:7], s[6:7]
	s_cbranch_execz .LBB387_204
; %bb.203:
	s_waitcnt lgkmcnt(2)
	v_add_co_u32_e32 v4, vcc, v1, v23
	v_addc_co_u32_e32 v5, vcc, 0, v16, vcc
.LBB387_204:
	s_or_b64 exec, exec, s[6:7]
	s_waitcnt lgkmcnt(2)
	v_lshlrev_b64 v[4:5], 2, v[4:5]
	s_waitcnt lgkmcnt(1)
	v_mov_b32_e32 v2, s25
	v_add_co_u32_e32 v4, vcc, s24, v4
	v_addc_co_u32_e32 v5, vcc, v2, v5, vcc
	global_store_dword v[4:5], v3, off
.LBB387_205:
	s_or_b64 exec, exec, s[4:5]
	v_cmp_gt_u32_e32 vcc, s33, v22
                                        ; implicit-def: $vgpr14_vgpr15
	s_and_saveexec_b64 s[4:5], vcc
	s_cbranch_execz .LBB387_211
; %bb.206:
	v_cmp_ge_u32_e32 vcc, v22, v18
                                        ; implicit-def: $vgpr14_vgpr15
	s_and_saveexec_b64 s[6:7], vcc
	s_xor_b64 s[6:7], exec, s[6:7]
	s_cbranch_execz .LBB387_208
; %bb.207:
	v_xor_b32_e32 v0, 0xfffff3ff, v0
	s_waitcnt lgkmcnt(1)
	v_ashrrev_i32_e32 v2, 31, v0
	v_add_co_u32_e32 v14, vcc, v19, v0
	v_addc_co_u32_e32 v15, vcc, v20, v2, vcc
                                        ; implicit-def: $vgpr22
.LBB387_208:
	s_andn2_saveexec_b64 s[6:7], s[6:7]
; %bb.209:
	v_add_co_u32_e32 v14, vcc, v1, v22
	v_addc_co_u32_e32 v15, vcc, 0, v16, vcc
; %bb.210:
	s_or_b64 exec, exec, s[6:7]
	s_or_b64 s[2:3], s[2:3], exec
.LBB387_211:
	s_or_b64 exec, exec, s[4:5]
	s_and_saveexec_b64 s[4:5], s[2:3]
	s_cbranch_execnz .LBB387_130
.LBB387_212:
	s_or_b64 exec, exec, s[4:5]
	s_and_b64 s[0:1], s[0:1], s[22:23]
	s_and_saveexec_b64 s[2:3], s[0:1]
	s_cbranch_execz .LBB387_131
.LBB387_213:
	v_add_co_u32_e32 v0, vcc, v1, v18
	s_waitcnt lgkmcnt(1)
	v_mov_b32_e32 v2, 0
	v_addc_co_u32_e32 v1, vcc, 0, v16, vcc
	global_store_dwordx2 v2, v[0:1], s[20:21]
	s_endpgm
	.section	.rodata,"a",@progbits
	.p2align	6, 0x0
	.amdhsa_kernel _ZN7rocprim17ROCPRIM_400000_NS6detail17trampoline_kernelINS0_13select_configILj256ELj13ELNS0_17block_load_methodE3ELS4_3ELS4_3ELNS0_20block_scan_algorithmE0ELj4294967295EEENS1_25partition_config_selectorILNS1_17partition_subalgoE3EjNS0_10empty_typeEbEEZZNS1_14partition_implILS8_3ELb0ES6_jNS0_17counting_iteratorIjlEEPS9_SE_NS0_5tupleIJPjSE_EEENSF_IJSE_SE_EEES9_SG_JZNS1_25segmented_radix_sort_implINS0_14default_configELb0EPKaPaPKlPlN2at6native12_GLOBAL__N_18offset_tEEE10hipError_tPvRmT1_PNSt15iterator_traitsISY_E10value_typeET2_T3_PNSZ_IS14_E10value_typeET4_jRbjT5_S1A_jjP12ihipStream_tbEUljE_EEESV_SW_SX_S14_S18_S1A_T6_T7_T9_mT8_S1C_bDpT10_ENKUlT_T0_E_clISt17integral_constantIbLb0EES1O_IbLb1EEEEDaS1K_S1L_EUlS1K_E_NS1_11comp_targetILNS1_3genE4ELNS1_11target_archE910ELNS1_3gpuE8ELNS1_3repE0EEENS1_30default_config_static_selectorELNS0_4arch9wavefront6targetE1EEEvSY_
		.amdhsa_group_segment_fixed_size 13324
		.amdhsa_private_segment_fixed_size 0
		.amdhsa_kernarg_size 152
		.amdhsa_user_sgpr_count 6
		.amdhsa_user_sgpr_private_segment_buffer 1
		.amdhsa_user_sgpr_dispatch_ptr 0
		.amdhsa_user_sgpr_queue_ptr 0
		.amdhsa_user_sgpr_kernarg_segment_ptr 1
		.amdhsa_user_sgpr_dispatch_id 0
		.amdhsa_user_sgpr_flat_scratch_init 0
		.amdhsa_user_sgpr_kernarg_preload_length 0
		.amdhsa_user_sgpr_kernarg_preload_offset 0
		.amdhsa_user_sgpr_private_segment_size 0
		.amdhsa_uses_dynamic_stack 0
		.amdhsa_system_sgpr_private_segment_wavefront_offset 0
		.amdhsa_system_sgpr_workgroup_id_x 1
		.amdhsa_system_sgpr_workgroup_id_y 0
		.amdhsa_system_sgpr_workgroup_id_z 0
		.amdhsa_system_sgpr_workgroup_info 0
		.amdhsa_system_vgpr_workitem_id 0
		.amdhsa_next_free_vgpr 64
		.amdhsa_next_free_sgpr 44
		.amdhsa_accum_offset 64
		.amdhsa_reserve_vcc 1
		.amdhsa_reserve_flat_scratch 0
		.amdhsa_float_round_mode_32 0
		.amdhsa_float_round_mode_16_64 0
		.amdhsa_float_denorm_mode_32 3
		.amdhsa_float_denorm_mode_16_64 3
		.amdhsa_dx10_clamp 1
		.amdhsa_ieee_mode 1
		.amdhsa_fp16_overflow 0
		.amdhsa_tg_split 0
		.amdhsa_exception_fp_ieee_invalid_op 0
		.amdhsa_exception_fp_denorm_src 0
		.amdhsa_exception_fp_ieee_div_zero 0
		.amdhsa_exception_fp_ieee_overflow 0
		.amdhsa_exception_fp_ieee_underflow 0
		.amdhsa_exception_fp_ieee_inexact 0
		.amdhsa_exception_int_div_zero 0
	.end_amdhsa_kernel
	.section	.text._ZN7rocprim17ROCPRIM_400000_NS6detail17trampoline_kernelINS0_13select_configILj256ELj13ELNS0_17block_load_methodE3ELS4_3ELS4_3ELNS0_20block_scan_algorithmE0ELj4294967295EEENS1_25partition_config_selectorILNS1_17partition_subalgoE3EjNS0_10empty_typeEbEEZZNS1_14partition_implILS8_3ELb0ES6_jNS0_17counting_iteratorIjlEEPS9_SE_NS0_5tupleIJPjSE_EEENSF_IJSE_SE_EEES9_SG_JZNS1_25segmented_radix_sort_implINS0_14default_configELb0EPKaPaPKlPlN2at6native12_GLOBAL__N_18offset_tEEE10hipError_tPvRmT1_PNSt15iterator_traitsISY_E10value_typeET2_T3_PNSZ_IS14_E10value_typeET4_jRbjT5_S1A_jjP12ihipStream_tbEUljE_EEESV_SW_SX_S14_S18_S1A_T6_T7_T9_mT8_S1C_bDpT10_ENKUlT_T0_E_clISt17integral_constantIbLb0EES1O_IbLb1EEEEDaS1K_S1L_EUlS1K_E_NS1_11comp_targetILNS1_3genE4ELNS1_11target_archE910ELNS1_3gpuE8ELNS1_3repE0EEENS1_30default_config_static_selectorELNS0_4arch9wavefront6targetE1EEEvSY_,"axG",@progbits,_ZN7rocprim17ROCPRIM_400000_NS6detail17trampoline_kernelINS0_13select_configILj256ELj13ELNS0_17block_load_methodE3ELS4_3ELS4_3ELNS0_20block_scan_algorithmE0ELj4294967295EEENS1_25partition_config_selectorILNS1_17partition_subalgoE3EjNS0_10empty_typeEbEEZZNS1_14partition_implILS8_3ELb0ES6_jNS0_17counting_iteratorIjlEEPS9_SE_NS0_5tupleIJPjSE_EEENSF_IJSE_SE_EEES9_SG_JZNS1_25segmented_radix_sort_implINS0_14default_configELb0EPKaPaPKlPlN2at6native12_GLOBAL__N_18offset_tEEE10hipError_tPvRmT1_PNSt15iterator_traitsISY_E10value_typeET2_T3_PNSZ_IS14_E10value_typeET4_jRbjT5_S1A_jjP12ihipStream_tbEUljE_EEESV_SW_SX_S14_S18_S1A_T6_T7_T9_mT8_S1C_bDpT10_ENKUlT_T0_E_clISt17integral_constantIbLb0EES1O_IbLb1EEEEDaS1K_S1L_EUlS1K_E_NS1_11comp_targetILNS1_3genE4ELNS1_11target_archE910ELNS1_3gpuE8ELNS1_3repE0EEENS1_30default_config_static_selectorELNS0_4arch9wavefront6targetE1EEEvSY_,comdat
.Lfunc_end387:
	.size	_ZN7rocprim17ROCPRIM_400000_NS6detail17trampoline_kernelINS0_13select_configILj256ELj13ELNS0_17block_load_methodE3ELS4_3ELS4_3ELNS0_20block_scan_algorithmE0ELj4294967295EEENS1_25partition_config_selectorILNS1_17partition_subalgoE3EjNS0_10empty_typeEbEEZZNS1_14partition_implILS8_3ELb0ES6_jNS0_17counting_iteratorIjlEEPS9_SE_NS0_5tupleIJPjSE_EEENSF_IJSE_SE_EEES9_SG_JZNS1_25segmented_radix_sort_implINS0_14default_configELb0EPKaPaPKlPlN2at6native12_GLOBAL__N_18offset_tEEE10hipError_tPvRmT1_PNSt15iterator_traitsISY_E10value_typeET2_T3_PNSZ_IS14_E10value_typeET4_jRbjT5_S1A_jjP12ihipStream_tbEUljE_EEESV_SW_SX_S14_S18_S1A_T6_T7_T9_mT8_S1C_bDpT10_ENKUlT_T0_E_clISt17integral_constantIbLb0EES1O_IbLb1EEEEDaS1K_S1L_EUlS1K_E_NS1_11comp_targetILNS1_3genE4ELNS1_11target_archE910ELNS1_3gpuE8ELNS1_3repE0EEENS1_30default_config_static_selectorELNS0_4arch9wavefront6targetE1EEEvSY_, .Lfunc_end387-_ZN7rocprim17ROCPRIM_400000_NS6detail17trampoline_kernelINS0_13select_configILj256ELj13ELNS0_17block_load_methodE3ELS4_3ELS4_3ELNS0_20block_scan_algorithmE0ELj4294967295EEENS1_25partition_config_selectorILNS1_17partition_subalgoE3EjNS0_10empty_typeEbEEZZNS1_14partition_implILS8_3ELb0ES6_jNS0_17counting_iteratorIjlEEPS9_SE_NS0_5tupleIJPjSE_EEENSF_IJSE_SE_EEES9_SG_JZNS1_25segmented_radix_sort_implINS0_14default_configELb0EPKaPaPKlPlN2at6native12_GLOBAL__N_18offset_tEEE10hipError_tPvRmT1_PNSt15iterator_traitsISY_E10value_typeET2_T3_PNSZ_IS14_E10value_typeET4_jRbjT5_S1A_jjP12ihipStream_tbEUljE_EEESV_SW_SX_S14_S18_S1A_T6_T7_T9_mT8_S1C_bDpT10_ENKUlT_T0_E_clISt17integral_constantIbLb0EES1O_IbLb1EEEEDaS1K_S1L_EUlS1K_E_NS1_11comp_targetILNS1_3genE4ELNS1_11target_archE910ELNS1_3gpuE8ELNS1_3repE0EEENS1_30default_config_static_selectorELNS0_4arch9wavefront6targetE1EEEvSY_
                                        ; -- End function
	.section	.AMDGPU.csdata,"",@progbits
; Kernel info:
; codeLenInByte = 7816
; NumSgprs: 48
; NumVgprs: 64
; NumAgprs: 0
; TotalNumVgprs: 64
; ScratchSize: 0
; MemoryBound: 0
; FloatMode: 240
; IeeeMode: 1
; LDSByteSize: 13324 bytes/workgroup (compile time only)
; SGPRBlocks: 5
; VGPRBlocks: 7
; NumSGPRsForWavesPerEU: 48
; NumVGPRsForWavesPerEU: 64
; AccumOffset: 64
; Occupancy: 4
; WaveLimiterHint : 0
; COMPUTE_PGM_RSRC2:SCRATCH_EN: 0
; COMPUTE_PGM_RSRC2:USER_SGPR: 6
; COMPUTE_PGM_RSRC2:TRAP_HANDLER: 0
; COMPUTE_PGM_RSRC2:TGID_X_EN: 1
; COMPUTE_PGM_RSRC2:TGID_Y_EN: 0
; COMPUTE_PGM_RSRC2:TGID_Z_EN: 0
; COMPUTE_PGM_RSRC2:TIDIG_COMP_CNT: 0
; COMPUTE_PGM_RSRC3_GFX90A:ACCUM_OFFSET: 15
; COMPUTE_PGM_RSRC3_GFX90A:TG_SPLIT: 0
	.section	.text._ZN7rocprim17ROCPRIM_400000_NS6detail17trampoline_kernelINS0_13select_configILj256ELj13ELNS0_17block_load_methodE3ELS4_3ELS4_3ELNS0_20block_scan_algorithmE0ELj4294967295EEENS1_25partition_config_selectorILNS1_17partition_subalgoE3EjNS0_10empty_typeEbEEZZNS1_14partition_implILS8_3ELb0ES6_jNS0_17counting_iteratorIjlEEPS9_SE_NS0_5tupleIJPjSE_EEENSF_IJSE_SE_EEES9_SG_JZNS1_25segmented_radix_sort_implINS0_14default_configELb0EPKaPaPKlPlN2at6native12_GLOBAL__N_18offset_tEEE10hipError_tPvRmT1_PNSt15iterator_traitsISY_E10value_typeET2_T3_PNSZ_IS14_E10value_typeET4_jRbjT5_S1A_jjP12ihipStream_tbEUljE_EEESV_SW_SX_S14_S18_S1A_T6_T7_T9_mT8_S1C_bDpT10_ENKUlT_T0_E_clISt17integral_constantIbLb0EES1O_IbLb1EEEEDaS1K_S1L_EUlS1K_E_NS1_11comp_targetILNS1_3genE3ELNS1_11target_archE908ELNS1_3gpuE7ELNS1_3repE0EEENS1_30default_config_static_selectorELNS0_4arch9wavefront6targetE1EEEvSY_,"axG",@progbits,_ZN7rocprim17ROCPRIM_400000_NS6detail17trampoline_kernelINS0_13select_configILj256ELj13ELNS0_17block_load_methodE3ELS4_3ELS4_3ELNS0_20block_scan_algorithmE0ELj4294967295EEENS1_25partition_config_selectorILNS1_17partition_subalgoE3EjNS0_10empty_typeEbEEZZNS1_14partition_implILS8_3ELb0ES6_jNS0_17counting_iteratorIjlEEPS9_SE_NS0_5tupleIJPjSE_EEENSF_IJSE_SE_EEES9_SG_JZNS1_25segmented_radix_sort_implINS0_14default_configELb0EPKaPaPKlPlN2at6native12_GLOBAL__N_18offset_tEEE10hipError_tPvRmT1_PNSt15iterator_traitsISY_E10value_typeET2_T3_PNSZ_IS14_E10value_typeET4_jRbjT5_S1A_jjP12ihipStream_tbEUljE_EEESV_SW_SX_S14_S18_S1A_T6_T7_T9_mT8_S1C_bDpT10_ENKUlT_T0_E_clISt17integral_constantIbLb0EES1O_IbLb1EEEEDaS1K_S1L_EUlS1K_E_NS1_11comp_targetILNS1_3genE3ELNS1_11target_archE908ELNS1_3gpuE7ELNS1_3repE0EEENS1_30default_config_static_selectorELNS0_4arch9wavefront6targetE1EEEvSY_,comdat
	.globl	_ZN7rocprim17ROCPRIM_400000_NS6detail17trampoline_kernelINS0_13select_configILj256ELj13ELNS0_17block_load_methodE3ELS4_3ELS4_3ELNS0_20block_scan_algorithmE0ELj4294967295EEENS1_25partition_config_selectorILNS1_17partition_subalgoE3EjNS0_10empty_typeEbEEZZNS1_14partition_implILS8_3ELb0ES6_jNS0_17counting_iteratorIjlEEPS9_SE_NS0_5tupleIJPjSE_EEENSF_IJSE_SE_EEES9_SG_JZNS1_25segmented_radix_sort_implINS0_14default_configELb0EPKaPaPKlPlN2at6native12_GLOBAL__N_18offset_tEEE10hipError_tPvRmT1_PNSt15iterator_traitsISY_E10value_typeET2_T3_PNSZ_IS14_E10value_typeET4_jRbjT5_S1A_jjP12ihipStream_tbEUljE_EEESV_SW_SX_S14_S18_S1A_T6_T7_T9_mT8_S1C_bDpT10_ENKUlT_T0_E_clISt17integral_constantIbLb0EES1O_IbLb1EEEEDaS1K_S1L_EUlS1K_E_NS1_11comp_targetILNS1_3genE3ELNS1_11target_archE908ELNS1_3gpuE7ELNS1_3repE0EEENS1_30default_config_static_selectorELNS0_4arch9wavefront6targetE1EEEvSY_ ; -- Begin function _ZN7rocprim17ROCPRIM_400000_NS6detail17trampoline_kernelINS0_13select_configILj256ELj13ELNS0_17block_load_methodE3ELS4_3ELS4_3ELNS0_20block_scan_algorithmE0ELj4294967295EEENS1_25partition_config_selectorILNS1_17partition_subalgoE3EjNS0_10empty_typeEbEEZZNS1_14partition_implILS8_3ELb0ES6_jNS0_17counting_iteratorIjlEEPS9_SE_NS0_5tupleIJPjSE_EEENSF_IJSE_SE_EEES9_SG_JZNS1_25segmented_radix_sort_implINS0_14default_configELb0EPKaPaPKlPlN2at6native12_GLOBAL__N_18offset_tEEE10hipError_tPvRmT1_PNSt15iterator_traitsISY_E10value_typeET2_T3_PNSZ_IS14_E10value_typeET4_jRbjT5_S1A_jjP12ihipStream_tbEUljE_EEESV_SW_SX_S14_S18_S1A_T6_T7_T9_mT8_S1C_bDpT10_ENKUlT_T0_E_clISt17integral_constantIbLb0EES1O_IbLb1EEEEDaS1K_S1L_EUlS1K_E_NS1_11comp_targetILNS1_3genE3ELNS1_11target_archE908ELNS1_3gpuE7ELNS1_3repE0EEENS1_30default_config_static_selectorELNS0_4arch9wavefront6targetE1EEEvSY_
	.p2align	8
	.type	_ZN7rocprim17ROCPRIM_400000_NS6detail17trampoline_kernelINS0_13select_configILj256ELj13ELNS0_17block_load_methodE3ELS4_3ELS4_3ELNS0_20block_scan_algorithmE0ELj4294967295EEENS1_25partition_config_selectorILNS1_17partition_subalgoE3EjNS0_10empty_typeEbEEZZNS1_14partition_implILS8_3ELb0ES6_jNS0_17counting_iteratorIjlEEPS9_SE_NS0_5tupleIJPjSE_EEENSF_IJSE_SE_EEES9_SG_JZNS1_25segmented_radix_sort_implINS0_14default_configELb0EPKaPaPKlPlN2at6native12_GLOBAL__N_18offset_tEEE10hipError_tPvRmT1_PNSt15iterator_traitsISY_E10value_typeET2_T3_PNSZ_IS14_E10value_typeET4_jRbjT5_S1A_jjP12ihipStream_tbEUljE_EEESV_SW_SX_S14_S18_S1A_T6_T7_T9_mT8_S1C_bDpT10_ENKUlT_T0_E_clISt17integral_constantIbLb0EES1O_IbLb1EEEEDaS1K_S1L_EUlS1K_E_NS1_11comp_targetILNS1_3genE3ELNS1_11target_archE908ELNS1_3gpuE7ELNS1_3repE0EEENS1_30default_config_static_selectorELNS0_4arch9wavefront6targetE1EEEvSY_,@function
_ZN7rocprim17ROCPRIM_400000_NS6detail17trampoline_kernelINS0_13select_configILj256ELj13ELNS0_17block_load_methodE3ELS4_3ELS4_3ELNS0_20block_scan_algorithmE0ELj4294967295EEENS1_25partition_config_selectorILNS1_17partition_subalgoE3EjNS0_10empty_typeEbEEZZNS1_14partition_implILS8_3ELb0ES6_jNS0_17counting_iteratorIjlEEPS9_SE_NS0_5tupleIJPjSE_EEENSF_IJSE_SE_EEES9_SG_JZNS1_25segmented_radix_sort_implINS0_14default_configELb0EPKaPaPKlPlN2at6native12_GLOBAL__N_18offset_tEEE10hipError_tPvRmT1_PNSt15iterator_traitsISY_E10value_typeET2_T3_PNSZ_IS14_E10value_typeET4_jRbjT5_S1A_jjP12ihipStream_tbEUljE_EEESV_SW_SX_S14_S18_S1A_T6_T7_T9_mT8_S1C_bDpT10_ENKUlT_T0_E_clISt17integral_constantIbLb0EES1O_IbLb1EEEEDaS1K_S1L_EUlS1K_E_NS1_11comp_targetILNS1_3genE3ELNS1_11target_archE908ELNS1_3gpuE7ELNS1_3repE0EEENS1_30default_config_static_selectorELNS0_4arch9wavefront6targetE1EEEvSY_: ; @_ZN7rocprim17ROCPRIM_400000_NS6detail17trampoline_kernelINS0_13select_configILj256ELj13ELNS0_17block_load_methodE3ELS4_3ELS4_3ELNS0_20block_scan_algorithmE0ELj4294967295EEENS1_25partition_config_selectorILNS1_17partition_subalgoE3EjNS0_10empty_typeEbEEZZNS1_14partition_implILS8_3ELb0ES6_jNS0_17counting_iteratorIjlEEPS9_SE_NS0_5tupleIJPjSE_EEENSF_IJSE_SE_EEES9_SG_JZNS1_25segmented_radix_sort_implINS0_14default_configELb0EPKaPaPKlPlN2at6native12_GLOBAL__N_18offset_tEEE10hipError_tPvRmT1_PNSt15iterator_traitsISY_E10value_typeET2_T3_PNSZ_IS14_E10value_typeET4_jRbjT5_S1A_jjP12ihipStream_tbEUljE_EEESV_SW_SX_S14_S18_S1A_T6_T7_T9_mT8_S1C_bDpT10_ENKUlT_T0_E_clISt17integral_constantIbLb0EES1O_IbLb1EEEEDaS1K_S1L_EUlS1K_E_NS1_11comp_targetILNS1_3genE3ELNS1_11target_archE908ELNS1_3gpuE7ELNS1_3repE0EEENS1_30default_config_static_selectorELNS0_4arch9wavefront6targetE1EEEvSY_
; %bb.0:
	.section	.rodata,"a",@progbits
	.p2align	6, 0x0
	.amdhsa_kernel _ZN7rocprim17ROCPRIM_400000_NS6detail17trampoline_kernelINS0_13select_configILj256ELj13ELNS0_17block_load_methodE3ELS4_3ELS4_3ELNS0_20block_scan_algorithmE0ELj4294967295EEENS1_25partition_config_selectorILNS1_17partition_subalgoE3EjNS0_10empty_typeEbEEZZNS1_14partition_implILS8_3ELb0ES6_jNS0_17counting_iteratorIjlEEPS9_SE_NS0_5tupleIJPjSE_EEENSF_IJSE_SE_EEES9_SG_JZNS1_25segmented_radix_sort_implINS0_14default_configELb0EPKaPaPKlPlN2at6native12_GLOBAL__N_18offset_tEEE10hipError_tPvRmT1_PNSt15iterator_traitsISY_E10value_typeET2_T3_PNSZ_IS14_E10value_typeET4_jRbjT5_S1A_jjP12ihipStream_tbEUljE_EEESV_SW_SX_S14_S18_S1A_T6_T7_T9_mT8_S1C_bDpT10_ENKUlT_T0_E_clISt17integral_constantIbLb0EES1O_IbLb1EEEEDaS1K_S1L_EUlS1K_E_NS1_11comp_targetILNS1_3genE3ELNS1_11target_archE908ELNS1_3gpuE7ELNS1_3repE0EEENS1_30default_config_static_selectorELNS0_4arch9wavefront6targetE1EEEvSY_
		.amdhsa_group_segment_fixed_size 0
		.amdhsa_private_segment_fixed_size 0
		.amdhsa_kernarg_size 152
		.amdhsa_user_sgpr_count 6
		.amdhsa_user_sgpr_private_segment_buffer 1
		.amdhsa_user_sgpr_dispatch_ptr 0
		.amdhsa_user_sgpr_queue_ptr 0
		.amdhsa_user_sgpr_kernarg_segment_ptr 1
		.amdhsa_user_sgpr_dispatch_id 0
		.amdhsa_user_sgpr_flat_scratch_init 0
		.amdhsa_user_sgpr_kernarg_preload_length 0
		.amdhsa_user_sgpr_kernarg_preload_offset 0
		.amdhsa_user_sgpr_private_segment_size 0
		.amdhsa_uses_dynamic_stack 0
		.amdhsa_system_sgpr_private_segment_wavefront_offset 0
		.amdhsa_system_sgpr_workgroup_id_x 1
		.amdhsa_system_sgpr_workgroup_id_y 0
		.amdhsa_system_sgpr_workgroup_id_z 0
		.amdhsa_system_sgpr_workgroup_info 0
		.amdhsa_system_vgpr_workitem_id 0
		.amdhsa_next_free_vgpr 1
		.amdhsa_next_free_sgpr 0
		.amdhsa_accum_offset 4
		.amdhsa_reserve_vcc 0
		.amdhsa_reserve_flat_scratch 0
		.amdhsa_float_round_mode_32 0
		.amdhsa_float_round_mode_16_64 0
		.amdhsa_float_denorm_mode_32 3
		.amdhsa_float_denorm_mode_16_64 3
		.amdhsa_dx10_clamp 1
		.amdhsa_ieee_mode 1
		.amdhsa_fp16_overflow 0
		.amdhsa_tg_split 0
		.amdhsa_exception_fp_ieee_invalid_op 0
		.amdhsa_exception_fp_denorm_src 0
		.amdhsa_exception_fp_ieee_div_zero 0
		.amdhsa_exception_fp_ieee_overflow 0
		.amdhsa_exception_fp_ieee_underflow 0
		.amdhsa_exception_fp_ieee_inexact 0
		.amdhsa_exception_int_div_zero 0
	.end_amdhsa_kernel
	.section	.text._ZN7rocprim17ROCPRIM_400000_NS6detail17trampoline_kernelINS0_13select_configILj256ELj13ELNS0_17block_load_methodE3ELS4_3ELS4_3ELNS0_20block_scan_algorithmE0ELj4294967295EEENS1_25partition_config_selectorILNS1_17partition_subalgoE3EjNS0_10empty_typeEbEEZZNS1_14partition_implILS8_3ELb0ES6_jNS0_17counting_iteratorIjlEEPS9_SE_NS0_5tupleIJPjSE_EEENSF_IJSE_SE_EEES9_SG_JZNS1_25segmented_radix_sort_implINS0_14default_configELb0EPKaPaPKlPlN2at6native12_GLOBAL__N_18offset_tEEE10hipError_tPvRmT1_PNSt15iterator_traitsISY_E10value_typeET2_T3_PNSZ_IS14_E10value_typeET4_jRbjT5_S1A_jjP12ihipStream_tbEUljE_EEESV_SW_SX_S14_S18_S1A_T6_T7_T9_mT8_S1C_bDpT10_ENKUlT_T0_E_clISt17integral_constantIbLb0EES1O_IbLb1EEEEDaS1K_S1L_EUlS1K_E_NS1_11comp_targetILNS1_3genE3ELNS1_11target_archE908ELNS1_3gpuE7ELNS1_3repE0EEENS1_30default_config_static_selectorELNS0_4arch9wavefront6targetE1EEEvSY_,"axG",@progbits,_ZN7rocprim17ROCPRIM_400000_NS6detail17trampoline_kernelINS0_13select_configILj256ELj13ELNS0_17block_load_methodE3ELS4_3ELS4_3ELNS0_20block_scan_algorithmE0ELj4294967295EEENS1_25partition_config_selectorILNS1_17partition_subalgoE3EjNS0_10empty_typeEbEEZZNS1_14partition_implILS8_3ELb0ES6_jNS0_17counting_iteratorIjlEEPS9_SE_NS0_5tupleIJPjSE_EEENSF_IJSE_SE_EEES9_SG_JZNS1_25segmented_radix_sort_implINS0_14default_configELb0EPKaPaPKlPlN2at6native12_GLOBAL__N_18offset_tEEE10hipError_tPvRmT1_PNSt15iterator_traitsISY_E10value_typeET2_T3_PNSZ_IS14_E10value_typeET4_jRbjT5_S1A_jjP12ihipStream_tbEUljE_EEESV_SW_SX_S14_S18_S1A_T6_T7_T9_mT8_S1C_bDpT10_ENKUlT_T0_E_clISt17integral_constantIbLb0EES1O_IbLb1EEEEDaS1K_S1L_EUlS1K_E_NS1_11comp_targetILNS1_3genE3ELNS1_11target_archE908ELNS1_3gpuE7ELNS1_3repE0EEENS1_30default_config_static_selectorELNS0_4arch9wavefront6targetE1EEEvSY_,comdat
.Lfunc_end388:
	.size	_ZN7rocprim17ROCPRIM_400000_NS6detail17trampoline_kernelINS0_13select_configILj256ELj13ELNS0_17block_load_methodE3ELS4_3ELS4_3ELNS0_20block_scan_algorithmE0ELj4294967295EEENS1_25partition_config_selectorILNS1_17partition_subalgoE3EjNS0_10empty_typeEbEEZZNS1_14partition_implILS8_3ELb0ES6_jNS0_17counting_iteratorIjlEEPS9_SE_NS0_5tupleIJPjSE_EEENSF_IJSE_SE_EEES9_SG_JZNS1_25segmented_radix_sort_implINS0_14default_configELb0EPKaPaPKlPlN2at6native12_GLOBAL__N_18offset_tEEE10hipError_tPvRmT1_PNSt15iterator_traitsISY_E10value_typeET2_T3_PNSZ_IS14_E10value_typeET4_jRbjT5_S1A_jjP12ihipStream_tbEUljE_EEESV_SW_SX_S14_S18_S1A_T6_T7_T9_mT8_S1C_bDpT10_ENKUlT_T0_E_clISt17integral_constantIbLb0EES1O_IbLb1EEEEDaS1K_S1L_EUlS1K_E_NS1_11comp_targetILNS1_3genE3ELNS1_11target_archE908ELNS1_3gpuE7ELNS1_3repE0EEENS1_30default_config_static_selectorELNS0_4arch9wavefront6targetE1EEEvSY_, .Lfunc_end388-_ZN7rocprim17ROCPRIM_400000_NS6detail17trampoline_kernelINS0_13select_configILj256ELj13ELNS0_17block_load_methodE3ELS4_3ELS4_3ELNS0_20block_scan_algorithmE0ELj4294967295EEENS1_25partition_config_selectorILNS1_17partition_subalgoE3EjNS0_10empty_typeEbEEZZNS1_14partition_implILS8_3ELb0ES6_jNS0_17counting_iteratorIjlEEPS9_SE_NS0_5tupleIJPjSE_EEENSF_IJSE_SE_EEES9_SG_JZNS1_25segmented_radix_sort_implINS0_14default_configELb0EPKaPaPKlPlN2at6native12_GLOBAL__N_18offset_tEEE10hipError_tPvRmT1_PNSt15iterator_traitsISY_E10value_typeET2_T3_PNSZ_IS14_E10value_typeET4_jRbjT5_S1A_jjP12ihipStream_tbEUljE_EEESV_SW_SX_S14_S18_S1A_T6_T7_T9_mT8_S1C_bDpT10_ENKUlT_T0_E_clISt17integral_constantIbLb0EES1O_IbLb1EEEEDaS1K_S1L_EUlS1K_E_NS1_11comp_targetILNS1_3genE3ELNS1_11target_archE908ELNS1_3gpuE7ELNS1_3repE0EEENS1_30default_config_static_selectorELNS0_4arch9wavefront6targetE1EEEvSY_
                                        ; -- End function
	.section	.AMDGPU.csdata,"",@progbits
; Kernel info:
; codeLenInByte = 0
; NumSgprs: 4
; NumVgprs: 0
; NumAgprs: 0
; TotalNumVgprs: 0
; ScratchSize: 0
; MemoryBound: 0
; FloatMode: 240
; IeeeMode: 1
; LDSByteSize: 0 bytes/workgroup (compile time only)
; SGPRBlocks: 0
; VGPRBlocks: 0
; NumSGPRsForWavesPerEU: 4
; NumVGPRsForWavesPerEU: 1
; AccumOffset: 4
; Occupancy: 8
; WaveLimiterHint : 0
; COMPUTE_PGM_RSRC2:SCRATCH_EN: 0
; COMPUTE_PGM_RSRC2:USER_SGPR: 6
; COMPUTE_PGM_RSRC2:TRAP_HANDLER: 0
; COMPUTE_PGM_RSRC2:TGID_X_EN: 1
; COMPUTE_PGM_RSRC2:TGID_Y_EN: 0
; COMPUTE_PGM_RSRC2:TGID_Z_EN: 0
; COMPUTE_PGM_RSRC2:TIDIG_COMP_CNT: 0
; COMPUTE_PGM_RSRC3_GFX90A:ACCUM_OFFSET: 0
; COMPUTE_PGM_RSRC3_GFX90A:TG_SPLIT: 0
	.section	.text._ZN7rocprim17ROCPRIM_400000_NS6detail17trampoline_kernelINS0_13select_configILj256ELj13ELNS0_17block_load_methodE3ELS4_3ELS4_3ELNS0_20block_scan_algorithmE0ELj4294967295EEENS1_25partition_config_selectorILNS1_17partition_subalgoE3EjNS0_10empty_typeEbEEZZNS1_14partition_implILS8_3ELb0ES6_jNS0_17counting_iteratorIjlEEPS9_SE_NS0_5tupleIJPjSE_EEENSF_IJSE_SE_EEES9_SG_JZNS1_25segmented_radix_sort_implINS0_14default_configELb0EPKaPaPKlPlN2at6native12_GLOBAL__N_18offset_tEEE10hipError_tPvRmT1_PNSt15iterator_traitsISY_E10value_typeET2_T3_PNSZ_IS14_E10value_typeET4_jRbjT5_S1A_jjP12ihipStream_tbEUljE_EEESV_SW_SX_S14_S18_S1A_T6_T7_T9_mT8_S1C_bDpT10_ENKUlT_T0_E_clISt17integral_constantIbLb0EES1O_IbLb1EEEEDaS1K_S1L_EUlS1K_E_NS1_11comp_targetILNS1_3genE2ELNS1_11target_archE906ELNS1_3gpuE6ELNS1_3repE0EEENS1_30default_config_static_selectorELNS0_4arch9wavefront6targetE1EEEvSY_,"axG",@progbits,_ZN7rocprim17ROCPRIM_400000_NS6detail17trampoline_kernelINS0_13select_configILj256ELj13ELNS0_17block_load_methodE3ELS4_3ELS4_3ELNS0_20block_scan_algorithmE0ELj4294967295EEENS1_25partition_config_selectorILNS1_17partition_subalgoE3EjNS0_10empty_typeEbEEZZNS1_14partition_implILS8_3ELb0ES6_jNS0_17counting_iteratorIjlEEPS9_SE_NS0_5tupleIJPjSE_EEENSF_IJSE_SE_EEES9_SG_JZNS1_25segmented_radix_sort_implINS0_14default_configELb0EPKaPaPKlPlN2at6native12_GLOBAL__N_18offset_tEEE10hipError_tPvRmT1_PNSt15iterator_traitsISY_E10value_typeET2_T3_PNSZ_IS14_E10value_typeET4_jRbjT5_S1A_jjP12ihipStream_tbEUljE_EEESV_SW_SX_S14_S18_S1A_T6_T7_T9_mT8_S1C_bDpT10_ENKUlT_T0_E_clISt17integral_constantIbLb0EES1O_IbLb1EEEEDaS1K_S1L_EUlS1K_E_NS1_11comp_targetILNS1_3genE2ELNS1_11target_archE906ELNS1_3gpuE6ELNS1_3repE0EEENS1_30default_config_static_selectorELNS0_4arch9wavefront6targetE1EEEvSY_,comdat
	.globl	_ZN7rocprim17ROCPRIM_400000_NS6detail17trampoline_kernelINS0_13select_configILj256ELj13ELNS0_17block_load_methodE3ELS4_3ELS4_3ELNS0_20block_scan_algorithmE0ELj4294967295EEENS1_25partition_config_selectorILNS1_17partition_subalgoE3EjNS0_10empty_typeEbEEZZNS1_14partition_implILS8_3ELb0ES6_jNS0_17counting_iteratorIjlEEPS9_SE_NS0_5tupleIJPjSE_EEENSF_IJSE_SE_EEES9_SG_JZNS1_25segmented_radix_sort_implINS0_14default_configELb0EPKaPaPKlPlN2at6native12_GLOBAL__N_18offset_tEEE10hipError_tPvRmT1_PNSt15iterator_traitsISY_E10value_typeET2_T3_PNSZ_IS14_E10value_typeET4_jRbjT5_S1A_jjP12ihipStream_tbEUljE_EEESV_SW_SX_S14_S18_S1A_T6_T7_T9_mT8_S1C_bDpT10_ENKUlT_T0_E_clISt17integral_constantIbLb0EES1O_IbLb1EEEEDaS1K_S1L_EUlS1K_E_NS1_11comp_targetILNS1_3genE2ELNS1_11target_archE906ELNS1_3gpuE6ELNS1_3repE0EEENS1_30default_config_static_selectorELNS0_4arch9wavefront6targetE1EEEvSY_ ; -- Begin function _ZN7rocprim17ROCPRIM_400000_NS6detail17trampoline_kernelINS0_13select_configILj256ELj13ELNS0_17block_load_methodE3ELS4_3ELS4_3ELNS0_20block_scan_algorithmE0ELj4294967295EEENS1_25partition_config_selectorILNS1_17partition_subalgoE3EjNS0_10empty_typeEbEEZZNS1_14partition_implILS8_3ELb0ES6_jNS0_17counting_iteratorIjlEEPS9_SE_NS0_5tupleIJPjSE_EEENSF_IJSE_SE_EEES9_SG_JZNS1_25segmented_radix_sort_implINS0_14default_configELb0EPKaPaPKlPlN2at6native12_GLOBAL__N_18offset_tEEE10hipError_tPvRmT1_PNSt15iterator_traitsISY_E10value_typeET2_T3_PNSZ_IS14_E10value_typeET4_jRbjT5_S1A_jjP12ihipStream_tbEUljE_EEESV_SW_SX_S14_S18_S1A_T6_T7_T9_mT8_S1C_bDpT10_ENKUlT_T0_E_clISt17integral_constantIbLb0EES1O_IbLb1EEEEDaS1K_S1L_EUlS1K_E_NS1_11comp_targetILNS1_3genE2ELNS1_11target_archE906ELNS1_3gpuE6ELNS1_3repE0EEENS1_30default_config_static_selectorELNS0_4arch9wavefront6targetE1EEEvSY_
	.p2align	8
	.type	_ZN7rocprim17ROCPRIM_400000_NS6detail17trampoline_kernelINS0_13select_configILj256ELj13ELNS0_17block_load_methodE3ELS4_3ELS4_3ELNS0_20block_scan_algorithmE0ELj4294967295EEENS1_25partition_config_selectorILNS1_17partition_subalgoE3EjNS0_10empty_typeEbEEZZNS1_14partition_implILS8_3ELb0ES6_jNS0_17counting_iteratorIjlEEPS9_SE_NS0_5tupleIJPjSE_EEENSF_IJSE_SE_EEES9_SG_JZNS1_25segmented_radix_sort_implINS0_14default_configELb0EPKaPaPKlPlN2at6native12_GLOBAL__N_18offset_tEEE10hipError_tPvRmT1_PNSt15iterator_traitsISY_E10value_typeET2_T3_PNSZ_IS14_E10value_typeET4_jRbjT5_S1A_jjP12ihipStream_tbEUljE_EEESV_SW_SX_S14_S18_S1A_T6_T7_T9_mT8_S1C_bDpT10_ENKUlT_T0_E_clISt17integral_constantIbLb0EES1O_IbLb1EEEEDaS1K_S1L_EUlS1K_E_NS1_11comp_targetILNS1_3genE2ELNS1_11target_archE906ELNS1_3gpuE6ELNS1_3repE0EEENS1_30default_config_static_selectorELNS0_4arch9wavefront6targetE1EEEvSY_,@function
_ZN7rocprim17ROCPRIM_400000_NS6detail17trampoline_kernelINS0_13select_configILj256ELj13ELNS0_17block_load_methodE3ELS4_3ELS4_3ELNS0_20block_scan_algorithmE0ELj4294967295EEENS1_25partition_config_selectorILNS1_17partition_subalgoE3EjNS0_10empty_typeEbEEZZNS1_14partition_implILS8_3ELb0ES6_jNS0_17counting_iteratorIjlEEPS9_SE_NS0_5tupleIJPjSE_EEENSF_IJSE_SE_EEES9_SG_JZNS1_25segmented_radix_sort_implINS0_14default_configELb0EPKaPaPKlPlN2at6native12_GLOBAL__N_18offset_tEEE10hipError_tPvRmT1_PNSt15iterator_traitsISY_E10value_typeET2_T3_PNSZ_IS14_E10value_typeET4_jRbjT5_S1A_jjP12ihipStream_tbEUljE_EEESV_SW_SX_S14_S18_S1A_T6_T7_T9_mT8_S1C_bDpT10_ENKUlT_T0_E_clISt17integral_constantIbLb0EES1O_IbLb1EEEEDaS1K_S1L_EUlS1K_E_NS1_11comp_targetILNS1_3genE2ELNS1_11target_archE906ELNS1_3gpuE6ELNS1_3repE0EEENS1_30default_config_static_selectorELNS0_4arch9wavefront6targetE1EEEvSY_: ; @_ZN7rocprim17ROCPRIM_400000_NS6detail17trampoline_kernelINS0_13select_configILj256ELj13ELNS0_17block_load_methodE3ELS4_3ELS4_3ELNS0_20block_scan_algorithmE0ELj4294967295EEENS1_25partition_config_selectorILNS1_17partition_subalgoE3EjNS0_10empty_typeEbEEZZNS1_14partition_implILS8_3ELb0ES6_jNS0_17counting_iteratorIjlEEPS9_SE_NS0_5tupleIJPjSE_EEENSF_IJSE_SE_EEES9_SG_JZNS1_25segmented_radix_sort_implINS0_14default_configELb0EPKaPaPKlPlN2at6native12_GLOBAL__N_18offset_tEEE10hipError_tPvRmT1_PNSt15iterator_traitsISY_E10value_typeET2_T3_PNSZ_IS14_E10value_typeET4_jRbjT5_S1A_jjP12ihipStream_tbEUljE_EEESV_SW_SX_S14_S18_S1A_T6_T7_T9_mT8_S1C_bDpT10_ENKUlT_T0_E_clISt17integral_constantIbLb0EES1O_IbLb1EEEEDaS1K_S1L_EUlS1K_E_NS1_11comp_targetILNS1_3genE2ELNS1_11target_archE906ELNS1_3gpuE6ELNS1_3repE0EEENS1_30default_config_static_selectorELNS0_4arch9wavefront6targetE1EEEvSY_
; %bb.0:
	.section	.rodata,"a",@progbits
	.p2align	6, 0x0
	.amdhsa_kernel _ZN7rocprim17ROCPRIM_400000_NS6detail17trampoline_kernelINS0_13select_configILj256ELj13ELNS0_17block_load_methodE3ELS4_3ELS4_3ELNS0_20block_scan_algorithmE0ELj4294967295EEENS1_25partition_config_selectorILNS1_17partition_subalgoE3EjNS0_10empty_typeEbEEZZNS1_14partition_implILS8_3ELb0ES6_jNS0_17counting_iteratorIjlEEPS9_SE_NS0_5tupleIJPjSE_EEENSF_IJSE_SE_EEES9_SG_JZNS1_25segmented_radix_sort_implINS0_14default_configELb0EPKaPaPKlPlN2at6native12_GLOBAL__N_18offset_tEEE10hipError_tPvRmT1_PNSt15iterator_traitsISY_E10value_typeET2_T3_PNSZ_IS14_E10value_typeET4_jRbjT5_S1A_jjP12ihipStream_tbEUljE_EEESV_SW_SX_S14_S18_S1A_T6_T7_T9_mT8_S1C_bDpT10_ENKUlT_T0_E_clISt17integral_constantIbLb0EES1O_IbLb1EEEEDaS1K_S1L_EUlS1K_E_NS1_11comp_targetILNS1_3genE2ELNS1_11target_archE906ELNS1_3gpuE6ELNS1_3repE0EEENS1_30default_config_static_selectorELNS0_4arch9wavefront6targetE1EEEvSY_
		.amdhsa_group_segment_fixed_size 0
		.amdhsa_private_segment_fixed_size 0
		.amdhsa_kernarg_size 152
		.amdhsa_user_sgpr_count 6
		.amdhsa_user_sgpr_private_segment_buffer 1
		.amdhsa_user_sgpr_dispatch_ptr 0
		.amdhsa_user_sgpr_queue_ptr 0
		.amdhsa_user_sgpr_kernarg_segment_ptr 1
		.amdhsa_user_sgpr_dispatch_id 0
		.amdhsa_user_sgpr_flat_scratch_init 0
		.amdhsa_user_sgpr_kernarg_preload_length 0
		.amdhsa_user_sgpr_kernarg_preload_offset 0
		.amdhsa_user_sgpr_private_segment_size 0
		.amdhsa_uses_dynamic_stack 0
		.amdhsa_system_sgpr_private_segment_wavefront_offset 0
		.amdhsa_system_sgpr_workgroup_id_x 1
		.amdhsa_system_sgpr_workgroup_id_y 0
		.amdhsa_system_sgpr_workgroup_id_z 0
		.amdhsa_system_sgpr_workgroup_info 0
		.amdhsa_system_vgpr_workitem_id 0
		.amdhsa_next_free_vgpr 1
		.amdhsa_next_free_sgpr 0
		.amdhsa_accum_offset 4
		.amdhsa_reserve_vcc 0
		.amdhsa_reserve_flat_scratch 0
		.amdhsa_float_round_mode_32 0
		.amdhsa_float_round_mode_16_64 0
		.amdhsa_float_denorm_mode_32 3
		.amdhsa_float_denorm_mode_16_64 3
		.amdhsa_dx10_clamp 1
		.amdhsa_ieee_mode 1
		.amdhsa_fp16_overflow 0
		.amdhsa_tg_split 0
		.amdhsa_exception_fp_ieee_invalid_op 0
		.amdhsa_exception_fp_denorm_src 0
		.amdhsa_exception_fp_ieee_div_zero 0
		.amdhsa_exception_fp_ieee_overflow 0
		.amdhsa_exception_fp_ieee_underflow 0
		.amdhsa_exception_fp_ieee_inexact 0
		.amdhsa_exception_int_div_zero 0
	.end_amdhsa_kernel
	.section	.text._ZN7rocprim17ROCPRIM_400000_NS6detail17trampoline_kernelINS0_13select_configILj256ELj13ELNS0_17block_load_methodE3ELS4_3ELS4_3ELNS0_20block_scan_algorithmE0ELj4294967295EEENS1_25partition_config_selectorILNS1_17partition_subalgoE3EjNS0_10empty_typeEbEEZZNS1_14partition_implILS8_3ELb0ES6_jNS0_17counting_iteratorIjlEEPS9_SE_NS0_5tupleIJPjSE_EEENSF_IJSE_SE_EEES9_SG_JZNS1_25segmented_radix_sort_implINS0_14default_configELb0EPKaPaPKlPlN2at6native12_GLOBAL__N_18offset_tEEE10hipError_tPvRmT1_PNSt15iterator_traitsISY_E10value_typeET2_T3_PNSZ_IS14_E10value_typeET4_jRbjT5_S1A_jjP12ihipStream_tbEUljE_EEESV_SW_SX_S14_S18_S1A_T6_T7_T9_mT8_S1C_bDpT10_ENKUlT_T0_E_clISt17integral_constantIbLb0EES1O_IbLb1EEEEDaS1K_S1L_EUlS1K_E_NS1_11comp_targetILNS1_3genE2ELNS1_11target_archE906ELNS1_3gpuE6ELNS1_3repE0EEENS1_30default_config_static_selectorELNS0_4arch9wavefront6targetE1EEEvSY_,"axG",@progbits,_ZN7rocprim17ROCPRIM_400000_NS6detail17trampoline_kernelINS0_13select_configILj256ELj13ELNS0_17block_load_methodE3ELS4_3ELS4_3ELNS0_20block_scan_algorithmE0ELj4294967295EEENS1_25partition_config_selectorILNS1_17partition_subalgoE3EjNS0_10empty_typeEbEEZZNS1_14partition_implILS8_3ELb0ES6_jNS0_17counting_iteratorIjlEEPS9_SE_NS0_5tupleIJPjSE_EEENSF_IJSE_SE_EEES9_SG_JZNS1_25segmented_radix_sort_implINS0_14default_configELb0EPKaPaPKlPlN2at6native12_GLOBAL__N_18offset_tEEE10hipError_tPvRmT1_PNSt15iterator_traitsISY_E10value_typeET2_T3_PNSZ_IS14_E10value_typeET4_jRbjT5_S1A_jjP12ihipStream_tbEUljE_EEESV_SW_SX_S14_S18_S1A_T6_T7_T9_mT8_S1C_bDpT10_ENKUlT_T0_E_clISt17integral_constantIbLb0EES1O_IbLb1EEEEDaS1K_S1L_EUlS1K_E_NS1_11comp_targetILNS1_3genE2ELNS1_11target_archE906ELNS1_3gpuE6ELNS1_3repE0EEENS1_30default_config_static_selectorELNS0_4arch9wavefront6targetE1EEEvSY_,comdat
.Lfunc_end389:
	.size	_ZN7rocprim17ROCPRIM_400000_NS6detail17trampoline_kernelINS0_13select_configILj256ELj13ELNS0_17block_load_methodE3ELS4_3ELS4_3ELNS0_20block_scan_algorithmE0ELj4294967295EEENS1_25partition_config_selectorILNS1_17partition_subalgoE3EjNS0_10empty_typeEbEEZZNS1_14partition_implILS8_3ELb0ES6_jNS0_17counting_iteratorIjlEEPS9_SE_NS0_5tupleIJPjSE_EEENSF_IJSE_SE_EEES9_SG_JZNS1_25segmented_radix_sort_implINS0_14default_configELb0EPKaPaPKlPlN2at6native12_GLOBAL__N_18offset_tEEE10hipError_tPvRmT1_PNSt15iterator_traitsISY_E10value_typeET2_T3_PNSZ_IS14_E10value_typeET4_jRbjT5_S1A_jjP12ihipStream_tbEUljE_EEESV_SW_SX_S14_S18_S1A_T6_T7_T9_mT8_S1C_bDpT10_ENKUlT_T0_E_clISt17integral_constantIbLb0EES1O_IbLb1EEEEDaS1K_S1L_EUlS1K_E_NS1_11comp_targetILNS1_3genE2ELNS1_11target_archE906ELNS1_3gpuE6ELNS1_3repE0EEENS1_30default_config_static_selectorELNS0_4arch9wavefront6targetE1EEEvSY_, .Lfunc_end389-_ZN7rocprim17ROCPRIM_400000_NS6detail17trampoline_kernelINS0_13select_configILj256ELj13ELNS0_17block_load_methodE3ELS4_3ELS4_3ELNS0_20block_scan_algorithmE0ELj4294967295EEENS1_25partition_config_selectorILNS1_17partition_subalgoE3EjNS0_10empty_typeEbEEZZNS1_14partition_implILS8_3ELb0ES6_jNS0_17counting_iteratorIjlEEPS9_SE_NS0_5tupleIJPjSE_EEENSF_IJSE_SE_EEES9_SG_JZNS1_25segmented_radix_sort_implINS0_14default_configELb0EPKaPaPKlPlN2at6native12_GLOBAL__N_18offset_tEEE10hipError_tPvRmT1_PNSt15iterator_traitsISY_E10value_typeET2_T3_PNSZ_IS14_E10value_typeET4_jRbjT5_S1A_jjP12ihipStream_tbEUljE_EEESV_SW_SX_S14_S18_S1A_T6_T7_T9_mT8_S1C_bDpT10_ENKUlT_T0_E_clISt17integral_constantIbLb0EES1O_IbLb1EEEEDaS1K_S1L_EUlS1K_E_NS1_11comp_targetILNS1_3genE2ELNS1_11target_archE906ELNS1_3gpuE6ELNS1_3repE0EEENS1_30default_config_static_selectorELNS0_4arch9wavefront6targetE1EEEvSY_
                                        ; -- End function
	.section	.AMDGPU.csdata,"",@progbits
; Kernel info:
; codeLenInByte = 0
; NumSgprs: 4
; NumVgprs: 0
; NumAgprs: 0
; TotalNumVgprs: 0
; ScratchSize: 0
; MemoryBound: 0
; FloatMode: 240
; IeeeMode: 1
; LDSByteSize: 0 bytes/workgroup (compile time only)
; SGPRBlocks: 0
; VGPRBlocks: 0
; NumSGPRsForWavesPerEU: 4
; NumVGPRsForWavesPerEU: 1
; AccumOffset: 4
; Occupancy: 8
; WaveLimiterHint : 0
; COMPUTE_PGM_RSRC2:SCRATCH_EN: 0
; COMPUTE_PGM_RSRC2:USER_SGPR: 6
; COMPUTE_PGM_RSRC2:TRAP_HANDLER: 0
; COMPUTE_PGM_RSRC2:TGID_X_EN: 1
; COMPUTE_PGM_RSRC2:TGID_Y_EN: 0
; COMPUTE_PGM_RSRC2:TGID_Z_EN: 0
; COMPUTE_PGM_RSRC2:TIDIG_COMP_CNT: 0
; COMPUTE_PGM_RSRC3_GFX90A:ACCUM_OFFSET: 0
; COMPUTE_PGM_RSRC3_GFX90A:TG_SPLIT: 0
	.section	.text._ZN7rocprim17ROCPRIM_400000_NS6detail17trampoline_kernelINS0_13select_configILj256ELj13ELNS0_17block_load_methodE3ELS4_3ELS4_3ELNS0_20block_scan_algorithmE0ELj4294967295EEENS1_25partition_config_selectorILNS1_17partition_subalgoE3EjNS0_10empty_typeEbEEZZNS1_14partition_implILS8_3ELb0ES6_jNS0_17counting_iteratorIjlEEPS9_SE_NS0_5tupleIJPjSE_EEENSF_IJSE_SE_EEES9_SG_JZNS1_25segmented_radix_sort_implINS0_14default_configELb0EPKaPaPKlPlN2at6native12_GLOBAL__N_18offset_tEEE10hipError_tPvRmT1_PNSt15iterator_traitsISY_E10value_typeET2_T3_PNSZ_IS14_E10value_typeET4_jRbjT5_S1A_jjP12ihipStream_tbEUljE_EEESV_SW_SX_S14_S18_S1A_T6_T7_T9_mT8_S1C_bDpT10_ENKUlT_T0_E_clISt17integral_constantIbLb0EES1O_IbLb1EEEEDaS1K_S1L_EUlS1K_E_NS1_11comp_targetILNS1_3genE10ELNS1_11target_archE1200ELNS1_3gpuE4ELNS1_3repE0EEENS1_30default_config_static_selectorELNS0_4arch9wavefront6targetE1EEEvSY_,"axG",@progbits,_ZN7rocprim17ROCPRIM_400000_NS6detail17trampoline_kernelINS0_13select_configILj256ELj13ELNS0_17block_load_methodE3ELS4_3ELS4_3ELNS0_20block_scan_algorithmE0ELj4294967295EEENS1_25partition_config_selectorILNS1_17partition_subalgoE3EjNS0_10empty_typeEbEEZZNS1_14partition_implILS8_3ELb0ES6_jNS0_17counting_iteratorIjlEEPS9_SE_NS0_5tupleIJPjSE_EEENSF_IJSE_SE_EEES9_SG_JZNS1_25segmented_radix_sort_implINS0_14default_configELb0EPKaPaPKlPlN2at6native12_GLOBAL__N_18offset_tEEE10hipError_tPvRmT1_PNSt15iterator_traitsISY_E10value_typeET2_T3_PNSZ_IS14_E10value_typeET4_jRbjT5_S1A_jjP12ihipStream_tbEUljE_EEESV_SW_SX_S14_S18_S1A_T6_T7_T9_mT8_S1C_bDpT10_ENKUlT_T0_E_clISt17integral_constantIbLb0EES1O_IbLb1EEEEDaS1K_S1L_EUlS1K_E_NS1_11comp_targetILNS1_3genE10ELNS1_11target_archE1200ELNS1_3gpuE4ELNS1_3repE0EEENS1_30default_config_static_selectorELNS0_4arch9wavefront6targetE1EEEvSY_,comdat
	.globl	_ZN7rocprim17ROCPRIM_400000_NS6detail17trampoline_kernelINS0_13select_configILj256ELj13ELNS0_17block_load_methodE3ELS4_3ELS4_3ELNS0_20block_scan_algorithmE0ELj4294967295EEENS1_25partition_config_selectorILNS1_17partition_subalgoE3EjNS0_10empty_typeEbEEZZNS1_14partition_implILS8_3ELb0ES6_jNS0_17counting_iteratorIjlEEPS9_SE_NS0_5tupleIJPjSE_EEENSF_IJSE_SE_EEES9_SG_JZNS1_25segmented_radix_sort_implINS0_14default_configELb0EPKaPaPKlPlN2at6native12_GLOBAL__N_18offset_tEEE10hipError_tPvRmT1_PNSt15iterator_traitsISY_E10value_typeET2_T3_PNSZ_IS14_E10value_typeET4_jRbjT5_S1A_jjP12ihipStream_tbEUljE_EEESV_SW_SX_S14_S18_S1A_T6_T7_T9_mT8_S1C_bDpT10_ENKUlT_T0_E_clISt17integral_constantIbLb0EES1O_IbLb1EEEEDaS1K_S1L_EUlS1K_E_NS1_11comp_targetILNS1_3genE10ELNS1_11target_archE1200ELNS1_3gpuE4ELNS1_3repE0EEENS1_30default_config_static_selectorELNS0_4arch9wavefront6targetE1EEEvSY_ ; -- Begin function _ZN7rocprim17ROCPRIM_400000_NS6detail17trampoline_kernelINS0_13select_configILj256ELj13ELNS0_17block_load_methodE3ELS4_3ELS4_3ELNS0_20block_scan_algorithmE0ELj4294967295EEENS1_25partition_config_selectorILNS1_17partition_subalgoE3EjNS0_10empty_typeEbEEZZNS1_14partition_implILS8_3ELb0ES6_jNS0_17counting_iteratorIjlEEPS9_SE_NS0_5tupleIJPjSE_EEENSF_IJSE_SE_EEES9_SG_JZNS1_25segmented_radix_sort_implINS0_14default_configELb0EPKaPaPKlPlN2at6native12_GLOBAL__N_18offset_tEEE10hipError_tPvRmT1_PNSt15iterator_traitsISY_E10value_typeET2_T3_PNSZ_IS14_E10value_typeET4_jRbjT5_S1A_jjP12ihipStream_tbEUljE_EEESV_SW_SX_S14_S18_S1A_T6_T7_T9_mT8_S1C_bDpT10_ENKUlT_T0_E_clISt17integral_constantIbLb0EES1O_IbLb1EEEEDaS1K_S1L_EUlS1K_E_NS1_11comp_targetILNS1_3genE10ELNS1_11target_archE1200ELNS1_3gpuE4ELNS1_3repE0EEENS1_30default_config_static_selectorELNS0_4arch9wavefront6targetE1EEEvSY_
	.p2align	8
	.type	_ZN7rocprim17ROCPRIM_400000_NS6detail17trampoline_kernelINS0_13select_configILj256ELj13ELNS0_17block_load_methodE3ELS4_3ELS4_3ELNS0_20block_scan_algorithmE0ELj4294967295EEENS1_25partition_config_selectorILNS1_17partition_subalgoE3EjNS0_10empty_typeEbEEZZNS1_14partition_implILS8_3ELb0ES6_jNS0_17counting_iteratorIjlEEPS9_SE_NS0_5tupleIJPjSE_EEENSF_IJSE_SE_EEES9_SG_JZNS1_25segmented_radix_sort_implINS0_14default_configELb0EPKaPaPKlPlN2at6native12_GLOBAL__N_18offset_tEEE10hipError_tPvRmT1_PNSt15iterator_traitsISY_E10value_typeET2_T3_PNSZ_IS14_E10value_typeET4_jRbjT5_S1A_jjP12ihipStream_tbEUljE_EEESV_SW_SX_S14_S18_S1A_T6_T7_T9_mT8_S1C_bDpT10_ENKUlT_T0_E_clISt17integral_constantIbLb0EES1O_IbLb1EEEEDaS1K_S1L_EUlS1K_E_NS1_11comp_targetILNS1_3genE10ELNS1_11target_archE1200ELNS1_3gpuE4ELNS1_3repE0EEENS1_30default_config_static_selectorELNS0_4arch9wavefront6targetE1EEEvSY_,@function
_ZN7rocprim17ROCPRIM_400000_NS6detail17trampoline_kernelINS0_13select_configILj256ELj13ELNS0_17block_load_methodE3ELS4_3ELS4_3ELNS0_20block_scan_algorithmE0ELj4294967295EEENS1_25partition_config_selectorILNS1_17partition_subalgoE3EjNS0_10empty_typeEbEEZZNS1_14partition_implILS8_3ELb0ES6_jNS0_17counting_iteratorIjlEEPS9_SE_NS0_5tupleIJPjSE_EEENSF_IJSE_SE_EEES9_SG_JZNS1_25segmented_radix_sort_implINS0_14default_configELb0EPKaPaPKlPlN2at6native12_GLOBAL__N_18offset_tEEE10hipError_tPvRmT1_PNSt15iterator_traitsISY_E10value_typeET2_T3_PNSZ_IS14_E10value_typeET4_jRbjT5_S1A_jjP12ihipStream_tbEUljE_EEESV_SW_SX_S14_S18_S1A_T6_T7_T9_mT8_S1C_bDpT10_ENKUlT_T0_E_clISt17integral_constantIbLb0EES1O_IbLb1EEEEDaS1K_S1L_EUlS1K_E_NS1_11comp_targetILNS1_3genE10ELNS1_11target_archE1200ELNS1_3gpuE4ELNS1_3repE0EEENS1_30default_config_static_selectorELNS0_4arch9wavefront6targetE1EEEvSY_: ; @_ZN7rocprim17ROCPRIM_400000_NS6detail17trampoline_kernelINS0_13select_configILj256ELj13ELNS0_17block_load_methodE3ELS4_3ELS4_3ELNS0_20block_scan_algorithmE0ELj4294967295EEENS1_25partition_config_selectorILNS1_17partition_subalgoE3EjNS0_10empty_typeEbEEZZNS1_14partition_implILS8_3ELb0ES6_jNS0_17counting_iteratorIjlEEPS9_SE_NS0_5tupleIJPjSE_EEENSF_IJSE_SE_EEES9_SG_JZNS1_25segmented_radix_sort_implINS0_14default_configELb0EPKaPaPKlPlN2at6native12_GLOBAL__N_18offset_tEEE10hipError_tPvRmT1_PNSt15iterator_traitsISY_E10value_typeET2_T3_PNSZ_IS14_E10value_typeET4_jRbjT5_S1A_jjP12ihipStream_tbEUljE_EEESV_SW_SX_S14_S18_S1A_T6_T7_T9_mT8_S1C_bDpT10_ENKUlT_T0_E_clISt17integral_constantIbLb0EES1O_IbLb1EEEEDaS1K_S1L_EUlS1K_E_NS1_11comp_targetILNS1_3genE10ELNS1_11target_archE1200ELNS1_3gpuE4ELNS1_3repE0EEENS1_30default_config_static_selectorELNS0_4arch9wavefront6targetE1EEEvSY_
; %bb.0:
	.section	.rodata,"a",@progbits
	.p2align	6, 0x0
	.amdhsa_kernel _ZN7rocprim17ROCPRIM_400000_NS6detail17trampoline_kernelINS0_13select_configILj256ELj13ELNS0_17block_load_methodE3ELS4_3ELS4_3ELNS0_20block_scan_algorithmE0ELj4294967295EEENS1_25partition_config_selectorILNS1_17partition_subalgoE3EjNS0_10empty_typeEbEEZZNS1_14partition_implILS8_3ELb0ES6_jNS0_17counting_iteratorIjlEEPS9_SE_NS0_5tupleIJPjSE_EEENSF_IJSE_SE_EEES9_SG_JZNS1_25segmented_radix_sort_implINS0_14default_configELb0EPKaPaPKlPlN2at6native12_GLOBAL__N_18offset_tEEE10hipError_tPvRmT1_PNSt15iterator_traitsISY_E10value_typeET2_T3_PNSZ_IS14_E10value_typeET4_jRbjT5_S1A_jjP12ihipStream_tbEUljE_EEESV_SW_SX_S14_S18_S1A_T6_T7_T9_mT8_S1C_bDpT10_ENKUlT_T0_E_clISt17integral_constantIbLb0EES1O_IbLb1EEEEDaS1K_S1L_EUlS1K_E_NS1_11comp_targetILNS1_3genE10ELNS1_11target_archE1200ELNS1_3gpuE4ELNS1_3repE0EEENS1_30default_config_static_selectorELNS0_4arch9wavefront6targetE1EEEvSY_
		.amdhsa_group_segment_fixed_size 0
		.amdhsa_private_segment_fixed_size 0
		.amdhsa_kernarg_size 152
		.amdhsa_user_sgpr_count 6
		.amdhsa_user_sgpr_private_segment_buffer 1
		.amdhsa_user_sgpr_dispatch_ptr 0
		.amdhsa_user_sgpr_queue_ptr 0
		.amdhsa_user_sgpr_kernarg_segment_ptr 1
		.amdhsa_user_sgpr_dispatch_id 0
		.amdhsa_user_sgpr_flat_scratch_init 0
		.amdhsa_user_sgpr_kernarg_preload_length 0
		.amdhsa_user_sgpr_kernarg_preload_offset 0
		.amdhsa_user_sgpr_private_segment_size 0
		.amdhsa_uses_dynamic_stack 0
		.amdhsa_system_sgpr_private_segment_wavefront_offset 0
		.amdhsa_system_sgpr_workgroup_id_x 1
		.amdhsa_system_sgpr_workgroup_id_y 0
		.amdhsa_system_sgpr_workgroup_id_z 0
		.amdhsa_system_sgpr_workgroup_info 0
		.amdhsa_system_vgpr_workitem_id 0
		.amdhsa_next_free_vgpr 1
		.amdhsa_next_free_sgpr 0
		.amdhsa_accum_offset 4
		.amdhsa_reserve_vcc 0
		.amdhsa_reserve_flat_scratch 0
		.amdhsa_float_round_mode_32 0
		.amdhsa_float_round_mode_16_64 0
		.amdhsa_float_denorm_mode_32 3
		.amdhsa_float_denorm_mode_16_64 3
		.amdhsa_dx10_clamp 1
		.amdhsa_ieee_mode 1
		.amdhsa_fp16_overflow 0
		.amdhsa_tg_split 0
		.amdhsa_exception_fp_ieee_invalid_op 0
		.amdhsa_exception_fp_denorm_src 0
		.amdhsa_exception_fp_ieee_div_zero 0
		.amdhsa_exception_fp_ieee_overflow 0
		.amdhsa_exception_fp_ieee_underflow 0
		.amdhsa_exception_fp_ieee_inexact 0
		.amdhsa_exception_int_div_zero 0
	.end_amdhsa_kernel
	.section	.text._ZN7rocprim17ROCPRIM_400000_NS6detail17trampoline_kernelINS0_13select_configILj256ELj13ELNS0_17block_load_methodE3ELS4_3ELS4_3ELNS0_20block_scan_algorithmE0ELj4294967295EEENS1_25partition_config_selectorILNS1_17partition_subalgoE3EjNS0_10empty_typeEbEEZZNS1_14partition_implILS8_3ELb0ES6_jNS0_17counting_iteratorIjlEEPS9_SE_NS0_5tupleIJPjSE_EEENSF_IJSE_SE_EEES9_SG_JZNS1_25segmented_radix_sort_implINS0_14default_configELb0EPKaPaPKlPlN2at6native12_GLOBAL__N_18offset_tEEE10hipError_tPvRmT1_PNSt15iterator_traitsISY_E10value_typeET2_T3_PNSZ_IS14_E10value_typeET4_jRbjT5_S1A_jjP12ihipStream_tbEUljE_EEESV_SW_SX_S14_S18_S1A_T6_T7_T9_mT8_S1C_bDpT10_ENKUlT_T0_E_clISt17integral_constantIbLb0EES1O_IbLb1EEEEDaS1K_S1L_EUlS1K_E_NS1_11comp_targetILNS1_3genE10ELNS1_11target_archE1200ELNS1_3gpuE4ELNS1_3repE0EEENS1_30default_config_static_selectorELNS0_4arch9wavefront6targetE1EEEvSY_,"axG",@progbits,_ZN7rocprim17ROCPRIM_400000_NS6detail17trampoline_kernelINS0_13select_configILj256ELj13ELNS0_17block_load_methodE3ELS4_3ELS4_3ELNS0_20block_scan_algorithmE0ELj4294967295EEENS1_25partition_config_selectorILNS1_17partition_subalgoE3EjNS0_10empty_typeEbEEZZNS1_14partition_implILS8_3ELb0ES6_jNS0_17counting_iteratorIjlEEPS9_SE_NS0_5tupleIJPjSE_EEENSF_IJSE_SE_EEES9_SG_JZNS1_25segmented_radix_sort_implINS0_14default_configELb0EPKaPaPKlPlN2at6native12_GLOBAL__N_18offset_tEEE10hipError_tPvRmT1_PNSt15iterator_traitsISY_E10value_typeET2_T3_PNSZ_IS14_E10value_typeET4_jRbjT5_S1A_jjP12ihipStream_tbEUljE_EEESV_SW_SX_S14_S18_S1A_T6_T7_T9_mT8_S1C_bDpT10_ENKUlT_T0_E_clISt17integral_constantIbLb0EES1O_IbLb1EEEEDaS1K_S1L_EUlS1K_E_NS1_11comp_targetILNS1_3genE10ELNS1_11target_archE1200ELNS1_3gpuE4ELNS1_3repE0EEENS1_30default_config_static_selectorELNS0_4arch9wavefront6targetE1EEEvSY_,comdat
.Lfunc_end390:
	.size	_ZN7rocprim17ROCPRIM_400000_NS6detail17trampoline_kernelINS0_13select_configILj256ELj13ELNS0_17block_load_methodE3ELS4_3ELS4_3ELNS0_20block_scan_algorithmE0ELj4294967295EEENS1_25partition_config_selectorILNS1_17partition_subalgoE3EjNS0_10empty_typeEbEEZZNS1_14partition_implILS8_3ELb0ES6_jNS0_17counting_iteratorIjlEEPS9_SE_NS0_5tupleIJPjSE_EEENSF_IJSE_SE_EEES9_SG_JZNS1_25segmented_radix_sort_implINS0_14default_configELb0EPKaPaPKlPlN2at6native12_GLOBAL__N_18offset_tEEE10hipError_tPvRmT1_PNSt15iterator_traitsISY_E10value_typeET2_T3_PNSZ_IS14_E10value_typeET4_jRbjT5_S1A_jjP12ihipStream_tbEUljE_EEESV_SW_SX_S14_S18_S1A_T6_T7_T9_mT8_S1C_bDpT10_ENKUlT_T0_E_clISt17integral_constantIbLb0EES1O_IbLb1EEEEDaS1K_S1L_EUlS1K_E_NS1_11comp_targetILNS1_3genE10ELNS1_11target_archE1200ELNS1_3gpuE4ELNS1_3repE0EEENS1_30default_config_static_selectorELNS0_4arch9wavefront6targetE1EEEvSY_, .Lfunc_end390-_ZN7rocprim17ROCPRIM_400000_NS6detail17trampoline_kernelINS0_13select_configILj256ELj13ELNS0_17block_load_methodE3ELS4_3ELS4_3ELNS0_20block_scan_algorithmE0ELj4294967295EEENS1_25partition_config_selectorILNS1_17partition_subalgoE3EjNS0_10empty_typeEbEEZZNS1_14partition_implILS8_3ELb0ES6_jNS0_17counting_iteratorIjlEEPS9_SE_NS0_5tupleIJPjSE_EEENSF_IJSE_SE_EEES9_SG_JZNS1_25segmented_radix_sort_implINS0_14default_configELb0EPKaPaPKlPlN2at6native12_GLOBAL__N_18offset_tEEE10hipError_tPvRmT1_PNSt15iterator_traitsISY_E10value_typeET2_T3_PNSZ_IS14_E10value_typeET4_jRbjT5_S1A_jjP12ihipStream_tbEUljE_EEESV_SW_SX_S14_S18_S1A_T6_T7_T9_mT8_S1C_bDpT10_ENKUlT_T0_E_clISt17integral_constantIbLb0EES1O_IbLb1EEEEDaS1K_S1L_EUlS1K_E_NS1_11comp_targetILNS1_3genE10ELNS1_11target_archE1200ELNS1_3gpuE4ELNS1_3repE0EEENS1_30default_config_static_selectorELNS0_4arch9wavefront6targetE1EEEvSY_
                                        ; -- End function
	.section	.AMDGPU.csdata,"",@progbits
; Kernel info:
; codeLenInByte = 0
; NumSgprs: 4
; NumVgprs: 0
; NumAgprs: 0
; TotalNumVgprs: 0
; ScratchSize: 0
; MemoryBound: 0
; FloatMode: 240
; IeeeMode: 1
; LDSByteSize: 0 bytes/workgroup (compile time only)
; SGPRBlocks: 0
; VGPRBlocks: 0
; NumSGPRsForWavesPerEU: 4
; NumVGPRsForWavesPerEU: 1
; AccumOffset: 4
; Occupancy: 8
; WaveLimiterHint : 0
; COMPUTE_PGM_RSRC2:SCRATCH_EN: 0
; COMPUTE_PGM_RSRC2:USER_SGPR: 6
; COMPUTE_PGM_RSRC2:TRAP_HANDLER: 0
; COMPUTE_PGM_RSRC2:TGID_X_EN: 1
; COMPUTE_PGM_RSRC2:TGID_Y_EN: 0
; COMPUTE_PGM_RSRC2:TGID_Z_EN: 0
; COMPUTE_PGM_RSRC2:TIDIG_COMP_CNT: 0
; COMPUTE_PGM_RSRC3_GFX90A:ACCUM_OFFSET: 0
; COMPUTE_PGM_RSRC3_GFX90A:TG_SPLIT: 0
	.section	.text._ZN7rocprim17ROCPRIM_400000_NS6detail17trampoline_kernelINS0_13select_configILj256ELj13ELNS0_17block_load_methodE3ELS4_3ELS4_3ELNS0_20block_scan_algorithmE0ELj4294967295EEENS1_25partition_config_selectorILNS1_17partition_subalgoE3EjNS0_10empty_typeEbEEZZNS1_14partition_implILS8_3ELb0ES6_jNS0_17counting_iteratorIjlEEPS9_SE_NS0_5tupleIJPjSE_EEENSF_IJSE_SE_EEES9_SG_JZNS1_25segmented_radix_sort_implINS0_14default_configELb0EPKaPaPKlPlN2at6native12_GLOBAL__N_18offset_tEEE10hipError_tPvRmT1_PNSt15iterator_traitsISY_E10value_typeET2_T3_PNSZ_IS14_E10value_typeET4_jRbjT5_S1A_jjP12ihipStream_tbEUljE_EEESV_SW_SX_S14_S18_S1A_T6_T7_T9_mT8_S1C_bDpT10_ENKUlT_T0_E_clISt17integral_constantIbLb0EES1O_IbLb1EEEEDaS1K_S1L_EUlS1K_E_NS1_11comp_targetILNS1_3genE9ELNS1_11target_archE1100ELNS1_3gpuE3ELNS1_3repE0EEENS1_30default_config_static_selectorELNS0_4arch9wavefront6targetE1EEEvSY_,"axG",@progbits,_ZN7rocprim17ROCPRIM_400000_NS6detail17trampoline_kernelINS0_13select_configILj256ELj13ELNS0_17block_load_methodE3ELS4_3ELS4_3ELNS0_20block_scan_algorithmE0ELj4294967295EEENS1_25partition_config_selectorILNS1_17partition_subalgoE3EjNS0_10empty_typeEbEEZZNS1_14partition_implILS8_3ELb0ES6_jNS0_17counting_iteratorIjlEEPS9_SE_NS0_5tupleIJPjSE_EEENSF_IJSE_SE_EEES9_SG_JZNS1_25segmented_radix_sort_implINS0_14default_configELb0EPKaPaPKlPlN2at6native12_GLOBAL__N_18offset_tEEE10hipError_tPvRmT1_PNSt15iterator_traitsISY_E10value_typeET2_T3_PNSZ_IS14_E10value_typeET4_jRbjT5_S1A_jjP12ihipStream_tbEUljE_EEESV_SW_SX_S14_S18_S1A_T6_T7_T9_mT8_S1C_bDpT10_ENKUlT_T0_E_clISt17integral_constantIbLb0EES1O_IbLb1EEEEDaS1K_S1L_EUlS1K_E_NS1_11comp_targetILNS1_3genE9ELNS1_11target_archE1100ELNS1_3gpuE3ELNS1_3repE0EEENS1_30default_config_static_selectorELNS0_4arch9wavefront6targetE1EEEvSY_,comdat
	.globl	_ZN7rocprim17ROCPRIM_400000_NS6detail17trampoline_kernelINS0_13select_configILj256ELj13ELNS0_17block_load_methodE3ELS4_3ELS4_3ELNS0_20block_scan_algorithmE0ELj4294967295EEENS1_25partition_config_selectorILNS1_17partition_subalgoE3EjNS0_10empty_typeEbEEZZNS1_14partition_implILS8_3ELb0ES6_jNS0_17counting_iteratorIjlEEPS9_SE_NS0_5tupleIJPjSE_EEENSF_IJSE_SE_EEES9_SG_JZNS1_25segmented_radix_sort_implINS0_14default_configELb0EPKaPaPKlPlN2at6native12_GLOBAL__N_18offset_tEEE10hipError_tPvRmT1_PNSt15iterator_traitsISY_E10value_typeET2_T3_PNSZ_IS14_E10value_typeET4_jRbjT5_S1A_jjP12ihipStream_tbEUljE_EEESV_SW_SX_S14_S18_S1A_T6_T7_T9_mT8_S1C_bDpT10_ENKUlT_T0_E_clISt17integral_constantIbLb0EES1O_IbLb1EEEEDaS1K_S1L_EUlS1K_E_NS1_11comp_targetILNS1_3genE9ELNS1_11target_archE1100ELNS1_3gpuE3ELNS1_3repE0EEENS1_30default_config_static_selectorELNS0_4arch9wavefront6targetE1EEEvSY_ ; -- Begin function _ZN7rocprim17ROCPRIM_400000_NS6detail17trampoline_kernelINS0_13select_configILj256ELj13ELNS0_17block_load_methodE3ELS4_3ELS4_3ELNS0_20block_scan_algorithmE0ELj4294967295EEENS1_25partition_config_selectorILNS1_17partition_subalgoE3EjNS0_10empty_typeEbEEZZNS1_14partition_implILS8_3ELb0ES6_jNS0_17counting_iteratorIjlEEPS9_SE_NS0_5tupleIJPjSE_EEENSF_IJSE_SE_EEES9_SG_JZNS1_25segmented_radix_sort_implINS0_14default_configELb0EPKaPaPKlPlN2at6native12_GLOBAL__N_18offset_tEEE10hipError_tPvRmT1_PNSt15iterator_traitsISY_E10value_typeET2_T3_PNSZ_IS14_E10value_typeET4_jRbjT5_S1A_jjP12ihipStream_tbEUljE_EEESV_SW_SX_S14_S18_S1A_T6_T7_T9_mT8_S1C_bDpT10_ENKUlT_T0_E_clISt17integral_constantIbLb0EES1O_IbLb1EEEEDaS1K_S1L_EUlS1K_E_NS1_11comp_targetILNS1_3genE9ELNS1_11target_archE1100ELNS1_3gpuE3ELNS1_3repE0EEENS1_30default_config_static_selectorELNS0_4arch9wavefront6targetE1EEEvSY_
	.p2align	8
	.type	_ZN7rocprim17ROCPRIM_400000_NS6detail17trampoline_kernelINS0_13select_configILj256ELj13ELNS0_17block_load_methodE3ELS4_3ELS4_3ELNS0_20block_scan_algorithmE0ELj4294967295EEENS1_25partition_config_selectorILNS1_17partition_subalgoE3EjNS0_10empty_typeEbEEZZNS1_14partition_implILS8_3ELb0ES6_jNS0_17counting_iteratorIjlEEPS9_SE_NS0_5tupleIJPjSE_EEENSF_IJSE_SE_EEES9_SG_JZNS1_25segmented_radix_sort_implINS0_14default_configELb0EPKaPaPKlPlN2at6native12_GLOBAL__N_18offset_tEEE10hipError_tPvRmT1_PNSt15iterator_traitsISY_E10value_typeET2_T3_PNSZ_IS14_E10value_typeET4_jRbjT5_S1A_jjP12ihipStream_tbEUljE_EEESV_SW_SX_S14_S18_S1A_T6_T7_T9_mT8_S1C_bDpT10_ENKUlT_T0_E_clISt17integral_constantIbLb0EES1O_IbLb1EEEEDaS1K_S1L_EUlS1K_E_NS1_11comp_targetILNS1_3genE9ELNS1_11target_archE1100ELNS1_3gpuE3ELNS1_3repE0EEENS1_30default_config_static_selectorELNS0_4arch9wavefront6targetE1EEEvSY_,@function
_ZN7rocprim17ROCPRIM_400000_NS6detail17trampoline_kernelINS0_13select_configILj256ELj13ELNS0_17block_load_methodE3ELS4_3ELS4_3ELNS0_20block_scan_algorithmE0ELj4294967295EEENS1_25partition_config_selectorILNS1_17partition_subalgoE3EjNS0_10empty_typeEbEEZZNS1_14partition_implILS8_3ELb0ES6_jNS0_17counting_iteratorIjlEEPS9_SE_NS0_5tupleIJPjSE_EEENSF_IJSE_SE_EEES9_SG_JZNS1_25segmented_radix_sort_implINS0_14default_configELb0EPKaPaPKlPlN2at6native12_GLOBAL__N_18offset_tEEE10hipError_tPvRmT1_PNSt15iterator_traitsISY_E10value_typeET2_T3_PNSZ_IS14_E10value_typeET4_jRbjT5_S1A_jjP12ihipStream_tbEUljE_EEESV_SW_SX_S14_S18_S1A_T6_T7_T9_mT8_S1C_bDpT10_ENKUlT_T0_E_clISt17integral_constantIbLb0EES1O_IbLb1EEEEDaS1K_S1L_EUlS1K_E_NS1_11comp_targetILNS1_3genE9ELNS1_11target_archE1100ELNS1_3gpuE3ELNS1_3repE0EEENS1_30default_config_static_selectorELNS0_4arch9wavefront6targetE1EEEvSY_: ; @_ZN7rocprim17ROCPRIM_400000_NS6detail17trampoline_kernelINS0_13select_configILj256ELj13ELNS0_17block_load_methodE3ELS4_3ELS4_3ELNS0_20block_scan_algorithmE0ELj4294967295EEENS1_25partition_config_selectorILNS1_17partition_subalgoE3EjNS0_10empty_typeEbEEZZNS1_14partition_implILS8_3ELb0ES6_jNS0_17counting_iteratorIjlEEPS9_SE_NS0_5tupleIJPjSE_EEENSF_IJSE_SE_EEES9_SG_JZNS1_25segmented_radix_sort_implINS0_14default_configELb0EPKaPaPKlPlN2at6native12_GLOBAL__N_18offset_tEEE10hipError_tPvRmT1_PNSt15iterator_traitsISY_E10value_typeET2_T3_PNSZ_IS14_E10value_typeET4_jRbjT5_S1A_jjP12ihipStream_tbEUljE_EEESV_SW_SX_S14_S18_S1A_T6_T7_T9_mT8_S1C_bDpT10_ENKUlT_T0_E_clISt17integral_constantIbLb0EES1O_IbLb1EEEEDaS1K_S1L_EUlS1K_E_NS1_11comp_targetILNS1_3genE9ELNS1_11target_archE1100ELNS1_3gpuE3ELNS1_3repE0EEENS1_30default_config_static_selectorELNS0_4arch9wavefront6targetE1EEEvSY_
; %bb.0:
	.section	.rodata,"a",@progbits
	.p2align	6, 0x0
	.amdhsa_kernel _ZN7rocprim17ROCPRIM_400000_NS6detail17trampoline_kernelINS0_13select_configILj256ELj13ELNS0_17block_load_methodE3ELS4_3ELS4_3ELNS0_20block_scan_algorithmE0ELj4294967295EEENS1_25partition_config_selectorILNS1_17partition_subalgoE3EjNS0_10empty_typeEbEEZZNS1_14partition_implILS8_3ELb0ES6_jNS0_17counting_iteratorIjlEEPS9_SE_NS0_5tupleIJPjSE_EEENSF_IJSE_SE_EEES9_SG_JZNS1_25segmented_radix_sort_implINS0_14default_configELb0EPKaPaPKlPlN2at6native12_GLOBAL__N_18offset_tEEE10hipError_tPvRmT1_PNSt15iterator_traitsISY_E10value_typeET2_T3_PNSZ_IS14_E10value_typeET4_jRbjT5_S1A_jjP12ihipStream_tbEUljE_EEESV_SW_SX_S14_S18_S1A_T6_T7_T9_mT8_S1C_bDpT10_ENKUlT_T0_E_clISt17integral_constantIbLb0EES1O_IbLb1EEEEDaS1K_S1L_EUlS1K_E_NS1_11comp_targetILNS1_3genE9ELNS1_11target_archE1100ELNS1_3gpuE3ELNS1_3repE0EEENS1_30default_config_static_selectorELNS0_4arch9wavefront6targetE1EEEvSY_
		.amdhsa_group_segment_fixed_size 0
		.amdhsa_private_segment_fixed_size 0
		.amdhsa_kernarg_size 152
		.amdhsa_user_sgpr_count 6
		.amdhsa_user_sgpr_private_segment_buffer 1
		.amdhsa_user_sgpr_dispatch_ptr 0
		.amdhsa_user_sgpr_queue_ptr 0
		.amdhsa_user_sgpr_kernarg_segment_ptr 1
		.amdhsa_user_sgpr_dispatch_id 0
		.amdhsa_user_sgpr_flat_scratch_init 0
		.amdhsa_user_sgpr_kernarg_preload_length 0
		.amdhsa_user_sgpr_kernarg_preload_offset 0
		.amdhsa_user_sgpr_private_segment_size 0
		.amdhsa_uses_dynamic_stack 0
		.amdhsa_system_sgpr_private_segment_wavefront_offset 0
		.amdhsa_system_sgpr_workgroup_id_x 1
		.amdhsa_system_sgpr_workgroup_id_y 0
		.amdhsa_system_sgpr_workgroup_id_z 0
		.amdhsa_system_sgpr_workgroup_info 0
		.amdhsa_system_vgpr_workitem_id 0
		.amdhsa_next_free_vgpr 1
		.amdhsa_next_free_sgpr 0
		.amdhsa_accum_offset 4
		.amdhsa_reserve_vcc 0
		.amdhsa_reserve_flat_scratch 0
		.amdhsa_float_round_mode_32 0
		.amdhsa_float_round_mode_16_64 0
		.amdhsa_float_denorm_mode_32 3
		.amdhsa_float_denorm_mode_16_64 3
		.amdhsa_dx10_clamp 1
		.amdhsa_ieee_mode 1
		.amdhsa_fp16_overflow 0
		.amdhsa_tg_split 0
		.amdhsa_exception_fp_ieee_invalid_op 0
		.amdhsa_exception_fp_denorm_src 0
		.amdhsa_exception_fp_ieee_div_zero 0
		.amdhsa_exception_fp_ieee_overflow 0
		.amdhsa_exception_fp_ieee_underflow 0
		.amdhsa_exception_fp_ieee_inexact 0
		.amdhsa_exception_int_div_zero 0
	.end_amdhsa_kernel
	.section	.text._ZN7rocprim17ROCPRIM_400000_NS6detail17trampoline_kernelINS0_13select_configILj256ELj13ELNS0_17block_load_methodE3ELS4_3ELS4_3ELNS0_20block_scan_algorithmE0ELj4294967295EEENS1_25partition_config_selectorILNS1_17partition_subalgoE3EjNS0_10empty_typeEbEEZZNS1_14partition_implILS8_3ELb0ES6_jNS0_17counting_iteratorIjlEEPS9_SE_NS0_5tupleIJPjSE_EEENSF_IJSE_SE_EEES9_SG_JZNS1_25segmented_radix_sort_implINS0_14default_configELb0EPKaPaPKlPlN2at6native12_GLOBAL__N_18offset_tEEE10hipError_tPvRmT1_PNSt15iterator_traitsISY_E10value_typeET2_T3_PNSZ_IS14_E10value_typeET4_jRbjT5_S1A_jjP12ihipStream_tbEUljE_EEESV_SW_SX_S14_S18_S1A_T6_T7_T9_mT8_S1C_bDpT10_ENKUlT_T0_E_clISt17integral_constantIbLb0EES1O_IbLb1EEEEDaS1K_S1L_EUlS1K_E_NS1_11comp_targetILNS1_3genE9ELNS1_11target_archE1100ELNS1_3gpuE3ELNS1_3repE0EEENS1_30default_config_static_selectorELNS0_4arch9wavefront6targetE1EEEvSY_,"axG",@progbits,_ZN7rocprim17ROCPRIM_400000_NS6detail17trampoline_kernelINS0_13select_configILj256ELj13ELNS0_17block_load_methodE3ELS4_3ELS4_3ELNS0_20block_scan_algorithmE0ELj4294967295EEENS1_25partition_config_selectorILNS1_17partition_subalgoE3EjNS0_10empty_typeEbEEZZNS1_14partition_implILS8_3ELb0ES6_jNS0_17counting_iteratorIjlEEPS9_SE_NS0_5tupleIJPjSE_EEENSF_IJSE_SE_EEES9_SG_JZNS1_25segmented_radix_sort_implINS0_14default_configELb0EPKaPaPKlPlN2at6native12_GLOBAL__N_18offset_tEEE10hipError_tPvRmT1_PNSt15iterator_traitsISY_E10value_typeET2_T3_PNSZ_IS14_E10value_typeET4_jRbjT5_S1A_jjP12ihipStream_tbEUljE_EEESV_SW_SX_S14_S18_S1A_T6_T7_T9_mT8_S1C_bDpT10_ENKUlT_T0_E_clISt17integral_constantIbLb0EES1O_IbLb1EEEEDaS1K_S1L_EUlS1K_E_NS1_11comp_targetILNS1_3genE9ELNS1_11target_archE1100ELNS1_3gpuE3ELNS1_3repE0EEENS1_30default_config_static_selectorELNS0_4arch9wavefront6targetE1EEEvSY_,comdat
.Lfunc_end391:
	.size	_ZN7rocprim17ROCPRIM_400000_NS6detail17trampoline_kernelINS0_13select_configILj256ELj13ELNS0_17block_load_methodE3ELS4_3ELS4_3ELNS0_20block_scan_algorithmE0ELj4294967295EEENS1_25partition_config_selectorILNS1_17partition_subalgoE3EjNS0_10empty_typeEbEEZZNS1_14partition_implILS8_3ELb0ES6_jNS0_17counting_iteratorIjlEEPS9_SE_NS0_5tupleIJPjSE_EEENSF_IJSE_SE_EEES9_SG_JZNS1_25segmented_radix_sort_implINS0_14default_configELb0EPKaPaPKlPlN2at6native12_GLOBAL__N_18offset_tEEE10hipError_tPvRmT1_PNSt15iterator_traitsISY_E10value_typeET2_T3_PNSZ_IS14_E10value_typeET4_jRbjT5_S1A_jjP12ihipStream_tbEUljE_EEESV_SW_SX_S14_S18_S1A_T6_T7_T9_mT8_S1C_bDpT10_ENKUlT_T0_E_clISt17integral_constantIbLb0EES1O_IbLb1EEEEDaS1K_S1L_EUlS1K_E_NS1_11comp_targetILNS1_3genE9ELNS1_11target_archE1100ELNS1_3gpuE3ELNS1_3repE0EEENS1_30default_config_static_selectorELNS0_4arch9wavefront6targetE1EEEvSY_, .Lfunc_end391-_ZN7rocprim17ROCPRIM_400000_NS6detail17trampoline_kernelINS0_13select_configILj256ELj13ELNS0_17block_load_methodE3ELS4_3ELS4_3ELNS0_20block_scan_algorithmE0ELj4294967295EEENS1_25partition_config_selectorILNS1_17partition_subalgoE3EjNS0_10empty_typeEbEEZZNS1_14partition_implILS8_3ELb0ES6_jNS0_17counting_iteratorIjlEEPS9_SE_NS0_5tupleIJPjSE_EEENSF_IJSE_SE_EEES9_SG_JZNS1_25segmented_radix_sort_implINS0_14default_configELb0EPKaPaPKlPlN2at6native12_GLOBAL__N_18offset_tEEE10hipError_tPvRmT1_PNSt15iterator_traitsISY_E10value_typeET2_T3_PNSZ_IS14_E10value_typeET4_jRbjT5_S1A_jjP12ihipStream_tbEUljE_EEESV_SW_SX_S14_S18_S1A_T6_T7_T9_mT8_S1C_bDpT10_ENKUlT_T0_E_clISt17integral_constantIbLb0EES1O_IbLb1EEEEDaS1K_S1L_EUlS1K_E_NS1_11comp_targetILNS1_3genE9ELNS1_11target_archE1100ELNS1_3gpuE3ELNS1_3repE0EEENS1_30default_config_static_selectorELNS0_4arch9wavefront6targetE1EEEvSY_
                                        ; -- End function
	.section	.AMDGPU.csdata,"",@progbits
; Kernel info:
; codeLenInByte = 0
; NumSgprs: 4
; NumVgprs: 0
; NumAgprs: 0
; TotalNumVgprs: 0
; ScratchSize: 0
; MemoryBound: 0
; FloatMode: 240
; IeeeMode: 1
; LDSByteSize: 0 bytes/workgroup (compile time only)
; SGPRBlocks: 0
; VGPRBlocks: 0
; NumSGPRsForWavesPerEU: 4
; NumVGPRsForWavesPerEU: 1
; AccumOffset: 4
; Occupancy: 8
; WaveLimiterHint : 0
; COMPUTE_PGM_RSRC2:SCRATCH_EN: 0
; COMPUTE_PGM_RSRC2:USER_SGPR: 6
; COMPUTE_PGM_RSRC2:TRAP_HANDLER: 0
; COMPUTE_PGM_RSRC2:TGID_X_EN: 1
; COMPUTE_PGM_RSRC2:TGID_Y_EN: 0
; COMPUTE_PGM_RSRC2:TGID_Z_EN: 0
; COMPUTE_PGM_RSRC2:TIDIG_COMP_CNT: 0
; COMPUTE_PGM_RSRC3_GFX90A:ACCUM_OFFSET: 0
; COMPUTE_PGM_RSRC3_GFX90A:TG_SPLIT: 0
	.section	.text._ZN7rocprim17ROCPRIM_400000_NS6detail17trampoline_kernelINS0_13select_configILj256ELj13ELNS0_17block_load_methodE3ELS4_3ELS4_3ELNS0_20block_scan_algorithmE0ELj4294967295EEENS1_25partition_config_selectorILNS1_17partition_subalgoE3EjNS0_10empty_typeEbEEZZNS1_14partition_implILS8_3ELb0ES6_jNS0_17counting_iteratorIjlEEPS9_SE_NS0_5tupleIJPjSE_EEENSF_IJSE_SE_EEES9_SG_JZNS1_25segmented_radix_sort_implINS0_14default_configELb0EPKaPaPKlPlN2at6native12_GLOBAL__N_18offset_tEEE10hipError_tPvRmT1_PNSt15iterator_traitsISY_E10value_typeET2_T3_PNSZ_IS14_E10value_typeET4_jRbjT5_S1A_jjP12ihipStream_tbEUljE_EEESV_SW_SX_S14_S18_S1A_T6_T7_T9_mT8_S1C_bDpT10_ENKUlT_T0_E_clISt17integral_constantIbLb0EES1O_IbLb1EEEEDaS1K_S1L_EUlS1K_E_NS1_11comp_targetILNS1_3genE8ELNS1_11target_archE1030ELNS1_3gpuE2ELNS1_3repE0EEENS1_30default_config_static_selectorELNS0_4arch9wavefront6targetE1EEEvSY_,"axG",@progbits,_ZN7rocprim17ROCPRIM_400000_NS6detail17trampoline_kernelINS0_13select_configILj256ELj13ELNS0_17block_load_methodE3ELS4_3ELS4_3ELNS0_20block_scan_algorithmE0ELj4294967295EEENS1_25partition_config_selectorILNS1_17partition_subalgoE3EjNS0_10empty_typeEbEEZZNS1_14partition_implILS8_3ELb0ES6_jNS0_17counting_iteratorIjlEEPS9_SE_NS0_5tupleIJPjSE_EEENSF_IJSE_SE_EEES9_SG_JZNS1_25segmented_radix_sort_implINS0_14default_configELb0EPKaPaPKlPlN2at6native12_GLOBAL__N_18offset_tEEE10hipError_tPvRmT1_PNSt15iterator_traitsISY_E10value_typeET2_T3_PNSZ_IS14_E10value_typeET4_jRbjT5_S1A_jjP12ihipStream_tbEUljE_EEESV_SW_SX_S14_S18_S1A_T6_T7_T9_mT8_S1C_bDpT10_ENKUlT_T0_E_clISt17integral_constantIbLb0EES1O_IbLb1EEEEDaS1K_S1L_EUlS1K_E_NS1_11comp_targetILNS1_3genE8ELNS1_11target_archE1030ELNS1_3gpuE2ELNS1_3repE0EEENS1_30default_config_static_selectorELNS0_4arch9wavefront6targetE1EEEvSY_,comdat
	.globl	_ZN7rocprim17ROCPRIM_400000_NS6detail17trampoline_kernelINS0_13select_configILj256ELj13ELNS0_17block_load_methodE3ELS4_3ELS4_3ELNS0_20block_scan_algorithmE0ELj4294967295EEENS1_25partition_config_selectorILNS1_17partition_subalgoE3EjNS0_10empty_typeEbEEZZNS1_14partition_implILS8_3ELb0ES6_jNS0_17counting_iteratorIjlEEPS9_SE_NS0_5tupleIJPjSE_EEENSF_IJSE_SE_EEES9_SG_JZNS1_25segmented_radix_sort_implINS0_14default_configELb0EPKaPaPKlPlN2at6native12_GLOBAL__N_18offset_tEEE10hipError_tPvRmT1_PNSt15iterator_traitsISY_E10value_typeET2_T3_PNSZ_IS14_E10value_typeET4_jRbjT5_S1A_jjP12ihipStream_tbEUljE_EEESV_SW_SX_S14_S18_S1A_T6_T7_T9_mT8_S1C_bDpT10_ENKUlT_T0_E_clISt17integral_constantIbLb0EES1O_IbLb1EEEEDaS1K_S1L_EUlS1K_E_NS1_11comp_targetILNS1_3genE8ELNS1_11target_archE1030ELNS1_3gpuE2ELNS1_3repE0EEENS1_30default_config_static_selectorELNS0_4arch9wavefront6targetE1EEEvSY_ ; -- Begin function _ZN7rocprim17ROCPRIM_400000_NS6detail17trampoline_kernelINS0_13select_configILj256ELj13ELNS0_17block_load_methodE3ELS4_3ELS4_3ELNS0_20block_scan_algorithmE0ELj4294967295EEENS1_25partition_config_selectorILNS1_17partition_subalgoE3EjNS0_10empty_typeEbEEZZNS1_14partition_implILS8_3ELb0ES6_jNS0_17counting_iteratorIjlEEPS9_SE_NS0_5tupleIJPjSE_EEENSF_IJSE_SE_EEES9_SG_JZNS1_25segmented_radix_sort_implINS0_14default_configELb0EPKaPaPKlPlN2at6native12_GLOBAL__N_18offset_tEEE10hipError_tPvRmT1_PNSt15iterator_traitsISY_E10value_typeET2_T3_PNSZ_IS14_E10value_typeET4_jRbjT5_S1A_jjP12ihipStream_tbEUljE_EEESV_SW_SX_S14_S18_S1A_T6_T7_T9_mT8_S1C_bDpT10_ENKUlT_T0_E_clISt17integral_constantIbLb0EES1O_IbLb1EEEEDaS1K_S1L_EUlS1K_E_NS1_11comp_targetILNS1_3genE8ELNS1_11target_archE1030ELNS1_3gpuE2ELNS1_3repE0EEENS1_30default_config_static_selectorELNS0_4arch9wavefront6targetE1EEEvSY_
	.p2align	8
	.type	_ZN7rocprim17ROCPRIM_400000_NS6detail17trampoline_kernelINS0_13select_configILj256ELj13ELNS0_17block_load_methodE3ELS4_3ELS4_3ELNS0_20block_scan_algorithmE0ELj4294967295EEENS1_25partition_config_selectorILNS1_17partition_subalgoE3EjNS0_10empty_typeEbEEZZNS1_14partition_implILS8_3ELb0ES6_jNS0_17counting_iteratorIjlEEPS9_SE_NS0_5tupleIJPjSE_EEENSF_IJSE_SE_EEES9_SG_JZNS1_25segmented_radix_sort_implINS0_14default_configELb0EPKaPaPKlPlN2at6native12_GLOBAL__N_18offset_tEEE10hipError_tPvRmT1_PNSt15iterator_traitsISY_E10value_typeET2_T3_PNSZ_IS14_E10value_typeET4_jRbjT5_S1A_jjP12ihipStream_tbEUljE_EEESV_SW_SX_S14_S18_S1A_T6_T7_T9_mT8_S1C_bDpT10_ENKUlT_T0_E_clISt17integral_constantIbLb0EES1O_IbLb1EEEEDaS1K_S1L_EUlS1K_E_NS1_11comp_targetILNS1_3genE8ELNS1_11target_archE1030ELNS1_3gpuE2ELNS1_3repE0EEENS1_30default_config_static_selectorELNS0_4arch9wavefront6targetE1EEEvSY_,@function
_ZN7rocprim17ROCPRIM_400000_NS6detail17trampoline_kernelINS0_13select_configILj256ELj13ELNS0_17block_load_methodE3ELS4_3ELS4_3ELNS0_20block_scan_algorithmE0ELj4294967295EEENS1_25partition_config_selectorILNS1_17partition_subalgoE3EjNS0_10empty_typeEbEEZZNS1_14partition_implILS8_3ELb0ES6_jNS0_17counting_iteratorIjlEEPS9_SE_NS0_5tupleIJPjSE_EEENSF_IJSE_SE_EEES9_SG_JZNS1_25segmented_radix_sort_implINS0_14default_configELb0EPKaPaPKlPlN2at6native12_GLOBAL__N_18offset_tEEE10hipError_tPvRmT1_PNSt15iterator_traitsISY_E10value_typeET2_T3_PNSZ_IS14_E10value_typeET4_jRbjT5_S1A_jjP12ihipStream_tbEUljE_EEESV_SW_SX_S14_S18_S1A_T6_T7_T9_mT8_S1C_bDpT10_ENKUlT_T0_E_clISt17integral_constantIbLb0EES1O_IbLb1EEEEDaS1K_S1L_EUlS1K_E_NS1_11comp_targetILNS1_3genE8ELNS1_11target_archE1030ELNS1_3gpuE2ELNS1_3repE0EEENS1_30default_config_static_selectorELNS0_4arch9wavefront6targetE1EEEvSY_: ; @_ZN7rocprim17ROCPRIM_400000_NS6detail17trampoline_kernelINS0_13select_configILj256ELj13ELNS0_17block_load_methodE3ELS4_3ELS4_3ELNS0_20block_scan_algorithmE0ELj4294967295EEENS1_25partition_config_selectorILNS1_17partition_subalgoE3EjNS0_10empty_typeEbEEZZNS1_14partition_implILS8_3ELb0ES6_jNS0_17counting_iteratorIjlEEPS9_SE_NS0_5tupleIJPjSE_EEENSF_IJSE_SE_EEES9_SG_JZNS1_25segmented_radix_sort_implINS0_14default_configELb0EPKaPaPKlPlN2at6native12_GLOBAL__N_18offset_tEEE10hipError_tPvRmT1_PNSt15iterator_traitsISY_E10value_typeET2_T3_PNSZ_IS14_E10value_typeET4_jRbjT5_S1A_jjP12ihipStream_tbEUljE_EEESV_SW_SX_S14_S18_S1A_T6_T7_T9_mT8_S1C_bDpT10_ENKUlT_T0_E_clISt17integral_constantIbLb0EES1O_IbLb1EEEEDaS1K_S1L_EUlS1K_E_NS1_11comp_targetILNS1_3genE8ELNS1_11target_archE1030ELNS1_3gpuE2ELNS1_3repE0EEENS1_30default_config_static_selectorELNS0_4arch9wavefront6targetE1EEEvSY_
; %bb.0:
	.section	.rodata,"a",@progbits
	.p2align	6, 0x0
	.amdhsa_kernel _ZN7rocprim17ROCPRIM_400000_NS6detail17trampoline_kernelINS0_13select_configILj256ELj13ELNS0_17block_load_methodE3ELS4_3ELS4_3ELNS0_20block_scan_algorithmE0ELj4294967295EEENS1_25partition_config_selectorILNS1_17partition_subalgoE3EjNS0_10empty_typeEbEEZZNS1_14partition_implILS8_3ELb0ES6_jNS0_17counting_iteratorIjlEEPS9_SE_NS0_5tupleIJPjSE_EEENSF_IJSE_SE_EEES9_SG_JZNS1_25segmented_radix_sort_implINS0_14default_configELb0EPKaPaPKlPlN2at6native12_GLOBAL__N_18offset_tEEE10hipError_tPvRmT1_PNSt15iterator_traitsISY_E10value_typeET2_T3_PNSZ_IS14_E10value_typeET4_jRbjT5_S1A_jjP12ihipStream_tbEUljE_EEESV_SW_SX_S14_S18_S1A_T6_T7_T9_mT8_S1C_bDpT10_ENKUlT_T0_E_clISt17integral_constantIbLb0EES1O_IbLb1EEEEDaS1K_S1L_EUlS1K_E_NS1_11comp_targetILNS1_3genE8ELNS1_11target_archE1030ELNS1_3gpuE2ELNS1_3repE0EEENS1_30default_config_static_selectorELNS0_4arch9wavefront6targetE1EEEvSY_
		.amdhsa_group_segment_fixed_size 0
		.amdhsa_private_segment_fixed_size 0
		.amdhsa_kernarg_size 152
		.amdhsa_user_sgpr_count 6
		.amdhsa_user_sgpr_private_segment_buffer 1
		.amdhsa_user_sgpr_dispatch_ptr 0
		.amdhsa_user_sgpr_queue_ptr 0
		.amdhsa_user_sgpr_kernarg_segment_ptr 1
		.amdhsa_user_sgpr_dispatch_id 0
		.amdhsa_user_sgpr_flat_scratch_init 0
		.amdhsa_user_sgpr_kernarg_preload_length 0
		.amdhsa_user_sgpr_kernarg_preload_offset 0
		.amdhsa_user_sgpr_private_segment_size 0
		.amdhsa_uses_dynamic_stack 0
		.amdhsa_system_sgpr_private_segment_wavefront_offset 0
		.amdhsa_system_sgpr_workgroup_id_x 1
		.amdhsa_system_sgpr_workgroup_id_y 0
		.amdhsa_system_sgpr_workgroup_id_z 0
		.amdhsa_system_sgpr_workgroup_info 0
		.amdhsa_system_vgpr_workitem_id 0
		.amdhsa_next_free_vgpr 1
		.amdhsa_next_free_sgpr 0
		.amdhsa_accum_offset 4
		.amdhsa_reserve_vcc 0
		.amdhsa_reserve_flat_scratch 0
		.amdhsa_float_round_mode_32 0
		.amdhsa_float_round_mode_16_64 0
		.amdhsa_float_denorm_mode_32 3
		.amdhsa_float_denorm_mode_16_64 3
		.amdhsa_dx10_clamp 1
		.amdhsa_ieee_mode 1
		.amdhsa_fp16_overflow 0
		.amdhsa_tg_split 0
		.amdhsa_exception_fp_ieee_invalid_op 0
		.amdhsa_exception_fp_denorm_src 0
		.amdhsa_exception_fp_ieee_div_zero 0
		.amdhsa_exception_fp_ieee_overflow 0
		.amdhsa_exception_fp_ieee_underflow 0
		.amdhsa_exception_fp_ieee_inexact 0
		.amdhsa_exception_int_div_zero 0
	.end_amdhsa_kernel
	.section	.text._ZN7rocprim17ROCPRIM_400000_NS6detail17trampoline_kernelINS0_13select_configILj256ELj13ELNS0_17block_load_methodE3ELS4_3ELS4_3ELNS0_20block_scan_algorithmE0ELj4294967295EEENS1_25partition_config_selectorILNS1_17partition_subalgoE3EjNS0_10empty_typeEbEEZZNS1_14partition_implILS8_3ELb0ES6_jNS0_17counting_iteratorIjlEEPS9_SE_NS0_5tupleIJPjSE_EEENSF_IJSE_SE_EEES9_SG_JZNS1_25segmented_radix_sort_implINS0_14default_configELb0EPKaPaPKlPlN2at6native12_GLOBAL__N_18offset_tEEE10hipError_tPvRmT1_PNSt15iterator_traitsISY_E10value_typeET2_T3_PNSZ_IS14_E10value_typeET4_jRbjT5_S1A_jjP12ihipStream_tbEUljE_EEESV_SW_SX_S14_S18_S1A_T6_T7_T9_mT8_S1C_bDpT10_ENKUlT_T0_E_clISt17integral_constantIbLb0EES1O_IbLb1EEEEDaS1K_S1L_EUlS1K_E_NS1_11comp_targetILNS1_3genE8ELNS1_11target_archE1030ELNS1_3gpuE2ELNS1_3repE0EEENS1_30default_config_static_selectorELNS0_4arch9wavefront6targetE1EEEvSY_,"axG",@progbits,_ZN7rocprim17ROCPRIM_400000_NS6detail17trampoline_kernelINS0_13select_configILj256ELj13ELNS0_17block_load_methodE3ELS4_3ELS4_3ELNS0_20block_scan_algorithmE0ELj4294967295EEENS1_25partition_config_selectorILNS1_17partition_subalgoE3EjNS0_10empty_typeEbEEZZNS1_14partition_implILS8_3ELb0ES6_jNS0_17counting_iteratorIjlEEPS9_SE_NS0_5tupleIJPjSE_EEENSF_IJSE_SE_EEES9_SG_JZNS1_25segmented_radix_sort_implINS0_14default_configELb0EPKaPaPKlPlN2at6native12_GLOBAL__N_18offset_tEEE10hipError_tPvRmT1_PNSt15iterator_traitsISY_E10value_typeET2_T3_PNSZ_IS14_E10value_typeET4_jRbjT5_S1A_jjP12ihipStream_tbEUljE_EEESV_SW_SX_S14_S18_S1A_T6_T7_T9_mT8_S1C_bDpT10_ENKUlT_T0_E_clISt17integral_constantIbLb0EES1O_IbLb1EEEEDaS1K_S1L_EUlS1K_E_NS1_11comp_targetILNS1_3genE8ELNS1_11target_archE1030ELNS1_3gpuE2ELNS1_3repE0EEENS1_30default_config_static_selectorELNS0_4arch9wavefront6targetE1EEEvSY_,comdat
.Lfunc_end392:
	.size	_ZN7rocprim17ROCPRIM_400000_NS6detail17trampoline_kernelINS0_13select_configILj256ELj13ELNS0_17block_load_methodE3ELS4_3ELS4_3ELNS0_20block_scan_algorithmE0ELj4294967295EEENS1_25partition_config_selectorILNS1_17partition_subalgoE3EjNS0_10empty_typeEbEEZZNS1_14partition_implILS8_3ELb0ES6_jNS0_17counting_iteratorIjlEEPS9_SE_NS0_5tupleIJPjSE_EEENSF_IJSE_SE_EEES9_SG_JZNS1_25segmented_radix_sort_implINS0_14default_configELb0EPKaPaPKlPlN2at6native12_GLOBAL__N_18offset_tEEE10hipError_tPvRmT1_PNSt15iterator_traitsISY_E10value_typeET2_T3_PNSZ_IS14_E10value_typeET4_jRbjT5_S1A_jjP12ihipStream_tbEUljE_EEESV_SW_SX_S14_S18_S1A_T6_T7_T9_mT8_S1C_bDpT10_ENKUlT_T0_E_clISt17integral_constantIbLb0EES1O_IbLb1EEEEDaS1K_S1L_EUlS1K_E_NS1_11comp_targetILNS1_3genE8ELNS1_11target_archE1030ELNS1_3gpuE2ELNS1_3repE0EEENS1_30default_config_static_selectorELNS0_4arch9wavefront6targetE1EEEvSY_, .Lfunc_end392-_ZN7rocprim17ROCPRIM_400000_NS6detail17trampoline_kernelINS0_13select_configILj256ELj13ELNS0_17block_load_methodE3ELS4_3ELS4_3ELNS0_20block_scan_algorithmE0ELj4294967295EEENS1_25partition_config_selectorILNS1_17partition_subalgoE3EjNS0_10empty_typeEbEEZZNS1_14partition_implILS8_3ELb0ES6_jNS0_17counting_iteratorIjlEEPS9_SE_NS0_5tupleIJPjSE_EEENSF_IJSE_SE_EEES9_SG_JZNS1_25segmented_radix_sort_implINS0_14default_configELb0EPKaPaPKlPlN2at6native12_GLOBAL__N_18offset_tEEE10hipError_tPvRmT1_PNSt15iterator_traitsISY_E10value_typeET2_T3_PNSZ_IS14_E10value_typeET4_jRbjT5_S1A_jjP12ihipStream_tbEUljE_EEESV_SW_SX_S14_S18_S1A_T6_T7_T9_mT8_S1C_bDpT10_ENKUlT_T0_E_clISt17integral_constantIbLb0EES1O_IbLb1EEEEDaS1K_S1L_EUlS1K_E_NS1_11comp_targetILNS1_3genE8ELNS1_11target_archE1030ELNS1_3gpuE2ELNS1_3repE0EEENS1_30default_config_static_selectorELNS0_4arch9wavefront6targetE1EEEvSY_
                                        ; -- End function
	.section	.AMDGPU.csdata,"",@progbits
; Kernel info:
; codeLenInByte = 0
; NumSgprs: 4
; NumVgprs: 0
; NumAgprs: 0
; TotalNumVgprs: 0
; ScratchSize: 0
; MemoryBound: 0
; FloatMode: 240
; IeeeMode: 1
; LDSByteSize: 0 bytes/workgroup (compile time only)
; SGPRBlocks: 0
; VGPRBlocks: 0
; NumSGPRsForWavesPerEU: 4
; NumVGPRsForWavesPerEU: 1
; AccumOffset: 4
; Occupancy: 8
; WaveLimiterHint : 0
; COMPUTE_PGM_RSRC2:SCRATCH_EN: 0
; COMPUTE_PGM_RSRC2:USER_SGPR: 6
; COMPUTE_PGM_RSRC2:TRAP_HANDLER: 0
; COMPUTE_PGM_RSRC2:TGID_X_EN: 1
; COMPUTE_PGM_RSRC2:TGID_Y_EN: 0
; COMPUTE_PGM_RSRC2:TGID_Z_EN: 0
; COMPUTE_PGM_RSRC2:TIDIG_COMP_CNT: 0
; COMPUTE_PGM_RSRC3_GFX90A:ACCUM_OFFSET: 0
; COMPUTE_PGM_RSRC3_GFX90A:TG_SPLIT: 0
	.section	.text._ZN7rocprim17ROCPRIM_400000_NS6detail17trampoline_kernelINS0_14default_configENS1_36segmented_radix_sort_config_selectorIalEEZNS1_25segmented_radix_sort_implIS3_Lb0EPKaPaPKlPlN2at6native12_GLOBAL__N_18offset_tEEE10hipError_tPvRmT1_PNSt15iterator_traitsISK_E10value_typeET2_T3_PNSL_ISQ_E10value_typeET4_jRbjT5_SW_jjP12ihipStream_tbEUlT_E_NS1_11comp_targetILNS1_3genE0ELNS1_11target_archE4294967295ELNS1_3gpuE0ELNS1_3repE0EEENS1_30default_config_static_selectorELNS0_4arch9wavefront6targetE1EEEvSK_,"axG",@progbits,_ZN7rocprim17ROCPRIM_400000_NS6detail17trampoline_kernelINS0_14default_configENS1_36segmented_radix_sort_config_selectorIalEEZNS1_25segmented_radix_sort_implIS3_Lb0EPKaPaPKlPlN2at6native12_GLOBAL__N_18offset_tEEE10hipError_tPvRmT1_PNSt15iterator_traitsISK_E10value_typeET2_T3_PNSL_ISQ_E10value_typeET4_jRbjT5_SW_jjP12ihipStream_tbEUlT_E_NS1_11comp_targetILNS1_3genE0ELNS1_11target_archE4294967295ELNS1_3gpuE0ELNS1_3repE0EEENS1_30default_config_static_selectorELNS0_4arch9wavefront6targetE1EEEvSK_,comdat
	.globl	_ZN7rocprim17ROCPRIM_400000_NS6detail17trampoline_kernelINS0_14default_configENS1_36segmented_radix_sort_config_selectorIalEEZNS1_25segmented_radix_sort_implIS3_Lb0EPKaPaPKlPlN2at6native12_GLOBAL__N_18offset_tEEE10hipError_tPvRmT1_PNSt15iterator_traitsISK_E10value_typeET2_T3_PNSL_ISQ_E10value_typeET4_jRbjT5_SW_jjP12ihipStream_tbEUlT_E_NS1_11comp_targetILNS1_3genE0ELNS1_11target_archE4294967295ELNS1_3gpuE0ELNS1_3repE0EEENS1_30default_config_static_selectorELNS0_4arch9wavefront6targetE1EEEvSK_ ; -- Begin function _ZN7rocprim17ROCPRIM_400000_NS6detail17trampoline_kernelINS0_14default_configENS1_36segmented_radix_sort_config_selectorIalEEZNS1_25segmented_radix_sort_implIS3_Lb0EPKaPaPKlPlN2at6native12_GLOBAL__N_18offset_tEEE10hipError_tPvRmT1_PNSt15iterator_traitsISK_E10value_typeET2_T3_PNSL_ISQ_E10value_typeET4_jRbjT5_SW_jjP12ihipStream_tbEUlT_E_NS1_11comp_targetILNS1_3genE0ELNS1_11target_archE4294967295ELNS1_3gpuE0ELNS1_3repE0EEENS1_30default_config_static_selectorELNS0_4arch9wavefront6targetE1EEEvSK_
	.p2align	8
	.type	_ZN7rocprim17ROCPRIM_400000_NS6detail17trampoline_kernelINS0_14default_configENS1_36segmented_radix_sort_config_selectorIalEEZNS1_25segmented_radix_sort_implIS3_Lb0EPKaPaPKlPlN2at6native12_GLOBAL__N_18offset_tEEE10hipError_tPvRmT1_PNSt15iterator_traitsISK_E10value_typeET2_T3_PNSL_ISQ_E10value_typeET4_jRbjT5_SW_jjP12ihipStream_tbEUlT_E_NS1_11comp_targetILNS1_3genE0ELNS1_11target_archE4294967295ELNS1_3gpuE0ELNS1_3repE0EEENS1_30default_config_static_selectorELNS0_4arch9wavefront6targetE1EEEvSK_,@function
_ZN7rocprim17ROCPRIM_400000_NS6detail17trampoline_kernelINS0_14default_configENS1_36segmented_radix_sort_config_selectorIalEEZNS1_25segmented_radix_sort_implIS3_Lb0EPKaPaPKlPlN2at6native12_GLOBAL__N_18offset_tEEE10hipError_tPvRmT1_PNSt15iterator_traitsISK_E10value_typeET2_T3_PNSL_ISQ_E10value_typeET4_jRbjT5_SW_jjP12ihipStream_tbEUlT_E_NS1_11comp_targetILNS1_3genE0ELNS1_11target_archE4294967295ELNS1_3gpuE0ELNS1_3repE0EEENS1_30default_config_static_selectorELNS0_4arch9wavefront6targetE1EEEvSK_: ; @_ZN7rocprim17ROCPRIM_400000_NS6detail17trampoline_kernelINS0_14default_configENS1_36segmented_radix_sort_config_selectorIalEEZNS1_25segmented_radix_sort_implIS3_Lb0EPKaPaPKlPlN2at6native12_GLOBAL__N_18offset_tEEE10hipError_tPvRmT1_PNSt15iterator_traitsISK_E10value_typeET2_T3_PNSL_ISQ_E10value_typeET4_jRbjT5_SW_jjP12ihipStream_tbEUlT_E_NS1_11comp_targetILNS1_3genE0ELNS1_11target_archE4294967295ELNS1_3gpuE0ELNS1_3repE0EEENS1_30default_config_static_selectorELNS0_4arch9wavefront6targetE1EEEvSK_
; %bb.0:
	.section	.rodata,"a",@progbits
	.p2align	6, 0x0
	.amdhsa_kernel _ZN7rocprim17ROCPRIM_400000_NS6detail17trampoline_kernelINS0_14default_configENS1_36segmented_radix_sort_config_selectorIalEEZNS1_25segmented_radix_sort_implIS3_Lb0EPKaPaPKlPlN2at6native12_GLOBAL__N_18offset_tEEE10hipError_tPvRmT1_PNSt15iterator_traitsISK_E10value_typeET2_T3_PNSL_ISQ_E10value_typeET4_jRbjT5_SW_jjP12ihipStream_tbEUlT_E_NS1_11comp_targetILNS1_3genE0ELNS1_11target_archE4294967295ELNS1_3gpuE0ELNS1_3repE0EEENS1_30default_config_static_selectorELNS0_4arch9wavefront6targetE1EEEvSK_
		.amdhsa_group_segment_fixed_size 0
		.amdhsa_private_segment_fixed_size 0
		.amdhsa_kernarg_size 96
		.amdhsa_user_sgpr_count 6
		.amdhsa_user_sgpr_private_segment_buffer 1
		.amdhsa_user_sgpr_dispatch_ptr 0
		.amdhsa_user_sgpr_queue_ptr 0
		.amdhsa_user_sgpr_kernarg_segment_ptr 1
		.amdhsa_user_sgpr_dispatch_id 0
		.amdhsa_user_sgpr_flat_scratch_init 0
		.amdhsa_user_sgpr_kernarg_preload_length 0
		.amdhsa_user_sgpr_kernarg_preload_offset 0
		.amdhsa_user_sgpr_private_segment_size 0
		.amdhsa_uses_dynamic_stack 0
		.amdhsa_system_sgpr_private_segment_wavefront_offset 0
		.amdhsa_system_sgpr_workgroup_id_x 1
		.amdhsa_system_sgpr_workgroup_id_y 0
		.amdhsa_system_sgpr_workgroup_id_z 0
		.amdhsa_system_sgpr_workgroup_info 0
		.amdhsa_system_vgpr_workitem_id 0
		.amdhsa_next_free_vgpr 1
		.amdhsa_next_free_sgpr 0
		.amdhsa_accum_offset 4
		.amdhsa_reserve_vcc 0
		.amdhsa_reserve_flat_scratch 0
		.amdhsa_float_round_mode_32 0
		.amdhsa_float_round_mode_16_64 0
		.amdhsa_float_denorm_mode_32 3
		.amdhsa_float_denorm_mode_16_64 3
		.amdhsa_dx10_clamp 1
		.amdhsa_ieee_mode 1
		.amdhsa_fp16_overflow 0
		.amdhsa_tg_split 0
		.amdhsa_exception_fp_ieee_invalid_op 0
		.amdhsa_exception_fp_denorm_src 0
		.amdhsa_exception_fp_ieee_div_zero 0
		.amdhsa_exception_fp_ieee_overflow 0
		.amdhsa_exception_fp_ieee_underflow 0
		.amdhsa_exception_fp_ieee_inexact 0
		.amdhsa_exception_int_div_zero 0
	.end_amdhsa_kernel
	.section	.text._ZN7rocprim17ROCPRIM_400000_NS6detail17trampoline_kernelINS0_14default_configENS1_36segmented_radix_sort_config_selectorIalEEZNS1_25segmented_radix_sort_implIS3_Lb0EPKaPaPKlPlN2at6native12_GLOBAL__N_18offset_tEEE10hipError_tPvRmT1_PNSt15iterator_traitsISK_E10value_typeET2_T3_PNSL_ISQ_E10value_typeET4_jRbjT5_SW_jjP12ihipStream_tbEUlT_E_NS1_11comp_targetILNS1_3genE0ELNS1_11target_archE4294967295ELNS1_3gpuE0ELNS1_3repE0EEENS1_30default_config_static_selectorELNS0_4arch9wavefront6targetE1EEEvSK_,"axG",@progbits,_ZN7rocprim17ROCPRIM_400000_NS6detail17trampoline_kernelINS0_14default_configENS1_36segmented_radix_sort_config_selectorIalEEZNS1_25segmented_radix_sort_implIS3_Lb0EPKaPaPKlPlN2at6native12_GLOBAL__N_18offset_tEEE10hipError_tPvRmT1_PNSt15iterator_traitsISK_E10value_typeET2_T3_PNSL_ISQ_E10value_typeET4_jRbjT5_SW_jjP12ihipStream_tbEUlT_E_NS1_11comp_targetILNS1_3genE0ELNS1_11target_archE4294967295ELNS1_3gpuE0ELNS1_3repE0EEENS1_30default_config_static_selectorELNS0_4arch9wavefront6targetE1EEEvSK_,comdat
.Lfunc_end393:
	.size	_ZN7rocprim17ROCPRIM_400000_NS6detail17trampoline_kernelINS0_14default_configENS1_36segmented_radix_sort_config_selectorIalEEZNS1_25segmented_radix_sort_implIS3_Lb0EPKaPaPKlPlN2at6native12_GLOBAL__N_18offset_tEEE10hipError_tPvRmT1_PNSt15iterator_traitsISK_E10value_typeET2_T3_PNSL_ISQ_E10value_typeET4_jRbjT5_SW_jjP12ihipStream_tbEUlT_E_NS1_11comp_targetILNS1_3genE0ELNS1_11target_archE4294967295ELNS1_3gpuE0ELNS1_3repE0EEENS1_30default_config_static_selectorELNS0_4arch9wavefront6targetE1EEEvSK_, .Lfunc_end393-_ZN7rocprim17ROCPRIM_400000_NS6detail17trampoline_kernelINS0_14default_configENS1_36segmented_radix_sort_config_selectorIalEEZNS1_25segmented_radix_sort_implIS3_Lb0EPKaPaPKlPlN2at6native12_GLOBAL__N_18offset_tEEE10hipError_tPvRmT1_PNSt15iterator_traitsISK_E10value_typeET2_T3_PNSL_ISQ_E10value_typeET4_jRbjT5_SW_jjP12ihipStream_tbEUlT_E_NS1_11comp_targetILNS1_3genE0ELNS1_11target_archE4294967295ELNS1_3gpuE0ELNS1_3repE0EEENS1_30default_config_static_selectorELNS0_4arch9wavefront6targetE1EEEvSK_
                                        ; -- End function
	.section	.AMDGPU.csdata,"",@progbits
; Kernel info:
; codeLenInByte = 0
; NumSgprs: 4
; NumVgprs: 0
; NumAgprs: 0
; TotalNumVgprs: 0
; ScratchSize: 0
; MemoryBound: 0
; FloatMode: 240
; IeeeMode: 1
; LDSByteSize: 0 bytes/workgroup (compile time only)
; SGPRBlocks: 0
; VGPRBlocks: 0
; NumSGPRsForWavesPerEU: 4
; NumVGPRsForWavesPerEU: 1
; AccumOffset: 4
; Occupancy: 8
; WaveLimiterHint : 0
; COMPUTE_PGM_RSRC2:SCRATCH_EN: 0
; COMPUTE_PGM_RSRC2:USER_SGPR: 6
; COMPUTE_PGM_RSRC2:TRAP_HANDLER: 0
; COMPUTE_PGM_RSRC2:TGID_X_EN: 1
; COMPUTE_PGM_RSRC2:TGID_Y_EN: 0
; COMPUTE_PGM_RSRC2:TGID_Z_EN: 0
; COMPUTE_PGM_RSRC2:TIDIG_COMP_CNT: 0
; COMPUTE_PGM_RSRC3_GFX90A:ACCUM_OFFSET: 0
; COMPUTE_PGM_RSRC3_GFX90A:TG_SPLIT: 0
	.section	.text._ZN7rocprim17ROCPRIM_400000_NS6detail17trampoline_kernelINS0_14default_configENS1_36segmented_radix_sort_config_selectorIalEEZNS1_25segmented_radix_sort_implIS3_Lb0EPKaPaPKlPlN2at6native12_GLOBAL__N_18offset_tEEE10hipError_tPvRmT1_PNSt15iterator_traitsISK_E10value_typeET2_T3_PNSL_ISQ_E10value_typeET4_jRbjT5_SW_jjP12ihipStream_tbEUlT_E_NS1_11comp_targetILNS1_3genE5ELNS1_11target_archE942ELNS1_3gpuE9ELNS1_3repE0EEENS1_30default_config_static_selectorELNS0_4arch9wavefront6targetE1EEEvSK_,"axG",@progbits,_ZN7rocprim17ROCPRIM_400000_NS6detail17trampoline_kernelINS0_14default_configENS1_36segmented_radix_sort_config_selectorIalEEZNS1_25segmented_radix_sort_implIS3_Lb0EPKaPaPKlPlN2at6native12_GLOBAL__N_18offset_tEEE10hipError_tPvRmT1_PNSt15iterator_traitsISK_E10value_typeET2_T3_PNSL_ISQ_E10value_typeET4_jRbjT5_SW_jjP12ihipStream_tbEUlT_E_NS1_11comp_targetILNS1_3genE5ELNS1_11target_archE942ELNS1_3gpuE9ELNS1_3repE0EEENS1_30default_config_static_selectorELNS0_4arch9wavefront6targetE1EEEvSK_,comdat
	.globl	_ZN7rocprim17ROCPRIM_400000_NS6detail17trampoline_kernelINS0_14default_configENS1_36segmented_radix_sort_config_selectorIalEEZNS1_25segmented_radix_sort_implIS3_Lb0EPKaPaPKlPlN2at6native12_GLOBAL__N_18offset_tEEE10hipError_tPvRmT1_PNSt15iterator_traitsISK_E10value_typeET2_T3_PNSL_ISQ_E10value_typeET4_jRbjT5_SW_jjP12ihipStream_tbEUlT_E_NS1_11comp_targetILNS1_3genE5ELNS1_11target_archE942ELNS1_3gpuE9ELNS1_3repE0EEENS1_30default_config_static_selectorELNS0_4arch9wavefront6targetE1EEEvSK_ ; -- Begin function _ZN7rocprim17ROCPRIM_400000_NS6detail17trampoline_kernelINS0_14default_configENS1_36segmented_radix_sort_config_selectorIalEEZNS1_25segmented_radix_sort_implIS3_Lb0EPKaPaPKlPlN2at6native12_GLOBAL__N_18offset_tEEE10hipError_tPvRmT1_PNSt15iterator_traitsISK_E10value_typeET2_T3_PNSL_ISQ_E10value_typeET4_jRbjT5_SW_jjP12ihipStream_tbEUlT_E_NS1_11comp_targetILNS1_3genE5ELNS1_11target_archE942ELNS1_3gpuE9ELNS1_3repE0EEENS1_30default_config_static_selectorELNS0_4arch9wavefront6targetE1EEEvSK_
	.p2align	8
	.type	_ZN7rocprim17ROCPRIM_400000_NS6detail17trampoline_kernelINS0_14default_configENS1_36segmented_radix_sort_config_selectorIalEEZNS1_25segmented_radix_sort_implIS3_Lb0EPKaPaPKlPlN2at6native12_GLOBAL__N_18offset_tEEE10hipError_tPvRmT1_PNSt15iterator_traitsISK_E10value_typeET2_T3_PNSL_ISQ_E10value_typeET4_jRbjT5_SW_jjP12ihipStream_tbEUlT_E_NS1_11comp_targetILNS1_3genE5ELNS1_11target_archE942ELNS1_3gpuE9ELNS1_3repE0EEENS1_30default_config_static_selectorELNS0_4arch9wavefront6targetE1EEEvSK_,@function
_ZN7rocprim17ROCPRIM_400000_NS6detail17trampoline_kernelINS0_14default_configENS1_36segmented_radix_sort_config_selectorIalEEZNS1_25segmented_radix_sort_implIS3_Lb0EPKaPaPKlPlN2at6native12_GLOBAL__N_18offset_tEEE10hipError_tPvRmT1_PNSt15iterator_traitsISK_E10value_typeET2_T3_PNSL_ISQ_E10value_typeET4_jRbjT5_SW_jjP12ihipStream_tbEUlT_E_NS1_11comp_targetILNS1_3genE5ELNS1_11target_archE942ELNS1_3gpuE9ELNS1_3repE0EEENS1_30default_config_static_selectorELNS0_4arch9wavefront6targetE1EEEvSK_: ; @_ZN7rocprim17ROCPRIM_400000_NS6detail17trampoline_kernelINS0_14default_configENS1_36segmented_radix_sort_config_selectorIalEEZNS1_25segmented_radix_sort_implIS3_Lb0EPKaPaPKlPlN2at6native12_GLOBAL__N_18offset_tEEE10hipError_tPvRmT1_PNSt15iterator_traitsISK_E10value_typeET2_T3_PNSL_ISQ_E10value_typeET4_jRbjT5_SW_jjP12ihipStream_tbEUlT_E_NS1_11comp_targetILNS1_3genE5ELNS1_11target_archE942ELNS1_3gpuE9ELNS1_3repE0EEENS1_30default_config_static_selectorELNS0_4arch9wavefront6targetE1EEEvSK_
; %bb.0:
	.section	.rodata,"a",@progbits
	.p2align	6, 0x0
	.amdhsa_kernel _ZN7rocprim17ROCPRIM_400000_NS6detail17trampoline_kernelINS0_14default_configENS1_36segmented_radix_sort_config_selectorIalEEZNS1_25segmented_radix_sort_implIS3_Lb0EPKaPaPKlPlN2at6native12_GLOBAL__N_18offset_tEEE10hipError_tPvRmT1_PNSt15iterator_traitsISK_E10value_typeET2_T3_PNSL_ISQ_E10value_typeET4_jRbjT5_SW_jjP12ihipStream_tbEUlT_E_NS1_11comp_targetILNS1_3genE5ELNS1_11target_archE942ELNS1_3gpuE9ELNS1_3repE0EEENS1_30default_config_static_selectorELNS0_4arch9wavefront6targetE1EEEvSK_
		.amdhsa_group_segment_fixed_size 0
		.amdhsa_private_segment_fixed_size 0
		.amdhsa_kernarg_size 96
		.amdhsa_user_sgpr_count 6
		.amdhsa_user_sgpr_private_segment_buffer 1
		.amdhsa_user_sgpr_dispatch_ptr 0
		.amdhsa_user_sgpr_queue_ptr 0
		.amdhsa_user_sgpr_kernarg_segment_ptr 1
		.amdhsa_user_sgpr_dispatch_id 0
		.amdhsa_user_sgpr_flat_scratch_init 0
		.amdhsa_user_sgpr_kernarg_preload_length 0
		.amdhsa_user_sgpr_kernarg_preload_offset 0
		.amdhsa_user_sgpr_private_segment_size 0
		.amdhsa_uses_dynamic_stack 0
		.amdhsa_system_sgpr_private_segment_wavefront_offset 0
		.amdhsa_system_sgpr_workgroup_id_x 1
		.amdhsa_system_sgpr_workgroup_id_y 0
		.amdhsa_system_sgpr_workgroup_id_z 0
		.amdhsa_system_sgpr_workgroup_info 0
		.amdhsa_system_vgpr_workitem_id 0
		.amdhsa_next_free_vgpr 1
		.amdhsa_next_free_sgpr 0
		.amdhsa_accum_offset 4
		.amdhsa_reserve_vcc 0
		.amdhsa_reserve_flat_scratch 0
		.amdhsa_float_round_mode_32 0
		.amdhsa_float_round_mode_16_64 0
		.amdhsa_float_denorm_mode_32 3
		.amdhsa_float_denorm_mode_16_64 3
		.amdhsa_dx10_clamp 1
		.amdhsa_ieee_mode 1
		.amdhsa_fp16_overflow 0
		.amdhsa_tg_split 0
		.amdhsa_exception_fp_ieee_invalid_op 0
		.amdhsa_exception_fp_denorm_src 0
		.amdhsa_exception_fp_ieee_div_zero 0
		.amdhsa_exception_fp_ieee_overflow 0
		.amdhsa_exception_fp_ieee_underflow 0
		.amdhsa_exception_fp_ieee_inexact 0
		.amdhsa_exception_int_div_zero 0
	.end_amdhsa_kernel
	.section	.text._ZN7rocprim17ROCPRIM_400000_NS6detail17trampoline_kernelINS0_14default_configENS1_36segmented_radix_sort_config_selectorIalEEZNS1_25segmented_radix_sort_implIS3_Lb0EPKaPaPKlPlN2at6native12_GLOBAL__N_18offset_tEEE10hipError_tPvRmT1_PNSt15iterator_traitsISK_E10value_typeET2_T3_PNSL_ISQ_E10value_typeET4_jRbjT5_SW_jjP12ihipStream_tbEUlT_E_NS1_11comp_targetILNS1_3genE5ELNS1_11target_archE942ELNS1_3gpuE9ELNS1_3repE0EEENS1_30default_config_static_selectorELNS0_4arch9wavefront6targetE1EEEvSK_,"axG",@progbits,_ZN7rocprim17ROCPRIM_400000_NS6detail17trampoline_kernelINS0_14default_configENS1_36segmented_radix_sort_config_selectorIalEEZNS1_25segmented_radix_sort_implIS3_Lb0EPKaPaPKlPlN2at6native12_GLOBAL__N_18offset_tEEE10hipError_tPvRmT1_PNSt15iterator_traitsISK_E10value_typeET2_T3_PNSL_ISQ_E10value_typeET4_jRbjT5_SW_jjP12ihipStream_tbEUlT_E_NS1_11comp_targetILNS1_3genE5ELNS1_11target_archE942ELNS1_3gpuE9ELNS1_3repE0EEENS1_30default_config_static_selectorELNS0_4arch9wavefront6targetE1EEEvSK_,comdat
.Lfunc_end394:
	.size	_ZN7rocprim17ROCPRIM_400000_NS6detail17trampoline_kernelINS0_14default_configENS1_36segmented_radix_sort_config_selectorIalEEZNS1_25segmented_radix_sort_implIS3_Lb0EPKaPaPKlPlN2at6native12_GLOBAL__N_18offset_tEEE10hipError_tPvRmT1_PNSt15iterator_traitsISK_E10value_typeET2_T3_PNSL_ISQ_E10value_typeET4_jRbjT5_SW_jjP12ihipStream_tbEUlT_E_NS1_11comp_targetILNS1_3genE5ELNS1_11target_archE942ELNS1_3gpuE9ELNS1_3repE0EEENS1_30default_config_static_selectorELNS0_4arch9wavefront6targetE1EEEvSK_, .Lfunc_end394-_ZN7rocprim17ROCPRIM_400000_NS6detail17trampoline_kernelINS0_14default_configENS1_36segmented_radix_sort_config_selectorIalEEZNS1_25segmented_radix_sort_implIS3_Lb0EPKaPaPKlPlN2at6native12_GLOBAL__N_18offset_tEEE10hipError_tPvRmT1_PNSt15iterator_traitsISK_E10value_typeET2_T3_PNSL_ISQ_E10value_typeET4_jRbjT5_SW_jjP12ihipStream_tbEUlT_E_NS1_11comp_targetILNS1_3genE5ELNS1_11target_archE942ELNS1_3gpuE9ELNS1_3repE0EEENS1_30default_config_static_selectorELNS0_4arch9wavefront6targetE1EEEvSK_
                                        ; -- End function
	.section	.AMDGPU.csdata,"",@progbits
; Kernel info:
; codeLenInByte = 0
; NumSgprs: 4
; NumVgprs: 0
; NumAgprs: 0
; TotalNumVgprs: 0
; ScratchSize: 0
; MemoryBound: 0
; FloatMode: 240
; IeeeMode: 1
; LDSByteSize: 0 bytes/workgroup (compile time only)
; SGPRBlocks: 0
; VGPRBlocks: 0
; NumSGPRsForWavesPerEU: 4
; NumVGPRsForWavesPerEU: 1
; AccumOffset: 4
; Occupancy: 8
; WaveLimiterHint : 0
; COMPUTE_PGM_RSRC2:SCRATCH_EN: 0
; COMPUTE_PGM_RSRC2:USER_SGPR: 6
; COMPUTE_PGM_RSRC2:TRAP_HANDLER: 0
; COMPUTE_PGM_RSRC2:TGID_X_EN: 1
; COMPUTE_PGM_RSRC2:TGID_Y_EN: 0
; COMPUTE_PGM_RSRC2:TGID_Z_EN: 0
; COMPUTE_PGM_RSRC2:TIDIG_COMP_CNT: 0
; COMPUTE_PGM_RSRC3_GFX90A:ACCUM_OFFSET: 0
; COMPUTE_PGM_RSRC3_GFX90A:TG_SPLIT: 0
	.text
	.p2align	2                               ; -- Begin function _ZN7rocprim17ROCPRIM_400000_NS6detail40segmented_radix_sort_single_block_helperIalLj256ELj8ELb0EE4sortIPKaPaPKlPlEEbT_T0_T1_T2_jjjjRNS3_12storage_typeE
	.type	_ZN7rocprim17ROCPRIM_400000_NS6detail40segmented_radix_sort_single_block_helperIalLj256ELj8ELb0EE4sortIPKaPaPKlPlEEbT_T0_T1_T2_jjjjRNS3_12storage_typeE,@function
_ZN7rocprim17ROCPRIM_400000_NS6detail40segmented_radix_sort_single_block_helperIalLj256ELj8ELb0EE4sortIPKaPaPKlPlEEbT_T0_T1_T2_jjjjRNS3_12storage_typeE: ; @_ZN7rocprim17ROCPRIM_400000_NS6detail40segmented_radix_sort_single_block_helperIalLj256ELj8ELb0EE4sortIPKaPaPKlPlEEbT_T0_T1_T2_jjjjRNS3_12storage_typeE
; %bb.0:
	s_waitcnt vmcnt(0) expcnt(0) lgkmcnt(0)
	s_or_saveexec_b64 s[4:5], -1
	buffer_store_dword v40, off, s[0:3], s32 ; 4-byte Folded Spill
	s_mov_b64 exec, s[4:5]
	v_writelane_b32 v40, s34, 0
	v_writelane_b32 v40, s35, 1
	;; [unrolled: 1-line block ×15, first 2 shown]
	v_sub_u32_e32 v103, v9, v8
	s_movk_i32 s4, 0x801
	v_cmp_gt_u32_e32 vcc, s4, v103
	s_and_saveexec_b64 s[38:39], vcc
	s_cbranch_execz .LBB395_199
; %bb.1:
	s_movk_i32 s4, 0x400
	v_cmp_lt_u32_e32 vcc, s4, v103
	v_bfe_u32 v18, v31, 10, 10
	v_bfe_u32 v19, v31, 20, 10
	v_mbcnt_lo_u32_b32 v14, -1, 0
	s_and_saveexec_b64 s[4:5], vcc
	s_xor_b64 s[40:41], exec, s[4:5]
	s_cbranch_execz .LBB395_79
; %bb.2:
	s_load_dwordx2 s[4:5], s[8:9], 0x0
	v_mov_b32_e32 v9, 0
	v_add_co_u32_e32 v0, vcc, v0, v8
	v_mbcnt_hi_u32_b32 v17, -1, v14
	s_waitcnt lgkmcnt(0)
	s_cmp_lt_u32 s12, s4
	s_cselect_b32 s6, 12, 18
	s_cmp_lt_u32 s13, s5
	s_cselect_b32 s4, 14, 20
	s_add_u32 s4, s8, s4
	s_addc_u32 s5, s9, 0
	s_add_u32 s6, s8, s6
	global_load_ushort v22, v9, s[4:5]
	s_addc_u32 s7, s9, 0
	global_load_ushort v23, v9, s[6:7]
	v_addc_co_u32_e32 v1, vcc, 0, v1, vcc
	v_and_b32_e32 v16, 63, v17
	v_and_b32_e32 v20, 0x3ff, v31
	v_mov_b32_e32 v21, 0x7f
	v_add_co_u32_e32 v30, vcc, v0, v16
	v_addc_co_u32_e32 v31, vcc, 0, v1, vcc
	v_mov_b32_e32 v24, 0x7f
	v_mov_b32_e32 v25, 0x7f
	;; [unrolled: 1-line block ×7, first 2 shown]
	s_waitcnt vmcnt(1)
	v_mad_u32_u24 v0, v19, v22, v18
	s_waitcnt vmcnt(0)
	v_mad_u64_u32 v[0:1], s[4:5], v0, v23, v[20:21]
	v_lshlrev_b32_e32 v1, 3, v0
	v_and_b32_e32 v14, 0xfffffe00, v1
	v_add_co_u32_e32 v18, vcc, v30, v14
	v_addc_co_u32_e32 v19, vcc, 0, v31, vcc
	v_or_b32_e32 v22, v14, v16
	v_cmp_lt_u32_e32 vcc, v22, v103
	v_mov_b32_e32 v1, 0x7f
	s_and_saveexec_b64 s[4:5], vcc
	s_cbranch_execz .LBB395_4
; %bb.3:
	flat_load_ubyte v21, v[18:19]
	v_mov_b32_e32 v25, 0x7f
	v_mov_b32_e32 v26, 0x7f
	;; [unrolled: 1-line block ×7, first 2 shown]
.LBB395_4:
	s_or_b64 exec, exec, s[4:5]
	v_or_b32_e32 v23, 64, v22
	v_cmp_lt_u32_e64 s[4:5], v23, v103
	s_and_saveexec_b64 s[6:7], s[4:5]
	s_cbranch_execz .LBB395_6
; %bb.5:
	flat_load_ubyte v25, v[18:19] offset:64
.LBB395_6:
	s_or_b64 exec, exec, s[6:7]
	v_or_b32_e32 v23, 0x80, v22
	v_cmp_lt_u32_e64 s[6:7], v23, v103
	s_and_saveexec_b64 s[10:11], s[6:7]
	s_cbranch_execz .LBB395_8
; %bb.7:
	flat_load_ubyte v26, v[18:19] offset:128
.LBB395_8:
	;; [unrolled: 8-line block ×7, first 2 shown]
	s_or_b64 exec, exec, s[22:23]
	v_lshlrev_b64 v[22:23], 3, v[8:9]
	v_add_co_u32_e64 v4, s[22:23], v4, v22
	v_addc_co_u32_e64 v5, s[22:23], v5, v23, s[22:23]
	v_lshlrev_b32_e32 v9, 3, v16
	v_add_co_u32_e64 v9, s[22:23], v4, v9
	v_addc_co_u32_e64 v18, s[22:23], 0, v5, s[22:23]
	v_lshlrev_b64 v[4:5], 3, v[14:15]
	v_add_co_u32_e64 v4, s[22:23], v9, v4
	v_addc_co_u32_e64 v5, s[22:23], v18, v5, s[22:23]
                                        ; implicit-def: $vgpr18_vgpr19
	s_and_saveexec_b64 s[22:23], vcc
	s_cbranch_execnz .LBB395_112
; %bb.19:
	s_or_b64 exec, exec, s[22:23]
                                        ; implicit-def: $vgpr70_vgpr71
	s_and_saveexec_b64 s[22:23], s[4:5]
	s_cbranch_execnz .LBB395_113
.LBB395_20:
	s_or_b64 exec, exec, s[22:23]
                                        ; implicit-def: $vgpr80_vgpr81
	s_and_saveexec_b64 s[4:5], s[6:7]
	s_cbranch_execnz .LBB395_114
.LBB395_21:
	s_or_b64 exec, exec, s[4:5]
                                        ; implicit-def: $vgpr82_vgpr83
	s_and_saveexec_b64 s[4:5], s[10:11]
	s_cbranch_execnz .LBB395_115
.LBB395_22:
	s_or_b64 exec, exec, s[4:5]
                                        ; implicit-def: $vgpr84_vgpr85
	s_and_saveexec_b64 s[4:5], s[20:21]
	s_cbranch_execnz .LBB395_116
.LBB395_23:
	s_or_b64 exec, exec, s[4:5]
                                        ; implicit-def: $vgpr100_vgpr101
	s_and_saveexec_b64 s[4:5], s[14:15]
	s_cbranch_execnz .LBB395_117
.LBB395_24:
	s_or_b64 exec, exec, s[4:5]
                                        ; implicit-def: $vgpr118_vgpr119
	s_and_saveexec_b64 s[4:5], s[16:17]
	s_cbranch_execnz .LBB395_118
.LBB395_25:
	s_or_b64 exec, exec, s[4:5]
                                        ; implicit-def: $vgpr146_vgpr147
	s_and_saveexec_b64 s[4:5], s[18:19]
	s_cbranch_execz .LBB395_27
.LBB395_26:
	flat_load_dwordx2 v[146:147], v[4:5] offset:3584
.LBB395_27:
	s_or_b64 exec, exec, s[4:5]
	s_waitcnt vmcnt(0) lgkmcnt(0)
	v_xor_b32_e32 v37, 0x80, v1
	v_add_co_u32_e32 v1, vcc, 16, v12
	v_addc_co_u32_e32 v9, vcc, 0, v13, vcc
	v_lshlrev_b32_e32 v4, 4, v20
	s_movk_i32 s4, 0x80
	v_add_co_u32_e32 v4, vcc, v12, v4
	v_xor_b32_sdwa v30, v25, s4 dst_sel:BYTE_1 dst_unused:UNUSED_PAD src0_sel:DWORD src1_sel:DWORD
	v_xor_b32_sdwa v34, v27, s4 dst_sel:BYTE_1 dst_unused:UNUSED_PAD src0_sel:DWORD src1_sel:DWORD
	;; [unrolled: 1-line block ×4, first 2 shown]
	s_getpc_b64 s[4:5]
	s_add_u32 s4, s4, _ZN7rocprim17ROCPRIM_400000_NS16block_radix_sortIaLj256ELj8ElLj1ELj1ELj8ELNS0_26block_radix_rank_algorithmE2ELNS0_18block_padding_hintE2ELNS0_4arch9wavefront6targetE1EE19radix_bits_per_passE@rel32@lo+4
	s_addc_u32 s5, s5, _ZN7rocprim17ROCPRIM_400000_NS16block_radix_sortIaLj256ELj8ElLj1ELj1ELj8ELNS0_26block_radix_rank_algorithmE2ELNS0_18block_padding_hintE2ELNS0_4arch9wavefront6targetE1EE19radix_bits_per_passE@rel32@hi+12
	v_addc_co_u32_e32 v5, vcc, 0, v13, vcc
	v_and_b32_e32 v24, 15, v17
	s_load_dword s46, s[4:5], 0x0
	v_cmp_eq_u32_e32 vcc, 0, v24
	v_cmp_lt_u32_e64 s[4:5], 1, v24
	v_cmp_lt_u32_e64 s[6:7], 3, v24
	;; [unrolled: 1-line block ×3, first 2 shown]
	v_and_b32_e32 v24, 16, v17
	v_cmp_eq_u32_e64 s[30:31], 0, v24
	v_and_b32_e32 v24, 0x3c0, v20
	v_min_u32_e32 v24, 0xc0, v24
	v_or_b32_e32 v24, 63, v24
	v_cmp_eq_u32_e64 s[16:17], v24, v20
	v_add_u32_e32 v24, -1, v17
	v_and_b32_e32 v25, 64, v17
	v_cmp_lt_i32_e64 s[22:23], v24, v25
	v_xor_b32_e32 v35, 0x80, v28
	v_lshrrev_b32_e32 v28, 6, v20
	v_cndmask_b32_e64 v24, v24, v17, s[22:23]
	v_mov_b32_e32 v14, 0
	v_lshlrev_b32_e32 v113, 2, v24
	v_lshlrev_b32_e32 v24, 2, v28
	v_add_co_u32_e64 v24, s[26:27], v12, v24
	v_add_u32_e32 v28, -1, v28
	v_mov_b32_e32 v29, v14
	v_xor_b32_e32 v31, 0x80, v26
	v_lshlrev_b32_e32 v26, 2, v20
	v_addc_co_u32_e64 v25, s[26:27], 0, v13, s[26:27]
	v_lshlrev_b64 v[28:29], 2, v[28:29]
	v_add_co_u32_e64 v26, s[26:27], v12, v26
	v_add_co_u32_e64 v32, s[34:35], v12, v28
	v_cmp_lt_u32_e64 s[14:15], 31, v17
	v_cmp_eq_u32_e64 s[22:23], 0, v17
	v_addc_co_u32_e64 v27, s[26:27], 0, v13, s[26:27]
	v_and_b32_e32 v17, 3, v17
	v_addc_co_u32_e64 v33, s[34:35], v13, v29, s[34:35]
	v_cmp_eq_u32_e64 s[26:27], 0, v17
	v_cmp_lt_u32_e64 s[28:29], 1, v17
	v_lshlrev_b32_e32 v17, 3, v20
	s_movk_i32 s34, 0x1e00
	v_and_or_b32 v16, v17, s34, v16
	v_add_co_u32_e64 v54, s[34:35], v12, v16
	v_xor_b32_e32 v15, 0x80, v21
	v_addc_co_u32_e64 v55, s[34:35], 0, v13, s[34:35]
	v_mad_u64_u32 v[64:65], s[34:35], v16, 7, v[54:55]
	v_or_b32_sdwa v15, v15, v30 dst_sel:DWORD dst_unused:UNUSED_PAD src0_sel:BYTE_0 src1_sel:DWORD
	v_or_b32_sdwa v16, v31, v34 dst_sel:WORD_1 dst_unused:UNUSED_PAD src0_sel:BYTE_0 src1_sel:DWORD
	v_or_b32_sdwa v66, v15, v16 dst_sel:DWORD dst_unused:UNUSED_PAD src0_sel:WORD_0 src1_sel:DWORD
	v_or_b32_sdwa v15, v35, v36 dst_sel:DWORD dst_unused:UNUSED_PAD src0_sel:BYTE_0 src1_sel:DWORD
	v_or_b32_sdwa v16, v37, v38 dst_sel:WORD_1 dst_unused:UNUSED_PAD src0_sel:BYTE_0 src1_sel:DWORD
	v_lshrrev_b32_e32 v21, 6, v0
	v_cmp_gt_u32_e64 s[18:19], 4, v20
	v_cmp_lt_u32_e64 s[20:21], 63, v20
	v_cmp_eq_u32_e64 s[24:25], 0, v20
	v_or_b32_sdwa v67, v15, v16 dst_sel:DWORD dst_unused:UNUSED_PAD src0_sel:WORD_0 src1_sel:DWORD
	v_sub_u32_e32 v115, v11, v10
	s_mov_b64 s[42:43], 0
	s_waitcnt lgkmcnt(0)
	s_barrier
	s_branch .LBB395_29
.LBB395_28:                             ;   in Loop: Header=BB395_29 Depth=1
	s_or_b64 exec, exec, s[36:37]
	s_and_b64 s[34:35], exec, s[44:45]
	s_or_b64 s[42:43], s[34:35], s[42:43]
	s_andn2_b64 exec, exec, s[42:43]
	s_cbranch_execz .LBB395_53
.LBB395_29:                             ; =>This Inner Loop Header: Depth=1
	v_pk_mov_b32 v[52:53], v[18:19], v[18:19] op_sel:[0,1]
	v_min_u32_e32 v18, s46, v115
	v_mov_b32_e32 v15, v14
	v_mov_b32_e32 v16, v14
	;; [unrolled: 1-line block ×3, first 2 shown]
	flat_store_dwordx4 v[4:5], v[14:17] offset:16
	v_pk_mov_b32 v[50:51], v[70:71], v[70:71] op_sel:[0,1]
	v_lshlrev_b32_e64 v15, v18, -1
	v_not_b32_e32 v18, v15
	v_lshrrev_b32_sdwa v15, v10, v66 dst_sel:DWORD dst_unused:UNUSED_PAD src0_sel:DWORD src1_sel:BYTE_0
	v_and_b32_e32 v16, v15, v18
	v_lshlrev_b32_e32 v15, 2, v16
	v_add_lshl_u32 v15, v15, v21, 2
	v_add_co_u32_e64 v70, s[34:35], v1, v15
	v_addc_co_u32_e64 v71, s[34:35], 0, v9, s[34:35]
	v_and_b32_e32 v15, 1, v16
	v_add_co_u32_e64 v17, s[34:35], -1, v15
	v_addc_co_u32_e64 v19, s[34:35], 0, -1, s[34:35]
	v_cmp_ne_u32_e64 s[34:35], 0, v15
	v_xor_b32_e32 v15, s35, v19
	v_and_b32_e32 v19, exec_hi, v15
	v_lshlrev_b32_e32 v15, 30, v16
	v_xor_b32_e32 v17, s34, v17
	v_cmp_gt_i64_e64 s[34:35], 0, v[14:15]
	v_not_b32_e32 v15, v15
	v_ashrrev_i32_e32 v15, 31, v15
	v_and_b32_e32 v17, exec_lo, v17
	v_xor_b32_e32 v68, s35, v15
	v_xor_b32_e32 v15, s34, v15
	v_and_b32_e32 v17, v17, v15
	v_lshlrev_b32_e32 v15, 29, v16
	v_cmp_gt_i64_e64 s[34:35], 0, v[14:15]
	v_not_b32_e32 v15, v15
	v_ashrrev_i32_e32 v15, 31, v15
	v_and_b32_e32 v19, v19, v68
	v_xor_b32_e32 v68, s35, v15
	v_xor_b32_e32 v15, s34, v15
	v_and_b32_e32 v17, v17, v15
	v_lshlrev_b32_e32 v15, 28, v16
	v_cmp_gt_i64_e64 s[34:35], 0, v[14:15]
	v_not_b32_e32 v15, v15
	v_ashrrev_i32_e32 v15, 31, v15
	v_and_b32_e32 v19, v19, v68
	v_xor_b32_e32 v68, s35, v15
	v_xor_b32_e32 v15, s34, v15
	v_and_b32_e32 v17, v17, v15
	v_lshlrev_b32_e32 v15, 27, v16
	v_cmp_gt_i64_e64 s[34:35], 0, v[14:15]
	v_not_b32_e32 v15, v15
	v_ashrrev_i32_e32 v15, 31, v15
	v_and_b32_e32 v19, v19, v68
	v_xor_b32_e32 v68, s35, v15
	v_xor_b32_e32 v15, s34, v15
	v_and_b32_e32 v17, v17, v15
	v_lshlrev_b32_e32 v15, 26, v16
	v_cmp_gt_i64_e64 s[34:35], 0, v[14:15]
	v_not_b32_e32 v15, v15
	v_ashrrev_i32_e32 v15, 31, v15
	v_and_b32_e32 v19, v19, v68
	v_xor_b32_e32 v68, s35, v15
	v_xor_b32_e32 v15, s34, v15
	v_and_b32_e32 v17, v17, v15
	v_lshlrev_b32_e32 v15, 25, v16
	v_cmp_gt_i64_e64 s[34:35], 0, v[14:15]
	v_not_b32_e32 v15, v15
	v_ashrrev_i32_e32 v15, 31, v15
	v_and_b32_e32 v19, v19, v68
	v_xor_b32_e32 v68, s35, v15
	v_xor_b32_e32 v15, s34, v15
	v_and_b32_e32 v19, v19, v68
	v_and_b32_e32 v68, v17, v15
	v_lshlrev_b32_e32 v15, 24, v16
	v_cmp_gt_i64_e64 s[34:35], 0, v[14:15]
	v_not_b32_e32 v15, v15
	v_ashrrev_i32_e32 v15, 31, v15
	v_xor_b32_e32 v16, s35, v15
	v_xor_b32_e32 v15, s34, v15
	v_and_b32_e32 v17, v19, v16
	v_and_b32_e32 v16, v68, v15
	v_mbcnt_lo_u32_b32 v15, v16, 0
	v_mbcnt_hi_u32_b32 v102, v17, v15
	v_cmp_eq_u32_e64 s[34:35], 0, v102
	v_cmp_ne_u64_e64 s[36:37], 0, v[16:17]
	v_pk_mov_b32 v[48:49], v[80:81], v[80:81] op_sel:[0,1]
	v_pk_mov_b32 v[38:39], v[82:83], v[82:83] op_sel:[0,1]
	;; [unrolled: 1-line block ×6, first 2 shown]
	s_and_b64 s[36:37], s[36:37], s[34:35]
	s_waitcnt lgkmcnt(0)
	s_barrier
	s_waitcnt lgkmcnt(0)
	; wave barrier
	s_and_saveexec_b64 s[34:35], s[36:37]
	s_cbranch_execz .LBB395_31
; %bb.30:                               ;   in Loop: Header=BB395_29 Depth=1
	v_bcnt_u32_b32 v15, v16, 0
	v_bcnt_u32_b32 v15, v17, v15
	flat_store_dword v[70:71], v15
.LBB395_31:                             ;   in Loop: Header=BB395_29 Depth=1
	s_or_b64 exec, exec, s[34:35]
	v_lshrrev_b32_sdwa v15, v10, v66 dst_sel:DWORD dst_unused:UNUSED_PAD src0_sel:DWORD src1_sel:BYTE_1
	v_and_b32_e32 v16, v15, v18
	v_lshlrev_b32_e32 v15, 2, v16
	v_add_lshl_u32 v15, v15, v21, 2
	v_add_co_u32_e64 v80, s[34:35], v1, v15
	v_addc_co_u32_e64 v81, s[34:35], 0, v9, s[34:35]
	; wave barrier
	flat_load_dword v112, v[80:81]
	v_and_b32_e32 v15, 1, v16
	v_add_co_u32_e64 v17, s[34:35], -1, v15
	v_addc_co_u32_e64 v19, s[34:35], 0, -1, s[34:35]
	v_cmp_ne_u32_e64 s[34:35], 0, v15
	v_xor_b32_e32 v15, s35, v19
	v_and_b32_e32 v19, exec_hi, v15
	v_lshlrev_b32_e32 v15, 30, v16
	v_xor_b32_e32 v17, s34, v17
	v_cmp_gt_i64_e64 s[34:35], 0, v[14:15]
	v_not_b32_e32 v15, v15
	v_pk_mov_b32 v[68:69], v[66:67], v[66:67] op_sel:[0,1]
	v_ashrrev_i32_e32 v15, 31, v15
	v_and_b32_e32 v17, exec_lo, v17
	v_xor_b32_e32 v68, s35, v15
	v_xor_b32_e32 v15, s34, v15
	v_and_b32_e32 v17, v17, v15
	v_lshlrev_b32_e32 v15, 29, v16
	v_cmp_gt_i64_e64 s[34:35], 0, v[14:15]
	v_not_b32_e32 v15, v15
	v_ashrrev_i32_e32 v15, 31, v15
	v_and_b32_e32 v19, v19, v68
	v_xor_b32_e32 v68, s35, v15
	v_xor_b32_e32 v15, s34, v15
	v_and_b32_e32 v17, v17, v15
	v_lshlrev_b32_e32 v15, 28, v16
	v_cmp_gt_i64_e64 s[34:35], 0, v[14:15]
	v_not_b32_e32 v15, v15
	v_ashrrev_i32_e32 v15, 31, v15
	v_and_b32_e32 v19, v19, v68
	v_xor_b32_e32 v68, s35, v15
	v_xor_b32_e32 v15, s34, v15
	v_and_b32_e32 v17, v17, v15
	v_lshlrev_b32_e32 v15, 27, v16
	v_cmp_gt_i64_e64 s[34:35], 0, v[14:15]
	v_not_b32_e32 v15, v15
	v_ashrrev_i32_e32 v15, 31, v15
	v_and_b32_e32 v19, v19, v68
	v_xor_b32_e32 v68, s35, v15
	v_xor_b32_e32 v15, s34, v15
	v_and_b32_e32 v17, v17, v15
	v_lshlrev_b32_e32 v15, 26, v16
	v_cmp_gt_i64_e64 s[34:35], 0, v[14:15]
	v_not_b32_e32 v15, v15
	v_ashrrev_i32_e32 v15, 31, v15
	v_and_b32_e32 v19, v19, v68
	v_xor_b32_e32 v68, s35, v15
	v_xor_b32_e32 v15, s34, v15
	v_and_b32_e32 v17, v17, v15
	v_lshlrev_b32_e32 v15, 25, v16
	v_cmp_gt_i64_e64 s[34:35], 0, v[14:15]
	v_not_b32_e32 v15, v15
	v_ashrrev_i32_e32 v15, 31, v15
	v_and_b32_e32 v19, v19, v68
	v_xor_b32_e32 v68, s35, v15
	v_xor_b32_e32 v15, s34, v15
	v_and_b32_e32 v19, v19, v68
	v_and_b32_e32 v68, v17, v15
	v_lshlrev_b32_e32 v15, 24, v16
	v_cmp_gt_i64_e64 s[34:35], 0, v[14:15]
	v_not_b32_e32 v15, v15
	v_ashrrev_i32_e32 v15, 31, v15
	v_xor_b32_e32 v16, s35, v15
	v_xor_b32_e32 v15, s34, v15
	v_and_b32_e32 v17, v19, v16
	v_and_b32_e32 v16, v68, v15
	v_mbcnt_lo_u32_b32 v15, v16, 0
	v_mbcnt_hi_u32_b32 v68, v17, v15
	v_cmp_eq_u32_e64 s[34:35], 0, v68
	v_cmp_ne_u64_e64 s[36:37], 0, v[16:17]
	s_and_b64 s[36:37], s[36:37], s[34:35]
	; wave barrier
	s_and_saveexec_b64 s[34:35], s[36:37]
	s_cbranch_execz .LBB395_33
; %bb.32:                               ;   in Loop: Header=BB395_29 Depth=1
	v_bcnt_u32_b32 v15, v16, 0
	v_bcnt_u32_b32 v15, v17, v15
	s_waitcnt vmcnt(0) lgkmcnt(0)
	v_add_u32_e32 v15, v112, v15
	flat_store_dword v[80:81], v15
.LBB395_33:                             ;   in Loop: Header=BB395_29 Depth=1
	s_or_b64 exec, exec, s[34:35]
	v_lshrrev_b32_sdwa v15, v10, v66 dst_sel:DWORD dst_unused:UNUSED_PAD src0_sel:DWORD src1_sel:BYTE_2
	v_and_b32_e32 v16, v15, v18
	v_lshlrev_b32_e32 v15, 2, v16
	v_add_lshl_u32 v15, v15, v21, 2
	v_add_co_u32_e64 v82, s[34:35], v1, v15
	v_addc_co_u32_e64 v83, s[34:35], 0, v9, s[34:35]
	; wave barrier
	flat_load_dword v116, v[82:83]
	v_and_b32_e32 v15, 1, v16
	v_add_co_u32_e64 v17, s[34:35], -1, v15
	v_addc_co_u32_e64 v19, s[34:35], 0, -1, s[34:35]
	v_cmp_ne_u32_e64 s[34:35], 0, v15
	v_xor_b32_e32 v15, s35, v19
	v_and_b32_e32 v19, exec_hi, v15
	v_lshlrev_b32_e32 v15, 30, v16
	v_xor_b32_e32 v17, s34, v17
	v_cmp_gt_i64_e64 s[34:35], 0, v[14:15]
	v_not_b32_e32 v15, v15
	v_ashrrev_i32_e32 v15, 31, v15
	v_and_b32_e32 v17, exec_lo, v17
	v_xor_b32_e32 v84, s35, v15
	v_xor_b32_e32 v15, s34, v15
	v_and_b32_e32 v17, v17, v15
	v_lshlrev_b32_e32 v15, 29, v16
	v_cmp_gt_i64_e64 s[34:35], 0, v[14:15]
	v_not_b32_e32 v15, v15
	v_ashrrev_i32_e32 v15, 31, v15
	v_and_b32_e32 v19, v19, v84
	v_xor_b32_e32 v84, s35, v15
	v_xor_b32_e32 v15, s34, v15
	v_and_b32_e32 v17, v17, v15
	v_lshlrev_b32_e32 v15, 28, v16
	v_cmp_gt_i64_e64 s[34:35], 0, v[14:15]
	v_not_b32_e32 v15, v15
	v_ashrrev_i32_e32 v15, 31, v15
	v_and_b32_e32 v19, v19, v84
	;; [unrolled: 8-line block ×5, first 2 shown]
	v_xor_b32_e32 v84, s35, v15
	v_xor_b32_e32 v15, s34, v15
	v_and_b32_e32 v19, v19, v84
	v_and_b32_e32 v84, v17, v15
	v_lshlrev_b32_e32 v15, 24, v16
	v_cmp_gt_i64_e64 s[34:35], 0, v[14:15]
	v_not_b32_e32 v15, v15
	v_ashrrev_i32_e32 v15, 31, v15
	v_xor_b32_e32 v16, s35, v15
	v_xor_b32_e32 v15, s34, v15
	v_and_b32_e32 v17, v19, v16
	v_and_b32_e32 v16, v84, v15
	v_mbcnt_lo_u32_b32 v15, v16, 0
	v_mbcnt_hi_u32_b32 v117, v17, v15
	v_cmp_eq_u32_e64 s[34:35], 0, v117
	v_cmp_ne_u64_e64 s[36:37], 0, v[16:17]
	s_and_b64 s[36:37], s[36:37], s[34:35]
	; wave barrier
	s_and_saveexec_b64 s[34:35], s[36:37]
	s_cbranch_execz .LBB395_35
; %bb.34:                               ;   in Loop: Header=BB395_29 Depth=1
	v_bcnt_u32_b32 v15, v16, 0
	v_bcnt_u32_b32 v15, v17, v15
	s_waitcnt vmcnt(0) lgkmcnt(0)
	v_add_u32_e32 v15, v116, v15
	flat_store_dword v[82:83], v15
.LBB395_35:                             ;   in Loop: Header=BB395_29 Depth=1
	s_or_b64 exec, exec, s[34:35]
	v_alignbit_b32 v15, v67, v66, 24
	v_lshrrev_b32_sdwa v15, v10, v15 dst_sel:DWORD dst_unused:UNUSED_PAD src0_sel:DWORD src1_sel:BYTE_0
	v_and_b32_e32 v16, v15, v18
	v_lshlrev_b32_e32 v15, 2, v16
	v_add_lshl_u32 v15, v15, v21, 2
	v_add_co_u32_e64 v84, s[34:35], v1, v15
	v_addc_co_u32_e64 v85, s[34:35], 0, v9, s[34:35]
	; wave barrier
	flat_load_dword v118, v[84:85]
	v_and_b32_e32 v15, 1, v16
	v_add_co_u32_e64 v17, s[34:35], -1, v15
	v_addc_co_u32_e64 v19, s[34:35], 0, -1, s[34:35]
	v_cmp_ne_u32_e64 s[34:35], 0, v15
	v_xor_b32_e32 v15, s35, v19
	v_and_b32_e32 v19, exec_hi, v15
	v_lshlrev_b32_e32 v15, 30, v16
	v_xor_b32_e32 v17, s34, v17
	v_cmp_gt_i64_e64 s[34:35], 0, v[14:15]
	v_not_b32_e32 v15, v15
	v_ashrrev_i32_e32 v15, 31, v15
	v_and_b32_e32 v17, exec_lo, v17
	v_xor_b32_e32 v86, s35, v15
	v_xor_b32_e32 v15, s34, v15
	v_and_b32_e32 v17, v17, v15
	v_lshlrev_b32_e32 v15, 29, v16
	v_cmp_gt_i64_e64 s[34:35], 0, v[14:15]
	v_not_b32_e32 v15, v15
	v_ashrrev_i32_e32 v15, 31, v15
	v_and_b32_e32 v19, v19, v86
	v_xor_b32_e32 v86, s35, v15
	v_xor_b32_e32 v15, s34, v15
	v_and_b32_e32 v17, v17, v15
	v_lshlrev_b32_e32 v15, 28, v16
	v_cmp_gt_i64_e64 s[34:35], 0, v[14:15]
	v_not_b32_e32 v15, v15
	v_ashrrev_i32_e32 v15, 31, v15
	v_and_b32_e32 v19, v19, v86
	v_xor_b32_e32 v86, s35, v15
	v_xor_b32_e32 v15, s34, v15
	v_and_b32_e32 v17, v17, v15
	v_lshlrev_b32_e32 v15, 27, v16
	v_cmp_gt_i64_e64 s[34:35], 0, v[14:15]
	v_not_b32_e32 v15, v15
	v_ashrrev_i32_e32 v15, 31, v15
	v_and_b32_e32 v19, v19, v86
	v_xor_b32_e32 v86, s35, v15
	v_xor_b32_e32 v15, s34, v15
	v_and_b32_e32 v17, v17, v15
	v_lshlrev_b32_e32 v15, 26, v16
	v_cmp_gt_i64_e64 s[34:35], 0, v[14:15]
	v_not_b32_e32 v15, v15
	v_ashrrev_i32_e32 v15, 31, v15
	v_and_b32_e32 v19, v19, v86
	v_xor_b32_e32 v86, s35, v15
	v_xor_b32_e32 v15, s34, v15
	v_and_b32_e32 v17, v17, v15
	v_lshlrev_b32_e32 v15, 25, v16
	v_cmp_gt_i64_e64 s[34:35], 0, v[14:15]
	v_not_b32_e32 v15, v15
	v_ashrrev_i32_e32 v15, 31, v15
	v_and_b32_e32 v19, v19, v86
	v_xor_b32_e32 v86, s35, v15
	v_xor_b32_e32 v15, s34, v15
	v_and_b32_e32 v19, v19, v86
	v_and_b32_e32 v86, v17, v15
	v_lshlrev_b32_e32 v15, 24, v16
	v_cmp_gt_i64_e64 s[34:35], 0, v[14:15]
	v_not_b32_e32 v15, v15
	v_ashrrev_i32_e32 v15, 31, v15
	v_xor_b32_e32 v16, s35, v15
	v_xor_b32_e32 v15, s34, v15
	v_and_b32_e32 v17, v19, v16
	v_and_b32_e32 v16, v86, v15
	v_mbcnt_lo_u32_b32 v15, v16, 0
	v_mbcnt_hi_u32_b32 v119, v17, v15
	v_cmp_eq_u32_e64 s[34:35], 0, v119
	v_cmp_ne_u64_e64 s[36:37], 0, v[16:17]
	s_and_b64 s[36:37], s[36:37], s[34:35]
	; wave barrier
	s_and_saveexec_b64 s[34:35], s[36:37]
	s_cbranch_execz .LBB395_37
; %bb.36:                               ;   in Loop: Header=BB395_29 Depth=1
	v_bcnt_u32_b32 v15, v16, 0
	v_bcnt_u32_b32 v15, v17, v15
	s_waitcnt vmcnt(0) lgkmcnt(0)
	v_add_u32_e32 v15, v118, v15
	flat_store_dword v[84:85], v15
.LBB395_37:                             ;   in Loop: Header=BB395_29 Depth=1
	s_or_b64 exec, exec, s[34:35]
	v_lshrrev_b32_sdwa v15, v10, v67 dst_sel:DWORD dst_unused:UNUSED_PAD src0_sel:DWORD src1_sel:BYTE_0
	v_and_b32_e32 v16, v15, v18
	v_lshlrev_b32_e32 v15, 2, v16
	v_add_lshl_u32 v15, v15, v21, 2
	v_add_co_u32_e64 v86, s[34:35], v1, v15
	v_addc_co_u32_e64 v87, s[34:35], 0, v9, s[34:35]
	; wave barrier
	flat_load_dword v128, v[86:87]
	v_and_b32_e32 v15, 1, v16
	v_add_co_u32_e64 v17, s[34:35], -1, v15
	v_addc_co_u32_e64 v19, s[34:35], 0, -1, s[34:35]
	v_cmp_ne_u32_e64 s[34:35], 0, v15
	v_xor_b32_e32 v15, s35, v19
	v_and_b32_e32 v19, exec_hi, v15
	v_lshlrev_b32_e32 v15, 30, v16
	v_xor_b32_e32 v17, s34, v17
	v_cmp_gt_i64_e64 s[34:35], 0, v[14:15]
	v_not_b32_e32 v15, v15
	v_ashrrev_i32_e32 v15, 31, v15
	v_and_b32_e32 v17, exec_lo, v17
	v_xor_b32_e32 v96, s35, v15
	v_xor_b32_e32 v15, s34, v15
	v_and_b32_e32 v17, v17, v15
	v_lshlrev_b32_e32 v15, 29, v16
	v_cmp_gt_i64_e64 s[34:35], 0, v[14:15]
	v_not_b32_e32 v15, v15
	v_ashrrev_i32_e32 v15, 31, v15
	v_and_b32_e32 v19, v19, v96
	v_xor_b32_e32 v96, s35, v15
	v_xor_b32_e32 v15, s34, v15
	v_and_b32_e32 v17, v17, v15
	v_lshlrev_b32_e32 v15, 28, v16
	v_cmp_gt_i64_e64 s[34:35], 0, v[14:15]
	v_not_b32_e32 v15, v15
	v_ashrrev_i32_e32 v15, 31, v15
	v_and_b32_e32 v19, v19, v96
	;; [unrolled: 8-line block ×5, first 2 shown]
	v_xor_b32_e32 v96, s35, v15
	v_xor_b32_e32 v15, s34, v15
	v_and_b32_e32 v19, v19, v96
	v_and_b32_e32 v96, v17, v15
	v_lshlrev_b32_e32 v15, 24, v16
	v_cmp_gt_i64_e64 s[34:35], 0, v[14:15]
	v_not_b32_e32 v15, v15
	v_ashrrev_i32_e32 v15, 31, v15
	v_xor_b32_e32 v16, s35, v15
	v_xor_b32_e32 v15, s34, v15
	v_and_b32_e32 v17, v19, v16
	v_and_b32_e32 v16, v96, v15
	v_mbcnt_lo_u32_b32 v15, v16, 0
	v_mbcnt_hi_u32_b32 v129, v17, v15
	v_cmp_eq_u32_e64 s[34:35], 0, v129
	v_cmp_ne_u64_e64 s[36:37], 0, v[16:17]
	s_and_b64 s[36:37], s[36:37], s[34:35]
	; wave barrier
	s_and_saveexec_b64 s[34:35], s[36:37]
	s_cbranch_execz .LBB395_39
; %bb.38:                               ;   in Loop: Header=BB395_29 Depth=1
	v_bcnt_u32_b32 v15, v16, 0
	v_bcnt_u32_b32 v15, v17, v15
	s_waitcnt vmcnt(0) lgkmcnt(0)
	v_add_u32_e32 v15, v128, v15
	flat_store_dword v[86:87], v15
.LBB395_39:                             ;   in Loop: Header=BB395_29 Depth=1
	s_or_b64 exec, exec, s[34:35]
	v_lshrrev_b32_sdwa v15, v10, v67 dst_sel:DWORD dst_unused:UNUSED_PAD src0_sel:DWORD src1_sel:BYTE_1
	v_and_b32_e32 v16, v15, v18
	v_lshlrev_b32_e32 v15, 2, v16
	v_add_lshl_u32 v15, v15, v21, 2
	v_add_co_u32_e64 v96, s[34:35], v1, v15
	v_addc_co_u32_e64 v97, s[34:35], 0, v9, s[34:35]
	; wave barrier
	flat_load_dword v130, v[96:97]
	v_and_b32_e32 v15, 1, v16
	v_add_co_u32_e64 v17, s[34:35], -1, v15
	v_addc_co_u32_e64 v19, s[34:35], 0, -1, s[34:35]
	v_cmp_ne_u32_e64 s[34:35], 0, v15
	v_xor_b32_e32 v15, s35, v19
	v_and_b32_e32 v19, exec_hi, v15
	v_lshlrev_b32_e32 v15, 30, v16
	v_xor_b32_e32 v17, s34, v17
	v_cmp_gt_i64_e64 s[34:35], 0, v[14:15]
	v_not_b32_e32 v15, v15
	v_ashrrev_i32_e32 v15, 31, v15
	v_and_b32_e32 v17, exec_lo, v17
	v_xor_b32_e32 v98, s35, v15
	v_xor_b32_e32 v15, s34, v15
	v_and_b32_e32 v17, v17, v15
	v_lshlrev_b32_e32 v15, 29, v16
	v_cmp_gt_i64_e64 s[34:35], 0, v[14:15]
	v_not_b32_e32 v15, v15
	v_ashrrev_i32_e32 v15, 31, v15
	v_and_b32_e32 v19, v19, v98
	v_xor_b32_e32 v98, s35, v15
	v_xor_b32_e32 v15, s34, v15
	v_and_b32_e32 v17, v17, v15
	v_lshlrev_b32_e32 v15, 28, v16
	v_cmp_gt_i64_e64 s[34:35], 0, v[14:15]
	v_not_b32_e32 v15, v15
	v_ashrrev_i32_e32 v15, 31, v15
	v_and_b32_e32 v19, v19, v98
	;; [unrolled: 8-line block ×5, first 2 shown]
	v_xor_b32_e32 v98, s35, v15
	v_xor_b32_e32 v15, s34, v15
	v_and_b32_e32 v19, v19, v98
	v_and_b32_e32 v98, v17, v15
	v_lshlrev_b32_e32 v15, 24, v16
	v_cmp_gt_i64_e64 s[34:35], 0, v[14:15]
	v_not_b32_e32 v15, v15
	v_ashrrev_i32_e32 v15, 31, v15
	v_xor_b32_e32 v16, s35, v15
	v_xor_b32_e32 v15, s34, v15
	v_and_b32_e32 v17, v19, v16
	v_and_b32_e32 v16, v98, v15
	v_mbcnt_lo_u32_b32 v15, v16, 0
	v_mbcnt_hi_u32_b32 v131, v17, v15
	v_cmp_eq_u32_e64 s[34:35], 0, v131
	v_cmp_ne_u64_e64 s[36:37], 0, v[16:17]
	s_and_b64 s[36:37], s[36:37], s[34:35]
	; wave barrier
	s_and_saveexec_b64 s[34:35], s[36:37]
	s_cbranch_execz .LBB395_41
; %bb.40:                               ;   in Loop: Header=BB395_29 Depth=1
	v_bcnt_u32_b32 v15, v16, 0
	v_bcnt_u32_b32 v15, v17, v15
	s_waitcnt vmcnt(0) lgkmcnt(0)
	v_add_u32_e32 v15, v130, v15
	flat_store_dword v[96:97], v15
.LBB395_41:                             ;   in Loop: Header=BB395_29 Depth=1
	s_or_b64 exec, exec, s[34:35]
	v_lshrrev_b32_sdwa v15, v10, v67 dst_sel:DWORD dst_unused:UNUSED_PAD src0_sel:DWORD src1_sel:BYTE_2
	v_and_b32_e32 v16, v15, v18
	v_lshlrev_b32_e32 v15, 2, v16
	v_add_lshl_u32 v15, v15, v21, 2
	v_add_co_u32_e64 v98, s[34:35], v1, v15
	v_addc_co_u32_e64 v99, s[34:35], 0, v9, s[34:35]
	; wave barrier
	flat_load_dword v134, v[98:99]
	v_and_b32_e32 v15, 1, v16
	v_add_co_u32_e64 v17, s[34:35], -1, v15
	v_addc_co_u32_e64 v19, s[34:35], 0, -1, s[34:35]
	v_cmp_ne_u32_e64 s[34:35], 0, v15
	v_xor_b32_e32 v15, s35, v19
	v_and_b32_e32 v19, exec_hi, v15
	v_lshlrev_b32_e32 v15, 30, v16
	v_xor_b32_e32 v17, s34, v17
	v_cmp_gt_i64_e64 s[34:35], 0, v[14:15]
	v_not_b32_e32 v15, v15
	v_ashrrev_i32_e32 v15, 31, v15
	v_and_b32_e32 v17, exec_lo, v17
	v_xor_b32_e32 v100, s35, v15
	v_xor_b32_e32 v15, s34, v15
	v_and_b32_e32 v17, v17, v15
	v_lshlrev_b32_e32 v15, 29, v16
	v_cmp_gt_i64_e64 s[34:35], 0, v[14:15]
	v_not_b32_e32 v15, v15
	v_ashrrev_i32_e32 v15, 31, v15
	v_and_b32_e32 v19, v19, v100
	v_xor_b32_e32 v100, s35, v15
	v_xor_b32_e32 v15, s34, v15
	v_and_b32_e32 v17, v17, v15
	v_lshlrev_b32_e32 v15, 28, v16
	v_cmp_gt_i64_e64 s[34:35], 0, v[14:15]
	v_not_b32_e32 v15, v15
	v_ashrrev_i32_e32 v15, 31, v15
	v_and_b32_e32 v19, v19, v100
	;; [unrolled: 8-line block ×5, first 2 shown]
	v_xor_b32_e32 v100, s35, v15
	v_xor_b32_e32 v15, s34, v15
	v_and_b32_e32 v19, v19, v100
	v_and_b32_e32 v100, v17, v15
	v_lshlrev_b32_e32 v15, 24, v16
	v_cmp_gt_i64_e64 s[34:35], 0, v[14:15]
	v_not_b32_e32 v15, v15
	v_ashrrev_i32_e32 v15, 31, v15
	v_xor_b32_e32 v16, s35, v15
	v_xor_b32_e32 v15, s34, v15
	v_and_b32_e32 v17, v19, v16
	v_and_b32_e32 v16, v100, v15
	v_mbcnt_lo_u32_b32 v15, v16, 0
	v_mbcnt_hi_u32_b32 v135, v17, v15
	v_cmp_eq_u32_e64 s[34:35], 0, v135
	v_cmp_ne_u64_e64 s[36:37], 0, v[16:17]
	s_and_b64 s[36:37], s[36:37], s[34:35]
	; wave barrier
	s_and_saveexec_b64 s[34:35], s[36:37]
	s_cbranch_execz .LBB395_43
; %bb.42:                               ;   in Loop: Header=BB395_29 Depth=1
	v_bcnt_u32_b32 v15, v16, 0
	v_bcnt_u32_b32 v15, v17, v15
	s_waitcnt vmcnt(0) lgkmcnt(0)
	v_add_u32_e32 v15, v134, v15
	flat_store_dword v[98:99], v15
.LBB395_43:                             ;   in Loop: Header=BB395_29 Depth=1
	s_or_b64 exec, exec, s[34:35]
	v_lshrrev_b32_e32 v162, 24, v67
	v_lshrrev_b32_e32 v15, v10, v162
	v_and_b32_e32 v16, v15, v18
	v_lshlrev_b32_e32 v15, 2, v16
	v_add_lshl_u32 v15, v15, v21, 2
	v_add_co_u32_e64 v100, s[34:35], v1, v15
	v_addc_co_u32_e64 v101, s[34:35], 0, v9, s[34:35]
	; wave barrier
	flat_load_dword v144, v[100:101]
	v_and_b32_e32 v15, 1, v16
	v_add_co_u32_e64 v17, s[34:35], -1, v15
	v_addc_co_u32_e64 v18, s[34:35], 0, -1, s[34:35]
	v_cmp_ne_u32_e64 s[34:35], 0, v15
	v_xor_b32_e32 v15, s35, v18
	v_and_b32_e32 v18, exec_hi, v15
	v_lshlrev_b32_e32 v15, 30, v16
	v_xor_b32_e32 v17, s34, v17
	v_cmp_gt_i64_e64 s[34:35], 0, v[14:15]
	v_not_b32_e32 v15, v15
	v_ashrrev_i32_e32 v15, 31, v15
	v_and_b32_e32 v17, exec_lo, v17
	v_xor_b32_e32 v19, s35, v15
	v_xor_b32_e32 v15, s34, v15
	v_and_b32_e32 v17, v17, v15
	v_lshlrev_b32_e32 v15, 29, v16
	v_cmp_gt_i64_e64 s[34:35], 0, v[14:15]
	v_not_b32_e32 v15, v15
	v_ashrrev_i32_e32 v15, 31, v15
	v_and_b32_e32 v18, v18, v19
	v_xor_b32_e32 v19, s35, v15
	v_xor_b32_e32 v15, s34, v15
	v_and_b32_e32 v17, v17, v15
	v_lshlrev_b32_e32 v15, 28, v16
	v_cmp_gt_i64_e64 s[34:35], 0, v[14:15]
	v_not_b32_e32 v15, v15
	v_ashrrev_i32_e32 v15, 31, v15
	v_and_b32_e32 v18, v18, v19
	;; [unrolled: 8-line block ×5, first 2 shown]
	v_xor_b32_e32 v19, s35, v15
	v_xor_b32_e32 v15, s34, v15
	v_and_b32_e32 v18, v18, v19
	v_and_b32_e32 v19, v17, v15
	v_lshlrev_b32_e32 v15, 24, v16
	v_cmp_gt_i64_e64 s[34:35], 0, v[14:15]
	v_not_b32_e32 v15, v15
	v_ashrrev_i32_e32 v15, 31, v15
	v_xor_b32_e32 v16, s35, v15
	v_xor_b32_e32 v15, s34, v15
	v_and_b32_e32 v17, v18, v16
	v_and_b32_e32 v16, v19, v15
	v_mbcnt_lo_u32_b32 v15, v16, 0
	v_mbcnt_hi_u32_b32 v145, v17, v15
	v_cmp_eq_u32_e64 s[34:35], 0, v145
	v_cmp_ne_u64_e64 s[36:37], 0, v[16:17]
	s_and_b64 s[36:37], s[36:37], s[34:35]
	; wave barrier
	s_and_saveexec_b64 s[34:35], s[36:37]
	s_cbranch_execz .LBB395_45
; %bb.44:                               ;   in Loop: Header=BB395_29 Depth=1
	v_bcnt_u32_b32 v15, v16, 0
	v_bcnt_u32_b32 v15, v17, v15
	s_waitcnt vmcnt(0) lgkmcnt(0)
	v_add_u32_e32 v15, v144, v15
	flat_store_dword v[100:101], v15
.LBB395_45:                             ;   in Loop: Header=BB395_29 Depth=1
	s_or_b64 exec, exec, s[34:35]
	; wave barrier
	s_waitcnt lgkmcnt(0)
	s_barrier
	flat_load_dwordx4 v[16:19], v[4:5] offset:16
	s_waitcnt vmcnt(0) lgkmcnt(0)
	v_add_u32_e32 v15, v17, v16
	v_add3_u32 v15, v15, v18, v19
	s_nop 1
	v_mov_b32_dpp v19, v15 row_shr:1 row_mask:0xf bank_mask:0xf
	v_cndmask_b32_e64 v19, v19, 0, vcc
	v_add_u32_e32 v15, v19, v15
	s_nop 1
	v_mov_b32_dpp v19, v15 row_shr:2 row_mask:0xf bank_mask:0xf
	v_cndmask_b32_e64 v19, 0, v19, s[4:5]
	v_add_u32_e32 v15, v15, v19
	s_nop 1
	v_mov_b32_dpp v19, v15 row_shr:4 row_mask:0xf bank_mask:0xf
	v_cndmask_b32_e64 v19, 0, v19, s[6:7]
	;; [unrolled: 4-line block ×3, first 2 shown]
	v_add_u32_e32 v15, v15, v19
	s_nop 1
	v_mov_b32_dpp v19, v15 row_bcast:15 row_mask:0xf bank_mask:0xf
	v_cndmask_b32_e64 v19, v19, 0, s[30:31]
	v_add_u32_e32 v15, v15, v19
	s_nop 1
	v_mov_b32_dpp v19, v15 row_bcast:31 row_mask:0xf bank_mask:0xf
	v_cndmask_b32_e64 v19, 0, v19, s[14:15]
	v_add_u32_e32 v15, v15, v19
	s_and_saveexec_b64 s[34:35], s[16:17]
	s_cbranch_execz .LBB395_47
; %bb.46:                               ;   in Loop: Header=BB395_29 Depth=1
	flat_store_dword v[24:25], v15
.LBB395_47:                             ;   in Loop: Header=BB395_29 Depth=1
	s_or_b64 exec, exec, s[34:35]
	s_waitcnt lgkmcnt(0)
	s_barrier
	s_and_saveexec_b64 s[34:35], s[18:19]
	s_cbranch_execz .LBB395_49
; %bb.48:                               ;   in Loop: Header=BB395_29 Depth=1
	flat_load_dword v19, v[26:27]
	s_waitcnt vmcnt(0) lgkmcnt(0)
	s_nop 0
	v_mov_b32_dpp v114, v19 row_shr:1 row_mask:0xf bank_mask:0xf
	v_cndmask_b32_e64 v114, v114, 0, s[26:27]
	v_add_u32_e32 v19, v114, v19
	s_nop 1
	v_mov_b32_dpp v114, v19 row_shr:2 row_mask:0xf bank_mask:0xf
	v_cndmask_b32_e64 v114, 0, v114, s[28:29]
	v_add_u32_e32 v19, v19, v114
	flat_store_dword v[26:27], v19
.LBB395_49:                             ;   in Loop: Header=BB395_29 Depth=1
	s_or_b64 exec, exec, s[34:35]
	v_mov_b32_e32 v19, 0
	s_waitcnt lgkmcnt(0)
	s_barrier
	s_and_saveexec_b64 s[34:35], s[20:21]
	s_cbranch_execz .LBB395_51
; %bb.50:                               ;   in Loop: Header=BB395_29 Depth=1
	flat_load_dword v19, v[32:33]
.LBB395_51:                             ;   in Loop: Header=BB395_29 Depth=1
	s_or_b64 exec, exec, s[34:35]
	s_waitcnt vmcnt(0) lgkmcnt(0)
	v_add_u32_e32 v15, v19, v15
	ds_bpermute_b32 v15, v113, v15
	v_add_u32_e32 v10, 8, v10
	v_lshrrev_b64 v[132:133], 24, v[66:67]
	v_cmp_lt_u32_e64 s[34:35], v10, v11
	s_mov_b64 s[44:45], -1
	s_waitcnt lgkmcnt(0)
	v_cndmask_b32_e64 v15, v15, v19, s[22:23]
	v_cndmask_b32_e64 v146, v15, 0, s[24:25]
	v_add_u32_e32 v147, v146, v16
	v_add_u32_e32 v148, v147, v17
	;; [unrolled: 1-line block ×3, first 2 shown]
	flat_store_dwordx4 v[4:5], v[146:149] offset:16
	s_waitcnt lgkmcnt(0)
	s_barrier
	flat_load_dword v16, v[70:71]
	flat_load_dword v18, v[80:81]
	;; [unrolled: 1-line block ×8, first 2 shown]
	v_mov_b32_e32 v87, v66
	v_lshrrev_b32_e32 v97, 8, v66
	v_lshrrev_b32_e32 v99, 16, v66
	;; [unrolled: 1-line block ×4, first 2 shown]
	s_waitcnt lgkmcnt(0)
                                        ; implicit-def: $vgpr70_vgpr71
                                        ; implicit-def: $vgpr80_vgpr81
                                        ; implicit-def: $vgpr82_vgpr83
                                        ; implicit-def: $vgpr84_vgpr85
                                        ; implicit-def: $vgpr100_vgpr101
	s_waitcnt vmcnt(0) lgkmcnt(0)
	v_add_u32_e32 v114, v16, v102
	v_add3_u32 v112, v68, v112, v18
	v_add3_u32 v102, v117, v116, v19
	v_add_co_u32_e64 v116, s[36:37], v12, v114
	v_addc_co_u32_e64 v117, s[36:37], 0, v13, s[36:37]
	v_add3_u32 v96, v129, v128, v147
	v_add_co_u32_e64 v128, s[36:37], v12, v112
	v_addc_co_u32_e64 v129, s[36:37], 0, v13, s[36:37]
	v_add3_u32 v86, v131, v130, v148
	v_add_co_u32_e64 v130, s[36:37], v12, v102
	v_add3_u32 v98, v119, v118, v146
	v_addc_co_u32_e64 v131, s[36:37], 0, v13, s[36:37]
	v_add3_u32 v68, v135, v134, v149
	v_add_co_u32_e64 v134, s[36:37], v12, v98
	v_addc_co_u32_e64 v135, s[36:37], 0, v13, s[36:37]
	v_add3_u32 v16, v145, v144, v150
	v_add_co_u32_e64 v144, s[36:37], v12, v96
	v_addc_co_u32_e64 v145, s[36:37], 0, v13, s[36:37]
	v_add_co_u32_e64 v148, s[36:37], v12, v86
	v_addc_co_u32_e64 v149, s[36:37], 0, v13, s[36:37]
	;; [unrolled: 2-line block ×4, first 2 shown]
                                        ; implicit-def: $vgpr18_vgpr19
                                        ; implicit-def: $vgpr118_vgpr119
                                        ; implicit-def: $vgpr146_vgpr147
	s_and_saveexec_b64 s[36:37], s[34:35]
	s_cbranch_execz .LBB395_28
; %bb.52:                               ;   in Loop: Header=BB395_29 Depth=1
	v_mad_u64_u32 v[18:19], s[34:35], v114, 7, v[116:117]
	s_barrier
	flat_store_byte v[116:117], v66
	flat_store_byte v[128:129], v97
	;; [unrolled: 1-line block ×8, first 2 shown]
	s_waitcnt lgkmcnt(0)
	s_barrier
	flat_load_ubyte v66, v[54:55]
	flat_load_ubyte v67, v[54:55] offset:64
	flat_load_ubyte v133, v[54:55] offset:128
	;; [unrolled: 1-line block ×7, first 2 shown]
	s_waitcnt lgkmcnt(0)
	s_barrier
	flat_store_dwordx2 v[18:19], v[52:53]
	v_mad_u64_u32 v[18:19], s[34:35], v112, 7, v[128:129]
	flat_store_dwordx2 v[18:19], v[50:51]
	v_mad_u64_u32 v[18:19], s[34:35], v102, 7, v[130:131]
	;; [unrolled: 2-line block ×7, first 2 shown]
	flat_store_dwordx2 v[18:19], v[28:29]
	s_waitcnt lgkmcnt(0)
	s_barrier
	flat_load_dwordx2 v[18:19], v[64:65]
	flat_load_dwordx2 v[70:71], v[64:65] offset:512
	flat_load_dwordx2 v[80:81], v[64:65] offset:1024
	;; [unrolled: 1-line block ×7, first 2 shown]
	v_add_u32_e32 v115, -8, v115
	s_xor_b64 s[44:45], exec, -1
	s_waitcnt lgkmcnt(0)
	s_barrier
	s_waitcnt vmcnt(0)
	v_lshlrev_b16_e32 v67, 8, v67
	v_or_b32_e32 v66, v66, v67
	v_lshlrev_b16_e32 v163, 8, v163
	v_or_b32_sdwa v67, v133, v163 dst_sel:WORD_1 dst_unused:UNUSED_PAD src0_sel:DWORD src1_sel:DWORD
	v_lshlrev_b16_e32 v165, 8, v165
	v_or_b32_e32 v133, v164, v165
	v_lshlrev_b16_e32 v167, 8, v167
	v_or_b32_sdwa v163, v166, v167 dst_sel:WORD_1 dst_unused:UNUSED_PAD src0_sel:DWORD src1_sel:DWORD
	v_or_b32_sdwa v66, v66, v67 dst_sel:DWORD dst_unused:UNUSED_PAD src0_sel:WORD_0 src1_sel:DWORD
	v_or_b32_sdwa v67, v133, v163 dst_sel:DWORD dst_unused:UNUSED_PAD src0_sel:WORD_0 src1_sel:DWORD
	s_branch .LBB395_28
.LBB395_53:
	s_or_b64 exec, exec, s[42:43]
	v_add_co_u32_e32 v4, vcc, v12, v20
	v_addc_co_u32_e32 v5, vcc, 0, v13, vcc
	v_mad_u64_u32 v[10:11], s[4:5], v114, 7, v[116:117]
	s_barrier
	flat_store_byte v[116:117], v87
	flat_store_byte v[128:129], v97
	;; [unrolled: 1-line block ×8, first 2 shown]
	s_waitcnt lgkmcnt(0)
	s_barrier
	flat_load_ubyte v65, v[4:5]
	flat_load_ubyte v64, v[4:5] offset:256
	flat_load_ubyte v55, v[4:5] offset:512
	;; [unrolled: 1-line block ×7, first 2 shown]
	s_waitcnt lgkmcnt(0)
	s_barrier
	flat_store_dwordx2 v[10:11], v[52:53]
	v_mad_u64_u32 v[10:11], s[4:5], v112, 7, v[128:129]
	flat_store_dwordx2 v[10:11], v[50:51]
	v_mad_u64_u32 v[10:11], s[4:5], v102, 7, v[130:131]
	;; [unrolled: 2-line block ×7, first 2 shown]
	v_mad_u64_u32 v[4:5], s[4:5], v20, 7, v[4:5]
	s_movk_i32 s4, 0x1000
	flat_store_dwordx2 v[10:11], v[28:29]
	v_add_co_u32_e32 v10, vcc, s4, v4
	v_mov_b32_e32 v1, 0x2000
	v_addc_co_u32_e32 v11, vcc, 0, v5, vcc
	v_lshl_or_b32 v1, v20, 3, v1
	v_add_co_u32_e32 v28, vcc, v12, v1
	s_movk_i32 s4, 0x2000
	v_addc_co_u32_e32 v29, vcc, 0, v13, vcc
	v_add_co_u32_e32 v30, vcc, s4, v4
	v_addc_co_u32_e32 v31, vcc, 0, v5, vcc
	s_movk_i32 s4, 0x3000
	v_add_co_u32_e32 v34, vcc, s4, v4
	s_waitcnt lgkmcnt(0)
	s_barrier
	flat_load_dwordx2 v[26:27], v[4:5]
	flat_load_dwordx2 v[24:25], v[4:5] offset:2048
	flat_load_dwordx2 v[18:19], v[10:11]
	flat_load_dwordx2 v[14:15], v[10:11] offset:2048
	v_addc_co_u32_e32 v35, vcc, 0, v5, vcc
	flat_load_dwordx2 v[16:17], v[28:29]
	flat_load_dwordx2 v[12:13], v[30:31] offset:2048
	flat_load_dwordx2 v[10:11], v[34:35]
	flat_load_dwordx2 v[4:5], v[34:35] offset:2048
	v_add_co_u32_e32 v2, vcc, v2, v8
	v_addc_co_u32_e32 v3, vcc, 0, v3, vcc
	v_add_co_u32_e32 v2, vcc, v2, v0
	v_addc_co_u32_e32 v3, vcc, 0, v3, vcc
	v_mov_b32_e32 v1, 0
	v_cmp_lt_u32_e32 vcc, v0, v103
	s_waitcnt lgkmcnt(0)
	s_barrier
	s_and_saveexec_b64 s[4:5], vcc
	s_cbranch_execz .LBB395_55
; %bb.54:
	s_waitcnt vmcnt(0)
	v_xor_b32_e32 v8, 0x80, v65
	flat_store_byte v[2:3], v8
.LBB395_55:
	s_or_b64 exec, exec, s[4:5]
	v_add_u32_e32 v8, 0x100, v0
	v_cmp_lt_u32_e64 s[14:15], v8, v103
	s_and_saveexec_b64 s[4:5], s[14:15]
	s_cbranch_execz .LBB395_57
; %bb.56:
	s_waitcnt vmcnt(0)
	v_xor_b32_e32 v8, 0x80, v64
	flat_store_byte v[2:3], v8 offset:256
.LBB395_57:
	s_or_b64 exec, exec, s[4:5]
	v_add_u32_e32 v8, 0x200, v0
	v_cmp_lt_u32_e64 s[18:19], v8, v103
	s_and_saveexec_b64 s[4:5], s[18:19]
	s_cbranch_execz .LBB395_59
; %bb.58:
	s_waitcnt vmcnt(0)
	v_xor_b32_e32 v8, 0x80, v55
	flat_store_byte v[2:3], v8 offset:512
.LBB395_59:
	;; [unrolled: 10-line block ×7, first 2 shown]
	s_or_b64 exec, exec, s[22:23]
	v_add_co_u32_e64 v2, s[22:23], v6, v22
	v_addc_co_u32_e64 v3, s[22:23], v7, v23, s[22:23]
	v_lshlrev_b64 v[0:1], 3, v[0:1]
	v_add_co_u32_e64 v0, s[22:23], v2, v0
	v_addc_co_u32_e64 v1, s[22:23], v3, v1, s[22:23]
	s_and_saveexec_b64 s[22:23], vcc
	s_cbranch_execnz .LBB395_119
; %bb.70:
	s_or_b64 exec, exec, s[22:23]
	s_and_saveexec_b64 s[22:23], s[14:15]
	s_cbranch_execnz .LBB395_120
.LBB395_71:
	s_or_b64 exec, exec, s[22:23]
	s_and_saveexec_b64 s[14:15], s[18:19]
	s_cbranch_execnz .LBB395_121
.LBB395_72:
	s_or_b64 exec, exec, s[14:15]
	s_and_saveexec_b64 s[14:15], s[16:17]
	s_cbranch_execnz .LBB395_122
.LBB395_73:
	s_or_b64 exec, exec, s[14:15]
	s_and_saveexec_b64 s[14:15], s[20:21]
	s_cbranch_execnz .LBB395_123
.LBB395_74:
	s_or_b64 exec, exec, s[14:15]
	s_and_saveexec_b64 s[14:15], s[10:11]
	s_cbranch_execnz .LBB395_124
.LBB395_75:
	s_or_b64 exec, exec, s[14:15]
	s_and_saveexec_b64 s[10:11], s[6:7]
	s_cbranch_execnz .LBB395_125
.LBB395_76:
	s_or_b64 exec, exec, s[10:11]
	s_and_saveexec_b64 s[6:7], s[4:5]
	s_cbranch_execz .LBB395_78
.LBB395_77:
	v_add_co_u32_e32 v0, vcc, 0x3000, v0
	v_addc_co_u32_e32 v1, vcc, 0, v1, vcc
	s_waitcnt vmcnt(0)
	flat_store_dwordx2 v[0:1], v[4:5] offset:2048
.LBB395_78:
	s_or_b64 exec, exec, s[6:7]
                                        ; implicit-def: $vgpr103
                                        ; implicit-def: $vgpr0
                                        ; implicit-def: $vgpr1
                                        ; implicit-def: $vgpr2
                                        ; implicit-def: $vgpr3
                                        ; implicit-def: $vgpr4
                                        ; implicit-def: $vgpr5
                                        ; implicit-def: $vgpr6
                                        ; implicit-def: $vgpr7
                                        ; implicit-def: $vgpr8
                                        ; implicit-def: $vgpr10
                                        ; implicit-def: $vgpr11
                                        ; implicit-def: $vgpr12
                                        ; implicit-def: $vgpr13
                                        ; implicit-def: $vgpr31
                                        ; implicit-def: $vgpr18
                                        ; implicit-def: $vgpr19
                                        ; implicit-def: $vgpr14
.LBB395_79:
	s_andn2_saveexec_b64 s[4:5], s[40:41]
	s_cbranch_execz .LBB395_199
; %bb.80:
	s_movk_i32 s4, 0x200
	v_cmp_lt_u32_e32 vcc, s4, v103
	s_and_saveexec_b64 s[4:5], vcc
	s_xor_b64 s[40:41], exec, s[4:5]
	s_cbranch_execz .LBB395_140
; %bb.81:
	s_load_dwordx2 s[4:5], s[8:9], 0x0
	s_waitcnt vmcnt(0)
	v_mov_b32_e32 v9, 0
	v_add_co_u32_e32 v0, vcc, v0, v8
	v_mbcnt_hi_u32_b32 v15, -1, v14
	s_waitcnt lgkmcnt(0)
	s_cmp_lt_u32 s12, s4
	s_cselect_b32 s6, 12, 18
	s_cmp_lt_u32 s13, s5
	s_cselect_b32 s4, 14, 20
	s_add_u32 s4, s8, s4
	s_addc_u32 s5, s9, 0
	s_add_u32 s6, s8, s6
	global_load_ushort v16, v9, s[4:5]
	s_addc_u32 s7, s9, 0
	global_load_ushort v20, v9, s[6:7]
	v_addc_co_u32_e32 v1, vcc, 0, v1, vcc
	v_and_b32_e32 v14, 63, v15
	v_and_b32_e32 v22, 0x3ff, v31
	v_mov_b32_e32 v23, 0x7f
	v_add_co_u32_e32 v21, vcc, v0, v14
	v_addc_co_u32_e32 v24, vcc, 0, v1, vcc
	v_mov_b32_e32 v26, 0x7f
	v_mov_b32_e32 v27, 0x7f
	;; [unrolled: 1-line block ×3, first 2 shown]
	s_waitcnt vmcnt(1)
	v_mad_u32_u24 v0, v19, v16, v18
	s_waitcnt vmcnt(0)
	v_mad_u64_u32 v[0:1], s[4:5], v0, v20, v[22:23]
	v_lshlrev_b32_e32 v1, 2, v0
	v_and_b32_e32 v16, 0xffffff00, v1
	v_add_co_u32_e32 v18, vcc, v21, v16
	v_addc_co_u32_e32 v19, vcc, 0, v24, vcc
	v_or_b32_e32 v20, v16, v14
	v_cmp_lt_u32_e32 vcc, v20, v103
	v_mov_b32_e32 v1, 0x7f
	s_and_saveexec_b64 s[4:5], vcc
	s_cbranch_execz .LBB395_83
; %bb.82:
	flat_load_ubyte v23, v[18:19]
	v_mov_b32_e32 v27, 0x7f
	v_mov_b32_e32 v1, 0x7f
	;; [unrolled: 1-line block ×3, first 2 shown]
.LBB395_83:
	s_or_b64 exec, exec, s[4:5]
	v_or_b32_e32 v21, 64, v20
	v_cmp_lt_u32_e64 s[4:5], v21, v103
	s_and_saveexec_b64 s[6:7], s[4:5]
	s_cbranch_execz .LBB395_85
; %bb.84:
	flat_load_ubyte v27, v[18:19] offset:64
.LBB395_85:
	s_or_b64 exec, exec, s[6:7]
	v_or_b32_e32 v21, 0x80, v20
	v_cmp_lt_u32_e64 s[6:7], v21, v103
	s_and_saveexec_b64 s[10:11], s[6:7]
	s_cbranch_execz .LBB395_87
; %bb.86:
	flat_load_ubyte v1, v[18:19] offset:128
.LBB395_87:
	;; [unrolled: 8-line block ×3, first 2 shown]
	s_or_b64 exec, exec, s[14:15]
	v_lshlrev_b64 v[24:25], 3, v[8:9]
	v_add_co_u32_e64 v4, s[14:15], v4, v24
	v_addc_co_u32_e64 v5, s[14:15], v5, v25, s[14:15]
	v_lshlrev_b32_e32 v9, 3, v14
	v_add_co_u32_e64 v9, s[14:15], v4, v9
	v_addc_co_u32_e64 v18, s[14:15], 0, v5, s[14:15]
	v_lshlrev_b64 v[4:5], 3, v[16:17]
	v_add_co_u32_e64 v4, s[14:15], v9, v4
	v_addc_co_u32_e64 v5, s[14:15], v18, v5, s[14:15]
                                        ; implicit-def: $vgpr18_vgpr19
	s_and_saveexec_b64 s[14:15], vcc
	s_cbranch_execnz .LBB395_164
; %bb.90:
	s_or_b64 exec, exec, s[14:15]
                                        ; implicit-def: $vgpr20_vgpr21
	s_and_saveexec_b64 s[14:15], s[4:5]
	s_cbranch_execnz .LBB395_165
.LBB395_91:
	s_or_b64 exec, exec, s[14:15]
                                        ; implicit-def: $vgpr54_vgpr55
	s_and_saveexec_b64 s[4:5], s[6:7]
	s_cbranch_execnz .LBB395_166
.LBB395_92:
	s_or_b64 exec, exec, s[4:5]
                                        ; implicit-def: $vgpr64_vgpr65
	s_and_saveexec_b64 s[4:5], s[10:11]
	s_cbranch_execz .LBB395_94
.LBB395_93:
	flat_load_dwordx2 v[64:65], v[4:5] offset:1536
.LBB395_94:
	s_or_b64 exec, exec, s[4:5]
	s_movk_i32 s4, 0x80
	s_waitcnt vmcnt(0) lgkmcnt(0)
	v_xor_b32_e32 v4, 0x80, v23
	v_xor_b32_sdwa v5, v27, s4 dst_sel:BYTE_1 dst_unused:UNUSED_PAD src0_sel:DWORD src1_sel:DWORD
	v_xor_b32_e32 v1, 0x80, v1
	v_xor_b32_sdwa v9, v26, s4 dst_sel:BYTE_1 dst_unused:UNUSED_PAD src0_sel:DWORD src1_sel:DWORD
	v_or_b32_sdwa v4, v4, v5 dst_sel:DWORD dst_unused:UNUSED_PAD src0_sel:BYTE_0 src1_sel:DWORD
	v_or_b32_sdwa v1, v1, v9 dst_sel:WORD_1 dst_unused:UNUSED_PAD src0_sel:BYTE_0 src1_sel:DWORD
	v_or_b32_sdwa v81, v4, v1 dst_sel:DWORD dst_unused:UNUSED_PAD src0_sel:WORD_0 src1_sel:DWORD
	v_add_co_u32_e32 v1, vcc, 16, v12
	v_and_b32_e32 v17, 0x3c0, v22
	v_addc_co_u32_e32 v9, vcc, 0, v13, vcc
	v_lshlrev_b32_e32 v16, 4, v22
	v_min_u32_e32 v17, 0xc0, v17
	v_add_co_u32_e32 v26, vcc, v12, v16
	v_or_b32_e32 v17, 63, v17
	s_getpc_b64 s[4:5]
	s_add_u32 s4, s4, _ZN7rocprim17ROCPRIM_400000_NS16block_radix_sortIaLj256ELj4ElLj1ELj1ELj8ELNS0_26block_radix_rank_algorithmE2ELNS0_18block_padding_hintE2ELNS0_4arch9wavefront6targetE1EE19radix_bits_per_passE@rel32@lo+4
	s_addc_u32 s5, s5, _ZN7rocprim17ROCPRIM_400000_NS16block_radix_sortIaLj256ELj4ElLj1ELj1ELj8ELNS0_26block_radix_rank_algorithmE2ELNS0_18block_padding_hintE2ELNS0_4arch9wavefront6targetE1EE19radix_bits_per_passE@rel32@hi+12
	v_addc_co_u32_e32 v27, vcc, 0, v13, vcc
	v_and_b32_e32 v16, 15, v15
	v_cmp_eq_u32_e64 s[16:17], v17, v22
	v_add_u32_e32 v17, -1, v15
	v_and_b32_e32 v28, 64, v15
	s_load_dword s46, s[4:5], 0x0
	v_cmp_eq_u32_e32 vcc, 0, v16
	v_cmp_lt_u32_e64 s[4:5], 1, v16
	v_cmp_lt_u32_e64 s[6:7], 3, v16
	;; [unrolled: 1-line block ×3, first 2 shown]
	v_and_b32_e32 v16, 16, v15
	v_cmp_lt_i32_e64 s[22:23], v17, v28
	v_cmp_eq_u32_e64 s[30:31], 0, v16
	v_lshrrev_b32_e32 v16, 6, v22
	v_cndmask_b32_e64 v17, v17, v15, s[22:23]
	v_mov_b32_e32 v4, 0
	v_lshlrev_b32_e32 v71, 2, v17
	v_lshlrev_b32_e32 v17, 2, v16
	v_add_co_u32_e64 v28, s[26:27], v12, v17
	v_add_u32_e32 v16, -1, v16
	v_mov_b32_e32 v17, v4
	v_lshlrev_b64 v[16:17], 2, v[16:17]
	v_add_co_u32_e64 v32, s[34:35], v12, v16
	v_addc_co_u32_e64 v33, s[34:35], v13, v17, s[34:35]
	v_lshlrev_b32_e32 v5, 2, v22
	v_addc_co_u32_e64 v29, s[26:27], 0, v13, s[26:27]
	s_movk_i32 s34, 0xf00
	v_add_co_u32_e64 v30, s[26:27], v12, v5
	v_and_or_b32 v5, v5, s34, v14
	v_add_co_u32_e64 v50, s[34:35], v12, v5
	v_cmp_lt_u32_e64 s[14:15], 31, v15
	v_cmp_eq_u32_e64 s[22:23], 0, v15
	v_addc_co_u32_e64 v31, s[26:27], 0, v13, s[26:27]
	v_and_b32_e32 v15, 3, v15
	v_addc_co_u32_e64 v51, s[34:35], 0, v13, s[34:35]
	v_lshrrev_b32_e32 v23, 6, v0
	v_cmp_gt_u32_e64 s[18:19], 4, v22
	v_cmp_lt_u32_e64 s[20:21], 63, v22
	v_cmp_eq_u32_e64 s[24:25], 0, v22
	v_cmp_eq_u32_e64 s[26:27], 0, v15
	v_cmp_lt_u32_e64 s[28:29], 1, v15
	v_mad_u64_u32 v[52:53], s[34:35], v5, 7, v[50:51]
	v_sub_u32_e32 v98, v11, v10
	s_mov_b64 s[42:43], 0
	v_mov_b32_e32 v14, 0
	v_mov_b32_e32 v15, v4
	;; [unrolled: 1-line block ×4, first 2 shown]
	s_waitcnt lgkmcnt(0)
	s_barrier
	s_branch .LBB395_96
.LBB395_95:                             ;   in Loop: Header=BB395_96 Depth=1
	s_or_b64 exec, exec, s[36:37]
	s_and_b64 s[34:35], exec, s[44:45]
	s_or_b64 s[42:43], s[34:35], s[42:43]
	s_andn2_b64 exec, exec, s[42:43]
	s_cbranch_execz .LBB395_126
.LBB395_96:                             ; =>This Inner Loop Header: Depth=1
	v_min_u32_e32 v5, s46, v98
	v_lshlrev_b32_e64 v5, v5, -1
	v_pk_mov_b32 v[38:39], v[20:21], v[20:21] op_sel:[0,1]
	v_not_b32_e32 v20, v5
	v_lshrrev_b32_sdwa v5, v10, v81 dst_sel:DWORD dst_unused:UNUSED_PAD src0_sel:DWORD src1_sel:BYTE_0
	v_pk_mov_b32 v[48:49], v[18:19], v[18:19] op_sel:[0,1]
	v_and_b32_e32 v18, v5, v20
	v_lshlrev_b32_e32 v5, 2, v18
	v_add_lshl_u32 v5, v5, v23, 2
	v_pk_mov_b32 v[36:37], v[54:55], v[54:55] op_sel:[0,1]
	v_add_co_u32_e64 v54, s[34:35], v1, v5
	v_addc_co_u32_e64 v55, s[34:35], 0, v9, s[34:35]
	v_and_b32_e32 v5, 1, v18
	v_add_co_u32_e64 v19, s[34:35], -1, v5
	v_addc_co_u32_e64 v21, s[34:35], 0, -1, s[34:35]
	v_cmp_ne_u32_e64 s[34:35], 0, v5
	v_xor_b32_e32 v5, s35, v21
	v_and_b32_e32 v21, exec_hi, v5
	v_lshlrev_b32_e32 v5, 30, v18
	v_xor_b32_e32 v19, s34, v19
	v_cmp_gt_i64_e64 s[34:35], 0, v[4:5]
	v_not_b32_e32 v5, v5
	v_ashrrev_i32_e32 v5, 31, v5
	v_pk_mov_b32 v[34:35], v[64:65], v[64:65] op_sel:[0,1]
	v_and_b32_e32 v19, exec_lo, v19
	v_xor_b32_e32 v64, s35, v5
	v_xor_b32_e32 v5, s34, v5
	v_and_b32_e32 v19, v19, v5
	v_lshlrev_b32_e32 v5, 29, v18
	v_cmp_gt_i64_e64 s[34:35], 0, v[4:5]
	v_not_b32_e32 v5, v5
	v_ashrrev_i32_e32 v5, 31, v5
	v_and_b32_e32 v21, v21, v64
	v_xor_b32_e32 v64, s35, v5
	v_xor_b32_e32 v5, s34, v5
	v_and_b32_e32 v19, v19, v5
	v_lshlrev_b32_e32 v5, 28, v18
	v_cmp_gt_i64_e64 s[34:35], 0, v[4:5]
	v_not_b32_e32 v5, v5
	v_ashrrev_i32_e32 v5, 31, v5
	v_and_b32_e32 v21, v21, v64
	;; [unrolled: 8-line block ×5, first 2 shown]
	v_xor_b32_e32 v64, s35, v5
	v_xor_b32_e32 v5, s34, v5
	v_and_b32_e32 v21, v21, v64
	v_and_b32_e32 v64, v19, v5
	v_lshlrev_b32_e32 v5, 24, v18
	v_cmp_gt_i64_e64 s[34:35], 0, v[4:5]
	v_not_b32_e32 v5, v5
	v_ashrrev_i32_e32 v5, 31, v5
	v_xor_b32_e32 v18, s35, v5
	v_xor_b32_e32 v5, s34, v5
	v_and_b32_e32 v19, v21, v18
	v_and_b32_e32 v18, v64, v5
	v_mbcnt_lo_u32_b32 v5, v18, 0
	v_mbcnt_hi_u32_b32 v70, v19, v5
	v_cmp_eq_u32_e64 s[34:35], 0, v70
	v_cmp_ne_u64_e64 s[36:37], 0, v[18:19]
	s_and_b64 s[36:37], s[36:37], s[34:35]
	flat_store_dwordx4 v[26:27], v[14:17] offset:16
	s_waitcnt lgkmcnt(0)
	s_barrier
	s_waitcnt lgkmcnt(0)
	; wave barrier
	s_and_saveexec_b64 s[34:35], s[36:37]
	s_cbranch_execz .LBB395_98
; %bb.97:                               ;   in Loop: Header=BB395_96 Depth=1
	v_bcnt_u32_b32 v5, v18, 0
	v_bcnt_u32_b32 v5, v19, v5
	flat_store_dword v[54:55], v5
.LBB395_98:                             ;   in Loop: Header=BB395_96 Depth=1
	s_or_b64 exec, exec, s[34:35]
	v_lshrrev_b32_sdwa v5, v10, v81 dst_sel:DWORD dst_unused:UNUSED_PAD src0_sel:DWORD src1_sel:BYTE_1
	v_and_b32_e32 v18, v5, v20
	v_lshlrev_b32_e32 v5, 2, v18
	v_add_lshl_u32 v5, v5, v23, 2
	v_add_co_u32_e64 v64, s[34:35], v1, v5
	v_addc_co_u32_e64 v65, s[34:35], 0, v9, s[34:35]
	; wave barrier
	flat_load_dword v82, v[64:65]
	v_and_b32_e32 v5, 1, v18
	v_add_co_u32_e64 v19, s[34:35], -1, v5
	v_addc_co_u32_e64 v21, s[34:35], 0, -1, s[34:35]
	v_cmp_ne_u32_e64 s[34:35], 0, v5
	v_xor_b32_e32 v5, s35, v21
	v_and_b32_e32 v21, exec_hi, v5
	v_lshlrev_b32_e32 v5, 30, v18
	v_xor_b32_e32 v19, s34, v19
	v_cmp_gt_i64_e64 s[34:35], 0, v[4:5]
	v_not_b32_e32 v5, v5
	v_ashrrev_i32_e32 v5, 31, v5
	v_and_b32_e32 v19, exec_lo, v19
	v_xor_b32_e32 v66, s35, v5
	v_xor_b32_e32 v5, s34, v5
	v_and_b32_e32 v19, v19, v5
	v_lshlrev_b32_e32 v5, 29, v18
	v_cmp_gt_i64_e64 s[34:35], 0, v[4:5]
	v_not_b32_e32 v5, v5
	v_ashrrev_i32_e32 v5, 31, v5
	v_and_b32_e32 v21, v21, v66
	v_xor_b32_e32 v66, s35, v5
	v_xor_b32_e32 v5, s34, v5
	v_and_b32_e32 v19, v19, v5
	v_lshlrev_b32_e32 v5, 28, v18
	v_cmp_gt_i64_e64 s[34:35], 0, v[4:5]
	v_not_b32_e32 v5, v5
	v_ashrrev_i32_e32 v5, 31, v5
	v_and_b32_e32 v21, v21, v66
	;; [unrolled: 8-line block ×5, first 2 shown]
	v_xor_b32_e32 v66, s35, v5
	v_xor_b32_e32 v5, s34, v5
	v_and_b32_e32 v21, v21, v66
	v_and_b32_e32 v66, v19, v5
	v_lshlrev_b32_e32 v5, 24, v18
	v_cmp_gt_i64_e64 s[34:35], 0, v[4:5]
	v_not_b32_e32 v5, v5
	v_ashrrev_i32_e32 v5, 31, v5
	v_xor_b32_e32 v18, s35, v5
	v_xor_b32_e32 v5, s34, v5
	v_and_b32_e32 v19, v21, v18
	v_and_b32_e32 v18, v66, v5
	v_mbcnt_lo_u32_b32 v5, v18, 0
	v_mbcnt_hi_u32_b32 v83, v19, v5
	v_cmp_eq_u32_e64 s[34:35], 0, v83
	v_cmp_ne_u64_e64 s[36:37], 0, v[18:19]
	s_and_b64 s[36:37], s[36:37], s[34:35]
	; wave barrier
	s_and_saveexec_b64 s[34:35], s[36:37]
	s_cbranch_execz .LBB395_100
; %bb.99:                               ;   in Loop: Header=BB395_96 Depth=1
	v_bcnt_u32_b32 v5, v18, 0
	v_bcnt_u32_b32 v5, v19, v5
	s_waitcnt vmcnt(0) lgkmcnt(0)
	v_add_u32_e32 v5, v82, v5
	flat_store_dword v[64:65], v5
.LBB395_100:                            ;   in Loop: Header=BB395_96 Depth=1
	s_or_b64 exec, exec, s[34:35]
	v_lshrrev_b32_sdwa v5, v10, v81 dst_sel:DWORD dst_unused:UNUSED_PAD src0_sel:DWORD src1_sel:BYTE_2
	v_and_b32_e32 v18, v5, v20
	v_lshlrev_b32_e32 v5, 2, v18
	v_add_lshl_u32 v5, v5, v23, 2
	v_add_co_u32_e64 v66, s[34:35], v1, v5
	v_addc_co_u32_e64 v67, s[34:35], 0, v9, s[34:35]
	; wave barrier
	flat_load_dword v84, v[66:67]
	v_and_b32_e32 v5, 1, v18
	v_add_co_u32_e64 v19, s[34:35], -1, v5
	v_addc_co_u32_e64 v21, s[34:35], 0, -1, s[34:35]
	v_cmp_ne_u32_e64 s[34:35], 0, v5
	v_xor_b32_e32 v5, s35, v21
	v_and_b32_e32 v21, exec_hi, v5
	v_lshlrev_b32_e32 v5, 30, v18
	v_xor_b32_e32 v19, s34, v19
	v_cmp_gt_i64_e64 s[34:35], 0, v[4:5]
	v_not_b32_e32 v5, v5
	v_ashrrev_i32_e32 v5, 31, v5
	v_and_b32_e32 v19, exec_lo, v19
	v_xor_b32_e32 v68, s35, v5
	v_xor_b32_e32 v5, s34, v5
	v_and_b32_e32 v19, v19, v5
	v_lshlrev_b32_e32 v5, 29, v18
	v_cmp_gt_i64_e64 s[34:35], 0, v[4:5]
	v_not_b32_e32 v5, v5
	v_ashrrev_i32_e32 v5, 31, v5
	v_and_b32_e32 v21, v21, v68
	v_xor_b32_e32 v68, s35, v5
	v_xor_b32_e32 v5, s34, v5
	v_and_b32_e32 v19, v19, v5
	v_lshlrev_b32_e32 v5, 28, v18
	v_cmp_gt_i64_e64 s[34:35], 0, v[4:5]
	v_not_b32_e32 v5, v5
	v_ashrrev_i32_e32 v5, 31, v5
	v_and_b32_e32 v21, v21, v68
	v_xor_b32_e32 v68, s35, v5
	v_xor_b32_e32 v5, s34, v5
	v_and_b32_e32 v19, v19, v5
	v_lshlrev_b32_e32 v5, 27, v18
	v_cmp_gt_i64_e64 s[34:35], 0, v[4:5]
	v_not_b32_e32 v5, v5
	v_ashrrev_i32_e32 v5, 31, v5
	v_and_b32_e32 v21, v21, v68
	v_xor_b32_e32 v68, s35, v5
	v_xor_b32_e32 v5, s34, v5
	v_and_b32_e32 v19, v19, v5
	v_lshlrev_b32_e32 v5, 26, v18
	v_cmp_gt_i64_e64 s[34:35], 0, v[4:5]
	v_not_b32_e32 v5, v5
	v_ashrrev_i32_e32 v5, 31, v5
	v_and_b32_e32 v21, v21, v68
	v_xor_b32_e32 v68, s35, v5
	v_xor_b32_e32 v5, s34, v5
	v_and_b32_e32 v19, v19, v5
	v_lshlrev_b32_e32 v5, 25, v18
	v_cmp_gt_i64_e64 s[34:35], 0, v[4:5]
	v_not_b32_e32 v5, v5
	v_ashrrev_i32_e32 v5, 31, v5
	v_and_b32_e32 v21, v21, v68
	v_xor_b32_e32 v68, s35, v5
	v_xor_b32_e32 v5, s34, v5
	v_and_b32_e32 v21, v21, v68
	v_and_b32_e32 v68, v19, v5
	v_lshlrev_b32_e32 v5, 24, v18
	v_cmp_gt_i64_e64 s[34:35], 0, v[4:5]
	v_not_b32_e32 v5, v5
	v_ashrrev_i32_e32 v5, 31, v5
	v_xor_b32_e32 v18, s35, v5
	v_xor_b32_e32 v5, s34, v5
	v_and_b32_e32 v19, v21, v18
	v_and_b32_e32 v18, v68, v5
	v_mbcnt_lo_u32_b32 v5, v18, 0
	v_mbcnt_hi_u32_b32 v85, v19, v5
	v_cmp_eq_u32_e64 s[34:35], 0, v85
	v_cmp_ne_u64_e64 s[36:37], 0, v[18:19]
	s_and_b64 s[36:37], s[36:37], s[34:35]
	; wave barrier
	s_and_saveexec_b64 s[34:35], s[36:37]
	s_cbranch_execz .LBB395_102
; %bb.101:                              ;   in Loop: Header=BB395_96 Depth=1
	v_bcnt_u32_b32 v5, v18, 0
	v_bcnt_u32_b32 v5, v19, v5
	s_waitcnt vmcnt(0) lgkmcnt(0)
	v_add_u32_e32 v5, v84, v5
	flat_store_dword v[66:67], v5
.LBB395_102:                            ;   in Loop: Header=BB395_96 Depth=1
	s_or_b64 exec, exec, s[34:35]
	v_lshrrev_b32_e32 v99, 24, v81
	v_lshrrev_b32_e32 v5, v10, v99
	v_and_b32_e32 v18, v5, v20
	v_lshlrev_b32_e32 v5, 2, v18
	v_add_lshl_u32 v5, v5, v23, 2
	v_add_co_u32_e64 v68, s[34:35], v1, v5
	v_addc_co_u32_e64 v69, s[34:35], 0, v9, s[34:35]
	; wave barrier
	flat_load_dword v86, v[68:69]
	v_and_b32_e32 v5, 1, v18
	v_add_co_u32_e64 v19, s[34:35], -1, v5
	v_addc_co_u32_e64 v20, s[34:35], 0, -1, s[34:35]
	v_cmp_ne_u32_e64 s[34:35], 0, v5
	v_xor_b32_e32 v5, s35, v20
	v_and_b32_e32 v20, exec_hi, v5
	v_lshlrev_b32_e32 v5, 30, v18
	v_xor_b32_e32 v19, s34, v19
	v_cmp_gt_i64_e64 s[34:35], 0, v[4:5]
	v_not_b32_e32 v5, v5
	v_ashrrev_i32_e32 v5, 31, v5
	v_and_b32_e32 v19, exec_lo, v19
	v_xor_b32_e32 v21, s35, v5
	v_xor_b32_e32 v5, s34, v5
	v_and_b32_e32 v19, v19, v5
	v_lshlrev_b32_e32 v5, 29, v18
	v_cmp_gt_i64_e64 s[34:35], 0, v[4:5]
	v_not_b32_e32 v5, v5
	v_ashrrev_i32_e32 v5, 31, v5
	v_and_b32_e32 v20, v20, v21
	v_xor_b32_e32 v21, s35, v5
	v_xor_b32_e32 v5, s34, v5
	v_and_b32_e32 v19, v19, v5
	v_lshlrev_b32_e32 v5, 28, v18
	v_cmp_gt_i64_e64 s[34:35], 0, v[4:5]
	v_not_b32_e32 v5, v5
	v_ashrrev_i32_e32 v5, 31, v5
	v_and_b32_e32 v20, v20, v21
	;; [unrolled: 8-line block ×5, first 2 shown]
	v_xor_b32_e32 v21, s35, v5
	v_xor_b32_e32 v5, s34, v5
	v_and_b32_e32 v20, v20, v21
	v_and_b32_e32 v21, v19, v5
	v_lshlrev_b32_e32 v5, 24, v18
	v_cmp_gt_i64_e64 s[34:35], 0, v[4:5]
	v_not_b32_e32 v5, v5
	v_ashrrev_i32_e32 v5, 31, v5
	v_xor_b32_e32 v18, s35, v5
	v_xor_b32_e32 v5, s34, v5
	v_and_b32_e32 v19, v20, v18
	v_and_b32_e32 v18, v21, v5
	v_mbcnt_lo_u32_b32 v5, v18, 0
	v_mbcnt_hi_u32_b32 v87, v19, v5
	v_cmp_eq_u32_e64 s[34:35], 0, v87
	v_cmp_ne_u64_e64 s[36:37], 0, v[18:19]
	s_and_b64 s[36:37], s[36:37], s[34:35]
	; wave barrier
	s_and_saveexec_b64 s[34:35], s[36:37]
	s_cbranch_execz .LBB395_104
; %bb.103:                              ;   in Loop: Header=BB395_96 Depth=1
	v_bcnt_u32_b32 v5, v18, 0
	v_bcnt_u32_b32 v5, v19, v5
	s_waitcnt vmcnt(0) lgkmcnt(0)
	v_add_u32_e32 v5, v86, v5
	flat_store_dword v[68:69], v5
.LBB395_104:                            ;   in Loop: Header=BB395_96 Depth=1
	s_or_b64 exec, exec, s[34:35]
	; wave barrier
	s_waitcnt lgkmcnt(0)
	s_barrier
	flat_load_dwordx4 v[18:21], v[26:27] offset:16
	s_waitcnt vmcnt(0) lgkmcnt(0)
	v_add_u32_e32 v5, v19, v18
	v_add3_u32 v5, v5, v20, v21
	s_nop 1
	v_mov_b32_dpp v21, v5 row_shr:1 row_mask:0xf bank_mask:0xf
	v_cndmask_b32_e64 v21, v21, 0, vcc
	v_add_u32_e32 v5, v21, v5
	s_nop 1
	v_mov_b32_dpp v21, v5 row_shr:2 row_mask:0xf bank_mask:0xf
	v_cndmask_b32_e64 v21, 0, v21, s[4:5]
	v_add_u32_e32 v5, v5, v21
	s_nop 1
	v_mov_b32_dpp v21, v5 row_shr:4 row_mask:0xf bank_mask:0xf
	v_cndmask_b32_e64 v21, 0, v21, s[6:7]
	;; [unrolled: 4-line block ×3, first 2 shown]
	v_add_u32_e32 v5, v5, v21
	s_nop 1
	v_mov_b32_dpp v21, v5 row_bcast:15 row_mask:0xf bank_mask:0xf
	v_cndmask_b32_e64 v21, v21, 0, s[30:31]
	v_add_u32_e32 v5, v5, v21
	s_nop 1
	v_mov_b32_dpp v21, v5 row_bcast:31 row_mask:0xf bank_mask:0xf
	v_cndmask_b32_e64 v21, 0, v21, s[14:15]
	v_add_u32_e32 v5, v5, v21
	s_and_saveexec_b64 s[34:35], s[16:17]
	s_cbranch_execz .LBB395_106
; %bb.105:                              ;   in Loop: Header=BB395_96 Depth=1
	flat_store_dword v[28:29], v5
.LBB395_106:                            ;   in Loop: Header=BB395_96 Depth=1
	s_or_b64 exec, exec, s[34:35]
	s_waitcnt lgkmcnt(0)
	s_barrier
	s_and_saveexec_b64 s[34:35], s[18:19]
	s_cbranch_execz .LBB395_108
; %bb.107:                              ;   in Loop: Header=BB395_96 Depth=1
	flat_load_dword v21, v[30:31]
	s_waitcnt vmcnt(0) lgkmcnt(0)
	s_nop 0
	v_mov_b32_dpp v80, v21 row_shr:1 row_mask:0xf bank_mask:0xf
	v_cndmask_b32_e64 v80, v80, 0, s[26:27]
	v_add_u32_e32 v21, v80, v21
	s_nop 1
	v_mov_b32_dpp v80, v21 row_shr:2 row_mask:0xf bank_mask:0xf
	v_cndmask_b32_e64 v80, 0, v80, s[28:29]
	v_add_u32_e32 v21, v21, v80
	flat_store_dword v[30:31], v21
.LBB395_108:                            ;   in Loop: Header=BB395_96 Depth=1
	s_or_b64 exec, exec, s[34:35]
	v_mov_b32_e32 v21, 0
	s_waitcnt lgkmcnt(0)
	s_barrier
	s_and_saveexec_b64 s[34:35], s[20:21]
	s_cbranch_execz .LBB395_110
; %bb.109:                              ;   in Loop: Header=BB395_96 Depth=1
	flat_load_dword v21, v[32:33]
.LBB395_110:                            ;   in Loop: Header=BB395_96 Depth=1
	s_or_b64 exec, exec, s[34:35]
	s_waitcnt vmcnt(0) lgkmcnt(0)
	v_add_u32_e32 v5, v21, v5
	ds_bpermute_b32 v5, v71, v5
	v_add_u32_e32 v10, 8, v10
	v_cmp_lt_u32_e64 s[34:35], v10, v11
	s_mov_b64 s[44:45], -1
	s_waitcnt lgkmcnt(0)
	v_cndmask_b32_e64 v5, v5, v21, s[22:23]
	v_cndmask_b32_e64 v112, v5, 0, s[24:25]
	v_add_u32_e32 v113, v112, v18
	v_add_u32_e32 v114, v113, v19
	;; [unrolled: 1-line block ×3, first 2 shown]
	flat_store_dwordx4 v[26:27], v[112:115] offset:16
	s_waitcnt lgkmcnt(0)
	s_barrier
	flat_load_dword v18, v[54:55]
	flat_load_dword v19, v[64:65]
	;; [unrolled: 1-line block ×4, first 2 shown]
	v_mov_b32_e32 v5, v81
	v_lshrrev_b32_e32 v67, 8, v81
	v_lshrrev_b32_e32 v69, 16, v81
	s_waitcnt lgkmcnt(0)
                                        ; implicit-def: $vgpr54_vgpr55
                                        ; implicit-def: $vgpr64_vgpr65
	s_waitcnt vmcnt(0) lgkmcnt(0)
	v_add_u32_e32 v80, v18, v70
	v_add3_u32 v70, v83, v82, v19
	v_add_co_u32_e64 v82, s[36:37], v12, v80
	v_addc_co_u32_e64 v83, s[36:37], 0, v13, s[36:37]
	v_add3_u32 v68, v85, v84, v20
	v_add_co_u32_e64 v84, s[36:37], v12, v70
	v_addc_co_u32_e64 v85, s[36:37], 0, v13, s[36:37]
	;; [unrolled: 3-line block ×3, first 2 shown]
	v_add_co_u32_e64 v96, s[36:37], v12, v66
	v_addc_co_u32_e64 v97, s[36:37], 0, v13, s[36:37]
                                        ; implicit-def: $vgpr18_vgpr19
                                        ; implicit-def: $vgpr20_vgpr21
	s_and_saveexec_b64 s[36:37], s[34:35]
	s_cbranch_execz .LBB395_95
; %bb.111:                              ;   in Loop: Header=BB395_96 Depth=1
	v_mad_u64_u32 v[18:19], s[34:35], v80, 7, v[82:83]
	s_barrier
	flat_store_byte v[82:83], v81
	flat_store_byte v[84:85], v67
	;; [unrolled: 1-line block ×4, first 2 shown]
	s_waitcnt lgkmcnt(0)
	s_barrier
	flat_load_ubyte v81, v[50:51]
	flat_load_ubyte v100, v[50:51] offset:64
	flat_load_ubyte v101, v[50:51] offset:128
	;; [unrolled: 1-line block ×3, first 2 shown]
	s_waitcnt lgkmcnt(0)
	s_barrier
	flat_store_dwordx2 v[18:19], v[48:49]
	v_mad_u64_u32 v[18:19], s[34:35], v70, 7, v[84:85]
	flat_store_dwordx2 v[18:19], v[38:39]
	v_mad_u64_u32 v[18:19], s[34:35], v68, 7, v[86:87]
	flat_store_dwordx2 v[18:19], v[36:37]
	v_mad_u64_u32 v[18:19], s[34:35], v66, 7, v[96:97]
	flat_store_dwordx2 v[18:19], v[34:35]
	s_waitcnt lgkmcnt(0)
	s_barrier
	flat_load_dwordx2 v[18:19], v[52:53]
	flat_load_dwordx2 v[20:21], v[52:53] offset:512
	flat_load_dwordx2 v[54:55], v[52:53] offset:1024
	;; [unrolled: 1-line block ×3, first 2 shown]
	v_add_u32_e32 v98, -8, v98
	s_xor_b64 s[44:45], exec, -1
	s_waitcnt lgkmcnt(0)
	s_barrier
	s_waitcnt vmcnt(0)
	v_lshlrev_b16_e32 v100, 8, v100
	v_or_b32_e32 v81, v81, v100
	v_lshlrev_b16_e32 v102, 8, v102
	v_or_b32_sdwa v100, v101, v102 dst_sel:WORD_1 dst_unused:UNUSED_PAD src0_sel:DWORD src1_sel:DWORD
	v_or_b32_sdwa v81, v81, v100 dst_sel:DWORD dst_unused:UNUSED_PAD src0_sel:WORD_0 src1_sel:DWORD
	s_branch .LBB395_95
.LBB395_112:
	flat_load_dwordx2 v[18:19], v[4:5]
	s_or_b64 exec, exec, s[22:23]
                                        ; implicit-def: $vgpr70_vgpr71
	s_and_saveexec_b64 s[22:23], s[4:5]
	s_cbranch_execz .LBB395_20
.LBB395_113:
	flat_load_dwordx2 v[70:71], v[4:5] offset:512
	s_or_b64 exec, exec, s[22:23]
                                        ; implicit-def: $vgpr80_vgpr81
	s_and_saveexec_b64 s[4:5], s[6:7]
	s_cbranch_execz .LBB395_21
.LBB395_114:
	flat_load_dwordx2 v[80:81], v[4:5] offset:1024
	s_or_b64 exec, exec, s[4:5]
                                        ; implicit-def: $vgpr82_vgpr83
	s_and_saveexec_b64 s[4:5], s[10:11]
	s_cbranch_execz .LBB395_22
.LBB395_115:
	flat_load_dwordx2 v[82:83], v[4:5] offset:1536
	s_or_b64 exec, exec, s[4:5]
                                        ; implicit-def: $vgpr84_vgpr85
	s_and_saveexec_b64 s[4:5], s[20:21]
	s_cbranch_execz .LBB395_23
.LBB395_116:
	flat_load_dwordx2 v[84:85], v[4:5] offset:2048
	s_or_b64 exec, exec, s[4:5]
                                        ; implicit-def: $vgpr100_vgpr101
	s_and_saveexec_b64 s[4:5], s[14:15]
	s_cbranch_execz .LBB395_24
.LBB395_117:
	flat_load_dwordx2 v[100:101], v[4:5] offset:2560
	s_or_b64 exec, exec, s[4:5]
                                        ; implicit-def: $vgpr118_vgpr119
	s_and_saveexec_b64 s[4:5], s[16:17]
	s_cbranch_execz .LBB395_25
.LBB395_118:
	flat_load_dwordx2 v[118:119], v[4:5] offset:3072
	s_or_b64 exec, exec, s[4:5]
                                        ; implicit-def: $vgpr146_vgpr147
	s_and_saveexec_b64 s[4:5], s[18:19]
	s_cbranch_execnz .LBB395_26
	s_branch .LBB395_27
.LBB395_119:
	s_waitcnt vmcnt(0)
	flat_store_dwordx2 v[0:1], v[26:27]
	s_or_b64 exec, exec, s[22:23]
	s_and_saveexec_b64 s[22:23], s[14:15]
	s_cbranch_execz .LBB395_71
.LBB395_120:
	s_waitcnt vmcnt(0)
	flat_store_dwordx2 v[0:1], v[24:25] offset:2048
	s_or_b64 exec, exec, s[22:23]
	s_and_saveexec_b64 s[14:15], s[18:19]
	s_cbranch_execz .LBB395_72
.LBB395_121:
	v_add_co_u32_e32 v2, vcc, 0x1000, v0
	v_addc_co_u32_e32 v3, vcc, 0, v1, vcc
	s_waitcnt vmcnt(0)
	flat_store_dwordx2 v[2:3], v[18:19]
	s_or_b64 exec, exec, s[14:15]
	s_and_saveexec_b64 s[14:15], s[16:17]
	s_cbranch_execz .LBB395_73
.LBB395_122:
	v_add_co_u32_e32 v2, vcc, 0x1000, v0
	v_addc_co_u32_e32 v3, vcc, 0, v1, vcc
	s_waitcnt vmcnt(0)
	flat_store_dwordx2 v[2:3], v[14:15] offset:2048
	s_or_b64 exec, exec, s[14:15]
	s_and_saveexec_b64 s[14:15], s[20:21]
	s_cbranch_execz .LBB395_74
.LBB395_123:
	v_add_co_u32_e32 v2, vcc, 0x2000, v0
	v_addc_co_u32_e32 v3, vcc, 0, v1, vcc
	s_waitcnt vmcnt(0)
	flat_store_dwordx2 v[2:3], v[16:17]
	s_or_b64 exec, exec, s[14:15]
	s_and_saveexec_b64 s[14:15], s[10:11]
	s_cbranch_execz .LBB395_75
.LBB395_124:
	v_add_co_u32_e32 v2, vcc, 0x2000, v0
	v_addc_co_u32_e32 v3, vcc, 0, v1, vcc
	s_waitcnt vmcnt(0)
	flat_store_dwordx2 v[2:3], v[12:13] offset:2048
	s_or_b64 exec, exec, s[14:15]
	s_and_saveexec_b64 s[10:11], s[6:7]
	s_cbranch_execz .LBB395_76
.LBB395_125:
	v_add_co_u32_e32 v2, vcc, 0x3000, v0
	v_addc_co_u32_e32 v3, vcc, 0, v1, vcc
	s_waitcnt vmcnt(0)
	flat_store_dwordx2 v[2:3], v[10:11]
	s_or_b64 exec, exec, s[10:11]
	s_and_saveexec_b64 s[6:7], s[4:5]
	s_cbranch_execnz .LBB395_77
	s_branch .LBB395_78
.LBB395_126:
	s_or_b64 exec, exec, s[42:43]
	v_add_co_u32_e32 v4, vcc, v12, v22
	s_barrier
	flat_store_byte v[82:83], v5
	flat_store_byte v[84:85], v67
	;; [unrolled: 1-line block ×4, first 2 shown]
	v_addc_co_u32_e32 v5, vcc, 0, v13, vcc
	v_mad_u64_u32 v[10:11], s[4:5], v80, 7, v[82:83]
	s_waitcnt lgkmcnt(0)
	s_barrier
	flat_load_ubyte v18, v[4:5]
	flat_load_ubyte v17, v[4:5] offset:256
	flat_load_ubyte v16, v[4:5] offset:512
	;; [unrolled: 1-line block ×3, first 2 shown]
	s_waitcnt lgkmcnt(0)
	s_barrier
	flat_store_dwordx2 v[10:11], v[48:49]
	v_mad_u64_u32 v[10:11], s[4:5], v70, 7, v[84:85]
	flat_store_dwordx2 v[10:11], v[38:39]
	v_mad_u64_u32 v[10:11], s[4:5], v68, 7, v[86:87]
	;; [unrolled: 2-line block ×3, first 2 shown]
	v_mad_u64_u32 v[20:21], s[4:5], v22, 7, v[4:5]
	s_movk_i32 s4, 0x1000
	v_add_co_u32_e32 v22, vcc, s4, v20
	flat_store_dwordx2 v[10:11], v[34:35]
	s_waitcnt lgkmcnt(0)
	s_barrier
	v_addc_co_u32_e32 v23, vcc, 0, v21, vcc
	flat_load_dwordx2 v[14:15], v[20:21]
	flat_load_dwordx2 v[12:13], v[20:21] offset:2048
	flat_load_dwordx2 v[10:11], v[22:23]
	flat_load_dwordx2 v[4:5], v[22:23] offset:2048
	v_add_co_u32_e32 v2, vcc, v2, v8
	v_addc_co_u32_e32 v3, vcc, 0, v3, vcc
	v_add_co_u32_e32 v2, vcc, v2, v0
	v_addc_co_u32_e32 v3, vcc, 0, v3, vcc
	v_mov_b32_e32 v1, 0
	v_cmp_lt_u32_e32 vcc, v0, v103
	s_waitcnt lgkmcnt(0)
	s_barrier
	s_and_saveexec_b64 s[4:5], vcc
	s_cbranch_execz .LBB395_128
; %bb.127:
	s_waitcnt vmcnt(0)
	v_xor_b32_e32 v8, 0x80, v18
	flat_store_byte v[2:3], v8
.LBB395_128:
	s_or_b64 exec, exec, s[4:5]
	v_add_u32_e32 v8, 0x100, v0
	v_cmp_lt_u32_e64 s[4:5], v8, v103
	s_and_saveexec_b64 s[6:7], s[4:5]
	s_cbranch_execz .LBB395_130
; %bb.129:
	s_waitcnt vmcnt(0)
	v_xor_b32_e32 v8, 0x80, v17
	flat_store_byte v[2:3], v8 offset:256
.LBB395_130:
	s_or_b64 exec, exec, s[6:7]
	v_add_u32_e32 v8, 0x200, v0
	v_cmp_lt_u32_e64 s[10:11], v8, v103
	s_and_saveexec_b64 s[6:7], s[10:11]
	s_cbranch_execz .LBB395_132
; %bb.131:
	s_waitcnt vmcnt(0)
	v_xor_b32_e32 v8, 0x80, v16
	flat_store_byte v[2:3], v8 offset:512
.LBB395_132:
	;; [unrolled: 10-line block ×3, first 2 shown]
	s_or_b64 exec, exec, s[14:15]
	v_add_co_u32_e64 v2, s[14:15], v6, v24
	v_addc_co_u32_e64 v3, s[14:15], v7, v25, s[14:15]
	v_lshlrev_b64 v[0:1], 3, v[0:1]
	v_add_co_u32_e64 v0, s[14:15], v2, v0
	v_addc_co_u32_e64 v1, s[14:15], v3, v1, s[14:15]
	s_and_saveexec_b64 s[14:15], vcc
	s_cbranch_execnz .LBB395_167
; %bb.135:
	s_or_b64 exec, exec, s[14:15]
	s_and_saveexec_b64 s[14:15], s[4:5]
	s_cbranch_execnz .LBB395_168
.LBB395_136:
	s_or_b64 exec, exec, s[14:15]
	s_and_saveexec_b64 s[4:5], s[10:11]
	s_cbranch_execnz .LBB395_169
.LBB395_137:
	s_or_b64 exec, exec, s[4:5]
	s_and_saveexec_b64 s[4:5], s[6:7]
	s_cbranch_execz .LBB395_139
.LBB395_138:
	v_add_co_u32_e32 v0, vcc, 0x1000, v0
	v_addc_co_u32_e32 v1, vcc, 0, v1, vcc
	s_waitcnt vmcnt(0)
	flat_store_dwordx2 v[0:1], v[4:5] offset:2048
.LBB395_139:
	s_or_b64 exec, exec, s[4:5]
                                        ; implicit-def: $vgpr103
                                        ; implicit-def: $vgpr0
                                        ; implicit-def: $vgpr1
                                        ; implicit-def: $vgpr2
                                        ; implicit-def: $vgpr3
                                        ; implicit-def: $vgpr4
                                        ; implicit-def: $vgpr5
                                        ; implicit-def: $vgpr6
                                        ; implicit-def: $vgpr7
                                        ; implicit-def: $vgpr8
                                        ; implicit-def: $vgpr10
                                        ; implicit-def: $vgpr11
                                        ; implicit-def: $vgpr12
                                        ; implicit-def: $vgpr13
                                        ; implicit-def: $vgpr31
                                        ; implicit-def: $vgpr18
                                        ; implicit-def: $vgpr19
                                        ; implicit-def: $vgpr14
.LBB395_140:
	s_andn2_saveexec_b64 s[4:5], s[40:41]
	s_cbranch_execz .LBB395_199
; %bb.141:
	s_load_dwordx2 s[4:5], s[8:9], 0x0
	s_waitcnt vmcnt(0)
	v_mov_b32_e32 v9, 0
	v_and_b32_e32 v24, 0x3ff, v31
	s_waitcnt lgkmcnt(0)
	s_cmp_lt_u32 s12, s4
	s_cselect_b32 s6, 12, 18
	s_cmp_lt_u32 s13, s5
	s_cselect_b32 s4, 14, 20
	s_add_u32 s4, s8, s4
	s_addc_u32 s5, s9, 0
	global_load_ushort v15, v9, s[4:5]
	s_add_u32 s4, s8, s6
	s_addc_u32 s5, s9, 0
	global_load_ushort v16, v9, s[4:5]
	s_movk_i32 s4, 0x100
	v_cmp_lt_u32_e32 vcc, s4, v103
	s_waitcnt vmcnt(1)
	v_mad_u32_u24 v15, v19, v15, v18
	s_waitcnt vmcnt(0)
	v_mad_u64_u32 v[22:23], s[4:5], v15, v16, v[24:25]
	s_and_saveexec_b64 s[4:5], vcc
	s_xor_b64 s[34:35], exec, s[4:5]
	s_cbranch_execz .LBB395_179
; %bb.142:
	v_add_co_u32_e32 v0, vcc, v0, v8
	v_mbcnt_hi_u32_b32 v15, -1, v14
	v_addc_co_u32_e32 v1, vcc, 0, v1, vcc
	v_and_b32_e32 v14, 63, v15
	v_lshlrev_b32_e32 v16, 1, v22
	v_add_co_u32_e32 v0, vcc, v0, v14
	v_and_b32_e32 v16, 0xffffff80, v16
	v_addc_co_u32_e32 v1, vcc, 0, v1, vcc
	v_add_co_u32_e32 v0, vcc, v0, v16
	v_addc_co_u32_e32 v1, vcc, 0, v1, vcc
	v_or_b32_e32 v18, v14, v16
	v_mov_b32_e32 v17, v9
	v_cmp_lt_u32_e32 vcc, v18, v103
	v_mov_b32_e32 v23, 0x7f
	v_mov_b32_e32 v25, 0x7f
	s_and_saveexec_b64 s[4:5], vcc
	s_cbranch_execz .LBB395_144
; %bb.143:
	flat_load_ubyte v23, v[0:1]
.LBB395_144:
	s_or_b64 exec, exec, s[4:5]
	v_or_b32_e32 v18, 64, v18
	v_cmp_lt_u32_e64 s[4:5], v18, v103
	s_and_saveexec_b64 s[6:7], s[4:5]
	s_cbranch_execz .LBB395_146
; %bb.145:
	flat_load_ubyte v25, v[0:1] offset:64
.LBB395_146:
	s_or_b64 exec, exec, s[6:7]
	v_lshlrev_b64 v[0:1], 3, v[8:9]
	v_add_co_u32_e64 v4, s[6:7], v4, v0
	v_addc_co_u32_e64 v5, s[6:7], v5, v1, s[6:7]
	v_lshlrev_b32_e32 v9, 3, v14
	v_add_co_u32_e64 v9, s[6:7], v4, v9
	v_addc_co_u32_e64 v18, s[6:7], 0, v5, s[6:7]
	v_lshlrev_b64 v[4:5], 3, v[16:17]
	v_add_co_u32_e64 v4, s[6:7], v9, v4
	v_addc_co_u32_e64 v5, s[6:7], v18, v5, s[6:7]
                                        ; implicit-def: $vgpr18_vgpr19
	s_and_saveexec_b64 s[6:7], vcc
	s_cbranch_execz .LBB395_148
; %bb.147:
	flat_load_dwordx2 v[18:19], v[4:5]
.LBB395_148:
	s_or_b64 exec, exec, s[6:7]
                                        ; implicit-def: $vgpr20_vgpr21
	s_and_saveexec_b64 s[6:7], s[4:5]
	s_cbranch_execz .LBB395_150
; %bb.149:
	flat_load_dwordx2 v[20:21], v[4:5] offset:512
.LBB395_150:
	s_or_b64 exec, exec, s[6:7]
	v_add_co_u32_e32 v9, vcc, 16, v12
	v_and_b32_e32 v17, 0x3c0, v24
	s_waitcnt vmcnt(0) lgkmcnt(0)
	v_xor_b32_e32 v4, 0x80, v23
	v_addc_co_u32_e32 v23, vcc, 0, v13, vcc
	v_lshlrev_b32_e32 v16, 4, v24
	v_min_u32_e32 v17, 0xc0, v17
	s_movk_i32 s4, 0x80
	v_add_co_u32_e32 v26, vcc, v12, v16
	v_or_b32_e32 v17, 63, v17
	v_xor_b32_sdwa v5, v25, s4 dst_sel:BYTE_1 dst_unused:UNUSED_PAD src0_sel:DWORD src1_sel:DWORD
	s_getpc_b64 s[4:5]
	s_add_u32 s4, s4, _ZN7rocprim17ROCPRIM_400000_NS16block_radix_sortIaLj256ELj2ElLj1ELj1ELj8ELNS0_26block_radix_rank_algorithmE2ELNS0_18block_padding_hintE2ELNS0_4arch9wavefront6targetE1EE19radix_bits_per_passE@rel32@lo+4
	s_addc_u32 s5, s5, _ZN7rocprim17ROCPRIM_400000_NS16block_radix_sortIaLj256ELj2ElLj1ELj1ELj8ELNS0_26block_radix_rank_algorithmE2ELNS0_18block_padding_hintE2ELNS0_4arch9wavefront6targetE1EE19radix_bits_per_passE@rel32@hi+12
	v_addc_co_u32_e32 v27, vcc, 0, v13, vcc
	v_and_b32_e32 v16, 15, v15
	v_cmp_eq_u32_e64 s[14:15], v17, v24
	v_add_u32_e32 v17, -1, v15
	v_and_b32_e32 v28, 64, v15
	s_load_dword s42, s[4:5], 0x0
	v_cmp_eq_u32_e32 vcc, 0, v16
	v_cmp_lt_u32_e64 s[4:5], 1, v16
	v_cmp_lt_u32_e64 s[6:7], 3, v16
	;; [unrolled: 1-line block ×3, first 2 shown]
	v_and_b32_e32 v16, 16, v15
	v_cmp_lt_i32_e64 s[20:21], v17, v28
	v_or_b32_sdwa v4, v4, v5 dst_sel:DWORD dst_unused:UNUSED_PAD src0_sel:BYTE_0 src1_sel:DWORD
	v_cmp_eq_u32_e64 s[10:11], 0, v16
	v_lshrrev_b32_e32 v16, 6, v24
	v_cndmask_b32_e64 v17, v17, v15, s[20:21]
	v_and_b32_e32 v66, 0xffff, v4
	v_mov_b32_e32 v4, 0
	v_lshlrev_b32_e32 v67, 2, v17
	v_lshlrev_b32_e32 v17, 2, v16
	v_add_co_u32_e64 v28, s[24:25], v12, v17
	v_add_u32_e32 v16, -1, v16
	v_mov_b32_e32 v17, v4
	v_lshlrev_b32_e32 v5, 2, v24
	v_addc_co_u32_e64 v29, s[24:25], 0, v13, s[24:25]
	v_lshlrev_b64 v[16:17], 2, v[16:17]
	v_add_co_u32_e64 v30, s[24:25], v12, v5
	v_add_co_u32_e64 v32, s[28:29], v12, v16
	v_addc_co_u32_e64 v31, s[24:25], 0, v13, s[24:25]
	v_and_b32_e32 v5, 3, v15
	v_addc_co_u32_e64 v33, s[28:29], v13, v17, s[28:29]
	v_cmp_eq_u32_e64 s[24:25], 0, v5
	v_cmp_lt_u32_e64 s[26:27], 1, v5
	v_lshlrev_b32_e32 v5, 1, v24
	s_movk_i32 s28, 0x780
	v_and_or_b32 v5, v5, s28, v14
	v_add_co_u32_e64 v38, s[28:29], v12, v5
	v_addc_co_u32_e64 v39, s[28:29], 0, v13, s[28:29]
	v_lshrrev_b32_e32 v25, 6, v22
	v_cmp_lt_u32_e64 s[12:13], 31, v15
	v_cmp_gt_u32_e64 s[16:17], 4, v24
	v_cmp_lt_u32_e64 s[18:19], 63, v24
	v_cmp_eq_u32_e64 s[20:21], 0, v15
	v_cmp_eq_u32_e64 s[22:23], 0, v24
	v_mad_u64_u32 v[48:49], s[28:29], v5, 7, v[38:39]
	v_sub_u32_e32 v68, v11, v10
	s_mov_b64 s[36:37], 0
	v_mov_b32_e32 v14, 0
	v_mov_b32_e32 v15, v4
	;; [unrolled: 1-line block ×4, first 2 shown]
	s_waitcnt lgkmcnt(0)
	s_barrier
	s_branch .LBB395_152
.LBB395_151:                            ;   in Loop: Header=BB395_152 Depth=1
	s_or_b64 exec, exec, s[30:31]
	s_and_b64 s[28:29], exec, s[40:41]
	s_or_b64 s[36:37], s[28:29], s[36:37]
	s_andn2_b64 exec, exec, s[36:37]
	s_cbranch_execz .LBB395_170
.LBB395_152:                            ; =>This Inner Loop Header: Depth=1
	v_min_u32_e32 v5, s42, v68
	v_lshlrev_b32_e64 v5, v5, -1
	v_pk_mov_b32 v[34:35], v[20:21], v[20:21] op_sel:[0,1]
	v_not_b32_e32 v20, v5
	v_lshrrev_b32_sdwa v5, v10, v66 dst_sel:DWORD dst_unused:UNUSED_PAD src0_sel:DWORD src1_sel:BYTE_0
	v_pk_mov_b32 v[36:37], v[18:19], v[18:19] op_sel:[0,1]
	v_and_b32_e32 v18, v5, v20
	v_lshlrev_b32_e32 v5, 2, v18
	v_add_lshl_u32 v5, v5, v25, 2
	v_add_co_u32_e64 v50, s[28:29], v9, v5
	v_addc_co_u32_e64 v51, s[28:29], 0, v23, s[28:29]
	v_and_b32_e32 v5, 1, v18
	v_add_co_u32_e64 v19, s[28:29], -1, v5
	v_addc_co_u32_e64 v21, s[28:29], 0, -1, s[28:29]
	v_cmp_ne_u32_e64 s[28:29], 0, v5
	v_xor_b32_e32 v5, s29, v21
	v_and_b32_e32 v21, exec_hi, v5
	v_lshlrev_b32_e32 v5, 30, v18
	v_xor_b32_e32 v19, s28, v19
	v_cmp_gt_i64_e64 s[28:29], 0, v[4:5]
	v_not_b32_e32 v5, v5
	v_ashrrev_i32_e32 v5, 31, v5
	v_and_b32_e32 v19, exec_lo, v19
	v_xor_b32_e32 v52, s29, v5
	v_xor_b32_e32 v5, s28, v5
	v_and_b32_e32 v19, v19, v5
	v_lshlrev_b32_e32 v5, 29, v18
	v_cmp_gt_i64_e64 s[28:29], 0, v[4:5]
	v_not_b32_e32 v5, v5
	v_ashrrev_i32_e32 v5, 31, v5
	v_and_b32_e32 v21, v21, v52
	v_xor_b32_e32 v52, s29, v5
	v_xor_b32_e32 v5, s28, v5
	v_and_b32_e32 v19, v19, v5
	v_lshlrev_b32_e32 v5, 28, v18
	v_cmp_gt_i64_e64 s[28:29], 0, v[4:5]
	v_not_b32_e32 v5, v5
	v_ashrrev_i32_e32 v5, 31, v5
	v_and_b32_e32 v21, v21, v52
	;; [unrolled: 8-line block ×5, first 2 shown]
	v_xor_b32_e32 v52, s29, v5
	v_xor_b32_e32 v5, s28, v5
	v_and_b32_e32 v21, v21, v52
	v_and_b32_e32 v52, v19, v5
	v_lshlrev_b32_e32 v5, 24, v18
	v_cmp_gt_i64_e64 s[28:29], 0, v[4:5]
	v_not_b32_e32 v5, v5
	v_ashrrev_i32_e32 v5, 31, v5
	v_xor_b32_e32 v18, s29, v5
	v_xor_b32_e32 v5, s28, v5
	v_and_b32_e32 v19, v21, v18
	v_and_b32_e32 v18, v52, v5
	v_mbcnt_lo_u32_b32 v5, v18, 0
	v_mbcnt_hi_u32_b32 v54, v19, v5
	v_cmp_eq_u32_e64 s[28:29], 0, v54
	v_cmp_ne_u64_e64 s[30:31], 0, v[18:19]
	s_and_b64 s[30:31], s[30:31], s[28:29]
	flat_store_dwordx4 v[26:27], v[14:17] offset:16
	s_waitcnt lgkmcnt(0)
	s_barrier
	s_waitcnt lgkmcnt(0)
	; wave barrier
	s_and_saveexec_b64 s[28:29], s[30:31]
	s_cbranch_execz .LBB395_154
; %bb.153:                              ;   in Loop: Header=BB395_152 Depth=1
	v_bcnt_u32_b32 v5, v18, 0
	v_bcnt_u32_b32 v5, v19, v5
	flat_store_dword v[50:51], v5
.LBB395_154:                            ;   in Loop: Header=BB395_152 Depth=1
	s_or_b64 exec, exec, s[28:29]
	v_lshrrev_b16_e32 v69, 8, v66
	v_lshrrev_b32_e32 v5, v10, v69
	v_and_b32_e32 v18, v5, v20
	v_lshlrev_b32_e32 v5, 2, v18
	v_add_lshl_u32 v5, v5, v25, 2
	v_add_co_u32_e64 v52, s[28:29], v9, v5
	v_addc_co_u32_e64 v53, s[28:29], 0, v23, s[28:29]
	; wave barrier
	flat_load_dword v55, v[52:53]
	v_and_b32_e32 v5, 1, v18
	v_add_co_u32_e64 v19, s[28:29], -1, v5
	v_addc_co_u32_e64 v20, s[28:29], 0, -1, s[28:29]
	v_cmp_ne_u32_e64 s[28:29], 0, v5
	v_xor_b32_e32 v5, s29, v20
	v_and_b32_e32 v20, exec_hi, v5
	v_lshlrev_b32_e32 v5, 30, v18
	v_xor_b32_e32 v19, s28, v19
	v_cmp_gt_i64_e64 s[28:29], 0, v[4:5]
	v_not_b32_e32 v5, v5
	v_ashrrev_i32_e32 v5, 31, v5
	v_and_b32_e32 v19, exec_lo, v19
	v_xor_b32_e32 v21, s29, v5
	v_xor_b32_e32 v5, s28, v5
	v_and_b32_e32 v19, v19, v5
	v_lshlrev_b32_e32 v5, 29, v18
	v_cmp_gt_i64_e64 s[28:29], 0, v[4:5]
	v_not_b32_e32 v5, v5
	v_ashrrev_i32_e32 v5, 31, v5
	v_and_b32_e32 v20, v20, v21
	v_xor_b32_e32 v21, s29, v5
	v_xor_b32_e32 v5, s28, v5
	v_and_b32_e32 v19, v19, v5
	v_lshlrev_b32_e32 v5, 28, v18
	v_cmp_gt_i64_e64 s[28:29], 0, v[4:5]
	v_not_b32_e32 v5, v5
	v_ashrrev_i32_e32 v5, 31, v5
	v_and_b32_e32 v20, v20, v21
	;; [unrolled: 8-line block ×5, first 2 shown]
	v_xor_b32_e32 v21, s29, v5
	v_xor_b32_e32 v5, s28, v5
	v_and_b32_e32 v20, v20, v21
	v_and_b32_e32 v21, v19, v5
	v_lshlrev_b32_e32 v5, 24, v18
	v_cmp_gt_i64_e64 s[28:29], 0, v[4:5]
	v_not_b32_e32 v5, v5
	v_ashrrev_i32_e32 v5, 31, v5
	v_xor_b32_e32 v18, s29, v5
	v_xor_b32_e32 v5, s28, v5
	v_and_b32_e32 v19, v20, v18
	v_and_b32_e32 v18, v21, v5
	v_mbcnt_lo_u32_b32 v5, v18, 0
	v_mbcnt_hi_u32_b32 v5, v19, v5
	v_cmp_eq_u32_e64 s[28:29], 0, v5
	v_cmp_ne_u64_e64 s[30:31], 0, v[18:19]
	s_and_b64 s[30:31], s[30:31], s[28:29]
	; wave barrier
	s_and_saveexec_b64 s[28:29], s[30:31]
	s_cbranch_execz .LBB395_156
; %bb.155:                              ;   in Loop: Header=BB395_152 Depth=1
	v_bcnt_u32_b32 v18, v18, 0
	v_bcnt_u32_b32 v18, v19, v18
	s_waitcnt vmcnt(0) lgkmcnt(0)
	v_add_u32_e32 v18, v55, v18
	flat_store_dword v[52:53], v18
.LBB395_156:                            ;   in Loop: Header=BB395_152 Depth=1
	s_or_b64 exec, exec, s[28:29]
	; wave barrier
	s_waitcnt lgkmcnt(0)
	s_barrier
	flat_load_dwordx4 v[18:21], v[26:27] offset:16
	s_waitcnt vmcnt(0) lgkmcnt(0)
	v_add_u32_e32 v64, v19, v18
	v_add3_u32 v21, v64, v20, v21
	s_nop 1
	v_mov_b32_dpp v64, v21 row_shr:1 row_mask:0xf bank_mask:0xf
	v_cndmask_b32_e64 v64, v64, 0, vcc
	v_add_u32_e32 v21, v64, v21
	s_nop 1
	v_mov_b32_dpp v64, v21 row_shr:2 row_mask:0xf bank_mask:0xf
	v_cndmask_b32_e64 v64, 0, v64, s[4:5]
	v_add_u32_e32 v21, v21, v64
	s_nop 1
	v_mov_b32_dpp v64, v21 row_shr:4 row_mask:0xf bank_mask:0xf
	v_cndmask_b32_e64 v64, 0, v64, s[6:7]
	;; [unrolled: 4-line block ×3, first 2 shown]
	v_add_u32_e32 v21, v21, v64
	s_nop 1
	v_mov_b32_dpp v64, v21 row_bcast:15 row_mask:0xf bank_mask:0xf
	v_cndmask_b32_e64 v64, v64, 0, s[10:11]
	v_add_u32_e32 v21, v21, v64
	s_nop 1
	v_mov_b32_dpp v64, v21 row_bcast:31 row_mask:0xf bank_mask:0xf
	v_cndmask_b32_e64 v64, 0, v64, s[12:13]
	v_add_u32_e32 v21, v21, v64
	s_and_saveexec_b64 s[28:29], s[14:15]
	s_cbranch_execz .LBB395_158
; %bb.157:                              ;   in Loop: Header=BB395_152 Depth=1
	flat_store_dword v[28:29], v21
.LBB395_158:                            ;   in Loop: Header=BB395_152 Depth=1
	s_or_b64 exec, exec, s[28:29]
	s_waitcnt lgkmcnt(0)
	s_barrier
	s_and_saveexec_b64 s[28:29], s[16:17]
	s_cbranch_execz .LBB395_160
; %bb.159:                              ;   in Loop: Header=BB395_152 Depth=1
	flat_load_dword v64, v[30:31]
	s_waitcnt vmcnt(0) lgkmcnt(0)
	s_nop 0
	v_mov_b32_dpp v65, v64 row_shr:1 row_mask:0xf bank_mask:0xf
	v_cndmask_b32_e64 v65, v65, 0, s[24:25]
	v_add_u32_e32 v64, v65, v64
	s_nop 1
	v_mov_b32_dpp v65, v64 row_shr:2 row_mask:0xf bank_mask:0xf
	v_cndmask_b32_e64 v65, 0, v65, s[26:27]
	v_add_u32_e32 v64, v64, v65
	flat_store_dword v[30:31], v64
.LBB395_160:                            ;   in Loop: Header=BB395_152 Depth=1
	s_or_b64 exec, exec, s[28:29]
	v_mov_b32_e32 v64, 0
	s_waitcnt lgkmcnt(0)
	s_barrier
	s_and_saveexec_b64 s[28:29], s[18:19]
	s_cbranch_execz .LBB395_162
; %bb.161:                              ;   in Loop: Header=BB395_152 Depth=1
	flat_load_dword v64, v[32:33]
.LBB395_162:                            ;   in Loop: Header=BB395_152 Depth=1
	s_or_b64 exec, exec, s[28:29]
	s_waitcnt vmcnt(0) lgkmcnt(0)
	v_add_u32_e32 v21, v64, v21
	ds_bpermute_b32 v21, v67, v21
	v_add_u32_e32 v10, 8, v10
	v_cmp_lt_u32_e64 s[28:29], v10, v11
	s_mov_b64 s[40:41], -1
	s_waitcnt lgkmcnt(0)
	v_cndmask_b32_e64 v21, v21, v64, s[20:21]
	v_cndmask_b32_e64 v80, v21, 0, s[22:23]
	v_add_u32_e32 v81, v80, v18
	v_add_u32_e32 v82, v81, v19
	;; [unrolled: 1-line block ×3, first 2 shown]
	flat_store_dwordx4 v[26:27], v[80:83] offset:16
	s_waitcnt lgkmcnt(0)
	s_barrier
	flat_load_dword v18, v[50:51]
	flat_load_dword v19, v[52:53]
	v_mov_b32_e32 v51, v66
	s_waitcnt lgkmcnt(0)
                                        ; implicit-def: $vgpr20_vgpr21
	s_waitcnt vmcnt(0) lgkmcnt(0)
	v_add_u32_e32 v52, v18, v54
	v_add_co_u32_e64 v54, s[30:31], v12, v52
	v_add3_u32 v50, v5, v55, v19
	v_addc_co_u32_e64 v55, s[30:31], 0, v13, s[30:31]
	v_add_co_u32_e64 v64, s[30:31], v12, v50
	v_addc_co_u32_e64 v65, s[30:31], 0, v13, s[30:31]
                                        ; implicit-def: $vgpr18_vgpr19
	s_and_saveexec_b64 s[30:31], s[28:29]
	s_cbranch_execz .LBB395_151
; %bb.163:                              ;   in Loop: Header=BB395_152 Depth=1
	s_barrier
	flat_store_byte v[54:55], v66
	flat_store_byte v[64:65], v69
	s_waitcnt lgkmcnt(0)
	s_barrier
	flat_load_ubyte v5, v[38:39]
	flat_load_ubyte v53, v[38:39] offset:64
	v_mad_u64_u32 v[18:19], s[28:29], v52, 7, v[54:55]
	s_waitcnt lgkmcnt(0)
	s_barrier
	flat_store_dwordx2 v[18:19], v[36:37]
	v_mad_u64_u32 v[18:19], s[28:29], v50, 7, v[64:65]
	flat_store_dwordx2 v[18:19], v[34:35]
	s_waitcnt lgkmcnt(0)
	s_barrier
	flat_load_dwordx2 v[18:19], v[48:49]
	flat_load_dwordx2 v[20:21], v[48:49] offset:512
	v_add_u32_e32 v68, -8, v68
	s_xor_b64 s[40:41], exec, -1
	s_waitcnt lgkmcnt(0)
	s_barrier
	s_waitcnt vmcnt(0)
	v_lshlrev_b16_e32 v53, 8, v53
	v_or_b32_e32 v5, v5, v53
	v_and_b32_e32 v66, 0xffff, v5
	s_branch .LBB395_151
.LBB395_164:
	flat_load_dwordx2 v[18:19], v[4:5]
	s_or_b64 exec, exec, s[14:15]
                                        ; implicit-def: $vgpr20_vgpr21
	s_and_saveexec_b64 s[14:15], s[4:5]
	s_cbranch_execz .LBB395_91
.LBB395_165:
	flat_load_dwordx2 v[20:21], v[4:5] offset:512
	s_or_b64 exec, exec, s[14:15]
                                        ; implicit-def: $vgpr54_vgpr55
	s_and_saveexec_b64 s[4:5], s[6:7]
	s_cbranch_execz .LBB395_92
.LBB395_166:
	flat_load_dwordx2 v[54:55], v[4:5] offset:1024
	s_or_b64 exec, exec, s[4:5]
                                        ; implicit-def: $vgpr64_vgpr65
	s_and_saveexec_b64 s[4:5], s[10:11]
	s_cbranch_execnz .LBB395_93
	s_branch .LBB395_94
.LBB395_167:
	s_waitcnt vmcnt(0)
	flat_store_dwordx2 v[0:1], v[14:15]
	s_or_b64 exec, exec, s[14:15]
	s_and_saveexec_b64 s[14:15], s[4:5]
	s_cbranch_execz .LBB395_136
.LBB395_168:
	s_waitcnt vmcnt(0)
	flat_store_dwordx2 v[0:1], v[12:13] offset:2048
	s_or_b64 exec, exec, s[14:15]
	s_and_saveexec_b64 s[4:5], s[10:11]
	s_cbranch_execz .LBB395_137
.LBB395_169:
	v_add_co_u32_e32 v2, vcc, 0x1000, v0
	v_addc_co_u32_e32 v3, vcc, 0, v1, vcc
	s_waitcnt vmcnt(0)
	flat_store_dwordx2 v[2:3], v[10:11]
	s_or_b64 exec, exec, s[4:5]
	s_and_saveexec_b64 s[4:5], s[6:7]
	s_cbranch_execnz .LBB395_138
	s_branch .LBB395_139
.LBB395_170:
	s_or_b64 exec, exec, s[36:37]
	v_add_co_u32_e32 v4, vcc, v12, v24
	v_addc_co_u32_e32 v5, vcc, 0, v13, vcc
	v_mad_u64_u32 v[10:11], s[4:5], v52, 7, v[54:55]
	s_barrier
	flat_store_byte v[54:55], v51
	flat_store_byte v[64:65], v69
	s_waitcnt lgkmcnt(0)
	s_barrier
	flat_load_ubyte v12, v[4:5]
	flat_load_ubyte v9, v[4:5] offset:256
	s_waitcnt lgkmcnt(0)
	s_barrier
	flat_store_dwordx2 v[10:11], v[36:37]
	v_mad_u64_u32 v[10:11], s[4:5], v50, 7, v[64:65]
	v_mad_u64_u32 v[14:15], s[4:5], v24, 7, v[4:5]
	flat_store_dwordx2 v[10:11], v[34:35]
	s_waitcnt lgkmcnt(0)
	s_barrier
	flat_load_dwordx2 v[10:11], v[14:15]
	flat_load_dwordx2 v[4:5], v[14:15] offset:2048
	v_add_co_u32_e32 v2, vcc, v2, v8
	v_addc_co_u32_e32 v3, vcc, 0, v3, vcc
	v_add_co_u32_e32 v2, vcc, v2, v22
	v_addc_co_u32_e32 v3, vcc, 0, v3, vcc
	v_mov_b32_e32 v23, 0
	v_cmp_lt_u32_e32 vcc, v22, v103
	s_waitcnt lgkmcnt(0)
	s_barrier
	s_and_saveexec_b64 s[4:5], vcc
	s_cbranch_execz .LBB395_172
; %bb.171:
	s_waitcnt vmcnt(0)
	v_xor_b32_e32 v8, 0x80, v12
	flat_store_byte v[2:3], v8
.LBB395_172:
	s_or_b64 exec, exec, s[4:5]
	v_add_u32_e32 v8, 0x100, v22
	v_cmp_lt_u32_e64 s[4:5], v8, v103
	s_and_saveexec_b64 s[6:7], s[4:5]
	s_cbranch_execz .LBB395_174
; %bb.173:
	s_waitcnt vmcnt(0)
	v_xor_b32_e32 v8, 0x80, v9
	flat_store_byte v[2:3], v8 offset:256
.LBB395_174:
	s_or_b64 exec, exec, s[6:7]
	v_add_co_u32_e64 v2, s[6:7], v6, v0
	v_addc_co_u32_e64 v3, s[6:7], v7, v1, s[6:7]
	v_lshlrev_b64 v[0:1], 3, v[22:23]
	v_add_co_u32_e64 v0, s[6:7], v2, v0
	v_addc_co_u32_e64 v1, s[6:7], v3, v1, s[6:7]
	s_and_saveexec_b64 s[6:7], vcc
	s_cbranch_execz .LBB395_176
; %bb.175:
	s_waitcnt vmcnt(0)
	flat_store_dwordx2 v[0:1], v[10:11]
.LBB395_176:
	s_or_b64 exec, exec, s[6:7]
	s_and_saveexec_b64 s[6:7], s[4:5]
	s_cbranch_execz .LBB395_178
; %bb.177:
	s_waitcnt vmcnt(0)
	flat_store_dwordx2 v[0:1], v[4:5] offset:2048
.LBB395_178:
	s_or_b64 exec, exec, s[6:7]
                                        ; implicit-def: $vgpr24
                                        ; implicit-def: $vgpr22_vgpr23
                                        ; implicit-def: $vgpr8_vgpr9
                                        ; implicit-def: $vgpr103
                                        ; implicit-def: $vgpr0
                                        ; implicit-def: $vgpr1
                                        ; implicit-def: $vgpr2
                                        ; implicit-def: $vgpr3
                                        ; implicit-def: $vgpr4
                                        ; implicit-def: $vgpr5
                                        ; implicit-def: $vgpr6
                                        ; implicit-def: $vgpr7
                                        ; implicit-def: $vgpr10
                                        ; implicit-def: $vgpr11
                                        ; implicit-def: $vgpr12
                                        ; implicit-def: $vgpr13
                                        ; implicit-def: $vgpr14
.LBB395_179:
	s_andn2_saveexec_b64 s[4:5], s[34:35]
	s_cbranch_execz .LBB395_199
; %bb.180:
	v_mbcnt_hi_u32_b32 v17, -1, v14
	v_bfi_b32 v15, 63, v17, v22
	v_and_b32_e32 v16, 63, v17
	v_and_b32_e32 v14, 0xffffffc0, v22
	v_cmp_lt_u32_e32 vcc, v15, v103
	v_mov_b32_e32 v21, 0xff
	s_and_saveexec_b64 s[6:7], vcc
	s_cbranch_execz .LBB395_182
; %bb.181:
	v_add_co_u32_e64 v0, s[4:5], v0, v8
	v_addc_co_u32_e64 v1, s[4:5], 0, v1, s[4:5]
	v_add_co_u32_e64 v0, s[4:5], v0, v16
	v_addc_co_u32_e64 v1, s[4:5], 0, v1, s[4:5]
	;; [unrolled: 2-line block ×3, first 2 shown]
	flat_load_ubyte v0, v[0:1]
	s_waitcnt vmcnt(0) lgkmcnt(0)
	v_xor_b32_e32 v21, 0xffffff80, v0
.LBB395_182:
	s_or_b64 exec, exec, s[6:7]
	s_waitcnt vmcnt(0)
	v_lshlrev_b64 v[0:1], 3, v[8:9]
                                        ; implicit-def: $vgpr18_vgpr19
	s_and_saveexec_b64 s[4:5], vcc
	s_cbranch_execz .LBB395_184
; %bb.183:
	v_add_co_u32_e32 v4, vcc, v4, v0
	v_addc_co_u32_e32 v5, vcc, v5, v1, vcc
	v_lshlrev_b32_e32 v9, 3, v16
	v_mov_b32_e32 v15, 0
	v_add_co_u32_e32 v9, vcc, v4, v9
	v_addc_co_u32_e32 v18, vcc, 0, v5, vcc
	v_lshlrev_b64 v[4:5], 3, v[14:15]
	v_add_co_u32_e32 v4, vcc, v9, v4
	v_addc_co_u32_e32 v5, vcc, v18, v5, vcc
	flat_load_dwordx2 v[18:19], v[4:5]
.LBB395_184:
	s_or_b64 exec, exec, s[4:5]
	v_add_co_u32_e32 v9, vcc, 16, v12
	v_and_b32_e32 v20, 0x3c0, v24
	v_addc_co_u32_e32 v23, vcc, 0, v13, vcc
	v_lshlrev_b32_e32 v14, 4, v24
	v_min_u32_e32 v15, 0xc0, v20
	v_add_co_u32_e32 v26, vcc, v12, v14
	v_or_b32_e32 v15, 63, v15
	s_getpc_b64 s[4:5]
	s_add_u32 s4, s4, _ZN7rocprim17ROCPRIM_400000_NS16block_radix_sortIaLj256ELj1ElLj1ELj1ELj8ELNS0_26block_radix_rank_algorithmE2ELNS0_18block_padding_hintE2ELNS0_4arch9wavefront6targetE1EE19radix_bits_per_passE@rel32@lo+4
	s_addc_u32 s5, s5, _ZN7rocprim17ROCPRIM_400000_NS16block_radix_sortIaLj256ELj1ElLj1ELj1ELj8ELNS0_26block_radix_rank_algorithmE2ELNS0_18block_padding_hintE2ELNS0_4arch9wavefront6targetE1EE19radix_bits_per_passE@rel32@hi+12
	v_addc_co_u32_e32 v27, vcc, 0, v13, vcc
	v_and_b32_e32 v14, 15, v17
	v_cmp_eq_u32_e64 s[14:15], v15, v24
	v_add_u32_e32 v15, -1, v17
	v_and_b32_e32 v28, 64, v17
	s_load_dword s40, s[4:5], 0x0
	v_cmp_eq_u32_e32 vcc, 0, v14
	v_cmp_lt_u32_e64 s[4:5], 1, v14
	v_cmp_lt_u32_e64 s[6:7], 3, v14
	;; [unrolled: 1-line block ×3, first 2 shown]
	v_and_b32_e32 v14, 16, v17
	v_cmp_lt_i32_e64 s[20:21], v15, v28
	v_cmp_eq_u32_e64 s[10:11], 0, v14
	v_lshrrev_b32_e32 v14, 6, v24
	v_cndmask_b32_e64 v15, v15, v17, s[20:21]
	v_lshlrev_b32_e32 v50, 2, v15
	v_lshlrev_b32_e32 v15, 2, v14
	v_mov_b32_e32 v4, 0
	v_add_co_u32_e64 v28, s[24:25], v12, v15
	v_lshlrev_b32_e32 v5, 2, v24
	v_addc_co_u32_e64 v29, s[24:25], 0, v13, s[24:25]
	v_add_u32_e32 v14, -1, v14
	v_mov_b32_e32 v15, v4
	v_add_co_u32_e64 v30, s[24:25], v12, v5
	v_lshlrev_b64 v[14:15], 2, v[14:15]
	v_addc_co_u32_e64 v31, s[24:25], 0, v13, s[24:25]
	v_and_b32_e32 v5, 3, v17
	v_add_co_u32_e64 v32, s[28:29], v12, v14
	v_cmp_eq_u32_e64 s[24:25], 0, v5
	v_cmp_lt_u32_e64 s[26:27], 1, v5
	v_addc_co_u32_e64 v33, s[28:29], v13, v15, s[28:29]
	v_or_b32_e32 v5, v16, v20
	v_add_co_u32_e64 v36, s[28:29], v12, v5
	v_addc_co_u32_e64 v37, s[28:29], 0, v13, s[28:29]
	v_lshrrev_b32_e32 v25, 6, v22
	v_cmp_lt_u32_e64 s[12:13], 31, v17
	v_cmp_gt_u32_e64 s[16:17], 4, v24
	v_cmp_lt_u32_e64 s[18:19], 63, v24
	v_cmp_eq_u32_e64 s[20:21], 0, v17
	v_cmp_eq_u32_e64 s[22:23], 0, v24
	v_mad_u64_u32 v[38:39], s[28:29], v5, 7, v[36:37]
	v_sub_u32_e32 v51, v11, v10
	s_mov_b64 s[34:35], 0
	v_mov_b32_e32 v14, 0
	v_mov_b32_e32 v15, v4
	;; [unrolled: 1-line block ×4, first 2 shown]
	s_waitcnt lgkmcnt(0)
	s_barrier
	s_branch .LBB395_186
.LBB395_185:                            ;   in Loop: Header=BB395_186 Depth=1
	s_or_b64 exec, exec, s[30:31]
	s_and_b64 s[28:29], exec, s[36:37]
	s_or_b64 s[34:35], s[28:29], s[34:35]
	s_andn2_b64 exec, exec, s[34:35]
	s_cbranch_execz .LBB395_196
.LBB395_186:                            ; =>This Inner Loop Header: Depth=1
	s_waitcnt vmcnt(0)
	v_mov_b32_e32 v52, v21
	s_waitcnt vmcnt(0)
	v_pk_mov_b32 v[34:35], v[18:19], v[18:19] op_sel:[0,1]
	v_min_u32_e32 v5, s40, v51
	v_lshrrev_b32_sdwa v18, v10, v52 dst_sel:DWORD dst_unused:UNUSED_PAD src0_sel:DWORD src1_sel:BYTE_0
	v_bfe_u32 v18, v18, 0, v5
	v_lshlrev_b32_e32 v5, 2, v18
	v_add_lshl_u32 v5, v5, v25, 2
	v_add_co_u32_e64 v48, s[28:29], v9, v5
	v_addc_co_u32_e64 v49, s[28:29], 0, v23, s[28:29]
	v_and_b32_e32 v5, 1, v18
	v_add_co_u32_e64 v19, s[28:29], -1, v5
	v_addc_co_u32_e64 v20, s[28:29], 0, -1, s[28:29]
	v_cmp_ne_u32_e64 s[28:29], 0, v5
	v_xor_b32_e32 v5, s29, v20
	v_and_b32_e32 v20, exec_hi, v5
	v_lshlrev_b32_e32 v5, 30, v18
	v_xor_b32_e32 v19, s28, v19
	v_cmp_gt_i64_e64 s[28:29], 0, v[4:5]
	v_not_b32_e32 v5, v5
	v_ashrrev_i32_e32 v5, 31, v5
	v_and_b32_e32 v19, exec_lo, v19
	v_xor_b32_e32 v21, s29, v5
	v_xor_b32_e32 v5, s28, v5
	v_and_b32_e32 v19, v19, v5
	v_lshlrev_b32_e32 v5, 29, v18
	v_cmp_gt_i64_e64 s[28:29], 0, v[4:5]
	v_not_b32_e32 v5, v5
	v_ashrrev_i32_e32 v5, 31, v5
	v_and_b32_e32 v20, v20, v21
	v_xor_b32_e32 v21, s29, v5
	v_xor_b32_e32 v5, s28, v5
	v_and_b32_e32 v19, v19, v5
	v_lshlrev_b32_e32 v5, 28, v18
	v_cmp_gt_i64_e64 s[28:29], 0, v[4:5]
	v_not_b32_e32 v5, v5
	v_ashrrev_i32_e32 v5, 31, v5
	v_and_b32_e32 v20, v20, v21
	v_xor_b32_e32 v21, s29, v5
	v_xor_b32_e32 v5, s28, v5
	v_and_b32_e32 v19, v19, v5
	v_lshlrev_b32_e32 v5, 27, v18
	v_cmp_gt_i64_e64 s[28:29], 0, v[4:5]
	v_not_b32_e32 v5, v5
	v_ashrrev_i32_e32 v5, 31, v5
	v_and_b32_e32 v20, v20, v21
	v_xor_b32_e32 v21, s29, v5
	v_xor_b32_e32 v5, s28, v5
	v_and_b32_e32 v19, v19, v5
	v_lshlrev_b32_e32 v5, 26, v18
	v_cmp_gt_i64_e64 s[28:29], 0, v[4:5]
	v_not_b32_e32 v5, v5
	v_ashrrev_i32_e32 v5, 31, v5
	v_and_b32_e32 v20, v20, v21
	v_xor_b32_e32 v21, s29, v5
	v_xor_b32_e32 v5, s28, v5
	v_and_b32_e32 v19, v19, v5
	v_lshlrev_b32_e32 v5, 25, v18
	v_cmp_gt_i64_e64 s[28:29], 0, v[4:5]
	v_not_b32_e32 v5, v5
	v_ashrrev_i32_e32 v5, 31, v5
	v_and_b32_e32 v20, v20, v21
	v_xor_b32_e32 v21, s29, v5
	v_xor_b32_e32 v5, s28, v5
	v_and_b32_e32 v20, v20, v21
	v_and_b32_e32 v21, v19, v5
	v_lshlrev_b32_e32 v5, 24, v18
	v_cmp_gt_i64_e64 s[28:29], 0, v[4:5]
	v_not_b32_e32 v5, v5
	v_ashrrev_i32_e32 v5, 31, v5
	v_xor_b32_e32 v18, s29, v5
	v_xor_b32_e32 v5, s28, v5
	v_and_b32_e32 v19, v20, v18
	v_and_b32_e32 v18, v21, v5
	v_mbcnt_lo_u32_b32 v5, v18, 0
	v_mbcnt_hi_u32_b32 v5, v19, v5
	v_cmp_eq_u32_e64 s[28:29], 0, v5
	v_cmp_ne_u64_e64 s[30:31], 0, v[18:19]
	s_and_b64 s[30:31], s[30:31], s[28:29]
	flat_store_dwordx4 v[26:27], v[14:17] offset:16
	s_waitcnt lgkmcnt(0)
	s_barrier
	s_waitcnt lgkmcnt(0)
	; wave barrier
	s_and_saveexec_b64 s[28:29], s[30:31]
	s_cbranch_execz .LBB395_188
; %bb.187:                              ;   in Loop: Header=BB395_186 Depth=1
	v_bcnt_u32_b32 v18, v18, 0
	v_bcnt_u32_b32 v18, v19, v18
	flat_store_dword v[48:49], v18
.LBB395_188:                            ;   in Loop: Header=BB395_186 Depth=1
	s_or_b64 exec, exec, s[28:29]
	; wave barrier
	s_waitcnt lgkmcnt(0)
	s_barrier
	flat_load_dwordx4 v[18:21], v[26:27] offset:16
	s_waitcnt vmcnt(0) lgkmcnt(0)
	v_add_u32_e32 v53, v19, v18
	v_add3_u32 v21, v53, v20, v21
	s_nop 1
	v_mov_b32_dpp v53, v21 row_shr:1 row_mask:0xf bank_mask:0xf
	v_cndmask_b32_e64 v53, v53, 0, vcc
	v_add_u32_e32 v21, v53, v21
	s_nop 1
	v_mov_b32_dpp v53, v21 row_shr:2 row_mask:0xf bank_mask:0xf
	v_cndmask_b32_e64 v53, 0, v53, s[4:5]
	v_add_u32_e32 v21, v21, v53
	s_nop 1
	v_mov_b32_dpp v53, v21 row_shr:4 row_mask:0xf bank_mask:0xf
	v_cndmask_b32_e64 v53, 0, v53, s[6:7]
	;; [unrolled: 4-line block ×3, first 2 shown]
	v_add_u32_e32 v21, v21, v53
	s_nop 1
	v_mov_b32_dpp v53, v21 row_bcast:15 row_mask:0xf bank_mask:0xf
	v_cndmask_b32_e64 v53, v53, 0, s[10:11]
	v_add_u32_e32 v21, v21, v53
	s_nop 1
	v_mov_b32_dpp v53, v21 row_bcast:31 row_mask:0xf bank_mask:0xf
	v_cndmask_b32_e64 v53, 0, v53, s[12:13]
	v_add_u32_e32 v21, v21, v53
	s_and_saveexec_b64 s[28:29], s[14:15]
	s_cbranch_execz .LBB395_190
; %bb.189:                              ;   in Loop: Header=BB395_186 Depth=1
	flat_store_dword v[28:29], v21
.LBB395_190:                            ;   in Loop: Header=BB395_186 Depth=1
	s_or_b64 exec, exec, s[28:29]
	s_waitcnt lgkmcnt(0)
	s_barrier
	s_and_saveexec_b64 s[28:29], s[16:17]
	s_cbranch_execz .LBB395_192
; %bb.191:                              ;   in Loop: Header=BB395_186 Depth=1
	flat_load_dword v53, v[30:31]
	s_waitcnt vmcnt(0) lgkmcnt(0)
	s_nop 0
	v_mov_b32_dpp v54, v53 row_shr:1 row_mask:0xf bank_mask:0xf
	v_cndmask_b32_e64 v54, v54, 0, s[24:25]
	v_add_u32_e32 v53, v54, v53
	s_nop 1
	v_mov_b32_dpp v54, v53 row_shr:2 row_mask:0xf bank_mask:0xf
	v_cndmask_b32_e64 v54, 0, v54, s[26:27]
	v_add_u32_e32 v53, v53, v54
	flat_store_dword v[30:31], v53
.LBB395_192:                            ;   in Loop: Header=BB395_186 Depth=1
	s_or_b64 exec, exec, s[28:29]
	v_mov_b32_e32 v53, 0
	s_waitcnt lgkmcnt(0)
	s_barrier
	s_and_saveexec_b64 s[28:29], s[18:19]
	s_cbranch_execz .LBB395_194
; %bb.193:                              ;   in Loop: Header=BB395_186 Depth=1
	flat_load_dword v53, v[32:33]
.LBB395_194:                            ;   in Loop: Header=BB395_186 Depth=1
	s_or_b64 exec, exec, s[28:29]
	s_waitcnt vmcnt(0) lgkmcnt(0)
	v_add_u32_e32 v21, v53, v21
	ds_bpermute_b32 v21, v50, v21
	v_add_u32_e32 v10, 8, v10
	v_cmp_lt_u32_e64 s[28:29], v10, v11
	s_mov_b64 s[36:37], -1
	s_waitcnt lgkmcnt(0)
	v_cndmask_b32_e64 v21, v21, v53, s[20:21]
	v_cndmask_b32_e64 v64, v21, 0, s[22:23]
	v_add_u32_e32 v65, v64, v18
	v_add_u32_e32 v66, v65, v19
	v_add_u32_e32 v67, v66, v20
	flat_store_dwordx4 v[26:27], v[64:67] offset:16
	s_waitcnt lgkmcnt(0)
	s_barrier
	flat_load_dword v18, v[48:49]
	s_waitcnt lgkmcnt(0)
                                        ; implicit-def: $vgpr21
	s_waitcnt vmcnt(0) lgkmcnt(0)
	v_add_u32_e32 v20, v18, v5
	v_add_co_u32_e64 v48, s[30:31], v12, v20
	v_addc_co_u32_e64 v49, s[30:31], 0, v13, s[30:31]
                                        ; implicit-def: $vgpr18_vgpr19
	s_and_saveexec_b64 s[30:31], s[28:29]
	s_cbranch_execz .LBB395_185
; %bb.195:                              ;   in Loop: Header=BB395_186 Depth=1
	v_mad_u64_u32 v[18:19], s[28:29], v20, 7, v[48:49]
	s_barrier
	flat_store_byte v[48:49], v52
	s_waitcnt lgkmcnt(0)
	s_barrier
	flat_load_ubyte v21, v[36:37]
	s_waitcnt lgkmcnt(0)
	s_barrier
	flat_store_dwordx2 v[18:19], v[34:35]
	s_waitcnt lgkmcnt(0)
	s_barrier
	flat_load_dwordx2 v[18:19], v[38:39]
	v_add_u32_e32 v51, -8, v51
	s_xor_b64 s[36:37], exec, -1
	s_waitcnt lgkmcnt(0)
	s_barrier
	s_branch .LBB395_185
.LBB395_196:
	s_or_b64 exec, exec, s[34:35]
	v_add_co_u32_e32 v4, vcc, v12, v24
	v_addc_co_u32_e32 v5, vcc, 0, v13, vcc
	s_barrier
	flat_store_byte v[48:49], v52
	s_waitcnt lgkmcnt(0)
	s_barrier
	flat_load_ubyte v9, v[4:5]
	v_mad_u64_u32 v[10:11], s[4:5], v20, 7, v[48:49]
	v_mad_u64_u32 v[4:5], s[4:5], v24, 7, v[4:5]
	s_waitcnt lgkmcnt(0)
	s_barrier
	flat_store_dwordx2 v[10:11], v[34:35]
	s_waitcnt lgkmcnt(0)
	s_barrier
	flat_load_dwordx2 v[4:5], v[4:5]
	v_cmp_lt_u32_e32 vcc, v22, v103
	s_waitcnt lgkmcnt(0)
	s_barrier
	s_and_saveexec_b64 s[4:5], vcc
	s_cbranch_execz .LBB395_198
; %bb.197:
	v_add_co_u32_e32 v6, vcc, v6, v0
	v_mov_b32_e32 v23, 0
	v_addc_co_u32_e32 v7, vcc, v7, v1, vcc
	v_lshlrev_b64 v[0:1], 3, v[22:23]
	v_add_co_u32_e32 v0, vcc, v6, v0
	v_addc_co_u32_e32 v1, vcc, v7, v1, vcc
	v_add_co_u32_e32 v2, vcc, v2, v8
	v_addc_co_u32_e32 v3, vcc, 0, v3, vcc
	v_add_co_u32_e32 v2, vcc, v2, v22
	s_waitcnt vmcnt(0)
	v_xor_b32_e32 v6, 0x80, v9
	v_addc_co_u32_e32 v3, vcc, 0, v3, vcc
	flat_store_byte v[2:3], v6
	flat_store_dwordx2 v[0:1], v[4:5]
.LBB395_198:
	s_or_b64 exec, exec, s[4:5]
.LBB395_199:
	s_or_b64 exec, exec, s[38:39]
	v_readlane_b32 s30, v40, 13
	v_readlane_b32 s31, v40, 14
	;; [unrolled: 1-line block ×15, first 2 shown]
	s_or_saveexec_b64 s[4:5], -1
	buffer_load_dword v40, off, s[0:3], s32 ; 4-byte Folded Reload
	s_mov_b64 exec, s[4:5]
	s_waitcnt vmcnt(0) lgkmcnt(0)
	s_setpc_b64 s[30:31]
.Lfunc_end395:
	.size	_ZN7rocprim17ROCPRIM_400000_NS6detail40segmented_radix_sort_single_block_helperIalLj256ELj8ELb0EE4sortIPKaPaPKlPlEEbT_T0_T1_T2_jjjjRNS3_12storage_typeE, .Lfunc_end395-_ZN7rocprim17ROCPRIM_400000_NS6detail40segmented_radix_sort_single_block_helperIalLj256ELj8ELb0EE4sortIPKaPaPKlPlEEbT_T0_T1_T2_jjjjRNS3_12storage_typeE
                                        ; -- End function
	.section	.AMDGPU.csdata,"",@progbits
; Function info:
; codeLenInByte = 16088
; NumSgprs: 51
; NumVgprs: 168
; NumAgprs: 0
; TotalNumVgprs: 168
; ScratchSize: 8
; MemoryBound: 1
	.section	.text._ZN7rocprim17ROCPRIM_400000_NS6detail17trampoline_kernelINS0_14default_configENS1_36segmented_radix_sort_config_selectorIalEEZNS1_25segmented_radix_sort_implIS3_Lb0EPKaPaPKlPlN2at6native12_GLOBAL__N_18offset_tEEE10hipError_tPvRmT1_PNSt15iterator_traitsISK_E10value_typeET2_T3_PNSL_ISQ_E10value_typeET4_jRbjT5_SW_jjP12ihipStream_tbEUlT_E_NS1_11comp_targetILNS1_3genE4ELNS1_11target_archE910ELNS1_3gpuE8ELNS1_3repE0EEENS1_30default_config_static_selectorELNS0_4arch9wavefront6targetE1EEEvSK_,"axG",@progbits,_ZN7rocprim17ROCPRIM_400000_NS6detail17trampoline_kernelINS0_14default_configENS1_36segmented_radix_sort_config_selectorIalEEZNS1_25segmented_radix_sort_implIS3_Lb0EPKaPaPKlPlN2at6native12_GLOBAL__N_18offset_tEEE10hipError_tPvRmT1_PNSt15iterator_traitsISK_E10value_typeET2_T3_PNSL_ISQ_E10value_typeET4_jRbjT5_SW_jjP12ihipStream_tbEUlT_E_NS1_11comp_targetILNS1_3genE4ELNS1_11target_archE910ELNS1_3gpuE8ELNS1_3repE0EEENS1_30default_config_static_selectorELNS0_4arch9wavefront6targetE1EEEvSK_,comdat
	.globl	_ZN7rocprim17ROCPRIM_400000_NS6detail17trampoline_kernelINS0_14default_configENS1_36segmented_radix_sort_config_selectorIalEEZNS1_25segmented_radix_sort_implIS3_Lb0EPKaPaPKlPlN2at6native12_GLOBAL__N_18offset_tEEE10hipError_tPvRmT1_PNSt15iterator_traitsISK_E10value_typeET2_T3_PNSL_ISQ_E10value_typeET4_jRbjT5_SW_jjP12ihipStream_tbEUlT_E_NS1_11comp_targetILNS1_3genE4ELNS1_11target_archE910ELNS1_3gpuE8ELNS1_3repE0EEENS1_30default_config_static_selectorELNS0_4arch9wavefront6targetE1EEEvSK_ ; -- Begin function _ZN7rocprim17ROCPRIM_400000_NS6detail17trampoline_kernelINS0_14default_configENS1_36segmented_radix_sort_config_selectorIalEEZNS1_25segmented_radix_sort_implIS3_Lb0EPKaPaPKlPlN2at6native12_GLOBAL__N_18offset_tEEE10hipError_tPvRmT1_PNSt15iterator_traitsISK_E10value_typeET2_T3_PNSL_ISQ_E10value_typeET4_jRbjT5_SW_jjP12ihipStream_tbEUlT_E_NS1_11comp_targetILNS1_3genE4ELNS1_11target_archE910ELNS1_3gpuE8ELNS1_3repE0EEENS1_30default_config_static_selectorELNS0_4arch9wavefront6targetE1EEEvSK_
	.p2align	8
	.type	_ZN7rocprim17ROCPRIM_400000_NS6detail17trampoline_kernelINS0_14default_configENS1_36segmented_radix_sort_config_selectorIalEEZNS1_25segmented_radix_sort_implIS3_Lb0EPKaPaPKlPlN2at6native12_GLOBAL__N_18offset_tEEE10hipError_tPvRmT1_PNSt15iterator_traitsISK_E10value_typeET2_T3_PNSL_ISQ_E10value_typeET4_jRbjT5_SW_jjP12ihipStream_tbEUlT_E_NS1_11comp_targetILNS1_3genE4ELNS1_11target_archE910ELNS1_3gpuE8ELNS1_3repE0EEENS1_30default_config_static_selectorELNS0_4arch9wavefront6targetE1EEEvSK_,@function
_ZN7rocprim17ROCPRIM_400000_NS6detail17trampoline_kernelINS0_14default_configENS1_36segmented_radix_sort_config_selectorIalEEZNS1_25segmented_radix_sort_implIS3_Lb0EPKaPaPKlPlN2at6native12_GLOBAL__N_18offset_tEEE10hipError_tPvRmT1_PNSt15iterator_traitsISK_E10value_typeET2_T3_PNSL_ISQ_E10value_typeET4_jRbjT5_SW_jjP12ihipStream_tbEUlT_E_NS1_11comp_targetILNS1_3genE4ELNS1_11target_archE910ELNS1_3gpuE8ELNS1_3repE0EEENS1_30default_config_static_selectorELNS0_4arch9wavefront6targetE1EEEvSK_: ; @_ZN7rocprim17ROCPRIM_400000_NS6detail17trampoline_kernelINS0_14default_configENS1_36segmented_radix_sort_config_selectorIalEEZNS1_25segmented_radix_sort_implIS3_Lb0EPKaPaPKlPlN2at6native12_GLOBAL__N_18offset_tEEE10hipError_tPvRmT1_PNSt15iterator_traitsISK_E10value_typeET2_T3_PNSL_ISQ_E10value_typeET4_jRbjT5_SW_jjP12ihipStream_tbEUlT_E_NS1_11comp_targetILNS1_3genE4ELNS1_11target_archE910ELNS1_3gpuE8ELNS1_3repE0EEENS1_30default_config_static_selectorELNS0_4arch9wavefront6targetE1EEEvSK_
; %bb.0:
	s_add_u32 flat_scratch_lo, s6, s10
	s_addc_u32 flat_scratch_hi, s7, 0
	s_mov_b32 s33, s9
	s_mov_b64 s[48:49], s[4:5]
	s_mov_b32 s50, s8
	s_load_dwordx2 s[8:9], s[4:5], 0x38
	s_nop 0
	s_load_dwordx4 s[4:7], s[4:5], 0x40
	s_add_u32 s0, s0, s10
	s_mov_b32 s11, 0
	s_mov_b32 s10, s50
	s_addc_u32 s1, s1, 0
	s_lshl_b64 s[10:11], s[10:11], 2
	s_waitcnt lgkmcnt(0)
	s_add_u32 s8, s8, s10
	s_addc_u32 s9, s9, s11
	s_load_dword s8, s[8:9], 0x0
	s_mov_b32 s32, 0
	s_waitcnt lgkmcnt(0)
	s_add_i32 s51, s8, s5
	s_add_i32 s76, s8, s7
	s_mul_i32 s51, s51, s4
	s_mul_i32 s76, s76, s6
	s_cmp_le_u32 s76, s51
	s_cbranch_scc1 .LBB396_678
; %bb.1:
	s_load_dword s4, s[48:49], 0x30
	s_load_dwordx4 s[64:67], s[48:49], 0x20
	s_load_dwordx4 s[68:71], s[48:49], 0x50
	s_load_dwordx8 s[56:63], s[48:49], 0x0
	s_waitcnt lgkmcnt(0)
	s_bitcmp1_b32 s4, 0
	s_cselect_b64 s[54:55], -1, 0
	s_sub_i32 s71, s76, s51
	s_cmpk_lt_u32 s71, 0x801
	s_mov_b64 s[4:5], -1
	s_cbranch_scc0 .LBB396_7
; %bb.2:
	s_and_b32 s4, s68, 1
	v_cndmask_b32_e64 v1, 0, 1, s[54:55]
	v_cmp_ne_u32_e32 vcc, s4, v1
	s_mov_b64 s[4:5], -1
	s_cbranch_vccnz .LBB396_4
; %bb.3:
	s_add_u32 s8, s48, 0x60
	s_mov_b64 s[4:5], src_shared_base
	s_addc_u32 s9, s49, 0
	s_mov_b32 s12, s50
	s_mov_b32 s13, s33
	v_mov_b32_e32 v31, v0
	v_mov_b32_e32 v41, v0
	;; [unrolled: 1-line block ×16, first 2 shown]
	s_getpc_b64 s[6:7]
	s_add_u32 s6, s6, _ZN7rocprim17ROCPRIM_400000_NS6detail40segmented_radix_sort_single_block_helperIalLj256ELj8ELb0EE4sortIPKaPaPKlPlEEbT_T0_T1_T2_jjjjRNS3_12storage_typeE@rel32@lo+4
	s_addc_u32 s7, s7, _ZN7rocprim17ROCPRIM_400000_NS6detail40segmented_radix_sort_single_block_helperIalLj256ELj8ELb0EE4sortIPKaPaPKlPlEEbT_T0_T1_T2_jjjjRNS3_12storage_typeE@rel32@hi+12
	s_swappc_b64 s[30:31], s[6:7]
	v_mov_b32_e32 v0, v41
	s_mov_b64 s[4:5], 0
.LBB396_4:
	s_andn2_b64 vcc, exec, s[4:5]
	s_cbranch_vccnz .LBB396_6
; %bb.5:
	s_add_u32 s8, s48, 0x60
	s_mov_b64 s[4:5], src_shared_base
	s_addc_u32 s9, s49, 0
	s_mov_b32 s12, s50
	s_mov_b32 s13, s33
	v_mov_b32_e32 v31, v0
	v_mov_b32_e32 v41, v0
	;; [unrolled: 1-line block ×16, first 2 shown]
	s_getpc_b64 s[6:7]
	s_add_u32 s6, s6, _ZN7rocprim17ROCPRIM_400000_NS6detail40segmented_radix_sort_single_block_helperIalLj256ELj8ELb0EE4sortIPKaPaPKlPlEEbT_T0_T1_T2_jjjjRNS3_12storage_typeE@rel32@lo+4
	s_addc_u32 s7, s7, _ZN7rocprim17ROCPRIM_400000_NS6detail40segmented_radix_sort_single_block_helperIalLj256ELj8ELb0EE4sortIPKaPaPKlPlEEbT_T0_T1_T2_jjjjRNS3_12storage_typeE@rel32@hi+12
	s_swappc_b64 s[30:31], s[6:7]
	v_mov_b32_e32 v0, v41
.LBB396_6:
	s_mov_b64 s[4:5], 0
.LBB396_7:
	s_andn2_b64 vcc, exec, s[4:5]
	s_cbranch_vccnz .LBB396_678
; %bb.8:
	s_cmp_ge_u32 s69, s70
	s_cbranch_scc1 .LBB396_678
; %bb.9:
	v_and_b32_e32 v2, 0x3ff, v0
	v_mov_b32_e32 v1, s61
	v_add_co_u32_e32 v28, vcc, s60, v2
	v_addc_co_u32_e32 v29, vcc, 0, v1, vcc
	v_or_b32_e32 v1, 63, v2
	v_cmp_eq_u32_e64 s[6:7], v1, v2
	v_lshrrev_b32_e32 v1, 4, v2
	v_and_b32_e32 v35, 12, v1
	v_lshlrev_b32_e32 v1, 3, v2
	v_bfe_u32 v40, v0, 20, 10
	v_bfe_u32 v41, v0, 10, 10
	v_mul_u32_u24_e32 v0, 5, v2
	v_mov_b32_e32 v43, 0x410
	v_and_b32_e32 v39, 0x600, v1
	v_lshl_add_u32 v44, v0, 2, v43
	v_lshlrev_b32_e32 v0, 4, v2
	v_sub_u32_e32 v45, 0, v0
	v_lshlrev_b32_e32 v0, 3, v39
	v_mov_b32_e32 v1, s67
	v_add_co_u32_e32 v46, vcc, s66, v0
	v_addc_co_u32_e32 v47, vcc, 0, v1, vcc
	v_mov_b32_e32 v1, s61
	v_add_co_u32_e32 v48, vcc, s60, v39
	v_addc_co_u32_e32 v49, vcc, 0, v1, vcc
	;; [unrolled: 3-line block ×7, first 2 shown]
	v_lshlrev_b32_e32 v3, 2, v2
	v_mov_b32_e32 v0, s57
	v_add_co_u32_e32 v61, vcc, s56, v39
	s_movk_i32 s4, 0x100
	v_mad_u32_u24 v34, v2, 12, v3
	s_add_u32 s74, s48, 0x60
	s_movk_i32 s14, 0xff
	v_addc_co_u32_e32 v62, vcc, 0, v0, vcc
	v_mbcnt_lo_u32_b32 v0, -1, 0
	s_mov_b32 s73, 0
	v_mov_b32_e32 v4, 0
	v_or_b32_e32 v24, 0x100, v2
	v_or_b32_e32 v25, 0x200, v2
	;; [unrolled: 1-line block ×3, first 2 shown]
	v_and_b32_e32 v27, 3, v2
	v_or_b32_e32 v30, 0x400, v2
	v_or_b32_e32 v31, 0x500, v2
	;; [unrolled: 1-line block ×4, first 2 shown]
	v_cmp_gt_u32_e64 s[4:5], s4, v2
	v_or_b32_e32 v36, 0x4400, v35
	v_cmp_gt_u32_e64 s[8:9], 4, v2
	v_add_u32_e32 v37, 0x4400, v3
	v_cmp_lt_u32_e64 s[10:11], 63, v2
	v_add_u32_e32 v38, 0x43fc, v35
	s_addc_u32 s75, s49, 0
	v_add_u32_e32 v42, v34, v3
	v_cmp_eq_u32_e64 s[12:13], 0, v2
	v_cmp_ne_u32_e64 s[14:15], s14, v2
	v_mul_u32_u24_e32 v50, 7, v2
	v_mov_b32_e32 v63, 1
	v_mbcnt_hi_u32_b32 v64, -1, v0
	s_mov_b32 s68, s69
	s_branch .LBB396_12
.LBB396_10:                             ;   in Loop: Header=BB396_12 Depth=1
	s_waitcnt lgkmcnt(0)
	s_barrier
.LBB396_11:                             ;   in Loop: Header=BB396_12 Depth=1
	s_add_i32 s68, s68, 8
	s_cmp_ge_u32 s68, s70
	s_cbranch_scc1 .LBB396_678
.LBB396_12:                             ; =>This Loop Header: Depth=1
                                        ;     Child Loop BB396_16 Depth 2
                                        ;     Child Loop BB396_66 Depth 2
	;; [unrolled: 1-line block ×8, first 2 shown]
	s_sub_i32 s16, s70, s68
	s_min_u32 s16, s16, 8
	s_lshl_b32 s16, -1, s16
	s_xor_b64 s[54:55], s[54:55], -1
	s_not_b32 s77, s16
	s_cmp_lg_u32 s68, s69
	s_mov_b64 s[16:17], -1
	ds_write2st64_b32 v3, v4, v4 offset1:4
	ds_write2st64_b32 v3, v4, v4 offset0:8 offset1:12
	s_waitcnt lgkmcnt(0)
	s_cbranch_scc0 .LBB396_346
; %bb.13:                               ;   in Loop: Header=BB396_12 Depth=1
	s_and_b64 vcc, exec, s[54:55]
	s_cbranch_vccz .LBB396_179
; %bb.14:                               ;   in Loop: Header=BB396_12 Depth=1
	s_mov_b32 s20, s71
	s_mov_b32 s22, s51
	s_barrier
	s_waitcnt lgkmcnt(0)
                                        ; implicit-def: $vgpr5
                                        ; implicit-def: $vgpr6
                                        ; implicit-def: $vgpr7
                                        ; implicit-def: $vgpr8
                                        ; implicit-def: $vgpr9
                                        ; implicit-def: $vgpr10
                                        ; implicit-def: $vgpr11
                                        ; implicit-def: $vgpr12
	s_branch .LBB396_16
.LBB396_15:                             ;   in Loop: Header=BB396_16 Depth=2
	s_or_b64 exec, exec, s[16:17]
	s_addk_i32 s20, 0xf800
	s_cmp_ge_u32 s21, s76
	s_mov_b32 s22, s21
	s_cbranch_scc1 .LBB396_54
.LBB396_16:                             ;   Parent Loop BB396_12 Depth=1
                                        ; =>  This Inner Loop Header: Depth=2
	s_add_i32 s21, s22, 0x800
	s_cmp_gt_u32 s21, s76
	s_cbranch_scc1 .LBB396_19
; %bb.17:                               ;   in Loop: Header=BB396_16 Depth=2
	v_add_co_u32_e32 v0, vcc, s22, v28
	v_addc_co_u32_e32 v1, vcc, 0, v29, vcc
	global_load_ubyte v20, v[0:1], off offset:1536
	global_load_ubyte v19, v[0:1], off offset:1280
	;; [unrolled: 1-line block ×6, first 2 shown]
	global_load_ubyte v14, v[0:1], off
	v_add_co_u32_e32 v0, vcc, 0x700, v0
	v_addc_co_u32_e32 v1, vcc, 0, v1, vcc
	s_mov_b64 s[16:17], -1
	s_movk_i32 s25, 0x800
	s_cbranch_execz .LBB396_20
; %bb.18:                               ;   in Loop: Header=BB396_16 Depth=2
                                        ; implicit-def: $vgpr5
                                        ; implicit-def: $vgpr6
                                        ; implicit-def: $vgpr7
                                        ; implicit-def: $vgpr8
                                        ; implicit-def: $vgpr9
                                        ; implicit-def: $vgpr10
                                        ; implicit-def: $vgpr11
                                        ; implicit-def: $vgpr12
	v_mov_b32_e32 v13, s20
	s_and_saveexec_b64 s[18:19], s[16:17]
	s_cbranch_execnz .LBB396_31
	s_branch .LBB396_32
.LBB396_19:                             ;   in Loop: Header=BB396_16 Depth=2
	s_mov_b64 s[16:17], 0
                                        ; implicit-def: $sgpr25
                                        ; implicit-def: $vgpr14
                                        ; implicit-def: $vgpr15
                                        ; implicit-def: $vgpr16
                                        ; implicit-def: $vgpr17
                                        ; implicit-def: $vgpr18
                                        ; implicit-def: $vgpr19
                                        ; implicit-def: $vgpr20
                                        ; implicit-def: $vgpr0_vgpr1
.LBB396_20:                             ;   in Loop: Header=BB396_16 Depth=2
	s_add_u32 s23, s60, s22
	s_addc_u32 s24, s61, 0
	v_cmp_gt_u32_e32 vcc, s20, v2
	s_and_saveexec_b64 s[18:19], vcc
	s_cbranch_execz .LBB396_48
; %bb.21:                               ;   in Loop: Header=BB396_16 Depth=2
	v_mov_b32_e32 v1, s24
	v_add_co_u32_e32 v0, vcc, s23, v2
	v_addc_co_u32_e32 v1, vcc, 0, v1, vcc
	global_load_ubyte v5, v[0:1], off
	s_or_b64 exec, exec, s[18:19]
	v_cmp_gt_u32_e32 vcc, s20, v24
	s_and_saveexec_b64 s[18:19], vcc
	s_cbranch_execnz .LBB396_49
.LBB396_22:                             ;   in Loop: Header=BB396_16 Depth=2
	s_or_b64 exec, exec, s[18:19]
	v_cmp_gt_u32_e32 vcc, s20, v25
	s_and_saveexec_b64 s[18:19], vcc
	s_cbranch_execz .LBB396_50
.LBB396_23:                             ;   in Loop: Header=BB396_16 Depth=2
	v_mov_b32_e32 v1, s24
	v_add_co_u32_e32 v0, vcc, s23, v2
	v_addc_co_u32_e32 v1, vcc, 0, v1, vcc
	global_load_ubyte v7, v[0:1], off offset:512
	s_or_b64 exec, exec, s[18:19]
	v_cmp_gt_u32_e32 vcc, s20, v26
	s_and_saveexec_b64 s[18:19], vcc
	s_cbranch_execnz .LBB396_51
.LBB396_24:                             ;   in Loop: Header=BB396_16 Depth=2
	s_or_b64 exec, exec, s[18:19]
	v_cmp_gt_u32_e32 vcc, s20, v30
	s_and_saveexec_b64 s[18:19], vcc
	s_cbranch_execz .LBB396_52
.LBB396_25:                             ;   in Loop: Header=BB396_16 Depth=2
	v_mov_b32_e32 v1, s24
	v_add_co_u32_e32 v0, vcc, s23, v2
	v_addc_co_u32_e32 v1, vcc, 0, v1, vcc
	global_load_ubyte v9, v[0:1], off offset:1024
	s_or_b64 exec, exec, s[18:19]
	v_cmp_gt_u32_e32 vcc, s20, v31
	s_and_saveexec_b64 s[18:19], vcc
	s_cbranch_execnz .LBB396_53
.LBB396_26:                             ;   in Loop: Header=BB396_16 Depth=2
	s_or_b64 exec, exec, s[18:19]
	v_cmp_gt_u32_e32 vcc, s20, v32
	s_and_saveexec_b64 s[18:19], vcc
	s_cbranch_execz .LBB396_28
.LBB396_27:                             ;   in Loop: Header=BB396_16 Depth=2
	v_mov_b32_e32 v1, s24
	v_add_co_u32_e32 v0, vcc, s23, v2
	v_addc_co_u32_e32 v1, vcc, 0, v1, vcc
	global_load_ubyte v11, v[0:1], off offset:1536
.LBB396_28:                             ;   in Loop: Header=BB396_16 Depth=2
	s_or_b64 exec, exec, s[18:19]
	v_cmp_gt_u32_e32 vcc, s20, v33
                                        ; implicit-def: $sgpr25
                                        ; implicit-def: $vgpr0_vgpr1
	s_and_saveexec_b64 s[18:19], vcc
	s_cbranch_execz .LBB396_30
; %bb.29:                               ;   in Loop: Header=BB396_16 Depth=2
	v_mov_b32_e32 v0, s24
	v_add_co_u32_e32 v1, vcc, s23, v2
	s_waitcnt vmcnt(0)
	v_addc_co_u32_e32 v12, vcc, 0, v0, vcc
	v_add_co_u32_e32 v0, vcc, 0x700, v1
	s_sub_i32 s25, s76, s22
	v_addc_co_u32_e32 v1, vcc, 0, v12, vcc
	s_or_b64 s[16:17], s[16:17], exec
                                        ; implicit-def: $vgpr12
.LBB396_30:                             ;   in Loop: Header=BB396_16 Depth=2
	s_or_b64 exec, exec, s[18:19]
	s_waitcnt vmcnt(0)
	v_mov_b32_e32 v14, v5
	v_mov_b32_e32 v15, v6
	;; [unrolled: 1-line block ×8, first 2 shown]
	s_and_saveexec_b64 s[18:19], s[16:17]
	s_cbranch_execz .LBB396_32
.LBB396_31:                             ;   in Loop: Header=BB396_16 Depth=2
	global_load_ubyte v12, v[0:1], off
	v_mov_b32_e32 v13, s25
	s_waitcnt vmcnt(1)
	v_mov_b32_e32 v5, v14
	v_mov_b32_e32 v6, v15
	;; [unrolled: 1-line block ×7, first 2 shown]
.LBB396_32:                             ;   in Loop: Header=BB396_16 Depth=2
	s_or_b64 exec, exec, s[18:19]
	v_cmp_lt_u32_e32 vcc, v2, v13
	s_and_saveexec_b64 s[16:17], vcc
	s_cbranch_execz .LBB396_40
; %bb.33:                               ;   in Loop: Header=BB396_16 Depth=2
	v_xor_b32_e32 v0, 0x80, v5
	v_lshrrev_b32_sdwa v0, s68, v0 dst_sel:DWORD dst_unused:UNUSED_PAD src0_sel:DWORD src1_sel:BYTE_0
	v_and_b32_e32 v0, s77, v0
	v_lshlrev_b32_e32 v1, 2, v27
	v_lshl_or_b32 v0, v0, 4, v1
	ds_add_u32 v0, v63
	s_or_b64 exec, exec, s[16:17]
	v_cmp_lt_u32_e32 vcc, v24, v13
	s_and_saveexec_b64 s[16:17], vcc
	s_cbranch_execnz .LBB396_41
.LBB396_34:                             ;   in Loop: Header=BB396_16 Depth=2
	s_or_b64 exec, exec, s[16:17]
	v_cmp_lt_u32_e32 vcc, v25, v13
	s_and_saveexec_b64 s[16:17], vcc
	s_cbranch_execz .LBB396_42
.LBB396_35:                             ;   in Loop: Header=BB396_16 Depth=2
	v_xor_b32_e32 v0, 0x80, v7
	v_lshrrev_b32_sdwa v0, s68, v0 dst_sel:DWORD dst_unused:UNUSED_PAD src0_sel:DWORD src1_sel:BYTE_0
	v_and_b32_e32 v0, s77, v0
	v_lshlrev_b32_e32 v1, 2, v27
	v_lshl_or_b32 v0, v0, 4, v1
	ds_add_u32 v0, v63
	s_or_b64 exec, exec, s[16:17]
	v_cmp_lt_u32_e32 vcc, v26, v13
	s_and_saveexec_b64 s[16:17], vcc
	s_cbranch_execnz .LBB396_43
.LBB396_36:                             ;   in Loop: Header=BB396_16 Depth=2
	s_or_b64 exec, exec, s[16:17]
	v_cmp_lt_u32_e32 vcc, v30, v13
	s_and_saveexec_b64 s[16:17], vcc
	s_cbranch_execz .LBB396_44
.LBB396_37:                             ;   in Loop: Header=BB396_16 Depth=2
	v_xor_b32_e32 v0, 0x80, v9
	v_lshrrev_b32_sdwa v0, s68, v0 dst_sel:DWORD dst_unused:UNUSED_PAD src0_sel:DWORD src1_sel:BYTE_0
	v_and_b32_e32 v0, s77, v0
	v_lshlrev_b32_e32 v1, 2, v27
	v_lshl_or_b32 v0, v0, 4, v1
	ds_add_u32 v0, v63
	s_or_b64 exec, exec, s[16:17]
	v_cmp_lt_u32_e32 vcc, v31, v13
	s_and_saveexec_b64 s[16:17], vcc
	s_cbranch_execnz .LBB396_45
.LBB396_38:                             ;   in Loop: Header=BB396_16 Depth=2
	s_or_b64 exec, exec, s[16:17]
	v_cmp_lt_u32_e32 vcc, v32, v13
	s_and_saveexec_b64 s[16:17], vcc
	s_cbranch_execz .LBB396_46
.LBB396_39:                             ;   in Loop: Header=BB396_16 Depth=2
	v_xor_b32_e32 v0, 0x80, v11
	v_lshrrev_b32_sdwa v0, s68, v0 dst_sel:DWORD dst_unused:UNUSED_PAD src0_sel:DWORD src1_sel:BYTE_0
	v_and_b32_e32 v0, s77, v0
	v_lshlrev_b32_e32 v1, 2, v27
	v_lshl_or_b32 v0, v0, 4, v1
	ds_add_u32 v0, v63
	s_or_b64 exec, exec, s[16:17]
	v_cmp_lt_u32_e32 vcc, v33, v13
	s_and_saveexec_b64 s[16:17], vcc
	s_cbranch_execz .LBB396_15
	s_branch .LBB396_47
.LBB396_40:                             ;   in Loop: Header=BB396_16 Depth=2
	s_or_b64 exec, exec, s[16:17]
	v_cmp_lt_u32_e32 vcc, v24, v13
	s_and_saveexec_b64 s[16:17], vcc
	s_cbranch_execz .LBB396_34
.LBB396_41:                             ;   in Loop: Header=BB396_16 Depth=2
	v_xor_b32_e32 v0, 0x80, v6
	v_lshrrev_b32_sdwa v0, s68, v0 dst_sel:DWORD dst_unused:UNUSED_PAD src0_sel:DWORD src1_sel:BYTE_0
	v_and_b32_e32 v0, s77, v0
	v_lshlrev_b32_e32 v1, 2, v27
	v_lshl_or_b32 v0, v0, 4, v1
	ds_add_u32 v0, v63
	s_or_b64 exec, exec, s[16:17]
	v_cmp_lt_u32_e32 vcc, v25, v13
	s_and_saveexec_b64 s[16:17], vcc
	s_cbranch_execnz .LBB396_35
.LBB396_42:                             ;   in Loop: Header=BB396_16 Depth=2
	s_or_b64 exec, exec, s[16:17]
	v_cmp_lt_u32_e32 vcc, v26, v13
	s_and_saveexec_b64 s[16:17], vcc
	s_cbranch_execz .LBB396_36
.LBB396_43:                             ;   in Loop: Header=BB396_16 Depth=2
	v_xor_b32_e32 v0, 0x80, v8
	v_lshrrev_b32_sdwa v0, s68, v0 dst_sel:DWORD dst_unused:UNUSED_PAD src0_sel:DWORD src1_sel:BYTE_0
	v_and_b32_e32 v0, s77, v0
	v_lshlrev_b32_e32 v1, 2, v27
	v_lshl_or_b32 v0, v0, 4, v1
	ds_add_u32 v0, v63
	s_or_b64 exec, exec, s[16:17]
	v_cmp_lt_u32_e32 vcc, v30, v13
	s_and_saveexec_b64 s[16:17], vcc
	s_cbranch_execnz .LBB396_37
.LBB396_44:                             ;   in Loop: Header=BB396_16 Depth=2
	s_or_b64 exec, exec, s[16:17]
	v_cmp_lt_u32_e32 vcc, v31, v13
	s_and_saveexec_b64 s[16:17], vcc
	s_cbranch_execz .LBB396_38
.LBB396_45:                             ;   in Loop: Header=BB396_16 Depth=2
	v_xor_b32_e32 v0, 0x80, v10
	v_lshrrev_b32_sdwa v0, s68, v0 dst_sel:DWORD dst_unused:UNUSED_PAD src0_sel:DWORD src1_sel:BYTE_0
	v_and_b32_e32 v0, s77, v0
	v_lshlrev_b32_e32 v1, 2, v27
	v_lshl_or_b32 v0, v0, 4, v1
	ds_add_u32 v0, v63
	s_or_b64 exec, exec, s[16:17]
	v_cmp_lt_u32_e32 vcc, v32, v13
	s_and_saveexec_b64 s[16:17], vcc
	s_cbranch_execnz .LBB396_39
.LBB396_46:                             ;   in Loop: Header=BB396_16 Depth=2
	s_or_b64 exec, exec, s[16:17]
	v_cmp_lt_u32_e32 vcc, v33, v13
	s_and_saveexec_b64 s[16:17], vcc
	s_cbranch_execz .LBB396_15
.LBB396_47:                             ;   in Loop: Header=BB396_16 Depth=2
	s_waitcnt vmcnt(0)
	v_xor_b32_e32 v0, 0x80, v12
	v_lshrrev_b32_sdwa v0, s68, v0 dst_sel:DWORD dst_unused:UNUSED_PAD src0_sel:DWORD src1_sel:BYTE_0
	v_and_b32_e32 v0, s77, v0
	v_lshlrev_b32_e32 v1, 2, v27
	v_lshl_or_b32 v0, v0, 4, v1
	ds_add_u32 v0, v63
	s_branch .LBB396_15
.LBB396_48:                             ;   in Loop: Header=BB396_16 Depth=2
	s_or_b64 exec, exec, s[18:19]
	v_cmp_gt_u32_e32 vcc, s20, v24
	s_and_saveexec_b64 s[18:19], vcc
	s_cbranch_execz .LBB396_22
.LBB396_49:                             ;   in Loop: Header=BB396_16 Depth=2
	v_mov_b32_e32 v1, s24
	v_add_co_u32_e32 v0, vcc, s23, v2
	v_addc_co_u32_e32 v1, vcc, 0, v1, vcc
	global_load_ubyte v6, v[0:1], off offset:256
	s_or_b64 exec, exec, s[18:19]
	v_cmp_gt_u32_e32 vcc, s20, v25
	s_and_saveexec_b64 s[18:19], vcc
	s_cbranch_execnz .LBB396_23
.LBB396_50:                             ;   in Loop: Header=BB396_16 Depth=2
	s_or_b64 exec, exec, s[18:19]
	v_cmp_gt_u32_e32 vcc, s20, v26
	s_and_saveexec_b64 s[18:19], vcc
	s_cbranch_execz .LBB396_24
.LBB396_51:                             ;   in Loop: Header=BB396_16 Depth=2
	v_mov_b32_e32 v1, s24
	v_add_co_u32_e32 v0, vcc, s23, v2
	v_addc_co_u32_e32 v1, vcc, 0, v1, vcc
	global_load_ubyte v8, v[0:1], off offset:768
	s_or_b64 exec, exec, s[18:19]
	v_cmp_gt_u32_e32 vcc, s20, v30
	s_and_saveexec_b64 s[18:19], vcc
	s_cbranch_execnz .LBB396_25
.LBB396_52:                             ;   in Loop: Header=BB396_16 Depth=2
	s_or_b64 exec, exec, s[18:19]
	v_cmp_gt_u32_e32 vcc, s20, v31
	s_and_saveexec_b64 s[18:19], vcc
	s_cbranch_execz .LBB396_26
.LBB396_53:                             ;   in Loop: Header=BB396_16 Depth=2
	v_mov_b32_e32 v1, s24
	v_add_co_u32_e32 v0, vcc, s23, v2
	v_addc_co_u32_e32 v1, vcc, 0, v1, vcc
	global_load_ubyte v10, v[0:1], off offset:1280
	s_or_b64 exec, exec, s[18:19]
	v_cmp_gt_u32_e32 vcc, s20, v32
	s_and_saveexec_b64 s[18:19], vcc
	s_cbranch_execz .LBB396_28
	s_branch .LBB396_27
.LBB396_54:                             ;   in Loop: Header=BB396_12 Depth=1
	v_mov_b32_e32 v0, 0
	s_waitcnt lgkmcnt(0)
	s_barrier
	s_and_saveexec_b64 s[16:17], s[4:5]
	s_cbranch_execz .LBB396_56
; %bb.55:                               ;   in Loop: Header=BB396_12 Depth=1
	ds_read2_b64 v[6:9], v34 offset1:1
	s_waitcnt lgkmcnt(0)
	v_add_u32_e32 v0, v7, v6
	v_add3_u32 v0, v0, v8, v9
.LBB396_56:                             ;   in Loop: Header=BB396_12 Depth=1
	s_or_b64 exec, exec, s[16:17]
	v_and_b32_e32 v1, 15, v64
	v_mov_b32_dpp v5, v0 row_shr:1 row_mask:0xf bank_mask:0xf
	v_cmp_eq_u32_e64 s[16:17], 0, v1
	v_cndmask_b32_e64 v5, v5, 0, s[16:17]
	v_add_u32_e32 v0, v5, v0
	v_cmp_lt_u32_e64 s[18:19], 1, v1
	v_cmp_lt_u32_e64 s[20:21], 3, v1
	v_mov_b32_dpp v5, v0 row_shr:2 row_mask:0xf bank_mask:0xf
	v_cndmask_b32_e64 v5, 0, v5, s[18:19]
	v_add_u32_e32 v0, v0, v5
	v_cmp_lt_u32_e64 s[22:23], 7, v1
	v_cmp_lt_u32_e64 s[26:27], 31, v64
	v_mov_b32_dpp v5, v0 row_shr:4 row_mask:0xf bank_mask:0xf
	v_cndmask_b32_e64 v5, 0, v5, s[20:21]
	v_add_u32_e32 v0, v0, v5
	v_and_b32_e32 v6, 16, v64
	v_cmp_eq_u32_e64 s[24:25], 0, v6
	v_mov_b32_dpp v5, v0 row_shr:8 row_mask:0xf bank_mask:0xf
	v_cndmask_b32_e64 v1, 0, v5, s[22:23]
	v_add_u32_e32 v0, v0, v1
	v_bfe_i32 v5, v64, 4, 1
	s_nop 0
	v_mov_b32_dpp v1, v0 row_bcast:15 row_mask:0xf bank_mask:0xf
	v_and_b32_e32 v1, v5, v1
	v_add_u32_e32 v0, v0, v1
	s_nop 1
	v_mov_b32_dpp v1, v0 row_bcast:31 row_mask:0xf bank_mask:0xf
	v_cndmask_b32_e64 v1, 0, v1, s[26:27]
	v_add_u32_e32 v1, v0, v1
	s_and_saveexec_b64 s[28:29], s[6:7]
	s_cbranch_execz .LBB396_58
; %bb.57:                               ;   in Loop: Header=BB396_12 Depth=1
	ds_write_b32 v36, v1
.LBB396_58:                             ;   in Loop: Header=BB396_12 Depth=1
	s_or_b64 exec, exec, s[28:29]
	v_and_b32_e32 v0, 3, v64
	s_waitcnt lgkmcnt(0)
	s_barrier
	s_and_saveexec_b64 s[28:29], s[8:9]
	s_cbranch_execz .LBB396_60
; %bb.59:                               ;   in Loop: Header=BB396_12 Depth=1
	ds_read_b32 v5, v37
	v_cmp_ne_u32_e32 vcc, 0, v0
	s_waitcnt lgkmcnt(0)
	v_mov_b32_dpp v6, v5 row_shr:1 row_mask:0xf bank_mask:0xf
	v_cndmask_b32_e32 v6, 0, v6, vcc
	v_add_u32_e32 v5, v6, v5
	v_cmp_lt_u32_e32 vcc, 1, v0
	s_nop 0
	v_mov_b32_dpp v6, v5 row_shr:2 row_mask:0xf bank_mask:0xf
	v_cndmask_b32_e32 v6, 0, v6, vcc
	v_add_u32_e32 v5, v5, v6
	ds_write_b32 v37, v5
.LBB396_60:                             ;   in Loop: Header=BB396_12 Depth=1
	s_or_b64 exec, exec, s[28:29]
	v_mov_b32_e32 v5, 0
	s_waitcnt lgkmcnt(0)
	s_barrier
	s_and_saveexec_b64 s[28:29], s[10:11]
	s_cbranch_execz .LBB396_62
; %bb.61:                               ;   in Loop: Header=BB396_12 Depth=1
	ds_read_b32 v5, v38
.LBB396_62:                             ;   in Loop: Header=BB396_12 Depth=1
	s_or_b64 exec, exec, s[28:29]
	v_add_u32_e32 v6, -1, v64
	v_and_b32_e32 v7, 64, v64
	v_cmp_lt_i32_e32 vcc, v6, v7
	v_cndmask_b32_e32 v6, v6, v64, vcc
	s_waitcnt lgkmcnt(0)
	v_add_u32_e32 v1, v5, v1
	v_lshlrev_b32_e32 v65, 2, v6
	ds_bpermute_b32 v1, v65, v1
	v_cmp_eq_u32_e64 s[28:29], 0, v64
	s_waitcnt lgkmcnt(0)
	s_barrier
	s_and_saveexec_b64 s[30:31], s[4:5]
	s_cbranch_execz .LBB396_64
; %bb.63:                               ;   in Loop: Header=BB396_12 Depth=1
	v_cndmask_b32_e64 v1, v1, v5, s[28:29]
	v_add_u32_e32 v1, s51, v1
	ds_write_b32 v3, v1
.LBB396_64:                             ;   in Loop: Header=BB396_12 Depth=1
	s_or_b64 exec, exec, s[30:31]
	s_load_dword s30, s[74:75], 0x4
	s_load_dword s36, s[74:75], 0xc
	s_waitcnt vmcnt(6)
	v_and_b32_e32 v20, 63, v64
	v_add_co_u32_e32 v74, vcc, v48, v20
	s_waitcnt lgkmcnt(0)
	s_cmp_lt_u32 s33, s30
	s_cselect_b32 s30, 14, 20
	s_add_u32 s30, s74, s30
	s_addc_u32 s31, s75, 0
	global_load_ushort v5, v4, s[30:31]
	v_lshlrev_b32_e32 v21, 3, v20
	v_addc_co_u32_e32 v76, vcc, 0, v49, vcc
	v_add_co_u32_e32 v77, vcc, v46, v21
	v_addc_co_u32_e32 v78, vcc, 0, v47, vcc
	s_and_b32 s36, s36, 0xffff
	v_or_b32_e32 v72, v20, v39
	v_add_co_u32_e32 v86, vcc, 0x1c0, v74
	v_cmp_eq_u32_e64 s[30:31], 0, v0
	v_cmp_lt_u32_e64 s[34:35], 1, v0
	s_mov_b32 s78, s71
	v_or_b32_e32 v79, 64, v72
	v_or_b32_e32 v80, 0x80, v72
	;; [unrolled: 1-line block ×7, first 2 shown]
	v_addc_co_u32_e32 v87, vcc, 0, v76, vcc
	s_mov_b32 s72, s51
                                        ; implicit-def: $vgpr0_vgpr1
                                        ; implicit-def: $vgpr6_vgpr7
                                        ; implicit-def: $vgpr8_vgpr9
                                        ; implicit-def: $vgpr10_vgpr11
                                        ; implicit-def: $vgpr12_vgpr13
                                        ; implicit-def: $vgpr14_vgpr15
                                        ; implicit-def: $vgpr16_vgpr17
                                        ; implicit-def: $vgpr18_vgpr19
                                        ; implicit-def: $vgpr66
                                        ; implicit-def: $vgpr67
                                        ; implicit-def: $vgpr68
                                        ; implicit-def: $vgpr69
                                        ; implicit-def: $vgpr70
                                        ; implicit-def: $vgpr71
                                        ; implicit-def: $vgpr73
                                        ; implicit-def: $vgpr75
	s_waitcnt vmcnt(0)
	v_mad_u32_u24 v5, v40, v5, v41
	v_mad_u64_u32 v[20:21], s[36:37], v5, s36, v[2:3]
	v_lshrrev_b32_e32 v88, 6, v20
	s_branch .LBB396_66
.LBB396_65:                             ;   in Loop: Header=BB396_66 Depth=2
	s_or_b64 exec, exec, s[36:37]
	s_addk_i32 s78, 0xf800
	s_cmp_lt_u32 s79, s76
	s_mov_b32 s72, s79
	s_cbranch_scc0 .LBB396_178
.LBB396_66:                             ;   Parent Loop BB396_12 Depth=1
                                        ; =>  This Inner Loop Header: Depth=2
	s_add_i32 s79, s72, 0x800
	s_cmp_gt_u32 s79, s76
	s_cbranch_scc1 .LBB396_69
; %bb.67:                               ;   in Loop: Header=BB396_66 Depth=2
	v_add_co_u32_e32 v20, vcc, s72, v74
	v_addc_co_u32_e32 v21, vcc, 0, v76, vcc
	global_load_ubyte v23, v[20:21], off offset:384
	global_load_ubyte v91, v[20:21], off offset:320
	;; [unrolled: 1-line block ×6, first 2 shown]
	global_load_ubyte v5, v[20:21], off
	s_mov_b64 s[36:37], -1
	s_movk_i32 s40, 0x800
	s_cbranch_execz .LBB396_70
; %bb.68:                               ;   in Loop: Header=BB396_66 Depth=2
                                        ; implicit-def: $vgpr22
	v_mov_b32_e32 v89, s78
	s_and_saveexec_b64 s[38:39], s[36:37]
	s_cbranch_execnz .LBB396_79
	s_branch .LBB396_80
.LBB396_69:                             ;   in Loop: Header=BB396_66 Depth=2
	s_mov_b64 s[36:37], 0
                                        ; implicit-def: $sgpr40
                                        ; implicit-def: $vgpr5
                                        ; implicit-def: $vgpr94
                                        ; implicit-def: $vgpr99
                                        ; implicit-def: $vgpr101
                                        ; implicit-def: $vgpr96
                                        ; implicit-def: $vgpr91
                                        ; implicit-def: $vgpr23
.LBB396_70:                             ;   in Loop: Header=BB396_66 Depth=2
	v_add_co_u32_e32 v20, vcc, s72, v74
	v_addc_co_u32_e32 v21, vcc, 0, v76, vcc
	v_cmp_gt_u32_e32 vcc, s78, v72
	s_waitcnt vmcnt(0)
	v_mov_b32_e32 v5, 0x7f
	v_mov_b32_e32 v22, 0x7f
	;; [unrolled: 1-line block ×8, first 2 shown]
	s_and_saveexec_b64 s[36:37], vcc
	s_cbranch_execz .LBB396_172
; %bb.71:                               ;   in Loop: Header=BB396_66 Depth=2
	global_load_ubyte v5, v[20:21], off
	v_mov_b32_e32 v94, 0x7f
	v_mov_b32_e32 v99, 0x7f
	;; [unrolled: 1-line block ×7, first 2 shown]
	s_or_b64 exec, exec, s[36:37]
	v_cmp_gt_u32_e32 vcc, s78, v79
	s_and_saveexec_b64 s[36:37], vcc
	s_cbranch_execnz .LBB396_173
.LBB396_72:                             ;   in Loop: Header=BB396_66 Depth=2
	s_or_b64 exec, exec, s[36:37]
	v_cmp_gt_u32_e32 vcc, s78, v80
	s_and_saveexec_b64 s[36:37], vcc
	s_cbranch_execz .LBB396_174
.LBB396_73:                             ;   in Loop: Header=BB396_66 Depth=2
	global_load_ubyte v99, v[20:21], off offset:128
	s_or_b64 exec, exec, s[36:37]
	v_cmp_gt_u32_e32 vcc, s78, v81
	s_and_saveexec_b64 s[36:37], vcc
	s_cbranch_execnz .LBB396_175
.LBB396_74:                             ;   in Loop: Header=BB396_66 Depth=2
	s_or_b64 exec, exec, s[36:37]
	v_cmp_gt_u32_e32 vcc, s78, v82
	s_and_saveexec_b64 s[36:37], vcc
	s_cbranch_execz .LBB396_176
.LBB396_75:                             ;   in Loop: Header=BB396_66 Depth=2
	global_load_ubyte v96, v[20:21], off offset:256
	s_or_b64 exec, exec, s[36:37]
	v_cmp_gt_u32_e32 vcc, s78, v83
	s_and_saveexec_b64 s[36:37], vcc
	s_cbranch_execnz .LBB396_177
.LBB396_76:                             ;   in Loop: Header=BB396_66 Depth=2
	s_or_b64 exec, exec, s[36:37]
	v_cmp_gt_u32_e32 vcc, s78, v84
	s_and_saveexec_b64 s[36:37], vcc
	s_cbranch_execz .LBB396_78
.LBB396_77:                             ;   in Loop: Header=BB396_66 Depth=2
	global_load_ubyte v23, v[20:21], off offset:384
.LBB396_78:                             ;   in Loop: Header=BB396_66 Depth=2
	s_or_b64 exec, exec, s[36:37]
	s_sub_i32 s40, s76, s72
	v_cmp_gt_u32_e64 s[36:37], s78, v85
	v_mov_b32_e32 v89, s78
	s_and_saveexec_b64 s[38:39], s[36:37]
	s_cbranch_execz .LBB396_80
.LBB396_79:                             ;   in Loop: Header=BB396_66 Depth=2
	v_mov_b32_e32 v21, s73
	v_add_co_u32_e32 v20, vcc, s72, v86
	v_addc_co_u32_e32 v21, vcc, v87, v21, vcc
	global_load_ubyte v22, v[20:21], off
	v_mov_b32_e32 v89, s40
.LBB396_80:                             ;   in Loop: Header=BB396_66 Depth=2
	s_or_b64 exec, exec, s[38:39]
	s_waitcnt vmcnt(0)
	v_xor_b32_e32 v90, 0xffffff80, v5
	v_add_u32_e32 v5, 0x410, v42
	ds_write2_b32 v5, v4, v4 offset1:1
	ds_write2_b32 v44, v4, v4 offset0:2 offset1:3
	ds_write_b32 v44, v4 offset:16
	v_lshrrev_b32_sdwa v5, s68, v90 dst_sel:DWORD dst_unused:UNUSED_PAD src0_sel:DWORD src1_sel:BYTE_0
	v_and_b32_e32 v20, s77, v5
	v_mad_u32_u24 v5, v20, 5, v88
	v_lshl_add_u32 v92, v5, 2, v43
	v_and_b32_e32 v5, 1, v20
	v_add_co_u32_e32 v21, vcc, -1, v5
	v_addc_co_u32_e64 v93, s[36:37], 0, -1, vcc
	v_cmp_ne_u32_e32 vcc, 0, v5
	v_xor_b32_e32 v5, vcc_hi, v93
	v_and_b32_e32 v93, exec_hi, v5
	v_lshlrev_b32_e32 v5, 30, v20
	v_xor_b32_e32 v21, vcc_lo, v21
	v_cmp_gt_i64_e32 vcc, 0, v[4:5]
	v_not_b32_e32 v5, v5
	v_ashrrev_i32_e32 v5, 31, v5
	v_and_b32_e32 v21, exec_lo, v21
	v_xor_b32_e32 v95, vcc_hi, v5
	v_xor_b32_e32 v5, vcc_lo, v5
	v_and_b32_e32 v21, v21, v5
	v_lshlrev_b32_e32 v5, 29, v20
	v_cmp_gt_i64_e32 vcc, 0, v[4:5]
	v_not_b32_e32 v5, v5
	v_ashrrev_i32_e32 v5, 31, v5
	v_and_b32_e32 v93, v93, v95
	v_xor_b32_e32 v95, vcc_hi, v5
	v_xor_b32_e32 v5, vcc_lo, v5
	v_and_b32_e32 v21, v21, v5
	v_lshlrev_b32_e32 v5, 28, v20
	v_cmp_gt_i64_e32 vcc, 0, v[4:5]
	v_not_b32_e32 v5, v5
	v_ashrrev_i32_e32 v5, 31, v5
	v_and_b32_e32 v93, v93, v95
	;; [unrolled: 8-line block ×5, first 2 shown]
	v_xor_b32_e32 v95, vcc_hi, v5
	v_xor_b32_e32 v5, vcc_lo, v5
	v_and_b32_e32 v93, v93, v95
	v_and_b32_e32 v95, v21, v5
	v_lshlrev_b32_e32 v5, 24, v20
	v_cmp_gt_i64_e32 vcc, 0, v[4:5]
	v_not_b32_e32 v5, v5
	v_ashrrev_i32_e32 v5, 31, v5
	v_xor_b32_e32 v20, vcc_hi, v5
	v_xor_b32_e32 v5, vcc_lo, v5
	v_and_b32_e32 v21, v93, v20
	v_and_b32_e32 v20, v95, v5
	v_mbcnt_lo_u32_b32 v5, v20, 0
	v_mbcnt_hi_u32_b32 v93, v21, v5
	v_cmp_eq_u32_e32 vcc, 0, v93
	v_cmp_ne_u64_e64 s[36:37], 0, v[20:21]
	s_and_b64 s[38:39], s[36:37], vcc
	s_waitcnt lgkmcnt(0)
	s_barrier
	s_waitcnt lgkmcnt(0)
	; wave barrier
	s_and_saveexec_b64 s[36:37], s[38:39]
	s_cbranch_execz .LBB396_82
; %bb.81:                               ;   in Loop: Header=BB396_66 Depth=2
	v_bcnt_u32_b32 v5, v20, 0
	v_bcnt_u32_b32 v5, v21, v5
	ds_write_b32 v92, v5
.LBB396_82:                             ;   in Loop: Header=BB396_66 Depth=2
	s_or_b64 exec, exec, s[36:37]
	v_xor_b32_e32 v94, 0xffffff80, v94
	v_lshrrev_b32_sdwa v5, s68, v94 dst_sel:DWORD dst_unused:UNUSED_PAD src0_sel:DWORD src1_sel:BYTE_0
	v_and_b32_e32 v20, s77, v5
	v_mul_u32_u24_e32 v5, 5, v20
	v_add_lshl_u32 v5, v5, v88, 2
	; wave barrier
	v_add_u32_e32 v97, 0x410, v5
	ds_read_b32 v95, v5 offset:1040
	v_and_b32_e32 v5, 1, v20
	v_add_co_u32_e32 v21, vcc, -1, v5
	v_addc_co_u32_e64 v98, s[36:37], 0, -1, vcc
	v_cmp_ne_u32_e32 vcc, 0, v5
	v_xor_b32_e32 v5, vcc_hi, v98
	v_and_b32_e32 v98, exec_hi, v5
	v_lshlrev_b32_e32 v5, 30, v20
	v_xor_b32_e32 v21, vcc_lo, v21
	v_cmp_gt_i64_e32 vcc, 0, v[4:5]
	v_not_b32_e32 v5, v5
	v_ashrrev_i32_e32 v5, 31, v5
	v_and_b32_e32 v21, exec_lo, v21
	v_xor_b32_e32 v100, vcc_hi, v5
	v_xor_b32_e32 v5, vcc_lo, v5
	v_and_b32_e32 v21, v21, v5
	v_lshlrev_b32_e32 v5, 29, v20
	v_cmp_gt_i64_e32 vcc, 0, v[4:5]
	v_not_b32_e32 v5, v5
	v_ashrrev_i32_e32 v5, 31, v5
	v_and_b32_e32 v98, v98, v100
	v_xor_b32_e32 v100, vcc_hi, v5
	v_xor_b32_e32 v5, vcc_lo, v5
	v_and_b32_e32 v21, v21, v5
	v_lshlrev_b32_e32 v5, 28, v20
	v_cmp_gt_i64_e32 vcc, 0, v[4:5]
	v_not_b32_e32 v5, v5
	v_ashrrev_i32_e32 v5, 31, v5
	v_and_b32_e32 v98, v98, v100
	;; [unrolled: 8-line block ×5, first 2 shown]
	v_xor_b32_e32 v100, vcc_hi, v5
	v_xor_b32_e32 v5, vcc_lo, v5
	v_and_b32_e32 v98, v98, v100
	v_and_b32_e32 v100, v21, v5
	v_lshlrev_b32_e32 v5, 24, v20
	v_cmp_gt_i64_e32 vcc, 0, v[4:5]
	v_not_b32_e32 v5, v5
	v_ashrrev_i32_e32 v5, 31, v5
	v_xor_b32_e32 v20, vcc_hi, v5
	v_xor_b32_e32 v5, vcc_lo, v5
	v_and_b32_e32 v21, v98, v20
	v_and_b32_e32 v20, v100, v5
	v_mbcnt_lo_u32_b32 v5, v20, 0
	v_mbcnt_hi_u32_b32 v98, v21, v5
	v_cmp_eq_u32_e32 vcc, 0, v98
	v_cmp_ne_u64_e64 s[36:37], 0, v[20:21]
	s_and_b64 s[38:39], s[36:37], vcc
	; wave barrier
	s_and_saveexec_b64 s[36:37], s[38:39]
	s_cbranch_execz .LBB396_84
; %bb.83:                               ;   in Loop: Header=BB396_66 Depth=2
	v_bcnt_u32_b32 v5, v20, 0
	v_bcnt_u32_b32 v5, v21, v5
	s_waitcnt lgkmcnt(0)
	v_add_u32_e32 v5, v95, v5
	ds_write_b32 v97, v5
.LBB396_84:                             ;   in Loop: Header=BB396_66 Depth=2
	s_or_b64 exec, exec, s[36:37]
	v_xor_b32_e32 v99, 0xffffff80, v99
	v_lshrrev_b32_sdwa v5, s68, v99 dst_sel:DWORD dst_unused:UNUSED_PAD src0_sel:DWORD src1_sel:BYTE_0
	v_and_b32_e32 v20, s77, v5
	v_mul_u32_u24_e32 v5, 5, v20
	v_add_lshl_u32 v5, v5, v88, 2
	; wave barrier
	v_add_u32_e32 v102, 0x410, v5
	ds_read_b32 v100, v5 offset:1040
	v_and_b32_e32 v5, 1, v20
	v_add_co_u32_e32 v21, vcc, -1, v5
	v_addc_co_u32_e64 v103, s[36:37], 0, -1, vcc
	v_cmp_ne_u32_e32 vcc, 0, v5
	v_xor_b32_e32 v5, vcc_hi, v103
	v_and_b32_e32 v103, exec_hi, v5
	v_lshlrev_b32_e32 v5, 30, v20
	v_xor_b32_e32 v21, vcc_lo, v21
	v_cmp_gt_i64_e32 vcc, 0, v[4:5]
	v_not_b32_e32 v5, v5
	v_ashrrev_i32_e32 v5, 31, v5
	v_and_b32_e32 v21, exec_lo, v21
	v_xor_b32_e32 v104, vcc_hi, v5
	v_xor_b32_e32 v5, vcc_lo, v5
	v_and_b32_e32 v21, v21, v5
	v_lshlrev_b32_e32 v5, 29, v20
	v_cmp_gt_i64_e32 vcc, 0, v[4:5]
	v_not_b32_e32 v5, v5
	v_ashrrev_i32_e32 v5, 31, v5
	v_and_b32_e32 v103, v103, v104
	v_xor_b32_e32 v104, vcc_hi, v5
	v_xor_b32_e32 v5, vcc_lo, v5
	v_and_b32_e32 v21, v21, v5
	v_lshlrev_b32_e32 v5, 28, v20
	v_cmp_gt_i64_e32 vcc, 0, v[4:5]
	v_not_b32_e32 v5, v5
	v_ashrrev_i32_e32 v5, 31, v5
	v_and_b32_e32 v103, v103, v104
	;; [unrolled: 8-line block ×5, first 2 shown]
	v_xor_b32_e32 v104, vcc_hi, v5
	v_xor_b32_e32 v5, vcc_lo, v5
	v_and_b32_e32 v103, v103, v104
	v_and_b32_e32 v104, v21, v5
	v_lshlrev_b32_e32 v5, 24, v20
	v_cmp_gt_i64_e32 vcc, 0, v[4:5]
	v_not_b32_e32 v5, v5
	v_ashrrev_i32_e32 v5, 31, v5
	v_xor_b32_e32 v20, vcc_hi, v5
	v_xor_b32_e32 v5, vcc_lo, v5
	v_and_b32_e32 v21, v103, v20
	v_and_b32_e32 v20, v104, v5
	v_mbcnt_lo_u32_b32 v5, v20, 0
	v_mbcnt_hi_u32_b32 v103, v21, v5
	v_cmp_eq_u32_e32 vcc, 0, v103
	v_cmp_ne_u64_e64 s[36:37], 0, v[20:21]
	s_and_b64 s[38:39], s[36:37], vcc
	; wave barrier
	s_and_saveexec_b64 s[36:37], s[38:39]
	s_cbranch_execz .LBB396_86
; %bb.85:                               ;   in Loop: Header=BB396_66 Depth=2
	v_bcnt_u32_b32 v5, v20, 0
	v_bcnt_u32_b32 v5, v21, v5
	s_waitcnt lgkmcnt(0)
	v_add_u32_e32 v5, v100, v5
	ds_write_b32 v102, v5
.LBB396_86:                             ;   in Loop: Header=BB396_66 Depth=2
	s_or_b64 exec, exec, s[36:37]
	v_xor_b32_e32 v101, 0xffffff80, v101
	v_lshrrev_b32_sdwa v5, s68, v101 dst_sel:DWORD dst_unused:UNUSED_PAD src0_sel:DWORD src1_sel:BYTE_0
	v_and_b32_e32 v20, s77, v5
	v_mul_u32_u24_e32 v5, 5, v20
	v_add_lshl_u32 v5, v5, v88, 2
	; wave barrier
	v_add_u32_e32 v105, 0x410, v5
	ds_read_b32 v104, v5 offset:1040
	v_and_b32_e32 v5, 1, v20
	v_add_co_u32_e32 v21, vcc, -1, v5
	v_addc_co_u32_e64 v106, s[36:37], 0, -1, vcc
	v_cmp_ne_u32_e32 vcc, 0, v5
	v_xor_b32_e32 v5, vcc_hi, v106
	v_and_b32_e32 v106, exec_hi, v5
	v_lshlrev_b32_e32 v5, 30, v20
	v_xor_b32_e32 v21, vcc_lo, v21
	v_cmp_gt_i64_e32 vcc, 0, v[4:5]
	v_not_b32_e32 v5, v5
	v_ashrrev_i32_e32 v5, 31, v5
	v_and_b32_e32 v21, exec_lo, v21
	v_xor_b32_e32 v107, vcc_hi, v5
	v_xor_b32_e32 v5, vcc_lo, v5
	v_and_b32_e32 v21, v21, v5
	v_lshlrev_b32_e32 v5, 29, v20
	v_cmp_gt_i64_e32 vcc, 0, v[4:5]
	v_not_b32_e32 v5, v5
	v_ashrrev_i32_e32 v5, 31, v5
	v_and_b32_e32 v106, v106, v107
	v_xor_b32_e32 v107, vcc_hi, v5
	v_xor_b32_e32 v5, vcc_lo, v5
	v_and_b32_e32 v21, v21, v5
	v_lshlrev_b32_e32 v5, 28, v20
	v_cmp_gt_i64_e32 vcc, 0, v[4:5]
	v_not_b32_e32 v5, v5
	v_ashrrev_i32_e32 v5, 31, v5
	v_and_b32_e32 v106, v106, v107
	;; [unrolled: 8-line block ×5, first 2 shown]
	v_xor_b32_e32 v107, vcc_hi, v5
	v_xor_b32_e32 v5, vcc_lo, v5
	v_and_b32_e32 v106, v106, v107
	v_and_b32_e32 v107, v21, v5
	v_lshlrev_b32_e32 v5, 24, v20
	v_cmp_gt_i64_e32 vcc, 0, v[4:5]
	v_not_b32_e32 v5, v5
	v_ashrrev_i32_e32 v5, 31, v5
	v_xor_b32_e32 v20, vcc_hi, v5
	v_xor_b32_e32 v5, vcc_lo, v5
	v_and_b32_e32 v21, v106, v20
	v_and_b32_e32 v20, v107, v5
	v_mbcnt_lo_u32_b32 v5, v20, 0
	v_mbcnt_hi_u32_b32 v106, v21, v5
	v_cmp_eq_u32_e32 vcc, 0, v106
	v_cmp_ne_u64_e64 s[36:37], 0, v[20:21]
	s_and_b64 s[38:39], s[36:37], vcc
	; wave barrier
	s_and_saveexec_b64 s[36:37], s[38:39]
	s_cbranch_execz .LBB396_88
; %bb.87:                               ;   in Loop: Header=BB396_66 Depth=2
	v_bcnt_u32_b32 v5, v20, 0
	v_bcnt_u32_b32 v5, v21, v5
	s_waitcnt lgkmcnt(0)
	v_add_u32_e32 v5, v104, v5
	ds_write_b32 v105, v5
.LBB396_88:                             ;   in Loop: Header=BB396_66 Depth=2
	s_or_b64 exec, exec, s[36:37]
	v_xor_b32_e32 v96, 0xffffff80, v96
	v_lshrrev_b32_sdwa v5, s68, v96 dst_sel:DWORD dst_unused:UNUSED_PAD src0_sel:DWORD src1_sel:BYTE_0
	v_and_b32_e32 v20, s77, v5
	v_mul_u32_u24_e32 v5, 5, v20
	v_add_lshl_u32 v5, v5, v88, 2
	; wave barrier
	v_add_u32_e32 v108, 0x410, v5
	ds_read_b32 v107, v5 offset:1040
	v_and_b32_e32 v5, 1, v20
	v_add_co_u32_e32 v21, vcc, -1, v5
	v_addc_co_u32_e64 v109, s[36:37], 0, -1, vcc
	v_cmp_ne_u32_e32 vcc, 0, v5
	v_xor_b32_e32 v5, vcc_hi, v109
	v_and_b32_e32 v109, exec_hi, v5
	v_lshlrev_b32_e32 v5, 30, v20
	v_xor_b32_e32 v21, vcc_lo, v21
	v_cmp_gt_i64_e32 vcc, 0, v[4:5]
	v_not_b32_e32 v5, v5
	v_ashrrev_i32_e32 v5, 31, v5
	v_and_b32_e32 v21, exec_lo, v21
	v_xor_b32_e32 v110, vcc_hi, v5
	v_xor_b32_e32 v5, vcc_lo, v5
	v_and_b32_e32 v21, v21, v5
	v_lshlrev_b32_e32 v5, 29, v20
	v_cmp_gt_i64_e32 vcc, 0, v[4:5]
	v_not_b32_e32 v5, v5
	v_ashrrev_i32_e32 v5, 31, v5
	v_and_b32_e32 v109, v109, v110
	v_xor_b32_e32 v110, vcc_hi, v5
	v_xor_b32_e32 v5, vcc_lo, v5
	v_and_b32_e32 v21, v21, v5
	v_lshlrev_b32_e32 v5, 28, v20
	v_cmp_gt_i64_e32 vcc, 0, v[4:5]
	v_not_b32_e32 v5, v5
	v_ashrrev_i32_e32 v5, 31, v5
	v_and_b32_e32 v109, v109, v110
	;; [unrolled: 8-line block ×5, first 2 shown]
	v_xor_b32_e32 v110, vcc_hi, v5
	v_xor_b32_e32 v5, vcc_lo, v5
	v_and_b32_e32 v109, v109, v110
	v_and_b32_e32 v110, v21, v5
	v_lshlrev_b32_e32 v5, 24, v20
	v_cmp_gt_i64_e32 vcc, 0, v[4:5]
	v_not_b32_e32 v5, v5
	v_ashrrev_i32_e32 v5, 31, v5
	v_xor_b32_e32 v20, vcc_hi, v5
	v_xor_b32_e32 v5, vcc_lo, v5
	v_and_b32_e32 v21, v109, v20
	v_and_b32_e32 v20, v110, v5
	v_mbcnt_lo_u32_b32 v5, v20, 0
	v_mbcnt_hi_u32_b32 v109, v21, v5
	v_cmp_eq_u32_e32 vcc, 0, v109
	v_cmp_ne_u64_e64 s[36:37], 0, v[20:21]
	s_and_b64 s[38:39], s[36:37], vcc
	; wave barrier
	s_and_saveexec_b64 s[36:37], s[38:39]
	s_cbranch_execz .LBB396_90
; %bb.89:                               ;   in Loop: Header=BB396_66 Depth=2
	v_bcnt_u32_b32 v5, v20, 0
	v_bcnt_u32_b32 v5, v21, v5
	s_waitcnt lgkmcnt(0)
	v_add_u32_e32 v5, v107, v5
	ds_write_b32 v108, v5
.LBB396_90:                             ;   in Loop: Header=BB396_66 Depth=2
	s_or_b64 exec, exec, s[36:37]
	v_xor_b32_e32 v91, 0xffffff80, v91
	v_lshrrev_b32_sdwa v5, s68, v91 dst_sel:DWORD dst_unused:UNUSED_PAD src0_sel:DWORD src1_sel:BYTE_0
	v_and_b32_e32 v20, s77, v5
	v_mul_u32_u24_e32 v5, 5, v20
	v_add_lshl_u32 v5, v5, v88, 2
	; wave barrier
	v_add_u32_e32 v111, 0x410, v5
	ds_read_b32 v110, v5 offset:1040
	v_and_b32_e32 v5, 1, v20
	v_add_co_u32_e32 v21, vcc, -1, v5
	v_addc_co_u32_e64 v112, s[36:37], 0, -1, vcc
	v_cmp_ne_u32_e32 vcc, 0, v5
	v_xor_b32_e32 v5, vcc_hi, v112
	v_and_b32_e32 v112, exec_hi, v5
	v_lshlrev_b32_e32 v5, 30, v20
	v_xor_b32_e32 v21, vcc_lo, v21
	v_cmp_gt_i64_e32 vcc, 0, v[4:5]
	v_not_b32_e32 v5, v5
	v_ashrrev_i32_e32 v5, 31, v5
	v_and_b32_e32 v21, exec_lo, v21
	v_xor_b32_e32 v113, vcc_hi, v5
	v_xor_b32_e32 v5, vcc_lo, v5
	v_and_b32_e32 v21, v21, v5
	v_lshlrev_b32_e32 v5, 29, v20
	v_cmp_gt_i64_e32 vcc, 0, v[4:5]
	v_not_b32_e32 v5, v5
	v_ashrrev_i32_e32 v5, 31, v5
	v_and_b32_e32 v112, v112, v113
	v_xor_b32_e32 v113, vcc_hi, v5
	v_xor_b32_e32 v5, vcc_lo, v5
	v_and_b32_e32 v21, v21, v5
	v_lshlrev_b32_e32 v5, 28, v20
	v_cmp_gt_i64_e32 vcc, 0, v[4:5]
	v_not_b32_e32 v5, v5
	v_ashrrev_i32_e32 v5, 31, v5
	v_and_b32_e32 v112, v112, v113
	;; [unrolled: 8-line block ×5, first 2 shown]
	v_xor_b32_e32 v113, vcc_hi, v5
	v_xor_b32_e32 v5, vcc_lo, v5
	v_and_b32_e32 v112, v112, v113
	v_and_b32_e32 v113, v21, v5
	v_lshlrev_b32_e32 v5, 24, v20
	v_cmp_gt_i64_e32 vcc, 0, v[4:5]
	v_not_b32_e32 v5, v5
	v_ashrrev_i32_e32 v5, 31, v5
	v_xor_b32_e32 v20, vcc_hi, v5
	v_xor_b32_e32 v5, vcc_lo, v5
	v_and_b32_e32 v21, v112, v20
	v_and_b32_e32 v20, v113, v5
	v_mbcnt_lo_u32_b32 v5, v20, 0
	v_mbcnt_hi_u32_b32 v112, v21, v5
	v_cmp_eq_u32_e32 vcc, 0, v112
	v_cmp_ne_u64_e64 s[36:37], 0, v[20:21]
	s_and_b64 s[38:39], s[36:37], vcc
	; wave barrier
	s_and_saveexec_b64 s[36:37], s[38:39]
	s_cbranch_execz .LBB396_92
; %bb.91:                               ;   in Loop: Header=BB396_66 Depth=2
	v_bcnt_u32_b32 v5, v20, 0
	v_bcnt_u32_b32 v5, v21, v5
	s_waitcnt lgkmcnt(0)
	v_add_u32_e32 v5, v110, v5
	ds_write_b32 v111, v5
.LBB396_92:                             ;   in Loop: Header=BB396_66 Depth=2
	s_or_b64 exec, exec, s[36:37]
	v_xor_b32_e32 v113, 0xffffff80, v23
	v_lshrrev_b32_sdwa v5, s68, v113 dst_sel:DWORD dst_unused:UNUSED_PAD src0_sel:DWORD src1_sel:BYTE_0
	v_and_b32_e32 v20, s77, v5
	v_mul_u32_u24_e32 v5, 5, v20
	v_add_lshl_u32 v5, v5, v88, 2
	; wave barrier
	v_add_u32_e32 v115, 0x410, v5
	ds_read_b32 v114, v5 offset:1040
	v_and_b32_e32 v5, 1, v20
	v_add_co_u32_e32 v21, vcc, -1, v5
	v_addc_co_u32_e64 v23, s[36:37], 0, -1, vcc
	v_cmp_ne_u32_e32 vcc, 0, v5
	v_xor_b32_e32 v5, vcc_hi, v23
	v_and_b32_e32 v23, exec_hi, v5
	v_lshlrev_b32_e32 v5, 30, v20
	v_xor_b32_e32 v21, vcc_lo, v21
	v_cmp_gt_i64_e32 vcc, 0, v[4:5]
	v_not_b32_e32 v5, v5
	v_ashrrev_i32_e32 v5, 31, v5
	v_and_b32_e32 v21, exec_lo, v21
	v_xor_b32_e32 v116, vcc_hi, v5
	v_xor_b32_e32 v5, vcc_lo, v5
	v_and_b32_e32 v21, v21, v5
	v_lshlrev_b32_e32 v5, 29, v20
	v_cmp_gt_i64_e32 vcc, 0, v[4:5]
	v_not_b32_e32 v5, v5
	v_ashrrev_i32_e32 v5, 31, v5
	v_and_b32_e32 v23, v23, v116
	v_xor_b32_e32 v116, vcc_hi, v5
	v_xor_b32_e32 v5, vcc_lo, v5
	v_and_b32_e32 v21, v21, v5
	v_lshlrev_b32_e32 v5, 28, v20
	v_cmp_gt_i64_e32 vcc, 0, v[4:5]
	v_not_b32_e32 v5, v5
	v_ashrrev_i32_e32 v5, 31, v5
	v_and_b32_e32 v23, v23, v116
	;; [unrolled: 8-line block ×5, first 2 shown]
	v_xor_b32_e32 v116, vcc_hi, v5
	v_xor_b32_e32 v5, vcc_lo, v5
	v_and_b32_e32 v23, v23, v116
	v_and_b32_e32 v116, v21, v5
	v_lshlrev_b32_e32 v5, 24, v20
	v_cmp_gt_i64_e32 vcc, 0, v[4:5]
	v_not_b32_e32 v5, v5
	v_ashrrev_i32_e32 v5, 31, v5
	v_xor_b32_e32 v20, vcc_hi, v5
	v_xor_b32_e32 v5, vcc_lo, v5
	v_and_b32_e32 v21, v23, v20
	v_and_b32_e32 v20, v116, v5
	v_mbcnt_lo_u32_b32 v5, v20, 0
	v_mbcnt_hi_u32_b32 v116, v21, v5
	v_cmp_eq_u32_e32 vcc, 0, v116
	v_cmp_ne_u64_e64 s[36:37], 0, v[20:21]
	s_and_b64 s[38:39], s[36:37], vcc
	; wave barrier
	s_and_saveexec_b64 s[36:37], s[38:39]
	s_cbranch_execz .LBB396_94
; %bb.93:                               ;   in Loop: Header=BB396_66 Depth=2
	v_bcnt_u32_b32 v5, v20, 0
	v_bcnt_u32_b32 v5, v21, v5
	s_waitcnt lgkmcnt(0)
	v_add_u32_e32 v5, v114, v5
	ds_write_b32 v115, v5
.LBB396_94:                             ;   in Loop: Header=BB396_66 Depth=2
	s_or_b64 exec, exec, s[36:37]
	v_xor_b32_e32 v117, 0xffffff80, v22
	v_lshrrev_b32_sdwa v5, s68, v117 dst_sel:DWORD dst_unused:UNUSED_PAD src0_sel:DWORD src1_sel:BYTE_0
	v_and_b32_e32 v20, s77, v5
	v_mul_u32_u24_e32 v5, 5, v20
	v_add_lshl_u32 v5, v5, v88, 2
	; wave barrier
	v_add_u32_e32 v119, 0x410, v5
	ds_read_b32 v118, v5 offset:1040
	v_and_b32_e32 v5, 1, v20
	v_add_co_u32_e32 v21, vcc, -1, v5
	v_addc_co_u32_e64 v22, s[36:37], 0, -1, vcc
	v_cmp_ne_u32_e32 vcc, 0, v5
	v_xor_b32_e32 v5, vcc_hi, v22
	v_and_b32_e32 v22, exec_hi, v5
	v_lshlrev_b32_e32 v5, 30, v20
	v_xor_b32_e32 v21, vcc_lo, v21
	v_cmp_gt_i64_e32 vcc, 0, v[4:5]
	v_not_b32_e32 v5, v5
	v_ashrrev_i32_e32 v5, 31, v5
	v_and_b32_e32 v21, exec_lo, v21
	v_xor_b32_e32 v23, vcc_hi, v5
	v_xor_b32_e32 v5, vcc_lo, v5
	v_and_b32_e32 v21, v21, v5
	v_lshlrev_b32_e32 v5, 29, v20
	v_cmp_gt_i64_e32 vcc, 0, v[4:5]
	v_not_b32_e32 v5, v5
	v_ashrrev_i32_e32 v5, 31, v5
	v_and_b32_e32 v22, v22, v23
	v_xor_b32_e32 v23, vcc_hi, v5
	v_xor_b32_e32 v5, vcc_lo, v5
	v_and_b32_e32 v21, v21, v5
	v_lshlrev_b32_e32 v5, 28, v20
	v_cmp_gt_i64_e32 vcc, 0, v[4:5]
	v_not_b32_e32 v5, v5
	v_ashrrev_i32_e32 v5, 31, v5
	v_and_b32_e32 v22, v22, v23
	;; [unrolled: 8-line block ×5, first 2 shown]
	v_xor_b32_e32 v23, vcc_hi, v5
	v_xor_b32_e32 v5, vcc_lo, v5
	v_and_b32_e32 v22, v22, v23
	v_and_b32_e32 v23, v21, v5
	v_lshlrev_b32_e32 v5, 24, v20
	v_cmp_gt_i64_e32 vcc, 0, v[4:5]
	v_not_b32_e32 v5, v5
	v_ashrrev_i32_e32 v5, 31, v5
	v_xor_b32_e32 v20, vcc_hi, v5
	v_xor_b32_e32 v5, vcc_lo, v5
	v_and_b32_e32 v21, v22, v20
	v_and_b32_e32 v20, v23, v5
	v_mbcnt_lo_u32_b32 v5, v20, 0
	v_mbcnt_hi_u32_b32 v120, v21, v5
	v_cmp_eq_u32_e32 vcc, 0, v120
	v_cmp_ne_u64_e64 s[36:37], 0, v[20:21]
	s_and_b64 s[38:39], s[36:37], vcc
	; wave barrier
	s_and_saveexec_b64 s[36:37], s[38:39]
	s_cbranch_execz .LBB396_96
; %bb.95:                               ;   in Loop: Header=BB396_66 Depth=2
	v_bcnt_u32_b32 v5, v20, 0
	v_bcnt_u32_b32 v5, v21, v5
	s_waitcnt lgkmcnt(0)
	v_add_u32_e32 v5, v118, v5
	ds_write_b32 v119, v5
.LBB396_96:                             ;   in Loop: Header=BB396_66 Depth=2
	s_or_b64 exec, exec, s[36:37]
	; wave barrier
	s_waitcnt lgkmcnt(0)
	s_barrier
	ds_read_b32 v5, v42 offset:1040
	ds_read2_b32 v[22:23], v44 offset0:1 offset1:2
	ds_read2_b32 v[20:21], v44 offset0:3 offset1:4
	s_waitcnt lgkmcnt(1)
	v_add3_u32 v121, v22, v5, v23
	s_waitcnt lgkmcnt(0)
	v_add3_u32 v21, v121, v20, v21
	s_nop 1
	v_mov_b32_dpp v121, v21 row_shr:1 row_mask:0xf bank_mask:0xf
	v_cndmask_b32_e64 v121, v121, 0, s[16:17]
	v_add_u32_e32 v21, v121, v21
	s_nop 1
	v_mov_b32_dpp v121, v21 row_shr:2 row_mask:0xf bank_mask:0xf
	v_cndmask_b32_e64 v121, 0, v121, s[18:19]
	v_add_u32_e32 v21, v21, v121
	;; [unrolled: 4-line block ×4, first 2 shown]
	s_nop 1
	v_mov_b32_dpp v121, v21 row_bcast:15 row_mask:0xf bank_mask:0xf
	v_cndmask_b32_e64 v121, v121, 0, s[24:25]
	v_add_u32_e32 v21, v21, v121
	s_nop 1
	v_mov_b32_dpp v121, v21 row_bcast:31 row_mask:0xf bank_mask:0xf
	v_cndmask_b32_e64 v121, 0, v121, s[26:27]
	v_add_u32_e32 v21, v21, v121
	s_and_saveexec_b64 s[36:37], s[6:7]
	s_cbranch_execz .LBB396_98
; %bb.97:                               ;   in Loop: Header=BB396_66 Depth=2
	ds_write_b32 v35, v21 offset:1024
.LBB396_98:                             ;   in Loop: Header=BB396_66 Depth=2
	s_or_b64 exec, exec, s[36:37]
	s_waitcnt lgkmcnt(0)
	s_barrier
	s_and_saveexec_b64 s[36:37], s[8:9]
	s_cbranch_execz .LBB396_100
; %bb.99:                               ;   in Loop: Header=BB396_66 Depth=2
	v_add_u32_e32 v121, v42, v45
	ds_read_b32 v122, v121 offset:1024
	s_waitcnt lgkmcnt(0)
	s_nop 0
	v_mov_b32_dpp v123, v122 row_shr:1 row_mask:0xf bank_mask:0xf
	v_cndmask_b32_e64 v123, v123, 0, s[30:31]
	v_add_u32_e32 v122, v123, v122
	s_nop 1
	v_mov_b32_dpp v123, v122 row_shr:2 row_mask:0xf bank_mask:0xf
	v_cndmask_b32_e64 v123, 0, v123, s[34:35]
	v_add_u32_e32 v122, v122, v123
	ds_write_b32 v121, v122 offset:1024
.LBB396_100:                            ;   in Loop: Header=BB396_66 Depth=2
	s_or_b64 exec, exec, s[36:37]
	v_mov_b32_e32 v121, 0
	s_waitcnt lgkmcnt(0)
	s_barrier
	s_and_saveexec_b64 s[36:37], s[10:11]
	s_cbranch_execz .LBB396_102
; %bb.101:                              ;   in Loop: Header=BB396_66 Depth=2
	ds_read_b32 v121, v35 offset:1020
.LBB396_102:                            ;   in Loop: Header=BB396_66 Depth=2
	s_or_b64 exec, exec, s[36:37]
	s_waitcnt lgkmcnt(0)
	v_add_u32_e32 v21, v121, v21
	ds_bpermute_b32 v21, v65, v21
	s_waitcnt lgkmcnt(0)
	v_cndmask_b32_e64 v21, v21, v121, s[28:29]
	v_cndmask_b32_e64 v21, v21, 0, s[12:13]
	v_add_u32_e32 v5, v21, v5
	ds_write_b32 v42, v21 offset:1040
	v_add_u32_e32 v21, v5, v22
	v_add_u32_e32 v22, v21, v23
	ds_write2_b32 v44, v5, v21 offset0:1 offset1:2
	v_add_u32_e32 v5, v22, v20
	ds_write2_b32 v44, v22, v5 offset0:3 offset1:4
	s_waitcnt lgkmcnt(0)
	s_barrier
	ds_read_b32 v20, v97
	ds_read_b32 v21, v102
	;; [unrolled: 1-line block ×8, first 2 shown]
	ds_read_b32 v97, v42 offset:1040
	v_mov_b32_e32 v5, 0x800
	s_and_saveexec_b64 s[36:37], s[14:15]
	s_cbranch_execz .LBB396_104
; %bb.103:                              ;   in Loop: Header=BB396_66 Depth=2
	ds_read_b32 v5, v42 offset:1060
.LBB396_104:                            ;   in Loop: Header=BB396_66 Depth=2
	s_or_b64 exec, exec, s[36:37]
	s_waitcnt lgkmcnt(0)
	s_barrier
	s_and_saveexec_b64 s[36:37], s[4:5]
	s_cbranch_execz .LBB396_106
; %bb.105:                              ;   in Loop: Header=BB396_66 Depth=2
	ds_read_b32 v102, v3
	s_waitcnt lgkmcnt(0)
	v_sub_u32_e32 v97, v102, v97
	ds_write_b32 v3, v97
.LBB396_106:                            ;   in Loop: Header=BB396_66 Depth=2
	s_or_b64 exec, exec, s[36:37]
	v_add_u32_e32 v102, v92, v93
	v_add3_u32 v98, v98, v95, v20
	v_add3_u32 v97, v103, v100, v21
	;; [unrolled: 1-line block ×7, first 2 shown]
	v_cmp_lt_u32_e64 s[48:49], v2, v89
	ds_write_b8 v102, v90 offset:1024
	ds_write_b8 v98, v94 offset:1024
	;; [unrolled: 1-line block ×8, first 2 shown]
	s_waitcnt lgkmcnt(0)
	s_barrier
	s_and_saveexec_b64 s[36:37], s[48:49]
	s_cbranch_execz .LBB396_114
; %bb.107:                              ;   in Loop: Header=BB396_66 Depth=2
	ds_read_u8 v20, v2 offset:1024
	s_waitcnt lgkmcnt(0)
	v_lshrrev_b32_sdwa v21, s68, v20 dst_sel:DWORD dst_unused:UNUSED_PAD src0_sel:DWORD src1_sel:BYTE_0
	v_and_b32_e32 v21, s77, v21
	v_lshlrev_b32_e32 v21, 2, v21
	ds_read_b32 v21, v21
	v_xor_b32_e32 v20, 0x80, v20
	s_waitcnt lgkmcnt(0)
	v_add_u32_e32 v21, v21, v2
	global_store_byte v21, v20, s[58:59]
	s_or_b64 exec, exec, s[36:37]
	v_cmp_lt_u32_e64 s[46:47], v24, v89
	s_and_saveexec_b64 s[36:37], s[46:47]
	s_cbranch_execnz .LBB396_115
.LBB396_108:                            ;   in Loop: Header=BB396_66 Depth=2
	s_or_b64 exec, exec, s[36:37]
	v_cmp_lt_u32_e64 s[44:45], v25, v89
	s_and_saveexec_b64 s[36:37], s[44:45]
	s_cbranch_execz .LBB396_116
.LBB396_109:                            ;   in Loop: Header=BB396_66 Depth=2
	ds_read_u8 v20, v30 offset:512
	s_waitcnt lgkmcnt(0)
	v_lshrrev_b32_sdwa v21, s68, v20 dst_sel:DWORD dst_unused:UNUSED_PAD src0_sel:DWORD src1_sel:BYTE_0
	v_and_b32_e32 v21, s77, v21
	v_lshlrev_b32_e32 v21, 2, v21
	ds_read_b32 v21, v21
	v_xor_b32_e32 v20, 0x80, v20
	s_waitcnt lgkmcnt(0)
	v_add_u32_e32 v21, v21, v25
	global_store_byte v21, v20, s[58:59]
	s_or_b64 exec, exec, s[36:37]
	v_cmp_lt_u32_e64 s[42:43], v26, v89
	s_and_saveexec_b64 s[36:37], s[42:43]
	s_cbranch_execnz .LBB396_117
.LBB396_110:                            ;   in Loop: Header=BB396_66 Depth=2
	s_or_b64 exec, exec, s[36:37]
	v_cmp_lt_u32_e64 s[40:41], v30, v89
	s_and_saveexec_b64 s[36:37], s[40:41]
	s_cbranch_execz .LBB396_118
.LBB396_111:                            ;   in Loop: Header=BB396_66 Depth=2
	ds_read_u8 v20, v30 offset:1024
	s_waitcnt lgkmcnt(0)
	v_lshrrev_b32_sdwa v21, s68, v20 dst_sel:DWORD dst_unused:UNUSED_PAD src0_sel:DWORD src1_sel:BYTE_0
	v_and_b32_e32 v21, s77, v21
	v_lshlrev_b32_e32 v21, 2, v21
	ds_read_b32 v21, v21
	v_xor_b32_e32 v20, 0x80, v20
	s_waitcnt lgkmcnt(0)
	v_add_u32_e32 v21, v21, v30
	global_store_byte v21, v20, s[58:59]
	s_or_b64 exec, exec, s[36:37]
	v_cmp_lt_u32_e64 s[38:39], v31, v89
	s_and_saveexec_b64 s[36:37], s[38:39]
	s_cbranch_execnz .LBB396_119
.LBB396_112:                            ;   in Loop: Header=BB396_66 Depth=2
	s_or_b64 exec, exec, s[36:37]
	v_cmp_lt_u32_e64 s[36:37], v32, v89
	s_and_saveexec_b64 s[52:53], s[36:37]
	s_cbranch_execz .LBB396_120
.LBB396_113:                            ;   in Loop: Header=BB396_66 Depth=2
	ds_read_u8 v20, v30 offset:1536
	s_waitcnt lgkmcnt(0)
	v_lshrrev_b32_sdwa v21, s68, v20 dst_sel:DWORD dst_unused:UNUSED_PAD src0_sel:DWORD src1_sel:BYTE_0
	v_and_b32_e32 v21, s77, v21
	v_lshlrev_b32_e32 v21, 2, v21
	ds_read_b32 v21, v21
	v_xor_b32_e32 v20, 0x80, v20
	s_waitcnt lgkmcnt(0)
	v_add_u32_e32 v21, v21, v32
	global_store_byte v21, v20, s[58:59]
	s_or_b64 exec, exec, s[52:53]
	v_cmp_lt_u32_e32 vcc, v33, v89
	s_and_saveexec_b64 s[52:53], vcc
	s_cbranch_execnz .LBB396_121
	s_branch .LBB396_122
.LBB396_114:                            ;   in Loop: Header=BB396_66 Depth=2
	s_or_b64 exec, exec, s[36:37]
	v_cmp_lt_u32_e64 s[46:47], v24, v89
	s_and_saveexec_b64 s[36:37], s[46:47]
	s_cbranch_execz .LBB396_108
.LBB396_115:                            ;   in Loop: Header=BB396_66 Depth=2
	ds_read_u8 v20, v30 offset:256
	s_waitcnt lgkmcnt(0)
	v_lshrrev_b32_sdwa v21, s68, v20 dst_sel:DWORD dst_unused:UNUSED_PAD src0_sel:DWORD src1_sel:BYTE_0
	v_and_b32_e32 v21, s77, v21
	v_lshlrev_b32_e32 v21, 2, v21
	ds_read_b32 v21, v21
	v_xor_b32_e32 v20, 0x80, v20
	s_waitcnt lgkmcnt(0)
	v_add_u32_e32 v21, v21, v24
	global_store_byte v21, v20, s[58:59]
	s_or_b64 exec, exec, s[36:37]
	v_cmp_lt_u32_e64 s[44:45], v25, v89
	s_and_saveexec_b64 s[36:37], s[44:45]
	s_cbranch_execnz .LBB396_109
.LBB396_116:                            ;   in Loop: Header=BB396_66 Depth=2
	s_or_b64 exec, exec, s[36:37]
	v_cmp_lt_u32_e64 s[42:43], v26, v89
	s_and_saveexec_b64 s[36:37], s[42:43]
	s_cbranch_execz .LBB396_110
.LBB396_117:                            ;   in Loop: Header=BB396_66 Depth=2
	ds_read_u8 v20, v30 offset:768
	s_waitcnt lgkmcnt(0)
	v_lshrrev_b32_sdwa v21, s68, v20 dst_sel:DWORD dst_unused:UNUSED_PAD src0_sel:DWORD src1_sel:BYTE_0
	v_and_b32_e32 v21, s77, v21
	v_lshlrev_b32_e32 v21, 2, v21
	ds_read_b32 v21, v21
	v_xor_b32_e32 v20, 0x80, v20
	s_waitcnt lgkmcnt(0)
	v_add_u32_e32 v21, v21, v26
	global_store_byte v21, v20, s[58:59]
	s_or_b64 exec, exec, s[36:37]
	v_cmp_lt_u32_e64 s[40:41], v30, v89
	s_and_saveexec_b64 s[36:37], s[40:41]
	s_cbranch_execnz .LBB396_111
.LBB396_118:                            ;   in Loop: Header=BB396_66 Depth=2
	s_or_b64 exec, exec, s[36:37]
	v_cmp_lt_u32_e64 s[38:39], v31, v89
	s_and_saveexec_b64 s[36:37], s[38:39]
	s_cbranch_execz .LBB396_112
.LBB396_119:                            ;   in Loop: Header=BB396_66 Depth=2
	ds_read_u8 v20, v30 offset:1280
	s_waitcnt lgkmcnt(0)
	v_lshrrev_b32_sdwa v21, s68, v20 dst_sel:DWORD dst_unused:UNUSED_PAD src0_sel:DWORD src1_sel:BYTE_0
	v_and_b32_e32 v21, s77, v21
	v_lshlrev_b32_e32 v21, 2, v21
	ds_read_b32 v21, v21
	v_xor_b32_e32 v20, 0x80, v20
	s_waitcnt lgkmcnt(0)
	v_add_u32_e32 v21, v21, v31
	global_store_byte v21, v20, s[58:59]
	s_or_b64 exec, exec, s[36:37]
	v_cmp_lt_u32_e64 s[36:37], v32, v89
	s_and_saveexec_b64 s[52:53], s[36:37]
	s_cbranch_execnz .LBB396_113
.LBB396_120:                            ;   in Loop: Header=BB396_66 Depth=2
	s_or_b64 exec, exec, s[52:53]
	v_cmp_lt_u32_e32 vcc, v33, v89
	s_and_saveexec_b64 s[52:53], vcc
	s_cbranch_execz .LBB396_122
.LBB396_121:                            ;   in Loop: Header=BB396_66 Depth=2
	ds_read_u8 v20, v30 offset:1792
	s_waitcnt lgkmcnt(0)
	v_lshrrev_b32_sdwa v21, s68, v20 dst_sel:DWORD dst_unused:UNUSED_PAD src0_sel:DWORD src1_sel:BYTE_0
	v_and_b32_e32 v21, s77, v21
	v_lshlrev_b32_e32 v21, 2, v21
	ds_read_b32 v21, v21
	v_xor_b32_e32 v20, 0x80, v20
	s_waitcnt lgkmcnt(0)
	v_add_u32_e32 v21, v21, v33
	global_store_byte v21, v20, s[58:59]
.LBB396_122:                            ;   in Loop: Header=BB396_66 Depth=2
	s_or_b64 exec, exec, s[52:53]
	s_lshl_b64 s[52:53], s[72:73], 3
	v_mov_b32_e32 v21, s53
	v_add_co_u32_e64 v20, s[52:53], s52, v77
	v_addc_co_u32_e64 v21, s[52:53], v78, v21, s[52:53]
	v_cmp_lt_u32_e64 s[52:53], v72, v89
	s_and_saveexec_b64 s[62:63], s[52:53]
	s_xor_b64 s[52:53], exec, s[62:63]
	s_cbranch_execz .LBB396_138
; %bb.123:                              ;   in Loop: Header=BB396_66 Depth=2
	global_load_dwordx2 v[18:19], v[20:21], off
	s_or_b64 exec, exec, s[52:53]
	v_cmp_lt_u32_e64 s[52:53], v79, v89
	s_and_saveexec_b64 s[62:63], s[52:53]
	s_cbranch_execnz .LBB396_139
.LBB396_124:                            ;   in Loop: Header=BB396_66 Depth=2
	s_or_b64 exec, exec, s[62:63]
	v_cmp_lt_u32_e64 s[52:53], v80, v89
	s_and_saveexec_b64 s[62:63], s[52:53]
	s_cbranch_execz .LBB396_140
.LBB396_125:                            ;   in Loop: Header=BB396_66 Depth=2
	global_load_dwordx2 v[14:15], v[20:21], off offset:1024
	s_or_b64 exec, exec, s[62:63]
	v_cmp_lt_u32_e64 s[52:53], v81, v89
	s_and_saveexec_b64 s[62:63], s[52:53]
	s_cbranch_execnz .LBB396_141
.LBB396_126:                            ;   in Loop: Header=BB396_66 Depth=2
	s_or_b64 exec, exec, s[62:63]
	v_cmp_lt_u32_e64 s[52:53], v82, v89
	s_and_saveexec_b64 s[62:63], s[52:53]
	s_cbranch_execz .LBB396_142
.LBB396_127:                            ;   in Loop: Header=BB396_66 Depth=2
	global_load_dwordx2 v[10:11], v[20:21], off offset:2048
	s_or_b64 exec, exec, s[62:63]
	v_cmp_lt_u32_e64 s[52:53], v83, v89
	s_and_saveexec_b64 s[62:63], s[52:53]
	s_cbranch_execnz .LBB396_143
.LBB396_128:                            ;   in Loop: Header=BB396_66 Depth=2
	s_or_b64 exec, exec, s[62:63]
	v_cmp_lt_u32_e64 s[52:53], v84, v89
	s_and_saveexec_b64 s[62:63], s[52:53]
	s_cbranch_execz .LBB396_144
.LBB396_129:                            ;   in Loop: Header=BB396_66 Depth=2
	global_load_dwordx2 v[6:7], v[20:21], off offset:3072
	s_or_b64 exec, exec, s[62:63]
	v_cmp_lt_u32_e64 s[52:53], v85, v89
	s_and_saveexec_b64 s[62:63], s[52:53]
	s_cbranch_execnz .LBB396_145
.LBB396_130:                            ;   in Loop: Header=BB396_66 Depth=2
	s_or_b64 exec, exec, s[62:63]
	s_and_saveexec_b64 s[52:53], s[48:49]
	s_cbranch_execz .LBB396_146
.LBB396_131:                            ;   in Loop: Header=BB396_66 Depth=2
	ds_read_u8 v20, v2 offset:1024
	s_waitcnt lgkmcnt(0)
	v_lshrrev_b32_e32 v20, s68, v20
	v_and_b32_e32 v75, s77, v20
	s_or_b64 exec, exec, s[52:53]
	s_and_saveexec_b64 s[52:53], s[46:47]
	s_cbranch_execnz .LBB396_147
.LBB396_132:                            ;   in Loop: Header=BB396_66 Depth=2
	s_or_b64 exec, exec, s[52:53]
	s_and_saveexec_b64 s[52:53], s[44:45]
	s_cbranch_execz .LBB396_148
.LBB396_133:                            ;   in Loop: Header=BB396_66 Depth=2
	ds_read_u8 v20, v30 offset:512
	s_waitcnt lgkmcnt(0)
	v_lshrrev_b32_e32 v20, s68, v20
	v_and_b32_e32 v71, s77, v20
	s_or_b64 exec, exec, s[52:53]
	s_and_saveexec_b64 s[52:53], s[42:43]
	s_cbranch_execnz .LBB396_149
.LBB396_134:                            ;   in Loop: Header=BB396_66 Depth=2
	s_or_b64 exec, exec, s[52:53]
	s_and_saveexec_b64 s[52:53], s[40:41]
	s_cbranch_execz .LBB396_150
.LBB396_135:                            ;   in Loop: Header=BB396_66 Depth=2
	ds_read_u8 v20, v30 offset:1024
	s_waitcnt lgkmcnt(0)
	v_lshrrev_b32_e32 v20, s68, v20
	v_and_b32_e32 v69, s77, v20
	s_or_b64 exec, exec, s[52:53]
	s_and_saveexec_b64 s[52:53], s[38:39]
	s_cbranch_execnz .LBB396_151
.LBB396_136:                            ;   in Loop: Header=BB396_66 Depth=2
	s_or_b64 exec, exec, s[52:53]
	s_and_saveexec_b64 s[52:53], s[36:37]
	s_cbranch_execz .LBB396_152
.LBB396_137:                            ;   in Loop: Header=BB396_66 Depth=2
	ds_read_u8 v20, v30 offset:1536
	s_waitcnt lgkmcnt(0)
	v_lshrrev_b32_e32 v20, s68, v20
	v_and_b32_e32 v67, s77, v20
	s_or_b64 exec, exec, s[52:53]
	s_and_saveexec_b64 s[52:53], vcc
	s_cbranch_execnz .LBB396_153
	s_branch .LBB396_154
.LBB396_138:                            ;   in Loop: Header=BB396_66 Depth=2
	s_or_b64 exec, exec, s[52:53]
	v_cmp_lt_u32_e64 s[52:53], v79, v89
	s_and_saveexec_b64 s[62:63], s[52:53]
	s_cbranch_execz .LBB396_124
.LBB396_139:                            ;   in Loop: Header=BB396_66 Depth=2
	global_load_dwordx2 v[16:17], v[20:21], off offset:512
	s_or_b64 exec, exec, s[62:63]
	v_cmp_lt_u32_e64 s[52:53], v80, v89
	s_and_saveexec_b64 s[62:63], s[52:53]
	s_cbranch_execnz .LBB396_125
.LBB396_140:                            ;   in Loop: Header=BB396_66 Depth=2
	s_or_b64 exec, exec, s[62:63]
	v_cmp_lt_u32_e64 s[52:53], v81, v89
	s_and_saveexec_b64 s[62:63], s[52:53]
	s_cbranch_execz .LBB396_126
.LBB396_141:                            ;   in Loop: Header=BB396_66 Depth=2
	global_load_dwordx2 v[12:13], v[20:21], off offset:1536
	s_or_b64 exec, exec, s[62:63]
	v_cmp_lt_u32_e64 s[52:53], v82, v89
	s_and_saveexec_b64 s[62:63], s[52:53]
	s_cbranch_execnz .LBB396_127
.LBB396_142:                            ;   in Loop: Header=BB396_66 Depth=2
	s_or_b64 exec, exec, s[62:63]
	v_cmp_lt_u32_e64 s[52:53], v83, v89
	s_and_saveexec_b64 s[62:63], s[52:53]
	s_cbranch_execz .LBB396_128
.LBB396_143:                            ;   in Loop: Header=BB396_66 Depth=2
	global_load_dwordx2 v[8:9], v[20:21], off offset:2560
	s_or_b64 exec, exec, s[62:63]
	v_cmp_lt_u32_e64 s[52:53], v84, v89
	s_and_saveexec_b64 s[62:63], s[52:53]
	s_cbranch_execnz .LBB396_129
.LBB396_144:                            ;   in Loop: Header=BB396_66 Depth=2
	s_or_b64 exec, exec, s[62:63]
	v_cmp_lt_u32_e64 s[52:53], v85, v89
	s_and_saveexec_b64 s[62:63], s[52:53]
	s_cbranch_execz .LBB396_130
.LBB396_145:                            ;   in Loop: Header=BB396_66 Depth=2
	global_load_dwordx2 v[0:1], v[20:21], off offset:3584
	s_or_b64 exec, exec, s[62:63]
	s_and_saveexec_b64 s[52:53], s[48:49]
	s_cbranch_execnz .LBB396_131
.LBB396_146:                            ;   in Loop: Header=BB396_66 Depth=2
	s_or_b64 exec, exec, s[52:53]
	s_and_saveexec_b64 s[52:53], s[46:47]
	s_cbranch_execz .LBB396_132
.LBB396_147:                            ;   in Loop: Header=BB396_66 Depth=2
	ds_read_u8 v20, v30 offset:256
	s_waitcnt lgkmcnt(0)
	v_lshrrev_b32_e32 v20, s68, v20
	v_and_b32_e32 v73, s77, v20
	s_or_b64 exec, exec, s[52:53]
	s_and_saveexec_b64 s[52:53], s[44:45]
	s_cbranch_execnz .LBB396_133
.LBB396_148:                            ;   in Loop: Header=BB396_66 Depth=2
	s_or_b64 exec, exec, s[52:53]
	s_and_saveexec_b64 s[52:53], s[42:43]
	s_cbranch_execz .LBB396_134
.LBB396_149:                            ;   in Loop: Header=BB396_66 Depth=2
	ds_read_u8 v20, v30 offset:768
	s_waitcnt lgkmcnt(0)
	v_lshrrev_b32_e32 v20, s68, v20
	v_and_b32_e32 v70, s77, v20
	s_or_b64 exec, exec, s[52:53]
	s_and_saveexec_b64 s[52:53], s[40:41]
	s_cbranch_execnz .LBB396_135
.LBB396_150:                            ;   in Loop: Header=BB396_66 Depth=2
	s_or_b64 exec, exec, s[52:53]
	s_and_saveexec_b64 s[52:53], s[38:39]
	s_cbranch_execz .LBB396_136
.LBB396_151:                            ;   in Loop: Header=BB396_66 Depth=2
	ds_read_u8 v20, v30 offset:1280
	s_waitcnt lgkmcnt(0)
	v_lshrrev_b32_e32 v20, s68, v20
	v_and_b32_e32 v68, s77, v20
	s_or_b64 exec, exec, s[52:53]
	s_and_saveexec_b64 s[52:53], s[36:37]
	s_cbranch_execnz .LBB396_137
.LBB396_152:                            ;   in Loop: Header=BB396_66 Depth=2
	s_or_b64 exec, exec, s[52:53]
	s_and_saveexec_b64 s[52:53], vcc
	s_cbranch_execz .LBB396_154
.LBB396_153:                            ;   in Loop: Header=BB396_66 Depth=2
	ds_read_u8 v20, v30 offset:1792
	s_waitcnt lgkmcnt(0)
	v_lshrrev_b32_e32 v20, s68, v20
	v_and_b32_e32 v66, s77, v20
.LBB396_154:                            ;   in Loop: Header=BB396_66 Depth=2
	s_or_b64 exec, exec, s[52:53]
	v_lshlrev_b32_e32 v20, 3, v102
	s_barrier
	s_waitcnt vmcnt(0)
	ds_write_b64 v20, v[18:19] offset:1024
	v_lshlrev_b32_e32 v20, 3, v98
	ds_write_b64 v20, v[16:17] offset:1024
	v_lshlrev_b32_e32 v20, 3, v97
	;; [unrolled: 2-line block ×7, first 2 shown]
	ds_write_b64 v20, v[0:1] offset:1024
	s_waitcnt lgkmcnt(0)
	s_barrier
	s_and_saveexec_b64 s[52:53], s[48:49]
	s_cbranch_execz .LBB396_162
; %bb.155:                              ;   in Loop: Header=BB396_66 Depth=2
	v_lshlrev_b32_e32 v20, 2, v75
	ds_read_b32 v22, v20
	v_add_u32_e32 v20, v2, v50
	ds_read_b64 v[20:21], v20 offset:1024
	v_mov_b32_e32 v23, v4
	v_mov_b32_e32 v89, s65
	s_waitcnt lgkmcnt(1)
	v_add_u32_e32 v22, v22, v2
	v_lshlrev_b64 v[22:23], 3, v[22:23]
	v_add_co_u32_e64 v22, s[48:49], s64, v22
	v_addc_co_u32_e64 v23, s[48:49], v89, v23, s[48:49]
	s_waitcnt lgkmcnt(0)
	global_store_dwordx2 v[22:23], v[20:21], off
	s_or_b64 exec, exec, s[52:53]
	s_and_saveexec_b64 s[48:49], s[46:47]
	s_cbranch_execnz .LBB396_163
.LBB396_156:                            ;   in Loop: Header=BB396_66 Depth=2
	s_or_b64 exec, exec, s[48:49]
	s_and_saveexec_b64 s[46:47], s[44:45]
	s_cbranch_execz .LBB396_164
.LBB396_157:                            ;   in Loop: Header=BB396_66 Depth=2
	v_lshlrev_b32_e32 v20, 2, v71
	ds_read_b32 v22, v20
	v_add_u32_e32 v20, v30, v50
	ds_read_b64 v[20:21], v20 offset:4096
	v_mov_b32_e32 v23, v4
	v_mov_b32_e32 v89, s65
	s_waitcnt lgkmcnt(1)
	v_add_u32_e32 v22, v22, v25
	v_lshlrev_b64 v[22:23], 3, v[22:23]
	v_add_co_u32_e64 v22, s[44:45], s64, v22
	v_addc_co_u32_e64 v23, s[44:45], v89, v23, s[44:45]
	s_waitcnt lgkmcnt(0)
	global_store_dwordx2 v[22:23], v[20:21], off
	s_or_b64 exec, exec, s[46:47]
	s_and_saveexec_b64 s[44:45], s[42:43]
	s_cbranch_execnz .LBB396_165
.LBB396_158:                            ;   in Loop: Header=BB396_66 Depth=2
	s_or_b64 exec, exec, s[44:45]
	s_and_saveexec_b64 s[42:43], s[40:41]
	s_cbranch_execz .LBB396_166
.LBB396_159:                            ;   in Loop: Header=BB396_66 Depth=2
	v_lshlrev_b32_e32 v20, 2, v69
	ds_read_b32 v22, v20
	v_add_u32_e32 v20, v30, v50
	ds_read_b64 v[20:21], v20 offset:8192
	v_mov_b32_e32 v23, v4
	v_mov_b32_e32 v89, s65
	s_waitcnt lgkmcnt(1)
	v_add_u32_e32 v22, v22, v30
	v_lshlrev_b64 v[22:23], 3, v[22:23]
	v_add_co_u32_e64 v22, s[40:41], s64, v22
	v_addc_co_u32_e64 v23, s[40:41], v89, v23, s[40:41]
	s_waitcnt lgkmcnt(0)
	global_store_dwordx2 v[22:23], v[20:21], off
	s_or_b64 exec, exec, s[42:43]
	s_and_saveexec_b64 s[40:41], s[38:39]
	s_cbranch_execnz .LBB396_167
.LBB396_160:                            ;   in Loop: Header=BB396_66 Depth=2
	s_or_b64 exec, exec, s[40:41]
	s_and_saveexec_b64 s[38:39], s[36:37]
	s_cbranch_execz .LBB396_168
.LBB396_161:                            ;   in Loop: Header=BB396_66 Depth=2
	v_lshlrev_b32_e32 v20, 2, v67
	ds_read_b32 v22, v20
	v_add_u32_e32 v20, v30, v50
	ds_read_b64 v[20:21], v20 offset:12288
	v_mov_b32_e32 v23, v4
	v_mov_b32_e32 v89, s65
	s_waitcnt lgkmcnt(1)
	v_add_u32_e32 v22, v22, v32
	v_lshlrev_b64 v[22:23], 3, v[22:23]
	v_add_co_u32_e64 v22, s[36:37], s64, v22
	v_addc_co_u32_e64 v23, s[36:37], v89, v23, s[36:37]
	s_waitcnt lgkmcnt(0)
	global_store_dwordx2 v[22:23], v[20:21], off
	s_or_b64 exec, exec, s[38:39]
	s_and_saveexec_b64 s[36:37], vcc
	s_cbranch_execnz .LBB396_169
	s_branch .LBB396_170
.LBB396_162:                            ;   in Loop: Header=BB396_66 Depth=2
	s_or_b64 exec, exec, s[52:53]
	s_and_saveexec_b64 s[48:49], s[46:47]
	s_cbranch_execz .LBB396_156
.LBB396_163:                            ;   in Loop: Header=BB396_66 Depth=2
	v_lshlrev_b32_e32 v20, 2, v73
	ds_read_b32 v22, v20
	v_add_u32_e32 v20, v30, v50
	ds_read_b64 v[20:21], v20 offset:2048
	v_mov_b32_e32 v23, v4
	v_mov_b32_e32 v89, s65
	s_waitcnt lgkmcnt(1)
	v_add_u32_e32 v22, v22, v24
	v_lshlrev_b64 v[22:23], 3, v[22:23]
	v_add_co_u32_e64 v22, s[46:47], s64, v22
	v_addc_co_u32_e64 v23, s[46:47], v89, v23, s[46:47]
	s_waitcnt lgkmcnt(0)
	global_store_dwordx2 v[22:23], v[20:21], off
	s_or_b64 exec, exec, s[48:49]
	s_and_saveexec_b64 s[46:47], s[44:45]
	s_cbranch_execnz .LBB396_157
.LBB396_164:                            ;   in Loop: Header=BB396_66 Depth=2
	s_or_b64 exec, exec, s[46:47]
	s_and_saveexec_b64 s[44:45], s[42:43]
	s_cbranch_execz .LBB396_158
.LBB396_165:                            ;   in Loop: Header=BB396_66 Depth=2
	v_lshlrev_b32_e32 v20, 2, v70
	ds_read_b32 v22, v20
	v_add_u32_e32 v20, v30, v50
	ds_read_b64 v[20:21], v20 offset:6144
	v_mov_b32_e32 v23, v4
	v_mov_b32_e32 v89, s65
	s_waitcnt lgkmcnt(1)
	v_add_u32_e32 v22, v22, v26
	v_lshlrev_b64 v[22:23], 3, v[22:23]
	v_add_co_u32_e64 v22, s[42:43], s64, v22
	v_addc_co_u32_e64 v23, s[42:43], v89, v23, s[42:43]
	s_waitcnt lgkmcnt(0)
	global_store_dwordx2 v[22:23], v[20:21], off
	s_or_b64 exec, exec, s[44:45]
	s_and_saveexec_b64 s[42:43], s[40:41]
	s_cbranch_execnz .LBB396_159
.LBB396_166:                            ;   in Loop: Header=BB396_66 Depth=2
	s_or_b64 exec, exec, s[42:43]
	s_and_saveexec_b64 s[40:41], s[38:39]
	s_cbranch_execz .LBB396_160
.LBB396_167:                            ;   in Loop: Header=BB396_66 Depth=2
	v_lshlrev_b32_e32 v20, 2, v68
	ds_read_b32 v22, v20
	v_add_u32_e32 v20, v30, v50
	ds_read_b64 v[20:21], v20 offset:10240
	v_mov_b32_e32 v23, v4
	v_mov_b32_e32 v89, s65
	s_waitcnt lgkmcnt(1)
	v_add_u32_e32 v22, v22, v31
	v_lshlrev_b64 v[22:23], 3, v[22:23]
	v_add_co_u32_e64 v22, s[38:39], s64, v22
	v_addc_co_u32_e64 v23, s[38:39], v89, v23, s[38:39]
	s_waitcnt lgkmcnt(0)
	global_store_dwordx2 v[22:23], v[20:21], off
	s_or_b64 exec, exec, s[40:41]
	s_and_saveexec_b64 s[38:39], s[36:37]
	s_cbranch_execnz .LBB396_161
.LBB396_168:                            ;   in Loop: Header=BB396_66 Depth=2
	s_or_b64 exec, exec, s[38:39]
	s_and_saveexec_b64 s[36:37], vcc
	s_cbranch_execz .LBB396_170
.LBB396_169:                            ;   in Loop: Header=BB396_66 Depth=2
	v_lshlrev_b32_e32 v20, 2, v66
	ds_read_b32 v22, v20
	v_add_u32_e32 v20, v30, v50
	ds_read_b64 v[20:21], v20 offset:14336
	v_mov_b32_e32 v23, v4
	v_mov_b32_e32 v89, s65
	s_waitcnt lgkmcnt(1)
	v_add_u32_e32 v22, v22, v33
	v_lshlrev_b64 v[22:23], 3, v[22:23]
	v_add_co_u32_e32 v22, vcc, s64, v22
	v_addc_co_u32_e32 v23, vcc, v89, v23, vcc
	s_waitcnt lgkmcnt(0)
	global_store_dwordx2 v[22:23], v[20:21], off
.LBB396_170:                            ;   in Loop: Header=BB396_66 Depth=2
	s_or_b64 exec, exec, s[36:37]
	s_barrier
	s_and_saveexec_b64 s[36:37], s[4:5]
	s_cbranch_execz .LBB396_65
; %bb.171:                              ;   in Loop: Header=BB396_66 Depth=2
	ds_read_b32 v20, v3
	s_waitcnt lgkmcnt(0)
	v_add_u32_e32 v5, v20, v5
	ds_write_b32 v3, v5
	s_branch .LBB396_65
.LBB396_172:                            ;   in Loop: Header=BB396_66 Depth=2
	s_or_b64 exec, exec, s[36:37]
	v_cmp_gt_u32_e32 vcc, s78, v79
	s_and_saveexec_b64 s[36:37], vcc
	s_cbranch_execz .LBB396_72
.LBB396_173:                            ;   in Loop: Header=BB396_66 Depth=2
	global_load_ubyte v94, v[20:21], off offset:64
	s_or_b64 exec, exec, s[36:37]
	v_cmp_gt_u32_e32 vcc, s78, v80
	s_and_saveexec_b64 s[36:37], vcc
	s_cbranch_execnz .LBB396_73
.LBB396_174:                            ;   in Loop: Header=BB396_66 Depth=2
	s_or_b64 exec, exec, s[36:37]
	v_cmp_gt_u32_e32 vcc, s78, v81
	s_and_saveexec_b64 s[36:37], vcc
	s_cbranch_execz .LBB396_74
.LBB396_175:                            ;   in Loop: Header=BB396_66 Depth=2
	global_load_ubyte v101, v[20:21], off offset:192
	s_or_b64 exec, exec, s[36:37]
	v_cmp_gt_u32_e32 vcc, s78, v82
	s_and_saveexec_b64 s[36:37], vcc
	s_cbranch_execnz .LBB396_75
.LBB396_176:                            ;   in Loop: Header=BB396_66 Depth=2
	s_or_b64 exec, exec, s[36:37]
	v_cmp_gt_u32_e32 vcc, s78, v83
	s_and_saveexec_b64 s[36:37], vcc
	s_cbranch_execz .LBB396_76
.LBB396_177:                            ;   in Loop: Header=BB396_66 Depth=2
	global_load_ubyte v91, v[20:21], off offset:320
	s_or_b64 exec, exec, s[36:37]
	v_cmp_gt_u32_e32 vcc, s78, v84
	s_and_saveexec_b64 s[36:37], vcc
	s_cbranch_execnz .LBB396_77
	s_branch .LBB396_78
.LBB396_178:                            ;   in Loop: Header=BB396_12 Depth=1
	s_waitcnt lgkmcnt(0)
	s_barrier
	s_mov_b64 s[16:17], 0
.LBB396_179:                            ;   in Loop: Header=BB396_12 Depth=1
	s_and_b64 vcc, exec, s[16:17]
	s_cbranch_vccz .LBB396_345
; %bb.180:                              ;   in Loop: Header=BB396_12 Depth=1
	s_mov_b32 s20, s71
	s_mov_b32 s22, s51
	s_barrier
	s_waitcnt lgkmcnt(0)
                                        ; implicit-def: $vgpr5
                                        ; implicit-def: $vgpr6
                                        ; implicit-def: $vgpr7
                                        ; implicit-def: $vgpr8
                                        ; implicit-def: $vgpr9
                                        ; implicit-def: $vgpr10
                                        ; implicit-def: $vgpr11
                                        ; implicit-def: $vgpr12
	s_branch .LBB396_182
.LBB396_181:                            ;   in Loop: Header=BB396_182 Depth=2
	s_or_b64 exec, exec, s[16:17]
	s_addk_i32 s20, 0xf800
	s_cmp_ge_u32 s21, s76
	s_mov_b32 s22, s21
	s_cbranch_scc1 .LBB396_220
.LBB396_182:                            ;   Parent Loop BB396_12 Depth=1
                                        ; =>  This Inner Loop Header: Depth=2
	s_add_i32 s21, s22, 0x800
	s_cmp_gt_u32 s21, s76
	s_cbranch_scc1 .LBB396_185
; %bb.183:                              ;   in Loop: Header=BB396_182 Depth=2
	v_add_co_u32_e32 v0, vcc, s22, v51
	v_addc_co_u32_e32 v1, vcc, 0, v52, vcc
	global_load_ubyte v20, v[0:1], off offset:1536
	global_load_ubyte v19, v[0:1], off offset:1280
	;; [unrolled: 1-line block ×6, first 2 shown]
	global_load_ubyte v14, v[0:1], off
	v_add_co_u32_e32 v0, vcc, 0x700, v0
	v_addc_co_u32_e32 v1, vcc, 0, v1, vcc
	s_mov_b64 s[16:17], -1
	s_movk_i32 s25, 0x800
	s_cbranch_execz .LBB396_186
; %bb.184:                              ;   in Loop: Header=BB396_182 Depth=2
                                        ; implicit-def: $vgpr5
                                        ; implicit-def: $vgpr6
                                        ; implicit-def: $vgpr7
                                        ; implicit-def: $vgpr8
                                        ; implicit-def: $vgpr9
                                        ; implicit-def: $vgpr10
                                        ; implicit-def: $vgpr11
                                        ; implicit-def: $vgpr12
	v_mov_b32_e32 v13, s20
	s_and_saveexec_b64 s[18:19], s[16:17]
	s_cbranch_execnz .LBB396_197
	s_branch .LBB396_198
.LBB396_185:                            ;   in Loop: Header=BB396_182 Depth=2
	s_mov_b64 s[16:17], 0
                                        ; implicit-def: $sgpr25
                                        ; implicit-def: $vgpr14
                                        ; implicit-def: $vgpr15
                                        ; implicit-def: $vgpr16
                                        ; implicit-def: $vgpr17
                                        ; implicit-def: $vgpr18
                                        ; implicit-def: $vgpr19
                                        ; implicit-def: $vgpr20
                                        ; implicit-def: $vgpr0_vgpr1
.LBB396_186:                            ;   in Loop: Header=BB396_182 Depth=2
	s_add_u32 s23, s58, s22
	s_addc_u32 s24, s59, 0
	v_cmp_gt_u32_e32 vcc, s20, v2
	s_and_saveexec_b64 s[18:19], vcc
	s_cbranch_execz .LBB396_214
; %bb.187:                              ;   in Loop: Header=BB396_182 Depth=2
	v_mov_b32_e32 v1, s24
	v_add_co_u32_e32 v0, vcc, s23, v2
	v_addc_co_u32_e32 v1, vcc, 0, v1, vcc
	global_load_ubyte v5, v[0:1], off
	s_or_b64 exec, exec, s[18:19]
	v_cmp_gt_u32_e32 vcc, s20, v24
	s_and_saveexec_b64 s[18:19], vcc
	s_cbranch_execnz .LBB396_215
.LBB396_188:                            ;   in Loop: Header=BB396_182 Depth=2
	s_or_b64 exec, exec, s[18:19]
	v_cmp_gt_u32_e32 vcc, s20, v25
	s_and_saveexec_b64 s[18:19], vcc
	s_cbranch_execz .LBB396_216
.LBB396_189:                            ;   in Loop: Header=BB396_182 Depth=2
	v_mov_b32_e32 v1, s24
	v_add_co_u32_e32 v0, vcc, s23, v2
	v_addc_co_u32_e32 v1, vcc, 0, v1, vcc
	global_load_ubyte v7, v[0:1], off offset:512
	s_or_b64 exec, exec, s[18:19]
	v_cmp_gt_u32_e32 vcc, s20, v26
	s_and_saveexec_b64 s[18:19], vcc
	s_cbranch_execnz .LBB396_217
.LBB396_190:                            ;   in Loop: Header=BB396_182 Depth=2
	s_or_b64 exec, exec, s[18:19]
	v_cmp_gt_u32_e32 vcc, s20, v30
	s_and_saveexec_b64 s[18:19], vcc
	s_cbranch_execz .LBB396_218
.LBB396_191:                            ;   in Loop: Header=BB396_182 Depth=2
	v_mov_b32_e32 v1, s24
	v_add_co_u32_e32 v0, vcc, s23, v2
	v_addc_co_u32_e32 v1, vcc, 0, v1, vcc
	global_load_ubyte v9, v[0:1], off offset:1024
	s_or_b64 exec, exec, s[18:19]
	v_cmp_gt_u32_e32 vcc, s20, v31
	s_and_saveexec_b64 s[18:19], vcc
	s_cbranch_execnz .LBB396_219
.LBB396_192:                            ;   in Loop: Header=BB396_182 Depth=2
	s_or_b64 exec, exec, s[18:19]
	v_cmp_gt_u32_e32 vcc, s20, v32
	s_and_saveexec_b64 s[18:19], vcc
	s_cbranch_execz .LBB396_194
.LBB396_193:                            ;   in Loop: Header=BB396_182 Depth=2
	v_mov_b32_e32 v1, s24
	v_add_co_u32_e32 v0, vcc, s23, v2
	v_addc_co_u32_e32 v1, vcc, 0, v1, vcc
	global_load_ubyte v11, v[0:1], off offset:1536
.LBB396_194:                            ;   in Loop: Header=BB396_182 Depth=2
	s_or_b64 exec, exec, s[18:19]
	v_cmp_gt_u32_e32 vcc, s20, v33
                                        ; implicit-def: $sgpr25
                                        ; implicit-def: $vgpr0_vgpr1
	s_and_saveexec_b64 s[18:19], vcc
	s_cbranch_execz .LBB396_196
; %bb.195:                              ;   in Loop: Header=BB396_182 Depth=2
	v_mov_b32_e32 v0, s24
	v_add_co_u32_e32 v1, vcc, s23, v2
	s_waitcnt vmcnt(0)
	v_addc_co_u32_e32 v12, vcc, 0, v0, vcc
	v_add_co_u32_e32 v0, vcc, 0x700, v1
	s_sub_i32 s25, s76, s22
	v_addc_co_u32_e32 v1, vcc, 0, v12, vcc
	s_or_b64 s[16:17], s[16:17], exec
                                        ; implicit-def: $vgpr12
.LBB396_196:                            ;   in Loop: Header=BB396_182 Depth=2
	s_or_b64 exec, exec, s[18:19]
	s_waitcnt vmcnt(0)
	v_mov_b32_e32 v14, v5
	v_mov_b32_e32 v15, v6
	;; [unrolled: 1-line block ×8, first 2 shown]
	s_and_saveexec_b64 s[18:19], s[16:17]
	s_cbranch_execz .LBB396_198
.LBB396_197:                            ;   in Loop: Header=BB396_182 Depth=2
	global_load_ubyte v12, v[0:1], off
	v_mov_b32_e32 v13, s25
	s_waitcnt vmcnt(1)
	v_mov_b32_e32 v5, v14
	v_mov_b32_e32 v6, v15
	;; [unrolled: 1-line block ×7, first 2 shown]
.LBB396_198:                            ;   in Loop: Header=BB396_182 Depth=2
	s_or_b64 exec, exec, s[18:19]
	v_cmp_lt_u32_e32 vcc, v2, v13
	s_and_saveexec_b64 s[16:17], vcc
	s_cbranch_execz .LBB396_206
; %bb.199:                              ;   in Loop: Header=BB396_182 Depth=2
	v_xor_b32_e32 v0, 0x80, v5
	v_lshrrev_b32_sdwa v0, s68, v0 dst_sel:DWORD dst_unused:UNUSED_PAD src0_sel:DWORD src1_sel:BYTE_0
	v_and_b32_e32 v0, s77, v0
	v_lshlrev_b32_e32 v1, 2, v27
	v_lshl_or_b32 v0, v0, 4, v1
	ds_add_u32 v0, v63
	s_or_b64 exec, exec, s[16:17]
	v_cmp_lt_u32_e32 vcc, v24, v13
	s_and_saveexec_b64 s[16:17], vcc
	s_cbranch_execnz .LBB396_207
.LBB396_200:                            ;   in Loop: Header=BB396_182 Depth=2
	s_or_b64 exec, exec, s[16:17]
	v_cmp_lt_u32_e32 vcc, v25, v13
	s_and_saveexec_b64 s[16:17], vcc
	s_cbranch_execz .LBB396_208
.LBB396_201:                            ;   in Loop: Header=BB396_182 Depth=2
	v_xor_b32_e32 v0, 0x80, v7
	v_lshrrev_b32_sdwa v0, s68, v0 dst_sel:DWORD dst_unused:UNUSED_PAD src0_sel:DWORD src1_sel:BYTE_0
	v_and_b32_e32 v0, s77, v0
	v_lshlrev_b32_e32 v1, 2, v27
	v_lshl_or_b32 v0, v0, 4, v1
	ds_add_u32 v0, v63
	s_or_b64 exec, exec, s[16:17]
	v_cmp_lt_u32_e32 vcc, v26, v13
	s_and_saveexec_b64 s[16:17], vcc
	s_cbranch_execnz .LBB396_209
.LBB396_202:                            ;   in Loop: Header=BB396_182 Depth=2
	s_or_b64 exec, exec, s[16:17]
	v_cmp_lt_u32_e32 vcc, v30, v13
	s_and_saveexec_b64 s[16:17], vcc
	s_cbranch_execz .LBB396_210
.LBB396_203:                            ;   in Loop: Header=BB396_182 Depth=2
	v_xor_b32_e32 v0, 0x80, v9
	v_lshrrev_b32_sdwa v0, s68, v0 dst_sel:DWORD dst_unused:UNUSED_PAD src0_sel:DWORD src1_sel:BYTE_0
	v_and_b32_e32 v0, s77, v0
	v_lshlrev_b32_e32 v1, 2, v27
	v_lshl_or_b32 v0, v0, 4, v1
	ds_add_u32 v0, v63
	s_or_b64 exec, exec, s[16:17]
	v_cmp_lt_u32_e32 vcc, v31, v13
	s_and_saveexec_b64 s[16:17], vcc
	s_cbranch_execnz .LBB396_211
.LBB396_204:                            ;   in Loop: Header=BB396_182 Depth=2
	s_or_b64 exec, exec, s[16:17]
	v_cmp_lt_u32_e32 vcc, v32, v13
	s_and_saveexec_b64 s[16:17], vcc
	s_cbranch_execz .LBB396_212
.LBB396_205:                            ;   in Loop: Header=BB396_182 Depth=2
	v_xor_b32_e32 v0, 0x80, v11
	v_lshrrev_b32_sdwa v0, s68, v0 dst_sel:DWORD dst_unused:UNUSED_PAD src0_sel:DWORD src1_sel:BYTE_0
	v_and_b32_e32 v0, s77, v0
	v_lshlrev_b32_e32 v1, 2, v27
	v_lshl_or_b32 v0, v0, 4, v1
	ds_add_u32 v0, v63
	s_or_b64 exec, exec, s[16:17]
	v_cmp_lt_u32_e32 vcc, v33, v13
	s_and_saveexec_b64 s[16:17], vcc
	s_cbranch_execz .LBB396_181
	s_branch .LBB396_213
.LBB396_206:                            ;   in Loop: Header=BB396_182 Depth=2
	s_or_b64 exec, exec, s[16:17]
	v_cmp_lt_u32_e32 vcc, v24, v13
	s_and_saveexec_b64 s[16:17], vcc
	s_cbranch_execz .LBB396_200
.LBB396_207:                            ;   in Loop: Header=BB396_182 Depth=2
	v_xor_b32_e32 v0, 0x80, v6
	v_lshrrev_b32_sdwa v0, s68, v0 dst_sel:DWORD dst_unused:UNUSED_PAD src0_sel:DWORD src1_sel:BYTE_0
	v_and_b32_e32 v0, s77, v0
	v_lshlrev_b32_e32 v1, 2, v27
	v_lshl_or_b32 v0, v0, 4, v1
	ds_add_u32 v0, v63
	s_or_b64 exec, exec, s[16:17]
	v_cmp_lt_u32_e32 vcc, v25, v13
	s_and_saveexec_b64 s[16:17], vcc
	s_cbranch_execnz .LBB396_201
.LBB396_208:                            ;   in Loop: Header=BB396_182 Depth=2
	s_or_b64 exec, exec, s[16:17]
	v_cmp_lt_u32_e32 vcc, v26, v13
	s_and_saveexec_b64 s[16:17], vcc
	s_cbranch_execz .LBB396_202
.LBB396_209:                            ;   in Loop: Header=BB396_182 Depth=2
	v_xor_b32_e32 v0, 0x80, v8
	v_lshrrev_b32_sdwa v0, s68, v0 dst_sel:DWORD dst_unused:UNUSED_PAD src0_sel:DWORD src1_sel:BYTE_0
	v_and_b32_e32 v0, s77, v0
	v_lshlrev_b32_e32 v1, 2, v27
	v_lshl_or_b32 v0, v0, 4, v1
	ds_add_u32 v0, v63
	s_or_b64 exec, exec, s[16:17]
	v_cmp_lt_u32_e32 vcc, v30, v13
	s_and_saveexec_b64 s[16:17], vcc
	s_cbranch_execnz .LBB396_203
.LBB396_210:                            ;   in Loop: Header=BB396_182 Depth=2
	s_or_b64 exec, exec, s[16:17]
	v_cmp_lt_u32_e32 vcc, v31, v13
	s_and_saveexec_b64 s[16:17], vcc
	s_cbranch_execz .LBB396_204
.LBB396_211:                            ;   in Loop: Header=BB396_182 Depth=2
	v_xor_b32_e32 v0, 0x80, v10
	v_lshrrev_b32_sdwa v0, s68, v0 dst_sel:DWORD dst_unused:UNUSED_PAD src0_sel:DWORD src1_sel:BYTE_0
	v_and_b32_e32 v0, s77, v0
	v_lshlrev_b32_e32 v1, 2, v27
	v_lshl_or_b32 v0, v0, 4, v1
	ds_add_u32 v0, v63
	s_or_b64 exec, exec, s[16:17]
	v_cmp_lt_u32_e32 vcc, v32, v13
	s_and_saveexec_b64 s[16:17], vcc
	s_cbranch_execnz .LBB396_205
.LBB396_212:                            ;   in Loop: Header=BB396_182 Depth=2
	s_or_b64 exec, exec, s[16:17]
	v_cmp_lt_u32_e32 vcc, v33, v13
	s_and_saveexec_b64 s[16:17], vcc
	s_cbranch_execz .LBB396_181
.LBB396_213:                            ;   in Loop: Header=BB396_182 Depth=2
	s_waitcnt vmcnt(0)
	v_xor_b32_e32 v0, 0x80, v12
	v_lshrrev_b32_sdwa v0, s68, v0 dst_sel:DWORD dst_unused:UNUSED_PAD src0_sel:DWORD src1_sel:BYTE_0
	v_and_b32_e32 v0, s77, v0
	v_lshlrev_b32_e32 v1, 2, v27
	v_lshl_or_b32 v0, v0, 4, v1
	ds_add_u32 v0, v63
	s_branch .LBB396_181
.LBB396_214:                            ;   in Loop: Header=BB396_182 Depth=2
	s_or_b64 exec, exec, s[18:19]
	v_cmp_gt_u32_e32 vcc, s20, v24
	s_and_saveexec_b64 s[18:19], vcc
	s_cbranch_execz .LBB396_188
.LBB396_215:                            ;   in Loop: Header=BB396_182 Depth=2
	v_mov_b32_e32 v1, s24
	v_add_co_u32_e32 v0, vcc, s23, v2
	v_addc_co_u32_e32 v1, vcc, 0, v1, vcc
	global_load_ubyte v6, v[0:1], off offset:256
	s_or_b64 exec, exec, s[18:19]
	v_cmp_gt_u32_e32 vcc, s20, v25
	s_and_saveexec_b64 s[18:19], vcc
	s_cbranch_execnz .LBB396_189
.LBB396_216:                            ;   in Loop: Header=BB396_182 Depth=2
	s_or_b64 exec, exec, s[18:19]
	v_cmp_gt_u32_e32 vcc, s20, v26
	s_and_saveexec_b64 s[18:19], vcc
	s_cbranch_execz .LBB396_190
.LBB396_217:                            ;   in Loop: Header=BB396_182 Depth=2
	v_mov_b32_e32 v1, s24
	v_add_co_u32_e32 v0, vcc, s23, v2
	v_addc_co_u32_e32 v1, vcc, 0, v1, vcc
	global_load_ubyte v8, v[0:1], off offset:768
	s_or_b64 exec, exec, s[18:19]
	v_cmp_gt_u32_e32 vcc, s20, v30
	s_and_saveexec_b64 s[18:19], vcc
	s_cbranch_execnz .LBB396_191
.LBB396_218:                            ;   in Loop: Header=BB396_182 Depth=2
	s_or_b64 exec, exec, s[18:19]
	v_cmp_gt_u32_e32 vcc, s20, v31
	s_and_saveexec_b64 s[18:19], vcc
	s_cbranch_execz .LBB396_192
.LBB396_219:                            ;   in Loop: Header=BB396_182 Depth=2
	v_mov_b32_e32 v1, s24
	v_add_co_u32_e32 v0, vcc, s23, v2
	v_addc_co_u32_e32 v1, vcc, 0, v1, vcc
	global_load_ubyte v10, v[0:1], off offset:1280
	s_or_b64 exec, exec, s[18:19]
	v_cmp_gt_u32_e32 vcc, s20, v32
	s_and_saveexec_b64 s[18:19], vcc
	s_cbranch_execz .LBB396_194
	s_branch .LBB396_193
.LBB396_220:                            ;   in Loop: Header=BB396_12 Depth=1
	v_mov_b32_e32 v0, 0
	s_waitcnt lgkmcnt(0)
	s_barrier
	s_and_saveexec_b64 s[16:17], s[4:5]
	s_cbranch_execz .LBB396_222
; %bb.221:                              ;   in Loop: Header=BB396_12 Depth=1
	ds_read2_b64 v[6:9], v34 offset1:1
	s_waitcnt lgkmcnt(0)
	v_add_u32_e32 v0, v7, v6
	v_add3_u32 v0, v0, v8, v9
.LBB396_222:                            ;   in Loop: Header=BB396_12 Depth=1
	s_or_b64 exec, exec, s[16:17]
	v_and_b32_e32 v1, 15, v64
	v_mov_b32_dpp v5, v0 row_shr:1 row_mask:0xf bank_mask:0xf
	v_cmp_eq_u32_e64 s[16:17], 0, v1
	v_cndmask_b32_e64 v5, v5, 0, s[16:17]
	v_add_u32_e32 v0, v5, v0
	v_cmp_lt_u32_e64 s[18:19], 1, v1
	v_cmp_lt_u32_e64 s[20:21], 3, v1
	v_mov_b32_dpp v5, v0 row_shr:2 row_mask:0xf bank_mask:0xf
	v_cndmask_b32_e64 v5, 0, v5, s[18:19]
	v_add_u32_e32 v0, v0, v5
	v_cmp_lt_u32_e64 s[22:23], 7, v1
	v_cmp_lt_u32_e64 s[26:27], 31, v64
	v_mov_b32_dpp v5, v0 row_shr:4 row_mask:0xf bank_mask:0xf
	v_cndmask_b32_e64 v5, 0, v5, s[20:21]
	v_add_u32_e32 v0, v0, v5
	v_and_b32_e32 v6, 16, v64
	v_cmp_eq_u32_e64 s[24:25], 0, v6
	v_mov_b32_dpp v5, v0 row_shr:8 row_mask:0xf bank_mask:0xf
	v_cndmask_b32_e64 v1, 0, v5, s[22:23]
	v_add_u32_e32 v0, v0, v1
	v_bfe_i32 v5, v64, 4, 1
	s_nop 0
	v_mov_b32_dpp v1, v0 row_bcast:15 row_mask:0xf bank_mask:0xf
	v_and_b32_e32 v1, v5, v1
	v_add_u32_e32 v0, v0, v1
	s_nop 1
	v_mov_b32_dpp v1, v0 row_bcast:31 row_mask:0xf bank_mask:0xf
	v_cndmask_b32_e64 v1, 0, v1, s[26:27]
	v_add_u32_e32 v1, v0, v1
	s_and_saveexec_b64 s[28:29], s[6:7]
	s_cbranch_execz .LBB396_224
; %bb.223:                              ;   in Loop: Header=BB396_12 Depth=1
	ds_write_b32 v36, v1
.LBB396_224:                            ;   in Loop: Header=BB396_12 Depth=1
	s_or_b64 exec, exec, s[28:29]
	v_and_b32_e32 v0, 3, v64
	s_waitcnt lgkmcnt(0)
	s_barrier
	s_and_saveexec_b64 s[28:29], s[8:9]
	s_cbranch_execz .LBB396_226
; %bb.225:                              ;   in Loop: Header=BB396_12 Depth=1
	ds_read_b32 v5, v37
	v_cmp_ne_u32_e32 vcc, 0, v0
	s_waitcnt lgkmcnt(0)
	v_mov_b32_dpp v6, v5 row_shr:1 row_mask:0xf bank_mask:0xf
	v_cndmask_b32_e32 v6, 0, v6, vcc
	v_add_u32_e32 v5, v6, v5
	v_cmp_lt_u32_e32 vcc, 1, v0
	s_nop 0
	v_mov_b32_dpp v6, v5 row_shr:2 row_mask:0xf bank_mask:0xf
	v_cndmask_b32_e32 v6, 0, v6, vcc
	v_add_u32_e32 v5, v5, v6
	ds_write_b32 v37, v5
.LBB396_226:                            ;   in Loop: Header=BB396_12 Depth=1
	s_or_b64 exec, exec, s[28:29]
	v_mov_b32_e32 v5, 0
	s_waitcnt lgkmcnt(0)
	s_barrier
	s_and_saveexec_b64 s[28:29], s[10:11]
	s_cbranch_execz .LBB396_228
; %bb.227:                              ;   in Loop: Header=BB396_12 Depth=1
	ds_read_b32 v5, v38
.LBB396_228:                            ;   in Loop: Header=BB396_12 Depth=1
	s_or_b64 exec, exec, s[28:29]
	v_add_u32_e32 v6, -1, v64
	v_and_b32_e32 v7, 64, v64
	v_cmp_lt_i32_e32 vcc, v6, v7
	v_cndmask_b32_e32 v6, v6, v64, vcc
	s_waitcnt lgkmcnt(0)
	v_add_u32_e32 v1, v5, v1
	v_lshlrev_b32_e32 v65, 2, v6
	ds_bpermute_b32 v1, v65, v1
	v_cmp_eq_u32_e64 s[28:29], 0, v64
	s_waitcnt lgkmcnt(0)
	s_barrier
	s_and_saveexec_b64 s[30:31], s[4:5]
	s_cbranch_execz .LBB396_230
; %bb.229:                              ;   in Loop: Header=BB396_12 Depth=1
	v_cndmask_b32_e64 v1, v1, v5, s[28:29]
	v_add_u32_e32 v1, s51, v1
	ds_write_b32 v3, v1
.LBB396_230:                            ;   in Loop: Header=BB396_12 Depth=1
	s_or_b64 exec, exec, s[30:31]
	s_load_dwordx2 s[30:31], s[74:75], 0x0
	v_and_b32_e32 v21, 63, v64
	v_add_co_u32_e32 v74, vcc, v55, v21
	v_lshlrev_b32_e32 v22, 3, v21
	s_waitcnt lgkmcnt(0)
	s_cmp_lt_u32 s50, s30
	s_cselect_b32 s34, 12, 18
	s_cmp_lt_u32 s33, s31
	s_cselect_b32 s30, 14, 20
	s_add_u32 s30, s74, s30
	s_addc_u32 s31, s75, 0
	s_add_u32 s34, s74, s34
	global_load_ushort v5, v4, s[30:31]
	s_addc_u32 s35, s75, 0
	global_load_ushort v20, v4, s[34:35]
	v_addc_co_u32_e32 v76, vcc, 0, v56, vcc
	v_add_co_u32_e32 v77, vcc, v53, v22
	v_addc_co_u32_e32 v78, vcc, 0, v54, vcc
	v_or_b32_e32 v72, v21, v39
	v_add_co_u32_e32 v86, vcc, 0x1c0, v74
	v_cmp_eq_u32_e64 s[30:31], 0, v0
	v_cmp_lt_u32_e64 s[34:35], 1, v0
	s_mov_b32 s78, s71
	v_or_b32_e32 v79, 64, v72
	v_or_b32_e32 v80, 0x80, v72
	;; [unrolled: 1-line block ×7, first 2 shown]
	v_addc_co_u32_e32 v87, vcc, 0, v76, vcc
	s_mov_b32 s72, s51
                                        ; implicit-def: $vgpr0_vgpr1
                                        ; implicit-def: $vgpr6_vgpr7
                                        ; implicit-def: $vgpr8_vgpr9
                                        ; implicit-def: $vgpr10_vgpr11
                                        ; implicit-def: $vgpr12_vgpr13
                                        ; implicit-def: $vgpr14_vgpr15
                                        ; implicit-def: $vgpr16_vgpr17
                                        ; implicit-def: $vgpr18_vgpr19
                                        ; implicit-def: $vgpr66
                                        ; implicit-def: $vgpr67
                                        ; implicit-def: $vgpr68
                                        ; implicit-def: $vgpr69
                                        ; implicit-def: $vgpr70
                                        ; implicit-def: $vgpr71
                                        ; implicit-def: $vgpr73
                                        ; implicit-def: $vgpr75
	s_waitcnt vmcnt(1)
	v_mad_u32_u24 v5, v40, v5, v41
	s_waitcnt vmcnt(0)
	v_mad_u64_u32 v[20:21], s[36:37], v5, v20, v[2:3]
	v_lshrrev_b32_e32 v88, 6, v20
	s_branch .LBB396_232
.LBB396_231:                            ;   in Loop: Header=BB396_232 Depth=2
	s_or_b64 exec, exec, s[36:37]
	s_addk_i32 s78, 0xf800
	s_cmp_lt_u32 s79, s76
	s_mov_b32 s72, s79
	s_cbranch_scc0 .LBB396_344
.LBB396_232:                            ;   Parent Loop BB396_12 Depth=1
                                        ; =>  This Inner Loop Header: Depth=2
	s_add_i32 s79, s72, 0x800
	s_cmp_gt_u32 s79, s76
	s_cbranch_scc1 .LBB396_235
; %bb.233:                              ;   in Loop: Header=BB396_232 Depth=2
	v_add_co_u32_e32 v20, vcc, s72, v74
	v_addc_co_u32_e32 v21, vcc, 0, v76, vcc
	global_load_ubyte v23, v[20:21], off offset:384
	global_load_ubyte v91, v[20:21], off offset:320
	;; [unrolled: 1-line block ×6, first 2 shown]
	global_load_ubyte v5, v[20:21], off
	s_mov_b64 s[36:37], -1
	s_movk_i32 s40, 0x800
	s_cbranch_execz .LBB396_236
; %bb.234:                              ;   in Loop: Header=BB396_232 Depth=2
                                        ; implicit-def: $vgpr22
	v_mov_b32_e32 v89, s78
	s_and_saveexec_b64 s[38:39], s[36:37]
	s_cbranch_execnz .LBB396_245
	s_branch .LBB396_246
.LBB396_235:                            ;   in Loop: Header=BB396_232 Depth=2
	s_mov_b64 s[36:37], 0
                                        ; implicit-def: $sgpr40
                                        ; implicit-def: $vgpr5
                                        ; implicit-def: $vgpr94
                                        ; implicit-def: $vgpr99
                                        ; implicit-def: $vgpr101
                                        ; implicit-def: $vgpr96
                                        ; implicit-def: $vgpr91
                                        ; implicit-def: $vgpr23
.LBB396_236:                            ;   in Loop: Header=BB396_232 Depth=2
	v_add_co_u32_e32 v20, vcc, s72, v74
	v_addc_co_u32_e32 v21, vcc, 0, v76, vcc
	v_cmp_gt_u32_e32 vcc, s78, v72
	s_waitcnt vmcnt(0)
	v_mov_b32_e32 v5, 0x7f
	v_mov_b32_e32 v22, 0x7f
	;; [unrolled: 1-line block ×8, first 2 shown]
	s_and_saveexec_b64 s[36:37], vcc
	s_cbranch_execz .LBB396_338
; %bb.237:                              ;   in Loop: Header=BB396_232 Depth=2
	global_load_ubyte v5, v[20:21], off
	v_mov_b32_e32 v94, 0x7f
	v_mov_b32_e32 v99, 0x7f
	v_mov_b32_e32 v101, 0x7f
	v_mov_b32_e32 v96, 0x7f
	v_mov_b32_e32 v91, 0x7f
	v_mov_b32_e32 v23, 0x7f
	v_mov_b32_e32 v22, 0x7f
	s_or_b64 exec, exec, s[36:37]
	v_cmp_gt_u32_e32 vcc, s78, v79
	s_and_saveexec_b64 s[36:37], vcc
	s_cbranch_execnz .LBB396_339
.LBB396_238:                            ;   in Loop: Header=BB396_232 Depth=2
	s_or_b64 exec, exec, s[36:37]
	v_cmp_gt_u32_e32 vcc, s78, v80
	s_and_saveexec_b64 s[36:37], vcc
	s_cbranch_execz .LBB396_340
.LBB396_239:                            ;   in Loop: Header=BB396_232 Depth=2
	global_load_ubyte v99, v[20:21], off offset:128
	s_or_b64 exec, exec, s[36:37]
	v_cmp_gt_u32_e32 vcc, s78, v81
	s_and_saveexec_b64 s[36:37], vcc
	s_cbranch_execnz .LBB396_341
.LBB396_240:                            ;   in Loop: Header=BB396_232 Depth=2
	s_or_b64 exec, exec, s[36:37]
	v_cmp_gt_u32_e32 vcc, s78, v82
	s_and_saveexec_b64 s[36:37], vcc
	s_cbranch_execz .LBB396_342
.LBB396_241:                            ;   in Loop: Header=BB396_232 Depth=2
	global_load_ubyte v96, v[20:21], off offset:256
	s_or_b64 exec, exec, s[36:37]
	v_cmp_gt_u32_e32 vcc, s78, v83
	s_and_saveexec_b64 s[36:37], vcc
	s_cbranch_execnz .LBB396_343
.LBB396_242:                            ;   in Loop: Header=BB396_232 Depth=2
	s_or_b64 exec, exec, s[36:37]
	v_cmp_gt_u32_e32 vcc, s78, v84
	s_and_saveexec_b64 s[36:37], vcc
	s_cbranch_execz .LBB396_244
.LBB396_243:                            ;   in Loop: Header=BB396_232 Depth=2
	global_load_ubyte v23, v[20:21], off offset:384
.LBB396_244:                            ;   in Loop: Header=BB396_232 Depth=2
	s_or_b64 exec, exec, s[36:37]
	s_sub_i32 s40, s76, s72
	v_cmp_gt_u32_e64 s[36:37], s78, v85
	v_mov_b32_e32 v89, s78
	s_and_saveexec_b64 s[38:39], s[36:37]
	s_cbranch_execz .LBB396_246
.LBB396_245:                            ;   in Loop: Header=BB396_232 Depth=2
	v_mov_b32_e32 v21, s73
	v_add_co_u32_e32 v20, vcc, s72, v86
	v_addc_co_u32_e32 v21, vcc, v87, v21, vcc
	global_load_ubyte v22, v[20:21], off
	v_mov_b32_e32 v89, s40
.LBB396_246:                            ;   in Loop: Header=BB396_232 Depth=2
	s_or_b64 exec, exec, s[38:39]
	s_waitcnt vmcnt(0)
	v_xor_b32_e32 v90, 0xffffff80, v5
	v_add_u32_e32 v5, 0x410, v42
	ds_write2_b32 v5, v4, v4 offset1:1
	ds_write2_b32 v44, v4, v4 offset0:2 offset1:3
	ds_write_b32 v44, v4 offset:16
	v_lshrrev_b32_sdwa v5, s68, v90 dst_sel:DWORD dst_unused:UNUSED_PAD src0_sel:DWORD src1_sel:BYTE_0
	v_and_b32_e32 v20, s77, v5
	v_mad_u32_u24 v5, v20, 5, v88
	v_lshl_add_u32 v92, v5, 2, v43
	v_and_b32_e32 v5, 1, v20
	v_add_co_u32_e32 v21, vcc, -1, v5
	v_addc_co_u32_e64 v93, s[36:37], 0, -1, vcc
	v_cmp_ne_u32_e32 vcc, 0, v5
	v_xor_b32_e32 v5, vcc_hi, v93
	v_and_b32_e32 v93, exec_hi, v5
	v_lshlrev_b32_e32 v5, 30, v20
	v_xor_b32_e32 v21, vcc_lo, v21
	v_cmp_gt_i64_e32 vcc, 0, v[4:5]
	v_not_b32_e32 v5, v5
	v_ashrrev_i32_e32 v5, 31, v5
	v_and_b32_e32 v21, exec_lo, v21
	v_xor_b32_e32 v95, vcc_hi, v5
	v_xor_b32_e32 v5, vcc_lo, v5
	v_and_b32_e32 v21, v21, v5
	v_lshlrev_b32_e32 v5, 29, v20
	v_cmp_gt_i64_e32 vcc, 0, v[4:5]
	v_not_b32_e32 v5, v5
	v_ashrrev_i32_e32 v5, 31, v5
	v_and_b32_e32 v93, v93, v95
	v_xor_b32_e32 v95, vcc_hi, v5
	v_xor_b32_e32 v5, vcc_lo, v5
	v_and_b32_e32 v21, v21, v5
	v_lshlrev_b32_e32 v5, 28, v20
	v_cmp_gt_i64_e32 vcc, 0, v[4:5]
	v_not_b32_e32 v5, v5
	v_ashrrev_i32_e32 v5, 31, v5
	v_and_b32_e32 v93, v93, v95
	;; [unrolled: 8-line block ×5, first 2 shown]
	v_xor_b32_e32 v95, vcc_hi, v5
	v_xor_b32_e32 v5, vcc_lo, v5
	v_and_b32_e32 v93, v93, v95
	v_and_b32_e32 v95, v21, v5
	v_lshlrev_b32_e32 v5, 24, v20
	v_cmp_gt_i64_e32 vcc, 0, v[4:5]
	v_not_b32_e32 v5, v5
	v_ashrrev_i32_e32 v5, 31, v5
	v_xor_b32_e32 v20, vcc_hi, v5
	v_xor_b32_e32 v5, vcc_lo, v5
	v_and_b32_e32 v21, v93, v20
	v_and_b32_e32 v20, v95, v5
	v_mbcnt_lo_u32_b32 v5, v20, 0
	v_mbcnt_hi_u32_b32 v93, v21, v5
	v_cmp_eq_u32_e32 vcc, 0, v93
	v_cmp_ne_u64_e64 s[36:37], 0, v[20:21]
	s_and_b64 s[38:39], s[36:37], vcc
	s_waitcnt lgkmcnt(0)
	s_barrier
	s_waitcnt lgkmcnt(0)
	; wave barrier
	s_and_saveexec_b64 s[36:37], s[38:39]
	s_cbranch_execz .LBB396_248
; %bb.247:                              ;   in Loop: Header=BB396_232 Depth=2
	v_bcnt_u32_b32 v5, v20, 0
	v_bcnt_u32_b32 v5, v21, v5
	ds_write_b32 v92, v5
.LBB396_248:                            ;   in Loop: Header=BB396_232 Depth=2
	s_or_b64 exec, exec, s[36:37]
	v_xor_b32_e32 v94, 0xffffff80, v94
	v_lshrrev_b32_sdwa v5, s68, v94 dst_sel:DWORD dst_unused:UNUSED_PAD src0_sel:DWORD src1_sel:BYTE_0
	v_and_b32_e32 v20, s77, v5
	v_mul_u32_u24_e32 v5, 5, v20
	v_add_lshl_u32 v5, v5, v88, 2
	; wave barrier
	v_add_u32_e32 v97, 0x410, v5
	ds_read_b32 v95, v5 offset:1040
	v_and_b32_e32 v5, 1, v20
	v_add_co_u32_e32 v21, vcc, -1, v5
	v_addc_co_u32_e64 v98, s[36:37], 0, -1, vcc
	v_cmp_ne_u32_e32 vcc, 0, v5
	v_xor_b32_e32 v5, vcc_hi, v98
	v_and_b32_e32 v98, exec_hi, v5
	v_lshlrev_b32_e32 v5, 30, v20
	v_xor_b32_e32 v21, vcc_lo, v21
	v_cmp_gt_i64_e32 vcc, 0, v[4:5]
	v_not_b32_e32 v5, v5
	v_ashrrev_i32_e32 v5, 31, v5
	v_and_b32_e32 v21, exec_lo, v21
	v_xor_b32_e32 v100, vcc_hi, v5
	v_xor_b32_e32 v5, vcc_lo, v5
	v_and_b32_e32 v21, v21, v5
	v_lshlrev_b32_e32 v5, 29, v20
	v_cmp_gt_i64_e32 vcc, 0, v[4:5]
	v_not_b32_e32 v5, v5
	v_ashrrev_i32_e32 v5, 31, v5
	v_and_b32_e32 v98, v98, v100
	v_xor_b32_e32 v100, vcc_hi, v5
	v_xor_b32_e32 v5, vcc_lo, v5
	v_and_b32_e32 v21, v21, v5
	v_lshlrev_b32_e32 v5, 28, v20
	v_cmp_gt_i64_e32 vcc, 0, v[4:5]
	v_not_b32_e32 v5, v5
	v_ashrrev_i32_e32 v5, 31, v5
	v_and_b32_e32 v98, v98, v100
	;; [unrolled: 8-line block ×5, first 2 shown]
	v_xor_b32_e32 v100, vcc_hi, v5
	v_xor_b32_e32 v5, vcc_lo, v5
	v_and_b32_e32 v98, v98, v100
	v_and_b32_e32 v100, v21, v5
	v_lshlrev_b32_e32 v5, 24, v20
	v_cmp_gt_i64_e32 vcc, 0, v[4:5]
	v_not_b32_e32 v5, v5
	v_ashrrev_i32_e32 v5, 31, v5
	v_xor_b32_e32 v20, vcc_hi, v5
	v_xor_b32_e32 v5, vcc_lo, v5
	v_and_b32_e32 v21, v98, v20
	v_and_b32_e32 v20, v100, v5
	v_mbcnt_lo_u32_b32 v5, v20, 0
	v_mbcnt_hi_u32_b32 v98, v21, v5
	v_cmp_eq_u32_e32 vcc, 0, v98
	v_cmp_ne_u64_e64 s[36:37], 0, v[20:21]
	s_and_b64 s[38:39], s[36:37], vcc
	; wave barrier
	s_and_saveexec_b64 s[36:37], s[38:39]
	s_cbranch_execz .LBB396_250
; %bb.249:                              ;   in Loop: Header=BB396_232 Depth=2
	v_bcnt_u32_b32 v5, v20, 0
	v_bcnt_u32_b32 v5, v21, v5
	s_waitcnt lgkmcnt(0)
	v_add_u32_e32 v5, v95, v5
	ds_write_b32 v97, v5
.LBB396_250:                            ;   in Loop: Header=BB396_232 Depth=2
	s_or_b64 exec, exec, s[36:37]
	v_xor_b32_e32 v99, 0xffffff80, v99
	v_lshrrev_b32_sdwa v5, s68, v99 dst_sel:DWORD dst_unused:UNUSED_PAD src0_sel:DWORD src1_sel:BYTE_0
	v_and_b32_e32 v20, s77, v5
	v_mul_u32_u24_e32 v5, 5, v20
	v_add_lshl_u32 v5, v5, v88, 2
	; wave barrier
	v_add_u32_e32 v102, 0x410, v5
	ds_read_b32 v100, v5 offset:1040
	v_and_b32_e32 v5, 1, v20
	v_add_co_u32_e32 v21, vcc, -1, v5
	v_addc_co_u32_e64 v103, s[36:37], 0, -1, vcc
	v_cmp_ne_u32_e32 vcc, 0, v5
	v_xor_b32_e32 v5, vcc_hi, v103
	v_and_b32_e32 v103, exec_hi, v5
	v_lshlrev_b32_e32 v5, 30, v20
	v_xor_b32_e32 v21, vcc_lo, v21
	v_cmp_gt_i64_e32 vcc, 0, v[4:5]
	v_not_b32_e32 v5, v5
	v_ashrrev_i32_e32 v5, 31, v5
	v_and_b32_e32 v21, exec_lo, v21
	v_xor_b32_e32 v104, vcc_hi, v5
	v_xor_b32_e32 v5, vcc_lo, v5
	v_and_b32_e32 v21, v21, v5
	v_lshlrev_b32_e32 v5, 29, v20
	v_cmp_gt_i64_e32 vcc, 0, v[4:5]
	v_not_b32_e32 v5, v5
	v_ashrrev_i32_e32 v5, 31, v5
	v_and_b32_e32 v103, v103, v104
	v_xor_b32_e32 v104, vcc_hi, v5
	v_xor_b32_e32 v5, vcc_lo, v5
	v_and_b32_e32 v21, v21, v5
	v_lshlrev_b32_e32 v5, 28, v20
	v_cmp_gt_i64_e32 vcc, 0, v[4:5]
	v_not_b32_e32 v5, v5
	v_ashrrev_i32_e32 v5, 31, v5
	v_and_b32_e32 v103, v103, v104
	;; [unrolled: 8-line block ×5, first 2 shown]
	v_xor_b32_e32 v104, vcc_hi, v5
	v_xor_b32_e32 v5, vcc_lo, v5
	v_and_b32_e32 v103, v103, v104
	v_and_b32_e32 v104, v21, v5
	v_lshlrev_b32_e32 v5, 24, v20
	v_cmp_gt_i64_e32 vcc, 0, v[4:5]
	v_not_b32_e32 v5, v5
	v_ashrrev_i32_e32 v5, 31, v5
	v_xor_b32_e32 v20, vcc_hi, v5
	v_xor_b32_e32 v5, vcc_lo, v5
	v_and_b32_e32 v21, v103, v20
	v_and_b32_e32 v20, v104, v5
	v_mbcnt_lo_u32_b32 v5, v20, 0
	v_mbcnt_hi_u32_b32 v103, v21, v5
	v_cmp_eq_u32_e32 vcc, 0, v103
	v_cmp_ne_u64_e64 s[36:37], 0, v[20:21]
	s_and_b64 s[38:39], s[36:37], vcc
	; wave barrier
	s_and_saveexec_b64 s[36:37], s[38:39]
	s_cbranch_execz .LBB396_252
; %bb.251:                              ;   in Loop: Header=BB396_232 Depth=2
	v_bcnt_u32_b32 v5, v20, 0
	v_bcnt_u32_b32 v5, v21, v5
	s_waitcnt lgkmcnt(0)
	v_add_u32_e32 v5, v100, v5
	ds_write_b32 v102, v5
.LBB396_252:                            ;   in Loop: Header=BB396_232 Depth=2
	s_or_b64 exec, exec, s[36:37]
	v_xor_b32_e32 v101, 0xffffff80, v101
	v_lshrrev_b32_sdwa v5, s68, v101 dst_sel:DWORD dst_unused:UNUSED_PAD src0_sel:DWORD src1_sel:BYTE_0
	v_and_b32_e32 v20, s77, v5
	v_mul_u32_u24_e32 v5, 5, v20
	v_add_lshl_u32 v5, v5, v88, 2
	; wave barrier
	v_add_u32_e32 v105, 0x410, v5
	ds_read_b32 v104, v5 offset:1040
	v_and_b32_e32 v5, 1, v20
	v_add_co_u32_e32 v21, vcc, -1, v5
	v_addc_co_u32_e64 v106, s[36:37], 0, -1, vcc
	v_cmp_ne_u32_e32 vcc, 0, v5
	v_xor_b32_e32 v5, vcc_hi, v106
	v_and_b32_e32 v106, exec_hi, v5
	v_lshlrev_b32_e32 v5, 30, v20
	v_xor_b32_e32 v21, vcc_lo, v21
	v_cmp_gt_i64_e32 vcc, 0, v[4:5]
	v_not_b32_e32 v5, v5
	v_ashrrev_i32_e32 v5, 31, v5
	v_and_b32_e32 v21, exec_lo, v21
	v_xor_b32_e32 v107, vcc_hi, v5
	v_xor_b32_e32 v5, vcc_lo, v5
	v_and_b32_e32 v21, v21, v5
	v_lshlrev_b32_e32 v5, 29, v20
	v_cmp_gt_i64_e32 vcc, 0, v[4:5]
	v_not_b32_e32 v5, v5
	v_ashrrev_i32_e32 v5, 31, v5
	v_and_b32_e32 v106, v106, v107
	v_xor_b32_e32 v107, vcc_hi, v5
	v_xor_b32_e32 v5, vcc_lo, v5
	v_and_b32_e32 v21, v21, v5
	v_lshlrev_b32_e32 v5, 28, v20
	v_cmp_gt_i64_e32 vcc, 0, v[4:5]
	v_not_b32_e32 v5, v5
	v_ashrrev_i32_e32 v5, 31, v5
	v_and_b32_e32 v106, v106, v107
	;; [unrolled: 8-line block ×5, first 2 shown]
	v_xor_b32_e32 v107, vcc_hi, v5
	v_xor_b32_e32 v5, vcc_lo, v5
	v_and_b32_e32 v106, v106, v107
	v_and_b32_e32 v107, v21, v5
	v_lshlrev_b32_e32 v5, 24, v20
	v_cmp_gt_i64_e32 vcc, 0, v[4:5]
	v_not_b32_e32 v5, v5
	v_ashrrev_i32_e32 v5, 31, v5
	v_xor_b32_e32 v20, vcc_hi, v5
	v_xor_b32_e32 v5, vcc_lo, v5
	v_and_b32_e32 v21, v106, v20
	v_and_b32_e32 v20, v107, v5
	v_mbcnt_lo_u32_b32 v5, v20, 0
	v_mbcnt_hi_u32_b32 v106, v21, v5
	v_cmp_eq_u32_e32 vcc, 0, v106
	v_cmp_ne_u64_e64 s[36:37], 0, v[20:21]
	s_and_b64 s[38:39], s[36:37], vcc
	; wave barrier
	s_and_saveexec_b64 s[36:37], s[38:39]
	s_cbranch_execz .LBB396_254
; %bb.253:                              ;   in Loop: Header=BB396_232 Depth=2
	v_bcnt_u32_b32 v5, v20, 0
	v_bcnt_u32_b32 v5, v21, v5
	s_waitcnt lgkmcnt(0)
	v_add_u32_e32 v5, v104, v5
	ds_write_b32 v105, v5
.LBB396_254:                            ;   in Loop: Header=BB396_232 Depth=2
	s_or_b64 exec, exec, s[36:37]
	v_xor_b32_e32 v96, 0xffffff80, v96
	v_lshrrev_b32_sdwa v5, s68, v96 dst_sel:DWORD dst_unused:UNUSED_PAD src0_sel:DWORD src1_sel:BYTE_0
	v_and_b32_e32 v20, s77, v5
	v_mul_u32_u24_e32 v5, 5, v20
	v_add_lshl_u32 v5, v5, v88, 2
	; wave barrier
	v_add_u32_e32 v108, 0x410, v5
	ds_read_b32 v107, v5 offset:1040
	v_and_b32_e32 v5, 1, v20
	v_add_co_u32_e32 v21, vcc, -1, v5
	v_addc_co_u32_e64 v109, s[36:37], 0, -1, vcc
	v_cmp_ne_u32_e32 vcc, 0, v5
	v_xor_b32_e32 v5, vcc_hi, v109
	v_and_b32_e32 v109, exec_hi, v5
	v_lshlrev_b32_e32 v5, 30, v20
	v_xor_b32_e32 v21, vcc_lo, v21
	v_cmp_gt_i64_e32 vcc, 0, v[4:5]
	v_not_b32_e32 v5, v5
	v_ashrrev_i32_e32 v5, 31, v5
	v_and_b32_e32 v21, exec_lo, v21
	v_xor_b32_e32 v110, vcc_hi, v5
	v_xor_b32_e32 v5, vcc_lo, v5
	v_and_b32_e32 v21, v21, v5
	v_lshlrev_b32_e32 v5, 29, v20
	v_cmp_gt_i64_e32 vcc, 0, v[4:5]
	v_not_b32_e32 v5, v5
	v_ashrrev_i32_e32 v5, 31, v5
	v_and_b32_e32 v109, v109, v110
	v_xor_b32_e32 v110, vcc_hi, v5
	v_xor_b32_e32 v5, vcc_lo, v5
	v_and_b32_e32 v21, v21, v5
	v_lshlrev_b32_e32 v5, 28, v20
	v_cmp_gt_i64_e32 vcc, 0, v[4:5]
	v_not_b32_e32 v5, v5
	v_ashrrev_i32_e32 v5, 31, v5
	v_and_b32_e32 v109, v109, v110
	;; [unrolled: 8-line block ×5, first 2 shown]
	v_xor_b32_e32 v110, vcc_hi, v5
	v_xor_b32_e32 v5, vcc_lo, v5
	v_and_b32_e32 v109, v109, v110
	v_and_b32_e32 v110, v21, v5
	v_lshlrev_b32_e32 v5, 24, v20
	v_cmp_gt_i64_e32 vcc, 0, v[4:5]
	v_not_b32_e32 v5, v5
	v_ashrrev_i32_e32 v5, 31, v5
	v_xor_b32_e32 v20, vcc_hi, v5
	v_xor_b32_e32 v5, vcc_lo, v5
	v_and_b32_e32 v21, v109, v20
	v_and_b32_e32 v20, v110, v5
	v_mbcnt_lo_u32_b32 v5, v20, 0
	v_mbcnt_hi_u32_b32 v109, v21, v5
	v_cmp_eq_u32_e32 vcc, 0, v109
	v_cmp_ne_u64_e64 s[36:37], 0, v[20:21]
	s_and_b64 s[38:39], s[36:37], vcc
	; wave barrier
	s_and_saveexec_b64 s[36:37], s[38:39]
	s_cbranch_execz .LBB396_256
; %bb.255:                              ;   in Loop: Header=BB396_232 Depth=2
	v_bcnt_u32_b32 v5, v20, 0
	v_bcnt_u32_b32 v5, v21, v5
	s_waitcnt lgkmcnt(0)
	v_add_u32_e32 v5, v107, v5
	ds_write_b32 v108, v5
.LBB396_256:                            ;   in Loop: Header=BB396_232 Depth=2
	s_or_b64 exec, exec, s[36:37]
	v_xor_b32_e32 v91, 0xffffff80, v91
	v_lshrrev_b32_sdwa v5, s68, v91 dst_sel:DWORD dst_unused:UNUSED_PAD src0_sel:DWORD src1_sel:BYTE_0
	v_and_b32_e32 v20, s77, v5
	v_mul_u32_u24_e32 v5, 5, v20
	v_add_lshl_u32 v5, v5, v88, 2
	; wave barrier
	v_add_u32_e32 v111, 0x410, v5
	ds_read_b32 v110, v5 offset:1040
	v_and_b32_e32 v5, 1, v20
	v_add_co_u32_e32 v21, vcc, -1, v5
	v_addc_co_u32_e64 v112, s[36:37], 0, -1, vcc
	v_cmp_ne_u32_e32 vcc, 0, v5
	v_xor_b32_e32 v5, vcc_hi, v112
	v_and_b32_e32 v112, exec_hi, v5
	v_lshlrev_b32_e32 v5, 30, v20
	v_xor_b32_e32 v21, vcc_lo, v21
	v_cmp_gt_i64_e32 vcc, 0, v[4:5]
	v_not_b32_e32 v5, v5
	v_ashrrev_i32_e32 v5, 31, v5
	v_and_b32_e32 v21, exec_lo, v21
	v_xor_b32_e32 v113, vcc_hi, v5
	v_xor_b32_e32 v5, vcc_lo, v5
	v_and_b32_e32 v21, v21, v5
	v_lshlrev_b32_e32 v5, 29, v20
	v_cmp_gt_i64_e32 vcc, 0, v[4:5]
	v_not_b32_e32 v5, v5
	v_ashrrev_i32_e32 v5, 31, v5
	v_and_b32_e32 v112, v112, v113
	v_xor_b32_e32 v113, vcc_hi, v5
	v_xor_b32_e32 v5, vcc_lo, v5
	v_and_b32_e32 v21, v21, v5
	v_lshlrev_b32_e32 v5, 28, v20
	v_cmp_gt_i64_e32 vcc, 0, v[4:5]
	v_not_b32_e32 v5, v5
	v_ashrrev_i32_e32 v5, 31, v5
	v_and_b32_e32 v112, v112, v113
	;; [unrolled: 8-line block ×5, first 2 shown]
	v_xor_b32_e32 v113, vcc_hi, v5
	v_xor_b32_e32 v5, vcc_lo, v5
	v_and_b32_e32 v112, v112, v113
	v_and_b32_e32 v113, v21, v5
	v_lshlrev_b32_e32 v5, 24, v20
	v_cmp_gt_i64_e32 vcc, 0, v[4:5]
	v_not_b32_e32 v5, v5
	v_ashrrev_i32_e32 v5, 31, v5
	v_xor_b32_e32 v20, vcc_hi, v5
	v_xor_b32_e32 v5, vcc_lo, v5
	v_and_b32_e32 v21, v112, v20
	v_and_b32_e32 v20, v113, v5
	v_mbcnt_lo_u32_b32 v5, v20, 0
	v_mbcnt_hi_u32_b32 v112, v21, v5
	v_cmp_eq_u32_e32 vcc, 0, v112
	v_cmp_ne_u64_e64 s[36:37], 0, v[20:21]
	s_and_b64 s[38:39], s[36:37], vcc
	; wave barrier
	s_and_saveexec_b64 s[36:37], s[38:39]
	s_cbranch_execz .LBB396_258
; %bb.257:                              ;   in Loop: Header=BB396_232 Depth=2
	v_bcnt_u32_b32 v5, v20, 0
	v_bcnt_u32_b32 v5, v21, v5
	s_waitcnt lgkmcnt(0)
	v_add_u32_e32 v5, v110, v5
	ds_write_b32 v111, v5
.LBB396_258:                            ;   in Loop: Header=BB396_232 Depth=2
	s_or_b64 exec, exec, s[36:37]
	v_xor_b32_e32 v113, 0xffffff80, v23
	v_lshrrev_b32_sdwa v5, s68, v113 dst_sel:DWORD dst_unused:UNUSED_PAD src0_sel:DWORD src1_sel:BYTE_0
	v_and_b32_e32 v20, s77, v5
	v_mul_u32_u24_e32 v5, 5, v20
	v_add_lshl_u32 v5, v5, v88, 2
	; wave barrier
	v_add_u32_e32 v115, 0x410, v5
	ds_read_b32 v114, v5 offset:1040
	v_and_b32_e32 v5, 1, v20
	v_add_co_u32_e32 v21, vcc, -1, v5
	v_addc_co_u32_e64 v23, s[36:37], 0, -1, vcc
	v_cmp_ne_u32_e32 vcc, 0, v5
	v_xor_b32_e32 v5, vcc_hi, v23
	v_and_b32_e32 v23, exec_hi, v5
	v_lshlrev_b32_e32 v5, 30, v20
	v_xor_b32_e32 v21, vcc_lo, v21
	v_cmp_gt_i64_e32 vcc, 0, v[4:5]
	v_not_b32_e32 v5, v5
	v_ashrrev_i32_e32 v5, 31, v5
	v_and_b32_e32 v21, exec_lo, v21
	v_xor_b32_e32 v116, vcc_hi, v5
	v_xor_b32_e32 v5, vcc_lo, v5
	v_and_b32_e32 v21, v21, v5
	v_lshlrev_b32_e32 v5, 29, v20
	v_cmp_gt_i64_e32 vcc, 0, v[4:5]
	v_not_b32_e32 v5, v5
	v_ashrrev_i32_e32 v5, 31, v5
	v_and_b32_e32 v23, v23, v116
	v_xor_b32_e32 v116, vcc_hi, v5
	v_xor_b32_e32 v5, vcc_lo, v5
	v_and_b32_e32 v21, v21, v5
	v_lshlrev_b32_e32 v5, 28, v20
	v_cmp_gt_i64_e32 vcc, 0, v[4:5]
	v_not_b32_e32 v5, v5
	v_ashrrev_i32_e32 v5, 31, v5
	v_and_b32_e32 v23, v23, v116
	;; [unrolled: 8-line block ×5, first 2 shown]
	v_xor_b32_e32 v116, vcc_hi, v5
	v_xor_b32_e32 v5, vcc_lo, v5
	v_and_b32_e32 v23, v23, v116
	v_and_b32_e32 v116, v21, v5
	v_lshlrev_b32_e32 v5, 24, v20
	v_cmp_gt_i64_e32 vcc, 0, v[4:5]
	v_not_b32_e32 v5, v5
	v_ashrrev_i32_e32 v5, 31, v5
	v_xor_b32_e32 v20, vcc_hi, v5
	v_xor_b32_e32 v5, vcc_lo, v5
	v_and_b32_e32 v21, v23, v20
	v_and_b32_e32 v20, v116, v5
	v_mbcnt_lo_u32_b32 v5, v20, 0
	v_mbcnt_hi_u32_b32 v116, v21, v5
	v_cmp_eq_u32_e32 vcc, 0, v116
	v_cmp_ne_u64_e64 s[36:37], 0, v[20:21]
	s_and_b64 s[38:39], s[36:37], vcc
	; wave barrier
	s_and_saveexec_b64 s[36:37], s[38:39]
	s_cbranch_execz .LBB396_260
; %bb.259:                              ;   in Loop: Header=BB396_232 Depth=2
	v_bcnt_u32_b32 v5, v20, 0
	v_bcnt_u32_b32 v5, v21, v5
	s_waitcnt lgkmcnt(0)
	v_add_u32_e32 v5, v114, v5
	ds_write_b32 v115, v5
.LBB396_260:                            ;   in Loop: Header=BB396_232 Depth=2
	s_or_b64 exec, exec, s[36:37]
	v_xor_b32_e32 v117, 0xffffff80, v22
	v_lshrrev_b32_sdwa v5, s68, v117 dst_sel:DWORD dst_unused:UNUSED_PAD src0_sel:DWORD src1_sel:BYTE_0
	v_and_b32_e32 v20, s77, v5
	v_mul_u32_u24_e32 v5, 5, v20
	v_add_lshl_u32 v5, v5, v88, 2
	; wave barrier
	v_add_u32_e32 v119, 0x410, v5
	ds_read_b32 v118, v5 offset:1040
	v_and_b32_e32 v5, 1, v20
	v_add_co_u32_e32 v21, vcc, -1, v5
	v_addc_co_u32_e64 v22, s[36:37], 0, -1, vcc
	v_cmp_ne_u32_e32 vcc, 0, v5
	v_xor_b32_e32 v5, vcc_hi, v22
	v_and_b32_e32 v22, exec_hi, v5
	v_lshlrev_b32_e32 v5, 30, v20
	v_xor_b32_e32 v21, vcc_lo, v21
	v_cmp_gt_i64_e32 vcc, 0, v[4:5]
	v_not_b32_e32 v5, v5
	v_ashrrev_i32_e32 v5, 31, v5
	v_and_b32_e32 v21, exec_lo, v21
	v_xor_b32_e32 v23, vcc_hi, v5
	v_xor_b32_e32 v5, vcc_lo, v5
	v_and_b32_e32 v21, v21, v5
	v_lshlrev_b32_e32 v5, 29, v20
	v_cmp_gt_i64_e32 vcc, 0, v[4:5]
	v_not_b32_e32 v5, v5
	v_ashrrev_i32_e32 v5, 31, v5
	v_and_b32_e32 v22, v22, v23
	v_xor_b32_e32 v23, vcc_hi, v5
	v_xor_b32_e32 v5, vcc_lo, v5
	v_and_b32_e32 v21, v21, v5
	v_lshlrev_b32_e32 v5, 28, v20
	v_cmp_gt_i64_e32 vcc, 0, v[4:5]
	v_not_b32_e32 v5, v5
	v_ashrrev_i32_e32 v5, 31, v5
	v_and_b32_e32 v22, v22, v23
	;; [unrolled: 8-line block ×5, first 2 shown]
	v_xor_b32_e32 v23, vcc_hi, v5
	v_xor_b32_e32 v5, vcc_lo, v5
	v_and_b32_e32 v22, v22, v23
	v_and_b32_e32 v23, v21, v5
	v_lshlrev_b32_e32 v5, 24, v20
	v_cmp_gt_i64_e32 vcc, 0, v[4:5]
	v_not_b32_e32 v5, v5
	v_ashrrev_i32_e32 v5, 31, v5
	v_xor_b32_e32 v20, vcc_hi, v5
	v_xor_b32_e32 v5, vcc_lo, v5
	v_and_b32_e32 v21, v22, v20
	v_and_b32_e32 v20, v23, v5
	v_mbcnt_lo_u32_b32 v5, v20, 0
	v_mbcnt_hi_u32_b32 v120, v21, v5
	v_cmp_eq_u32_e32 vcc, 0, v120
	v_cmp_ne_u64_e64 s[36:37], 0, v[20:21]
	s_and_b64 s[38:39], s[36:37], vcc
	; wave barrier
	s_and_saveexec_b64 s[36:37], s[38:39]
	s_cbranch_execz .LBB396_262
; %bb.261:                              ;   in Loop: Header=BB396_232 Depth=2
	v_bcnt_u32_b32 v5, v20, 0
	v_bcnt_u32_b32 v5, v21, v5
	s_waitcnt lgkmcnt(0)
	v_add_u32_e32 v5, v118, v5
	ds_write_b32 v119, v5
.LBB396_262:                            ;   in Loop: Header=BB396_232 Depth=2
	s_or_b64 exec, exec, s[36:37]
	; wave barrier
	s_waitcnt lgkmcnt(0)
	s_barrier
	ds_read_b32 v5, v42 offset:1040
	ds_read2_b32 v[22:23], v44 offset0:1 offset1:2
	ds_read2_b32 v[20:21], v44 offset0:3 offset1:4
	s_waitcnt lgkmcnt(1)
	v_add3_u32 v121, v22, v5, v23
	s_waitcnt lgkmcnt(0)
	v_add3_u32 v21, v121, v20, v21
	s_nop 1
	v_mov_b32_dpp v121, v21 row_shr:1 row_mask:0xf bank_mask:0xf
	v_cndmask_b32_e64 v121, v121, 0, s[16:17]
	v_add_u32_e32 v21, v121, v21
	s_nop 1
	v_mov_b32_dpp v121, v21 row_shr:2 row_mask:0xf bank_mask:0xf
	v_cndmask_b32_e64 v121, 0, v121, s[18:19]
	v_add_u32_e32 v21, v21, v121
	s_nop 1
	v_mov_b32_dpp v121, v21 row_shr:4 row_mask:0xf bank_mask:0xf
	v_cndmask_b32_e64 v121, 0, v121, s[20:21]
	v_add_u32_e32 v21, v21, v121
	s_nop 1
	v_mov_b32_dpp v121, v21 row_shr:8 row_mask:0xf bank_mask:0xf
	v_cndmask_b32_e64 v121, 0, v121, s[22:23]
	v_add_u32_e32 v21, v21, v121
	s_nop 1
	v_mov_b32_dpp v121, v21 row_bcast:15 row_mask:0xf bank_mask:0xf
	v_cndmask_b32_e64 v121, v121, 0, s[24:25]
	v_add_u32_e32 v21, v21, v121
	s_nop 1
	v_mov_b32_dpp v121, v21 row_bcast:31 row_mask:0xf bank_mask:0xf
	v_cndmask_b32_e64 v121, 0, v121, s[26:27]
	v_add_u32_e32 v21, v21, v121
	s_and_saveexec_b64 s[36:37], s[6:7]
	s_cbranch_execz .LBB396_264
; %bb.263:                              ;   in Loop: Header=BB396_232 Depth=2
	ds_write_b32 v35, v21 offset:1024
.LBB396_264:                            ;   in Loop: Header=BB396_232 Depth=2
	s_or_b64 exec, exec, s[36:37]
	s_waitcnt lgkmcnt(0)
	s_barrier
	s_and_saveexec_b64 s[36:37], s[8:9]
	s_cbranch_execz .LBB396_266
; %bb.265:                              ;   in Loop: Header=BB396_232 Depth=2
	v_add_u32_e32 v121, v42, v45
	ds_read_b32 v122, v121 offset:1024
	s_waitcnt lgkmcnt(0)
	s_nop 0
	v_mov_b32_dpp v123, v122 row_shr:1 row_mask:0xf bank_mask:0xf
	v_cndmask_b32_e64 v123, v123, 0, s[30:31]
	v_add_u32_e32 v122, v123, v122
	s_nop 1
	v_mov_b32_dpp v123, v122 row_shr:2 row_mask:0xf bank_mask:0xf
	v_cndmask_b32_e64 v123, 0, v123, s[34:35]
	v_add_u32_e32 v122, v122, v123
	ds_write_b32 v121, v122 offset:1024
.LBB396_266:                            ;   in Loop: Header=BB396_232 Depth=2
	s_or_b64 exec, exec, s[36:37]
	v_mov_b32_e32 v121, 0
	s_waitcnt lgkmcnt(0)
	s_barrier
	s_and_saveexec_b64 s[36:37], s[10:11]
	s_cbranch_execz .LBB396_268
; %bb.267:                              ;   in Loop: Header=BB396_232 Depth=2
	ds_read_b32 v121, v35 offset:1020
.LBB396_268:                            ;   in Loop: Header=BB396_232 Depth=2
	s_or_b64 exec, exec, s[36:37]
	s_waitcnt lgkmcnt(0)
	v_add_u32_e32 v21, v121, v21
	ds_bpermute_b32 v21, v65, v21
	s_waitcnt lgkmcnt(0)
	v_cndmask_b32_e64 v21, v21, v121, s[28:29]
	v_cndmask_b32_e64 v21, v21, 0, s[12:13]
	v_add_u32_e32 v5, v21, v5
	ds_write_b32 v42, v21 offset:1040
	v_add_u32_e32 v21, v5, v22
	v_add_u32_e32 v22, v21, v23
	ds_write2_b32 v44, v5, v21 offset0:1 offset1:2
	v_add_u32_e32 v5, v22, v20
	ds_write2_b32 v44, v22, v5 offset0:3 offset1:4
	s_waitcnt lgkmcnt(0)
	s_barrier
	ds_read_b32 v20, v97
	ds_read_b32 v21, v102
	ds_read_b32 v22, v105
	ds_read_b32 v23, v108
	ds_read_b32 v105, v111
	ds_read_b32 v108, v115
	ds_read_b32 v111, v119
	ds_read_b32 v92, v92
	ds_read_b32 v97, v42 offset:1040
	v_mov_b32_e32 v5, 0x800
	s_and_saveexec_b64 s[36:37], s[14:15]
	s_cbranch_execz .LBB396_270
; %bb.269:                              ;   in Loop: Header=BB396_232 Depth=2
	ds_read_b32 v5, v42 offset:1060
.LBB396_270:                            ;   in Loop: Header=BB396_232 Depth=2
	s_or_b64 exec, exec, s[36:37]
	s_waitcnt lgkmcnt(0)
	s_barrier
	s_and_saveexec_b64 s[36:37], s[4:5]
	s_cbranch_execz .LBB396_272
; %bb.271:                              ;   in Loop: Header=BB396_232 Depth=2
	ds_read_b32 v102, v3
	s_waitcnt lgkmcnt(0)
	v_sub_u32_e32 v97, v102, v97
	ds_write_b32 v3, v97
.LBB396_272:                            ;   in Loop: Header=BB396_232 Depth=2
	s_or_b64 exec, exec, s[36:37]
	v_add_u32_e32 v102, v92, v93
	v_add3_u32 v98, v98, v95, v20
	v_add3_u32 v97, v103, v100, v21
	;; [unrolled: 1-line block ×7, first 2 shown]
	v_cmp_lt_u32_e64 s[48:49], v2, v89
	ds_write_b8 v102, v90 offset:1024
	ds_write_b8 v98, v94 offset:1024
	;; [unrolled: 1-line block ×8, first 2 shown]
	s_waitcnt lgkmcnt(0)
	s_barrier
	s_and_saveexec_b64 s[36:37], s[48:49]
	s_cbranch_execz .LBB396_280
; %bb.273:                              ;   in Loop: Header=BB396_232 Depth=2
	ds_read_u8 v20, v2 offset:1024
	s_waitcnt lgkmcnt(0)
	v_lshrrev_b32_sdwa v21, s68, v20 dst_sel:DWORD dst_unused:UNUSED_PAD src0_sel:DWORD src1_sel:BYTE_0
	v_and_b32_e32 v21, s77, v21
	v_lshlrev_b32_e32 v21, 2, v21
	ds_read_b32 v21, v21
	v_xor_b32_e32 v20, 0x80, v20
	s_waitcnt lgkmcnt(0)
	v_add_u32_e32 v21, v21, v2
	global_store_byte v21, v20, s[60:61]
	s_or_b64 exec, exec, s[36:37]
	v_cmp_lt_u32_e64 s[46:47], v24, v89
	s_and_saveexec_b64 s[36:37], s[46:47]
	s_cbranch_execnz .LBB396_281
.LBB396_274:                            ;   in Loop: Header=BB396_232 Depth=2
	s_or_b64 exec, exec, s[36:37]
	v_cmp_lt_u32_e64 s[44:45], v25, v89
	s_and_saveexec_b64 s[36:37], s[44:45]
	s_cbranch_execz .LBB396_282
.LBB396_275:                            ;   in Loop: Header=BB396_232 Depth=2
	ds_read_u8 v20, v30 offset:512
	s_waitcnt lgkmcnt(0)
	v_lshrrev_b32_sdwa v21, s68, v20 dst_sel:DWORD dst_unused:UNUSED_PAD src0_sel:DWORD src1_sel:BYTE_0
	v_and_b32_e32 v21, s77, v21
	v_lshlrev_b32_e32 v21, 2, v21
	ds_read_b32 v21, v21
	v_xor_b32_e32 v20, 0x80, v20
	s_waitcnt lgkmcnt(0)
	v_add_u32_e32 v21, v21, v25
	global_store_byte v21, v20, s[60:61]
	s_or_b64 exec, exec, s[36:37]
	v_cmp_lt_u32_e64 s[42:43], v26, v89
	s_and_saveexec_b64 s[36:37], s[42:43]
	s_cbranch_execnz .LBB396_283
.LBB396_276:                            ;   in Loop: Header=BB396_232 Depth=2
	s_or_b64 exec, exec, s[36:37]
	v_cmp_lt_u32_e64 s[40:41], v30, v89
	s_and_saveexec_b64 s[36:37], s[40:41]
	s_cbranch_execz .LBB396_284
.LBB396_277:                            ;   in Loop: Header=BB396_232 Depth=2
	ds_read_u8 v20, v30 offset:1024
	s_waitcnt lgkmcnt(0)
	v_lshrrev_b32_sdwa v21, s68, v20 dst_sel:DWORD dst_unused:UNUSED_PAD src0_sel:DWORD src1_sel:BYTE_0
	v_and_b32_e32 v21, s77, v21
	v_lshlrev_b32_e32 v21, 2, v21
	ds_read_b32 v21, v21
	v_xor_b32_e32 v20, 0x80, v20
	s_waitcnt lgkmcnt(0)
	v_add_u32_e32 v21, v21, v30
	global_store_byte v21, v20, s[60:61]
	s_or_b64 exec, exec, s[36:37]
	v_cmp_lt_u32_e64 s[38:39], v31, v89
	s_and_saveexec_b64 s[36:37], s[38:39]
	s_cbranch_execnz .LBB396_285
.LBB396_278:                            ;   in Loop: Header=BB396_232 Depth=2
	s_or_b64 exec, exec, s[36:37]
	v_cmp_lt_u32_e64 s[36:37], v32, v89
	s_and_saveexec_b64 s[52:53], s[36:37]
	s_cbranch_execz .LBB396_286
.LBB396_279:                            ;   in Loop: Header=BB396_232 Depth=2
	ds_read_u8 v20, v30 offset:1536
	s_waitcnt lgkmcnt(0)
	v_lshrrev_b32_sdwa v21, s68, v20 dst_sel:DWORD dst_unused:UNUSED_PAD src0_sel:DWORD src1_sel:BYTE_0
	v_and_b32_e32 v21, s77, v21
	v_lshlrev_b32_e32 v21, 2, v21
	ds_read_b32 v21, v21
	v_xor_b32_e32 v20, 0x80, v20
	s_waitcnt lgkmcnt(0)
	v_add_u32_e32 v21, v21, v32
	global_store_byte v21, v20, s[60:61]
	s_or_b64 exec, exec, s[52:53]
	v_cmp_lt_u32_e32 vcc, v33, v89
	s_and_saveexec_b64 s[52:53], vcc
	s_cbranch_execnz .LBB396_287
	s_branch .LBB396_288
.LBB396_280:                            ;   in Loop: Header=BB396_232 Depth=2
	s_or_b64 exec, exec, s[36:37]
	v_cmp_lt_u32_e64 s[46:47], v24, v89
	s_and_saveexec_b64 s[36:37], s[46:47]
	s_cbranch_execz .LBB396_274
.LBB396_281:                            ;   in Loop: Header=BB396_232 Depth=2
	ds_read_u8 v20, v30 offset:256
	s_waitcnt lgkmcnt(0)
	v_lshrrev_b32_sdwa v21, s68, v20 dst_sel:DWORD dst_unused:UNUSED_PAD src0_sel:DWORD src1_sel:BYTE_0
	v_and_b32_e32 v21, s77, v21
	v_lshlrev_b32_e32 v21, 2, v21
	ds_read_b32 v21, v21
	v_xor_b32_e32 v20, 0x80, v20
	s_waitcnt lgkmcnt(0)
	v_add_u32_e32 v21, v21, v24
	global_store_byte v21, v20, s[60:61]
	s_or_b64 exec, exec, s[36:37]
	v_cmp_lt_u32_e64 s[44:45], v25, v89
	s_and_saveexec_b64 s[36:37], s[44:45]
	s_cbranch_execnz .LBB396_275
.LBB396_282:                            ;   in Loop: Header=BB396_232 Depth=2
	s_or_b64 exec, exec, s[36:37]
	v_cmp_lt_u32_e64 s[42:43], v26, v89
	s_and_saveexec_b64 s[36:37], s[42:43]
	s_cbranch_execz .LBB396_276
.LBB396_283:                            ;   in Loop: Header=BB396_232 Depth=2
	ds_read_u8 v20, v30 offset:768
	s_waitcnt lgkmcnt(0)
	v_lshrrev_b32_sdwa v21, s68, v20 dst_sel:DWORD dst_unused:UNUSED_PAD src0_sel:DWORD src1_sel:BYTE_0
	v_and_b32_e32 v21, s77, v21
	v_lshlrev_b32_e32 v21, 2, v21
	ds_read_b32 v21, v21
	v_xor_b32_e32 v20, 0x80, v20
	s_waitcnt lgkmcnt(0)
	v_add_u32_e32 v21, v21, v26
	global_store_byte v21, v20, s[60:61]
	s_or_b64 exec, exec, s[36:37]
	v_cmp_lt_u32_e64 s[40:41], v30, v89
	s_and_saveexec_b64 s[36:37], s[40:41]
	s_cbranch_execnz .LBB396_277
.LBB396_284:                            ;   in Loop: Header=BB396_232 Depth=2
	s_or_b64 exec, exec, s[36:37]
	v_cmp_lt_u32_e64 s[38:39], v31, v89
	s_and_saveexec_b64 s[36:37], s[38:39]
	s_cbranch_execz .LBB396_278
.LBB396_285:                            ;   in Loop: Header=BB396_232 Depth=2
	ds_read_u8 v20, v30 offset:1280
	s_waitcnt lgkmcnt(0)
	v_lshrrev_b32_sdwa v21, s68, v20 dst_sel:DWORD dst_unused:UNUSED_PAD src0_sel:DWORD src1_sel:BYTE_0
	v_and_b32_e32 v21, s77, v21
	v_lshlrev_b32_e32 v21, 2, v21
	ds_read_b32 v21, v21
	v_xor_b32_e32 v20, 0x80, v20
	s_waitcnt lgkmcnt(0)
	v_add_u32_e32 v21, v21, v31
	global_store_byte v21, v20, s[60:61]
	s_or_b64 exec, exec, s[36:37]
	v_cmp_lt_u32_e64 s[36:37], v32, v89
	s_and_saveexec_b64 s[52:53], s[36:37]
	s_cbranch_execnz .LBB396_279
.LBB396_286:                            ;   in Loop: Header=BB396_232 Depth=2
	s_or_b64 exec, exec, s[52:53]
	v_cmp_lt_u32_e32 vcc, v33, v89
	s_and_saveexec_b64 s[52:53], vcc
	s_cbranch_execz .LBB396_288
.LBB396_287:                            ;   in Loop: Header=BB396_232 Depth=2
	ds_read_u8 v20, v30 offset:1792
	s_waitcnt lgkmcnt(0)
	v_lshrrev_b32_sdwa v21, s68, v20 dst_sel:DWORD dst_unused:UNUSED_PAD src0_sel:DWORD src1_sel:BYTE_0
	v_and_b32_e32 v21, s77, v21
	v_lshlrev_b32_e32 v21, 2, v21
	ds_read_b32 v21, v21
	v_xor_b32_e32 v20, 0x80, v20
	s_waitcnt lgkmcnt(0)
	v_add_u32_e32 v21, v21, v33
	global_store_byte v21, v20, s[60:61]
.LBB396_288:                            ;   in Loop: Header=BB396_232 Depth=2
	s_or_b64 exec, exec, s[52:53]
	s_lshl_b64 s[52:53], s[72:73], 3
	v_mov_b32_e32 v21, s53
	v_add_co_u32_e64 v20, s[52:53], s52, v77
	v_addc_co_u32_e64 v21, s[52:53], v78, v21, s[52:53]
	v_cmp_lt_u32_e64 s[52:53], v72, v89
	s_and_saveexec_b64 s[62:63], s[52:53]
	s_xor_b64 s[52:53], exec, s[62:63]
	s_cbranch_execz .LBB396_304
; %bb.289:                              ;   in Loop: Header=BB396_232 Depth=2
	global_load_dwordx2 v[18:19], v[20:21], off
	s_or_b64 exec, exec, s[52:53]
	v_cmp_lt_u32_e64 s[52:53], v79, v89
	s_and_saveexec_b64 s[62:63], s[52:53]
	s_cbranch_execnz .LBB396_305
.LBB396_290:                            ;   in Loop: Header=BB396_232 Depth=2
	s_or_b64 exec, exec, s[62:63]
	v_cmp_lt_u32_e64 s[52:53], v80, v89
	s_and_saveexec_b64 s[62:63], s[52:53]
	s_cbranch_execz .LBB396_306
.LBB396_291:                            ;   in Loop: Header=BB396_232 Depth=2
	global_load_dwordx2 v[14:15], v[20:21], off offset:1024
	s_or_b64 exec, exec, s[62:63]
	v_cmp_lt_u32_e64 s[52:53], v81, v89
	s_and_saveexec_b64 s[62:63], s[52:53]
	s_cbranch_execnz .LBB396_307
.LBB396_292:                            ;   in Loop: Header=BB396_232 Depth=2
	s_or_b64 exec, exec, s[62:63]
	v_cmp_lt_u32_e64 s[52:53], v82, v89
	s_and_saveexec_b64 s[62:63], s[52:53]
	s_cbranch_execz .LBB396_308
.LBB396_293:                            ;   in Loop: Header=BB396_232 Depth=2
	global_load_dwordx2 v[10:11], v[20:21], off offset:2048
	s_or_b64 exec, exec, s[62:63]
	v_cmp_lt_u32_e64 s[52:53], v83, v89
	s_and_saveexec_b64 s[62:63], s[52:53]
	s_cbranch_execnz .LBB396_309
.LBB396_294:                            ;   in Loop: Header=BB396_232 Depth=2
	s_or_b64 exec, exec, s[62:63]
	v_cmp_lt_u32_e64 s[52:53], v84, v89
	s_and_saveexec_b64 s[62:63], s[52:53]
	s_cbranch_execz .LBB396_310
.LBB396_295:                            ;   in Loop: Header=BB396_232 Depth=2
	global_load_dwordx2 v[6:7], v[20:21], off offset:3072
	s_or_b64 exec, exec, s[62:63]
	v_cmp_lt_u32_e64 s[52:53], v85, v89
	s_and_saveexec_b64 s[62:63], s[52:53]
	s_cbranch_execnz .LBB396_311
.LBB396_296:                            ;   in Loop: Header=BB396_232 Depth=2
	s_or_b64 exec, exec, s[62:63]
	s_and_saveexec_b64 s[52:53], s[48:49]
	s_cbranch_execz .LBB396_312
.LBB396_297:                            ;   in Loop: Header=BB396_232 Depth=2
	ds_read_u8 v20, v2 offset:1024
	s_waitcnt lgkmcnt(0)
	v_lshrrev_b32_e32 v20, s68, v20
	v_and_b32_e32 v75, s77, v20
	s_or_b64 exec, exec, s[52:53]
	s_and_saveexec_b64 s[52:53], s[46:47]
	s_cbranch_execnz .LBB396_313
.LBB396_298:                            ;   in Loop: Header=BB396_232 Depth=2
	s_or_b64 exec, exec, s[52:53]
	s_and_saveexec_b64 s[52:53], s[44:45]
	s_cbranch_execz .LBB396_314
.LBB396_299:                            ;   in Loop: Header=BB396_232 Depth=2
	ds_read_u8 v20, v30 offset:512
	s_waitcnt lgkmcnt(0)
	v_lshrrev_b32_e32 v20, s68, v20
	v_and_b32_e32 v71, s77, v20
	s_or_b64 exec, exec, s[52:53]
	s_and_saveexec_b64 s[52:53], s[42:43]
	s_cbranch_execnz .LBB396_315
.LBB396_300:                            ;   in Loop: Header=BB396_232 Depth=2
	s_or_b64 exec, exec, s[52:53]
	s_and_saveexec_b64 s[52:53], s[40:41]
	s_cbranch_execz .LBB396_316
.LBB396_301:                            ;   in Loop: Header=BB396_232 Depth=2
	ds_read_u8 v20, v30 offset:1024
	s_waitcnt lgkmcnt(0)
	v_lshrrev_b32_e32 v20, s68, v20
	v_and_b32_e32 v69, s77, v20
	s_or_b64 exec, exec, s[52:53]
	s_and_saveexec_b64 s[52:53], s[38:39]
	s_cbranch_execnz .LBB396_317
.LBB396_302:                            ;   in Loop: Header=BB396_232 Depth=2
	s_or_b64 exec, exec, s[52:53]
	s_and_saveexec_b64 s[52:53], s[36:37]
	s_cbranch_execz .LBB396_318
.LBB396_303:                            ;   in Loop: Header=BB396_232 Depth=2
	ds_read_u8 v20, v30 offset:1536
	s_waitcnt lgkmcnt(0)
	v_lshrrev_b32_e32 v20, s68, v20
	v_and_b32_e32 v67, s77, v20
	s_or_b64 exec, exec, s[52:53]
	s_and_saveexec_b64 s[52:53], vcc
	s_cbranch_execnz .LBB396_319
	s_branch .LBB396_320
.LBB396_304:                            ;   in Loop: Header=BB396_232 Depth=2
	s_or_b64 exec, exec, s[52:53]
	v_cmp_lt_u32_e64 s[52:53], v79, v89
	s_and_saveexec_b64 s[62:63], s[52:53]
	s_cbranch_execz .LBB396_290
.LBB396_305:                            ;   in Loop: Header=BB396_232 Depth=2
	global_load_dwordx2 v[16:17], v[20:21], off offset:512
	s_or_b64 exec, exec, s[62:63]
	v_cmp_lt_u32_e64 s[52:53], v80, v89
	s_and_saveexec_b64 s[62:63], s[52:53]
	s_cbranch_execnz .LBB396_291
.LBB396_306:                            ;   in Loop: Header=BB396_232 Depth=2
	s_or_b64 exec, exec, s[62:63]
	v_cmp_lt_u32_e64 s[52:53], v81, v89
	s_and_saveexec_b64 s[62:63], s[52:53]
	s_cbranch_execz .LBB396_292
.LBB396_307:                            ;   in Loop: Header=BB396_232 Depth=2
	global_load_dwordx2 v[12:13], v[20:21], off offset:1536
	s_or_b64 exec, exec, s[62:63]
	v_cmp_lt_u32_e64 s[52:53], v82, v89
	s_and_saveexec_b64 s[62:63], s[52:53]
	s_cbranch_execnz .LBB396_293
.LBB396_308:                            ;   in Loop: Header=BB396_232 Depth=2
	s_or_b64 exec, exec, s[62:63]
	v_cmp_lt_u32_e64 s[52:53], v83, v89
	s_and_saveexec_b64 s[62:63], s[52:53]
	s_cbranch_execz .LBB396_294
.LBB396_309:                            ;   in Loop: Header=BB396_232 Depth=2
	global_load_dwordx2 v[8:9], v[20:21], off offset:2560
	s_or_b64 exec, exec, s[62:63]
	v_cmp_lt_u32_e64 s[52:53], v84, v89
	s_and_saveexec_b64 s[62:63], s[52:53]
	s_cbranch_execnz .LBB396_295
.LBB396_310:                            ;   in Loop: Header=BB396_232 Depth=2
	s_or_b64 exec, exec, s[62:63]
	v_cmp_lt_u32_e64 s[52:53], v85, v89
	s_and_saveexec_b64 s[62:63], s[52:53]
	s_cbranch_execz .LBB396_296
.LBB396_311:                            ;   in Loop: Header=BB396_232 Depth=2
	global_load_dwordx2 v[0:1], v[20:21], off offset:3584
	s_or_b64 exec, exec, s[62:63]
	s_and_saveexec_b64 s[52:53], s[48:49]
	s_cbranch_execnz .LBB396_297
.LBB396_312:                            ;   in Loop: Header=BB396_232 Depth=2
	s_or_b64 exec, exec, s[52:53]
	s_and_saveexec_b64 s[52:53], s[46:47]
	s_cbranch_execz .LBB396_298
.LBB396_313:                            ;   in Loop: Header=BB396_232 Depth=2
	ds_read_u8 v20, v30 offset:256
	s_waitcnt lgkmcnt(0)
	v_lshrrev_b32_e32 v20, s68, v20
	v_and_b32_e32 v73, s77, v20
	s_or_b64 exec, exec, s[52:53]
	s_and_saveexec_b64 s[52:53], s[44:45]
	s_cbranch_execnz .LBB396_299
.LBB396_314:                            ;   in Loop: Header=BB396_232 Depth=2
	s_or_b64 exec, exec, s[52:53]
	s_and_saveexec_b64 s[52:53], s[42:43]
	s_cbranch_execz .LBB396_300
.LBB396_315:                            ;   in Loop: Header=BB396_232 Depth=2
	ds_read_u8 v20, v30 offset:768
	s_waitcnt lgkmcnt(0)
	v_lshrrev_b32_e32 v20, s68, v20
	v_and_b32_e32 v70, s77, v20
	s_or_b64 exec, exec, s[52:53]
	s_and_saveexec_b64 s[52:53], s[40:41]
	s_cbranch_execnz .LBB396_301
.LBB396_316:                            ;   in Loop: Header=BB396_232 Depth=2
	s_or_b64 exec, exec, s[52:53]
	s_and_saveexec_b64 s[52:53], s[38:39]
	s_cbranch_execz .LBB396_302
.LBB396_317:                            ;   in Loop: Header=BB396_232 Depth=2
	ds_read_u8 v20, v30 offset:1280
	s_waitcnt lgkmcnt(0)
	v_lshrrev_b32_e32 v20, s68, v20
	v_and_b32_e32 v68, s77, v20
	s_or_b64 exec, exec, s[52:53]
	s_and_saveexec_b64 s[52:53], s[36:37]
	s_cbranch_execnz .LBB396_303
.LBB396_318:                            ;   in Loop: Header=BB396_232 Depth=2
	s_or_b64 exec, exec, s[52:53]
	s_and_saveexec_b64 s[52:53], vcc
	s_cbranch_execz .LBB396_320
.LBB396_319:                            ;   in Loop: Header=BB396_232 Depth=2
	ds_read_u8 v20, v30 offset:1792
	s_waitcnt lgkmcnt(0)
	v_lshrrev_b32_e32 v20, s68, v20
	v_and_b32_e32 v66, s77, v20
.LBB396_320:                            ;   in Loop: Header=BB396_232 Depth=2
	s_or_b64 exec, exec, s[52:53]
	v_lshlrev_b32_e32 v20, 3, v102
	s_barrier
	s_waitcnt vmcnt(0)
	ds_write_b64 v20, v[18:19] offset:1024
	v_lshlrev_b32_e32 v20, 3, v98
	ds_write_b64 v20, v[16:17] offset:1024
	v_lshlrev_b32_e32 v20, 3, v97
	ds_write_b64 v20, v[14:15] offset:1024
	v_lshlrev_b32_e32 v20, 3, v95
	ds_write_b64 v20, v[12:13] offset:1024
	v_lshlrev_b32_e32 v20, 3, v93
	ds_write_b64 v20, v[10:11] offset:1024
	v_lshlrev_b32_e32 v20, 3, v92
	ds_write_b64 v20, v[8:9] offset:1024
	v_lshlrev_b32_e32 v20, 3, v23
	ds_write_b64 v20, v[6:7] offset:1024
	v_lshlrev_b32_e32 v20, 3, v22
	ds_write_b64 v20, v[0:1] offset:1024
	s_waitcnt lgkmcnt(0)
	s_barrier
	s_and_saveexec_b64 s[52:53], s[48:49]
	s_cbranch_execz .LBB396_328
; %bb.321:                              ;   in Loop: Header=BB396_232 Depth=2
	v_lshlrev_b32_e32 v20, 2, v75
	ds_read_b32 v22, v20
	v_add_u32_e32 v20, v2, v50
	ds_read_b64 v[20:21], v20 offset:1024
	v_mov_b32_e32 v23, v4
	v_mov_b32_e32 v89, s67
	s_waitcnt lgkmcnt(1)
	v_add_u32_e32 v22, v22, v2
	v_lshlrev_b64 v[22:23], 3, v[22:23]
	v_add_co_u32_e64 v22, s[48:49], s66, v22
	v_addc_co_u32_e64 v23, s[48:49], v89, v23, s[48:49]
	s_waitcnt lgkmcnt(0)
	global_store_dwordx2 v[22:23], v[20:21], off
	s_or_b64 exec, exec, s[52:53]
	s_and_saveexec_b64 s[48:49], s[46:47]
	s_cbranch_execnz .LBB396_329
.LBB396_322:                            ;   in Loop: Header=BB396_232 Depth=2
	s_or_b64 exec, exec, s[48:49]
	s_and_saveexec_b64 s[46:47], s[44:45]
	s_cbranch_execz .LBB396_330
.LBB396_323:                            ;   in Loop: Header=BB396_232 Depth=2
	v_lshlrev_b32_e32 v20, 2, v71
	ds_read_b32 v22, v20
	v_add_u32_e32 v20, v30, v50
	ds_read_b64 v[20:21], v20 offset:4096
	v_mov_b32_e32 v23, v4
	v_mov_b32_e32 v89, s67
	s_waitcnt lgkmcnt(1)
	v_add_u32_e32 v22, v22, v25
	v_lshlrev_b64 v[22:23], 3, v[22:23]
	v_add_co_u32_e64 v22, s[44:45], s66, v22
	v_addc_co_u32_e64 v23, s[44:45], v89, v23, s[44:45]
	s_waitcnt lgkmcnt(0)
	global_store_dwordx2 v[22:23], v[20:21], off
	s_or_b64 exec, exec, s[46:47]
	s_and_saveexec_b64 s[44:45], s[42:43]
	s_cbranch_execnz .LBB396_331
.LBB396_324:                            ;   in Loop: Header=BB396_232 Depth=2
	s_or_b64 exec, exec, s[44:45]
	s_and_saveexec_b64 s[42:43], s[40:41]
	s_cbranch_execz .LBB396_332
.LBB396_325:                            ;   in Loop: Header=BB396_232 Depth=2
	v_lshlrev_b32_e32 v20, 2, v69
	ds_read_b32 v22, v20
	v_add_u32_e32 v20, v30, v50
	ds_read_b64 v[20:21], v20 offset:8192
	v_mov_b32_e32 v23, v4
	v_mov_b32_e32 v89, s67
	s_waitcnt lgkmcnt(1)
	v_add_u32_e32 v22, v22, v30
	v_lshlrev_b64 v[22:23], 3, v[22:23]
	v_add_co_u32_e64 v22, s[40:41], s66, v22
	v_addc_co_u32_e64 v23, s[40:41], v89, v23, s[40:41]
	s_waitcnt lgkmcnt(0)
	global_store_dwordx2 v[22:23], v[20:21], off
	s_or_b64 exec, exec, s[42:43]
	s_and_saveexec_b64 s[40:41], s[38:39]
	s_cbranch_execnz .LBB396_333
.LBB396_326:                            ;   in Loop: Header=BB396_232 Depth=2
	s_or_b64 exec, exec, s[40:41]
	s_and_saveexec_b64 s[38:39], s[36:37]
	s_cbranch_execz .LBB396_334
.LBB396_327:                            ;   in Loop: Header=BB396_232 Depth=2
	v_lshlrev_b32_e32 v20, 2, v67
	ds_read_b32 v22, v20
	v_add_u32_e32 v20, v30, v50
	ds_read_b64 v[20:21], v20 offset:12288
	v_mov_b32_e32 v23, v4
	v_mov_b32_e32 v89, s67
	s_waitcnt lgkmcnt(1)
	v_add_u32_e32 v22, v22, v32
	v_lshlrev_b64 v[22:23], 3, v[22:23]
	v_add_co_u32_e64 v22, s[36:37], s66, v22
	v_addc_co_u32_e64 v23, s[36:37], v89, v23, s[36:37]
	s_waitcnt lgkmcnt(0)
	global_store_dwordx2 v[22:23], v[20:21], off
	s_or_b64 exec, exec, s[38:39]
	s_and_saveexec_b64 s[36:37], vcc
	s_cbranch_execnz .LBB396_335
	s_branch .LBB396_336
.LBB396_328:                            ;   in Loop: Header=BB396_232 Depth=2
	s_or_b64 exec, exec, s[52:53]
	s_and_saveexec_b64 s[48:49], s[46:47]
	s_cbranch_execz .LBB396_322
.LBB396_329:                            ;   in Loop: Header=BB396_232 Depth=2
	v_lshlrev_b32_e32 v20, 2, v73
	ds_read_b32 v22, v20
	v_add_u32_e32 v20, v30, v50
	ds_read_b64 v[20:21], v20 offset:2048
	v_mov_b32_e32 v23, v4
	v_mov_b32_e32 v89, s67
	s_waitcnt lgkmcnt(1)
	v_add_u32_e32 v22, v22, v24
	v_lshlrev_b64 v[22:23], 3, v[22:23]
	v_add_co_u32_e64 v22, s[46:47], s66, v22
	v_addc_co_u32_e64 v23, s[46:47], v89, v23, s[46:47]
	s_waitcnt lgkmcnt(0)
	global_store_dwordx2 v[22:23], v[20:21], off
	s_or_b64 exec, exec, s[48:49]
	s_and_saveexec_b64 s[46:47], s[44:45]
	s_cbranch_execnz .LBB396_323
.LBB396_330:                            ;   in Loop: Header=BB396_232 Depth=2
	s_or_b64 exec, exec, s[46:47]
	s_and_saveexec_b64 s[44:45], s[42:43]
	s_cbranch_execz .LBB396_324
.LBB396_331:                            ;   in Loop: Header=BB396_232 Depth=2
	v_lshlrev_b32_e32 v20, 2, v70
	ds_read_b32 v22, v20
	v_add_u32_e32 v20, v30, v50
	ds_read_b64 v[20:21], v20 offset:6144
	v_mov_b32_e32 v23, v4
	v_mov_b32_e32 v89, s67
	s_waitcnt lgkmcnt(1)
	v_add_u32_e32 v22, v22, v26
	v_lshlrev_b64 v[22:23], 3, v[22:23]
	v_add_co_u32_e64 v22, s[42:43], s66, v22
	v_addc_co_u32_e64 v23, s[42:43], v89, v23, s[42:43]
	s_waitcnt lgkmcnt(0)
	global_store_dwordx2 v[22:23], v[20:21], off
	s_or_b64 exec, exec, s[44:45]
	s_and_saveexec_b64 s[42:43], s[40:41]
	s_cbranch_execnz .LBB396_325
.LBB396_332:                            ;   in Loop: Header=BB396_232 Depth=2
	s_or_b64 exec, exec, s[42:43]
	s_and_saveexec_b64 s[40:41], s[38:39]
	s_cbranch_execz .LBB396_326
.LBB396_333:                            ;   in Loop: Header=BB396_232 Depth=2
	v_lshlrev_b32_e32 v20, 2, v68
	ds_read_b32 v22, v20
	v_add_u32_e32 v20, v30, v50
	ds_read_b64 v[20:21], v20 offset:10240
	v_mov_b32_e32 v23, v4
	v_mov_b32_e32 v89, s67
	s_waitcnt lgkmcnt(1)
	v_add_u32_e32 v22, v22, v31
	v_lshlrev_b64 v[22:23], 3, v[22:23]
	v_add_co_u32_e64 v22, s[38:39], s66, v22
	v_addc_co_u32_e64 v23, s[38:39], v89, v23, s[38:39]
	s_waitcnt lgkmcnt(0)
	global_store_dwordx2 v[22:23], v[20:21], off
	s_or_b64 exec, exec, s[40:41]
	s_and_saveexec_b64 s[38:39], s[36:37]
	s_cbranch_execnz .LBB396_327
.LBB396_334:                            ;   in Loop: Header=BB396_232 Depth=2
	s_or_b64 exec, exec, s[38:39]
	s_and_saveexec_b64 s[36:37], vcc
	s_cbranch_execz .LBB396_336
.LBB396_335:                            ;   in Loop: Header=BB396_232 Depth=2
	v_lshlrev_b32_e32 v20, 2, v66
	ds_read_b32 v22, v20
	v_add_u32_e32 v20, v30, v50
	ds_read_b64 v[20:21], v20 offset:14336
	v_mov_b32_e32 v23, v4
	v_mov_b32_e32 v89, s67
	s_waitcnt lgkmcnt(1)
	v_add_u32_e32 v22, v22, v33
	v_lshlrev_b64 v[22:23], 3, v[22:23]
	v_add_co_u32_e32 v22, vcc, s66, v22
	v_addc_co_u32_e32 v23, vcc, v89, v23, vcc
	s_waitcnt lgkmcnt(0)
	global_store_dwordx2 v[22:23], v[20:21], off
.LBB396_336:                            ;   in Loop: Header=BB396_232 Depth=2
	s_or_b64 exec, exec, s[36:37]
	s_barrier
	s_and_saveexec_b64 s[36:37], s[4:5]
	s_cbranch_execz .LBB396_231
; %bb.337:                              ;   in Loop: Header=BB396_232 Depth=2
	ds_read_b32 v20, v3
	s_waitcnt lgkmcnt(0)
	v_add_u32_e32 v5, v20, v5
	ds_write_b32 v3, v5
	s_branch .LBB396_231
.LBB396_338:                            ;   in Loop: Header=BB396_232 Depth=2
	s_or_b64 exec, exec, s[36:37]
	v_cmp_gt_u32_e32 vcc, s78, v79
	s_and_saveexec_b64 s[36:37], vcc
	s_cbranch_execz .LBB396_238
.LBB396_339:                            ;   in Loop: Header=BB396_232 Depth=2
	global_load_ubyte v94, v[20:21], off offset:64
	s_or_b64 exec, exec, s[36:37]
	v_cmp_gt_u32_e32 vcc, s78, v80
	s_and_saveexec_b64 s[36:37], vcc
	s_cbranch_execnz .LBB396_239
.LBB396_340:                            ;   in Loop: Header=BB396_232 Depth=2
	s_or_b64 exec, exec, s[36:37]
	v_cmp_gt_u32_e32 vcc, s78, v81
	s_and_saveexec_b64 s[36:37], vcc
	s_cbranch_execz .LBB396_240
.LBB396_341:                            ;   in Loop: Header=BB396_232 Depth=2
	global_load_ubyte v101, v[20:21], off offset:192
	s_or_b64 exec, exec, s[36:37]
	v_cmp_gt_u32_e32 vcc, s78, v82
	s_and_saveexec_b64 s[36:37], vcc
	s_cbranch_execnz .LBB396_241
.LBB396_342:                            ;   in Loop: Header=BB396_232 Depth=2
	s_or_b64 exec, exec, s[36:37]
	v_cmp_gt_u32_e32 vcc, s78, v83
	s_and_saveexec_b64 s[36:37], vcc
	s_cbranch_execz .LBB396_242
.LBB396_343:                            ;   in Loop: Header=BB396_232 Depth=2
	global_load_ubyte v91, v[20:21], off offset:320
	s_or_b64 exec, exec, s[36:37]
	v_cmp_gt_u32_e32 vcc, s78, v84
	s_and_saveexec_b64 s[36:37], vcc
	s_cbranch_execnz .LBB396_243
	s_branch .LBB396_244
.LBB396_344:                            ;   in Loop: Header=BB396_12 Depth=1
	s_waitcnt lgkmcnt(0)
	s_barrier
.LBB396_345:                            ;   in Loop: Header=BB396_12 Depth=1
	s_mov_b64 s[16:17], 0
.LBB396_346:                            ;   in Loop: Header=BB396_12 Depth=1
	s_andn2_b64 vcc, exec, s[16:17]
	s_cbranch_vccnz .LBB396_11
; %bb.347:                              ;   in Loop: Header=BB396_12 Depth=1
	s_mov_b64 s[16:17], -1
	s_and_b64 vcc, exec, s[54:55]
	s_cbranch_vccz .LBB396_513
; %bb.348:                              ;   in Loop: Header=BB396_12 Depth=1
	s_mov_b32 s20, s71
	s_mov_b32 s22, s51
	s_barrier
	s_waitcnt lgkmcnt(0)
                                        ; implicit-def: $vgpr5
                                        ; implicit-def: $vgpr6
                                        ; implicit-def: $vgpr7
                                        ; implicit-def: $vgpr8
                                        ; implicit-def: $vgpr9
                                        ; implicit-def: $vgpr10
                                        ; implicit-def: $vgpr11
                                        ; implicit-def: $vgpr12
	s_branch .LBB396_350
.LBB396_349:                            ;   in Loop: Header=BB396_350 Depth=2
	s_or_b64 exec, exec, s[16:17]
	s_addk_i32 s20, 0xf800
	s_cmp_ge_u32 s21, s76
	s_mov_b32 s22, s21
	s_cbranch_scc1 .LBB396_388
.LBB396_350:                            ;   Parent Loop BB396_12 Depth=1
                                        ; =>  This Inner Loop Header: Depth=2
	s_add_i32 s21, s22, 0x800
	s_cmp_gt_u32 s21, s76
	s_cbranch_scc1 .LBB396_353
; %bb.351:                              ;   in Loop: Header=BB396_350 Depth=2
	v_add_co_u32_e32 v0, vcc, s22, v57
	v_addc_co_u32_e32 v1, vcc, 0, v58, vcc
	global_load_ubyte v20, v[0:1], off offset:1536
	global_load_ubyte v19, v[0:1], off offset:1280
	;; [unrolled: 1-line block ×6, first 2 shown]
	global_load_ubyte v14, v[0:1], off
	v_add_co_u32_e32 v0, vcc, 0x700, v0
	v_addc_co_u32_e32 v1, vcc, 0, v1, vcc
	s_mov_b64 s[16:17], -1
	s_movk_i32 s25, 0x800
	s_cbranch_execz .LBB396_354
; %bb.352:                              ;   in Loop: Header=BB396_350 Depth=2
                                        ; implicit-def: $vgpr5
                                        ; implicit-def: $vgpr6
                                        ; implicit-def: $vgpr7
                                        ; implicit-def: $vgpr8
                                        ; implicit-def: $vgpr9
                                        ; implicit-def: $vgpr10
                                        ; implicit-def: $vgpr11
                                        ; implicit-def: $vgpr12
	v_mov_b32_e32 v13, s20
	s_and_saveexec_b64 s[18:19], s[16:17]
	s_cbranch_execnz .LBB396_365
	s_branch .LBB396_366
.LBB396_353:                            ;   in Loop: Header=BB396_350 Depth=2
	s_mov_b64 s[16:17], 0
                                        ; implicit-def: $sgpr25
                                        ; implicit-def: $vgpr14
                                        ; implicit-def: $vgpr15
                                        ; implicit-def: $vgpr16
                                        ; implicit-def: $vgpr17
                                        ; implicit-def: $vgpr18
                                        ; implicit-def: $vgpr19
                                        ; implicit-def: $vgpr20
                                        ; implicit-def: $vgpr0_vgpr1
.LBB396_354:                            ;   in Loop: Header=BB396_350 Depth=2
	s_add_u32 s23, s56, s22
	s_addc_u32 s24, s57, 0
	v_cmp_gt_u32_e32 vcc, s20, v2
	s_and_saveexec_b64 s[18:19], vcc
	s_cbranch_execz .LBB396_382
; %bb.355:                              ;   in Loop: Header=BB396_350 Depth=2
	v_mov_b32_e32 v1, s24
	v_add_co_u32_e32 v0, vcc, s23, v2
	v_addc_co_u32_e32 v1, vcc, 0, v1, vcc
	global_load_ubyte v5, v[0:1], off
	s_or_b64 exec, exec, s[18:19]
	v_cmp_gt_u32_e32 vcc, s20, v24
	s_and_saveexec_b64 s[18:19], vcc
	s_cbranch_execnz .LBB396_383
.LBB396_356:                            ;   in Loop: Header=BB396_350 Depth=2
	s_or_b64 exec, exec, s[18:19]
	v_cmp_gt_u32_e32 vcc, s20, v25
	s_and_saveexec_b64 s[18:19], vcc
	s_cbranch_execz .LBB396_384
.LBB396_357:                            ;   in Loop: Header=BB396_350 Depth=2
	v_mov_b32_e32 v1, s24
	v_add_co_u32_e32 v0, vcc, s23, v2
	v_addc_co_u32_e32 v1, vcc, 0, v1, vcc
	global_load_ubyte v7, v[0:1], off offset:512
	s_or_b64 exec, exec, s[18:19]
	v_cmp_gt_u32_e32 vcc, s20, v26
	s_and_saveexec_b64 s[18:19], vcc
	s_cbranch_execnz .LBB396_385
.LBB396_358:                            ;   in Loop: Header=BB396_350 Depth=2
	s_or_b64 exec, exec, s[18:19]
	v_cmp_gt_u32_e32 vcc, s20, v30
	s_and_saveexec_b64 s[18:19], vcc
	s_cbranch_execz .LBB396_386
.LBB396_359:                            ;   in Loop: Header=BB396_350 Depth=2
	v_mov_b32_e32 v1, s24
	v_add_co_u32_e32 v0, vcc, s23, v2
	v_addc_co_u32_e32 v1, vcc, 0, v1, vcc
	global_load_ubyte v9, v[0:1], off offset:1024
	s_or_b64 exec, exec, s[18:19]
	v_cmp_gt_u32_e32 vcc, s20, v31
	s_and_saveexec_b64 s[18:19], vcc
	s_cbranch_execnz .LBB396_387
.LBB396_360:                            ;   in Loop: Header=BB396_350 Depth=2
	s_or_b64 exec, exec, s[18:19]
	v_cmp_gt_u32_e32 vcc, s20, v32
	s_and_saveexec_b64 s[18:19], vcc
	s_cbranch_execz .LBB396_362
.LBB396_361:                            ;   in Loop: Header=BB396_350 Depth=2
	v_mov_b32_e32 v1, s24
	v_add_co_u32_e32 v0, vcc, s23, v2
	v_addc_co_u32_e32 v1, vcc, 0, v1, vcc
	global_load_ubyte v11, v[0:1], off offset:1536
.LBB396_362:                            ;   in Loop: Header=BB396_350 Depth=2
	s_or_b64 exec, exec, s[18:19]
	v_cmp_gt_u32_e32 vcc, s20, v33
                                        ; implicit-def: $sgpr25
                                        ; implicit-def: $vgpr0_vgpr1
	s_and_saveexec_b64 s[18:19], vcc
	s_cbranch_execz .LBB396_364
; %bb.363:                              ;   in Loop: Header=BB396_350 Depth=2
	v_mov_b32_e32 v0, s24
	v_add_co_u32_e32 v1, vcc, s23, v2
	s_waitcnt vmcnt(0)
	v_addc_co_u32_e32 v12, vcc, 0, v0, vcc
	v_add_co_u32_e32 v0, vcc, 0x700, v1
	s_sub_i32 s25, s76, s22
	v_addc_co_u32_e32 v1, vcc, 0, v12, vcc
	s_or_b64 s[16:17], s[16:17], exec
                                        ; implicit-def: $vgpr12
.LBB396_364:                            ;   in Loop: Header=BB396_350 Depth=2
	s_or_b64 exec, exec, s[18:19]
	s_waitcnt vmcnt(0)
	v_mov_b32_e32 v14, v5
	v_mov_b32_e32 v15, v6
	;; [unrolled: 1-line block ×8, first 2 shown]
	s_and_saveexec_b64 s[18:19], s[16:17]
	s_cbranch_execz .LBB396_366
.LBB396_365:                            ;   in Loop: Header=BB396_350 Depth=2
	global_load_ubyte v12, v[0:1], off
	v_mov_b32_e32 v13, s25
	s_waitcnt vmcnt(1)
	v_mov_b32_e32 v5, v14
	v_mov_b32_e32 v6, v15
	;; [unrolled: 1-line block ×7, first 2 shown]
.LBB396_366:                            ;   in Loop: Header=BB396_350 Depth=2
	s_or_b64 exec, exec, s[18:19]
	v_cmp_lt_u32_e32 vcc, v2, v13
	s_and_saveexec_b64 s[16:17], vcc
	s_cbranch_execz .LBB396_374
; %bb.367:                              ;   in Loop: Header=BB396_350 Depth=2
	v_xor_b32_e32 v0, 0x80, v5
	v_lshrrev_b32_sdwa v0, s69, v0 dst_sel:DWORD dst_unused:UNUSED_PAD src0_sel:DWORD src1_sel:BYTE_0
	v_and_b32_e32 v0, s77, v0
	v_lshlrev_b32_e32 v1, 2, v27
	v_lshl_or_b32 v0, v0, 4, v1
	ds_add_u32 v0, v63
	s_or_b64 exec, exec, s[16:17]
	v_cmp_lt_u32_e32 vcc, v24, v13
	s_and_saveexec_b64 s[16:17], vcc
	s_cbranch_execnz .LBB396_375
.LBB396_368:                            ;   in Loop: Header=BB396_350 Depth=2
	s_or_b64 exec, exec, s[16:17]
	v_cmp_lt_u32_e32 vcc, v25, v13
	s_and_saveexec_b64 s[16:17], vcc
	s_cbranch_execz .LBB396_376
.LBB396_369:                            ;   in Loop: Header=BB396_350 Depth=2
	v_xor_b32_e32 v0, 0x80, v7
	v_lshrrev_b32_sdwa v0, s69, v0 dst_sel:DWORD dst_unused:UNUSED_PAD src0_sel:DWORD src1_sel:BYTE_0
	v_and_b32_e32 v0, s77, v0
	v_lshlrev_b32_e32 v1, 2, v27
	v_lshl_or_b32 v0, v0, 4, v1
	ds_add_u32 v0, v63
	s_or_b64 exec, exec, s[16:17]
	v_cmp_lt_u32_e32 vcc, v26, v13
	s_and_saveexec_b64 s[16:17], vcc
	s_cbranch_execnz .LBB396_377
.LBB396_370:                            ;   in Loop: Header=BB396_350 Depth=2
	s_or_b64 exec, exec, s[16:17]
	v_cmp_lt_u32_e32 vcc, v30, v13
	s_and_saveexec_b64 s[16:17], vcc
	s_cbranch_execz .LBB396_378
.LBB396_371:                            ;   in Loop: Header=BB396_350 Depth=2
	v_xor_b32_e32 v0, 0x80, v9
	v_lshrrev_b32_sdwa v0, s69, v0 dst_sel:DWORD dst_unused:UNUSED_PAD src0_sel:DWORD src1_sel:BYTE_0
	v_and_b32_e32 v0, s77, v0
	v_lshlrev_b32_e32 v1, 2, v27
	v_lshl_or_b32 v0, v0, 4, v1
	ds_add_u32 v0, v63
	s_or_b64 exec, exec, s[16:17]
	v_cmp_lt_u32_e32 vcc, v31, v13
	s_and_saveexec_b64 s[16:17], vcc
	s_cbranch_execnz .LBB396_379
.LBB396_372:                            ;   in Loop: Header=BB396_350 Depth=2
	s_or_b64 exec, exec, s[16:17]
	v_cmp_lt_u32_e32 vcc, v32, v13
	s_and_saveexec_b64 s[16:17], vcc
	s_cbranch_execz .LBB396_380
.LBB396_373:                            ;   in Loop: Header=BB396_350 Depth=2
	v_xor_b32_e32 v0, 0x80, v11
	v_lshrrev_b32_sdwa v0, s69, v0 dst_sel:DWORD dst_unused:UNUSED_PAD src0_sel:DWORD src1_sel:BYTE_0
	v_and_b32_e32 v0, s77, v0
	v_lshlrev_b32_e32 v1, 2, v27
	v_lshl_or_b32 v0, v0, 4, v1
	ds_add_u32 v0, v63
	s_or_b64 exec, exec, s[16:17]
	v_cmp_lt_u32_e32 vcc, v33, v13
	s_and_saveexec_b64 s[16:17], vcc
	s_cbranch_execz .LBB396_349
	s_branch .LBB396_381
.LBB396_374:                            ;   in Loop: Header=BB396_350 Depth=2
	s_or_b64 exec, exec, s[16:17]
	v_cmp_lt_u32_e32 vcc, v24, v13
	s_and_saveexec_b64 s[16:17], vcc
	s_cbranch_execz .LBB396_368
.LBB396_375:                            ;   in Loop: Header=BB396_350 Depth=2
	v_xor_b32_e32 v0, 0x80, v6
	v_lshrrev_b32_sdwa v0, s69, v0 dst_sel:DWORD dst_unused:UNUSED_PAD src0_sel:DWORD src1_sel:BYTE_0
	v_and_b32_e32 v0, s77, v0
	v_lshlrev_b32_e32 v1, 2, v27
	v_lshl_or_b32 v0, v0, 4, v1
	ds_add_u32 v0, v63
	s_or_b64 exec, exec, s[16:17]
	v_cmp_lt_u32_e32 vcc, v25, v13
	s_and_saveexec_b64 s[16:17], vcc
	s_cbranch_execnz .LBB396_369
.LBB396_376:                            ;   in Loop: Header=BB396_350 Depth=2
	s_or_b64 exec, exec, s[16:17]
	v_cmp_lt_u32_e32 vcc, v26, v13
	s_and_saveexec_b64 s[16:17], vcc
	s_cbranch_execz .LBB396_370
.LBB396_377:                            ;   in Loop: Header=BB396_350 Depth=2
	v_xor_b32_e32 v0, 0x80, v8
	v_lshrrev_b32_sdwa v0, s69, v0 dst_sel:DWORD dst_unused:UNUSED_PAD src0_sel:DWORD src1_sel:BYTE_0
	v_and_b32_e32 v0, s77, v0
	v_lshlrev_b32_e32 v1, 2, v27
	v_lshl_or_b32 v0, v0, 4, v1
	ds_add_u32 v0, v63
	s_or_b64 exec, exec, s[16:17]
	v_cmp_lt_u32_e32 vcc, v30, v13
	s_and_saveexec_b64 s[16:17], vcc
	s_cbranch_execnz .LBB396_371
.LBB396_378:                            ;   in Loop: Header=BB396_350 Depth=2
	s_or_b64 exec, exec, s[16:17]
	v_cmp_lt_u32_e32 vcc, v31, v13
	s_and_saveexec_b64 s[16:17], vcc
	s_cbranch_execz .LBB396_372
.LBB396_379:                            ;   in Loop: Header=BB396_350 Depth=2
	v_xor_b32_e32 v0, 0x80, v10
	v_lshrrev_b32_sdwa v0, s69, v0 dst_sel:DWORD dst_unused:UNUSED_PAD src0_sel:DWORD src1_sel:BYTE_0
	v_and_b32_e32 v0, s77, v0
	v_lshlrev_b32_e32 v1, 2, v27
	v_lshl_or_b32 v0, v0, 4, v1
	ds_add_u32 v0, v63
	s_or_b64 exec, exec, s[16:17]
	v_cmp_lt_u32_e32 vcc, v32, v13
	s_and_saveexec_b64 s[16:17], vcc
	s_cbranch_execnz .LBB396_373
.LBB396_380:                            ;   in Loop: Header=BB396_350 Depth=2
	s_or_b64 exec, exec, s[16:17]
	v_cmp_lt_u32_e32 vcc, v33, v13
	s_and_saveexec_b64 s[16:17], vcc
	s_cbranch_execz .LBB396_349
.LBB396_381:                            ;   in Loop: Header=BB396_350 Depth=2
	s_waitcnt vmcnt(0)
	v_xor_b32_e32 v0, 0x80, v12
	v_lshrrev_b32_sdwa v0, s69, v0 dst_sel:DWORD dst_unused:UNUSED_PAD src0_sel:DWORD src1_sel:BYTE_0
	v_and_b32_e32 v0, s77, v0
	v_lshlrev_b32_e32 v1, 2, v27
	v_lshl_or_b32 v0, v0, 4, v1
	ds_add_u32 v0, v63
	s_branch .LBB396_349
.LBB396_382:                            ;   in Loop: Header=BB396_350 Depth=2
	s_or_b64 exec, exec, s[18:19]
	v_cmp_gt_u32_e32 vcc, s20, v24
	s_and_saveexec_b64 s[18:19], vcc
	s_cbranch_execz .LBB396_356
.LBB396_383:                            ;   in Loop: Header=BB396_350 Depth=2
	v_mov_b32_e32 v1, s24
	v_add_co_u32_e32 v0, vcc, s23, v2
	v_addc_co_u32_e32 v1, vcc, 0, v1, vcc
	global_load_ubyte v6, v[0:1], off offset:256
	s_or_b64 exec, exec, s[18:19]
	v_cmp_gt_u32_e32 vcc, s20, v25
	s_and_saveexec_b64 s[18:19], vcc
	s_cbranch_execnz .LBB396_357
.LBB396_384:                            ;   in Loop: Header=BB396_350 Depth=2
	s_or_b64 exec, exec, s[18:19]
	v_cmp_gt_u32_e32 vcc, s20, v26
	s_and_saveexec_b64 s[18:19], vcc
	s_cbranch_execz .LBB396_358
.LBB396_385:                            ;   in Loop: Header=BB396_350 Depth=2
	v_mov_b32_e32 v1, s24
	v_add_co_u32_e32 v0, vcc, s23, v2
	v_addc_co_u32_e32 v1, vcc, 0, v1, vcc
	global_load_ubyte v8, v[0:1], off offset:768
	s_or_b64 exec, exec, s[18:19]
	v_cmp_gt_u32_e32 vcc, s20, v30
	s_and_saveexec_b64 s[18:19], vcc
	s_cbranch_execnz .LBB396_359
.LBB396_386:                            ;   in Loop: Header=BB396_350 Depth=2
	s_or_b64 exec, exec, s[18:19]
	v_cmp_gt_u32_e32 vcc, s20, v31
	s_and_saveexec_b64 s[18:19], vcc
	s_cbranch_execz .LBB396_360
.LBB396_387:                            ;   in Loop: Header=BB396_350 Depth=2
	v_mov_b32_e32 v1, s24
	v_add_co_u32_e32 v0, vcc, s23, v2
	v_addc_co_u32_e32 v1, vcc, 0, v1, vcc
	global_load_ubyte v10, v[0:1], off offset:1280
	s_or_b64 exec, exec, s[18:19]
	v_cmp_gt_u32_e32 vcc, s20, v32
	s_and_saveexec_b64 s[18:19], vcc
	s_cbranch_execz .LBB396_362
	s_branch .LBB396_361
.LBB396_388:                            ;   in Loop: Header=BB396_12 Depth=1
	v_mov_b32_e32 v0, 0
	s_waitcnt lgkmcnt(0)
	s_barrier
	s_and_saveexec_b64 s[16:17], s[4:5]
	s_cbranch_execz .LBB396_390
; %bb.389:                              ;   in Loop: Header=BB396_12 Depth=1
	ds_read2_b64 v[6:9], v34 offset1:1
	s_waitcnt lgkmcnt(0)
	v_add_u32_e32 v0, v7, v6
	v_add3_u32 v0, v0, v8, v9
.LBB396_390:                            ;   in Loop: Header=BB396_12 Depth=1
	s_or_b64 exec, exec, s[16:17]
	v_and_b32_e32 v1, 15, v64
	v_mov_b32_dpp v5, v0 row_shr:1 row_mask:0xf bank_mask:0xf
	v_cmp_eq_u32_e64 s[16:17], 0, v1
	v_cndmask_b32_e64 v5, v5, 0, s[16:17]
	v_add_u32_e32 v0, v5, v0
	v_cmp_lt_u32_e64 s[18:19], 1, v1
	v_cmp_lt_u32_e64 s[20:21], 3, v1
	v_mov_b32_dpp v5, v0 row_shr:2 row_mask:0xf bank_mask:0xf
	v_cndmask_b32_e64 v5, 0, v5, s[18:19]
	v_add_u32_e32 v0, v0, v5
	v_cmp_lt_u32_e64 s[22:23], 7, v1
	v_cmp_lt_u32_e64 s[26:27], 31, v64
	v_mov_b32_dpp v5, v0 row_shr:4 row_mask:0xf bank_mask:0xf
	v_cndmask_b32_e64 v5, 0, v5, s[20:21]
	v_add_u32_e32 v0, v0, v5
	v_and_b32_e32 v6, 16, v64
	v_cmp_eq_u32_e64 s[24:25], 0, v6
	v_mov_b32_dpp v5, v0 row_shr:8 row_mask:0xf bank_mask:0xf
	v_cndmask_b32_e64 v1, 0, v5, s[22:23]
	v_add_u32_e32 v0, v0, v1
	v_bfe_i32 v5, v64, 4, 1
	s_nop 0
	v_mov_b32_dpp v1, v0 row_bcast:15 row_mask:0xf bank_mask:0xf
	v_and_b32_e32 v1, v5, v1
	v_add_u32_e32 v0, v0, v1
	s_nop 1
	v_mov_b32_dpp v1, v0 row_bcast:31 row_mask:0xf bank_mask:0xf
	v_cndmask_b32_e64 v1, 0, v1, s[26:27]
	v_add_u32_e32 v1, v0, v1
	s_and_saveexec_b64 s[28:29], s[6:7]
	s_cbranch_execz .LBB396_392
; %bb.391:                              ;   in Loop: Header=BB396_12 Depth=1
	ds_write_b32 v36, v1
.LBB396_392:                            ;   in Loop: Header=BB396_12 Depth=1
	s_or_b64 exec, exec, s[28:29]
	v_and_b32_e32 v0, 3, v64
	s_waitcnt lgkmcnt(0)
	s_barrier
	s_and_saveexec_b64 s[28:29], s[8:9]
	s_cbranch_execz .LBB396_394
; %bb.393:                              ;   in Loop: Header=BB396_12 Depth=1
	ds_read_b32 v5, v37
	v_cmp_ne_u32_e32 vcc, 0, v0
	s_waitcnt lgkmcnt(0)
	v_mov_b32_dpp v6, v5 row_shr:1 row_mask:0xf bank_mask:0xf
	v_cndmask_b32_e32 v6, 0, v6, vcc
	v_add_u32_e32 v5, v6, v5
	v_cmp_lt_u32_e32 vcc, 1, v0
	s_nop 0
	v_mov_b32_dpp v6, v5 row_shr:2 row_mask:0xf bank_mask:0xf
	v_cndmask_b32_e32 v6, 0, v6, vcc
	v_add_u32_e32 v5, v5, v6
	ds_write_b32 v37, v5
.LBB396_394:                            ;   in Loop: Header=BB396_12 Depth=1
	s_or_b64 exec, exec, s[28:29]
	v_mov_b32_e32 v5, 0
	s_waitcnt lgkmcnt(0)
	s_barrier
	s_and_saveexec_b64 s[28:29], s[10:11]
	s_cbranch_execz .LBB396_396
; %bb.395:                              ;   in Loop: Header=BB396_12 Depth=1
	ds_read_b32 v5, v38
.LBB396_396:                            ;   in Loop: Header=BB396_12 Depth=1
	s_or_b64 exec, exec, s[28:29]
	v_add_u32_e32 v6, -1, v64
	v_and_b32_e32 v7, 64, v64
	v_cmp_lt_i32_e32 vcc, v6, v7
	v_cndmask_b32_e32 v6, v6, v64, vcc
	s_waitcnt lgkmcnt(0)
	v_add_u32_e32 v1, v5, v1
	v_lshlrev_b32_e32 v65, 2, v6
	ds_bpermute_b32 v1, v65, v1
	v_cmp_eq_u32_e64 s[28:29], 0, v64
	s_waitcnt lgkmcnt(0)
	s_barrier
	s_and_saveexec_b64 s[30:31], s[4:5]
	s_cbranch_execz .LBB396_398
; %bb.397:                              ;   in Loop: Header=BB396_12 Depth=1
	v_cndmask_b32_e64 v1, v1, v5, s[28:29]
	v_add_u32_e32 v1, s51, v1
	ds_write_b32 v3, v1
.LBB396_398:                            ;   in Loop: Header=BB396_12 Depth=1
	s_or_b64 exec, exec, s[30:31]
	s_load_dwordx2 s[30:31], s[74:75], 0x0
	v_and_b32_e32 v21, 63, v64
	v_add_co_u32_e32 v74, vcc, v61, v21
	v_lshlrev_b32_e32 v22, 3, v21
	s_waitcnt lgkmcnt(0)
	s_cmp_lt_u32 s50, s30
	s_cselect_b32 s34, 12, 18
	s_cmp_lt_u32 s33, s31
	s_cselect_b32 s30, 14, 20
	s_add_u32 s30, s74, s30
	s_addc_u32 s31, s75, 0
	s_add_u32 s34, s74, s34
	global_load_ushort v5, v4, s[30:31]
	s_addc_u32 s35, s75, 0
	global_load_ushort v20, v4, s[34:35]
	v_addc_co_u32_e32 v76, vcc, 0, v62, vcc
	v_add_co_u32_e32 v77, vcc, v59, v22
	v_addc_co_u32_e32 v78, vcc, 0, v60, vcc
	v_or_b32_e32 v72, v21, v39
	v_add_co_u32_e32 v86, vcc, 0x1c0, v74
	v_cmp_eq_u32_e64 s[30:31], 0, v0
	v_cmp_lt_u32_e64 s[34:35], 1, v0
	s_mov_b32 s78, s71
	v_or_b32_e32 v79, 64, v72
	v_or_b32_e32 v80, 0x80, v72
	v_or_b32_e32 v81, 0xc0, v72
	v_or_b32_e32 v82, 0x100, v72
	v_or_b32_e32 v83, 0x140, v72
	v_or_b32_e32 v84, 0x180, v72
	v_or_b32_e32 v85, 0x1c0, v72
	v_addc_co_u32_e32 v87, vcc, 0, v76, vcc
	s_mov_b32 s72, s51
                                        ; implicit-def: $vgpr0_vgpr1
                                        ; implicit-def: $vgpr6_vgpr7
                                        ; implicit-def: $vgpr8_vgpr9
                                        ; implicit-def: $vgpr10_vgpr11
                                        ; implicit-def: $vgpr12_vgpr13
                                        ; implicit-def: $vgpr14_vgpr15
                                        ; implicit-def: $vgpr16_vgpr17
                                        ; implicit-def: $vgpr18_vgpr19
                                        ; implicit-def: $vgpr66
                                        ; implicit-def: $vgpr67
                                        ; implicit-def: $vgpr68
                                        ; implicit-def: $vgpr69
                                        ; implicit-def: $vgpr70
                                        ; implicit-def: $vgpr71
                                        ; implicit-def: $vgpr73
                                        ; implicit-def: $vgpr75
	s_waitcnt vmcnt(1)
	v_mad_u32_u24 v5, v40, v5, v41
	s_waitcnt vmcnt(0)
	v_mad_u64_u32 v[20:21], s[36:37], v5, v20, v[2:3]
	v_lshrrev_b32_e32 v88, 6, v20
	s_branch .LBB396_400
.LBB396_399:                            ;   in Loop: Header=BB396_400 Depth=2
	s_or_b64 exec, exec, s[36:37]
	s_addk_i32 s78, 0xf800
	s_cmp_lt_u32 s79, s76
	s_mov_b32 s72, s79
	s_cbranch_scc0 .LBB396_512
.LBB396_400:                            ;   Parent Loop BB396_12 Depth=1
                                        ; =>  This Inner Loop Header: Depth=2
	s_add_i32 s79, s72, 0x800
	s_cmp_gt_u32 s79, s76
	s_cbranch_scc1 .LBB396_403
; %bb.401:                              ;   in Loop: Header=BB396_400 Depth=2
	v_add_co_u32_e32 v20, vcc, s72, v74
	v_addc_co_u32_e32 v21, vcc, 0, v76, vcc
	global_load_ubyte v23, v[20:21], off offset:384
	global_load_ubyte v91, v[20:21], off offset:320
	;; [unrolled: 1-line block ×6, first 2 shown]
	global_load_ubyte v5, v[20:21], off
	s_mov_b64 s[36:37], -1
	s_movk_i32 s40, 0x800
	s_cbranch_execz .LBB396_404
; %bb.402:                              ;   in Loop: Header=BB396_400 Depth=2
                                        ; implicit-def: $vgpr22
	v_mov_b32_e32 v89, s78
	s_and_saveexec_b64 s[38:39], s[36:37]
	s_cbranch_execnz .LBB396_413
	s_branch .LBB396_414
.LBB396_403:                            ;   in Loop: Header=BB396_400 Depth=2
	s_mov_b64 s[36:37], 0
                                        ; implicit-def: $sgpr40
                                        ; implicit-def: $vgpr5
                                        ; implicit-def: $vgpr94
                                        ; implicit-def: $vgpr99
                                        ; implicit-def: $vgpr101
                                        ; implicit-def: $vgpr96
                                        ; implicit-def: $vgpr91
                                        ; implicit-def: $vgpr23
.LBB396_404:                            ;   in Loop: Header=BB396_400 Depth=2
	v_add_co_u32_e32 v20, vcc, s72, v74
	v_addc_co_u32_e32 v21, vcc, 0, v76, vcc
	v_cmp_gt_u32_e32 vcc, s78, v72
	s_waitcnt vmcnt(0)
	v_mov_b32_e32 v5, 0x7f
	v_mov_b32_e32 v22, 0x7f
	;; [unrolled: 1-line block ×8, first 2 shown]
	s_and_saveexec_b64 s[36:37], vcc
	s_cbranch_execz .LBB396_506
; %bb.405:                              ;   in Loop: Header=BB396_400 Depth=2
	global_load_ubyte v5, v[20:21], off
	v_mov_b32_e32 v94, 0x7f
	v_mov_b32_e32 v99, 0x7f
	;; [unrolled: 1-line block ×7, first 2 shown]
	s_or_b64 exec, exec, s[36:37]
	v_cmp_gt_u32_e32 vcc, s78, v79
	s_and_saveexec_b64 s[36:37], vcc
	s_cbranch_execnz .LBB396_507
.LBB396_406:                            ;   in Loop: Header=BB396_400 Depth=2
	s_or_b64 exec, exec, s[36:37]
	v_cmp_gt_u32_e32 vcc, s78, v80
	s_and_saveexec_b64 s[36:37], vcc
	s_cbranch_execz .LBB396_508
.LBB396_407:                            ;   in Loop: Header=BB396_400 Depth=2
	global_load_ubyte v99, v[20:21], off offset:128
	s_or_b64 exec, exec, s[36:37]
	v_cmp_gt_u32_e32 vcc, s78, v81
	s_and_saveexec_b64 s[36:37], vcc
	s_cbranch_execnz .LBB396_509
.LBB396_408:                            ;   in Loop: Header=BB396_400 Depth=2
	s_or_b64 exec, exec, s[36:37]
	v_cmp_gt_u32_e32 vcc, s78, v82
	s_and_saveexec_b64 s[36:37], vcc
	s_cbranch_execz .LBB396_510
.LBB396_409:                            ;   in Loop: Header=BB396_400 Depth=2
	global_load_ubyte v96, v[20:21], off offset:256
	s_or_b64 exec, exec, s[36:37]
	v_cmp_gt_u32_e32 vcc, s78, v83
	s_and_saveexec_b64 s[36:37], vcc
	s_cbranch_execnz .LBB396_511
.LBB396_410:                            ;   in Loop: Header=BB396_400 Depth=2
	s_or_b64 exec, exec, s[36:37]
	v_cmp_gt_u32_e32 vcc, s78, v84
	s_and_saveexec_b64 s[36:37], vcc
	s_cbranch_execz .LBB396_412
.LBB396_411:                            ;   in Loop: Header=BB396_400 Depth=2
	global_load_ubyte v23, v[20:21], off offset:384
.LBB396_412:                            ;   in Loop: Header=BB396_400 Depth=2
	s_or_b64 exec, exec, s[36:37]
	s_sub_i32 s40, s76, s72
	v_cmp_gt_u32_e64 s[36:37], s78, v85
	v_mov_b32_e32 v89, s78
	s_and_saveexec_b64 s[38:39], s[36:37]
	s_cbranch_execz .LBB396_414
.LBB396_413:                            ;   in Loop: Header=BB396_400 Depth=2
	v_mov_b32_e32 v21, s73
	v_add_co_u32_e32 v20, vcc, s72, v86
	v_addc_co_u32_e32 v21, vcc, v87, v21, vcc
	global_load_ubyte v22, v[20:21], off
	v_mov_b32_e32 v89, s40
.LBB396_414:                            ;   in Loop: Header=BB396_400 Depth=2
	s_or_b64 exec, exec, s[38:39]
	s_waitcnt vmcnt(0)
	v_xor_b32_e32 v90, 0xffffff80, v5
	v_add_u32_e32 v5, 0x410, v42
	ds_write2_b32 v5, v4, v4 offset1:1
	ds_write2_b32 v44, v4, v4 offset0:2 offset1:3
	ds_write_b32 v44, v4 offset:16
	v_lshrrev_b32_sdwa v5, s69, v90 dst_sel:DWORD dst_unused:UNUSED_PAD src0_sel:DWORD src1_sel:BYTE_0
	v_and_b32_e32 v20, s77, v5
	v_mad_u32_u24 v5, v20, 5, v88
	v_lshl_add_u32 v92, v5, 2, v43
	v_and_b32_e32 v5, 1, v20
	v_add_co_u32_e32 v21, vcc, -1, v5
	v_addc_co_u32_e64 v93, s[36:37], 0, -1, vcc
	v_cmp_ne_u32_e32 vcc, 0, v5
	v_xor_b32_e32 v5, vcc_hi, v93
	v_and_b32_e32 v93, exec_hi, v5
	v_lshlrev_b32_e32 v5, 30, v20
	v_xor_b32_e32 v21, vcc_lo, v21
	v_cmp_gt_i64_e32 vcc, 0, v[4:5]
	v_not_b32_e32 v5, v5
	v_ashrrev_i32_e32 v5, 31, v5
	v_and_b32_e32 v21, exec_lo, v21
	v_xor_b32_e32 v95, vcc_hi, v5
	v_xor_b32_e32 v5, vcc_lo, v5
	v_and_b32_e32 v21, v21, v5
	v_lshlrev_b32_e32 v5, 29, v20
	v_cmp_gt_i64_e32 vcc, 0, v[4:5]
	v_not_b32_e32 v5, v5
	v_ashrrev_i32_e32 v5, 31, v5
	v_and_b32_e32 v93, v93, v95
	v_xor_b32_e32 v95, vcc_hi, v5
	v_xor_b32_e32 v5, vcc_lo, v5
	v_and_b32_e32 v21, v21, v5
	v_lshlrev_b32_e32 v5, 28, v20
	v_cmp_gt_i64_e32 vcc, 0, v[4:5]
	v_not_b32_e32 v5, v5
	v_ashrrev_i32_e32 v5, 31, v5
	v_and_b32_e32 v93, v93, v95
	;; [unrolled: 8-line block ×5, first 2 shown]
	v_xor_b32_e32 v95, vcc_hi, v5
	v_xor_b32_e32 v5, vcc_lo, v5
	v_and_b32_e32 v93, v93, v95
	v_and_b32_e32 v95, v21, v5
	v_lshlrev_b32_e32 v5, 24, v20
	v_cmp_gt_i64_e32 vcc, 0, v[4:5]
	v_not_b32_e32 v5, v5
	v_ashrrev_i32_e32 v5, 31, v5
	v_xor_b32_e32 v20, vcc_hi, v5
	v_xor_b32_e32 v5, vcc_lo, v5
	v_and_b32_e32 v21, v93, v20
	v_and_b32_e32 v20, v95, v5
	v_mbcnt_lo_u32_b32 v5, v20, 0
	v_mbcnt_hi_u32_b32 v93, v21, v5
	v_cmp_eq_u32_e32 vcc, 0, v93
	v_cmp_ne_u64_e64 s[36:37], 0, v[20:21]
	s_and_b64 s[38:39], s[36:37], vcc
	s_waitcnt lgkmcnt(0)
	s_barrier
	s_waitcnt lgkmcnt(0)
	; wave barrier
	s_and_saveexec_b64 s[36:37], s[38:39]
	s_cbranch_execz .LBB396_416
; %bb.415:                              ;   in Loop: Header=BB396_400 Depth=2
	v_bcnt_u32_b32 v5, v20, 0
	v_bcnt_u32_b32 v5, v21, v5
	ds_write_b32 v92, v5
.LBB396_416:                            ;   in Loop: Header=BB396_400 Depth=2
	s_or_b64 exec, exec, s[36:37]
	v_xor_b32_e32 v94, 0xffffff80, v94
	v_lshrrev_b32_sdwa v5, s69, v94 dst_sel:DWORD dst_unused:UNUSED_PAD src0_sel:DWORD src1_sel:BYTE_0
	v_and_b32_e32 v20, s77, v5
	v_mul_u32_u24_e32 v5, 5, v20
	v_add_lshl_u32 v5, v5, v88, 2
	; wave barrier
	v_add_u32_e32 v97, 0x410, v5
	ds_read_b32 v95, v5 offset:1040
	v_and_b32_e32 v5, 1, v20
	v_add_co_u32_e32 v21, vcc, -1, v5
	v_addc_co_u32_e64 v98, s[36:37], 0, -1, vcc
	v_cmp_ne_u32_e32 vcc, 0, v5
	v_xor_b32_e32 v5, vcc_hi, v98
	v_and_b32_e32 v98, exec_hi, v5
	v_lshlrev_b32_e32 v5, 30, v20
	v_xor_b32_e32 v21, vcc_lo, v21
	v_cmp_gt_i64_e32 vcc, 0, v[4:5]
	v_not_b32_e32 v5, v5
	v_ashrrev_i32_e32 v5, 31, v5
	v_and_b32_e32 v21, exec_lo, v21
	v_xor_b32_e32 v100, vcc_hi, v5
	v_xor_b32_e32 v5, vcc_lo, v5
	v_and_b32_e32 v21, v21, v5
	v_lshlrev_b32_e32 v5, 29, v20
	v_cmp_gt_i64_e32 vcc, 0, v[4:5]
	v_not_b32_e32 v5, v5
	v_ashrrev_i32_e32 v5, 31, v5
	v_and_b32_e32 v98, v98, v100
	v_xor_b32_e32 v100, vcc_hi, v5
	v_xor_b32_e32 v5, vcc_lo, v5
	v_and_b32_e32 v21, v21, v5
	v_lshlrev_b32_e32 v5, 28, v20
	v_cmp_gt_i64_e32 vcc, 0, v[4:5]
	v_not_b32_e32 v5, v5
	v_ashrrev_i32_e32 v5, 31, v5
	v_and_b32_e32 v98, v98, v100
	;; [unrolled: 8-line block ×5, first 2 shown]
	v_xor_b32_e32 v100, vcc_hi, v5
	v_xor_b32_e32 v5, vcc_lo, v5
	v_and_b32_e32 v98, v98, v100
	v_and_b32_e32 v100, v21, v5
	v_lshlrev_b32_e32 v5, 24, v20
	v_cmp_gt_i64_e32 vcc, 0, v[4:5]
	v_not_b32_e32 v5, v5
	v_ashrrev_i32_e32 v5, 31, v5
	v_xor_b32_e32 v20, vcc_hi, v5
	v_xor_b32_e32 v5, vcc_lo, v5
	v_and_b32_e32 v21, v98, v20
	v_and_b32_e32 v20, v100, v5
	v_mbcnt_lo_u32_b32 v5, v20, 0
	v_mbcnt_hi_u32_b32 v98, v21, v5
	v_cmp_eq_u32_e32 vcc, 0, v98
	v_cmp_ne_u64_e64 s[36:37], 0, v[20:21]
	s_and_b64 s[38:39], s[36:37], vcc
	; wave barrier
	s_and_saveexec_b64 s[36:37], s[38:39]
	s_cbranch_execz .LBB396_418
; %bb.417:                              ;   in Loop: Header=BB396_400 Depth=2
	v_bcnt_u32_b32 v5, v20, 0
	v_bcnt_u32_b32 v5, v21, v5
	s_waitcnt lgkmcnt(0)
	v_add_u32_e32 v5, v95, v5
	ds_write_b32 v97, v5
.LBB396_418:                            ;   in Loop: Header=BB396_400 Depth=2
	s_or_b64 exec, exec, s[36:37]
	v_xor_b32_e32 v99, 0xffffff80, v99
	v_lshrrev_b32_sdwa v5, s69, v99 dst_sel:DWORD dst_unused:UNUSED_PAD src0_sel:DWORD src1_sel:BYTE_0
	v_and_b32_e32 v20, s77, v5
	v_mul_u32_u24_e32 v5, 5, v20
	v_add_lshl_u32 v5, v5, v88, 2
	; wave barrier
	v_add_u32_e32 v102, 0x410, v5
	ds_read_b32 v100, v5 offset:1040
	v_and_b32_e32 v5, 1, v20
	v_add_co_u32_e32 v21, vcc, -1, v5
	v_addc_co_u32_e64 v103, s[36:37], 0, -1, vcc
	v_cmp_ne_u32_e32 vcc, 0, v5
	v_xor_b32_e32 v5, vcc_hi, v103
	v_and_b32_e32 v103, exec_hi, v5
	v_lshlrev_b32_e32 v5, 30, v20
	v_xor_b32_e32 v21, vcc_lo, v21
	v_cmp_gt_i64_e32 vcc, 0, v[4:5]
	v_not_b32_e32 v5, v5
	v_ashrrev_i32_e32 v5, 31, v5
	v_and_b32_e32 v21, exec_lo, v21
	v_xor_b32_e32 v104, vcc_hi, v5
	v_xor_b32_e32 v5, vcc_lo, v5
	v_and_b32_e32 v21, v21, v5
	v_lshlrev_b32_e32 v5, 29, v20
	v_cmp_gt_i64_e32 vcc, 0, v[4:5]
	v_not_b32_e32 v5, v5
	v_ashrrev_i32_e32 v5, 31, v5
	v_and_b32_e32 v103, v103, v104
	v_xor_b32_e32 v104, vcc_hi, v5
	v_xor_b32_e32 v5, vcc_lo, v5
	v_and_b32_e32 v21, v21, v5
	v_lshlrev_b32_e32 v5, 28, v20
	v_cmp_gt_i64_e32 vcc, 0, v[4:5]
	v_not_b32_e32 v5, v5
	v_ashrrev_i32_e32 v5, 31, v5
	v_and_b32_e32 v103, v103, v104
	;; [unrolled: 8-line block ×5, first 2 shown]
	v_xor_b32_e32 v104, vcc_hi, v5
	v_xor_b32_e32 v5, vcc_lo, v5
	v_and_b32_e32 v103, v103, v104
	v_and_b32_e32 v104, v21, v5
	v_lshlrev_b32_e32 v5, 24, v20
	v_cmp_gt_i64_e32 vcc, 0, v[4:5]
	v_not_b32_e32 v5, v5
	v_ashrrev_i32_e32 v5, 31, v5
	v_xor_b32_e32 v20, vcc_hi, v5
	v_xor_b32_e32 v5, vcc_lo, v5
	v_and_b32_e32 v21, v103, v20
	v_and_b32_e32 v20, v104, v5
	v_mbcnt_lo_u32_b32 v5, v20, 0
	v_mbcnt_hi_u32_b32 v103, v21, v5
	v_cmp_eq_u32_e32 vcc, 0, v103
	v_cmp_ne_u64_e64 s[36:37], 0, v[20:21]
	s_and_b64 s[38:39], s[36:37], vcc
	; wave barrier
	s_and_saveexec_b64 s[36:37], s[38:39]
	s_cbranch_execz .LBB396_420
; %bb.419:                              ;   in Loop: Header=BB396_400 Depth=2
	v_bcnt_u32_b32 v5, v20, 0
	v_bcnt_u32_b32 v5, v21, v5
	s_waitcnt lgkmcnt(0)
	v_add_u32_e32 v5, v100, v5
	ds_write_b32 v102, v5
.LBB396_420:                            ;   in Loop: Header=BB396_400 Depth=2
	s_or_b64 exec, exec, s[36:37]
	v_xor_b32_e32 v101, 0xffffff80, v101
	v_lshrrev_b32_sdwa v5, s69, v101 dst_sel:DWORD dst_unused:UNUSED_PAD src0_sel:DWORD src1_sel:BYTE_0
	v_and_b32_e32 v20, s77, v5
	v_mul_u32_u24_e32 v5, 5, v20
	v_add_lshl_u32 v5, v5, v88, 2
	; wave barrier
	v_add_u32_e32 v105, 0x410, v5
	ds_read_b32 v104, v5 offset:1040
	v_and_b32_e32 v5, 1, v20
	v_add_co_u32_e32 v21, vcc, -1, v5
	v_addc_co_u32_e64 v106, s[36:37], 0, -1, vcc
	v_cmp_ne_u32_e32 vcc, 0, v5
	v_xor_b32_e32 v5, vcc_hi, v106
	v_and_b32_e32 v106, exec_hi, v5
	v_lshlrev_b32_e32 v5, 30, v20
	v_xor_b32_e32 v21, vcc_lo, v21
	v_cmp_gt_i64_e32 vcc, 0, v[4:5]
	v_not_b32_e32 v5, v5
	v_ashrrev_i32_e32 v5, 31, v5
	v_and_b32_e32 v21, exec_lo, v21
	v_xor_b32_e32 v107, vcc_hi, v5
	v_xor_b32_e32 v5, vcc_lo, v5
	v_and_b32_e32 v21, v21, v5
	v_lshlrev_b32_e32 v5, 29, v20
	v_cmp_gt_i64_e32 vcc, 0, v[4:5]
	v_not_b32_e32 v5, v5
	v_ashrrev_i32_e32 v5, 31, v5
	v_and_b32_e32 v106, v106, v107
	v_xor_b32_e32 v107, vcc_hi, v5
	v_xor_b32_e32 v5, vcc_lo, v5
	v_and_b32_e32 v21, v21, v5
	v_lshlrev_b32_e32 v5, 28, v20
	v_cmp_gt_i64_e32 vcc, 0, v[4:5]
	v_not_b32_e32 v5, v5
	v_ashrrev_i32_e32 v5, 31, v5
	v_and_b32_e32 v106, v106, v107
	;; [unrolled: 8-line block ×5, first 2 shown]
	v_xor_b32_e32 v107, vcc_hi, v5
	v_xor_b32_e32 v5, vcc_lo, v5
	v_and_b32_e32 v106, v106, v107
	v_and_b32_e32 v107, v21, v5
	v_lshlrev_b32_e32 v5, 24, v20
	v_cmp_gt_i64_e32 vcc, 0, v[4:5]
	v_not_b32_e32 v5, v5
	v_ashrrev_i32_e32 v5, 31, v5
	v_xor_b32_e32 v20, vcc_hi, v5
	v_xor_b32_e32 v5, vcc_lo, v5
	v_and_b32_e32 v21, v106, v20
	v_and_b32_e32 v20, v107, v5
	v_mbcnt_lo_u32_b32 v5, v20, 0
	v_mbcnt_hi_u32_b32 v106, v21, v5
	v_cmp_eq_u32_e32 vcc, 0, v106
	v_cmp_ne_u64_e64 s[36:37], 0, v[20:21]
	s_and_b64 s[38:39], s[36:37], vcc
	; wave barrier
	s_and_saveexec_b64 s[36:37], s[38:39]
	s_cbranch_execz .LBB396_422
; %bb.421:                              ;   in Loop: Header=BB396_400 Depth=2
	v_bcnt_u32_b32 v5, v20, 0
	v_bcnt_u32_b32 v5, v21, v5
	s_waitcnt lgkmcnt(0)
	v_add_u32_e32 v5, v104, v5
	ds_write_b32 v105, v5
.LBB396_422:                            ;   in Loop: Header=BB396_400 Depth=2
	s_or_b64 exec, exec, s[36:37]
	v_xor_b32_e32 v96, 0xffffff80, v96
	v_lshrrev_b32_sdwa v5, s69, v96 dst_sel:DWORD dst_unused:UNUSED_PAD src0_sel:DWORD src1_sel:BYTE_0
	v_and_b32_e32 v20, s77, v5
	v_mul_u32_u24_e32 v5, 5, v20
	v_add_lshl_u32 v5, v5, v88, 2
	; wave barrier
	v_add_u32_e32 v108, 0x410, v5
	ds_read_b32 v107, v5 offset:1040
	v_and_b32_e32 v5, 1, v20
	v_add_co_u32_e32 v21, vcc, -1, v5
	v_addc_co_u32_e64 v109, s[36:37], 0, -1, vcc
	v_cmp_ne_u32_e32 vcc, 0, v5
	v_xor_b32_e32 v5, vcc_hi, v109
	v_and_b32_e32 v109, exec_hi, v5
	v_lshlrev_b32_e32 v5, 30, v20
	v_xor_b32_e32 v21, vcc_lo, v21
	v_cmp_gt_i64_e32 vcc, 0, v[4:5]
	v_not_b32_e32 v5, v5
	v_ashrrev_i32_e32 v5, 31, v5
	v_and_b32_e32 v21, exec_lo, v21
	v_xor_b32_e32 v110, vcc_hi, v5
	v_xor_b32_e32 v5, vcc_lo, v5
	v_and_b32_e32 v21, v21, v5
	v_lshlrev_b32_e32 v5, 29, v20
	v_cmp_gt_i64_e32 vcc, 0, v[4:5]
	v_not_b32_e32 v5, v5
	v_ashrrev_i32_e32 v5, 31, v5
	v_and_b32_e32 v109, v109, v110
	v_xor_b32_e32 v110, vcc_hi, v5
	v_xor_b32_e32 v5, vcc_lo, v5
	v_and_b32_e32 v21, v21, v5
	v_lshlrev_b32_e32 v5, 28, v20
	v_cmp_gt_i64_e32 vcc, 0, v[4:5]
	v_not_b32_e32 v5, v5
	v_ashrrev_i32_e32 v5, 31, v5
	v_and_b32_e32 v109, v109, v110
	v_xor_b32_e32 v110, vcc_hi, v5
	v_xor_b32_e32 v5, vcc_lo, v5
	v_and_b32_e32 v21, v21, v5
	v_lshlrev_b32_e32 v5, 27, v20
	v_cmp_gt_i64_e32 vcc, 0, v[4:5]
	v_not_b32_e32 v5, v5
	v_ashrrev_i32_e32 v5, 31, v5
	v_and_b32_e32 v109, v109, v110
	v_xor_b32_e32 v110, vcc_hi, v5
	v_xor_b32_e32 v5, vcc_lo, v5
	v_and_b32_e32 v21, v21, v5
	v_lshlrev_b32_e32 v5, 26, v20
	v_cmp_gt_i64_e32 vcc, 0, v[4:5]
	v_not_b32_e32 v5, v5
	v_ashrrev_i32_e32 v5, 31, v5
	v_and_b32_e32 v109, v109, v110
	v_xor_b32_e32 v110, vcc_hi, v5
	v_xor_b32_e32 v5, vcc_lo, v5
	v_and_b32_e32 v21, v21, v5
	v_lshlrev_b32_e32 v5, 25, v20
	v_cmp_gt_i64_e32 vcc, 0, v[4:5]
	v_not_b32_e32 v5, v5
	v_ashrrev_i32_e32 v5, 31, v5
	v_and_b32_e32 v109, v109, v110
	v_xor_b32_e32 v110, vcc_hi, v5
	v_xor_b32_e32 v5, vcc_lo, v5
	v_and_b32_e32 v109, v109, v110
	v_and_b32_e32 v110, v21, v5
	v_lshlrev_b32_e32 v5, 24, v20
	v_cmp_gt_i64_e32 vcc, 0, v[4:5]
	v_not_b32_e32 v5, v5
	v_ashrrev_i32_e32 v5, 31, v5
	v_xor_b32_e32 v20, vcc_hi, v5
	v_xor_b32_e32 v5, vcc_lo, v5
	v_and_b32_e32 v21, v109, v20
	v_and_b32_e32 v20, v110, v5
	v_mbcnt_lo_u32_b32 v5, v20, 0
	v_mbcnt_hi_u32_b32 v109, v21, v5
	v_cmp_eq_u32_e32 vcc, 0, v109
	v_cmp_ne_u64_e64 s[36:37], 0, v[20:21]
	s_and_b64 s[38:39], s[36:37], vcc
	; wave barrier
	s_and_saveexec_b64 s[36:37], s[38:39]
	s_cbranch_execz .LBB396_424
; %bb.423:                              ;   in Loop: Header=BB396_400 Depth=2
	v_bcnt_u32_b32 v5, v20, 0
	v_bcnt_u32_b32 v5, v21, v5
	s_waitcnt lgkmcnt(0)
	v_add_u32_e32 v5, v107, v5
	ds_write_b32 v108, v5
.LBB396_424:                            ;   in Loop: Header=BB396_400 Depth=2
	s_or_b64 exec, exec, s[36:37]
	v_xor_b32_e32 v91, 0xffffff80, v91
	v_lshrrev_b32_sdwa v5, s69, v91 dst_sel:DWORD dst_unused:UNUSED_PAD src0_sel:DWORD src1_sel:BYTE_0
	v_and_b32_e32 v20, s77, v5
	v_mul_u32_u24_e32 v5, 5, v20
	v_add_lshl_u32 v5, v5, v88, 2
	; wave barrier
	v_add_u32_e32 v111, 0x410, v5
	ds_read_b32 v110, v5 offset:1040
	v_and_b32_e32 v5, 1, v20
	v_add_co_u32_e32 v21, vcc, -1, v5
	v_addc_co_u32_e64 v112, s[36:37], 0, -1, vcc
	v_cmp_ne_u32_e32 vcc, 0, v5
	v_xor_b32_e32 v5, vcc_hi, v112
	v_and_b32_e32 v112, exec_hi, v5
	v_lshlrev_b32_e32 v5, 30, v20
	v_xor_b32_e32 v21, vcc_lo, v21
	v_cmp_gt_i64_e32 vcc, 0, v[4:5]
	v_not_b32_e32 v5, v5
	v_ashrrev_i32_e32 v5, 31, v5
	v_and_b32_e32 v21, exec_lo, v21
	v_xor_b32_e32 v113, vcc_hi, v5
	v_xor_b32_e32 v5, vcc_lo, v5
	v_and_b32_e32 v21, v21, v5
	v_lshlrev_b32_e32 v5, 29, v20
	v_cmp_gt_i64_e32 vcc, 0, v[4:5]
	v_not_b32_e32 v5, v5
	v_ashrrev_i32_e32 v5, 31, v5
	v_and_b32_e32 v112, v112, v113
	v_xor_b32_e32 v113, vcc_hi, v5
	v_xor_b32_e32 v5, vcc_lo, v5
	v_and_b32_e32 v21, v21, v5
	v_lshlrev_b32_e32 v5, 28, v20
	v_cmp_gt_i64_e32 vcc, 0, v[4:5]
	v_not_b32_e32 v5, v5
	v_ashrrev_i32_e32 v5, 31, v5
	v_and_b32_e32 v112, v112, v113
	;; [unrolled: 8-line block ×5, first 2 shown]
	v_xor_b32_e32 v113, vcc_hi, v5
	v_xor_b32_e32 v5, vcc_lo, v5
	v_and_b32_e32 v112, v112, v113
	v_and_b32_e32 v113, v21, v5
	v_lshlrev_b32_e32 v5, 24, v20
	v_cmp_gt_i64_e32 vcc, 0, v[4:5]
	v_not_b32_e32 v5, v5
	v_ashrrev_i32_e32 v5, 31, v5
	v_xor_b32_e32 v20, vcc_hi, v5
	v_xor_b32_e32 v5, vcc_lo, v5
	v_and_b32_e32 v21, v112, v20
	v_and_b32_e32 v20, v113, v5
	v_mbcnt_lo_u32_b32 v5, v20, 0
	v_mbcnt_hi_u32_b32 v112, v21, v5
	v_cmp_eq_u32_e32 vcc, 0, v112
	v_cmp_ne_u64_e64 s[36:37], 0, v[20:21]
	s_and_b64 s[38:39], s[36:37], vcc
	; wave barrier
	s_and_saveexec_b64 s[36:37], s[38:39]
	s_cbranch_execz .LBB396_426
; %bb.425:                              ;   in Loop: Header=BB396_400 Depth=2
	v_bcnt_u32_b32 v5, v20, 0
	v_bcnt_u32_b32 v5, v21, v5
	s_waitcnt lgkmcnt(0)
	v_add_u32_e32 v5, v110, v5
	ds_write_b32 v111, v5
.LBB396_426:                            ;   in Loop: Header=BB396_400 Depth=2
	s_or_b64 exec, exec, s[36:37]
	v_xor_b32_e32 v113, 0xffffff80, v23
	v_lshrrev_b32_sdwa v5, s69, v113 dst_sel:DWORD dst_unused:UNUSED_PAD src0_sel:DWORD src1_sel:BYTE_0
	v_and_b32_e32 v20, s77, v5
	v_mul_u32_u24_e32 v5, 5, v20
	v_add_lshl_u32 v5, v5, v88, 2
	; wave barrier
	v_add_u32_e32 v115, 0x410, v5
	ds_read_b32 v114, v5 offset:1040
	v_and_b32_e32 v5, 1, v20
	v_add_co_u32_e32 v21, vcc, -1, v5
	v_addc_co_u32_e64 v23, s[36:37], 0, -1, vcc
	v_cmp_ne_u32_e32 vcc, 0, v5
	v_xor_b32_e32 v5, vcc_hi, v23
	v_and_b32_e32 v23, exec_hi, v5
	v_lshlrev_b32_e32 v5, 30, v20
	v_xor_b32_e32 v21, vcc_lo, v21
	v_cmp_gt_i64_e32 vcc, 0, v[4:5]
	v_not_b32_e32 v5, v5
	v_ashrrev_i32_e32 v5, 31, v5
	v_and_b32_e32 v21, exec_lo, v21
	v_xor_b32_e32 v116, vcc_hi, v5
	v_xor_b32_e32 v5, vcc_lo, v5
	v_and_b32_e32 v21, v21, v5
	v_lshlrev_b32_e32 v5, 29, v20
	v_cmp_gt_i64_e32 vcc, 0, v[4:5]
	v_not_b32_e32 v5, v5
	v_ashrrev_i32_e32 v5, 31, v5
	v_and_b32_e32 v23, v23, v116
	v_xor_b32_e32 v116, vcc_hi, v5
	v_xor_b32_e32 v5, vcc_lo, v5
	v_and_b32_e32 v21, v21, v5
	v_lshlrev_b32_e32 v5, 28, v20
	v_cmp_gt_i64_e32 vcc, 0, v[4:5]
	v_not_b32_e32 v5, v5
	v_ashrrev_i32_e32 v5, 31, v5
	v_and_b32_e32 v23, v23, v116
	;; [unrolled: 8-line block ×5, first 2 shown]
	v_xor_b32_e32 v116, vcc_hi, v5
	v_xor_b32_e32 v5, vcc_lo, v5
	v_and_b32_e32 v23, v23, v116
	v_and_b32_e32 v116, v21, v5
	v_lshlrev_b32_e32 v5, 24, v20
	v_cmp_gt_i64_e32 vcc, 0, v[4:5]
	v_not_b32_e32 v5, v5
	v_ashrrev_i32_e32 v5, 31, v5
	v_xor_b32_e32 v20, vcc_hi, v5
	v_xor_b32_e32 v5, vcc_lo, v5
	v_and_b32_e32 v21, v23, v20
	v_and_b32_e32 v20, v116, v5
	v_mbcnt_lo_u32_b32 v5, v20, 0
	v_mbcnt_hi_u32_b32 v116, v21, v5
	v_cmp_eq_u32_e32 vcc, 0, v116
	v_cmp_ne_u64_e64 s[36:37], 0, v[20:21]
	s_and_b64 s[38:39], s[36:37], vcc
	; wave barrier
	s_and_saveexec_b64 s[36:37], s[38:39]
	s_cbranch_execz .LBB396_428
; %bb.427:                              ;   in Loop: Header=BB396_400 Depth=2
	v_bcnt_u32_b32 v5, v20, 0
	v_bcnt_u32_b32 v5, v21, v5
	s_waitcnt lgkmcnt(0)
	v_add_u32_e32 v5, v114, v5
	ds_write_b32 v115, v5
.LBB396_428:                            ;   in Loop: Header=BB396_400 Depth=2
	s_or_b64 exec, exec, s[36:37]
	v_xor_b32_e32 v117, 0xffffff80, v22
	v_lshrrev_b32_sdwa v5, s69, v117 dst_sel:DWORD dst_unused:UNUSED_PAD src0_sel:DWORD src1_sel:BYTE_0
	v_and_b32_e32 v20, s77, v5
	v_mul_u32_u24_e32 v5, 5, v20
	v_add_lshl_u32 v5, v5, v88, 2
	; wave barrier
	v_add_u32_e32 v119, 0x410, v5
	ds_read_b32 v118, v5 offset:1040
	v_and_b32_e32 v5, 1, v20
	v_add_co_u32_e32 v21, vcc, -1, v5
	v_addc_co_u32_e64 v22, s[36:37], 0, -1, vcc
	v_cmp_ne_u32_e32 vcc, 0, v5
	v_xor_b32_e32 v5, vcc_hi, v22
	v_and_b32_e32 v22, exec_hi, v5
	v_lshlrev_b32_e32 v5, 30, v20
	v_xor_b32_e32 v21, vcc_lo, v21
	v_cmp_gt_i64_e32 vcc, 0, v[4:5]
	v_not_b32_e32 v5, v5
	v_ashrrev_i32_e32 v5, 31, v5
	v_and_b32_e32 v21, exec_lo, v21
	v_xor_b32_e32 v23, vcc_hi, v5
	v_xor_b32_e32 v5, vcc_lo, v5
	v_and_b32_e32 v21, v21, v5
	v_lshlrev_b32_e32 v5, 29, v20
	v_cmp_gt_i64_e32 vcc, 0, v[4:5]
	v_not_b32_e32 v5, v5
	v_ashrrev_i32_e32 v5, 31, v5
	v_and_b32_e32 v22, v22, v23
	v_xor_b32_e32 v23, vcc_hi, v5
	v_xor_b32_e32 v5, vcc_lo, v5
	v_and_b32_e32 v21, v21, v5
	v_lshlrev_b32_e32 v5, 28, v20
	v_cmp_gt_i64_e32 vcc, 0, v[4:5]
	v_not_b32_e32 v5, v5
	v_ashrrev_i32_e32 v5, 31, v5
	v_and_b32_e32 v22, v22, v23
	;; [unrolled: 8-line block ×5, first 2 shown]
	v_xor_b32_e32 v23, vcc_hi, v5
	v_xor_b32_e32 v5, vcc_lo, v5
	v_and_b32_e32 v22, v22, v23
	v_and_b32_e32 v23, v21, v5
	v_lshlrev_b32_e32 v5, 24, v20
	v_cmp_gt_i64_e32 vcc, 0, v[4:5]
	v_not_b32_e32 v5, v5
	v_ashrrev_i32_e32 v5, 31, v5
	v_xor_b32_e32 v20, vcc_hi, v5
	v_xor_b32_e32 v5, vcc_lo, v5
	v_and_b32_e32 v21, v22, v20
	v_and_b32_e32 v20, v23, v5
	v_mbcnt_lo_u32_b32 v5, v20, 0
	v_mbcnt_hi_u32_b32 v120, v21, v5
	v_cmp_eq_u32_e32 vcc, 0, v120
	v_cmp_ne_u64_e64 s[36:37], 0, v[20:21]
	s_and_b64 s[38:39], s[36:37], vcc
	; wave barrier
	s_and_saveexec_b64 s[36:37], s[38:39]
	s_cbranch_execz .LBB396_430
; %bb.429:                              ;   in Loop: Header=BB396_400 Depth=2
	v_bcnt_u32_b32 v5, v20, 0
	v_bcnt_u32_b32 v5, v21, v5
	s_waitcnt lgkmcnt(0)
	v_add_u32_e32 v5, v118, v5
	ds_write_b32 v119, v5
.LBB396_430:                            ;   in Loop: Header=BB396_400 Depth=2
	s_or_b64 exec, exec, s[36:37]
	; wave barrier
	s_waitcnt lgkmcnt(0)
	s_barrier
	ds_read_b32 v5, v42 offset:1040
	ds_read2_b32 v[22:23], v44 offset0:1 offset1:2
	ds_read2_b32 v[20:21], v44 offset0:3 offset1:4
	s_waitcnt lgkmcnt(1)
	v_add3_u32 v121, v22, v5, v23
	s_waitcnt lgkmcnt(0)
	v_add3_u32 v21, v121, v20, v21
	s_nop 1
	v_mov_b32_dpp v121, v21 row_shr:1 row_mask:0xf bank_mask:0xf
	v_cndmask_b32_e64 v121, v121, 0, s[16:17]
	v_add_u32_e32 v21, v121, v21
	s_nop 1
	v_mov_b32_dpp v121, v21 row_shr:2 row_mask:0xf bank_mask:0xf
	v_cndmask_b32_e64 v121, 0, v121, s[18:19]
	v_add_u32_e32 v21, v21, v121
	;; [unrolled: 4-line block ×4, first 2 shown]
	s_nop 1
	v_mov_b32_dpp v121, v21 row_bcast:15 row_mask:0xf bank_mask:0xf
	v_cndmask_b32_e64 v121, v121, 0, s[24:25]
	v_add_u32_e32 v21, v21, v121
	s_nop 1
	v_mov_b32_dpp v121, v21 row_bcast:31 row_mask:0xf bank_mask:0xf
	v_cndmask_b32_e64 v121, 0, v121, s[26:27]
	v_add_u32_e32 v21, v21, v121
	s_and_saveexec_b64 s[36:37], s[6:7]
	s_cbranch_execz .LBB396_432
; %bb.431:                              ;   in Loop: Header=BB396_400 Depth=2
	ds_write_b32 v35, v21 offset:1024
.LBB396_432:                            ;   in Loop: Header=BB396_400 Depth=2
	s_or_b64 exec, exec, s[36:37]
	s_waitcnt lgkmcnt(0)
	s_barrier
	s_and_saveexec_b64 s[36:37], s[8:9]
	s_cbranch_execz .LBB396_434
; %bb.433:                              ;   in Loop: Header=BB396_400 Depth=2
	v_add_u32_e32 v121, v42, v45
	ds_read_b32 v122, v121 offset:1024
	s_waitcnt lgkmcnt(0)
	s_nop 0
	v_mov_b32_dpp v123, v122 row_shr:1 row_mask:0xf bank_mask:0xf
	v_cndmask_b32_e64 v123, v123, 0, s[30:31]
	v_add_u32_e32 v122, v123, v122
	s_nop 1
	v_mov_b32_dpp v123, v122 row_shr:2 row_mask:0xf bank_mask:0xf
	v_cndmask_b32_e64 v123, 0, v123, s[34:35]
	v_add_u32_e32 v122, v122, v123
	ds_write_b32 v121, v122 offset:1024
.LBB396_434:                            ;   in Loop: Header=BB396_400 Depth=2
	s_or_b64 exec, exec, s[36:37]
	v_mov_b32_e32 v121, 0
	s_waitcnt lgkmcnt(0)
	s_barrier
	s_and_saveexec_b64 s[36:37], s[10:11]
	s_cbranch_execz .LBB396_436
; %bb.435:                              ;   in Loop: Header=BB396_400 Depth=2
	ds_read_b32 v121, v35 offset:1020
.LBB396_436:                            ;   in Loop: Header=BB396_400 Depth=2
	s_or_b64 exec, exec, s[36:37]
	s_waitcnt lgkmcnt(0)
	v_add_u32_e32 v21, v121, v21
	ds_bpermute_b32 v21, v65, v21
	s_waitcnt lgkmcnt(0)
	v_cndmask_b32_e64 v21, v21, v121, s[28:29]
	v_cndmask_b32_e64 v21, v21, 0, s[12:13]
	v_add_u32_e32 v5, v21, v5
	ds_write_b32 v42, v21 offset:1040
	v_add_u32_e32 v21, v5, v22
	v_add_u32_e32 v22, v21, v23
	ds_write2_b32 v44, v5, v21 offset0:1 offset1:2
	v_add_u32_e32 v5, v22, v20
	ds_write2_b32 v44, v22, v5 offset0:3 offset1:4
	s_waitcnt lgkmcnt(0)
	s_barrier
	ds_read_b32 v20, v97
	ds_read_b32 v21, v102
	;; [unrolled: 1-line block ×8, first 2 shown]
	ds_read_b32 v97, v42 offset:1040
	v_mov_b32_e32 v5, 0x800
	s_and_saveexec_b64 s[36:37], s[14:15]
	s_cbranch_execz .LBB396_438
; %bb.437:                              ;   in Loop: Header=BB396_400 Depth=2
	ds_read_b32 v5, v42 offset:1060
.LBB396_438:                            ;   in Loop: Header=BB396_400 Depth=2
	s_or_b64 exec, exec, s[36:37]
	s_waitcnt lgkmcnt(0)
	s_barrier
	s_and_saveexec_b64 s[36:37], s[4:5]
	s_cbranch_execz .LBB396_440
; %bb.439:                              ;   in Loop: Header=BB396_400 Depth=2
	ds_read_b32 v102, v3
	s_waitcnt lgkmcnt(0)
	v_sub_u32_e32 v97, v102, v97
	ds_write_b32 v3, v97
.LBB396_440:                            ;   in Loop: Header=BB396_400 Depth=2
	s_or_b64 exec, exec, s[36:37]
	v_add_u32_e32 v102, v92, v93
	v_add3_u32 v98, v98, v95, v20
	v_add3_u32 v97, v103, v100, v21
	;; [unrolled: 1-line block ×7, first 2 shown]
	v_cmp_lt_u32_e64 s[48:49], v2, v89
	ds_write_b8 v102, v90 offset:1024
	ds_write_b8 v98, v94 offset:1024
	;; [unrolled: 1-line block ×8, first 2 shown]
	s_waitcnt lgkmcnt(0)
	s_barrier
	s_and_saveexec_b64 s[36:37], s[48:49]
	s_cbranch_execz .LBB396_448
; %bb.441:                              ;   in Loop: Header=BB396_400 Depth=2
	ds_read_u8 v20, v2 offset:1024
	s_waitcnt lgkmcnt(0)
	v_lshrrev_b32_sdwa v21, s69, v20 dst_sel:DWORD dst_unused:UNUSED_PAD src0_sel:DWORD src1_sel:BYTE_0
	v_and_b32_e32 v21, s77, v21
	v_lshlrev_b32_e32 v21, 2, v21
	ds_read_b32 v21, v21
	v_xor_b32_e32 v20, 0x80, v20
	s_waitcnt lgkmcnt(0)
	v_add_u32_e32 v21, v21, v2
	global_store_byte v21, v20, s[58:59]
	s_or_b64 exec, exec, s[36:37]
	v_cmp_lt_u32_e64 s[46:47], v24, v89
	s_and_saveexec_b64 s[36:37], s[46:47]
	s_cbranch_execnz .LBB396_449
.LBB396_442:                            ;   in Loop: Header=BB396_400 Depth=2
	s_or_b64 exec, exec, s[36:37]
	v_cmp_lt_u32_e64 s[44:45], v25, v89
	s_and_saveexec_b64 s[36:37], s[44:45]
	s_cbranch_execz .LBB396_450
.LBB396_443:                            ;   in Loop: Header=BB396_400 Depth=2
	ds_read_u8 v20, v30 offset:512
	s_waitcnt lgkmcnt(0)
	v_lshrrev_b32_sdwa v21, s69, v20 dst_sel:DWORD dst_unused:UNUSED_PAD src0_sel:DWORD src1_sel:BYTE_0
	v_and_b32_e32 v21, s77, v21
	v_lshlrev_b32_e32 v21, 2, v21
	ds_read_b32 v21, v21
	v_xor_b32_e32 v20, 0x80, v20
	s_waitcnt lgkmcnt(0)
	v_add_u32_e32 v21, v21, v25
	global_store_byte v21, v20, s[58:59]
	s_or_b64 exec, exec, s[36:37]
	v_cmp_lt_u32_e64 s[42:43], v26, v89
	s_and_saveexec_b64 s[36:37], s[42:43]
	s_cbranch_execnz .LBB396_451
.LBB396_444:                            ;   in Loop: Header=BB396_400 Depth=2
	s_or_b64 exec, exec, s[36:37]
	v_cmp_lt_u32_e64 s[40:41], v30, v89
	s_and_saveexec_b64 s[36:37], s[40:41]
	s_cbranch_execz .LBB396_452
.LBB396_445:                            ;   in Loop: Header=BB396_400 Depth=2
	ds_read_u8 v20, v30 offset:1024
	s_waitcnt lgkmcnt(0)
	v_lshrrev_b32_sdwa v21, s69, v20 dst_sel:DWORD dst_unused:UNUSED_PAD src0_sel:DWORD src1_sel:BYTE_0
	v_and_b32_e32 v21, s77, v21
	v_lshlrev_b32_e32 v21, 2, v21
	ds_read_b32 v21, v21
	v_xor_b32_e32 v20, 0x80, v20
	s_waitcnt lgkmcnt(0)
	v_add_u32_e32 v21, v21, v30
	global_store_byte v21, v20, s[58:59]
	s_or_b64 exec, exec, s[36:37]
	v_cmp_lt_u32_e64 s[38:39], v31, v89
	s_and_saveexec_b64 s[36:37], s[38:39]
	s_cbranch_execnz .LBB396_453
.LBB396_446:                            ;   in Loop: Header=BB396_400 Depth=2
	s_or_b64 exec, exec, s[36:37]
	v_cmp_lt_u32_e64 s[36:37], v32, v89
	s_and_saveexec_b64 s[52:53], s[36:37]
	s_cbranch_execz .LBB396_454
.LBB396_447:                            ;   in Loop: Header=BB396_400 Depth=2
	ds_read_u8 v20, v30 offset:1536
	s_waitcnt lgkmcnt(0)
	v_lshrrev_b32_sdwa v21, s69, v20 dst_sel:DWORD dst_unused:UNUSED_PAD src0_sel:DWORD src1_sel:BYTE_0
	v_and_b32_e32 v21, s77, v21
	v_lshlrev_b32_e32 v21, 2, v21
	ds_read_b32 v21, v21
	v_xor_b32_e32 v20, 0x80, v20
	s_waitcnt lgkmcnt(0)
	v_add_u32_e32 v21, v21, v32
	global_store_byte v21, v20, s[58:59]
	s_or_b64 exec, exec, s[52:53]
	v_cmp_lt_u32_e32 vcc, v33, v89
	s_and_saveexec_b64 s[52:53], vcc
	s_cbranch_execnz .LBB396_455
	s_branch .LBB396_456
.LBB396_448:                            ;   in Loop: Header=BB396_400 Depth=2
	s_or_b64 exec, exec, s[36:37]
	v_cmp_lt_u32_e64 s[46:47], v24, v89
	s_and_saveexec_b64 s[36:37], s[46:47]
	s_cbranch_execz .LBB396_442
.LBB396_449:                            ;   in Loop: Header=BB396_400 Depth=2
	ds_read_u8 v20, v30 offset:256
	s_waitcnt lgkmcnt(0)
	v_lshrrev_b32_sdwa v21, s69, v20 dst_sel:DWORD dst_unused:UNUSED_PAD src0_sel:DWORD src1_sel:BYTE_0
	v_and_b32_e32 v21, s77, v21
	v_lshlrev_b32_e32 v21, 2, v21
	ds_read_b32 v21, v21
	v_xor_b32_e32 v20, 0x80, v20
	s_waitcnt lgkmcnt(0)
	v_add_u32_e32 v21, v21, v24
	global_store_byte v21, v20, s[58:59]
	s_or_b64 exec, exec, s[36:37]
	v_cmp_lt_u32_e64 s[44:45], v25, v89
	s_and_saveexec_b64 s[36:37], s[44:45]
	s_cbranch_execnz .LBB396_443
.LBB396_450:                            ;   in Loop: Header=BB396_400 Depth=2
	s_or_b64 exec, exec, s[36:37]
	v_cmp_lt_u32_e64 s[42:43], v26, v89
	s_and_saveexec_b64 s[36:37], s[42:43]
	s_cbranch_execz .LBB396_444
.LBB396_451:                            ;   in Loop: Header=BB396_400 Depth=2
	ds_read_u8 v20, v30 offset:768
	s_waitcnt lgkmcnt(0)
	v_lshrrev_b32_sdwa v21, s69, v20 dst_sel:DWORD dst_unused:UNUSED_PAD src0_sel:DWORD src1_sel:BYTE_0
	v_and_b32_e32 v21, s77, v21
	v_lshlrev_b32_e32 v21, 2, v21
	ds_read_b32 v21, v21
	v_xor_b32_e32 v20, 0x80, v20
	s_waitcnt lgkmcnt(0)
	v_add_u32_e32 v21, v21, v26
	global_store_byte v21, v20, s[58:59]
	s_or_b64 exec, exec, s[36:37]
	v_cmp_lt_u32_e64 s[40:41], v30, v89
	s_and_saveexec_b64 s[36:37], s[40:41]
	s_cbranch_execnz .LBB396_445
.LBB396_452:                            ;   in Loop: Header=BB396_400 Depth=2
	s_or_b64 exec, exec, s[36:37]
	v_cmp_lt_u32_e64 s[38:39], v31, v89
	s_and_saveexec_b64 s[36:37], s[38:39]
	s_cbranch_execz .LBB396_446
.LBB396_453:                            ;   in Loop: Header=BB396_400 Depth=2
	ds_read_u8 v20, v30 offset:1280
	s_waitcnt lgkmcnt(0)
	v_lshrrev_b32_sdwa v21, s69, v20 dst_sel:DWORD dst_unused:UNUSED_PAD src0_sel:DWORD src1_sel:BYTE_0
	v_and_b32_e32 v21, s77, v21
	v_lshlrev_b32_e32 v21, 2, v21
	ds_read_b32 v21, v21
	v_xor_b32_e32 v20, 0x80, v20
	s_waitcnt lgkmcnt(0)
	v_add_u32_e32 v21, v21, v31
	global_store_byte v21, v20, s[58:59]
	s_or_b64 exec, exec, s[36:37]
	v_cmp_lt_u32_e64 s[36:37], v32, v89
	s_and_saveexec_b64 s[52:53], s[36:37]
	s_cbranch_execnz .LBB396_447
.LBB396_454:                            ;   in Loop: Header=BB396_400 Depth=2
	s_or_b64 exec, exec, s[52:53]
	v_cmp_lt_u32_e32 vcc, v33, v89
	s_and_saveexec_b64 s[52:53], vcc
	s_cbranch_execz .LBB396_456
.LBB396_455:                            ;   in Loop: Header=BB396_400 Depth=2
	ds_read_u8 v20, v30 offset:1792
	s_waitcnt lgkmcnt(0)
	v_lshrrev_b32_sdwa v21, s69, v20 dst_sel:DWORD dst_unused:UNUSED_PAD src0_sel:DWORD src1_sel:BYTE_0
	v_and_b32_e32 v21, s77, v21
	v_lshlrev_b32_e32 v21, 2, v21
	ds_read_b32 v21, v21
	v_xor_b32_e32 v20, 0x80, v20
	s_waitcnt lgkmcnt(0)
	v_add_u32_e32 v21, v21, v33
	global_store_byte v21, v20, s[58:59]
.LBB396_456:                            ;   in Loop: Header=BB396_400 Depth=2
	s_or_b64 exec, exec, s[52:53]
	s_lshl_b64 s[52:53], s[72:73], 3
	v_mov_b32_e32 v21, s53
	v_add_co_u32_e64 v20, s[52:53], s52, v77
	v_addc_co_u32_e64 v21, s[52:53], v78, v21, s[52:53]
	v_cmp_lt_u32_e64 s[52:53], v72, v89
	s_and_saveexec_b64 s[62:63], s[52:53]
	s_xor_b64 s[52:53], exec, s[62:63]
	s_cbranch_execz .LBB396_472
; %bb.457:                              ;   in Loop: Header=BB396_400 Depth=2
	global_load_dwordx2 v[18:19], v[20:21], off
	s_or_b64 exec, exec, s[52:53]
	v_cmp_lt_u32_e64 s[52:53], v79, v89
	s_and_saveexec_b64 s[62:63], s[52:53]
	s_cbranch_execnz .LBB396_473
.LBB396_458:                            ;   in Loop: Header=BB396_400 Depth=2
	s_or_b64 exec, exec, s[62:63]
	v_cmp_lt_u32_e64 s[52:53], v80, v89
	s_and_saveexec_b64 s[62:63], s[52:53]
	s_cbranch_execz .LBB396_474
.LBB396_459:                            ;   in Loop: Header=BB396_400 Depth=2
	global_load_dwordx2 v[14:15], v[20:21], off offset:1024
	s_or_b64 exec, exec, s[62:63]
	v_cmp_lt_u32_e64 s[52:53], v81, v89
	s_and_saveexec_b64 s[62:63], s[52:53]
	s_cbranch_execnz .LBB396_475
.LBB396_460:                            ;   in Loop: Header=BB396_400 Depth=2
	s_or_b64 exec, exec, s[62:63]
	v_cmp_lt_u32_e64 s[52:53], v82, v89
	s_and_saveexec_b64 s[62:63], s[52:53]
	s_cbranch_execz .LBB396_476
.LBB396_461:                            ;   in Loop: Header=BB396_400 Depth=2
	global_load_dwordx2 v[10:11], v[20:21], off offset:2048
	s_or_b64 exec, exec, s[62:63]
	v_cmp_lt_u32_e64 s[52:53], v83, v89
	s_and_saveexec_b64 s[62:63], s[52:53]
	s_cbranch_execnz .LBB396_477
.LBB396_462:                            ;   in Loop: Header=BB396_400 Depth=2
	s_or_b64 exec, exec, s[62:63]
	v_cmp_lt_u32_e64 s[52:53], v84, v89
	s_and_saveexec_b64 s[62:63], s[52:53]
	s_cbranch_execz .LBB396_478
.LBB396_463:                            ;   in Loop: Header=BB396_400 Depth=2
	global_load_dwordx2 v[6:7], v[20:21], off offset:3072
	s_or_b64 exec, exec, s[62:63]
	v_cmp_lt_u32_e64 s[52:53], v85, v89
	s_and_saveexec_b64 s[62:63], s[52:53]
	s_cbranch_execnz .LBB396_479
.LBB396_464:                            ;   in Loop: Header=BB396_400 Depth=2
	s_or_b64 exec, exec, s[62:63]
	s_and_saveexec_b64 s[52:53], s[48:49]
	s_cbranch_execz .LBB396_480
.LBB396_465:                            ;   in Loop: Header=BB396_400 Depth=2
	ds_read_u8 v20, v2 offset:1024
	s_waitcnt lgkmcnt(0)
	v_lshrrev_b32_e32 v20, s69, v20
	v_and_b32_e32 v75, s77, v20
	s_or_b64 exec, exec, s[52:53]
	s_and_saveexec_b64 s[52:53], s[46:47]
	s_cbranch_execnz .LBB396_481
.LBB396_466:                            ;   in Loop: Header=BB396_400 Depth=2
	s_or_b64 exec, exec, s[52:53]
	s_and_saveexec_b64 s[52:53], s[44:45]
	s_cbranch_execz .LBB396_482
.LBB396_467:                            ;   in Loop: Header=BB396_400 Depth=2
	ds_read_u8 v20, v30 offset:512
	s_waitcnt lgkmcnt(0)
	v_lshrrev_b32_e32 v20, s69, v20
	v_and_b32_e32 v71, s77, v20
	s_or_b64 exec, exec, s[52:53]
	s_and_saveexec_b64 s[52:53], s[42:43]
	s_cbranch_execnz .LBB396_483
.LBB396_468:                            ;   in Loop: Header=BB396_400 Depth=2
	s_or_b64 exec, exec, s[52:53]
	s_and_saveexec_b64 s[52:53], s[40:41]
	s_cbranch_execz .LBB396_484
.LBB396_469:                            ;   in Loop: Header=BB396_400 Depth=2
	ds_read_u8 v20, v30 offset:1024
	s_waitcnt lgkmcnt(0)
	v_lshrrev_b32_e32 v20, s69, v20
	v_and_b32_e32 v69, s77, v20
	s_or_b64 exec, exec, s[52:53]
	s_and_saveexec_b64 s[52:53], s[38:39]
	s_cbranch_execnz .LBB396_485
.LBB396_470:                            ;   in Loop: Header=BB396_400 Depth=2
	s_or_b64 exec, exec, s[52:53]
	s_and_saveexec_b64 s[52:53], s[36:37]
	s_cbranch_execz .LBB396_486
.LBB396_471:                            ;   in Loop: Header=BB396_400 Depth=2
	ds_read_u8 v20, v30 offset:1536
	s_waitcnt lgkmcnt(0)
	v_lshrrev_b32_e32 v20, s69, v20
	v_and_b32_e32 v67, s77, v20
	s_or_b64 exec, exec, s[52:53]
	s_and_saveexec_b64 s[52:53], vcc
	s_cbranch_execnz .LBB396_487
	s_branch .LBB396_488
.LBB396_472:                            ;   in Loop: Header=BB396_400 Depth=2
	s_or_b64 exec, exec, s[52:53]
	v_cmp_lt_u32_e64 s[52:53], v79, v89
	s_and_saveexec_b64 s[62:63], s[52:53]
	s_cbranch_execz .LBB396_458
.LBB396_473:                            ;   in Loop: Header=BB396_400 Depth=2
	global_load_dwordx2 v[16:17], v[20:21], off offset:512
	s_or_b64 exec, exec, s[62:63]
	v_cmp_lt_u32_e64 s[52:53], v80, v89
	s_and_saveexec_b64 s[62:63], s[52:53]
	s_cbranch_execnz .LBB396_459
.LBB396_474:                            ;   in Loop: Header=BB396_400 Depth=2
	s_or_b64 exec, exec, s[62:63]
	v_cmp_lt_u32_e64 s[52:53], v81, v89
	s_and_saveexec_b64 s[62:63], s[52:53]
	s_cbranch_execz .LBB396_460
.LBB396_475:                            ;   in Loop: Header=BB396_400 Depth=2
	global_load_dwordx2 v[12:13], v[20:21], off offset:1536
	s_or_b64 exec, exec, s[62:63]
	v_cmp_lt_u32_e64 s[52:53], v82, v89
	s_and_saveexec_b64 s[62:63], s[52:53]
	s_cbranch_execnz .LBB396_461
.LBB396_476:                            ;   in Loop: Header=BB396_400 Depth=2
	s_or_b64 exec, exec, s[62:63]
	v_cmp_lt_u32_e64 s[52:53], v83, v89
	s_and_saveexec_b64 s[62:63], s[52:53]
	s_cbranch_execz .LBB396_462
.LBB396_477:                            ;   in Loop: Header=BB396_400 Depth=2
	global_load_dwordx2 v[8:9], v[20:21], off offset:2560
	s_or_b64 exec, exec, s[62:63]
	v_cmp_lt_u32_e64 s[52:53], v84, v89
	s_and_saveexec_b64 s[62:63], s[52:53]
	s_cbranch_execnz .LBB396_463
.LBB396_478:                            ;   in Loop: Header=BB396_400 Depth=2
	s_or_b64 exec, exec, s[62:63]
	v_cmp_lt_u32_e64 s[52:53], v85, v89
	s_and_saveexec_b64 s[62:63], s[52:53]
	s_cbranch_execz .LBB396_464
.LBB396_479:                            ;   in Loop: Header=BB396_400 Depth=2
	global_load_dwordx2 v[0:1], v[20:21], off offset:3584
	s_or_b64 exec, exec, s[62:63]
	s_and_saveexec_b64 s[52:53], s[48:49]
	s_cbranch_execnz .LBB396_465
.LBB396_480:                            ;   in Loop: Header=BB396_400 Depth=2
	s_or_b64 exec, exec, s[52:53]
	s_and_saveexec_b64 s[52:53], s[46:47]
	s_cbranch_execz .LBB396_466
.LBB396_481:                            ;   in Loop: Header=BB396_400 Depth=2
	ds_read_u8 v20, v30 offset:256
	s_waitcnt lgkmcnt(0)
	v_lshrrev_b32_e32 v20, s69, v20
	v_and_b32_e32 v73, s77, v20
	s_or_b64 exec, exec, s[52:53]
	s_and_saveexec_b64 s[52:53], s[44:45]
	s_cbranch_execnz .LBB396_467
.LBB396_482:                            ;   in Loop: Header=BB396_400 Depth=2
	s_or_b64 exec, exec, s[52:53]
	s_and_saveexec_b64 s[52:53], s[42:43]
	s_cbranch_execz .LBB396_468
.LBB396_483:                            ;   in Loop: Header=BB396_400 Depth=2
	ds_read_u8 v20, v30 offset:768
	s_waitcnt lgkmcnt(0)
	v_lshrrev_b32_e32 v20, s69, v20
	v_and_b32_e32 v70, s77, v20
	s_or_b64 exec, exec, s[52:53]
	s_and_saveexec_b64 s[52:53], s[40:41]
	s_cbranch_execnz .LBB396_469
.LBB396_484:                            ;   in Loop: Header=BB396_400 Depth=2
	s_or_b64 exec, exec, s[52:53]
	s_and_saveexec_b64 s[52:53], s[38:39]
	s_cbranch_execz .LBB396_470
.LBB396_485:                            ;   in Loop: Header=BB396_400 Depth=2
	ds_read_u8 v20, v30 offset:1280
	s_waitcnt lgkmcnt(0)
	v_lshrrev_b32_e32 v20, s69, v20
	v_and_b32_e32 v68, s77, v20
	s_or_b64 exec, exec, s[52:53]
	s_and_saveexec_b64 s[52:53], s[36:37]
	s_cbranch_execnz .LBB396_471
.LBB396_486:                            ;   in Loop: Header=BB396_400 Depth=2
	s_or_b64 exec, exec, s[52:53]
	s_and_saveexec_b64 s[52:53], vcc
	s_cbranch_execz .LBB396_488
.LBB396_487:                            ;   in Loop: Header=BB396_400 Depth=2
	ds_read_u8 v20, v30 offset:1792
	s_waitcnt lgkmcnt(0)
	v_lshrrev_b32_e32 v20, s69, v20
	v_and_b32_e32 v66, s77, v20
.LBB396_488:                            ;   in Loop: Header=BB396_400 Depth=2
	s_or_b64 exec, exec, s[52:53]
	v_lshlrev_b32_e32 v20, 3, v102
	s_barrier
	s_waitcnt vmcnt(0)
	ds_write_b64 v20, v[18:19] offset:1024
	v_lshlrev_b32_e32 v20, 3, v98
	ds_write_b64 v20, v[16:17] offset:1024
	v_lshlrev_b32_e32 v20, 3, v97
	;; [unrolled: 2-line block ×7, first 2 shown]
	ds_write_b64 v20, v[0:1] offset:1024
	s_waitcnt lgkmcnt(0)
	s_barrier
	s_and_saveexec_b64 s[52:53], s[48:49]
	s_cbranch_execz .LBB396_496
; %bb.489:                              ;   in Loop: Header=BB396_400 Depth=2
	v_lshlrev_b32_e32 v20, 2, v75
	ds_read_b32 v22, v20
	v_add_u32_e32 v20, v2, v50
	ds_read_b64 v[20:21], v20 offset:1024
	v_mov_b32_e32 v23, v4
	v_mov_b32_e32 v89, s65
	s_waitcnt lgkmcnt(1)
	v_add_u32_e32 v22, v22, v2
	v_lshlrev_b64 v[22:23], 3, v[22:23]
	v_add_co_u32_e64 v22, s[48:49], s64, v22
	v_addc_co_u32_e64 v23, s[48:49], v89, v23, s[48:49]
	s_waitcnt lgkmcnt(0)
	global_store_dwordx2 v[22:23], v[20:21], off
	s_or_b64 exec, exec, s[52:53]
	s_and_saveexec_b64 s[48:49], s[46:47]
	s_cbranch_execnz .LBB396_497
.LBB396_490:                            ;   in Loop: Header=BB396_400 Depth=2
	s_or_b64 exec, exec, s[48:49]
	s_and_saveexec_b64 s[46:47], s[44:45]
	s_cbranch_execz .LBB396_498
.LBB396_491:                            ;   in Loop: Header=BB396_400 Depth=2
	v_lshlrev_b32_e32 v20, 2, v71
	ds_read_b32 v22, v20
	v_add_u32_e32 v20, v30, v50
	ds_read_b64 v[20:21], v20 offset:4096
	v_mov_b32_e32 v23, v4
	v_mov_b32_e32 v89, s65
	s_waitcnt lgkmcnt(1)
	v_add_u32_e32 v22, v22, v25
	v_lshlrev_b64 v[22:23], 3, v[22:23]
	v_add_co_u32_e64 v22, s[44:45], s64, v22
	v_addc_co_u32_e64 v23, s[44:45], v89, v23, s[44:45]
	s_waitcnt lgkmcnt(0)
	global_store_dwordx2 v[22:23], v[20:21], off
	s_or_b64 exec, exec, s[46:47]
	s_and_saveexec_b64 s[44:45], s[42:43]
	s_cbranch_execnz .LBB396_499
.LBB396_492:                            ;   in Loop: Header=BB396_400 Depth=2
	s_or_b64 exec, exec, s[44:45]
	s_and_saveexec_b64 s[42:43], s[40:41]
	s_cbranch_execz .LBB396_500
.LBB396_493:                            ;   in Loop: Header=BB396_400 Depth=2
	v_lshlrev_b32_e32 v20, 2, v69
	ds_read_b32 v22, v20
	v_add_u32_e32 v20, v30, v50
	ds_read_b64 v[20:21], v20 offset:8192
	v_mov_b32_e32 v23, v4
	v_mov_b32_e32 v89, s65
	s_waitcnt lgkmcnt(1)
	v_add_u32_e32 v22, v22, v30
	v_lshlrev_b64 v[22:23], 3, v[22:23]
	v_add_co_u32_e64 v22, s[40:41], s64, v22
	v_addc_co_u32_e64 v23, s[40:41], v89, v23, s[40:41]
	s_waitcnt lgkmcnt(0)
	global_store_dwordx2 v[22:23], v[20:21], off
	s_or_b64 exec, exec, s[42:43]
	s_and_saveexec_b64 s[40:41], s[38:39]
	s_cbranch_execnz .LBB396_501
.LBB396_494:                            ;   in Loop: Header=BB396_400 Depth=2
	s_or_b64 exec, exec, s[40:41]
	s_and_saveexec_b64 s[38:39], s[36:37]
	s_cbranch_execz .LBB396_502
.LBB396_495:                            ;   in Loop: Header=BB396_400 Depth=2
	v_lshlrev_b32_e32 v20, 2, v67
	ds_read_b32 v22, v20
	v_add_u32_e32 v20, v30, v50
	ds_read_b64 v[20:21], v20 offset:12288
	v_mov_b32_e32 v23, v4
	v_mov_b32_e32 v89, s65
	s_waitcnt lgkmcnt(1)
	v_add_u32_e32 v22, v22, v32
	v_lshlrev_b64 v[22:23], 3, v[22:23]
	v_add_co_u32_e64 v22, s[36:37], s64, v22
	v_addc_co_u32_e64 v23, s[36:37], v89, v23, s[36:37]
	s_waitcnt lgkmcnt(0)
	global_store_dwordx2 v[22:23], v[20:21], off
	s_or_b64 exec, exec, s[38:39]
	s_and_saveexec_b64 s[36:37], vcc
	s_cbranch_execnz .LBB396_503
	s_branch .LBB396_504
.LBB396_496:                            ;   in Loop: Header=BB396_400 Depth=2
	s_or_b64 exec, exec, s[52:53]
	s_and_saveexec_b64 s[48:49], s[46:47]
	s_cbranch_execz .LBB396_490
.LBB396_497:                            ;   in Loop: Header=BB396_400 Depth=2
	v_lshlrev_b32_e32 v20, 2, v73
	ds_read_b32 v22, v20
	v_add_u32_e32 v20, v30, v50
	ds_read_b64 v[20:21], v20 offset:2048
	v_mov_b32_e32 v23, v4
	v_mov_b32_e32 v89, s65
	s_waitcnt lgkmcnt(1)
	v_add_u32_e32 v22, v22, v24
	v_lshlrev_b64 v[22:23], 3, v[22:23]
	v_add_co_u32_e64 v22, s[46:47], s64, v22
	v_addc_co_u32_e64 v23, s[46:47], v89, v23, s[46:47]
	s_waitcnt lgkmcnt(0)
	global_store_dwordx2 v[22:23], v[20:21], off
	s_or_b64 exec, exec, s[48:49]
	s_and_saveexec_b64 s[46:47], s[44:45]
	s_cbranch_execnz .LBB396_491
.LBB396_498:                            ;   in Loop: Header=BB396_400 Depth=2
	s_or_b64 exec, exec, s[46:47]
	s_and_saveexec_b64 s[44:45], s[42:43]
	s_cbranch_execz .LBB396_492
.LBB396_499:                            ;   in Loop: Header=BB396_400 Depth=2
	v_lshlrev_b32_e32 v20, 2, v70
	ds_read_b32 v22, v20
	v_add_u32_e32 v20, v30, v50
	ds_read_b64 v[20:21], v20 offset:6144
	v_mov_b32_e32 v23, v4
	v_mov_b32_e32 v89, s65
	s_waitcnt lgkmcnt(1)
	v_add_u32_e32 v22, v22, v26
	v_lshlrev_b64 v[22:23], 3, v[22:23]
	v_add_co_u32_e64 v22, s[42:43], s64, v22
	v_addc_co_u32_e64 v23, s[42:43], v89, v23, s[42:43]
	s_waitcnt lgkmcnt(0)
	global_store_dwordx2 v[22:23], v[20:21], off
	s_or_b64 exec, exec, s[44:45]
	s_and_saveexec_b64 s[42:43], s[40:41]
	s_cbranch_execnz .LBB396_493
.LBB396_500:                            ;   in Loop: Header=BB396_400 Depth=2
	s_or_b64 exec, exec, s[42:43]
	s_and_saveexec_b64 s[40:41], s[38:39]
	s_cbranch_execz .LBB396_494
.LBB396_501:                            ;   in Loop: Header=BB396_400 Depth=2
	v_lshlrev_b32_e32 v20, 2, v68
	ds_read_b32 v22, v20
	v_add_u32_e32 v20, v30, v50
	ds_read_b64 v[20:21], v20 offset:10240
	v_mov_b32_e32 v23, v4
	v_mov_b32_e32 v89, s65
	s_waitcnt lgkmcnt(1)
	v_add_u32_e32 v22, v22, v31
	v_lshlrev_b64 v[22:23], 3, v[22:23]
	v_add_co_u32_e64 v22, s[38:39], s64, v22
	v_addc_co_u32_e64 v23, s[38:39], v89, v23, s[38:39]
	s_waitcnt lgkmcnt(0)
	global_store_dwordx2 v[22:23], v[20:21], off
	s_or_b64 exec, exec, s[40:41]
	s_and_saveexec_b64 s[38:39], s[36:37]
	s_cbranch_execnz .LBB396_495
.LBB396_502:                            ;   in Loop: Header=BB396_400 Depth=2
	s_or_b64 exec, exec, s[38:39]
	s_and_saveexec_b64 s[36:37], vcc
	s_cbranch_execz .LBB396_504
.LBB396_503:                            ;   in Loop: Header=BB396_400 Depth=2
	v_lshlrev_b32_e32 v20, 2, v66
	ds_read_b32 v22, v20
	v_add_u32_e32 v20, v30, v50
	ds_read_b64 v[20:21], v20 offset:14336
	v_mov_b32_e32 v23, v4
	v_mov_b32_e32 v89, s65
	s_waitcnt lgkmcnt(1)
	v_add_u32_e32 v22, v22, v33
	v_lshlrev_b64 v[22:23], 3, v[22:23]
	v_add_co_u32_e32 v22, vcc, s64, v22
	v_addc_co_u32_e32 v23, vcc, v89, v23, vcc
	s_waitcnt lgkmcnt(0)
	global_store_dwordx2 v[22:23], v[20:21], off
.LBB396_504:                            ;   in Loop: Header=BB396_400 Depth=2
	s_or_b64 exec, exec, s[36:37]
	s_barrier
	s_and_saveexec_b64 s[36:37], s[4:5]
	s_cbranch_execz .LBB396_399
; %bb.505:                              ;   in Loop: Header=BB396_400 Depth=2
	ds_read_b32 v20, v3
	s_waitcnt lgkmcnt(0)
	v_add_u32_e32 v5, v20, v5
	ds_write_b32 v3, v5
	s_branch .LBB396_399
.LBB396_506:                            ;   in Loop: Header=BB396_400 Depth=2
	s_or_b64 exec, exec, s[36:37]
	v_cmp_gt_u32_e32 vcc, s78, v79
	s_and_saveexec_b64 s[36:37], vcc
	s_cbranch_execz .LBB396_406
.LBB396_507:                            ;   in Loop: Header=BB396_400 Depth=2
	global_load_ubyte v94, v[20:21], off offset:64
	s_or_b64 exec, exec, s[36:37]
	v_cmp_gt_u32_e32 vcc, s78, v80
	s_and_saveexec_b64 s[36:37], vcc
	s_cbranch_execnz .LBB396_407
.LBB396_508:                            ;   in Loop: Header=BB396_400 Depth=2
	s_or_b64 exec, exec, s[36:37]
	v_cmp_gt_u32_e32 vcc, s78, v81
	s_and_saveexec_b64 s[36:37], vcc
	s_cbranch_execz .LBB396_408
.LBB396_509:                            ;   in Loop: Header=BB396_400 Depth=2
	global_load_ubyte v101, v[20:21], off offset:192
	s_or_b64 exec, exec, s[36:37]
	v_cmp_gt_u32_e32 vcc, s78, v82
	s_and_saveexec_b64 s[36:37], vcc
	s_cbranch_execnz .LBB396_409
.LBB396_510:                            ;   in Loop: Header=BB396_400 Depth=2
	s_or_b64 exec, exec, s[36:37]
	v_cmp_gt_u32_e32 vcc, s78, v83
	s_and_saveexec_b64 s[36:37], vcc
	s_cbranch_execz .LBB396_410
.LBB396_511:                            ;   in Loop: Header=BB396_400 Depth=2
	global_load_ubyte v91, v[20:21], off offset:320
	s_or_b64 exec, exec, s[36:37]
	v_cmp_gt_u32_e32 vcc, s78, v84
	s_and_saveexec_b64 s[36:37], vcc
	s_cbranch_execnz .LBB396_411
	s_branch .LBB396_412
.LBB396_512:                            ;   in Loop: Header=BB396_12 Depth=1
	s_waitcnt lgkmcnt(0)
	s_barrier
	s_mov_b64 s[16:17], 0
.LBB396_513:                            ;   in Loop: Header=BB396_12 Depth=1
	s_and_b64 vcc, exec, s[16:17]
	s_cbranch_vccz .LBB396_11
; %bb.514:                              ;   in Loop: Header=BB396_12 Depth=1
	s_mov_b32 s20, s71
	s_mov_b32 s22, s51
	s_barrier
	s_waitcnt lgkmcnt(0)
                                        ; implicit-def: $vgpr5
                                        ; implicit-def: $vgpr6
                                        ; implicit-def: $vgpr7
                                        ; implicit-def: $vgpr8
                                        ; implicit-def: $vgpr9
                                        ; implicit-def: $vgpr10
                                        ; implicit-def: $vgpr11
                                        ; implicit-def: $vgpr12
	s_branch .LBB396_516
.LBB396_515:                            ;   in Loop: Header=BB396_516 Depth=2
	s_or_b64 exec, exec, s[16:17]
	s_addk_i32 s20, 0xf800
	s_cmp_ge_u32 s21, s76
	s_mov_b32 s22, s21
	s_cbranch_scc1 .LBB396_554
.LBB396_516:                            ;   Parent Loop BB396_12 Depth=1
                                        ; =>  This Inner Loop Header: Depth=2
	s_add_i32 s21, s22, 0x800
	s_cmp_gt_u32 s21, s76
	s_cbranch_scc1 .LBB396_519
; %bb.517:                              ;   in Loop: Header=BB396_516 Depth=2
	v_add_co_u32_e32 v0, vcc, s22, v57
	v_addc_co_u32_e32 v1, vcc, 0, v58, vcc
	global_load_ubyte v20, v[0:1], off offset:1536
	global_load_ubyte v19, v[0:1], off offset:1280
	;; [unrolled: 1-line block ×6, first 2 shown]
	global_load_ubyte v14, v[0:1], off
	v_add_co_u32_e32 v0, vcc, 0x700, v0
	v_addc_co_u32_e32 v1, vcc, 0, v1, vcc
	s_mov_b64 s[16:17], -1
	s_movk_i32 s25, 0x800
	s_cbranch_execz .LBB396_520
; %bb.518:                              ;   in Loop: Header=BB396_516 Depth=2
                                        ; implicit-def: $vgpr5
                                        ; implicit-def: $vgpr6
                                        ; implicit-def: $vgpr7
                                        ; implicit-def: $vgpr8
                                        ; implicit-def: $vgpr9
                                        ; implicit-def: $vgpr10
                                        ; implicit-def: $vgpr11
                                        ; implicit-def: $vgpr12
	v_mov_b32_e32 v13, s20
	s_and_saveexec_b64 s[18:19], s[16:17]
	s_cbranch_execnz .LBB396_531
	s_branch .LBB396_532
.LBB396_519:                            ;   in Loop: Header=BB396_516 Depth=2
	s_mov_b64 s[16:17], 0
                                        ; implicit-def: $sgpr25
                                        ; implicit-def: $vgpr14
                                        ; implicit-def: $vgpr15
                                        ; implicit-def: $vgpr16
                                        ; implicit-def: $vgpr17
                                        ; implicit-def: $vgpr18
                                        ; implicit-def: $vgpr19
                                        ; implicit-def: $vgpr20
                                        ; implicit-def: $vgpr0_vgpr1
.LBB396_520:                            ;   in Loop: Header=BB396_516 Depth=2
	s_add_u32 s23, s56, s22
	s_addc_u32 s24, s57, 0
	v_cmp_gt_u32_e32 vcc, s20, v2
	s_and_saveexec_b64 s[18:19], vcc
	s_cbranch_execz .LBB396_548
; %bb.521:                              ;   in Loop: Header=BB396_516 Depth=2
	v_mov_b32_e32 v1, s24
	v_add_co_u32_e32 v0, vcc, s23, v2
	v_addc_co_u32_e32 v1, vcc, 0, v1, vcc
	global_load_ubyte v5, v[0:1], off
	s_or_b64 exec, exec, s[18:19]
	v_cmp_gt_u32_e32 vcc, s20, v24
	s_and_saveexec_b64 s[18:19], vcc
	s_cbranch_execnz .LBB396_549
.LBB396_522:                            ;   in Loop: Header=BB396_516 Depth=2
	s_or_b64 exec, exec, s[18:19]
	v_cmp_gt_u32_e32 vcc, s20, v25
	s_and_saveexec_b64 s[18:19], vcc
	s_cbranch_execz .LBB396_550
.LBB396_523:                            ;   in Loop: Header=BB396_516 Depth=2
	v_mov_b32_e32 v1, s24
	v_add_co_u32_e32 v0, vcc, s23, v2
	v_addc_co_u32_e32 v1, vcc, 0, v1, vcc
	global_load_ubyte v7, v[0:1], off offset:512
	s_or_b64 exec, exec, s[18:19]
	v_cmp_gt_u32_e32 vcc, s20, v26
	s_and_saveexec_b64 s[18:19], vcc
	s_cbranch_execnz .LBB396_551
.LBB396_524:                            ;   in Loop: Header=BB396_516 Depth=2
	s_or_b64 exec, exec, s[18:19]
	v_cmp_gt_u32_e32 vcc, s20, v30
	s_and_saveexec_b64 s[18:19], vcc
	s_cbranch_execz .LBB396_552
.LBB396_525:                            ;   in Loop: Header=BB396_516 Depth=2
	v_mov_b32_e32 v1, s24
	v_add_co_u32_e32 v0, vcc, s23, v2
	v_addc_co_u32_e32 v1, vcc, 0, v1, vcc
	global_load_ubyte v9, v[0:1], off offset:1024
	s_or_b64 exec, exec, s[18:19]
	v_cmp_gt_u32_e32 vcc, s20, v31
	s_and_saveexec_b64 s[18:19], vcc
	s_cbranch_execnz .LBB396_553
.LBB396_526:                            ;   in Loop: Header=BB396_516 Depth=2
	s_or_b64 exec, exec, s[18:19]
	v_cmp_gt_u32_e32 vcc, s20, v32
	s_and_saveexec_b64 s[18:19], vcc
	s_cbranch_execz .LBB396_528
.LBB396_527:                            ;   in Loop: Header=BB396_516 Depth=2
	v_mov_b32_e32 v1, s24
	v_add_co_u32_e32 v0, vcc, s23, v2
	v_addc_co_u32_e32 v1, vcc, 0, v1, vcc
	global_load_ubyte v11, v[0:1], off offset:1536
.LBB396_528:                            ;   in Loop: Header=BB396_516 Depth=2
	s_or_b64 exec, exec, s[18:19]
	v_cmp_gt_u32_e32 vcc, s20, v33
                                        ; implicit-def: $sgpr25
                                        ; implicit-def: $vgpr0_vgpr1
	s_and_saveexec_b64 s[18:19], vcc
	s_cbranch_execz .LBB396_530
; %bb.529:                              ;   in Loop: Header=BB396_516 Depth=2
	v_mov_b32_e32 v0, s24
	v_add_co_u32_e32 v1, vcc, s23, v2
	s_waitcnt vmcnt(0)
	v_addc_co_u32_e32 v12, vcc, 0, v0, vcc
	v_add_co_u32_e32 v0, vcc, 0x700, v1
	s_sub_i32 s25, s76, s22
	v_addc_co_u32_e32 v1, vcc, 0, v12, vcc
	s_or_b64 s[16:17], s[16:17], exec
                                        ; implicit-def: $vgpr12
.LBB396_530:                            ;   in Loop: Header=BB396_516 Depth=2
	s_or_b64 exec, exec, s[18:19]
	s_waitcnt vmcnt(0)
	v_mov_b32_e32 v14, v5
	v_mov_b32_e32 v15, v6
	;; [unrolled: 1-line block ×8, first 2 shown]
	s_and_saveexec_b64 s[18:19], s[16:17]
	s_cbranch_execz .LBB396_532
.LBB396_531:                            ;   in Loop: Header=BB396_516 Depth=2
	global_load_ubyte v12, v[0:1], off
	v_mov_b32_e32 v13, s25
	s_waitcnt vmcnt(1)
	v_mov_b32_e32 v5, v14
	v_mov_b32_e32 v6, v15
	;; [unrolled: 1-line block ×7, first 2 shown]
.LBB396_532:                            ;   in Loop: Header=BB396_516 Depth=2
	s_or_b64 exec, exec, s[18:19]
	v_cmp_lt_u32_e32 vcc, v2, v13
	v_lshlrev_b32_e32 v0, 2, v27
	s_and_saveexec_b64 s[16:17], vcc
	s_cbranch_execz .LBB396_540
; %bb.533:                              ;   in Loop: Header=BB396_516 Depth=2
	v_xor_b32_e32 v1, 0x80, v5
	v_lshrrev_b32_sdwa v1, s69, v1 dst_sel:DWORD dst_unused:UNUSED_PAD src0_sel:DWORD src1_sel:BYTE_0
	v_and_b32_e32 v1, s77, v1
	v_lshl_or_b32 v1, v1, 4, v0
	ds_add_u32 v1, v63
	s_or_b64 exec, exec, s[16:17]
	v_cmp_lt_u32_e32 vcc, v24, v13
	s_and_saveexec_b64 s[16:17], vcc
	s_cbranch_execnz .LBB396_541
.LBB396_534:                            ;   in Loop: Header=BB396_516 Depth=2
	s_or_b64 exec, exec, s[16:17]
	v_cmp_lt_u32_e32 vcc, v25, v13
	s_and_saveexec_b64 s[16:17], vcc
	s_cbranch_execz .LBB396_542
.LBB396_535:                            ;   in Loop: Header=BB396_516 Depth=2
	v_xor_b32_e32 v1, 0x80, v7
	v_lshrrev_b32_sdwa v1, s69, v1 dst_sel:DWORD dst_unused:UNUSED_PAD src0_sel:DWORD src1_sel:BYTE_0
	v_and_b32_e32 v1, s77, v1
	v_lshl_or_b32 v1, v1, 4, v0
	ds_add_u32 v1, v63
	s_or_b64 exec, exec, s[16:17]
	v_cmp_lt_u32_e32 vcc, v26, v13
	s_and_saveexec_b64 s[16:17], vcc
	s_cbranch_execnz .LBB396_543
.LBB396_536:                            ;   in Loop: Header=BB396_516 Depth=2
	s_or_b64 exec, exec, s[16:17]
	v_cmp_lt_u32_e32 vcc, v30, v13
	s_and_saveexec_b64 s[16:17], vcc
	s_cbranch_execz .LBB396_544
.LBB396_537:                            ;   in Loop: Header=BB396_516 Depth=2
	v_xor_b32_e32 v1, 0x80, v9
	v_lshrrev_b32_sdwa v1, s69, v1 dst_sel:DWORD dst_unused:UNUSED_PAD src0_sel:DWORD src1_sel:BYTE_0
	v_and_b32_e32 v1, s77, v1
	v_lshl_or_b32 v1, v1, 4, v0
	ds_add_u32 v1, v63
	s_or_b64 exec, exec, s[16:17]
	v_cmp_lt_u32_e32 vcc, v31, v13
	s_and_saveexec_b64 s[16:17], vcc
	s_cbranch_execnz .LBB396_545
.LBB396_538:                            ;   in Loop: Header=BB396_516 Depth=2
	s_or_b64 exec, exec, s[16:17]
	v_cmp_lt_u32_e32 vcc, v32, v13
	s_and_saveexec_b64 s[16:17], vcc
	s_cbranch_execz .LBB396_546
.LBB396_539:                            ;   in Loop: Header=BB396_516 Depth=2
	v_xor_b32_e32 v1, 0x80, v11
	v_lshrrev_b32_sdwa v1, s69, v1 dst_sel:DWORD dst_unused:UNUSED_PAD src0_sel:DWORD src1_sel:BYTE_0
	v_and_b32_e32 v1, s77, v1
	v_lshl_or_b32 v1, v1, 4, v0
	ds_add_u32 v1, v63
	s_or_b64 exec, exec, s[16:17]
	v_cmp_lt_u32_e32 vcc, v33, v13
	s_and_saveexec_b64 s[16:17], vcc
	s_cbranch_execz .LBB396_515
	s_branch .LBB396_547
.LBB396_540:                            ;   in Loop: Header=BB396_516 Depth=2
	s_or_b64 exec, exec, s[16:17]
	v_cmp_lt_u32_e32 vcc, v24, v13
	s_and_saveexec_b64 s[16:17], vcc
	s_cbranch_execz .LBB396_534
.LBB396_541:                            ;   in Loop: Header=BB396_516 Depth=2
	v_xor_b32_e32 v1, 0x80, v6
	v_lshrrev_b32_sdwa v1, s69, v1 dst_sel:DWORD dst_unused:UNUSED_PAD src0_sel:DWORD src1_sel:BYTE_0
	v_and_b32_e32 v1, s77, v1
	v_lshl_or_b32 v1, v1, 4, v0
	ds_add_u32 v1, v63
	s_or_b64 exec, exec, s[16:17]
	v_cmp_lt_u32_e32 vcc, v25, v13
	s_and_saveexec_b64 s[16:17], vcc
	s_cbranch_execnz .LBB396_535
.LBB396_542:                            ;   in Loop: Header=BB396_516 Depth=2
	s_or_b64 exec, exec, s[16:17]
	v_cmp_lt_u32_e32 vcc, v26, v13
	s_and_saveexec_b64 s[16:17], vcc
	s_cbranch_execz .LBB396_536
.LBB396_543:                            ;   in Loop: Header=BB396_516 Depth=2
	v_xor_b32_e32 v1, 0x80, v8
	v_lshrrev_b32_sdwa v1, s69, v1 dst_sel:DWORD dst_unused:UNUSED_PAD src0_sel:DWORD src1_sel:BYTE_0
	v_and_b32_e32 v1, s77, v1
	v_lshl_or_b32 v1, v1, 4, v0
	ds_add_u32 v1, v63
	s_or_b64 exec, exec, s[16:17]
	v_cmp_lt_u32_e32 vcc, v30, v13
	s_and_saveexec_b64 s[16:17], vcc
	s_cbranch_execnz .LBB396_537
.LBB396_544:                            ;   in Loop: Header=BB396_516 Depth=2
	s_or_b64 exec, exec, s[16:17]
	v_cmp_lt_u32_e32 vcc, v31, v13
	s_and_saveexec_b64 s[16:17], vcc
	s_cbranch_execz .LBB396_538
.LBB396_545:                            ;   in Loop: Header=BB396_516 Depth=2
	v_xor_b32_e32 v1, 0x80, v10
	v_lshrrev_b32_sdwa v1, s69, v1 dst_sel:DWORD dst_unused:UNUSED_PAD src0_sel:DWORD src1_sel:BYTE_0
	v_and_b32_e32 v1, s77, v1
	v_lshl_or_b32 v1, v1, 4, v0
	ds_add_u32 v1, v63
	s_or_b64 exec, exec, s[16:17]
	v_cmp_lt_u32_e32 vcc, v32, v13
	s_and_saveexec_b64 s[16:17], vcc
	s_cbranch_execnz .LBB396_539
.LBB396_546:                            ;   in Loop: Header=BB396_516 Depth=2
	s_or_b64 exec, exec, s[16:17]
	v_cmp_lt_u32_e32 vcc, v33, v13
	s_and_saveexec_b64 s[16:17], vcc
	s_cbranch_execz .LBB396_515
.LBB396_547:                            ;   in Loop: Header=BB396_516 Depth=2
	s_waitcnt vmcnt(0)
	v_xor_b32_e32 v1, 0x80, v12
	v_lshrrev_b32_sdwa v1, s69, v1 dst_sel:DWORD dst_unused:UNUSED_PAD src0_sel:DWORD src1_sel:BYTE_0
	v_and_b32_e32 v1, s77, v1
	v_lshl_or_b32 v0, v1, 4, v0
	ds_add_u32 v0, v63
	s_branch .LBB396_515
.LBB396_548:                            ;   in Loop: Header=BB396_516 Depth=2
	s_or_b64 exec, exec, s[18:19]
	v_cmp_gt_u32_e32 vcc, s20, v24
	s_and_saveexec_b64 s[18:19], vcc
	s_cbranch_execz .LBB396_522
.LBB396_549:                            ;   in Loop: Header=BB396_516 Depth=2
	v_mov_b32_e32 v1, s24
	v_add_co_u32_e32 v0, vcc, s23, v2
	v_addc_co_u32_e32 v1, vcc, 0, v1, vcc
	global_load_ubyte v6, v[0:1], off offset:256
	s_or_b64 exec, exec, s[18:19]
	v_cmp_gt_u32_e32 vcc, s20, v25
	s_and_saveexec_b64 s[18:19], vcc
	s_cbranch_execnz .LBB396_523
.LBB396_550:                            ;   in Loop: Header=BB396_516 Depth=2
	s_or_b64 exec, exec, s[18:19]
	v_cmp_gt_u32_e32 vcc, s20, v26
	s_and_saveexec_b64 s[18:19], vcc
	s_cbranch_execz .LBB396_524
.LBB396_551:                            ;   in Loop: Header=BB396_516 Depth=2
	v_mov_b32_e32 v1, s24
	v_add_co_u32_e32 v0, vcc, s23, v2
	v_addc_co_u32_e32 v1, vcc, 0, v1, vcc
	global_load_ubyte v8, v[0:1], off offset:768
	s_or_b64 exec, exec, s[18:19]
	v_cmp_gt_u32_e32 vcc, s20, v30
	s_and_saveexec_b64 s[18:19], vcc
	s_cbranch_execnz .LBB396_525
.LBB396_552:                            ;   in Loop: Header=BB396_516 Depth=2
	s_or_b64 exec, exec, s[18:19]
	v_cmp_gt_u32_e32 vcc, s20, v31
	s_and_saveexec_b64 s[18:19], vcc
	s_cbranch_execz .LBB396_526
.LBB396_553:                            ;   in Loop: Header=BB396_516 Depth=2
	v_mov_b32_e32 v1, s24
	v_add_co_u32_e32 v0, vcc, s23, v2
	v_addc_co_u32_e32 v1, vcc, 0, v1, vcc
	global_load_ubyte v10, v[0:1], off offset:1280
	s_or_b64 exec, exec, s[18:19]
	v_cmp_gt_u32_e32 vcc, s20, v32
	s_and_saveexec_b64 s[18:19], vcc
	s_cbranch_execz .LBB396_528
	s_branch .LBB396_527
.LBB396_554:                            ;   in Loop: Header=BB396_12 Depth=1
	v_mov_b32_e32 v0, 0
	s_waitcnt lgkmcnt(0)
	s_barrier
	s_and_saveexec_b64 s[16:17], s[4:5]
	s_cbranch_execz .LBB396_556
; %bb.555:                              ;   in Loop: Header=BB396_12 Depth=1
	ds_read2_b64 v[6:9], v34 offset1:1
	s_waitcnt lgkmcnt(0)
	v_add_u32_e32 v0, v7, v6
	v_add3_u32 v0, v0, v8, v9
.LBB396_556:                            ;   in Loop: Header=BB396_12 Depth=1
	s_or_b64 exec, exec, s[16:17]
	v_and_b32_e32 v1, 15, v64
	v_mov_b32_dpp v5, v0 row_shr:1 row_mask:0xf bank_mask:0xf
	v_cmp_eq_u32_e64 s[16:17], 0, v1
	v_cndmask_b32_e64 v5, v5, 0, s[16:17]
	v_add_u32_e32 v0, v5, v0
	v_cmp_lt_u32_e64 s[18:19], 1, v1
	v_cmp_lt_u32_e64 s[20:21], 3, v1
	v_mov_b32_dpp v5, v0 row_shr:2 row_mask:0xf bank_mask:0xf
	v_cndmask_b32_e64 v5, 0, v5, s[18:19]
	v_add_u32_e32 v0, v0, v5
	v_cmp_lt_u32_e64 s[22:23], 7, v1
	v_cmp_lt_u32_e64 s[26:27], 31, v64
	v_mov_b32_dpp v5, v0 row_shr:4 row_mask:0xf bank_mask:0xf
	v_cndmask_b32_e64 v5, 0, v5, s[20:21]
	v_add_u32_e32 v0, v0, v5
	v_and_b32_e32 v6, 16, v64
	v_cmp_eq_u32_e64 s[24:25], 0, v6
	v_mov_b32_dpp v5, v0 row_shr:8 row_mask:0xf bank_mask:0xf
	v_cndmask_b32_e64 v1, 0, v5, s[22:23]
	v_add_u32_e32 v0, v0, v1
	v_bfe_i32 v5, v64, 4, 1
	s_nop 0
	v_mov_b32_dpp v1, v0 row_bcast:15 row_mask:0xf bank_mask:0xf
	v_and_b32_e32 v1, v5, v1
	v_add_u32_e32 v0, v0, v1
	s_nop 1
	v_mov_b32_dpp v1, v0 row_bcast:31 row_mask:0xf bank_mask:0xf
	v_cndmask_b32_e64 v1, 0, v1, s[26:27]
	v_add_u32_e32 v1, v0, v1
	s_and_saveexec_b64 s[28:29], s[6:7]
	s_cbranch_execz .LBB396_558
; %bb.557:                              ;   in Loop: Header=BB396_12 Depth=1
	ds_write_b32 v36, v1
.LBB396_558:                            ;   in Loop: Header=BB396_12 Depth=1
	s_or_b64 exec, exec, s[28:29]
	v_and_b32_e32 v0, 3, v64
	s_waitcnt lgkmcnt(0)
	s_barrier
	s_and_saveexec_b64 s[28:29], s[8:9]
	s_cbranch_execz .LBB396_560
; %bb.559:                              ;   in Loop: Header=BB396_12 Depth=1
	ds_read_b32 v5, v37
	v_cmp_ne_u32_e32 vcc, 0, v0
	s_waitcnt lgkmcnt(0)
	v_mov_b32_dpp v6, v5 row_shr:1 row_mask:0xf bank_mask:0xf
	v_cndmask_b32_e32 v6, 0, v6, vcc
	v_add_u32_e32 v5, v6, v5
	v_cmp_lt_u32_e32 vcc, 1, v0
	s_nop 0
	v_mov_b32_dpp v6, v5 row_shr:2 row_mask:0xf bank_mask:0xf
	v_cndmask_b32_e32 v6, 0, v6, vcc
	v_add_u32_e32 v5, v5, v6
	ds_write_b32 v37, v5
.LBB396_560:                            ;   in Loop: Header=BB396_12 Depth=1
	s_or_b64 exec, exec, s[28:29]
	v_mov_b32_e32 v5, 0
	s_waitcnt lgkmcnt(0)
	s_barrier
	s_and_saveexec_b64 s[28:29], s[10:11]
	s_cbranch_execz .LBB396_562
; %bb.561:                              ;   in Loop: Header=BB396_12 Depth=1
	ds_read_b32 v5, v38
.LBB396_562:                            ;   in Loop: Header=BB396_12 Depth=1
	s_or_b64 exec, exec, s[28:29]
	v_add_u32_e32 v6, -1, v64
	v_and_b32_e32 v7, 64, v64
	v_cmp_lt_i32_e32 vcc, v6, v7
	v_cndmask_b32_e32 v6, v6, v64, vcc
	s_waitcnt lgkmcnt(0)
	v_add_u32_e32 v1, v5, v1
	v_lshlrev_b32_e32 v65, 2, v6
	ds_bpermute_b32 v1, v65, v1
	v_cmp_eq_u32_e64 s[28:29], 0, v64
	s_waitcnt lgkmcnt(0)
	s_barrier
	s_and_saveexec_b64 s[30:31], s[4:5]
	s_cbranch_execz .LBB396_564
; %bb.563:                              ;   in Loop: Header=BB396_12 Depth=1
	v_cndmask_b32_e64 v1, v1, v5, s[28:29]
	v_add_u32_e32 v1, s51, v1
	ds_write_b32 v3, v1
.LBB396_564:                            ;   in Loop: Header=BB396_12 Depth=1
	s_or_b64 exec, exec, s[30:31]
	s_load_dwordx2 s[30:31], s[74:75], 0x0
	v_and_b32_e32 v21, 63, v64
	v_add_co_u32_e32 v74, vcc, v61, v21
	v_lshlrev_b32_e32 v22, 3, v21
	s_waitcnt lgkmcnt(0)
	s_cmp_lt_u32 s50, s30
	s_cselect_b32 s34, 12, 18
	s_cmp_lt_u32 s33, s31
	s_cselect_b32 s30, 14, 20
	s_add_u32 s30, s74, s30
	s_addc_u32 s31, s75, 0
	s_add_u32 s34, s74, s34
	global_load_ushort v5, v4, s[30:31]
	s_addc_u32 s35, s75, 0
	global_load_ushort v20, v4, s[34:35]
	v_addc_co_u32_e32 v76, vcc, 0, v62, vcc
	v_add_co_u32_e32 v77, vcc, v59, v22
	v_addc_co_u32_e32 v78, vcc, 0, v60, vcc
	v_or_b32_e32 v72, v21, v39
	v_add_co_u32_e32 v86, vcc, 0x1c0, v74
	v_cmp_eq_u32_e64 s[30:31], 0, v0
	v_cmp_lt_u32_e64 s[34:35], 1, v0
	s_mov_b32 s78, s71
	v_or_b32_e32 v79, 64, v72
	v_or_b32_e32 v80, 0x80, v72
	;; [unrolled: 1-line block ×7, first 2 shown]
	v_addc_co_u32_e32 v87, vcc, 0, v76, vcc
	s_mov_b32 s72, s51
                                        ; implicit-def: $vgpr0_vgpr1
                                        ; implicit-def: $vgpr6_vgpr7
                                        ; implicit-def: $vgpr8_vgpr9
                                        ; implicit-def: $vgpr10_vgpr11
                                        ; implicit-def: $vgpr12_vgpr13
                                        ; implicit-def: $vgpr14_vgpr15
                                        ; implicit-def: $vgpr16_vgpr17
                                        ; implicit-def: $vgpr18_vgpr19
                                        ; implicit-def: $vgpr66
                                        ; implicit-def: $vgpr67
                                        ; implicit-def: $vgpr68
                                        ; implicit-def: $vgpr69
                                        ; implicit-def: $vgpr70
                                        ; implicit-def: $vgpr71
                                        ; implicit-def: $vgpr73
                                        ; implicit-def: $vgpr75
	s_waitcnt vmcnt(1)
	v_mad_u32_u24 v5, v40, v5, v41
	s_waitcnt vmcnt(0)
	v_mad_u64_u32 v[20:21], s[36:37], v5, v20, v[2:3]
	v_lshrrev_b32_e32 v88, 6, v20
	s_branch .LBB396_566
.LBB396_565:                            ;   in Loop: Header=BB396_566 Depth=2
	s_or_b64 exec, exec, s[36:37]
	s_addk_i32 s78, 0xf800
	s_cmp_lt_u32 s79, s76
	s_mov_b32 s72, s79
	s_cbranch_scc0 .LBB396_10
.LBB396_566:                            ;   Parent Loop BB396_12 Depth=1
                                        ; =>  This Inner Loop Header: Depth=2
	s_add_i32 s79, s72, 0x800
	s_cmp_gt_u32 s79, s76
	s_cbranch_scc1 .LBB396_569
; %bb.567:                              ;   in Loop: Header=BB396_566 Depth=2
	v_add_co_u32_e32 v20, vcc, s72, v74
	v_addc_co_u32_e32 v21, vcc, 0, v76, vcc
	global_load_ubyte v23, v[20:21], off offset:384
	global_load_ubyte v91, v[20:21], off offset:320
	;; [unrolled: 1-line block ×6, first 2 shown]
	global_load_ubyte v5, v[20:21], off
	s_mov_b64 s[36:37], -1
	s_movk_i32 s40, 0x800
	s_cbranch_execz .LBB396_570
; %bb.568:                              ;   in Loop: Header=BB396_566 Depth=2
                                        ; implicit-def: $vgpr22
	v_mov_b32_e32 v89, s78
	s_and_saveexec_b64 s[38:39], s[36:37]
	s_cbranch_execnz .LBB396_579
	s_branch .LBB396_580
.LBB396_569:                            ;   in Loop: Header=BB396_566 Depth=2
	s_mov_b64 s[36:37], 0
                                        ; implicit-def: $sgpr40
                                        ; implicit-def: $vgpr5
                                        ; implicit-def: $vgpr94
                                        ; implicit-def: $vgpr99
                                        ; implicit-def: $vgpr101
                                        ; implicit-def: $vgpr96
                                        ; implicit-def: $vgpr91
                                        ; implicit-def: $vgpr23
.LBB396_570:                            ;   in Loop: Header=BB396_566 Depth=2
	v_add_co_u32_e32 v20, vcc, s72, v74
	v_addc_co_u32_e32 v21, vcc, 0, v76, vcc
	v_cmp_gt_u32_e32 vcc, s78, v72
	s_waitcnt vmcnt(0)
	v_mov_b32_e32 v5, 0x7f
	v_mov_b32_e32 v22, 0x7f
	;; [unrolled: 1-line block ×8, first 2 shown]
	s_and_saveexec_b64 s[36:37], vcc
	s_cbranch_execz .LBB396_672
; %bb.571:                              ;   in Loop: Header=BB396_566 Depth=2
	global_load_ubyte v5, v[20:21], off
	v_mov_b32_e32 v94, 0x7f
	v_mov_b32_e32 v99, 0x7f
	;; [unrolled: 1-line block ×7, first 2 shown]
	s_or_b64 exec, exec, s[36:37]
	v_cmp_gt_u32_e32 vcc, s78, v79
	s_and_saveexec_b64 s[36:37], vcc
	s_cbranch_execnz .LBB396_673
.LBB396_572:                            ;   in Loop: Header=BB396_566 Depth=2
	s_or_b64 exec, exec, s[36:37]
	v_cmp_gt_u32_e32 vcc, s78, v80
	s_and_saveexec_b64 s[36:37], vcc
	s_cbranch_execz .LBB396_674
.LBB396_573:                            ;   in Loop: Header=BB396_566 Depth=2
	global_load_ubyte v99, v[20:21], off offset:128
	s_or_b64 exec, exec, s[36:37]
	v_cmp_gt_u32_e32 vcc, s78, v81
	s_and_saveexec_b64 s[36:37], vcc
	s_cbranch_execnz .LBB396_675
.LBB396_574:                            ;   in Loop: Header=BB396_566 Depth=2
	s_or_b64 exec, exec, s[36:37]
	v_cmp_gt_u32_e32 vcc, s78, v82
	s_and_saveexec_b64 s[36:37], vcc
	s_cbranch_execz .LBB396_676
.LBB396_575:                            ;   in Loop: Header=BB396_566 Depth=2
	global_load_ubyte v96, v[20:21], off offset:256
	s_or_b64 exec, exec, s[36:37]
	v_cmp_gt_u32_e32 vcc, s78, v83
	s_and_saveexec_b64 s[36:37], vcc
	s_cbranch_execnz .LBB396_677
.LBB396_576:                            ;   in Loop: Header=BB396_566 Depth=2
	s_or_b64 exec, exec, s[36:37]
	v_cmp_gt_u32_e32 vcc, s78, v84
	s_and_saveexec_b64 s[36:37], vcc
	s_cbranch_execz .LBB396_578
.LBB396_577:                            ;   in Loop: Header=BB396_566 Depth=2
	global_load_ubyte v23, v[20:21], off offset:384
.LBB396_578:                            ;   in Loop: Header=BB396_566 Depth=2
	s_or_b64 exec, exec, s[36:37]
	s_sub_i32 s40, s76, s72
	v_cmp_gt_u32_e64 s[36:37], s78, v85
	v_mov_b32_e32 v89, s78
	s_and_saveexec_b64 s[38:39], s[36:37]
	s_cbranch_execz .LBB396_580
.LBB396_579:                            ;   in Loop: Header=BB396_566 Depth=2
	v_mov_b32_e32 v21, s73
	v_add_co_u32_e32 v20, vcc, s72, v86
	v_addc_co_u32_e32 v21, vcc, v87, v21, vcc
	global_load_ubyte v22, v[20:21], off
	v_mov_b32_e32 v89, s40
.LBB396_580:                            ;   in Loop: Header=BB396_566 Depth=2
	s_or_b64 exec, exec, s[38:39]
	s_waitcnt vmcnt(0)
	v_xor_b32_e32 v90, 0xffffff80, v5
	v_add_u32_e32 v5, 0x410, v42
	ds_write2_b32 v5, v4, v4 offset1:1
	ds_write2_b32 v44, v4, v4 offset0:2 offset1:3
	ds_write_b32 v44, v4 offset:16
	v_lshrrev_b32_sdwa v5, s69, v90 dst_sel:DWORD dst_unused:UNUSED_PAD src0_sel:DWORD src1_sel:BYTE_0
	v_and_b32_e32 v20, s77, v5
	v_mad_u32_u24 v5, v20, 5, v88
	v_lshl_add_u32 v92, v5, 2, v43
	v_and_b32_e32 v5, 1, v20
	v_add_co_u32_e32 v21, vcc, -1, v5
	v_addc_co_u32_e64 v93, s[36:37], 0, -1, vcc
	v_cmp_ne_u32_e32 vcc, 0, v5
	v_xor_b32_e32 v5, vcc_hi, v93
	v_and_b32_e32 v93, exec_hi, v5
	v_lshlrev_b32_e32 v5, 30, v20
	v_xor_b32_e32 v21, vcc_lo, v21
	v_cmp_gt_i64_e32 vcc, 0, v[4:5]
	v_not_b32_e32 v5, v5
	v_ashrrev_i32_e32 v5, 31, v5
	v_and_b32_e32 v21, exec_lo, v21
	v_xor_b32_e32 v95, vcc_hi, v5
	v_xor_b32_e32 v5, vcc_lo, v5
	v_and_b32_e32 v21, v21, v5
	v_lshlrev_b32_e32 v5, 29, v20
	v_cmp_gt_i64_e32 vcc, 0, v[4:5]
	v_not_b32_e32 v5, v5
	v_ashrrev_i32_e32 v5, 31, v5
	v_and_b32_e32 v93, v93, v95
	v_xor_b32_e32 v95, vcc_hi, v5
	v_xor_b32_e32 v5, vcc_lo, v5
	v_and_b32_e32 v21, v21, v5
	v_lshlrev_b32_e32 v5, 28, v20
	v_cmp_gt_i64_e32 vcc, 0, v[4:5]
	v_not_b32_e32 v5, v5
	v_ashrrev_i32_e32 v5, 31, v5
	v_and_b32_e32 v93, v93, v95
	;; [unrolled: 8-line block ×5, first 2 shown]
	v_xor_b32_e32 v95, vcc_hi, v5
	v_xor_b32_e32 v5, vcc_lo, v5
	v_and_b32_e32 v93, v93, v95
	v_and_b32_e32 v95, v21, v5
	v_lshlrev_b32_e32 v5, 24, v20
	v_cmp_gt_i64_e32 vcc, 0, v[4:5]
	v_not_b32_e32 v5, v5
	v_ashrrev_i32_e32 v5, 31, v5
	v_xor_b32_e32 v20, vcc_hi, v5
	v_xor_b32_e32 v5, vcc_lo, v5
	v_and_b32_e32 v21, v93, v20
	v_and_b32_e32 v20, v95, v5
	v_mbcnt_lo_u32_b32 v5, v20, 0
	v_mbcnt_hi_u32_b32 v93, v21, v5
	v_cmp_eq_u32_e32 vcc, 0, v93
	v_cmp_ne_u64_e64 s[36:37], 0, v[20:21]
	s_and_b64 s[38:39], s[36:37], vcc
	s_waitcnt lgkmcnt(0)
	s_barrier
	s_waitcnt lgkmcnt(0)
	; wave barrier
	s_and_saveexec_b64 s[36:37], s[38:39]
	s_cbranch_execz .LBB396_582
; %bb.581:                              ;   in Loop: Header=BB396_566 Depth=2
	v_bcnt_u32_b32 v5, v20, 0
	v_bcnt_u32_b32 v5, v21, v5
	ds_write_b32 v92, v5
.LBB396_582:                            ;   in Loop: Header=BB396_566 Depth=2
	s_or_b64 exec, exec, s[36:37]
	v_xor_b32_e32 v94, 0xffffff80, v94
	v_lshrrev_b32_sdwa v5, s69, v94 dst_sel:DWORD dst_unused:UNUSED_PAD src0_sel:DWORD src1_sel:BYTE_0
	v_and_b32_e32 v20, s77, v5
	v_mul_u32_u24_e32 v5, 5, v20
	v_add_lshl_u32 v5, v5, v88, 2
	; wave barrier
	v_add_u32_e32 v97, 0x410, v5
	ds_read_b32 v95, v5 offset:1040
	v_and_b32_e32 v5, 1, v20
	v_add_co_u32_e32 v21, vcc, -1, v5
	v_addc_co_u32_e64 v98, s[36:37], 0, -1, vcc
	v_cmp_ne_u32_e32 vcc, 0, v5
	v_xor_b32_e32 v5, vcc_hi, v98
	v_and_b32_e32 v98, exec_hi, v5
	v_lshlrev_b32_e32 v5, 30, v20
	v_xor_b32_e32 v21, vcc_lo, v21
	v_cmp_gt_i64_e32 vcc, 0, v[4:5]
	v_not_b32_e32 v5, v5
	v_ashrrev_i32_e32 v5, 31, v5
	v_and_b32_e32 v21, exec_lo, v21
	v_xor_b32_e32 v100, vcc_hi, v5
	v_xor_b32_e32 v5, vcc_lo, v5
	v_and_b32_e32 v21, v21, v5
	v_lshlrev_b32_e32 v5, 29, v20
	v_cmp_gt_i64_e32 vcc, 0, v[4:5]
	v_not_b32_e32 v5, v5
	v_ashrrev_i32_e32 v5, 31, v5
	v_and_b32_e32 v98, v98, v100
	v_xor_b32_e32 v100, vcc_hi, v5
	v_xor_b32_e32 v5, vcc_lo, v5
	v_and_b32_e32 v21, v21, v5
	v_lshlrev_b32_e32 v5, 28, v20
	v_cmp_gt_i64_e32 vcc, 0, v[4:5]
	v_not_b32_e32 v5, v5
	v_ashrrev_i32_e32 v5, 31, v5
	v_and_b32_e32 v98, v98, v100
	v_xor_b32_e32 v100, vcc_hi, v5
	v_xor_b32_e32 v5, vcc_lo, v5
	v_and_b32_e32 v21, v21, v5
	v_lshlrev_b32_e32 v5, 27, v20
	v_cmp_gt_i64_e32 vcc, 0, v[4:5]
	v_not_b32_e32 v5, v5
	v_ashrrev_i32_e32 v5, 31, v5
	v_and_b32_e32 v98, v98, v100
	v_xor_b32_e32 v100, vcc_hi, v5
	v_xor_b32_e32 v5, vcc_lo, v5
	v_and_b32_e32 v21, v21, v5
	v_lshlrev_b32_e32 v5, 26, v20
	v_cmp_gt_i64_e32 vcc, 0, v[4:5]
	v_not_b32_e32 v5, v5
	v_ashrrev_i32_e32 v5, 31, v5
	v_and_b32_e32 v98, v98, v100
	v_xor_b32_e32 v100, vcc_hi, v5
	v_xor_b32_e32 v5, vcc_lo, v5
	v_and_b32_e32 v21, v21, v5
	v_lshlrev_b32_e32 v5, 25, v20
	v_cmp_gt_i64_e32 vcc, 0, v[4:5]
	v_not_b32_e32 v5, v5
	v_ashrrev_i32_e32 v5, 31, v5
	v_and_b32_e32 v98, v98, v100
	v_xor_b32_e32 v100, vcc_hi, v5
	v_xor_b32_e32 v5, vcc_lo, v5
	v_and_b32_e32 v98, v98, v100
	v_and_b32_e32 v100, v21, v5
	v_lshlrev_b32_e32 v5, 24, v20
	v_cmp_gt_i64_e32 vcc, 0, v[4:5]
	v_not_b32_e32 v5, v5
	v_ashrrev_i32_e32 v5, 31, v5
	v_xor_b32_e32 v20, vcc_hi, v5
	v_xor_b32_e32 v5, vcc_lo, v5
	v_and_b32_e32 v21, v98, v20
	v_and_b32_e32 v20, v100, v5
	v_mbcnt_lo_u32_b32 v5, v20, 0
	v_mbcnt_hi_u32_b32 v98, v21, v5
	v_cmp_eq_u32_e32 vcc, 0, v98
	v_cmp_ne_u64_e64 s[36:37], 0, v[20:21]
	s_and_b64 s[38:39], s[36:37], vcc
	; wave barrier
	s_and_saveexec_b64 s[36:37], s[38:39]
	s_cbranch_execz .LBB396_584
; %bb.583:                              ;   in Loop: Header=BB396_566 Depth=2
	v_bcnt_u32_b32 v5, v20, 0
	v_bcnt_u32_b32 v5, v21, v5
	s_waitcnt lgkmcnt(0)
	v_add_u32_e32 v5, v95, v5
	ds_write_b32 v97, v5
.LBB396_584:                            ;   in Loop: Header=BB396_566 Depth=2
	s_or_b64 exec, exec, s[36:37]
	v_xor_b32_e32 v99, 0xffffff80, v99
	v_lshrrev_b32_sdwa v5, s69, v99 dst_sel:DWORD dst_unused:UNUSED_PAD src0_sel:DWORD src1_sel:BYTE_0
	v_and_b32_e32 v20, s77, v5
	v_mul_u32_u24_e32 v5, 5, v20
	v_add_lshl_u32 v5, v5, v88, 2
	; wave barrier
	v_add_u32_e32 v102, 0x410, v5
	ds_read_b32 v100, v5 offset:1040
	v_and_b32_e32 v5, 1, v20
	v_add_co_u32_e32 v21, vcc, -1, v5
	v_addc_co_u32_e64 v103, s[36:37], 0, -1, vcc
	v_cmp_ne_u32_e32 vcc, 0, v5
	v_xor_b32_e32 v5, vcc_hi, v103
	v_and_b32_e32 v103, exec_hi, v5
	v_lshlrev_b32_e32 v5, 30, v20
	v_xor_b32_e32 v21, vcc_lo, v21
	v_cmp_gt_i64_e32 vcc, 0, v[4:5]
	v_not_b32_e32 v5, v5
	v_ashrrev_i32_e32 v5, 31, v5
	v_and_b32_e32 v21, exec_lo, v21
	v_xor_b32_e32 v104, vcc_hi, v5
	v_xor_b32_e32 v5, vcc_lo, v5
	v_and_b32_e32 v21, v21, v5
	v_lshlrev_b32_e32 v5, 29, v20
	v_cmp_gt_i64_e32 vcc, 0, v[4:5]
	v_not_b32_e32 v5, v5
	v_ashrrev_i32_e32 v5, 31, v5
	v_and_b32_e32 v103, v103, v104
	v_xor_b32_e32 v104, vcc_hi, v5
	v_xor_b32_e32 v5, vcc_lo, v5
	v_and_b32_e32 v21, v21, v5
	v_lshlrev_b32_e32 v5, 28, v20
	v_cmp_gt_i64_e32 vcc, 0, v[4:5]
	v_not_b32_e32 v5, v5
	v_ashrrev_i32_e32 v5, 31, v5
	v_and_b32_e32 v103, v103, v104
	;; [unrolled: 8-line block ×5, first 2 shown]
	v_xor_b32_e32 v104, vcc_hi, v5
	v_xor_b32_e32 v5, vcc_lo, v5
	v_and_b32_e32 v103, v103, v104
	v_and_b32_e32 v104, v21, v5
	v_lshlrev_b32_e32 v5, 24, v20
	v_cmp_gt_i64_e32 vcc, 0, v[4:5]
	v_not_b32_e32 v5, v5
	v_ashrrev_i32_e32 v5, 31, v5
	v_xor_b32_e32 v20, vcc_hi, v5
	v_xor_b32_e32 v5, vcc_lo, v5
	v_and_b32_e32 v21, v103, v20
	v_and_b32_e32 v20, v104, v5
	v_mbcnt_lo_u32_b32 v5, v20, 0
	v_mbcnt_hi_u32_b32 v103, v21, v5
	v_cmp_eq_u32_e32 vcc, 0, v103
	v_cmp_ne_u64_e64 s[36:37], 0, v[20:21]
	s_and_b64 s[38:39], s[36:37], vcc
	; wave barrier
	s_and_saveexec_b64 s[36:37], s[38:39]
	s_cbranch_execz .LBB396_586
; %bb.585:                              ;   in Loop: Header=BB396_566 Depth=2
	v_bcnt_u32_b32 v5, v20, 0
	v_bcnt_u32_b32 v5, v21, v5
	s_waitcnt lgkmcnt(0)
	v_add_u32_e32 v5, v100, v5
	ds_write_b32 v102, v5
.LBB396_586:                            ;   in Loop: Header=BB396_566 Depth=2
	s_or_b64 exec, exec, s[36:37]
	v_xor_b32_e32 v101, 0xffffff80, v101
	v_lshrrev_b32_sdwa v5, s69, v101 dst_sel:DWORD dst_unused:UNUSED_PAD src0_sel:DWORD src1_sel:BYTE_0
	v_and_b32_e32 v20, s77, v5
	v_mul_u32_u24_e32 v5, 5, v20
	v_add_lshl_u32 v5, v5, v88, 2
	; wave barrier
	v_add_u32_e32 v105, 0x410, v5
	ds_read_b32 v104, v5 offset:1040
	v_and_b32_e32 v5, 1, v20
	v_add_co_u32_e32 v21, vcc, -1, v5
	v_addc_co_u32_e64 v106, s[36:37], 0, -1, vcc
	v_cmp_ne_u32_e32 vcc, 0, v5
	v_xor_b32_e32 v5, vcc_hi, v106
	v_and_b32_e32 v106, exec_hi, v5
	v_lshlrev_b32_e32 v5, 30, v20
	v_xor_b32_e32 v21, vcc_lo, v21
	v_cmp_gt_i64_e32 vcc, 0, v[4:5]
	v_not_b32_e32 v5, v5
	v_ashrrev_i32_e32 v5, 31, v5
	v_and_b32_e32 v21, exec_lo, v21
	v_xor_b32_e32 v107, vcc_hi, v5
	v_xor_b32_e32 v5, vcc_lo, v5
	v_and_b32_e32 v21, v21, v5
	v_lshlrev_b32_e32 v5, 29, v20
	v_cmp_gt_i64_e32 vcc, 0, v[4:5]
	v_not_b32_e32 v5, v5
	v_ashrrev_i32_e32 v5, 31, v5
	v_and_b32_e32 v106, v106, v107
	v_xor_b32_e32 v107, vcc_hi, v5
	v_xor_b32_e32 v5, vcc_lo, v5
	v_and_b32_e32 v21, v21, v5
	v_lshlrev_b32_e32 v5, 28, v20
	v_cmp_gt_i64_e32 vcc, 0, v[4:5]
	v_not_b32_e32 v5, v5
	v_ashrrev_i32_e32 v5, 31, v5
	v_and_b32_e32 v106, v106, v107
	;; [unrolled: 8-line block ×5, first 2 shown]
	v_xor_b32_e32 v107, vcc_hi, v5
	v_xor_b32_e32 v5, vcc_lo, v5
	v_and_b32_e32 v106, v106, v107
	v_and_b32_e32 v107, v21, v5
	v_lshlrev_b32_e32 v5, 24, v20
	v_cmp_gt_i64_e32 vcc, 0, v[4:5]
	v_not_b32_e32 v5, v5
	v_ashrrev_i32_e32 v5, 31, v5
	v_xor_b32_e32 v20, vcc_hi, v5
	v_xor_b32_e32 v5, vcc_lo, v5
	v_and_b32_e32 v21, v106, v20
	v_and_b32_e32 v20, v107, v5
	v_mbcnt_lo_u32_b32 v5, v20, 0
	v_mbcnt_hi_u32_b32 v106, v21, v5
	v_cmp_eq_u32_e32 vcc, 0, v106
	v_cmp_ne_u64_e64 s[36:37], 0, v[20:21]
	s_and_b64 s[38:39], s[36:37], vcc
	; wave barrier
	s_and_saveexec_b64 s[36:37], s[38:39]
	s_cbranch_execz .LBB396_588
; %bb.587:                              ;   in Loop: Header=BB396_566 Depth=2
	v_bcnt_u32_b32 v5, v20, 0
	v_bcnt_u32_b32 v5, v21, v5
	s_waitcnt lgkmcnt(0)
	v_add_u32_e32 v5, v104, v5
	ds_write_b32 v105, v5
.LBB396_588:                            ;   in Loop: Header=BB396_566 Depth=2
	s_or_b64 exec, exec, s[36:37]
	v_xor_b32_e32 v96, 0xffffff80, v96
	v_lshrrev_b32_sdwa v5, s69, v96 dst_sel:DWORD dst_unused:UNUSED_PAD src0_sel:DWORD src1_sel:BYTE_0
	v_and_b32_e32 v20, s77, v5
	v_mul_u32_u24_e32 v5, 5, v20
	v_add_lshl_u32 v5, v5, v88, 2
	; wave barrier
	v_add_u32_e32 v108, 0x410, v5
	ds_read_b32 v107, v5 offset:1040
	v_and_b32_e32 v5, 1, v20
	v_add_co_u32_e32 v21, vcc, -1, v5
	v_addc_co_u32_e64 v109, s[36:37], 0, -1, vcc
	v_cmp_ne_u32_e32 vcc, 0, v5
	v_xor_b32_e32 v5, vcc_hi, v109
	v_and_b32_e32 v109, exec_hi, v5
	v_lshlrev_b32_e32 v5, 30, v20
	v_xor_b32_e32 v21, vcc_lo, v21
	v_cmp_gt_i64_e32 vcc, 0, v[4:5]
	v_not_b32_e32 v5, v5
	v_ashrrev_i32_e32 v5, 31, v5
	v_and_b32_e32 v21, exec_lo, v21
	v_xor_b32_e32 v110, vcc_hi, v5
	v_xor_b32_e32 v5, vcc_lo, v5
	v_and_b32_e32 v21, v21, v5
	v_lshlrev_b32_e32 v5, 29, v20
	v_cmp_gt_i64_e32 vcc, 0, v[4:5]
	v_not_b32_e32 v5, v5
	v_ashrrev_i32_e32 v5, 31, v5
	v_and_b32_e32 v109, v109, v110
	v_xor_b32_e32 v110, vcc_hi, v5
	v_xor_b32_e32 v5, vcc_lo, v5
	v_and_b32_e32 v21, v21, v5
	v_lshlrev_b32_e32 v5, 28, v20
	v_cmp_gt_i64_e32 vcc, 0, v[4:5]
	v_not_b32_e32 v5, v5
	v_ashrrev_i32_e32 v5, 31, v5
	v_and_b32_e32 v109, v109, v110
	;; [unrolled: 8-line block ×5, first 2 shown]
	v_xor_b32_e32 v110, vcc_hi, v5
	v_xor_b32_e32 v5, vcc_lo, v5
	v_and_b32_e32 v109, v109, v110
	v_and_b32_e32 v110, v21, v5
	v_lshlrev_b32_e32 v5, 24, v20
	v_cmp_gt_i64_e32 vcc, 0, v[4:5]
	v_not_b32_e32 v5, v5
	v_ashrrev_i32_e32 v5, 31, v5
	v_xor_b32_e32 v20, vcc_hi, v5
	v_xor_b32_e32 v5, vcc_lo, v5
	v_and_b32_e32 v21, v109, v20
	v_and_b32_e32 v20, v110, v5
	v_mbcnt_lo_u32_b32 v5, v20, 0
	v_mbcnt_hi_u32_b32 v109, v21, v5
	v_cmp_eq_u32_e32 vcc, 0, v109
	v_cmp_ne_u64_e64 s[36:37], 0, v[20:21]
	s_and_b64 s[38:39], s[36:37], vcc
	; wave barrier
	s_and_saveexec_b64 s[36:37], s[38:39]
	s_cbranch_execz .LBB396_590
; %bb.589:                              ;   in Loop: Header=BB396_566 Depth=2
	v_bcnt_u32_b32 v5, v20, 0
	v_bcnt_u32_b32 v5, v21, v5
	s_waitcnt lgkmcnt(0)
	v_add_u32_e32 v5, v107, v5
	ds_write_b32 v108, v5
.LBB396_590:                            ;   in Loop: Header=BB396_566 Depth=2
	s_or_b64 exec, exec, s[36:37]
	v_xor_b32_e32 v91, 0xffffff80, v91
	v_lshrrev_b32_sdwa v5, s69, v91 dst_sel:DWORD dst_unused:UNUSED_PAD src0_sel:DWORD src1_sel:BYTE_0
	v_and_b32_e32 v20, s77, v5
	v_mul_u32_u24_e32 v5, 5, v20
	v_add_lshl_u32 v5, v5, v88, 2
	; wave barrier
	v_add_u32_e32 v111, 0x410, v5
	ds_read_b32 v110, v5 offset:1040
	v_and_b32_e32 v5, 1, v20
	v_add_co_u32_e32 v21, vcc, -1, v5
	v_addc_co_u32_e64 v112, s[36:37], 0, -1, vcc
	v_cmp_ne_u32_e32 vcc, 0, v5
	v_xor_b32_e32 v5, vcc_hi, v112
	v_and_b32_e32 v112, exec_hi, v5
	v_lshlrev_b32_e32 v5, 30, v20
	v_xor_b32_e32 v21, vcc_lo, v21
	v_cmp_gt_i64_e32 vcc, 0, v[4:5]
	v_not_b32_e32 v5, v5
	v_ashrrev_i32_e32 v5, 31, v5
	v_and_b32_e32 v21, exec_lo, v21
	v_xor_b32_e32 v113, vcc_hi, v5
	v_xor_b32_e32 v5, vcc_lo, v5
	v_and_b32_e32 v21, v21, v5
	v_lshlrev_b32_e32 v5, 29, v20
	v_cmp_gt_i64_e32 vcc, 0, v[4:5]
	v_not_b32_e32 v5, v5
	v_ashrrev_i32_e32 v5, 31, v5
	v_and_b32_e32 v112, v112, v113
	v_xor_b32_e32 v113, vcc_hi, v5
	v_xor_b32_e32 v5, vcc_lo, v5
	v_and_b32_e32 v21, v21, v5
	v_lshlrev_b32_e32 v5, 28, v20
	v_cmp_gt_i64_e32 vcc, 0, v[4:5]
	v_not_b32_e32 v5, v5
	v_ashrrev_i32_e32 v5, 31, v5
	v_and_b32_e32 v112, v112, v113
	;; [unrolled: 8-line block ×5, first 2 shown]
	v_xor_b32_e32 v113, vcc_hi, v5
	v_xor_b32_e32 v5, vcc_lo, v5
	v_and_b32_e32 v112, v112, v113
	v_and_b32_e32 v113, v21, v5
	v_lshlrev_b32_e32 v5, 24, v20
	v_cmp_gt_i64_e32 vcc, 0, v[4:5]
	v_not_b32_e32 v5, v5
	v_ashrrev_i32_e32 v5, 31, v5
	v_xor_b32_e32 v20, vcc_hi, v5
	v_xor_b32_e32 v5, vcc_lo, v5
	v_and_b32_e32 v21, v112, v20
	v_and_b32_e32 v20, v113, v5
	v_mbcnt_lo_u32_b32 v5, v20, 0
	v_mbcnt_hi_u32_b32 v112, v21, v5
	v_cmp_eq_u32_e32 vcc, 0, v112
	v_cmp_ne_u64_e64 s[36:37], 0, v[20:21]
	s_and_b64 s[38:39], s[36:37], vcc
	; wave barrier
	s_and_saveexec_b64 s[36:37], s[38:39]
	s_cbranch_execz .LBB396_592
; %bb.591:                              ;   in Loop: Header=BB396_566 Depth=2
	v_bcnt_u32_b32 v5, v20, 0
	v_bcnt_u32_b32 v5, v21, v5
	s_waitcnt lgkmcnt(0)
	v_add_u32_e32 v5, v110, v5
	ds_write_b32 v111, v5
.LBB396_592:                            ;   in Loop: Header=BB396_566 Depth=2
	s_or_b64 exec, exec, s[36:37]
	v_xor_b32_e32 v113, 0xffffff80, v23
	v_lshrrev_b32_sdwa v5, s69, v113 dst_sel:DWORD dst_unused:UNUSED_PAD src0_sel:DWORD src1_sel:BYTE_0
	v_and_b32_e32 v20, s77, v5
	v_mul_u32_u24_e32 v5, 5, v20
	v_add_lshl_u32 v5, v5, v88, 2
	; wave barrier
	v_add_u32_e32 v115, 0x410, v5
	ds_read_b32 v114, v5 offset:1040
	v_and_b32_e32 v5, 1, v20
	v_add_co_u32_e32 v21, vcc, -1, v5
	v_addc_co_u32_e64 v23, s[36:37], 0, -1, vcc
	v_cmp_ne_u32_e32 vcc, 0, v5
	v_xor_b32_e32 v5, vcc_hi, v23
	v_and_b32_e32 v23, exec_hi, v5
	v_lshlrev_b32_e32 v5, 30, v20
	v_xor_b32_e32 v21, vcc_lo, v21
	v_cmp_gt_i64_e32 vcc, 0, v[4:5]
	v_not_b32_e32 v5, v5
	v_ashrrev_i32_e32 v5, 31, v5
	v_and_b32_e32 v21, exec_lo, v21
	v_xor_b32_e32 v116, vcc_hi, v5
	v_xor_b32_e32 v5, vcc_lo, v5
	v_and_b32_e32 v21, v21, v5
	v_lshlrev_b32_e32 v5, 29, v20
	v_cmp_gt_i64_e32 vcc, 0, v[4:5]
	v_not_b32_e32 v5, v5
	v_ashrrev_i32_e32 v5, 31, v5
	v_and_b32_e32 v23, v23, v116
	v_xor_b32_e32 v116, vcc_hi, v5
	v_xor_b32_e32 v5, vcc_lo, v5
	v_and_b32_e32 v21, v21, v5
	v_lshlrev_b32_e32 v5, 28, v20
	v_cmp_gt_i64_e32 vcc, 0, v[4:5]
	v_not_b32_e32 v5, v5
	v_ashrrev_i32_e32 v5, 31, v5
	v_and_b32_e32 v23, v23, v116
	;; [unrolled: 8-line block ×5, first 2 shown]
	v_xor_b32_e32 v116, vcc_hi, v5
	v_xor_b32_e32 v5, vcc_lo, v5
	v_and_b32_e32 v23, v23, v116
	v_and_b32_e32 v116, v21, v5
	v_lshlrev_b32_e32 v5, 24, v20
	v_cmp_gt_i64_e32 vcc, 0, v[4:5]
	v_not_b32_e32 v5, v5
	v_ashrrev_i32_e32 v5, 31, v5
	v_xor_b32_e32 v20, vcc_hi, v5
	v_xor_b32_e32 v5, vcc_lo, v5
	v_and_b32_e32 v21, v23, v20
	v_and_b32_e32 v20, v116, v5
	v_mbcnt_lo_u32_b32 v5, v20, 0
	v_mbcnt_hi_u32_b32 v116, v21, v5
	v_cmp_eq_u32_e32 vcc, 0, v116
	v_cmp_ne_u64_e64 s[36:37], 0, v[20:21]
	s_and_b64 s[38:39], s[36:37], vcc
	; wave barrier
	s_and_saveexec_b64 s[36:37], s[38:39]
	s_cbranch_execz .LBB396_594
; %bb.593:                              ;   in Loop: Header=BB396_566 Depth=2
	v_bcnt_u32_b32 v5, v20, 0
	v_bcnt_u32_b32 v5, v21, v5
	s_waitcnt lgkmcnt(0)
	v_add_u32_e32 v5, v114, v5
	ds_write_b32 v115, v5
.LBB396_594:                            ;   in Loop: Header=BB396_566 Depth=2
	s_or_b64 exec, exec, s[36:37]
	v_xor_b32_e32 v117, 0xffffff80, v22
	v_lshrrev_b32_sdwa v5, s69, v117 dst_sel:DWORD dst_unused:UNUSED_PAD src0_sel:DWORD src1_sel:BYTE_0
	v_and_b32_e32 v20, s77, v5
	v_mul_u32_u24_e32 v5, 5, v20
	v_add_lshl_u32 v5, v5, v88, 2
	; wave barrier
	v_add_u32_e32 v119, 0x410, v5
	ds_read_b32 v118, v5 offset:1040
	v_and_b32_e32 v5, 1, v20
	v_add_co_u32_e32 v21, vcc, -1, v5
	v_addc_co_u32_e64 v22, s[36:37], 0, -1, vcc
	v_cmp_ne_u32_e32 vcc, 0, v5
	v_xor_b32_e32 v5, vcc_hi, v22
	v_and_b32_e32 v22, exec_hi, v5
	v_lshlrev_b32_e32 v5, 30, v20
	v_xor_b32_e32 v21, vcc_lo, v21
	v_cmp_gt_i64_e32 vcc, 0, v[4:5]
	v_not_b32_e32 v5, v5
	v_ashrrev_i32_e32 v5, 31, v5
	v_and_b32_e32 v21, exec_lo, v21
	v_xor_b32_e32 v23, vcc_hi, v5
	v_xor_b32_e32 v5, vcc_lo, v5
	v_and_b32_e32 v21, v21, v5
	v_lshlrev_b32_e32 v5, 29, v20
	v_cmp_gt_i64_e32 vcc, 0, v[4:5]
	v_not_b32_e32 v5, v5
	v_ashrrev_i32_e32 v5, 31, v5
	v_and_b32_e32 v22, v22, v23
	v_xor_b32_e32 v23, vcc_hi, v5
	v_xor_b32_e32 v5, vcc_lo, v5
	v_and_b32_e32 v21, v21, v5
	v_lshlrev_b32_e32 v5, 28, v20
	v_cmp_gt_i64_e32 vcc, 0, v[4:5]
	v_not_b32_e32 v5, v5
	v_ashrrev_i32_e32 v5, 31, v5
	v_and_b32_e32 v22, v22, v23
	;; [unrolled: 8-line block ×5, first 2 shown]
	v_xor_b32_e32 v23, vcc_hi, v5
	v_xor_b32_e32 v5, vcc_lo, v5
	v_and_b32_e32 v22, v22, v23
	v_and_b32_e32 v23, v21, v5
	v_lshlrev_b32_e32 v5, 24, v20
	v_cmp_gt_i64_e32 vcc, 0, v[4:5]
	v_not_b32_e32 v5, v5
	v_ashrrev_i32_e32 v5, 31, v5
	v_xor_b32_e32 v20, vcc_hi, v5
	v_xor_b32_e32 v5, vcc_lo, v5
	v_and_b32_e32 v21, v22, v20
	v_and_b32_e32 v20, v23, v5
	v_mbcnt_lo_u32_b32 v5, v20, 0
	v_mbcnt_hi_u32_b32 v120, v21, v5
	v_cmp_eq_u32_e32 vcc, 0, v120
	v_cmp_ne_u64_e64 s[36:37], 0, v[20:21]
	s_and_b64 s[38:39], s[36:37], vcc
	; wave barrier
	s_and_saveexec_b64 s[36:37], s[38:39]
	s_cbranch_execz .LBB396_596
; %bb.595:                              ;   in Loop: Header=BB396_566 Depth=2
	v_bcnt_u32_b32 v5, v20, 0
	v_bcnt_u32_b32 v5, v21, v5
	s_waitcnt lgkmcnt(0)
	v_add_u32_e32 v5, v118, v5
	ds_write_b32 v119, v5
.LBB396_596:                            ;   in Loop: Header=BB396_566 Depth=2
	s_or_b64 exec, exec, s[36:37]
	; wave barrier
	s_waitcnt lgkmcnt(0)
	s_barrier
	ds_read_b32 v5, v42 offset:1040
	ds_read2_b32 v[22:23], v44 offset0:1 offset1:2
	ds_read2_b32 v[20:21], v44 offset0:3 offset1:4
	s_waitcnt lgkmcnt(1)
	v_add3_u32 v121, v22, v5, v23
	s_waitcnt lgkmcnt(0)
	v_add3_u32 v21, v121, v20, v21
	s_nop 1
	v_mov_b32_dpp v121, v21 row_shr:1 row_mask:0xf bank_mask:0xf
	v_cndmask_b32_e64 v121, v121, 0, s[16:17]
	v_add_u32_e32 v21, v121, v21
	s_nop 1
	v_mov_b32_dpp v121, v21 row_shr:2 row_mask:0xf bank_mask:0xf
	v_cndmask_b32_e64 v121, 0, v121, s[18:19]
	v_add_u32_e32 v21, v21, v121
	;; [unrolled: 4-line block ×4, first 2 shown]
	s_nop 1
	v_mov_b32_dpp v121, v21 row_bcast:15 row_mask:0xf bank_mask:0xf
	v_cndmask_b32_e64 v121, v121, 0, s[24:25]
	v_add_u32_e32 v21, v21, v121
	s_nop 1
	v_mov_b32_dpp v121, v21 row_bcast:31 row_mask:0xf bank_mask:0xf
	v_cndmask_b32_e64 v121, 0, v121, s[26:27]
	v_add_u32_e32 v21, v21, v121
	s_and_saveexec_b64 s[36:37], s[6:7]
	s_cbranch_execz .LBB396_598
; %bb.597:                              ;   in Loop: Header=BB396_566 Depth=2
	ds_write_b32 v35, v21 offset:1024
.LBB396_598:                            ;   in Loop: Header=BB396_566 Depth=2
	s_or_b64 exec, exec, s[36:37]
	s_waitcnt lgkmcnt(0)
	s_barrier
	s_and_saveexec_b64 s[36:37], s[8:9]
	s_cbranch_execz .LBB396_600
; %bb.599:                              ;   in Loop: Header=BB396_566 Depth=2
	v_add_u32_e32 v121, v42, v45
	ds_read_b32 v122, v121 offset:1024
	s_waitcnt lgkmcnt(0)
	s_nop 0
	v_mov_b32_dpp v123, v122 row_shr:1 row_mask:0xf bank_mask:0xf
	v_cndmask_b32_e64 v123, v123, 0, s[30:31]
	v_add_u32_e32 v122, v123, v122
	s_nop 1
	v_mov_b32_dpp v123, v122 row_shr:2 row_mask:0xf bank_mask:0xf
	v_cndmask_b32_e64 v123, 0, v123, s[34:35]
	v_add_u32_e32 v122, v122, v123
	ds_write_b32 v121, v122 offset:1024
.LBB396_600:                            ;   in Loop: Header=BB396_566 Depth=2
	s_or_b64 exec, exec, s[36:37]
	v_mov_b32_e32 v121, 0
	s_waitcnt lgkmcnt(0)
	s_barrier
	s_and_saveexec_b64 s[36:37], s[10:11]
	s_cbranch_execz .LBB396_602
; %bb.601:                              ;   in Loop: Header=BB396_566 Depth=2
	ds_read_b32 v121, v35 offset:1020
.LBB396_602:                            ;   in Loop: Header=BB396_566 Depth=2
	s_or_b64 exec, exec, s[36:37]
	s_waitcnt lgkmcnt(0)
	v_add_u32_e32 v21, v121, v21
	ds_bpermute_b32 v21, v65, v21
	s_waitcnt lgkmcnt(0)
	v_cndmask_b32_e64 v21, v21, v121, s[28:29]
	v_cndmask_b32_e64 v21, v21, 0, s[12:13]
	v_add_u32_e32 v5, v21, v5
	ds_write_b32 v42, v21 offset:1040
	v_add_u32_e32 v21, v5, v22
	v_add_u32_e32 v22, v21, v23
	ds_write2_b32 v44, v5, v21 offset0:1 offset1:2
	v_add_u32_e32 v5, v22, v20
	ds_write2_b32 v44, v22, v5 offset0:3 offset1:4
	s_waitcnt lgkmcnt(0)
	s_barrier
	ds_read_b32 v20, v97
	ds_read_b32 v21, v102
	ds_read_b32 v22, v105
	ds_read_b32 v23, v108
	ds_read_b32 v105, v111
	ds_read_b32 v108, v115
	ds_read_b32 v111, v119
	ds_read_b32 v92, v92
	ds_read_b32 v97, v42 offset:1040
	v_mov_b32_e32 v5, 0x800
	s_and_saveexec_b64 s[36:37], s[14:15]
	s_cbranch_execz .LBB396_604
; %bb.603:                              ;   in Loop: Header=BB396_566 Depth=2
	ds_read_b32 v5, v42 offset:1060
.LBB396_604:                            ;   in Loop: Header=BB396_566 Depth=2
	s_or_b64 exec, exec, s[36:37]
	s_waitcnt lgkmcnt(0)
	s_barrier
	s_and_saveexec_b64 s[36:37], s[4:5]
	s_cbranch_execz .LBB396_606
; %bb.605:                              ;   in Loop: Header=BB396_566 Depth=2
	ds_read_b32 v102, v3
	s_waitcnt lgkmcnt(0)
	v_sub_u32_e32 v97, v102, v97
	ds_write_b32 v3, v97
.LBB396_606:                            ;   in Loop: Header=BB396_566 Depth=2
	s_or_b64 exec, exec, s[36:37]
	v_add_u32_e32 v102, v92, v93
	v_add3_u32 v98, v98, v95, v20
	v_add3_u32 v97, v103, v100, v21
	;; [unrolled: 1-line block ×7, first 2 shown]
	v_cmp_lt_u32_e64 s[48:49], v2, v89
	ds_write_b8 v102, v90 offset:1024
	ds_write_b8 v98, v94 offset:1024
	;; [unrolled: 1-line block ×8, first 2 shown]
	s_waitcnt lgkmcnt(0)
	s_barrier
	s_and_saveexec_b64 s[36:37], s[48:49]
	s_cbranch_execz .LBB396_614
; %bb.607:                              ;   in Loop: Header=BB396_566 Depth=2
	ds_read_u8 v20, v2 offset:1024
	s_waitcnt lgkmcnt(0)
	v_lshrrev_b32_sdwa v21, s69, v20 dst_sel:DWORD dst_unused:UNUSED_PAD src0_sel:DWORD src1_sel:BYTE_0
	v_and_b32_e32 v21, s77, v21
	v_lshlrev_b32_e32 v21, 2, v21
	ds_read_b32 v21, v21
	v_xor_b32_e32 v20, 0x80, v20
	s_waitcnt lgkmcnt(0)
	v_add_u32_e32 v21, v21, v2
	global_store_byte v21, v20, s[60:61]
	s_or_b64 exec, exec, s[36:37]
	v_cmp_lt_u32_e64 s[46:47], v24, v89
	s_and_saveexec_b64 s[36:37], s[46:47]
	s_cbranch_execnz .LBB396_615
.LBB396_608:                            ;   in Loop: Header=BB396_566 Depth=2
	s_or_b64 exec, exec, s[36:37]
	v_cmp_lt_u32_e64 s[44:45], v25, v89
	s_and_saveexec_b64 s[36:37], s[44:45]
	s_cbranch_execz .LBB396_616
.LBB396_609:                            ;   in Loop: Header=BB396_566 Depth=2
	ds_read_u8 v20, v30 offset:512
	s_waitcnt lgkmcnt(0)
	v_lshrrev_b32_sdwa v21, s69, v20 dst_sel:DWORD dst_unused:UNUSED_PAD src0_sel:DWORD src1_sel:BYTE_0
	v_and_b32_e32 v21, s77, v21
	v_lshlrev_b32_e32 v21, 2, v21
	ds_read_b32 v21, v21
	v_xor_b32_e32 v20, 0x80, v20
	s_waitcnt lgkmcnt(0)
	v_add_u32_e32 v21, v21, v25
	global_store_byte v21, v20, s[60:61]
	s_or_b64 exec, exec, s[36:37]
	v_cmp_lt_u32_e64 s[42:43], v26, v89
	s_and_saveexec_b64 s[36:37], s[42:43]
	s_cbranch_execnz .LBB396_617
.LBB396_610:                            ;   in Loop: Header=BB396_566 Depth=2
	s_or_b64 exec, exec, s[36:37]
	v_cmp_lt_u32_e64 s[40:41], v30, v89
	s_and_saveexec_b64 s[36:37], s[40:41]
	s_cbranch_execz .LBB396_618
.LBB396_611:                            ;   in Loop: Header=BB396_566 Depth=2
	ds_read_u8 v20, v30 offset:1024
	s_waitcnt lgkmcnt(0)
	v_lshrrev_b32_sdwa v21, s69, v20 dst_sel:DWORD dst_unused:UNUSED_PAD src0_sel:DWORD src1_sel:BYTE_0
	v_and_b32_e32 v21, s77, v21
	v_lshlrev_b32_e32 v21, 2, v21
	ds_read_b32 v21, v21
	v_xor_b32_e32 v20, 0x80, v20
	s_waitcnt lgkmcnt(0)
	v_add_u32_e32 v21, v21, v30
	global_store_byte v21, v20, s[60:61]
	s_or_b64 exec, exec, s[36:37]
	v_cmp_lt_u32_e64 s[38:39], v31, v89
	s_and_saveexec_b64 s[36:37], s[38:39]
	s_cbranch_execnz .LBB396_619
.LBB396_612:                            ;   in Loop: Header=BB396_566 Depth=2
	s_or_b64 exec, exec, s[36:37]
	v_cmp_lt_u32_e64 s[36:37], v32, v89
	s_and_saveexec_b64 s[52:53], s[36:37]
	s_cbranch_execz .LBB396_620
.LBB396_613:                            ;   in Loop: Header=BB396_566 Depth=2
	ds_read_u8 v20, v30 offset:1536
	s_waitcnt lgkmcnt(0)
	v_lshrrev_b32_sdwa v21, s69, v20 dst_sel:DWORD dst_unused:UNUSED_PAD src0_sel:DWORD src1_sel:BYTE_0
	v_and_b32_e32 v21, s77, v21
	v_lshlrev_b32_e32 v21, 2, v21
	ds_read_b32 v21, v21
	v_xor_b32_e32 v20, 0x80, v20
	s_waitcnt lgkmcnt(0)
	v_add_u32_e32 v21, v21, v32
	global_store_byte v21, v20, s[60:61]
	s_or_b64 exec, exec, s[52:53]
	v_cmp_lt_u32_e32 vcc, v33, v89
	s_and_saveexec_b64 s[52:53], vcc
	s_cbranch_execnz .LBB396_621
	s_branch .LBB396_622
.LBB396_614:                            ;   in Loop: Header=BB396_566 Depth=2
	s_or_b64 exec, exec, s[36:37]
	v_cmp_lt_u32_e64 s[46:47], v24, v89
	s_and_saveexec_b64 s[36:37], s[46:47]
	s_cbranch_execz .LBB396_608
.LBB396_615:                            ;   in Loop: Header=BB396_566 Depth=2
	ds_read_u8 v20, v30 offset:256
	s_waitcnt lgkmcnt(0)
	v_lshrrev_b32_sdwa v21, s69, v20 dst_sel:DWORD dst_unused:UNUSED_PAD src0_sel:DWORD src1_sel:BYTE_0
	v_and_b32_e32 v21, s77, v21
	v_lshlrev_b32_e32 v21, 2, v21
	ds_read_b32 v21, v21
	v_xor_b32_e32 v20, 0x80, v20
	s_waitcnt lgkmcnt(0)
	v_add_u32_e32 v21, v21, v24
	global_store_byte v21, v20, s[60:61]
	s_or_b64 exec, exec, s[36:37]
	v_cmp_lt_u32_e64 s[44:45], v25, v89
	s_and_saveexec_b64 s[36:37], s[44:45]
	s_cbranch_execnz .LBB396_609
.LBB396_616:                            ;   in Loop: Header=BB396_566 Depth=2
	s_or_b64 exec, exec, s[36:37]
	v_cmp_lt_u32_e64 s[42:43], v26, v89
	s_and_saveexec_b64 s[36:37], s[42:43]
	s_cbranch_execz .LBB396_610
.LBB396_617:                            ;   in Loop: Header=BB396_566 Depth=2
	ds_read_u8 v20, v30 offset:768
	s_waitcnt lgkmcnt(0)
	v_lshrrev_b32_sdwa v21, s69, v20 dst_sel:DWORD dst_unused:UNUSED_PAD src0_sel:DWORD src1_sel:BYTE_0
	v_and_b32_e32 v21, s77, v21
	v_lshlrev_b32_e32 v21, 2, v21
	ds_read_b32 v21, v21
	v_xor_b32_e32 v20, 0x80, v20
	s_waitcnt lgkmcnt(0)
	v_add_u32_e32 v21, v21, v26
	global_store_byte v21, v20, s[60:61]
	s_or_b64 exec, exec, s[36:37]
	v_cmp_lt_u32_e64 s[40:41], v30, v89
	s_and_saveexec_b64 s[36:37], s[40:41]
	s_cbranch_execnz .LBB396_611
.LBB396_618:                            ;   in Loop: Header=BB396_566 Depth=2
	s_or_b64 exec, exec, s[36:37]
	v_cmp_lt_u32_e64 s[38:39], v31, v89
	s_and_saveexec_b64 s[36:37], s[38:39]
	s_cbranch_execz .LBB396_612
.LBB396_619:                            ;   in Loop: Header=BB396_566 Depth=2
	ds_read_u8 v20, v30 offset:1280
	s_waitcnt lgkmcnt(0)
	v_lshrrev_b32_sdwa v21, s69, v20 dst_sel:DWORD dst_unused:UNUSED_PAD src0_sel:DWORD src1_sel:BYTE_0
	v_and_b32_e32 v21, s77, v21
	v_lshlrev_b32_e32 v21, 2, v21
	ds_read_b32 v21, v21
	v_xor_b32_e32 v20, 0x80, v20
	s_waitcnt lgkmcnt(0)
	v_add_u32_e32 v21, v21, v31
	global_store_byte v21, v20, s[60:61]
	s_or_b64 exec, exec, s[36:37]
	v_cmp_lt_u32_e64 s[36:37], v32, v89
	s_and_saveexec_b64 s[52:53], s[36:37]
	s_cbranch_execnz .LBB396_613
.LBB396_620:                            ;   in Loop: Header=BB396_566 Depth=2
	s_or_b64 exec, exec, s[52:53]
	v_cmp_lt_u32_e32 vcc, v33, v89
	s_and_saveexec_b64 s[52:53], vcc
	s_cbranch_execz .LBB396_622
.LBB396_621:                            ;   in Loop: Header=BB396_566 Depth=2
	ds_read_u8 v20, v30 offset:1792
	s_waitcnt lgkmcnt(0)
	v_lshrrev_b32_sdwa v21, s69, v20 dst_sel:DWORD dst_unused:UNUSED_PAD src0_sel:DWORD src1_sel:BYTE_0
	v_and_b32_e32 v21, s77, v21
	v_lshlrev_b32_e32 v21, 2, v21
	ds_read_b32 v21, v21
	v_xor_b32_e32 v20, 0x80, v20
	s_waitcnt lgkmcnt(0)
	v_add_u32_e32 v21, v21, v33
	global_store_byte v21, v20, s[60:61]
.LBB396_622:                            ;   in Loop: Header=BB396_566 Depth=2
	s_or_b64 exec, exec, s[52:53]
	s_lshl_b64 s[52:53], s[72:73], 3
	v_mov_b32_e32 v21, s53
	v_add_co_u32_e64 v20, s[52:53], s52, v77
	v_addc_co_u32_e64 v21, s[52:53], v78, v21, s[52:53]
	v_cmp_lt_u32_e64 s[52:53], v72, v89
	s_and_saveexec_b64 s[62:63], s[52:53]
	s_xor_b64 s[52:53], exec, s[62:63]
	s_cbranch_execz .LBB396_638
; %bb.623:                              ;   in Loop: Header=BB396_566 Depth=2
	global_load_dwordx2 v[18:19], v[20:21], off
	s_or_b64 exec, exec, s[52:53]
	v_cmp_lt_u32_e64 s[52:53], v79, v89
	s_and_saveexec_b64 s[62:63], s[52:53]
	s_cbranch_execnz .LBB396_639
.LBB396_624:                            ;   in Loop: Header=BB396_566 Depth=2
	s_or_b64 exec, exec, s[62:63]
	v_cmp_lt_u32_e64 s[52:53], v80, v89
	s_and_saveexec_b64 s[62:63], s[52:53]
	s_cbranch_execz .LBB396_640
.LBB396_625:                            ;   in Loop: Header=BB396_566 Depth=2
	global_load_dwordx2 v[14:15], v[20:21], off offset:1024
	s_or_b64 exec, exec, s[62:63]
	v_cmp_lt_u32_e64 s[52:53], v81, v89
	s_and_saveexec_b64 s[62:63], s[52:53]
	s_cbranch_execnz .LBB396_641
.LBB396_626:                            ;   in Loop: Header=BB396_566 Depth=2
	s_or_b64 exec, exec, s[62:63]
	v_cmp_lt_u32_e64 s[52:53], v82, v89
	s_and_saveexec_b64 s[62:63], s[52:53]
	s_cbranch_execz .LBB396_642
.LBB396_627:                            ;   in Loop: Header=BB396_566 Depth=2
	global_load_dwordx2 v[10:11], v[20:21], off offset:2048
	s_or_b64 exec, exec, s[62:63]
	v_cmp_lt_u32_e64 s[52:53], v83, v89
	s_and_saveexec_b64 s[62:63], s[52:53]
	s_cbranch_execnz .LBB396_643
.LBB396_628:                            ;   in Loop: Header=BB396_566 Depth=2
	s_or_b64 exec, exec, s[62:63]
	v_cmp_lt_u32_e64 s[52:53], v84, v89
	s_and_saveexec_b64 s[62:63], s[52:53]
	s_cbranch_execz .LBB396_644
.LBB396_629:                            ;   in Loop: Header=BB396_566 Depth=2
	global_load_dwordx2 v[6:7], v[20:21], off offset:3072
	s_or_b64 exec, exec, s[62:63]
	v_cmp_lt_u32_e64 s[52:53], v85, v89
	s_and_saveexec_b64 s[62:63], s[52:53]
	s_cbranch_execnz .LBB396_645
.LBB396_630:                            ;   in Loop: Header=BB396_566 Depth=2
	s_or_b64 exec, exec, s[62:63]
	s_and_saveexec_b64 s[52:53], s[48:49]
	s_cbranch_execz .LBB396_646
.LBB396_631:                            ;   in Loop: Header=BB396_566 Depth=2
	ds_read_u8 v20, v2 offset:1024
	s_waitcnt lgkmcnt(0)
	v_lshrrev_b32_e32 v20, s69, v20
	v_and_b32_e32 v75, s77, v20
	s_or_b64 exec, exec, s[52:53]
	s_and_saveexec_b64 s[52:53], s[46:47]
	s_cbranch_execnz .LBB396_647
.LBB396_632:                            ;   in Loop: Header=BB396_566 Depth=2
	s_or_b64 exec, exec, s[52:53]
	s_and_saveexec_b64 s[52:53], s[44:45]
	s_cbranch_execz .LBB396_648
.LBB396_633:                            ;   in Loop: Header=BB396_566 Depth=2
	ds_read_u8 v20, v30 offset:512
	s_waitcnt lgkmcnt(0)
	v_lshrrev_b32_e32 v20, s69, v20
	v_and_b32_e32 v71, s77, v20
	s_or_b64 exec, exec, s[52:53]
	s_and_saveexec_b64 s[52:53], s[42:43]
	s_cbranch_execnz .LBB396_649
.LBB396_634:                            ;   in Loop: Header=BB396_566 Depth=2
	s_or_b64 exec, exec, s[52:53]
	s_and_saveexec_b64 s[52:53], s[40:41]
	s_cbranch_execz .LBB396_650
.LBB396_635:                            ;   in Loop: Header=BB396_566 Depth=2
	ds_read_u8 v20, v30 offset:1024
	s_waitcnt lgkmcnt(0)
	v_lshrrev_b32_e32 v20, s69, v20
	v_and_b32_e32 v69, s77, v20
	s_or_b64 exec, exec, s[52:53]
	s_and_saveexec_b64 s[52:53], s[38:39]
	s_cbranch_execnz .LBB396_651
.LBB396_636:                            ;   in Loop: Header=BB396_566 Depth=2
	s_or_b64 exec, exec, s[52:53]
	s_and_saveexec_b64 s[52:53], s[36:37]
	s_cbranch_execz .LBB396_652
.LBB396_637:                            ;   in Loop: Header=BB396_566 Depth=2
	ds_read_u8 v20, v30 offset:1536
	s_waitcnt lgkmcnt(0)
	v_lshrrev_b32_e32 v20, s69, v20
	v_and_b32_e32 v67, s77, v20
	s_or_b64 exec, exec, s[52:53]
	s_and_saveexec_b64 s[52:53], vcc
	s_cbranch_execnz .LBB396_653
	s_branch .LBB396_654
.LBB396_638:                            ;   in Loop: Header=BB396_566 Depth=2
	s_or_b64 exec, exec, s[52:53]
	v_cmp_lt_u32_e64 s[52:53], v79, v89
	s_and_saveexec_b64 s[62:63], s[52:53]
	s_cbranch_execz .LBB396_624
.LBB396_639:                            ;   in Loop: Header=BB396_566 Depth=2
	global_load_dwordx2 v[16:17], v[20:21], off offset:512
	s_or_b64 exec, exec, s[62:63]
	v_cmp_lt_u32_e64 s[52:53], v80, v89
	s_and_saveexec_b64 s[62:63], s[52:53]
	s_cbranch_execnz .LBB396_625
.LBB396_640:                            ;   in Loop: Header=BB396_566 Depth=2
	s_or_b64 exec, exec, s[62:63]
	v_cmp_lt_u32_e64 s[52:53], v81, v89
	s_and_saveexec_b64 s[62:63], s[52:53]
	s_cbranch_execz .LBB396_626
.LBB396_641:                            ;   in Loop: Header=BB396_566 Depth=2
	global_load_dwordx2 v[12:13], v[20:21], off offset:1536
	s_or_b64 exec, exec, s[62:63]
	v_cmp_lt_u32_e64 s[52:53], v82, v89
	s_and_saveexec_b64 s[62:63], s[52:53]
	s_cbranch_execnz .LBB396_627
.LBB396_642:                            ;   in Loop: Header=BB396_566 Depth=2
	s_or_b64 exec, exec, s[62:63]
	v_cmp_lt_u32_e64 s[52:53], v83, v89
	s_and_saveexec_b64 s[62:63], s[52:53]
	s_cbranch_execz .LBB396_628
.LBB396_643:                            ;   in Loop: Header=BB396_566 Depth=2
	global_load_dwordx2 v[8:9], v[20:21], off offset:2560
	s_or_b64 exec, exec, s[62:63]
	v_cmp_lt_u32_e64 s[52:53], v84, v89
	s_and_saveexec_b64 s[62:63], s[52:53]
	s_cbranch_execnz .LBB396_629
.LBB396_644:                            ;   in Loop: Header=BB396_566 Depth=2
	s_or_b64 exec, exec, s[62:63]
	v_cmp_lt_u32_e64 s[52:53], v85, v89
	s_and_saveexec_b64 s[62:63], s[52:53]
	s_cbranch_execz .LBB396_630
.LBB396_645:                            ;   in Loop: Header=BB396_566 Depth=2
	global_load_dwordx2 v[0:1], v[20:21], off offset:3584
	s_or_b64 exec, exec, s[62:63]
	s_and_saveexec_b64 s[52:53], s[48:49]
	s_cbranch_execnz .LBB396_631
.LBB396_646:                            ;   in Loop: Header=BB396_566 Depth=2
	s_or_b64 exec, exec, s[52:53]
	s_and_saveexec_b64 s[52:53], s[46:47]
	s_cbranch_execz .LBB396_632
.LBB396_647:                            ;   in Loop: Header=BB396_566 Depth=2
	ds_read_u8 v20, v30 offset:256
	s_waitcnt lgkmcnt(0)
	v_lshrrev_b32_e32 v20, s69, v20
	v_and_b32_e32 v73, s77, v20
	s_or_b64 exec, exec, s[52:53]
	s_and_saveexec_b64 s[52:53], s[44:45]
	s_cbranch_execnz .LBB396_633
.LBB396_648:                            ;   in Loop: Header=BB396_566 Depth=2
	s_or_b64 exec, exec, s[52:53]
	s_and_saveexec_b64 s[52:53], s[42:43]
	s_cbranch_execz .LBB396_634
.LBB396_649:                            ;   in Loop: Header=BB396_566 Depth=2
	ds_read_u8 v20, v30 offset:768
	s_waitcnt lgkmcnt(0)
	v_lshrrev_b32_e32 v20, s69, v20
	v_and_b32_e32 v70, s77, v20
	s_or_b64 exec, exec, s[52:53]
	s_and_saveexec_b64 s[52:53], s[40:41]
	s_cbranch_execnz .LBB396_635
.LBB396_650:                            ;   in Loop: Header=BB396_566 Depth=2
	s_or_b64 exec, exec, s[52:53]
	s_and_saveexec_b64 s[52:53], s[38:39]
	s_cbranch_execz .LBB396_636
.LBB396_651:                            ;   in Loop: Header=BB396_566 Depth=2
	ds_read_u8 v20, v30 offset:1280
	s_waitcnt lgkmcnt(0)
	v_lshrrev_b32_e32 v20, s69, v20
	v_and_b32_e32 v68, s77, v20
	s_or_b64 exec, exec, s[52:53]
	s_and_saveexec_b64 s[52:53], s[36:37]
	s_cbranch_execnz .LBB396_637
.LBB396_652:                            ;   in Loop: Header=BB396_566 Depth=2
	s_or_b64 exec, exec, s[52:53]
	s_and_saveexec_b64 s[52:53], vcc
	s_cbranch_execz .LBB396_654
.LBB396_653:                            ;   in Loop: Header=BB396_566 Depth=2
	ds_read_u8 v20, v30 offset:1792
	s_waitcnt lgkmcnt(0)
	v_lshrrev_b32_e32 v20, s69, v20
	v_and_b32_e32 v66, s77, v20
.LBB396_654:                            ;   in Loop: Header=BB396_566 Depth=2
	s_or_b64 exec, exec, s[52:53]
	v_lshlrev_b32_e32 v20, 3, v102
	s_barrier
	s_waitcnt vmcnt(0)
	ds_write_b64 v20, v[18:19] offset:1024
	v_lshlrev_b32_e32 v20, 3, v98
	ds_write_b64 v20, v[16:17] offset:1024
	v_lshlrev_b32_e32 v20, 3, v97
	;; [unrolled: 2-line block ×7, first 2 shown]
	ds_write_b64 v20, v[0:1] offset:1024
	s_waitcnt lgkmcnt(0)
	s_barrier
	s_and_saveexec_b64 s[52:53], s[48:49]
	s_cbranch_execz .LBB396_662
; %bb.655:                              ;   in Loop: Header=BB396_566 Depth=2
	v_lshlrev_b32_e32 v20, 2, v75
	ds_read_b32 v22, v20
	v_add_u32_e32 v20, v2, v50
	ds_read_b64 v[20:21], v20 offset:1024
	v_mov_b32_e32 v23, v4
	v_mov_b32_e32 v89, s67
	s_waitcnt lgkmcnt(1)
	v_add_u32_e32 v22, v22, v2
	v_lshlrev_b64 v[22:23], 3, v[22:23]
	v_add_co_u32_e64 v22, s[48:49], s66, v22
	v_addc_co_u32_e64 v23, s[48:49], v89, v23, s[48:49]
	s_waitcnt lgkmcnt(0)
	global_store_dwordx2 v[22:23], v[20:21], off
	s_or_b64 exec, exec, s[52:53]
	v_add_u32_e32 v20, v30, v50
	s_and_saveexec_b64 s[48:49], s[46:47]
	s_cbranch_execnz .LBB396_663
.LBB396_656:                            ;   in Loop: Header=BB396_566 Depth=2
	s_or_b64 exec, exec, s[48:49]
	s_and_saveexec_b64 s[46:47], s[44:45]
	s_cbranch_execz .LBB396_664
.LBB396_657:                            ;   in Loop: Header=BB396_566 Depth=2
	v_lshlrev_b32_e32 v21, 2, v71
	ds_read_b32 v21, v21
	ds_read_b64 v[22:23], v20 offset:4096
	v_mov_b32_e32 v91, v4
	v_mov_b32_e32 v89, s67
	s_waitcnt lgkmcnt(1)
	v_add_u32_e32 v90, v21, v25
	v_lshlrev_b64 v[90:91], 3, v[90:91]
	v_add_co_u32_e64 v90, s[44:45], s66, v90
	v_addc_co_u32_e64 v91, s[44:45], v89, v91, s[44:45]
	s_waitcnt lgkmcnt(0)
	global_store_dwordx2 v[90:91], v[22:23], off
	s_or_b64 exec, exec, s[46:47]
	s_and_saveexec_b64 s[44:45], s[42:43]
	s_cbranch_execnz .LBB396_665
.LBB396_658:                            ;   in Loop: Header=BB396_566 Depth=2
	s_or_b64 exec, exec, s[44:45]
	s_and_saveexec_b64 s[42:43], s[40:41]
	s_cbranch_execz .LBB396_666
.LBB396_659:                            ;   in Loop: Header=BB396_566 Depth=2
	v_lshlrev_b32_e32 v21, 2, v69
	ds_read_b32 v21, v21
	ds_read_b64 v[22:23], v20 offset:8192
	v_mov_b32_e32 v91, v4
	v_mov_b32_e32 v89, s67
	s_waitcnt lgkmcnt(1)
	v_add_u32_e32 v90, v21, v30
	v_lshlrev_b64 v[90:91], 3, v[90:91]
	v_add_co_u32_e64 v90, s[40:41], s66, v90
	v_addc_co_u32_e64 v91, s[40:41], v89, v91, s[40:41]
	s_waitcnt lgkmcnt(0)
	global_store_dwordx2 v[90:91], v[22:23], off
	s_or_b64 exec, exec, s[42:43]
	s_and_saveexec_b64 s[40:41], s[38:39]
	s_cbranch_execnz .LBB396_667
.LBB396_660:                            ;   in Loop: Header=BB396_566 Depth=2
	s_or_b64 exec, exec, s[40:41]
	s_and_saveexec_b64 s[38:39], s[36:37]
	s_cbranch_execz .LBB396_668
.LBB396_661:                            ;   in Loop: Header=BB396_566 Depth=2
	v_lshlrev_b32_e32 v21, 2, v67
	ds_read_b32 v21, v21
	ds_read_b64 v[22:23], v20 offset:12288
	v_mov_b32_e32 v91, v4
	v_mov_b32_e32 v89, s67
	s_waitcnt lgkmcnt(1)
	v_add_u32_e32 v90, v21, v32
	v_lshlrev_b64 v[90:91], 3, v[90:91]
	v_add_co_u32_e64 v90, s[36:37], s66, v90
	v_addc_co_u32_e64 v91, s[36:37], v89, v91, s[36:37]
	s_waitcnt lgkmcnt(0)
	global_store_dwordx2 v[90:91], v[22:23], off
	s_or_b64 exec, exec, s[38:39]
	s_and_saveexec_b64 s[36:37], vcc
	s_cbranch_execnz .LBB396_669
	s_branch .LBB396_670
.LBB396_662:                            ;   in Loop: Header=BB396_566 Depth=2
	s_or_b64 exec, exec, s[52:53]
	v_add_u32_e32 v20, v30, v50
	s_and_saveexec_b64 s[48:49], s[46:47]
	s_cbranch_execz .LBB396_656
.LBB396_663:                            ;   in Loop: Header=BB396_566 Depth=2
	v_lshlrev_b32_e32 v21, 2, v73
	ds_read_b32 v21, v21
	ds_read_b64 v[22:23], v20 offset:2048
	v_mov_b32_e32 v91, v4
	v_mov_b32_e32 v89, s67
	s_waitcnt lgkmcnt(1)
	v_add_u32_e32 v90, v21, v24
	v_lshlrev_b64 v[90:91], 3, v[90:91]
	v_add_co_u32_e64 v90, s[46:47], s66, v90
	v_addc_co_u32_e64 v91, s[46:47], v89, v91, s[46:47]
	s_waitcnt lgkmcnt(0)
	global_store_dwordx2 v[90:91], v[22:23], off
	s_or_b64 exec, exec, s[48:49]
	s_and_saveexec_b64 s[46:47], s[44:45]
	s_cbranch_execnz .LBB396_657
.LBB396_664:                            ;   in Loop: Header=BB396_566 Depth=2
	s_or_b64 exec, exec, s[46:47]
	s_and_saveexec_b64 s[44:45], s[42:43]
	s_cbranch_execz .LBB396_658
.LBB396_665:                            ;   in Loop: Header=BB396_566 Depth=2
	v_lshlrev_b32_e32 v21, 2, v70
	ds_read_b32 v21, v21
	ds_read_b64 v[22:23], v20 offset:6144
	v_mov_b32_e32 v91, v4
	v_mov_b32_e32 v89, s67
	s_waitcnt lgkmcnt(1)
	v_add_u32_e32 v90, v21, v26
	v_lshlrev_b64 v[90:91], 3, v[90:91]
	v_add_co_u32_e64 v90, s[42:43], s66, v90
	v_addc_co_u32_e64 v91, s[42:43], v89, v91, s[42:43]
	s_waitcnt lgkmcnt(0)
	global_store_dwordx2 v[90:91], v[22:23], off
	s_or_b64 exec, exec, s[44:45]
	s_and_saveexec_b64 s[42:43], s[40:41]
	s_cbranch_execnz .LBB396_659
.LBB396_666:                            ;   in Loop: Header=BB396_566 Depth=2
	s_or_b64 exec, exec, s[42:43]
	s_and_saveexec_b64 s[40:41], s[38:39]
	s_cbranch_execz .LBB396_660
.LBB396_667:                            ;   in Loop: Header=BB396_566 Depth=2
	v_lshlrev_b32_e32 v21, 2, v68
	ds_read_b32 v21, v21
	ds_read_b64 v[22:23], v20 offset:10240
	v_mov_b32_e32 v91, v4
	v_mov_b32_e32 v89, s67
	s_waitcnt lgkmcnt(1)
	v_add_u32_e32 v90, v21, v31
	v_lshlrev_b64 v[90:91], 3, v[90:91]
	v_add_co_u32_e64 v90, s[38:39], s66, v90
	v_addc_co_u32_e64 v91, s[38:39], v89, v91, s[38:39]
	s_waitcnt lgkmcnt(0)
	global_store_dwordx2 v[90:91], v[22:23], off
	s_or_b64 exec, exec, s[40:41]
	s_and_saveexec_b64 s[38:39], s[36:37]
	s_cbranch_execnz .LBB396_661
.LBB396_668:                            ;   in Loop: Header=BB396_566 Depth=2
	s_or_b64 exec, exec, s[38:39]
	s_and_saveexec_b64 s[36:37], vcc
	s_cbranch_execz .LBB396_670
.LBB396_669:                            ;   in Loop: Header=BB396_566 Depth=2
	v_lshlrev_b32_e32 v21, 2, v66
	ds_read_b32 v22, v21
	ds_read_b64 v[20:21], v20 offset:14336
	v_mov_b32_e32 v23, v4
	v_mov_b32_e32 v89, s67
	s_waitcnt lgkmcnt(1)
	v_add_u32_e32 v22, v22, v33
	v_lshlrev_b64 v[22:23], 3, v[22:23]
	v_add_co_u32_e32 v22, vcc, s66, v22
	v_addc_co_u32_e32 v23, vcc, v89, v23, vcc
	s_waitcnt lgkmcnt(0)
	global_store_dwordx2 v[22:23], v[20:21], off
.LBB396_670:                            ;   in Loop: Header=BB396_566 Depth=2
	s_or_b64 exec, exec, s[36:37]
	s_barrier
	s_and_saveexec_b64 s[36:37], s[4:5]
	s_cbranch_execz .LBB396_565
; %bb.671:                              ;   in Loop: Header=BB396_566 Depth=2
	ds_read_b32 v20, v3
	s_waitcnt lgkmcnt(0)
	v_add_u32_e32 v5, v20, v5
	ds_write_b32 v3, v5
	s_branch .LBB396_565
.LBB396_672:                            ;   in Loop: Header=BB396_566 Depth=2
	s_or_b64 exec, exec, s[36:37]
	v_cmp_gt_u32_e32 vcc, s78, v79
	s_and_saveexec_b64 s[36:37], vcc
	s_cbranch_execz .LBB396_572
.LBB396_673:                            ;   in Loop: Header=BB396_566 Depth=2
	global_load_ubyte v94, v[20:21], off offset:64
	s_or_b64 exec, exec, s[36:37]
	v_cmp_gt_u32_e32 vcc, s78, v80
	s_and_saveexec_b64 s[36:37], vcc
	s_cbranch_execnz .LBB396_573
.LBB396_674:                            ;   in Loop: Header=BB396_566 Depth=2
	s_or_b64 exec, exec, s[36:37]
	v_cmp_gt_u32_e32 vcc, s78, v81
	s_and_saveexec_b64 s[36:37], vcc
	s_cbranch_execz .LBB396_574
.LBB396_675:                            ;   in Loop: Header=BB396_566 Depth=2
	global_load_ubyte v101, v[20:21], off offset:192
	s_or_b64 exec, exec, s[36:37]
	v_cmp_gt_u32_e32 vcc, s78, v82
	s_and_saveexec_b64 s[36:37], vcc
	s_cbranch_execnz .LBB396_575
.LBB396_676:                            ;   in Loop: Header=BB396_566 Depth=2
	s_or_b64 exec, exec, s[36:37]
	v_cmp_gt_u32_e32 vcc, s78, v83
	s_and_saveexec_b64 s[36:37], vcc
	s_cbranch_execz .LBB396_576
.LBB396_677:                            ;   in Loop: Header=BB396_566 Depth=2
	global_load_ubyte v91, v[20:21], off offset:320
	s_or_b64 exec, exec, s[36:37]
	v_cmp_gt_u32_e32 vcc, s78, v84
	s_and_saveexec_b64 s[36:37], vcc
	s_cbranch_execnz .LBB396_577
	s_branch .LBB396_578
.LBB396_678:
	s_endpgm
	.section	.rodata,"a",@progbits
	.p2align	6, 0x0
	.amdhsa_kernel _ZN7rocprim17ROCPRIM_400000_NS6detail17trampoline_kernelINS0_14default_configENS1_36segmented_radix_sort_config_selectorIalEEZNS1_25segmented_radix_sort_implIS3_Lb0EPKaPaPKlPlN2at6native12_GLOBAL__N_18offset_tEEE10hipError_tPvRmT1_PNSt15iterator_traitsISK_E10value_typeET2_T3_PNSL_ISQ_E10value_typeET4_jRbjT5_SW_jjP12ihipStream_tbEUlT_E_NS1_11comp_targetILNS1_3genE4ELNS1_11target_archE910ELNS1_3gpuE8ELNS1_3repE0EEENS1_30default_config_static_selectorELNS0_4arch9wavefront6targetE1EEEvSK_
		.amdhsa_group_segment_fixed_size 17424
		.amdhsa_private_segment_fixed_size 8
		.amdhsa_kernarg_size 352
		.amdhsa_user_sgpr_count 8
		.amdhsa_user_sgpr_private_segment_buffer 1
		.amdhsa_user_sgpr_dispatch_ptr 0
		.amdhsa_user_sgpr_queue_ptr 0
		.amdhsa_user_sgpr_kernarg_segment_ptr 1
		.amdhsa_user_sgpr_dispatch_id 0
		.amdhsa_user_sgpr_flat_scratch_init 1
		.amdhsa_user_sgpr_kernarg_preload_length 0
		.amdhsa_user_sgpr_kernarg_preload_offset 0
		.amdhsa_user_sgpr_private_segment_size 0
		.amdhsa_uses_dynamic_stack 0
		.amdhsa_system_sgpr_private_segment_wavefront_offset 1
		.amdhsa_system_sgpr_workgroup_id_x 1
		.amdhsa_system_sgpr_workgroup_id_y 1
		.amdhsa_system_sgpr_workgroup_id_z 0
		.amdhsa_system_sgpr_workgroup_info 0
		.amdhsa_system_vgpr_workitem_id 2
		.amdhsa_next_free_vgpr 168
		.amdhsa_next_free_sgpr 80
		.amdhsa_accum_offset 168
		.amdhsa_reserve_vcc 1
		.amdhsa_reserve_flat_scratch 1
		.amdhsa_float_round_mode_32 0
		.amdhsa_float_round_mode_16_64 0
		.amdhsa_float_denorm_mode_32 3
		.amdhsa_float_denorm_mode_16_64 3
		.amdhsa_dx10_clamp 1
		.amdhsa_ieee_mode 1
		.amdhsa_fp16_overflow 0
		.amdhsa_tg_split 0
		.amdhsa_exception_fp_ieee_invalid_op 0
		.amdhsa_exception_fp_denorm_src 0
		.amdhsa_exception_fp_ieee_div_zero 0
		.amdhsa_exception_fp_ieee_overflow 0
		.amdhsa_exception_fp_ieee_underflow 0
		.amdhsa_exception_fp_ieee_inexact 0
		.amdhsa_exception_int_div_zero 0
	.end_amdhsa_kernel
	.section	.text._ZN7rocprim17ROCPRIM_400000_NS6detail17trampoline_kernelINS0_14default_configENS1_36segmented_radix_sort_config_selectorIalEEZNS1_25segmented_radix_sort_implIS3_Lb0EPKaPaPKlPlN2at6native12_GLOBAL__N_18offset_tEEE10hipError_tPvRmT1_PNSt15iterator_traitsISK_E10value_typeET2_T3_PNSL_ISQ_E10value_typeET4_jRbjT5_SW_jjP12ihipStream_tbEUlT_E_NS1_11comp_targetILNS1_3genE4ELNS1_11target_archE910ELNS1_3gpuE8ELNS1_3repE0EEENS1_30default_config_static_selectorELNS0_4arch9wavefront6targetE1EEEvSK_,"axG",@progbits,_ZN7rocprim17ROCPRIM_400000_NS6detail17trampoline_kernelINS0_14default_configENS1_36segmented_radix_sort_config_selectorIalEEZNS1_25segmented_radix_sort_implIS3_Lb0EPKaPaPKlPlN2at6native12_GLOBAL__N_18offset_tEEE10hipError_tPvRmT1_PNSt15iterator_traitsISK_E10value_typeET2_T3_PNSL_ISQ_E10value_typeET4_jRbjT5_SW_jjP12ihipStream_tbEUlT_E_NS1_11comp_targetILNS1_3genE4ELNS1_11target_archE910ELNS1_3gpuE8ELNS1_3repE0EEENS1_30default_config_static_selectorELNS0_4arch9wavefront6targetE1EEEvSK_,comdat
.Lfunc_end396:
	.size	_ZN7rocprim17ROCPRIM_400000_NS6detail17trampoline_kernelINS0_14default_configENS1_36segmented_radix_sort_config_selectorIalEEZNS1_25segmented_radix_sort_implIS3_Lb0EPKaPaPKlPlN2at6native12_GLOBAL__N_18offset_tEEE10hipError_tPvRmT1_PNSt15iterator_traitsISK_E10value_typeET2_T3_PNSL_ISQ_E10value_typeET4_jRbjT5_SW_jjP12ihipStream_tbEUlT_E_NS1_11comp_targetILNS1_3genE4ELNS1_11target_archE910ELNS1_3gpuE8ELNS1_3repE0EEENS1_30default_config_static_selectorELNS0_4arch9wavefront6targetE1EEEvSK_, .Lfunc_end396-_ZN7rocprim17ROCPRIM_400000_NS6detail17trampoline_kernelINS0_14default_configENS1_36segmented_radix_sort_config_selectorIalEEZNS1_25segmented_radix_sort_implIS3_Lb0EPKaPaPKlPlN2at6native12_GLOBAL__N_18offset_tEEE10hipError_tPvRmT1_PNSt15iterator_traitsISK_E10value_typeET2_T3_PNSL_ISQ_E10value_typeET4_jRbjT5_SW_jjP12ihipStream_tbEUlT_E_NS1_11comp_targetILNS1_3genE4ELNS1_11target_archE910ELNS1_3gpuE8ELNS1_3repE0EEENS1_30default_config_static_selectorELNS0_4arch9wavefront6targetE1EEEvSK_
                                        ; -- End function
	.section	.AMDGPU.csdata,"",@progbits
; Kernel info:
; codeLenInByte = 35964
; NumSgprs: 86
; NumVgprs: 168
; NumAgprs: 0
; TotalNumVgprs: 168
; ScratchSize: 8
; MemoryBound: 0
; FloatMode: 240
; IeeeMode: 1
; LDSByteSize: 17424 bytes/workgroup (compile time only)
; SGPRBlocks: 10
; VGPRBlocks: 20
; NumSGPRsForWavesPerEU: 86
; NumVGPRsForWavesPerEU: 168
; AccumOffset: 168
; Occupancy: 3
; WaveLimiterHint : 1
; COMPUTE_PGM_RSRC2:SCRATCH_EN: 1
; COMPUTE_PGM_RSRC2:USER_SGPR: 8
; COMPUTE_PGM_RSRC2:TRAP_HANDLER: 0
; COMPUTE_PGM_RSRC2:TGID_X_EN: 1
; COMPUTE_PGM_RSRC2:TGID_Y_EN: 1
; COMPUTE_PGM_RSRC2:TGID_Z_EN: 0
; COMPUTE_PGM_RSRC2:TIDIG_COMP_CNT: 2
; COMPUTE_PGM_RSRC3_GFX90A:ACCUM_OFFSET: 41
; COMPUTE_PGM_RSRC3_GFX90A:TG_SPLIT: 0
	.section	.text._ZN7rocprim17ROCPRIM_400000_NS6detail17trampoline_kernelINS0_14default_configENS1_36segmented_radix_sort_config_selectorIalEEZNS1_25segmented_radix_sort_implIS3_Lb0EPKaPaPKlPlN2at6native12_GLOBAL__N_18offset_tEEE10hipError_tPvRmT1_PNSt15iterator_traitsISK_E10value_typeET2_T3_PNSL_ISQ_E10value_typeET4_jRbjT5_SW_jjP12ihipStream_tbEUlT_E_NS1_11comp_targetILNS1_3genE3ELNS1_11target_archE908ELNS1_3gpuE7ELNS1_3repE0EEENS1_30default_config_static_selectorELNS0_4arch9wavefront6targetE1EEEvSK_,"axG",@progbits,_ZN7rocprim17ROCPRIM_400000_NS6detail17trampoline_kernelINS0_14default_configENS1_36segmented_radix_sort_config_selectorIalEEZNS1_25segmented_radix_sort_implIS3_Lb0EPKaPaPKlPlN2at6native12_GLOBAL__N_18offset_tEEE10hipError_tPvRmT1_PNSt15iterator_traitsISK_E10value_typeET2_T3_PNSL_ISQ_E10value_typeET4_jRbjT5_SW_jjP12ihipStream_tbEUlT_E_NS1_11comp_targetILNS1_3genE3ELNS1_11target_archE908ELNS1_3gpuE7ELNS1_3repE0EEENS1_30default_config_static_selectorELNS0_4arch9wavefront6targetE1EEEvSK_,comdat
	.globl	_ZN7rocprim17ROCPRIM_400000_NS6detail17trampoline_kernelINS0_14default_configENS1_36segmented_radix_sort_config_selectorIalEEZNS1_25segmented_radix_sort_implIS3_Lb0EPKaPaPKlPlN2at6native12_GLOBAL__N_18offset_tEEE10hipError_tPvRmT1_PNSt15iterator_traitsISK_E10value_typeET2_T3_PNSL_ISQ_E10value_typeET4_jRbjT5_SW_jjP12ihipStream_tbEUlT_E_NS1_11comp_targetILNS1_3genE3ELNS1_11target_archE908ELNS1_3gpuE7ELNS1_3repE0EEENS1_30default_config_static_selectorELNS0_4arch9wavefront6targetE1EEEvSK_ ; -- Begin function _ZN7rocprim17ROCPRIM_400000_NS6detail17trampoline_kernelINS0_14default_configENS1_36segmented_radix_sort_config_selectorIalEEZNS1_25segmented_radix_sort_implIS3_Lb0EPKaPaPKlPlN2at6native12_GLOBAL__N_18offset_tEEE10hipError_tPvRmT1_PNSt15iterator_traitsISK_E10value_typeET2_T3_PNSL_ISQ_E10value_typeET4_jRbjT5_SW_jjP12ihipStream_tbEUlT_E_NS1_11comp_targetILNS1_3genE3ELNS1_11target_archE908ELNS1_3gpuE7ELNS1_3repE0EEENS1_30default_config_static_selectorELNS0_4arch9wavefront6targetE1EEEvSK_
	.p2align	8
	.type	_ZN7rocprim17ROCPRIM_400000_NS6detail17trampoline_kernelINS0_14default_configENS1_36segmented_radix_sort_config_selectorIalEEZNS1_25segmented_radix_sort_implIS3_Lb0EPKaPaPKlPlN2at6native12_GLOBAL__N_18offset_tEEE10hipError_tPvRmT1_PNSt15iterator_traitsISK_E10value_typeET2_T3_PNSL_ISQ_E10value_typeET4_jRbjT5_SW_jjP12ihipStream_tbEUlT_E_NS1_11comp_targetILNS1_3genE3ELNS1_11target_archE908ELNS1_3gpuE7ELNS1_3repE0EEENS1_30default_config_static_selectorELNS0_4arch9wavefront6targetE1EEEvSK_,@function
_ZN7rocprim17ROCPRIM_400000_NS6detail17trampoline_kernelINS0_14default_configENS1_36segmented_radix_sort_config_selectorIalEEZNS1_25segmented_radix_sort_implIS3_Lb0EPKaPaPKlPlN2at6native12_GLOBAL__N_18offset_tEEE10hipError_tPvRmT1_PNSt15iterator_traitsISK_E10value_typeET2_T3_PNSL_ISQ_E10value_typeET4_jRbjT5_SW_jjP12ihipStream_tbEUlT_E_NS1_11comp_targetILNS1_3genE3ELNS1_11target_archE908ELNS1_3gpuE7ELNS1_3repE0EEENS1_30default_config_static_selectorELNS0_4arch9wavefront6targetE1EEEvSK_: ; @_ZN7rocprim17ROCPRIM_400000_NS6detail17trampoline_kernelINS0_14default_configENS1_36segmented_radix_sort_config_selectorIalEEZNS1_25segmented_radix_sort_implIS3_Lb0EPKaPaPKlPlN2at6native12_GLOBAL__N_18offset_tEEE10hipError_tPvRmT1_PNSt15iterator_traitsISK_E10value_typeET2_T3_PNSL_ISQ_E10value_typeET4_jRbjT5_SW_jjP12ihipStream_tbEUlT_E_NS1_11comp_targetILNS1_3genE3ELNS1_11target_archE908ELNS1_3gpuE7ELNS1_3repE0EEENS1_30default_config_static_selectorELNS0_4arch9wavefront6targetE1EEEvSK_
; %bb.0:
	.section	.rodata,"a",@progbits
	.p2align	6, 0x0
	.amdhsa_kernel _ZN7rocprim17ROCPRIM_400000_NS6detail17trampoline_kernelINS0_14default_configENS1_36segmented_radix_sort_config_selectorIalEEZNS1_25segmented_radix_sort_implIS3_Lb0EPKaPaPKlPlN2at6native12_GLOBAL__N_18offset_tEEE10hipError_tPvRmT1_PNSt15iterator_traitsISK_E10value_typeET2_T3_PNSL_ISQ_E10value_typeET4_jRbjT5_SW_jjP12ihipStream_tbEUlT_E_NS1_11comp_targetILNS1_3genE3ELNS1_11target_archE908ELNS1_3gpuE7ELNS1_3repE0EEENS1_30default_config_static_selectorELNS0_4arch9wavefront6targetE1EEEvSK_
		.amdhsa_group_segment_fixed_size 0
		.amdhsa_private_segment_fixed_size 0
		.amdhsa_kernarg_size 96
		.amdhsa_user_sgpr_count 6
		.amdhsa_user_sgpr_private_segment_buffer 1
		.amdhsa_user_sgpr_dispatch_ptr 0
		.amdhsa_user_sgpr_queue_ptr 0
		.amdhsa_user_sgpr_kernarg_segment_ptr 1
		.amdhsa_user_sgpr_dispatch_id 0
		.amdhsa_user_sgpr_flat_scratch_init 0
		.amdhsa_user_sgpr_kernarg_preload_length 0
		.amdhsa_user_sgpr_kernarg_preload_offset 0
		.amdhsa_user_sgpr_private_segment_size 0
		.amdhsa_uses_dynamic_stack 0
		.amdhsa_system_sgpr_private_segment_wavefront_offset 0
		.amdhsa_system_sgpr_workgroup_id_x 1
		.amdhsa_system_sgpr_workgroup_id_y 0
		.amdhsa_system_sgpr_workgroup_id_z 0
		.amdhsa_system_sgpr_workgroup_info 0
		.amdhsa_system_vgpr_workitem_id 0
		.amdhsa_next_free_vgpr 1
		.amdhsa_next_free_sgpr 0
		.amdhsa_accum_offset 4
		.amdhsa_reserve_vcc 0
		.amdhsa_reserve_flat_scratch 0
		.amdhsa_float_round_mode_32 0
		.amdhsa_float_round_mode_16_64 0
		.amdhsa_float_denorm_mode_32 3
		.amdhsa_float_denorm_mode_16_64 3
		.amdhsa_dx10_clamp 1
		.amdhsa_ieee_mode 1
		.amdhsa_fp16_overflow 0
		.amdhsa_tg_split 0
		.amdhsa_exception_fp_ieee_invalid_op 0
		.amdhsa_exception_fp_denorm_src 0
		.amdhsa_exception_fp_ieee_div_zero 0
		.amdhsa_exception_fp_ieee_overflow 0
		.amdhsa_exception_fp_ieee_underflow 0
		.amdhsa_exception_fp_ieee_inexact 0
		.amdhsa_exception_int_div_zero 0
	.end_amdhsa_kernel
	.section	.text._ZN7rocprim17ROCPRIM_400000_NS6detail17trampoline_kernelINS0_14default_configENS1_36segmented_radix_sort_config_selectorIalEEZNS1_25segmented_radix_sort_implIS3_Lb0EPKaPaPKlPlN2at6native12_GLOBAL__N_18offset_tEEE10hipError_tPvRmT1_PNSt15iterator_traitsISK_E10value_typeET2_T3_PNSL_ISQ_E10value_typeET4_jRbjT5_SW_jjP12ihipStream_tbEUlT_E_NS1_11comp_targetILNS1_3genE3ELNS1_11target_archE908ELNS1_3gpuE7ELNS1_3repE0EEENS1_30default_config_static_selectorELNS0_4arch9wavefront6targetE1EEEvSK_,"axG",@progbits,_ZN7rocprim17ROCPRIM_400000_NS6detail17trampoline_kernelINS0_14default_configENS1_36segmented_radix_sort_config_selectorIalEEZNS1_25segmented_radix_sort_implIS3_Lb0EPKaPaPKlPlN2at6native12_GLOBAL__N_18offset_tEEE10hipError_tPvRmT1_PNSt15iterator_traitsISK_E10value_typeET2_T3_PNSL_ISQ_E10value_typeET4_jRbjT5_SW_jjP12ihipStream_tbEUlT_E_NS1_11comp_targetILNS1_3genE3ELNS1_11target_archE908ELNS1_3gpuE7ELNS1_3repE0EEENS1_30default_config_static_selectorELNS0_4arch9wavefront6targetE1EEEvSK_,comdat
.Lfunc_end397:
	.size	_ZN7rocprim17ROCPRIM_400000_NS6detail17trampoline_kernelINS0_14default_configENS1_36segmented_radix_sort_config_selectorIalEEZNS1_25segmented_radix_sort_implIS3_Lb0EPKaPaPKlPlN2at6native12_GLOBAL__N_18offset_tEEE10hipError_tPvRmT1_PNSt15iterator_traitsISK_E10value_typeET2_T3_PNSL_ISQ_E10value_typeET4_jRbjT5_SW_jjP12ihipStream_tbEUlT_E_NS1_11comp_targetILNS1_3genE3ELNS1_11target_archE908ELNS1_3gpuE7ELNS1_3repE0EEENS1_30default_config_static_selectorELNS0_4arch9wavefront6targetE1EEEvSK_, .Lfunc_end397-_ZN7rocprim17ROCPRIM_400000_NS6detail17trampoline_kernelINS0_14default_configENS1_36segmented_radix_sort_config_selectorIalEEZNS1_25segmented_radix_sort_implIS3_Lb0EPKaPaPKlPlN2at6native12_GLOBAL__N_18offset_tEEE10hipError_tPvRmT1_PNSt15iterator_traitsISK_E10value_typeET2_T3_PNSL_ISQ_E10value_typeET4_jRbjT5_SW_jjP12ihipStream_tbEUlT_E_NS1_11comp_targetILNS1_3genE3ELNS1_11target_archE908ELNS1_3gpuE7ELNS1_3repE0EEENS1_30default_config_static_selectorELNS0_4arch9wavefront6targetE1EEEvSK_
                                        ; -- End function
	.section	.AMDGPU.csdata,"",@progbits
; Kernel info:
; codeLenInByte = 0
; NumSgprs: 4
; NumVgprs: 0
; NumAgprs: 0
; TotalNumVgprs: 0
; ScratchSize: 0
; MemoryBound: 0
; FloatMode: 240
; IeeeMode: 1
; LDSByteSize: 0 bytes/workgroup (compile time only)
; SGPRBlocks: 0
; VGPRBlocks: 0
; NumSGPRsForWavesPerEU: 4
; NumVGPRsForWavesPerEU: 1
; AccumOffset: 4
; Occupancy: 8
; WaveLimiterHint : 0
; COMPUTE_PGM_RSRC2:SCRATCH_EN: 0
; COMPUTE_PGM_RSRC2:USER_SGPR: 6
; COMPUTE_PGM_RSRC2:TRAP_HANDLER: 0
; COMPUTE_PGM_RSRC2:TGID_X_EN: 1
; COMPUTE_PGM_RSRC2:TGID_Y_EN: 0
; COMPUTE_PGM_RSRC2:TGID_Z_EN: 0
; COMPUTE_PGM_RSRC2:TIDIG_COMP_CNT: 0
; COMPUTE_PGM_RSRC3_GFX90A:ACCUM_OFFSET: 0
; COMPUTE_PGM_RSRC3_GFX90A:TG_SPLIT: 0
	.section	.text._ZN7rocprim17ROCPRIM_400000_NS6detail17trampoline_kernelINS0_14default_configENS1_36segmented_radix_sort_config_selectorIalEEZNS1_25segmented_radix_sort_implIS3_Lb0EPKaPaPKlPlN2at6native12_GLOBAL__N_18offset_tEEE10hipError_tPvRmT1_PNSt15iterator_traitsISK_E10value_typeET2_T3_PNSL_ISQ_E10value_typeET4_jRbjT5_SW_jjP12ihipStream_tbEUlT_E_NS1_11comp_targetILNS1_3genE2ELNS1_11target_archE906ELNS1_3gpuE6ELNS1_3repE0EEENS1_30default_config_static_selectorELNS0_4arch9wavefront6targetE1EEEvSK_,"axG",@progbits,_ZN7rocprim17ROCPRIM_400000_NS6detail17trampoline_kernelINS0_14default_configENS1_36segmented_radix_sort_config_selectorIalEEZNS1_25segmented_radix_sort_implIS3_Lb0EPKaPaPKlPlN2at6native12_GLOBAL__N_18offset_tEEE10hipError_tPvRmT1_PNSt15iterator_traitsISK_E10value_typeET2_T3_PNSL_ISQ_E10value_typeET4_jRbjT5_SW_jjP12ihipStream_tbEUlT_E_NS1_11comp_targetILNS1_3genE2ELNS1_11target_archE906ELNS1_3gpuE6ELNS1_3repE0EEENS1_30default_config_static_selectorELNS0_4arch9wavefront6targetE1EEEvSK_,comdat
	.globl	_ZN7rocprim17ROCPRIM_400000_NS6detail17trampoline_kernelINS0_14default_configENS1_36segmented_radix_sort_config_selectorIalEEZNS1_25segmented_radix_sort_implIS3_Lb0EPKaPaPKlPlN2at6native12_GLOBAL__N_18offset_tEEE10hipError_tPvRmT1_PNSt15iterator_traitsISK_E10value_typeET2_T3_PNSL_ISQ_E10value_typeET4_jRbjT5_SW_jjP12ihipStream_tbEUlT_E_NS1_11comp_targetILNS1_3genE2ELNS1_11target_archE906ELNS1_3gpuE6ELNS1_3repE0EEENS1_30default_config_static_selectorELNS0_4arch9wavefront6targetE1EEEvSK_ ; -- Begin function _ZN7rocprim17ROCPRIM_400000_NS6detail17trampoline_kernelINS0_14default_configENS1_36segmented_radix_sort_config_selectorIalEEZNS1_25segmented_radix_sort_implIS3_Lb0EPKaPaPKlPlN2at6native12_GLOBAL__N_18offset_tEEE10hipError_tPvRmT1_PNSt15iterator_traitsISK_E10value_typeET2_T3_PNSL_ISQ_E10value_typeET4_jRbjT5_SW_jjP12ihipStream_tbEUlT_E_NS1_11comp_targetILNS1_3genE2ELNS1_11target_archE906ELNS1_3gpuE6ELNS1_3repE0EEENS1_30default_config_static_selectorELNS0_4arch9wavefront6targetE1EEEvSK_
	.p2align	8
	.type	_ZN7rocprim17ROCPRIM_400000_NS6detail17trampoline_kernelINS0_14default_configENS1_36segmented_radix_sort_config_selectorIalEEZNS1_25segmented_radix_sort_implIS3_Lb0EPKaPaPKlPlN2at6native12_GLOBAL__N_18offset_tEEE10hipError_tPvRmT1_PNSt15iterator_traitsISK_E10value_typeET2_T3_PNSL_ISQ_E10value_typeET4_jRbjT5_SW_jjP12ihipStream_tbEUlT_E_NS1_11comp_targetILNS1_3genE2ELNS1_11target_archE906ELNS1_3gpuE6ELNS1_3repE0EEENS1_30default_config_static_selectorELNS0_4arch9wavefront6targetE1EEEvSK_,@function
_ZN7rocprim17ROCPRIM_400000_NS6detail17trampoline_kernelINS0_14default_configENS1_36segmented_radix_sort_config_selectorIalEEZNS1_25segmented_radix_sort_implIS3_Lb0EPKaPaPKlPlN2at6native12_GLOBAL__N_18offset_tEEE10hipError_tPvRmT1_PNSt15iterator_traitsISK_E10value_typeET2_T3_PNSL_ISQ_E10value_typeET4_jRbjT5_SW_jjP12ihipStream_tbEUlT_E_NS1_11comp_targetILNS1_3genE2ELNS1_11target_archE906ELNS1_3gpuE6ELNS1_3repE0EEENS1_30default_config_static_selectorELNS0_4arch9wavefront6targetE1EEEvSK_: ; @_ZN7rocprim17ROCPRIM_400000_NS6detail17trampoline_kernelINS0_14default_configENS1_36segmented_radix_sort_config_selectorIalEEZNS1_25segmented_radix_sort_implIS3_Lb0EPKaPaPKlPlN2at6native12_GLOBAL__N_18offset_tEEE10hipError_tPvRmT1_PNSt15iterator_traitsISK_E10value_typeET2_T3_PNSL_ISQ_E10value_typeET4_jRbjT5_SW_jjP12ihipStream_tbEUlT_E_NS1_11comp_targetILNS1_3genE2ELNS1_11target_archE906ELNS1_3gpuE6ELNS1_3repE0EEENS1_30default_config_static_selectorELNS0_4arch9wavefront6targetE1EEEvSK_
; %bb.0:
	.section	.rodata,"a",@progbits
	.p2align	6, 0x0
	.amdhsa_kernel _ZN7rocprim17ROCPRIM_400000_NS6detail17trampoline_kernelINS0_14default_configENS1_36segmented_radix_sort_config_selectorIalEEZNS1_25segmented_radix_sort_implIS3_Lb0EPKaPaPKlPlN2at6native12_GLOBAL__N_18offset_tEEE10hipError_tPvRmT1_PNSt15iterator_traitsISK_E10value_typeET2_T3_PNSL_ISQ_E10value_typeET4_jRbjT5_SW_jjP12ihipStream_tbEUlT_E_NS1_11comp_targetILNS1_3genE2ELNS1_11target_archE906ELNS1_3gpuE6ELNS1_3repE0EEENS1_30default_config_static_selectorELNS0_4arch9wavefront6targetE1EEEvSK_
		.amdhsa_group_segment_fixed_size 0
		.amdhsa_private_segment_fixed_size 0
		.amdhsa_kernarg_size 96
		.amdhsa_user_sgpr_count 6
		.amdhsa_user_sgpr_private_segment_buffer 1
		.amdhsa_user_sgpr_dispatch_ptr 0
		.amdhsa_user_sgpr_queue_ptr 0
		.amdhsa_user_sgpr_kernarg_segment_ptr 1
		.amdhsa_user_sgpr_dispatch_id 0
		.amdhsa_user_sgpr_flat_scratch_init 0
		.amdhsa_user_sgpr_kernarg_preload_length 0
		.amdhsa_user_sgpr_kernarg_preload_offset 0
		.amdhsa_user_sgpr_private_segment_size 0
		.amdhsa_uses_dynamic_stack 0
		.amdhsa_system_sgpr_private_segment_wavefront_offset 0
		.amdhsa_system_sgpr_workgroup_id_x 1
		.amdhsa_system_sgpr_workgroup_id_y 0
		.amdhsa_system_sgpr_workgroup_id_z 0
		.amdhsa_system_sgpr_workgroup_info 0
		.amdhsa_system_vgpr_workitem_id 0
		.amdhsa_next_free_vgpr 1
		.amdhsa_next_free_sgpr 0
		.amdhsa_accum_offset 4
		.amdhsa_reserve_vcc 0
		.amdhsa_reserve_flat_scratch 0
		.amdhsa_float_round_mode_32 0
		.amdhsa_float_round_mode_16_64 0
		.amdhsa_float_denorm_mode_32 3
		.amdhsa_float_denorm_mode_16_64 3
		.amdhsa_dx10_clamp 1
		.amdhsa_ieee_mode 1
		.amdhsa_fp16_overflow 0
		.amdhsa_tg_split 0
		.amdhsa_exception_fp_ieee_invalid_op 0
		.amdhsa_exception_fp_denorm_src 0
		.amdhsa_exception_fp_ieee_div_zero 0
		.amdhsa_exception_fp_ieee_overflow 0
		.amdhsa_exception_fp_ieee_underflow 0
		.amdhsa_exception_fp_ieee_inexact 0
		.amdhsa_exception_int_div_zero 0
	.end_amdhsa_kernel
	.section	.text._ZN7rocprim17ROCPRIM_400000_NS6detail17trampoline_kernelINS0_14default_configENS1_36segmented_radix_sort_config_selectorIalEEZNS1_25segmented_radix_sort_implIS3_Lb0EPKaPaPKlPlN2at6native12_GLOBAL__N_18offset_tEEE10hipError_tPvRmT1_PNSt15iterator_traitsISK_E10value_typeET2_T3_PNSL_ISQ_E10value_typeET4_jRbjT5_SW_jjP12ihipStream_tbEUlT_E_NS1_11comp_targetILNS1_3genE2ELNS1_11target_archE906ELNS1_3gpuE6ELNS1_3repE0EEENS1_30default_config_static_selectorELNS0_4arch9wavefront6targetE1EEEvSK_,"axG",@progbits,_ZN7rocprim17ROCPRIM_400000_NS6detail17trampoline_kernelINS0_14default_configENS1_36segmented_radix_sort_config_selectorIalEEZNS1_25segmented_radix_sort_implIS3_Lb0EPKaPaPKlPlN2at6native12_GLOBAL__N_18offset_tEEE10hipError_tPvRmT1_PNSt15iterator_traitsISK_E10value_typeET2_T3_PNSL_ISQ_E10value_typeET4_jRbjT5_SW_jjP12ihipStream_tbEUlT_E_NS1_11comp_targetILNS1_3genE2ELNS1_11target_archE906ELNS1_3gpuE6ELNS1_3repE0EEENS1_30default_config_static_selectorELNS0_4arch9wavefront6targetE1EEEvSK_,comdat
.Lfunc_end398:
	.size	_ZN7rocprim17ROCPRIM_400000_NS6detail17trampoline_kernelINS0_14default_configENS1_36segmented_radix_sort_config_selectorIalEEZNS1_25segmented_radix_sort_implIS3_Lb0EPKaPaPKlPlN2at6native12_GLOBAL__N_18offset_tEEE10hipError_tPvRmT1_PNSt15iterator_traitsISK_E10value_typeET2_T3_PNSL_ISQ_E10value_typeET4_jRbjT5_SW_jjP12ihipStream_tbEUlT_E_NS1_11comp_targetILNS1_3genE2ELNS1_11target_archE906ELNS1_3gpuE6ELNS1_3repE0EEENS1_30default_config_static_selectorELNS0_4arch9wavefront6targetE1EEEvSK_, .Lfunc_end398-_ZN7rocprim17ROCPRIM_400000_NS6detail17trampoline_kernelINS0_14default_configENS1_36segmented_radix_sort_config_selectorIalEEZNS1_25segmented_radix_sort_implIS3_Lb0EPKaPaPKlPlN2at6native12_GLOBAL__N_18offset_tEEE10hipError_tPvRmT1_PNSt15iterator_traitsISK_E10value_typeET2_T3_PNSL_ISQ_E10value_typeET4_jRbjT5_SW_jjP12ihipStream_tbEUlT_E_NS1_11comp_targetILNS1_3genE2ELNS1_11target_archE906ELNS1_3gpuE6ELNS1_3repE0EEENS1_30default_config_static_selectorELNS0_4arch9wavefront6targetE1EEEvSK_
                                        ; -- End function
	.section	.AMDGPU.csdata,"",@progbits
; Kernel info:
; codeLenInByte = 0
; NumSgprs: 4
; NumVgprs: 0
; NumAgprs: 0
; TotalNumVgprs: 0
; ScratchSize: 0
; MemoryBound: 0
; FloatMode: 240
; IeeeMode: 1
; LDSByteSize: 0 bytes/workgroup (compile time only)
; SGPRBlocks: 0
; VGPRBlocks: 0
; NumSGPRsForWavesPerEU: 4
; NumVGPRsForWavesPerEU: 1
; AccumOffset: 4
; Occupancy: 8
; WaveLimiterHint : 0
; COMPUTE_PGM_RSRC2:SCRATCH_EN: 0
; COMPUTE_PGM_RSRC2:USER_SGPR: 6
; COMPUTE_PGM_RSRC2:TRAP_HANDLER: 0
; COMPUTE_PGM_RSRC2:TGID_X_EN: 1
; COMPUTE_PGM_RSRC2:TGID_Y_EN: 0
; COMPUTE_PGM_RSRC2:TGID_Z_EN: 0
; COMPUTE_PGM_RSRC2:TIDIG_COMP_CNT: 0
; COMPUTE_PGM_RSRC3_GFX90A:ACCUM_OFFSET: 0
; COMPUTE_PGM_RSRC3_GFX90A:TG_SPLIT: 0
	.section	.text._ZN7rocprim17ROCPRIM_400000_NS6detail17trampoline_kernelINS0_14default_configENS1_36segmented_radix_sort_config_selectorIalEEZNS1_25segmented_radix_sort_implIS3_Lb0EPKaPaPKlPlN2at6native12_GLOBAL__N_18offset_tEEE10hipError_tPvRmT1_PNSt15iterator_traitsISK_E10value_typeET2_T3_PNSL_ISQ_E10value_typeET4_jRbjT5_SW_jjP12ihipStream_tbEUlT_E_NS1_11comp_targetILNS1_3genE10ELNS1_11target_archE1201ELNS1_3gpuE5ELNS1_3repE0EEENS1_30default_config_static_selectorELNS0_4arch9wavefront6targetE1EEEvSK_,"axG",@progbits,_ZN7rocprim17ROCPRIM_400000_NS6detail17trampoline_kernelINS0_14default_configENS1_36segmented_radix_sort_config_selectorIalEEZNS1_25segmented_radix_sort_implIS3_Lb0EPKaPaPKlPlN2at6native12_GLOBAL__N_18offset_tEEE10hipError_tPvRmT1_PNSt15iterator_traitsISK_E10value_typeET2_T3_PNSL_ISQ_E10value_typeET4_jRbjT5_SW_jjP12ihipStream_tbEUlT_E_NS1_11comp_targetILNS1_3genE10ELNS1_11target_archE1201ELNS1_3gpuE5ELNS1_3repE0EEENS1_30default_config_static_selectorELNS0_4arch9wavefront6targetE1EEEvSK_,comdat
	.globl	_ZN7rocprim17ROCPRIM_400000_NS6detail17trampoline_kernelINS0_14default_configENS1_36segmented_radix_sort_config_selectorIalEEZNS1_25segmented_radix_sort_implIS3_Lb0EPKaPaPKlPlN2at6native12_GLOBAL__N_18offset_tEEE10hipError_tPvRmT1_PNSt15iterator_traitsISK_E10value_typeET2_T3_PNSL_ISQ_E10value_typeET4_jRbjT5_SW_jjP12ihipStream_tbEUlT_E_NS1_11comp_targetILNS1_3genE10ELNS1_11target_archE1201ELNS1_3gpuE5ELNS1_3repE0EEENS1_30default_config_static_selectorELNS0_4arch9wavefront6targetE1EEEvSK_ ; -- Begin function _ZN7rocprim17ROCPRIM_400000_NS6detail17trampoline_kernelINS0_14default_configENS1_36segmented_radix_sort_config_selectorIalEEZNS1_25segmented_radix_sort_implIS3_Lb0EPKaPaPKlPlN2at6native12_GLOBAL__N_18offset_tEEE10hipError_tPvRmT1_PNSt15iterator_traitsISK_E10value_typeET2_T3_PNSL_ISQ_E10value_typeET4_jRbjT5_SW_jjP12ihipStream_tbEUlT_E_NS1_11comp_targetILNS1_3genE10ELNS1_11target_archE1201ELNS1_3gpuE5ELNS1_3repE0EEENS1_30default_config_static_selectorELNS0_4arch9wavefront6targetE1EEEvSK_
	.p2align	8
	.type	_ZN7rocprim17ROCPRIM_400000_NS6detail17trampoline_kernelINS0_14default_configENS1_36segmented_radix_sort_config_selectorIalEEZNS1_25segmented_radix_sort_implIS3_Lb0EPKaPaPKlPlN2at6native12_GLOBAL__N_18offset_tEEE10hipError_tPvRmT1_PNSt15iterator_traitsISK_E10value_typeET2_T3_PNSL_ISQ_E10value_typeET4_jRbjT5_SW_jjP12ihipStream_tbEUlT_E_NS1_11comp_targetILNS1_3genE10ELNS1_11target_archE1201ELNS1_3gpuE5ELNS1_3repE0EEENS1_30default_config_static_selectorELNS0_4arch9wavefront6targetE1EEEvSK_,@function
_ZN7rocprim17ROCPRIM_400000_NS6detail17trampoline_kernelINS0_14default_configENS1_36segmented_radix_sort_config_selectorIalEEZNS1_25segmented_radix_sort_implIS3_Lb0EPKaPaPKlPlN2at6native12_GLOBAL__N_18offset_tEEE10hipError_tPvRmT1_PNSt15iterator_traitsISK_E10value_typeET2_T3_PNSL_ISQ_E10value_typeET4_jRbjT5_SW_jjP12ihipStream_tbEUlT_E_NS1_11comp_targetILNS1_3genE10ELNS1_11target_archE1201ELNS1_3gpuE5ELNS1_3repE0EEENS1_30default_config_static_selectorELNS0_4arch9wavefront6targetE1EEEvSK_: ; @_ZN7rocprim17ROCPRIM_400000_NS6detail17trampoline_kernelINS0_14default_configENS1_36segmented_radix_sort_config_selectorIalEEZNS1_25segmented_radix_sort_implIS3_Lb0EPKaPaPKlPlN2at6native12_GLOBAL__N_18offset_tEEE10hipError_tPvRmT1_PNSt15iterator_traitsISK_E10value_typeET2_T3_PNSL_ISQ_E10value_typeET4_jRbjT5_SW_jjP12ihipStream_tbEUlT_E_NS1_11comp_targetILNS1_3genE10ELNS1_11target_archE1201ELNS1_3gpuE5ELNS1_3repE0EEENS1_30default_config_static_selectorELNS0_4arch9wavefront6targetE1EEEvSK_
; %bb.0:
	.section	.rodata,"a",@progbits
	.p2align	6, 0x0
	.amdhsa_kernel _ZN7rocprim17ROCPRIM_400000_NS6detail17trampoline_kernelINS0_14default_configENS1_36segmented_radix_sort_config_selectorIalEEZNS1_25segmented_radix_sort_implIS3_Lb0EPKaPaPKlPlN2at6native12_GLOBAL__N_18offset_tEEE10hipError_tPvRmT1_PNSt15iterator_traitsISK_E10value_typeET2_T3_PNSL_ISQ_E10value_typeET4_jRbjT5_SW_jjP12ihipStream_tbEUlT_E_NS1_11comp_targetILNS1_3genE10ELNS1_11target_archE1201ELNS1_3gpuE5ELNS1_3repE0EEENS1_30default_config_static_selectorELNS0_4arch9wavefront6targetE1EEEvSK_
		.amdhsa_group_segment_fixed_size 0
		.amdhsa_private_segment_fixed_size 0
		.amdhsa_kernarg_size 96
		.amdhsa_user_sgpr_count 6
		.amdhsa_user_sgpr_private_segment_buffer 1
		.amdhsa_user_sgpr_dispatch_ptr 0
		.amdhsa_user_sgpr_queue_ptr 0
		.amdhsa_user_sgpr_kernarg_segment_ptr 1
		.amdhsa_user_sgpr_dispatch_id 0
		.amdhsa_user_sgpr_flat_scratch_init 0
		.amdhsa_user_sgpr_kernarg_preload_length 0
		.amdhsa_user_sgpr_kernarg_preload_offset 0
		.amdhsa_user_sgpr_private_segment_size 0
		.amdhsa_uses_dynamic_stack 0
		.amdhsa_system_sgpr_private_segment_wavefront_offset 0
		.amdhsa_system_sgpr_workgroup_id_x 1
		.amdhsa_system_sgpr_workgroup_id_y 0
		.amdhsa_system_sgpr_workgroup_id_z 0
		.amdhsa_system_sgpr_workgroup_info 0
		.amdhsa_system_vgpr_workitem_id 0
		.amdhsa_next_free_vgpr 1
		.amdhsa_next_free_sgpr 0
		.amdhsa_accum_offset 4
		.amdhsa_reserve_vcc 0
		.amdhsa_reserve_flat_scratch 0
		.amdhsa_float_round_mode_32 0
		.amdhsa_float_round_mode_16_64 0
		.amdhsa_float_denorm_mode_32 3
		.amdhsa_float_denorm_mode_16_64 3
		.amdhsa_dx10_clamp 1
		.amdhsa_ieee_mode 1
		.amdhsa_fp16_overflow 0
		.amdhsa_tg_split 0
		.amdhsa_exception_fp_ieee_invalid_op 0
		.amdhsa_exception_fp_denorm_src 0
		.amdhsa_exception_fp_ieee_div_zero 0
		.amdhsa_exception_fp_ieee_overflow 0
		.amdhsa_exception_fp_ieee_underflow 0
		.amdhsa_exception_fp_ieee_inexact 0
		.amdhsa_exception_int_div_zero 0
	.end_amdhsa_kernel
	.section	.text._ZN7rocprim17ROCPRIM_400000_NS6detail17trampoline_kernelINS0_14default_configENS1_36segmented_radix_sort_config_selectorIalEEZNS1_25segmented_radix_sort_implIS3_Lb0EPKaPaPKlPlN2at6native12_GLOBAL__N_18offset_tEEE10hipError_tPvRmT1_PNSt15iterator_traitsISK_E10value_typeET2_T3_PNSL_ISQ_E10value_typeET4_jRbjT5_SW_jjP12ihipStream_tbEUlT_E_NS1_11comp_targetILNS1_3genE10ELNS1_11target_archE1201ELNS1_3gpuE5ELNS1_3repE0EEENS1_30default_config_static_selectorELNS0_4arch9wavefront6targetE1EEEvSK_,"axG",@progbits,_ZN7rocprim17ROCPRIM_400000_NS6detail17trampoline_kernelINS0_14default_configENS1_36segmented_radix_sort_config_selectorIalEEZNS1_25segmented_radix_sort_implIS3_Lb0EPKaPaPKlPlN2at6native12_GLOBAL__N_18offset_tEEE10hipError_tPvRmT1_PNSt15iterator_traitsISK_E10value_typeET2_T3_PNSL_ISQ_E10value_typeET4_jRbjT5_SW_jjP12ihipStream_tbEUlT_E_NS1_11comp_targetILNS1_3genE10ELNS1_11target_archE1201ELNS1_3gpuE5ELNS1_3repE0EEENS1_30default_config_static_selectorELNS0_4arch9wavefront6targetE1EEEvSK_,comdat
.Lfunc_end399:
	.size	_ZN7rocprim17ROCPRIM_400000_NS6detail17trampoline_kernelINS0_14default_configENS1_36segmented_radix_sort_config_selectorIalEEZNS1_25segmented_radix_sort_implIS3_Lb0EPKaPaPKlPlN2at6native12_GLOBAL__N_18offset_tEEE10hipError_tPvRmT1_PNSt15iterator_traitsISK_E10value_typeET2_T3_PNSL_ISQ_E10value_typeET4_jRbjT5_SW_jjP12ihipStream_tbEUlT_E_NS1_11comp_targetILNS1_3genE10ELNS1_11target_archE1201ELNS1_3gpuE5ELNS1_3repE0EEENS1_30default_config_static_selectorELNS0_4arch9wavefront6targetE1EEEvSK_, .Lfunc_end399-_ZN7rocprim17ROCPRIM_400000_NS6detail17trampoline_kernelINS0_14default_configENS1_36segmented_radix_sort_config_selectorIalEEZNS1_25segmented_radix_sort_implIS3_Lb0EPKaPaPKlPlN2at6native12_GLOBAL__N_18offset_tEEE10hipError_tPvRmT1_PNSt15iterator_traitsISK_E10value_typeET2_T3_PNSL_ISQ_E10value_typeET4_jRbjT5_SW_jjP12ihipStream_tbEUlT_E_NS1_11comp_targetILNS1_3genE10ELNS1_11target_archE1201ELNS1_3gpuE5ELNS1_3repE0EEENS1_30default_config_static_selectorELNS0_4arch9wavefront6targetE1EEEvSK_
                                        ; -- End function
	.section	.AMDGPU.csdata,"",@progbits
; Kernel info:
; codeLenInByte = 0
; NumSgprs: 4
; NumVgprs: 0
; NumAgprs: 0
; TotalNumVgprs: 0
; ScratchSize: 0
; MemoryBound: 0
; FloatMode: 240
; IeeeMode: 1
; LDSByteSize: 0 bytes/workgroup (compile time only)
; SGPRBlocks: 0
; VGPRBlocks: 0
; NumSGPRsForWavesPerEU: 4
; NumVGPRsForWavesPerEU: 1
; AccumOffset: 4
; Occupancy: 8
; WaveLimiterHint : 0
; COMPUTE_PGM_RSRC2:SCRATCH_EN: 0
; COMPUTE_PGM_RSRC2:USER_SGPR: 6
; COMPUTE_PGM_RSRC2:TRAP_HANDLER: 0
; COMPUTE_PGM_RSRC2:TGID_X_EN: 1
; COMPUTE_PGM_RSRC2:TGID_Y_EN: 0
; COMPUTE_PGM_RSRC2:TGID_Z_EN: 0
; COMPUTE_PGM_RSRC2:TIDIG_COMP_CNT: 0
; COMPUTE_PGM_RSRC3_GFX90A:ACCUM_OFFSET: 0
; COMPUTE_PGM_RSRC3_GFX90A:TG_SPLIT: 0
	.section	.text._ZN7rocprim17ROCPRIM_400000_NS6detail17trampoline_kernelINS0_14default_configENS1_36segmented_radix_sort_config_selectorIalEEZNS1_25segmented_radix_sort_implIS3_Lb0EPKaPaPKlPlN2at6native12_GLOBAL__N_18offset_tEEE10hipError_tPvRmT1_PNSt15iterator_traitsISK_E10value_typeET2_T3_PNSL_ISQ_E10value_typeET4_jRbjT5_SW_jjP12ihipStream_tbEUlT_E_NS1_11comp_targetILNS1_3genE10ELNS1_11target_archE1200ELNS1_3gpuE4ELNS1_3repE0EEENS1_30default_config_static_selectorELNS0_4arch9wavefront6targetE1EEEvSK_,"axG",@progbits,_ZN7rocprim17ROCPRIM_400000_NS6detail17trampoline_kernelINS0_14default_configENS1_36segmented_radix_sort_config_selectorIalEEZNS1_25segmented_radix_sort_implIS3_Lb0EPKaPaPKlPlN2at6native12_GLOBAL__N_18offset_tEEE10hipError_tPvRmT1_PNSt15iterator_traitsISK_E10value_typeET2_T3_PNSL_ISQ_E10value_typeET4_jRbjT5_SW_jjP12ihipStream_tbEUlT_E_NS1_11comp_targetILNS1_3genE10ELNS1_11target_archE1200ELNS1_3gpuE4ELNS1_3repE0EEENS1_30default_config_static_selectorELNS0_4arch9wavefront6targetE1EEEvSK_,comdat
	.globl	_ZN7rocprim17ROCPRIM_400000_NS6detail17trampoline_kernelINS0_14default_configENS1_36segmented_radix_sort_config_selectorIalEEZNS1_25segmented_radix_sort_implIS3_Lb0EPKaPaPKlPlN2at6native12_GLOBAL__N_18offset_tEEE10hipError_tPvRmT1_PNSt15iterator_traitsISK_E10value_typeET2_T3_PNSL_ISQ_E10value_typeET4_jRbjT5_SW_jjP12ihipStream_tbEUlT_E_NS1_11comp_targetILNS1_3genE10ELNS1_11target_archE1200ELNS1_3gpuE4ELNS1_3repE0EEENS1_30default_config_static_selectorELNS0_4arch9wavefront6targetE1EEEvSK_ ; -- Begin function _ZN7rocprim17ROCPRIM_400000_NS6detail17trampoline_kernelINS0_14default_configENS1_36segmented_radix_sort_config_selectorIalEEZNS1_25segmented_radix_sort_implIS3_Lb0EPKaPaPKlPlN2at6native12_GLOBAL__N_18offset_tEEE10hipError_tPvRmT1_PNSt15iterator_traitsISK_E10value_typeET2_T3_PNSL_ISQ_E10value_typeET4_jRbjT5_SW_jjP12ihipStream_tbEUlT_E_NS1_11comp_targetILNS1_3genE10ELNS1_11target_archE1200ELNS1_3gpuE4ELNS1_3repE0EEENS1_30default_config_static_selectorELNS0_4arch9wavefront6targetE1EEEvSK_
	.p2align	8
	.type	_ZN7rocprim17ROCPRIM_400000_NS6detail17trampoline_kernelINS0_14default_configENS1_36segmented_radix_sort_config_selectorIalEEZNS1_25segmented_radix_sort_implIS3_Lb0EPKaPaPKlPlN2at6native12_GLOBAL__N_18offset_tEEE10hipError_tPvRmT1_PNSt15iterator_traitsISK_E10value_typeET2_T3_PNSL_ISQ_E10value_typeET4_jRbjT5_SW_jjP12ihipStream_tbEUlT_E_NS1_11comp_targetILNS1_3genE10ELNS1_11target_archE1200ELNS1_3gpuE4ELNS1_3repE0EEENS1_30default_config_static_selectorELNS0_4arch9wavefront6targetE1EEEvSK_,@function
_ZN7rocprim17ROCPRIM_400000_NS6detail17trampoline_kernelINS0_14default_configENS1_36segmented_radix_sort_config_selectorIalEEZNS1_25segmented_radix_sort_implIS3_Lb0EPKaPaPKlPlN2at6native12_GLOBAL__N_18offset_tEEE10hipError_tPvRmT1_PNSt15iterator_traitsISK_E10value_typeET2_T3_PNSL_ISQ_E10value_typeET4_jRbjT5_SW_jjP12ihipStream_tbEUlT_E_NS1_11comp_targetILNS1_3genE10ELNS1_11target_archE1200ELNS1_3gpuE4ELNS1_3repE0EEENS1_30default_config_static_selectorELNS0_4arch9wavefront6targetE1EEEvSK_: ; @_ZN7rocprim17ROCPRIM_400000_NS6detail17trampoline_kernelINS0_14default_configENS1_36segmented_radix_sort_config_selectorIalEEZNS1_25segmented_radix_sort_implIS3_Lb0EPKaPaPKlPlN2at6native12_GLOBAL__N_18offset_tEEE10hipError_tPvRmT1_PNSt15iterator_traitsISK_E10value_typeET2_T3_PNSL_ISQ_E10value_typeET4_jRbjT5_SW_jjP12ihipStream_tbEUlT_E_NS1_11comp_targetILNS1_3genE10ELNS1_11target_archE1200ELNS1_3gpuE4ELNS1_3repE0EEENS1_30default_config_static_selectorELNS0_4arch9wavefront6targetE1EEEvSK_
; %bb.0:
	.section	.rodata,"a",@progbits
	.p2align	6, 0x0
	.amdhsa_kernel _ZN7rocprim17ROCPRIM_400000_NS6detail17trampoline_kernelINS0_14default_configENS1_36segmented_radix_sort_config_selectorIalEEZNS1_25segmented_radix_sort_implIS3_Lb0EPKaPaPKlPlN2at6native12_GLOBAL__N_18offset_tEEE10hipError_tPvRmT1_PNSt15iterator_traitsISK_E10value_typeET2_T3_PNSL_ISQ_E10value_typeET4_jRbjT5_SW_jjP12ihipStream_tbEUlT_E_NS1_11comp_targetILNS1_3genE10ELNS1_11target_archE1200ELNS1_3gpuE4ELNS1_3repE0EEENS1_30default_config_static_selectorELNS0_4arch9wavefront6targetE1EEEvSK_
		.amdhsa_group_segment_fixed_size 0
		.amdhsa_private_segment_fixed_size 0
		.amdhsa_kernarg_size 96
		.amdhsa_user_sgpr_count 6
		.amdhsa_user_sgpr_private_segment_buffer 1
		.amdhsa_user_sgpr_dispatch_ptr 0
		.amdhsa_user_sgpr_queue_ptr 0
		.amdhsa_user_sgpr_kernarg_segment_ptr 1
		.amdhsa_user_sgpr_dispatch_id 0
		.amdhsa_user_sgpr_flat_scratch_init 0
		.amdhsa_user_sgpr_kernarg_preload_length 0
		.amdhsa_user_sgpr_kernarg_preload_offset 0
		.amdhsa_user_sgpr_private_segment_size 0
		.amdhsa_uses_dynamic_stack 0
		.amdhsa_system_sgpr_private_segment_wavefront_offset 0
		.amdhsa_system_sgpr_workgroup_id_x 1
		.amdhsa_system_sgpr_workgroup_id_y 0
		.amdhsa_system_sgpr_workgroup_id_z 0
		.amdhsa_system_sgpr_workgroup_info 0
		.amdhsa_system_vgpr_workitem_id 0
		.amdhsa_next_free_vgpr 1
		.amdhsa_next_free_sgpr 0
		.amdhsa_accum_offset 4
		.amdhsa_reserve_vcc 0
		.amdhsa_reserve_flat_scratch 0
		.amdhsa_float_round_mode_32 0
		.amdhsa_float_round_mode_16_64 0
		.amdhsa_float_denorm_mode_32 3
		.amdhsa_float_denorm_mode_16_64 3
		.amdhsa_dx10_clamp 1
		.amdhsa_ieee_mode 1
		.amdhsa_fp16_overflow 0
		.amdhsa_tg_split 0
		.amdhsa_exception_fp_ieee_invalid_op 0
		.amdhsa_exception_fp_denorm_src 0
		.amdhsa_exception_fp_ieee_div_zero 0
		.amdhsa_exception_fp_ieee_overflow 0
		.amdhsa_exception_fp_ieee_underflow 0
		.amdhsa_exception_fp_ieee_inexact 0
		.amdhsa_exception_int_div_zero 0
	.end_amdhsa_kernel
	.section	.text._ZN7rocprim17ROCPRIM_400000_NS6detail17trampoline_kernelINS0_14default_configENS1_36segmented_radix_sort_config_selectorIalEEZNS1_25segmented_radix_sort_implIS3_Lb0EPKaPaPKlPlN2at6native12_GLOBAL__N_18offset_tEEE10hipError_tPvRmT1_PNSt15iterator_traitsISK_E10value_typeET2_T3_PNSL_ISQ_E10value_typeET4_jRbjT5_SW_jjP12ihipStream_tbEUlT_E_NS1_11comp_targetILNS1_3genE10ELNS1_11target_archE1200ELNS1_3gpuE4ELNS1_3repE0EEENS1_30default_config_static_selectorELNS0_4arch9wavefront6targetE1EEEvSK_,"axG",@progbits,_ZN7rocprim17ROCPRIM_400000_NS6detail17trampoline_kernelINS0_14default_configENS1_36segmented_radix_sort_config_selectorIalEEZNS1_25segmented_radix_sort_implIS3_Lb0EPKaPaPKlPlN2at6native12_GLOBAL__N_18offset_tEEE10hipError_tPvRmT1_PNSt15iterator_traitsISK_E10value_typeET2_T3_PNSL_ISQ_E10value_typeET4_jRbjT5_SW_jjP12ihipStream_tbEUlT_E_NS1_11comp_targetILNS1_3genE10ELNS1_11target_archE1200ELNS1_3gpuE4ELNS1_3repE0EEENS1_30default_config_static_selectorELNS0_4arch9wavefront6targetE1EEEvSK_,comdat
.Lfunc_end400:
	.size	_ZN7rocprim17ROCPRIM_400000_NS6detail17trampoline_kernelINS0_14default_configENS1_36segmented_radix_sort_config_selectorIalEEZNS1_25segmented_radix_sort_implIS3_Lb0EPKaPaPKlPlN2at6native12_GLOBAL__N_18offset_tEEE10hipError_tPvRmT1_PNSt15iterator_traitsISK_E10value_typeET2_T3_PNSL_ISQ_E10value_typeET4_jRbjT5_SW_jjP12ihipStream_tbEUlT_E_NS1_11comp_targetILNS1_3genE10ELNS1_11target_archE1200ELNS1_3gpuE4ELNS1_3repE0EEENS1_30default_config_static_selectorELNS0_4arch9wavefront6targetE1EEEvSK_, .Lfunc_end400-_ZN7rocprim17ROCPRIM_400000_NS6detail17trampoline_kernelINS0_14default_configENS1_36segmented_radix_sort_config_selectorIalEEZNS1_25segmented_radix_sort_implIS3_Lb0EPKaPaPKlPlN2at6native12_GLOBAL__N_18offset_tEEE10hipError_tPvRmT1_PNSt15iterator_traitsISK_E10value_typeET2_T3_PNSL_ISQ_E10value_typeET4_jRbjT5_SW_jjP12ihipStream_tbEUlT_E_NS1_11comp_targetILNS1_3genE10ELNS1_11target_archE1200ELNS1_3gpuE4ELNS1_3repE0EEENS1_30default_config_static_selectorELNS0_4arch9wavefront6targetE1EEEvSK_
                                        ; -- End function
	.section	.AMDGPU.csdata,"",@progbits
; Kernel info:
; codeLenInByte = 0
; NumSgprs: 4
; NumVgprs: 0
; NumAgprs: 0
; TotalNumVgprs: 0
; ScratchSize: 0
; MemoryBound: 0
; FloatMode: 240
; IeeeMode: 1
; LDSByteSize: 0 bytes/workgroup (compile time only)
; SGPRBlocks: 0
; VGPRBlocks: 0
; NumSGPRsForWavesPerEU: 4
; NumVGPRsForWavesPerEU: 1
; AccumOffset: 4
; Occupancy: 8
; WaveLimiterHint : 0
; COMPUTE_PGM_RSRC2:SCRATCH_EN: 0
; COMPUTE_PGM_RSRC2:USER_SGPR: 6
; COMPUTE_PGM_RSRC2:TRAP_HANDLER: 0
; COMPUTE_PGM_RSRC2:TGID_X_EN: 1
; COMPUTE_PGM_RSRC2:TGID_Y_EN: 0
; COMPUTE_PGM_RSRC2:TGID_Z_EN: 0
; COMPUTE_PGM_RSRC2:TIDIG_COMP_CNT: 0
; COMPUTE_PGM_RSRC3_GFX90A:ACCUM_OFFSET: 0
; COMPUTE_PGM_RSRC3_GFX90A:TG_SPLIT: 0
	.section	.text._ZN7rocprim17ROCPRIM_400000_NS6detail17trampoline_kernelINS0_14default_configENS1_36segmented_radix_sort_config_selectorIalEEZNS1_25segmented_radix_sort_implIS3_Lb0EPKaPaPKlPlN2at6native12_GLOBAL__N_18offset_tEEE10hipError_tPvRmT1_PNSt15iterator_traitsISK_E10value_typeET2_T3_PNSL_ISQ_E10value_typeET4_jRbjT5_SW_jjP12ihipStream_tbEUlT_E_NS1_11comp_targetILNS1_3genE9ELNS1_11target_archE1100ELNS1_3gpuE3ELNS1_3repE0EEENS1_30default_config_static_selectorELNS0_4arch9wavefront6targetE1EEEvSK_,"axG",@progbits,_ZN7rocprim17ROCPRIM_400000_NS6detail17trampoline_kernelINS0_14default_configENS1_36segmented_radix_sort_config_selectorIalEEZNS1_25segmented_radix_sort_implIS3_Lb0EPKaPaPKlPlN2at6native12_GLOBAL__N_18offset_tEEE10hipError_tPvRmT1_PNSt15iterator_traitsISK_E10value_typeET2_T3_PNSL_ISQ_E10value_typeET4_jRbjT5_SW_jjP12ihipStream_tbEUlT_E_NS1_11comp_targetILNS1_3genE9ELNS1_11target_archE1100ELNS1_3gpuE3ELNS1_3repE0EEENS1_30default_config_static_selectorELNS0_4arch9wavefront6targetE1EEEvSK_,comdat
	.globl	_ZN7rocprim17ROCPRIM_400000_NS6detail17trampoline_kernelINS0_14default_configENS1_36segmented_radix_sort_config_selectorIalEEZNS1_25segmented_radix_sort_implIS3_Lb0EPKaPaPKlPlN2at6native12_GLOBAL__N_18offset_tEEE10hipError_tPvRmT1_PNSt15iterator_traitsISK_E10value_typeET2_T3_PNSL_ISQ_E10value_typeET4_jRbjT5_SW_jjP12ihipStream_tbEUlT_E_NS1_11comp_targetILNS1_3genE9ELNS1_11target_archE1100ELNS1_3gpuE3ELNS1_3repE0EEENS1_30default_config_static_selectorELNS0_4arch9wavefront6targetE1EEEvSK_ ; -- Begin function _ZN7rocprim17ROCPRIM_400000_NS6detail17trampoline_kernelINS0_14default_configENS1_36segmented_radix_sort_config_selectorIalEEZNS1_25segmented_radix_sort_implIS3_Lb0EPKaPaPKlPlN2at6native12_GLOBAL__N_18offset_tEEE10hipError_tPvRmT1_PNSt15iterator_traitsISK_E10value_typeET2_T3_PNSL_ISQ_E10value_typeET4_jRbjT5_SW_jjP12ihipStream_tbEUlT_E_NS1_11comp_targetILNS1_3genE9ELNS1_11target_archE1100ELNS1_3gpuE3ELNS1_3repE0EEENS1_30default_config_static_selectorELNS0_4arch9wavefront6targetE1EEEvSK_
	.p2align	8
	.type	_ZN7rocprim17ROCPRIM_400000_NS6detail17trampoline_kernelINS0_14default_configENS1_36segmented_radix_sort_config_selectorIalEEZNS1_25segmented_radix_sort_implIS3_Lb0EPKaPaPKlPlN2at6native12_GLOBAL__N_18offset_tEEE10hipError_tPvRmT1_PNSt15iterator_traitsISK_E10value_typeET2_T3_PNSL_ISQ_E10value_typeET4_jRbjT5_SW_jjP12ihipStream_tbEUlT_E_NS1_11comp_targetILNS1_3genE9ELNS1_11target_archE1100ELNS1_3gpuE3ELNS1_3repE0EEENS1_30default_config_static_selectorELNS0_4arch9wavefront6targetE1EEEvSK_,@function
_ZN7rocprim17ROCPRIM_400000_NS6detail17trampoline_kernelINS0_14default_configENS1_36segmented_radix_sort_config_selectorIalEEZNS1_25segmented_radix_sort_implIS3_Lb0EPKaPaPKlPlN2at6native12_GLOBAL__N_18offset_tEEE10hipError_tPvRmT1_PNSt15iterator_traitsISK_E10value_typeET2_T3_PNSL_ISQ_E10value_typeET4_jRbjT5_SW_jjP12ihipStream_tbEUlT_E_NS1_11comp_targetILNS1_3genE9ELNS1_11target_archE1100ELNS1_3gpuE3ELNS1_3repE0EEENS1_30default_config_static_selectorELNS0_4arch9wavefront6targetE1EEEvSK_: ; @_ZN7rocprim17ROCPRIM_400000_NS6detail17trampoline_kernelINS0_14default_configENS1_36segmented_radix_sort_config_selectorIalEEZNS1_25segmented_radix_sort_implIS3_Lb0EPKaPaPKlPlN2at6native12_GLOBAL__N_18offset_tEEE10hipError_tPvRmT1_PNSt15iterator_traitsISK_E10value_typeET2_T3_PNSL_ISQ_E10value_typeET4_jRbjT5_SW_jjP12ihipStream_tbEUlT_E_NS1_11comp_targetILNS1_3genE9ELNS1_11target_archE1100ELNS1_3gpuE3ELNS1_3repE0EEENS1_30default_config_static_selectorELNS0_4arch9wavefront6targetE1EEEvSK_
; %bb.0:
	.section	.rodata,"a",@progbits
	.p2align	6, 0x0
	.amdhsa_kernel _ZN7rocprim17ROCPRIM_400000_NS6detail17trampoline_kernelINS0_14default_configENS1_36segmented_radix_sort_config_selectorIalEEZNS1_25segmented_radix_sort_implIS3_Lb0EPKaPaPKlPlN2at6native12_GLOBAL__N_18offset_tEEE10hipError_tPvRmT1_PNSt15iterator_traitsISK_E10value_typeET2_T3_PNSL_ISQ_E10value_typeET4_jRbjT5_SW_jjP12ihipStream_tbEUlT_E_NS1_11comp_targetILNS1_3genE9ELNS1_11target_archE1100ELNS1_3gpuE3ELNS1_3repE0EEENS1_30default_config_static_selectorELNS0_4arch9wavefront6targetE1EEEvSK_
		.amdhsa_group_segment_fixed_size 0
		.amdhsa_private_segment_fixed_size 0
		.amdhsa_kernarg_size 96
		.amdhsa_user_sgpr_count 6
		.amdhsa_user_sgpr_private_segment_buffer 1
		.amdhsa_user_sgpr_dispatch_ptr 0
		.amdhsa_user_sgpr_queue_ptr 0
		.amdhsa_user_sgpr_kernarg_segment_ptr 1
		.amdhsa_user_sgpr_dispatch_id 0
		.amdhsa_user_sgpr_flat_scratch_init 0
		.amdhsa_user_sgpr_kernarg_preload_length 0
		.amdhsa_user_sgpr_kernarg_preload_offset 0
		.amdhsa_user_sgpr_private_segment_size 0
		.amdhsa_uses_dynamic_stack 0
		.amdhsa_system_sgpr_private_segment_wavefront_offset 0
		.amdhsa_system_sgpr_workgroup_id_x 1
		.amdhsa_system_sgpr_workgroup_id_y 0
		.amdhsa_system_sgpr_workgroup_id_z 0
		.amdhsa_system_sgpr_workgroup_info 0
		.amdhsa_system_vgpr_workitem_id 0
		.amdhsa_next_free_vgpr 1
		.amdhsa_next_free_sgpr 0
		.amdhsa_accum_offset 4
		.amdhsa_reserve_vcc 0
		.amdhsa_reserve_flat_scratch 0
		.amdhsa_float_round_mode_32 0
		.amdhsa_float_round_mode_16_64 0
		.amdhsa_float_denorm_mode_32 3
		.amdhsa_float_denorm_mode_16_64 3
		.amdhsa_dx10_clamp 1
		.amdhsa_ieee_mode 1
		.amdhsa_fp16_overflow 0
		.amdhsa_tg_split 0
		.amdhsa_exception_fp_ieee_invalid_op 0
		.amdhsa_exception_fp_denorm_src 0
		.amdhsa_exception_fp_ieee_div_zero 0
		.amdhsa_exception_fp_ieee_overflow 0
		.amdhsa_exception_fp_ieee_underflow 0
		.amdhsa_exception_fp_ieee_inexact 0
		.amdhsa_exception_int_div_zero 0
	.end_amdhsa_kernel
	.section	.text._ZN7rocprim17ROCPRIM_400000_NS6detail17trampoline_kernelINS0_14default_configENS1_36segmented_radix_sort_config_selectorIalEEZNS1_25segmented_radix_sort_implIS3_Lb0EPKaPaPKlPlN2at6native12_GLOBAL__N_18offset_tEEE10hipError_tPvRmT1_PNSt15iterator_traitsISK_E10value_typeET2_T3_PNSL_ISQ_E10value_typeET4_jRbjT5_SW_jjP12ihipStream_tbEUlT_E_NS1_11comp_targetILNS1_3genE9ELNS1_11target_archE1100ELNS1_3gpuE3ELNS1_3repE0EEENS1_30default_config_static_selectorELNS0_4arch9wavefront6targetE1EEEvSK_,"axG",@progbits,_ZN7rocprim17ROCPRIM_400000_NS6detail17trampoline_kernelINS0_14default_configENS1_36segmented_radix_sort_config_selectorIalEEZNS1_25segmented_radix_sort_implIS3_Lb0EPKaPaPKlPlN2at6native12_GLOBAL__N_18offset_tEEE10hipError_tPvRmT1_PNSt15iterator_traitsISK_E10value_typeET2_T3_PNSL_ISQ_E10value_typeET4_jRbjT5_SW_jjP12ihipStream_tbEUlT_E_NS1_11comp_targetILNS1_3genE9ELNS1_11target_archE1100ELNS1_3gpuE3ELNS1_3repE0EEENS1_30default_config_static_selectorELNS0_4arch9wavefront6targetE1EEEvSK_,comdat
.Lfunc_end401:
	.size	_ZN7rocprim17ROCPRIM_400000_NS6detail17trampoline_kernelINS0_14default_configENS1_36segmented_radix_sort_config_selectorIalEEZNS1_25segmented_radix_sort_implIS3_Lb0EPKaPaPKlPlN2at6native12_GLOBAL__N_18offset_tEEE10hipError_tPvRmT1_PNSt15iterator_traitsISK_E10value_typeET2_T3_PNSL_ISQ_E10value_typeET4_jRbjT5_SW_jjP12ihipStream_tbEUlT_E_NS1_11comp_targetILNS1_3genE9ELNS1_11target_archE1100ELNS1_3gpuE3ELNS1_3repE0EEENS1_30default_config_static_selectorELNS0_4arch9wavefront6targetE1EEEvSK_, .Lfunc_end401-_ZN7rocprim17ROCPRIM_400000_NS6detail17trampoline_kernelINS0_14default_configENS1_36segmented_radix_sort_config_selectorIalEEZNS1_25segmented_radix_sort_implIS3_Lb0EPKaPaPKlPlN2at6native12_GLOBAL__N_18offset_tEEE10hipError_tPvRmT1_PNSt15iterator_traitsISK_E10value_typeET2_T3_PNSL_ISQ_E10value_typeET4_jRbjT5_SW_jjP12ihipStream_tbEUlT_E_NS1_11comp_targetILNS1_3genE9ELNS1_11target_archE1100ELNS1_3gpuE3ELNS1_3repE0EEENS1_30default_config_static_selectorELNS0_4arch9wavefront6targetE1EEEvSK_
                                        ; -- End function
	.section	.AMDGPU.csdata,"",@progbits
; Kernel info:
; codeLenInByte = 0
; NumSgprs: 4
; NumVgprs: 0
; NumAgprs: 0
; TotalNumVgprs: 0
; ScratchSize: 0
; MemoryBound: 0
; FloatMode: 240
; IeeeMode: 1
; LDSByteSize: 0 bytes/workgroup (compile time only)
; SGPRBlocks: 0
; VGPRBlocks: 0
; NumSGPRsForWavesPerEU: 4
; NumVGPRsForWavesPerEU: 1
; AccumOffset: 4
; Occupancy: 8
; WaveLimiterHint : 0
; COMPUTE_PGM_RSRC2:SCRATCH_EN: 0
; COMPUTE_PGM_RSRC2:USER_SGPR: 6
; COMPUTE_PGM_RSRC2:TRAP_HANDLER: 0
; COMPUTE_PGM_RSRC2:TGID_X_EN: 1
; COMPUTE_PGM_RSRC2:TGID_Y_EN: 0
; COMPUTE_PGM_RSRC2:TGID_Z_EN: 0
; COMPUTE_PGM_RSRC2:TIDIG_COMP_CNT: 0
; COMPUTE_PGM_RSRC3_GFX90A:ACCUM_OFFSET: 0
; COMPUTE_PGM_RSRC3_GFX90A:TG_SPLIT: 0
	.section	.text._ZN7rocprim17ROCPRIM_400000_NS6detail17trampoline_kernelINS0_14default_configENS1_36segmented_radix_sort_config_selectorIalEEZNS1_25segmented_radix_sort_implIS3_Lb0EPKaPaPKlPlN2at6native12_GLOBAL__N_18offset_tEEE10hipError_tPvRmT1_PNSt15iterator_traitsISK_E10value_typeET2_T3_PNSL_ISQ_E10value_typeET4_jRbjT5_SW_jjP12ihipStream_tbEUlT_E_NS1_11comp_targetILNS1_3genE8ELNS1_11target_archE1030ELNS1_3gpuE2ELNS1_3repE0EEENS1_30default_config_static_selectorELNS0_4arch9wavefront6targetE1EEEvSK_,"axG",@progbits,_ZN7rocprim17ROCPRIM_400000_NS6detail17trampoline_kernelINS0_14default_configENS1_36segmented_radix_sort_config_selectorIalEEZNS1_25segmented_radix_sort_implIS3_Lb0EPKaPaPKlPlN2at6native12_GLOBAL__N_18offset_tEEE10hipError_tPvRmT1_PNSt15iterator_traitsISK_E10value_typeET2_T3_PNSL_ISQ_E10value_typeET4_jRbjT5_SW_jjP12ihipStream_tbEUlT_E_NS1_11comp_targetILNS1_3genE8ELNS1_11target_archE1030ELNS1_3gpuE2ELNS1_3repE0EEENS1_30default_config_static_selectorELNS0_4arch9wavefront6targetE1EEEvSK_,comdat
	.globl	_ZN7rocprim17ROCPRIM_400000_NS6detail17trampoline_kernelINS0_14default_configENS1_36segmented_radix_sort_config_selectorIalEEZNS1_25segmented_radix_sort_implIS3_Lb0EPKaPaPKlPlN2at6native12_GLOBAL__N_18offset_tEEE10hipError_tPvRmT1_PNSt15iterator_traitsISK_E10value_typeET2_T3_PNSL_ISQ_E10value_typeET4_jRbjT5_SW_jjP12ihipStream_tbEUlT_E_NS1_11comp_targetILNS1_3genE8ELNS1_11target_archE1030ELNS1_3gpuE2ELNS1_3repE0EEENS1_30default_config_static_selectorELNS0_4arch9wavefront6targetE1EEEvSK_ ; -- Begin function _ZN7rocprim17ROCPRIM_400000_NS6detail17trampoline_kernelINS0_14default_configENS1_36segmented_radix_sort_config_selectorIalEEZNS1_25segmented_radix_sort_implIS3_Lb0EPKaPaPKlPlN2at6native12_GLOBAL__N_18offset_tEEE10hipError_tPvRmT1_PNSt15iterator_traitsISK_E10value_typeET2_T3_PNSL_ISQ_E10value_typeET4_jRbjT5_SW_jjP12ihipStream_tbEUlT_E_NS1_11comp_targetILNS1_3genE8ELNS1_11target_archE1030ELNS1_3gpuE2ELNS1_3repE0EEENS1_30default_config_static_selectorELNS0_4arch9wavefront6targetE1EEEvSK_
	.p2align	8
	.type	_ZN7rocprim17ROCPRIM_400000_NS6detail17trampoline_kernelINS0_14default_configENS1_36segmented_radix_sort_config_selectorIalEEZNS1_25segmented_radix_sort_implIS3_Lb0EPKaPaPKlPlN2at6native12_GLOBAL__N_18offset_tEEE10hipError_tPvRmT1_PNSt15iterator_traitsISK_E10value_typeET2_T3_PNSL_ISQ_E10value_typeET4_jRbjT5_SW_jjP12ihipStream_tbEUlT_E_NS1_11comp_targetILNS1_3genE8ELNS1_11target_archE1030ELNS1_3gpuE2ELNS1_3repE0EEENS1_30default_config_static_selectorELNS0_4arch9wavefront6targetE1EEEvSK_,@function
_ZN7rocprim17ROCPRIM_400000_NS6detail17trampoline_kernelINS0_14default_configENS1_36segmented_radix_sort_config_selectorIalEEZNS1_25segmented_radix_sort_implIS3_Lb0EPKaPaPKlPlN2at6native12_GLOBAL__N_18offset_tEEE10hipError_tPvRmT1_PNSt15iterator_traitsISK_E10value_typeET2_T3_PNSL_ISQ_E10value_typeET4_jRbjT5_SW_jjP12ihipStream_tbEUlT_E_NS1_11comp_targetILNS1_3genE8ELNS1_11target_archE1030ELNS1_3gpuE2ELNS1_3repE0EEENS1_30default_config_static_selectorELNS0_4arch9wavefront6targetE1EEEvSK_: ; @_ZN7rocprim17ROCPRIM_400000_NS6detail17trampoline_kernelINS0_14default_configENS1_36segmented_radix_sort_config_selectorIalEEZNS1_25segmented_radix_sort_implIS3_Lb0EPKaPaPKlPlN2at6native12_GLOBAL__N_18offset_tEEE10hipError_tPvRmT1_PNSt15iterator_traitsISK_E10value_typeET2_T3_PNSL_ISQ_E10value_typeET4_jRbjT5_SW_jjP12ihipStream_tbEUlT_E_NS1_11comp_targetILNS1_3genE8ELNS1_11target_archE1030ELNS1_3gpuE2ELNS1_3repE0EEENS1_30default_config_static_selectorELNS0_4arch9wavefront6targetE1EEEvSK_
; %bb.0:
	.section	.rodata,"a",@progbits
	.p2align	6, 0x0
	.amdhsa_kernel _ZN7rocprim17ROCPRIM_400000_NS6detail17trampoline_kernelINS0_14default_configENS1_36segmented_radix_sort_config_selectorIalEEZNS1_25segmented_radix_sort_implIS3_Lb0EPKaPaPKlPlN2at6native12_GLOBAL__N_18offset_tEEE10hipError_tPvRmT1_PNSt15iterator_traitsISK_E10value_typeET2_T3_PNSL_ISQ_E10value_typeET4_jRbjT5_SW_jjP12ihipStream_tbEUlT_E_NS1_11comp_targetILNS1_3genE8ELNS1_11target_archE1030ELNS1_3gpuE2ELNS1_3repE0EEENS1_30default_config_static_selectorELNS0_4arch9wavefront6targetE1EEEvSK_
		.amdhsa_group_segment_fixed_size 0
		.amdhsa_private_segment_fixed_size 0
		.amdhsa_kernarg_size 96
		.amdhsa_user_sgpr_count 6
		.amdhsa_user_sgpr_private_segment_buffer 1
		.amdhsa_user_sgpr_dispatch_ptr 0
		.amdhsa_user_sgpr_queue_ptr 0
		.amdhsa_user_sgpr_kernarg_segment_ptr 1
		.amdhsa_user_sgpr_dispatch_id 0
		.amdhsa_user_sgpr_flat_scratch_init 0
		.amdhsa_user_sgpr_kernarg_preload_length 0
		.amdhsa_user_sgpr_kernarg_preload_offset 0
		.amdhsa_user_sgpr_private_segment_size 0
		.amdhsa_uses_dynamic_stack 0
		.amdhsa_system_sgpr_private_segment_wavefront_offset 0
		.amdhsa_system_sgpr_workgroup_id_x 1
		.amdhsa_system_sgpr_workgroup_id_y 0
		.amdhsa_system_sgpr_workgroup_id_z 0
		.amdhsa_system_sgpr_workgroup_info 0
		.amdhsa_system_vgpr_workitem_id 0
		.amdhsa_next_free_vgpr 1
		.amdhsa_next_free_sgpr 0
		.amdhsa_accum_offset 4
		.amdhsa_reserve_vcc 0
		.amdhsa_reserve_flat_scratch 0
		.amdhsa_float_round_mode_32 0
		.amdhsa_float_round_mode_16_64 0
		.amdhsa_float_denorm_mode_32 3
		.amdhsa_float_denorm_mode_16_64 3
		.amdhsa_dx10_clamp 1
		.amdhsa_ieee_mode 1
		.amdhsa_fp16_overflow 0
		.amdhsa_tg_split 0
		.amdhsa_exception_fp_ieee_invalid_op 0
		.amdhsa_exception_fp_denorm_src 0
		.amdhsa_exception_fp_ieee_div_zero 0
		.amdhsa_exception_fp_ieee_overflow 0
		.amdhsa_exception_fp_ieee_underflow 0
		.amdhsa_exception_fp_ieee_inexact 0
		.amdhsa_exception_int_div_zero 0
	.end_amdhsa_kernel
	.section	.text._ZN7rocprim17ROCPRIM_400000_NS6detail17trampoline_kernelINS0_14default_configENS1_36segmented_radix_sort_config_selectorIalEEZNS1_25segmented_radix_sort_implIS3_Lb0EPKaPaPKlPlN2at6native12_GLOBAL__N_18offset_tEEE10hipError_tPvRmT1_PNSt15iterator_traitsISK_E10value_typeET2_T3_PNSL_ISQ_E10value_typeET4_jRbjT5_SW_jjP12ihipStream_tbEUlT_E_NS1_11comp_targetILNS1_3genE8ELNS1_11target_archE1030ELNS1_3gpuE2ELNS1_3repE0EEENS1_30default_config_static_selectorELNS0_4arch9wavefront6targetE1EEEvSK_,"axG",@progbits,_ZN7rocprim17ROCPRIM_400000_NS6detail17trampoline_kernelINS0_14default_configENS1_36segmented_radix_sort_config_selectorIalEEZNS1_25segmented_radix_sort_implIS3_Lb0EPKaPaPKlPlN2at6native12_GLOBAL__N_18offset_tEEE10hipError_tPvRmT1_PNSt15iterator_traitsISK_E10value_typeET2_T3_PNSL_ISQ_E10value_typeET4_jRbjT5_SW_jjP12ihipStream_tbEUlT_E_NS1_11comp_targetILNS1_3genE8ELNS1_11target_archE1030ELNS1_3gpuE2ELNS1_3repE0EEENS1_30default_config_static_selectorELNS0_4arch9wavefront6targetE1EEEvSK_,comdat
.Lfunc_end402:
	.size	_ZN7rocprim17ROCPRIM_400000_NS6detail17trampoline_kernelINS0_14default_configENS1_36segmented_radix_sort_config_selectorIalEEZNS1_25segmented_radix_sort_implIS3_Lb0EPKaPaPKlPlN2at6native12_GLOBAL__N_18offset_tEEE10hipError_tPvRmT1_PNSt15iterator_traitsISK_E10value_typeET2_T3_PNSL_ISQ_E10value_typeET4_jRbjT5_SW_jjP12ihipStream_tbEUlT_E_NS1_11comp_targetILNS1_3genE8ELNS1_11target_archE1030ELNS1_3gpuE2ELNS1_3repE0EEENS1_30default_config_static_selectorELNS0_4arch9wavefront6targetE1EEEvSK_, .Lfunc_end402-_ZN7rocprim17ROCPRIM_400000_NS6detail17trampoline_kernelINS0_14default_configENS1_36segmented_radix_sort_config_selectorIalEEZNS1_25segmented_radix_sort_implIS3_Lb0EPKaPaPKlPlN2at6native12_GLOBAL__N_18offset_tEEE10hipError_tPvRmT1_PNSt15iterator_traitsISK_E10value_typeET2_T3_PNSL_ISQ_E10value_typeET4_jRbjT5_SW_jjP12ihipStream_tbEUlT_E_NS1_11comp_targetILNS1_3genE8ELNS1_11target_archE1030ELNS1_3gpuE2ELNS1_3repE0EEENS1_30default_config_static_selectorELNS0_4arch9wavefront6targetE1EEEvSK_
                                        ; -- End function
	.section	.AMDGPU.csdata,"",@progbits
; Kernel info:
; codeLenInByte = 0
; NumSgprs: 4
; NumVgprs: 0
; NumAgprs: 0
; TotalNumVgprs: 0
; ScratchSize: 0
; MemoryBound: 0
; FloatMode: 240
; IeeeMode: 1
; LDSByteSize: 0 bytes/workgroup (compile time only)
; SGPRBlocks: 0
; VGPRBlocks: 0
; NumSGPRsForWavesPerEU: 4
; NumVGPRsForWavesPerEU: 1
; AccumOffset: 4
; Occupancy: 8
; WaveLimiterHint : 0
; COMPUTE_PGM_RSRC2:SCRATCH_EN: 0
; COMPUTE_PGM_RSRC2:USER_SGPR: 6
; COMPUTE_PGM_RSRC2:TRAP_HANDLER: 0
; COMPUTE_PGM_RSRC2:TGID_X_EN: 1
; COMPUTE_PGM_RSRC2:TGID_Y_EN: 0
; COMPUTE_PGM_RSRC2:TGID_Z_EN: 0
; COMPUTE_PGM_RSRC2:TIDIG_COMP_CNT: 0
; COMPUTE_PGM_RSRC3_GFX90A:ACCUM_OFFSET: 0
; COMPUTE_PGM_RSRC3_GFX90A:TG_SPLIT: 0
	.section	.text._ZN7rocprim17ROCPRIM_400000_NS6detail17trampoline_kernelINS0_14default_configENS1_36segmented_radix_sort_config_selectorIalEEZNS1_25segmented_radix_sort_implIS3_Lb0EPKaPaPKlPlN2at6native12_GLOBAL__N_18offset_tEEE10hipError_tPvRmT1_PNSt15iterator_traitsISK_E10value_typeET2_T3_PNSL_ISQ_E10value_typeET4_jRbjT5_SW_jjP12ihipStream_tbEUlT_E0_NS1_11comp_targetILNS1_3genE0ELNS1_11target_archE4294967295ELNS1_3gpuE0ELNS1_3repE0EEENS1_60segmented_radix_sort_warp_sort_medium_config_static_selectorELNS0_4arch9wavefront6targetE1EEEvSK_,"axG",@progbits,_ZN7rocprim17ROCPRIM_400000_NS6detail17trampoline_kernelINS0_14default_configENS1_36segmented_radix_sort_config_selectorIalEEZNS1_25segmented_radix_sort_implIS3_Lb0EPKaPaPKlPlN2at6native12_GLOBAL__N_18offset_tEEE10hipError_tPvRmT1_PNSt15iterator_traitsISK_E10value_typeET2_T3_PNSL_ISQ_E10value_typeET4_jRbjT5_SW_jjP12ihipStream_tbEUlT_E0_NS1_11comp_targetILNS1_3genE0ELNS1_11target_archE4294967295ELNS1_3gpuE0ELNS1_3repE0EEENS1_60segmented_radix_sort_warp_sort_medium_config_static_selectorELNS0_4arch9wavefront6targetE1EEEvSK_,comdat
	.globl	_ZN7rocprim17ROCPRIM_400000_NS6detail17trampoline_kernelINS0_14default_configENS1_36segmented_radix_sort_config_selectorIalEEZNS1_25segmented_radix_sort_implIS3_Lb0EPKaPaPKlPlN2at6native12_GLOBAL__N_18offset_tEEE10hipError_tPvRmT1_PNSt15iterator_traitsISK_E10value_typeET2_T3_PNSL_ISQ_E10value_typeET4_jRbjT5_SW_jjP12ihipStream_tbEUlT_E0_NS1_11comp_targetILNS1_3genE0ELNS1_11target_archE4294967295ELNS1_3gpuE0ELNS1_3repE0EEENS1_60segmented_radix_sort_warp_sort_medium_config_static_selectorELNS0_4arch9wavefront6targetE1EEEvSK_ ; -- Begin function _ZN7rocprim17ROCPRIM_400000_NS6detail17trampoline_kernelINS0_14default_configENS1_36segmented_radix_sort_config_selectorIalEEZNS1_25segmented_radix_sort_implIS3_Lb0EPKaPaPKlPlN2at6native12_GLOBAL__N_18offset_tEEE10hipError_tPvRmT1_PNSt15iterator_traitsISK_E10value_typeET2_T3_PNSL_ISQ_E10value_typeET4_jRbjT5_SW_jjP12ihipStream_tbEUlT_E0_NS1_11comp_targetILNS1_3genE0ELNS1_11target_archE4294967295ELNS1_3gpuE0ELNS1_3repE0EEENS1_60segmented_radix_sort_warp_sort_medium_config_static_selectorELNS0_4arch9wavefront6targetE1EEEvSK_
	.p2align	8
	.type	_ZN7rocprim17ROCPRIM_400000_NS6detail17trampoline_kernelINS0_14default_configENS1_36segmented_radix_sort_config_selectorIalEEZNS1_25segmented_radix_sort_implIS3_Lb0EPKaPaPKlPlN2at6native12_GLOBAL__N_18offset_tEEE10hipError_tPvRmT1_PNSt15iterator_traitsISK_E10value_typeET2_T3_PNSL_ISQ_E10value_typeET4_jRbjT5_SW_jjP12ihipStream_tbEUlT_E0_NS1_11comp_targetILNS1_3genE0ELNS1_11target_archE4294967295ELNS1_3gpuE0ELNS1_3repE0EEENS1_60segmented_radix_sort_warp_sort_medium_config_static_selectorELNS0_4arch9wavefront6targetE1EEEvSK_,@function
_ZN7rocprim17ROCPRIM_400000_NS6detail17trampoline_kernelINS0_14default_configENS1_36segmented_radix_sort_config_selectorIalEEZNS1_25segmented_radix_sort_implIS3_Lb0EPKaPaPKlPlN2at6native12_GLOBAL__N_18offset_tEEE10hipError_tPvRmT1_PNSt15iterator_traitsISK_E10value_typeET2_T3_PNSL_ISQ_E10value_typeET4_jRbjT5_SW_jjP12ihipStream_tbEUlT_E0_NS1_11comp_targetILNS1_3genE0ELNS1_11target_archE4294967295ELNS1_3gpuE0ELNS1_3repE0EEENS1_60segmented_radix_sort_warp_sort_medium_config_static_selectorELNS0_4arch9wavefront6targetE1EEEvSK_: ; @_ZN7rocprim17ROCPRIM_400000_NS6detail17trampoline_kernelINS0_14default_configENS1_36segmented_radix_sort_config_selectorIalEEZNS1_25segmented_radix_sort_implIS3_Lb0EPKaPaPKlPlN2at6native12_GLOBAL__N_18offset_tEEE10hipError_tPvRmT1_PNSt15iterator_traitsISK_E10value_typeET2_T3_PNSL_ISQ_E10value_typeET4_jRbjT5_SW_jjP12ihipStream_tbEUlT_E0_NS1_11comp_targetILNS1_3genE0ELNS1_11target_archE4294967295ELNS1_3gpuE0ELNS1_3repE0EEENS1_60segmented_radix_sort_warp_sort_medium_config_static_selectorELNS0_4arch9wavefront6targetE1EEEvSK_
; %bb.0:
	.section	.rodata,"a",@progbits
	.p2align	6, 0x0
	.amdhsa_kernel _ZN7rocprim17ROCPRIM_400000_NS6detail17trampoline_kernelINS0_14default_configENS1_36segmented_radix_sort_config_selectorIalEEZNS1_25segmented_radix_sort_implIS3_Lb0EPKaPaPKlPlN2at6native12_GLOBAL__N_18offset_tEEE10hipError_tPvRmT1_PNSt15iterator_traitsISK_E10value_typeET2_T3_PNSL_ISQ_E10value_typeET4_jRbjT5_SW_jjP12ihipStream_tbEUlT_E0_NS1_11comp_targetILNS1_3genE0ELNS1_11target_archE4294967295ELNS1_3gpuE0ELNS1_3repE0EEENS1_60segmented_radix_sort_warp_sort_medium_config_static_selectorELNS0_4arch9wavefront6targetE1EEEvSK_
		.amdhsa_group_segment_fixed_size 0
		.amdhsa_private_segment_fixed_size 0
		.amdhsa_kernarg_size 88
		.amdhsa_user_sgpr_count 6
		.amdhsa_user_sgpr_private_segment_buffer 1
		.amdhsa_user_sgpr_dispatch_ptr 0
		.amdhsa_user_sgpr_queue_ptr 0
		.amdhsa_user_sgpr_kernarg_segment_ptr 1
		.amdhsa_user_sgpr_dispatch_id 0
		.amdhsa_user_sgpr_flat_scratch_init 0
		.amdhsa_user_sgpr_kernarg_preload_length 0
		.amdhsa_user_sgpr_kernarg_preload_offset 0
		.amdhsa_user_sgpr_private_segment_size 0
		.amdhsa_uses_dynamic_stack 0
		.amdhsa_system_sgpr_private_segment_wavefront_offset 0
		.amdhsa_system_sgpr_workgroup_id_x 1
		.amdhsa_system_sgpr_workgroup_id_y 0
		.amdhsa_system_sgpr_workgroup_id_z 0
		.amdhsa_system_sgpr_workgroup_info 0
		.amdhsa_system_vgpr_workitem_id 0
		.amdhsa_next_free_vgpr 1
		.amdhsa_next_free_sgpr 0
		.amdhsa_accum_offset 4
		.amdhsa_reserve_vcc 0
		.amdhsa_reserve_flat_scratch 0
		.amdhsa_float_round_mode_32 0
		.amdhsa_float_round_mode_16_64 0
		.amdhsa_float_denorm_mode_32 3
		.amdhsa_float_denorm_mode_16_64 3
		.amdhsa_dx10_clamp 1
		.amdhsa_ieee_mode 1
		.amdhsa_fp16_overflow 0
		.amdhsa_tg_split 0
		.amdhsa_exception_fp_ieee_invalid_op 0
		.amdhsa_exception_fp_denorm_src 0
		.amdhsa_exception_fp_ieee_div_zero 0
		.amdhsa_exception_fp_ieee_overflow 0
		.amdhsa_exception_fp_ieee_underflow 0
		.amdhsa_exception_fp_ieee_inexact 0
		.amdhsa_exception_int_div_zero 0
	.end_amdhsa_kernel
	.section	.text._ZN7rocprim17ROCPRIM_400000_NS6detail17trampoline_kernelINS0_14default_configENS1_36segmented_radix_sort_config_selectorIalEEZNS1_25segmented_radix_sort_implIS3_Lb0EPKaPaPKlPlN2at6native12_GLOBAL__N_18offset_tEEE10hipError_tPvRmT1_PNSt15iterator_traitsISK_E10value_typeET2_T3_PNSL_ISQ_E10value_typeET4_jRbjT5_SW_jjP12ihipStream_tbEUlT_E0_NS1_11comp_targetILNS1_3genE0ELNS1_11target_archE4294967295ELNS1_3gpuE0ELNS1_3repE0EEENS1_60segmented_radix_sort_warp_sort_medium_config_static_selectorELNS0_4arch9wavefront6targetE1EEEvSK_,"axG",@progbits,_ZN7rocprim17ROCPRIM_400000_NS6detail17trampoline_kernelINS0_14default_configENS1_36segmented_radix_sort_config_selectorIalEEZNS1_25segmented_radix_sort_implIS3_Lb0EPKaPaPKlPlN2at6native12_GLOBAL__N_18offset_tEEE10hipError_tPvRmT1_PNSt15iterator_traitsISK_E10value_typeET2_T3_PNSL_ISQ_E10value_typeET4_jRbjT5_SW_jjP12ihipStream_tbEUlT_E0_NS1_11comp_targetILNS1_3genE0ELNS1_11target_archE4294967295ELNS1_3gpuE0ELNS1_3repE0EEENS1_60segmented_radix_sort_warp_sort_medium_config_static_selectorELNS0_4arch9wavefront6targetE1EEEvSK_,comdat
.Lfunc_end403:
	.size	_ZN7rocprim17ROCPRIM_400000_NS6detail17trampoline_kernelINS0_14default_configENS1_36segmented_radix_sort_config_selectorIalEEZNS1_25segmented_radix_sort_implIS3_Lb0EPKaPaPKlPlN2at6native12_GLOBAL__N_18offset_tEEE10hipError_tPvRmT1_PNSt15iterator_traitsISK_E10value_typeET2_T3_PNSL_ISQ_E10value_typeET4_jRbjT5_SW_jjP12ihipStream_tbEUlT_E0_NS1_11comp_targetILNS1_3genE0ELNS1_11target_archE4294967295ELNS1_3gpuE0ELNS1_3repE0EEENS1_60segmented_radix_sort_warp_sort_medium_config_static_selectorELNS0_4arch9wavefront6targetE1EEEvSK_, .Lfunc_end403-_ZN7rocprim17ROCPRIM_400000_NS6detail17trampoline_kernelINS0_14default_configENS1_36segmented_radix_sort_config_selectorIalEEZNS1_25segmented_radix_sort_implIS3_Lb0EPKaPaPKlPlN2at6native12_GLOBAL__N_18offset_tEEE10hipError_tPvRmT1_PNSt15iterator_traitsISK_E10value_typeET2_T3_PNSL_ISQ_E10value_typeET4_jRbjT5_SW_jjP12ihipStream_tbEUlT_E0_NS1_11comp_targetILNS1_3genE0ELNS1_11target_archE4294967295ELNS1_3gpuE0ELNS1_3repE0EEENS1_60segmented_radix_sort_warp_sort_medium_config_static_selectorELNS0_4arch9wavefront6targetE1EEEvSK_
                                        ; -- End function
	.section	.AMDGPU.csdata,"",@progbits
; Kernel info:
; codeLenInByte = 0
; NumSgprs: 4
; NumVgprs: 0
; NumAgprs: 0
; TotalNumVgprs: 0
; ScratchSize: 0
; MemoryBound: 0
; FloatMode: 240
; IeeeMode: 1
; LDSByteSize: 0 bytes/workgroup (compile time only)
; SGPRBlocks: 0
; VGPRBlocks: 0
; NumSGPRsForWavesPerEU: 4
; NumVGPRsForWavesPerEU: 1
; AccumOffset: 4
; Occupancy: 8
; WaveLimiterHint : 0
; COMPUTE_PGM_RSRC2:SCRATCH_EN: 0
; COMPUTE_PGM_RSRC2:USER_SGPR: 6
; COMPUTE_PGM_RSRC2:TRAP_HANDLER: 0
; COMPUTE_PGM_RSRC2:TGID_X_EN: 1
; COMPUTE_PGM_RSRC2:TGID_Y_EN: 0
; COMPUTE_PGM_RSRC2:TGID_Z_EN: 0
; COMPUTE_PGM_RSRC2:TIDIG_COMP_CNT: 0
; COMPUTE_PGM_RSRC3_GFX90A:ACCUM_OFFSET: 0
; COMPUTE_PGM_RSRC3_GFX90A:TG_SPLIT: 0
	.section	.text._ZN7rocprim17ROCPRIM_400000_NS6detail17trampoline_kernelINS0_14default_configENS1_36segmented_radix_sort_config_selectorIalEEZNS1_25segmented_radix_sort_implIS3_Lb0EPKaPaPKlPlN2at6native12_GLOBAL__N_18offset_tEEE10hipError_tPvRmT1_PNSt15iterator_traitsISK_E10value_typeET2_T3_PNSL_ISQ_E10value_typeET4_jRbjT5_SW_jjP12ihipStream_tbEUlT_E0_NS1_11comp_targetILNS1_3genE5ELNS1_11target_archE942ELNS1_3gpuE9ELNS1_3repE0EEENS1_60segmented_radix_sort_warp_sort_medium_config_static_selectorELNS0_4arch9wavefront6targetE1EEEvSK_,"axG",@progbits,_ZN7rocprim17ROCPRIM_400000_NS6detail17trampoline_kernelINS0_14default_configENS1_36segmented_radix_sort_config_selectorIalEEZNS1_25segmented_radix_sort_implIS3_Lb0EPKaPaPKlPlN2at6native12_GLOBAL__N_18offset_tEEE10hipError_tPvRmT1_PNSt15iterator_traitsISK_E10value_typeET2_T3_PNSL_ISQ_E10value_typeET4_jRbjT5_SW_jjP12ihipStream_tbEUlT_E0_NS1_11comp_targetILNS1_3genE5ELNS1_11target_archE942ELNS1_3gpuE9ELNS1_3repE0EEENS1_60segmented_radix_sort_warp_sort_medium_config_static_selectorELNS0_4arch9wavefront6targetE1EEEvSK_,comdat
	.globl	_ZN7rocprim17ROCPRIM_400000_NS6detail17trampoline_kernelINS0_14default_configENS1_36segmented_radix_sort_config_selectorIalEEZNS1_25segmented_radix_sort_implIS3_Lb0EPKaPaPKlPlN2at6native12_GLOBAL__N_18offset_tEEE10hipError_tPvRmT1_PNSt15iterator_traitsISK_E10value_typeET2_T3_PNSL_ISQ_E10value_typeET4_jRbjT5_SW_jjP12ihipStream_tbEUlT_E0_NS1_11comp_targetILNS1_3genE5ELNS1_11target_archE942ELNS1_3gpuE9ELNS1_3repE0EEENS1_60segmented_radix_sort_warp_sort_medium_config_static_selectorELNS0_4arch9wavefront6targetE1EEEvSK_ ; -- Begin function _ZN7rocprim17ROCPRIM_400000_NS6detail17trampoline_kernelINS0_14default_configENS1_36segmented_radix_sort_config_selectorIalEEZNS1_25segmented_radix_sort_implIS3_Lb0EPKaPaPKlPlN2at6native12_GLOBAL__N_18offset_tEEE10hipError_tPvRmT1_PNSt15iterator_traitsISK_E10value_typeET2_T3_PNSL_ISQ_E10value_typeET4_jRbjT5_SW_jjP12ihipStream_tbEUlT_E0_NS1_11comp_targetILNS1_3genE5ELNS1_11target_archE942ELNS1_3gpuE9ELNS1_3repE0EEENS1_60segmented_radix_sort_warp_sort_medium_config_static_selectorELNS0_4arch9wavefront6targetE1EEEvSK_
	.p2align	8
	.type	_ZN7rocprim17ROCPRIM_400000_NS6detail17trampoline_kernelINS0_14default_configENS1_36segmented_radix_sort_config_selectorIalEEZNS1_25segmented_radix_sort_implIS3_Lb0EPKaPaPKlPlN2at6native12_GLOBAL__N_18offset_tEEE10hipError_tPvRmT1_PNSt15iterator_traitsISK_E10value_typeET2_T3_PNSL_ISQ_E10value_typeET4_jRbjT5_SW_jjP12ihipStream_tbEUlT_E0_NS1_11comp_targetILNS1_3genE5ELNS1_11target_archE942ELNS1_3gpuE9ELNS1_3repE0EEENS1_60segmented_radix_sort_warp_sort_medium_config_static_selectorELNS0_4arch9wavefront6targetE1EEEvSK_,@function
_ZN7rocprim17ROCPRIM_400000_NS6detail17trampoline_kernelINS0_14default_configENS1_36segmented_radix_sort_config_selectorIalEEZNS1_25segmented_radix_sort_implIS3_Lb0EPKaPaPKlPlN2at6native12_GLOBAL__N_18offset_tEEE10hipError_tPvRmT1_PNSt15iterator_traitsISK_E10value_typeET2_T3_PNSL_ISQ_E10value_typeET4_jRbjT5_SW_jjP12ihipStream_tbEUlT_E0_NS1_11comp_targetILNS1_3genE5ELNS1_11target_archE942ELNS1_3gpuE9ELNS1_3repE0EEENS1_60segmented_radix_sort_warp_sort_medium_config_static_selectorELNS0_4arch9wavefront6targetE1EEEvSK_: ; @_ZN7rocprim17ROCPRIM_400000_NS6detail17trampoline_kernelINS0_14default_configENS1_36segmented_radix_sort_config_selectorIalEEZNS1_25segmented_radix_sort_implIS3_Lb0EPKaPaPKlPlN2at6native12_GLOBAL__N_18offset_tEEE10hipError_tPvRmT1_PNSt15iterator_traitsISK_E10value_typeET2_T3_PNSL_ISQ_E10value_typeET4_jRbjT5_SW_jjP12ihipStream_tbEUlT_E0_NS1_11comp_targetILNS1_3genE5ELNS1_11target_archE942ELNS1_3gpuE9ELNS1_3repE0EEENS1_60segmented_radix_sort_warp_sort_medium_config_static_selectorELNS0_4arch9wavefront6targetE1EEEvSK_
; %bb.0:
	.section	.rodata,"a",@progbits
	.p2align	6, 0x0
	.amdhsa_kernel _ZN7rocprim17ROCPRIM_400000_NS6detail17trampoline_kernelINS0_14default_configENS1_36segmented_radix_sort_config_selectorIalEEZNS1_25segmented_radix_sort_implIS3_Lb0EPKaPaPKlPlN2at6native12_GLOBAL__N_18offset_tEEE10hipError_tPvRmT1_PNSt15iterator_traitsISK_E10value_typeET2_T3_PNSL_ISQ_E10value_typeET4_jRbjT5_SW_jjP12ihipStream_tbEUlT_E0_NS1_11comp_targetILNS1_3genE5ELNS1_11target_archE942ELNS1_3gpuE9ELNS1_3repE0EEENS1_60segmented_radix_sort_warp_sort_medium_config_static_selectorELNS0_4arch9wavefront6targetE1EEEvSK_
		.amdhsa_group_segment_fixed_size 0
		.amdhsa_private_segment_fixed_size 0
		.amdhsa_kernarg_size 88
		.amdhsa_user_sgpr_count 6
		.amdhsa_user_sgpr_private_segment_buffer 1
		.amdhsa_user_sgpr_dispatch_ptr 0
		.amdhsa_user_sgpr_queue_ptr 0
		.amdhsa_user_sgpr_kernarg_segment_ptr 1
		.amdhsa_user_sgpr_dispatch_id 0
		.amdhsa_user_sgpr_flat_scratch_init 0
		.amdhsa_user_sgpr_kernarg_preload_length 0
		.amdhsa_user_sgpr_kernarg_preload_offset 0
		.amdhsa_user_sgpr_private_segment_size 0
		.amdhsa_uses_dynamic_stack 0
		.amdhsa_system_sgpr_private_segment_wavefront_offset 0
		.amdhsa_system_sgpr_workgroup_id_x 1
		.amdhsa_system_sgpr_workgroup_id_y 0
		.amdhsa_system_sgpr_workgroup_id_z 0
		.amdhsa_system_sgpr_workgroup_info 0
		.amdhsa_system_vgpr_workitem_id 0
		.amdhsa_next_free_vgpr 1
		.amdhsa_next_free_sgpr 0
		.amdhsa_accum_offset 4
		.amdhsa_reserve_vcc 0
		.amdhsa_reserve_flat_scratch 0
		.amdhsa_float_round_mode_32 0
		.amdhsa_float_round_mode_16_64 0
		.amdhsa_float_denorm_mode_32 3
		.amdhsa_float_denorm_mode_16_64 3
		.amdhsa_dx10_clamp 1
		.amdhsa_ieee_mode 1
		.amdhsa_fp16_overflow 0
		.amdhsa_tg_split 0
		.amdhsa_exception_fp_ieee_invalid_op 0
		.amdhsa_exception_fp_denorm_src 0
		.amdhsa_exception_fp_ieee_div_zero 0
		.amdhsa_exception_fp_ieee_overflow 0
		.amdhsa_exception_fp_ieee_underflow 0
		.amdhsa_exception_fp_ieee_inexact 0
		.amdhsa_exception_int_div_zero 0
	.end_amdhsa_kernel
	.section	.text._ZN7rocprim17ROCPRIM_400000_NS6detail17trampoline_kernelINS0_14default_configENS1_36segmented_radix_sort_config_selectorIalEEZNS1_25segmented_radix_sort_implIS3_Lb0EPKaPaPKlPlN2at6native12_GLOBAL__N_18offset_tEEE10hipError_tPvRmT1_PNSt15iterator_traitsISK_E10value_typeET2_T3_PNSL_ISQ_E10value_typeET4_jRbjT5_SW_jjP12ihipStream_tbEUlT_E0_NS1_11comp_targetILNS1_3genE5ELNS1_11target_archE942ELNS1_3gpuE9ELNS1_3repE0EEENS1_60segmented_radix_sort_warp_sort_medium_config_static_selectorELNS0_4arch9wavefront6targetE1EEEvSK_,"axG",@progbits,_ZN7rocprim17ROCPRIM_400000_NS6detail17trampoline_kernelINS0_14default_configENS1_36segmented_radix_sort_config_selectorIalEEZNS1_25segmented_radix_sort_implIS3_Lb0EPKaPaPKlPlN2at6native12_GLOBAL__N_18offset_tEEE10hipError_tPvRmT1_PNSt15iterator_traitsISK_E10value_typeET2_T3_PNSL_ISQ_E10value_typeET4_jRbjT5_SW_jjP12ihipStream_tbEUlT_E0_NS1_11comp_targetILNS1_3genE5ELNS1_11target_archE942ELNS1_3gpuE9ELNS1_3repE0EEENS1_60segmented_radix_sort_warp_sort_medium_config_static_selectorELNS0_4arch9wavefront6targetE1EEEvSK_,comdat
.Lfunc_end404:
	.size	_ZN7rocprim17ROCPRIM_400000_NS6detail17trampoline_kernelINS0_14default_configENS1_36segmented_radix_sort_config_selectorIalEEZNS1_25segmented_radix_sort_implIS3_Lb0EPKaPaPKlPlN2at6native12_GLOBAL__N_18offset_tEEE10hipError_tPvRmT1_PNSt15iterator_traitsISK_E10value_typeET2_T3_PNSL_ISQ_E10value_typeET4_jRbjT5_SW_jjP12ihipStream_tbEUlT_E0_NS1_11comp_targetILNS1_3genE5ELNS1_11target_archE942ELNS1_3gpuE9ELNS1_3repE0EEENS1_60segmented_radix_sort_warp_sort_medium_config_static_selectorELNS0_4arch9wavefront6targetE1EEEvSK_, .Lfunc_end404-_ZN7rocprim17ROCPRIM_400000_NS6detail17trampoline_kernelINS0_14default_configENS1_36segmented_radix_sort_config_selectorIalEEZNS1_25segmented_radix_sort_implIS3_Lb0EPKaPaPKlPlN2at6native12_GLOBAL__N_18offset_tEEE10hipError_tPvRmT1_PNSt15iterator_traitsISK_E10value_typeET2_T3_PNSL_ISQ_E10value_typeET4_jRbjT5_SW_jjP12ihipStream_tbEUlT_E0_NS1_11comp_targetILNS1_3genE5ELNS1_11target_archE942ELNS1_3gpuE9ELNS1_3repE0EEENS1_60segmented_radix_sort_warp_sort_medium_config_static_selectorELNS0_4arch9wavefront6targetE1EEEvSK_
                                        ; -- End function
	.section	.AMDGPU.csdata,"",@progbits
; Kernel info:
; codeLenInByte = 0
; NumSgprs: 4
; NumVgprs: 0
; NumAgprs: 0
; TotalNumVgprs: 0
; ScratchSize: 0
; MemoryBound: 0
; FloatMode: 240
; IeeeMode: 1
; LDSByteSize: 0 bytes/workgroup (compile time only)
; SGPRBlocks: 0
; VGPRBlocks: 0
; NumSGPRsForWavesPerEU: 4
; NumVGPRsForWavesPerEU: 1
; AccumOffset: 4
; Occupancy: 8
; WaveLimiterHint : 0
; COMPUTE_PGM_RSRC2:SCRATCH_EN: 0
; COMPUTE_PGM_RSRC2:USER_SGPR: 6
; COMPUTE_PGM_RSRC2:TRAP_HANDLER: 0
; COMPUTE_PGM_RSRC2:TGID_X_EN: 1
; COMPUTE_PGM_RSRC2:TGID_Y_EN: 0
; COMPUTE_PGM_RSRC2:TGID_Z_EN: 0
; COMPUTE_PGM_RSRC2:TIDIG_COMP_CNT: 0
; COMPUTE_PGM_RSRC3_GFX90A:ACCUM_OFFSET: 0
; COMPUTE_PGM_RSRC3_GFX90A:TG_SPLIT: 0
	.text
	.p2align	2                               ; -- Begin function _ZN7rocprim17ROCPRIM_400000_NS6detail26segmented_warp_sort_helperINS1_20WarpSortHelperConfigILj16ELj8ELj256EEEalLi256ELb0EvE4sortIPKaPaPKlPlEEvT_T0_T1_T2_jjjjRNS5_12storage_typeE
	.type	_ZN7rocprim17ROCPRIM_400000_NS6detail26segmented_warp_sort_helperINS1_20WarpSortHelperConfigILj16ELj8ELj256EEEalLi256ELb0EvE4sortIPKaPaPKlPlEEvT_T0_T1_T2_jjjjRNS5_12storage_typeE,@function
_ZN7rocprim17ROCPRIM_400000_NS6detail26segmented_warp_sort_helperINS1_20WarpSortHelperConfigILj16ELj8ELj256EEEalLi256ELb0EvE4sortIPKaPaPKlPlEEvT_T0_T1_T2_jjjjRNS5_12storage_typeE: ; @_ZN7rocprim17ROCPRIM_400000_NS6detail26segmented_warp_sort_helperINS1_20WarpSortHelperConfigILj16ELj8ELj256EEEalLi256ELb0EvE4sortIPKaPaPKlPlEEvT_T0_T1_T2_jjjjRNS5_12storage_typeE
; %bb.0:
	s_waitcnt vmcnt(0) expcnt(0) lgkmcnt(0)
	s_or_saveexec_b64 s[4:5], -1
	buffer_store_dword v40, off, s[0:3], s32 ; 4-byte Folded Spill
	s_mov_b64 exec, s[4:5]
	v_writelane_b32 v40, s34, 0
	v_writelane_b32 v40, s35, 1
	;; [unrolled: 1-line block ×14, first 2 shown]
	v_add_co_u32_e32 v12, vcc, v0, v8
	v_mbcnt_lo_u32_b32 v0, -1, 0
	v_mbcnt_hi_u32_b32 v0, -1, v0
	v_addc_co_u32_e32 v13, vcc, 0, v1, vcc
	v_lshlrev_b32_e32 v1, 3, v0
	v_and_b32_e32 v0, 0x78, v1
	v_add_co_u32_e32 v12, vcc, v12, v0
	v_sub_u32_e32 v14, v9, v8
	v_addc_co_u32_e32 v13, vcc, 0, v13, vcc
	v_mov_b32_e32 v22, 0x7f
	v_mov_b32_e32 v9, 0
	v_cmp_lt_u32_e32 vcc, v0, v14
	v_mov_b32_e32 v36, 0x7f
	v_mov_b32_e32 v30, 0x7f
	;; [unrolled: 1-line block ×7, first 2 shown]
	s_and_saveexec_b64 s[4:5], vcc
	s_cbranch_execz .LBB405_2
; %bb.1:
	flat_load_ubyte v22, v[12:13]
	v_mov_b32_e32 v30, 0x7f
	v_mov_b32_e32 v27, 0x7f
	;; [unrolled: 1-line block ×7, first 2 shown]
.LBB405_2:
	s_or_b64 exec, exec, s[4:5]
	v_or_b32_e32 v15, 1, v0
	v_cmp_lt_u32_e64 s[4:5], v15, v14
	s_and_saveexec_b64 s[6:7], s[4:5]
	s_cbranch_execz .LBB405_4
; %bb.3:
	flat_load_ubyte v30, v[12:13] offset:1
.LBB405_4:
	s_or_b64 exec, exec, s[6:7]
	v_or_b32_e32 v15, 2, v0
	v_cmp_lt_u32_e64 s[6:7], v15, v14
	s_and_saveexec_b64 s[10:11], s[6:7]
	s_cbranch_execz .LBB405_6
; %bb.5:
	flat_load_ubyte v27, v[12:13] offset:2
.LBB405_6:
	;; [unrolled: 8-line block ×7, first 2 shown]
	s_or_b64 exec, exec, s[20:21]
	v_lshlrev_b64 v[12:13], 3, v[8:9]
	v_add_co_u32_e64 v4, s[20:21], v4, v12
	v_addc_co_u32_e64 v5, s[20:21], v5, v13, s[20:21]
	v_lshlrev_b32_e32 v9, 3, v0
	v_add_co_u32_e64 v34, s[20:21], v4, v9
	v_addc_co_u32_e64 v35, s[20:21], 0, v5, s[20:21]
	; wave barrier
                                        ; implicit-def: $vgpr4_vgpr5
	s_and_saveexec_b64 s[20:21], vcc
	s_cbranch_execnz .LBB405_136
; %bb.17:
	s_or_b64 exec, exec, s[20:21]
                                        ; implicit-def: $vgpr14_vgpr15
	s_and_saveexec_b64 s[20:21], s[4:5]
	s_cbranch_execnz .LBB405_137
.LBB405_18:
	s_or_b64 exec, exec, s[20:21]
                                        ; implicit-def: $vgpr16_vgpr17
	s_and_saveexec_b64 s[20:21], s[6:7]
	s_cbranch_execnz .LBB405_138
.LBB405_19:
	s_or_b64 exec, exec, s[20:21]
                                        ; implicit-def: $vgpr18_vgpr19
	s_and_saveexec_b64 s[20:21], s[18:19]
	s_cbranch_execnz .LBB405_139
.LBB405_20:
	s_or_b64 exec, exec, s[20:21]
                                        ; implicit-def: $vgpr24_vgpr25
	s_and_saveexec_b64 s[20:21], s[10:11]
	s_cbranch_execnz .LBB405_140
.LBB405_21:
	s_or_b64 exec, exec, s[20:21]
                                        ; implicit-def: $vgpr20_vgpr21
	s_and_saveexec_b64 s[20:21], s[26:27]
	s_cbranch_execnz .LBB405_141
.LBB405_22:
	s_or_b64 exec, exec, s[20:21]
                                        ; implicit-def: $vgpr28_vgpr29
	s_and_saveexec_b64 s[20:21], s[14:15]
	s_cbranch_execnz .LBB405_142
.LBB405_23:
	s_or_b64 exec, exec, s[20:21]
                                        ; implicit-def: $vgpr32_vgpr33
	s_and_saveexec_b64 s[20:21], s[16:17]
	s_cbranch_execz .LBB405_25
.LBB405_24:
	flat_load_dwordx2 v[32:33], v[34:35] offset:56
.LBB405_25:
	s_or_b64 exec, exec, s[20:21]
	v_cmp_ne_u32_e64 s[20:21], 0, v10
	v_cmp_ne_u32_e64 s[22:23], 8, v11
	s_or_b64 s[20:21], s[20:21], s[22:23]
	v_bfe_u32 v34, v31, 10, 10
	v_bfe_u32 v35, v31, 20, 10
	; wave barrier
	s_and_saveexec_b64 s[22:23], s[20:21]
	s_xor_b64 s[40:41], exec, s[22:23]
	s_cbranch_execz .LBB405_71
; %bb.26:
	s_load_dwordx2 s[20:21], s[8:9], 0x0
	v_mov_b32_e32 v39, 0
	v_lshlrev_b32_e64 v11, v11, -1
	v_lshlrev_b32_e64 v10, v10, -1
	s_movk_i32 s24, 0x800
	s_waitcnt lgkmcnt(0)
	s_cmp_lt_u32 s12, s20
	s_cselect_b32 s22, 12, 18
	s_cmp_lt_u32 s13, s21
	s_cselect_b32 s20, 14, 20
	s_add_u32 s20, s8, s20
	s_addc_u32 s21, s9, 0
	s_add_u32 s22, s8, s22
	s_addc_u32 s23, s9, 0
	global_load_ushort v48, v39, s[20:21]
	global_load_ushort v49, v39, s[22:23]
	v_and_b32_e32 v39, 0x3ff, v31
	v_xor_b32_e32 v31, v11, v10
	s_waitcnt vmcnt(0)
	v_mad_u32_u24 v10, v35, v48, v34
	v_mul_lo_u32 v10, v10, v49
	v_add_lshl_u32 v34, v10, v39, 3
	v_cmp_gt_u32_e64 s[20:21], s24, v34
	s_and_saveexec_b64 s[22:23], s[20:21]
	s_cbranch_execz .LBB405_30
; %bb.27:
	v_lshlrev_b16_e32 v10, 8, v38
	v_or_b32_sdwa v10, v23, v10 dst_sel:DWORD dst_unused:UNUSED_PAD src0_sel:BYTE_0 src1_sel:DWORD
	v_lshlrev_b16_e32 v23, 8, v30
	v_lshlrev_b16_e32 v11, 8, v36
	v_or_b32_sdwa v23, v22, v23 dst_sel:DWORD dst_unused:UNUSED_PAD src0_sel:BYTE_0 src1_sel:DWORD
	v_and_b32_e32 v36, v22, v31
	v_lshlrev_b16_e32 v22, 8, v22
	v_lshlrev_b16_e32 v26, 8, v26
	v_and_b32_e32 v35, v30, v31
	v_or_b32_sdwa v22, v30, v22 dst_sel:DWORD dst_unused:UNUSED_PAD src0_sel:BYTE_0 src1_sel:DWORD
	v_or_b32_sdwa v26, v27, v26 dst_sel:WORD_1 dst_unused:UNUSED_PAD src0_sel:BYTE_0 src1_sel:DWORD
	v_or_b32_sdwa v22, v22, v26 dst_sel:DWORD dst_unused:UNUSED_PAD src0_sel:WORD_0 src1_sel:DWORD
	v_or_b32_sdwa v23, v23, v26 dst_sel:DWORD dst_unused:UNUSED_PAD src0_sel:WORD_0 src1_sel:DWORD
	v_cmp_gt_i16_sdwa s[20:21], sext(v36), sext(v35) src0_sel:BYTE_0 src1_sel:BYTE_0
	v_cndmask_b32_e64 v26, v14, v4, s[20:21]
	v_cndmask_b32_e64 v4, v4, v14, s[20:21]
	;; [unrolled: 1-line block ×5, first 2 shown]
	v_lshrrev_b32_e32 v15, 16, v14
	s_mov_b32 s30, 0xc0c0001
	v_or_b32_sdwa v11, v37, v11 dst_sel:WORD_1 dst_unused:UNUSED_PAD src0_sel:BYTE_0 src1_sel:DWORD
	v_perm_b32 v22, 0, v15, s30
	v_and_b32_sdwa v23, v14, v31 dst_sel:DWORD dst_unused:UNUSED_PAD src0_sel:BYTE_3 src1_sel:DWORD
	v_and_b32_e32 v15, v15, v31
	v_or_b32_sdwa v11, v10, v11 dst_sel:DWORD dst_unused:UNUSED_PAD src0_sel:WORD_0 src1_sel:DWORD
	v_cmp_gt_i16_sdwa s[20:21], sext(v15), sext(v23) src0_sel:BYTE_0 src1_sel:BYTE_0
	s_mov_b32 s25, 0xffff
	v_lshlrev_b32_e32 v22, 16, v22
	v_cndmask_b32_e64 v23, v19, v17, s[20:21]
	v_cndmask_b32_e64 v17, v17, v19, s[20:21]
	v_lshrrev_b32_e32 v19, 8, v11
	v_and_or_b32 v22, v14, s25, v22
	s_mov_b32 s35, 0x7060405
	v_and_b32_e32 v19, v19, v31
	v_and_b32_e32 v10, v10, v31
	v_cndmask_b32_e64 v15, v18, v16, s[20:21]
	v_cndmask_b32_e64 v16, v16, v18, s[20:21]
	;; [unrolled: 1-line block ×3, first 2 shown]
	v_perm_b32 v18, v11, v11, s35
	v_cmp_gt_i16_sdwa s[20:21], sext(v10), sext(v19) src0_sel:BYTE_0 src1_sel:BYTE_0
	v_cndmask_b32_e64 v11, v11, v18, s[20:21]
	v_and_b32_sdwa v18, v11, v31 dst_sel:DWORD dst_unused:UNUSED_PAD src0_sel:BYTE_3 src1_sel:DWORD
	v_and_b32_sdwa v22, v11, v31 dst_sel:DWORD dst_unused:UNUSED_PAD src0_sel:WORD_1 src1_sel:DWORD
	s_mov_b32 s31, 0x6070504
	v_cndmask_b32_e64 v10, v24, v20, s[20:21]
	v_cndmask_b32_e64 v19, v25, v21, s[20:21]
	;; [unrolled: 1-line block ×4, first 2 shown]
	v_perm_b32 v24, v11, v11, s31
	v_cmp_gt_i16_sdwa s[20:21], sext(v22), sext(v18) src0_sel:BYTE_0 src1_sel:BYTE_0
	v_cndmask_b32_e64 v11, v11, v24, s[20:21]
	v_lshrrev_b32_e32 v24, 8, v14
	v_cndmask_b32_e64 v22, v29, v33, s[20:21]
	v_cndmask_b32_e64 v25, v33, v29, s[20:21]
	v_and_b32_sdwa v29, v14, v31 dst_sel:DWORD dst_unused:UNUSED_PAD src0_sel:WORD_1 src1_sel:DWORD
	v_and_b32_e32 v24, v24, v31
	s_mov_b32 s29, 0x7050604
	v_cndmask_b32_e64 v18, v28, v32, s[20:21]
	v_cndmask_b32_e64 v28, v32, v28, s[20:21]
	v_perm_b32 v30, v14, v14, s29
	v_cmp_gt_i16_sdwa s[20:21], sext(v24), sext(v29) src0_sel:BYTE_0 src1_sel:BYTE_0
	s_movk_i32 s28, 0xff
	v_cndmask_b32_e64 v14, v14, v30, s[20:21]
	v_cndmask_b32_e64 v24, v17, v27, s[20:21]
	;; [unrolled: 1-line block ×3, first 2 shown]
	v_and_b32_sdwa v27, v14, s28 dst_sel:DWORD dst_unused:UNUSED_PAD src0_sel:WORD_1 src1_sel:DWORD
	v_lshlrev_b16_e32 v30, 8, v11
	s_mov_b32 s34, 0x3020107
	v_or_b32_sdwa v27, v27, v30 dst_sel:WORD_1 dst_unused:UNUSED_PAD src0_sel:DWORD src1_sel:DWORD
	v_and_b32_e32 v30, v11, v31
	v_and_b32_sdwa v32, v14, v31 dst_sel:DWORD dst_unused:UNUSED_PAD src0_sel:BYTE_3 src1_sel:DWORD
	v_cndmask_b32_e64 v29, v16, v26, s[20:21]
	v_cndmask_b32_e64 v16, v26, v16, s[20:21]
	v_perm_b32 v26, v14, v11, s34
	v_cmp_gt_i16_sdwa s[20:21], sext(v32), sext(v30) src0_sel:BYTE_0 src1_sel:BYTE_0
	v_cndmask_b32_e64 v11, v11, v26, s[20:21]
	v_cndmask_b32_e64 v32, v15, v10, s[20:21]
	;; [unrolled: 1-line block ×3, first 2 shown]
	v_lshrrev_b32_e32 v15, 8, v11
	v_and_or_b32 v27, v14, s25, v27
	v_cndmask_b32_e64 v30, v23, v19, s[20:21]
	v_cndmask_b32_e64 v19, v19, v23, s[20:21]
	v_and_b32_sdwa v23, v11, v31 dst_sel:DWORD dst_unused:UNUSED_PAD src0_sel:WORD_1 src1_sel:DWORD
	v_and_b32_e32 v15, v15, v31
	v_cndmask_b32_e64 v14, v14, v27, s[20:21]
	v_cmp_gt_i16_sdwa s[20:21], sext(v15), sext(v23) src0_sel:BYTE_0 src1_sel:BYTE_0
	v_perm_b32 v26, v11, v11, s29
	v_cndmask_b32_e64 v15, v21, v22, s[20:21]
	v_cndmask_b32_e64 v21, v22, v21, s[20:21]
	v_lshrrev_b32_e32 v22, 8, v14
	v_cndmask_b32_e64 v23, v20, v18, s[20:21]
	v_cndmask_b32_e64 v18, v18, v20, s[20:21]
	;; [unrolled: 1-line block ×3, first 2 shown]
	v_perm_b32 v20, 0, v14, s30
	s_mov_b32 s36, 0xffff0000
	v_and_b32_e32 v22, v22, v31
	v_and_b32_e32 v26, v14, v31
	v_and_or_b32 v20, v14, s36, v20
	v_cmp_gt_i16_sdwa s[20:21], sext(v26), sext(v22) src0_sel:BYTE_0 src1_sel:BYTE_0
	v_cndmask_b32_e64 v14, v14, v20, s[20:21]
	v_cndmask_b32_e64 v22, v16, v4, s[20:21]
	v_cndmask_b32_e64 v4, v4, v16, s[20:21]
	v_lshrrev_b32_e32 v16, 16, v14
	v_cndmask_b32_e64 v26, v17, v5, s[20:21]
	v_cndmask_b32_e64 v5, v5, v17, s[20:21]
	v_perm_b32 v17, 0, v16, s30
	v_and_b32_sdwa v20, v14, v31 dst_sel:DWORD dst_unused:UNUSED_PAD src0_sel:BYTE_3 src1_sel:DWORD
	v_and_b32_e32 v16, v16, v31
	v_cmp_gt_i16_sdwa s[20:21], sext(v16), sext(v20) src0_sel:BYTE_0 src1_sel:BYTE_0
	v_lshlrev_b32_e32 v17, 16, v17
	v_cndmask_b32_e64 v16, v32, v29, s[20:21]
	v_cndmask_b32_e64 v27, v29, v32, s[20:21]
	v_lshrrev_b32_e32 v29, 8, v11
	v_and_or_b32 v17, v14, s25, v17
	v_cndmask_b32_e64 v20, v30, v24, s[20:21]
	v_cndmask_b32_e64 v24, v24, v30, s[20:21]
	v_and_b32_e32 v29, v29, v31
	v_and_b32_e32 v30, v11, v31
	v_cndmask_b32_e64 v14, v14, v17, s[20:21]
	v_perm_b32 v17, v11, v11, s35
	v_cmp_gt_i16_sdwa s[20:21], sext(v30), sext(v29) src0_sel:BYTE_0 src1_sel:BYTE_0
	v_cndmask_b32_e64 v11, v11, v17, s[20:21]
	v_cndmask_b32_e64 v30, v19, v15, s[20:21]
	;; [unrolled: 1-line block ×3, first 2 shown]
	v_and_b32_sdwa v17, v11, v31 dst_sel:DWORD dst_unused:UNUSED_PAD src0_sel:BYTE_3 src1_sel:DWORD
	v_and_b32_sdwa v19, v11, v31 dst_sel:DWORD dst_unused:UNUSED_PAD src0_sel:WORD_1 src1_sel:DWORD
	v_cndmask_b32_e64 v29, v10, v23, s[20:21]
	v_cndmask_b32_e64 v10, v23, v10, s[20:21]
	v_perm_b32 v23, v11, v11, s31
	v_cmp_gt_i16_sdwa s[20:21], sext(v19), sext(v17) src0_sel:BYTE_0 src1_sel:BYTE_0
	v_cndmask_b32_e64 v11, v11, v23, s[20:21]
	v_lshrrev_b32_e32 v23, 8, v14
	v_cndmask_b32_e64 v19, v21, v25, s[20:21]
	v_cndmask_b32_e64 v21, v25, v21, s[20:21]
	v_and_b32_sdwa v25, v14, v31 dst_sel:DWORD dst_unused:UNUSED_PAD src0_sel:WORD_1 src1_sel:DWORD
	v_and_b32_e32 v23, v23, v31
	v_cndmask_b32_e64 v17, v18, v28, s[20:21]
	v_cndmask_b32_e64 v18, v28, v18, s[20:21]
	v_perm_b32 v28, v14, v14, s29
	v_cmp_gt_i16_sdwa s[20:21], sext(v23), sext(v25) src0_sel:BYTE_0 src1_sel:BYTE_0
	v_cndmask_b32_e64 v14, v14, v28, s[20:21]
	v_cndmask_b32_e64 v25, v27, v22, s[20:21]
	;; [unrolled: 1-line block ×3, first 2 shown]
	v_and_b32_sdwa v27, v14, s28 dst_sel:DWORD dst_unused:UNUSED_PAD src0_sel:WORD_1 src1_sel:DWORD
	v_lshlrev_b16_e32 v28, 8, v11
	v_or_b32_sdwa v27, v27, v28 dst_sel:WORD_1 dst_unused:UNUSED_PAD src0_sel:DWORD src1_sel:DWORD
	v_and_b32_e32 v28, v11, v31
	v_and_b32_sdwa v32, v14, v31 dst_sel:DWORD dst_unused:UNUSED_PAD src0_sel:BYTE_3 src1_sel:DWORD
	v_cndmask_b32_e64 v23, v24, v26, s[20:21]
	v_cndmask_b32_e64 v24, v26, v24, s[20:21]
	v_perm_b32 v26, v14, v11, s34
	v_cmp_gt_i16_sdwa s[20:21], sext(v32), sext(v28) src0_sel:BYTE_0 src1_sel:BYTE_0
	v_cndmask_b32_e64 v11, v11, v26, s[20:21]
	v_and_or_b32 v27, v14, s25, v27
	v_lshrrev_b32_e32 v26, 8, v11
	v_cndmask_b32_e64 v14, v14, v27, s[20:21]
	v_and_b32_sdwa v27, v11, v31 dst_sel:DWORD dst_unused:UNUSED_PAD src0_sel:WORD_1 src1_sel:DWORD
	v_and_b32_e32 v26, v26, v31
	v_cndmask_b32_e64 v28, v20, v30, s[20:21]
	v_cndmask_b32_e64 v32, v16, v29, s[20:21]
	;; [unrolled: 1-line block ×4, first 2 shown]
	v_cmp_gt_i16_sdwa s[20:21], sext(v26), sext(v27) src0_sel:BYTE_0 src1_sel:BYTE_0
	v_perm_b32 v29, v11, v11, s29
	v_cndmask_b32_e64 v26, v15, v19, s[20:21]
	v_cndmask_b32_e64 v15, v19, v15, s[20:21]
	v_lshrrev_b32_e32 v19, 8, v14
	v_cndmask_b32_e64 v27, v10, v17, s[20:21]
	v_cndmask_b32_e64 v10, v17, v10, s[20:21]
	;; [unrolled: 1-line block ×3, first 2 shown]
	v_perm_b32 v17, 0, v14, s30
	v_and_b32_e32 v19, v19, v31
	v_and_b32_e32 v29, v14, v31
	v_and_or_b32 v17, v14, s36, v17
	v_cmp_gt_i16_sdwa s[20:21], sext(v29), sext(v19) src0_sel:BYTE_0 src1_sel:BYTE_0
	v_cndmask_b32_e64 v14, v14, v17, s[20:21]
	v_lshrrev_b32_e32 v17, 16, v14
	v_cndmask_b32_e64 v19, v22, v4, s[20:21]
	v_cndmask_b32_e64 v29, v24, v5, s[20:21]
	;; [unrolled: 1-line block ×4, first 2 shown]
	v_perm_b32 v22, 0, v17, s30
	v_and_b32_sdwa v24, v14, v31 dst_sel:DWORD dst_unused:UNUSED_PAD src0_sel:BYTE_3 src1_sel:DWORD
	v_and_b32_e32 v17, v17, v31
	v_cmp_gt_i16_sdwa s[20:21], sext(v17), sext(v24) src0_sel:BYTE_0 src1_sel:BYTE_0
	v_lshlrev_b32_e32 v22, 16, v22
	v_cndmask_b32_e64 v24, v28, v23, s[20:21]
	v_cndmask_b32_e64 v23, v23, v28, s[20:21]
	v_lshrrev_b32_e32 v28, 8, v11
	v_and_or_b32 v22, v14, s25, v22
	v_and_b32_e32 v28, v28, v31
	v_and_b32_e32 v30, v11, v31
	v_cndmask_b32_e64 v17, v32, v25, s[20:21]
	v_cndmask_b32_e64 v25, v25, v32, s[20:21]
	;; [unrolled: 1-line block ×3, first 2 shown]
	v_perm_b32 v22, v11, v11, s35
	v_cmp_gt_i16_sdwa s[20:21], sext(v30), sext(v28) src0_sel:BYTE_0 src1_sel:BYTE_0
	v_cndmask_b32_e64 v11, v11, v22, s[20:21]
	v_cndmask_b32_e64 v30, v20, v26, s[20:21]
	v_cndmask_b32_e64 v20, v26, v20, s[20:21]
	v_and_b32_sdwa v22, v11, v31 dst_sel:DWORD dst_unused:UNUSED_PAD src0_sel:BYTE_3 src1_sel:DWORD
	v_and_b32_sdwa v26, v11, v31 dst_sel:DWORD dst_unused:UNUSED_PAD src0_sel:WORD_1 src1_sel:DWORD
	v_cndmask_b32_e64 v28, v16, v27, s[20:21]
	v_cndmask_b32_e64 v16, v27, v16, s[20:21]
	v_perm_b32 v27, v11, v11, s31
	v_cmp_gt_i16_sdwa s[20:21], sext(v26), sext(v22) src0_sel:BYTE_0 src1_sel:BYTE_0
	v_cndmask_b32_e64 v22, v10, v18, s[20:21]
	v_cndmask_b32_e64 v18, v18, v10, s[20:21]
	;; [unrolled: 1-line block ×3, first 2 shown]
	v_lshrrev_b32_e32 v11, 8, v14
	v_cndmask_b32_e64 v26, v15, v21, s[20:21]
	v_cndmask_b32_e64 v15, v21, v15, s[20:21]
	v_and_b32_sdwa v21, v14, v31 dst_sel:DWORD dst_unused:UNUSED_PAD src0_sel:WORD_1 src1_sel:DWORD
	v_and_b32_e32 v11, v11, v31
	v_perm_b32 v27, v14, v14, s29
	v_cmp_gt_i16_sdwa s[20:21], sext(v11), sext(v21) src0_sel:BYTE_0 src1_sel:BYTE_0
	v_cndmask_b32_e64 v14, v14, v27, s[20:21]
	v_cndmask_b32_e64 v11, v23, v29, s[20:21]
	;; [unrolled: 1-line block ×3, first 2 shown]
	v_and_b32_sdwa v27, v14, s28 dst_sel:DWORD dst_unused:UNUSED_PAD src0_sel:WORD_1 src1_sel:DWORD
	v_lshlrev_b16_e32 v29, 8, v10
	v_or_b32_sdwa v27, v27, v29 dst_sel:WORD_1 dst_unused:UNUSED_PAD src0_sel:DWORD src1_sel:DWORD
	v_and_b32_e32 v29, v10, v31
	v_and_b32_sdwa v32, v14, v31 dst_sel:DWORD dst_unused:UNUSED_PAD src0_sel:BYTE_3 src1_sel:DWORD
	v_cndmask_b32_e64 v21, v25, v19, s[20:21]
	v_cndmask_b32_e64 v19, v19, v25, s[20:21]
	v_perm_b32 v25, v14, v10, s34
	v_cmp_gt_i16_sdwa s[20:21], sext(v32), sext(v29) src0_sel:BYTE_0 src1_sel:BYTE_0
	v_cndmask_b32_e64 v10, v10, v25, s[20:21]
	v_and_or_b32 v27, v14, s25, v27
	v_lshrrev_b32_e32 v25, 8, v10
	v_cndmask_b32_e64 v14, v14, v27, s[20:21]
	v_and_b32_sdwa v27, v10, v31 dst_sel:DWORD dst_unused:UNUSED_PAD src0_sel:WORD_1 src1_sel:DWORD
	v_and_b32_e32 v25, v25, v31
	v_cndmask_b32_e64 v29, v24, v30, s[20:21]
	v_cndmask_b32_e64 v32, v17, v28, s[20:21]
	;; [unrolled: 1-line block ×4, first 2 shown]
	v_cmp_gt_i16_sdwa s[20:21], sext(v25), sext(v27) src0_sel:BYTE_0 src1_sel:BYTE_0
	v_perm_b32 v28, v10, v10, s29
	v_cndmask_b32_e64 v25, v20, v26, s[20:21]
	v_cndmask_b32_e64 v27, v16, v22, s[20:21]
	;; [unrolled: 1-line block ×4, first 2 shown]
	v_lshrrev_b32_e32 v26, 8, v14
	v_cndmask_b32_e64 v10, v10, v28, s[20:21]
	v_perm_b32 v20, 0, v14, s30
	v_and_b32_e32 v26, v26, v31
	v_and_b32_e32 v28, v14, v31
	v_and_or_b32 v20, v14, s36, v20
	v_cmp_gt_i16_sdwa s[20:21], sext(v28), sext(v26) src0_sel:BYTE_0 src1_sel:BYTE_0
	v_cndmask_b32_e64 v14, v14, v20, s[20:21]
	v_cndmask_b32_e64 v26, v19, v4, s[20:21]
	;; [unrolled: 1-line block ×3, first 2 shown]
	v_lshrrev_b32_e32 v19, 16, v14
	v_perm_b32 v20, 0, v19, s30
	v_cndmask_b32_e64 v28, v23, v5, s[20:21]
	v_cndmask_b32_e64 v5, v5, v23, s[20:21]
	v_and_b32_sdwa v23, v14, v31 dst_sel:DWORD dst_unused:UNUSED_PAD src0_sel:BYTE_3 src1_sel:DWORD
	v_and_b32_e32 v19, v19, v31
	v_lshlrev_b32_e32 v20, 16, v20
	v_and_or_b32 v20, v14, s25, v20
	v_cmp_gt_i16_sdwa s[20:21], sext(v19), sext(v23) src0_sel:BYTE_0 src1_sel:BYTE_0
	v_cndmask_b32_e64 v35, v14, v20, s[20:21]
	v_lshrrev_b32_e32 v14, 8, v10
	v_and_b32_e32 v14, v14, v31
	v_and_b32_e32 v20, v10, v31
	v_cndmask_b32_e64 v23, v32, v21, s[20:21]
	v_cndmask_b32_e64 v30, v29, v11, s[20:21]
	;; [unrolled: 1-line block ×4, first 2 shown]
	v_perm_b32 v11, v10, v10, s35
	v_cmp_gt_i16_sdwa s[20:21], sext(v20), sext(v14) src0_sel:BYTE_0 src1_sel:BYTE_0
	v_cndmask_b32_e64 v14, v10, v11, s[20:21]
	v_and_b32_sdwa v10, v14, v31 dst_sel:DWORD dst_unused:UNUSED_PAD src0_sel:BYTE_3 src1_sel:DWORD
	v_and_b32_sdwa v11, v14, v31 dst_sel:DWORD dst_unused:UNUSED_PAD src0_sel:WORD_1 src1_sel:DWORD
	v_cndmask_b32_e64 v36, v17, v27, s[20:21]
	v_cndmask_b32_e64 v37, v24, v25, s[20:21]
	;; [unrolled: 1-line block ×4, first 2 shown]
	v_perm_b32 v17, v14, v14, s31
	v_cmp_gt_i16_sdwa s[20:21], sext(v11), sext(v10) src0_sel:BYTE_0 src1_sel:BYTE_0
	v_cndmask_b32_e64 v11, v22, v15, s[20:21]
	v_cndmask_b32_e64 v33, v15, v22, s[20:21]
	;; [unrolled: 1-line block ×3, first 2 shown]
	v_lshrrev_b32_e32 v14, 8, v35
	v_and_b32_sdwa v15, v35, v31 dst_sel:DWORD dst_unused:UNUSED_PAD src0_sel:WORD_1 src1_sel:DWORD
	v_and_b32_e32 v14, v14, v31
	v_cndmask_b32_e64 v10, v16, v18, s[20:21]
	v_cndmask_b32_e64 v32, v18, v16, s[20:21]
	v_perm_b32 v18, v35, v35, s29
	v_cmp_gt_i16_sdwa s[20:21], sext(v14), sext(v15) src0_sel:BYTE_0 src1_sel:BYTE_0
	v_cndmask_b32_e64 v16, v19, v26, s[20:21]
	v_cndmask_b32_e64 v14, v26, v19, s[20:21]
	;; [unrolled: 1-line block ×3, first 2 shown]
	v_and_b32_sdwa v18, v26, s28 dst_sel:DWORD dst_unused:UNUSED_PAD src0_sel:WORD_1 src1_sel:DWORD
	v_lshlrev_b16_e32 v19, 8, v22
	v_or_b32_sdwa v18, v18, v19 dst_sel:WORD_1 dst_unused:UNUSED_PAD src0_sel:DWORD src1_sel:DWORD
	v_and_b32_e32 v19, v22, v31
	v_and_b32_sdwa v24, v26, v31 dst_sel:DWORD dst_unused:UNUSED_PAD src0_sel:BYTE_3 src1_sel:DWORD
	v_cndmask_b32_e64 v17, v29, v28, s[20:21]
	v_cndmask_b32_e64 v15, v28, v29, s[20:21]
	v_perm_b32 v27, v26, v22, s34
	v_cmp_gt_i16_sdwa s[20:21], sext(v24), sext(v19) src0_sel:BYTE_0 src1_sel:BYTE_0
	v_and_or_b32 v28, v26, s25, v18
	v_cndmask_b32_e64 v18, v23, v36, s[20:21]
	v_cndmask_b32_e64 v24, v36, v23, s[20:21]
	v_cndmask_b32_e64 v23, v22, v27, s[20:21]
	v_cndmask_b32_e64 v19, v30, v37, s[20:21]
	v_cndmask_b32_e64 v25, v37, v30, s[20:21]
	v_cndmask_b32_e64 v22, v26, v28, s[20:21]
	v_lshrrev_b32_e32 v38, 8, v23
	v_lshrrev_b32_e32 v37, 16, v23
	v_lshrrev_b64 v[26:27], 24, v[22:23]
	v_and_b32_e32 v28, v37, v31
	v_and_b32_e32 v29, v38, v31
	v_lshrrev_b32_e32 v36, 24, v23
	v_lshrrev_b32_e32 v27, 16, v22
	;; [unrolled: 1-line block ×3, first 2 shown]
	v_cmp_gt_i16_sdwa s[28:29], sext(v29), sext(v28) src0_sel:BYTE_0 src1_sel:BYTE_0
	v_pk_mov_b32 v[28:29], v[10:11], v[10:11] op_sel:[0,1]
	s_and_saveexec_b64 s[20:21], s[28:29]
; %bb.28:
	v_lshrrev_b32_e32 v36, 24, v23
	v_lshrrev_b32_e32 v37, 8, v23
	;; [unrolled: 1-line block ×5, first 2 shown]
	v_pk_mov_b32 v[28:29], v[20:21], v[20:21] op_sel:[0,1]
	v_pk_mov_b32 v[20:21], v[10:11], v[10:11] op_sel:[0,1]
; %bb.29:
	s_or_b64 exec, exec, s[20:21]
.LBB405_30:
	s_or_b64 exec, exec, s[22:23]
	v_and_b32_e32 v11, 0xfffffe00, v34
	v_sub_u32_e64 v34, s24, v11 clamp
	v_or_b32_e32 v48, 8, v1
	v_min_u32_e32 v49, v34, v48
	v_add_u32_e32 v48, 8, v49
	v_and_b32_e32 v51, 0x3f0, v1
	v_min_u32_e32 v50, v34, v48
	v_and_b32_e32 v48, 8, v1
	v_min_u32_e32 v52, v34, v48
	v_sub_u32_e32 v48, v49, v51
	v_sub_u32_e32 v53, v50, v49
	v_lshlrev_b32_e32 v10, 3, v11
	v_sub_u32_e64 v53, v52, v53 clamp
	v_min_u32_e32 v48, v52, v48
	v_add_u32_e32 v35, v11, v1
	v_lshl_add_u32 v39, v1, 3, v10
	v_cmp_lt_u32_e64 s[20:21], v53, v48
	ds_write_b8 v35, v22
	ds_write_b64 v39, v[4:5] offset:2048
	ds_write_b8 v35, v30 offset:1
	ds_write_b64 v39, v[14:15] offset:2056
	ds_write_b8 v35, v27 offset:2
	;; [unrolled: 2-line block ×7, first 2 shown]
	ds_write_b64 v39, v[32:33] offset:2104
	; wave barrier
	s_and_saveexec_b64 s[22:23], s[20:21]
	s_cbranch_execz .LBB405_34
; %bb.31:
	v_add_u32_e32 v54, v11, v51
	v_add3_u32 v55, v11, v49, v52
	s_mov_b64 s[24:25], 0
.LBB405_32:                             ; =>This Inner Loop Header: Depth=1
	v_add_u32_e32 v64, v48, v53
	v_lshrrev_b32_e32 v64, 1, v64
	v_add_u32_e32 v65, v54, v64
	v_xad_u32 v66, v64, -1, v55
	ds_read_u8 v66, v66
	ds_read_u8 v65, v65
	v_add_u32_e32 v67, 1, v64
	s_waitcnt lgkmcnt(1)
	v_and_b32_e32 v66, v66, v31
	s_waitcnt lgkmcnt(0)
	v_and_b32_e32 v65, v65, v31
	v_cmp_gt_i16_sdwa s[20:21], sext(v65), sext(v66) src0_sel:BYTE_0 src1_sel:BYTE_0
	v_cndmask_b32_e64 v48, v48, v64, s[20:21]
	v_cndmask_b32_e64 v53, v67, v53, s[20:21]
	v_cmp_ge_u32_e64 s[20:21], v53, v48
	s_or_b64 s[24:25], s[20:21], s[24:25]
	s_andn2_b64 exec, exec, s[24:25]
	s_cbranch_execnz .LBB405_32
; %bb.33:
	s_or_b64 exec, exec, s[24:25]
.LBB405_34:
	s_or_b64 exec, exec, s[22:23]
	v_add_u32_e32 v52, v49, v52
	v_add_u32_e32 v51, v53, v51
	v_sub_u32_e32 v52, v52, v53
	v_cmp_le_u32_e64 s[20:21], v51, v49
	v_cmp_le_u32_e64 s[22:23], v52, v50
	v_add_u32_e32 v48, 0x800, v39
	s_or_b64 s[20:21], s[20:21], s[22:23]
	s_and_saveexec_b64 s[42:43], s[20:21]
	s_cbranch_execz .LBB405_40
; %bb.35:
	v_cmp_lt_u32_e64 s[20:21], v51, v49
                                        ; implicit-def: $vgpr22
	s_and_saveexec_b64 s[22:23], s[20:21]
	s_cbranch_execz .LBB405_37
; %bb.36:
	v_add_u32_e32 v4, v11, v51
	ds_read_u8 v22, v4
.LBB405_37:
	s_or_b64 exec, exec, s[22:23]
	v_cmp_ge_u32_e64 s[22:23], v52, v50
	v_cmp_lt_u32_e64 s[24:25], v52, v50
                                        ; implicit-def: $vgpr23
	s_and_saveexec_b64 s[28:29], s[24:25]
	s_cbranch_execz .LBB405_39
; %bb.38:
	v_add_u32_e32 v4, v11, v52
	ds_read_u8 v23, v4
.LBB405_39:
	s_or_b64 exec, exec, s[28:29]
	s_waitcnt lgkmcnt(0)
	v_and_b32_e32 v4, v23, v31
	v_and_b32_e32 v5, v22, v31
	v_cmp_le_i16_sdwa s[24:25], sext(v5), sext(v4) src0_sel:BYTE_0 src1_sel:BYTE_0
	s_and_b64 s[20:21], s[20:21], s[24:25]
	s_or_b64 s[20:21], s[22:23], s[20:21]
	v_cndmask_b32_e64 v4, v52, v51, s[20:21]
	v_cndmask_b32_e64 v5, v50, v49, s[20:21]
	v_add_u32_e32 v14, 1, v4
	v_add_u32_e32 v5, -1, v5
	v_min_u32_e32 v5, v14, v5
	v_add_u32_e32 v5, v11, v5
	ds_read_u8 v5, v5
	v_lshl_add_u32 v4, v4, 3, v10
	s_waitcnt lgkmcnt(0)
	v_cndmask_b32_e64 v26, v5, v23, s[20:21]
	v_cndmask_b32_e64 v27, v22, v5, s[20:21]
	;; [unrolled: 1-line block ×4, first 2 shown]
	v_and_b32_e32 v15, v26, v31
	v_and_b32_e32 v16, v27, v31
	v_cmp_lt_u32_e64 s[24:25], v14, v49
	v_cmp_le_i16_sdwa s[28:29], sext(v16), sext(v15) src0_sel:BYTE_0 src1_sel:BYTE_0
	v_cmp_ge_u32_e64 s[22:23], v5, v50
	s_and_b64 s[24:25], s[24:25], s[28:29]
	s_or_b64 s[22:23], s[22:23], s[24:25]
	v_cndmask_b32_e64 v15, v5, v14, s[22:23]
	v_cndmask_b32_e64 v16, v50, v49, s[22:23]
	v_add_u32_e32 v17, 1, v15
	v_add_u32_e32 v16, -1, v16
	v_min_u32_e32 v16, v17, v16
	v_add_u32_e32 v16, v11, v16
	ds_read_u8 v16, v16
	v_cndmask_b32_e64 v5, v17, v5, s[22:23]
	v_cndmask_b32_e64 v14, v14, v17, s[22:23]
	v_cmp_lt_u32_e64 s[28:29], v14, v49
	v_cmp_ge_u32_e64 s[24:25], v5, v50
	s_waitcnt lgkmcnt(0)
	v_cndmask_b32_e64 v32, v16, v26, s[22:23]
	v_cndmask_b32_e64 v33, v27, v16, s[22:23]
	v_and_b32_e32 v16, v32, v31
	v_and_b32_e32 v17, v33, v31
	v_cmp_le_i16_sdwa s[30:31], sext(v17), sext(v16) src0_sel:BYTE_0 src1_sel:BYTE_0
	s_and_b64 s[28:29], s[28:29], s[30:31]
	s_or_b64 s[24:25], s[24:25], s[28:29]
	v_cndmask_b32_e64 v16, v5, v14, s[24:25]
	v_cndmask_b32_e64 v17, v50, v49, s[24:25]
	v_add_u32_e32 v18, 1, v16
	v_add_u32_e32 v17, -1, v17
	v_min_u32_e32 v17, v18, v17
	v_add_u32_e32 v17, v11, v17
	ds_read_u8 v17, v17
	v_lshl_add_u32 v16, v16, 3, v10
	v_cndmask_b32_e64 v22, v23, v22, s[20:21]
	s_waitcnt lgkmcnt(0)
	v_cndmask_b32_e64 v36, v17, v32, s[24:25]
	v_cndmask_b32_e64 v37, v33, v17, s[24:25]
	v_cndmask_b32_e64 v17, v18, v5, s[24:25]
	v_cndmask_b32_e64 v18, v14, v18, s[24:25]
	v_and_b32_e32 v5, v36, v31
	v_and_b32_e32 v14, v37, v31
	v_cmp_lt_u32_e64 s[30:31], v18, v49
	v_cmp_le_i16_sdwa s[34:35], sext(v14), sext(v5) src0_sel:BYTE_0 src1_sel:BYTE_0
	v_cmp_ge_u32_e64 s[28:29], v17, v50
	s_and_b64 s[30:31], s[30:31], s[34:35]
	s_or_b64 s[28:29], s[28:29], s[30:31]
	v_cndmask_b32_e64 v19, v17, v18, s[28:29]
	v_cndmask_b32_e64 v5, v50, v49, s[28:29]
	v_add_u32_e32 v20, 1, v19
	v_add_u32_e32 v5, -1, v5
	v_min_u32_e32 v5, v20, v5
	v_add_u32_e32 v5, v11, v5
	ds_read_u8 v21, v5
	v_lshl_add_u32 v14, v15, 3, v10
	ds_read_b64 v[4:5], v4 offset:2048
	ds_read_b64 v[14:15], v14 offset:2048
	s_waitcnt lgkmcnt(2)
	v_cndmask_b32_e64 v38, v21, v36, s[28:29]
	v_cndmask_b32_e64 v51, v37, v21, s[28:29]
	v_cndmask_b32_e64 v21, v20, v17, s[28:29]
	v_cndmask_b32_e64 v20, v18, v20, s[28:29]
	v_and_b32_e32 v17, v38, v31
	v_and_b32_e32 v18, v51, v31
	v_cmp_lt_u32_e64 s[34:35], v20, v49
	v_cmp_le_i16_sdwa s[36:37], sext(v18), sext(v17) src0_sel:BYTE_0 src1_sel:BYTE_0
	v_cmp_ge_u32_e64 s[30:31], v21, v50
	s_and_b64 s[34:35], s[34:35], s[36:37]
	s_or_b64 s[30:31], s[30:31], s[34:35]
	v_cndmask_b32_e64 v24, v21, v20, s[30:31]
	v_cndmask_b32_e64 v17, v50, v49, s[30:31]
	v_add_u32_e32 v25, 1, v24
	v_add_u32_e32 v17, -1, v17
	v_min_u32_e32 v17, v25, v17
	v_add_u32_e32 v17, v11, v17
	ds_read_u8 v28, v17
	ds_read_b64 v[16:17], v16 offset:2048
	v_cndmask_b32_e64 v29, v20, v25, s[30:31]
	v_cmp_lt_u32_e64 s[36:37], v29, v49
	v_lshl_add_u32 v18, v19, 3, v10
	ds_read_b64 v[18:19], v18 offset:2048
	s_waitcnt lgkmcnt(2)
	v_cndmask_b32_e64 v52, v28, v38, s[30:31]
	v_cndmask_b32_e64 v53, v51, v28, s[30:31]
	;; [unrolled: 1-line block ×3, first 2 shown]
	v_and_b32_e32 v20, v52, v31
	v_and_b32_e32 v21, v53, v31
	v_cmp_le_i16_sdwa s[38:39], sext(v21), sext(v20) src0_sel:BYTE_0 src1_sel:BYTE_0
	v_cmp_ge_u32_e64 s[34:35], v28, v50
	s_and_b64 s[36:37], s[36:37], s[38:39]
	s_or_b64 s[34:35], s[34:35], s[36:37]
	v_cndmask_b32_e64 v20, v28, v29, s[34:35]
	v_cndmask_b32_e64 v21, v50, v49, s[34:35]
	v_add_u32_e32 v30, 1, v20
	v_add_u32_e32 v21, -1, v21
	v_min_u32_e32 v21, v30, v21
	v_add_u32_e32 v21, v11, v21
	ds_read_u8 v54, v21
	v_cndmask_b32_e64 v64, v30, v28, s[34:35]
	v_cndmask_b32_e64 v65, v29, v30, s[34:35]
	v_cmp_lt_u32_e64 s[38:39], v65, v49
	v_cmp_ge_u32_e64 s[36:37], v64, v50
	s_waitcnt lgkmcnt(0)
	v_cndmask_b32_e64 v55, v54, v52, s[34:35]
	v_cndmask_b32_e64 v54, v53, v54, s[34:35]
	v_and_b32_e32 v28, v55, v31
	v_and_b32_e32 v29, v54, v31
	v_cmp_le_i16_sdwa s[44:45], sext(v29), sext(v28) src0_sel:BYTE_0 src1_sel:BYTE_0
	s_and_b64 s[38:39], s[38:39], s[44:45]
	s_or_b64 s[36:37], s[36:37], s[38:39]
	v_cndmask_b32_e64 v28, v64, v65, s[36:37]
	v_cndmask_b32_e64 v29, v50, v49, s[36:37]
	v_lshl_add_u32 v30, v28, 3, v10
	v_add_u32_e32 v66, 1, v28
	v_add_u32_e32 v28, -1, v29
	v_min_u32_e32 v28, v66, v28
	v_lshl_add_u32 v21, v24, 3, v10
	v_lshl_add_u32 v20, v20, 3, v10
	v_add_u32_e32 v67, v11, v28
	ds_read_b64 v[24:25], v21 offset:2048
	ds_read_b64 v[20:21], v20 offset:2048
	;; [unrolled: 1-line block ×3, first 2 shown]
	ds_read_u8 v67, v67
	v_cndmask_b32_e64 v30, v26, v27, s[22:23]
	v_cndmask_b32_e64 v26, v36, v37, s[28:29]
	;; [unrolled: 1-line block ×4, first 2 shown]
	s_waitcnt lgkmcnt(0)
	v_cndmask_b32_e64 v36, v67, v55, s[36:37]
	v_cndmask_b32_e64 v67, v54, v67, s[36:37]
	v_and_b32_e32 v33, v36, v31
	v_and_b32_e32 v37, v67, v31
	v_cndmask_b32_e64 v23, v66, v64, s[36:37]
	v_cmp_lt_u32_e64 s[22:23], v32, v49
	v_cmp_le_i16_sdwa s[24:25], sext(v37), sext(v33) src0_sel:BYTE_0 src1_sel:BYTE_0
	v_cmp_ge_u32_e64 s[20:21], v23, v50
	s_and_b64 s[22:23], s[22:23], s[24:25]
	s_or_b64 s[20:21], s[20:21], s[22:23]
	v_cndmask_b32_e64 v23, v23, v32, s[20:21]
	v_lshl_add_u32 v23, v23, 3, v10
	ds_read_b64 v[32:33], v23 offset:2048
	v_cndmask_b32_e64 v23, v38, v51, s[30:31]
	v_cndmask_b32_e64 v38, v52, v53, s[34:35]
	;; [unrolled: 1-line block ×4, first 2 shown]
.LBB405_40:
	s_or_b64 exec, exec, s[42:43]
	v_and_b32_e32 v51, 0x3e0, v1
	v_or_b32_e32 v49, 16, v51
	v_min_u32_e32 v49, v34, v49
	v_add_u32_e32 v50, 16, v49
	v_min_u32_e32 v50, v34, v50
	v_and_b32_e32 v52, 24, v1
	v_min_u32_e32 v52, v34, v52
	v_sub_u32_e32 v54, v49, v51
	v_sub_u32_e32 v53, v50, v49
	v_sub_u32_e64 v53, v52, v53 clamp
	v_min_u32_e32 v54, v52, v54
	v_cmp_lt_u32_e64 s[20:21], v53, v54
	; wave barrier
	ds_write_b8 v35, v22
	ds_write_b64 v39, v[4:5] offset:2048
	ds_write_b8 v35, v30 offset:1
	ds_write_b64 v48, v[14:15] offset:8
	ds_write_b8 v35, v27 offset:2
	;; [unrolled: 2-line block ×7, first 2 shown]
	s_waitcnt lgkmcnt(14)
	ds_write_b64 v48, v[32:33] offset:56
	; wave barrier
	s_and_saveexec_b64 s[22:23], s[20:21]
	s_cbranch_execz .LBB405_44
; %bb.41:
	v_add_u32_e32 v55, v11, v51
	v_add3_u32 v64, v11, v49, v52
	s_mov_b64 s[24:25], 0
.LBB405_42:                             ; =>This Inner Loop Header: Depth=1
	v_add_u32_e32 v65, v54, v53
	v_lshrrev_b32_e32 v65, 1, v65
	v_add_u32_e32 v66, v55, v65
	v_xad_u32 v67, v65, -1, v64
	ds_read_u8 v67, v67
	ds_read_u8 v66, v66
	v_add_u32_e32 v68, 1, v65
	s_waitcnt lgkmcnt(1)
	v_and_b32_e32 v67, v67, v31
	s_waitcnt lgkmcnt(0)
	v_and_b32_e32 v66, v66, v31
	v_cmp_gt_i16_sdwa s[20:21], sext(v66), sext(v67) src0_sel:BYTE_0 src1_sel:BYTE_0
	v_cndmask_b32_e64 v54, v54, v65, s[20:21]
	v_cndmask_b32_e64 v53, v68, v53, s[20:21]
	v_cmp_ge_u32_e64 s[20:21], v53, v54
	s_or_b64 s[24:25], s[20:21], s[24:25]
	s_andn2_b64 exec, exec, s[24:25]
	s_cbranch_execnz .LBB405_42
; %bb.43:
	s_or_b64 exec, exec, s[24:25]
.LBB405_44:
	s_or_b64 exec, exec, s[22:23]
	v_add_u32_e32 v52, v49, v52
	v_add_u32_e32 v51, v53, v51
	v_sub_u32_e32 v52, v52, v53
	v_cmp_le_u32_e64 s[20:21], v51, v49
	v_cmp_le_u32_e64 s[22:23], v52, v50
	s_or_b64 s[20:21], s[20:21], s[22:23]
	s_and_saveexec_b64 s[42:43], s[20:21]
	s_cbranch_execz .LBB405_50
; %bb.45:
	v_cmp_lt_u32_e64 s[20:21], v51, v49
                                        ; implicit-def: $vgpr22
	s_and_saveexec_b64 s[22:23], s[20:21]
	s_cbranch_execz .LBB405_47
; %bb.46:
	v_add_u32_e32 v4, v11, v51
	ds_read_u8 v22, v4
.LBB405_47:
	s_or_b64 exec, exec, s[22:23]
	v_cmp_ge_u32_e64 s[22:23], v52, v50
	v_cmp_lt_u32_e64 s[24:25], v52, v50
                                        ; implicit-def: $vgpr23
	s_and_saveexec_b64 s[28:29], s[24:25]
	s_cbranch_execz .LBB405_49
; %bb.48:
	v_add_u32_e32 v4, v11, v52
	ds_read_u8 v23, v4
.LBB405_49:
	s_or_b64 exec, exec, s[28:29]
	s_waitcnt lgkmcnt(0)
	v_and_b32_e32 v4, v23, v31
	v_and_b32_e32 v5, v22, v31
	v_cmp_le_i16_sdwa s[24:25], sext(v5), sext(v4) src0_sel:BYTE_0 src1_sel:BYTE_0
	s_and_b64 s[20:21], s[20:21], s[24:25]
	s_or_b64 s[20:21], s[22:23], s[20:21]
	v_cndmask_b32_e64 v4, v52, v51, s[20:21]
	v_cndmask_b32_e64 v5, v50, v49, s[20:21]
	v_add_u32_e32 v14, 1, v4
	v_add_u32_e32 v5, -1, v5
	v_min_u32_e32 v5, v14, v5
	v_add_u32_e32 v5, v11, v5
	ds_read_u8 v5, v5
	v_lshl_add_u32 v4, v4, 3, v10
	s_waitcnt lgkmcnt(0)
	v_cndmask_b32_e64 v26, v5, v23, s[20:21]
	v_cndmask_b32_e64 v27, v22, v5, s[20:21]
	;; [unrolled: 1-line block ×4, first 2 shown]
	v_and_b32_e32 v15, v26, v31
	v_and_b32_e32 v16, v27, v31
	v_cmp_lt_u32_e64 s[24:25], v14, v49
	v_cmp_le_i16_sdwa s[28:29], sext(v16), sext(v15) src0_sel:BYTE_0 src1_sel:BYTE_0
	v_cmp_ge_u32_e64 s[22:23], v5, v50
	s_and_b64 s[24:25], s[24:25], s[28:29]
	s_or_b64 s[22:23], s[22:23], s[24:25]
	v_cndmask_b32_e64 v15, v5, v14, s[22:23]
	v_cndmask_b32_e64 v16, v50, v49, s[22:23]
	v_add_u32_e32 v17, 1, v15
	v_add_u32_e32 v16, -1, v16
	v_min_u32_e32 v16, v17, v16
	v_add_u32_e32 v16, v11, v16
	ds_read_u8 v16, v16
	v_cndmask_b32_e64 v5, v17, v5, s[22:23]
	v_cndmask_b32_e64 v14, v14, v17, s[22:23]
	v_cmp_lt_u32_e64 s[28:29], v14, v49
	v_cmp_ge_u32_e64 s[24:25], v5, v50
	s_waitcnt lgkmcnt(0)
	v_cndmask_b32_e64 v32, v16, v26, s[22:23]
	v_cndmask_b32_e64 v33, v27, v16, s[22:23]
	v_and_b32_e32 v16, v32, v31
	v_and_b32_e32 v17, v33, v31
	v_cmp_le_i16_sdwa s[30:31], sext(v17), sext(v16) src0_sel:BYTE_0 src1_sel:BYTE_0
	s_and_b64 s[28:29], s[28:29], s[30:31]
	s_or_b64 s[24:25], s[24:25], s[28:29]
	v_cndmask_b32_e64 v16, v5, v14, s[24:25]
	v_cndmask_b32_e64 v17, v50, v49, s[24:25]
	v_add_u32_e32 v18, 1, v16
	v_add_u32_e32 v17, -1, v17
	v_min_u32_e32 v17, v18, v17
	v_add_u32_e32 v17, v11, v17
	ds_read_u8 v17, v17
	v_lshl_add_u32 v16, v16, 3, v10
	v_cndmask_b32_e64 v22, v23, v22, s[20:21]
	s_waitcnt lgkmcnt(0)
	v_cndmask_b32_e64 v36, v17, v32, s[24:25]
	v_cndmask_b32_e64 v37, v33, v17, s[24:25]
	;; [unrolled: 1-line block ×4, first 2 shown]
	v_and_b32_e32 v5, v36, v31
	v_and_b32_e32 v14, v37, v31
	v_cmp_lt_u32_e64 s[30:31], v18, v49
	v_cmp_le_i16_sdwa s[34:35], sext(v14), sext(v5) src0_sel:BYTE_0 src1_sel:BYTE_0
	v_cmp_ge_u32_e64 s[28:29], v17, v50
	s_and_b64 s[30:31], s[30:31], s[34:35]
	s_or_b64 s[28:29], s[28:29], s[30:31]
	v_cndmask_b32_e64 v19, v17, v18, s[28:29]
	v_cndmask_b32_e64 v5, v50, v49, s[28:29]
	v_add_u32_e32 v20, 1, v19
	v_add_u32_e32 v5, -1, v5
	v_min_u32_e32 v5, v20, v5
	v_add_u32_e32 v5, v11, v5
	ds_read_u8 v21, v5
	v_lshl_add_u32 v14, v15, 3, v10
	ds_read_b64 v[4:5], v4 offset:2048
	ds_read_b64 v[14:15], v14 offset:2048
	s_waitcnt lgkmcnt(2)
	v_cndmask_b32_e64 v38, v21, v36, s[28:29]
	v_cndmask_b32_e64 v51, v37, v21, s[28:29]
	v_cndmask_b32_e64 v21, v20, v17, s[28:29]
	v_cndmask_b32_e64 v20, v18, v20, s[28:29]
	v_and_b32_e32 v17, v38, v31
	v_and_b32_e32 v18, v51, v31
	v_cmp_lt_u32_e64 s[34:35], v20, v49
	v_cmp_le_i16_sdwa s[36:37], sext(v18), sext(v17) src0_sel:BYTE_0 src1_sel:BYTE_0
	v_cmp_ge_u32_e64 s[30:31], v21, v50
	s_and_b64 s[34:35], s[34:35], s[36:37]
	s_or_b64 s[30:31], s[30:31], s[34:35]
	v_cndmask_b32_e64 v24, v21, v20, s[30:31]
	v_cndmask_b32_e64 v17, v50, v49, s[30:31]
	v_add_u32_e32 v25, 1, v24
	v_add_u32_e32 v17, -1, v17
	v_min_u32_e32 v17, v25, v17
	v_add_u32_e32 v17, v11, v17
	ds_read_u8 v28, v17
	ds_read_b64 v[16:17], v16 offset:2048
	v_cndmask_b32_e64 v29, v20, v25, s[30:31]
	v_cmp_lt_u32_e64 s[36:37], v29, v49
	v_lshl_add_u32 v18, v19, 3, v10
	ds_read_b64 v[18:19], v18 offset:2048
	s_waitcnt lgkmcnt(2)
	v_cndmask_b32_e64 v52, v28, v38, s[30:31]
	v_cndmask_b32_e64 v53, v51, v28, s[30:31]
	;; [unrolled: 1-line block ×3, first 2 shown]
	v_and_b32_e32 v20, v52, v31
	v_and_b32_e32 v21, v53, v31
	v_cmp_le_i16_sdwa s[38:39], sext(v21), sext(v20) src0_sel:BYTE_0 src1_sel:BYTE_0
	v_cmp_ge_u32_e64 s[34:35], v28, v50
	s_and_b64 s[36:37], s[36:37], s[38:39]
	s_or_b64 s[34:35], s[34:35], s[36:37]
	v_cndmask_b32_e64 v20, v28, v29, s[34:35]
	v_cndmask_b32_e64 v21, v50, v49, s[34:35]
	v_add_u32_e32 v30, 1, v20
	v_add_u32_e32 v21, -1, v21
	v_min_u32_e32 v21, v30, v21
	v_add_u32_e32 v21, v11, v21
	ds_read_u8 v54, v21
	v_cndmask_b32_e64 v64, v30, v28, s[34:35]
	v_cndmask_b32_e64 v65, v29, v30, s[34:35]
	v_cmp_lt_u32_e64 s[38:39], v65, v49
	v_cmp_ge_u32_e64 s[36:37], v64, v50
	s_waitcnt lgkmcnt(0)
	v_cndmask_b32_e64 v55, v54, v52, s[34:35]
	v_cndmask_b32_e64 v54, v53, v54, s[34:35]
	v_and_b32_e32 v28, v55, v31
	v_and_b32_e32 v29, v54, v31
	v_cmp_le_i16_sdwa s[44:45], sext(v29), sext(v28) src0_sel:BYTE_0 src1_sel:BYTE_0
	s_and_b64 s[38:39], s[38:39], s[44:45]
	s_or_b64 s[36:37], s[36:37], s[38:39]
	v_cndmask_b32_e64 v28, v64, v65, s[36:37]
	v_cndmask_b32_e64 v29, v50, v49, s[36:37]
	v_lshl_add_u32 v30, v28, 3, v10
	v_add_u32_e32 v66, 1, v28
	v_add_u32_e32 v28, -1, v29
	v_min_u32_e32 v28, v66, v28
	v_lshl_add_u32 v21, v24, 3, v10
	v_lshl_add_u32 v20, v20, 3, v10
	v_add_u32_e32 v67, v11, v28
	ds_read_b64 v[24:25], v21 offset:2048
	ds_read_b64 v[20:21], v20 offset:2048
	;; [unrolled: 1-line block ×3, first 2 shown]
	ds_read_u8 v67, v67
	v_cndmask_b32_e64 v30, v26, v27, s[22:23]
	v_cndmask_b32_e64 v26, v36, v37, s[28:29]
	;; [unrolled: 1-line block ×4, first 2 shown]
	s_waitcnt lgkmcnt(0)
	v_cndmask_b32_e64 v36, v67, v55, s[36:37]
	v_cndmask_b32_e64 v67, v54, v67, s[36:37]
	v_and_b32_e32 v33, v36, v31
	v_and_b32_e32 v37, v67, v31
	v_cndmask_b32_e64 v23, v66, v64, s[36:37]
	v_cmp_lt_u32_e64 s[22:23], v32, v49
	v_cmp_le_i16_sdwa s[24:25], sext(v37), sext(v33) src0_sel:BYTE_0 src1_sel:BYTE_0
	v_cmp_ge_u32_e64 s[20:21], v23, v50
	s_and_b64 s[22:23], s[22:23], s[24:25]
	s_or_b64 s[20:21], s[20:21], s[22:23]
	v_cndmask_b32_e64 v23, v23, v32, s[20:21]
	v_lshl_add_u32 v23, v23, 3, v10
	ds_read_b64 v[32:33], v23 offset:2048
	v_cndmask_b32_e64 v23, v38, v51, s[30:31]
	v_cndmask_b32_e64 v38, v52, v53, s[34:35]
	;; [unrolled: 1-line block ×4, first 2 shown]
.LBB405_50:
	s_or_b64 exec, exec, s[42:43]
	v_and_b32_e32 v51, 0x3c0, v1
	v_or_b32_e32 v49, 32, v51
	v_min_u32_e32 v49, v34, v49
	v_add_u32_e32 v50, 32, v49
	v_min_u32_e32 v50, v34, v50
	v_and_b32_e32 v52, 56, v1
	v_min_u32_e32 v52, v34, v52
	v_sub_u32_e32 v54, v49, v51
	v_sub_u32_e32 v53, v50, v49
	v_sub_u32_e64 v53, v52, v53 clamp
	v_min_u32_e32 v54, v52, v54
	v_cmp_lt_u32_e64 s[20:21], v53, v54
	; wave barrier
	ds_write_b8 v35, v22
	ds_write_b64 v39, v[4:5] offset:2048
	ds_write_b8 v35, v30 offset:1
	ds_write_b64 v48, v[14:15] offset:8
	ds_write_b8 v35, v27 offset:2
	;; [unrolled: 2-line block ×7, first 2 shown]
	s_waitcnt lgkmcnt(14)
	ds_write_b64 v48, v[32:33] offset:56
	; wave barrier
	s_and_saveexec_b64 s[22:23], s[20:21]
	s_cbranch_execz .LBB405_54
; %bb.51:
	v_add_u32_e32 v55, v11, v51
	v_add3_u32 v64, v11, v49, v52
	s_mov_b64 s[24:25], 0
.LBB405_52:                             ; =>This Inner Loop Header: Depth=1
	v_add_u32_e32 v65, v54, v53
	v_lshrrev_b32_e32 v65, 1, v65
	v_add_u32_e32 v66, v55, v65
	v_xad_u32 v67, v65, -1, v64
	ds_read_u8 v67, v67
	ds_read_u8 v66, v66
	v_add_u32_e32 v68, 1, v65
	s_waitcnt lgkmcnt(1)
	v_and_b32_e32 v67, v67, v31
	s_waitcnt lgkmcnt(0)
	v_and_b32_e32 v66, v66, v31
	v_cmp_gt_i16_sdwa s[20:21], sext(v66), sext(v67) src0_sel:BYTE_0 src1_sel:BYTE_0
	v_cndmask_b32_e64 v54, v54, v65, s[20:21]
	v_cndmask_b32_e64 v53, v68, v53, s[20:21]
	v_cmp_ge_u32_e64 s[20:21], v53, v54
	s_or_b64 s[24:25], s[20:21], s[24:25]
	s_andn2_b64 exec, exec, s[24:25]
	s_cbranch_execnz .LBB405_52
; %bb.53:
	s_or_b64 exec, exec, s[24:25]
.LBB405_54:
	s_or_b64 exec, exec, s[22:23]
	v_add_u32_e32 v52, v49, v52
	v_add_u32_e32 v51, v53, v51
	v_sub_u32_e32 v52, v52, v53
	v_cmp_le_u32_e64 s[20:21], v51, v49
	v_cmp_le_u32_e64 s[22:23], v52, v50
	s_or_b64 s[20:21], s[20:21], s[22:23]
	s_and_saveexec_b64 s[42:43], s[20:21]
	s_cbranch_execz .LBB405_60
; %bb.55:
	v_cmp_lt_u32_e64 s[20:21], v51, v49
                                        ; implicit-def: $vgpr22
	s_and_saveexec_b64 s[22:23], s[20:21]
	s_cbranch_execz .LBB405_57
; %bb.56:
	v_add_u32_e32 v4, v11, v51
	ds_read_u8 v22, v4
.LBB405_57:
	s_or_b64 exec, exec, s[22:23]
	v_cmp_ge_u32_e64 s[22:23], v52, v50
	v_cmp_lt_u32_e64 s[24:25], v52, v50
                                        ; implicit-def: $vgpr23
	s_and_saveexec_b64 s[28:29], s[24:25]
	s_cbranch_execz .LBB405_59
; %bb.58:
	v_add_u32_e32 v4, v11, v52
	ds_read_u8 v23, v4
.LBB405_59:
	s_or_b64 exec, exec, s[28:29]
	s_waitcnt lgkmcnt(0)
	v_and_b32_e32 v4, v23, v31
	v_and_b32_e32 v5, v22, v31
	v_cmp_le_i16_sdwa s[24:25], sext(v5), sext(v4) src0_sel:BYTE_0 src1_sel:BYTE_0
	s_and_b64 s[20:21], s[20:21], s[24:25]
	s_or_b64 s[20:21], s[22:23], s[20:21]
	v_cndmask_b32_e64 v4, v52, v51, s[20:21]
	v_cndmask_b32_e64 v5, v50, v49, s[20:21]
	v_add_u32_e32 v14, 1, v4
	v_add_u32_e32 v5, -1, v5
	v_min_u32_e32 v5, v14, v5
	v_add_u32_e32 v5, v11, v5
	ds_read_u8 v5, v5
	v_lshl_add_u32 v4, v4, 3, v10
	s_waitcnt lgkmcnt(0)
	v_cndmask_b32_e64 v26, v5, v23, s[20:21]
	v_cndmask_b32_e64 v27, v22, v5, s[20:21]
	;; [unrolled: 1-line block ×4, first 2 shown]
	v_and_b32_e32 v15, v26, v31
	v_and_b32_e32 v16, v27, v31
	v_cmp_lt_u32_e64 s[24:25], v14, v49
	v_cmp_le_i16_sdwa s[28:29], sext(v16), sext(v15) src0_sel:BYTE_0 src1_sel:BYTE_0
	v_cmp_ge_u32_e64 s[22:23], v5, v50
	s_and_b64 s[24:25], s[24:25], s[28:29]
	s_or_b64 s[22:23], s[22:23], s[24:25]
	v_cndmask_b32_e64 v15, v5, v14, s[22:23]
	v_cndmask_b32_e64 v16, v50, v49, s[22:23]
	v_add_u32_e32 v17, 1, v15
	v_add_u32_e32 v16, -1, v16
	v_min_u32_e32 v16, v17, v16
	v_add_u32_e32 v16, v11, v16
	ds_read_u8 v16, v16
	v_cndmask_b32_e64 v5, v17, v5, s[22:23]
	v_cndmask_b32_e64 v14, v14, v17, s[22:23]
	v_cmp_lt_u32_e64 s[28:29], v14, v49
	v_cmp_ge_u32_e64 s[24:25], v5, v50
	s_waitcnt lgkmcnt(0)
	v_cndmask_b32_e64 v32, v16, v26, s[22:23]
	v_cndmask_b32_e64 v33, v27, v16, s[22:23]
	v_and_b32_e32 v16, v32, v31
	v_and_b32_e32 v17, v33, v31
	v_cmp_le_i16_sdwa s[30:31], sext(v17), sext(v16) src0_sel:BYTE_0 src1_sel:BYTE_0
	s_and_b64 s[28:29], s[28:29], s[30:31]
	s_or_b64 s[24:25], s[24:25], s[28:29]
	v_cndmask_b32_e64 v16, v5, v14, s[24:25]
	v_cndmask_b32_e64 v17, v50, v49, s[24:25]
	v_add_u32_e32 v18, 1, v16
	v_add_u32_e32 v17, -1, v17
	v_min_u32_e32 v17, v18, v17
	v_add_u32_e32 v17, v11, v17
	ds_read_u8 v17, v17
	v_lshl_add_u32 v16, v16, 3, v10
	v_cndmask_b32_e64 v22, v23, v22, s[20:21]
	s_waitcnt lgkmcnt(0)
	v_cndmask_b32_e64 v36, v17, v32, s[24:25]
	v_cndmask_b32_e64 v37, v33, v17, s[24:25]
	;; [unrolled: 1-line block ×4, first 2 shown]
	v_and_b32_e32 v5, v36, v31
	v_and_b32_e32 v14, v37, v31
	v_cmp_lt_u32_e64 s[30:31], v18, v49
	v_cmp_le_i16_sdwa s[34:35], sext(v14), sext(v5) src0_sel:BYTE_0 src1_sel:BYTE_0
	v_cmp_ge_u32_e64 s[28:29], v17, v50
	s_and_b64 s[30:31], s[30:31], s[34:35]
	s_or_b64 s[28:29], s[28:29], s[30:31]
	v_cndmask_b32_e64 v19, v17, v18, s[28:29]
	v_cndmask_b32_e64 v5, v50, v49, s[28:29]
	v_add_u32_e32 v20, 1, v19
	v_add_u32_e32 v5, -1, v5
	v_min_u32_e32 v5, v20, v5
	v_add_u32_e32 v5, v11, v5
	ds_read_u8 v21, v5
	v_lshl_add_u32 v14, v15, 3, v10
	ds_read_b64 v[4:5], v4 offset:2048
	ds_read_b64 v[14:15], v14 offset:2048
	s_waitcnt lgkmcnt(2)
	v_cndmask_b32_e64 v38, v21, v36, s[28:29]
	v_cndmask_b32_e64 v51, v37, v21, s[28:29]
	;; [unrolled: 1-line block ×4, first 2 shown]
	v_and_b32_e32 v17, v38, v31
	v_and_b32_e32 v18, v51, v31
	v_cmp_lt_u32_e64 s[34:35], v20, v49
	v_cmp_le_i16_sdwa s[36:37], sext(v18), sext(v17) src0_sel:BYTE_0 src1_sel:BYTE_0
	v_cmp_ge_u32_e64 s[30:31], v21, v50
	s_and_b64 s[34:35], s[34:35], s[36:37]
	s_or_b64 s[30:31], s[30:31], s[34:35]
	v_cndmask_b32_e64 v24, v21, v20, s[30:31]
	v_cndmask_b32_e64 v17, v50, v49, s[30:31]
	v_add_u32_e32 v25, 1, v24
	v_add_u32_e32 v17, -1, v17
	v_min_u32_e32 v17, v25, v17
	v_add_u32_e32 v17, v11, v17
	ds_read_u8 v28, v17
	ds_read_b64 v[16:17], v16 offset:2048
	v_cndmask_b32_e64 v29, v20, v25, s[30:31]
	v_cmp_lt_u32_e64 s[36:37], v29, v49
	v_lshl_add_u32 v18, v19, 3, v10
	ds_read_b64 v[18:19], v18 offset:2048
	s_waitcnt lgkmcnt(2)
	v_cndmask_b32_e64 v52, v28, v38, s[30:31]
	v_cndmask_b32_e64 v53, v51, v28, s[30:31]
	;; [unrolled: 1-line block ×3, first 2 shown]
	v_and_b32_e32 v20, v52, v31
	v_and_b32_e32 v21, v53, v31
	v_cmp_le_i16_sdwa s[38:39], sext(v21), sext(v20) src0_sel:BYTE_0 src1_sel:BYTE_0
	v_cmp_ge_u32_e64 s[34:35], v28, v50
	s_and_b64 s[36:37], s[36:37], s[38:39]
	s_or_b64 s[34:35], s[34:35], s[36:37]
	v_cndmask_b32_e64 v20, v28, v29, s[34:35]
	v_cndmask_b32_e64 v21, v50, v49, s[34:35]
	v_add_u32_e32 v30, 1, v20
	v_add_u32_e32 v21, -1, v21
	v_min_u32_e32 v21, v30, v21
	v_add_u32_e32 v21, v11, v21
	ds_read_u8 v54, v21
	v_cndmask_b32_e64 v64, v30, v28, s[34:35]
	v_cndmask_b32_e64 v65, v29, v30, s[34:35]
	v_cmp_lt_u32_e64 s[38:39], v65, v49
	v_cmp_ge_u32_e64 s[36:37], v64, v50
	s_waitcnt lgkmcnt(0)
	v_cndmask_b32_e64 v55, v54, v52, s[34:35]
	v_cndmask_b32_e64 v54, v53, v54, s[34:35]
	v_and_b32_e32 v28, v55, v31
	v_and_b32_e32 v29, v54, v31
	v_cmp_le_i16_sdwa s[44:45], sext(v29), sext(v28) src0_sel:BYTE_0 src1_sel:BYTE_0
	s_and_b64 s[38:39], s[38:39], s[44:45]
	s_or_b64 s[36:37], s[36:37], s[38:39]
	v_cndmask_b32_e64 v28, v64, v65, s[36:37]
	v_cndmask_b32_e64 v29, v50, v49, s[36:37]
	v_lshl_add_u32 v30, v28, 3, v10
	v_add_u32_e32 v66, 1, v28
	v_add_u32_e32 v28, -1, v29
	v_min_u32_e32 v28, v66, v28
	v_lshl_add_u32 v21, v24, 3, v10
	v_lshl_add_u32 v20, v20, 3, v10
	v_add_u32_e32 v67, v11, v28
	ds_read_b64 v[24:25], v21 offset:2048
	ds_read_b64 v[20:21], v20 offset:2048
	;; [unrolled: 1-line block ×3, first 2 shown]
	ds_read_u8 v67, v67
	v_cndmask_b32_e64 v30, v26, v27, s[22:23]
	v_cndmask_b32_e64 v26, v36, v37, s[28:29]
	;; [unrolled: 1-line block ×4, first 2 shown]
	s_waitcnt lgkmcnt(0)
	v_cndmask_b32_e64 v36, v67, v55, s[36:37]
	v_cndmask_b32_e64 v67, v54, v67, s[36:37]
	v_and_b32_e32 v33, v36, v31
	v_and_b32_e32 v37, v67, v31
	v_cndmask_b32_e64 v23, v66, v64, s[36:37]
	v_cmp_lt_u32_e64 s[22:23], v32, v49
	v_cmp_le_i16_sdwa s[24:25], sext(v37), sext(v33) src0_sel:BYTE_0 src1_sel:BYTE_0
	v_cmp_ge_u32_e64 s[20:21], v23, v50
	s_and_b64 s[22:23], s[22:23], s[24:25]
	s_or_b64 s[20:21], s[20:21], s[22:23]
	v_cndmask_b32_e64 v23, v23, v32, s[20:21]
	v_lshl_add_u32 v23, v23, 3, v10
	ds_read_b64 v[32:33], v23 offset:2048
	v_cndmask_b32_e64 v23, v38, v51, s[30:31]
	v_cndmask_b32_e64 v38, v52, v53, s[34:35]
	;; [unrolled: 1-line block ×4, first 2 shown]
.LBB405_60:
	s_or_b64 exec, exec, s[42:43]
	; wave barrier
	ds_write_b8 v35, v22
	ds_write_b64 v39, v[4:5] offset:2048
	ds_write_b8 v35, v30 offset:1
	ds_write_b64 v48, v[14:15] offset:8
	ds_write_b8 v35, v27 offset:2
	ds_write_b64 v48, v[16:17] offset:16
	ds_write_b8 v35, v26 offset:3
	ds_write_b64 v48, v[18:19] offset:24
	ds_write_b8 v35, v23 offset:4
	ds_write_b64 v48, v[24:25] offset:32
	ds_write_b8 v35, v38 offset:5
	ds_write_b64 v48, v[20:21] offset:40
	ds_write_b8 v35, v37 offset:6
	ds_write_b64 v48, v[28:29] offset:48
	ds_write_b8 v35, v36 offset:7
	s_waitcnt lgkmcnt(14)
	ds_write_b64 v48, v[32:33] offset:56
	v_and_b32_e32 v39, 0x380, v1
	v_or_b32_e32 v1, 64, v39
	v_min_u32_e32 v1, v34, v1
	v_add_u32_e32 v35, 64, v1
	v_min_u32_e32 v35, v34, v35
	v_min_u32_e32 v48, v34, v0
	v_sub_u32_e32 v34, v1, v39
	v_sub_u32_e32 v49, v35, v1
	v_sub_u32_e64 v49, v48, v49 clamp
	v_min_u32_e32 v34, v48, v34
	v_cmp_lt_u32_e64 s[20:21], v49, v34
	; wave barrier
	s_and_saveexec_b64 s[22:23], s[20:21]
	s_cbranch_execz .LBB405_64
; %bb.61:
	v_add_u32_e32 v50, v11, v39
	v_add3_u32 v51, v11, v1, v48
	s_mov_b64 s[24:25], 0
.LBB405_62:                             ; =>This Inner Loop Header: Depth=1
	v_add_u32_e32 v52, v34, v49
	v_lshrrev_b32_e32 v52, 1, v52
	v_add_u32_e32 v53, v50, v52
	v_xad_u32 v54, v52, -1, v51
	ds_read_u8 v54, v54
	ds_read_u8 v53, v53
	v_add_u32_e32 v55, 1, v52
	s_waitcnt lgkmcnt(1)
	v_and_b32_e32 v54, v54, v31
	s_waitcnt lgkmcnt(0)
	v_and_b32_e32 v53, v53, v31
	v_cmp_gt_i16_sdwa s[20:21], sext(v53), sext(v54) src0_sel:BYTE_0 src1_sel:BYTE_0
	v_cndmask_b32_e64 v34, v34, v52, s[20:21]
	v_cndmask_b32_e64 v49, v55, v49, s[20:21]
	v_cmp_ge_u32_e64 s[20:21], v49, v34
	s_or_b64 s[24:25], s[20:21], s[24:25]
	s_andn2_b64 exec, exec, s[24:25]
	s_cbranch_execnz .LBB405_62
; %bb.63:
	s_or_b64 exec, exec, s[24:25]
.LBB405_64:
	s_or_b64 exec, exec, s[22:23]
	v_add_u32_e32 v34, v49, v39
	v_add_u32_e32 v39, v1, v48
	v_sub_u32_e32 v39, v39, v49
	v_cmp_le_u32_e64 s[20:21], v34, v1
	v_cmp_le_u32_e64 s[22:23], v39, v35
	s_or_b64 s[20:21], s[20:21], s[22:23]
	s_and_saveexec_b64 s[42:43], s[20:21]
	s_cbranch_execz .LBB405_70
; %bb.65:
	v_cmp_lt_u32_e64 s[20:21], v34, v1
                                        ; implicit-def: $vgpr22
	s_and_saveexec_b64 s[22:23], s[20:21]
	s_cbranch_execz .LBB405_67
; %bb.66:
	v_add_u32_e32 v4, v11, v34
	ds_read_u8 v22, v4
.LBB405_67:
	s_or_b64 exec, exec, s[22:23]
	v_cmp_ge_u32_e64 s[22:23], v39, v35
	v_cmp_lt_u32_e64 s[24:25], v39, v35
                                        ; implicit-def: $vgpr23
	s_and_saveexec_b64 s[28:29], s[24:25]
	s_cbranch_execz .LBB405_69
; %bb.68:
	v_add_u32_e32 v4, v11, v39
	ds_read_u8 v23, v4
.LBB405_69:
	s_or_b64 exec, exec, s[28:29]
	s_waitcnt lgkmcnt(0)
	v_and_b32_e32 v4, v23, v31
	v_and_b32_e32 v5, v22, v31
	v_cmp_le_i16_sdwa s[24:25], sext(v5), sext(v4) src0_sel:BYTE_0 src1_sel:BYTE_0
	s_and_b64 s[20:21], s[20:21], s[24:25]
	s_or_b64 s[20:21], s[22:23], s[20:21]
	v_cndmask_b32_e64 v4, v39, v34, s[20:21]
	v_cndmask_b32_e64 v5, v35, v1, s[20:21]
	v_add_u32_e32 v14, 1, v4
	v_add_u32_e32 v5, -1, v5
	v_min_u32_e32 v5, v14, v5
	v_add_u32_e32 v5, v11, v5
	ds_read_u8 v5, v5
	v_lshl_add_u32 v4, v4, 3, v10
	s_waitcnt lgkmcnt(0)
	v_cndmask_b32_e64 v26, v5, v23, s[20:21]
	v_cndmask_b32_e64 v27, v22, v5, s[20:21]
	;; [unrolled: 1-line block ×4, first 2 shown]
	v_and_b32_e32 v15, v26, v31
	v_and_b32_e32 v16, v27, v31
	v_cmp_lt_u32_e64 s[24:25], v14, v1
	v_cmp_le_i16_sdwa s[28:29], sext(v16), sext(v15) src0_sel:BYTE_0 src1_sel:BYTE_0
	v_cmp_ge_u32_e64 s[22:23], v5, v35
	s_and_b64 s[24:25], s[24:25], s[28:29]
	s_or_b64 s[22:23], s[22:23], s[24:25]
	v_cndmask_b32_e64 v15, v5, v14, s[22:23]
	v_cndmask_b32_e64 v16, v35, v1, s[22:23]
	v_add_u32_e32 v17, 1, v15
	v_add_u32_e32 v16, -1, v16
	v_min_u32_e32 v16, v17, v16
	v_add_u32_e32 v16, v11, v16
	ds_read_u8 v16, v16
	v_cndmask_b32_e64 v5, v17, v5, s[22:23]
	v_cndmask_b32_e64 v14, v14, v17, s[22:23]
	v_cmp_lt_u32_e64 s[28:29], v14, v1
	v_cmp_ge_u32_e64 s[24:25], v5, v35
	s_waitcnt lgkmcnt(0)
	v_cndmask_b32_e64 v32, v16, v26, s[22:23]
	v_cndmask_b32_e64 v33, v27, v16, s[22:23]
	v_and_b32_e32 v16, v32, v31
	v_and_b32_e32 v17, v33, v31
	v_cmp_le_i16_sdwa s[30:31], sext(v17), sext(v16) src0_sel:BYTE_0 src1_sel:BYTE_0
	s_and_b64 s[28:29], s[28:29], s[30:31]
	s_or_b64 s[24:25], s[24:25], s[28:29]
	v_cndmask_b32_e64 v16, v5, v14, s[24:25]
	v_cndmask_b32_e64 v17, v35, v1, s[24:25]
	v_add_u32_e32 v18, 1, v16
	v_add_u32_e32 v17, -1, v17
	v_min_u32_e32 v17, v18, v17
	v_add_u32_e32 v17, v11, v17
	ds_read_u8 v17, v17
	v_lshl_add_u32 v16, v16, 3, v10
	v_cndmask_b32_e64 v22, v23, v22, s[20:21]
	s_waitcnt lgkmcnt(0)
	v_cndmask_b32_e64 v34, v17, v32, s[24:25]
	v_cndmask_b32_e64 v36, v33, v17, s[24:25]
	;; [unrolled: 1-line block ×4, first 2 shown]
	v_and_b32_e32 v5, v34, v31
	v_and_b32_e32 v14, v36, v31
	v_cmp_lt_u32_e64 s[30:31], v18, v1
	v_cmp_le_i16_sdwa s[34:35], sext(v14), sext(v5) src0_sel:BYTE_0 src1_sel:BYTE_0
	v_cmp_ge_u32_e64 s[28:29], v17, v35
	s_and_b64 s[30:31], s[30:31], s[34:35]
	s_or_b64 s[28:29], s[28:29], s[30:31]
	v_cndmask_b32_e64 v19, v17, v18, s[28:29]
	v_cndmask_b32_e64 v5, v35, v1, s[28:29]
	v_add_u32_e32 v20, 1, v19
	v_add_u32_e32 v5, -1, v5
	v_min_u32_e32 v5, v20, v5
	v_add_u32_e32 v5, v11, v5
	ds_read_u8 v21, v5
	v_lshl_add_u32 v14, v15, 3, v10
	ds_read_b64 v[4:5], v4 offset:2048
	ds_read_b64 v[14:15], v14 offset:2048
	s_waitcnt lgkmcnt(2)
	v_cndmask_b32_e64 v37, v21, v34, s[28:29]
	v_cndmask_b32_e64 v38, v36, v21, s[28:29]
	;; [unrolled: 1-line block ×4, first 2 shown]
	v_and_b32_e32 v17, v37, v31
	v_and_b32_e32 v18, v38, v31
	v_cmp_lt_u32_e64 s[34:35], v20, v1
	v_cmp_le_i16_sdwa s[36:37], sext(v18), sext(v17) src0_sel:BYTE_0 src1_sel:BYTE_0
	v_cmp_ge_u32_e64 s[30:31], v21, v35
	s_and_b64 s[34:35], s[34:35], s[36:37]
	s_or_b64 s[30:31], s[30:31], s[34:35]
	v_cndmask_b32_e64 v24, v21, v20, s[30:31]
	v_cndmask_b32_e64 v17, v35, v1, s[30:31]
	v_add_u32_e32 v25, 1, v24
	v_add_u32_e32 v17, -1, v17
	v_min_u32_e32 v17, v25, v17
	v_add_u32_e32 v17, v11, v17
	ds_read_u8 v28, v17
	ds_read_b64 v[16:17], v16 offset:2048
	v_cndmask_b32_e64 v29, v20, v25, s[30:31]
	v_cmp_lt_u32_e64 s[36:37], v29, v1
	v_lshl_add_u32 v18, v19, 3, v10
	ds_read_b64 v[18:19], v18 offset:2048
	s_waitcnt lgkmcnt(2)
	v_cndmask_b32_e64 v39, v28, v37, s[30:31]
	v_cndmask_b32_e64 v48, v38, v28, s[30:31]
	;; [unrolled: 1-line block ×3, first 2 shown]
	v_and_b32_e32 v20, v39, v31
	v_and_b32_e32 v21, v48, v31
	v_cmp_le_i16_sdwa s[38:39], sext(v21), sext(v20) src0_sel:BYTE_0 src1_sel:BYTE_0
	v_cmp_ge_u32_e64 s[34:35], v28, v35
	s_and_b64 s[36:37], s[36:37], s[38:39]
	s_or_b64 s[34:35], s[34:35], s[36:37]
	v_cndmask_b32_e64 v20, v28, v29, s[34:35]
	v_cndmask_b32_e64 v21, v35, v1, s[34:35]
	v_add_u32_e32 v30, 1, v20
	v_add_u32_e32 v21, -1, v21
	v_min_u32_e32 v21, v30, v21
	v_add_u32_e32 v21, v11, v21
	ds_read_u8 v49, v21
	v_cndmask_b32_e64 v51, v30, v28, s[34:35]
	v_cndmask_b32_e64 v52, v29, v30, s[34:35]
	v_cmp_lt_u32_e64 s[38:39], v52, v1
	v_cmp_ge_u32_e64 s[36:37], v51, v35
	s_waitcnt lgkmcnt(0)
	v_cndmask_b32_e64 v50, v49, v39, s[34:35]
	v_cndmask_b32_e64 v49, v48, v49, s[34:35]
	v_and_b32_e32 v28, v50, v31
	v_and_b32_e32 v29, v49, v31
	v_cmp_le_i16_sdwa s[44:45], sext(v29), sext(v28) src0_sel:BYTE_0 src1_sel:BYTE_0
	s_and_b64 s[38:39], s[38:39], s[44:45]
	s_or_b64 s[36:37], s[36:37], s[38:39]
	v_cndmask_b32_e64 v28, v51, v52, s[36:37]
	v_cndmask_b32_e64 v29, v35, v1, s[36:37]
	v_lshl_add_u32 v30, v28, 3, v10
	v_add_u32_e32 v53, 1, v28
	v_add_u32_e32 v28, -1, v29
	v_min_u32_e32 v28, v53, v28
	v_lshl_add_u32 v21, v24, 3, v10
	v_lshl_add_u32 v20, v20, 3, v10
	v_add_u32_e32 v11, v11, v28
	ds_read_b64 v[24:25], v21 offset:2048
	ds_read_b64 v[20:21], v20 offset:2048
	ds_read_b64 v[28:29], v30 offset:2048
	ds_read_u8 v11, v11
	v_cndmask_b32_e64 v30, v26, v27, s[22:23]
	v_cndmask_b32_e64 v27, v32, v33, s[24:25]
	;; [unrolled: 1-line block ×4, first 2 shown]
	s_waitcnt lgkmcnt(0)
	v_cndmask_b32_e64 v34, v11, v50, s[36:37]
	v_cndmask_b32_e64 v11, v49, v11, s[36:37]
	v_cmp_lt_u32_e64 s[22:23], v32, v1
	v_and_b32_e32 v1, v34, v31
	v_and_b32_e32 v31, v11, v31
	v_cndmask_b32_e64 v23, v53, v51, s[36:37]
	v_cmp_le_i16_sdwa s[24:25], sext(v31), sext(v1) src0_sel:BYTE_0 src1_sel:BYTE_0
	v_cmp_ge_u32_e64 s[20:21], v23, v35
	s_and_b64 s[22:23], s[22:23], s[24:25]
	s_or_b64 s[20:21], s[20:21], s[22:23]
	v_cndmask_b32_e64 v1, v23, v32, s[20:21]
	v_lshl_add_u32 v1, v1, 3, v10
	ds_read_b64 v[32:33], v1 offset:2048
	v_cndmask_b32_e64 v23, v37, v38, s[30:31]
	v_cndmask_b32_e64 v38, v39, v48, s[34:35]
	v_cndmask_b32_e64 v37, v50, v49, s[36:37]
	v_cndmask_b32_e64 v36, v34, v11, s[20:21]
.LBB405_70:
	s_or_b64 exec, exec, s[42:43]
	; wave barrier
	s_waitcnt lgkmcnt(0)
	s_barrier
                                        ; implicit-def: $vgpr1
                                        ; implicit-def: $vgpr31
                                        ; implicit-def: $vgpr34
                                        ; implicit-def: $vgpr35
.LBB405_71:
	s_andn2_saveexec_b64 s[36:37], s[40:41]
	s_cbranch_execz .LBB405_117
; %bb.72:
	s_load_dwordx2 s[20:21], s[8:9], 0x0
	v_mov_b32_e32 v10, 0
	s_waitcnt lgkmcnt(0)
	s_cmp_lt_u32 s12, s20
	s_cselect_b32 s20, 12, 18
	s_cmp_lt_u32 s13, s21
	s_cselect_b32 s12, 14, 20
	s_add_u32 s12, s8, s12
	s_addc_u32 s13, s9, 0
	s_add_u32 s8, s8, s20
	s_addc_u32 s9, s9, 0
	global_load_ushort v11, v10, s[12:13]
	global_load_ushort v39, v10, s[8:9]
	v_and_b32_e32 v10, 0x3ff, v31
	s_movk_i32 s20, 0x800
	s_waitcnt vmcnt(0)
	v_mad_u32_u24 v11, v35, v11, v34
	v_mul_lo_u32 v11, v11, v39
	v_add_lshl_u32 v31, v11, v10, 3
	v_cmp_gt_u32_e64 s[8:9], s20, v31
	s_and_saveexec_b64 s[12:13], s[8:9]
	s_cbranch_execz .LBB405_76
; %bb.73:
	v_lshlrev_b16_e32 v10, 8, v38
	v_or_b32_sdwa v10, v23, v10 dst_sel:DWORD dst_unused:UNUSED_PAD src0_sel:BYTE_0 src1_sel:DWORD
	v_lshlrev_b16_e32 v23, 8, v30
	v_lshlrev_b16_e32 v34, 8, v22
	;; [unrolled: 1-line block ×3, first 2 shown]
	v_or_b32_sdwa v23, v22, v23 dst_sel:DWORD dst_unused:UNUSED_PAD src0_sel:BYTE_0 src1_sel:DWORD
	v_or_b32_sdwa v34, v30, v34 dst_sel:DWORD dst_unused:UNUSED_PAD src0_sel:BYTE_0 src1_sel:DWORD
	v_or_b32_sdwa v26, v27, v26 dst_sel:WORD_1 dst_unused:UNUSED_PAD src0_sel:BYTE_0 src1_sel:DWORD
	v_or_b32_sdwa v27, v34, v26 dst_sel:DWORD dst_unused:UNUSED_PAD src0_sel:WORD_0 src1_sel:DWORD
	v_or_b32_sdwa v23, v23, v26 dst_sel:DWORD dst_unused:UNUSED_PAD src0_sel:WORD_0 src1_sel:DWORD
	v_cmp_gt_i16_sdwa s[8:9], sext(v22), sext(v30) src0_sel:BYTE_0 src1_sel:BYTE_0
	v_cndmask_b32_e64 v22, v14, v4, s[8:9]
	v_cndmask_b32_e64 v4, v4, v14, s[8:9]
	;; [unrolled: 1-line block ×3, first 2 shown]
	v_lshlrev_b16_e32 v11, 8, v36
	v_cndmask_b32_e64 v26, v15, v5, s[8:9]
	v_cndmask_b32_e64 v5, v5, v15, s[8:9]
	v_lshrrev_b32_e32 v15, 16, v14
	s_mov_b32 s24, 0xc0c0001
	v_or_b32_sdwa v11, v37, v11 dst_sel:WORD_1 dst_unused:UNUSED_PAD src0_sel:BYTE_0 src1_sel:DWORD
	v_perm_b32 v23, 0, v15, s24
	v_lshrrev_b32_e32 v27, 24, v14
	s_mov_b32 s21, 0xffff
	v_or_b32_sdwa v11, v10, v11 dst_sel:DWORD dst_unused:UNUSED_PAD src0_sel:WORD_0 src1_sel:DWORD
	v_lshlrev_b32_e32 v23, 16, v23
	v_cmp_gt_i16_sdwa s[8:9], sext(v15), sext(v27) src0_sel:BYTE_0 src1_sel:BYTE_0
	v_and_or_b32 v23, v14, s21, v23
	v_cndmask_b32_e64 v27, v19, v17, s[8:9]
	v_cndmask_b32_e64 v17, v17, v19, s[8:9]
	s_mov_b32 s29, 0x7060405
	v_lshrrev_b32_e32 v19, 8, v11
	v_cndmask_b32_e64 v15, v18, v16, s[8:9]
	v_cndmask_b32_e64 v16, v16, v18, s[8:9]
	;; [unrolled: 1-line block ×3, first 2 shown]
	v_perm_b32 v18, v11, v11, s29
	v_cmp_gt_i16_sdwa s[8:9], sext(v10), sext(v19) src0_sel:BYTE_0 src1_sel:BYTE_0
	v_cndmask_b32_e64 v11, v11, v18, s[8:9]
	v_lshrrev_b32_e32 v18, 24, v11
	v_lshrrev_b32_e32 v23, 16, v11
	s_mov_b32 s25, 0x6070504
	v_cndmask_b32_e64 v10, v24, v20, s[8:9]
	v_cndmask_b32_e64 v19, v25, v21, s[8:9]
	;; [unrolled: 1-line block ×4, first 2 shown]
	v_perm_b32 v24, v11, v11, s25
	v_cmp_gt_i16_sdwa s[8:9], sext(v23), sext(v18) src0_sel:BYTE_0 src1_sel:BYTE_0
	v_cndmask_b32_e64 v23, v29, v33, s[8:9]
	v_cndmask_b32_e64 v25, v33, v29, s[8:9]
	;; [unrolled: 1-line block ×3, first 2 shown]
	v_lshrrev_b32_e32 v24, 16, v14
	v_lshrrev_b32_e32 v29, 8, v14
	s_mov_b32 s23, 0x7050604
	v_cndmask_b32_e64 v18, v28, v32, s[8:9]
	v_cndmask_b32_e64 v28, v32, v28, s[8:9]
	v_perm_b32 v30, v14, v14, s23
	v_cmp_gt_i16_sdwa s[8:9], sext(v29), sext(v24) src0_sel:BYTE_0 src1_sel:BYTE_0
	s_movk_i32 s22, 0xff
	v_cndmask_b32_e64 v14, v14, v30, s[8:9]
	v_cndmask_b32_e64 v24, v17, v26, s[8:9]
	;; [unrolled: 1-line block ×3, first 2 shown]
	v_and_b32_sdwa v26, v14, s22 dst_sel:DWORD dst_unused:UNUSED_PAD src0_sel:WORD_1 src1_sel:DWORD
	v_lshlrev_b16_e32 v30, 8, v11
	s_mov_b32 s28, 0x3020107
	v_or_b32_sdwa v26, v26, v30 dst_sel:WORD_1 dst_unused:UNUSED_PAD src0_sel:DWORD src1_sel:DWORD
	v_lshrrev_b32_e32 v30, 24, v14
	v_cndmask_b32_e64 v29, v16, v22, s[8:9]
	v_cndmask_b32_e64 v16, v22, v16, s[8:9]
	v_perm_b32 v22, v14, v11, s28
	v_cmp_gt_i16_sdwa s[8:9], sext(v30), sext(v11) src0_sel:BYTE_0 src1_sel:BYTE_0
	v_cndmask_b32_e64 v11, v11, v22, s[8:9]
	v_and_or_b32 v26, v14, s21, v26
	v_cndmask_b32_e64 v32, v15, v10, s[8:9]
	v_cndmask_b32_e64 v10, v10, v15, s[8:9]
	v_lshrrev_b32_e32 v15, 16, v11
	v_lshrrev_b32_e32 v22, 8, v11
	v_cndmask_b32_e64 v30, v27, v19, s[8:9]
	v_cndmask_b32_e64 v19, v19, v27, s[8:9]
	;; [unrolled: 1-line block ×3, first 2 shown]
	v_cmp_gt_i16_sdwa s[8:9], sext(v22), sext(v15) src0_sel:BYTE_0 src1_sel:BYTE_0
	v_perm_b32 v26, v11, v11, s23
	v_cndmask_b32_e64 v15, v21, v23, s[8:9]
	v_cndmask_b32_e64 v22, v20, v18, s[8:9]
	;; [unrolled: 1-line block ×4, first 2 shown]
	v_perm_b32 v20, 0, v14, s24
	s_mov_b32 s30, 0xffff0000
	v_lshrrev_b32_e32 v23, 8, v14
	v_cndmask_b32_e64 v11, v11, v26, s[8:9]
	v_and_or_b32 v20, v14, s30, v20
	v_cmp_gt_i16_sdwa s[8:9], sext(v14), sext(v23) src0_sel:BYTE_0 src1_sel:BYTE_0
	v_cndmask_b32_e64 v14, v14, v20, s[8:9]
	v_cndmask_b32_e64 v23, v16, v4, s[8:9]
	;; [unrolled: 1-line block ×3, first 2 shown]
	v_lshrrev_b32_e32 v16, 16, v14
	v_cndmask_b32_e64 v26, v17, v5, s[8:9]
	v_cndmask_b32_e64 v5, v5, v17, s[8:9]
	v_perm_b32 v17, 0, v16, s24
	v_lshrrev_b32_e32 v20, 24, v14
	v_lshlrev_b32_e32 v17, 16, v17
	v_cmp_gt_i16_sdwa s[8:9], sext(v16), sext(v20) src0_sel:BYTE_0 src1_sel:BYTE_0
	v_and_or_b32 v17, v14, s21, v17
	v_cndmask_b32_e64 v16, v32, v29, s[8:9]
	v_cndmask_b32_e64 v27, v29, v32, s[8:9]
	v_lshrrev_b32_e32 v29, 8, v11
	v_cndmask_b32_e64 v20, v30, v24, s[8:9]
	v_cndmask_b32_e64 v24, v24, v30, s[8:9]
	;; [unrolled: 1-line block ×3, first 2 shown]
	v_perm_b32 v17, v11, v11, s29
	v_cmp_gt_i16_sdwa s[8:9], sext(v11), sext(v29) src0_sel:BYTE_0 src1_sel:BYTE_0
	v_cndmask_b32_e64 v11, v11, v17, s[8:9]
	v_cndmask_b32_e64 v30, v19, v15, s[8:9]
	;; [unrolled: 1-line block ×3, first 2 shown]
	v_lshrrev_b32_e32 v17, 24, v11
	v_lshrrev_b32_e32 v19, 16, v11
	v_cndmask_b32_e64 v29, v10, v22, s[8:9]
	v_cndmask_b32_e64 v10, v22, v10, s[8:9]
	v_perm_b32 v22, v11, v11, s25
	v_cmp_gt_i16_sdwa s[8:9], sext(v19), sext(v17) src0_sel:BYTE_0 src1_sel:BYTE_0
	v_cndmask_b32_e64 v19, v21, v25, s[8:9]
	v_cndmask_b32_e64 v21, v25, v21, s[8:9]
	;; [unrolled: 1-line block ×3, first 2 shown]
	v_lshrrev_b32_e32 v22, 16, v14
	v_lshrrev_b32_e32 v25, 8, v14
	v_cndmask_b32_e64 v17, v18, v28, s[8:9]
	v_cndmask_b32_e64 v18, v28, v18, s[8:9]
	v_perm_b32 v28, v14, v14, s23
	v_cmp_gt_i16_sdwa s[8:9], sext(v25), sext(v22) src0_sel:BYTE_0 src1_sel:BYTE_0
	v_cndmask_b32_e64 v14, v14, v28, s[8:9]
	v_cndmask_b32_e64 v25, v27, v23, s[8:9]
	;; [unrolled: 1-line block ×3, first 2 shown]
	v_and_b32_sdwa v27, v14, s22 dst_sel:DWORD dst_unused:UNUSED_PAD src0_sel:WORD_1 src1_sel:DWORD
	v_lshlrev_b16_e32 v28, 8, v11
	v_or_b32_sdwa v27, v27, v28 dst_sel:WORD_1 dst_unused:UNUSED_PAD src0_sel:DWORD src1_sel:DWORD
	v_lshrrev_b32_e32 v28, 24, v14
	v_cndmask_b32_e64 v22, v24, v26, s[8:9]
	v_cndmask_b32_e64 v24, v26, v24, s[8:9]
	v_perm_b32 v26, v14, v11, s28
	v_cmp_gt_i16_sdwa s[8:9], sext(v28), sext(v11) src0_sel:BYTE_0 src1_sel:BYTE_0
	v_and_or_b32 v27, v14, s21, v27
	v_cndmask_b32_e64 v11, v11, v26, s[8:9]
	v_cndmask_b32_e64 v14, v14, v27, s[8:9]
	v_lshrrev_b32_e32 v26, 16, v11
	v_lshrrev_b32_e32 v27, 8, v11
	v_cndmask_b32_e64 v28, v20, v30, s[8:9]
	v_cndmask_b32_e64 v32, v16, v29, s[8:9]
	;; [unrolled: 1-line block ×4, first 2 shown]
	v_cmp_gt_i16_sdwa s[8:9], sext(v27), sext(v26) src0_sel:BYTE_0 src1_sel:BYTE_0
	v_perm_b32 v29, v11, v11, s23
	v_cndmask_b32_e64 v26, v15, v19, s[8:9]
	v_cndmask_b32_e64 v27, v10, v17, s[8:9]
	;; [unrolled: 1-line block ×4, first 2 shown]
	v_perm_b32 v17, 0, v14, s24
	v_lshrrev_b32_e32 v19, 8, v14
	v_cndmask_b32_e64 v11, v11, v29, s[8:9]
	v_and_or_b32 v17, v14, s30, v17
	v_cmp_gt_i16_sdwa s[8:9], sext(v14), sext(v19) src0_sel:BYTE_0 src1_sel:BYTE_0
	v_cndmask_b32_e64 v14, v14, v17, s[8:9]
	v_lshrrev_b32_e32 v17, 16, v14
	v_cndmask_b32_e64 v19, v23, v4, s[8:9]
	v_cndmask_b32_e64 v29, v24, v5, s[8:9]
	;; [unrolled: 1-line block ×4, first 2 shown]
	v_perm_b32 v23, 0, v17, s24
	v_lshrrev_b32_e32 v24, 24, v14
	v_lshlrev_b32_e32 v23, 16, v23
	v_cmp_gt_i16_sdwa s[8:9], sext(v17), sext(v24) src0_sel:BYTE_0 src1_sel:BYTE_0
	v_and_or_b32 v23, v14, s21, v23
	v_cndmask_b32_e64 v24, v28, v22, s[8:9]
	v_cndmask_b32_e64 v22, v22, v28, s[8:9]
	v_lshrrev_b32_e32 v28, 8, v11
	v_cndmask_b32_e64 v17, v32, v25, s[8:9]
	v_cndmask_b32_e64 v25, v25, v32, s[8:9]
	;; [unrolled: 1-line block ×3, first 2 shown]
	v_perm_b32 v23, v11, v11, s29
	v_cmp_gt_i16_sdwa s[8:9], sext(v11), sext(v28) src0_sel:BYTE_0 src1_sel:BYTE_0
	v_cndmask_b32_e64 v11, v11, v23, s[8:9]
	v_cndmask_b32_e64 v30, v20, v26, s[8:9]
	;; [unrolled: 1-line block ×3, first 2 shown]
	v_lshrrev_b32_e32 v23, 24, v11
	v_lshrrev_b32_e32 v26, 16, v11
	v_cndmask_b32_e64 v28, v16, v27, s[8:9]
	v_cndmask_b32_e64 v16, v27, v16, s[8:9]
	v_perm_b32 v27, v11, v11, s25
	v_cmp_gt_i16_sdwa s[8:9], sext(v26), sext(v23) src0_sel:BYTE_0 src1_sel:BYTE_0
	v_cndmask_b32_e64 v23, v10, v18, s[8:9]
	v_cndmask_b32_e64 v26, v15, v21, s[8:9]
	;; [unrolled: 1-line block ×5, first 2 shown]
	v_lshrrev_b32_e32 v11, 16, v14
	v_lshrrev_b32_e32 v21, 8, v14
	v_perm_b32 v27, v14, v14, s23
	v_cmp_gt_i16_sdwa s[8:9], sext(v21), sext(v11) src0_sel:BYTE_0 src1_sel:BYTE_0
	v_cndmask_b32_e64 v14, v14, v27, s[8:9]
	v_cndmask_b32_e64 v11, v22, v29, s[8:9]
	;; [unrolled: 1-line block ×3, first 2 shown]
	v_and_b32_sdwa v27, v14, s22 dst_sel:DWORD dst_unused:UNUSED_PAD src0_sel:WORD_1 src1_sel:DWORD
	v_lshlrev_b16_e32 v29, 8, v10
	v_or_b32_sdwa v27, v27, v29 dst_sel:WORD_1 dst_unused:UNUSED_PAD src0_sel:DWORD src1_sel:DWORD
	v_lshrrev_b32_e32 v29, 24, v14
	v_cndmask_b32_e64 v21, v25, v19, s[8:9]
	v_cndmask_b32_e64 v19, v19, v25, s[8:9]
	v_perm_b32 v25, v14, v10, s28
	v_cmp_gt_i16_sdwa s[8:9], sext(v29), sext(v10) src0_sel:BYTE_0 src1_sel:BYTE_0
	v_and_or_b32 v27, v14, s21, v27
	v_cndmask_b32_e64 v10, v10, v25, s[8:9]
	v_cndmask_b32_e64 v14, v14, v27, s[8:9]
	v_lshrrev_b32_e32 v25, 16, v10
	v_lshrrev_b32_e32 v27, 8, v10
	v_cndmask_b32_e64 v29, v24, v30, s[8:9]
	v_cndmask_b32_e64 v32, v17, v28, s[8:9]
	;; [unrolled: 1-line block ×4, first 2 shown]
	v_cmp_gt_i16_sdwa s[8:9], sext(v27), sext(v25) src0_sel:BYTE_0 src1_sel:BYTE_0
	v_perm_b32 v28, v10, v10, s23
	v_cndmask_b32_e64 v25, v20, v26, s[8:9]
	v_cndmask_b32_e64 v27, v16, v23, s[8:9]
	;; [unrolled: 1-line block ×4, first 2 shown]
	v_perm_b32 v20, 0, v14, s24
	v_lshrrev_b32_e32 v26, 8, v14
	v_cndmask_b32_e64 v10, v10, v28, s[8:9]
	v_and_or_b32 v20, v14, s30, v20
	v_cmp_gt_i16_sdwa s[8:9], sext(v14), sext(v26) src0_sel:BYTE_0 src1_sel:BYTE_0
	v_cndmask_b32_e64 v14, v14, v20, s[8:9]
	v_cndmask_b32_e64 v26, v19, v4, s[8:9]
	;; [unrolled: 1-line block ×3, first 2 shown]
	v_lshrrev_b32_e32 v19, 16, v14
	v_perm_b32 v20, 0, v19, s24
	v_cndmask_b32_e64 v28, v22, v5, s[8:9]
	v_cndmask_b32_e64 v5, v5, v22, s[8:9]
	v_lshrrev_b32_e32 v22, 24, v14
	v_lshlrev_b32_e32 v20, 16, v20
	v_and_or_b32 v20, v14, s21, v20
	v_cmp_gt_i16_sdwa s[8:9], sext(v19), sext(v22) src0_sel:BYTE_0 src1_sel:BYTE_0
	v_cndmask_b32_e64 v34, v14, v20, s[8:9]
	v_lshrrev_b32_e32 v14, 8, v10
	v_cndmask_b32_e64 v22, v32, v21, s[8:9]
	v_cndmask_b32_e64 v30, v29, v11, s[8:9]
	;; [unrolled: 1-line block ×4, first 2 shown]
	v_perm_b32 v11, v10, v10, s29
	v_cmp_gt_i16_sdwa s[8:9], sext(v10), sext(v14) src0_sel:BYTE_0 src1_sel:BYTE_0
	v_cndmask_b32_e64 v14, v10, v11, s[8:9]
	v_lshrrev_b32_e32 v10, 24, v14
	v_lshrrev_b32_e32 v11, 16, v14
	v_cndmask_b32_e64 v35, v17, v27, s[8:9]
	v_cndmask_b32_e64 v36, v24, v25, s[8:9]
	;; [unrolled: 1-line block ×4, first 2 shown]
	v_perm_b32 v17, v14, v14, s25
	v_cmp_gt_i16_sdwa s[8:9], sext(v11), sext(v10) src0_sel:BYTE_0 src1_sel:BYTE_0
	v_cndmask_b32_e64 v11, v23, v15, s[8:9]
	v_cndmask_b32_e64 v33, v15, v23, s[8:9]
	;; [unrolled: 1-line block ×3, first 2 shown]
	v_lshrrev_b32_e32 v14, 16, v34
	v_lshrrev_b32_e32 v15, 8, v34
	v_cndmask_b32_e64 v10, v16, v18, s[8:9]
	v_cndmask_b32_e64 v32, v18, v16, s[8:9]
	v_perm_b32 v18, v34, v34, s23
	v_cmp_gt_i16_sdwa s[8:9], sext(v15), sext(v14) src0_sel:BYTE_0 src1_sel:BYTE_0
	v_cndmask_b32_e64 v16, v19, v26, s[8:9]
	v_cndmask_b32_e64 v14, v26, v19, s[8:9]
	;; [unrolled: 1-line block ×3, first 2 shown]
	v_and_b32_sdwa v18, v26, s22 dst_sel:DWORD dst_unused:UNUSED_PAD src0_sel:WORD_1 src1_sel:DWORD
	v_lshlrev_b16_e32 v19, 8, v23
	v_or_b32_sdwa v18, v18, v19 dst_sel:WORD_1 dst_unused:UNUSED_PAD src0_sel:DWORD src1_sel:DWORD
	v_lshrrev_b32_e32 v19, 24, v26
	v_cndmask_b32_e64 v17, v29, v28, s[8:9]
	v_cndmask_b32_e64 v15, v28, v29, s[8:9]
	v_perm_b32 v27, v26, v23, s28
	v_and_or_b32 v28, v26, s21, v18
	v_cmp_gt_i16_sdwa s[8:9], sext(v19), sext(v23) src0_sel:BYTE_0 src1_sel:BYTE_0
	v_cndmask_b32_e64 v18, v22, v35, s[8:9]
	v_cndmask_b32_e64 v24, v35, v22, s[8:9]
	;; [unrolled: 1-line block ×4, first 2 shown]
	v_lshrrev_b64 v[26:27], 24, v[22:23]
	v_lshrrev_b32_e32 v37, 16, v23
	v_lshrrev_b32_e32 v38, 8, v23
	v_cndmask_b32_e64 v19, v30, v36, s[8:9]
	v_cndmask_b32_e64 v25, v36, v30, s[8:9]
	v_lshrrev_b32_e32 v36, 24, v23
	v_lshrrev_b32_e32 v27, 16, v22
	;; [unrolled: 1-line block ×3, first 2 shown]
	v_cmp_gt_i16_sdwa s[22:23], sext(v38), sext(v37) src0_sel:BYTE_0 src1_sel:BYTE_0
	v_pk_mov_b32 v[28:29], v[10:11], v[10:11] op_sel:[0,1]
	s_and_saveexec_b64 s[8:9], s[22:23]
; %bb.74:
	v_lshrrev_b32_e32 v36, 24, v23
	v_lshrrev_b32_e32 v37, 8, v23
	;; [unrolled: 1-line block ×5, first 2 shown]
	v_pk_mov_b32 v[28:29], v[20:21], v[20:21] op_sel:[0,1]
	v_pk_mov_b32 v[20:21], v[10:11], v[10:11] op_sel:[0,1]
; %bb.75:
	s_or_b64 exec, exec, s[8:9]
.LBB405_76:
	s_or_b64 exec, exec, s[12:13]
	v_and_b32_e32 v11, 0xfffffe00, v31
	v_sub_u32_e64 v31, s20, v11 clamp
	v_or_b32_e32 v39, 8, v1
	v_min_u32_e32 v48, v31, v39
	v_add_u32_e32 v39, 8, v48
	v_and_b32_e32 v50, 0x3f0, v1
	v_min_u32_e32 v49, v31, v39
	v_and_b32_e32 v39, 8, v1
	v_min_u32_e32 v51, v31, v39
	v_sub_u32_e32 v39, v48, v50
	v_sub_u32_e32 v52, v49, v48
	v_lshlrev_b32_e32 v10, 3, v11
	v_sub_u32_e64 v52, v51, v52 clamp
	v_min_u32_e32 v39, v51, v39
	v_add_u32_e32 v34, v11, v1
	v_lshl_add_u32 v35, v1, 3, v10
	v_cmp_lt_u32_e64 s[8:9], v52, v39
	ds_write_b8 v34, v22
	ds_write_b64 v35, v[4:5] offset:2048
	ds_write_b8 v34, v30 offset:1
	ds_write_b64 v35, v[14:15] offset:2056
	ds_write_b8 v34, v27 offset:2
	;; [unrolled: 2-line block ×7, first 2 shown]
	ds_write_b64 v35, v[32:33] offset:2104
	; wave barrier
	s_and_saveexec_b64 s[12:13], s[8:9]
	s_cbranch_execz .LBB405_80
; %bb.77:
	v_add_u32_e32 v53, v11, v50
	v_add3_u32 v54, v11, v48, v51
	s_mov_b64 s[20:21], 0
.LBB405_78:                             ; =>This Inner Loop Header: Depth=1
	v_add_u32_e32 v55, v39, v52
	v_lshrrev_b32_e32 v55, 1, v55
	v_add_u32_e32 v64, v53, v55
	v_xad_u32 v65, v55, -1, v54
	ds_read_i8 v64, v64
	ds_read_i8 v65, v65
	v_add_u32_e32 v66, 1, v55
	s_waitcnt lgkmcnt(0)
	v_cmp_gt_i16_e64 s[8:9], v64, v65
	v_cndmask_b32_e64 v39, v39, v55, s[8:9]
	v_cndmask_b32_e64 v52, v66, v52, s[8:9]
	v_cmp_ge_u32_e64 s[8:9], v52, v39
	s_or_b64 s[20:21], s[8:9], s[20:21]
	s_andn2_b64 exec, exec, s[20:21]
	s_cbranch_execnz .LBB405_78
; %bb.79:
	s_or_b64 exec, exec, s[20:21]
.LBB405_80:
	s_or_b64 exec, exec, s[12:13]
	v_add_u32_e32 v51, v48, v51
	v_add_u32_e32 v50, v52, v50
	v_sub_u32_e32 v51, v51, v52
	v_cmp_le_u32_e64 s[8:9], v50, v48
	v_cmp_le_u32_e64 s[12:13], v51, v49
	v_add_u32_e32 v39, 0x800, v35
	s_or_b64 s[8:9], s[8:9], s[12:13]
	s_and_saveexec_b64 s[38:39], s[8:9]
	s_cbranch_execz .LBB405_86
; %bb.81:
	v_cmp_lt_u32_e64 s[8:9], v50, v48
                                        ; implicit-def: $vgpr22
	s_and_saveexec_b64 s[12:13], s[8:9]
	s_cbranch_execz .LBB405_83
; %bb.82:
	v_add_u32_e32 v4, v11, v50
	ds_read_u8 v22, v4
.LBB405_83:
	s_or_b64 exec, exec, s[12:13]
	v_cmp_ge_u32_e64 s[20:21], v51, v49
	v_cmp_lt_u32_e64 s[12:13], v51, v49
                                        ; implicit-def: $vgpr23
	s_and_saveexec_b64 s[22:23], s[12:13]
	s_cbranch_execz .LBB405_85
; %bb.84:
	v_add_u32_e32 v4, v11, v51
	ds_read_u8 v23, v4
.LBB405_85:
	s_or_b64 exec, exec, s[22:23]
	s_waitcnt lgkmcnt(0)
	v_cmp_le_i16_sdwa s[12:13], sext(v22), sext(v23) src0_sel:BYTE_0 src1_sel:BYTE_0
	s_and_b64 s[8:9], s[8:9], s[12:13]
	s_or_b64 s[8:9], s[20:21], s[8:9]
	v_cndmask_b32_e64 v4, v51, v50, s[8:9]
	v_cndmask_b32_e64 v5, v49, v48, s[8:9]
	v_add_u32_e32 v14, 1, v4
	v_add_u32_e32 v5, -1, v5
	v_min_u32_e32 v5, v14, v5
	v_add_u32_e32 v5, v11, v5
	ds_read_u8 v5, v5
	v_cndmask_b32_e64 v15, v14, v51, s[8:9]
	v_cmp_ge_u32_e64 s[12:13], v15, v49
	v_lshl_add_u32 v4, v4, 3, v10
	s_waitcnt lgkmcnt(0)
	v_cndmask_b32_e64 v26, v5, v23, s[8:9]
	v_cndmask_b32_e64 v27, v22, v5, s[8:9]
	;; [unrolled: 1-line block ×3, first 2 shown]
	v_cmp_lt_u32_e64 s[20:21], v5, v48
	v_cmp_le_i16_sdwa s[22:23], sext(v27), sext(v26) src0_sel:BYTE_0 src1_sel:BYTE_0
	s_and_b64 s[20:21], s[20:21], s[22:23]
	s_or_b64 s[20:21], s[12:13], s[20:21]
	v_cndmask_b32_e64 v14, v15, v5, s[20:21]
	v_cndmask_b32_e64 v16, v49, v48, s[20:21]
	v_add_u32_e32 v17, 1, v14
	v_add_u32_e32 v16, -1, v16
	v_min_u32_e32 v16, v17, v16
	v_add_u32_e32 v16, v11, v16
	ds_read_u8 v16, v16
	v_cndmask_b32_e64 v5, v5, v17, s[20:21]
	v_cndmask_b32_e64 v15, v17, v15, s[20:21]
	v_cmp_lt_u32_e64 s[22:23], v5, v48
	v_cmp_ge_u32_e64 s[12:13], v15, v49
	s_waitcnt lgkmcnt(0)
	v_cndmask_b32_e64 v32, v16, v26, s[20:21]
	v_cndmask_b32_e64 v33, v27, v16, s[20:21]
	v_cmp_le_i16_sdwa s[24:25], sext(v33), sext(v32) src0_sel:BYTE_0 src1_sel:BYTE_0
	s_and_b64 s[22:23], s[22:23], s[24:25]
	s_or_b64 s[22:23], s[12:13], s[22:23]
	v_cndmask_b32_e64 v16, v15, v5, s[22:23]
	v_cndmask_b32_e64 v17, v49, v48, s[22:23]
	v_add_u32_e32 v18, 1, v16
	v_add_u32_e32 v17, -1, v17
	v_min_u32_e32 v17, v18, v17
	v_add_u32_e32 v17, v11, v17
	ds_read_u8 v17, v17
	v_lshl_add_u32 v14, v14, 3, v10
	v_lshl_add_u32 v16, v16, 3, v10
	v_cndmask_b32_e64 v22, v23, v22, s[8:9]
	s_waitcnt lgkmcnt(0)
	v_cndmask_b32_e64 v36, v17, v32, s[22:23]
	v_cndmask_b32_e64 v37, v33, v17, s[22:23]
	;; [unrolled: 1-line block ×4, first 2 shown]
	v_cmp_lt_u32_e64 s[24:25], v18, v48
	v_cmp_le_i16_sdwa s[28:29], sext(v37), sext(v36) src0_sel:BYTE_0 src1_sel:BYTE_0
	v_cmp_ge_u32_e64 s[12:13], v17, v49
	s_and_b64 s[24:25], s[24:25], s[28:29]
	s_or_b64 s[12:13], s[12:13], s[24:25]
	v_cndmask_b32_e64 v19, v17, v18, s[12:13]
	v_cndmask_b32_e64 v5, v49, v48, s[12:13]
	v_add_u32_e32 v20, 1, v19
	v_add_u32_e32 v5, -1, v5
	v_min_u32_e32 v5, v20, v5
	v_add_u32_e32 v5, v11, v5
	ds_read_u8 v21, v5
	ds_read_b64 v[4:5], v4 offset:2048
	ds_read_b64 v[14:15], v14 offset:2048
	s_waitcnt lgkmcnt(2)
	v_cndmask_b32_e64 v38, v21, v36, s[12:13]
	v_cndmask_b32_e64 v50, v37, v21, s[12:13]
	;; [unrolled: 1-line block ×4, first 2 shown]
	v_cmp_lt_u32_e64 s[28:29], v20, v48
	v_cmp_le_i16_sdwa s[30:31], sext(v50), sext(v38) src0_sel:BYTE_0 src1_sel:BYTE_0
	v_cmp_ge_u32_e64 s[24:25], v21, v49
	s_and_b64 s[28:29], s[28:29], s[30:31]
	s_or_b64 s[24:25], s[24:25], s[28:29]
	v_cndmask_b32_e64 v24, v21, v20, s[24:25]
	v_cndmask_b32_e64 v17, v49, v48, s[24:25]
	v_add_u32_e32 v25, 1, v24
	v_add_u32_e32 v17, -1, v17
	v_min_u32_e32 v17, v25, v17
	v_add_u32_e32 v17, v11, v17
	ds_read_u8 v28, v17
	ds_read_b64 v[16:17], v16 offset:2048
	v_cndmask_b32_e64 v29, v20, v25, s[24:25]
	v_cmp_lt_u32_e64 s[30:31], v29, v48
	v_lshl_add_u32 v18, v19, 3, v10
	ds_read_b64 v[18:19], v18 offset:2048
	s_waitcnt lgkmcnt(2)
	v_cndmask_b32_e64 v51, v28, v38, s[24:25]
	v_cndmask_b32_e64 v52, v50, v28, s[24:25]
	;; [unrolled: 1-line block ×3, first 2 shown]
	v_cmp_le_i16_sdwa s[34:35], sext(v52), sext(v51) src0_sel:BYTE_0 src1_sel:BYTE_0
	v_cmp_ge_u32_e64 s[28:29], v28, v49
	s_and_b64 s[30:31], s[30:31], s[34:35]
	s_or_b64 s[28:29], s[28:29], s[30:31]
	v_cndmask_b32_e64 v20, v28, v29, s[28:29]
	v_cndmask_b32_e64 v21, v49, v48, s[28:29]
	v_add_u32_e32 v30, 1, v20
	v_add_u32_e32 v21, -1, v21
	v_min_u32_e32 v21, v30, v21
	v_add_u32_e32 v21, v11, v21
	ds_read_u8 v53, v21
	v_cndmask_b32_e64 v64, v29, v30, s[28:29]
	v_cndmask_b32_e64 v55, v30, v28, s[28:29]
	v_cmp_lt_u32_e64 s[34:35], v64, v48
	v_cmp_ge_u32_e64 s[30:31], v55, v49
	s_waitcnt lgkmcnt(0)
	v_cndmask_b32_e64 v54, v53, v51, s[28:29]
	v_cndmask_b32_e64 v53, v52, v53, s[28:29]
	v_cmp_le_i16_sdwa s[40:41], sext(v53), sext(v54) src0_sel:BYTE_0 src1_sel:BYTE_0
	s_and_b64 s[34:35], s[34:35], s[40:41]
	s_or_b64 s[30:31], s[30:31], s[34:35]
	v_cndmask_b32_e64 v28, v55, v64, s[30:31]
	v_cndmask_b32_e64 v29, v49, v48, s[30:31]
	v_lshl_add_u32 v30, v28, 3, v10
	v_add_u32_e32 v65, 1, v28
	v_add_u32_e32 v28, -1, v29
	v_min_u32_e32 v28, v65, v28
	v_lshl_add_u32 v21, v24, 3, v10
	v_lshl_add_u32 v20, v20, 3, v10
	v_add_u32_e32 v66, v11, v28
	ds_read_b64 v[24:25], v21 offset:2048
	ds_read_b64 v[20:21], v20 offset:2048
	;; [unrolled: 1-line block ×3, first 2 shown]
	ds_read_u8 v66, v66
	v_cndmask_b32_e64 v30, v26, v27, s[20:21]
	v_cndmask_b32_e64 v27, v32, v33, s[22:23]
	;; [unrolled: 1-line block ×4, first 2 shown]
	s_waitcnt lgkmcnt(0)
	v_cndmask_b32_e64 v36, v66, v54, s[30:31]
	v_cndmask_b32_e64 v66, v53, v66, s[30:31]
	;; [unrolled: 1-line block ×3, first 2 shown]
	v_cmp_lt_u32_e64 s[12:13], v32, v48
	v_cmp_le_i16_sdwa s[20:21], sext(v66), sext(v36) src0_sel:BYTE_0 src1_sel:BYTE_0
	v_cmp_ge_u32_e64 s[8:9], v23, v49
	s_and_b64 s[12:13], s[12:13], s[20:21]
	s_or_b64 s[8:9], s[8:9], s[12:13]
	v_cndmask_b32_e64 v23, v23, v32, s[8:9]
	v_lshl_add_u32 v23, v23, 3, v10
	ds_read_b64 v[32:33], v23 offset:2048
	v_cndmask_b32_e64 v23, v38, v50, s[24:25]
	v_cndmask_b32_e64 v38, v51, v52, s[28:29]
	;; [unrolled: 1-line block ×4, first 2 shown]
.LBB405_86:
	s_or_b64 exec, exec, s[38:39]
	v_and_b32_e32 v50, 0x3e0, v1
	v_or_b32_e32 v48, 16, v50
	v_min_u32_e32 v48, v31, v48
	v_add_u32_e32 v49, 16, v48
	v_min_u32_e32 v49, v31, v49
	v_and_b32_e32 v51, 24, v1
	v_min_u32_e32 v51, v31, v51
	v_sub_u32_e32 v53, v48, v50
	v_sub_u32_e32 v52, v49, v48
	v_sub_u32_e64 v52, v51, v52 clamp
	v_min_u32_e32 v53, v51, v53
	v_cmp_lt_u32_e64 s[8:9], v52, v53
	; wave barrier
	ds_write_b8 v34, v22
	ds_write_b64 v35, v[4:5] offset:2048
	ds_write_b8 v34, v30 offset:1
	ds_write_b64 v39, v[14:15] offset:8
	ds_write_b8 v34, v27 offset:2
	;; [unrolled: 2-line block ×7, first 2 shown]
	s_waitcnt lgkmcnt(14)
	ds_write_b64 v39, v[32:33] offset:56
	; wave barrier
	s_and_saveexec_b64 s[12:13], s[8:9]
	s_cbranch_execz .LBB405_90
; %bb.87:
	v_add_u32_e32 v54, v11, v50
	v_add3_u32 v55, v11, v48, v51
	s_mov_b64 s[20:21], 0
.LBB405_88:                             ; =>This Inner Loop Header: Depth=1
	v_add_u32_e32 v64, v53, v52
	v_lshrrev_b32_e32 v64, 1, v64
	v_add_u32_e32 v65, v54, v64
	v_xad_u32 v66, v64, -1, v55
	ds_read_i8 v65, v65
	ds_read_i8 v66, v66
	v_add_u32_e32 v67, 1, v64
	s_waitcnt lgkmcnt(0)
	v_cmp_gt_i16_e64 s[8:9], v65, v66
	v_cndmask_b32_e64 v53, v53, v64, s[8:9]
	v_cndmask_b32_e64 v52, v67, v52, s[8:9]
	v_cmp_ge_u32_e64 s[8:9], v52, v53
	s_or_b64 s[20:21], s[8:9], s[20:21]
	s_andn2_b64 exec, exec, s[20:21]
	s_cbranch_execnz .LBB405_88
; %bb.89:
	s_or_b64 exec, exec, s[20:21]
.LBB405_90:
	s_or_b64 exec, exec, s[12:13]
	v_add_u32_e32 v51, v48, v51
	v_add_u32_e32 v50, v52, v50
	v_sub_u32_e32 v51, v51, v52
	v_cmp_le_u32_e64 s[8:9], v50, v48
	v_cmp_le_u32_e64 s[12:13], v51, v49
	s_or_b64 s[8:9], s[8:9], s[12:13]
	s_and_saveexec_b64 s[38:39], s[8:9]
	s_cbranch_execz .LBB405_96
; %bb.91:
	v_cmp_lt_u32_e64 s[8:9], v50, v48
                                        ; implicit-def: $vgpr22
	s_and_saveexec_b64 s[12:13], s[8:9]
	s_cbranch_execz .LBB405_93
; %bb.92:
	v_add_u32_e32 v4, v11, v50
	ds_read_u8 v22, v4
.LBB405_93:
	s_or_b64 exec, exec, s[12:13]
	v_cmp_ge_u32_e64 s[20:21], v51, v49
	v_cmp_lt_u32_e64 s[12:13], v51, v49
                                        ; implicit-def: $vgpr23
	s_and_saveexec_b64 s[22:23], s[12:13]
	s_cbranch_execz .LBB405_95
; %bb.94:
	v_add_u32_e32 v4, v11, v51
	ds_read_u8 v23, v4
.LBB405_95:
	s_or_b64 exec, exec, s[22:23]
	s_waitcnt lgkmcnt(0)
	v_cmp_le_i16_sdwa s[12:13], sext(v22), sext(v23) src0_sel:BYTE_0 src1_sel:BYTE_0
	s_and_b64 s[8:9], s[8:9], s[12:13]
	s_or_b64 s[8:9], s[20:21], s[8:9]
	v_cndmask_b32_e64 v4, v51, v50, s[8:9]
	v_cndmask_b32_e64 v5, v49, v48, s[8:9]
	v_add_u32_e32 v14, 1, v4
	v_add_u32_e32 v5, -1, v5
	v_min_u32_e32 v5, v14, v5
	v_add_u32_e32 v5, v11, v5
	ds_read_u8 v5, v5
	v_cndmask_b32_e64 v15, v14, v51, s[8:9]
	v_cmp_ge_u32_e64 s[12:13], v15, v49
	v_lshl_add_u32 v4, v4, 3, v10
	s_waitcnt lgkmcnt(0)
	v_cndmask_b32_e64 v26, v5, v23, s[8:9]
	v_cndmask_b32_e64 v27, v22, v5, s[8:9]
	;; [unrolled: 1-line block ×3, first 2 shown]
	v_cmp_lt_u32_e64 s[20:21], v5, v48
	v_cmp_le_i16_sdwa s[22:23], sext(v27), sext(v26) src0_sel:BYTE_0 src1_sel:BYTE_0
	s_and_b64 s[20:21], s[20:21], s[22:23]
	s_or_b64 s[20:21], s[12:13], s[20:21]
	v_cndmask_b32_e64 v14, v15, v5, s[20:21]
	v_cndmask_b32_e64 v16, v49, v48, s[20:21]
	v_add_u32_e32 v17, 1, v14
	v_add_u32_e32 v16, -1, v16
	v_min_u32_e32 v16, v17, v16
	v_add_u32_e32 v16, v11, v16
	ds_read_u8 v16, v16
	v_cndmask_b32_e64 v5, v5, v17, s[20:21]
	v_cndmask_b32_e64 v15, v17, v15, s[20:21]
	v_cmp_lt_u32_e64 s[22:23], v5, v48
	v_cmp_ge_u32_e64 s[12:13], v15, v49
	s_waitcnt lgkmcnt(0)
	v_cndmask_b32_e64 v32, v16, v26, s[20:21]
	v_cndmask_b32_e64 v33, v27, v16, s[20:21]
	v_cmp_le_i16_sdwa s[24:25], sext(v33), sext(v32) src0_sel:BYTE_0 src1_sel:BYTE_0
	s_and_b64 s[22:23], s[22:23], s[24:25]
	s_or_b64 s[22:23], s[12:13], s[22:23]
	v_cndmask_b32_e64 v16, v15, v5, s[22:23]
	v_cndmask_b32_e64 v17, v49, v48, s[22:23]
	v_add_u32_e32 v18, 1, v16
	v_add_u32_e32 v17, -1, v17
	v_min_u32_e32 v17, v18, v17
	v_add_u32_e32 v17, v11, v17
	ds_read_u8 v17, v17
	v_lshl_add_u32 v14, v14, 3, v10
	v_lshl_add_u32 v16, v16, 3, v10
	v_cndmask_b32_e64 v22, v23, v22, s[8:9]
	s_waitcnt lgkmcnt(0)
	v_cndmask_b32_e64 v36, v17, v32, s[22:23]
	v_cndmask_b32_e64 v37, v33, v17, s[22:23]
	;; [unrolled: 1-line block ×4, first 2 shown]
	v_cmp_lt_u32_e64 s[24:25], v18, v48
	v_cmp_le_i16_sdwa s[28:29], sext(v37), sext(v36) src0_sel:BYTE_0 src1_sel:BYTE_0
	v_cmp_ge_u32_e64 s[12:13], v17, v49
	s_and_b64 s[24:25], s[24:25], s[28:29]
	s_or_b64 s[12:13], s[12:13], s[24:25]
	v_cndmask_b32_e64 v19, v17, v18, s[12:13]
	v_cndmask_b32_e64 v5, v49, v48, s[12:13]
	v_add_u32_e32 v20, 1, v19
	v_add_u32_e32 v5, -1, v5
	v_min_u32_e32 v5, v20, v5
	v_add_u32_e32 v5, v11, v5
	ds_read_u8 v21, v5
	ds_read_b64 v[4:5], v4 offset:2048
	ds_read_b64 v[14:15], v14 offset:2048
	s_waitcnt lgkmcnt(2)
	v_cndmask_b32_e64 v38, v21, v36, s[12:13]
	v_cndmask_b32_e64 v50, v37, v21, s[12:13]
	v_cndmask_b32_e64 v21, v20, v17, s[12:13]
	v_cndmask_b32_e64 v20, v18, v20, s[12:13]
	v_cmp_lt_u32_e64 s[28:29], v20, v48
	v_cmp_le_i16_sdwa s[30:31], sext(v50), sext(v38) src0_sel:BYTE_0 src1_sel:BYTE_0
	v_cmp_ge_u32_e64 s[24:25], v21, v49
	s_and_b64 s[28:29], s[28:29], s[30:31]
	s_or_b64 s[24:25], s[24:25], s[28:29]
	v_cndmask_b32_e64 v24, v21, v20, s[24:25]
	v_cndmask_b32_e64 v17, v49, v48, s[24:25]
	v_add_u32_e32 v25, 1, v24
	v_add_u32_e32 v17, -1, v17
	v_min_u32_e32 v17, v25, v17
	v_add_u32_e32 v17, v11, v17
	ds_read_u8 v28, v17
	ds_read_b64 v[16:17], v16 offset:2048
	v_cndmask_b32_e64 v29, v20, v25, s[24:25]
	v_cmp_lt_u32_e64 s[30:31], v29, v48
	v_lshl_add_u32 v18, v19, 3, v10
	ds_read_b64 v[18:19], v18 offset:2048
	s_waitcnt lgkmcnt(2)
	v_cndmask_b32_e64 v51, v28, v38, s[24:25]
	v_cndmask_b32_e64 v52, v50, v28, s[24:25]
	;; [unrolled: 1-line block ×3, first 2 shown]
	v_cmp_le_i16_sdwa s[34:35], sext(v52), sext(v51) src0_sel:BYTE_0 src1_sel:BYTE_0
	v_cmp_ge_u32_e64 s[28:29], v28, v49
	s_and_b64 s[30:31], s[30:31], s[34:35]
	s_or_b64 s[28:29], s[28:29], s[30:31]
	v_cndmask_b32_e64 v20, v28, v29, s[28:29]
	v_cndmask_b32_e64 v21, v49, v48, s[28:29]
	v_add_u32_e32 v30, 1, v20
	v_add_u32_e32 v21, -1, v21
	v_min_u32_e32 v21, v30, v21
	v_add_u32_e32 v21, v11, v21
	ds_read_u8 v53, v21
	v_cndmask_b32_e64 v64, v29, v30, s[28:29]
	v_cndmask_b32_e64 v55, v30, v28, s[28:29]
	v_cmp_lt_u32_e64 s[34:35], v64, v48
	v_cmp_ge_u32_e64 s[30:31], v55, v49
	s_waitcnt lgkmcnt(0)
	v_cndmask_b32_e64 v54, v53, v51, s[28:29]
	v_cndmask_b32_e64 v53, v52, v53, s[28:29]
	v_cmp_le_i16_sdwa s[40:41], sext(v53), sext(v54) src0_sel:BYTE_0 src1_sel:BYTE_0
	s_and_b64 s[34:35], s[34:35], s[40:41]
	s_or_b64 s[30:31], s[30:31], s[34:35]
	v_cndmask_b32_e64 v28, v55, v64, s[30:31]
	v_cndmask_b32_e64 v29, v49, v48, s[30:31]
	v_lshl_add_u32 v30, v28, 3, v10
	v_add_u32_e32 v65, 1, v28
	v_add_u32_e32 v28, -1, v29
	v_min_u32_e32 v28, v65, v28
	v_lshl_add_u32 v21, v24, 3, v10
	v_lshl_add_u32 v20, v20, 3, v10
	v_add_u32_e32 v66, v11, v28
	ds_read_b64 v[24:25], v21 offset:2048
	ds_read_b64 v[20:21], v20 offset:2048
	;; [unrolled: 1-line block ×3, first 2 shown]
	ds_read_u8 v66, v66
	v_cndmask_b32_e64 v30, v26, v27, s[20:21]
	v_cndmask_b32_e64 v27, v32, v33, s[22:23]
	;; [unrolled: 1-line block ×4, first 2 shown]
	s_waitcnt lgkmcnt(0)
	v_cndmask_b32_e64 v36, v66, v54, s[30:31]
	v_cndmask_b32_e64 v66, v53, v66, s[30:31]
	v_cndmask_b32_e64 v23, v65, v55, s[30:31]
	v_cmp_lt_u32_e64 s[12:13], v32, v48
	v_cmp_le_i16_sdwa s[20:21], sext(v66), sext(v36) src0_sel:BYTE_0 src1_sel:BYTE_0
	v_cmp_ge_u32_e64 s[8:9], v23, v49
	s_and_b64 s[12:13], s[12:13], s[20:21]
	s_or_b64 s[8:9], s[8:9], s[12:13]
	v_cndmask_b32_e64 v23, v23, v32, s[8:9]
	v_lshl_add_u32 v23, v23, 3, v10
	ds_read_b64 v[32:33], v23 offset:2048
	v_cndmask_b32_e64 v23, v38, v50, s[24:25]
	v_cndmask_b32_e64 v38, v51, v52, s[28:29]
	;; [unrolled: 1-line block ×4, first 2 shown]
.LBB405_96:
	s_or_b64 exec, exec, s[38:39]
	v_and_b32_e32 v50, 0x3c0, v1
	v_or_b32_e32 v48, 32, v50
	v_min_u32_e32 v48, v31, v48
	v_add_u32_e32 v49, 32, v48
	v_min_u32_e32 v49, v31, v49
	v_and_b32_e32 v51, 56, v1
	v_min_u32_e32 v51, v31, v51
	v_sub_u32_e32 v53, v48, v50
	v_sub_u32_e32 v52, v49, v48
	v_sub_u32_e64 v52, v51, v52 clamp
	v_min_u32_e32 v53, v51, v53
	v_cmp_lt_u32_e64 s[8:9], v52, v53
	; wave barrier
	ds_write_b8 v34, v22
	ds_write_b64 v35, v[4:5] offset:2048
	ds_write_b8 v34, v30 offset:1
	ds_write_b64 v39, v[14:15] offset:8
	ds_write_b8 v34, v27 offset:2
	;; [unrolled: 2-line block ×7, first 2 shown]
	s_waitcnt lgkmcnt(14)
	ds_write_b64 v39, v[32:33] offset:56
	; wave barrier
	s_and_saveexec_b64 s[12:13], s[8:9]
	s_cbranch_execz .LBB405_100
; %bb.97:
	v_add_u32_e32 v54, v11, v50
	v_add3_u32 v55, v11, v48, v51
	s_mov_b64 s[20:21], 0
.LBB405_98:                             ; =>This Inner Loop Header: Depth=1
	v_add_u32_e32 v64, v53, v52
	v_lshrrev_b32_e32 v64, 1, v64
	v_add_u32_e32 v65, v54, v64
	v_xad_u32 v66, v64, -1, v55
	ds_read_i8 v65, v65
	ds_read_i8 v66, v66
	v_add_u32_e32 v67, 1, v64
	s_waitcnt lgkmcnt(0)
	v_cmp_gt_i16_e64 s[8:9], v65, v66
	v_cndmask_b32_e64 v53, v53, v64, s[8:9]
	v_cndmask_b32_e64 v52, v67, v52, s[8:9]
	v_cmp_ge_u32_e64 s[8:9], v52, v53
	s_or_b64 s[20:21], s[8:9], s[20:21]
	s_andn2_b64 exec, exec, s[20:21]
	s_cbranch_execnz .LBB405_98
; %bb.99:
	s_or_b64 exec, exec, s[20:21]
.LBB405_100:
	s_or_b64 exec, exec, s[12:13]
	v_add_u32_e32 v51, v48, v51
	v_add_u32_e32 v50, v52, v50
	v_sub_u32_e32 v51, v51, v52
	v_cmp_le_u32_e64 s[8:9], v50, v48
	v_cmp_le_u32_e64 s[12:13], v51, v49
	s_or_b64 s[8:9], s[8:9], s[12:13]
	s_and_saveexec_b64 s[38:39], s[8:9]
	s_cbranch_execz .LBB405_106
; %bb.101:
	v_cmp_lt_u32_e64 s[8:9], v50, v48
                                        ; implicit-def: $vgpr22
	s_and_saveexec_b64 s[12:13], s[8:9]
	s_cbranch_execz .LBB405_103
; %bb.102:
	v_add_u32_e32 v4, v11, v50
	ds_read_u8 v22, v4
.LBB405_103:
	s_or_b64 exec, exec, s[12:13]
	v_cmp_ge_u32_e64 s[20:21], v51, v49
	v_cmp_lt_u32_e64 s[12:13], v51, v49
                                        ; implicit-def: $vgpr23
	s_and_saveexec_b64 s[22:23], s[12:13]
	s_cbranch_execz .LBB405_105
; %bb.104:
	v_add_u32_e32 v4, v11, v51
	ds_read_u8 v23, v4
.LBB405_105:
	s_or_b64 exec, exec, s[22:23]
	s_waitcnt lgkmcnt(0)
	v_cmp_le_i16_sdwa s[12:13], sext(v22), sext(v23) src0_sel:BYTE_0 src1_sel:BYTE_0
	s_and_b64 s[8:9], s[8:9], s[12:13]
	s_or_b64 s[8:9], s[20:21], s[8:9]
	v_cndmask_b32_e64 v4, v51, v50, s[8:9]
	v_cndmask_b32_e64 v5, v49, v48, s[8:9]
	v_add_u32_e32 v14, 1, v4
	v_add_u32_e32 v5, -1, v5
	v_min_u32_e32 v5, v14, v5
	v_add_u32_e32 v5, v11, v5
	ds_read_u8 v5, v5
	v_cndmask_b32_e64 v15, v14, v51, s[8:9]
	v_cmp_ge_u32_e64 s[12:13], v15, v49
	v_lshl_add_u32 v4, v4, 3, v10
	s_waitcnt lgkmcnt(0)
	v_cndmask_b32_e64 v26, v5, v23, s[8:9]
	v_cndmask_b32_e64 v27, v22, v5, s[8:9]
	v_cndmask_b32_e64 v5, v50, v14, s[8:9]
	v_cmp_lt_u32_e64 s[20:21], v5, v48
	v_cmp_le_i16_sdwa s[22:23], sext(v27), sext(v26) src0_sel:BYTE_0 src1_sel:BYTE_0
	s_and_b64 s[20:21], s[20:21], s[22:23]
	s_or_b64 s[20:21], s[12:13], s[20:21]
	v_cndmask_b32_e64 v14, v15, v5, s[20:21]
	v_cndmask_b32_e64 v16, v49, v48, s[20:21]
	v_add_u32_e32 v17, 1, v14
	v_add_u32_e32 v16, -1, v16
	v_min_u32_e32 v16, v17, v16
	v_add_u32_e32 v16, v11, v16
	ds_read_u8 v16, v16
	v_cndmask_b32_e64 v5, v5, v17, s[20:21]
	v_cndmask_b32_e64 v15, v17, v15, s[20:21]
	v_cmp_lt_u32_e64 s[22:23], v5, v48
	v_cmp_ge_u32_e64 s[12:13], v15, v49
	s_waitcnt lgkmcnt(0)
	v_cndmask_b32_e64 v32, v16, v26, s[20:21]
	v_cndmask_b32_e64 v33, v27, v16, s[20:21]
	v_cmp_le_i16_sdwa s[24:25], sext(v33), sext(v32) src0_sel:BYTE_0 src1_sel:BYTE_0
	s_and_b64 s[22:23], s[22:23], s[24:25]
	s_or_b64 s[22:23], s[12:13], s[22:23]
	v_cndmask_b32_e64 v16, v15, v5, s[22:23]
	v_cndmask_b32_e64 v17, v49, v48, s[22:23]
	v_add_u32_e32 v18, 1, v16
	v_add_u32_e32 v17, -1, v17
	v_min_u32_e32 v17, v18, v17
	v_add_u32_e32 v17, v11, v17
	ds_read_u8 v17, v17
	v_lshl_add_u32 v14, v14, 3, v10
	v_lshl_add_u32 v16, v16, 3, v10
	v_cndmask_b32_e64 v22, v23, v22, s[8:9]
	s_waitcnt lgkmcnt(0)
	v_cndmask_b32_e64 v36, v17, v32, s[22:23]
	v_cndmask_b32_e64 v37, v33, v17, s[22:23]
	;; [unrolled: 1-line block ×4, first 2 shown]
	v_cmp_lt_u32_e64 s[24:25], v18, v48
	v_cmp_le_i16_sdwa s[28:29], sext(v37), sext(v36) src0_sel:BYTE_0 src1_sel:BYTE_0
	v_cmp_ge_u32_e64 s[12:13], v17, v49
	s_and_b64 s[24:25], s[24:25], s[28:29]
	s_or_b64 s[12:13], s[12:13], s[24:25]
	v_cndmask_b32_e64 v19, v17, v18, s[12:13]
	v_cndmask_b32_e64 v5, v49, v48, s[12:13]
	v_add_u32_e32 v20, 1, v19
	v_add_u32_e32 v5, -1, v5
	v_min_u32_e32 v5, v20, v5
	v_add_u32_e32 v5, v11, v5
	ds_read_u8 v21, v5
	ds_read_b64 v[4:5], v4 offset:2048
	ds_read_b64 v[14:15], v14 offset:2048
	s_waitcnt lgkmcnt(2)
	v_cndmask_b32_e64 v38, v21, v36, s[12:13]
	v_cndmask_b32_e64 v50, v37, v21, s[12:13]
	;; [unrolled: 1-line block ×4, first 2 shown]
	v_cmp_lt_u32_e64 s[28:29], v20, v48
	v_cmp_le_i16_sdwa s[30:31], sext(v50), sext(v38) src0_sel:BYTE_0 src1_sel:BYTE_0
	v_cmp_ge_u32_e64 s[24:25], v21, v49
	s_and_b64 s[28:29], s[28:29], s[30:31]
	s_or_b64 s[24:25], s[24:25], s[28:29]
	v_cndmask_b32_e64 v24, v21, v20, s[24:25]
	v_cndmask_b32_e64 v17, v49, v48, s[24:25]
	v_add_u32_e32 v25, 1, v24
	v_add_u32_e32 v17, -1, v17
	v_min_u32_e32 v17, v25, v17
	v_add_u32_e32 v17, v11, v17
	ds_read_u8 v28, v17
	ds_read_b64 v[16:17], v16 offset:2048
	v_cndmask_b32_e64 v29, v20, v25, s[24:25]
	v_cmp_lt_u32_e64 s[30:31], v29, v48
	v_lshl_add_u32 v18, v19, 3, v10
	ds_read_b64 v[18:19], v18 offset:2048
	s_waitcnt lgkmcnt(2)
	v_cndmask_b32_e64 v51, v28, v38, s[24:25]
	v_cndmask_b32_e64 v52, v50, v28, s[24:25]
	;; [unrolled: 1-line block ×3, first 2 shown]
	v_cmp_le_i16_sdwa s[34:35], sext(v52), sext(v51) src0_sel:BYTE_0 src1_sel:BYTE_0
	v_cmp_ge_u32_e64 s[28:29], v28, v49
	s_and_b64 s[30:31], s[30:31], s[34:35]
	s_or_b64 s[28:29], s[28:29], s[30:31]
	v_cndmask_b32_e64 v20, v28, v29, s[28:29]
	v_cndmask_b32_e64 v21, v49, v48, s[28:29]
	v_add_u32_e32 v30, 1, v20
	v_add_u32_e32 v21, -1, v21
	v_min_u32_e32 v21, v30, v21
	v_add_u32_e32 v21, v11, v21
	ds_read_u8 v53, v21
	v_cndmask_b32_e64 v64, v29, v30, s[28:29]
	v_cndmask_b32_e64 v55, v30, v28, s[28:29]
	v_cmp_lt_u32_e64 s[34:35], v64, v48
	v_cmp_ge_u32_e64 s[30:31], v55, v49
	s_waitcnt lgkmcnt(0)
	v_cndmask_b32_e64 v54, v53, v51, s[28:29]
	v_cndmask_b32_e64 v53, v52, v53, s[28:29]
	v_cmp_le_i16_sdwa s[40:41], sext(v53), sext(v54) src0_sel:BYTE_0 src1_sel:BYTE_0
	s_and_b64 s[34:35], s[34:35], s[40:41]
	s_or_b64 s[30:31], s[30:31], s[34:35]
	v_cndmask_b32_e64 v28, v55, v64, s[30:31]
	v_cndmask_b32_e64 v29, v49, v48, s[30:31]
	v_lshl_add_u32 v30, v28, 3, v10
	v_add_u32_e32 v65, 1, v28
	v_add_u32_e32 v28, -1, v29
	v_min_u32_e32 v28, v65, v28
	v_lshl_add_u32 v21, v24, 3, v10
	v_lshl_add_u32 v20, v20, 3, v10
	v_add_u32_e32 v66, v11, v28
	ds_read_b64 v[24:25], v21 offset:2048
	ds_read_b64 v[20:21], v20 offset:2048
	;; [unrolled: 1-line block ×3, first 2 shown]
	ds_read_u8 v66, v66
	v_cndmask_b32_e64 v30, v26, v27, s[20:21]
	v_cndmask_b32_e64 v27, v32, v33, s[22:23]
	;; [unrolled: 1-line block ×4, first 2 shown]
	s_waitcnt lgkmcnt(0)
	v_cndmask_b32_e64 v36, v66, v54, s[30:31]
	v_cndmask_b32_e64 v66, v53, v66, s[30:31]
	;; [unrolled: 1-line block ×3, first 2 shown]
	v_cmp_lt_u32_e64 s[12:13], v32, v48
	v_cmp_le_i16_sdwa s[20:21], sext(v66), sext(v36) src0_sel:BYTE_0 src1_sel:BYTE_0
	v_cmp_ge_u32_e64 s[8:9], v23, v49
	s_and_b64 s[12:13], s[12:13], s[20:21]
	s_or_b64 s[8:9], s[8:9], s[12:13]
	v_cndmask_b32_e64 v23, v23, v32, s[8:9]
	v_lshl_add_u32 v23, v23, 3, v10
	ds_read_b64 v[32:33], v23 offset:2048
	v_cndmask_b32_e64 v23, v38, v50, s[24:25]
	v_cndmask_b32_e64 v38, v51, v52, s[28:29]
	;; [unrolled: 1-line block ×4, first 2 shown]
.LBB405_106:
	s_or_b64 exec, exec, s[38:39]
	; wave barrier
	ds_write_b8 v34, v22
	ds_write_b64 v35, v[4:5] offset:2048
	ds_write_b8 v34, v30 offset:1
	ds_write_b64 v39, v[14:15] offset:8
	ds_write_b8 v34, v27 offset:2
	;; [unrolled: 2-line block ×7, first 2 shown]
	s_waitcnt lgkmcnt(14)
	ds_write_b64 v39, v[32:33] offset:56
	v_and_b32_e32 v35, 0x380, v1
	v_or_b32_e32 v1, 64, v35
	v_min_u32_e32 v1, v31, v1
	v_add_u32_e32 v34, 64, v1
	v_min_u32_e32 v34, v31, v34
	v_min_u32_e32 v39, v31, v0
	v_sub_u32_e32 v31, v1, v35
	v_sub_u32_e32 v48, v34, v1
	v_sub_u32_e64 v48, v39, v48 clamp
	v_min_u32_e32 v31, v39, v31
	v_cmp_lt_u32_e64 s[8:9], v48, v31
	; wave barrier
	s_and_saveexec_b64 s[12:13], s[8:9]
	s_cbranch_execz .LBB405_110
; %bb.107:
	v_add_u32_e32 v49, v11, v35
	v_add3_u32 v50, v11, v1, v39
	s_mov_b64 s[20:21], 0
.LBB405_108:                            ; =>This Inner Loop Header: Depth=1
	v_add_u32_e32 v51, v31, v48
	v_lshrrev_b32_e32 v51, 1, v51
	v_add_u32_e32 v52, v49, v51
	v_xad_u32 v53, v51, -1, v50
	ds_read_i8 v52, v52
	ds_read_i8 v53, v53
	v_add_u32_e32 v54, 1, v51
	s_waitcnt lgkmcnt(0)
	v_cmp_gt_i16_e64 s[8:9], v52, v53
	v_cndmask_b32_e64 v31, v31, v51, s[8:9]
	v_cndmask_b32_e64 v48, v54, v48, s[8:9]
	v_cmp_ge_u32_e64 s[8:9], v48, v31
	s_or_b64 s[20:21], s[8:9], s[20:21]
	s_andn2_b64 exec, exec, s[20:21]
	s_cbranch_execnz .LBB405_108
; %bb.109:
	s_or_b64 exec, exec, s[20:21]
.LBB405_110:
	s_or_b64 exec, exec, s[12:13]
	v_add_u32_e32 v31, v48, v35
	v_add_u32_e32 v35, v1, v39
	v_sub_u32_e32 v35, v35, v48
	v_cmp_le_u32_e64 s[8:9], v31, v1
	v_cmp_le_u32_e64 s[12:13], v35, v34
	s_or_b64 s[8:9], s[8:9], s[12:13]
	s_and_saveexec_b64 s[38:39], s[8:9]
	s_cbranch_execz .LBB405_116
; %bb.111:
	v_cmp_lt_u32_e64 s[8:9], v31, v1
                                        ; implicit-def: $vgpr22
	s_and_saveexec_b64 s[12:13], s[8:9]
	s_cbranch_execz .LBB405_113
; %bb.112:
	v_add_u32_e32 v4, v11, v31
	ds_read_u8 v22, v4
.LBB405_113:
	s_or_b64 exec, exec, s[12:13]
	v_cmp_ge_u32_e64 s[20:21], v35, v34
	v_cmp_lt_u32_e64 s[12:13], v35, v34
                                        ; implicit-def: $vgpr23
	s_and_saveexec_b64 s[22:23], s[12:13]
	s_cbranch_execz .LBB405_115
; %bb.114:
	v_add_u32_e32 v4, v11, v35
	ds_read_u8 v23, v4
.LBB405_115:
	s_or_b64 exec, exec, s[22:23]
	s_waitcnt lgkmcnt(0)
	v_cmp_le_i16_sdwa s[12:13], sext(v22), sext(v23) src0_sel:BYTE_0 src1_sel:BYTE_0
	s_and_b64 s[8:9], s[8:9], s[12:13]
	s_or_b64 s[8:9], s[20:21], s[8:9]
	v_cndmask_b32_e64 v4, v35, v31, s[8:9]
	v_cndmask_b32_e64 v5, v34, v1, s[8:9]
	v_add_u32_e32 v14, 1, v4
	v_add_u32_e32 v5, -1, v5
	v_min_u32_e32 v5, v14, v5
	v_add_u32_e32 v5, v11, v5
	ds_read_u8 v5, v5
	v_cndmask_b32_e64 v15, v14, v35, s[8:9]
	v_cmp_ge_u32_e64 s[12:13], v15, v34
	v_lshl_add_u32 v4, v4, 3, v10
	s_waitcnt lgkmcnt(0)
	v_cndmask_b32_e64 v26, v5, v23, s[8:9]
	v_cndmask_b32_e64 v27, v22, v5, s[8:9]
	;; [unrolled: 1-line block ×3, first 2 shown]
	v_cmp_lt_u32_e64 s[20:21], v5, v1
	v_cmp_le_i16_sdwa s[22:23], sext(v27), sext(v26) src0_sel:BYTE_0 src1_sel:BYTE_0
	s_and_b64 s[20:21], s[20:21], s[22:23]
	s_or_b64 s[20:21], s[12:13], s[20:21]
	v_cndmask_b32_e64 v14, v15, v5, s[20:21]
	v_cndmask_b32_e64 v16, v34, v1, s[20:21]
	v_add_u32_e32 v17, 1, v14
	v_add_u32_e32 v16, -1, v16
	v_min_u32_e32 v16, v17, v16
	v_add_u32_e32 v16, v11, v16
	ds_read_u8 v16, v16
	v_cndmask_b32_e64 v5, v5, v17, s[20:21]
	v_cndmask_b32_e64 v15, v17, v15, s[20:21]
	v_cmp_lt_u32_e64 s[22:23], v5, v1
	v_cmp_ge_u32_e64 s[12:13], v15, v34
	s_waitcnt lgkmcnt(0)
	v_cndmask_b32_e64 v31, v16, v26, s[20:21]
	v_cndmask_b32_e64 v32, v27, v16, s[20:21]
	v_cmp_le_i16_sdwa s[24:25], sext(v32), sext(v31) src0_sel:BYTE_0 src1_sel:BYTE_0
	s_and_b64 s[22:23], s[22:23], s[24:25]
	s_or_b64 s[22:23], s[12:13], s[22:23]
	v_cndmask_b32_e64 v16, v15, v5, s[22:23]
	v_cndmask_b32_e64 v17, v34, v1, s[22:23]
	v_add_u32_e32 v18, 1, v16
	v_add_u32_e32 v17, -1, v17
	v_min_u32_e32 v17, v18, v17
	v_add_u32_e32 v17, v11, v17
	ds_read_u8 v17, v17
	v_lshl_add_u32 v14, v14, 3, v10
	v_lshl_add_u32 v16, v16, 3, v10
	v_cndmask_b32_e64 v22, v23, v22, s[8:9]
	s_waitcnt lgkmcnt(0)
	v_cndmask_b32_e64 v33, v17, v31, s[22:23]
	v_cndmask_b32_e64 v35, v32, v17, s[22:23]
	;; [unrolled: 1-line block ×4, first 2 shown]
	v_cmp_lt_u32_e64 s[24:25], v18, v1
	v_cmp_le_i16_sdwa s[28:29], sext(v35), sext(v33) src0_sel:BYTE_0 src1_sel:BYTE_0
	v_cmp_ge_u32_e64 s[12:13], v17, v34
	s_and_b64 s[24:25], s[24:25], s[28:29]
	s_or_b64 s[12:13], s[12:13], s[24:25]
	v_cndmask_b32_e64 v19, v17, v18, s[12:13]
	v_cndmask_b32_e64 v5, v34, v1, s[12:13]
	v_add_u32_e32 v20, 1, v19
	v_add_u32_e32 v5, -1, v5
	v_min_u32_e32 v5, v20, v5
	v_add_u32_e32 v5, v11, v5
	ds_read_u8 v21, v5
	ds_read_b64 v[4:5], v4 offset:2048
	ds_read_b64 v[14:15], v14 offset:2048
	s_waitcnt lgkmcnt(2)
	v_cndmask_b32_e64 v36, v21, v33, s[12:13]
	v_cndmask_b32_e64 v37, v35, v21, s[12:13]
	;; [unrolled: 1-line block ×4, first 2 shown]
	v_cmp_lt_u32_e64 s[28:29], v20, v1
	v_cmp_le_i16_sdwa s[30:31], sext(v37), sext(v36) src0_sel:BYTE_0 src1_sel:BYTE_0
	v_cmp_ge_u32_e64 s[24:25], v21, v34
	s_and_b64 s[28:29], s[28:29], s[30:31]
	s_or_b64 s[24:25], s[24:25], s[28:29]
	v_cndmask_b32_e64 v24, v21, v20, s[24:25]
	v_cndmask_b32_e64 v17, v34, v1, s[24:25]
	v_add_u32_e32 v25, 1, v24
	v_add_u32_e32 v17, -1, v17
	v_min_u32_e32 v17, v25, v17
	v_add_u32_e32 v17, v11, v17
	ds_read_u8 v28, v17
	ds_read_b64 v[16:17], v16 offset:2048
	v_cndmask_b32_e64 v29, v20, v25, s[24:25]
	v_cmp_lt_u32_e64 s[30:31], v29, v1
	v_lshl_add_u32 v18, v19, 3, v10
	ds_read_b64 v[18:19], v18 offset:2048
	s_waitcnt lgkmcnt(2)
	v_cndmask_b32_e64 v38, v28, v36, s[24:25]
	v_cndmask_b32_e64 v39, v37, v28, s[24:25]
	;; [unrolled: 1-line block ×3, first 2 shown]
	v_cmp_le_i16_sdwa s[34:35], sext(v39), sext(v38) src0_sel:BYTE_0 src1_sel:BYTE_0
	v_cmp_ge_u32_e64 s[28:29], v28, v34
	s_and_b64 s[30:31], s[30:31], s[34:35]
	s_or_b64 s[28:29], s[28:29], s[30:31]
	v_cndmask_b32_e64 v20, v28, v29, s[28:29]
	v_cndmask_b32_e64 v21, v34, v1, s[28:29]
	v_add_u32_e32 v30, 1, v20
	v_add_u32_e32 v21, -1, v21
	v_min_u32_e32 v21, v30, v21
	v_add_u32_e32 v21, v11, v21
	ds_read_u8 v48, v21
	v_cndmask_b32_e64 v51, v29, v30, s[28:29]
	v_cndmask_b32_e64 v50, v30, v28, s[28:29]
	v_cmp_lt_u32_e64 s[34:35], v51, v1
	v_cmp_ge_u32_e64 s[30:31], v50, v34
	s_waitcnt lgkmcnt(0)
	v_cndmask_b32_e64 v49, v48, v38, s[28:29]
	v_cndmask_b32_e64 v48, v39, v48, s[28:29]
	v_cmp_le_i16_sdwa s[40:41], sext(v48), sext(v49) src0_sel:BYTE_0 src1_sel:BYTE_0
	s_and_b64 s[34:35], s[34:35], s[40:41]
	s_or_b64 s[30:31], s[30:31], s[34:35]
	v_cndmask_b32_e64 v28, v50, v51, s[30:31]
	v_cndmask_b32_e64 v29, v34, v1, s[30:31]
	v_lshl_add_u32 v30, v28, 3, v10
	v_add_u32_e32 v52, 1, v28
	v_add_u32_e32 v28, -1, v29
	v_min_u32_e32 v28, v52, v28
	v_lshl_add_u32 v21, v24, 3, v10
	v_lshl_add_u32 v20, v20, 3, v10
	v_add_u32_e32 v11, v11, v28
	ds_read_b64 v[24:25], v21 offset:2048
	ds_read_b64 v[20:21], v20 offset:2048
	;; [unrolled: 1-line block ×3, first 2 shown]
	ds_read_u8 v11, v11
	v_cndmask_b32_e64 v30, v26, v27, s[20:21]
	v_cndmask_b32_e64 v27, v31, v32, s[22:23]
	;; [unrolled: 1-line block ×4, first 2 shown]
	s_waitcnt lgkmcnt(0)
	v_cndmask_b32_e64 v31, v11, v49, s[30:31]
	v_cndmask_b32_e64 v11, v48, v11, s[30:31]
	;; [unrolled: 1-line block ×3, first 2 shown]
	v_cmp_lt_u32_e64 s[12:13], v32, v1
	v_cmp_le_i16_sdwa s[20:21], sext(v11), sext(v31) src0_sel:BYTE_0 src1_sel:BYTE_0
	v_cmp_ge_u32_e64 s[8:9], v23, v34
	s_and_b64 s[12:13], s[12:13], s[20:21]
	s_or_b64 s[8:9], s[8:9], s[12:13]
	v_cndmask_b32_e64 v1, v23, v32, s[8:9]
	v_lshl_add_u32 v1, v1, 3, v10
	ds_read_b64 v[32:33], v1 offset:2048
	v_cndmask_b32_e64 v23, v36, v37, s[24:25]
	v_cndmask_b32_e64 v38, v38, v39, s[28:29]
	;; [unrolled: 1-line block ×4, first 2 shown]
.LBB405_116:
	s_or_b64 exec, exec, s[38:39]
	; wave barrier
	s_waitcnt lgkmcnt(0)
	s_barrier
.LBB405_117:
	s_or_b64 exec, exec, s[36:37]
	v_add_co_u32_e64 v1, s[8:9], v2, v8
	v_addc_co_u32_e64 v2, s[8:9], 0, v3, s[8:9]
	v_add_co_u32_e64 v0, s[8:9], v1, v0
	v_addc_co_u32_e64 v1, s[8:9], 0, v2, s[8:9]
	s_waitcnt lgkmcnt(0)
	; wave barrier
	s_and_saveexec_b64 s[8:9], vcc
	s_cbranch_execnz .LBB405_143
; %bb.118:
	s_or_b64 exec, exec, s[8:9]
	s_and_saveexec_b64 s[8:9], s[4:5]
	s_cbranch_execnz .LBB405_144
.LBB405_119:
	s_or_b64 exec, exec, s[8:9]
	s_and_saveexec_b64 s[8:9], s[6:7]
	s_cbranch_execnz .LBB405_145
.LBB405_120:
	s_or_b64 exec, exec, s[8:9]
	s_and_saveexec_b64 s[8:9], s[18:19]
	s_cbranch_execnz .LBB405_146
.LBB405_121:
	s_or_b64 exec, exec, s[8:9]
	s_and_saveexec_b64 s[8:9], s[10:11]
	s_cbranch_execnz .LBB405_147
.LBB405_122:
	s_or_b64 exec, exec, s[8:9]
	s_and_saveexec_b64 s[8:9], s[26:27]
	s_cbranch_execnz .LBB405_148
.LBB405_123:
	s_or_b64 exec, exec, s[8:9]
	s_and_saveexec_b64 s[8:9], s[14:15]
	s_cbranch_execnz .LBB405_149
.LBB405_124:
	s_or_b64 exec, exec, s[8:9]
	s_and_saveexec_b64 s[8:9], s[16:17]
	s_cbranch_execz .LBB405_126
.LBB405_125:
	s_waitcnt vmcnt(0) lgkmcnt(0)
	flat_store_byte v[0:1], v36 offset:7
.LBB405_126:
	s_or_b64 exec, exec, s[8:9]
	v_add_co_u32_e64 v0, s[8:9], v6, v12
	v_addc_co_u32_e64 v1, s[8:9], v7, v13, s[8:9]
	v_add_co_u32_e64 v0, s[8:9], v0, v9
	v_addc_co_u32_e64 v1, s[8:9], 0, v1, s[8:9]
	; wave barrier
	s_and_saveexec_b64 s[8:9], vcc
	s_cbranch_execnz .LBB405_150
; %bb.127:
	s_or_b64 exec, exec, s[8:9]
	s_and_saveexec_b64 s[8:9], s[4:5]
	s_cbranch_execnz .LBB405_151
.LBB405_128:
	s_or_b64 exec, exec, s[8:9]
	s_and_saveexec_b64 s[4:5], s[6:7]
	s_cbranch_execnz .LBB405_152
.LBB405_129:
	s_or_b64 exec, exec, s[4:5]
	s_and_saveexec_b64 s[4:5], s[18:19]
	s_cbranch_execnz .LBB405_153
.LBB405_130:
	s_or_b64 exec, exec, s[4:5]
	s_and_saveexec_b64 s[4:5], s[10:11]
	s_cbranch_execnz .LBB405_154
.LBB405_131:
	s_or_b64 exec, exec, s[4:5]
	s_and_saveexec_b64 s[4:5], s[26:27]
	s_cbranch_execnz .LBB405_155
.LBB405_132:
	s_or_b64 exec, exec, s[4:5]
	s_and_saveexec_b64 s[4:5], s[14:15]
	s_cbranch_execnz .LBB405_156
.LBB405_133:
	s_or_b64 exec, exec, s[4:5]
	s_and_saveexec_b64 s[4:5], s[16:17]
	s_cbranch_execz .LBB405_135
.LBB405_134:
	s_waitcnt vmcnt(0) lgkmcnt(0)
	flat_store_dwordx2 v[0:1], v[32:33] offset:56
.LBB405_135:
	s_or_b64 exec, exec, s[4:5]
	v_readlane_b32 s30, v40, 12
	v_readlane_b32 s31, v40, 13
	;; [unrolled: 1-line block ×14, first 2 shown]
	s_or_saveexec_b64 s[4:5], -1
	buffer_load_dword v40, off, s[0:3], s32 ; 4-byte Folded Reload
	s_mov_b64 exec, s[4:5]
	s_waitcnt vmcnt(0) lgkmcnt(0)
	s_setpc_b64 s[30:31]
.LBB405_136:
	flat_load_dwordx2 v[4:5], v[34:35]
	s_or_b64 exec, exec, s[20:21]
                                        ; implicit-def: $vgpr14_vgpr15
	s_and_saveexec_b64 s[20:21], s[4:5]
	s_cbranch_execz .LBB405_18
.LBB405_137:
	flat_load_dwordx2 v[14:15], v[34:35] offset:8
	s_or_b64 exec, exec, s[20:21]
                                        ; implicit-def: $vgpr16_vgpr17
	s_and_saveexec_b64 s[20:21], s[6:7]
	s_cbranch_execz .LBB405_19
.LBB405_138:
	flat_load_dwordx2 v[16:17], v[34:35] offset:16
	s_or_b64 exec, exec, s[20:21]
                                        ; implicit-def: $vgpr18_vgpr19
	s_and_saveexec_b64 s[20:21], s[18:19]
	s_cbranch_execz .LBB405_20
.LBB405_139:
	flat_load_dwordx2 v[18:19], v[34:35] offset:24
	s_or_b64 exec, exec, s[20:21]
                                        ; implicit-def: $vgpr24_vgpr25
	s_and_saveexec_b64 s[20:21], s[10:11]
	s_cbranch_execz .LBB405_21
.LBB405_140:
	flat_load_dwordx2 v[24:25], v[34:35] offset:32
	s_or_b64 exec, exec, s[20:21]
                                        ; implicit-def: $vgpr20_vgpr21
	s_and_saveexec_b64 s[20:21], s[26:27]
	s_cbranch_execz .LBB405_22
.LBB405_141:
	flat_load_dwordx2 v[20:21], v[34:35] offset:40
	s_or_b64 exec, exec, s[20:21]
                                        ; implicit-def: $vgpr28_vgpr29
	s_and_saveexec_b64 s[20:21], s[14:15]
	s_cbranch_execz .LBB405_23
.LBB405_142:
	flat_load_dwordx2 v[28:29], v[34:35] offset:48
	s_or_b64 exec, exec, s[20:21]
                                        ; implicit-def: $vgpr32_vgpr33
	s_and_saveexec_b64 s[20:21], s[16:17]
	s_cbranch_execnz .LBB405_24
	s_branch .LBB405_25
.LBB405_143:
	s_waitcnt vmcnt(0) lgkmcnt(0)
	flat_store_byte v[0:1], v22
	s_or_b64 exec, exec, s[8:9]
	s_and_saveexec_b64 s[8:9], s[4:5]
	s_cbranch_execz .LBB405_119
.LBB405_144:
	s_waitcnt vmcnt(0) lgkmcnt(0)
	flat_store_byte v[0:1], v30 offset:1
	s_or_b64 exec, exec, s[8:9]
	s_and_saveexec_b64 s[8:9], s[6:7]
	s_cbranch_execz .LBB405_120
.LBB405_145:
	s_waitcnt vmcnt(0) lgkmcnt(0)
	flat_store_byte v[0:1], v27 offset:2
	s_or_b64 exec, exec, s[8:9]
	s_and_saveexec_b64 s[8:9], s[18:19]
	s_cbranch_execz .LBB405_121
.LBB405_146:
	s_waitcnt vmcnt(0) lgkmcnt(0)
	flat_store_byte v[0:1], v26 offset:3
	s_or_b64 exec, exec, s[8:9]
	s_and_saveexec_b64 s[8:9], s[10:11]
	s_cbranch_execz .LBB405_122
.LBB405_147:
	s_waitcnt vmcnt(0) lgkmcnt(0)
	flat_store_byte v[0:1], v23 offset:4
	s_or_b64 exec, exec, s[8:9]
	s_and_saveexec_b64 s[8:9], s[26:27]
	s_cbranch_execz .LBB405_123
.LBB405_148:
	s_waitcnt vmcnt(0) lgkmcnt(0)
	flat_store_byte v[0:1], v38 offset:5
	s_or_b64 exec, exec, s[8:9]
	s_and_saveexec_b64 s[8:9], s[14:15]
	s_cbranch_execz .LBB405_124
.LBB405_149:
	s_waitcnt vmcnt(0) lgkmcnt(0)
	flat_store_byte v[0:1], v37 offset:6
	s_or_b64 exec, exec, s[8:9]
	s_and_saveexec_b64 s[8:9], s[16:17]
	s_cbranch_execnz .LBB405_125
	s_branch .LBB405_126
.LBB405_150:
	s_waitcnt vmcnt(0) lgkmcnt(0)
	flat_store_dwordx2 v[0:1], v[4:5]
	s_or_b64 exec, exec, s[8:9]
	s_and_saveexec_b64 s[8:9], s[4:5]
	s_cbranch_execz .LBB405_128
.LBB405_151:
	s_waitcnt vmcnt(0) lgkmcnt(0)
	flat_store_dwordx2 v[0:1], v[14:15] offset:8
	s_or_b64 exec, exec, s[8:9]
	s_and_saveexec_b64 s[4:5], s[6:7]
	s_cbranch_execz .LBB405_129
.LBB405_152:
	s_waitcnt vmcnt(0) lgkmcnt(0)
	flat_store_dwordx2 v[0:1], v[16:17] offset:16
	s_or_b64 exec, exec, s[4:5]
	s_and_saveexec_b64 s[4:5], s[18:19]
	s_cbranch_execz .LBB405_130
.LBB405_153:
	s_waitcnt vmcnt(0) lgkmcnt(0)
	flat_store_dwordx2 v[0:1], v[18:19] offset:24
	s_or_b64 exec, exec, s[4:5]
	s_and_saveexec_b64 s[4:5], s[10:11]
	s_cbranch_execz .LBB405_131
.LBB405_154:
	s_waitcnt vmcnt(0) lgkmcnt(0)
	flat_store_dwordx2 v[0:1], v[24:25] offset:32
	s_or_b64 exec, exec, s[4:5]
	s_and_saveexec_b64 s[4:5], s[26:27]
	s_cbranch_execz .LBB405_132
.LBB405_155:
	s_waitcnt vmcnt(0) lgkmcnt(0)
	flat_store_dwordx2 v[0:1], v[20:21] offset:40
	s_or_b64 exec, exec, s[4:5]
	s_and_saveexec_b64 s[4:5], s[14:15]
	s_cbranch_execz .LBB405_133
.LBB405_156:
	s_waitcnt vmcnt(0) lgkmcnt(0)
	flat_store_dwordx2 v[0:1], v[28:29] offset:48
	s_or_b64 exec, exec, s[4:5]
	s_and_saveexec_b64 s[4:5], s[16:17]
	s_cbranch_execnz .LBB405_134
	s_branch .LBB405_135
.Lfunc_end405:
	.size	_ZN7rocprim17ROCPRIM_400000_NS6detail26segmented_warp_sort_helperINS1_20WarpSortHelperConfigILj16ELj8ELj256EEEalLi256ELb0EvE4sortIPKaPaPKlPlEEvT_T0_T1_T2_jjjjRNS5_12storage_typeE, .Lfunc_end405-_ZN7rocprim17ROCPRIM_400000_NS6detail26segmented_warp_sort_helperINS1_20WarpSortHelperConfigILj16ELj8ELj256EEEalLi256ELb0EvE4sortIPKaPaPKlPlEEvT_T0_T1_T2_jjjjRNS5_12storage_typeE
                                        ; -- End function
	.section	.AMDGPU.csdata,"",@progbits
; Function info:
; codeLenInByte = 17992
; NumSgprs: 50
; NumVgprs: 69
; NumAgprs: 0
; TotalNumVgprs: 69
; ScratchSize: 8
; MemoryBound: 0
	.section	.text._ZN7rocprim17ROCPRIM_400000_NS6detail17trampoline_kernelINS0_14default_configENS1_36segmented_radix_sort_config_selectorIalEEZNS1_25segmented_radix_sort_implIS3_Lb0EPKaPaPKlPlN2at6native12_GLOBAL__N_18offset_tEEE10hipError_tPvRmT1_PNSt15iterator_traitsISK_E10value_typeET2_T3_PNSL_ISQ_E10value_typeET4_jRbjT5_SW_jjP12ihipStream_tbEUlT_E0_NS1_11comp_targetILNS1_3genE4ELNS1_11target_archE910ELNS1_3gpuE8ELNS1_3repE0EEENS1_60segmented_radix_sort_warp_sort_medium_config_static_selectorELNS0_4arch9wavefront6targetE1EEEvSK_,"axG",@progbits,_ZN7rocprim17ROCPRIM_400000_NS6detail17trampoline_kernelINS0_14default_configENS1_36segmented_radix_sort_config_selectorIalEEZNS1_25segmented_radix_sort_implIS3_Lb0EPKaPaPKlPlN2at6native12_GLOBAL__N_18offset_tEEE10hipError_tPvRmT1_PNSt15iterator_traitsISK_E10value_typeET2_T3_PNSL_ISQ_E10value_typeET4_jRbjT5_SW_jjP12ihipStream_tbEUlT_E0_NS1_11comp_targetILNS1_3genE4ELNS1_11target_archE910ELNS1_3gpuE8ELNS1_3repE0EEENS1_60segmented_radix_sort_warp_sort_medium_config_static_selectorELNS0_4arch9wavefront6targetE1EEEvSK_,comdat
	.globl	_ZN7rocprim17ROCPRIM_400000_NS6detail17trampoline_kernelINS0_14default_configENS1_36segmented_radix_sort_config_selectorIalEEZNS1_25segmented_radix_sort_implIS3_Lb0EPKaPaPKlPlN2at6native12_GLOBAL__N_18offset_tEEE10hipError_tPvRmT1_PNSt15iterator_traitsISK_E10value_typeET2_T3_PNSL_ISQ_E10value_typeET4_jRbjT5_SW_jjP12ihipStream_tbEUlT_E0_NS1_11comp_targetILNS1_3genE4ELNS1_11target_archE910ELNS1_3gpuE8ELNS1_3repE0EEENS1_60segmented_radix_sort_warp_sort_medium_config_static_selectorELNS0_4arch9wavefront6targetE1EEEvSK_ ; -- Begin function _ZN7rocprim17ROCPRIM_400000_NS6detail17trampoline_kernelINS0_14default_configENS1_36segmented_radix_sort_config_selectorIalEEZNS1_25segmented_radix_sort_implIS3_Lb0EPKaPaPKlPlN2at6native12_GLOBAL__N_18offset_tEEE10hipError_tPvRmT1_PNSt15iterator_traitsISK_E10value_typeET2_T3_PNSL_ISQ_E10value_typeET4_jRbjT5_SW_jjP12ihipStream_tbEUlT_E0_NS1_11comp_targetILNS1_3genE4ELNS1_11target_archE910ELNS1_3gpuE8ELNS1_3repE0EEENS1_60segmented_radix_sort_warp_sort_medium_config_static_selectorELNS0_4arch9wavefront6targetE1EEEvSK_
	.p2align	8
	.type	_ZN7rocprim17ROCPRIM_400000_NS6detail17trampoline_kernelINS0_14default_configENS1_36segmented_radix_sort_config_selectorIalEEZNS1_25segmented_radix_sort_implIS3_Lb0EPKaPaPKlPlN2at6native12_GLOBAL__N_18offset_tEEE10hipError_tPvRmT1_PNSt15iterator_traitsISK_E10value_typeET2_T3_PNSL_ISQ_E10value_typeET4_jRbjT5_SW_jjP12ihipStream_tbEUlT_E0_NS1_11comp_targetILNS1_3genE4ELNS1_11target_archE910ELNS1_3gpuE8ELNS1_3repE0EEENS1_60segmented_radix_sort_warp_sort_medium_config_static_selectorELNS0_4arch9wavefront6targetE1EEEvSK_,@function
_ZN7rocprim17ROCPRIM_400000_NS6detail17trampoline_kernelINS0_14default_configENS1_36segmented_radix_sort_config_selectorIalEEZNS1_25segmented_radix_sort_implIS3_Lb0EPKaPaPKlPlN2at6native12_GLOBAL__N_18offset_tEEE10hipError_tPvRmT1_PNSt15iterator_traitsISK_E10value_typeET2_T3_PNSL_ISQ_E10value_typeET4_jRbjT5_SW_jjP12ihipStream_tbEUlT_E0_NS1_11comp_targetILNS1_3genE4ELNS1_11target_archE910ELNS1_3gpuE8ELNS1_3repE0EEENS1_60segmented_radix_sort_warp_sort_medium_config_static_selectorELNS0_4arch9wavefront6targetE1EEEvSK_: ; @_ZN7rocprim17ROCPRIM_400000_NS6detail17trampoline_kernelINS0_14default_configENS1_36segmented_radix_sort_config_selectorIalEEZNS1_25segmented_radix_sort_implIS3_Lb0EPKaPaPKlPlN2at6native12_GLOBAL__N_18offset_tEEE10hipError_tPvRmT1_PNSt15iterator_traitsISK_E10value_typeET2_T3_PNSL_ISQ_E10value_typeET4_jRbjT5_SW_jjP12ihipStream_tbEUlT_E0_NS1_11comp_targetILNS1_3genE4ELNS1_11target_archE910ELNS1_3gpuE8ELNS1_3repE0EEENS1_60segmented_radix_sort_warp_sort_medium_config_static_selectorELNS0_4arch9wavefront6targetE1EEEvSK_
; %bb.0:
	s_add_u32 flat_scratch_lo, s6, s10
	s_addc_u32 flat_scratch_hi, s7, 0
	s_add_u32 s0, s0, s10
	s_load_dword s6, s[4:5], 0x64
	s_load_dword s10, s[4:5], 0x34
	s_addc_u32 s1, s1, 0
	v_bfe_u32 v1, v0, 10, 10
	v_bfe_u32 v2, v0, 20, 10
	s_waitcnt lgkmcnt(0)
	s_lshr_b32 s7, s6, 16
	s_and_b32 s6, s6, 0xffff
	v_mad_u32_u24 v1, v2, s7, v1
	v_and_b32_e32 v2, 0x3ff, v0
	v_mad_u64_u32 v[2:3], s[6:7], v1, s6, v[2:3]
	v_lshrrev_b32_e32 v1, 4, v2
	v_lshl_add_u32 v2, s8, 4, v1
	v_cmp_gt_u32_e32 vcc, s10, v2
	s_mov_b32 s32, 0
	s_and_saveexec_b64 s[6:7], vcc
	s_cbranch_execz .LBB406_6
; %bb.1:
	s_load_dwordx2 s[6:7], s[4:5], 0x38
	s_load_dwordx4 s[12:15], s[4:5], 0x40
	v_mov_b32_e32 v3, 0
	v_lshlrev_b64 v[2:3], 2, v[2:3]
	s_waitcnt lgkmcnt(0)
	v_mov_b32_e32 v1, s7
	v_add_co_u32_e32 v2, vcc, s6, v2
	v_addc_co_u32_e32 v3, vcc, v1, v3, vcc
	global_load_dword v1, v[2:3], off
	s_waitcnt vmcnt(0)
	v_add_u32_e32 v2, s13, v1
	v_add_u32_e32 v1, s15, v1
	v_mul_lo_u32 v8, v2, s12
	v_mul_lo_u32 v41, v1, s14
	v_cmp_gt_u32_e32 vcc, v41, v8
	s_and_b64 exec, exec, vcc
	s_cbranch_execz .LBB406_6
; %bb.2:
	s_load_dwordx4 s[56:59], s[4:5], 0x20
	s_load_dword s6, s[4:5], 0x30
	s_load_dwordx8 s[48:55], s[4:5], 0x0
	s_load_dwordx2 s[60:61], s[4:5], 0x50
	s_mov_b32 s46, s8
	s_mov_b32 s33, s9
	s_waitcnt lgkmcnt(0)
	s_bitcmp0_b32 s6, 0
	s_mov_b64 s[6:7], -1
	s_cbranch_scc0 .LBB406_4
; %bb.3:
	s_add_u32 s8, s4, 0x58
	s_addc_u32 s9, s5, 0
	s_mov_b32 s12, s46
	s_mov_b32 s13, s33
	v_mov_b32_e32 v31, v0
	v_mov_b32_e32 v42, v0
	v_mov_b32_e32 v0, s48
	v_mov_b32_e32 v1, s49
	v_mov_b32_e32 v2, s50
	v_mov_b32_e32 v3, s51
	v_mov_b32_e32 v4, s54
	v_mov_b32_e32 v5, s55
	v_mov_b32_e32 v6, s56
	v_mov_b32_e32 v7, s57
	v_mov_b32_e32 v9, v41
	v_mov_b32_e32 v10, s60
	v_mov_b32_e32 v11, s61
	s_getpc_b64 s[6:7]
	s_add_u32 s6, s6, _ZN7rocprim17ROCPRIM_400000_NS6detail26segmented_warp_sort_helperINS1_20WarpSortHelperConfigILj16ELj8ELj256EEEalLi256ELb0EvE4sortIPKaPaPKlPlEEvT_T0_T1_T2_jjjjRNS5_12storage_typeE@rel32@lo+4
	s_addc_u32 s7, s7, _ZN7rocprim17ROCPRIM_400000_NS6detail26segmented_warp_sort_helperINS1_20WarpSortHelperConfigILj16ELj8ELj256EEEalLi256ELb0EvE4sortIPKaPaPKlPlEEvT_T0_T1_T2_jjjjRNS5_12storage_typeE@rel32@hi+12
	s_mov_b64 s[50:51], s[4:5]
	s_swappc_b64 s[30:31], s[6:7]
	v_mov_b32_e32 v0, v42
	s_mov_b64 s[4:5], s[50:51]
	s_mov_b64 s[6:7], 0
.LBB406_4:
	s_andn2_b64 vcc, exec, s[6:7]
	s_cbranch_vccnz .LBB406_6
; %bb.5:
	s_add_u32 s8, s4, 0x58
	s_addc_u32 s9, s5, 0
	s_mov_b32 s12, s46
	s_mov_b32 s13, s33
	v_mov_b32_e32 v31, v0
	v_mov_b32_e32 v0, s48
	;; [unrolled: 1-line block ×12, first 2 shown]
	s_getpc_b64 s[4:5]
	s_add_u32 s4, s4, _ZN7rocprim17ROCPRIM_400000_NS6detail26segmented_warp_sort_helperINS1_20WarpSortHelperConfigILj16ELj8ELj256EEEalLi256ELb0EvE4sortIPKaPaPKlPlEEvT_T0_T1_T2_jjjjRNS5_12storage_typeE@rel32@lo+4
	s_addc_u32 s5, s5, _ZN7rocprim17ROCPRIM_400000_NS6detail26segmented_warp_sort_helperINS1_20WarpSortHelperConfigILj16ELj8ELj256EEEalLi256ELb0EvE4sortIPKaPaPKlPlEEvT_T0_T1_T2_jjjjRNS5_12storage_typeE@rel32@hi+12
	s_swappc_b64 s[30:31], s[4:5]
.LBB406_6:
	s_endpgm
	.section	.rodata,"a",@progbits
	.p2align	6, 0x0
	.amdhsa_kernel _ZN7rocprim17ROCPRIM_400000_NS6detail17trampoline_kernelINS0_14default_configENS1_36segmented_radix_sort_config_selectorIalEEZNS1_25segmented_radix_sort_implIS3_Lb0EPKaPaPKlPlN2at6native12_GLOBAL__N_18offset_tEEE10hipError_tPvRmT1_PNSt15iterator_traitsISK_E10value_typeET2_T3_PNSL_ISQ_E10value_typeET4_jRbjT5_SW_jjP12ihipStream_tbEUlT_E0_NS1_11comp_targetILNS1_3genE4ELNS1_11target_archE910ELNS1_3gpuE8ELNS1_3repE0EEENS1_60segmented_radix_sort_warp_sort_medium_config_static_selectorELNS0_4arch9wavefront6targetE1EEEvSK_
		.amdhsa_group_segment_fixed_size 18432
		.amdhsa_private_segment_fixed_size 8
		.amdhsa_kernarg_size 344
		.amdhsa_user_sgpr_count 8
		.amdhsa_user_sgpr_private_segment_buffer 1
		.amdhsa_user_sgpr_dispatch_ptr 0
		.amdhsa_user_sgpr_queue_ptr 0
		.amdhsa_user_sgpr_kernarg_segment_ptr 1
		.amdhsa_user_sgpr_dispatch_id 0
		.amdhsa_user_sgpr_flat_scratch_init 1
		.amdhsa_user_sgpr_kernarg_preload_length 0
		.amdhsa_user_sgpr_kernarg_preload_offset 0
		.amdhsa_user_sgpr_private_segment_size 0
		.amdhsa_uses_dynamic_stack 0
		.amdhsa_system_sgpr_private_segment_wavefront_offset 1
		.amdhsa_system_sgpr_workgroup_id_x 1
		.amdhsa_system_sgpr_workgroup_id_y 1
		.amdhsa_system_sgpr_workgroup_id_z 0
		.amdhsa_system_sgpr_workgroup_info 0
		.amdhsa_system_vgpr_workitem_id 2
		.amdhsa_next_free_vgpr 69
		.amdhsa_next_free_sgpr 62
		.amdhsa_accum_offset 72
		.amdhsa_reserve_vcc 1
		.amdhsa_reserve_flat_scratch 1
		.amdhsa_float_round_mode_32 0
		.amdhsa_float_round_mode_16_64 0
		.amdhsa_float_denorm_mode_32 3
		.amdhsa_float_denorm_mode_16_64 3
		.amdhsa_dx10_clamp 1
		.amdhsa_ieee_mode 1
		.amdhsa_fp16_overflow 0
		.amdhsa_tg_split 0
		.amdhsa_exception_fp_ieee_invalid_op 0
		.amdhsa_exception_fp_denorm_src 0
		.amdhsa_exception_fp_ieee_div_zero 0
		.amdhsa_exception_fp_ieee_overflow 0
		.amdhsa_exception_fp_ieee_underflow 0
		.amdhsa_exception_fp_ieee_inexact 0
		.amdhsa_exception_int_div_zero 0
	.end_amdhsa_kernel
	.section	.text._ZN7rocprim17ROCPRIM_400000_NS6detail17trampoline_kernelINS0_14default_configENS1_36segmented_radix_sort_config_selectorIalEEZNS1_25segmented_radix_sort_implIS3_Lb0EPKaPaPKlPlN2at6native12_GLOBAL__N_18offset_tEEE10hipError_tPvRmT1_PNSt15iterator_traitsISK_E10value_typeET2_T3_PNSL_ISQ_E10value_typeET4_jRbjT5_SW_jjP12ihipStream_tbEUlT_E0_NS1_11comp_targetILNS1_3genE4ELNS1_11target_archE910ELNS1_3gpuE8ELNS1_3repE0EEENS1_60segmented_radix_sort_warp_sort_medium_config_static_selectorELNS0_4arch9wavefront6targetE1EEEvSK_,"axG",@progbits,_ZN7rocprim17ROCPRIM_400000_NS6detail17trampoline_kernelINS0_14default_configENS1_36segmented_radix_sort_config_selectorIalEEZNS1_25segmented_radix_sort_implIS3_Lb0EPKaPaPKlPlN2at6native12_GLOBAL__N_18offset_tEEE10hipError_tPvRmT1_PNSt15iterator_traitsISK_E10value_typeET2_T3_PNSL_ISQ_E10value_typeET4_jRbjT5_SW_jjP12ihipStream_tbEUlT_E0_NS1_11comp_targetILNS1_3genE4ELNS1_11target_archE910ELNS1_3gpuE8ELNS1_3repE0EEENS1_60segmented_radix_sort_warp_sort_medium_config_static_selectorELNS0_4arch9wavefront6targetE1EEEvSK_,comdat
.Lfunc_end406:
	.size	_ZN7rocprim17ROCPRIM_400000_NS6detail17trampoline_kernelINS0_14default_configENS1_36segmented_radix_sort_config_selectorIalEEZNS1_25segmented_radix_sort_implIS3_Lb0EPKaPaPKlPlN2at6native12_GLOBAL__N_18offset_tEEE10hipError_tPvRmT1_PNSt15iterator_traitsISK_E10value_typeET2_T3_PNSL_ISQ_E10value_typeET4_jRbjT5_SW_jjP12ihipStream_tbEUlT_E0_NS1_11comp_targetILNS1_3genE4ELNS1_11target_archE910ELNS1_3gpuE8ELNS1_3repE0EEENS1_60segmented_radix_sort_warp_sort_medium_config_static_selectorELNS0_4arch9wavefront6targetE1EEEvSK_, .Lfunc_end406-_ZN7rocprim17ROCPRIM_400000_NS6detail17trampoline_kernelINS0_14default_configENS1_36segmented_radix_sort_config_selectorIalEEZNS1_25segmented_radix_sort_implIS3_Lb0EPKaPaPKlPlN2at6native12_GLOBAL__N_18offset_tEEE10hipError_tPvRmT1_PNSt15iterator_traitsISK_E10value_typeET2_T3_PNSL_ISQ_E10value_typeET4_jRbjT5_SW_jjP12ihipStream_tbEUlT_E0_NS1_11comp_targetILNS1_3genE4ELNS1_11target_archE910ELNS1_3gpuE8ELNS1_3repE0EEENS1_60segmented_radix_sort_warp_sort_medium_config_static_selectorELNS0_4arch9wavefront6targetE1EEEvSK_
                                        ; -- End function
	.section	.AMDGPU.csdata,"",@progbits
; Kernel info:
; codeLenInByte = 480
; NumSgprs: 68
; NumVgprs: 69
; NumAgprs: 0
; TotalNumVgprs: 69
; ScratchSize: 8
; MemoryBound: 0
; FloatMode: 240
; IeeeMode: 1
; LDSByteSize: 18432 bytes/workgroup (compile time only)
; SGPRBlocks: 8
; VGPRBlocks: 8
; NumSGPRsForWavesPerEU: 68
; NumVGPRsForWavesPerEU: 69
; AccumOffset: 72
; Occupancy: 3
; WaveLimiterHint : 0
; COMPUTE_PGM_RSRC2:SCRATCH_EN: 1
; COMPUTE_PGM_RSRC2:USER_SGPR: 8
; COMPUTE_PGM_RSRC2:TRAP_HANDLER: 0
; COMPUTE_PGM_RSRC2:TGID_X_EN: 1
; COMPUTE_PGM_RSRC2:TGID_Y_EN: 1
; COMPUTE_PGM_RSRC2:TGID_Z_EN: 0
; COMPUTE_PGM_RSRC2:TIDIG_COMP_CNT: 2
; COMPUTE_PGM_RSRC3_GFX90A:ACCUM_OFFSET: 17
; COMPUTE_PGM_RSRC3_GFX90A:TG_SPLIT: 0
	.section	.text._ZN7rocprim17ROCPRIM_400000_NS6detail17trampoline_kernelINS0_14default_configENS1_36segmented_radix_sort_config_selectorIalEEZNS1_25segmented_radix_sort_implIS3_Lb0EPKaPaPKlPlN2at6native12_GLOBAL__N_18offset_tEEE10hipError_tPvRmT1_PNSt15iterator_traitsISK_E10value_typeET2_T3_PNSL_ISQ_E10value_typeET4_jRbjT5_SW_jjP12ihipStream_tbEUlT_E0_NS1_11comp_targetILNS1_3genE3ELNS1_11target_archE908ELNS1_3gpuE7ELNS1_3repE0EEENS1_60segmented_radix_sort_warp_sort_medium_config_static_selectorELNS0_4arch9wavefront6targetE1EEEvSK_,"axG",@progbits,_ZN7rocprim17ROCPRIM_400000_NS6detail17trampoline_kernelINS0_14default_configENS1_36segmented_radix_sort_config_selectorIalEEZNS1_25segmented_radix_sort_implIS3_Lb0EPKaPaPKlPlN2at6native12_GLOBAL__N_18offset_tEEE10hipError_tPvRmT1_PNSt15iterator_traitsISK_E10value_typeET2_T3_PNSL_ISQ_E10value_typeET4_jRbjT5_SW_jjP12ihipStream_tbEUlT_E0_NS1_11comp_targetILNS1_3genE3ELNS1_11target_archE908ELNS1_3gpuE7ELNS1_3repE0EEENS1_60segmented_radix_sort_warp_sort_medium_config_static_selectorELNS0_4arch9wavefront6targetE1EEEvSK_,comdat
	.globl	_ZN7rocprim17ROCPRIM_400000_NS6detail17trampoline_kernelINS0_14default_configENS1_36segmented_radix_sort_config_selectorIalEEZNS1_25segmented_radix_sort_implIS3_Lb0EPKaPaPKlPlN2at6native12_GLOBAL__N_18offset_tEEE10hipError_tPvRmT1_PNSt15iterator_traitsISK_E10value_typeET2_T3_PNSL_ISQ_E10value_typeET4_jRbjT5_SW_jjP12ihipStream_tbEUlT_E0_NS1_11comp_targetILNS1_3genE3ELNS1_11target_archE908ELNS1_3gpuE7ELNS1_3repE0EEENS1_60segmented_radix_sort_warp_sort_medium_config_static_selectorELNS0_4arch9wavefront6targetE1EEEvSK_ ; -- Begin function _ZN7rocprim17ROCPRIM_400000_NS6detail17trampoline_kernelINS0_14default_configENS1_36segmented_radix_sort_config_selectorIalEEZNS1_25segmented_radix_sort_implIS3_Lb0EPKaPaPKlPlN2at6native12_GLOBAL__N_18offset_tEEE10hipError_tPvRmT1_PNSt15iterator_traitsISK_E10value_typeET2_T3_PNSL_ISQ_E10value_typeET4_jRbjT5_SW_jjP12ihipStream_tbEUlT_E0_NS1_11comp_targetILNS1_3genE3ELNS1_11target_archE908ELNS1_3gpuE7ELNS1_3repE0EEENS1_60segmented_radix_sort_warp_sort_medium_config_static_selectorELNS0_4arch9wavefront6targetE1EEEvSK_
	.p2align	8
	.type	_ZN7rocprim17ROCPRIM_400000_NS6detail17trampoline_kernelINS0_14default_configENS1_36segmented_radix_sort_config_selectorIalEEZNS1_25segmented_radix_sort_implIS3_Lb0EPKaPaPKlPlN2at6native12_GLOBAL__N_18offset_tEEE10hipError_tPvRmT1_PNSt15iterator_traitsISK_E10value_typeET2_T3_PNSL_ISQ_E10value_typeET4_jRbjT5_SW_jjP12ihipStream_tbEUlT_E0_NS1_11comp_targetILNS1_3genE3ELNS1_11target_archE908ELNS1_3gpuE7ELNS1_3repE0EEENS1_60segmented_radix_sort_warp_sort_medium_config_static_selectorELNS0_4arch9wavefront6targetE1EEEvSK_,@function
_ZN7rocprim17ROCPRIM_400000_NS6detail17trampoline_kernelINS0_14default_configENS1_36segmented_radix_sort_config_selectorIalEEZNS1_25segmented_radix_sort_implIS3_Lb0EPKaPaPKlPlN2at6native12_GLOBAL__N_18offset_tEEE10hipError_tPvRmT1_PNSt15iterator_traitsISK_E10value_typeET2_T3_PNSL_ISQ_E10value_typeET4_jRbjT5_SW_jjP12ihipStream_tbEUlT_E0_NS1_11comp_targetILNS1_3genE3ELNS1_11target_archE908ELNS1_3gpuE7ELNS1_3repE0EEENS1_60segmented_radix_sort_warp_sort_medium_config_static_selectorELNS0_4arch9wavefront6targetE1EEEvSK_: ; @_ZN7rocprim17ROCPRIM_400000_NS6detail17trampoline_kernelINS0_14default_configENS1_36segmented_radix_sort_config_selectorIalEEZNS1_25segmented_radix_sort_implIS3_Lb0EPKaPaPKlPlN2at6native12_GLOBAL__N_18offset_tEEE10hipError_tPvRmT1_PNSt15iterator_traitsISK_E10value_typeET2_T3_PNSL_ISQ_E10value_typeET4_jRbjT5_SW_jjP12ihipStream_tbEUlT_E0_NS1_11comp_targetILNS1_3genE3ELNS1_11target_archE908ELNS1_3gpuE7ELNS1_3repE0EEENS1_60segmented_radix_sort_warp_sort_medium_config_static_selectorELNS0_4arch9wavefront6targetE1EEEvSK_
; %bb.0:
	.section	.rodata,"a",@progbits
	.p2align	6, 0x0
	.amdhsa_kernel _ZN7rocprim17ROCPRIM_400000_NS6detail17trampoline_kernelINS0_14default_configENS1_36segmented_radix_sort_config_selectorIalEEZNS1_25segmented_radix_sort_implIS3_Lb0EPKaPaPKlPlN2at6native12_GLOBAL__N_18offset_tEEE10hipError_tPvRmT1_PNSt15iterator_traitsISK_E10value_typeET2_T3_PNSL_ISQ_E10value_typeET4_jRbjT5_SW_jjP12ihipStream_tbEUlT_E0_NS1_11comp_targetILNS1_3genE3ELNS1_11target_archE908ELNS1_3gpuE7ELNS1_3repE0EEENS1_60segmented_radix_sort_warp_sort_medium_config_static_selectorELNS0_4arch9wavefront6targetE1EEEvSK_
		.amdhsa_group_segment_fixed_size 0
		.amdhsa_private_segment_fixed_size 0
		.amdhsa_kernarg_size 88
		.amdhsa_user_sgpr_count 6
		.amdhsa_user_sgpr_private_segment_buffer 1
		.amdhsa_user_sgpr_dispatch_ptr 0
		.amdhsa_user_sgpr_queue_ptr 0
		.amdhsa_user_sgpr_kernarg_segment_ptr 1
		.amdhsa_user_sgpr_dispatch_id 0
		.amdhsa_user_sgpr_flat_scratch_init 0
		.amdhsa_user_sgpr_kernarg_preload_length 0
		.amdhsa_user_sgpr_kernarg_preload_offset 0
		.amdhsa_user_sgpr_private_segment_size 0
		.amdhsa_uses_dynamic_stack 0
		.amdhsa_system_sgpr_private_segment_wavefront_offset 0
		.amdhsa_system_sgpr_workgroup_id_x 1
		.amdhsa_system_sgpr_workgroup_id_y 0
		.amdhsa_system_sgpr_workgroup_id_z 0
		.amdhsa_system_sgpr_workgroup_info 0
		.amdhsa_system_vgpr_workitem_id 0
		.amdhsa_next_free_vgpr 1
		.amdhsa_next_free_sgpr 0
		.amdhsa_accum_offset 4
		.amdhsa_reserve_vcc 0
		.amdhsa_reserve_flat_scratch 0
		.amdhsa_float_round_mode_32 0
		.amdhsa_float_round_mode_16_64 0
		.amdhsa_float_denorm_mode_32 3
		.amdhsa_float_denorm_mode_16_64 3
		.amdhsa_dx10_clamp 1
		.amdhsa_ieee_mode 1
		.amdhsa_fp16_overflow 0
		.amdhsa_tg_split 0
		.amdhsa_exception_fp_ieee_invalid_op 0
		.amdhsa_exception_fp_denorm_src 0
		.amdhsa_exception_fp_ieee_div_zero 0
		.amdhsa_exception_fp_ieee_overflow 0
		.amdhsa_exception_fp_ieee_underflow 0
		.amdhsa_exception_fp_ieee_inexact 0
		.amdhsa_exception_int_div_zero 0
	.end_amdhsa_kernel
	.section	.text._ZN7rocprim17ROCPRIM_400000_NS6detail17trampoline_kernelINS0_14default_configENS1_36segmented_radix_sort_config_selectorIalEEZNS1_25segmented_radix_sort_implIS3_Lb0EPKaPaPKlPlN2at6native12_GLOBAL__N_18offset_tEEE10hipError_tPvRmT1_PNSt15iterator_traitsISK_E10value_typeET2_T3_PNSL_ISQ_E10value_typeET4_jRbjT5_SW_jjP12ihipStream_tbEUlT_E0_NS1_11comp_targetILNS1_3genE3ELNS1_11target_archE908ELNS1_3gpuE7ELNS1_3repE0EEENS1_60segmented_radix_sort_warp_sort_medium_config_static_selectorELNS0_4arch9wavefront6targetE1EEEvSK_,"axG",@progbits,_ZN7rocprim17ROCPRIM_400000_NS6detail17trampoline_kernelINS0_14default_configENS1_36segmented_radix_sort_config_selectorIalEEZNS1_25segmented_radix_sort_implIS3_Lb0EPKaPaPKlPlN2at6native12_GLOBAL__N_18offset_tEEE10hipError_tPvRmT1_PNSt15iterator_traitsISK_E10value_typeET2_T3_PNSL_ISQ_E10value_typeET4_jRbjT5_SW_jjP12ihipStream_tbEUlT_E0_NS1_11comp_targetILNS1_3genE3ELNS1_11target_archE908ELNS1_3gpuE7ELNS1_3repE0EEENS1_60segmented_radix_sort_warp_sort_medium_config_static_selectorELNS0_4arch9wavefront6targetE1EEEvSK_,comdat
.Lfunc_end407:
	.size	_ZN7rocprim17ROCPRIM_400000_NS6detail17trampoline_kernelINS0_14default_configENS1_36segmented_radix_sort_config_selectorIalEEZNS1_25segmented_radix_sort_implIS3_Lb0EPKaPaPKlPlN2at6native12_GLOBAL__N_18offset_tEEE10hipError_tPvRmT1_PNSt15iterator_traitsISK_E10value_typeET2_T3_PNSL_ISQ_E10value_typeET4_jRbjT5_SW_jjP12ihipStream_tbEUlT_E0_NS1_11comp_targetILNS1_3genE3ELNS1_11target_archE908ELNS1_3gpuE7ELNS1_3repE0EEENS1_60segmented_radix_sort_warp_sort_medium_config_static_selectorELNS0_4arch9wavefront6targetE1EEEvSK_, .Lfunc_end407-_ZN7rocprim17ROCPRIM_400000_NS6detail17trampoline_kernelINS0_14default_configENS1_36segmented_radix_sort_config_selectorIalEEZNS1_25segmented_radix_sort_implIS3_Lb0EPKaPaPKlPlN2at6native12_GLOBAL__N_18offset_tEEE10hipError_tPvRmT1_PNSt15iterator_traitsISK_E10value_typeET2_T3_PNSL_ISQ_E10value_typeET4_jRbjT5_SW_jjP12ihipStream_tbEUlT_E0_NS1_11comp_targetILNS1_3genE3ELNS1_11target_archE908ELNS1_3gpuE7ELNS1_3repE0EEENS1_60segmented_radix_sort_warp_sort_medium_config_static_selectorELNS0_4arch9wavefront6targetE1EEEvSK_
                                        ; -- End function
	.section	.AMDGPU.csdata,"",@progbits
; Kernel info:
; codeLenInByte = 0
; NumSgprs: 4
; NumVgprs: 0
; NumAgprs: 0
; TotalNumVgprs: 0
; ScratchSize: 0
; MemoryBound: 0
; FloatMode: 240
; IeeeMode: 1
; LDSByteSize: 0 bytes/workgroup (compile time only)
; SGPRBlocks: 0
; VGPRBlocks: 0
; NumSGPRsForWavesPerEU: 4
; NumVGPRsForWavesPerEU: 1
; AccumOffset: 4
; Occupancy: 8
; WaveLimiterHint : 0
; COMPUTE_PGM_RSRC2:SCRATCH_EN: 0
; COMPUTE_PGM_RSRC2:USER_SGPR: 6
; COMPUTE_PGM_RSRC2:TRAP_HANDLER: 0
; COMPUTE_PGM_RSRC2:TGID_X_EN: 1
; COMPUTE_PGM_RSRC2:TGID_Y_EN: 0
; COMPUTE_PGM_RSRC2:TGID_Z_EN: 0
; COMPUTE_PGM_RSRC2:TIDIG_COMP_CNT: 0
; COMPUTE_PGM_RSRC3_GFX90A:ACCUM_OFFSET: 0
; COMPUTE_PGM_RSRC3_GFX90A:TG_SPLIT: 0
	.section	.text._ZN7rocprim17ROCPRIM_400000_NS6detail17trampoline_kernelINS0_14default_configENS1_36segmented_radix_sort_config_selectorIalEEZNS1_25segmented_radix_sort_implIS3_Lb0EPKaPaPKlPlN2at6native12_GLOBAL__N_18offset_tEEE10hipError_tPvRmT1_PNSt15iterator_traitsISK_E10value_typeET2_T3_PNSL_ISQ_E10value_typeET4_jRbjT5_SW_jjP12ihipStream_tbEUlT_E0_NS1_11comp_targetILNS1_3genE2ELNS1_11target_archE906ELNS1_3gpuE6ELNS1_3repE0EEENS1_60segmented_radix_sort_warp_sort_medium_config_static_selectorELNS0_4arch9wavefront6targetE1EEEvSK_,"axG",@progbits,_ZN7rocprim17ROCPRIM_400000_NS6detail17trampoline_kernelINS0_14default_configENS1_36segmented_radix_sort_config_selectorIalEEZNS1_25segmented_radix_sort_implIS3_Lb0EPKaPaPKlPlN2at6native12_GLOBAL__N_18offset_tEEE10hipError_tPvRmT1_PNSt15iterator_traitsISK_E10value_typeET2_T3_PNSL_ISQ_E10value_typeET4_jRbjT5_SW_jjP12ihipStream_tbEUlT_E0_NS1_11comp_targetILNS1_3genE2ELNS1_11target_archE906ELNS1_3gpuE6ELNS1_3repE0EEENS1_60segmented_radix_sort_warp_sort_medium_config_static_selectorELNS0_4arch9wavefront6targetE1EEEvSK_,comdat
	.globl	_ZN7rocprim17ROCPRIM_400000_NS6detail17trampoline_kernelINS0_14default_configENS1_36segmented_radix_sort_config_selectorIalEEZNS1_25segmented_radix_sort_implIS3_Lb0EPKaPaPKlPlN2at6native12_GLOBAL__N_18offset_tEEE10hipError_tPvRmT1_PNSt15iterator_traitsISK_E10value_typeET2_T3_PNSL_ISQ_E10value_typeET4_jRbjT5_SW_jjP12ihipStream_tbEUlT_E0_NS1_11comp_targetILNS1_3genE2ELNS1_11target_archE906ELNS1_3gpuE6ELNS1_3repE0EEENS1_60segmented_radix_sort_warp_sort_medium_config_static_selectorELNS0_4arch9wavefront6targetE1EEEvSK_ ; -- Begin function _ZN7rocprim17ROCPRIM_400000_NS6detail17trampoline_kernelINS0_14default_configENS1_36segmented_radix_sort_config_selectorIalEEZNS1_25segmented_radix_sort_implIS3_Lb0EPKaPaPKlPlN2at6native12_GLOBAL__N_18offset_tEEE10hipError_tPvRmT1_PNSt15iterator_traitsISK_E10value_typeET2_T3_PNSL_ISQ_E10value_typeET4_jRbjT5_SW_jjP12ihipStream_tbEUlT_E0_NS1_11comp_targetILNS1_3genE2ELNS1_11target_archE906ELNS1_3gpuE6ELNS1_3repE0EEENS1_60segmented_radix_sort_warp_sort_medium_config_static_selectorELNS0_4arch9wavefront6targetE1EEEvSK_
	.p2align	8
	.type	_ZN7rocprim17ROCPRIM_400000_NS6detail17trampoline_kernelINS0_14default_configENS1_36segmented_radix_sort_config_selectorIalEEZNS1_25segmented_radix_sort_implIS3_Lb0EPKaPaPKlPlN2at6native12_GLOBAL__N_18offset_tEEE10hipError_tPvRmT1_PNSt15iterator_traitsISK_E10value_typeET2_T3_PNSL_ISQ_E10value_typeET4_jRbjT5_SW_jjP12ihipStream_tbEUlT_E0_NS1_11comp_targetILNS1_3genE2ELNS1_11target_archE906ELNS1_3gpuE6ELNS1_3repE0EEENS1_60segmented_radix_sort_warp_sort_medium_config_static_selectorELNS0_4arch9wavefront6targetE1EEEvSK_,@function
_ZN7rocprim17ROCPRIM_400000_NS6detail17trampoline_kernelINS0_14default_configENS1_36segmented_radix_sort_config_selectorIalEEZNS1_25segmented_radix_sort_implIS3_Lb0EPKaPaPKlPlN2at6native12_GLOBAL__N_18offset_tEEE10hipError_tPvRmT1_PNSt15iterator_traitsISK_E10value_typeET2_T3_PNSL_ISQ_E10value_typeET4_jRbjT5_SW_jjP12ihipStream_tbEUlT_E0_NS1_11comp_targetILNS1_3genE2ELNS1_11target_archE906ELNS1_3gpuE6ELNS1_3repE0EEENS1_60segmented_radix_sort_warp_sort_medium_config_static_selectorELNS0_4arch9wavefront6targetE1EEEvSK_: ; @_ZN7rocprim17ROCPRIM_400000_NS6detail17trampoline_kernelINS0_14default_configENS1_36segmented_radix_sort_config_selectorIalEEZNS1_25segmented_radix_sort_implIS3_Lb0EPKaPaPKlPlN2at6native12_GLOBAL__N_18offset_tEEE10hipError_tPvRmT1_PNSt15iterator_traitsISK_E10value_typeET2_T3_PNSL_ISQ_E10value_typeET4_jRbjT5_SW_jjP12ihipStream_tbEUlT_E0_NS1_11comp_targetILNS1_3genE2ELNS1_11target_archE906ELNS1_3gpuE6ELNS1_3repE0EEENS1_60segmented_radix_sort_warp_sort_medium_config_static_selectorELNS0_4arch9wavefront6targetE1EEEvSK_
; %bb.0:
	.section	.rodata,"a",@progbits
	.p2align	6, 0x0
	.amdhsa_kernel _ZN7rocprim17ROCPRIM_400000_NS6detail17trampoline_kernelINS0_14default_configENS1_36segmented_radix_sort_config_selectorIalEEZNS1_25segmented_radix_sort_implIS3_Lb0EPKaPaPKlPlN2at6native12_GLOBAL__N_18offset_tEEE10hipError_tPvRmT1_PNSt15iterator_traitsISK_E10value_typeET2_T3_PNSL_ISQ_E10value_typeET4_jRbjT5_SW_jjP12ihipStream_tbEUlT_E0_NS1_11comp_targetILNS1_3genE2ELNS1_11target_archE906ELNS1_3gpuE6ELNS1_3repE0EEENS1_60segmented_radix_sort_warp_sort_medium_config_static_selectorELNS0_4arch9wavefront6targetE1EEEvSK_
		.amdhsa_group_segment_fixed_size 0
		.amdhsa_private_segment_fixed_size 0
		.amdhsa_kernarg_size 88
		.amdhsa_user_sgpr_count 6
		.amdhsa_user_sgpr_private_segment_buffer 1
		.amdhsa_user_sgpr_dispatch_ptr 0
		.amdhsa_user_sgpr_queue_ptr 0
		.amdhsa_user_sgpr_kernarg_segment_ptr 1
		.amdhsa_user_sgpr_dispatch_id 0
		.amdhsa_user_sgpr_flat_scratch_init 0
		.amdhsa_user_sgpr_kernarg_preload_length 0
		.amdhsa_user_sgpr_kernarg_preload_offset 0
		.amdhsa_user_sgpr_private_segment_size 0
		.amdhsa_uses_dynamic_stack 0
		.amdhsa_system_sgpr_private_segment_wavefront_offset 0
		.amdhsa_system_sgpr_workgroup_id_x 1
		.amdhsa_system_sgpr_workgroup_id_y 0
		.amdhsa_system_sgpr_workgroup_id_z 0
		.amdhsa_system_sgpr_workgroup_info 0
		.amdhsa_system_vgpr_workitem_id 0
		.amdhsa_next_free_vgpr 1
		.amdhsa_next_free_sgpr 0
		.amdhsa_accum_offset 4
		.amdhsa_reserve_vcc 0
		.amdhsa_reserve_flat_scratch 0
		.amdhsa_float_round_mode_32 0
		.amdhsa_float_round_mode_16_64 0
		.amdhsa_float_denorm_mode_32 3
		.amdhsa_float_denorm_mode_16_64 3
		.amdhsa_dx10_clamp 1
		.amdhsa_ieee_mode 1
		.amdhsa_fp16_overflow 0
		.amdhsa_tg_split 0
		.amdhsa_exception_fp_ieee_invalid_op 0
		.amdhsa_exception_fp_denorm_src 0
		.amdhsa_exception_fp_ieee_div_zero 0
		.amdhsa_exception_fp_ieee_overflow 0
		.amdhsa_exception_fp_ieee_underflow 0
		.amdhsa_exception_fp_ieee_inexact 0
		.amdhsa_exception_int_div_zero 0
	.end_amdhsa_kernel
	.section	.text._ZN7rocprim17ROCPRIM_400000_NS6detail17trampoline_kernelINS0_14default_configENS1_36segmented_radix_sort_config_selectorIalEEZNS1_25segmented_radix_sort_implIS3_Lb0EPKaPaPKlPlN2at6native12_GLOBAL__N_18offset_tEEE10hipError_tPvRmT1_PNSt15iterator_traitsISK_E10value_typeET2_T3_PNSL_ISQ_E10value_typeET4_jRbjT5_SW_jjP12ihipStream_tbEUlT_E0_NS1_11comp_targetILNS1_3genE2ELNS1_11target_archE906ELNS1_3gpuE6ELNS1_3repE0EEENS1_60segmented_radix_sort_warp_sort_medium_config_static_selectorELNS0_4arch9wavefront6targetE1EEEvSK_,"axG",@progbits,_ZN7rocprim17ROCPRIM_400000_NS6detail17trampoline_kernelINS0_14default_configENS1_36segmented_radix_sort_config_selectorIalEEZNS1_25segmented_radix_sort_implIS3_Lb0EPKaPaPKlPlN2at6native12_GLOBAL__N_18offset_tEEE10hipError_tPvRmT1_PNSt15iterator_traitsISK_E10value_typeET2_T3_PNSL_ISQ_E10value_typeET4_jRbjT5_SW_jjP12ihipStream_tbEUlT_E0_NS1_11comp_targetILNS1_3genE2ELNS1_11target_archE906ELNS1_3gpuE6ELNS1_3repE0EEENS1_60segmented_radix_sort_warp_sort_medium_config_static_selectorELNS0_4arch9wavefront6targetE1EEEvSK_,comdat
.Lfunc_end408:
	.size	_ZN7rocprim17ROCPRIM_400000_NS6detail17trampoline_kernelINS0_14default_configENS1_36segmented_radix_sort_config_selectorIalEEZNS1_25segmented_radix_sort_implIS3_Lb0EPKaPaPKlPlN2at6native12_GLOBAL__N_18offset_tEEE10hipError_tPvRmT1_PNSt15iterator_traitsISK_E10value_typeET2_T3_PNSL_ISQ_E10value_typeET4_jRbjT5_SW_jjP12ihipStream_tbEUlT_E0_NS1_11comp_targetILNS1_3genE2ELNS1_11target_archE906ELNS1_3gpuE6ELNS1_3repE0EEENS1_60segmented_radix_sort_warp_sort_medium_config_static_selectorELNS0_4arch9wavefront6targetE1EEEvSK_, .Lfunc_end408-_ZN7rocprim17ROCPRIM_400000_NS6detail17trampoline_kernelINS0_14default_configENS1_36segmented_radix_sort_config_selectorIalEEZNS1_25segmented_radix_sort_implIS3_Lb0EPKaPaPKlPlN2at6native12_GLOBAL__N_18offset_tEEE10hipError_tPvRmT1_PNSt15iterator_traitsISK_E10value_typeET2_T3_PNSL_ISQ_E10value_typeET4_jRbjT5_SW_jjP12ihipStream_tbEUlT_E0_NS1_11comp_targetILNS1_3genE2ELNS1_11target_archE906ELNS1_3gpuE6ELNS1_3repE0EEENS1_60segmented_radix_sort_warp_sort_medium_config_static_selectorELNS0_4arch9wavefront6targetE1EEEvSK_
                                        ; -- End function
	.section	.AMDGPU.csdata,"",@progbits
; Kernel info:
; codeLenInByte = 0
; NumSgprs: 4
; NumVgprs: 0
; NumAgprs: 0
; TotalNumVgprs: 0
; ScratchSize: 0
; MemoryBound: 0
; FloatMode: 240
; IeeeMode: 1
; LDSByteSize: 0 bytes/workgroup (compile time only)
; SGPRBlocks: 0
; VGPRBlocks: 0
; NumSGPRsForWavesPerEU: 4
; NumVGPRsForWavesPerEU: 1
; AccumOffset: 4
; Occupancy: 8
; WaveLimiterHint : 0
; COMPUTE_PGM_RSRC2:SCRATCH_EN: 0
; COMPUTE_PGM_RSRC2:USER_SGPR: 6
; COMPUTE_PGM_RSRC2:TRAP_HANDLER: 0
; COMPUTE_PGM_RSRC2:TGID_X_EN: 1
; COMPUTE_PGM_RSRC2:TGID_Y_EN: 0
; COMPUTE_PGM_RSRC2:TGID_Z_EN: 0
; COMPUTE_PGM_RSRC2:TIDIG_COMP_CNT: 0
; COMPUTE_PGM_RSRC3_GFX90A:ACCUM_OFFSET: 0
; COMPUTE_PGM_RSRC3_GFX90A:TG_SPLIT: 0
	.section	.text._ZN7rocprim17ROCPRIM_400000_NS6detail17trampoline_kernelINS0_14default_configENS1_36segmented_radix_sort_config_selectorIalEEZNS1_25segmented_radix_sort_implIS3_Lb0EPKaPaPKlPlN2at6native12_GLOBAL__N_18offset_tEEE10hipError_tPvRmT1_PNSt15iterator_traitsISK_E10value_typeET2_T3_PNSL_ISQ_E10value_typeET4_jRbjT5_SW_jjP12ihipStream_tbEUlT_E0_NS1_11comp_targetILNS1_3genE10ELNS1_11target_archE1201ELNS1_3gpuE5ELNS1_3repE0EEENS1_60segmented_radix_sort_warp_sort_medium_config_static_selectorELNS0_4arch9wavefront6targetE1EEEvSK_,"axG",@progbits,_ZN7rocprim17ROCPRIM_400000_NS6detail17trampoline_kernelINS0_14default_configENS1_36segmented_radix_sort_config_selectorIalEEZNS1_25segmented_radix_sort_implIS3_Lb0EPKaPaPKlPlN2at6native12_GLOBAL__N_18offset_tEEE10hipError_tPvRmT1_PNSt15iterator_traitsISK_E10value_typeET2_T3_PNSL_ISQ_E10value_typeET4_jRbjT5_SW_jjP12ihipStream_tbEUlT_E0_NS1_11comp_targetILNS1_3genE10ELNS1_11target_archE1201ELNS1_3gpuE5ELNS1_3repE0EEENS1_60segmented_radix_sort_warp_sort_medium_config_static_selectorELNS0_4arch9wavefront6targetE1EEEvSK_,comdat
	.globl	_ZN7rocprim17ROCPRIM_400000_NS6detail17trampoline_kernelINS0_14default_configENS1_36segmented_radix_sort_config_selectorIalEEZNS1_25segmented_radix_sort_implIS3_Lb0EPKaPaPKlPlN2at6native12_GLOBAL__N_18offset_tEEE10hipError_tPvRmT1_PNSt15iterator_traitsISK_E10value_typeET2_T3_PNSL_ISQ_E10value_typeET4_jRbjT5_SW_jjP12ihipStream_tbEUlT_E0_NS1_11comp_targetILNS1_3genE10ELNS1_11target_archE1201ELNS1_3gpuE5ELNS1_3repE0EEENS1_60segmented_radix_sort_warp_sort_medium_config_static_selectorELNS0_4arch9wavefront6targetE1EEEvSK_ ; -- Begin function _ZN7rocprim17ROCPRIM_400000_NS6detail17trampoline_kernelINS0_14default_configENS1_36segmented_radix_sort_config_selectorIalEEZNS1_25segmented_radix_sort_implIS3_Lb0EPKaPaPKlPlN2at6native12_GLOBAL__N_18offset_tEEE10hipError_tPvRmT1_PNSt15iterator_traitsISK_E10value_typeET2_T3_PNSL_ISQ_E10value_typeET4_jRbjT5_SW_jjP12ihipStream_tbEUlT_E0_NS1_11comp_targetILNS1_3genE10ELNS1_11target_archE1201ELNS1_3gpuE5ELNS1_3repE0EEENS1_60segmented_radix_sort_warp_sort_medium_config_static_selectorELNS0_4arch9wavefront6targetE1EEEvSK_
	.p2align	8
	.type	_ZN7rocprim17ROCPRIM_400000_NS6detail17trampoline_kernelINS0_14default_configENS1_36segmented_radix_sort_config_selectorIalEEZNS1_25segmented_radix_sort_implIS3_Lb0EPKaPaPKlPlN2at6native12_GLOBAL__N_18offset_tEEE10hipError_tPvRmT1_PNSt15iterator_traitsISK_E10value_typeET2_T3_PNSL_ISQ_E10value_typeET4_jRbjT5_SW_jjP12ihipStream_tbEUlT_E0_NS1_11comp_targetILNS1_3genE10ELNS1_11target_archE1201ELNS1_3gpuE5ELNS1_3repE0EEENS1_60segmented_radix_sort_warp_sort_medium_config_static_selectorELNS0_4arch9wavefront6targetE1EEEvSK_,@function
_ZN7rocprim17ROCPRIM_400000_NS6detail17trampoline_kernelINS0_14default_configENS1_36segmented_radix_sort_config_selectorIalEEZNS1_25segmented_radix_sort_implIS3_Lb0EPKaPaPKlPlN2at6native12_GLOBAL__N_18offset_tEEE10hipError_tPvRmT1_PNSt15iterator_traitsISK_E10value_typeET2_T3_PNSL_ISQ_E10value_typeET4_jRbjT5_SW_jjP12ihipStream_tbEUlT_E0_NS1_11comp_targetILNS1_3genE10ELNS1_11target_archE1201ELNS1_3gpuE5ELNS1_3repE0EEENS1_60segmented_radix_sort_warp_sort_medium_config_static_selectorELNS0_4arch9wavefront6targetE1EEEvSK_: ; @_ZN7rocprim17ROCPRIM_400000_NS6detail17trampoline_kernelINS0_14default_configENS1_36segmented_radix_sort_config_selectorIalEEZNS1_25segmented_radix_sort_implIS3_Lb0EPKaPaPKlPlN2at6native12_GLOBAL__N_18offset_tEEE10hipError_tPvRmT1_PNSt15iterator_traitsISK_E10value_typeET2_T3_PNSL_ISQ_E10value_typeET4_jRbjT5_SW_jjP12ihipStream_tbEUlT_E0_NS1_11comp_targetILNS1_3genE10ELNS1_11target_archE1201ELNS1_3gpuE5ELNS1_3repE0EEENS1_60segmented_radix_sort_warp_sort_medium_config_static_selectorELNS0_4arch9wavefront6targetE1EEEvSK_
; %bb.0:
	.section	.rodata,"a",@progbits
	.p2align	6, 0x0
	.amdhsa_kernel _ZN7rocprim17ROCPRIM_400000_NS6detail17trampoline_kernelINS0_14default_configENS1_36segmented_radix_sort_config_selectorIalEEZNS1_25segmented_radix_sort_implIS3_Lb0EPKaPaPKlPlN2at6native12_GLOBAL__N_18offset_tEEE10hipError_tPvRmT1_PNSt15iterator_traitsISK_E10value_typeET2_T3_PNSL_ISQ_E10value_typeET4_jRbjT5_SW_jjP12ihipStream_tbEUlT_E0_NS1_11comp_targetILNS1_3genE10ELNS1_11target_archE1201ELNS1_3gpuE5ELNS1_3repE0EEENS1_60segmented_radix_sort_warp_sort_medium_config_static_selectorELNS0_4arch9wavefront6targetE1EEEvSK_
		.amdhsa_group_segment_fixed_size 0
		.amdhsa_private_segment_fixed_size 0
		.amdhsa_kernarg_size 88
		.amdhsa_user_sgpr_count 6
		.amdhsa_user_sgpr_private_segment_buffer 1
		.amdhsa_user_sgpr_dispatch_ptr 0
		.amdhsa_user_sgpr_queue_ptr 0
		.amdhsa_user_sgpr_kernarg_segment_ptr 1
		.amdhsa_user_sgpr_dispatch_id 0
		.amdhsa_user_sgpr_flat_scratch_init 0
		.amdhsa_user_sgpr_kernarg_preload_length 0
		.amdhsa_user_sgpr_kernarg_preload_offset 0
		.amdhsa_user_sgpr_private_segment_size 0
		.amdhsa_uses_dynamic_stack 0
		.amdhsa_system_sgpr_private_segment_wavefront_offset 0
		.amdhsa_system_sgpr_workgroup_id_x 1
		.amdhsa_system_sgpr_workgroup_id_y 0
		.amdhsa_system_sgpr_workgroup_id_z 0
		.amdhsa_system_sgpr_workgroup_info 0
		.amdhsa_system_vgpr_workitem_id 0
		.amdhsa_next_free_vgpr 1
		.amdhsa_next_free_sgpr 0
		.amdhsa_accum_offset 4
		.amdhsa_reserve_vcc 0
		.amdhsa_reserve_flat_scratch 0
		.amdhsa_float_round_mode_32 0
		.amdhsa_float_round_mode_16_64 0
		.amdhsa_float_denorm_mode_32 3
		.amdhsa_float_denorm_mode_16_64 3
		.amdhsa_dx10_clamp 1
		.amdhsa_ieee_mode 1
		.amdhsa_fp16_overflow 0
		.amdhsa_tg_split 0
		.amdhsa_exception_fp_ieee_invalid_op 0
		.amdhsa_exception_fp_denorm_src 0
		.amdhsa_exception_fp_ieee_div_zero 0
		.amdhsa_exception_fp_ieee_overflow 0
		.amdhsa_exception_fp_ieee_underflow 0
		.amdhsa_exception_fp_ieee_inexact 0
		.amdhsa_exception_int_div_zero 0
	.end_amdhsa_kernel
	.section	.text._ZN7rocprim17ROCPRIM_400000_NS6detail17trampoline_kernelINS0_14default_configENS1_36segmented_radix_sort_config_selectorIalEEZNS1_25segmented_radix_sort_implIS3_Lb0EPKaPaPKlPlN2at6native12_GLOBAL__N_18offset_tEEE10hipError_tPvRmT1_PNSt15iterator_traitsISK_E10value_typeET2_T3_PNSL_ISQ_E10value_typeET4_jRbjT5_SW_jjP12ihipStream_tbEUlT_E0_NS1_11comp_targetILNS1_3genE10ELNS1_11target_archE1201ELNS1_3gpuE5ELNS1_3repE0EEENS1_60segmented_radix_sort_warp_sort_medium_config_static_selectorELNS0_4arch9wavefront6targetE1EEEvSK_,"axG",@progbits,_ZN7rocprim17ROCPRIM_400000_NS6detail17trampoline_kernelINS0_14default_configENS1_36segmented_radix_sort_config_selectorIalEEZNS1_25segmented_radix_sort_implIS3_Lb0EPKaPaPKlPlN2at6native12_GLOBAL__N_18offset_tEEE10hipError_tPvRmT1_PNSt15iterator_traitsISK_E10value_typeET2_T3_PNSL_ISQ_E10value_typeET4_jRbjT5_SW_jjP12ihipStream_tbEUlT_E0_NS1_11comp_targetILNS1_3genE10ELNS1_11target_archE1201ELNS1_3gpuE5ELNS1_3repE0EEENS1_60segmented_radix_sort_warp_sort_medium_config_static_selectorELNS0_4arch9wavefront6targetE1EEEvSK_,comdat
.Lfunc_end409:
	.size	_ZN7rocprim17ROCPRIM_400000_NS6detail17trampoline_kernelINS0_14default_configENS1_36segmented_radix_sort_config_selectorIalEEZNS1_25segmented_radix_sort_implIS3_Lb0EPKaPaPKlPlN2at6native12_GLOBAL__N_18offset_tEEE10hipError_tPvRmT1_PNSt15iterator_traitsISK_E10value_typeET2_T3_PNSL_ISQ_E10value_typeET4_jRbjT5_SW_jjP12ihipStream_tbEUlT_E0_NS1_11comp_targetILNS1_3genE10ELNS1_11target_archE1201ELNS1_3gpuE5ELNS1_3repE0EEENS1_60segmented_radix_sort_warp_sort_medium_config_static_selectorELNS0_4arch9wavefront6targetE1EEEvSK_, .Lfunc_end409-_ZN7rocprim17ROCPRIM_400000_NS6detail17trampoline_kernelINS0_14default_configENS1_36segmented_radix_sort_config_selectorIalEEZNS1_25segmented_radix_sort_implIS3_Lb0EPKaPaPKlPlN2at6native12_GLOBAL__N_18offset_tEEE10hipError_tPvRmT1_PNSt15iterator_traitsISK_E10value_typeET2_T3_PNSL_ISQ_E10value_typeET4_jRbjT5_SW_jjP12ihipStream_tbEUlT_E0_NS1_11comp_targetILNS1_3genE10ELNS1_11target_archE1201ELNS1_3gpuE5ELNS1_3repE0EEENS1_60segmented_radix_sort_warp_sort_medium_config_static_selectorELNS0_4arch9wavefront6targetE1EEEvSK_
                                        ; -- End function
	.section	.AMDGPU.csdata,"",@progbits
; Kernel info:
; codeLenInByte = 0
; NumSgprs: 4
; NumVgprs: 0
; NumAgprs: 0
; TotalNumVgprs: 0
; ScratchSize: 0
; MemoryBound: 0
; FloatMode: 240
; IeeeMode: 1
; LDSByteSize: 0 bytes/workgroup (compile time only)
; SGPRBlocks: 0
; VGPRBlocks: 0
; NumSGPRsForWavesPerEU: 4
; NumVGPRsForWavesPerEU: 1
; AccumOffset: 4
; Occupancy: 8
; WaveLimiterHint : 0
; COMPUTE_PGM_RSRC2:SCRATCH_EN: 0
; COMPUTE_PGM_RSRC2:USER_SGPR: 6
; COMPUTE_PGM_RSRC2:TRAP_HANDLER: 0
; COMPUTE_PGM_RSRC2:TGID_X_EN: 1
; COMPUTE_PGM_RSRC2:TGID_Y_EN: 0
; COMPUTE_PGM_RSRC2:TGID_Z_EN: 0
; COMPUTE_PGM_RSRC2:TIDIG_COMP_CNT: 0
; COMPUTE_PGM_RSRC3_GFX90A:ACCUM_OFFSET: 0
; COMPUTE_PGM_RSRC3_GFX90A:TG_SPLIT: 0
	.section	.text._ZN7rocprim17ROCPRIM_400000_NS6detail17trampoline_kernelINS0_14default_configENS1_36segmented_radix_sort_config_selectorIalEEZNS1_25segmented_radix_sort_implIS3_Lb0EPKaPaPKlPlN2at6native12_GLOBAL__N_18offset_tEEE10hipError_tPvRmT1_PNSt15iterator_traitsISK_E10value_typeET2_T3_PNSL_ISQ_E10value_typeET4_jRbjT5_SW_jjP12ihipStream_tbEUlT_E0_NS1_11comp_targetILNS1_3genE10ELNS1_11target_archE1200ELNS1_3gpuE4ELNS1_3repE0EEENS1_60segmented_radix_sort_warp_sort_medium_config_static_selectorELNS0_4arch9wavefront6targetE1EEEvSK_,"axG",@progbits,_ZN7rocprim17ROCPRIM_400000_NS6detail17trampoline_kernelINS0_14default_configENS1_36segmented_radix_sort_config_selectorIalEEZNS1_25segmented_radix_sort_implIS3_Lb0EPKaPaPKlPlN2at6native12_GLOBAL__N_18offset_tEEE10hipError_tPvRmT1_PNSt15iterator_traitsISK_E10value_typeET2_T3_PNSL_ISQ_E10value_typeET4_jRbjT5_SW_jjP12ihipStream_tbEUlT_E0_NS1_11comp_targetILNS1_3genE10ELNS1_11target_archE1200ELNS1_3gpuE4ELNS1_3repE0EEENS1_60segmented_radix_sort_warp_sort_medium_config_static_selectorELNS0_4arch9wavefront6targetE1EEEvSK_,comdat
	.globl	_ZN7rocprim17ROCPRIM_400000_NS6detail17trampoline_kernelINS0_14default_configENS1_36segmented_radix_sort_config_selectorIalEEZNS1_25segmented_radix_sort_implIS3_Lb0EPKaPaPKlPlN2at6native12_GLOBAL__N_18offset_tEEE10hipError_tPvRmT1_PNSt15iterator_traitsISK_E10value_typeET2_T3_PNSL_ISQ_E10value_typeET4_jRbjT5_SW_jjP12ihipStream_tbEUlT_E0_NS1_11comp_targetILNS1_3genE10ELNS1_11target_archE1200ELNS1_3gpuE4ELNS1_3repE0EEENS1_60segmented_radix_sort_warp_sort_medium_config_static_selectorELNS0_4arch9wavefront6targetE1EEEvSK_ ; -- Begin function _ZN7rocprim17ROCPRIM_400000_NS6detail17trampoline_kernelINS0_14default_configENS1_36segmented_radix_sort_config_selectorIalEEZNS1_25segmented_radix_sort_implIS3_Lb0EPKaPaPKlPlN2at6native12_GLOBAL__N_18offset_tEEE10hipError_tPvRmT1_PNSt15iterator_traitsISK_E10value_typeET2_T3_PNSL_ISQ_E10value_typeET4_jRbjT5_SW_jjP12ihipStream_tbEUlT_E0_NS1_11comp_targetILNS1_3genE10ELNS1_11target_archE1200ELNS1_3gpuE4ELNS1_3repE0EEENS1_60segmented_radix_sort_warp_sort_medium_config_static_selectorELNS0_4arch9wavefront6targetE1EEEvSK_
	.p2align	8
	.type	_ZN7rocprim17ROCPRIM_400000_NS6detail17trampoline_kernelINS0_14default_configENS1_36segmented_radix_sort_config_selectorIalEEZNS1_25segmented_radix_sort_implIS3_Lb0EPKaPaPKlPlN2at6native12_GLOBAL__N_18offset_tEEE10hipError_tPvRmT1_PNSt15iterator_traitsISK_E10value_typeET2_T3_PNSL_ISQ_E10value_typeET4_jRbjT5_SW_jjP12ihipStream_tbEUlT_E0_NS1_11comp_targetILNS1_3genE10ELNS1_11target_archE1200ELNS1_3gpuE4ELNS1_3repE0EEENS1_60segmented_radix_sort_warp_sort_medium_config_static_selectorELNS0_4arch9wavefront6targetE1EEEvSK_,@function
_ZN7rocprim17ROCPRIM_400000_NS6detail17trampoline_kernelINS0_14default_configENS1_36segmented_radix_sort_config_selectorIalEEZNS1_25segmented_radix_sort_implIS3_Lb0EPKaPaPKlPlN2at6native12_GLOBAL__N_18offset_tEEE10hipError_tPvRmT1_PNSt15iterator_traitsISK_E10value_typeET2_T3_PNSL_ISQ_E10value_typeET4_jRbjT5_SW_jjP12ihipStream_tbEUlT_E0_NS1_11comp_targetILNS1_3genE10ELNS1_11target_archE1200ELNS1_3gpuE4ELNS1_3repE0EEENS1_60segmented_radix_sort_warp_sort_medium_config_static_selectorELNS0_4arch9wavefront6targetE1EEEvSK_: ; @_ZN7rocprim17ROCPRIM_400000_NS6detail17trampoline_kernelINS0_14default_configENS1_36segmented_radix_sort_config_selectorIalEEZNS1_25segmented_radix_sort_implIS3_Lb0EPKaPaPKlPlN2at6native12_GLOBAL__N_18offset_tEEE10hipError_tPvRmT1_PNSt15iterator_traitsISK_E10value_typeET2_T3_PNSL_ISQ_E10value_typeET4_jRbjT5_SW_jjP12ihipStream_tbEUlT_E0_NS1_11comp_targetILNS1_3genE10ELNS1_11target_archE1200ELNS1_3gpuE4ELNS1_3repE0EEENS1_60segmented_radix_sort_warp_sort_medium_config_static_selectorELNS0_4arch9wavefront6targetE1EEEvSK_
; %bb.0:
	.section	.rodata,"a",@progbits
	.p2align	6, 0x0
	.amdhsa_kernel _ZN7rocprim17ROCPRIM_400000_NS6detail17trampoline_kernelINS0_14default_configENS1_36segmented_radix_sort_config_selectorIalEEZNS1_25segmented_radix_sort_implIS3_Lb0EPKaPaPKlPlN2at6native12_GLOBAL__N_18offset_tEEE10hipError_tPvRmT1_PNSt15iterator_traitsISK_E10value_typeET2_T3_PNSL_ISQ_E10value_typeET4_jRbjT5_SW_jjP12ihipStream_tbEUlT_E0_NS1_11comp_targetILNS1_3genE10ELNS1_11target_archE1200ELNS1_3gpuE4ELNS1_3repE0EEENS1_60segmented_radix_sort_warp_sort_medium_config_static_selectorELNS0_4arch9wavefront6targetE1EEEvSK_
		.amdhsa_group_segment_fixed_size 0
		.amdhsa_private_segment_fixed_size 0
		.amdhsa_kernarg_size 88
		.amdhsa_user_sgpr_count 6
		.amdhsa_user_sgpr_private_segment_buffer 1
		.amdhsa_user_sgpr_dispatch_ptr 0
		.amdhsa_user_sgpr_queue_ptr 0
		.amdhsa_user_sgpr_kernarg_segment_ptr 1
		.amdhsa_user_sgpr_dispatch_id 0
		.amdhsa_user_sgpr_flat_scratch_init 0
		.amdhsa_user_sgpr_kernarg_preload_length 0
		.amdhsa_user_sgpr_kernarg_preload_offset 0
		.amdhsa_user_sgpr_private_segment_size 0
		.amdhsa_uses_dynamic_stack 0
		.amdhsa_system_sgpr_private_segment_wavefront_offset 0
		.amdhsa_system_sgpr_workgroup_id_x 1
		.amdhsa_system_sgpr_workgroup_id_y 0
		.amdhsa_system_sgpr_workgroup_id_z 0
		.amdhsa_system_sgpr_workgroup_info 0
		.amdhsa_system_vgpr_workitem_id 0
		.amdhsa_next_free_vgpr 1
		.amdhsa_next_free_sgpr 0
		.amdhsa_accum_offset 4
		.amdhsa_reserve_vcc 0
		.amdhsa_reserve_flat_scratch 0
		.amdhsa_float_round_mode_32 0
		.amdhsa_float_round_mode_16_64 0
		.amdhsa_float_denorm_mode_32 3
		.amdhsa_float_denorm_mode_16_64 3
		.amdhsa_dx10_clamp 1
		.amdhsa_ieee_mode 1
		.amdhsa_fp16_overflow 0
		.amdhsa_tg_split 0
		.amdhsa_exception_fp_ieee_invalid_op 0
		.amdhsa_exception_fp_denorm_src 0
		.amdhsa_exception_fp_ieee_div_zero 0
		.amdhsa_exception_fp_ieee_overflow 0
		.amdhsa_exception_fp_ieee_underflow 0
		.amdhsa_exception_fp_ieee_inexact 0
		.amdhsa_exception_int_div_zero 0
	.end_amdhsa_kernel
	.section	.text._ZN7rocprim17ROCPRIM_400000_NS6detail17trampoline_kernelINS0_14default_configENS1_36segmented_radix_sort_config_selectorIalEEZNS1_25segmented_radix_sort_implIS3_Lb0EPKaPaPKlPlN2at6native12_GLOBAL__N_18offset_tEEE10hipError_tPvRmT1_PNSt15iterator_traitsISK_E10value_typeET2_T3_PNSL_ISQ_E10value_typeET4_jRbjT5_SW_jjP12ihipStream_tbEUlT_E0_NS1_11comp_targetILNS1_3genE10ELNS1_11target_archE1200ELNS1_3gpuE4ELNS1_3repE0EEENS1_60segmented_radix_sort_warp_sort_medium_config_static_selectorELNS0_4arch9wavefront6targetE1EEEvSK_,"axG",@progbits,_ZN7rocprim17ROCPRIM_400000_NS6detail17trampoline_kernelINS0_14default_configENS1_36segmented_radix_sort_config_selectorIalEEZNS1_25segmented_radix_sort_implIS3_Lb0EPKaPaPKlPlN2at6native12_GLOBAL__N_18offset_tEEE10hipError_tPvRmT1_PNSt15iterator_traitsISK_E10value_typeET2_T3_PNSL_ISQ_E10value_typeET4_jRbjT5_SW_jjP12ihipStream_tbEUlT_E0_NS1_11comp_targetILNS1_3genE10ELNS1_11target_archE1200ELNS1_3gpuE4ELNS1_3repE0EEENS1_60segmented_radix_sort_warp_sort_medium_config_static_selectorELNS0_4arch9wavefront6targetE1EEEvSK_,comdat
.Lfunc_end410:
	.size	_ZN7rocprim17ROCPRIM_400000_NS6detail17trampoline_kernelINS0_14default_configENS1_36segmented_radix_sort_config_selectorIalEEZNS1_25segmented_radix_sort_implIS3_Lb0EPKaPaPKlPlN2at6native12_GLOBAL__N_18offset_tEEE10hipError_tPvRmT1_PNSt15iterator_traitsISK_E10value_typeET2_T3_PNSL_ISQ_E10value_typeET4_jRbjT5_SW_jjP12ihipStream_tbEUlT_E0_NS1_11comp_targetILNS1_3genE10ELNS1_11target_archE1200ELNS1_3gpuE4ELNS1_3repE0EEENS1_60segmented_radix_sort_warp_sort_medium_config_static_selectorELNS0_4arch9wavefront6targetE1EEEvSK_, .Lfunc_end410-_ZN7rocprim17ROCPRIM_400000_NS6detail17trampoline_kernelINS0_14default_configENS1_36segmented_radix_sort_config_selectorIalEEZNS1_25segmented_radix_sort_implIS3_Lb0EPKaPaPKlPlN2at6native12_GLOBAL__N_18offset_tEEE10hipError_tPvRmT1_PNSt15iterator_traitsISK_E10value_typeET2_T3_PNSL_ISQ_E10value_typeET4_jRbjT5_SW_jjP12ihipStream_tbEUlT_E0_NS1_11comp_targetILNS1_3genE10ELNS1_11target_archE1200ELNS1_3gpuE4ELNS1_3repE0EEENS1_60segmented_radix_sort_warp_sort_medium_config_static_selectorELNS0_4arch9wavefront6targetE1EEEvSK_
                                        ; -- End function
	.section	.AMDGPU.csdata,"",@progbits
; Kernel info:
; codeLenInByte = 0
; NumSgprs: 4
; NumVgprs: 0
; NumAgprs: 0
; TotalNumVgprs: 0
; ScratchSize: 0
; MemoryBound: 0
; FloatMode: 240
; IeeeMode: 1
; LDSByteSize: 0 bytes/workgroup (compile time only)
; SGPRBlocks: 0
; VGPRBlocks: 0
; NumSGPRsForWavesPerEU: 4
; NumVGPRsForWavesPerEU: 1
; AccumOffset: 4
; Occupancy: 8
; WaveLimiterHint : 0
; COMPUTE_PGM_RSRC2:SCRATCH_EN: 0
; COMPUTE_PGM_RSRC2:USER_SGPR: 6
; COMPUTE_PGM_RSRC2:TRAP_HANDLER: 0
; COMPUTE_PGM_RSRC2:TGID_X_EN: 1
; COMPUTE_PGM_RSRC2:TGID_Y_EN: 0
; COMPUTE_PGM_RSRC2:TGID_Z_EN: 0
; COMPUTE_PGM_RSRC2:TIDIG_COMP_CNT: 0
; COMPUTE_PGM_RSRC3_GFX90A:ACCUM_OFFSET: 0
; COMPUTE_PGM_RSRC3_GFX90A:TG_SPLIT: 0
	.section	.text._ZN7rocprim17ROCPRIM_400000_NS6detail17trampoline_kernelINS0_14default_configENS1_36segmented_radix_sort_config_selectorIalEEZNS1_25segmented_radix_sort_implIS3_Lb0EPKaPaPKlPlN2at6native12_GLOBAL__N_18offset_tEEE10hipError_tPvRmT1_PNSt15iterator_traitsISK_E10value_typeET2_T3_PNSL_ISQ_E10value_typeET4_jRbjT5_SW_jjP12ihipStream_tbEUlT_E0_NS1_11comp_targetILNS1_3genE9ELNS1_11target_archE1100ELNS1_3gpuE3ELNS1_3repE0EEENS1_60segmented_radix_sort_warp_sort_medium_config_static_selectorELNS0_4arch9wavefront6targetE1EEEvSK_,"axG",@progbits,_ZN7rocprim17ROCPRIM_400000_NS6detail17trampoline_kernelINS0_14default_configENS1_36segmented_radix_sort_config_selectorIalEEZNS1_25segmented_radix_sort_implIS3_Lb0EPKaPaPKlPlN2at6native12_GLOBAL__N_18offset_tEEE10hipError_tPvRmT1_PNSt15iterator_traitsISK_E10value_typeET2_T3_PNSL_ISQ_E10value_typeET4_jRbjT5_SW_jjP12ihipStream_tbEUlT_E0_NS1_11comp_targetILNS1_3genE9ELNS1_11target_archE1100ELNS1_3gpuE3ELNS1_3repE0EEENS1_60segmented_radix_sort_warp_sort_medium_config_static_selectorELNS0_4arch9wavefront6targetE1EEEvSK_,comdat
	.globl	_ZN7rocprim17ROCPRIM_400000_NS6detail17trampoline_kernelINS0_14default_configENS1_36segmented_radix_sort_config_selectorIalEEZNS1_25segmented_radix_sort_implIS3_Lb0EPKaPaPKlPlN2at6native12_GLOBAL__N_18offset_tEEE10hipError_tPvRmT1_PNSt15iterator_traitsISK_E10value_typeET2_T3_PNSL_ISQ_E10value_typeET4_jRbjT5_SW_jjP12ihipStream_tbEUlT_E0_NS1_11comp_targetILNS1_3genE9ELNS1_11target_archE1100ELNS1_3gpuE3ELNS1_3repE0EEENS1_60segmented_radix_sort_warp_sort_medium_config_static_selectorELNS0_4arch9wavefront6targetE1EEEvSK_ ; -- Begin function _ZN7rocprim17ROCPRIM_400000_NS6detail17trampoline_kernelINS0_14default_configENS1_36segmented_radix_sort_config_selectorIalEEZNS1_25segmented_radix_sort_implIS3_Lb0EPKaPaPKlPlN2at6native12_GLOBAL__N_18offset_tEEE10hipError_tPvRmT1_PNSt15iterator_traitsISK_E10value_typeET2_T3_PNSL_ISQ_E10value_typeET4_jRbjT5_SW_jjP12ihipStream_tbEUlT_E0_NS1_11comp_targetILNS1_3genE9ELNS1_11target_archE1100ELNS1_3gpuE3ELNS1_3repE0EEENS1_60segmented_radix_sort_warp_sort_medium_config_static_selectorELNS0_4arch9wavefront6targetE1EEEvSK_
	.p2align	8
	.type	_ZN7rocprim17ROCPRIM_400000_NS6detail17trampoline_kernelINS0_14default_configENS1_36segmented_radix_sort_config_selectorIalEEZNS1_25segmented_radix_sort_implIS3_Lb0EPKaPaPKlPlN2at6native12_GLOBAL__N_18offset_tEEE10hipError_tPvRmT1_PNSt15iterator_traitsISK_E10value_typeET2_T3_PNSL_ISQ_E10value_typeET4_jRbjT5_SW_jjP12ihipStream_tbEUlT_E0_NS1_11comp_targetILNS1_3genE9ELNS1_11target_archE1100ELNS1_3gpuE3ELNS1_3repE0EEENS1_60segmented_radix_sort_warp_sort_medium_config_static_selectorELNS0_4arch9wavefront6targetE1EEEvSK_,@function
_ZN7rocprim17ROCPRIM_400000_NS6detail17trampoline_kernelINS0_14default_configENS1_36segmented_radix_sort_config_selectorIalEEZNS1_25segmented_radix_sort_implIS3_Lb0EPKaPaPKlPlN2at6native12_GLOBAL__N_18offset_tEEE10hipError_tPvRmT1_PNSt15iterator_traitsISK_E10value_typeET2_T3_PNSL_ISQ_E10value_typeET4_jRbjT5_SW_jjP12ihipStream_tbEUlT_E0_NS1_11comp_targetILNS1_3genE9ELNS1_11target_archE1100ELNS1_3gpuE3ELNS1_3repE0EEENS1_60segmented_radix_sort_warp_sort_medium_config_static_selectorELNS0_4arch9wavefront6targetE1EEEvSK_: ; @_ZN7rocprim17ROCPRIM_400000_NS6detail17trampoline_kernelINS0_14default_configENS1_36segmented_radix_sort_config_selectorIalEEZNS1_25segmented_radix_sort_implIS3_Lb0EPKaPaPKlPlN2at6native12_GLOBAL__N_18offset_tEEE10hipError_tPvRmT1_PNSt15iterator_traitsISK_E10value_typeET2_T3_PNSL_ISQ_E10value_typeET4_jRbjT5_SW_jjP12ihipStream_tbEUlT_E0_NS1_11comp_targetILNS1_3genE9ELNS1_11target_archE1100ELNS1_3gpuE3ELNS1_3repE0EEENS1_60segmented_radix_sort_warp_sort_medium_config_static_selectorELNS0_4arch9wavefront6targetE1EEEvSK_
; %bb.0:
	.section	.rodata,"a",@progbits
	.p2align	6, 0x0
	.amdhsa_kernel _ZN7rocprim17ROCPRIM_400000_NS6detail17trampoline_kernelINS0_14default_configENS1_36segmented_radix_sort_config_selectorIalEEZNS1_25segmented_radix_sort_implIS3_Lb0EPKaPaPKlPlN2at6native12_GLOBAL__N_18offset_tEEE10hipError_tPvRmT1_PNSt15iterator_traitsISK_E10value_typeET2_T3_PNSL_ISQ_E10value_typeET4_jRbjT5_SW_jjP12ihipStream_tbEUlT_E0_NS1_11comp_targetILNS1_3genE9ELNS1_11target_archE1100ELNS1_3gpuE3ELNS1_3repE0EEENS1_60segmented_radix_sort_warp_sort_medium_config_static_selectorELNS0_4arch9wavefront6targetE1EEEvSK_
		.amdhsa_group_segment_fixed_size 0
		.amdhsa_private_segment_fixed_size 0
		.amdhsa_kernarg_size 88
		.amdhsa_user_sgpr_count 6
		.amdhsa_user_sgpr_private_segment_buffer 1
		.amdhsa_user_sgpr_dispatch_ptr 0
		.amdhsa_user_sgpr_queue_ptr 0
		.amdhsa_user_sgpr_kernarg_segment_ptr 1
		.amdhsa_user_sgpr_dispatch_id 0
		.amdhsa_user_sgpr_flat_scratch_init 0
		.amdhsa_user_sgpr_kernarg_preload_length 0
		.amdhsa_user_sgpr_kernarg_preload_offset 0
		.amdhsa_user_sgpr_private_segment_size 0
		.amdhsa_uses_dynamic_stack 0
		.amdhsa_system_sgpr_private_segment_wavefront_offset 0
		.amdhsa_system_sgpr_workgroup_id_x 1
		.amdhsa_system_sgpr_workgroup_id_y 0
		.amdhsa_system_sgpr_workgroup_id_z 0
		.amdhsa_system_sgpr_workgroup_info 0
		.amdhsa_system_vgpr_workitem_id 0
		.amdhsa_next_free_vgpr 1
		.amdhsa_next_free_sgpr 0
		.amdhsa_accum_offset 4
		.amdhsa_reserve_vcc 0
		.amdhsa_reserve_flat_scratch 0
		.amdhsa_float_round_mode_32 0
		.amdhsa_float_round_mode_16_64 0
		.amdhsa_float_denorm_mode_32 3
		.amdhsa_float_denorm_mode_16_64 3
		.amdhsa_dx10_clamp 1
		.amdhsa_ieee_mode 1
		.amdhsa_fp16_overflow 0
		.amdhsa_tg_split 0
		.amdhsa_exception_fp_ieee_invalid_op 0
		.amdhsa_exception_fp_denorm_src 0
		.amdhsa_exception_fp_ieee_div_zero 0
		.amdhsa_exception_fp_ieee_overflow 0
		.amdhsa_exception_fp_ieee_underflow 0
		.amdhsa_exception_fp_ieee_inexact 0
		.amdhsa_exception_int_div_zero 0
	.end_amdhsa_kernel
	.section	.text._ZN7rocprim17ROCPRIM_400000_NS6detail17trampoline_kernelINS0_14default_configENS1_36segmented_radix_sort_config_selectorIalEEZNS1_25segmented_radix_sort_implIS3_Lb0EPKaPaPKlPlN2at6native12_GLOBAL__N_18offset_tEEE10hipError_tPvRmT1_PNSt15iterator_traitsISK_E10value_typeET2_T3_PNSL_ISQ_E10value_typeET4_jRbjT5_SW_jjP12ihipStream_tbEUlT_E0_NS1_11comp_targetILNS1_3genE9ELNS1_11target_archE1100ELNS1_3gpuE3ELNS1_3repE0EEENS1_60segmented_radix_sort_warp_sort_medium_config_static_selectorELNS0_4arch9wavefront6targetE1EEEvSK_,"axG",@progbits,_ZN7rocprim17ROCPRIM_400000_NS6detail17trampoline_kernelINS0_14default_configENS1_36segmented_radix_sort_config_selectorIalEEZNS1_25segmented_radix_sort_implIS3_Lb0EPKaPaPKlPlN2at6native12_GLOBAL__N_18offset_tEEE10hipError_tPvRmT1_PNSt15iterator_traitsISK_E10value_typeET2_T3_PNSL_ISQ_E10value_typeET4_jRbjT5_SW_jjP12ihipStream_tbEUlT_E0_NS1_11comp_targetILNS1_3genE9ELNS1_11target_archE1100ELNS1_3gpuE3ELNS1_3repE0EEENS1_60segmented_radix_sort_warp_sort_medium_config_static_selectorELNS0_4arch9wavefront6targetE1EEEvSK_,comdat
.Lfunc_end411:
	.size	_ZN7rocprim17ROCPRIM_400000_NS6detail17trampoline_kernelINS0_14default_configENS1_36segmented_radix_sort_config_selectorIalEEZNS1_25segmented_radix_sort_implIS3_Lb0EPKaPaPKlPlN2at6native12_GLOBAL__N_18offset_tEEE10hipError_tPvRmT1_PNSt15iterator_traitsISK_E10value_typeET2_T3_PNSL_ISQ_E10value_typeET4_jRbjT5_SW_jjP12ihipStream_tbEUlT_E0_NS1_11comp_targetILNS1_3genE9ELNS1_11target_archE1100ELNS1_3gpuE3ELNS1_3repE0EEENS1_60segmented_radix_sort_warp_sort_medium_config_static_selectorELNS0_4arch9wavefront6targetE1EEEvSK_, .Lfunc_end411-_ZN7rocprim17ROCPRIM_400000_NS6detail17trampoline_kernelINS0_14default_configENS1_36segmented_radix_sort_config_selectorIalEEZNS1_25segmented_radix_sort_implIS3_Lb0EPKaPaPKlPlN2at6native12_GLOBAL__N_18offset_tEEE10hipError_tPvRmT1_PNSt15iterator_traitsISK_E10value_typeET2_T3_PNSL_ISQ_E10value_typeET4_jRbjT5_SW_jjP12ihipStream_tbEUlT_E0_NS1_11comp_targetILNS1_3genE9ELNS1_11target_archE1100ELNS1_3gpuE3ELNS1_3repE0EEENS1_60segmented_radix_sort_warp_sort_medium_config_static_selectorELNS0_4arch9wavefront6targetE1EEEvSK_
                                        ; -- End function
	.section	.AMDGPU.csdata,"",@progbits
; Kernel info:
; codeLenInByte = 0
; NumSgprs: 4
; NumVgprs: 0
; NumAgprs: 0
; TotalNumVgprs: 0
; ScratchSize: 0
; MemoryBound: 0
; FloatMode: 240
; IeeeMode: 1
; LDSByteSize: 0 bytes/workgroup (compile time only)
; SGPRBlocks: 0
; VGPRBlocks: 0
; NumSGPRsForWavesPerEU: 4
; NumVGPRsForWavesPerEU: 1
; AccumOffset: 4
; Occupancy: 8
; WaveLimiterHint : 0
; COMPUTE_PGM_RSRC2:SCRATCH_EN: 0
; COMPUTE_PGM_RSRC2:USER_SGPR: 6
; COMPUTE_PGM_RSRC2:TRAP_HANDLER: 0
; COMPUTE_PGM_RSRC2:TGID_X_EN: 1
; COMPUTE_PGM_RSRC2:TGID_Y_EN: 0
; COMPUTE_PGM_RSRC2:TGID_Z_EN: 0
; COMPUTE_PGM_RSRC2:TIDIG_COMP_CNT: 0
; COMPUTE_PGM_RSRC3_GFX90A:ACCUM_OFFSET: 0
; COMPUTE_PGM_RSRC3_GFX90A:TG_SPLIT: 0
	.section	.text._ZN7rocprim17ROCPRIM_400000_NS6detail17trampoline_kernelINS0_14default_configENS1_36segmented_radix_sort_config_selectorIalEEZNS1_25segmented_radix_sort_implIS3_Lb0EPKaPaPKlPlN2at6native12_GLOBAL__N_18offset_tEEE10hipError_tPvRmT1_PNSt15iterator_traitsISK_E10value_typeET2_T3_PNSL_ISQ_E10value_typeET4_jRbjT5_SW_jjP12ihipStream_tbEUlT_E0_NS1_11comp_targetILNS1_3genE8ELNS1_11target_archE1030ELNS1_3gpuE2ELNS1_3repE0EEENS1_60segmented_radix_sort_warp_sort_medium_config_static_selectorELNS0_4arch9wavefront6targetE1EEEvSK_,"axG",@progbits,_ZN7rocprim17ROCPRIM_400000_NS6detail17trampoline_kernelINS0_14default_configENS1_36segmented_radix_sort_config_selectorIalEEZNS1_25segmented_radix_sort_implIS3_Lb0EPKaPaPKlPlN2at6native12_GLOBAL__N_18offset_tEEE10hipError_tPvRmT1_PNSt15iterator_traitsISK_E10value_typeET2_T3_PNSL_ISQ_E10value_typeET4_jRbjT5_SW_jjP12ihipStream_tbEUlT_E0_NS1_11comp_targetILNS1_3genE8ELNS1_11target_archE1030ELNS1_3gpuE2ELNS1_3repE0EEENS1_60segmented_radix_sort_warp_sort_medium_config_static_selectorELNS0_4arch9wavefront6targetE1EEEvSK_,comdat
	.globl	_ZN7rocprim17ROCPRIM_400000_NS6detail17trampoline_kernelINS0_14default_configENS1_36segmented_radix_sort_config_selectorIalEEZNS1_25segmented_radix_sort_implIS3_Lb0EPKaPaPKlPlN2at6native12_GLOBAL__N_18offset_tEEE10hipError_tPvRmT1_PNSt15iterator_traitsISK_E10value_typeET2_T3_PNSL_ISQ_E10value_typeET4_jRbjT5_SW_jjP12ihipStream_tbEUlT_E0_NS1_11comp_targetILNS1_3genE8ELNS1_11target_archE1030ELNS1_3gpuE2ELNS1_3repE0EEENS1_60segmented_radix_sort_warp_sort_medium_config_static_selectorELNS0_4arch9wavefront6targetE1EEEvSK_ ; -- Begin function _ZN7rocprim17ROCPRIM_400000_NS6detail17trampoline_kernelINS0_14default_configENS1_36segmented_radix_sort_config_selectorIalEEZNS1_25segmented_radix_sort_implIS3_Lb0EPKaPaPKlPlN2at6native12_GLOBAL__N_18offset_tEEE10hipError_tPvRmT1_PNSt15iterator_traitsISK_E10value_typeET2_T3_PNSL_ISQ_E10value_typeET4_jRbjT5_SW_jjP12ihipStream_tbEUlT_E0_NS1_11comp_targetILNS1_3genE8ELNS1_11target_archE1030ELNS1_3gpuE2ELNS1_3repE0EEENS1_60segmented_radix_sort_warp_sort_medium_config_static_selectorELNS0_4arch9wavefront6targetE1EEEvSK_
	.p2align	8
	.type	_ZN7rocprim17ROCPRIM_400000_NS6detail17trampoline_kernelINS0_14default_configENS1_36segmented_radix_sort_config_selectorIalEEZNS1_25segmented_radix_sort_implIS3_Lb0EPKaPaPKlPlN2at6native12_GLOBAL__N_18offset_tEEE10hipError_tPvRmT1_PNSt15iterator_traitsISK_E10value_typeET2_T3_PNSL_ISQ_E10value_typeET4_jRbjT5_SW_jjP12ihipStream_tbEUlT_E0_NS1_11comp_targetILNS1_3genE8ELNS1_11target_archE1030ELNS1_3gpuE2ELNS1_3repE0EEENS1_60segmented_radix_sort_warp_sort_medium_config_static_selectorELNS0_4arch9wavefront6targetE1EEEvSK_,@function
_ZN7rocprim17ROCPRIM_400000_NS6detail17trampoline_kernelINS0_14default_configENS1_36segmented_radix_sort_config_selectorIalEEZNS1_25segmented_radix_sort_implIS3_Lb0EPKaPaPKlPlN2at6native12_GLOBAL__N_18offset_tEEE10hipError_tPvRmT1_PNSt15iterator_traitsISK_E10value_typeET2_T3_PNSL_ISQ_E10value_typeET4_jRbjT5_SW_jjP12ihipStream_tbEUlT_E0_NS1_11comp_targetILNS1_3genE8ELNS1_11target_archE1030ELNS1_3gpuE2ELNS1_3repE0EEENS1_60segmented_radix_sort_warp_sort_medium_config_static_selectorELNS0_4arch9wavefront6targetE1EEEvSK_: ; @_ZN7rocprim17ROCPRIM_400000_NS6detail17trampoline_kernelINS0_14default_configENS1_36segmented_radix_sort_config_selectorIalEEZNS1_25segmented_radix_sort_implIS3_Lb0EPKaPaPKlPlN2at6native12_GLOBAL__N_18offset_tEEE10hipError_tPvRmT1_PNSt15iterator_traitsISK_E10value_typeET2_T3_PNSL_ISQ_E10value_typeET4_jRbjT5_SW_jjP12ihipStream_tbEUlT_E0_NS1_11comp_targetILNS1_3genE8ELNS1_11target_archE1030ELNS1_3gpuE2ELNS1_3repE0EEENS1_60segmented_radix_sort_warp_sort_medium_config_static_selectorELNS0_4arch9wavefront6targetE1EEEvSK_
; %bb.0:
	.section	.rodata,"a",@progbits
	.p2align	6, 0x0
	.amdhsa_kernel _ZN7rocprim17ROCPRIM_400000_NS6detail17trampoline_kernelINS0_14default_configENS1_36segmented_radix_sort_config_selectorIalEEZNS1_25segmented_radix_sort_implIS3_Lb0EPKaPaPKlPlN2at6native12_GLOBAL__N_18offset_tEEE10hipError_tPvRmT1_PNSt15iterator_traitsISK_E10value_typeET2_T3_PNSL_ISQ_E10value_typeET4_jRbjT5_SW_jjP12ihipStream_tbEUlT_E0_NS1_11comp_targetILNS1_3genE8ELNS1_11target_archE1030ELNS1_3gpuE2ELNS1_3repE0EEENS1_60segmented_radix_sort_warp_sort_medium_config_static_selectorELNS0_4arch9wavefront6targetE1EEEvSK_
		.amdhsa_group_segment_fixed_size 0
		.amdhsa_private_segment_fixed_size 0
		.amdhsa_kernarg_size 88
		.amdhsa_user_sgpr_count 6
		.amdhsa_user_sgpr_private_segment_buffer 1
		.amdhsa_user_sgpr_dispatch_ptr 0
		.amdhsa_user_sgpr_queue_ptr 0
		.amdhsa_user_sgpr_kernarg_segment_ptr 1
		.amdhsa_user_sgpr_dispatch_id 0
		.amdhsa_user_sgpr_flat_scratch_init 0
		.amdhsa_user_sgpr_kernarg_preload_length 0
		.amdhsa_user_sgpr_kernarg_preload_offset 0
		.amdhsa_user_sgpr_private_segment_size 0
		.amdhsa_uses_dynamic_stack 0
		.amdhsa_system_sgpr_private_segment_wavefront_offset 0
		.amdhsa_system_sgpr_workgroup_id_x 1
		.amdhsa_system_sgpr_workgroup_id_y 0
		.amdhsa_system_sgpr_workgroup_id_z 0
		.amdhsa_system_sgpr_workgroup_info 0
		.amdhsa_system_vgpr_workitem_id 0
		.amdhsa_next_free_vgpr 1
		.amdhsa_next_free_sgpr 0
		.amdhsa_accum_offset 4
		.amdhsa_reserve_vcc 0
		.amdhsa_reserve_flat_scratch 0
		.amdhsa_float_round_mode_32 0
		.amdhsa_float_round_mode_16_64 0
		.amdhsa_float_denorm_mode_32 3
		.amdhsa_float_denorm_mode_16_64 3
		.amdhsa_dx10_clamp 1
		.amdhsa_ieee_mode 1
		.amdhsa_fp16_overflow 0
		.amdhsa_tg_split 0
		.amdhsa_exception_fp_ieee_invalid_op 0
		.amdhsa_exception_fp_denorm_src 0
		.amdhsa_exception_fp_ieee_div_zero 0
		.amdhsa_exception_fp_ieee_overflow 0
		.amdhsa_exception_fp_ieee_underflow 0
		.amdhsa_exception_fp_ieee_inexact 0
		.amdhsa_exception_int_div_zero 0
	.end_amdhsa_kernel
	.section	.text._ZN7rocprim17ROCPRIM_400000_NS6detail17trampoline_kernelINS0_14default_configENS1_36segmented_radix_sort_config_selectorIalEEZNS1_25segmented_radix_sort_implIS3_Lb0EPKaPaPKlPlN2at6native12_GLOBAL__N_18offset_tEEE10hipError_tPvRmT1_PNSt15iterator_traitsISK_E10value_typeET2_T3_PNSL_ISQ_E10value_typeET4_jRbjT5_SW_jjP12ihipStream_tbEUlT_E0_NS1_11comp_targetILNS1_3genE8ELNS1_11target_archE1030ELNS1_3gpuE2ELNS1_3repE0EEENS1_60segmented_radix_sort_warp_sort_medium_config_static_selectorELNS0_4arch9wavefront6targetE1EEEvSK_,"axG",@progbits,_ZN7rocprim17ROCPRIM_400000_NS6detail17trampoline_kernelINS0_14default_configENS1_36segmented_radix_sort_config_selectorIalEEZNS1_25segmented_radix_sort_implIS3_Lb0EPKaPaPKlPlN2at6native12_GLOBAL__N_18offset_tEEE10hipError_tPvRmT1_PNSt15iterator_traitsISK_E10value_typeET2_T3_PNSL_ISQ_E10value_typeET4_jRbjT5_SW_jjP12ihipStream_tbEUlT_E0_NS1_11comp_targetILNS1_3genE8ELNS1_11target_archE1030ELNS1_3gpuE2ELNS1_3repE0EEENS1_60segmented_radix_sort_warp_sort_medium_config_static_selectorELNS0_4arch9wavefront6targetE1EEEvSK_,comdat
.Lfunc_end412:
	.size	_ZN7rocprim17ROCPRIM_400000_NS6detail17trampoline_kernelINS0_14default_configENS1_36segmented_radix_sort_config_selectorIalEEZNS1_25segmented_radix_sort_implIS3_Lb0EPKaPaPKlPlN2at6native12_GLOBAL__N_18offset_tEEE10hipError_tPvRmT1_PNSt15iterator_traitsISK_E10value_typeET2_T3_PNSL_ISQ_E10value_typeET4_jRbjT5_SW_jjP12ihipStream_tbEUlT_E0_NS1_11comp_targetILNS1_3genE8ELNS1_11target_archE1030ELNS1_3gpuE2ELNS1_3repE0EEENS1_60segmented_radix_sort_warp_sort_medium_config_static_selectorELNS0_4arch9wavefront6targetE1EEEvSK_, .Lfunc_end412-_ZN7rocprim17ROCPRIM_400000_NS6detail17trampoline_kernelINS0_14default_configENS1_36segmented_radix_sort_config_selectorIalEEZNS1_25segmented_radix_sort_implIS3_Lb0EPKaPaPKlPlN2at6native12_GLOBAL__N_18offset_tEEE10hipError_tPvRmT1_PNSt15iterator_traitsISK_E10value_typeET2_T3_PNSL_ISQ_E10value_typeET4_jRbjT5_SW_jjP12ihipStream_tbEUlT_E0_NS1_11comp_targetILNS1_3genE8ELNS1_11target_archE1030ELNS1_3gpuE2ELNS1_3repE0EEENS1_60segmented_radix_sort_warp_sort_medium_config_static_selectorELNS0_4arch9wavefront6targetE1EEEvSK_
                                        ; -- End function
	.section	.AMDGPU.csdata,"",@progbits
; Kernel info:
; codeLenInByte = 0
; NumSgprs: 4
; NumVgprs: 0
; NumAgprs: 0
; TotalNumVgprs: 0
; ScratchSize: 0
; MemoryBound: 0
; FloatMode: 240
; IeeeMode: 1
; LDSByteSize: 0 bytes/workgroup (compile time only)
; SGPRBlocks: 0
; VGPRBlocks: 0
; NumSGPRsForWavesPerEU: 4
; NumVGPRsForWavesPerEU: 1
; AccumOffset: 4
; Occupancy: 8
; WaveLimiterHint : 0
; COMPUTE_PGM_RSRC2:SCRATCH_EN: 0
; COMPUTE_PGM_RSRC2:USER_SGPR: 6
; COMPUTE_PGM_RSRC2:TRAP_HANDLER: 0
; COMPUTE_PGM_RSRC2:TGID_X_EN: 1
; COMPUTE_PGM_RSRC2:TGID_Y_EN: 0
; COMPUTE_PGM_RSRC2:TGID_Z_EN: 0
; COMPUTE_PGM_RSRC2:TIDIG_COMP_CNT: 0
; COMPUTE_PGM_RSRC3_GFX90A:ACCUM_OFFSET: 0
; COMPUTE_PGM_RSRC3_GFX90A:TG_SPLIT: 0
	.section	.text._ZN7rocprim17ROCPRIM_400000_NS6detail17trampoline_kernelINS0_14default_configENS1_36segmented_radix_sort_config_selectorIalEEZNS1_25segmented_radix_sort_implIS3_Lb0EPKaPaPKlPlN2at6native12_GLOBAL__N_18offset_tEEE10hipError_tPvRmT1_PNSt15iterator_traitsISK_E10value_typeET2_T3_PNSL_ISQ_E10value_typeET4_jRbjT5_SW_jjP12ihipStream_tbEUlT_E1_NS1_11comp_targetILNS1_3genE0ELNS1_11target_archE4294967295ELNS1_3gpuE0ELNS1_3repE0EEENS1_59segmented_radix_sort_warp_sort_small_config_static_selectorELNS0_4arch9wavefront6targetE1EEEvSK_,"axG",@progbits,_ZN7rocprim17ROCPRIM_400000_NS6detail17trampoline_kernelINS0_14default_configENS1_36segmented_radix_sort_config_selectorIalEEZNS1_25segmented_radix_sort_implIS3_Lb0EPKaPaPKlPlN2at6native12_GLOBAL__N_18offset_tEEE10hipError_tPvRmT1_PNSt15iterator_traitsISK_E10value_typeET2_T3_PNSL_ISQ_E10value_typeET4_jRbjT5_SW_jjP12ihipStream_tbEUlT_E1_NS1_11comp_targetILNS1_3genE0ELNS1_11target_archE4294967295ELNS1_3gpuE0ELNS1_3repE0EEENS1_59segmented_radix_sort_warp_sort_small_config_static_selectorELNS0_4arch9wavefront6targetE1EEEvSK_,comdat
	.globl	_ZN7rocprim17ROCPRIM_400000_NS6detail17trampoline_kernelINS0_14default_configENS1_36segmented_radix_sort_config_selectorIalEEZNS1_25segmented_radix_sort_implIS3_Lb0EPKaPaPKlPlN2at6native12_GLOBAL__N_18offset_tEEE10hipError_tPvRmT1_PNSt15iterator_traitsISK_E10value_typeET2_T3_PNSL_ISQ_E10value_typeET4_jRbjT5_SW_jjP12ihipStream_tbEUlT_E1_NS1_11comp_targetILNS1_3genE0ELNS1_11target_archE4294967295ELNS1_3gpuE0ELNS1_3repE0EEENS1_59segmented_radix_sort_warp_sort_small_config_static_selectorELNS0_4arch9wavefront6targetE1EEEvSK_ ; -- Begin function _ZN7rocprim17ROCPRIM_400000_NS6detail17trampoline_kernelINS0_14default_configENS1_36segmented_radix_sort_config_selectorIalEEZNS1_25segmented_radix_sort_implIS3_Lb0EPKaPaPKlPlN2at6native12_GLOBAL__N_18offset_tEEE10hipError_tPvRmT1_PNSt15iterator_traitsISK_E10value_typeET2_T3_PNSL_ISQ_E10value_typeET4_jRbjT5_SW_jjP12ihipStream_tbEUlT_E1_NS1_11comp_targetILNS1_3genE0ELNS1_11target_archE4294967295ELNS1_3gpuE0ELNS1_3repE0EEENS1_59segmented_radix_sort_warp_sort_small_config_static_selectorELNS0_4arch9wavefront6targetE1EEEvSK_
	.p2align	8
	.type	_ZN7rocprim17ROCPRIM_400000_NS6detail17trampoline_kernelINS0_14default_configENS1_36segmented_radix_sort_config_selectorIalEEZNS1_25segmented_radix_sort_implIS3_Lb0EPKaPaPKlPlN2at6native12_GLOBAL__N_18offset_tEEE10hipError_tPvRmT1_PNSt15iterator_traitsISK_E10value_typeET2_T3_PNSL_ISQ_E10value_typeET4_jRbjT5_SW_jjP12ihipStream_tbEUlT_E1_NS1_11comp_targetILNS1_3genE0ELNS1_11target_archE4294967295ELNS1_3gpuE0ELNS1_3repE0EEENS1_59segmented_radix_sort_warp_sort_small_config_static_selectorELNS0_4arch9wavefront6targetE1EEEvSK_,@function
_ZN7rocprim17ROCPRIM_400000_NS6detail17trampoline_kernelINS0_14default_configENS1_36segmented_radix_sort_config_selectorIalEEZNS1_25segmented_radix_sort_implIS3_Lb0EPKaPaPKlPlN2at6native12_GLOBAL__N_18offset_tEEE10hipError_tPvRmT1_PNSt15iterator_traitsISK_E10value_typeET2_T3_PNSL_ISQ_E10value_typeET4_jRbjT5_SW_jjP12ihipStream_tbEUlT_E1_NS1_11comp_targetILNS1_3genE0ELNS1_11target_archE4294967295ELNS1_3gpuE0ELNS1_3repE0EEENS1_59segmented_radix_sort_warp_sort_small_config_static_selectorELNS0_4arch9wavefront6targetE1EEEvSK_: ; @_ZN7rocprim17ROCPRIM_400000_NS6detail17trampoline_kernelINS0_14default_configENS1_36segmented_radix_sort_config_selectorIalEEZNS1_25segmented_radix_sort_implIS3_Lb0EPKaPaPKlPlN2at6native12_GLOBAL__N_18offset_tEEE10hipError_tPvRmT1_PNSt15iterator_traitsISK_E10value_typeET2_T3_PNSL_ISQ_E10value_typeET4_jRbjT5_SW_jjP12ihipStream_tbEUlT_E1_NS1_11comp_targetILNS1_3genE0ELNS1_11target_archE4294967295ELNS1_3gpuE0ELNS1_3repE0EEENS1_59segmented_radix_sort_warp_sort_small_config_static_selectorELNS0_4arch9wavefront6targetE1EEEvSK_
; %bb.0:
	.section	.rodata,"a",@progbits
	.p2align	6, 0x0
	.amdhsa_kernel _ZN7rocprim17ROCPRIM_400000_NS6detail17trampoline_kernelINS0_14default_configENS1_36segmented_radix_sort_config_selectorIalEEZNS1_25segmented_radix_sort_implIS3_Lb0EPKaPaPKlPlN2at6native12_GLOBAL__N_18offset_tEEE10hipError_tPvRmT1_PNSt15iterator_traitsISK_E10value_typeET2_T3_PNSL_ISQ_E10value_typeET4_jRbjT5_SW_jjP12ihipStream_tbEUlT_E1_NS1_11comp_targetILNS1_3genE0ELNS1_11target_archE4294967295ELNS1_3gpuE0ELNS1_3repE0EEENS1_59segmented_radix_sort_warp_sort_small_config_static_selectorELNS0_4arch9wavefront6targetE1EEEvSK_
		.amdhsa_group_segment_fixed_size 0
		.amdhsa_private_segment_fixed_size 0
		.amdhsa_kernarg_size 88
		.amdhsa_user_sgpr_count 6
		.amdhsa_user_sgpr_private_segment_buffer 1
		.amdhsa_user_sgpr_dispatch_ptr 0
		.amdhsa_user_sgpr_queue_ptr 0
		.amdhsa_user_sgpr_kernarg_segment_ptr 1
		.amdhsa_user_sgpr_dispatch_id 0
		.amdhsa_user_sgpr_flat_scratch_init 0
		.amdhsa_user_sgpr_kernarg_preload_length 0
		.amdhsa_user_sgpr_kernarg_preload_offset 0
		.amdhsa_user_sgpr_private_segment_size 0
		.amdhsa_uses_dynamic_stack 0
		.amdhsa_system_sgpr_private_segment_wavefront_offset 0
		.amdhsa_system_sgpr_workgroup_id_x 1
		.amdhsa_system_sgpr_workgroup_id_y 0
		.amdhsa_system_sgpr_workgroup_id_z 0
		.amdhsa_system_sgpr_workgroup_info 0
		.amdhsa_system_vgpr_workitem_id 0
		.amdhsa_next_free_vgpr 1
		.amdhsa_next_free_sgpr 0
		.amdhsa_accum_offset 4
		.amdhsa_reserve_vcc 0
		.amdhsa_reserve_flat_scratch 0
		.amdhsa_float_round_mode_32 0
		.amdhsa_float_round_mode_16_64 0
		.amdhsa_float_denorm_mode_32 3
		.amdhsa_float_denorm_mode_16_64 3
		.amdhsa_dx10_clamp 1
		.amdhsa_ieee_mode 1
		.amdhsa_fp16_overflow 0
		.amdhsa_tg_split 0
		.amdhsa_exception_fp_ieee_invalid_op 0
		.amdhsa_exception_fp_denorm_src 0
		.amdhsa_exception_fp_ieee_div_zero 0
		.amdhsa_exception_fp_ieee_overflow 0
		.amdhsa_exception_fp_ieee_underflow 0
		.amdhsa_exception_fp_ieee_inexact 0
		.amdhsa_exception_int_div_zero 0
	.end_amdhsa_kernel
	.section	.text._ZN7rocprim17ROCPRIM_400000_NS6detail17trampoline_kernelINS0_14default_configENS1_36segmented_radix_sort_config_selectorIalEEZNS1_25segmented_radix_sort_implIS3_Lb0EPKaPaPKlPlN2at6native12_GLOBAL__N_18offset_tEEE10hipError_tPvRmT1_PNSt15iterator_traitsISK_E10value_typeET2_T3_PNSL_ISQ_E10value_typeET4_jRbjT5_SW_jjP12ihipStream_tbEUlT_E1_NS1_11comp_targetILNS1_3genE0ELNS1_11target_archE4294967295ELNS1_3gpuE0ELNS1_3repE0EEENS1_59segmented_radix_sort_warp_sort_small_config_static_selectorELNS0_4arch9wavefront6targetE1EEEvSK_,"axG",@progbits,_ZN7rocprim17ROCPRIM_400000_NS6detail17trampoline_kernelINS0_14default_configENS1_36segmented_radix_sort_config_selectorIalEEZNS1_25segmented_radix_sort_implIS3_Lb0EPKaPaPKlPlN2at6native12_GLOBAL__N_18offset_tEEE10hipError_tPvRmT1_PNSt15iterator_traitsISK_E10value_typeET2_T3_PNSL_ISQ_E10value_typeET4_jRbjT5_SW_jjP12ihipStream_tbEUlT_E1_NS1_11comp_targetILNS1_3genE0ELNS1_11target_archE4294967295ELNS1_3gpuE0ELNS1_3repE0EEENS1_59segmented_radix_sort_warp_sort_small_config_static_selectorELNS0_4arch9wavefront6targetE1EEEvSK_,comdat
.Lfunc_end413:
	.size	_ZN7rocprim17ROCPRIM_400000_NS6detail17trampoline_kernelINS0_14default_configENS1_36segmented_radix_sort_config_selectorIalEEZNS1_25segmented_radix_sort_implIS3_Lb0EPKaPaPKlPlN2at6native12_GLOBAL__N_18offset_tEEE10hipError_tPvRmT1_PNSt15iterator_traitsISK_E10value_typeET2_T3_PNSL_ISQ_E10value_typeET4_jRbjT5_SW_jjP12ihipStream_tbEUlT_E1_NS1_11comp_targetILNS1_3genE0ELNS1_11target_archE4294967295ELNS1_3gpuE0ELNS1_3repE0EEENS1_59segmented_radix_sort_warp_sort_small_config_static_selectorELNS0_4arch9wavefront6targetE1EEEvSK_, .Lfunc_end413-_ZN7rocprim17ROCPRIM_400000_NS6detail17trampoline_kernelINS0_14default_configENS1_36segmented_radix_sort_config_selectorIalEEZNS1_25segmented_radix_sort_implIS3_Lb0EPKaPaPKlPlN2at6native12_GLOBAL__N_18offset_tEEE10hipError_tPvRmT1_PNSt15iterator_traitsISK_E10value_typeET2_T3_PNSL_ISQ_E10value_typeET4_jRbjT5_SW_jjP12ihipStream_tbEUlT_E1_NS1_11comp_targetILNS1_3genE0ELNS1_11target_archE4294967295ELNS1_3gpuE0ELNS1_3repE0EEENS1_59segmented_radix_sort_warp_sort_small_config_static_selectorELNS0_4arch9wavefront6targetE1EEEvSK_
                                        ; -- End function
	.section	.AMDGPU.csdata,"",@progbits
; Kernel info:
; codeLenInByte = 0
; NumSgprs: 4
; NumVgprs: 0
; NumAgprs: 0
; TotalNumVgprs: 0
; ScratchSize: 0
; MemoryBound: 0
; FloatMode: 240
; IeeeMode: 1
; LDSByteSize: 0 bytes/workgroup (compile time only)
; SGPRBlocks: 0
; VGPRBlocks: 0
; NumSGPRsForWavesPerEU: 4
; NumVGPRsForWavesPerEU: 1
; AccumOffset: 4
; Occupancy: 8
; WaveLimiterHint : 0
; COMPUTE_PGM_RSRC2:SCRATCH_EN: 0
; COMPUTE_PGM_RSRC2:USER_SGPR: 6
; COMPUTE_PGM_RSRC2:TRAP_HANDLER: 0
; COMPUTE_PGM_RSRC2:TGID_X_EN: 1
; COMPUTE_PGM_RSRC2:TGID_Y_EN: 0
; COMPUTE_PGM_RSRC2:TGID_Z_EN: 0
; COMPUTE_PGM_RSRC2:TIDIG_COMP_CNT: 0
; COMPUTE_PGM_RSRC3_GFX90A:ACCUM_OFFSET: 0
; COMPUTE_PGM_RSRC3_GFX90A:TG_SPLIT: 0
	.section	.text._ZN7rocprim17ROCPRIM_400000_NS6detail17trampoline_kernelINS0_14default_configENS1_36segmented_radix_sort_config_selectorIalEEZNS1_25segmented_radix_sort_implIS3_Lb0EPKaPaPKlPlN2at6native12_GLOBAL__N_18offset_tEEE10hipError_tPvRmT1_PNSt15iterator_traitsISK_E10value_typeET2_T3_PNSL_ISQ_E10value_typeET4_jRbjT5_SW_jjP12ihipStream_tbEUlT_E1_NS1_11comp_targetILNS1_3genE5ELNS1_11target_archE942ELNS1_3gpuE9ELNS1_3repE0EEENS1_59segmented_radix_sort_warp_sort_small_config_static_selectorELNS0_4arch9wavefront6targetE1EEEvSK_,"axG",@progbits,_ZN7rocprim17ROCPRIM_400000_NS6detail17trampoline_kernelINS0_14default_configENS1_36segmented_radix_sort_config_selectorIalEEZNS1_25segmented_radix_sort_implIS3_Lb0EPKaPaPKlPlN2at6native12_GLOBAL__N_18offset_tEEE10hipError_tPvRmT1_PNSt15iterator_traitsISK_E10value_typeET2_T3_PNSL_ISQ_E10value_typeET4_jRbjT5_SW_jjP12ihipStream_tbEUlT_E1_NS1_11comp_targetILNS1_3genE5ELNS1_11target_archE942ELNS1_3gpuE9ELNS1_3repE0EEENS1_59segmented_radix_sort_warp_sort_small_config_static_selectorELNS0_4arch9wavefront6targetE1EEEvSK_,comdat
	.globl	_ZN7rocprim17ROCPRIM_400000_NS6detail17trampoline_kernelINS0_14default_configENS1_36segmented_radix_sort_config_selectorIalEEZNS1_25segmented_radix_sort_implIS3_Lb0EPKaPaPKlPlN2at6native12_GLOBAL__N_18offset_tEEE10hipError_tPvRmT1_PNSt15iterator_traitsISK_E10value_typeET2_T3_PNSL_ISQ_E10value_typeET4_jRbjT5_SW_jjP12ihipStream_tbEUlT_E1_NS1_11comp_targetILNS1_3genE5ELNS1_11target_archE942ELNS1_3gpuE9ELNS1_3repE0EEENS1_59segmented_radix_sort_warp_sort_small_config_static_selectorELNS0_4arch9wavefront6targetE1EEEvSK_ ; -- Begin function _ZN7rocprim17ROCPRIM_400000_NS6detail17trampoline_kernelINS0_14default_configENS1_36segmented_radix_sort_config_selectorIalEEZNS1_25segmented_radix_sort_implIS3_Lb0EPKaPaPKlPlN2at6native12_GLOBAL__N_18offset_tEEE10hipError_tPvRmT1_PNSt15iterator_traitsISK_E10value_typeET2_T3_PNSL_ISQ_E10value_typeET4_jRbjT5_SW_jjP12ihipStream_tbEUlT_E1_NS1_11comp_targetILNS1_3genE5ELNS1_11target_archE942ELNS1_3gpuE9ELNS1_3repE0EEENS1_59segmented_radix_sort_warp_sort_small_config_static_selectorELNS0_4arch9wavefront6targetE1EEEvSK_
	.p2align	8
	.type	_ZN7rocprim17ROCPRIM_400000_NS6detail17trampoline_kernelINS0_14default_configENS1_36segmented_radix_sort_config_selectorIalEEZNS1_25segmented_radix_sort_implIS3_Lb0EPKaPaPKlPlN2at6native12_GLOBAL__N_18offset_tEEE10hipError_tPvRmT1_PNSt15iterator_traitsISK_E10value_typeET2_T3_PNSL_ISQ_E10value_typeET4_jRbjT5_SW_jjP12ihipStream_tbEUlT_E1_NS1_11comp_targetILNS1_3genE5ELNS1_11target_archE942ELNS1_3gpuE9ELNS1_3repE0EEENS1_59segmented_radix_sort_warp_sort_small_config_static_selectorELNS0_4arch9wavefront6targetE1EEEvSK_,@function
_ZN7rocprim17ROCPRIM_400000_NS6detail17trampoline_kernelINS0_14default_configENS1_36segmented_radix_sort_config_selectorIalEEZNS1_25segmented_radix_sort_implIS3_Lb0EPKaPaPKlPlN2at6native12_GLOBAL__N_18offset_tEEE10hipError_tPvRmT1_PNSt15iterator_traitsISK_E10value_typeET2_T3_PNSL_ISQ_E10value_typeET4_jRbjT5_SW_jjP12ihipStream_tbEUlT_E1_NS1_11comp_targetILNS1_3genE5ELNS1_11target_archE942ELNS1_3gpuE9ELNS1_3repE0EEENS1_59segmented_radix_sort_warp_sort_small_config_static_selectorELNS0_4arch9wavefront6targetE1EEEvSK_: ; @_ZN7rocprim17ROCPRIM_400000_NS6detail17trampoline_kernelINS0_14default_configENS1_36segmented_radix_sort_config_selectorIalEEZNS1_25segmented_radix_sort_implIS3_Lb0EPKaPaPKlPlN2at6native12_GLOBAL__N_18offset_tEEE10hipError_tPvRmT1_PNSt15iterator_traitsISK_E10value_typeET2_T3_PNSL_ISQ_E10value_typeET4_jRbjT5_SW_jjP12ihipStream_tbEUlT_E1_NS1_11comp_targetILNS1_3genE5ELNS1_11target_archE942ELNS1_3gpuE9ELNS1_3repE0EEENS1_59segmented_radix_sort_warp_sort_small_config_static_selectorELNS0_4arch9wavefront6targetE1EEEvSK_
; %bb.0:
	.section	.rodata,"a",@progbits
	.p2align	6, 0x0
	.amdhsa_kernel _ZN7rocprim17ROCPRIM_400000_NS6detail17trampoline_kernelINS0_14default_configENS1_36segmented_radix_sort_config_selectorIalEEZNS1_25segmented_radix_sort_implIS3_Lb0EPKaPaPKlPlN2at6native12_GLOBAL__N_18offset_tEEE10hipError_tPvRmT1_PNSt15iterator_traitsISK_E10value_typeET2_T3_PNSL_ISQ_E10value_typeET4_jRbjT5_SW_jjP12ihipStream_tbEUlT_E1_NS1_11comp_targetILNS1_3genE5ELNS1_11target_archE942ELNS1_3gpuE9ELNS1_3repE0EEENS1_59segmented_radix_sort_warp_sort_small_config_static_selectorELNS0_4arch9wavefront6targetE1EEEvSK_
		.amdhsa_group_segment_fixed_size 0
		.amdhsa_private_segment_fixed_size 0
		.amdhsa_kernarg_size 88
		.amdhsa_user_sgpr_count 6
		.amdhsa_user_sgpr_private_segment_buffer 1
		.amdhsa_user_sgpr_dispatch_ptr 0
		.amdhsa_user_sgpr_queue_ptr 0
		.amdhsa_user_sgpr_kernarg_segment_ptr 1
		.amdhsa_user_sgpr_dispatch_id 0
		.amdhsa_user_sgpr_flat_scratch_init 0
		.amdhsa_user_sgpr_kernarg_preload_length 0
		.amdhsa_user_sgpr_kernarg_preload_offset 0
		.amdhsa_user_sgpr_private_segment_size 0
		.amdhsa_uses_dynamic_stack 0
		.amdhsa_system_sgpr_private_segment_wavefront_offset 0
		.amdhsa_system_sgpr_workgroup_id_x 1
		.amdhsa_system_sgpr_workgroup_id_y 0
		.amdhsa_system_sgpr_workgroup_id_z 0
		.amdhsa_system_sgpr_workgroup_info 0
		.amdhsa_system_vgpr_workitem_id 0
		.amdhsa_next_free_vgpr 1
		.amdhsa_next_free_sgpr 0
		.amdhsa_accum_offset 4
		.amdhsa_reserve_vcc 0
		.amdhsa_reserve_flat_scratch 0
		.amdhsa_float_round_mode_32 0
		.amdhsa_float_round_mode_16_64 0
		.amdhsa_float_denorm_mode_32 3
		.amdhsa_float_denorm_mode_16_64 3
		.amdhsa_dx10_clamp 1
		.amdhsa_ieee_mode 1
		.amdhsa_fp16_overflow 0
		.amdhsa_tg_split 0
		.amdhsa_exception_fp_ieee_invalid_op 0
		.amdhsa_exception_fp_denorm_src 0
		.amdhsa_exception_fp_ieee_div_zero 0
		.amdhsa_exception_fp_ieee_overflow 0
		.amdhsa_exception_fp_ieee_underflow 0
		.amdhsa_exception_fp_ieee_inexact 0
		.amdhsa_exception_int_div_zero 0
	.end_amdhsa_kernel
	.section	.text._ZN7rocprim17ROCPRIM_400000_NS6detail17trampoline_kernelINS0_14default_configENS1_36segmented_radix_sort_config_selectorIalEEZNS1_25segmented_radix_sort_implIS3_Lb0EPKaPaPKlPlN2at6native12_GLOBAL__N_18offset_tEEE10hipError_tPvRmT1_PNSt15iterator_traitsISK_E10value_typeET2_T3_PNSL_ISQ_E10value_typeET4_jRbjT5_SW_jjP12ihipStream_tbEUlT_E1_NS1_11comp_targetILNS1_3genE5ELNS1_11target_archE942ELNS1_3gpuE9ELNS1_3repE0EEENS1_59segmented_radix_sort_warp_sort_small_config_static_selectorELNS0_4arch9wavefront6targetE1EEEvSK_,"axG",@progbits,_ZN7rocprim17ROCPRIM_400000_NS6detail17trampoline_kernelINS0_14default_configENS1_36segmented_radix_sort_config_selectorIalEEZNS1_25segmented_radix_sort_implIS3_Lb0EPKaPaPKlPlN2at6native12_GLOBAL__N_18offset_tEEE10hipError_tPvRmT1_PNSt15iterator_traitsISK_E10value_typeET2_T3_PNSL_ISQ_E10value_typeET4_jRbjT5_SW_jjP12ihipStream_tbEUlT_E1_NS1_11comp_targetILNS1_3genE5ELNS1_11target_archE942ELNS1_3gpuE9ELNS1_3repE0EEENS1_59segmented_radix_sort_warp_sort_small_config_static_selectorELNS0_4arch9wavefront6targetE1EEEvSK_,comdat
.Lfunc_end414:
	.size	_ZN7rocprim17ROCPRIM_400000_NS6detail17trampoline_kernelINS0_14default_configENS1_36segmented_radix_sort_config_selectorIalEEZNS1_25segmented_radix_sort_implIS3_Lb0EPKaPaPKlPlN2at6native12_GLOBAL__N_18offset_tEEE10hipError_tPvRmT1_PNSt15iterator_traitsISK_E10value_typeET2_T3_PNSL_ISQ_E10value_typeET4_jRbjT5_SW_jjP12ihipStream_tbEUlT_E1_NS1_11comp_targetILNS1_3genE5ELNS1_11target_archE942ELNS1_3gpuE9ELNS1_3repE0EEENS1_59segmented_radix_sort_warp_sort_small_config_static_selectorELNS0_4arch9wavefront6targetE1EEEvSK_, .Lfunc_end414-_ZN7rocprim17ROCPRIM_400000_NS6detail17trampoline_kernelINS0_14default_configENS1_36segmented_radix_sort_config_selectorIalEEZNS1_25segmented_radix_sort_implIS3_Lb0EPKaPaPKlPlN2at6native12_GLOBAL__N_18offset_tEEE10hipError_tPvRmT1_PNSt15iterator_traitsISK_E10value_typeET2_T3_PNSL_ISQ_E10value_typeET4_jRbjT5_SW_jjP12ihipStream_tbEUlT_E1_NS1_11comp_targetILNS1_3genE5ELNS1_11target_archE942ELNS1_3gpuE9ELNS1_3repE0EEENS1_59segmented_radix_sort_warp_sort_small_config_static_selectorELNS0_4arch9wavefront6targetE1EEEvSK_
                                        ; -- End function
	.section	.AMDGPU.csdata,"",@progbits
; Kernel info:
; codeLenInByte = 0
; NumSgprs: 4
; NumVgprs: 0
; NumAgprs: 0
; TotalNumVgprs: 0
; ScratchSize: 0
; MemoryBound: 0
; FloatMode: 240
; IeeeMode: 1
; LDSByteSize: 0 bytes/workgroup (compile time only)
; SGPRBlocks: 0
; VGPRBlocks: 0
; NumSGPRsForWavesPerEU: 4
; NumVGPRsForWavesPerEU: 1
; AccumOffset: 4
; Occupancy: 8
; WaveLimiterHint : 0
; COMPUTE_PGM_RSRC2:SCRATCH_EN: 0
; COMPUTE_PGM_RSRC2:USER_SGPR: 6
; COMPUTE_PGM_RSRC2:TRAP_HANDLER: 0
; COMPUTE_PGM_RSRC2:TGID_X_EN: 1
; COMPUTE_PGM_RSRC2:TGID_Y_EN: 0
; COMPUTE_PGM_RSRC2:TGID_Z_EN: 0
; COMPUTE_PGM_RSRC2:TIDIG_COMP_CNT: 0
; COMPUTE_PGM_RSRC3_GFX90A:ACCUM_OFFSET: 0
; COMPUTE_PGM_RSRC3_GFX90A:TG_SPLIT: 0
	.text
	.p2align	2                               ; -- Begin function _ZN7rocprim17ROCPRIM_400000_NS6detail26segmented_warp_sort_helperINS1_20WarpSortHelperConfigILj8ELj4ELj256EEEalLi256ELb0EvE4sortIPKaPaPKlPlEEvT_T0_T1_T2_jjjjRNS5_12storage_typeE
	.type	_ZN7rocprim17ROCPRIM_400000_NS6detail26segmented_warp_sort_helperINS1_20WarpSortHelperConfigILj8ELj4ELj256EEEalLi256ELb0EvE4sortIPKaPaPKlPlEEvT_T0_T1_T2_jjjjRNS5_12storage_typeE,@function
_ZN7rocprim17ROCPRIM_400000_NS6detail26segmented_warp_sort_helperINS1_20WarpSortHelperConfigILj8ELj4ELj256EEEalLi256ELb0EvE4sortIPKaPaPKlPlEEvT_T0_T1_T2_jjjjRNS5_12storage_typeE: ; @_ZN7rocprim17ROCPRIM_400000_NS6detail26segmented_warp_sort_helperINS1_20WarpSortHelperConfigILj8ELj4ELj256EEEalLi256ELb0EvE4sortIPKaPaPKlPlEEvT_T0_T1_T2_jjjjRNS5_12storage_typeE
; %bb.0:
	s_waitcnt vmcnt(0) expcnt(0) lgkmcnt(0)
	v_add_co_u32_e32 v14, vcc, v0, v8
	v_mbcnt_lo_u32_b32 v0, -1, 0
	v_mbcnt_hi_u32_b32 v0, -1, v0
	v_addc_co_u32_e32 v15, vcc, 0, v1, vcc
	v_lshlrev_b32_e32 v1, 2, v0
	v_and_b32_e32 v0, 28, v1
	v_sub_u32_e32 v16, v9, v8
	v_add_co_u32_e32 v14, vcc, v14, v0
	v_mov_b32_e32 v9, 0
	v_addc_co_u32_e32 v15, vcc, 0, v15, vcc
	v_cmp_lt_u32_e64 s[4:5], v0, v16
	v_mov_b32_e32 v28, 0x7f
	v_mov_b32_e32 v32, 0x7f
	;; [unrolled: 1-line block ×4, first 2 shown]
	s_and_saveexec_b64 s[6:7], s[4:5]
	s_cbranch_execz .LBB415_2
; %bb.1:
	flat_load_ubyte v28, v[14:15]
	v_mov_b32_e32 v29, 0x7f
	v_mov_b32_e32 v30, 0x7f
	;; [unrolled: 1-line block ×3, first 2 shown]
.LBB415_2:
	s_or_b64 exec, exec, s[6:7]
	v_or_b32_e32 v17, 1, v0
	v_cmp_lt_u32_e64 s[6:7], v17, v16
	s_and_saveexec_b64 s[10:11], s[6:7]
	s_cbranch_execz .LBB415_4
; %bb.3:
	flat_load_ubyte v29, v[14:15] offset:1
.LBB415_4:
	s_or_b64 exec, exec, s[10:11]
	v_or_b32_e32 v17, 2, v0
	v_cmp_lt_u32_e64 s[16:17], v17, v16
	s_and_saveexec_b64 s[10:11], s[16:17]
	s_cbranch_execz .LBB415_6
; %bb.5:
	flat_load_ubyte v30, v[14:15] offset:2
.LBB415_6:
	;; [unrolled: 8-line block ×3, first 2 shown]
	s_or_b64 exec, exec, s[14:15]
	v_lshlrev_b64 v[22:23], 3, v[8:9]
	v_add_co_u32_e32 v4, vcc, v4, v22
	v_addc_co_u32_e32 v5, vcc, v5, v23, vcc
	v_lshlrev_b32_e32 v9, 3, v0
	v_add_co_u32_e32 v4, vcc, v4, v9
	v_addc_co_u32_e32 v5, vcc, 0, v5, vcc
	; wave barrier
                                        ; implicit-def: $vgpr14_vgpr15
	s_and_saveexec_b64 s[14:15], s[4:5]
	s_cbranch_execnz .LBB415_107
; %bb.9:
	s_or_b64 exec, exec, s[14:15]
	s_and_saveexec_b64 s[14:15], s[6:7]
	s_cbranch_execnz .LBB415_108
.LBB415_10:
	s_or_b64 exec, exec, s[14:15]
                                        ; implicit-def: $vgpr18_vgpr19
	s_and_saveexec_b64 s[14:15], s[16:17]
	s_cbranch_execnz .LBB415_109
.LBB415_11:
	s_or_b64 exec, exec, s[14:15]
	s_and_saveexec_b64 s[14:15], s[10:11]
	s_cbranch_execz .LBB415_13
.LBB415_12:
	flat_load_dwordx2 v[20:21], v[4:5] offset:24
.LBB415_13:
	s_or_b64 exec, exec, s[14:15]
	v_cmp_ne_u32_e32 vcc, 0, v10
	v_cmp_ne_u32_e64 s[14:15], 8, v11
	s_or_b64 s[14:15], vcc, s[14:15]
	v_bfe_u32 v4, v31, 10, 10
	v_bfe_u32 v5, v31, 20, 10
	; wave barrier
	s_and_saveexec_b64 s[18:19], s[14:15]
	s_xor_b64 s[24:25], exec, s[18:19]
	s_cbranch_execz .LBB415_55
; %bb.14:
	s_load_dwordx2 s[14:15], s[8:9], 0x0
	v_mov_b32_e32 v24, 0
	v_lshlrev_b32_e64 v11, v11, -1
	v_lshlrev_b32_e64 v10, v10, -1
	s_waitcnt lgkmcnt(0)
	s_cmp_lt_u32 s12, s14
	s_cselect_b32 s18, 12, 18
	s_cmp_lt_u32 s13, s15
	s_cselect_b32 s14, 14, 20
	s_add_u32 s14, s8, s14
	s_addc_u32 s15, s9, 0
	s_add_u32 s18, s8, s18
	s_addc_u32 s19, s9, 0
	global_load_ushort v25, v24, s[14:15]
	global_load_ushort v26, v24, s[18:19]
	v_and_b32_e32 v24, 0x3ff, v31
	s_movk_i32 s14, 0x400
	v_xor_b32_e32 v31, v11, v10
	s_waitcnt vmcnt(0)
	v_mad_u32_u24 v4, v5, v25, v4
	v_mul_lo_u32 v4, v4, v26
	v_add_lshl_u32 v26, v4, v24, 2
	v_cmp_gt_u32_e32 vcc, s14, v26
	s_and_saveexec_b64 s[20:21], vcc
	s_cbranch_execz .LBB415_24
; %bb.15:
	v_lshlrev_b16_e32 v4, 8, v32
	v_lshlrev_b16_e32 v5, 8, v28
	;; [unrolled: 1-line block ×3, first 2 shown]
	v_or_b32_sdwa v4, v30, v4 dst_sel:WORD_1 dst_unused:UNUSED_PAD src0_sel:BYTE_0 src1_sel:DWORD
	v_or_b32_sdwa v5, v29, v5 dst_sel:DWORD dst_unused:UNUSED_PAD src0_sel:BYTE_0 src1_sel:DWORD
	v_or_b32_sdwa v10, v28, v10 dst_sel:DWORD dst_unused:UNUSED_PAD src0_sel:BYTE_0 src1_sel:DWORD
	v_or_b32_sdwa v5, v5, v4 dst_sel:DWORD dst_unused:UNUSED_PAD src0_sel:WORD_0 src1_sel:DWORD
	v_or_b32_sdwa v4, v10, v4 dst_sel:DWORD dst_unused:UNUSED_PAD src0_sel:WORD_0 src1_sel:DWORD
	v_and_b32_e32 v10, v29, v31
	v_and_b32_e32 v11, v28, v31
	v_cmp_gt_i16_sdwa vcc, sext(v11), sext(v10) src0_sel:BYTE_0 src1_sel:BYTE_0
	v_cndmask_b32_e32 v24, v4, v5, vcc
	v_lshrrev_b32_e32 v11, 24, v24
	v_lshrrev_b32_e32 v25, 16, v24
	v_and_b32_e32 v4, v11, v31
	v_bfe_i32 v27, v4, 0, 8
	v_and_b32_e32 v4, v25, v31
	v_bfe_i32 v10, v4, 0, 8
	v_cmp_gt_i16_e64 s[14:15], v10, v27
	v_pk_mov_b32 v[4:5], v[18:19], v[18:19] op_sel:[0,1]
	s_and_saveexec_b64 s[18:19], s[14:15]
; %bb.16:
	s_mov_b32 s14, 0x6070504
	v_perm_b32 v24, v24, v24, s14
	v_pk_mov_b32 v[4:5], v[20:21], v[20:21] op_sel:[0,1]
	v_pk_mov_b32 v[20:21], v[18:19], v[18:19] op_sel:[0,1]
	v_mov_b32_e32 v10, v27
	v_mov_b32_e32 v25, v11
; %bb.17:
	s_or_b64 exec, exec, s[18:19]
	v_lshrrev_b32_e32 v28, 8, v24
	v_and_b32_e32 v11, v28, v31
	v_cndmask_b32_e32 v19, v17, v15, vcc
	v_cndmask_b32_e32 v18, v16, v14, vcc
	v_bfe_i32 v27, v11, 0, 8
	v_cmp_gt_i16_e64 s[14:15], v27, v10
	v_pk_mov_b32 v[10:11], v[18:19], v[18:19] op_sel:[0,1]
	s_and_saveexec_b64 s[18:19], s[14:15]
	s_xor_b64 s[14:15], exec, s[18:19]
; %bb.18:
	s_mov_b32 s18, 0x7050004
	v_and_b32_e32 v27, v25, v31
	v_perm_b32 v24, v24, v25, s18
	v_pk_mov_b32 v[10:11], v[4:5], v[4:5] op_sel:[0,1]
	v_pk_mov_b32 v[4:5], v[18:19], v[18:19] op_sel:[0,1]
	v_mov_b32_e32 v28, v25
; %bb.19:
	s_or_b64 exec, exec, s[14:15]
	s_mov_b32 s14, 0x3020004
	v_and_b32_e32 v19, v24, v31
	v_perm_b32 v18, v28, v24, s14
	v_cmp_gt_i16_sdwa s[14:15], sext(v19), sext(v27) src0_sel:BYTE_0 src1_sel:BYTE_0
	v_cndmask_b32_e64 v28, v24, v18, s[14:15]
	v_lshrrev_b32_e32 v19, 24, v28
	v_lshrrev_b32_e32 v30, 16, v28
	v_and_b32_e32 v18, v19, v31
	v_bfe_i32 v27, v18, 0, 8
	v_and_b32_e32 v18, v30, v31
	v_bfe_i32 v18, v18, 0, 8
	v_lshrrev_b32_e32 v29, 8, v28
	v_cmp_gt_i16_e64 s[18:19], v18, v27
	v_pk_mov_b32 v[24:25], v[4:5], v[4:5] op_sel:[0,1]
	v_mov_b32_e32 v32, v19
	s_and_saveexec_b64 s[22:23], s[18:19]
; %bb.20:
	v_mov_b32_e32 v32, v30
	v_pk_mov_b32 v[24:25], v[20:21], v[20:21] op_sel:[0,1]
	v_pk_mov_b32 v[20:21], v[4:5], v[4:5] op_sel:[0,1]
	v_mov_b32_e32 v30, v19
	v_mov_b32_e32 v18, v27
; %bb.21:
	s_or_b64 exec, exec, s[22:23]
	v_cndmask_b32_e32 v4, v14, v16, vcc
	v_cndmask_b32_e32 v5, v15, v17, vcc
	v_cndmask_b32_e64 v14, v4, v10, s[14:15]
	v_cndmask_b32_e64 v16, v10, v4, s[14:15]
	v_and_b32_e32 v4, v29, v31
	v_cndmask_b32_e64 v15, v5, v11, s[14:15]
	v_cndmask_b32_e64 v17, v11, v5, s[14:15]
	v_cmp_gt_i16_sdwa s[18:19], sext(v4), v18 src0_sel:BYTE_0 src1_sel:DWORD
	v_pk_mov_b32 v[18:19], v[24:25], v[24:25] op_sel:[0,1]
	s_and_saveexec_b64 s[14:15], s[18:19]
; %bb.22:
	v_mov_b32_e32 v4, v29
	v_swap_b32 v29, v30
	v_pk_mov_b32 v[18:19], v[16:17], v[16:17] op_sel:[0,1]
	v_pk_mov_b32 v[16:17], v[24:25], v[24:25] op_sel:[0,1]
; %bb.23:
	s_or_b64 exec, exec, s[14:15]
.LBB415_24:
	s_or_b64 exec, exec, s[20:21]
	v_and_b32_e32 v4, 0xffffff00, v26
	v_add_co_u32_e32 v10, vcc, v12, v4
	v_addc_co_u32_e32 v11, vcc, 0, v13, vcc
	s_movk_i32 s18, 0x400
	v_add_co_u32_e32 v12, vcc, v10, v1
	v_sub_u32_e64 v33, s18, v4 clamp
	v_mad_u64_u32 v[4:5], s[14:15], v4, 7, v[10:11]
	v_addc_co_u32_e32 v13, vcc, 0, v11, vcc
	v_lshlrev_b32_e32 v24, 3, v1
	v_lshlrev_b16_e32 v34, 8, v29
	v_lshlrev_b16_e32 v35, 8, v32
	v_add_co_u32_e32 v26, vcc, v4, v24
	v_or_b32_sdwa v34, v28, v34 dst_sel:DWORD dst_unused:UNUSED_PAD src0_sel:BYTE_0 src1_sel:DWORD
	v_or_b32_sdwa v35, v30, v35 dst_sel:WORD_1 dst_unused:UNUSED_PAD src0_sel:BYTE_0 src1_sel:DWORD
	v_addc_co_u32_e32 v27, vcc, 0, v5, vcc
	v_or_b32_sdwa v34, v34, v35 dst_sel:DWORD dst_unused:UNUSED_PAD src0_sel:WORD_0 src1_sel:DWORD
	flat_store_dwordx4 v[26:27], v[14:17] offset:1024
	flat_store_dword v[12:13], v34
	flat_store_dwordx4 v[26:27], v[18:21] offset:1040
	v_or_b32_e32 v34, 4, v1
	v_min_u32_e32 v34, v33, v34
	v_add_u32_e32 v35, 4, v34
	v_and_b32_e32 v36, 0x1f8, v1
	v_min_u32_e32 v35, v33, v35
	v_and_b32_e32 v37, 4, v1
	v_add_co_u32_e32 v24, vcc, s18, v26
	v_min_u32_e32 v37, v33, v37
	v_sub_u32_e32 v39, v34, v36
	v_sub_u32_e32 v38, v35, v34
	v_addc_co_u32_e32 v25, vcc, 0, v27, vcc
	v_sub_u32_e64 v38, v37, v38 clamp
	v_min_u32_e32 v39, v37, v39
	v_cmp_lt_u32_e32 vcc, v38, v39
	; wave barrier
	s_and_saveexec_b64 s[14:15], vcc
	s_cbranch_execz .LBB415_28
; %bb.25:
	v_add_co_u32_e32 v48, vcc, v10, v36
	v_addc_co_u32_e32 v49, vcc, 0, v11, vcc
	v_add_co_u32_e32 v50, vcc, v10, v34
	v_addc_co_u32_e32 v51, vcc, 0, v11, vcc
	s_mov_b64 s[18:19], 0
.LBB415_26:                             ; =>This Inner Loop Header: Depth=1
	v_add_u32_e32 v52, v39, v38
	v_lshrrev_b32_e32 v64, 1, v52
	v_add_co_u32_e32 v52, vcc, v48, v64
	v_xad_u32 v54, v64, -1, v37
	v_addc_co_u32_e32 v53, vcc, 0, v49, vcc
	v_add_co_u32_e32 v54, vcc, v50, v54
	v_addc_co_u32_e32 v55, vcc, 0, v51, vcc
	flat_load_ubyte v65, v[52:53]
	flat_load_ubyte v66, v[54:55]
	v_add_u32_e32 v52, 1, v64
	s_waitcnt vmcnt(0) lgkmcnt(0)
	v_and_b32_e32 v53, v65, v31
	v_and_b32_e32 v54, v66, v31
	v_cmp_gt_i16_sdwa vcc, sext(v53), sext(v54) src0_sel:BYTE_0 src1_sel:BYTE_0
	v_cndmask_b32_e32 v39, v39, v64, vcc
	v_cndmask_b32_e32 v38, v52, v38, vcc
	v_cmp_ge_u32_e32 vcc, v38, v39
	s_or_b64 s[18:19], vcc, s[18:19]
	s_andn2_b64 exec, exec, s[18:19]
	s_cbranch_execnz .LBB415_26
; %bb.27:
	s_or_b64 exec, exec, s[18:19]
.LBB415_28:
	s_or_b64 exec, exec, s[14:15]
	v_add_u32_e32 v37, v34, v37
	v_add_u32_e32 v36, v38, v36
	v_sub_u32_e32 v37, v37, v38
	v_cmp_le_u32_e32 vcc, v36, v34
	v_cmp_le_u32_e64 s[14:15], v37, v35
	s_or_b64 s[14:15], vcc, s[14:15]
	s_and_saveexec_b64 s[26:27], s[14:15]
	s_cbranch_execz .LBB415_34
; %bb.29:
	v_cmp_lt_u32_e32 vcc, v36, v34
                                        ; implicit-def: $vgpr28
	s_and_saveexec_b64 s[18:19], vcc
	s_cbranch_execz .LBB415_31
; %bb.30:
	v_add_co_u32_e64 v14, s[14:15], v10, v36
	v_addc_co_u32_e64 v15, s[14:15], 0, v11, s[14:15]
	flat_load_ubyte v28, v[14:15]
.LBB415_31:
	s_or_b64 exec, exec, s[18:19]
	v_cmp_ge_u32_e64 s[14:15], v37, v35
	v_cmp_lt_u32_e64 s[18:19], v37, v35
                                        ; implicit-def: $vgpr29
	s_and_saveexec_b64 s[20:21], s[18:19]
	s_cbranch_execz .LBB415_33
; %bb.32:
	v_add_co_u32_e64 v14, s[18:19], v10, v37
	v_addc_co_u32_e64 v15, s[18:19], 0, v11, s[18:19]
	flat_load_ubyte v29, v[14:15]
.LBB415_33:
	s_or_b64 exec, exec, s[20:21]
	s_waitcnt vmcnt(0) lgkmcnt(0)
	v_and_b32_e32 v14, v29, v31
	v_and_b32_e32 v15, v28, v31
	v_cmp_le_i16_sdwa s[18:19], sext(v15), sext(v14) src0_sel:BYTE_0 src1_sel:BYTE_0
	s_and_b64 s[18:19], vcc, s[18:19]
	s_or_b64 vcc, s[14:15], s[18:19]
	v_cndmask_b32_e32 v20, v37, v36, vcc
	v_cndmask_b32_e32 v14, v35, v34, vcc
	v_add_u32_e32 v16, 1, v20
	v_add_u32_e32 v14, -1, v14
	v_min_u32_e32 v14, v16, v14
	v_add_co_u32_e64 v14, s[14:15], v10, v14
	v_addc_co_u32_e64 v15, s[14:15], 0, v11, s[14:15]
	flat_load_ubyte v17, v[14:15]
	v_cndmask_b32_e32 v18, v16, v37, vcc
	v_cndmask_b32_e32 v19, v36, v16, vcc
	v_cmp_lt_u32_e64 s[18:19], v19, v34
	v_cmp_ge_u32_e64 s[14:15], v18, v35
	v_mov_b32_e32 v21, 0
	v_lshlrev_b64 v[14:15], 3, v[20:21]
	s_waitcnt vmcnt(0) lgkmcnt(0)
	v_cndmask_b32_e32 v30, v17, v29, vcc
	v_cndmask_b32_e32 v32, v28, v17, vcc
	v_and_b32_e32 v16, v30, v31
	v_and_b32_e32 v17, v32, v31
	v_cmp_le_i16_sdwa s[20:21], sext(v17), sext(v16) src0_sel:BYTE_0 src1_sel:BYTE_0
	s_and_b64 s[18:19], s[18:19], s[20:21]
	s_or_b64 s[14:15], s[14:15], s[18:19]
	v_cndmask_b32_e64 v20, v18, v19, s[14:15]
	v_cndmask_b32_e64 v16, v35, v34, s[14:15]
	v_add_u32_e32 v36, 1, v20
	v_add_u32_e32 v16, -1, v16
	v_min_u32_e32 v16, v36, v16
	v_add_co_u32_e64 v16, s[18:19], v10, v16
	v_addc_co_u32_e64 v17, s[18:19], 0, v11, s[18:19]
	flat_load_ubyte v37, v[16:17]
	v_cndmask_b32_e64 v38, v36, v18, s[14:15]
	v_cndmask_b32_e64 v36, v19, v36, s[14:15]
	v_cmp_lt_u32_e64 s[20:21], v36, v34
	v_cmp_ge_u32_e64 s[18:19], v38, v35
	v_lshlrev_b64 v[16:17], 3, v[20:21]
	v_cndmask_b32_e32 v28, v29, v28, vcc
	v_cndmask_b32_e64 v29, v30, v32, s[14:15]
	s_waitcnt vmcnt(0) lgkmcnt(0)
	v_cndmask_b32_e64 v39, v37, v30, s[14:15]
	v_cndmask_b32_e64 v37, v32, v37, s[14:15]
	v_and_b32_e32 v18, v39, v31
	v_and_b32_e32 v19, v37, v31
	v_cmp_le_i16_sdwa s[22:23], sext(v19), sext(v18) src0_sel:BYTE_0 src1_sel:BYTE_0
	s_and_b64 s[20:21], s[20:21], s[22:23]
	s_or_b64 s[18:19], s[18:19], s[20:21]
	v_cndmask_b32_e64 v20, v38, v36, s[18:19]
	v_cndmask_b32_e64 v18, v35, v34, s[18:19]
	v_add_u32_e32 v48, 1, v20
	v_add_u32_e32 v18, -1, v18
	v_min_u32_e32 v18, v48, v18
	v_add_co_u32_e64 v18, s[20:21], v10, v18
	v_addc_co_u32_e64 v19, s[20:21], 0, v11, s[20:21]
	flat_load_ubyte v49, v[18:19]
	v_add_co_u32_e64 v14, s[20:21], v4, v14
	v_addc_co_u32_e64 v15, s[20:21], v5, v15, s[20:21]
	v_add_co_u32_e64 v16, s[20:21], v4, v16
	v_addc_co_u32_e64 v17, s[20:21], v5, v17, s[20:21]
	flat_load_dwordx2 v[16:17], v[16:17] offset:1024
	v_lshlrev_b64 v[18:19], 3, v[20:21]
	flat_load_dwordx2 v[14:15], v[14:15] offset:1024
	v_add_co_u32_e64 v18, s[20:21], v4, v18
	v_addc_co_u32_e64 v19, s[20:21], v5, v19, s[20:21]
	v_cndmask_b32_e64 v20, v48, v38, s[18:19]
	v_cndmask_b32_e64 v36, v36, v48, s[18:19]
	v_cmp_ge_u32_e64 s[20:21], v20, v35
	v_cmp_lt_u32_e64 s[22:23], v36, v34
	flat_load_dwordx2 v[18:19], v[18:19] offset:1024
	v_cndmask_b32_e64 v30, v39, v37, s[18:19]
	s_waitcnt vmcnt(0) lgkmcnt(0)
	v_cndmask_b32_e64 v34, v49, v39, s[18:19]
	v_cndmask_b32_e64 v35, v37, v49, s[18:19]
	v_and_b32_e32 v38, v34, v31
	v_and_b32_e32 v48, v35, v31
	v_cmp_le_i16_sdwa s[28:29], sext(v48), sext(v38) src0_sel:BYTE_0 src1_sel:BYTE_0
	s_and_b64 s[22:23], s[22:23], s[28:29]
	s_or_b64 s[20:21], s[20:21], s[22:23]
	v_cndmask_b32_e64 v20, v20, v36, s[20:21]
	v_lshlrev_b64 v[20:21], 3, v[20:21]
	v_add_co_u32_e64 v20, s[22:23], v4, v20
	v_addc_co_u32_e64 v21, s[22:23], v5, v21, s[22:23]
	flat_load_dwordx2 v[20:21], v[20:21] offset:1024
	v_cndmask_b32_e64 v32, v34, v35, s[20:21]
.LBB415_34:
	s_or_b64 exec, exec, s[26:27]
	v_lshlrev_b16_e32 v34, 8, v29
	v_lshlrev_b16_e32 v35, 8, v32
	v_or_b32_sdwa v34, v28, v34 dst_sel:DWORD dst_unused:UNUSED_PAD src0_sel:BYTE_0 src1_sel:DWORD
	v_or_b32_sdwa v35, v30, v35 dst_sel:WORD_1 dst_unused:UNUSED_PAD src0_sel:BYTE_0 src1_sel:DWORD
	v_or_b32_sdwa v34, v34, v35 dst_sel:DWORD dst_unused:UNUSED_PAD src0_sel:WORD_0 src1_sel:DWORD
	v_and_b32_e32 v36, 0x1f0, v1
	; wave barrier
	flat_store_dwordx4 v[26:27], v[14:17] offset:1024
	flat_store_dword v[12:13], v34
	s_waitcnt vmcnt(0) lgkmcnt(0)
	flat_store_dwordx4 v[24:25], v[18:21] offset:16
	v_or_b32_e32 v34, 8, v36
	v_min_u32_e32 v34, v33, v34
	v_add_u32_e32 v35, 8, v34
	v_min_u32_e32 v35, v33, v35
	v_and_b32_e32 v37, 12, v1
	v_min_u32_e32 v37, v33, v37
	v_sub_u32_e32 v39, v34, v36
	v_sub_u32_e32 v38, v35, v34
	v_sub_u32_e64 v38, v37, v38 clamp
	v_min_u32_e32 v39, v37, v39
	v_cmp_lt_u32_e32 vcc, v38, v39
	; wave barrier
	s_and_saveexec_b64 s[14:15], vcc
	s_cbranch_execz .LBB415_38
; %bb.35:
	v_add_co_u32_e32 v48, vcc, v10, v36
	v_addc_co_u32_e32 v49, vcc, 0, v11, vcc
	v_add_co_u32_e32 v50, vcc, v10, v34
	v_addc_co_u32_e32 v51, vcc, 0, v11, vcc
	s_mov_b64 s[18:19], 0
.LBB415_36:                             ; =>This Inner Loop Header: Depth=1
	v_add_u32_e32 v52, v39, v38
	v_lshrrev_b32_e32 v64, 1, v52
	v_add_co_u32_e32 v52, vcc, v48, v64
	v_xad_u32 v54, v64, -1, v37
	v_addc_co_u32_e32 v53, vcc, 0, v49, vcc
	v_add_co_u32_e32 v54, vcc, v50, v54
	v_addc_co_u32_e32 v55, vcc, 0, v51, vcc
	flat_load_ubyte v65, v[52:53]
	flat_load_ubyte v66, v[54:55]
	v_add_u32_e32 v52, 1, v64
	s_waitcnt vmcnt(0) lgkmcnt(0)
	v_and_b32_e32 v53, v65, v31
	v_and_b32_e32 v54, v66, v31
	v_cmp_gt_i16_sdwa vcc, sext(v53), sext(v54) src0_sel:BYTE_0 src1_sel:BYTE_0
	v_cndmask_b32_e32 v39, v39, v64, vcc
	v_cndmask_b32_e32 v38, v52, v38, vcc
	v_cmp_ge_u32_e32 vcc, v38, v39
	s_or_b64 s[18:19], vcc, s[18:19]
	s_andn2_b64 exec, exec, s[18:19]
	s_cbranch_execnz .LBB415_36
; %bb.37:
	s_or_b64 exec, exec, s[18:19]
.LBB415_38:
	s_or_b64 exec, exec, s[14:15]
	v_add_u32_e32 v37, v34, v37
	v_add_u32_e32 v36, v38, v36
	v_sub_u32_e32 v37, v37, v38
	v_cmp_le_u32_e32 vcc, v36, v34
	v_cmp_le_u32_e64 s[14:15], v37, v35
	s_or_b64 s[14:15], vcc, s[14:15]
	s_and_saveexec_b64 s[26:27], s[14:15]
	s_cbranch_execz .LBB415_44
; %bb.39:
	v_cmp_lt_u32_e32 vcc, v36, v34
                                        ; implicit-def: $vgpr28
	s_and_saveexec_b64 s[18:19], vcc
	s_cbranch_execz .LBB415_41
; %bb.40:
	v_add_co_u32_e64 v14, s[14:15], v10, v36
	v_addc_co_u32_e64 v15, s[14:15], 0, v11, s[14:15]
	flat_load_ubyte v28, v[14:15]
.LBB415_41:
	s_or_b64 exec, exec, s[18:19]
	v_cmp_ge_u32_e64 s[14:15], v37, v35
	v_cmp_lt_u32_e64 s[18:19], v37, v35
                                        ; implicit-def: $vgpr29
	s_and_saveexec_b64 s[20:21], s[18:19]
	s_cbranch_execz .LBB415_43
; %bb.42:
	v_add_co_u32_e64 v14, s[18:19], v10, v37
	v_addc_co_u32_e64 v15, s[18:19], 0, v11, s[18:19]
	flat_load_ubyte v29, v[14:15]
.LBB415_43:
	s_or_b64 exec, exec, s[20:21]
	s_waitcnt vmcnt(0) lgkmcnt(0)
	v_and_b32_e32 v14, v29, v31
	v_and_b32_e32 v15, v28, v31
	v_cmp_le_i16_sdwa s[18:19], sext(v15), sext(v14) src0_sel:BYTE_0 src1_sel:BYTE_0
	s_and_b64 s[18:19], vcc, s[18:19]
	s_or_b64 vcc, s[14:15], s[18:19]
	v_cndmask_b32_e32 v20, v37, v36, vcc
	v_cndmask_b32_e32 v14, v35, v34, vcc
	v_add_u32_e32 v16, 1, v20
	v_add_u32_e32 v14, -1, v14
	v_min_u32_e32 v14, v16, v14
	v_add_co_u32_e64 v14, s[14:15], v10, v14
	v_addc_co_u32_e64 v15, s[14:15], 0, v11, s[14:15]
	flat_load_ubyte v17, v[14:15]
	v_cndmask_b32_e32 v18, v16, v37, vcc
	v_cndmask_b32_e32 v19, v36, v16, vcc
	v_cmp_lt_u32_e64 s[18:19], v19, v34
	v_cmp_ge_u32_e64 s[14:15], v18, v35
	v_mov_b32_e32 v21, 0
	v_lshlrev_b64 v[14:15], 3, v[20:21]
	s_waitcnt vmcnt(0) lgkmcnt(0)
	v_cndmask_b32_e32 v30, v17, v29, vcc
	v_cndmask_b32_e32 v32, v28, v17, vcc
	v_and_b32_e32 v16, v30, v31
	v_and_b32_e32 v17, v32, v31
	v_cmp_le_i16_sdwa s[20:21], sext(v17), sext(v16) src0_sel:BYTE_0 src1_sel:BYTE_0
	s_and_b64 s[18:19], s[18:19], s[20:21]
	s_or_b64 s[14:15], s[14:15], s[18:19]
	v_cndmask_b32_e64 v20, v18, v19, s[14:15]
	v_cndmask_b32_e64 v16, v35, v34, s[14:15]
	v_add_u32_e32 v36, 1, v20
	v_add_u32_e32 v16, -1, v16
	v_min_u32_e32 v16, v36, v16
	v_add_co_u32_e64 v16, s[18:19], v10, v16
	v_addc_co_u32_e64 v17, s[18:19], 0, v11, s[18:19]
	flat_load_ubyte v37, v[16:17]
	v_cndmask_b32_e64 v38, v36, v18, s[14:15]
	v_cndmask_b32_e64 v36, v19, v36, s[14:15]
	v_cmp_lt_u32_e64 s[20:21], v36, v34
	v_cmp_ge_u32_e64 s[18:19], v38, v35
	v_lshlrev_b64 v[16:17], 3, v[20:21]
	v_cndmask_b32_e32 v28, v29, v28, vcc
	v_cndmask_b32_e64 v29, v30, v32, s[14:15]
	s_waitcnt vmcnt(0) lgkmcnt(0)
	v_cndmask_b32_e64 v39, v37, v30, s[14:15]
	v_cndmask_b32_e64 v37, v32, v37, s[14:15]
	v_and_b32_e32 v18, v39, v31
	v_and_b32_e32 v19, v37, v31
	v_cmp_le_i16_sdwa s[22:23], sext(v19), sext(v18) src0_sel:BYTE_0 src1_sel:BYTE_0
	s_and_b64 s[20:21], s[20:21], s[22:23]
	s_or_b64 s[18:19], s[18:19], s[20:21]
	v_cndmask_b32_e64 v20, v38, v36, s[18:19]
	v_cndmask_b32_e64 v18, v35, v34, s[18:19]
	v_add_u32_e32 v48, 1, v20
	v_add_u32_e32 v18, -1, v18
	v_min_u32_e32 v18, v48, v18
	v_add_co_u32_e64 v18, s[20:21], v10, v18
	v_addc_co_u32_e64 v19, s[20:21], 0, v11, s[20:21]
	flat_load_ubyte v49, v[18:19]
	v_add_co_u32_e64 v14, s[20:21], v4, v14
	v_addc_co_u32_e64 v15, s[20:21], v5, v15, s[20:21]
	v_add_co_u32_e64 v16, s[20:21], v4, v16
	v_addc_co_u32_e64 v17, s[20:21], v5, v17, s[20:21]
	flat_load_dwordx2 v[16:17], v[16:17] offset:1024
	v_lshlrev_b64 v[18:19], 3, v[20:21]
	flat_load_dwordx2 v[14:15], v[14:15] offset:1024
	v_add_co_u32_e64 v18, s[20:21], v4, v18
	v_addc_co_u32_e64 v19, s[20:21], v5, v19, s[20:21]
	v_cndmask_b32_e64 v20, v48, v38, s[18:19]
	v_cndmask_b32_e64 v36, v36, v48, s[18:19]
	v_cmp_ge_u32_e64 s[20:21], v20, v35
	v_cmp_lt_u32_e64 s[22:23], v36, v34
	flat_load_dwordx2 v[18:19], v[18:19] offset:1024
	v_cndmask_b32_e64 v30, v39, v37, s[18:19]
	s_waitcnt vmcnt(0) lgkmcnt(0)
	v_cndmask_b32_e64 v34, v49, v39, s[18:19]
	v_cndmask_b32_e64 v35, v37, v49, s[18:19]
	v_and_b32_e32 v38, v34, v31
	v_and_b32_e32 v48, v35, v31
	v_cmp_le_i16_sdwa s[28:29], sext(v48), sext(v38) src0_sel:BYTE_0 src1_sel:BYTE_0
	s_and_b64 s[22:23], s[22:23], s[28:29]
	s_or_b64 s[20:21], s[20:21], s[22:23]
	v_cndmask_b32_e64 v20, v20, v36, s[20:21]
	v_lshlrev_b64 v[20:21], 3, v[20:21]
	v_add_co_u32_e64 v20, s[22:23], v4, v20
	v_addc_co_u32_e64 v21, s[22:23], v5, v21, s[22:23]
	flat_load_dwordx2 v[20:21], v[20:21] offset:1024
	v_cndmask_b32_e64 v32, v34, v35, s[20:21]
.LBB415_44:
	s_or_b64 exec, exec, s[26:27]
	; wave barrier
	flat_store_dwordx4 v[26:27], v[14:17] offset:1024
	v_lshlrev_b16_e32 v26, 8, v29
	v_lshlrev_b16_e32 v27, 8, v32
	v_or_b32_sdwa v26, v28, v26 dst_sel:DWORD dst_unused:UNUSED_PAD src0_sel:BYTE_0 src1_sel:DWORD
	v_or_b32_sdwa v27, v30, v27 dst_sel:WORD_1 dst_unused:UNUSED_PAD src0_sel:BYTE_0 src1_sel:DWORD
	v_or_b32_sdwa v26, v26, v27 dst_sel:DWORD dst_unused:UNUSED_PAD src0_sel:WORD_0 src1_sel:DWORD
	flat_store_dword v[12:13], v26
	s_waitcnt vmcnt(0) lgkmcnt(0)
	flat_store_dwordx4 v[24:25], v[18:21] offset:16
	v_and_b32_e32 v13, 0x1e0, v1
	v_or_b32_e32 v1, 16, v13
	v_min_u32_e32 v1, v33, v1
	v_add_u32_e32 v12, 16, v1
	v_min_u32_e32 v12, v33, v12
	v_min_u32_e32 v24, v33, v0
	v_sub_u32_e32 v25, v1, v13
	v_sub_u32_e32 v26, v12, v1
	v_sub_u32_e64 v26, v24, v26 clamp
	v_min_u32_e32 v25, v24, v25
	v_cmp_lt_u32_e32 vcc, v26, v25
	; wave barrier
	s_and_saveexec_b64 s[14:15], vcc
	s_cbranch_execz .LBB415_48
; %bb.45:
	v_add_co_u32_e32 v27, vcc, v10, v13
	v_addc_co_u32_e32 v33, vcc, 0, v11, vcc
	v_add_co_u32_e32 v34, vcc, v10, v1
	v_addc_co_u32_e32 v35, vcc, 0, v11, vcc
	s_mov_b64 s[18:19], 0
.LBB415_46:                             ; =>This Inner Loop Header: Depth=1
	v_add_u32_e32 v36, v25, v26
	v_lshrrev_b32_e32 v48, 1, v36
	v_add_co_u32_e32 v36, vcc, v27, v48
	v_xad_u32 v38, v48, -1, v24
	v_addc_co_u32_e32 v37, vcc, 0, v33, vcc
	v_add_co_u32_e32 v38, vcc, v34, v38
	v_addc_co_u32_e32 v39, vcc, 0, v35, vcc
	flat_load_ubyte v49, v[36:37]
	flat_load_ubyte v50, v[38:39]
	v_add_u32_e32 v36, 1, v48
	s_waitcnt vmcnt(0) lgkmcnt(0)
	v_and_b32_e32 v37, v49, v31
	v_and_b32_e32 v38, v50, v31
	v_cmp_gt_i16_sdwa vcc, sext(v37), sext(v38) src0_sel:BYTE_0 src1_sel:BYTE_0
	v_cndmask_b32_e32 v25, v25, v48, vcc
	v_cndmask_b32_e32 v26, v36, v26, vcc
	v_cmp_ge_u32_e32 vcc, v26, v25
	s_or_b64 s[18:19], vcc, s[18:19]
	s_andn2_b64 exec, exec, s[18:19]
	s_cbranch_execnz .LBB415_46
; %bb.47:
	s_or_b64 exec, exec, s[18:19]
.LBB415_48:
	s_or_b64 exec, exec, s[14:15]
	v_add_u32_e32 v25, v26, v13
	v_add_u32_e32 v13, v1, v24
	v_sub_u32_e32 v26, v13, v26
	v_cmp_le_u32_e32 vcc, v25, v1
	v_cmp_le_u32_e64 s[14:15], v26, v12
	s_or_b64 s[14:15], vcc, s[14:15]
	s_and_saveexec_b64 s[26:27], s[14:15]
	s_cbranch_execz .LBB415_54
; %bb.49:
	v_cmp_lt_u32_e32 vcc, v25, v1
                                        ; implicit-def: $vgpr13
	s_and_saveexec_b64 s[18:19], vcc
	s_cbranch_execz .LBB415_51
; %bb.50:
	v_add_co_u32_e64 v14, s[14:15], v10, v25
	v_addc_co_u32_e64 v15, s[14:15], 0, v11, s[14:15]
	flat_load_ubyte v13, v[14:15]
.LBB415_51:
	s_or_b64 exec, exec, s[18:19]
	v_cmp_ge_u32_e64 s[14:15], v26, v12
	v_cmp_lt_u32_e64 s[18:19], v26, v12
                                        ; implicit-def: $vgpr24
	s_and_saveexec_b64 s[20:21], s[18:19]
	s_cbranch_execz .LBB415_53
; %bb.52:
	v_add_co_u32_e64 v14, s[18:19], v10, v26
	v_addc_co_u32_e64 v15, s[18:19], 0, v11, s[18:19]
	flat_load_ubyte v24, v[14:15]
.LBB415_53:
	s_or_b64 exec, exec, s[20:21]
	s_waitcnt vmcnt(0) lgkmcnt(0)
	v_and_b32_e32 v14, v24, v31
	v_and_b32_e32 v15, v13, v31
	v_cmp_le_i16_sdwa s[18:19], sext(v15), sext(v14) src0_sel:BYTE_0 src1_sel:BYTE_0
	s_and_b64 s[18:19], vcc, s[18:19]
	s_or_b64 vcc, s[14:15], s[18:19]
	v_cndmask_b32_e32 v20, v26, v25, vcc
	v_cndmask_b32_e32 v14, v12, v1, vcc
	v_add_u32_e32 v16, 1, v20
	v_add_u32_e32 v14, -1, v14
	v_min_u32_e32 v14, v16, v14
	v_add_co_u32_e64 v14, s[14:15], v10, v14
	v_addc_co_u32_e64 v15, s[14:15], 0, v11, s[14:15]
	flat_load_ubyte v17, v[14:15]
	v_cndmask_b32_e32 v18, v16, v26, vcc
	v_cndmask_b32_e32 v19, v25, v16, vcc
	v_cmp_lt_u32_e64 s[18:19], v19, v1
	v_cmp_ge_u32_e64 s[14:15], v18, v12
	v_mov_b32_e32 v21, 0
	v_lshlrev_b64 v[14:15], 3, v[20:21]
	s_waitcnt vmcnt(0) lgkmcnt(0)
	v_cndmask_b32_e32 v25, v17, v24, vcc
	v_cndmask_b32_e32 v26, v13, v17, vcc
	v_and_b32_e32 v16, v25, v31
	v_and_b32_e32 v17, v26, v31
	v_cmp_le_i16_sdwa s[20:21], sext(v17), sext(v16) src0_sel:BYTE_0 src1_sel:BYTE_0
	s_and_b64 s[18:19], s[18:19], s[20:21]
	s_or_b64 s[14:15], s[14:15], s[18:19]
	v_cndmask_b32_e64 v20, v18, v19, s[14:15]
	v_cndmask_b32_e64 v16, v12, v1, s[14:15]
	v_add_u32_e32 v27, 1, v20
	v_add_u32_e32 v16, -1, v16
	v_min_u32_e32 v16, v27, v16
	v_add_co_u32_e64 v16, s[18:19], v10, v16
	v_addc_co_u32_e64 v17, s[18:19], 0, v11, s[18:19]
	flat_load_ubyte v28, v[16:17]
	v_cndmask_b32_e64 v29, v27, v18, s[14:15]
	v_cndmask_b32_e64 v27, v19, v27, s[14:15]
	v_cmp_lt_u32_e64 s[20:21], v27, v1
	v_cmp_ge_u32_e64 s[18:19], v29, v12
	v_lshlrev_b64 v[16:17], 3, v[20:21]
	s_waitcnt vmcnt(0) lgkmcnt(0)
	v_cndmask_b32_e64 v30, v28, v25, s[14:15]
	v_cndmask_b32_e64 v32, v26, v28, s[14:15]
	v_and_b32_e32 v18, v30, v31
	v_and_b32_e32 v19, v32, v31
	v_cmp_le_i16_sdwa s[22:23], sext(v19), sext(v18) src0_sel:BYTE_0 src1_sel:BYTE_0
	s_and_b64 s[20:21], s[20:21], s[22:23]
	s_or_b64 s[18:19], s[18:19], s[20:21]
	v_cndmask_b32_e64 v20, v29, v27, s[18:19]
	v_cndmask_b32_e64 v18, v12, v1, s[18:19]
	v_add_u32_e32 v28, 1, v20
	v_add_u32_e32 v18, -1, v18
	v_min_u32_e32 v18, v28, v18
	v_add_co_u32_e64 v10, s[20:21], v10, v18
	v_addc_co_u32_e64 v11, s[20:21], 0, v11, s[20:21]
	flat_load_ubyte v33, v[10:11]
	v_add_co_u32_e64 v10, s[20:21], v4, v14
	v_addc_co_u32_e64 v11, s[20:21], v5, v15, s[20:21]
	flat_load_dwordx2 v[14:15], v[10:11] offset:1024
	v_add_co_u32_e64 v10, s[20:21], v4, v16
	v_addc_co_u32_e64 v11, s[20:21], v5, v17, s[20:21]
	flat_load_dwordx2 v[16:17], v[10:11] offset:1024
	v_lshlrev_b64 v[10:11], 3, v[20:21]
	v_add_co_u32_e64 v10, s[20:21], v4, v10
	v_addc_co_u32_e64 v11, s[20:21], v5, v11, s[20:21]
	flat_load_dwordx2 v[18:19], v[10:11] offset:1024
	v_cndmask_b32_e64 v10, v28, v29, s[18:19]
	v_cndmask_b32_e64 v11, v27, v28, s[18:19]
	v_cmp_ge_u32_e64 s[20:21], v10, v12
	v_cmp_lt_u32_e64 s[22:23], v11, v1
	v_cndmask_b32_e32 v28, v24, v13, vcc
	v_cndmask_b32_e64 v29, v25, v26, s[14:15]
	s_waitcnt vmcnt(0) lgkmcnt(0)
	v_cndmask_b32_e64 v1, v33, v30, s[18:19]
	v_cndmask_b32_e64 v12, v32, v33, s[18:19]
	v_and_b32_e32 v20, v1, v31
	v_and_b32_e32 v27, v12, v31
	v_cmp_le_i16_sdwa s[28:29], sext(v27), sext(v20) src0_sel:BYTE_0 src1_sel:BYTE_0
	s_and_b64 s[22:23], s[22:23], s[28:29]
	s_or_b64 s[20:21], s[20:21], s[22:23]
	v_cndmask_b32_e64 v20, v10, v11, s[20:21]
	v_lshlrev_b64 v[10:11], 3, v[20:21]
	v_add_co_u32_e64 v4, s[22:23], v4, v10
	v_addc_co_u32_e64 v5, s[22:23], v5, v11, s[22:23]
	flat_load_dwordx2 v[20:21], v[4:5] offset:1024
	v_cndmask_b32_e64 v30, v30, v32, s[18:19]
	v_cndmask_b32_e64 v32, v1, v12, s[20:21]
.LBB415_54:
	s_or_b64 exec, exec, s[26:27]
	; wave barrier
	s_waitcnt lgkmcnt(0)
	s_barrier
                                        ; implicit-def: $vgpr1
                                        ; implicit-def: $vgpr12
                                        ; implicit-def: $vgpr13
                                        ; implicit-def: $vgpr31
                                        ; implicit-def: $vgpr4
                                        ; implicit-def: $vgpr5
.LBB415_55:
	s_andn2_saveexec_b64 s[20:21], s[24:25]
	s_cbranch_execz .LBB415_97
; %bb.56:
	s_load_dwordx2 s[14:15], s[8:9], 0x0
	v_mov_b32_e32 v10, 0
	s_waitcnt lgkmcnt(0)
	s_cmp_lt_u32 s12, s14
	s_cselect_b32 s14, 12, 18
	s_cmp_lt_u32 s13, s15
	s_cselect_b32 s12, 14, 20
	s_add_u32 s12, s8, s12
	s_addc_u32 s13, s9, 0
	s_add_u32 s8, s8, s14
	s_addc_u32 s9, s9, 0
	global_load_ushort v11, v10, s[12:13]
	global_load_ushort v24, v10, s[8:9]
	v_and_b32_e32 v10, 0x3ff, v31
	s_movk_i32 s8, 0x400
	s_waitcnt vmcnt(0)
	v_mad_u32_u24 v4, v5, v11, v4
	v_mul_lo_u32 v4, v4, v24
	v_add_lshl_u32 v26, v4, v10, 2
	v_cmp_gt_u32_e32 vcc, s8, v26
	s_and_saveexec_b64 s[14:15], vcc
	s_cbranch_execz .LBB415_66
; %bb.57:
	v_lshlrev_b16_e32 v4, 8, v32
	v_lshlrev_b16_e32 v5, 8, v28
	;; [unrolled: 1-line block ×3, first 2 shown]
	v_or_b32_sdwa v4, v30, v4 dst_sel:WORD_1 dst_unused:UNUSED_PAD src0_sel:BYTE_0 src1_sel:DWORD
	v_or_b32_sdwa v5, v29, v5 dst_sel:DWORD dst_unused:UNUSED_PAD src0_sel:BYTE_0 src1_sel:DWORD
	v_or_b32_sdwa v10, v28, v10 dst_sel:DWORD dst_unused:UNUSED_PAD src0_sel:BYTE_0 src1_sel:DWORD
	v_or_b32_sdwa v5, v5, v4 dst_sel:DWORD dst_unused:UNUSED_PAD src0_sel:WORD_0 src1_sel:DWORD
	v_or_b32_sdwa v4, v10, v4 dst_sel:DWORD dst_unused:UNUSED_PAD src0_sel:WORD_0 src1_sel:DWORD
	v_cmp_gt_i16_sdwa vcc, sext(v28), sext(v29) src0_sel:BYTE_0 src1_sel:BYTE_0
	v_cndmask_b32_e32 v24, v4, v5, vcc
	v_lshrrev_b32_e32 v4, 16, v24
	v_lshrrev_b32_e32 v5, 24, v24
	v_bfe_i32 v10, v5, 0, 8
	v_bfe_i32 v25, v4, 0, 8
	v_cmp_gt_i16_e64 s[8:9], v25, v10
	v_pk_mov_b32 v[4:5], v[18:19], v[18:19] op_sel:[0,1]
	s_and_saveexec_b64 s[12:13], s[8:9]
; %bb.58:
	s_mov_b32 s8, 0x6070504
	v_perm_b32 v24, v24, v24, s8
	v_pk_mov_b32 v[4:5], v[20:21], v[20:21] op_sel:[0,1]
	v_pk_mov_b32 v[20:21], v[18:19], v[18:19] op_sel:[0,1]
	v_mov_b32_e32 v25, v10
; %bb.59:
	s_or_b64 exec, exec, s[12:13]
	v_lshrrev_b32_e32 v10, 8, v24
	v_cndmask_b32_e32 v19, v17, v15, vcc
	v_cndmask_b32_e32 v18, v16, v14, vcc
	v_bfe_i32 v27, v10, 0, 8
	v_cmp_gt_i16_e64 s[8:9], v27, v25
	v_pk_mov_b32 v[10:11], v[18:19], v[18:19] op_sel:[0,1]
	s_and_saveexec_b64 s[12:13], s[8:9]
	s_xor_b64 s[8:9], exec, s[12:13]
; %bb.60:
	s_mov_b32 s12, 0x7050004
	v_perm_b32 v24, v24, v25, s12
	v_pk_mov_b32 v[10:11], v[4:5], v[4:5] op_sel:[0,1]
	v_pk_mov_b32 v[4:5], v[18:19], v[18:19] op_sel:[0,1]
	v_mov_b32_e32 v27, v25
; %bb.61:
	s_or_b64 exec, exec, s[8:9]
	s_mov_b32 s8, 0x3020004
	v_perm_b32 v18, v27, v24, s8
	v_cmp_gt_i16_sdwa s[8:9], sext(v24), v27 src0_sel:BYTE_0 src1_sel:DWORD
	v_cndmask_b32_e64 v28, v24, v18, s[8:9]
	v_lshrrev_b32_e32 v30, 16, v28
	v_lshrrev_b32_e32 v32, 24, v28
	v_bfe_i32 v18, v32, 0, 8
	v_bfe_i32 v27, v30, 0, 8
	v_lshrrev_b32_e32 v29, 8, v28
	v_cmp_gt_i16_e64 s[12:13], v27, v18
	v_pk_mov_b32 v[24:25], v[4:5], v[4:5] op_sel:[0,1]
	s_and_saveexec_b64 s[18:19], s[12:13]
; %bb.62:
	v_mov_b32_e32 v19, v30
	v_pk_mov_b32 v[24:25], v[20:21], v[20:21] op_sel:[0,1]
	v_pk_mov_b32 v[20:21], v[4:5], v[4:5] op_sel:[0,1]
	v_swap_b32 v30, v32
	v_mov_b32_e32 v27, v18
; %bb.63:
	s_or_b64 exec, exec, s[18:19]
	v_cndmask_b32_e32 v4, v14, v16, vcc
	v_cndmask_b32_e32 v5, v15, v17, vcc
	v_cndmask_b32_e64 v15, v5, v11, s[8:9]
	v_cndmask_b32_e64 v14, v4, v10, s[8:9]
	;; [unrolled: 1-line block ×4, first 2 shown]
	v_cmp_gt_i16_sdwa s[12:13], sext(v29), v27 src0_sel:BYTE_0 src1_sel:DWORD
	v_pk_mov_b32 v[18:19], v[24:25], v[24:25] op_sel:[0,1]
	s_and_saveexec_b64 s[8:9], s[12:13]
; %bb.64:
	v_mov_b32_e32 v30, v29
	v_mov_b32_e32 v29, v27
	v_pk_mov_b32 v[18:19], v[16:17], v[16:17] op_sel:[0,1]
	v_pk_mov_b32 v[16:17], v[24:25], v[24:25] op_sel:[0,1]
; %bb.65:
	s_or_b64 exec, exec, s[8:9]
.LBB415_66:
	s_or_b64 exec, exec, s[14:15]
	v_and_b32_e32 v4, 0xffffff00, v26
	v_add_co_u32_e32 v10, vcc, v12, v4
	v_addc_co_u32_e32 v11, vcc, 0, v13, vcc
	s_movk_i32 s12, 0x400
	v_add_co_u32_e32 v12, vcc, v10, v1
	v_sub_u32_e64 v31, s12, v4 clamp
	v_mad_u64_u32 v[4:5], s[8:9], v4, 7, v[10:11]
	v_addc_co_u32_e32 v13, vcc, 0, v11, vcc
	v_lshlrev_b32_e32 v24, 3, v1
	v_lshlrev_b16_e32 v33, 8, v29
	v_lshlrev_b16_e32 v34, 8, v32
	v_add_co_u32_e32 v26, vcc, v4, v24
	v_or_b32_sdwa v33, v28, v33 dst_sel:DWORD dst_unused:UNUSED_PAD src0_sel:BYTE_0 src1_sel:DWORD
	v_or_b32_sdwa v34, v30, v34 dst_sel:WORD_1 dst_unused:UNUSED_PAD src0_sel:BYTE_0 src1_sel:DWORD
	v_addc_co_u32_e32 v27, vcc, 0, v5, vcc
	v_or_b32_sdwa v33, v33, v34 dst_sel:DWORD dst_unused:UNUSED_PAD src0_sel:WORD_0 src1_sel:DWORD
	flat_store_dwordx4 v[26:27], v[14:17] offset:1024
	flat_store_dword v[12:13], v33
	flat_store_dwordx4 v[26:27], v[18:21] offset:1040
	v_or_b32_e32 v33, 4, v1
	v_min_u32_e32 v33, v31, v33
	v_add_u32_e32 v34, 4, v33
	v_and_b32_e32 v35, 0x1f8, v1
	v_min_u32_e32 v34, v31, v34
	v_and_b32_e32 v36, 4, v1
	v_add_co_u32_e32 v24, vcc, s12, v26
	v_min_u32_e32 v36, v31, v36
	v_sub_u32_e32 v38, v33, v35
	v_sub_u32_e32 v37, v34, v33
	v_addc_co_u32_e32 v25, vcc, 0, v27, vcc
	v_sub_u32_e64 v37, v36, v37 clamp
	v_min_u32_e32 v38, v36, v38
	v_cmp_lt_u32_e32 vcc, v37, v38
	; wave barrier
	s_and_saveexec_b64 s[8:9], vcc
	s_cbranch_execz .LBB415_70
; %bb.67:
	v_add_co_u32_e32 v39, vcc, v10, v35
	v_addc_co_u32_e32 v48, vcc, 0, v11, vcc
	v_add_co_u32_e32 v49, vcc, v10, v33
	v_addc_co_u32_e32 v50, vcc, 0, v11, vcc
	s_mov_b64 s[12:13], 0
.LBB415_68:                             ; =>This Inner Loop Header: Depth=1
	v_add_u32_e32 v51, v38, v37
	v_lshrrev_b32_e32 v51, 1, v51
	v_add_co_u32_e32 v52, vcc, v39, v51
	v_xad_u32 v54, v51, -1, v36
	v_addc_co_u32_e32 v53, vcc, 0, v48, vcc
	v_add_co_u32_e32 v54, vcc, v49, v54
	v_addc_co_u32_e32 v55, vcc, 0, v50, vcc
	flat_load_sbyte v64, v[52:53]
	flat_load_sbyte v65, v[54:55]
	v_add_u32_e32 v52, 1, v51
	s_waitcnt vmcnt(0) lgkmcnt(0)
	v_cmp_gt_i16_e32 vcc, v64, v65
	v_cndmask_b32_e32 v38, v38, v51, vcc
	v_cndmask_b32_e32 v37, v52, v37, vcc
	v_cmp_ge_u32_e32 vcc, v37, v38
	s_or_b64 s[12:13], vcc, s[12:13]
	s_andn2_b64 exec, exec, s[12:13]
	s_cbranch_execnz .LBB415_68
; %bb.69:
	s_or_b64 exec, exec, s[12:13]
.LBB415_70:
	s_or_b64 exec, exec, s[8:9]
	v_add_u32_e32 v36, v33, v36
	v_add_u32_e32 v35, v37, v35
	v_sub_u32_e32 v36, v36, v37
	v_cmp_le_u32_e32 vcc, v35, v33
	v_cmp_le_u32_e64 s[8:9], v36, v34
	s_or_b64 s[8:9], vcc, s[8:9]
	s_and_saveexec_b64 s[22:23], s[8:9]
	s_cbranch_execz .LBB415_76
; %bb.71:
	v_cmp_lt_u32_e32 vcc, v35, v33
                                        ; implicit-def: $vgpr28
	s_and_saveexec_b64 s[12:13], vcc
	s_cbranch_execz .LBB415_73
; %bb.72:
	v_add_co_u32_e64 v14, s[8:9], v10, v35
	v_addc_co_u32_e64 v15, s[8:9], 0, v11, s[8:9]
	flat_load_ubyte v28, v[14:15]
.LBB415_73:
	s_or_b64 exec, exec, s[12:13]
	v_cmp_ge_u32_e64 s[8:9], v36, v34
	v_cmp_lt_u32_e64 s[12:13], v36, v34
                                        ; implicit-def: $vgpr29
	s_and_saveexec_b64 s[14:15], s[12:13]
	s_cbranch_execz .LBB415_75
; %bb.74:
	v_add_co_u32_e64 v14, s[12:13], v10, v36
	v_addc_co_u32_e64 v15, s[12:13], 0, v11, s[12:13]
	flat_load_ubyte v29, v[14:15]
.LBB415_75:
	s_or_b64 exec, exec, s[14:15]
	s_waitcnt vmcnt(0) lgkmcnt(0)
	v_cmp_le_i16_sdwa s[12:13], sext(v28), sext(v29) src0_sel:BYTE_0 src1_sel:BYTE_0
	s_and_b64 s[12:13], vcc, s[12:13]
	s_or_b64 vcc, s[8:9], s[12:13]
	v_cndmask_b32_e32 v20, v36, v35, vcc
	v_cndmask_b32_e32 v14, v34, v33, vcc
	v_add_u32_e32 v16, 1, v20
	v_add_u32_e32 v14, -1, v14
	v_min_u32_e32 v14, v16, v14
	v_add_co_u32_e64 v14, s[8:9], v10, v14
	v_addc_co_u32_e64 v15, s[8:9], 0, v11, s[8:9]
	flat_load_ubyte v17, v[14:15]
	v_cndmask_b32_e32 v19, v35, v16, vcc
	v_cndmask_b32_e32 v18, v16, v36, vcc
	v_cmp_lt_u32_e64 s[12:13], v19, v33
	v_cmp_ge_u32_e64 s[8:9], v18, v34
	v_mov_b32_e32 v21, 0
	v_lshlrev_b64 v[14:15], 3, v[20:21]
	s_waitcnt vmcnt(0) lgkmcnt(0)
	v_cndmask_b32_e32 v30, v17, v29, vcc
	v_cndmask_b32_e32 v32, v28, v17, vcc
	v_cmp_le_i16_sdwa s[14:15], sext(v32), sext(v30) src0_sel:BYTE_0 src1_sel:BYTE_0
	s_and_b64 s[12:13], s[12:13], s[14:15]
	s_or_b64 s[8:9], s[8:9], s[12:13]
	v_cndmask_b32_e64 v20, v18, v19, s[8:9]
	v_cndmask_b32_e64 v16, v34, v33, s[8:9]
	v_add_u32_e32 v35, 1, v20
	v_add_u32_e32 v16, -1, v16
	v_min_u32_e32 v16, v35, v16
	v_add_co_u32_e64 v16, s[12:13], v10, v16
	v_addc_co_u32_e64 v17, s[12:13], 0, v11, s[12:13]
	flat_load_ubyte v36, v[16:17]
	v_cndmask_b32_e64 v37, v35, v18, s[8:9]
	v_cndmask_b32_e64 v35, v19, v35, s[8:9]
	v_cmp_lt_u32_e64 s[14:15], v35, v33
	v_cmp_ge_u32_e64 s[12:13], v37, v34
	v_lshlrev_b64 v[16:17], 3, v[20:21]
	v_cndmask_b32_e32 v28, v29, v28, vcc
	v_cndmask_b32_e64 v29, v30, v32, s[8:9]
	s_waitcnt vmcnt(0) lgkmcnt(0)
	v_cndmask_b32_e64 v38, v36, v30, s[8:9]
	v_cndmask_b32_e64 v36, v32, v36, s[8:9]
	v_cmp_le_i16_sdwa s[18:19], sext(v36), sext(v38) src0_sel:BYTE_0 src1_sel:BYTE_0
	s_and_b64 s[14:15], s[14:15], s[18:19]
	s_or_b64 s[12:13], s[12:13], s[14:15]
	v_cndmask_b32_e64 v20, v37, v35, s[12:13]
	v_cndmask_b32_e64 v18, v34, v33, s[12:13]
	v_add_u32_e32 v39, 1, v20
	v_add_u32_e32 v18, -1, v18
	v_min_u32_e32 v18, v39, v18
	v_add_co_u32_e64 v18, s[14:15], v10, v18
	v_addc_co_u32_e64 v19, s[14:15], 0, v11, s[14:15]
	flat_load_ubyte v48, v[18:19]
	v_add_co_u32_e64 v14, s[14:15], v4, v14
	v_addc_co_u32_e64 v15, s[14:15], v5, v15, s[14:15]
	v_add_co_u32_e64 v16, s[14:15], v4, v16
	v_addc_co_u32_e64 v17, s[14:15], v5, v17, s[14:15]
	flat_load_dwordx2 v[16:17], v[16:17] offset:1024
	v_lshlrev_b64 v[18:19], 3, v[20:21]
	flat_load_dwordx2 v[14:15], v[14:15] offset:1024
	v_add_co_u32_e64 v18, s[14:15], v4, v18
	v_addc_co_u32_e64 v19, s[14:15], v5, v19, s[14:15]
	v_cndmask_b32_e64 v20, v39, v37, s[12:13]
	v_cndmask_b32_e64 v35, v35, v39, s[12:13]
	v_cmp_ge_u32_e64 s[14:15], v20, v34
	v_cmp_lt_u32_e64 s[18:19], v35, v33
	flat_load_dwordx2 v[18:19], v[18:19] offset:1024
	v_cndmask_b32_e64 v30, v38, v36, s[12:13]
	s_waitcnt vmcnt(0) lgkmcnt(0)
	v_cndmask_b32_e64 v33, v48, v38, s[12:13]
	v_cndmask_b32_e64 v34, v36, v48, s[12:13]
	v_cmp_le_i16_sdwa s[24:25], sext(v34), sext(v33) src0_sel:BYTE_0 src1_sel:BYTE_0
	s_and_b64 s[18:19], s[18:19], s[24:25]
	s_or_b64 s[14:15], s[14:15], s[18:19]
	v_cndmask_b32_e64 v20, v20, v35, s[14:15]
	v_lshlrev_b64 v[20:21], 3, v[20:21]
	v_add_co_u32_e64 v20, s[18:19], v4, v20
	v_addc_co_u32_e64 v21, s[18:19], v5, v21, s[18:19]
	flat_load_dwordx2 v[20:21], v[20:21] offset:1024
	v_cndmask_b32_e64 v32, v33, v34, s[14:15]
.LBB415_76:
	s_or_b64 exec, exec, s[22:23]
	v_lshlrev_b16_e32 v33, 8, v29
	v_lshlrev_b16_e32 v34, 8, v32
	v_or_b32_sdwa v33, v28, v33 dst_sel:DWORD dst_unused:UNUSED_PAD src0_sel:BYTE_0 src1_sel:DWORD
	v_or_b32_sdwa v34, v30, v34 dst_sel:WORD_1 dst_unused:UNUSED_PAD src0_sel:BYTE_0 src1_sel:DWORD
	v_or_b32_sdwa v33, v33, v34 dst_sel:DWORD dst_unused:UNUSED_PAD src0_sel:WORD_0 src1_sel:DWORD
	v_and_b32_e32 v35, 0x1f0, v1
	; wave barrier
	flat_store_dwordx4 v[26:27], v[14:17] offset:1024
	flat_store_dword v[12:13], v33
	s_waitcnt vmcnt(0) lgkmcnt(0)
	flat_store_dwordx4 v[24:25], v[18:21] offset:16
	v_or_b32_e32 v33, 8, v35
	v_min_u32_e32 v33, v31, v33
	v_add_u32_e32 v34, 8, v33
	v_min_u32_e32 v34, v31, v34
	v_and_b32_e32 v36, 12, v1
	v_min_u32_e32 v36, v31, v36
	v_sub_u32_e32 v38, v33, v35
	v_sub_u32_e32 v37, v34, v33
	v_sub_u32_e64 v37, v36, v37 clamp
	v_min_u32_e32 v38, v36, v38
	v_cmp_lt_u32_e32 vcc, v37, v38
	; wave barrier
	s_and_saveexec_b64 s[8:9], vcc
	s_cbranch_execz .LBB415_80
; %bb.77:
	v_add_co_u32_e32 v39, vcc, v10, v35
	v_addc_co_u32_e32 v48, vcc, 0, v11, vcc
	v_add_co_u32_e32 v49, vcc, v10, v33
	v_addc_co_u32_e32 v50, vcc, 0, v11, vcc
	s_mov_b64 s[12:13], 0
.LBB415_78:                             ; =>This Inner Loop Header: Depth=1
	v_add_u32_e32 v51, v38, v37
	v_lshrrev_b32_e32 v51, 1, v51
	v_add_co_u32_e32 v52, vcc, v39, v51
	v_xad_u32 v54, v51, -1, v36
	v_addc_co_u32_e32 v53, vcc, 0, v48, vcc
	v_add_co_u32_e32 v54, vcc, v49, v54
	v_addc_co_u32_e32 v55, vcc, 0, v50, vcc
	flat_load_sbyte v64, v[52:53]
	flat_load_sbyte v65, v[54:55]
	v_add_u32_e32 v52, 1, v51
	s_waitcnt vmcnt(0) lgkmcnt(0)
	v_cmp_gt_i16_e32 vcc, v64, v65
	v_cndmask_b32_e32 v38, v38, v51, vcc
	v_cndmask_b32_e32 v37, v52, v37, vcc
	v_cmp_ge_u32_e32 vcc, v37, v38
	s_or_b64 s[12:13], vcc, s[12:13]
	s_andn2_b64 exec, exec, s[12:13]
	s_cbranch_execnz .LBB415_78
; %bb.79:
	s_or_b64 exec, exec, s[12:13]
.LBB415_80:
	s_or_b64 exec, exec, s[8:9]
	v_add_u32_e32 v36, v33, v36
	v_add_u32_e32 v35, v37, v35
	v_sub_u32_e32 v36, v36, v37
	v_cmp_le_u32_e32 vcc, v35, v33
	v_cmp_le_u32_e64 s[8:9], v36, v34
	s_or_b64 s[8:9], vcc, s[8:9]
	s_and_saveexec_b64 s[22:23], s[8:9]
	s_cbranch_execz .LBB415_86
; %bb.81:
	v_cmp_lt_u32_e32 vcc, v35, v33
                                        ; implicit-def: $vgpr28
	s_and_saveexec_b64 s[12:13], vcc
	s_cbranch_execz .LBB415_83
; %bb.82:
	v_add_co_u32_e64 v14, s[8:9], v10, v35
	v_addc_co_u32_e64 v15, s[8:9], 0, v11, s[8:9]
	flat_load_ubyte v28, v[14:15]
.LBB415_83:
	s_or_b64 exec, exec, s[12:13]
	v_cmp_ge_u32_e64 s[8:9], v36, v34
	v_cmp_lt_u32_e64 s[12:13], v36, v34
                                        ; implicit-def: $vgpr29
	s_and_saveexec_b64 s[14:15], s[12:13]
	s_cbranch_execz .LBB415_85
; %bb.84:
	v_add_co_u32_e64 v14, s[12:13], v10, v36
	v_addc_co_u32_e64 v15, s[12:13], 0, v11, s[12:13]
	flat_load_ubyte v29, v[14:15]
.LBB415_85:
	s_or_b64 exec, exec, s[14:15]
	s_waitcnt vmcnt(0) lgkmcnt(0)
	v_cmp_le_i16_sdwa s[12:13], sext(v28), sext(v29) src0_sel:BYTE_0 src1_sel:BYTE_0
	s_and_b64 s[12:13], vcc, s[12:13]
	s_or_b64 vcc, s[8:9], s[12:13]
	v_cndmask_b32_e32 v20, v36, v35, vcc
	v_cndmask_b32_e32 v14, v34, v33, vcc
	v_add_u32_e32 v16, 1, v20
	v_add_u32_e32 v14, -1, v14
	v_min_u32_e32 v14, v16, v14
	v_add_co_u32_e64 v14, s[8:9], v10, v14
	v_addc_co_u32_e64 v15, s[8:9], 0, v11, s[8:9]
	flat_load_ubyte v17, v[14:15]
	v_cndmask_b32_e32 v19, v35, v16, vcc
	v_cndmask_b32_e32 v18, v16, v36, vcc
	v_cmp_lt_u32_e64 s[12:13], v19, v33
	v_cmp_ge_u32_e64 s[8:9], v18, v34
	v_mov_b32_e32 v21, 0
	v_lshlrev_b64 v[14:15], 3, v[20:21]
	s_waitcnt vmcnt(0) lgkmcnt(0)
	v_cndmask_b32_e32 v30, v17, v29, vcc
	v_cndmask_b32_e32 v32, v28, v17, vcc
	v_cmp_le_i16_sdwa s[14:15], sext(v32), sext(v30) src0_sel:BYTE_0 src1_sel:BYTE_0
	s_and_b64 s[12:13], s[12:13], s[14:15]
	s_or_b64 s[8:9], s[8:9], s[12:13]
	v_cndmask_b32_e64 v20, v18, v19, s[8:9]
	v_cndmask_b32_e64 v16, v34, v33, s[8:9]
	v_add_u32_e32 v35, 1, v20
	v_add_u32_e32 v16, -1, v16
	v_min_u32_e32 v16, v35, v16
	v_add_co_u32_e64 v16, s[12:13], v10, v16
	v_addc_co_u32_e64 v17, s[12:13], 0, v11, s[12:13]
	flat_load_ubyte v36, v[16:17]
	v_cndmask_b32_e64 v37, v35, v18, s[8:9]
	v_cndmask_b32_e64 v35, v19, v35, s[8:9]
	v_cmp_lt_u32_e64 s[14:15], v35, v33
	v_cmp_ge_u32_e64 s[12:13], v37, v34
	v_lshlrev_b64 v[16:17], 3, v[20:21]
	v_cndmask_b32_e32 v28, v29, v28, vcc
	v_cndmask_b32_e64 v29, v30, v32, s[8:9]
	s_waitcnt vmcnt(0) lgkmcnt(0)
	v_cndmask_b32_e64 v38, v36, v30, s[8:9]
	v_cndmask_b32_e64 v36, v32, v36, s[8:9]
	v_cmp_le_i16_sdwa s[18:19], sext(v36), sext(v38) src0_sel:BYTE_0 src1_sel:BYTE_0
	s_and_b64 s[14:15], s[14:15], s[18:19]
	s_or_b64 s[12:13], s[12:13], s[14:15]
	v_cndmask_b32_e64 v20, v37, v35, s[12:13]
	v_cndmask_b32_e64 v18, v34, v33, s[12:13]
	v_add_u32_e32 v39, 1, v20
	v_add_u32_e32 v18, -1, v18
	v_min_u32_e32 v18, v39, v18
	v_add_co_u32_e64 v18, s[14:15], v10, v18
	v_addc_co_u32_e64 v19, s[14:15], 0, v11, s[14:15]
	flat_load_ubyte v48, v[18:19]
	v_add_co_u32_e64 v14, s[14:15], v4, v14
	v_addc_co_u32_e64 v15, s[14:15], v5, v15, s[14:15]
	v_add_co_u32_e64 v16, s[14:15], v4, v16
	v_addc_co_u32_e64 v17, s[14:15], v5, v17, s[14:15]
	flat_load_dwordx2 v[16:17], v[16:17] offset:1024
	v_lshlrev_b64 v[18:19], 3, v[20:21]
	flat_load_dwordx2 v[14:15], v[14:15] offset:1024
	v_add_co_u32_e64 v18, s[14:15], v4, v18
	v_addc_co_u32_e64 v19, s[14:15], v5, v19, s[14:15]
	v_cndmask_b32_e64 v20, v39, v37, s[12:13]
	v_cndmask_b32_e64 v35, v35, v39, s[12:13]
	v_cmp_ge_u32_e64 s[14:15], v20, v34
	v_cmp_lt_u32_e64 s[18:19], v35, v33
	flat_load_dwordx2 v[18:19], v[18:19] offset:1024
	v_cndmask_b32_e64 v30, v38, v36, s[12:13]
	s_waitcnt vmcnt(0) lgkmcnt(0)
	v_cndmask_b32_e64 v33, v48, v38, s[12:13]
	v_cndmask_b32_e64 v34, v36, v48, s[12:13]
	v_cmp_le_i16_sdwa s[24:25], sext(v34), sext(v33) src0_sel:BYTE_0 src1_sel:BYTE_0
	s_and_b64 s[18:19], s[18:19], s[24:25]
	s_or_b64 s[14:15], s[14:15], s[18:19]
	v_cndmask_b32_e64 v20, v20, v35, s[14:15]
	v_lshlrev_b64 v[20:21], 3, v[20:21]
	v_add_co_u32_e64 v20, s[18:19], v4, v20
	v_addc_co_u32_e64 v21, s[18:19], v5, v21, s[18:19]
	flat_load_dwordx2 v[20:21], v[20:21] offset:1024
	v_cndmask_b32_e64 v32, v33, v34, s[14:15]
.LBB415_86:
	s_or_b64 exec, exec, s[22:23]
	; wave barrier
	flat_store_dwordx4 v[26:27], v[14:17] offset:1024
	v_lshlrev_b16_e32 v26, 8, v29
	v_lshlrev_b16_e32 v27, 8, v32
	v_or_b32_sdwa v26, v28, v26 dst_sel:DWORD dst_unused:UNUSED_PAD src0_sel:BYTE_0 src1_sel:DWORD
	v_or_b32_sdwa v27, v30, v27 dst_sel:WORD_1 dst_unused:UNUSED_PAD src0_sel:BYTE_0 src1_sel:DWORD
	v_or_b32_sdwa v26, v26, v27 dst_sel:DWORD dst_unused:UNUSED_PAD src0_sel:WORD_0 src1_sel:DWORD
	flat_store_dword v[12:13], v26
	s_waitcnt vmcnt(0) lgkmcnt(0)
	flat_store_dwordx4 v[24:25], v[18:21] offset:16
	v_and_b32_e32 v13, 0x1e0, v1
	v_or_b32_e32 v1, 16, v13
	v_min_u32_e32 v1, v31, v1
	v_add_u32_e32 v12, 16, v1
	v_min_u32_e32 v12, v31, v12
	v_min_u32_e32 v24, v31, v0
	v_sub_u32_e32 v25, v1, v13
	v_sub_u32_e32 v26, v12, v1
	v_sub_u32_e64 v26, v24, v26 clamp
	v_min_u32_e32 v25, v24, v25
	v_cmp_lt_u32_e32 vcc, v26, v25
	; wave barrier
	s_and_saveexec_b64 s[8:9], vcc
	s_cbranch_execz .LBB415_90
; %bb.87:
	v_add_co_u32_e32 v27, vcc, v10, v13
	v_addc_co_u32_e32 v31, vcc, 0, v11, vcc
	v_add_co_u32_e32 v33, vcc, v10, v1
	v_addc_co_u32_e32 v34, vcc, 0, v11, vcc
	s_mov_b64 s[12:13], 0
.LBB415_88:                             ; =>This Inner Loop Header: Depth=1
	v_add_u32_e32 v35, v25, v26
	v_lshrrev_b32_e32 v35, 1, v35
	v_add_co_u32_e32 v36, vcc, v27, v35
	v_xad_u32 v38, v35, -1, v24
	v_addc_co_u32_e32 v37, vcc, 0, v31, vcc
	v_add_co_u32_e32 v38, vcc, v33, v38
	v_addc_co_u32_e32 v39, vcc, 0, v34, vcc
	flat_load_sbyte v48, v[36:37]
	flat_load_sbyte v49, v[38:39]
	v_add_u32_e32 v36, 1, v35
	s_waitcnt vmcnt(0) lgkmcnt(0)
	v_cmp_gt_i16_e32 vcc, v48, v49
	v_cndmask_b32_e32 v25, v25, v35, vcc
	v_cndmask_b32_e32 v26, v36, v26, vcc
	v_cmp_ge_u32_e32 vcc, v26, v25
	s_or_b64 s[12:13], vcc, s[12:13]
	s_andn2_b64 exec, exec, s[12:13]
	s_cbranch_execnz .LBB415_88
; %bb.89:
	s_or_b64 exec, exec, s[12:13]
.LBB415_90:
	s_or_b64 exec, exec, s[8:9]
	v_add_u32_e32 v25, v26, v13
	v_add_u32_e32 v13, v1, v24
	v_sub_u32_e32 v26, v13, v26
	v_cmp_le_u32_e32 vcc, v25, v1
	v_cmp_le_u32_e64 s[8:9], v26, v12
	s_or_b64 s[8:9], vcc, s[8:9]
	s_and_saveexec_b64 s[22:23], s[8:9]
	s_cbranch_execz .LBB415_96
; %bb.91:
	v_cmp_lt_u32_e32 vcc, v25, v1
                                        ; implicit-def: $vgpr13
	s_and_saveexec_b64 s[12:13], vcc
	s_cbranch_execz .LBB415_93
; %bb.92:
	v_add_co_u32_e64 v14, s[8:9], v10, v25
	v_addc_co_u32_e64 v15, s[8:9], 0, v11, s[8:9]
	flat_load_ubyte v13, v[14:15]
.LBB415_93:
	s_or_b64 exec, exec, s[12:13]
	v_cmp_ge_u32_e64 s[8:9], v26, v12
	v_cmp_lt_u32_e64 s[12:13], v26, v12
                                        ; implicit-def: $vgpr24
	s_and_saveexec_b64 s[14:15], s[12:13]
	s_cbranch_execz .LBB415_95
; %bb.94:
	v_add_co_u32_e64 v14, s[12:13], v10, v26
	v_addc_co_u32_e64 v15, s[12:13], 0, v11, s[12:13]
	flat_load_ubyte v24, v[14:15]
.LBB415_95:
	s_or_b64 exec, exec, s[14:15]
	s_waitcnt vmcnt(0) lgkmcnt(0)
	v_cmp_le_i16_sdwa s[12:13], sext(v13), sext(v24) src0_sel:BYTE_0 src1_sel:BYTE_0
	s_and_b64 s[12:13], vcc, s[12:13]
	s_or_b64 vcc, s[8:9], s[12:13]
	v_cndmask_b32_e32 v20, v26, v25, vcc
	v_cndmask_b32_e32 v14, v12, v1, vcc
	v_add_u32_e32 v16, 1, v20
	v_add_u32_e32 v14, -1, v14
	v_min_u32_e32 v14, v16, v14
	v_add_co_u32_e64 v14, s[8:9], v10, v14
	v_addc_co_u32_e64 v15, s[8:9], 0, v11, s[8:9]
	flat_load_ubyte v17, v[14:15]
	v_cndmask_b32_e32 v18, v16, v26, vcc
	v_cndmask_b32_e32 v19, v25, v16, vcc
	v_cmp_lt_u32_e64 s[12:13], v19, v1
	v_cmp_ge_u32_e64 s[8:9], v18, v12
	v_mov_b32_e32 v21, 0
	v_lshlrev_b64 v[14:15], 3, v[20:21]
	s_waitcnt vmcnt(0) lgkmcnt(0)
	v_cndmask_b32_e32 v25, v17, v24, vcc
	v_cndmask_b32_e32 v26, v13, v17, vcc
	v_cmp_le_i16_sdwa s[14:15], sext(v26), sext(v25) src0_sel:BYTE_0 src1_sel:BYTE_0
	s_and_b64 s[12:13], s[12:13], s[14:15]
	s_or_b64 s[8:9], s[8:9], s[12:13]
	v_cndmask_b32_e64 v20, v18, v19, s[8:9]
	v_cndmask_b32_e64 v16, v12, v1, s[8:9]
	v_add_u32_e32 v27, 1, v20
	v_add_u32_e32 v16, -1, v16
	v_min_u32_e32 v16, v27, v16
	v_add_co_u32_e64 v16, s[12:13], v10, v16
	v_addc_co_u32_e64 v17, s[12:13], 0, v11, s[12:13]
	flat_load_ubyte v28, v[16:17]
	v_cndmask_b32_e64 v29, v27, v18, s[8:9]
	v_cndmask_b32_e64 v27, v19, v27, s[8:9]
	v_cmp_lt_u32_e64 s[14:15], v27, v1
	v_cmp_ge_u32_e64 s[12:13], v29, v12
	v_lshlrev_b64 v[16:17], 3, v[20:21]
	s_waitcnt vmcnt(0) lgkmcnt(0)
	v_cndmask_b32_e64 v30, v28, v25, s[8:9]
	v_cndmask_b32_e64 v31, v26, v28, s[8:9]
	v_cmp_le_i16_sdwa s[18:19], sext(v31), sext(v30) src0_sel:BYTE_0 src1_sel:BYTE_0
	s_and_b64 s[14:15], s[14:15], s[18:19]
	s_or_b64 s[12:13], s[12:13], s[14:15]
	v_cndmask_b32_e64 v20, v29, v27, s[12:13]
	v_cndmask_b32_e64 v18, v12, v1, s[12:13]
	v_add_u32_e32 v28, 1, v20
	v_add_u32_e32 v18, -1, v18
	v_min_u32_e32 v18, v28, v18
	v_add_co_u32_e64 v10, s[14:15], v10, v18
	v_addc_co_u32_e64 v11, s[14:15], 0, v11, s[14:15]
	flat_load_ubyte v32, v[10:11]
	v_add_co_u32_e64 v10, s[14:15], v4, v14
	v_addc_co_u32_e64 v11, s[14:15], v5, v15, s[14:15]
	flat_load_dwordx2 v[14:15], v[10:11] offset:1024
	v_add_co_u32_e64 v10, s[14:15], v4, v16
	v_addc_co_u32_e64 v11, s[14:15], v5, v17, s[14:15]
	flat_load_dwordx2 v[16:17], v[10:11] offset:1024
	v_lshlrev_b64 v[10:11], 3, v[20:21]
	v_add_co_u32_e64 v10, s[14:15], v4, v10
	v_addc_co_u32_e64 v11, s[14:15], v5, v11, s[14:15]
	flat_load_dwordx2 v[18:19], v[10:11] offset:1024
	v_cndmask_b32_e64 v10, v28, v29, s[12:13]
	v_cndmask_b32_e64 v11, v27, v28, s[12:13]
	v_cmp_ge_u32_e64 s[14:15], v10, v12
	v_cmp_lt_u32_e64 s[18:19], v11, v1
	v_cndmask_b32_e32 v28, v24, v13, vcc
	v_cndmask_b32_e64 v29, v25, v26, s[8:9]
	s_waitcnt vmcnt(0) lgkmcnt(0)
	v_cndmask_b32_e64 v1, v32, v30, s[12:13]
	v_cndmask_b32_e64 v12, v31, v32, s[12:13]
	v_cmp_le_i16_sdwa s[24:25], sext(v12), sext(v1) src0_sel:BYTE_0 src1_sel:BYTE_0
	s_and_b64 s[18:19], s[18:19], s[24:25]
	s_or_b64 s[14:15], s[14:15], s[18:19]
	v_cndmask_b32_e64 v20, v10, v11, s[14:15]
	v_lshlrev_b64 v[10:11], 3, v[20:21]
	v_add_co_u32_e64 v4, s[18:19], v4, v10
	v_addc_co_u32_e64 v5, s[18:19], v5, v11, s[18:19]
	flat_load_dwordx2 v[20:21], v[4:5] offset:1024
	v_cndmask_b32_e64 v30, v30, v31, s[12:13]
	v_cndmask_b32_e64 v32, v1, v12, s[14:15]
.LBB415_96:
	s_or_b64 exec, exec, s[22:23]
	; wave barrier
	s_waitcnt lgkmcnt(0)
	s_barrier
.LBB415_97:
	s_or_b64 exec, exec, s[20:21]
	v_add_co_u32_e32 v1, vcc, v2, v8
	v_addc_co_u32_e32 v2, vcc, 0, v3, vcc
	v_add_co_u32_e32 v0, vcc, v1, v0
	v_addc_co_u32_e32 v1, vcc, 0, v2, vcc
	s_waitcnt lgkmcnt(0)
	; wave barrier
	s_and_saveexec_b64 s[8:9], s[4:5]
	s_cbranch_execnz .LBB415_110
; %bb.98:
	s_or_b64 exec, exec, s[8:9]
	s_and_saveexec_b64 s[8:9], s[6:7]
	s_cbranch_execnz .LBB415_111
.LBB415_99:
	s_or_b64 exec, exec, s[8:9]
	s_and_saveexec_b64 s[8:9], s[16:17]
	s_cbranch_execnz .LBB415_112
.LBB415_100:
	s_or_b64 exec, exec, s[8:9]
	s_and_saveexec_b64 s[8:9], s[10:11]
	s_cbranch_execz .LBB415_102
.LBB415_101:
	s_waitcnt vmcnt(0) lgkmcnt(0)
	flat_store_byte v[0:1], v32 offset:3
.LBB415_102:
	s_or_b64 exec, exec, s[8:9]
	v_add_co_u32_e32 v0, vcc, v6, v22
	v_addc_co_u32_e32 v1, vcc, v7, v23, vcc
	v_add_co_u32_e32 v0, vcc, v0, v9
	v_addc_co_u32_e32 v1, vcc, 0, v1, vcc
	; wave barrier
	s_and_saveexec_b64 s[8:9], s[4:5]
	s_cbranch_execnz .LBB415_113
; %bb.103:
	s_or_b64 exec, exec, s[8:9]
	s_and_saveexec_b64 s[4:5], s[6:7]
	s_cbranch_execnz .LBB415_114
.LBB415_104:
	s_or_b64 exec, exec, s[4:5]
	s_and_saveexec_b64 s[4:5], s[16:17]
	s_cbranch_execnz .LBB415_115
.LBB415_105:
	s_or_b64 exec, exec, s[4:5]
	s_and_saveexec_b64 s[4:5], s[10:11]
	s_cbranch_execnz .LBB415_116
.LBB415_106:
	s_or_b64 exec, exec, s[4:5]
	s_waitcnt vmcnt(0) lgkmcnt(0)
	s_setpc_b64 s[30:31]
.LBB415_107:
	flat_load_dwordx2 v[14:15], v[4:5]
	s_or_b64 exec, exec, s[14:15]
	s_and_saveexec_b64 s[14:15], s[6:7]
	s_cbranch_execz .LBB415_10
.LBB415_108:
	flat_load_dwordx2 v[16:17], v[4:5] offset:8
	s_or_b64 exec, exec, s[14:15]
                                        ; implicit-def: $vgpr18_vgpr19
	s_and_saveexec_b64 s[14:15], s[16:17]
	s_cbranch_execz .LBB415_11
.LBB415_109:
	flat_load_dwordx2 v[18:19], v[4:5] offset:16
	s_or_b64 exec, exec, s[14:15]
	s_and_saveexec_b64 s[14:15], s[10:11]
	s_cbranch_execnz .LBB415_12
	s_branch .LBB415_13
.LBB415_110:
	s_waitcnt vmcnt(0) lgkmcnt(0)
	flat_store_byte v[0:1], v28
	s_or_b64 exec, exec, s[8:9]
	s_and_saveexec_b64 s[8:9], s[6:7]
	s_cbranch_execz .LBB415_99
.LBB415_111:
	s_waitcnt vmcnt(0) lgkmcnt(0)
	flat_store_byte v[0:1], v29 offset:1
	s_or_b64 exec, exec, s[8:9]
	s_and_saveexec_b64 s[8:9], s[16:17]
	s_cbranch_execz .LBB415_100
.LBB415_112:
	s_waitcnt vmcnt(0) lgkmcnt(0)
	flat_store_byte v[0:1], v30 offset:2
	s_or_b64 exec, exec, s[8:9]
	s_and_saveexec_b64 s[8:9], s[10:11]
	s_cbranch_execnz .LBB415_101
	s_branch .LBB415_102
.LBB415_113:
	s_waitcnt vmcnt(0) lgkmcnt(0)
	flat_store_dwordx2 v[0:1], v[14:15]
	s_or_b64 exec, exec, s[8:9]
	s_and_saveexec_b64 s[4:5], s[6:7]
	s_cbranch_execz .LBB415_104
.LBB415_114:
	s_waitcnt vmcnt(0) lgkmcnt(0)
	flat_store_dwordx2 v[0:1], v[16:17] offset:8
	s_or_b64 exec, exec, s[4:5]
	s_and_saveexec_b64 s[4:5], s[16:17]
	s_cbranch_execz .LBB415_105
.LBB415_115:
	s_waitcnt vmcnt(0) lgkmcnt(0)
	flat_store_dwordx2 v[0:1], v[18:19] offset:16
	s_or_b64 exec, exec, s[4:5]
	s_and_saveexec_b64 s[4:5], s[10:11]
	s_cbranch_execz .LBB415_106
.LBB415_116:
	s_waitcnt vmcnt(0) lgkmcnt(0)
	flat_store_dwordx2 v[0:1], v[20:21] offset:24
	s_or_b64 exec, exec, s[4:5]
	s_waitcnt vmcnt(0) lgkmcnt(0)
	s_setpc_b64 s[30:31]
.Lfunc_end415:
	.size	_ZN7rocprim17ROCPRIM_400000_NS6detail26segmented_warp_sort_helperINS1_20WarpSortHelperConfigILj8ELj4ELj256EEEalLi256ELb0EvE4sortIPKaPaPKlPlEEvT_T0_T1_T2_jjjjRNS5_12storage_typeE, .Lfunc_end415-_ZN7rocprim17ROCPRIM_400000_NS6detail26segmented_warp_sort_helperINS1_20WarpSortHelperConfigILj8ELj4ELj256EEEalLi256ELb0EvE4sortIPKaPaPKlPlEEvT_T0_T1_T2_jjjjRNS5_12storage_typeE
                                        ; -- End function
	.section	.AMDGPU.csdata,"",@progbits
; Function info:
; codeLenInByte = 7544
; NumSgprs: 36
; NumVgprs: 67
; NumAgprs: 0
; TotalNumVgprs: 67
; ScratchSize: 0
; MemoryBound: 0
	.section	.text._ZN7rocprim17ROCPRIM_400000_NS6detail17trampoline_kernelINS0_14default_configENS1_36segmented_radix_sort_config_selectorIalEEZNS1_25segmented_radix_sort_implIS3_Lb0EPKaPaPKlPlN2at6native12_GLOBAL__N_18offset_tEEE10hipError_tPvRmT1_PNSt15iterator_traitsISK_E10value_typeET2_T3_PNSL_ISQ_E10value_typeET4_jRbjT5_SW_jjP12ihipStream_tbEUlT_E1_NS1_11comp_targetILNS1_3genE4ELNS1_11target_archE910ELNS1_3gpuE8ELNS1_3repE0EEENS1_59segmented_radix_sort_warp_sort_small_config_static_selectorELNS0_4arch9wavefront6targetE1EEEvSK_,"axG",@progbits,_ZN7rocprim17ROCPRIM_400000_NS6detail17trampoline_kernelINS0_14default_configENS1_36segmented_radix_sort_config_selectorIalEEZNS1_25segmented_radix_sort_implIS3_Lb0EPKaPaPKlPlN2at6native12_GLOBAL__N_18offset_tEEE10hipError_tPvRmT1_PNSt15iterator_traitsISK_E10value_typeET2_T3_PNSL_ISQ_E10value_typeET4_jRbjT5_SW_jjP12ihipStream_tbEUlT_E1_NS1_11comp_targetILNS1_3genE4ELNS1_11target_archE910ELNS1_3gpuE8ELNS1_3repE0EEENS1_59segmented_radix_sort_warp_sort_small_config_static_selectorELNS0_4arch9wavefront6targetE1EEEvSK_,comdat
	.globl	_ZN7rocprim17ROCPRIM_400000_NS6detail17trampoline_kernelINS0_14default_configENS1_36segmented_radix_sort_config_selectorIalEEZNS1_25segmented_radix_sort_implIS3_Lb0EPKaPaPKlPlN2at6native12_GLOBAL__N_18offset_tEEE10hipError_tPvRmT1_PNSt15iterator_traitsISK_E10value_typeET2_T3_PNSL_ISQ_E10value_typeET4_jRbjT5_SW_jjP12ihipStream_tbEUlT_E1_NS1_11comp_targetILNS1_3genE4ELNS1_11target_archE910ELNS1_3gpuE8ELNS1_3repE0EEENS1_59segmented_radix_sort_warp_sort_small_config_static_selectorELNS0_4arch9wavefront6targetE1EEEvSK_ ; -- Begin function _ZN7rocprim17ROCPRIM_400000_NS6detail17trampoline_kernelINS0_14default_configENS1_36segmented_radix_sort_config_selectorIalEEZNS1_25segmented_radix_sort_implIS3_Lb0EPKaPaPKlPlN2at6native12_GLOBAL__N_18offset_tEEE10hipError_tPvRmT1_PNSt15iterator_traitsISK_E10value_typeET2_T3_PNSL_ISQ_E10value_typeET4_jRbjT5_SW_jjP12ihipStream_tbEUlT_E1_NS1_11comp_targetILNS1_3genE4ELNS1_11target_archE910ELNS1_3gpuE8ELNS1_3repE0EEENS1_59segmented_radix_sort_warp_sort_small_config_static_selectorELNS0_4arch9wavefront6targetE1EEEvSK_
	.p2align	8
	.type	_ZN7rocprim17ROCPRIM_400000_NS6detail17trampoline_kernelINS0_14default_configENS1_36segmented_radix_sort_config_selectorIalEEZNS1_25segmented_radix_sort_implIS3_Lb0EPKaPaPKlPlN2at6native12_GLOBAL__N_18offset_tEEE10hipError_tPvRmT1_PNSt15iterator_traitsISK_E10value_typeET2_T3_PNSL_ISQ_E10value_typeET4_jRbjT5_SW_jjP12ihipStream_tbEUlT_E1_NS1_11comp_targetILNS1_3genE4ELNS1_11target_archE910ELNS1_3gpuE8ELNS1_3repE0EEENS1_59segmented_radix_sort_warp_sort_small_config_static_selectorELNS0_4arch9wavefront6targetE1EEEvSK_,@function
_ZN7rocprim17ROCPRIM_400000_NS6detail17trampoline_kernelINS0_14default_configENS1_36segmented_radix_sort_config_selectorIalEEZNS1_25segmented_radix_sort_implIS3_Lb0EPKaPaPKlPlN2at6native12_GLOBAL__N_18offset_tEEE10hipError_tPvRmT1_PNSt15iterator_traitsISK_E10value_typeET2_T3_PNSL_ISQ_E10value_typeET4_jRbjT5_SW_jjP12ihipStream_tbEUlT_E1_NS1_11comp_targetILNS1_3genE4ELNS1_11target_archE910ELNS1_3gpuE8ELNS1_3repE0EEENS1_59segmented_radix_sort_warp_sort_small_config_static_selectorELNS0_4arch9wavefront6targetE1EEEvSK_: ; @_ZN7rocprim17ROCPRIM_400000_NS6detail17trampoline_kernelINS0_14default_configENS1_36segmented_radix_sort_config_selectorIalEEZNS1_25segmented_radix_sort_implIS3_Lb0EPKaPaPKlPlN2at6native12_GLOBAL__N_18offset_tEEE10hipError_tPvRmT1_PNSt15iterator_traitsISK_E10value_typeET2_T3_PNSL_ISQ_E10value_typeET4_jRbjT5_SW_jjP12ihipStream_tbEUlT_E1_NS1_11comp_targetILNS1_3genE4ELNS1_11target_archE910ELNS1_3gpuE8ELNS1_3repE0EEENS1_59segmented_radix_sort_warp_sort_small_config_static_selectorELNS0_4arch9wavefront6targetE1EEEvSK_
; %bb.0:
	s_add_u32 flat_scratch_lo, s6, s10
	s_addc_u32 flat_scratch_hi, s7, 0
	s_add_u32 s0, s0, s10
	s_load_dword s6, s[4:5], 0x64
	s_load_dword s10, s[4:5], 0x34
	s_addc_u32 s1, s1, 0
	v_bfe_u32 v1, v0, 10, 10
	v_bfe_u32 v2, v0, 20, 10
	s_waitcnt lgkmcnt(0)
	s_lshr_b32 s7, s6, 16
	s_and_b32 s6, s6, 0xffff
	v_mad_u32_u24 v1, v2, s7, v1
	v_and_b32_e32 v2, 0x3ff, v0
	v_mad_u64_u32 v[2:3], s[6:7], v1, s6, v[2:3]
	v_lshrrev_b32_e32 v1, 3, v2
	v_lshl_add_u32 v2, s8, 5, v1
	v_cmp_gt_u32_e32 vcc, s10, v2
	s_mov_b32 s32, 0
	s_and_saveexec_b64 s[6:7], vcc
	s_cbranch_execz .LBB416_6
; %bb.1:
	s_load_dwordx2 s[6:7], s[4:5], 0x38
	s_load_dwordx4 s[12:15], s[4:5], 0x40
	v_mov_b32_e32 v3, 0
	v_lshlrev_b64 v[2:3], 2, v[2:3]
	s_waitcnt lgkmcnt(0)
	v_mov_b32_e32 v1, s7
	v_sub_co_u32_e32 v2, vcc, s6, v2
	v_subb_co_u32_e32 v3, vcc, v1, v3, vcc
	global_load_dword v1, v[2:3], off offset:-4
	s_waitcnt vmcnt(0)
	v_add_u32_e32 v2, s13, v1
	v_add_u32_e32 v1, s15, v1
	v_mul_lo_u32 v8, v2, s12
	v_mul_lo_u32 v40, v1, s14
	v_cmp_gt_u32_e32 vcc, v40, v8
	s_and_b64 exec, exec, vcc
	s_cbranch_execz .LBB416_6
; %bb.2:
	s_load_dwordx4 s[44:47], s[4:5], 0x20
	s_load_dword s6, s[4:5], 0x30
	s_load_dwordx8 s[36:43], s[4:5], 0x0
	s_load_dwordx2 s[48:49], s[4:5], 0x50
	s_mov_b32 s34, s8
	s_mov_b32 s33, s9
	s_waitcnt lgkmcnt(0)
	s_bitcmp0_b32 s6, 0
	s_mov_b64 s[6:7], -1
	s_cbranch_scc0 .LBB416_4
; %bb.3:
	s_add_u32 s8, s4, 0x58
	s_mov_b64 s[6:7], src_shared_base
	s_addc_u32 s9, s5, 0
	s_mov_b32 s12, s34
	s_mov_b32 s13, s33
	v_mov_b32_e32 v31, v0
	v_mov_b32_e32 v41, v0
	;; [unrolled: 1-line block ×15, first 2 shown]
	s_getpc_b64 s[10:11]
	s_add_u32 s10, s10, _ZN7rocprim17ROCPRIM_400000_NS6detail26segmented_warp_sort_helperINS1_20WarpSortHelperConfigILj8ELj4ELj256EEEalLi256ELb0EvE4sortIPKaPaPKlPlEEvT_T0_T1_T2_jjjjRNS5_12storage_typeE@rel32@lo+4
	s_addc_u32 s11, s11, _ZN7rocprim17ROCPRIM_400000_NS6detail26segmented_warp_sort_helperINS1_20WarpSortHelperConfigILj8ELj4ELj256EEEalLi256ELb0EvE4sortIPKaPaPKlPlEEvT_T0_T1_T2_jjjjRNS5_12storage_typeE@rel32@hi+12
	s_mov_b64 s[38:39], s[4:5]
	s_swappc_b64 s[30:31], s[10:11]
	v_mov_b32_e32 v0, v41
	s_mov_b64 s[4:5], s[38:39]
	s_mov_b64 s[6:7], 0
.LBB416_4:
	s_andn2_b64 vcc, exec, s[6:7]
	s_cbranch_vccnz .LBB416_6
; %bb.5:
	s_add_u32 s8, s4, 0x58
	s_addc_u32 s9, s5, 0
	s_mov_b64 s[4:5], src_shared_base
	s_mov_b32 s12, s34
	s_mov_b32 s13, s33
	v_mov_b32_e32 v31, v0
	v_mov_b32_e32 v0, s36
	;; [unrolled: 1-line block ×14, first 2 shown]
	s_getpc_b64 s[6:7]
	s_add_u32 s6, s6, _ZN7rocprim17ROCPRIM_400000_NS6detail26segmented_warp_sort_helperINS1_20WarpSortHelperConfigILj8ELj4ELj256EEEalLi256ELb0EvE4sortIPKaPaPKlPlEEvT_T0_T1_T2_jjjjRNS5_12storage_typeE@rel32@lo+4
	s_addc_u32 s7, s7, _ZN7rocprim17ROCPRIM_400000_NS6detail26segmented_warp_sort_helperINS1_20WarpSortHelperConfigILj8ELj4ELj256EEEalLi256ELb0EvE4sortIPKaPaPKlPlEEvT_T0_T1_T2_jjjjRNS5_12storage_typeE@rel32@hi+12
	s_swappc_b64 s[30:31], s[6:7]
.LBB416_6:
	s_endpgm
	.section	.rodata,"a",@progbits
	.p2align	6, 0x0
	.amdhsa_kernel _ZN7rocprim17ROCPRIM_400000_NS6detail17trampoline_kernelINS0_14default_configENS1_36segmented_radix_sort_config_selectorIalEEZNS1_25segmented_radix_sort_implIS3_Lb0EPKaPaPKlPlN2at6native12_GLOBAL__N_18offset_tEEE10hipError_tPvRmT1_PNSt15iterator_traitsISK_E10value_typeET2_T3_PNSL_ISQ_E10value_typeET4_jRbjT5_SW_jjP12ihipStream_tbEUlT_E1_NS1_11comp_targetILNS1_3genE4ELNS1_11target_archE910ELNS1_3gpuE8ELNS1_3repE0EEENS1_59segmented_radix_sort_warp_sort_small_config_static_selectorELNS0_4arch9wavefront6targetE1EEEvSK_
		.amdhsa_group_segment_fixed_size 9216
		.amdhsa_private_segment_fixed_size 0
		.amdhsa_kernarg_size 344
		.amdhsa_user_sgpr_count 8
		.amdhsa_user_sgpr_private_segment_buffer 1
		.amdhsa_user_sgpr_dispatch_ptr 0
		.amdhsa_user_sgpr_queue_ptr 0
		.amdhsa_user_sgpr_kernarg_segment_ptr 1
		.amdhsa_user_sgpr_dispatch_id 0
		.amdhsa_user_sgpr_flat_scratch_init 1
		.amdhsa_user_sgpr_kernarg_preload_length 0
		.amdhsa_user_sgpr_kernarg_preload_offset 0
		.amdhsa_user_sgpr_private_segment_size 0
		.amdhsa_uses_dynamic_stack 0
		.amdhsa_system_sgpr_private_segment_wavefront_offset 0
		.amdhsa_system_sgpr_workgroup_id_x 1
		.amdhsa_system_sgpr_workgroup_id_y 1
		.amdhsa_system_sgpr_workgroup_id_z 0
		.amdhsa_system_sgpr_workgroup_info 0
		.amdhsa_system_vgpr_workitem_id 2
		.amdhsa_next_free_vgpr 67
		.amdhsa_next_free_sgpr 50
		.amdhsa_accum_offset 68
		.amdhsa_reserve_vcc 1
		.amdhsa_reserve_flat_scratch 1
		.amdhsa_float_round_mode_32 0
		.amdhsa_float_round_mode_16_64 0
		.amdhsa_float_denorm_mode_32 3
		.amdhsa_float_denorm_mode_16_64 3
		.amdhsa_dx10_clamp 1
		.amdhsa_ieee_mode 1
		.amdhsa_fp16_overflow 0
		.amdhsa_tg_split 0
		.amdhsa_exception_fp_ieee_invalid_op 0
		.amdhsa_exception_fp_denorm_src 0
		.amdhsa_exception_fp_ieee_div_zero 0
		.amdhsa_exception_fp_ieee_overflow 0
		.amdhsa_exception_fp_ieee_underflow 0
		.amdhsa_exception_fp_ieee_inexact 0
		.amdhsa_exception_int_div_zero 0
	.end_amdhsa_kernel
	.section	.text._ZN7rocprim17ROCPRIM_400000_NS6detail17trampoline_kernelINS0_14default_configENS1_36segmented_radix_sort_config_selectorIalEEZNS1_25segmented_radix_sort_implIS3_Lb0EPKaPaPKlPlN2at6native12_GLOBAL__N_18offset_tEEE10hipError_tPvRmT1_PNSt15iterator_traitsISK_E10value_typeET2_T3_PNSL_ISQ_E10value_typeET4_jRbjT5_SW_jjP12ihipStream_tbEUlT_E1_NS1_11comp_targetILNS1_3genE4ELNS1_11target_archE910ELNS1_3gpuE8ELNS1_3repE0EEENS1_59segmented_radix_sort_warp_sort_small_config_static_selectorELNS0_4arch9wavefront6targetE1EEEvSK_,"axG",@progbits,_ZN7rocprim17ROCPRIM_400000_NS6detail17trampoline_kernelINS0_14default_configENS1_36segmented_radix_sort_config_selectorIalEEZNS1_25segmented_radix_sort_implIS3_Lb0EPKaPaPKlPlN2at6native12_GLOBAL__N_18offset_tEEE10hipError_tPvRmT1_PNSt15iterator_traitsISK_E10value_typeET2_T3_PNSL_ISQ_E10value_typeET4_jRbjT5_SW_jjP12ihipStream_tbEUlT_E1_NS1_11comp_targetILNS1_3genE4ELNS1_11target_archE910ELNS1_3gpuE8ELNS1_3repE0EEENS1_59segmented_radix_sort_warp_sort_small_config_static_selectorELNS0_4arch9wavefront6targetE1EEEvSK_,comdat
.Lfunc_end416:
	.size	_ZN7rocprim17ROCPRIM_400000_NS6detail17trampoline_kernelINS0_14default_configENS1_36segmented_radix_sort_config_selectorIalEEZNS1_25segmented_radix_sort_implIS3_Lb0EPKaPaPKlPlN2at6native12_GLOBAL__N_18offset_tEEE10hipError_tPvRmT1_PNSt15iterator_traitsISK_E10value_typeET2_T3_PNSL_ISQ_E10value_typeET4_jRbjT5_SW_jjP12ihipStream_tbEUlT_E1_NS1_11comp_targetILNS1_3genE4ELNS1_11target_archE910ELNS1_3gpuE8ELNS1_3repE0EEENS1_59segmented_radix_sort_warp_sort_small_config_static_selectorELNS0_4arch9wavefront6targetE1EEEvSK_, .Lfunc_end416-_ZN7rocprim17ROCPRIM_400000_NS6detail17trampoline_kernelINS0_14default_configENS1_36segmented_radix_sort_config_selectorIalEEZNS1_25segmented_radix_sort_implIS3_Lb0EPKaPaPKlPlN2at6native12_GLOBAL__N_18offset_tEEE10hipError_tPvRmT1_PNSt15iterator_traitsISK_E10value_typeET2_T3_PNSL_ISQ_E10value_typeET4_jRbjT5_SW_jjP12ihipStream_tbEUlT_E1_NS1_11comp_targetILNS1_3genE4ELNS1_11target_archE910ELNS1_3gpuE8ELNS1_3repE0EEENS1_59segmented_radix_sort_warp_sort_small_config_static_selectorELNS0_4arch9wavefront6targetE1EEEvSK_
                                        ; -- End function
	.section	.AMDGPU.csdata,"",@progbits
; Kernel info:
; codeLenInByte = 504
; NumSgprs: 56
; NumVgprs: 67
; NumAgprs: 0
; TotalNumVgprs: 67
; ScratchSize: 0
; MemoryBound: 0
; FloatMode: 240
; IeeeMode: 1
; LDSByteSize: 9216 bytes/workgroup (compile time only)
; SGPRBlocks: 6
; VGPRBlocks: 8
; NumSGPRsForWavesPerEU: 56
; NumVGPRsForWavesPerEU: 67
; AccumOffset: 68
; Occupancy: 7
; WaveLimiterHint : 0
; COMPUTE_PGM_RSRC2:SCRATCH_EN: 0
; COMPUTE_PGM_RSRC2:USER_SGPR: 8
; COMPUTE_PGM_RSRC2:TRAP_HANDLER: 0
; COMPUTE_PGM_RSRC2:TGID_X_EN: 1
; COMPUTE_PGM_RSRC2:TGID_Y_EN: 1
; COMPUTE_PGM_RSRC2:TGID_Z_EN: 0
; COMPUTE_PGM_RSRC2:TIDIG_COMP_CNT: 2
; COMPUTE_PGM_RSRC3_GFX90A:ACCUM_OFFSET: 16
; COMPUTE_PGM_RSRC3_GFX90A:TG_SPLIT: 0
	.section	.text._ZN7rocprim17ROCPRIM_400000_NS6detail17trampoline_kernelINS0_14default_configENS1_36segmented_radix_sort_config_selectorIalEEZNS1_25segmented_radix_sort_implIS3_Lb0EPKaPaPKlPlN2at6native12_GLOBAL__N_18offset_tEEE10hipError_tPvRmT1_PNSt15iterator_traitsISK_E10value_typeET2_T3_PNSL_ISQ_E10value_typeET4_jRbjT5_SW_jjP12ihipStream_tbEUlT_E1_NS1_11comp_targetILNS1_3genE3ELNS1_11target_archE908ELNS1_3gpuE7ELNS1_3repE0EEENS1_59segmented_radix_sort_warp_sort_small_config_static_selectorELNS0_4arch9wavefront6targetE1EEEvSK_,"axG",@progbits,_ZN7rocprim17ROCPRIM_400000_NS6detail17trampoline_kernelINS0_14default_configENS1_36segmented_radix_sort_config_selectorIalEEZNS1_25segmented_radix_sort_implIS3_Lb0EPKaPaPKlPlN2at6native12_GLOBAL__N_18offset_tEEE10hipError_tPvRmT1_PNSt15iterator_traitsISK_E10value_typeET2_T3_PNSL_ISQ_E10value_typeET4_jRbjT5_SW_jjP12ihipStream_tbEUlT_E1_NS1_11comp_targetILNS1_3genE3ELNS1_11target_archE908ELNS1_3gpuE7ELNS1_3repE0EEENS1_59segmented_radix_sort_warp_sort_small_config_static_selectorELNS0_4arch9wavefront6targetE1EEEvSK_,comdat
	.globl	_ZN7rocprim17ROCPRIM_400000_NS6detail17trampoline_kernelINS0_14default_configENS1_36segmented_radix_sort_config_selectorIalEEZNS1_25segmented_radix_sort_implIS3_Lb0EPKaPaPKlPlN2at6native12_GLOBAL__N_18offset_tEEE10hipError_tPvRmT1_PNSt15iterator_traitsISK_E10value_typeET2_T3_PNSL_ISQ_E10value_typeET4_jRbjT5_SW_jjP12ihipStream_tbEUlT_E1_NS1_11comp_targetILNS1_3genE3ELNS1_11target_archE908ELNS1_3gpuE7ELNS1_3repE0EEENS1_59segmented_radix_sort_warp_sort_small_config_static_selectorELNS0_4arch9wavefront6targetE1EEEvSK_ ; -- Begin function _ZN7rocprim17ROCPRIM_400000_NS6detail17trampoline_kernelINS0_14default_configENS1_36segmented_radix_sort_config_selectorIalEEZNS1_25segmented_radix_sort_implIS3_Lb0EPKaPaPKlPlN2at6native12_GLOBAL__N_18offset_tEEE10hipError_tPvRmT1_PNSt15iterator_traitsISK_E10value_typeET2_T3_PNSL_ISQ_E10value_typeET4_jRbjT5_SW_jjP12ihipStream_tbEUlT_E1_NS1_11comp_targetILNS1_3genE3ELNS1_11target_archE908ELNS1_3gpuE7ELNS1_3repE0EEENS1_59segmented_radix_sort_warp_sort_small_config_static_selectorELNS0_4arch9wavefront6targetE1EEEvSK_
	.p2align	8
	.type	_ZN7rocprim17ROCPRIM_400000_NS6detail17trampoline_kernelINS0_14default_configENS1_36segmented_radix_sort_config_selectorIalEEZNS1_25segmented_radix_sort_implIS3_Lb0EPKaPaPKlPlN2at6native12_GLOBAL__N_18offset_tEEE10hipError_tPvRmT1_PNSt15iterator_traitsISK_E10value_typeET2_T3_PNSL_ISQ_E10value_typeET4_jRbjT5_SW_jjP12ihipStream_tbEUlT_E1_NS1_11comp_targetILNS1_3genE3ELNS1_11target_archE908ELNS1_3gpuE7ELNS1_3repE0EEENS1_59segmented_radix_sort_warp_sort_small_config_static_selectorELNS0_4arch9wavefront6targetE1EEEvSK_,@function
_ZN7rocprim17ROCPRIM_400000_NS6detail17trampoline_kernelINS0_14default_configENS1_36segmented_radix_sort_config_selectorIalEEZNS1_25segmented_radix_sort_implIS3_Lb0EPKaPaPKlPlN2at6native12_GLOBAL__N_18offset_tEEE10hipError_tPvRmT1_PNSt15iterator_traitsISK_E10value_typeET2_T3_PNSL_ISQ_E10value_typeET4_jRbjT5_SW_jjP12ihipStream_tbEUlT_E1_NS1_11comp_targetILNS1_3genE3ELNS1_11target_archE908ELNS1_3gpuE7ELNS1_3repE0EEENS1_59segmented_radix_sort_warp_sort_small_config_static_selectorELNS0_4arch9wavefront6targetE1EEEvSK_: ; @_ZN7rocprim17ROCPRIM_400000_NS6detail17trampoline_kernelINS0_14default_configENS1_36segmented_radix_sort_config_selectorIalEEZNS1_25segmented_radix_sort_implIS3_Lb0EPKaPaPKlPlN2at6native12_GLOBAL__N_18offset_tEEE10hipError_tPvRmT1_PNSt15iterator_traitsISK_E10value_typeET2_T3_PNSL_ISQ_E10value_typeET4_jRbjT5_SW_jjP12ihipStream_tbEUlT_E1_NS1_11comp_targetILNS1_3genE3ELNS1_11target_archE908ELNS1_3gpuE7ELNS1_3repE0EEENS1_59segmented_radix_sort_warp_sort_small_config_static_selectorELNS0_4arch9wavefront6targetE1EEEvSK_
; %bb.0:
	.section	.rodata,"a",@progbits
	.p2align	6, 0x0
	.amdhsa_kernel _ZN7rocprim17ROCPRIM_400000_NS6detail17trampoline_kernelINS0_14default_configENS1_36segmented_radix_sort_config_selectorIalEEZNS1_25segmented_radix_sort_implIS3_Lb0EPKaPaPKlPlN2at6native12_GLOBAL__N_18offset_tEEE10hipError_tPvRmT1_PNSt15iterator_traitsISK_E10value_typeET2_T3_PNSL_ISQ_E10value_typeET4_jRbjT5_SW_jjP12ihipStream_tbEUlT_E1_NS1_11comp_targetILNS1_3genE3ELNS1_11target_archE908ELNS1_3gpuE7ELNS1_3repE0EEENS1_59segmented_radix_sort_warp_sort_small_config_static_selectorELNS0_4arch9wavefront6targetE1EEEvSK_
		.amdhsa_group_segment_fixed_size 0
		.amdhsa_private_segment_fixed_size 0
		.amdhsa_kernarg_size 88
		.amdhsa_user_sgpr_count 6
		.amdhsa_user_sgpr_private_segment_buffer 1
		.amdhsa_user_sgpr_dispatch_ptr 0
		.amdhsa_user_sgpr_queue_ptr 0
		.amdhsa_user_sgpr_kernarg_segment_ptr 1
		.amdhsa_user_sgpr_dispatch_id 0
		.amdhsa_user_sgpr_flat_scratch_init 0
		.amdhsa_user_sgpr_kernarg_preload_length 0
		.amdhsa_user_sgpr_kernarg_preload_offset 0
		.amdhsa_user_sgpr_private_segment_size 0
		.amdhsa_uses_dynamic_stack 0
		.amdhsa_system_sgpr_private_segment_wavefront_offset 0
		.amdhsa_system_sgpr_workgroup_id_x 1
		.amdhsa_system_sgpr_workgroup_id_y 0
		.amdhsa_system_sgpr_workgroup_id_z 0
		.amdhsa_system_sgpr_workgroup_info 0
		.amdhsa_system_vgpr_workitem_id 0
		.amdhsa_next_free_vgpr 1
		.amdhsa_next_free_sgpr 0
		.amdhsa_accum_offset 4
		.amdhsa_reserve_vcc 0
		.amdhsa_reserve_flat_scratch 0
		.amdhsa_float_round_mode_32 0
		.amdhsa_float_round_mode_16_64 0
		.amdhsa_float_denorm_mode_32 3
		.amdhsa_float_denorm_mode_16_64 3
		.amdhsa_dx10_clamp 1
		.amdhsa_ieee_mode 1
		.amdhsa_fp16_overflow 0
		.amdhsa_tg_split 0
		.amdhsa_exception_fp_ieee_invalid_op 0
		.amdhsa_exception_fp_denorm_src 0
		.amdhsa_exception_fp_ieee_div_zero 0
		.amdhsa_exception_fp_ieee_overflow 0
		.amdhsa_exception_fp_ieee_underflow 0
		.amdhsa_exception_fp_ieee_inexact 0
		.amdhsa_exception_int_div_zero 0
	.end_amdhsa_kernel
	.section	.text._ZN7rocprim17ROCPRIM_400000_NS6detail17trampoline_kernelINS0_14default_configENS1_36segmented_radix_sort_config_selectorIalEEZNS1_25segmented_radix_sort_implIS3_Lb0EPKaPaPKlPlN2at6native12_GLOBAL__N_18offset_tEEE10hipError_tPvRmT1_PNSt15iterator_traitsISK_E10value_typeET2_T3_PNSL_ISQ_E10value_typeET4_jRbjT5_SW_jjP12ihipStream_tbEUlT_E1_NS1_11comp_targetILNS1_3genE3ELNS1_11target_archE908ELNS1_3gpuE7ELNS1_3repE0EEENS1_59segmented_radix_sort_warp_sort_small_config_static_selectorELNS0_4arch9wavefront6targetE1EEEvSK_,"axG",@progbits,_ZN7rocprim17ROCPRIM_400000_NS6detail17trampoline_kernelINS0_14default_configENS1_36segmented_radix_sort_config_selectorIalEEZNS1_25segmented_radix_sort_implIS3_Lb0EPKaPaPKlPlN2at6native12_GLOBAL__N_18offset_tEEE10hipError_tPvRmT1_PNSt15iterator_traitsISK_E10value_typeET2_T3_PNSL_ISQ_E10value_typeET4_jRbjT5_SW_jjP12ihipStream_tbEUlT_E1_NS1_11comp_targetILNS1_3genE3ELNS1_11target_archE908ELNS1_3gpuE7ELNS1_3repE0EEENS1_59segmented_radix_sort_warp_sort_small_config_static_selectorELNS0_4arch9wavefront6targetE1EEEvSK_,comdat
.Lfunc_end417:
	.size	_ZN7rocprim17ROCPRIM_400000_NS6detail17trampoline_kernelINS0_14default_configENS1_36segmented_radix_sort_config_selectorIalEEZNS1_25segmented_radix_sort_implIS3_Lb0EPKaPaPKlPlN2at6native12_GLOBAL__N_18offset_tEEE10hipError_tPvRmT1_PNSt15iterator_traitsISK_E10value_typeET2_T3_PNSL_ISQ_E10value_typeET4_jRbjT5_SW_jjP12ihipStream_tbEUlT_E1_NS1_11comp_targetILNS1_3genE3ELNS1_11target_archE908ELNS1_3gpuE7ELNS1_3repE0EEENS1_59segmented_radix_sort_warp_sort_small_config_static_selectorELNS0_4arch9wavefront6targetE1EEEvSK_, .Lfunc_end417-_ZN7rocprim17ROCPRIM_400000_NS6detail17trampoline_kernelINS0_14default_configENS1_36segmented_radix_sort_config_selectorIalEEZNS1_25segmented_radix_sort_implIS3_Lb0EPKaPaPKlPlN2at6native12_GLOBAL__N_18offset_tEEE10hipError_tPvRmT1_PNSt15iterator_traitsISK_E10value_typeET2_T3_PNSL_ISQ_E10value_typeET4_jRbjT5_SW_jjP12ihipStream_tbEUlT_E1_NS1_11comp_targetILNS1_3genE3ELNS1_11target_archE908ELNS1_3gpuE7ELNS1_3repE0EEENS1_59segmented_radix_sort_warp_sort_small_config_static_selectorELNS0_4arch9wavefront6targetE1EEEvSK_
                                        ; -- End function
	.section	.AMDGPU.csdata,"",@progbits
; Kernel info:
; codeLenInByte = 0
; NumSgprs: 4
; NumVgprs: 0
; NumAgprs: 0
; TotalNumVgprs: 0
; ScratchSize: 0
; MemoryBound: 0
; FloatMode: 240
; IeeeMode: 1
; LDSByteSize: 0 bytes/workgroup (compile time only)
; SGPRBlocks: 0
; VGPRBlocks: 0
; NumSGPRsForWavesPerEU: 4
; NumVGPRsForWavesPerEU: 1
; AccumOffset: 4
; Occupancy: 8
; WaveLimiterHint : 0
; COMPUTE_PGM_RSRC2:SCRATCH_EN: 0
; COMPUTE_PGM_RSRC2:USER_SGPR: 6
; COMPUTE_PGM_RSRC2:TRAP_HANDLER: 0
; COMPUTE_PGM_RSRC2:TGID_X_EN: 1
; COMPUTE_PGM_RSRC2:TGID_Y_EN: 0
; COMPUTE_PGM_RSRC2:TGID_Z_EN: 0
; COMPUTE_PGM_RSRC2:TIDIG_COMP_CNT: 0
; COMPUTE_PGM_RSRC3_GFX90A:ACCUM_OFFSET: 0
; COMPUTE_PGM_RSRC3_GFX90A:TG_SPLIT: 0
	.section	.text._ZN7rocprim17ROCPRIM_400000_NS6detail17trampoline_kernelINS0_14default_configENS1_36segmented_radix_sort_config_selectorIalEEZNS1_25segmented_radix_sort_implIS3_Lb0EPKaPaPKlPlN2at6native12_GLOBAL__N_18offset_tEEE10hipError_tPvRmT1_PNSt15iterator_traitsISK_E10value_typeET2_T3_PNSL_ISQ_E10value_typeET4_jRbjT5_SW_jjP12ihipStream_tbEUlT_E1_NS1_11comp_targetILNS1_3genE2ELNS1_11target_archE906ELNS1_3gpuE6ELNS1_3repE0EEENS1_59segmented_radix_sort_warp_sort_small_config_static_selectorELNS0_4arch9wavefront6targetE1EEEvSK_,"axG",@progbits,_ZN7rocprim17ROCPRIM_400000_NS6detail17trampoline_kernelINS0_14default_configENS1_36segmented_radix_sort_config_selectorIalEEZNS1_25segmented_radix_sort_implIS3_Lb0EPKaPaPKlPlN2at6native12_GLOBAL__N_18offset_tEEE10hipError_tPvRmT1_PNSt15iterator_traitsISK_E10value_typeET2_T3_PNSL_ISQ_E10value_typeET4_jRbjT5_SW_jjP12ihipStream_tbEUlT_E1_NS1_11comp_targetILNS1_3genE2ELNS1_11target_archE906ELNS1_3gpuE6ELNS1_3repE0EEENS1_59segmented_radix_sort_warp_sort_small_config_static_selectorELNS0_4arch9wavefront6targetE1EEEvSK_,comdat
	.globl	_ZN7rocprim17ROCPRIM_400000_NS6detail17trampoline_kernelINS0_14default_configENS1_36segmented_radix_sort_config_selectorIalEEZNS1_25segmented_radix_sort_implIS3_Lb0EPKaPaPKlPlN2at6native12_GLOBAL__N_18offset_tEEE10hipError_tPvRmT1_PNSt15iterator_traitsISK_E10value_typeET2_T3_PNSL_ISQ_E10value_typeET4_jRbjT5_SW_jjP12ihipStream_tbEUlT_E1_NS1_11comp_targetILNS1_3genE2ELNS1_11target_archE906ELNS1_3gpuE6ELNS1_3repE0EEENS1_59segmented_radix_sort_warp_sort_small_config_static_selectorELNS0_4arch9wavefront6targetE1EEEvSK_ ; -- Begin function _ZN7rocprim17ROCPRIM_400000_NS6detail17trampoline_kernelINS0_14default_configENS1_36segmented_radix_sort_config_selectorIalEEZNS1_25segmented_radix_sort_implIS3_Lb0EPKaPaPKlPlN2at6native12_GLOBAL__N_18offset_tEEE10hipError_tPvRmT1_PNSt15iterator_traitsISK_E10value_typeET2_T3_PNSL_ISQ_E10value_typeET4_jRbjT5_SW_jjP12ihipStream_tbEUlT_E1_NS1_11comp_targetILNS1_3genE2ELNS1_11target_archE906ELNS1_3gpuE6ELNS1_3repE0EEENS1_59segmented_radix_sort_warp_sort_small_config_static_selectorELNS0_4arch9wavefront6targetE1EEEvSK_
	.p2align	8
	.type	_ZN7rocprim17ROCPRIM_400000_NS6detail17trampoline_kernelINS0_14default_configENS1_36segmented_radix_sort_config_selectorIalEEZNS1_25segmented_radix_sort_implIS3_Lb0EPKaPaPKlPlN2at6native12_GLOBAL__N_18offset_tEEE10hipError_tPvRmT1_PNSt15iterator_traitsISK_E10value_typeET2_T3_PNSL_ISQ_E10value_typeET4_jRbjT5_SW_jjP12ihipStream_tbEUlT_E1_NS1_11comp_targetILNS1_3genE2ELNS1_11target_archE906ELNS1_3gpuE6ELNS1_3repE0EEENS1_59segmented_radix_sort_warp_sort_small_config_static_selectorELNS0_4arch9wavefront6targetE1EEEvSK_,@function
_ZN7rocprim17ROCPRIM_400000_NS6detail17trampoline_kernelINS0_14default_configENS1_36segmented_radix_sort_config_selectorIalEEZNS1_25segmented_radix_sort_implIS3_Lb0EPKaPaPKlPlN2at6native12_GLOBAL__N_18offset_tEEE10hipError_tPvRmT1_PNSt15iterator_traitsISK_E10value_typeET2_T3_PNSL_ISQ_E10value_typeET4_jRbjT5_SW_jjP12ihipStream_tbEUlT_E1_NS1_11comp_targetILNS1_3genE2ELNS1_11target_archE906ELNS1_3gpuE6ELNS1_3repE0EEENS1_59segmented_radix_sort_warp_sort_small_config_static_selectorELNS0_4arch9wavefront6targetE1EEEvSK_: ; @_ZN7rocprim17ROCPRIM_400000_NS6detail17trampoline_kernelINS0_14default_configENS1_36segmented_radix_sort_config_selectorIalEEZNS1_25segmented_radix_sort_implIS3_Lb0EPKaPaPKlPlN2at6native12_GLOBAL__N_18offset_tEEE10hipError_tPvRmT1_PNSt15iterator_traitsISK_E10value_typeET2_T3_PNSL_ISQ_E10value_typeET4_jRbjT5_SW_jjP12ihipStream_tbEUlT_E1_NS1_11comp_targetILNS1_3genE2ELNS1_11target_archE906ELNS1_3gpuE6ELNS1_3repE0EEENS1_59segmented_radix_sort_warp_sort_small_config_static_selectorELNS0_4arch9wavefront6targetE1EEEvSK_
; %bb.0:
	.section	.rodata,"a",@progbits
	.p2align	6, 0x0
	.amdhsa_kernel _ZN7rocprim17ROCPRIM_400000_NS6detail17trampoline_kernelINS0_14default_configENS1_36segmented_radix_sort_config_selectorIalEEZNS1_25segmented_radix_sort_implIS3_Lb0EPKaPaPKlPlN2at6native12_GLOBAL__N_18offset_tEEE10hipError_tPvRmT1_PNSt15iterator_traitsISK_E10value_typeET2_T3_PNSL_ISQ_E10value_typeET4_jRbjT5_SW_jjP12ihipStream_tbEUlT_E1_NS1_11comp_targetILNS1_3genE2ELNS1_11target_archE906ELNS1_3gpuE6ELNS1_3repE0EEENS1_59segmented_radix_sort_warp_sort_small_config_static_selectorELNS0_4arch9wavefront6targetE1EEEvSK_
		.amdhsa_group_segment_fixed_size 0
		.amdhsa_private_segment_fixed_size 0
		.amdhsa_kernarg_size 88
		.amdhsa_user_sgpr_count 6
		.amdhsa_user_sgpr_private_segment_buffer 1
		.amdhsa_user_sgpr_dispatch_ptr 0
		.amdhsa_user_sgpr_queue_ptr 0
		.amdhsa_user_sgpr_kernarg_segment_ptr 1
		.amdhsa_user_sgpr_dispatch_id 0
		.amdhsa_user_sgpr_flat_scratch_init 0
		.amdhsa_user_sgpr_kernarg_preload_length 0
		.amdhsa_user_sgpr_kernarg_preload_offset 0
		.amdhsa_user_sgpr_private_segment_size 0
		.amdhsa_uses_dynamic_stack 0
		.amdhsa_system_sgpr_private_segment_wavefront_offset 0
		.amdhsa_system_sgpr_workgroup_id_x 1
		.amdhsa_system_sgpr_workgroup_id_y 0
		.amdhsa_system_sgpr_workgroup_id_z 0
		.amdhsa_system_sgpr_workgroup_info 0
		.amdhsa_system_vgpr_workitem_id 0
		.amdhsa_next_free_vgpr 1
		.amdhsa_next_free_sgpr 0
		.amdhsa_accum_offset 4
		.amdhsa_reserve_vcc 0
		.amdhsa_reserve_flat_scratch 0
		.amdhsa_float_round_mode_32 0
		.amdhsa_float_round_mode_16_64 0
		.amdhsa_float_denorm_mode_32 3
		.amdhsa_float_denorm_mode_16_64 3
		.amdhsa_dx10_clamp 1
		.amdhsa_ieee_mode 1
		.amdhsa_fp16_overflow 0
		.amdhsa_tg_split 0
		.amdhsa_exception_fp_ieee_invalid_op 0
		.amdhsa_exception_fp_denorm_src 0
		.amdhsa_exception_fp_ieee_div_zero 0
		.amdhsa_exception_fp_ieee_overflow 0
		.amdhsa_exception_fp_ieee_underflow 0
		.amdhsa_exception_fp_ieee_inexact 0
		.amdhsa_exception_int_div_zero 0
	.end_amdhsa_kernel
	.section	.text._ZN7rocprim17ROCPRIM_400000_NS6detail17trampoline_kernelINS0_14default_configENS1_36segmented_radix_sort_config_selectorIalEEZNS1_25segmented_radix_sort_implIS3_Lb0EPKaPaPKlPlN2at6native12_GLOBAL__N_18offset_tEEE10hipError_tPvRmT1_PNSt15iterator_traitsISK_E10value_typeET2_T3_PNSL_ISQ_E10value_typeET4_jRbjT5_SW_jjP12ihipStream_tbEUlT_E1_NS1_11comp_targetILNS1_3genE2ELNS1_11target_archE906ELNS1_3gpuE6ELNS1_3repE0EEENS1_59segmented_radix_sort_warp_sort_small_config_static_selectorELNS0_4arch9wavefront6targetE1EEEvSK_,"axG",@progbits,_ZN7rocprim17ROCPRIM_400000_NS6detail17trampoline_kernelINS0_14default_configENS1_36segmented_radix_sort_config_selectorIalEEZNS1_25segmented_radix_sort_implIS3_Lb0EPKaPaPKlPlN2at6native12_GLOBAL__N_18offset_tEEE10hipError_tPvRmT1_PNSt15iterator_traitsISK_E10value_typeET2_T3_PNSL_ISQ_E10value_typeET4_jRbjT5_SW_jjP12ihipStream_tbEUlT_E1_NS1_11comp_targetILNS1_3genE2ELNS1_11target_archE906ELNS1_3gpuE6ELNS1_3repE0EEENS1_59segmented_radix_sort_warp_sort_small_config_static_selectorELNS0_4arch9wavefront6targetE1EEEvSK_,comdat
.Lfunc_end418:
	.size	_ZN7rocprim17ROCPRIM_400000_NS6detail17trampoline_kernelINS0_14default_configENS1_36segmented_radix_sort_config_selectorIalEEZNS1_25segmented_radix_sort_implIS3_Lb0EPKaPaPKlPlN2at6native12_GLOBAL__N_18offset_tEEE10hipError_tPvRmT1_PNSt15iterator_traitsISK_E10value_typeET2_T3_PNSL_ISQ_E10value_typeET4_jRbjT5_SW_jjP12ihipStream_tbEUlT_E1_NS1_11comp_targetILNS1_3genE2ELNS1_11target_archE906ELNS1_3gpuE6ELNS1_3repE0EEENS1_59segmented_radix_sort_warp_sort_small_config_static_selectorELNS0_4arch9wavefront6targetE1EEEvSK_, .Lfunc_end418-_ZN7rocprim17ROCPRIM_400000_NS6detail17trampoline_kernelINS0_14default_configENS1_36segmented_radix_sort_config_selectorIalEEZNS1_25segmented_radix_sort_implIS3_Lb0EPKaPaPKlPlN2at6native12_GLOBAL__N_18offset_tEEE10hipError_tPvRmT1_PNSt15iterator_traitsISK_E10value_typeET2_T3_PNSL_ISQ_E10value_typeET4_jRbjT5_SW_jjP12ihipStream_tbEUlT_E1_NS1_11comp_targetILNS1_3genE2ELNS1_11target_archE906ELNS1_3gpuE6ELNS1_3repE0EEENS1_59segmented_radix_sort_warp_sort_small_config_static_selectorELNS0_4arch9wavefront6targetE1EEEvSK_
                                        ; -- End function
	.section	.AMDGPU.csdata,"",@progbits
; Kernel info:
; codeLenInByte = 0
; NumSgprs: 4
; NumVgprs: 0
; NumAgprs: 0
; TotalNumVgprs: 0
; ScratchSize: 0
; MemoryBound: 0
; FloatMode: 240
; IeeeMode: 1
; LDSByteSize: 0 bytes/workgroup (compile time only)
; SGPRBlocks: 0
; VGPRBlocks: 0
; NumSGPRsForWavesPerEU: 4
; NumVGPRsForWavesPerEU: 1
; AccumOffset: 4
; Occupancy: 8
; WaveLimiterHint : 0
; COMPUTE_PGM_RSRC2:SCRATCH_EN: 0
; COMPUTE_PGM_RSRC2:USER_SGPR: 6
; COMPUTE_PGM_RSRC2:TRAP_HANDLER: 0
; COMPUTE_PGM_RSRC2:TGID_X_EN: 1
; COMPUTE_PGM_RSRC2:TGID_Y_EN: 0
; COMPUTE_PGM_RSRC2:TGID_Z_EN: 0
; COMPUTE_PGM_RSRC2:TIDIG_COMP_CNT: 0
; COMPUTE_PGM_RSRC3_GFX90A:ACCUM_OFFSET: 0
; COMPUTE_PGM_RSRC3_GFX90A:TG_SPLIT: 0
	.section	.text._ZN7rocprim17ROCPRIM_400000_NS6detail17trampoline_kernelINS0_14default_configENS1_36segmented_radix_sort_config_selectorIalEEZNS1_25segmented_radix_sort_implIS3_Lb0EPKaPaPKlPlN2at6native12_GLOBAL__N_18offset_tEEE10hipError_tPvRmT1_PNSt15iterator_traitsISK_E10value_typeET2_T3_PNSL_ISQ_E10value_typeET4_jRbjT5_SW_jjP12ihipStream_tbEUlT_E1_NS1_11comp_targetILNS1_3genE10ELNS1_11target_archE1201ELNS1_3gpuE5ELNS1_3repE0EEENS1_59segmented_radix_sort_warp_sort_small_config_static_selectorELNS0_4arch9wavefront6targetE1EEEvSK_,"axG",@progbits,_ZN7rocprim17ROCPRIM_400000_NS6detail17trampoline_kernelINS0_14default_configENS1_36segmented_radix_sort_config_selectorIalEEZNS1_25segmented_radix_sort_implIS3_Lb0EPKaPaPKlPlN2at6native12_GLOBAL__N_18offset_tEEE10hipError_tPvRmT1_PNSt15iterator_traitsISK_E10value_typeET2_T3_PNSL_ISQ_E10value_typeET4_jRbjT5_SW_jjP12ihipStream_tbEUlT_E1_NS1_11comp_targetILNS1_3genE10ELNS1_11target_archE1201ELNS1_3gpuE5ELNS1_3repE0EEENS1_59segmented_radix_sort_warp_sort_small_config_static_selectorELNS0_4arch9wavefront6targetE1EEEvSK_,comdat
	.globl	_ZN7rocprim17ROCPRIM_400000_NS6detail17trampoline_kernelINS0_14default_configENS1_36segmented_radix_sort_config_selectorIalEEZNS1_25segmented_radix_sort_implIS3_Lb0EPKaPaPKlPlN2at6native12_GLOBAL__N_18offset_tEEE10hipError_tPvRmT1_PNSt15iterator_traitsISK_E10value_typeET2_T3_PNSL_ISQ_E10value_typeET4_jRbjT5_SW_jjP12ihipStream_tbEUlT_E1_NS1_11comp_targetILNS1_3genE10ELNS1_11target_archE1201ELNS1_3gpuE5ELNS1_3repE0EEENS1_59segmented_radix_sort_warp_sort_small_config_static_selectorELNS0_4arch9wavefront6targetE1EEEvSK_ ; -- Begin function _ZN7rocprim17ROCPRIM_400000_NS6detail17trampoline_kernelINS0_14default_configENS1_36segmented_radix_sort_config_selectorIalEEZNS1_25segmented_radix_sort_implIS3_Lb0EPKaPaPKlPlN2at6native12_GLOBAL__N_18offset_tEEE10hipError_tPvRmT1_PNSt15iterator_traitsISK_E10value_typeET2_T3_PNSL_ISQ_E10value_typeET4_jRbjT5_SW_jjP12ihipStream_tbEUlT_E1_NS1_11comp_targetILNS1_3genE10ELNS1_11target_archE1201ELNS1_3gpuE5ELNS1_3repE0EEENS1_59segmented_radix_sort_warp_sort_small_config_static_selectorELNS0_4arch9wavefront6targetE1EEEvSK_
	.p2align	8
	.type	_ZN7rocprim17ROCPRIM_400000_NS6detail17trampoline_kernelINS0_14default_configENS1_36segmented_radix_sort_config_selectorIalEEZNS1_25segmented_radix_sort_implIS3_Lb0EPKaPaPKlPlN2at6native12_GLOBAL__N_18offset_tEEE10hipError_tPvRmT1_PNSt15iterator_traitsISK_E10value_typeET2_T3_PNSL_ISQ_E10value_typeET4_jRbjT5_SW_jjP12ihipStream_tbEUlT_E1_NS1_11comp_targetILNS1_3genE10ELNS1_11target_archE1201ELNS1_3gpuE5ELNS1_3repE0EEENS1_59segmented_radix_sort_warp_sort_small_config_static_selectorELNS0_4arch9wavefront6targetE1EEEvSK_,@function
_ZN7rocprim17ROCPRIM_400000_NS6detail17trampoline_kernelINS0_14default_configENS1_36segmented_radix_sort_config_selectorIalEEZNS1_25segmented_radix_sort_implIS3_Lb0EPKaPaPKlPlN2at6native12_GLOBAL__N_18offset_tEEE10hipError_tPvRmT1_PNSt15iterator_traitsISK_E10value_typeET2_T3_PNSL_ISQ_E10value_typeET4_jRbjT5_SW_jjP12ihipStream_tbEUlT_E1_NS1_11comp_targetILNS1_3genE10ELNS1_11target_archE1201ELNS1_3gpuE5ELNS1_3repE0EEENS1_59segmented_radix_sort_warp_sort_small_config_static_selectorELNS0_4arch9wavefront6targetE1EEEvSK_: ; @_ZN7rocprim17ROCPRIM_400000_NS6detail17trampoline_kernelINS0_14default_configENS1_36segmented_radix_sort_config_selectorIalEEZNS1_25segmented_radix_sort_implIS3_Lb0EPKaPaPKlPlN2at6native12_GLOBAL__N_18offset_tEEE10hipError_tPvRmT1_PNSt15iterator_traitsISK_E10value_typeET2_T3_PNSL_ISQ_E10value_typeET4_jRbjT5_SW_jjP12ihipStream_tbEUlT_E1_NS1_11comp_targetILNS1_3genE10ELNS1_11target_archE1201ELNS1_3gpuE5ELNS1_3repE0EEENS1_59segmented_radix_sort_warp_sort_small_config_static_selectorELNS0_4arch9wavefront6targetE1EEEvSK_
; %bb.0:
	.section	.rodata,"a",@progbits
	.p2align	6, 0x0
	.amdhsa_kernel _ZN7rocprim17ROCPRIM_400000_NS6detail17trampoline_kernelINS0_14default_configENS1_36segmented_radix_sort_config_selectorIalEEZNS1_25segmented_radix_sort_implIS3_Lb0EPKaPaPKlPlN2at6native12_GLOBAL__N_18offset_tEEE10hipError_tPvRmT1_PNSt15iterator_traitsISK_E10value_typeET2_T3_PNSL_ISQ_E10value_typeET4_jRbjT5_SW_jjP12ihipStream_tbEUlT_E1_NS1_11comp_targetILNS1_3genE10ELNS1_11target_archE1201ELNS1_3gpuE5ELNS1_3repE0EEENS1_59segmented_radix_sort_warp_sort_small_config_static_selectorELNS0_4arch9wavefront6targetE1EEEvSK_
		.amdhsa_group_segment_fixed_size 0
		.amdhsa_private_segment_fixed_size 0
		.amdhsa_kernarg_size 88
		.amdhsa_user_sgpr_count 6
		.amdhsa_user_sgpr_private_segment_buffer 1
		.amdhsa_user_sgpr_dispatch_ptr 0
		.amdhsa_user_sgpr_queue_ptr 0
		.amdhsa_user_sgpr_kernarg_segment_ptr 1
		.amdhsa_user_sgpr_dispatch_id 0
		.amdhsa_user_sgpr_flat_scratch_init 0
		.amdhsa_user_sgpr_kernarg_preload_length 0
		.amdhsa_user_sgpr_kernarg_preload_offset 0
		.amdhsa_user_sgpr_private_segment_size 0
		.amdhsa_uses_dynamic_stack 0
		.amdhsa_system_sgpr_private_segment_wavefront_offset 0
		.amdhsa_system_sgpr_workgroup_id_x 1
		.amdhsa_system_sgpr_workgroup_id_y 0
		.amdhsa_system_sgpr_workgroup_id_z 0
		.amdhsa_system_sgpr_workgroup_info 0
		.amdhsa_system_vgpr_workitem_id 0
		.amdhsa_next_free_vgpr 1
		.amdhsa_next_free_sgpr 0
		.amdhsa_accum_offset 4
		.amdhsa_reserve_vcc 0
		.amdhsa_reserve_flat_scratch 0
		.amdhsa_float_round_mode_32 0
		.amdhsa_float_round_mode_16_64 0
		.amdhsa_float_denorm_mode_32 3
		.amdhsa_float_denorm_mode_16_64 3
		.amdhsa_dx10_clamp 1
		.amdhsa_ieee_mode 1
		.amdhsa_fp16_overflow 0
		.amdhsa_tg_split 0
		.amdhsa_exception_fp_ieee_invalid_op 0
		.amdhsa_exception_fp_denorm_src 0
		.amdhsa_exception_fp_ieee_div_zero 0
		.amdhsa_exception_fp_ieee_overflow 0
		.amdhsa_exception_fp_ieee_underflow 0
		.amdhsa_exception_fp_ieee_inexact 0
		.amdhsa_exception_int_div_zero 0
	.end_amdhsa_kernel
	.section	.text._ZN7rocprim17ROCPRIM_400000_NS6detail17trampoline_kernelINS0_14default_configENS1_36segmented_radix_sort_config_selectorIalEEZNS1_25segmented_radix_sort_implIS3_Lb0EPKaPaPKlPlN2at6native12_GLOBAL__N_18offset_tEEE10hipError_tPvRmT1_PNSt15iterator_traitsISK_E10value_typeET2_T3_PNSL_ISQ_E10value_typeET4_jRbjT5_SW_jjP12ihipStream_tbEUlT_E1_NS1_11comp_targetILNS1_3genE10ELNS1_11target_archE1201ELNS1_3gpuE5ELNS1_3repE0EEENS1_59segmented_radix_sort_warp_sort_small_config_static_selectorELNS0_4arch9wavefront6targetE1EEEvSK_,"axG",@progbits,_ZN7rocprim17ROCPRIM_400000_NS6detail17trampoline_kernelINS0_14default_configENS1_36segmented_radix_sort_config_selectorIalEEZNS1_25segmented_radix_sort_implIS3_Lb0EPKaPaPKlPlN2at6native12_GLOBAL__N_18offset_tEEE10hipError_tPvRmT1_PNSt15iterator_traitsISK_E10value_typeET2_T3_PNSL_ISQ_E10value_typeET4_jRbjT5_SW_jjP12ihipStream_tbEUlT_E1_NS1_11comp_targetILNS1_3genE10ELNS1_11target_archE1201ELNS1_3gpuE5ELNS1_3repE0EEENS1_59segmented_radix_sort_warp_sort_small_config_static_selectorELNS0_4arch9wavefront6targetE1EEEvSK_,comdat
.Lfunc_end419:
	.size	_ZN7rocprim17ROCPRIM_400000_NS6detail17trampoline_kernelINS0_14default_configENS1_36segmented_radix_sort_config_selectorIalEEZNS1_25segmented_radix_sort_implIS3_Lb0EPKaPaPKlPlN2at6native12_GLOBAL__N_18offset_tEEE10hipError_tPvRmT1_PNSt15iterator_traitsISK_E10value_typeET2_T3_PNSL_ISQ_E10value_typeET4_jRbjT5_SW_jjP12ihipStream_tbEUlT_E1_NS1_11comp_targetILNS1_3genE10ELNS1_11target_archE1201ELNS1_3gpuE5ELNS1_3repE0EEENS1_59segmented_radix_sort_warp_sort_small_config_static_selectorELNS0_4arch9wavefront6targetE1EEEvSK_, .Lfunc_end419-_ZN7rocprim17ROCPRIM_400000_NS6detail17trampoline_kernelINS0_14default_configENS1_36segmented_radix_sort_config_selectorIalEEZNS1_25segmented_radix_sort_implIS3_Lb0EPKaPaPKlPlN2at6native12_GLOBAL__N_18offset_tEEE10hipError_tPvRmT1_PNSt15iterator_traitsISK_E10value_typeET2_T3_PNSL_ISQ_E10value_typeET4_jRbjT5_SW_jjP12ihipStream_tbEUlT_E1_NS1_11comp_targetILNS1_3genE10ELNS1_11target_archE1201ELNS1_3gpuE5ELNS1_3repE0EEENS1_59segmented_radix_sort_warp_sort_small_config_static_selectorELNS0_4arch9wavefront6targetE1EEEvSK_
                                        ; -- End function
	.section	.AMDGPU.csdata,"",@progbits
; Kernel info:
; codeLenInByte = 0
; NumSgprs: 4
; NumVgprs: 0
; NumAgprs: 0
; TotalNumVgprs: 0
; ScratchSize: 0
; MemoryBound: 0
; FloatMode: 240
; IeeeMode: 1
; LDSByteSize: 0 bytes/workgroup (compile time only)
; SGPRBlocks: 0
; VGPRBlocks: 0
; NumSGPRsForWavesPerEU: 4
; NumVGPRsForWavesPerEU: 1
; AccumOffset: 4
; Occupancy: 8
; WaveLimiterHint : 0
; COMPUTE_PGM_RSRC2:SCRATCH_EN: 0
; COMPUTE_PGM_RSRC2:USER_SGPR: 6
; COMPUTE_PGM_RSRC2:TRAP_HANDLER: 0
; COMPUTE_PGM_RSRC2:TGID_X_EN: 1
; COMPUTE_PGM_RSRC2:TGID_Y_EN: 0
; COMPUTE_PGM_RSRC2:TGID_Z_EN: 0
; COMPUTE_PGM_RSRC2:TIDIG_COMP_CNT: 0
; COMPUTE_PGM_RSRC3_GFX90A:ACCUM_OFFSET: 0
; COMPUTE_PGM_RSRC3_GFX90A:TG_SPLIT: 0
	.section	.text._ZN7rocprim17ROCPRIM_400000_NS6detail17trampoline_kernelINS0_14default_configENS1_36segmented_radix_sort_config_selectorIalEEZNS1_25segmented_radix_sort_implIS3_Lb0EPKaPaPKlPlN2at6native12_GLOBAL__N_18offset_tEEE10hipError_tPvRmT1_PNSt15iterator_traitsISK_E10value_typeET2_T3_PNSL_ISQ_E10value_typeET4_jRbjT5_SW_jjP12ihipStream_tbEUlT_E1_NS1_11comp_targetILNS1_3genE10ELNS1_11target_archE1200ELNS1_3gpuE4ELNS1_3repE0EEENS1_59segmented_radix_sort_warp_sort_small_config_static_selectorELNS0_4arch9wavefront6targetE1EEEvSK_,"axG",@progbits,_ZN7rocprim17ROCPRIM_400000_NS6detail17trampoline_kernelINS0_14default_configENS1_36segmented_radix_sort_config_selectorIalEEZNS1_25segmented_radix_sort_implIS3_Lb0EPKaPaPKlPlN2at6native12_GLOBAL__N_18offset_tEEE10hipError_tPvRmT1_PNSt15iterator_traitsISK_E10value_typeET2_T3_PNSL_ISQ_E10value_typeET4_jRbjT5_SW_jjP12ihipStream_tbEUlT_E1_NS1_11comp_targetILNS1_3genE10ELNS1_11target_archE1200ELNS1_3gpuE4ELNS1_3repE0EEENS1_59segmented_radix_sort_warp_sort_small_config_static_selectorELNS0_4arch9wavefront6targetE1EEEvSK_,comdat
	.globl	_ZN7rocprim17ROCPRIM_400000_NS6detail17trampoline_kernelINS0_14default_configENS1_36segmented_radix_sort_config_selectorIalEEZNS1_25segmented_radix_sort_implIS3_Lb0EPKaPaPKlPlN2at6native12_GLOBAL__N_18offset_tEEE10hipError_tPvRmT1_PNSt15iterator_traitsISK_E10value_typeET2_T3_PNSL_ISQ_E10value_typeET4_jRbjT5_SW_jjP12ihipStream_tbEUlT_E1_NS1_11comp_targetILNS1_3genE10ELNS1_11target_archE1200ELNS1_3gpuE4ELNS1_3repE0EEENS1_59segmented_radix_sort_warp_sort_small_config_static_selectorELNS0_4arch9wavefront6targetE1EEEvSK_ ; -- Begin function _ZN7rocprim17ROCPRIM_400000_NS6detail17trampoline_kernelINS0_14default_configENS1_36segmented_radix_sort_config_selectorIalEEZNS1_25segmented_radix_sort_implIS3_Lb0EPKaPaPKlPlN2at6native12_GLOBAL__N_18offset_tEEE10hipError_tPvRmT1_PNSt15iterator_traitsISK_E10value_typeET2_T3_PNSL_ISQ_E10value_typeET4_jRbjT5_SW_jjP12ihipStream_tbEUlT_E1_NS1_11comp_targetILNS1_3genE10ELNS1_11target_archE1200ELNS1_3gpuE4ELNS1_3repE0EEENS1_59segmented_radix_sort_warp_sort_small_config_static_selectorELNS0_4arch9wavefront6targetE1EEEvSK_
	.p2align	8
	.type	_ZN7rocprim17ROCPRIM_400000_NS6detail17trampoline_kernelINS0_14default_configENS1_36segmented_radix_sort_config_selectorIalEEZNS1_25segmented_radix_sort_implIS3_Lb0EPKaPaPKlPlN2at6native12_GLOBAL__N_18offset_tEEE10hipError_tPvRmT1_PNSt15iterator_traitsISK_E10value_typeET2_T3_PNSL_ISQ_E10value_typeET4_jRbjT5_SW_jjP12ihipStream_tbEUlT_E1_NS1_11comp_targetILNS1_3genE10ELNS1_11target_archE1200ELNS1_3gpuE4ELNS1_3repE0EEENS1_59segmented_radix_sort_warp_sort_small_config_static_selectorELNS0_4arch9wavefront6targetE1EEEvSK_,@function
_ZN7rocprim17ROCPRIM_400000_NS6detail17trampoline_kernelINS0_14default_configENS1_36segmented_radix_sort_config_selectorIalEEZNS1_25segmented_radix_sort_implIS3_Lb0EPKaPaPKlPlN2at6native12_GLOBAL__N_18offset_tEEE10hipError_tPvRmT1_PNSt15iterator_traitsISK_E10value_typeET2_T3_PNSL_ISQ_E10value_typeET4_jRbjT5_SW_jjP12ihipStream_tbEUlT_E1_NS1_11comp_targetILNS1_3genE10ELNS1_11target_archE1200ELNS1_3gpuE4ELNS1_3repE0EEENS1_59segmented_radix_sort_warp_sort_small_config_static_selectorELNS0_4arch9wavefront6targetE1EEEvSK_: ; @_ZN7rocprim17ROCPRIM_400000_NS6detail17trampoline_kernelINS0_14default_configENS1_36segmented_radix_sort_config_selectorIalEEZNS1_25segmented_radix_sort_implIS3_Lb0EPKaPaPKlPlN2at6native12_GLOBAL__N_18offset_tEEE10hipError_tPvRmT1_PNSt15iterator_traitsISK_E10value_typeET2_T3_PNSL_ISQ_E10value_typeET4_jRbjT5_SW_jjP12ihipStream_tbEUlT_E1_NS1_11comp_targetILNS1_3genE10ELNS1_11target_archE1200ELNS1_3gpuE4ELNS1_3repE0EEENS1_59segmented_radix_sort_warp_sort_small_config_static_selectorELNS0_4arch9wavefront6targetE1EEEvSK_
; %bb.0:
	.section	.rodata,"a",@progbits
	.p2align	6, 0x0
	.amdhsa_kernel _ZN7rocprim17ROCPRIM_400000_NS6detail17trampoline_kernelINS0_14default_configENS1_36segmented_radix_sort_config_selectorIalEEZNS1_25segmented_radix_sort_implIS3_Lb0EPKaPaPKlPlN2at6native12_GLOBAL__N_18offset_tEEE10hipError_tPvRmT1_PNSt15iterator_traitsISK_E10value_typeET2_T3_PNSL_ISQ_E10value_typeET4_jRbjT5_SW_jjP12ihipStream_tbEUlT_E1_NS1_11comp_targetILNS1_3genE10ELNS1_11target_archE1200ELNS1_3gpuE4ELNS1_3repE0EEENS1_59segmented_radix_sort_warp_sort_small_config_static_selectorELNS0_4arch9wavefront6targetE1EEEvSK_
		.amdhsa_group_segment_fixed_size 0
		.amdhsa_private_segment_fixed_size 0
		.amdhsa_kernarg_size 88
		.amdhsa_user_sgpr_count 6
		.amdhsa_user_sgpr_private_segment_buffer 1
		.amdhsa_user_sgpr_dispatch_ptr 0
		.amdhsa_user_sgpr_queue_ptr 0
		.amdhsa_user_sgpr_kernarg_segment_ptr 1
		.amdhsa_user_sgpr_dispatch_id 0
		.amdhsa_user_sgpr_flat_scratch_init 0
		.amdhsa_user_sgpr_kernarg_preload_length 0
		.amdhsa_user_sgpr_kernarg_preload_offset 0
		.amdhsa_user_sgpr_private_segment_size 0
		.amdhsa_uses_dynamic_stack 0
		.amdhsa_system_sgpr_private_segment_wavefront_offset 0
		.amdhsa_system_sgpr_workgroup_id_x 1
		.amdhsa_system_sgpr_workgroup_id_y 0
		.amdhsa_system_sgpr_workgroup_id_z 0
		.amdhsa_system_sgpr_workgroup_info 0
		.amdhsa_system_vgpr_workitem_id 0
		.amdhsa_next_free_vgpr 1
		.amdhsa_next_free_sgpr 0
		.amdhsa_accum_offset 4
		.amdhsa_reserve_vcc 0
		.amdhsa_reserve_flat_scratch 0
		.amdhsa_float_round_mode_32 0
		.amdhsa_float_round_mode_16_64 0
		.amdhsa_float_denorm_mode_32 3
		.amdhsa_float_denorm_mode_16_64 3
		.amdhsa_dx10_clamp 1
		.amdhsa_ieee_mode 1
		.amdhsa_fp16_overflow 0
		.amdhsa_tg_split 0
		.amdhsa_exception_fp_ieee_invalid_op 0
		.amdhsa_exception_fp_denorm_src 0
		.amdhsa_exception_fp_ieee_div_zero 0
		.amdhsa_exception_fp_ieee_overflow 0
		.amdhsa_exception_fp_ieee_underflow 0
		.amdhsa_exception_fp_ieee_inexact 0
		.amdhsa_exception_int_div_zero 0
	.end_amdhsa_kernel
	.section	.text._ZN7rocprim17ROCPRIM_400000_NS6detail17trampoline_kernelINS0_14default_configENS1_36segmented_radix_sort_config_selectorIalEEZNS1_25segmented_radix_sort_implIS3_Lb0EPKaPaPKlPlN2at6native12_GLOBAL__N_18offset_tEEE10hipError_tPvRmT1_PNSt15iterator_traitsISK_E10value_typeET2_T3_PNSL_ISQ_E10value_typeET4_jRbjT5_SW_jjP12ihipStream_tbEUlT_E1_NS1_11comp_targetILNS1_3genE10ELNS1_11target_archE1200ELNS1_3gpuE4ELNS1_3repE0EEENS1_59segmented_radix_sort_warp_sort_small_config_static_selectorELNS0_4arch9wavefront6targetE1EEEvSK_,"axG",@progbits,_ZN7rocprim17ROCPRIM_400000_NS6detail17trampoline_kernelINS0_14default_configENS1_36segmented_radix_sort_config_selectorIalEEZNS1_25segmented_radix_sort_implIS3_Lb0EPKaPaPKlPlN2at6native12_GLOBAL__N_18offset_tEEE10hipError_tPvRmT1_PNSt15iterator_traitsISK_E10value_typeET2_T3_PNSL_ISQ_E10value_typeET4_jRbjT5_SW_jjP12ihipStream_tbEUlT_E1_NS1_11comp_targetILNS1_3genE10ELNS1_11target_archE1200ELNS1_3gpuE4ELNS1_3repE0EEENS1_59segmented_radix_sort_warp_sort_small_config_static_selectorELNS0_4arch9wavefront6targetE1EEEvSK_,comdat
.Lfunc_end420:
	.size	_ZN7rocprim17ROCPRIM_400000_NS6detail17trampoline_kernelINS0_14default_configENS1_36segmented_radix_sort_config_selectorIalEEZNS1_25segmented_radix_sort_implIS3_Lb0EPKaPaPKlPlN2at6native12_GLOBAL__N_18offset_tEEE10hipError_tPvRmT1_PNSt15iterator_traitsISK_E10value_typeET2_T3_PNSL_ISQ_E10value_typeET4_jRbjT5_SW_jjP12ihipStream_tbEUlT_E1_NS1_11comp_targetILNS1_3genE10ELNS1_11target_archE1200ELNS1_3gpuE4ELNS1_3repE0EEENS1_59segmented_radix_sort_warp_sort_small_config_static_selectorELNS0_4arch9wavefront6targetE1EEEvSK_, .Lfunc_end420-_ZN7rocprim17ROCPRIM_400000_NS6detail17trampoline_kernelINS0_14default_configENS1_36segmented_radix_sort_config_selectorIalEEZNS1_25segmented_radix_sort_implIS3_Lb0EPKaPaPKlPlN2at6native12_GLOBAL__N_18offset_tEEE10hipError_tPvRmT1_PNSt15iterator_traitsISK_E10value_typeET2_T3_PNSL_ISQ_E10value_typeET4_jRbjT5_SW_jjP12ihipStream_tbEUlT_E1_NS1_11comp_targetILNS1_3genE10ELNS1_11target_archE1200ELNS1_3gpuE4ELNS1_3repE0EEENS1_59segmented_radix_sort_warp_sort_small_config_static_selectorELNS0_4arch9wavefront6targetE1EEEvSK_
                                        ; -- End function
	.section	.AMDGPU.csdata,"",@progbits
; Kernel info:
; codeLenInByte = 0
; NumSgprs: 4
; NumVgprs: 0
; NumAgprs: 0
; TotalNumVgprs: 0
; ScratchSize: 0
; MemoryBound: 0
; FloatMode: 240
; IeeeMode: 1
; LDSByteSize: 0 bytes/workgroup (compile time only)
; SGPRBlocks: 0
; VGPRBlocks: 0
; NumSGPRsForWavesPerEU: 4
; NumVGPRsForWavesPerEU: 1
; AccumOffset: 4
; Occupancy: 8
; WaveLimiterHint : 0
; COMPUTE_PGM_RSRC2:SCRATCH_EN: 0
; COMPUTE_PGM_RSRC2:USER_SGPR: 6
; COMPUTE_PGM_RSRC2:TRAP_HANDLER: 0
; COMPUTE_PGM_RSRC2:TGID_X_EN: 1
; COMPUTE_PGM_RSRC2:TGID_Y_EN: 0
; COMPUTE_PGM_RSRC2:TGID_Z_EN: 0
; COMPUTE_PGM_RSRC2:TIDIG_COMP_CNT: 0
; COMPUTE_PGM_RSRC3_GFX90A:ACCUM_OFFSET: 0
; COMPUTE_PGM_RSRC3_GFX90A:TG_SPLIT: 0
	.section	.text._ZN7rocprim17ROCPRIM_400000_NS6detail17trampoline_kernelINS0_14default_configENS1_36segmented_radix_sort_config_selectorIalEEZNS1_25segmented_radix_sort_implIS3_Lb0EPKaPaPKlPlN2at6native12_GLOBAL__N_18offset_tEEE10hipError_tPvRmT1_PNSt15iterator_traitsISK_E10value_typeET2_T3_PNSL_ISQ_E10value_typeET4_jRbjT5_SW_jjP12ihipStream_tbEUlT_E1_NS1_11comp_targetILNS1_3genE9ELNS1_11target_archE1100ELNS1_3gpuE3ELNS1_3repE0EEENS1_59segmented_radix_sort_warp_sort_small_config_static_selectorELNS0_4arch9wavefront6targetE1EEEvSK_,"axG",@progbits,_ZN7rocprim17ROCPRIM_400000_NS6detail17trampoline_kernelINS0_14default_configENS1_36segmented_radix_sort_config_selectorIalEEZNS1_25segmented_radix_sort_implIS3_Lb0EPKaPaPKlPlN2at6native12_GLOBAL__N_18offset_tEEE10hipError_tPvRmT1_PNSt15iterator_traitsISK_E10value_typeET2_T3_PNSL_ISQ_E10value_typeET4_jRbjT5_SW_jjP12ihipStream_tbEUlT_E1_NS1_11comp_targetILNS1_3genE9ELNS1_11target_archE1100ELNS1_3gpuE3ELNS1_3repE0EEENS1_59segmented_radix_sort_warp_sort_small_config_static_selectorELNS0_4arch9wavefront6targetE1EEEvSK_,comdat
	.globl	_ZN7rocprim17ROCPRIM_400000_NS6detail17trampoline_kernelINS0_14default_configENS1_36segmented_radix_sort_config_selectorIalEEZNS1_25segmented_radix_sort_implIS3_Lb0EPKaPaPKlPlN2at6native12_GLOBAL__N_18offset_tEEE10hipError_tPvRmT1_PNSt15iterator_traitsISK_E10value_typeET2_T3_PNSL_ISQ_E10value_typeET4_jRbjT5_SW_jjP12ihipStream_tbEUlT_E1_NS1_11comp_targetILNS1_3genE9ELNS1_11target_archE1100ELNS1_3gpuE3ELNS1_3repE0EEENS1_59segmented_radix_sort_warp_sort_small_config_static_selectorELNS0_4arch9wavefront6targetE1EEEvSK_ ; -- Begin function _ZN7rocprim17ROCPRIM_400000_NS6detail17trampoline_kernelINS0_14default_configENS1_36segmented_radix_sort_config_selectorIalEEZNS1_25segmented_radix_sort_implIS3_Lb0EPKaPaPKlPlN2at6native12_GLOBAL__N_18offset_tEEE10hipError_tPvRmT1_PNSt15iterator_traitsISK_E10value_typeET2_T3_PNSL_ISQ_E10value_typeET4_jRbjT5_SW_jjP12ihipStream_tbEUlT_E1_NS1_11comp_targetILNS1_3genE9ELNS1_11target_archE1100ELNS1_3gpuE3ELNS1_3repE0EEENS1_59segmented_radix_sort_warp_sort_small_config_static_selectorELNS0_4arch9wavefront6targetE1EEEvSK_
	.p2align	8
	.type	_ZN7rocprim17ROCPRIM_400000_NS6detail17trampoline_kernelINS0_14default_configENS1_36segmented_radix_sort_config_selectorIalEEZNS1_25segmented_radix_sort_implIS3_Lb0EPKaPaPKlPlN2at6native12_GLOBAL__N_18offset_tEEE10hipError_tPvRmT1_PNSt15iterator_traitsISK_E10value_typeET2_T3_PNSL_ISQ_E10value_typeET4_jRbjT5_SW_jjP12ihipStream_tbEUlT_E1_NS1_11comp_targetILNS1_3genE9ELNS1_11target_archE1100ELNS1_3gpuE3ELNS1_3repE0EEENS1_59segmented_radix_sort_warp_sort_small_config_static_selectorELNS0_4arch9wavefront6targetE1EEEvSK_,@function
_ZN7rocprim17ROCPRIM_400000_NS6detail17trampoline_kernelINS0_14default_configENS1_36segmented_radix_sort_config_selectorIalEEZNS1_25segmented_radix_sort_implIS3_Lb0EPKaPaPKlPlN2at6native12_GLOBAL__N_18offset_tEEE10hipError_tPvRmT1_PNSt15iterator_traitsISK_E10value_typeET2_T3_PNSL_ISQ_E10value_typeET4_jRbjT5_SW_jjP12ihipStream_tbEUlT_E1_NS1_11comp_targetILNS1_3genE9ELNS1_11target_archE1100ELNS1_3gpuE3ELNS1_3repE0EEENS1_59segmented_radix_sort_warp_sort_small_config_static_selectorELNS0_4arch9wavefront6targetE1EEEvSK_: ; @_ZN7rocprim17ROCPRIM_400000_NS6detail17trampoline_kernelINS0_14default_configENS1_36segmented_radix_sort_config_selectorIalEEZNS1_25segmented_radix_sort_implIS3_Lb0EPKaPaPKlPlN2at6native12_GLOBAL__N_18offset_tEEE10hipError_tPvRmT1_PNSt15iterator_traitsISK_E10value_typeET2_T3_PNSL_ISQ_E10value_typeET4_jRbjT5_SW_jjP12ihipStream_tbEUlT_E1_NS1_11comp_targetILNS1_3genE9ELNS1_11target_archE1100ELNS1_3gpuE3ELNS1_3repE0EEENS1_59segmented_radix_sort_warp_sort_small_config_static_selectorELNS0_4arch9wavefront6targetE1EEEvSK_
; %bb.0:
	.section	.rodata,"a",@progbits
	.p2align	6, 0x0
	.amdhsa_kernel _ZN7rocprim17ROCPRIM_400000_NS6detail17trampoline_kernelINS0_14default_configENS1_36segmented_radix_sort_config_selectorIalEEZNS1_25segmented_radix_sort_implIS3_Lb0EPKaPaPKlPlN2at6native12_GLOBAL__N_18offset_tEEE10hipError_tPvRmT1_PNSt15iterator_traitsISK_E10value_typeET2_T3_PNSL_ISQ_E10value_typeET4_jRbjT5_SW_jjP12ihipStream_tbEUlT_E1_NS1_11comp_targetILNS1_3genE9ELNS1_11target_archE1100ELNS1_3gpuE3ELNS1_3repE0EEENS1_59segmented_radix_sort_warp_sort_small_config_static_selectorELNS0_4arch9wavefront6targetE1EEEvSK_
		.amdhsa_group_segment_fixed_size 0
		.amdhsa_private_segment_fixed_size 0
		.amdhsa_kernarg_size 88
		.amdhsa_user_sgpr_count 6
		.amdhsa_user_sgpr_private_segment_buffer 1
		.amdhsa_user_sgpr_dispatch_ptr 0
		.amdhsa_user_sgpr_queue_ptr 0
		.amdhsa_user_sgpr_kernarg_segment_ptr 1
		.amdhsa_user_sgpr_dispatch_id 0
		.amdhsa_user_sgpr_flat_scratch_init 0
		.amdhsa_user_sgpr_kernarg_preload_length 0
		.amdhsa_user_sgpr_kernarg_preload_offset 0
		.amdhsa_user_sgpr_private_segment_size 0
		.amdhsa_uses_dynamic_stack 0
		.amdhsa_system_sgpr_private_segment_wavefront_offset 0
		.amdhsa_system_sgpr_workgroup_id_x 1
		.amdhsa_system_sgpr_workgroup_id_y 0
		.amdhsa_system_sgpr_workgroup_id_z 0
		.amdhsa_system_sgpr_workgroup_info 0
		.amdhsa_system_vgpr_workitem_id 0
		.amdhsa_next_free_vgpr 1
		.amdhsa_next_free_sgpr 0
		.amdhsa_accum_offset 4
		.amdhsa_reserve_vcc 0
		.amdhsa_reserve_flat_scratch 0
		.amdhsa_float_round_mode_32 0
		.amdhsa_float_round_mode_16_64 0
		.amdhsa_float_denorm_mode_32 3
		.amdhsa_float_denorm_mode_16_64 3
		.amdhsa_dx10_clamp 1
		.amdhsa_ieee_mode 1
		.amdhsa_fp16_overflow 0
		.amdhsa_tg_split 0
		.amdhsa_exception_fp_ieee_invalid_op 0
		.amdhsa_exception_fp_denorm_src 0
		.amdhsa_exception_fp_ieee_div_zero 0
		.amdhsa_exception_fp_ieee_overflow 0
		.amdhsa_exception_fp_ieee_underflow 0
		.amdhsa_exception_fp_ieee_inexact 0
		.amdhsa_exception_int_div_zero 0
	.end_amdhsa_kernel
	.section	.text._ZN7rocprim17ROCPRIM_400000_NS6detail17trampoline_kernelINS0_14default_configENS1_36segmented_radix_sort_config_selectorIalEEZNS1_25segmented_radix_sort_implIS3_Lb0EPKaPaPKlPlN2at6native12_GLOBAL__N_18offset_tEEE10hipError_tPvRmT1_PNSt15iterator_traitsISK_E10value_typeET2_T3_PNSL_ISQ_E10value_typeET4_jRbjT5_SW_jjP12ihipStream_tbEUlT_E1_NS1_11comp_targetILNS1_3genE9ELNS1_11target_archE1100ELNS1_3gpuE3ELNS1_3repE0EEENS1_59segmented_radix_sort_warp_sort_small_config_static_selectorELNS0_4arch9wavefront6targetE1EEEvSK_,"axG",@progbits,_ZN7rocprim17ROCPRIM_400000_NS6detail17trampoline_kernelINS0_14default_configENS1_36segmented_radix_sort_config_selectorIalEEZNS1_25segmented_radix_sort_implIS3_Lb0EPKaPaPKlPlN2at6native12_GLOBAL__N_18offset_tEEE10hipError_tPvRmT1_PNSt15iterator_traitsISK_E10value_typeET2_T3_PNSL_ISQ_E10value_typeET4_jRbjT5_SW_jjP12ihipStream_tbEUlT_E1_NS1_11comp_targetILNS1_3genE9ELNS1_11target_archE1100ELNS1_3gpuE3ELNS1_3repE0EEENS1_59segmented_radix_sort_warp_sort_small_config_static_selectorELNS0_4arch9wavefront6targetE1EEEvSK_,comdat
.Lfunc_end421:
	.size	_ZN7rocprim17ROCPRIM_400000_NS6detail17trampoline_kernelINS0_14default_configENS1_36segmented_radix_sort_config_selectorIalEEZNS1_25segmented_radix_sort_implIS3_Lb0EPKaPaPKlPlN2at6native12_GLOBAL__N_18offset_tEEE10hipError_tPvRmT1_PNSt15iterator_traitsISK_E10value_typeET2_T3_PNSL_ISQ_E10value_typeET4_jRbjT5_SW_jjP12ihipStream_tbEUlT_E1_NS1_11comp_targetILNS1_3genE9ELNS1_11target_archE1100ELNS1_3gpuE3ELNS1_3repE0EEENS1_59segmented_radix_sort_warp_sort_small_config_static_selectorELNS0_4arch9wavefront6targetE1EEEvSK_, .Lfunc_end421-_ZN7rocprim17ROCPRIM_400000_NS6detail17trampoline_kernelINS0_14default_configENS1_36segmented_radix_sort_config_selectorIalEEZNS1_25segmented_radix_sort_implIS3_Lb0EPKaPaPKlPlN2at6native12_GLOBAL__N_18offset_tEEE10hipError_tPvRmT1_PNSt15iterator_traitsISK_E10value_typeET2_T3_PNSL_ISQ_E10value_typeET4_jRbjT5_SW_jjP12ihipStream_tbEUlT_E1_NS1_11comp_targetILNS1_3genE9ELNS1_11target_archE1100ELNS1_3gpuE3ELNS1_3repE0EEENS1_59segmented_radix_sort_warp_sort_small_config_static_selectorELNS0_4arch9wavefront6targetE1EEEvSK_
                                        ; -- End function
	.section	.AMDGPU.csdata,"",@progbits
; Kernel info:
; codeLenInByte = 0
; NumSgprs: 4
; NumVgprs: 0
; NumAgprs: 0
; TotalNumVgprs: 0
; ScratchSize: 0
; MemoryBound: 0
; FloatMode: 240
; IeeeMode: 1
; LDSByteSize: 0 bytes/workgroup (compile time only)
; SGPRBlocks: 0
; VGPRBlocks: 0
; NumSGPRsForWavesPerEU: 4
; NumVGPRsForWavesPerEU: 1
; AccumOffset: 4
; Occupancy: 8
; WaveLimiterHint : 0
; COMPUTE_PGM_RSRC2:SCRATCH_EN: 0
; COMPUTE_PGM_RSRC2:USER_SGPR: 6
; COMPUTE_PGM_RSRC2:TRAP_HANDLER: 0
; COMPUTE_PGM_RSRC2:TGID_X_EN: 1
; COMPUTE_PGM_RSRC2:TGID_Y_EN: 0
; COMPUTE_PGM_RSRC2:TGID_Z_EN: 0
; COMPUTE_PGM_RSRC2:TIDIG_COMP_CNT: 0
; COMPUTE_PGM_RSRC3_GFX90A:ACCUM_OFFSET: 0
; COMPUTE_PGM_RSRC3_GFX90A:TG_SPLIT: 0
	.section	.text._ZN7rocprim17ROCPRIM_400000_NS6detail17trampoline_kernelINS0_14default_configENS1_36segmented_radix_sort_config_selectorIalEEZNS1_25segmented_radix_sort_implIS3_Lb0EPKaPaPKlPlN2at6native12_GLOBAL__N_18offset_tEEE10hipError_tPvRmT1_PNSt15iterator_traitsISK_E10value_typeET2_T3_PNSL_ISQ_E10value_typeET4_jRbjT5_SW_jjP12ihipStream_tbEUlT_E1_NS1_11comp_targetILNS1_3genE8ELNS1_11target_archE1030ELNS1_3gpuE2ELNS1_3repE0EEENS1_59segmented_radix_sort_warp_sort_small_config_static_selectorELNS0_4arch9wavefront6targetE1EEEvSK_,"axG",@progbits,_ZN7rocprim17ROCPRIM_400000_NS6detail17trampoline_kernelINS0_14default_configENS1_36segmented_radix_sort_config_selectorIalEEZNS1_25segmented_radix_sort_implIS3_Lb0EPKaPaPKlPlN2at6native12_GLOBAL__N_18offset_tEEE10hipError_tPvRmT1_PNSt15iterator_traitsISK_E10value_typeET2_T3_PNSL_ISQ_E10value_typeET4_jRbjT5_SW_jjP12ihipStream_tbEUlT_E1_NS1_11comp_targetILNS1_3genE8ELNS1_11target_archE1030ELNS1_3gpuE2ELNS1_3repE0EEENS1_59segmented_radix_sort_warp_sort_small_config_static_selectorELNS0_4arch9wavefront6targetE1EEEvSK_,comdat
	.globl	_ZN7rocprim17ROCPRIM_400000_NS6detail17trampoline_kernelINS0_14default_configENS1_36segmented_radix_sort_config_selectorIalEEZNS1_25segmented_radix_sort_implIS3_Lb0EPKaPaPKlPlN2at6native12_GLOBAL__N_18offset_tEEE10hipError_tPvRmT1_PNSt15iterator_traitsISK_E10value_typeET2_T3_PNSL_ISQ_E10value_typeET4_jRbjT5_SW_jjP12ihipStream_tbEUlT_E1_NS1_11comp_targetILNS1_3genE8ELNS1_11target_archE1030ELNS1_3gpuE2ELNS1_3repE0EEENS1_59segmented_radix_sort_warp_sort_small_config_static_selectorELNS0_4arch9wavefront6targetE1EEEvSK_ ; -- Begin function _ZN7rocprim17ROCPRIM_400000_NS6detail17trampoline_kernelINS0_14default_configENS1_36segmented_radix_sort_config_selectorIalEEZNS1_25segmented_radix_sort_implIS3_Lb0EPKaPaPKlPlN2at6native12_GLOBAL__N_18offset_tEEE10hipError_tPvRmT1_PNSt15iterator_traitsISK_E10value_typeET2_T3_PNSL_ISQ_E10value_typeET4_jRbjT5_SW_jjP12ihipStream_tbEUlT_E1_NS1_11comp_targetILNS1_3genE8ELNS1_11target_archE1030ELNS1_3gpuE2ELNS1_3repE0EEENS1_59segmented_radix_sort_warp_sort_small_config_static_selectorELNS0_4arch9wavefront6targetE1EEEvSK_
	.p2align	8
	.type	_ZN7rocprim17ROCPRIM_400000_NS6detail17trampoline_kernelINS0_14default_configENS1_36segmented_radix_sort_config_selectorIalEEZNS1_25segmented_radix_sort_implIS3_Lb0EPKaPaPKlPlN2at6native12_GLOBAL__N_18offset_tEEE10hipError_tPvRmT1_PNSt15iterator_traitsISK_E10value_typeET2_T3_PNSL_ISQ_E10value_typeET4_jRbjT5_SW_jjP12ihipStream_tbEUlT_E1_NS1_11comp_targetILNS1_3genE8ELNS1_11target_archE1030ELNS1_3gpuE2ELNS1_3repE0EEENS1_59segmented_radix_sort_warp_sort_small_config_static_selectorELNS0_4arch9wavefront6targetE1EEEvSK_,@function
_ZN7rocprim17ROCPRIM_400000_NS6detail17trampoline_kernelINS0_14default_configENS1_36segmented_radix_sort_config_selectorIalEEZNS1_25segmented_radix_sort_implIS3_Lb0EPKaPaPKlPlN2at6native12_GLOBAL__N_18offset_tEEE10hipError_tPvRmT1_PNSt15iterator_traitsISK_E10value_typeET2_T3_PNSL_ISQ_E10value_typeET4_jRbjT5_SW_jjP12ihipStream_tbEUlT_E1_NS1_11comp_targetILNS1_3genE8ELNS1_11target_archE1030ELNS1_3gpuE2ELNS1_3repE0EEENS1_59segmented_radix_sort_warp_sort_small_config_static_selectorELNS0_4arch9wavefront6targetE1EEEvSK_: ; @_ZN7rocprim17ROCPRIM_400000_NS6detail17trampoline_kernelINS0_14default_configENS1_36segmented_radix_sort_config_selectorIalEEZNS1_25segmented_radix_sort_implIS3_Lb0EPKaPaPKlPlN2at6native12_GLOBAL__N_18offset_tEEE10hipError_tPvRmT1_PNSt15iterator_traitsISK_E10value_typeET2_T3_PNSL_ISQ_E10value_typeET4_jRbjT5_SW_jjP12ihipStream_tbEUlT_E1_NS1_11comp_targetILNS1_3genE8ELNS1_11target_archE1030ELNS1_3gpuE2ELNS1_3repE0EEENS1_59segmented_radix_sort_warp_sort_small_config_static_selectorELNS0_4arch9wavefront6targetE1EEEvSK_
; %bb.0:
	.section	.rodata,"a",@progbits
	.p2align	6, 0x0
	.amdhsa_kernel _ZN7rocprim17ROCPRIM_400000_NS6detail17trampoline_kernelINS0_14default_configENS1_36segmented_radix_sort_config_selectorIalEEZNS1_25segmented_radix_sort_implIS3_Lb0EPKaPaPKlPlN2at6native12_GLOBAL__N_18offset_tEEE10hipError_tPvRmT1_PNSt15iterator_traitsISK_E10value_typeET2_T3_PNSL_ISQ_E10value_typeET4_jRbjT5_SW_jjP12ihipStream_tbEUlT_E1_NS1_11comp_targetILNS1_3genE8ELNS1_11target_archE1030ELNS1_3gpuE2ELNS1_3repE0EEENS1_59segmented_radix_sort_warp_sort_small_config_static_selectorELNS0_4arch9wavefront6targetE1EEEvSK_
		.amdhsa_group_segment_fixed_size 0
		.amdhsa_private_segment_fixed_size 0
		.amdhsa_kernarg_size 88
		.amdhsa_user_sgpr_count 6
		.amdhsa_user_sgpr_private_segment_buffer 1
		.amdhsa_user_sgpr_dispatch_ptr 0
		.amdhsa_user_sgpr_queue_ptr 0
		.amdhsa_user_sgpr_kernarg_segment_ptr 1
		.amdhsa_user_sgpr_dispatch_id 0
		.amdhsa_user_sgpr_flat_scratch_init 0
		.amdhsa_user_sgpr_kernarg_preload_length 0
		.amdhsa_user_sgpr_kernarg_preload_offset 0
		.amdhsa_user_sgpr_private_segment_size 0
		.amdhsa_uses_dynamic_stack 0
		.amdhsa_system_sgpr_private_segment_wavefront_offset 0
		.amdhsa_system_sgpr_workgroup_id_x 1
		.amdhsa_system_sgpr_workgroup_id_y 0
		.amdhsa_system_sgpr_workgroup_id_z 0
		.amdhsa_system_sgpr_workgroup_info 0
		.amdhsa_system_vgpr_workitem_id 0
		.amdhsa_next_free_vgpr 1
		.amdhsa_next_free_sgpr 0
		.amdhsa_accum_offset 4
		.amdhsa_reserve_vcc 0
		.amdhsa_reserve_flat_scratch 0
		.amdhsa_float_round_mode_32 0
		.amdhsa_float_round_mode_16_64 0
		.amdhsa_float_denorm_mode_32 3
		.amdhsa_float_denorm_mode_16_64 3
		.amdhsa_dx10_clamp 1
		.amdhsa_ieee_mode 1
		.amdhsa_fp16_overflow 0
		.amdhsa_tg_split 0
		.amdhsa_exception_fp_ieee_invalid_op 0
		.amdhsa_exception_fp_denorm_src 0
		.amdhsa_exception_fp_ieee_div_zero 0
		.amdhsa_exception_fp_ieee_overflow 0
		.amdhsa_exception_fp_ieee_underflow 0
		.amdhsa_exception_fp_ieee_inexact 0
		.amdhsa_exception_int_div_zero 0
	.end_amdhsa_kernel
	.section	.text._ZN7rocprim17ROCPRIM_400000_NS6detail17trampoline_kernelINS0_14default_configENS1_36segmented_radix_sort_config_selectorIalEEZNS1_25segmented_radix_sort_implIS3_Lb0EPKaPaPKlPlN2at6native12_GLOBAL__N_18offset_tEEE10hipError_tPvRmT1_PNSt15iterator_traitsISK_E10value_typeET2_T3_PNSL_ISQ_E10value_typeET4_jRbjT5_SW_jjP12ihipStream_tbEUlT_E1_NS1_11comp_targetILNS1_3genE8ELNS1_11target_archE1030ELNS1_3gpuE2ELNS1_3repE0EEENS1_59segmented_radix_sort_warp_sort_small_config_static_selectorELNS0_4arch9wavefront6targetE1EEEvSK_,"axG",@progbits,_ZN7rocprim17ROCPRIM_400000_NS6detail17trampoline_kernelINS0_14default_configENS1_36segmented_radix_sort_config_selectorIalEEZNS1_25segmented_radix_sort_implIS3_Lb0EPKaPaPKlPlN2at6native12_GLOBAL__N_18offset_tEEE10hipError_tPvRmT1_PNSt15iterator_traitsISK_E10value_typeET2_T3_PNSL_ISQ_E10value_typeET4_jRbjT5_SW_jjP12ihipStream_tbEUlT_E1_NS1_11comp_targetILNS1_3genE8ELNS1_11target_archE1030ELNS1_3gpuE2ELNS1_3repE0EEENS1_59segmented_radix_sort_warp_sort_small_config_static_selectorELNS0_4arch9wavefront6targetE1EEEvSK_,comdat
.Lfunc_end422:
	.size	_ZN7rocprim17ROCPRIM_400000_NS6detail17trampoline_kernelINS0_14default_configENS1_36segmented_radix_sort_config_selectorIalEEZNS1_25segmented_radix_sort_implIS3_Lb0EPKaPaPKlPlN2at6native12_GLOBAL__N_18offset_tEEE10hipError_tPvRmT1_PNSt15iterator_traitsISK_E10value_typeET2_T3_PNSL_ISQ_E10value_typeET4_jRbjT5_SW_jjP12ihipStream_tbEUlT_E1_NS1_11comp_targetILNS1_3genE8ELNS1_11target_archE1030ELNS1_3gpuE2ELNS1_3repE0EEENS1_59segmented_radix_sort_warp_sort_small_config_static_selectorELNS0_4arch9wavefront6targetE1EEEvSK_, .Lfunc_end422-_ZN7rocprim17ROCPRIM_400000_NS6detail17trampoline_kernelINS0_14default_configENS1_36segmented_radix_sort_config_selectorIalEEZNS1_25segmented_radix_sort_implIS3_Lb0EPKaPaPKlPlN2at6native12_GLOBAL__N_18offset_tEEE10hipError_tPvRmT1_PNSt15iterator_traitsISK_E10value_typeET2_T3_PNSL_ISQ_E10value_typeET4_jRbjT5_SW_jjP12ihipStream_tbEUlT_E1_NS1_11comp_targetILNS1_3genE8ELNS1_11target_archE1030ELNS1_3gpuE2ELNS1_3repE0EEENS1_59segmented_radix_sort_warp_sort_small_config_static_selectorELNS0_4arch9wavefront6targetE1EEEvSK_
                                        ; -- End function
	.section	.AMDGPU.csdata,"",@progbits
; Kernel info:
; codeLenInByte = 0
; NumSgprs: 4
; NumVgprs: 0
; NumAgprs: 0
; TotalNumVgprs: 0
; ScratchSize: 0
; MemoryBound: 0
; FloatMode: 240
; IeeeMode: 1
; LDSByteSize: 0 bytes/workgroup (compile time only)
; SGPRBlocks: 0
; VGPRBlocks: 0
; NumSGPRsForWavesPerEU: 4
; NumVGPRsForWavesPerEU: 1
; AccumOffset: 4
; Occupancy: 8
; WaveLimiterHint : 0
; COMPUTE_PGM_RSRC2:SCRATCH_EN: 0
; COMPUTE_PGM_RSRC2:USER_SGPR: 6
; COMPUTE_PGM_RSRC2:TRAP_HANDLER: 0
; COMPUTE_PGM_RSRC2:TGID_X_EN: 1
; COMPUTE_PGM_RSRC2:TGID_Y_EN: 0
; COMPUTE_PGM_RSRC2:TGID_Z_EN: 0
; COMPUTE_PGM_RSRC2:TIDIG_COMP_CNT: 0
; COMPUTE_PGM_RSRC3_GFX90A:ACCUM_OFFSET: 0
; COMPUTE_PGM_RSRC3_GFX90A:TG_SPLIT: 0
	.section	.text._ZN7rocprim17ROCPRIM_400000_NS6detail17trampoline_kernelINS0_14default_configENS1_36segmented_radix_sort_config_selectorIalEEZNS1_25segmented_radix_sort_implIS3_Lb0EPKaPaPKlPlN2at6native12_GLOBAL__N_18offset_tEEE10hipError_tPvRmT1_PNSt15iterator_traitsISK_E10value_typeET2_T3_PNSL_ISQ_E10value_typeET4_jRbjT5_SW_jjP12ihipStream_tbEUlT_E2_NS1_11comp_targetILNS1_3genE0ELNS1_11target_archE4294967295ELNS1_3gpuE0ELNS1_3repE0EEENS1_30default_config_static_selectorELNS0_4arch9wavefront6targetE1EEEvSK_,"axG",@progbits,_ZN7rocprim17ROCPRIM_400000_NS6detail17trampoline_kernelINS0_14default_configENS1_36segmented_radix_sort_config_selectorIalEEZNS1_25segmented_radix_sort_implIS3_Lb0EPKaPaPKlPlN2at6native12_GLOBAL__N_18offset_tEEE10hipError_tPvRmT1_PNSt15iterator_traitsISK_E10value_typeET2_T3_PNSL_ISQ_E10value_typeET4_jRbjT5_SW_jjP12ihipStream_tbEUlT_E2_NS1_11comp_targetILNS1_3genE0ELNS1_11target_archE4294967295ELNS1_3gpuE0ELNS1_3repE0EEENS1_30default_config_static_selectorELNS0_4arch9wavefront6targetE1EEEvSK_,comdat
	.globl	_ZN7rocprim17ROCPRIM_400000_NS6detail17trampoline_kernelINS0_14default_configENS1_36segmented_radix_sort_config_selectorIalEEZNS1_25segmented_radix_sort_implIS3_Lb0EPKaPaPKlPlN2at6native12_GLOBAL__N_18offset_tEEE10hipError_tPvRmT1_PNSt15iterator_traitsISK_E10value_typeET2_T3_PNSL_ISQ_E10value_typeET4_jRbjT5_SW_jjP12ihipStream_tbEUlT_E2_NS1_11comp_targetILNS1_3genE0ELNS1_11target_archE4294967295ELNS1_3gpuE0ELNS1_3repE0EEENS1_30default_config_static_selectorELNS0_4arch9wavefront6targetE1EEEvSK_ ; -- Begin function _ZN7rocprim17ROCPRIM_400000_NS6detail17trampoline_kernelINS0_14default_configENS1_36segmented_radix_sort_config_selectorIalEEZNS1_25segmented_radix_sort_implIS3_Lb0EPKaPaPKlPlN2at6native12_GLOBAL__N_18offset_tEEE10hipError_tPvRmT1_PNSt15iterator_traitsISK_E10value_typeET2_T3_PNSL_ISQ_E10value_typeET4_jRbjT5_SW_jjP12ihipStream_tbEUlT_E2_NS1_11comp_targetILNS1_3genE0ELNS1_11target_archE4294967295ELNS1_3gpuE0ELNS1_3repE0EEENS1_30default_config_static_selectorELNS0_4arch9wavefront6targetE1EEEvSK_
	.p2align	8
	.type	_ZN7rocprim17ROCPRIM_400000_NS6detail17trampoline_kernelINS0_14default_configENS1_36segmented_radix_sort_config_selectorIalEEZNS1_25segmented_radix_sort_implIS3_Lb0EPKaPaPKlPlN2at6native12_GLOBAL__N_18offset_tEEE10hipError_tPvRmT1_PNSt15iterator_traitsISK_E10value_typeET2_T3_PNSL_ISQ_E10value_typeET4_jRbjT5_SW_jjP12ihipStream_tbEUlT_E2_NS1_11comp_targetILNS1_3genE0ELNS1_11target_archE4294967295ELNS1_3gpuE0ELNS1_3repE0EEENS1_30default_config_static_selectorELNS0_4arch9wavefront6targetE1EEEvSK_,@function
_ZN7rocprim17ROCPRIM_400000_NS6detail17trampoline_kernelINS0_14default_configENS1_36segmented_radix_sort_config_selectorIalEEZNS1_25segmented_radix_sort_implIS3_Lb0EPKaPaPKlPlN2at6native12_GLOBAL__N_18offset_tEEE10hipError_tPvRmT1_PNSt15iterator_traitsISK_E10value_typeET2_T3_PNSL_ISQ_E10value_typeET4_jRbjT5_SW_jjP12ihipStream_tbEUlT_E2_NS1_11comp_targetILNS1_3genE0ELNS1_11target_archE4294967295ELNS1_3gpuE0ELNS1_3repE0EEENS1_30default_config_static_selectorELNS0_4arch9wavefront6targetE1EEEvSK_: ; @_ZN7rocprim17ROCPRIM_400000_NS6detail17trampoline_kernelINS0_14default_configENS1_36segmented_radix_sort_config_selectorIalEEZNS1_25segmented_radix_sort_implIS3_Lb0EPKaPaPKlPlN2at6native12_GLOBAL__N_18offset_tEEE10hipError_tPvRmT1_PNSt15iterator_traitsISK_E10value_typeET2_T3_PNSL_ISQ_E10value_typeET4_jRbjT5_SW_jjP12ihipStream_tbEUlT_E2_NS1_11comp_targetILNS1_3genE0ELNS1_11target_archE4294967295ELNS1_3gpuE0ELNS1_3repE0EEENS1_30default_config_static_selectorELNS0_4arch9wavefront6targetE1EEEvSK_
; %bb.0:
	.section	.rodata,"a",@progbits
	.p2align	6, 0x0
	.amdhsa_kernel _ZN7rocprim17ROCPRIM_400000_NS6detail17trampoline_kernelINS0_14default_configENS1_36segmented_radix_sort_config_selectorIalEEZNS1_25segmented_radix_sort_implIS3_Lb0EPKaPaPKlPlN2at6native12_GLOBAL__N_18offset_tEEE10hipError_tPvRmT1_PNSt15iterator_traitsISK_E10value_typeET2_T3_PNSL_ISQ_E10value_typeET4_jRbjT5_SW_jjP12ihipStream_tbEUlT_E2_NS1_11comp_targetILNS1_3genE0ELNS1_11target_archE4294967295ELNS1_3gpuE0ELNS1_3repE0EEENS1_30default_config_static_selectorELNS0_4arch9wavefront6targetE1EEEvSK_
		.amdhsa_group_segment_fixed_size 0
		.amdhsa_private_segment_fixed_size 0
		.amdhsa_kernarg_size 80
		.amdhsa_user_sgpr_count 6
		.amdhsa_user_sgpr_private_segment_buffer 1
		.amdhsa_user_sgpr_dispatch_ptr 0
		.amdhsa_user_sgpr_queue_ptr 0
		.amdhsa_user_sgpr_kernarg_segment_ptr 1
		.amdhsa_user_sgpr_dispatch_id 0
		.amdhsa_user_sgpr_flat_scratch_init 0
		.amdhsa_user_sgpr_kernarg_preload_length 0
		.amdhsa_user_sgpr_kernarg_preload_offset 0
		.amdhsa_user_sgpr_private_segment_size 0
		.amdhsa_uses_dynamic_stack 0
		.amdhsa_system_sgpr_private_segment_wavefront_offset 0
		.amdhsa_system_sgpr_workgroup_id_x 1
		.amdhsa_system_sgpr_workgroup_id_y 0
		.amdhsa_system_sgpr_workgroup_id_z 0
		.amdhsa_system_sgpr_workgroup_info 0
		.amdhsa_system_vgpr_workitem_id 0
		.amdhsa_next_free_vgpr 1
		.amdhsa_next_free_sgpr 0
		.amdhsa_accum_offset 4
		.amdhsa_reserve_vcc 0
		.amdhsa_reserve_flat_scratch 0
		.amdhsa_float_round_mode_32 0
		.amdhsa_float_round_mode_16_64 0
		.amdhsa_float_denorm_mode_32 3
		.amdhsa_float_denorm_mode_16_64 3
		.amdhsa_dx10_clamp 1
		.amdhsa_ieee_mode 1
		.amdhsa_fp16_overflow 0
		.amdhsa_tg_split 0
		.amdhsa_exception_fp_ieee_invalid_op 0
		.amdhsa_exception_fp_denorm_src 0
		.amdhsa_exception_fp_ieee_div_zero 0
		.amdhsa_exception_fp_ieee_overflow 0
		.amdhsa_exception_fp_ieee_underflow 0
		.amdhsa_exception_fp_ieee_inexact 0
		.amdhsa_exception_int_div_zero 0
	.end_amdhsa_kernel
	.section	.text._ZN7rocprim17ROCPRIM_400000_NS6detail17trampoline_kernelINS0_14default_configENS1_36segmented_radix_sort_config_selectorIalEEZNS1_25segmented_radix_sort_implIS3_Lb0EPKaPaPKlPlN2at6native12_GLOBAL__N_18offset_tEEE10hipError_tPvRmT1_PNSt15iterator_traitsISK_E10value_typeET2_T3_PNSL_ISQ_E10value_typeET4_jRbjT5_SW_jjP12ihipStream_tbEUlT_E2_NS1_11comp_targetILNS1_3genE0ELNS1_11target_archE4294967295ELNS1_3gpuE0ELNS1_3repE0EEENS1_30default_config_static_selectorELNS0_4arch9wavefront6targetE1EEEvSK_,"axG",@progbits,_ZN7rocprim17ROCPRIM_400000_NS6detail17trampoline_kernelINS0_14default_configENS1_36segmented_radix_sort_config_selectorIalEEZNS1_25segmented_radix_sort_implIS3_Lb0EPKaPaPKlPlN2at6native12_GLOBAL__N_18offset_tEEE10hipError_tPvRmT1_PNSt15iterator_traitsISK_E10value_typeET2_T3_PNSL_ISQ_E10value_typeET4_jRbjT5_SW_jjP12ihipStream_tbEUlT_E2_NS1_11comp_targetILNS1_3genE0ELNS1_11target_archE4294967295ELNS1_3gpuE0ELNS1_3repE0EEENS1_30default_config_static_selectorELNS0_4arch9wavefront6targetE1EEEvSK_,comdat
.Lfunc_end423:
	.size	_ZN7rocprim17ROCPRIM_400000_NS6detail17trampoline_kernelINS0_14default_configENS1_36segmented_radix_sort_config_selectorIalEEZNS1_25segmented_radix_sort_implIS3_Lb0EPKaPaPKlPlN2at6native12_GLOBAL__N_18offset_tEEE10hipError_tPvRmT1_PNSt15iterator_traitsISK_E10value_typeET2_T3_PNSL_ISQ_E10value_typeET4_jRbjT5_SW_jjP12ihipStream_tbEUlT_E2_NS1_11comp_targetILNS1_3genE0ELNS1_11target_archE4294967295ELNS1_3gpuE0ELNS1_3repE0EEENS1_30default_config_static_selectorELNS0_4arch9wavefront6targetE1EEEvSK_, .Lfunc_end423-_ZN7rocprim17ROCPRIM_400000_NS6detail17trampoline_kernelINS0_14default_configENS1_36segmented_radix_sort_config_selectorIalEEZNS1_25segmented_radix_sort_implIS3_Lb0EPKaPaPKlPlN2at6native12_GLOBAL__N_18offset_tEEE10hipError_tPvRmT1_PNSt15iterator_traitsISK_E10value_typeET2_T3_PNSL_ISQ_E10value_typeET4_jRbjT5_SW_jjP12ihipStream_tbEUlT_E2_NS1_11comp_targetILNS1_3genE0ELNS1_11target_archE4294967295ELNS1_3gpuE0ELNS1_3repE0EEENS1_30default_config_static_selectorELNS0_4arch9wavefront6targetE1EEEvSK_
                                        ; -- End function
	.section	.AMDGPU.csdata,"",@progbits
; Kernel info:
; codeLenInByte = 0
; NumSgprs: 4
; NumVgprs: 0
; NumAgprs: 0
; TotalNumVgprs: 0
; ScratchSize: 0
; MemoryBound: 0
; FloatMode: 240
; IeeeMode: 1
; LDSByteSize: 0 bytes/workgroup (compile time only)
; SGPRBlocks: 0
; VGPRBlocks: 0
; NumSGPRsForWavesPerEU: 4
; NumVGPRsForWavesPerEU: 1
; AccumOffset: 4
; Occupancy: 8
; WaveLimiterHint : 0
; COMPUTE_PGM_RSRC2:SCRATCH_EN: 0
; COMPUTE_PGM_RSRC2:USER_SGPR: 6
; COMPUTE_PGM_RSRC2:TRAP_HANDLER: 0
; COMPUTE_PGM_RSRC2:TGID_X_EN: 1
; COMPUTE_PGM_RSRC2:TGID_Y_EN: 0
; COMPUTE_PGM_RSRC2:TGID_Z_EN: 0
; COMPUTE_PGM_RSRC2:TIDIG_COMP_CNT: 0
; COMPUTE_PGM_RSRC3_GFX90A:ACCUM_OFFSET: 0
; COMPUTE_PGM_RSRC3_GFX90A:TG_SPLIT: 0
	.section	.text._ZN7rocprim17ROCPRIM_400000_NS6detail17trampoline_kernelINS0_14default_configENS1_36segmented_radix_sort_config_selectorIalEEZNS1_25segmented_radix_sort_implIS3_Lb0EPKaPaPKlPlN2at6native12_GLOBAL__N_18offset_tEEE10hipError_tPvRmT1_PNSt15iterator_traitsISK_E10value_typeET2_T3_PNSL_ISQ_E10value_typeET4_jRbjT5_SW_jjP12ihipStream_tbEUlT_E2_NS1_11comp_targetILNS1_3genE5ELNS1_11target_archE942ELNS1_3gpuE9ELNS1_3repE0EEENS1_30default_config_static_selectorELNS0_4arch9wavefront6targetE1EEEvSK_,"axG",@progbits,_ZN7rocprim17ROCPRIM_400000_NS6detail17trampoline_kernelINS0_14default_configENS1_36segmented_radix_sort_config_selectorIalEEZNS1_25segmented_radix_sort_implIS3_Lb0EPKaPaPKlPlN2at6native12_GLOBAL__N_18offset_tEEE10hipError_tPvRmT1_PNSt15iterator_traitsISK_E10value_typeET2_T3_PNSL_ISQ_E10value_typeET4_jRbjT5_SW_jjP12ihipStream_tbEUlT_E2_NS1_11comp_targetILNS1_3genE5ELNS1_11target_archE942ELNS1_3gpuE9ELNS1_3repE0EEENS1_30default_config_static_selectorELNS0_4arch9wavefront6targetE1EEEvSK_,comdat
	.globl	_ZN7rocprim17ROCPRIM_400000_NS6detail17trampoline_kernelINS0_14default_configENS1_36segmented_radix_sort_config_selectorIalEEZNS1_25segmented_radix_sort_implIS3_Lb0EPKaPaPKlPlN2at6native12_GLOBAL__N_18offset_tEEE10hipError_tPvRmT1_PNSt15iterator_traitsISK_E10value_typeET2_T3_PNSL_ISQ_E10value_typeET4_jRbjT5_SW_jjP12ihipStream_tbEUlT_E2_NS1_11comp_targetILNS1_3genE5ELNS1_11target_archE942ELNS1_3gpuE9ELNS1_3repE0EEENS1_30default_config_static_selectorELNS0_4arch9wavefront6targetE1EEEvSK_ ; -- Begin function _ZN7rocprim17ROCPRIM_400000_NS6detail17trampoline_kernelINS0_14default_configENS1_36segmented_radix_sort_config_selectorIalEEZNS1_25segmented_radix_sort_implIS3_Lb0EPKaPaPKlPlN2at6native12_GLOBAL__N_18offset_tEEE10hipError_tPvRmT1_PNSt15iterator_traitsISK_E10value_typeET2_T3_PNSL_ISQ_E10value_typeET4_jRbjT5_SW_jjP12ihipStream_tbEUlT_E2_NS1_11comp_targetILNS1_3genE5ELNS1_11target_archE942ELNS1_3gpuE9ELNS1_3repE0EEENS1_30default_config_static_selectorELNS0_4arch9wavefront6targetE1EEEvSK_
	.p2align	8
	.type	_ZN7rocprim17ROCPRIM_400000_NS6detail17trampoline_kernelINS0_14default_configENS1_36segmented_radix_sort_config_selectorIalEEZNS1_25segmented_radix_sort_implIS3_Lb0EPKaPaPKlPlN2at6native12_GLOBAL__N_18offset_tEEE10hipError_tPvRmT1_PNSt15iterator_traitsISK_E10value_typeET2_T3_PNSL_ISQ_E10value_typeET4_jRbjT5_SW_jjP12ihipStream_tbEUlT_E2_NS1_11comp_targetILNS1_3genE5ELNS1_11target_archE942ELNS1_3gpuE9ELNS1_3repE0EEENS1_30default_config_static_selectorELNS0_4arch9wavefront6targetE1EEEvSK_,@function
_ZN7rocprim17ROCPRIM_400000_NS6detail17trampoline_kernelINS0_14default_configENS1_36segmented_radix_sort_config_selectorIalEEZNS1_25segmented_radix_sort_implIS3_Lb0EPKaPaPKlPlN2at6native12_GLOBAL__N_18offset_tEEE10hipError_tPvRmT1_PNSt15iterator_traitsISK_E10value_typeET2_T3_PNSL_ISQ_E10value_typeET4_jRbjT5_SW_jjP12ihipStream_tbEUlT_E2_NS1_11comp_targetILNS1_3genE5ELNS1_11target_archE942ELNS1_3gpuE9ELNS1_3repE0EEENS1_30default_config_static_selectorELNS0_4arch9wavefront6targetE1EEEvSK_: ; @_ZN7rocprim17ROCPRIM_400000_NS6detail17trampoline_kernelINS0_14default_configENS1_36segmented_radix_sort_config_selectorIalEEZNS1_25segmented_radix_sort_implIS3_Lb0EPKaPaPKlPlN2at6native12_GLOBAL__N_18offset_tEEE10hipError_tPvRmT1_PNSt15iterator_traitsISK_E10value_typeET2_T3_PNSL_ISQ_E10value_typeET4_jRbjT5_SW_jjP12ihipStream_tbEUlT_E2_NS1_11comp_targetILNS1_3genE5ELNS1_11target_archE942ELNS1_3gpuE9ELNS1_3repE0EEENS1_30default_config_static_selectorELNS0_4arch9wavefront6targetE1EEEvSK_
; %bb.0:
	.section	.rodata,"a",@progbits
	.p2align	6, 0x0
	.amdhsa_kernel _ZN7rocprim17ROCPRIM_400000_NS6detail17trampoline_kernelINS0_14default_configENS1_36segmented_radix_sort_config_selectorIalEEZNS1_25segmented_radix_sort_implIS3_Lb0EPKaPaPKlPlN2at6native12_GLOBAL__N_18offset_tEEE10hipError_tPvRmT1_PNSt15iterator_traitsISK_E10value_typeET2_T3_PNSL_ISQ_E10value_typeET4_jRbjT5_SW_jjP12ihipStream_tbEUlT_E2_NS1_11comp_targetILNS1_3genE5ELNS1_11target_archE942ELNS1_3gpuE9ELNS1_3repE0EEENS1_30default_config_static_selectorELNS0_4arch9wavefront6targetE1EEEvSK_
		.amdhsa_group_segment_fixed_size 0
		.amdhsa_private_segment_fixed_size 0
		.amdhsa_kernarg_size 80
		.amdhsa_user_sgpr_count 6
		.amdhsa_user_sgpr_private_segment_buffer 1
		.amdhsa_user_sgpr_dispatch_ptr 0
		.amdhsa_user_sgpr_queue_ptr 0
		.amdhsa_user_sgpr_kernarg_segment_ptr 1
		.amdhsa_user_sgpr_dispatch_id 0
		.amdhsa_user_sgpr_flat_scratch_init 0
		.amdhsa_user_sgpr_kernarg_preload_length 0
		.amdhsa_user_sgpr_kernarg_preload_offset 0
		.amdhsa_user_sgpr_private_segment_size 0
		.amdhsa_uses_dynamic_stack 0
		.amdhsa_system_sgpr_private_segment_wavefront_offset 0
		.amdhsa_system_sgpr_workgroup_id_x 1
		.amdhsa_system_sgpr_workgroup_id_y 0
		.amdhsa_system_sgpr_workgroup_id_z 0
		.amdhsa_system_sgpr_workgroup_info 0
		.amdhsa_system_vgpr_workitem_id 0
		.amdhsa_next_free_vgpr 1
		.amdhsa_next_free_sgpr 0
		.amdhsa_accum_offset 4
		.amdhsa_reserve_vcc 0
		.amdhsa_reserve_flat_scratch 0
		.amdhsa_float_round_mode_32 0
		.amdhsa_float_round_mode_16_64 0
		.amdhsa_float_denorm_mode_32 3
		.amdhsa_float_denorm_mode_16_64 3
		.amdhsa_dx10_clamp 1
		.amdhsa_ieee_mode 1
		.amdhsa_fp16_overflow 0
		.amdhsa_tg_split 0
		.amdhsa_exception_fp_ieee_invalid_op 0
		.amdhsa_exception_fp_denorm_src 0
		.amdhsa_exception_fp_ieee_div_zero 0
		.amdhsa_exception_fp_ieee_overflow 0
		.amdhsa_exception_fp_ieee_underflow 0
		.amdhsa_exception_fp_ieee_inexact 0
		.amdhsa_exception_int_div_zero 0
	.end_amdhsa_kernel
	.section	.text._ZN7rocprim17ROCPRIM_400000_NS6detail17trampoline_kernelINS0_14default_configENS1_36segmented_radix_sort_config_selectorIalEEZNS1_25segmented_radix_sort_implIS3_Lb0EPKaPaPKlPlN2at6native12_GLOBAL__N_18offset_tEEE10hipError_tPvRmT1_PNSt15iterator_traitsISK_E10value_typeET2_T3_PNSL_ISQ_E10value_typeET4_jRbjT5_SW_jjP12ihipStream_tbEUlT_E2_NS1_11comp_targetILNS1_3genE5ELNS1_11target_archE942ELNS1_3gpuE9ELNS1_3repE0EEENS1_30default_config_static_selectorELNS0_4arch9wavefront6targetE1EEEvSK_,"axG",@progbits,_ZN7rocprim17ROCPRIM_400000_NS6detail17trampoline_kernelINS0_14default_configENS1_36segmented_radix_sort_config_selectorIalEEZNS1_25segmented_radix_sort_implIS3_Lb0EPKaPaPKlPlN2at6native12_GLOBAL__N_18offset_tEEE10hipError_tPvRmT1_PNSt15iterator_traitsISK_E10value_typeET2_T3_PNSL_ISQ_E10value_typeET4_jRbjT5_SW_jjP12ihipStream_tbEUlT_E2_NS1_11comp_targetILNS1_3genE5ELNS1_11target_archE942ELNS1_3gpuE9ELNS1_3repE0EEENS1_30default_config_static_selectorELNS0_4arch9wavefront6targetE1EEEvSK_,comdat
.Lfunc_end424:
	.size	_ZN7rocprim17ROCPRIM_400000_NS6detail17trampoline_kernelINS0_14default_configENS1_36segmented_radix_sort_config_selectorIalEEZNS1_25segmented_radix_sort_implIS3_Lb0EPKaPaPKlPlN2at6native12_GLOBAL__N_18offset_tEEE10hipError_tPvRmT1_PNSt15iterator_traitsISK_E10value_typeET2_T3_PNSL_ISQ_E10value_typeET4_jRbjT5_SW_jjP12ihipStream_tbEUlT_E2_NS1_11comp_targetILNS1_3genE5ELNS1_11target_archE942ELNS1_3gpuE9ELNS1_3repE0EEENS1_30default_config_static_selectorELNS0_4arch9wavefront6targetE1EEEvSK_, .Lfunc_end424-_ZN7rocprim17ROCPRIM_400000_NS6detail17trampoline_kernelINS0_14default_configENS1_36segmented_radix_sort_config_selectorIalEEZNS1_25segmented_radix_sort_implIS3_Lb0EPKaPaPKlPlN2at6native12_GLOBAL__N_18offset_tEEE10hipError_tPvRmT1_PNSt15iterator_traitsISK_E10value_typeET2_T3_PNSL_ISQ_E10value_typeET4_jRbjT5_SW_jjP12ihipStream_tbEUlT_E2_NS1_11comp_targetILNS1_3genE5ELNS1_11target_archE942ELNS1_3gpuE9ELNS1_3repE0EEENS1_30default_config_static_selectorELNS0_4arch9wavefront6targetE1EEEvSK_
                                        ; -- End function
	.section	.AMDGPU.csdata,"",@progbits
; Kernel info:
; codeLenInByte = 0
; NumSgprs: 4
; NumVgprs: 0
; NumAgprs: 0
; TotalNumVgprs: 0
; ScratchSize: 0
; MemoryBound: 0
; FloatMode: 240
; IeeeMode: 1
; LDSByteSize: 0 bytes/workgroup (compile time only)
; SGPRBlocks: 0
; VGPRBlocks: 0
; NumSGPRsForWavesPerEU: 4
; NumVGPRsForWavesPerEU: 1
; AccumOffset: 4
; Occupancy: 8
; WaveLimiterHint : 0
; COMPUTE_PGM_RSRC2:SCRATCH_EN: 0
; COMPUTE_PGM_RSRC2:USER_SGPR: 6
; COMPUTE_PGM_RSRC2:TRAP_HANDLER: 0
; COMPUTE_PGM_RSRC2:TGID_X_EN: 1
; COMPUTE_PGM_RSRC2:TGID_Y_EN: 0
; COMPUTE_PGM_RSRC2:TGID_Z_EN: 0
; COMPUTE_PGM_RSRC2:TIDIG_COMP_CNT: 0
; COMPUTE_PGM_RSRC3_GFX90A:ACCUM_OFFSET: 0
; COMPUTE_PGM_RSRC3_GFX90A:TG_SPLIT: 0
	.section	.text._ZN7rocprim17ROCPRIM_400000_NS6detail17trampoline_kernelINS0_14default_configENS1_36segmented_radix_sort_config_selectorIalEEZNS1_25segmented_radix_sort_implIS3_Lb0EPKaPaPKlPlN2at6native12_GLOBAL__N_18offset_tEEE10hipError_tPvRmT1_PNSt15iterator_traitsISK_E10value_typeET2_T3_PNSL_ISQ_E10value_typeET4_jRbjT5_SW_jjP12ihipStream_tbEUlT_E2_NS1_11comp_targetILNS1_3genE4ELNS1_11target_archE910ELNS1_3gpuE8ELNS1_3repE0EEENS1_30default_config_static_selectorELNS0_4arch9wavefront6targetE1EEEvSK_,"axG",@progbits,_ZN7rocprim17ROCPRIM_400000_NS6detail17trampoline_kernelINS0_14default_configENS1_36segmented_radix_sort_config_selectorIalEEZNS1_25segmented_radix_sort_implIS3_Lb0EPKaPaPKlPlN2at6native12_GLOBAL__N_18offset_tEEE10hipError_tPvRmT1_PNSt15iterator_traitsISK_E10value_typeET2_T3_PNSL_ISQ_E10value_typeET4_jRbjT5_SW_jjP12ihipStream_tbEUlT_E2_NS1_11comp_targetILNS1_3genE4ELNS1_11target_archE910ELNS1_3gpuE8ELNS1_3repE0EEENS1_30default_config_static_selectorELNS0_4arch9wavefront6targetE1EEEvSK_,comdat
	.globl	_ZN7rocprim17ROCPRIM_400000_NS6detail17trampoline_kernelINS0_14default_configENS1_36segmented_radix_sort_config_selectorIalEEZNS1_25segmented_radix_sort_implIS3_Lb0EPKaPaPKlPlN2at6native12_GLOBAL__N_18offset_tEEE10hipError_tPvRmT1_PNSt15iterator_traitsISK_E10value_typeET2_T3_PNSL_ISQ_E10value_typeET4_jRbjT5_SW_jjP12ihipStream_tbEUlT_E2_NS1_11comp_targetILNS1_3genE4ELNS1_11target_archE910ELNS1_3gpuE8ELNS1_3repE0EEENS1_30default_config_static_selectorELNS0_4arch9wavefront6targetE1EEEvSK_ ; -- Begin function _ZN7rocprim17ROCPRIM_400000_NS6detail17trampoline_kernelINS0_14default_configENS1_36segmented_radix_sort_config_selectorIalEEZNS1_25segmented_radix_sort_implIS3_Lb0EPKaPaPKlPlN2at6native12_GLOBAL__N_18offset_tEEE10hipError_tPvRmT1_PNSt15iterator_traitsISK_E10value_typeET2_T3_PNSL_ISQ_E10value_typeET4_jRbjT5_SW_jjP12ihipStream_tbEUlT_E2_NS1_11comp_targetILNS1_3genE4ELNS1_11target_archE910ELNS1_3gpuE8ELNS1_3repE0EEENS1_30default_config_static_selectorELNS0_4arch9wavefront6targetE1EEEvSK_
	.p2align	8
	.type	_ZN7rocprim17ROCPRIM_400000_NS6detail17trampoline_kernelINS0_14default_configENS1_36segmented_radix_sort_config_selectorIalEEZNS1_25segmented_radix_sort_implIS3_Lb0EPKaPaPKlPlN2at6native12_GLOBAL__N_18offset_tEEE10hipError_tPvRmT1_PNSt15iterator_traitsISK_E10value_typeET2_T3_PNSL_ISQ_E10value_typeET4_jRbjT5_SW_jjP12ihipStream_tbEUlT_E2_NS1_11comp_targetILNS1_3genE4ELNS1_11target_archE910ELNS1_3gpuE8ELNS1_3repE0EEENS1_30default_config_static_selectorELNS0_4arch9wavefront6targetE1EEEvSK_,@function
_ZN7rocprim17ROCPRIM_400000_NS6detail17trampoline_kernelINS0_14default_configENS1_36segmented_radix_sort_config_selectorIalEEZNS1_25segmented_radix_sort_implIS3_Lb0EPKaPaPKlPlN2at6native12_GLOBAL__N_18offset_tEEE10hipError_tPvRmT1_PNSt15iterator_traitsISK_E10value_typeET2_T3_PNSL_ISQ_E10value_typeET4_jRbjT5_SW_jjP12ihipStream_tbEUlT_E2_NS1_11comp_targetILNS1_3genE4ELNS1_11target_archE910ELNS1_3gpuE8ELNS1_3repE0EEENS1_30default_config_static_selectorELNS0_4arch9wavefront6targetE1EEEvSK_: ; @_ZN7rocprim17ROCPRIM_400000_NS6detail17trampoline_kernelINS0_14default_configENS1_36segmented_radix_sort_config_selectorIalEEZNS1_25segmented_radix_sort_implIS3_Lb0EPKaPaPKlPlN2at6native12_GLOBAL__N_18offset_tEEE10hipError_tPvRmT1_PNSt15iterator_traitsISK_E10value_typeET2_T3_PNSL_ISQ_E10value_typeET4_jRbjT5_SW_jjP12ihipStream_tbEUlT_E2_NS1_11comp_targetILNS1_3genE4ELNS1_11target_archE910ELNS1_3gpuE8ELNS1_3repE0EEENS1_30default_config_static_selectorELNS0_4arch9wavefront6targetE1EEEvSK_
; %bb.0:
	s_add_u32 flat_scratch_lo, s6, s10
	s_addc_u32 flat_scratch_hi, s7, 0
	s_add_u32 s0, s0, s10
	s_mov_b32 s33, s9
	s_mov_b32 s50, s8
	s_load_dwordx4 s[8:11], s[4:5], 0x34
	s_addc_u32 s1, s1, 0
	s_mov_b32 s32, 0
	s_waitcnt lgkmcnt(0)
	s_add_i32 s51, s9, s50
	s_add_i32 s76, s11, s50
	s_mul_i32 s51, s51, s8
	s_mul_i32 s76, s76, s10
	s_cmp_le_u32 s76, s51
	s_cbranch_scc1 .LBB425_686
; %bb.1:
	s_load_dword s6, s[4:5], 0x30
	s_load_dwordx4 s[64:67], s[4:5], 0x20
	s_load_dwordx4 s[68:71], s[4:5], 0x44
	s_load_dwordx8 s[56:63], s[4:5], 0x0
	s_waitcnt lgkmcnt(0)
	s_bitcmp1_b32 s6, 0
	s_cselect_b64 s[54:55], -1, 0
	s_sub_i32 s71, s76, s51
	s_cmpk_lt_u32 s71, 0x801
	s_mov_b64 s[6:7], -1
	s_cbranch_scc0 .LBB425_15
; %bb.2:
	s_cmp_lt_u32 s71, 33
	s_cbranch_scc0 .LBB425_9
; %bb.3:
	s_load_dword s6, s[4:5], 0x5c
	v_bfe_u32 v1, v0, 10, 10
	v_bfe_u32 v3, v0, 20, 10
	v_and_b32_e32 v2, 0x3ff, v0
	s_waitcnt lgkmcnt(0)
	s_lshr_b32 s7, s6, 16
	s_and_b32 s6, s6, 0xffff
	v_mad_u32_u24 v1, v3, s7, v1
	v_mad_u64_u32 v[2:3], s[6:7], v1, s6, v[2:3]
	v_cmp_gt_u32_e32 vcc, 8, v2
	s_and_saveexec_b64 s[34:35], vcc
	s_cbranch_execz .LBB425_8
; %bb.4:
	s_and_b32 s6, s68, 1
	v_cndmask_b32_e64 v1, 0, 1, s[54:55]
	v_cmp_ne_u32_e32 vcc, s6, v1
	s_mov_b64 s[6:7], -1
	s_cbranch_vccnz .LBB425_6
; %bb.5:
	s_add_u32 s8, s4, 0x50
	s_mov_b64 s[6:7], src_shared_base
	s_addc_u32 s9, s5, 0
	s_mov_b32 s12, s50
	s_mov_b32 s13, s33
	v_mov_b32_e32 v31, v0
	v_mov_b32_e32 v40, v0
	;; [unrolled: 1-line block ×16, first 2 shown]
	s_getpc_b64 s[10:11]
	s_add_u32 s10, s10, _ZN7rocprim17ROCPRIM_400000_NS6detail26segmented_warp_sort_helperINS1_20WarpSortHelperConfigILj8ELj4ELj256EEEalLi256ELb0EvE4sortIPKaPaPKlPlEEvT_T0_T1_T2_jjjjRNS5_12storage_typeE@rel32@lo+4
	s_addc_u32 s11, s11, _ZN7rocprim17ROCPRIM_400000_NS6detail26segmented_warp_sort_helperINS1_20WarpSortHelperConfigILj8ELj4ELj256EEEalLi256ELb0EvE4sortIPKaPaPKlPlEEvT_T0_T1_T2_jjjjRNS5_12storage_typeE@rel32@hi+12
	s_mov_b64 s[36:37], s[4:5]
	s_swappc_b64 s[30:31], s[10:11]
	v_mov_b32_e32 v0, v40
	s_mov_b64 s[4:5], s[36:37]
	s_mov_b64 s[6:7], 0
.LBB425_6:
	s_andn2_b64 vcc, exec, s[6:7]
	s_cbranch_vccnz .LBB425_8
; %bb.7:
	s_add_u32 s8, s4, 0x50
	s_mov_b64 s[6:7], src_shared_base
	s_addc_u32 s9, s5, 0
	s_mov_b32 s12, s50
	s_mov_b32 s13, s33
	v_mov_b32_e32 v31, v0
	v_mov_b32_e32 v40, v0
	;; [unrolled: 1-line block ×16, first 2 shown]
	s_getpc_b64 s[10:11]
	s_add_u32 s10, s10, _ZN7rocprim17ROCPRIM_400000_NS6detail26segmented_warp_sort_helperINS1_20WarpSortHelperConfigILj8ELj4ELj256EEEalLi256ELb0EvE4sortIPKaPaPKlPlEEvT_T0_T1_T2_jjjjRNS5_12storage_typeE@rel32@lo+4
	s_addc_u32 s11, s11, _ZN7rocprim17ROCPRIM_400000_NS6detail26segmented_warp_sort_helperINS1_20WarpSortHelperConfigILj8ELj4ELj256EEEalLi256ELb0EvE4sortIPKaPaPKlPlEEvT_T0_T1_T2_jjjjRNS5_12storage_typeE@rel32@hi+12
	s_mov_b64 s[36:37], s[4:5]
	s_swappc_b64 s[30:31], s[10:11]
	v_mov_b32_e32 v0, v40
	s_mov_b64 s[4:5], s[36:37]
.LBB425_8:
	s_or_b64 exec, exec, s[34:35]
	s_mov_b64 s[6:7], 0
.LBB425_9:
	s_andn2_b64 vcc, exec, s[6:7]
	s_cbranch_vccnz .LBB425_14
; %bb.10:
	s_and_b32 s6, s68, 1
	v_cndmask_b32_e64 v1, 0, 1, s[54:55]
	v_cmp_ne_u32_e32 vcc, s6, v1
	s_mov_b64 s[6:7], -1
	s_cbranch_vccnz .LBB425_12
; %bb.11:
	s_add_u32 s8, s4, 0x50
	s_mov_b64 s[6:7], src_shared_base
	s_addc_u32 s9, s5, 0
	s_mov_b32 s12, s50
	s_mov_b32 s13, s33
	v_mov_b32_e32 v31, v0
	v_mov_b32_e32 v41, v0
	;; [unrolled: 1-line block ×16, first 2 shown]
	s_getpc_b64 s[10:11]
	s_add_u32 s10, s10, _ZN7rocprim17ROCPRIM_400000_NS6detail40segmented_radix_sort_single_block_helperIalLj256ELj8ELb0EE4sortIPKaPaPKlPlEEbT_T0_T1_T2_jjjjRNS3_12storage_typeE@rel32@lo+4
	s_addc_u32 s11, s11, _ZN7rocprim17ROCPRIM_400000_NS6detail40segmented_radix_sort_single_block_helperIalLj256ELj8ELb0EE4sortIPKaPaPKlPlEEbT_T0_T1_T2_jjjjRNS3_12storage_typeE@rel32@hi+12
	s_mov_b64 s[48:49], s[4:5]
	s_swappc_b64 s[30:31], s[10:11]
	v_mov_b32_e32 v0, v41
	s_mov_b64 s[4:5], s[48:49]
	s_mov_b64 s[6:7], 0
.LBB425_12:
	s_andn2_b64 vcc, exec, s[6:7]
	s_cbranch_vccnz .LBB425_14
; %bb.13:
	s_add_u32 s8, s4, 0x50
	s_mov_b64 s[6:7], src_shared_base
	s_addc_u32 s9, s5, 0
	s_mov_b32 s12, s50
	s_mov_b32 s13, s33
	v_mov_b32_e32 v31, v0
	v_mov_b32_e32 v41, v0
	v_mov_b32_e32 v0, s56
	v_mov_b32_e32 v1, s57
	v_mov_b32_e32 v2, s58
	v_mov_b32_e32 v3, s59
	v_mov_b32_e32 v4, s62
	v_mov_b32_e32 v5, s63
	v_mov_b32_e32 v6, s64
	v_mov_b32_e32 v7, s65
	v_mov_b32_e32 v8, s51
	v_mov_b32_e32 v9, s76
	v_mov_b32_e32 v10, s69
	v_mov_b32_e32 v11, s70
	v_mov_b32_e32 v12, 0
	v_mov_b32_e32 v13, s7
	s_getpc_b64 s[10:11]
	s_add_u32 s10, s10, _ZN7rocprim17ROCPRIM_400000_NS6detail40segmented_radix_sort_single_block_helperIalLj256ELj8ELb0EE4sortIPKaPaPKlPlEEbT_T0_T1_T2_jjjjRNS3_12storage_typeE@rel32@lo+4
	s_addc_u32 s11, s11, _ZN7rocprim17ROCPRIM_400000_NS6detail40segmented_radix_sort_single_block_helperIalLj256ELj8ELb0EE4sortIPKaPaPKlPlEEbT_T0_T1_T2_jjjjRNS3_12storage_typeE@rel32@hi+12
	s_mov_b64 s[48:49], s[4:5]
	s_swappc_b64 s[30:31], s[10:11]
	v_mov_b32_e32 v0, v41
	s_mov_b64 s[4:5], s[48:49]
.LBB425_14:
	s_mov_b64 s[6:7], 0
.LBB425_15:
	s_andn2_b64 vcc, exec, s[6:7]
	s_cbranch_vccnz .LBB425_686
; %bb.16:
	s_cmp_ge_u32 s69, s70
	s_cbranch_scc1 .LBB425_686
; %bb.17:
	v_and_b32_e32 v2, 0x3ff, v0
	v_mov_b32_e32 v1, s61
	v_add_co_u32_e32 v28, vcc, s60, v2
	s_movk_i32 s6, 0x100
	v_addc_co_u32_e32 v29, vcc, 0, v1, vcc
	v_or_b32_e32 v1, 63, v2
	s_mov_b64 s[12:13], s[4:5]
	v_cmp_gt_u32_e64 s[4:5], s6, v2
	v_cmp_eq_u32_e64 s[6:7], v1, v2
	v_lshrrev_b32_e32 v1, 4, v2
	v_and_b32_e32 v35, 12, v1
	v_lshlrev_b32_e32 v1, 3, v2
	v_bfe_u32 v40, v0, 20, 10
	v_bfe_u32 v41, v0, 10, 10
	v_mul_u32_u24_e32 v0, 5, v2
	v_mov_b32_e32 v43, 0x410
	v_and_b32_e32 v39, 0x600, v1
	v_lshl_add_u32 v44, v0, 2, v43
	v_lshlrev_b32_e32 v0, 4, v2
	v_sub_u32_e32 v45, 0, v0
	v_lshlrev_b32_e32 v0, 3, v39
	v_mov_b32_e32 v1, s67
	v_add_co_u32_e32 v46, vcc, s66, v0
	v_addc_co_u32_e32 v47, vcc, 0, v1, vcc
	v_mov_b32_e32 v1, s61
	v_add_co_u32_e32 v48, vcc, s60, v39
	v_addc_co_u32_e32 v49, vcc, 0, v1, vcc
	;; [unrolled: 3-line block ×7, first 2 shown]
	v_lshlrev_b32_e32 v3, 2, v2
	v_mov_b32_e32 v0, s57
	v_add_co_u32_e32 v61, vcc, s56, v39
	v_mad_u32_u24 v34, v2, 12, v3
	s_add_u32 s74, s12, 0x50
	s_movk_i32 s14, 0xff
	v_addc_co_u32_e32 v62, vcc, 0, v0, vcc
	v_mbcnt_lo_u32_b32 v0, -1, 0
	s_mov_b32 s73, 0
	v_mov_b32_e32 v4, 0
	v_or_b32_e32 v24, 0x100, v2
	v_or_b32_e32 v25, 0x200, v2
	;; [unrolled: 1-line block ×3, first 2 shown]
	v_and_b32_e32 v27, 3, v2
	v_or_b32_e32 v30, 0x400, v2
	v_or_b32_e32 v31, 0x500, v2
	;; [unrolled: 1-line block ×5, first 2 shown]
	v_cmp_gt_u32_e64 s[8:9], 4, v2
	v_add_u32_e32 v37, 0x4400, v3
	v_cmp_lt_u32_e64 s[10:11], 63, v2
	v_add_u32_e32 v38, 0x43fc, v35
	s_addc_u32 s75, s13, 0
	v_add_u32_e32 v42, v34, v3
	v_cmp_eq_u32_e64 s[12:13], 0, v2
	v_cmp_ne_u32_e64 s[14:15], s14, v2
	v_mul_u32_u24_e32 v50, 7, v2
	v_mov_b32_e32 v63, 1
	v_mbcnt_hi_u32_b32 v64, -1, v0
	s_mov_b32 s68, s69
	s_branch .LBB425_20
.LBB425_18:                             ;   in Loop: Header=BB425_20 Depth=1
	s_waitcnt lgkmcnt(0)
	s_barrier
.LBB425_19:                             ;   in Loop: Header=BB425_20 Depth=1
	s_add_i32 s68, s68, 8
	s_cmp_ge_u32 s68, s70
	s_cbranch_scc1 .LBB425_686
.LBB425_20:                             ; =>This Loop Header: Depth=1
                                        ;     Child Loop BB425_24 Depth 2
                                        ;     Child Loop BB425_74 Depth 2
	;; [unrolled: 1-line block ×8, first 2 shown]
	s_sub_i32 s16, s70, s68
	s_min_u32 s16, s16, 8
	s_lshl_b32 s16, -1, s16
	s_xor_b64 s[54:55], s[54:55], -1
	s_not_b32 s77, s16
	s_cmp_lg_u32 s68, s69
	s_mov_b64 s[16:17], -1
	ds_write2st64_b32 v3, v4, v4 offset1:4
	ds_write2st64_b32 v3, v4, v4 offset0:8 offset1:12
	s_waitcnt lgkmcnt(0)
	s_cbranch_scc0 .LBB425_354
; %bb.21:                               ;   in Loop: Header=BB425_20 Depth=1
	s_and_b64 vcc, exec, s[54:55]
	s_cbranch_vccz .LBB425_187
; %bb.22:                               ;   in Loop: Header=BB425_20 Depth=1
	s_mov_b32 s20, s71
	s_mov_b32 s22, s51
	s_barrier
	s_waitcnt lgkmcnt(0)
                                        ; implicit-def: $vgpr5
                                        ; implicit-def: $vgpr6
                                        ; implicit-def: $vgpr7
                                        ; implicit-def: $vgpr8
                                        ; implicit-def: $vgpr9
                                        ; implicit-def: $vgpr10
                                        ; implicit-def: $vgpr11
                                        ; implicit-def: $vgpr12
	s_branch .LBB425_24
.LBB425_23:                             ;   in Loop: Header=BB425_24 Depth=2
	s_or_b64 exec, exec, s[16:17]
	s_addk_i32 s20, 0xf800
	s_cmp_ge_u32 s21, s76
	s_mov_b32 s22, s21
	s_cbranch_scc1 .LBB425_62
.LBB425_24:                             ;   Parent Loop BB425_20 Depth=1
                                        ; =>  This Inner Loop Header: Depth=2
	s_add_i32 s21, s22, 0x800
	s_cmp_gt_u32 s21, s76
	s_cbranch_scc1 .LBB425_27
; %bb.25:                               ;   in Loop: Header=BB425_24 Depth=2
	v_add_co_u32_e32 v0, vcc, s22, v28
	v_addc_co_u32_e32 v1, vcc, 0, v29, vcc
	global_load_ubyte v20, v[0:1], off offset:1536
	global_load_ubyte v19, v[0:1], off offset:1280
	;; [unrolled: 1-line block ×6, first 2 shown]
	global_load_ubyte v14, v[0:1], off
	v_add_co_u32_e32 v0, vcc, 0x700, v0
	v_addc_co_u32_e32 v1, vcc, 0, v1, vcc
	s_mov_b64 s[16:17], -1
	s_movk_i32 s25, 0x800
	s_cbranch_execz .LBB425_28
; %bb.26:                               ;   in Loop: Header=BB425_24 Depth=2
                                        ; implicit-def: $vgpr5
                                        ; implicit-def: $vgpr6
                                        ; implicit-def: $vgpr7
                                        ; implicit-def: $vgpr8
                                        ; implicit-def: $vgpr9
                                        ; implicit-def: $vgpr10
                                        ; implicit-def: $vgpr11
                                        ; implicit-def: $vgpr12
	v_mov_b32_e32 v13, s20
	s_and_saveexec_b64 s[18:19], s[16:17]
	s_cbranch_execnz .LBB425_39
	s_branch .LBB425_40
.LBB425_27:                             ;   in Loop: Header=BB425_24 Depth=2
	s_mov_b64 s[16:17], 0
                                        ; implicit-def: $sgpr25
                                        ; implicit-def: $vgpr14
                                        ; implicit-def: $vgpr15
                                        ; implicit-def: $vgpr16
                                        ; implicit-def: $vgpr17
                                        ; implicit-def: $vgpr18
                                        ; implicit-def: $vgpr19
                                        ; implicit-def: $vgpr20
                                        ; implicit-def: $vgpr0_vgpr1
.LBB425_28:                             ;   in Loop: Header=BB425_24 Depth=2
	s_add_u32 s23, s60, s22
	s_addc_u32 s24, s61, 0
	v_cmp_gt_u32_e32 vcc, s20, v2
	s_and_saveexec_b64 s[18:19], vcc
	s_cbranch_execz .LBB425_56
; %bb.29:                               ;   in Loop: Header=BB425_24 Depth=2
	v_mov_b32_e32 v1, s24
	v_add_co_u32_e32 v0, vcc, s23, v2
	v_addc_co_u32_e32 v1, vcc, 0, v1, vcc
	global_load_ubyte v5, v[0:1], off
	s_or_b64 exec, exec, s[18:19]
	v_cmp_gt_u32_e32 vcc, s20, v24
	s_and_saveexec_b64 s[18:19], vcc
	s_cbranch_execnz .LBB425_57
.LBB425_30:                             ;   in Loop: Header=BB425_24 Depth=2
	s_or_b64 exec, exec, s[18:19]
	v_cmp_gt_u32_e32 vcc, s20, v25
	s_and_saveexec_b64 s[18:19], vcc
	s_cbranch_execz .LBB425_58
.LBB425_31:                             ;   in Loop: Header=BB425_24 Depth=2
	v_mov_b32_e32 v1, s24
	v_add_co_u32_e32 v0, vcc, s23, v2
	v_addc_co_u32_e32 v1, vcc, 0, v1, vcc
	global_load_ubyte v7, v[0:1], off offset:512
	s_or_b64 exec, exec, s[18:19]
	v_cmp_gt_u32_e32 vcc, s20, v26
	s_and_saveexec_b64 s[18:19], vcc
	s_cbranch_execnz .LBB425_59
.LBB425_32:                             ;   in Loop: Header=BB425_24 Depth=2
	s_or_b64 exec, exec, s[18:19]
	v_cmp_gt_u32_e32 vcc, s20, v30
	s_and_saveexec_b64 s[18:19], vcc
	s_cbranch_execz .LBB425_60
.LBB425_33:                             ;   in Loop: Header=BB425_24 Depth=2
	v_mov_b32_e32 v1, s24
	v_add_co_u32_e32 v0, vcc, s23, v2
	v_addc_co_u32_e32 v1, vcc, 0, v1, vcc
	global_load_ubyte v9, v[0:1], off offset:1024
	s_or_b64 exec, exec, s[18:19]
	v_cmp_gt_u32_e32 vcc, s20, v31
	s_and_saveexec_b64 s[18:19], vcc
	s_cbranch_execnz .LBB425_61
.LBB425_34:                             ;   in Loop: Header=BB425_24 Depth=2
	s_or_b64 exec, exec, s[18:19]
	v_cmp_gt_u32_e32 vcc, s20, v32
	s_and_saveexec_b64 s[18:19], vcc
	s_cbranch_execz .LBB425_36
.LBB425_35:                             ;   in Loop: Header=BB425_24 Depth=2
	v_mov_b32_e32 v1, s24
	v_add_co_u32_e32 v0, vcc, s23, v2
	v_addc_co_u32_e32 v1, vcc, 0, v1, vcc
	global_load_ubyte v11, v[0:1], off offset:1536
.LBB425_36:                             ;   in Loop: Header=BB425_24 Depth=2
	s_or_b64 exec, exec, s[18:19]
	v_cmp_gt_u32_e32 vcc, s20, v33
                                        ; implicit-def: $sgpr25
                                        ; implicit-def: $vgpr0_vgpr1
	s_and_saveexec_b64 s[18:19], vcc
	s_cbranch_execz .LBB425_38
; %bb.37:                               ;   in Loop: Header=BB425_24 Depth=2
	v_mov_b32_e32 v0, s24
	v_add_co_u32_e32 v1, vcc, s23, v2
	s_waitcnt vmcnt(0)
	v_addc_co_u32_e32 v12, vcc, 0, v0, vcc
	v_add_co_u32_e32 v0, vcc, 0x700, v1
	s_sub_i32 s25, s76, s22
	v_addc_co_u32_e32 v1, vcc, 0, v12, vcc
	s_or_b64 s[16:17], s[16:17], exec
                                        ; implicit-def: $vgpr12
.LBB425_38:                             ;   in Loop: Header=BB425_24 Depth=2
	s_or_b64 exec, exec, s[18:19]
	s_waitcnt vmcnt(0)
	v_mov_b32_e32 v14, v5
	v_mov_b32_e32 v15, v6
	;; [unrolled: 1-line block ×8, first 2 shown]
	s_and_saveexec_b64 s[18:19], s[16:17]
	s_cbranch_execz .LBB425_40
.LBB425_39:                             ;   in Loop: Header=BB425_24 Depth=2
	global_load_ubyte v12, v[0:1], off
	v_mov_b32_e32 v13, s25
	s_waitcnt vmcnt(1)
	v_mov_b32_e32 v5, v14
	v_mov_b32_e32 v6, v15
	;; [unrolled: 1-line block ×7, first 2 shown]
.LBB425_40:                             ;   in Loop: Header=BB425_24 Depth=2
	s_or_b64 exec, exec, s[18:19]
	v_cmp_lt_u32_e32 vcc, v2, v13
	s_and_saveexec_b64 s[16:17], vcc
	s_cbranch_execz .LBB425_48
; %bb.41:                               ;   in Loop: Header=BB425_24 Depth=2
	v_xor_b32_e32 v0, 0x80, v5
	v_lshrrev_b32_sdwa v0, s68, v0 dst_sel:DWORD dst_unused:UNUSED_PAD src0_sel:DWORD src1_sel:BYTE_0
	v_and_b32_e32 v0, s77, v0
	v_lshlrev_b32_e32 v1, 2, v27
	v_lshl_or_b32 v0, v0, 4, v1
	ds_add_u32 v0, v63
	s_or_b64 exec, exec, s[16:17]
	v_cmp_lt_u32_e32 vcc, v24, v13
	s_and_saveexec_b64 s[16:17], vcc
	s_cbranch_execnz .LBB425_49
.LBB425_42:                             ;   in Loop: Header=BB425_24 Depth=2
	s_or_b64 exec, exec, s[16:17]
	v_cmp_lt_u32_e32 vcc, v25, v13
	s_and_saveexec_b64 s[16:17], vcc
	s_cbranch_execz .LBB425_50
.LBB425_43:                             ;   in Loop: Header=BB425_24 Depth=2
	v_xor_b32_e32 v0, 0x80, v7
	v_lshrrev_b32_sdwa v0, s68, v0 dst_sel:DWORD dst_unused:UNUSED_PAD src0_sel:DWORD src1_sel:BYTE_0
	v_and_b32_e32 v0, s77, v0
	v_lshlrev_b32_e32 v1, 2, v27
	v_lshl_or_b32 v0, v0, 4, v1
	ds_add_u32 v0, v63
	s_or_b64 exec, exec, s[16:17]
	v_cmp_lt_u32_e32 vcc, v26, v13
	s_and_saveexec_b64 s[16:17], vcc
	s_cbranch_execnz .LBB425_51
.LBB425_44:                             ;   in Loop: Header=BB425_24 Depth=2
	s_or_b64 exec, exec, s[16:17]
	v_cmp_lt_u32_e32 vcc, v30, v13
	s_and_saveexec_b64 s[16:17], vcc
	s_cbranch_execz .LBB425_52
.LBB425_45:                             ;   in Loop: Header=BB425_24 Depth=2
	v_xor_b32_e32 v0, 0x80, v9
	v_lshrrev_b32_sdwa v0, s68, v0 dst_sel:DWORD dst_unused:UNUSED_PAD src0_sel:DWORD src1_sel:BYTE_0
	v_and_b32_e32 v0, s77, v0
	v_lshlrev_b32_e32 v1, 2, v27
	v_lshl_or_b32 v0, v0, 4, v1
	ds_add_u32 v0, v63
	s_or_b64 exec, exec, s[16:17]
	v_cmp_lt_u32_e32 vcc, v31, v13
	s_and_saveexec_b64 s[16:17], vcc
	s_cbranch_execnz .LBB425_53
.LBB425_46:                             ;   in Loop: Header=BB425_24 Depth=2
	s_or_b64 exec, exec, s[16:17]
	v_cmp_lt_u32_e32 vcc, v32, v13
	s_and_saveexec_b64 s[16:17], vcc
	s_cbranch_execz .LBB425_54
.LBB425_47:                             ;   in Loop: Header=BB425_24 Depth=2
	v_xor_b32_e32 v0, 0x80, v11
	v_lshrrev_b32_sdwa v0, s68, v0 dst_sel:DWORD dst_unused:UNUSED_PAD src0_sel:DWORD src1_sel:BYTE_0
	v_and_b32_e32 v0, s77, v0
	v_lshlrev_b32_e32 v1, 2, v27
	v_lshl_or_b32 v0, v0, 4, v1
	ds_add_u32 v0, v63
	s_or_b64 exec, exec, s[16:17]
	v_cmp_lt_u32_e32 vcc, v33, v13
	s_and_saveexec_b64 s[16:17], vcc
	s_cbranch_execz .LBB425_23
	s_branch .LBB425_55
.LBB425_48:                             ;   in Loop: Header=BB425_24 Depth=2
	s_or_b64 exec, exec, s[16:17]
	v_cmp_lt_u32_e32 vcc, v24, v13
	s_and_saveexec_b64 s[16:17], vcc
	s_cbranch_execz .LBB425_42
.LBB425_49:                             ;   in Loop: Header=BB425_24 Depth=2
	v_xor_b32_e32 v0, 0x80, v6
	v_lshrrev_b32_sdwa v0, s68, v0 dst_sel:DWORD dst_unused:UNUSED_PAD src0_sel:DWORD src1_sel:BYTE_0
	v_and_b32_e32 v0, s77, v0
	v_lshlrev_b32_e32 v1, 2, v27
	v_lshl_or_b32 v0, v0, 4, v1
	ds_add_u32 v0, v63
	s_or_b64 exec, exec, s[16:17]
	v_cmp_lt_u32_e32 vcc, v25, v13
	s_and_saveexec_b64 s[16:17], vcc
	s_cbranch_execnz .LBB425_43
.LBB425_50:                             ;   in Loop: Header=BB425_24 Depth=2
	s_or_b64 exec, exec, s[16:17]
	v_cmp_lt_u32_e32 vcc, v26, v13
	s_and_saveexec_b64 s[16:17], vcc
	s_cbranch_execz .LBB425_44
.LBB425_51:                             ;   in Loop: Header=BB425_24 Depth=2
	v_xor_b32_e32 v0, 0x80, v8
	v_lshrrev_b32_sdwa v0, s68, v0 dst_sel:DWORD dst_unused:UNUSED_PAD src0_sel:DWORD src1_sel:BYTE_0
	v_and_b32_e32 v0, s77, v0
	v_lshlrev_b32_e32 v1, 2, v27
	v_lshl_or_b32 v0, v0, 4, v1
	ds_add_u32 v0, v63
	s_or_b64 exec, exec, s[16:17]
	v_cmp_lt_u32_e32 vcc, v30, v13
	s_and_saveexec_b64 s[16:17], vcc
	s_cbranch_execnz .LBB425_45
.LBB425_52:                             ;   in Loop: Header=BB425_24 Depth=2
	s_or_b64 exec, exec, s[16:17]
	v_cmp_lt_u32_e32 vcc, v31, v13
	s_and_saveexec_b64 s[16:17], vcc
	s_cbranch_execz .LBB425_46
.LBB425_53:                             ;   in Loop: Header=BB425_24 Depth=2
	v_xor_b32_e32 v0, 0x80, v10
	v_lshrrev_b32_sdwa v0, s68, v0 dst_sel:DWORD dst_unused:UNUSED_PAD src0_sel:DWORD src1_sel:BYTE_0
	v_and_b32_e32 v0, s77, v0
	v_lshlrev_b32_e32 v1, 2, v27
	v_lshl_or_b32 v0, v0, 4, v1
	ds_add_u32 v0, v63
	s_or_b64 exec, exec, s[16:17]
	v_cmp_lt_u32_e32 vcc, v32, v13
	s_and_saveexec_b64 s[16:17], vcc
	s_cbranch_execnz .LBB425_47
.LBB425_54:                             ;   in Loop: Header=BB425_24 Depth=2
	s_or_b64 exec, exec, s[16:17]
	v_cmp_lt_u32_e32 vcc, v33, v13
	s_and_saveexec_b64 s[16:17], vcc
	s_cbranch_execz .LBB425_23
.LBB425_55:                             ;   in Loop: Header=BB425_24 Depth=2
	s_waitcnt vmcnt(0)
	v_xor_b32_e32 v0, 0x80, v12
	v_lshrrev_b32_sdwa v0, s68, v0 dst_sel:DWORD dst_unused:UNUSED_PAD src0_sel:DWORD src1_sel:BYTE_0
	v_and_b32_e32 v0, s77, v0
	v_lshlrev_b32_e32 v1, 2, v27
	v_lshl_or_b32 v0, v0, 4, v1
	ds_add_u32 v0, v63
	s_branch .LBB425_23
.LBB425_56:                             ;   in Loop: Header=BB425_24 Depth=2
	s_or_b64 exec, exec, s[18:19]
	v_cmp_gt_u32_e32 vcc, s20, v24
	s_and_saveexec_b64 s[18:19], vcc
	s_cbranch_execz .LBB425_30
.LBB425_57:                             ;   in Loop: Header=BB425_24 Depth=2
	v_mov_b32_e32 v1, s24
	v_add_co_u32_e32 v0, vcc, s23, v2
	v_addc_co_u32_e32 v1, vcc, 0, v1, vcc
	global_load_ubyte v6, v[0:1], off offset:256
	s_or_b64 exec, exec, s[18:19]
	v_cmp_gt_u32_e32 vcc, s20, v25
	s_and_saveexec_b64 s[18:19], vcc
	s_cbranch_execnz .LBB425_31
.LBB425_58:                             ;   in Loop: Header=BB425_24 Depth=2
	s_or_b64 exec, exec, s[18:19]
	v_cmp_gt_u32_e32 vcc, s20, v26
	s_and_saveexec_b64 s[18:19], vcc
	s_cbranch_execz .LBB425_32
.LBB425_59:                             ;   in Loop: Header=BB425_24 Depth=2
	v_mov_b32_e32 v1, s24
	v_add_co_u32_e32 v0, vcc, s23, v2
	v_addc_co_u32_e32 v1, vcc, 0, v1, vcc
	global_load_ubyte v8, v[0:1], off offset:768
	s_or_b64 exec, exec, s[18:19]
	v_cmp_gt_u32_e32 vcc, s20, v30
	s_and_saveexec_b64 s[18:19], vcc
	s_cbranch_execnz .LBB425_33
.LBB425_60:                             ;   in Loop: Header=BB425_24 Depth=2
	s_or_b64 exec, exec, s[18:19]
	v_cmp_gt_u32_e32 vcc, s20, v31
	s_and_saveexec_b64 s[18:19], vcc
	s_cbranch_execz .LBB425_34
.LBB425_61:                             ;   in Loop: Header=BB425_24 Depth=2
	v_mov_b32_e32 v1, s24
	v_add_co_u32_e32 v0, vcc, s23, v2
	v_addc_co_u32_e32 v1, vcc, 0, v1, vcc
	global_load_ubyte v10, v[0:1], off offset:1280
	s_or_b64 exec, exec, s[18:19]
	v_cmp_gt_u32_e32 vcc, s20, v32
	s_and_saveexec_b64 s[18:19], vcc
	s_cbranch_execz .LBB425_36
	s_branch .LBB425_35
.LBB425_62:                             ;   in Loop: Header=BB425_20 Depth=1
	v_mov_b32_e32 v0, 0
	s_waitcnt lgkmcnt(0)
	s_barrier
	s_and_saveexec_b64 s[16:17], s[4:5]
	s_cbranch_execz .LBB425_64
; %bb.63:                               ;   in Loop: Header=BB425_20 Depth=1
	ds_read2_b64 v[6:9], v34 offset1:1
	s_waitcnt lgkmcnt(0)
	v_add_u32_e32 v0, v7, v6
	v_add3_u32 v0, v0, v8, v9
.LBB425_64:                             ;   in Loop: Header=BB425_20 Depth=1
	s_or_b64 exec, exec, s[16:17]
	v_and_b32_e32 v1, 15, v64
	v_mov_b32_dpp v5, v0 row_shr:1 row_mask:0xf bank_mask:0xf
	v_cmp_eq_u32_e64 s[16:17], 0, v1
	v_cndmask_b32_e64 v5, v5, 0, s[16:17]
	v_add_u32_e32 v0, v5, v0
	v_cmp_lt_u32_e64 s[18:19], 1, v1
	v_cmp_lt_u32_e64 s[20:21], 3, v1
	v_mov_b32_dpp v5, v0 row_shr:2 row_mask:0xf bank_mask:0xf
	v_cndmask_b32_e64 v5, 0, v5, s[18:19]
	v_add_u32_e32 v0, v0, v5
	v_cmp_lt_u32_e64 s[22:23], 7, v1
	v_cmp_lt_u32_e64 s[26:27], 31, v64
	v_mov_b32_dpp v5, v0 row_shr:4 row_mask:0xf bank_mask:0xf
	v_cndmask_b32_e64 v5, 0, v5, s[20:21]
	v_add_u32_e32 v0, v0, v5
	v_and_b32_e32 v6, 16, v64
	v_cmp_eq_u32_e64 s[24:25], 0, v6
	v_mov_b32_dpp v5, v0 row_shr:8 row_mask:0xf bank_mask:0xf
	v_cndmask_b32_e64 v1, 0, v5, s[22:23]
	v_add_u32_e32 v0, v0, v1
	v_bfe_i32 v5, v64, 4, 1
	s_nop 0
	v_mov_b32_dpp v1, v0 row_bcast:15 row_mask:0xf bank_mask:0xf
	v_and_b32_e32 v1, v5, v1
	v_add_u32_e32 v0, v0, v1
	s_nop 1
	v_mov_b32_dpp v1, v0 row_bcast:31 row_mask:0xf bank_mask:0xf
	v_cndmask_b32_e64 v1, 0, v1, s[26:27]
	v_add_u32_e32 v1, v0, v1
	s_and_saveexec_b64 s[28:29], s[6:7]
	s_cbranch_execz .LBB425_66
; %bb.65:                               ;   in Loop: Header=BB425_20 Depth=1
	ds_write_b32 v36, v1
.LBB425_66:                             ;   in Loop: Header=BB425_20 Depth=1
	s_or_b64 exec, exec, s[28:29]
	v_and_b32_e32 v0, 3, v64
	s_waitcnt lgkmcnt(0)
	s_barrier
	s_and_saveexec_b64 s[28:29], s[8:9]
	s_cbranch_execz .LBB425_68
; %bb.67:                               ;   in Loop: Header=BB425_20 Depth=1
	ds_read_b32 v5, v37
	v_cmp_ne_u32_e32 vcc, 0, v0
	s_waitcnt lgkmcnt(0)
	v_mov_b32_dpp v6, v5 row_shr:1 row_mask:0xf bank_mask:0xf
	v_cndmask_b32_e32 v6, 0, v6, vcc
	v_add_u32_e32 v5, v6, v5
	v_cmp_lt_u32_e32 vcc, 1, v0
	s_nop 0
	v_mov_b32_dpp v6, v5 row_shr:2 row_mask:0xf bank_mask:0xf
	v_cndmask_b32_e32 v6, 0, v6, vcc
	v_add_u32_e32 v5, v5, v6
	ds_write_b32 v37, v5
.LBB425_68:                             ;   in Loop: Header=BB425_20 Depth=1
	s_or_b64 exec, exec, s[28:29]
	v_mov_b32_e32 v5, 0
	s_waitcnt lgkmcnt(0)
	s_barrier
	s_and_saveexec_b64 s[28:29], s[10:11]
	s_cbranch_execz .LBB425_70
; %bb.69:                               ;   in Loop: Header=BB425_20 Depth=1
	ds_read_b32 v5, v38
.LBB425_70:                             ;   in Loop: Header=BB425_20 Depth=1
	s_or_b64 exec, exec, s[28:29]
	v_add_u32_e32 v6, -1, v64
	v_and_b32_e32 v7, 64, v64
	v_cmp_lt_i32_e32 vcc, v6, v7
	v_cndmask_b32_e32 v6, v6, v64, vcc
	s_waitcnt lgkmcnt(0)
	v_add_u32_e32 v1, v5, v1
	v_lshlrev_b32_e32 v65, 2, v6
	ds_bpermute_b32 v1, v65, v1
	v_cmp_eq_u32_e64 s[28:29], 0, v64
	s_waitcnt lgkmcnt(0)
	s_barrier
	s_and_saveexec_b64 s[30:31], s[4:5]
	s_cbranch_execz .LBB425_72
; %bb.71:                               ;   in Loop: Header=BB425_20 Depth=1
	v_cndmask_b32_e64 v1, v1, v5, s[28:29]
	v_add_u32_e32 v1, s51, v1
	ds_write_b32 v3, v1
.LBB425_72:                             ;   in Loop: Header=BB425_20 Depth=1
	s_or_b64 exec, exec, s[30:31]
	s_load_dword s30, s[74:75], 0x4
	s_load_dword s36, s[74:75], 0xc
	s_waitcnt vmcnt(6)
	v_and_b32_e32 v20, 63, v64
	v_add_co_u32_e32 v74, vcc, v48, v20
	s_waitcnt lgkmcnt(0)
	s_cmp_lt_u32 s33, s30
	s_cselect_b32 s30, 14, 20
	s_add_u32 s30, s74, s30
	s_addc_u32 s31, s75, 0
	global_load_ushort v5, v4, s[30:31]
	v_lshlrev_b32_e32 v21, 3, v20
	v_addc_co_u32_e32 v76, vcc, 0, v49, vcc
	v_add_co_u32_e32 v77, vcc, v46, v21
	v_addc_co_u32_e32 v78, vcc, 0, v47, vcc
	s_and_b32 s36, s36, 0xffff
	v_or_b32_e32 v72, v20, v39
	v_add_co_u32_e32 v86, vcc, 0x1c0, v74
	v_cmp_eq_u32_e64 s[30:31], 0, v0
	v_cmp_lt_u32_e64 s[34:35], 1, v0
	s_mov_b32 s78, s71
	v_or_b32_e32 v79, 64, v72
	v_or_b32_e32 v80, 0x80, v72
	;; [unrolled: 1-line block ×7, first 2 shown]
	v_addc_co_u32_e32 v87, vcc, 0, v76, vcc
	s_mov_b32 s72, s51
                                        ; implicit-def: $vgpr0_vgpr1
                                        ; implicit-def: $vgpr6_vgpr7
                                        ; implicit-def: $vgpr8_vgpr9
                                        ; implicit-def: $vgpr10_vgpr11
                                        ; implicit-def: $vgpr12_vgpr13
                                        ; implicit-def: $vgpr14_vgpr15
                                        ; implicit-def: $vgpr16_vgpr17
                                        ; implicit-def: $vgpr18_vgpr19
                                        ; implicit-def: $vgpr66
                                        ; implicit-def: $vgpr67
                                        ; implicit-def: $vgpr68
                                        ; implicit-def: $vgpr69
                                        ; implicit-def: $vgpr70
                                        ; implicit-def: $vgpr71
                                        ; implicit-def: $vgpr73
                                        ; implicit-def: $vgpr75
	s_waitcnt vmcnt(0)
	v_mad_u32_u24 v5, v40, v5, v41
	v_mad_u64_u32 v[20:21], s[36:37], v5, s36, v[2:3]
	v_lshrrev_b32_e32 v88, 6, v20
	s_branch .LBB425_74
.LBB425_73:                             ;   in Loop: Header=BB425_74 Depth=2
	s_or_b64 exec, exec, s[36:37]
	s_addk_i32 s78, 0xf800
	s_cmp_lt_u32 s79, s76
	s_mov_b32 s72, s79
	s_cbranch_scc0 .LBB425_186
.LBB425_74:                             ;   Parent Loop BB425_20 Depth=1
                                        ; =>  This Inner Loop Header: Depth=2
	s_add_i32 s79, s72, 0x800
	s_cmp_gt_u32 s79, s76
	s_cbranch_scc1 .LBB425_77
; %bb.75:                               ;   in Loop: Header=BB425_74 Depth=2
	v_add_co_u32_e32 v20, vcc, s72, v74
	v_addc_co_u32_e32 v21, vcc, 0, v76, vcc
	global_load_ubyte v23, v[20:21], off offset:384
	global_load_ubyte v91, v[20:21], off offset:320
	;; [unrolled: 1-line block ×6, first 2 shown]
	global_load_ubyte v5, v[20:21], off
	s_mov_b64 s[36:37], -1
	s_movk_i32 s40, 0x800
	s_cbranch_execz .LBB425_78
; %bb.76:                               ;   in Loop: Header=BB425_74 Depth=2
                                        ; implicit-def: $vgpr22
	v_mov_b32_e32 v89, s78
	s_and_saveexec_b64 s[38:39], s[36:37]
	s_cbranch_execnz .LBB425_87
	s_branch .LBB425_88
.LBB425_77:                             ;   in Loop: Header=BB425_74 Depth=2
	s_mov_b64 s[36:37], 0
                                        ; implicit-def: $sgpr40
                                        ; implicit-def: $vgpr5
                                        ; implicit-def: $vgpr94
                                        ; implicit-def: $vgpr99
                                        ; implicit-def: $vgpr101
                                        ; implicit-def: $vgpr96
                                        ; implicit-def: $vgpr91
                                        ; implicit-def: $vgpr23
.LBB425_78:                             ;   in Loop: Header=BB425_74 Depth=2
	v_add_co_u32_e32 v20, vcc, s72, v74
	v_addc_co_u32_e32 v21, vcc, 0, v76, vcc
	v_cmp_gt_u32_e32 vcc, s78, v72
	s_waitcnt vmcnt(0)
	v_mov_b32_e32 v5, 0x7f
	v_mov_b32_e32 v22, 0x7f
	;; [unrolled: 1-line block ×8, first 2 shown]
	s_and_saveexec_b64 s[36:37], vcc
	s_cbranch_execz .LBB425_180
; %bb.79:                               ;   in Loop: Header=BB425_74 Depth=2
	global_load_ubyte v5, v[20:21], off
	v_mov_b32_e32 v94, 0x7f
	v_mov_b32_e32 v99, 0x7f
	;; [unrolled: 1-line block ×7, first 2 shown]
	s_or_b64 exec, exec, s[36:37]
	v_cmp_gt_u32_e32 vcc, s78, v79
	s_and_saveexec_b64 s[36:37], vcc
	s_cbranch_execnz .LBB425_181
.LBB425_80:                             ;   in Loop: Header=BB425_74 Depth=2
	s_or_b64 exec, exec, s[36:37]
	v_cmp_gt_u32_e32 vcc, s78, v80
	s_and_saveexec_b64 s[36:37], vcc
	s_cbranch_execz .LBB425_182
.LBB425_81:                             ;   in Loop: Header=BB425_74 Depth=2
	global_load_ubyte v99, v[20:21], off offset:128
	s_or_b64 exec, exec, s[36:37]
	v_cmp_gt_u32_e32 vcc, s78, v81
	s_and_saveexec_b64 s[36:37], vcc
	s_cbranch_execnz .LBB425_183
.LBB425_82:                             ;   in Loop: Header=BB425_74 Depth=2
	s_or_b64 exec, exec, s[36:37]
	v_cmp_gt_u32_e32 vcc, s78, v82
	s_and_saveexec_b64 s[36:37], vcc
	s_cbranch_execz .LBB425_184
.LBB425_83:                             ;   in Loop: Header=BB425_74 Depth=2
	global_load_ubyte v96, v[20:21], off offset:256
	s_or_b64 exec, exec, s[36:37]
	v_cmp_gt_u32_e32 vcc, s78, v83
	s_and_saveexec_b64 s[36:37], vcc
	s_cbranch_execnz .LBB425_185
.LBB425_84:                             ;   in Loop: Header=BB425_74 Depth=2
	s_or_b64 exec, exec, s[36:37]
	v_cmp_gt_u32_e32 vcc, s78, v84
	s_and_saveexec_b64 s[36:37], vcc
	s_cbranch_execz .LBB425_86
.LBB425_85:                             ;   in Loop: Header=BB425_74 Depth=2
	global_load_ubyte v23, v[20:21], off offset:384
.LBB425_86:                             ;   in Loop: Header=BB425_74 Depth=2
	s_or_b64 exec, exec, s[36:37]
	s_sub_i32 s40, s76, s72
	v_cmp_gt_u32_e64 s[36:37], s78, v85
	v_mov_b32_e32 v89, s78
	s_and_saveexec_b64 s[38:39], s[36:37]
	s_cbranch_execz .LBB425_88
.LBB425_87:                             ;   in Loop: Header=BB425_74 Depth=2
	v_mov_b32_e32 v21, s73
	v_add_co_u32_e32 v20, vcc, s72, v86
	v_addc_co_u32_e32 v21, vcc, v87, v21, vcc
	global_load_ubyte v22, v[20:21], off
	v_mov_b32_e32 v89, s40
.LBB425_88:                             ;   in Loop: Header=BB425_74 Depth=2
	s_or_b64 exec, exec, s[38:39]
	s_waitcnt vmcnt(0)
	v_xor_b32_e32 v90, 0xffffff80, v5
	v_add_u32_e32 v5, 0x410, v42
	ds_write2_b32 v5, v4, v4 offset1:1
	ds_write2_b32 v44, v4, v4 offset0:2 offset1:3
	ds_write_b32 v44, v4 offset:16
	v_lshrrev_b32_sdwa v5, s68, v90 dst_sel:DWORD dst_unused:UNUSED_PAD src0_sel:DWORD src1_sel:BYTE_0
	v_and_b32_e32 v20, s77, v5
	v_mad_u32_u24 v5, v20, 5, v88
	v_lshl_add_u32 v92, v5, 2, v43
	v_and_b32_e32 v5, 1, v20
	v_add_co_u32_e32 v21, vcc, -1, v5
	v_addc_co_u32_e64 v93, s[36:37], 0, -1, vcc
	v_cmp_ne_u32_e32 vcc, 0, v5
	v_xor_b32_e32 v5, vcc_hi, v93
	v_and_b32_e32 v93, exec_hi, v5
	v_lshlrev_b32_e32 v5, 30, v20
	v_xor_b32_e32 v21, vcc_lo, v21
	v_cmp_gt_i64_e32 vcc, 0, v[4:5]
	v_not_b32_e32 v5, v5
	v_ashrrev_i32_e32 v5, 31, v5
	v_and_b32_e32 v21, exec_lo, v21
	v_xor_b32_e32 v95, vcc_hi, v5
	v_xor_b32_e32 v5, vcc_lo, v5
	v_and_b32_e32 v21, v21, v5
	v_lshlrev_b32_e32 v5, 29, v20
	v_cmp_gt_i64_e32 vcc, 0, v[4:5]
	v_not_b32_e32 v5, v5
	v_ashrrev_i32_e32 v5, 31, v5
	v_and_b32_e32 v93, v93, v95
	v_xor_b32_e32 v95, vcc_hi, v5
	v_xor_b32_e32 v5, vcc_lo, v5
	v_and_b32_e32 v21, v21, v5
	v_lshlrev_b32_e32 v5, 28, v20
	v_cmp_gt_i64_e32 vcc, 0, v[4:5]
	v_not_b32_e32 v5, v5
	v_ashrrev_i32_e32 v5, 31, v5
	v_and_b32_e32 v93, v93, v95
	;; [unrolled: 8-line block ×5, first 2 shown]
	v_xor_b32_e32 v95, vcc_hi, v5
	v_xor_b32_e32 v5, vcc_lo, v5
	v_and_b32_e32 v93, v93, v95
	v_and_b32_e32 v95, v21, v5
	v_lshlrev_b32_e32 v5, 24, v20
	v_cmp_gt_i64_e32 vcc, 0, v[4:5]
	v_not_b32_e32 v5, v5
	v_ashrrev_i32_e32 v5, 31, v5
	v_xor_b32_e32 v20, vcc_hi, v5
	v_xor_b32_e32 v5, vcc_lo, v5
	v_and_b32_e32 v21, v93, v20
	v_and_b32_e32 v20, v95, v5
	v_mbcnt_lo_u32_b32 v5, v20, 0
	v_mbcnt_hi_u32_b32 v93, v21, v5
	v_cmp_eq_u32_e32 vcc, 0, v93
	v_cmp_ne_u64_e64 s[36:37], 0, v[20:21]
	s_and_b64 s[38:39], s[36:37], vcc
	s_waitcnt lgkmcnt(0)
	s_barrier
	s_waitcnt lgkmcnt(0)
	; wave barrier
	s_and_saveexec_b64 s[36:37], s[38:39]
	s_cbranch_execz .LBB425_90
; %bb.89:                               ;   in Loop: Header=BB425_74 Depth=2
	v_bcnt_u32_b32 v5, v20, 0
	v_bcnt_u32_b32 v5, v21, v5
	ds_write_b32 v92, v5
.LBB425_90:                             ;   in Loop: Header=BB425_74 Depth=2
	s_or_b64 exec, exec, s[36:37]
	v_xor_b32_e32 v94, 0xffffff80, v94
	v_lshrrev_b32_sdwa v5, s68, v94 dst_sel:DWORD dst_unused:UNUSED_PAD src0_sel:DWORD src1_sel:BYTE_0
	v_and_b32_e32 v20, s77, v5
	v_mul_u32_u24_e32 v5, 5, v20
	v_add_lshl_u32 v5, v5, v88, 2
	; wave barrier
	v_add_u32_e32 v97, 0x410, v5
	ds_read_b32 v95, v5 offset:1040
	v_and_b32_e32 v5, 1, v20
	v_add_co_u32_e32 v21, vcc, -1, v5
	v_addc_co_u32_e64 v98, s[36:37], 0, -1, vcc
	v_cmp_ne_u32_e32 vcc, 0, v5
	v_xor_b32_e32 v5, vcc_hi, v98
	v_and_b32_e32 v98, exec_hi, v5
	v_lshlrev_b32_e32 v5, 30, v20
	v_xor_b32_e32 v21, vcc_lo, v21
	v_cmp_gt_i64_e32 vcc, 0, v[4:5]
	v_not_b32_e32 v5, v5
	v_ashrrev_i32_e32 v5, 31, v5
	v_and_b32_e32 v21, exec_lo, v21
	v_xor_b32_e32 v100, vcc_hi, v5
	v_xor_b32_e32 v5, vcc_lo, v5
	v_and_b32_e32 v21, v21, v5
	v_lshlrev_b32_e32 v5, 29, v20
	v_cmp_gt_i64_e32 vcc, 0, v[4:5]
	v_not_b32_e32 v5, v5
	v_ashrrev_i32_e32 v5, 31, v5
	v_and_b32_e32 v98, v98, v100
	v_xor_b32_e32 v100, vcc_hi, v5
	v_xor_b32_e32 v5, vcc_lo, v5
	v_and_b32_e32 v21, v21, v5
	v_lshlrev_b32_e32 v5, 28, v20
	v_cmp_gt_i64_e32 vcc, 0, v[4:5]
	v_not_b32_e32 v5, v5
	v_ashrrev_i32_e32 v5, 31, v5
	v_and_b32_e32 v98, v98, v100
	;; [unrolled: 8-line block ×5, first 2 shown]
	v_xor_b32_e32 v100, vcc_hi, v5
	v_xor_b32_e32 v5, vcc_lo, v5
	v_and_b32_e32 v98, v98, v100
	v_and_b32_e32 v100, v21, v5
	v_lshlrev_b32_e32 v5, 24, v20
	v_cmp_gt_i64_e32 vcc, 0, v[4:5]
	v_not_b32_e32 v5, v5
	v_ashrrev_i32_e32 v5, 31, v5
	v_xor_b32_e32 v20, vcc_hi, v5
	v_xor_b32_e32 v5, vcc_lo, v5
	v_and_b32_e32 v21, v98, v20
	v_and_b32_e32 v20, v100, v5
	v_mbcnt_lo_u32_b32 v5, v20, 0
	v_mbcnt_hi_u32_b32 v98, v21, v5
	v_cmp_eq_u32_e32 vcc, 0, v98
	v_cmp_ne_u64_e64 s[36:37], 0, v[20:21]
	s_and_b64 s[38:39], s[36:37], vcc
	; wave barrier
	s_and_saveexec_b64 s[36:37], s[38:39]
	s_cbranch_execz .LBB425_92
; %bb.91:                               ;   in Loop: Header=BB425_74 Depth=2
	v_bcnt_u32_b32 v5, v20, 0
	v_bcnt_u32_b32 v5, v21, v5
	s_waitcnt lgkmcnt(0)
	v_add_u32_e32 v5, v95, v5
	ds_write_b32 v97, v5
.LBB425_92:                             ;   in Loop: Header=BB425_74 Depth=2
	s_or_b64 exec, exec, s[36:37]
	v_xor_b32_e32 v99, 0xffffff80, v99
	v_lshrrev_b32_sdwa v5, s68, v99 dst_sel:DWORD dst_unused:UNUSED_PAD src0_sel:DWORD src1_sel:BYTE_0
	v_and_b32_e32 v20, s77, v5
	v_mul_u32_u24_e32 v5, 5, v20
	v_add_lshl_u32 v5, v5, v88, 2
	; wave barrier
	v_add_u32_e32 v102, 0x410, v5
	ds_read_b32 v100, v5 offset:1040
	v_and_b32_e32 v5, 1, v20
	v_add_co_u32_e32 v21, vcc, -1, v5
	v_addc_co_u32_e64 v103, s[36:37], 0, -1, vcc
	v_cmp_ne_u32_e32 vcc, 0, v5
	v_xor_b32_e32 v5, vcc_hi, v103
	v_and_b32_e32 v103, exec_hi, v5
	v_lshlrev_b32_e32 v5, 30, v20
	v_xor_b32_e32 v21, vcc_lo, v21
	v_cmp_gt_i64_e32 vcc, 0, v[4:5]
	v_not_b32_e32 v5, v5
	v_ashrrev_i32_e32 v5, 31, v5
	v_and_b32_e32 v21, exec_lo, v21
	v_xor_b32_e32 v104, vcc_hi, v5
	v_xor_b32_e32 v5, vcc_lo, v5
	v_and_b32_e32 v21, v21, v5
	v_lshlrev_b32_e32 v5, 29, v20
	v_cmp_gt_i64_e32 vcc, 0, v[4:5]
	v_not_b32_e32 v5, v5
	v_ashrrev_i32_e32 v5, 31, v5
	v_and_b32_e32 v103, v103, v104
	v_xor_b32_e32 v104, vcc_hi, v5
	v_xor_b32_e32 v5, vcc_lo, v5
	v_and_b32_e32 v21, v21, v5
	v_lshlrev_b32_e32 v5, 28, v20
	v_cmp_gt_i64_e32 vcc, 0, v[4:5]
	v_not_b32_e32 v5, v5
	v_ashrrev_i32_e32 v5, 31, v5
	v_and_b32_e32 v103, v103, v104
	;; [unrolled: 8-line block ×5, first 2 shown]
	v_xor_b32_e32 v104, vcc_hi, v5
	v_xor_b32_e32 v5, vcc_lo, v5
	v_and_b32_e32 v103, v103, v104
	v_and_b32_e32 v104, v21, v5
	v_lshlrev_b32_e32 v5, 24, v20
	v_cmp_gt_i64_e32 vcc, 0, v[4:5]
	v_not_b32_e32 v5, v5
	v_ashrrev_i32_e32 v5, 31, v5
	v_xor_b32_e32 v20, vcc_hi, v5
	v_xor_b32_e32 v5, vcc_lo, v5
	v_and_b32_e32 v21, v103, v20
	v_and_b32_e32 v20, v104, v5
	v_mbcnt_lo_u32_b32 v5, v20, 0
	v_mbcnt_hi_u32_b32 v103, v21, v5
	v_cmp_eq_u32_e32 vcc, 0, v103
	v_cmp_ne_u64_e64 s[36:37], 0, v[20:21]
	s_and_b64 s[38:39], s[36:37], vcc
	; wave barrier
	s_and_saveexec_b64 s[36:37], s[38:39]
	s_cbranch_execz .LBB425_94
; %bb.93:                               ;   in Loop: Header=BB425_74 Depth=2
	v_bcnt_u32_b32 v5, v20, 0
	v_bcnt_u32_b32 v5, v21, v5
	s_waitcnt lgkmcnt(0)
	v_add_u32_e32 v5, v100, v5
	ds_write_b32 v102, v5
.LBB425_94:                             ;   in Loop: Header=BB425_74 Depth=2
	s_or_b64 exec, exec, s[36:37]
	v_xor_b32_e32 v101, 0xffffff80, v101
	v_lshrrev_b32_sdwa v5, s68, v101 dst_sel:DWORD dst_unused:UNUSED_PAD src0_sel:DWORD src1_sel:BYTE_0
	v_and_b32_e32 v20, s77, v5
	v_mul_u32_u24_e32 v5, 5, v20
	v_add_lshl_u32 v5, v5, v88, 2
	; wave barrier
	v_add_u32_e32 v105, 0x410, v5
	ds_read_b32 v104, v5 offset:1040
	v_and_b32_e32 v5, 1, v20
	v_add_co_u32_e32 v21, vcc, -1, v5
	v_addc_co_u32_e64 v106, s[36:37], 0, -1, vcc
	v_cmp_ne_u32_e32 vcc, 0, v5
	v_xor_b32_e32 v5, vcc_hi, v106
	v_and_b32_e32 v106, exec_hi, v5
	v_lshlrev_b32_e32 v5, 30, v20
	v_xor_b32_e32 v21, vcc_lo, v21
	v_cmp_gt_i64_e32 vcc, 0, v[4:5]
	v_not_b32_e32 v5, v5
	v_ashrrev_i32_e32 v5, 31, v5
	v_and_b32_e32 v21, exec_lo, v21
	v_xor_b32_e32 v107, vcc_hi, v5
	v_xor_b32_e32 v5, vcc_lo, v5
	v_and_b32_e32 v21, v21, v5
	v_lshlrev_b32_e32 v5, 29, v20
	v_cmp_gt_i64_e32 vcc, 0, v[4:5]
	v_not_b32_e32 v5, v5
	v_ashrrev_i32_e32 v5, 31, v5
	v_and_b32_e32 v106, v106, v107
	v_xor_b32_e32 v107, vcc_hi, v5
	v_xor_b32_e32 v5, vcc_lo, v5
	v_and_b32_e32 v21, v21, v5
	v_lshlrev_b32_e32 v5, 28, v20
	v_cmp_gt_i64_e32 vcc, 0, v[4:5]
	v_not_b32_e32 v5, v5
	v_ashrrev_i32_e32 v5, 31, v5
	v_and_b32_e32 v106, v106, v107
	;; [unrolled: 8-line block ×5, first 2 shown]
	v_xor_b32_e32 v107, vcc_hi, v5
	v_xor_b32_e32 v5, vcc_lo, v5
	v_and_b32_e32 v106, v106, v107
	v_and_b32_e32 v107, v21, v5
	v_lshlrev_b32_e32 v5, 24, v20
	v_cmp_gt_i64_e32 vcc, 0, v[4:5]
	v_not_b32_e32 v5, v5
	v_ashrrev_i32_e32 v5, 31, v5
	v_xor_b32_e32 v20, vcc_hi, v5
	v_xor_b32_e32 v5, vcc_lo, v5
	v_and_b32_e32 v21, v106, v20
	v_and_b32_e32 v20, v107, v5
	v_mbcnt_lo_u32_b32 v5, v20, 0
	v_mbcnt_hi_u32_b32 v106, v21, v5
	v_cmp_eq_u32_e32 vcc, 0, v106
	v_cmp_ne_u64_e64 s[36:37], 0, v[20:21]
	s_and_b64 s[38:39], s[36:37], vcc
	; wave barrier
	s_and_saveexec_b64 s[36:37], s[38:39]
	s_cbranch_execz .LBB425_96
; %bb.95:                               ;   in Loop: Header=BB425_74 Depth=2
	v_bcnt_u32_b32 v5, v20, 0
	v_bcnt_u32_b32 v5, v21, v5
	s_waitcnt lgkmcnt(0)
	v_add_u32_e32 v5, v104, v5
	ds_write_b32 v105, v5
.LBB425_96:                             ;   in Loop: Header=BB425_74 Depth=2
	s_or_b64 exec, exec, s[36:37]
	v_xor_b32_e32 v96, 0xffffff80, v96
	v_lshrrev_b32_sdwa v5, s68, v96 dst_sel:DWORD dst_unused:UNUSED_PAD src0_sel:DWORD src1_sel:BYTE_0
	v_and_b32_e32 v20, s77, v5
	v_mul_u32_u24_e32 v5, 5, v20
	v_add_lshl_u32 v5, v5, v88, 2
	; wave barrier
	v_add_u32_e32 v108, 0x410, v5
	ds_read_b32 v107, v5 offset:1040
	v_and_b32_e32 v5, 1, v20
	v_add_co_u32_e32 v21, vcc, -1, v5
	v_addc_co_u32_e64 v109, s[36:37], 0, -1, vcc
	v_cmp_ne_u32_e32 vcc, 0, v5
	v_xor_b32_e32 v5, vcc_hi, v109
	v_and_b32_e32 v109, exec_hi, v5
	v_lshlrev_b32_e32 v5, 30, v20
	v_xor_b32_e32 v21, vcc_lo, v21
	v_cmp_gt_i64_e32 vcc, 0, v[4:5]
	v_not_b32_e32 v5, v5
	v_ashrrev_i32_e32 v5, 31, v5
	v_and_b32_e32 v21, exec_lo, v21
	v_xor_b32_e32 v110, vcc_hi, v5
	v_xor_b32_e32 v5, vcc_lo, v5
	v_and_b32_e32 v21, v21, v5
	v_lshlrev_b32_e32 v5, 29, v20
	v_cmp_gt_i64_e32 vcc, 0, v[4:5]
	v_not_b32_e32 v5, v5
	v_ashrrev_i32_e32 v5, 31, v5
	v_and_b32_e32 v109, v109, v110
	v_xor_b32_e32 v110, vcc_hi, v5
	v_xor_b32_e32 v5, vcc_lo, v5
	v_and_b32_e32 v21, v21, v5
	v_lshlrev_b32_e32 v5, 28, v20
	v_cmp_gt_i64_e32 vcc, 0, v[4:5]
	v_not_b32_e32 v5, v5
	v_ashrrev_i32_e32 v5, 31, v5
	v_and_b32_e32 v109, v109, v110
	;; [unrolled: 8-line block ×5, first 2 shown]
	v_xor_b32_e32 v110, vcc_hi, v5
	v_xor_b32_e32 v5, vcc_lo, v5
	v_and_b32_e32 v109, v109, v110
	v_and_b32_e32 v110, v21, v5
	v_lshlrev_b32_e32 v5, 24, v20
	v_cmp_gt_i64_e32 vcc, 0, v[4:5]
	v_not_b32_e32 v5, v5
	v_ashrrev_i32_e32 v5, 31, v5
	v_xor_b32_e32 v20, vcc_hi, v5
	v_xor_b32_e32 v5, vcc_lo, v5
	v_and_b32_e32 v21, v109, v20
	v_and_b32_e32 v20, v110, v5
	v_mbcnt_lo_u32_b32 v5, v20, 0
	v_mbcnt_hi_u32_b32 v109, v21, v5
	v_cmp_eq_u32_e32 vcc, 0, v109
	v_cmp_ne_u64_e64 s[36:37], 0, v[20:21]
	s_and_b64 s[38:39], s[36:37], vcc
	; wave barrier
	s_and_saveexec_b64 s[36:37], s[38:39]
	s_cbranch_execz .LBB425_98
; %bb.97:                               ;   in Loop: Header=BB425_74 Depth=2
	v_bcnt_u32_b32 v5, v20, 0
	v_bcnt_u32_b32 v5, v21, v5
	s_waitcnt lgkmcnt(0)
	v_add_u32_e32 v5, v107, v5
	ds_write_b32 v108, v5
.LBB425_98:                             ;   in Loop: Header=BB425_74 Depth=2
	s_or_b64 exec, exec, s[36:37]
	v_xor_b32_e32 v91, 0xffffff80, v91
	v_lshrrev_b32_sdwa v5, s68, v91 dst_sel:DWORD dst_unused:UNUSED_PAD src0_sel:DWORD src1_sel:BYTE_0
	v_and_b32_e32 v20, s77, v5
	v_mul_u32_u24_e32 v5, 5, v20
	v_add_lshl_u32 v5, v5, v88, 2
	; wave barrier
	v_add_u32_e32 v111, 0x410, v5
	ds_read_b32 v110, v5 offset:1040
	v_and_b32_e32 v5, 1, v20
	v_add_co_u32_e32 v21, vcc, -1, v5
	v_addc_co_u32_e64 v112, s[36:37], 0, -1, vcc
	v_cmp_ne_u32_e32 vcc, 0, v5
	v_xor_b32_e32 v5, vcc_hi, v112
	v_and_b32_e32 v112, exec_hi, v5
	v_lshlrev_b32_e32 v5, 30, v20
	v_xor_b32_e32 v21, vcc_lo, v21
	v_cmp_gt_i64_e32 vcc, 0, v[4:5]
	v_not_b32_e32 v5, v5
	v_ashrrev_i32_e32 v5, 31, v5
	v_and_b32_e32 v21, exec_lo, v21
	v_xor_b32_e32 v113, vcc_hi, v5
	v_xor_b32_e32 v5, vcc_lo, v5
	v_and_b32_e32 v21, v21, v5
	v_lshlrev_b32_e32 v5, 29, v20
	v_cmp_gt_i64_e32 vcc, 0, v[4:5]
	v_not_b32_e32 v5, v5
	v_ashrrev_i32_e32 v5, 31, v5
	v_and_b32_e32 v112, v112, v113
	v_xor_b32_e32 v113, vcc_hi, v5
	v_xor_b32_e32 v5, vcc_lo, v5
	v_and_b32_e32 v21, v21, v5
	v_lshlrev_b32_e32 v5, 28, v20
	v_cmp_gt_i64_e32 vcc, 0, v[4:5]
	v_not_b32_e32 v5, v5
	v_ashrrev_i32_e32 v5, 31, v5
	v_and_b32_e32 v112, v112, v113
	;; [unrolled: 8-line block ×5, first 2 shown]
	v_xor_b32_e32 v113, vcc_hi, v5
	v_xor_b32_e32 v5, vcc_lo, v5
	v_and_b32_e32 v112, v112, v113
	v_and_b32_e32 v113, v21, v5
	v_lshlrev_b32_e32 v5, 24, v20
	v_cmp_gt_i64_e32 vcc, 0, v[4:5]
	v_not_b32_e32 v5, v5
	v_ashrrev_i32_e32 v5, 31, v5
	v_xor_b32_e32 v20, vcc_hi, v5
	v_xor_b32_e32 v5, vcc_lo, v5
	v_and_b32_e32 v21, v112, v20
	v_and_b32_e32 v20, v113, v5
	v_mbcnt_lo_u32_b32 v5, v20, 0
	v_mbcnt_hi_u32_b32 v112, v21, v5
	v_cmp_eq_u32_e32 vcc, 0, v112
	v_cmp_ne_u64_e64 s[36:37], 0, v[20:21]
	s_and_b64 s[38:39], s[36:37], vcc
	; wave barrier
	s_and_saveexec_b64 s[36:37], s[38:39]
	s_cbranch_execz .LBB425_100
; %bb.99:                               ;   in Loop: Header=BB425_74 Depth=2
	v_bcnt_u32_b32 v5, v20, 0
	v_bcnt_u32_b32 v5, v21, v5
	s_waitcnt lgkmcnt(0)
	v_add_u32_e32 v5, v110, v5
	ds_write_b32 v111, v5
.LBB425_100:                            ;   in Loop: Header=BB425_74 Depth=2
	s_or_b64 exec, exec, s[36:37]
	v_xor_b32_e32 v113, 0xffffff80, v23
	v_lshrrev_b32_sdwa v5, s68, v113 dst_sel:DWORD dst_unused:UNUSED_PAD src0_sel:DWORD src1_sel:BYTE_0
	v_and_b32_e32 v20, s77, v5
	v_mul_u32_u24_e32 v5, 5, v20
	v_add_lshl_u32 v5, v5, v88, 2
	; wave barrier
	v_add_u32_e32 v115, 0x410, v5
	ds_read_b32 v114, v5 offset:1040
	v_and_b32_e32 v5, 1, v20
	v_add_co_u32_e32 v21, vcc, -1, v5
	v_addc_co_u32_e64 v23, s[36:37], 0, -1, vcc
	v_cmp_ne_u32_e32 vcc, 0, v5
	v_xor_b32_e32 v5, vcc_hi, v23
	v_and_b32_e32 v23, exec_hi, v5
	v_lshlrev_b32_e32 v5, 30, v20
	v_xor_b32_e32 v21, vcc_lo, v21
	v_cmp_gt_i64_e32 vcc, 0, v[4:5]
	v_not_b32_e32 v5, v5
	v_ashrrev_i32_e32 v5, 31, v5
	v_and_b32_e32 v21, exec_lo, v21
	v_xor_b32_e32 v116, vcc_hi, v5
	v_xor_b32_e32 v5, vcc_lo, v5
	v_and_b32_e32 v21, v21, v5
	v_lshlrev_b32_e32 v5, 29, v20
	v_cmp_gt_i64_e32 vcc, 0, v[4:5]
	v_not_b32_e32 v5, v5
	v_ashrrev_i32_e32 v5, 31, v5
	v_and_b32_e32 v23, v23, v116
	v_xor_b32_e32 v116, vcc_hi, v5
	v_xor_b32_e32 v5, vcc_lo, v5
	v_and_b32_e32 v21, v21, v5
	v_lshlrev_b32_e32 v5, 28, v20
	v_cmp_gt_i64_e32 vcc, 0, v[4:5]
	v_not_b32_e32 v5, v5
	v_ashrrev_i32_e32 v5, 31, v5
	v_and_b32_e32 v23, v23, v116
	;; [unrolled: 8-line block ×5, first 2 shown]
	v_xor_b32_e32 v116, vcc_hi, v5
	v_xor_b32_e32 v5, vcc_lo, v5
	v_and_b32_e32 v23, v23, v116
	v_and_b32_e32 v116, v21, v5
	v_lshlrev_b32_e32 v5, 24, v20
	v_cmp_gt_i64_e32 vcc, 0, v[4:5]
	v_not_b32_e32 v5, v5
	v_ashrrev_i32_e32 v5, 31, v5
	v_xor_b32_e32 v20, vcc_hi, v5
	v_xor_b32_e32 v5, vcc_lo, v5
	v_and_b32_e32 v21, v23, v20
	v_and_b32_e32 v20, v116, v5
	v_mbcnt_lo_u32_b32 v5, v20, 0
	v_mbcnt_hi_u32_b32 v116, v21, v5
	v_cmp_eq_u32_e32 vcc, 0, v116
	v_cmp_ne_u64_e64 s[36:37], 0, v[20:21]
	s_and_b64 s[38:39], s[36:37], vcc
	; wave barrier
	s_and_saveexec_b64 s[36:37], s[38:39]
	s_cbranch_execz .LBB425_102
; %bb.101:                              ;   in Loop: Header=BB425_74 Depth=2
	v_bcnt_u32_b32 v5, v20, 0
	v_bcnt_u32_b32 v5, v21, v5
	s_waitcnt lgkmcnt(0)
	v_add_u32_e32 v5, v114, v5
	ds_write_b32 v115, v5
.LBB425_102:                            ;   in Loop: Header=BB425_74 Depth=2
	s_or_b64 exec, exec, s[36:37]
	v_xor_b32_e32 v117, 0xffffff80, v22
	v_lshrrev_b32_sdwa v5, s68, v117 dst_sel:DWORD dst_unused:UNUSED_PAD src0_sel:DWORD src1_sel:BYTE_0
	v_and_b32_e32 v20, s77, v5
	v_mul_u32_u24_e32 v5, 5, v20
	v_add_lshl_u32 v5, v5, v88, 2
	; wave barrier
	v_add_u32_e32 v119, 0x410, v5
	ds_read_b32 v118, v5 offset:1040
	v_and_b32_e32 v5, 1, v20
	v_add_co_u32_e32 v21, vcc, -1, v5
	v_addc_co_u32_e64 v22, s[36:37], 0, -1, vcc
	v_cmp_ne_u32_e32 vcc, 0, v5
	v_xor_b32_e32 v5, vcc_hi, v22
	v_and_b32_e32 v22, exec_hi, v5
	v_lshlrev_b32_e32 v5, 30, v20
	v_xor_b32_e32 v21, vcc_lo, v21
	v_cmp_gt_i64_e32 vcc, 0, v[4:5]
	v_not_b32_e32 v5, v5
	v_ashrrev_i32_e32 v5, 31, v5
	v_and_b32_e32 v21, exec_lo, v21
	v_xor_b32_e32 v23, vcc_hi, v5
	v_xor_b32_e32 v5, vcc_lo, v5
	v_and_b32_e32 v21, v21, v5
	v_lshlrev_b32_e32 v5, 29, v20
	v_cmp_gt_i64_e32 vcc, 0, v[4:5]
	v_not_b32_e32 v5, v5
	v_ashrrev_i32_e32 v5, 31, v5
	v_and_b32_e32 v22, v22, v23
	v_xor_b32_e32 v23, vcc_hi, v5
	v_xor_b32_e32 v5, vcc_lo, v5
	v_and_b32_e32 v21, v21, v5
	v_lshlrev_b32_e32 v5, 28, v20
	v_cmp_gt_i64_e32 vcc, 0, v[4:5]
	v_not_b32_e32 v5, v5
	v_ashrrev_i32_e32 v5, 31, v5
	v_and_b32_e32 v22, v22, v23
	;; [unrolled: 8-line block ×5, first 2 shown]
	v_xor_b32_e32 v23, vcc_hi, v5
	v_xor_b32_e32 v5, vcc_lo, v5
	v_and_b32_e32 v22, v22, v23
	v_and_b32_e32 v23, v21, v5
	v_lshlrev_b32_e32 v5, 24, v20
	v_cmp_gt_i64_e32 vcc, 0, v[4:5]
	v_not_b32_e32 v5, v5
	v_ashrrev_i32_e32 v5, 31, v5
	v_xor_b32_e32 v20, vcc_hi, v5
	v_xor_b32_e32 v5, vcc_lo, v5
	v_and_b32_e32 v21, v22, v20
	v_and_b32_e32 v20, v23, v5
	v_mbcnt_lo_u32_b32 v5, v20, 0
	v_mbcnt_hi_u32_b32 v120, v21, v5
	v_cmp_eq_u32_e32 vcc, 0, v120
	v_cmp_ne_u64_e64 s[36:37], 0, v[20:21]
	s_and_b64 s[38:39], s[36:37], vcc
	; wave barrier
	s_and_saveexec_b64 s[36:37], s[38:39]
	s_cbranch_execz .LBB425_104
; %bb.103:                              ;   in Loop: Header=BB425_74 Depth=2
	v_bcnt_u32_b32 v5, v20, 0
	v_bcnt_u32_b32 v5, v21, v5
	s_waitcnt lgkmcnt(0)
	v_add_u32_e32 v5, v118, v5
	ds_write_b32 v119, v5
.LBB425_104:                            ;   in Loop: Header=BB425_74 Depth=2
	s_or_b64 exec, exec, s[36:37]
	; wave barrier
	s_waitcnt lgkmcnt(0)
	s_barrier
	ds_read_b32 v5, v42 offset:1040
	ds_read2_b32 v[22:23], v44 offset0:1 offset1:2
	ds_read2_b32 v[20:21], v44 offset0:3 offset1:4
	s_waitcnt lgkmcnt(1)
	v_add3_u32 v121, v22, v5, v23
	s_waitcnt lgkmcnt(0)
	v_add3_u32 v21, v121, v20, v21
	s_nop 1
	v_mov_b32_dpp v121, v21 row_shr:1 row_mask:0xf bank_mask:0xf
	v_cndmask_b32_e64 v121, v121, 0, s[16:17]
	v_add_u32_e32 v21, v121, v21
	s_nop 1
	v_mov_b32_dpp v121, v21 row_shr:2 row_mask:0xf bank_mask:0xf
	v_cndmask_b32_e64 v121, 0, v121, s[18:19]
	v_add_u32_e32 v21, v21, v121
	;; [unrolled: 4-line block ×4, first 2 shown]
	s_nop 1
	v_mov_b32_dpp v121, v21 row_bcast:15 row_mask:0xf bank_mask:0xf
	v_cndmask_b32_e64 v121, v121, 0, s[24:25]
	v_add_u32_e32 v21, v21, v121
	s_nop 1
	v_mov_b32_dpp v121, v21 row_bcast:31 row_mask:0xf bank_mask:0xf
	v_cndmask_b32_e64 v121, 0, v121, s[26:27]
	v_add_u32_e32 v21, v21, v121
	s_and_saveexec_b64 s[36:37], s[6:7]
	s_cbranch_execz .LBB425_106
; %bb.105:                              ;   in Loop: Header=BB425_74 Depth=2
	ds_write_b32 v35, v21 offset:1024
.LBB425_106:                            ;   in Loop: Header=BB425_74 Depth=2
	s_or_b64 exec, exec, s[36:37]
	s_waitcnt lgkmcnt(0)
	s_barrier
	s_and_saveexec_b64 s[36:37], s[8:9]
	s_cbranch_execz .LBB425_108
; %bb.107:                              ;   in Loop: Header=BB425_74 Depth=2
	v_add_u32_e32 v121, v42, v45
	ds_read_b32 v122, v121 offset:1024
	s_waitcnt lgkmcnt(0)
	s_nop 0
	v_mov_b32_dpp v123, v122 row_shr:1 row_mask:0xf bank_mask:0xf
	v_cndmask_b32_e64 v123, v123, 0, s[30:31]
	v_add_u32_e32 v122, v123, v122
	s_nop 1
	v_mov_b32_dpp v123, v122 row_shr:2 row_mask:0xf bank_mask:0xf
	v_cndmask_b32_e64 v123, 0, v123, s[34:35]
	v_add_u32_e32 v122, v122, v123
	ds_write_b32 v121, v122 offset:1024
.LBB425_108:                            ;   in Loop: Header=BB425_74 Depth=2
	s_or_b64 exec, exec, s[36:37]
	v_mov_b32_e32 v121, 0
	s_waitcnt lgkmcnt(0)
	s_barrier
	s_and_saveexec_b64 s[36:37], s[10:11]
	s_cbranch_execz .LBB425_110
; %bb.109:                              ;   in Loop: Header=BB425_74 Depth=2
	ds_read_b32 v121, v35 offset:1020
.LBB425_110:                            ;   in Loop: Header=BB425_74 Depth=2
	s_or_b64 exec, exec, s[36:37]
	s_waitcnt lgkmcnt(0)
	v_add_u32_e32 v21, v121, v21
	ds_bpermute_b32 v21, v65, v21
	s_waitcnt lgkmcnt(0)
	v_cndmask_b32_e64 v21, v21, v121, s[28:29]
	v_cndmask_b32_e64 v21, v21, 0, s[12:13]
	v_add_u32_e32 v5, v21, v5
	ds_write_b32 v42, v21 offset:1040
	v_add_u32_e32 v21, v5, v22
	v_add_u32_e32 v22, v21, v23
	ds_write2_b32 v44, v5, v21 offset0:1 offset1:2
	v_add_u32_e32 v5, v22, v20
	ds_write2_b32 v44, v22, v5 offset0:3 offset1:4
	s_waitcnt lgkmcnt(0)
	s_barrier
	ds_read_b32 v20, v97
	ds_read_b32 v21, v102
	;; [unrolled: 1-line block ×8, first 2 shown]
	ds_read_b32 v97, v42 offset:1040
	v_mov_b32_e32 v5, 0x800
	s_and_saveexec_b64 s[36:37], s[14:15]
	s_cbranch_execz .LBB425_112
; %bb.111:                              ;   in Loop: Header=BB425_74 Depth=2
	ds_read_b32 v5, v42 offset:1060
.LBB425_112:                            ;   in Loop: Header=BB425_74 Depth=2
	s_or_b64 exec, exec, s[36:37]
	s_waitcnt lgkmcnt(0)
	s_barrier
	s_and_saveexec_b64 s[36:37], s[4:5]
	s_cbranch_execz .LBB425_114
; %bb.113:                              ;   in Loop: Header=BB425_74 Depth=2
	ds_read_b32 v102, v3
	s_waitcnt lgkmcnt(0)
	v_sub_u32_e32 v97, v102, v97
	ds_write_b32 v3, v97
.LBB425_114:                            ;   in Loop: Header=BB425_74 Depth=2
	s_or_b64 exec, exec, s[36:37]
	v_add_u32_e32 v102, v92, v93
	v_add3_u32 v98, v98, v95, v20
	v_add3_u32 v97, v103, v100, v21
	;; [unrolled: 1-line block ×7, first 2 shown]
	v_cmp_lt_u32_e64 s[48:49], v2, v89
	ds_write_b8 v102, v90 offset:1024
	ds_write_b8 v98, v94 offset:1024
	ds_write_b8 v97, v99 offset:1024
	ds_write_b8 v95, v101 offset:1024
	ds_write_b8 v93, v96 offset:1024
	ds_write_b8 v92, v91 offset:1024
	ds_write_b8 v23, v113 offset:1024
	ds_write_b8 v22, v117 offset:1024
	s_waitcnt lgkmcnt(0)
	s_barrier
	s_and_saveexec_b64 s[36:37], s[48:49]
	s_cbranch_execz .LBB425_122
; %bb.115:                              ;   in Loop: Header=BB425_74 Depth=2
	ds_read_u8 v20, v2 offset:1024
	s_waitcnt lgkmcnt(0)
	v_lshrrev_b32_sdwa v21, s68, v20 dst_sel:DWORD dst_unused:UNUSED_PAD src0_sel:DWORD src1_sel:BYTE_0
	v_and_b32_e32 v21, s77, v21
	v_lshlrev_b32_e32 v21, 2, v21
	ds_read_b32 v21, v21
	v_xor_b32_e32 v20, 0x80, v20
	s_waitcnt lgkmcnt(0)
	v_add_u32_e32 v21, v21, v2
	global_store_byte v21, v20, s[58:59]
	s_or_b64 exec, exec, s[36:37]
	v_cmp_lt_u32_e64 s[46:47], v24, v89
	s_and_saveexec_b64 s[36:37], s[46:47]
	s_cbranch_execnz .LBB425_123
.LBB425_116:                            ;   in Loop: Header=BB425_74 Depth=2
	s_or_b64 exec, exec, s[36:37]
	v_cmp_lt_u32_e64 s[44:45], v25, v89
	s_and_saveexec_b64 s[36:37], s[44:45]
	s_cbranch_execz .LBB425_124
.LBB425_117:                            ;   in Loop: Header=BB425_74 Depth=2
	ds_read_u8 v20, v30 offset:512
	s_waitcnt lgkmcnt(0)
	v_lshrrev_b32_sdwa v21, s68, v20 dst_sel:DWORD dst_unused:UNUSED_PAD src0_sel:DWORD src1_sel:BYTE_0
	v_and_b32_e32 v21, s77, v21
	v_lshlrev_b32_e32 v21, 2, v21
	ds_read_b32 v21, v21
	v_xor_b32_e32 v20, 0x80, v20
	s_waitcnt lgkmcnt(0)
	v_add_u32_e32 v21, v21, v25
	global_store_byte v21, v20, s[58:59]
	s_or_b64 exec, exec, s[36:37]
	v_cmp_lt_u32_e64 s[42:43], v26, v89
	s_and_saveexec_b64 s[36:37], s[42:43]
	s_cbranch_execnz .LBB425_125
.LBB425_118:                            ;   in Loop: Header=BB425_74 Depth=2
	s_or_b64 exec, exec, s[36:37]
	v_cmp_lt_u32_e64 s[40:41], v30, v89
	s_and_saveexec_b64 s[36:37], s[40:41]
	s_cbranch_execz .LBB425_126
.LBB425_119:                            ;   in Loop: Header=BB425_74 Depth=2
	ds_read_u8 v20, v30 offset:1024
	s_waitcnt lgkmcnt(0)
	v_lshrrev_b32_sdwa v21, s68, v20 dst_sel:DWORD dst_unused:UNUSED_PAD src0_sel:DWORD src1_sel:BYTE_0
	v_and_b32_e32 v21, s77, v21
	v_lshlrev_b32_e32 v21, 2, v21
	ds_read_b32 v21, v21
	v_xor_b32_e32 v20, 0x80, v20
	s_waitcnt lgkmcnt(0)
	v_add_u32_e32 v21, v21, v30
	global_store_byte v21, v20, s[58:59]
	s_or_b64 exec, exec, s[36:37]
	v_cmp_lt_u32_e64 s[38:39], v31, v89
	s_and_saveexec_b64 s[36:37], s[38:39]
	s_cbranch_execnz .LBB425_127
.LBB425_120:                            ;   in Loop: Header=BB425_74 Depth=2
	s_or_b64 exec, exec, s[36:37]
	v_cmp_lt_u32_e64 s[36:37], v32, v89
	s_and_saveexec_b64 s[52:53], s[36:37]
	s_cbranch_execz .LBB425_128
.LBB425_121:                            ;   in Loop: Header=BB425_74 Depth=2
	ds_read_u8 v20, v30 offset:1536
	s_waitcnt lgkmcnt(0)
	v_lshrrev_b32_sdwa v21, s68, v20 dst_sel:DWORD dst_unused:UNUSED_PAD src0_sel:DWORD src1_sel:BYTE_0
	v_and_b32_e32 v21, s77, v21
	v_lshlrev_b32_e32 v21, 2, v21
	ds_read_b32 v21, v21
	v_xor_b32_e32 v20, 0x80, v20
	s_waitcnt lgkmcnt(0)
	v_add_u32_e32 v21, v21, v32
	global_store_byte v21, v20, s[58:59]
	s_or_b64 exec, exec, s[52:53]
	v_cmp_lt_u32_e32 vcc, v33, v89
	s_and_saveexec_b64 s[52:53], vcc
	s_cbranch_execnz .LBB425_129
	s_branch .LBB425_130
.LBB425_122:                            ;   in Loop: Header=BB425_74 Depth=2
	s_or_b64 exec, exec, s[36:37]
	v_cmp_lt_u32_e64 s[46:47], v24, v89
	s_and_saveexec_b64 s[36:37], s[46:47]
	s_cbranch_execz .LBB425_116
.LBB425_123:                            ;   in Loop: Header=BB425_74 Depth=2
	ds_read_u8 v20, v30 offset:256
	s_waitcnt lgkmcnt(0)
	v_lshrrev_b32_sdwa v21, s68, v20 dst_sel:DWORD dst_unused:UNUSED_PAD src0_sel:DWORD src1_sel:BYTE_0
	v_and_b32_e32 v21, s77, v21
	v_lshlrev_b32_e32 v21, 2, v21
	ds_read_b32 v21, v21
	v_xor_b32_e32 v20, 0x80, v20
	s_waitcnt lgkmcnt(0)
	v_add_u32_e32 v21, v21, v24
	global_store_byte v21, v20, s[58:59]
	s_or_b64 exec, exec, s[36:37]
	v_cmp_lt_u32_e64 s[44:45], v25, v89
	s_and_saveexec_b64 s[36:37], s[44:45]
	s_cbranch_execnz .LBB425_117
.LBB425_124:                            ;   in Loop: Header=BB425_74 Depth=2
	s_or_b64 exec, exec, s[36:37]
	v_cmp_lt_u32_e64 s[42:43], v26, v89
	s_and_saveexec_b64 s[36:37], s[42:43]
	s_cbranch_execz .LBB425_118
.LBB425_125:                            ;   in Loop: Header=BB425_74 Depth=2
	ds_read_u8 v20, v30 offset:768
	s_waitcnt lgkmcnt(0)
	v_lshrrev_b32_sdwa v21, s68, v20 dst_sel:DWORD dst_unused:UNUSED_PAD src0_sel:DWORD src1_sel:BYTE_0
	v_and_b32_e32 v21, s77, v21
	v_lshlrev_b32_e32 v21, 2, v21
	ds_read_b32 v21, v21
	v_xor_b32_e32 v20, 0x80, v20
	s_waitcnt lgkmcnt(0)
	v_add_u32_e32 v21, v21, v26
	global_store_byte v21, v20, s[58:59]
	s_or_b64 exec, exec, s[36:37]
	v_cmp_lt_u32_e64 s[40:41], v30, v89
	s_and_saveexec_b64 s[36:37], s[40:41]
	s_cbranch_execnz .LBB425_119
.LBB425_126:                            ;   in Loop: Header=BB425_74 Depth=2
	s_or_b64 exec, exec, s[36:37]
	v_cmp_lt_u32_e64 s[38:39], v31, v89
	s_and_saveexec_b64 s[36:37], s[38:39]
	s_cbranch_execz .LBB425_120
.LBB425_127:                            ;   in Loop: Header=BB425_74 Depth=2
	ds_read_u8 v20, v30 offset:1280
	s_waitcnt lgkmcnt(0)
	v_lshrrev_b32_sdwa v21, s68, v20 dst_sel:DWORD dst_unused:UNUSED_PAD src0_sel:DWORD src1_sel:BYTE_0
	v_and_b32_e32 v21, s77, v21
	v_lshlrev_b32_e32 v21, 2, v21
	ds_read_b32 v21, v21
	v_xor_b32_e32 v20, 0x80, v20
	s_waitcnt lgkmcnt(0)
	v_add_u32_e32 v21, v21, v31
	global_store_byte v21, v20, s[58:59]
	s_or_b64 exec, exec, s[36:37]
	v_cmp_lt_u32_e64 s[36:37], v32, v89
	s_and_saveexec_b64 s[52:53], s[36:37]
	s_cbranch_execnz .LBB425_121
.LBB425_128:                            ;   in Loop: Header=BB425_74 Depth=2
	s_or_b64 exec, exec, s[52:53]
	v_cmp_lt_u32_e32 vcc, v33, v89
	s_and_saveexec_b64 s[52:53], vcc
	s_cbranch_execz .LBB425_130
.LBB425_129:                            ;   in Loop: Header=BB425_74 Depth=2
	ds_read_u8 v20, v30 offset:1792
	s_waitcnt lgkmcnt(0)
	v_lshrrev_b32_sdwa v21, s68, v20 dst_sel:DWORD dst_unused:UNUSED_PAD src0_sel:DWORD src1_sel:BYTE_0
	v_and_b32_e32 v21, s77, v21
	v_lshlrev_b32_e32 v21, 2, v21
	ds_read_b32 v21, v21
	v_xor_b32_e32 v20, 0x80, v20
	s_waitcnt lgkmcnt(0)
	v_add_u32_e32 v21, v21, v33
	global_store_byte v21, v20, s[58:59]
.LBB425_130:                            ;   in Loop: Header=BB425_74 Depth=2
	s_or_b64 exec, exec, s[52:53]
	s_lshl_b64 s[52:53], s[72:73], 3
	v_mov_b32_e32 v21, s53
	v_add_co_u32_e64 v20, s[52:53], s52, v77
	v_addc_co_u32_e64 v21, s[52:53], v78, v21, s[52:53]
	v_cmp_lt_u32_e64 s[52:53], v72, v89
	s_and_saveexec_b64 s[62:63], s[52:53]
	s_xor_b64 s[52:53], exec, s[62:63]
	s_cbranch_execz .LBB425_146
; %bb.131:                              ;   in Loop: Header=BB425_74 Depth=2
	global_load_dwordx2 v[18:19], v[20:21], off
	s_or_b64 exec, exec, s[52:53]
	v_cmp_lt_u32_e64 s[52:53], v79, v89
	s_and_saveexec_b64 s[62:63], s[52:53]
	s_cbranch_execnz .LBB425_147
.LBB425_132:                            ;   in Loop: Header=BB425_74 Depth=2
	s_or_b64 exec, exec, s[62:63]
	v_cmp_lt_u32_e64 s[52:53], v80, v89
	s_and_saveexec_b64 s[62:63], s[52:53]
	s_cbranch_execz .LBB425_148
.LBB425_133:                            ;   in Loop: Header=BB425_74 Depth=2
	global_load_dwordx2 v[14:15], v[20:21], off offset:1024
	s_or_b64 exec, exec, s[62:63]
	v_cmp_lt_u32_e64 s[52:53], v81, v89
	s_and_saveexec_b64 s[62:63], s[52:53]
	s_cbranch_execnz .LBB425_149
.LBB425_134:                            ;   in Loop: Header=BB425_74 Depth=2
	s_or_b64 exec, exec, s[62:63]
	v_cmp_lt_u32_e64 s[52:53], v82, v89
	s_and_saveexec_b64 s[62:63], s[52:53]
	s_cbranch_execz .LBB425_150
.LBB425_135:                            ;   in Loop: Header=BB425_74 Depth=2
	global_load_dwordx2 v[10:11], v[20:21], off offset:2048
	s_or_b64 exec, exec, s[62:63]
	v_cmp_lt_u32_e64 s[52:53], v83, v89
	s_and_saveexec_b64 s[62:63], s[52:53]
	s_cbranch_execnz .LBB425_151
.LBB425_136:                            ;   in Loop: Header=BB425_74 Depth=2
	s_or_b64 exec, exec, s[62:63]
	v_cmp_lt_u32_e64 s[52:53], v84, v89
	s_and_saveexec_b64 s[62:63], s[52:53]
	s_cbranch_execz .LBB425_152
.LBB425_137:                            ;   in Loop: Header=BB425_74 Depth=2
	global_load_dwordx2 v[6:7], v[20:21], off offset:3072
	s_or_b64 exec, exec, s[62:63]
	v_cmp_lt_u32_e64 s[52:53], v85, v89
	s_and_saveexec_b64 s[62:63], s[52:53]
	s_cbranch_execnz .LBB425_153
.LBB425_138:                            ;   in Loop: Header=BB425_74 Depth=2
	s_or_b64 exec, exec, s[62:63]
	s_and_saveexec_b64 s[52:53], s[48:49]
	s_cbranch_execz .LBB425_154
.LBB425_139:                            ;   in Loop: Header=BB425_74 Depth=2
	ds_read_u8 v20, v2 offset:1024
	s_waitcnt lgkmcnt(0)
	v_lshrrev_b32_e32 v20, s68, v20
	v_and_b32_e32 v75, s77, v20
	s_or_b64 exec, exec, s[52:53]
	s_and_saveexec_b64 s[52:53], s[46:47]
	s_cbranch_execnz .LBB425_155
.LBB425_140:                            ;   in Loop: Header=BB425_74 Depth=2
	s_or_b64 exec, exec, s[52:53]
	s_and_saveexec_b64 s[52:53], s[44:45]
	s_cbranch_execz .LBB425_156
.LBB425_141:                            ;   in Loop: Header=BB425_74 Depth=2
	ds_read_u8 v20, v30 offset:512
	s_waitcnt lgkmcnt(0)
	v_lshrrev_b32_e32 v20, s68, v20
	v_and_b32_e32 v71, s77, v20
	s_or_b64 exec, exec, s[52:53]
	s_and_saveexec_b64 s[52:53], s[42:43]
	s_cbranch_execnz .LBB425_157
.LBB425_142:                            ;   in Loop: Header=BB425_74 Depth=2
	s_or_b64 exec, exec, s[52:53]
	s_and_saveexec_b64 s[52:53], s[40:41]
	s_cbranch_execz .LBB425_158
.LBB425_143:                            ;   in Loop: Header=BB425_74 Depth=2
	ds_read_u8 v20, v30 offset:1024
	s_waitcnt lgkmcnt(0)
	v_lshrrev_b32_e32 v20, s68, v20
	v_and_b32_e32 v69, s77, v20
	s_or_b64 exec, exec, s[52:53]
	s_and_saveexec_b64 s[52:53], s[38:39]
	s_cbranch_execnz .LBB425_159
.LBB425_144:                            ;   in Loop: Header=BB425_74 Depth=2
	s_or_b64 exec, exec, s[52:53]
	s_and_saveexec_b64 s[52:53], s[36:37]
	s_cbranch_execz .LBB425_160
.LBB425_145:                            ;   in Loop: Header=BB425_74 Depth=2
	ds_read_u8 v20, v30 offset:1536
	s_waitcnt lgkmcnt(0)
	v_lshrrev_b32_e32 v20, s68, v20
	v_and_b32_e32 v67, s77, v20
	s_or_b64 exec, exec, s[52:53]
	s_and_saveexec_b64 s[52:53], vcc
	s_cbranch_execnz .LBB425_161
	s_branch .LBB425_162
.LBB425_146:                            ;   in Loop: Header=BB425_74 Depth=2
	s_or_b64 exec, exec, s[52:53]
	v_cmp_lt_u32_e64 s[52:53], v79, v89
	s_and_saveexec_b64 s[62:63], s[52:53]
	s_cbranch_execz .LBB425_132
.LBB425_147:                            ;   in Loop: Header=BB425_74 Depth=2
	global_load_dwordx2 v[16:17], v[20:21], off offset:512
	s_or_b64 exec, exec, s[62:63]
	v_cmp_lt_u32_e64 s[52:53], v80, v89
	s_and_saveexec_b64 s[62:63], s[52:53]
	s_cbranch_execnz .LBB425_133
.LBB425_148:                            ;   in Loop: Header=BB425_74 Depth=2
	s_or_b64 exec, exec, s[62:63]
	v_cmp_lt_u32_e64 s[52:53], v81, v89
	s_and_saveexec_b64 s[62:63], s[52:53]
	s_cbranch_execz .LBB425_134
.LBB425_149:                            ;   in Loop: Header=BB425_74 Depth=2
	global_load_dwordx2 v[12:13], v[20:21], off offset:1536
	s_or_b64 exec, exec, s[62:63]
	v_cmp_lt_u32_e64 s[52:53], v82, v89
	s_and_saveexec_b64 s[62:63], s[52:53]
	s_cbranch_execnz .LBB425_135
.LBB425_150:                            ;   in Loop: Header=BB425_74 Depth=2
	s_or_b64 exec, exec, s[62:63]
	v_cmp_lt_u32_e64 s[52:53], v83, v89
	s_and_saveexec_b64 s[62:63], s[52:53]
	s_cbranch_execz .LBB425_136
.LBB425_151:                            ;   in Loop: Header=BB425_74 Depth=2
	global_load_dwordx2 v[8:9], v[20:21], off offset:2560
	s_or_b64 exec, exec, s[62:63]
	v_cmp_lt_u32_e64 s[52:53], v84, v89
	s_and_saveexec_b64 s[62:63], s[52:53]
	s_cbranch_execnz .LBB425_137
.LBB425_152:                            ;   in Loop: Header=BB425_74 Depth=2
	s_or_b64 exec, exec, s[62:63]
	v_cmp_lt_u32_e64 s[52:53], v85, v89
	s_and_saveexec_b64 s[62:63], s[52:53]
	s_cbranch_execz .LBB425_138
.LBB425_153:                            ;   in Loop: Header=BB425_74 Depth=2
	global_load_dwordx2 v[0:1], v[20:21], off offset:3584
	s_or_b64 exec, exec, s[62:63]
	s_and_saveexec_b64 s[52:53], s[48:49]
	s_cbranch_execnz .LBB425_139
.LBB425_154:                            ;   in Loop: Header=BB425_74 Depth=2
	s_or_b64 exec, exec, s[52:53]
	s_and_saveexec_b64 s[52:53], s[46:47]
	s_cbranch_execz .LBB425_140
.LBB425_155:                            ;   in Loop: Header=BB425_74 Depth=2
	ds_read_u8 v20, v30 offset:256
	s_waitcnt lgkmcnt(0)
	v_lshrrev_b32_e32 v20, s68, v20
	v_and_b32_e32 v73, s77, v20
	s_or_b64 exec, exec, s[52:53]
	s_and_saveexec_b64 s[52:53], s[44:45]
	s_cbranch_execnz .LBB425_141
.LBB425_156:                            ;   in Loop: Header=BB425_74 Depth=2
	s_or_b64 exec, exec, s[52:53]
	s_and_saveexec_b64 s[52:53], s[42:43]
	s_cbranch_execz .LBB425_142
.LBB425_157:                            ;   in Loop: Header=BB425_74 Depth=2
	ds_read_u8 v20, v30 offset:768
	s_waitcnt lgkmcnt(0)
	v_lshrrev_b32_e32 v20, s68, v20
	v_and_b32_e32 v70, s77, v20
	s_or_b64 exec, exec, s[52:53]
	s_and_saveexec_b64 s[52:53], s[40:41]
	s_cbranch_execnz .LBB425_143
.LBB425_158:                            ;   in Loop: Header=BB425_74 Depth=2
	s_or_b64 exec, exec, s[52:53]
	s_and_saveexec_b64 s[52:53], s[38:39]
	s_cbranch_execz .LBB425_144
.LBB425_159:                            ;   in Loop: Header=BB425_74 Depth=2
	ds_read_u8 v20, v30 offset:1280
	s_waitcnt lgkmcnt(0)
	v_lshrrev_b32_e32 v20, s68, v20
	v_and_b32_e32 v68, s77, v20
	s_or_b64 exec, exec, s[52:53]
	s_and_saveexec_b64 s[52:53], s[36:37]
	s_cbranch_execnz .LBB425_145
.LBB425_160:                            ;   in Loop: Header=BB425_74 Depth=2
	s_or_b64 exec, exec, s[52:53]
	s_and_saveexec_b64 s[52:53], vcc
	s_cbranch_execz .LBB425_162
.LBB425_161:                            ;   in Loop: Header=BB425_74 Depth=2
	ds_read_u8 v20, v30 offset:1792
	s_waitcnt lgkmcnt(0)
	v_lshrrev_b32_e32 v20, s68, v20
	v_and_b32_e32 v66, s77, v20
.LBB425_162:                            ;   in Loop: Header=BB425_74 Depth=2
	s_or_b64 exec, exec, s[52:53]
	v_lshlrev_b32_e32 v20, 3, v102
	s_barrier
	s_waitcnt vmcnt(0)
	ds_write_b64 v20, v[18:19] offset:1024
	v_lshlrev_b32_e32 v20, 3, v98
	ds_write_b64 v20, v[16:17] offset:1024
	v_lshlrev_b32_e32 v20, 3, v97
	;; [unrolled: 2-line block ×7, first 2 shown]
	ds_write_b64 v20, v[0:1] offset:1024
	s_waitcnt lgkmcnt(0)
	s_barrier
	s_and_saveexec_b64 s[52:53], s[48:49]
	s_cbranch_execz .LBB425_170
; %bb.163:                              ;   in Loop: Header=BB425_74 Depth=2
	v_lshlrev_b32_e32 v20, 2, v75
	ds_read_b32 v22, v20
	v_add_u32_e32 v20, v2, v50
	ds_read_b64 v[20:21], v20 offset:1024
	v_mov_b32_e32 v23, v4
	v_mov_b32_e32 v89, s65
	s_waitcnt lgkmcnt(1)
	v_add_u32_e32 v22, v22, v2
	v_lshlrev_b64 v[22:23], 3, v[22:23]
	v_add_co_u32_e64 v22, s[48:49], s64, v22
	v_addc_co_u32_e64 v23, s[48:49], v89, v23, s[48:49]
	s_waitcnt lgkmcnt(0)
	global_store_dwordx2 v[22:23], v[20:21], off
	s_or_b64 exec, exec, s[52:53]
	s_and_saveexec_b64 s[48:49], s[46:47]
	s_cbranch_execnz .LBB425_171
.LBB425_164:                            ;   in Loop: Header=BB425_74 Depth=2
	s_or_b64 exec, exec, s[48:49]
	s_and_saveexec_b64 s[46:47], s[44:45]
	s_cbranch_execz .LBB425_172
.LBB425_165:                            ;   in Loop: Header=BB425_74 Depth=2
	v_lshlrev_b32_e32 v20, 2, v71
	ds_read_b32 v22, v20
	v_add_u32_e32 v20, v30, v50
	ds_read_b64 v[20:21], v20 offset:4096
	v_mov_b32_e32 v23, v4
	v_mov_b32_e32 v89, s65
	s_waitcnt lgkmcnt(1)
	v_add_u32_e32 v22, v22, v25
	v_lshlrev_b64 v[22:23], 3, v[22:23]
	v_add_co_u32_e64 v22, s[44:45], s64, v22
	v_addc_co_u32_e64 v23, s[44:45], v89, v23, s[44:45]
	s_waitcnt lgkmcnt(0)
	global_store_dwordx2 v[22:23], v[20:21], off
	s_or_b64 exec, exec, s[46:47]
	s_and_saveexec_b64 s[44:45], s[42:43]
	s_cbranch_execnz .LBB425_173
.LBB425_166:                            ;   in Loop: Header=BB425_74 Depth=2
	s_or_b64 exec, exec, s[44:45]
	s_and_saveexec_b64 s[42:43], s[40:41]
	s_cbranch_execz .LBB425_174
.LBB425_167:                            ;   in Loop: Header=BB425_74 Depth=2
	v_lshlrev_b32_e32 v20, 2, v69
	ds_read_b32 v22, v20
	v_add_u32_e32 v20, v30, v50
	ds_read_b64 v[20:21], v20 offset:8192
	v_mov_b32_e32 v23, v4
	v_mov_b32_e32 v89, s65
	s_waitcnt lgkmcnt(1)
	v_add_u32_e32 v22, v22, v30
	v_lshlrev_b64 v[22:23], 3, v[22:23]
	v_add_co_u32_e64 v22, s[40:41], s64, v22
	v_addc_co_u32_e64 v23, s[40:41], v89, v23, s[40:41]
	s_waitcnt lgkmcnt(0)
	global_store_dwordx2 v[22:23], v[20:21], off
	s_or_b64 exec, exec, s[42:43]
	s_and_saveexec_b64 s[40:41], s[38:39]
	s_cbranch_execnz .LBB425_175
.LBB425_168:                            ;   in Loop: Header=BB425_74 Depth=2
	s_or_b64 exec, exec, s[40:41]
	s_and_saveexec_b64 s[38:39], s[36:37]
	s_cbranch_execz .LBB425_176
.LBB425_169:                            ;   in Loop: Header=BB425_74 Depth=2
	v_lshlrev_b32_e32 v20, 2, v67
	ds_read_b32 v22, v20
	v_add_u32_e32 v20, v30, v50
	ds_read_b64 v[20:21], v20 offset:12288
	v_mov_b32_e32 v23, v4
	v_mov_b32_e32 v89, s65
	s_waitcnt lgkmcnt(1)
	v_add_u32_e32 v22, v22, v32
	v_lshlrev_b64 v[22:23], 3, v[22:23]
	v_add_co_u32_e64 v22, s[36:37], s64, v22
	v_addc_co_u32_e64 v23, s[36:37], v89, v23, s[36:37]
	s_waitcnt lgkmcnt(0)
	global_store_dwordx2 v[22:23], v[20:21], off
	s_or_b64 exec, exec, s[38:39]
	s_and_saveexec_b64 s[36:37], vcc
	s_cbranch_execnz .LBB425_177
	s_branch .LBB425_178
.LBB425_170:                            ;   in Loop: Header=BB425_74 Depth=2
	s_or_b64 exec, exec, s[52:53]
	s_and_saveexec_b64 s[48:49], s[46:47]
	s_cbranch_execz .LBB425_164
.LBB425_171:                            ;   in Loop: Header=BB425_74 Depth=2
	v_lshlrev_b32_e32 v20, 2, v73
	ds_read_b32 v22, v20
	v_add_u32_e32 v20, v30, v50
	ds_read_b64 v[20:21], v20 offset:2048
	v_mov_b32_e32 v23, v4
	v_mov_b32_e32 v89, s65
	s_waitcnt lgkmcnt(1)
	v_add_u32_e32 v22, v22, v24
	v_lshlrev_b64 v[22:23], 3, v[22:23]
	v_add_co_u32_e64 v22, s[46:47], s64, v22
	v_addc_co_u32_e64 v23, s[46:47], v89, v23, s[46:47]
	s_waitcnt lgkmcnt(0)
	global_store_dwordx2 v[22:23], v[20:21], off
	s_or_b64 exec, exec, s[48:49]
	s_and_saveexec_b64 s[46:47], s[44:45]
	s_cbranch_execnz .LBB425_165
.LBB425_172:                            ;   in Loop: Header=BB425_74 Depth=2
	s_or_b64 exec, exec, s[46:47]
	s_and_saveexec_b64 s[44:45], s[42:43]
	s_cbranch_execz .LBB425_166
.LBB425_173:                            ;   in Loop: Header=BB425_74 Depth=2
	v_lshlrev_b32_e32 v20, 2, v70
	ds_read_b32 v22, v20
	v_add_u32_e32 v20, v30, v50
	ds_read_b64 v[20:21], v20 offset:6144
	v_mov_b32_e32 v23, v4
	v_mov_b32_e32 v89, s65
	s_waitcnt lgkmcnt(1)
	v_add_u32_e32 v22, v22, v26
	v_lshlrev_b64 v[22:23], 3, v[22:23]
	v_add_co_u32_e64 v22, s[42:43], s64, v22
	v_addc_co_u32_e64 v23, s[42:43], v89, v23, s[42:43]
	s_waitcnt lgkmcnt(0)
	global_store_dwordx2 v[22:23], v[20:21], off
	s_or_b64 exec, exec, s[44:45]
	s_and_saveexec_b64 s[42:43], s[40:41]
	s_cbranch_execnz .LBB425_167
.LBB425_174:                            ;   in Loop: Header=BB425_74 Depth=2
	s_or_b64 exec, exec, s[42:43]
	s_and_saveexec_b64 s[40:41], s[38:39]
	s_cbranch_execz .LBB425_168
.LBB425_175:                            ;   in Loop: Header=BB425_74 Depth=2
	v_lshlrev_b32_e32 v20, 2, v68
	ds_read_b32 v22, v20
	v_add_u32_e32 v20, v30, v50
	ds_read_b64 v[20:21], v20 offset:10240
	v_mov_b32_e32 v23, v4
	v_mov_b32_e32 v89, s65
	s_waitcnt lgkmcnt(1)
	v_add_u32_e32 v22, v22, v31
	v_lshlrev_b64 v[22:23], 3, v[22:23]
	v_add_co_u32_e64 v22, s[38:39], s64, v22
	v_addc_co_u32_e64 v23, s[38:39], v89, v23, s[38:39]
	s_waitcnt lgkmcnt(0)
	global_store_dwordx2 v[22:23], v[20:21], off
	s_or_b64 exec, exec, s[40:41]
	s_and_saveexec_b64 s[38:39], s[36:37]
	s_cbranch_execnz .LBB425_169
.LBB425_176:                            ;   in Loop: Header=BB425_74 Depth=2
	s_or_b64 exec, exec, s[38:39]
	s_and_saveexec_b64 s[36:37], vcc
	s_cbranch_execz .LBB425_178
.LBB425_177:                            ;   in Loop: Header=BB425_74 Depth=2
	v_lshlrev_b32_e32 v20, 2, v66
	ds_read_b32 v22, v20
	v_add_u32_e32 v20, v30, v50
	ds_read_b64 v[20:21], v20 offset:14336
	v_mov_b32_e32 v23, v4
	v_mov_b32_e32 v89, s65
	s_waitcnt lgkmcnt(1)
	v_add_u32_e32 v22, v22, v33
	v_lshlrev_b64 v[22:23], 3, v[22:23]
	v_add_co_u32_e32 v22, vcc, s64, v22
	v_addc_co_u32_e32 v23, vcc, v89, v23, vcc
	s_waitcnt lgkmcnt(0)
	global_store_dwordx2 v[22:23], v[20:21], off
.LBB425_178:                            ;   in Loop: Header=BB425_74 Depth=2
	s_or_b64 exec, exec, s[36:37]
	s_barrier
	s_and_saveexec_b64 s[36:37], s[4:5]
	s_cbranch_execz .LBB425_73
; %bb.179:                              ;   in Loop: Header=BB425_74 Depth=2
	ds_read_b32 v20, v3
	s_waitcnt lgkmcnt(0)
	v_add_u32_e32 v5, v20, v5
	ds_write_b32 v3, v5
	s_branch .LBB425_73
.LBB425_180:                            ;   in Loop: Header=BB425_74 Depth=2
	s_or_b64 exec, exec, s[36:37]
	v_cmp_gt_u32_e32 vcc, s78, v79
	s_and_saveexec_b64 s[36:37], vcc
	s_cbranch_execz .LBB425_80
.LBB425_181:                            ;   in Loop: Header=BB425_74 Depth=2
	global_load_ubyte v94, v[20:21], off offset:64
	s_or_b64 exec, exec, s[36:37]
	v_cmp_gt_u32_e32 vcc, s78, v80
	s_and_saveexec_b64 s[36:37], vcc
	s_cbranch_execnz .LBB425_81
.LBB425_182:                            ;   in Loop: Header=BB425_74 Depth=2
	s_or_b64 exec, exec, s[36:37]
	v_cmp_gt_u32_e32 vcc, s78, v81
	s_and_saveexec_b64 s[36:37], vcc
	s_cbranch_execz .LBB425_82
.LBB425_183:                            ;   in Loop: Header=BB425_74 Depth=2
	global_load_ubyte v101, v[20:21], off offset:192
	s_or_b64 exec, exec, s[36:37]
	v_cmp_gt_u32_e32 vcc, s78, v82
	s_and_saveexec_b64 s[36:37], vcc
	s_cbranch_execnz .LBB425_83
.LBB425_184:                            ;   in Loop: Header=BB425_74 Depth=2
	s_or_b64 exec, exec, s[36:37]
	v_cmp_gt_u32_e32 vcc, s78, v83
	s_and_saveexec_b64 s[36:37], vcc
	s_cbranch_execz .LBB425_84
.LBB425_185:                            ;   in Loop: Header=BB425_74 Depth=2
	global_load_ubyte v91, v[20:21], off offset:320
	s_or_b64 exec, exec, s[36:37]
	v_cmp_gt_u32_e32 vcc, s78, v84
	s_and_saveexec_b64 s[36:37], vcc
	s_cbranch_execnz .LBB425_85
	s_branch .LBB425_86
.LBB425_186:                            ;   in Loop: Header=BB425_20 Depth=1
	s_waitcnt lgkmcnt(0)
	s_barrier
	s_mov_b64 s[16:17], 0
.LBB425_187:                            ;   in Loop: Header=BB425_20 Depth=1
	s_and_b64 vcc, exec, s[16:17]
	s_cbranch_vccz .LBB425_353
; %bb.188:                              ;   in Loop: Header=BB425_20 Depth=1
	s_mov_b32 s20, s71
	s_mov_b32 s22, s51
	s_barrier
	s_waitcnt lgkmcnt(0)
                                        ; implicit-def: $vgpr5
                                        ; implicit-def: $vgpr6
                                        ; implicit-def: $vgpr7
                                        ; implicit-def: $vgpr8
                                        ; implicit-def: $vgpr9
                                        ; implicit-def: $vgpr10
                                        ; implicit-def: $vgpr11
                                        ; implicit-def: $vgpr12
	s_branch .LBB425_190
.LBB425_189:                            ;   in Loop: Header=BB425_190 Depth=2
	s_or_b64 exec, exec, s[16:17]
	s_addk_i32 s20, 0xf800
	s_cmp_ge_u32 s21, s76
	s_mov_b32 s22, s21
	s_cbranch_scc1 .LBB425_228
.LBB425_190:                            ;   Parent Loop BB425_20 Depth=1
                                        ; =>  This Inner Loop Header: Depth=2
	s_add_i32 s21, s22, 0x800
	s_cmp_gt_u32 s21, s76
	s_cbranch_scc1 .LBB425_193
; %bb.191:                              ;   in Loop: Header=BB425_190 Depth=2
	v_add_co_u32_e32 v0, vcc, s22, v51
	v_addc_co_u32_e32 v1, vcc, 0, v52, vcc
	global_load_ubyte v20, v[0:1], off offset:1536
	global_load_ubyte v19, v[0:1], off offset:1280
	;; [unrolled: 1-line block ×6, first 2 shown]
	global_load_ubyte v14, v[0:1], off
	v_add_co_u32_e32 v0, vcc, 0x700, v0
	v_addc_co_u32_e32 v1, vcc, 0, v1, vcc
	s_mov_b64 s[16:17], -1
	s_movk_i32 s25, 0x800
	s_cbranch_execz .LBB425_194
; %bb.192:                              ;   in Loop: Header=BB425_190 Depth=2
                                        ; implicit-def: $vgpr5
                                        ; implicit-def: $vgpr6
                                        ; implicit-def: $vgpr7
                                        ; implicit-def: $vgpr8
                                        ; implicit-def: $vgpr9
                                        ; implicit-def: $vgpr10
                                        ; implicit-def: $vgpr11
                                        ; implicit-def: $vgpr12
	v_mov_b32_e32 v13, s20
	s_and_saveexec_b64 s[18:19], s[16:17]
	s_cbranch_execnz .LBB425_205
	s_branch .LBB425_206
.LBB425_193:                            ;   in Loop: Header=BB425_190 Depth=2
	s_mov_b64 s[16:17], 0
                                        ; implicit-def: $sgpr25
                                        ; implicit-def: $vgpr14
                                        ; implicit-def: $vgpr15
                                        ; implicit-def: $vgpr16
                                        ; implicit-def: $vgpr17
                                        ; implicit-def: $vgpr18
                                        ; implicit-def: $vgpr19
                                        ; implicit-def: $vgpr20
                                        ; implicit-def: $vgpr0_vgpr1
.LBB425_194:                            ;   in Loop: Header=BB425_190 Depth=2
	s_add_u32 s23, s58, s22
	s_addc_u32 s24, s59, 0
	v_cmp_gt_u32_e32 vcc, s20, v2
	s_and_saveexec_b64 s[18:19], vcc
	s_cbranch_execz .LBB425_222
; %bb.195:                              ;   in Loop: Header=BB425_190 Depth=2
	v_mov_b32_e32 v1, s24
	v_add_co_u32_e32 v0, vcc, s23, v2
	v_addc_co_u32_e32 v1, vcc, 0, v1, vcc
	global_load_ubyte v5, v[0:1], off
	s_or_b64 exec, exec, s[18:19]
	v_cmp_gt_u32_e32 vcc, s20, v24
	s_and_saveexec_b64 s[18:19], vcc
	s_cbranch_execnz .LBB425_223
.LBB425_196:                            ;   in Loop: Header=BB425_190 Depth=2
	s_or_b64 exec, exec, s[18:19]
	v_cmp_gt_u32_e32 vcc, s20, v25
	s_and_saveexec_b64 s[18:19], vcc
	s_cbranch_execz .LBB425_224
.LBB425_197:                            ;   in Loop: Header=BB425_190 Depth=2
	v_mov_b32_e32 v1, s24
	v_add_co_u32_e32 v0, vcc, s23, v2
	v_addc_co_u32_e32 v1, vcc, 0, v1, vcc
	global_load_ubyte v7, v[0:1], off offset:512
	s_or_b64 exec, exec, s[18:19]
	v_cmp_gt_u32_e32 vcc, s20, v26
	s_and_saveexec_b64 s[18:19], vcc
	s_cbranch_execnz .LBB425_225
.LBB425_198:                            ;   in Loop: Header=BB425_190 Depth=2
	s_or_b64 exec, exec, s[18:19]
	v_cmp_gt_u32_e32 vcc, s20, v30
	s_and_saveexec_b64 s[18:19], vcc
	s_cbranch_execz .LBB425_226
.LBB425_199:                            ;   in Loop: Header=BB425_190 Depth=2
	v_mov_b32_e32 v1, s24
	v_add_co_u32_e32 v0, vcc, s23, v2
	v_addc_co_u32_e32 v1, vcc, 0, v1, vcc
	global_load_ubyte v9, v[0:1], off offset:1024
	s_or_b64 exec, exec, s[18:19]
	v_cmp_gt_u32_e32 vcc, s20, v31
	s_and_saveexec_b64 s[18:19], vcc
	s_cbranch_execnz .LBB425_227
.LBB425_200:                            ;   in Loop: Header=BB425_190 Depth=2
	s_or_b64 exec, exec, s[18:19]
	v_cmp_gt_u32_e32 vcc, s20, v32
	s_and_saveexec_b64 s[18:19], vcc
	s_cbranch_execz .LBB425_202
.LBB425_201:                            ;   in Loop: Header=BB425_190 Depth=2
	v_mov_b32_e32 v1, s24
	v_add_co_u32_e32 v0, vcc, s23, v2
	v_addc_co_u32_e32 v1, vcc, 0, v1, vcc
	global_load_ubyte v11, v[0:1], off offset:1536
.LBB425_202:                            ;   in Loop: Header=BB425_190 Depth=2
	s_or_b64 exec, exec, s[18:19]
	v_cmp_gt_u32_e32 vcc, s20, v33
                                        ; implicit-def: $sgpr25
                                        ; implicit-def: $vgpr0_vgpr1
	s_and_saveexec_b64 s[18:19], vcc
	s_cbranch_execz .LBB425_204
; %bb.203:                              ;   in Loop: Header=BB425_190 Depth=2
	v_mov_b32_e32 v0, s24
	v_add_co_u32_e32 v1, vcc, s23, v2
	s_waitcnt vmcnt(0)
	v_addc_co_u32_e32 v12, vcc, 0, v0, vcc
	v_add_co_u32_e32 v0, vcc, 0x700, v1
	s_sub_i32 s25, s76, s22
	v_addc_co_u32_e32 v1, vcc, 0, v12, vcc
	s_or_b64 s[16:17], s[16:17], exec
                                        ; implicit-def: $vgpr12
.LBB425_204:                            ;   in Loop: Header=BB425_190 Depth=2
	s_or_b64 exec, exec, s[18:19]
	s_waitcnt vmcnt(0)
	v_mov_b32_e32 v14, v5
	v_mov_b32_e32 v15, v6
	;; [unrolled: 1-line block ×8, first 2 shown]
	s_and_saveexec_b64 s[18:19], s[16:17]
	s_cbranch_execz .LBB425_206
.LBB425_205:                            ;   in Loop: Header=BB425_190 Depth=2
	global_load_ubyte v12, v[0:1], off
	v_mov_b32_e32 v13, s25
	s_waitcnt vmcnt(1)
	v_mov_b32_e32 v5, v14
	v_mov_b32_e32 v6, v15
	;; [unrolled: 1-line block ×7, first 2 shown]
.LBB425_206:                            ;   in Loop: Header=BB425_190 Depth=2
	s_or_b64 exec, exec, s[18:19]
	v_cmp_lt_u32_e32 vcc, v2, v13
	s_and_saveexec_b64 s[16:17], vcc
	s_cbranch_execz .LBB425_214
; %bb.207:                              ;   in Loop: Header=BB425_190 Depth=2
	v_xor_b32_e32 v0, 0x80, v5
	v_lshrrev_b32_sdwa v0, s68, v0 dst_sel:DWORD dst_unused:UNUSED_PAD src0_sel:DWORD src1_sel:BYTE_0
	v_and_b32_e32 v0, s77, v0
	v_lshlrev_b32_e32 v1, 2, v27
	v_lshl_or_b32 v0, v0, 4, v1
	ds_add_u32 v0, v63
	s_or_b64 exec, exec, s[16:17]
	v_cmp_lt_u32_e32 vcc, v24, v13
	s_and_saveexec_b64 s[16:17], vcc
	s_cbranch_execnz .LBB425_215
.LBB425_208:                            ;   in Loop: Header=BB425_190 Depth=2
	s_or_b64 exec, exec, s[16:17]
	v_cmp_lt_u32_e32 vcc, v25, v13
	s_and_saveexec_b64 s[16:17], vcc
	s_cbranch_execz .LBB425_216
.LBB425_209:                            ;   in Loop: Header=BB425_190 Depth=2
	v_xor_b32_e32 v0, 0x80, v7
	v_lshrrev_b32_sdwa v0, s68, v0 dst_sel:DWORD dst_unused:UNUSED_PAD src0_sel:DWORD src1_sel:BYTE_0
	v_and_b32_e32 v0, s77, v0
	v_lshlrev_b32_e32 v1, 2, v27
	v_lshl_or_b32 v0, v0, 4, v1
	ds_add_u32 v0, v63
	s_or_b64 exec, exec, s[16:17]
	v_cmp_lt_u32_e32 vcc, v26, v13
	s_and_saveexec_b64 s[16:17], vcc
	s_cbranch_execnz .LBB425_217
.LBB425_210:                            ;   in Loop: Header=BB425_190 Depth=2
	s_or_b64 exec, exec, s[16:17]
	v_cmp_lt_u32_e32 vcc, v30, v13
	s_and_saveexec_b64 s[16:17], vcc
	s_cbranch_execz .LBB425_218
.LBB425_211:                            ;   in Loop: Header=BB425_190 Depth=2
	v_xor_b32_e32 v0, 0x80, v9
	v_lshrrev_b32_sdwa v0, s68, v0 dst_sel:DWORD dst_unused:UNUSED_PAD src0_sel:DWORD src1_sel:BYTE_0
	v_and_b32_e32 v0, s77, v0
	v_lshlrev_b32_e32 v1, 2, v27
	v_lshl_or_b32 v0, v0, 4, v1
	ds_add_u32 v0, v63
	s_or_b64 exec, exec, s[16:17]
	v_cmp_lt_u32_e32 vcc, v31, v13
	s_and_saveexec_b64 s[16:17], vcc
	s_cbranch_execnz .LBB425_219
.LBB425_212:                            ;   in Loop: Header=BB425_190 Depth=2
	s_or_b64 exec, exec, s[16:17]
	v_cmp_lt_u32_e32 vcc, v32, v13
	s_and_saveexec_b64 s[16:17], vcc
	s_cbranch_execz .LBB425_220
.LBB425_213:                            ;   in Loop: Header=BB425_190 Depth=2
	v_xor_b32_e32 v0, 0x80, v11
	v_lshrrev_b32_sdwa v0, s68, v0 dst_sel:DWORD dst_unused:UNUSED_PAD src0_sel:DWORD src1_sel:BYTE_0
	v_and_b32_e32 v0, s77, v0
	v_lshlrev_b32_e32 v1, 2, v27
	v_lshl_or_b32 v0, v0, 4, v1
	ds_add_u32 v0, v63
	s_or_b64 exec, exec, s[16:17]
	v_cmp_lt_u32_e32 vcc, v33, v13
	s_and_saveexec_b64 s[16:17], vcc
	s_cbranch_execz .LBB425_189
	s_branch .LBB425_221
.LBB425_214:                            ;   in Loop: Header=BB425_190 Depth=2
	s_or_b64 exec, exec, s[16:17]
	v_cmp_lt_u32_e32 vcc, v24, v13
	s_and_saveexec_b64 s[16:17], vcc
	s_cbranch_execz .LBB425_208
.LBB425_215:                            ;   in Loop: Header=BB425_190 Depth=2
	v_xor_b32_e32 v0, 0x80, v6
	v_lshrrev_b32_sdwa v0, s68, v0 dst_sel:DWORD dst_unused:UNUSED_PAD src0_sel:DWORD src1_sel:BYTE_0
	v_and_b32_e32 v0, s77, v0
	v_lshlrev_b32_e32 v1, 2, v27
	v_lshl_or_b32 v0, v0, 4, v1
	ds_add_u32 v0, v63
	s_or_b64 exec, exec, s[16:17]
	v_cmp_lt_u32_e32 vcc, v25, v13
	s_and_saveexec_b64 s[16:17], vcc
	s_cbranch_execnz .LBB425_209
.LBB425_216:                            ;   in Loop: Header=BB425_190 Depth=2
	s_or_b64 exec, exec, s[16:17]
	v_cmp_lt_u32_e32 vcc, v26, v13
	s_and_saveexec_b64 s[16:17], vcc
	s_cbranch_execz .LBB425_210
.LBB425_217:                            ;   in Loop: Header=BB425_190 Depth=2
	v_xor_b32_e32 v0, 0x80, v8
	v_lshrrev_b32_sdwa v0, s68, v0 dst_sel:DWORD dst_unused:UNUSED_PAD src0_sel:DWORD src1_sel:BYTE_0
	v_and_b32_e32 v0, s77, v0
	v_lshlrev_b32_e32 v1, 2, v27
	v_lshl_or_b32 v0, v0, 4, v1
	ds_add_u32 v0, v63
	s_or_b64 exec, exec, s[16:17]
	v_cmp_lt_u32_e32 vcc, v30, v13
	s_and_saveexec_b64 s[16:17], vcc
	s_cbranch_execnz .LBB425_211
.LBB425_218:                            ;   in Loop: Header=BB425_190 Depth=2
	s_or_b64 exec, exec, s[16:17]
	v_cmp_lt_u32_e32 vcc, v31, v13
	s_and_saveexec_b64 s[16:17], vcc
	s_cbranch_execz .LBB425_212
.LBB425_219:                            ;   in Loop: Header=BB425_190 Depth=2
	v_xor_b32_e32 v0, 0x80, v10
	v_lshrrev_b32_sdwa v0, s68, v0 dst_sel:DWORD dst_unused:UNUSED_PAD src0_sel:DWORD src1_sel:BYTE_0
	v_and_b32_e32 v0, s77, v0
	v_lshlrev_b32_e32 v1, 2, v27
	v_lshl_or_b32 v0, v0, 4, v1
	ds_add_u32 v0, v63
	s_or_b64 exec, exec, s[16:17]
	v_cmp_lt_u32_e32 vcc, v32, v13
	s_and_saveexec_b64 s[16:17], vcc
	s_cbranch_execnz .LBB425_213
.LBB425_220:                            ;   in Loop: Header=BB425_190 Depth=2
	s_or_b64 exec, exec, s[16:17]
	v_cmp_lt_u32_e32 vcc, v33, v13
	s_and_saveexec_b64 s[16:17], vcc
	s_cbranch_execz .LBB425_189
.LBB425_221:                            ;   in Loop: Header=BB425_190 Depth=2
	s_waitcnt vmcnt(0)
	v_xor_b32_e32 v0, 0x80, v12
	v_lshrrev_b32_sdwa v0, s68, v0 dst_sel:DWORD dst_unused:UNUSED_PAD src0_sel:DWORD src1_sel:BYTE_0
	v_and_b32_e32 v0, s77, v0
	v_lshlrev_b32_e32 v1, 2, v27
	v_lshl_or_b32 v0, v0, 4, v1
	ds_add_u32 v0, v63
	s_branch .LBB425_189
.LBB425_222:                            ;   in Loop: Header=BB425_190 Depth=2
	s_or_b64 exec, exec, s[18:19]
	v_cmp_gt_u32_e32 vcc, s20, v24
	s_and_saveexec_b64 s[18:19], vcc
	s_cbranch_execz .LBB425_196
.LBB425_223:                            ;   in Loop: Header=BB425_190 Depth=2
	v_mov_b32_e32 v1, s24
	v_add_co_u32_e32 v0, vcc, s23, v2
	v_addc_co_u32_e32 v1, vcc, 0, v1, vcc
	global_load_ubyte v6, v[0:1], off offset:256
	s_or_b64 exec, exec, s[18:19]
	v_cmp_gt_u32_e32 vcc, s20, v25
	s_and_saveexec_b64 s[18:19], vcc
	s_cbranch_execnz .LBB425_197
.LBB425_224:                            ;   in Loop: Header=BB425_190 Depth=2
	s_or_b64 exec, exec, s[18:19]
	v_cmp_gt_u32_e32 vcc, s20, v26
	s_and_saveexec_b64 s[18:19], vcc
	s_cbranch_execz .LBB425_198
.LBB425_225:                            ;   in Loop: Header=BB425_190 Depth=2
	v_mov_b32_e32 v1, s24
	v_add_co_u32_e32 v0, vcc, s23, v2
	v_addc_co_u32_e32 v1, vcc, 0, v1, vcc
	global_load_ubyte v8, v[0:1], off offset:768
	s_or_b64 exec, exec, s[18:19]
	v_cmp_gt_u32_e32 vcc, s20, v30
	s_and_saveexec_b64 s[18:19], vcc
	s_cbranch_execnz .LBB425_199
.LBB425_226:                            ;   in Loop: Header=BB425_190 Depth=2
	s_or_b64 exec, exec, s[18:19]
	v_cmp_gt_u32_e32 vcc, s20, v31
	s_and_saveexec_b64 s[18:19], vcc
	s_cbranch_execz .LBB425_200
.LBB425_227:                            ;   in Loop: Header=BB425_190 Depth=2
	v_mov_b32_e32 v1, s24
	v_add_co_u32_e32 v0, vcc, s23, v2
	v_addc_co_u32_e32 v1, vcc, 0, v1, vcc
	global_load_ubyte v10, v[0:1], off offset:1280
	s_or_b64 exec, exec, s[18:19]
	v_cmp_gt_u32_e32 vcc, s20, v32
	s_and_saveexec_b64 s[18:19], vcc
	s_cbranch_execz .LBB425_202
	s_branch .LBB425_201
.LBB425_228:                            ;   in Loop: Header=BB425_20 Depth=1
	v_mov_b32_e32 v0, 0
	s_waitcnt lgkmcnt(0)
	s_barrier
	s_and_saveexec_b64 s[16:17], s[4:5]
	s_cbranch_execz .LBB425_230
; %bb.229:                              ;   in Loop: Header=BB425_20 Depth=1
	ds_read2_b64 v[6:9], v34 offset1:1
	s_waitcnt lgkmcnt(0)
	v_add_u32_e32 v0, v7, v6
	v_add3_u32 v0, v0, v8, v9
.LBB425_230:                            ;   in Loop: Header=BB425_20 Depth=1
	s_or_b64 exec, exec, s[16:17]
	v_and_b32_e32 v1, 15, v64
	v_mov_b32_dpp v5, v0 row_shr:1 row_mask:0xf bank_mask:0xf
	v_cmp_eq_u32_e64 s[16:17], 0, v1
	v_cndmask_b32_e64 v5, v5, 0, s[16:17]
	v_add_u32_e32 v0, v5, v0
	v_cmp_lt_u32_e64 s[18:19], 1, v1
	v_cmp_lt_u32_e64 s[20:21], 3, v1
	v_mov_b32_dpp v5, v0 row_shr:2 row_mask:0xf bank_mask:0xf
	v_cndmask_b32_e64 v5, 0, v5, s[18:19]
	v_add_u32_e32 v0, v0, v5
	v_cmp_lt_u32_e64 s[22:23], 7, v1
	v_cmp_lt_u32_e64 s[26:27], 31, v64
	v_mov_b32_dpp v5, v0 row_shr:4 row_mask:0xf bank_mask:0xf
	v_cndmask_b32_e64 v5, 0, v5, s[20:21]
	v_add_u32_e32 v0, v0, v5
	v_and_b32_e32 v6, 16, v64
	v_cmp_eq_u32_e64 s[24:25], 0, v6
	v_mov_b32_dpp v5, v0 row_shr:8 row_mask:0xf bank_mask:0xf
	v_cndmask_b32_e64 v1, 0, v5, s[22:23]
	v_add_u32_e32 v0, v0, v1
	v_bfe_i32 v5, v64, 4, 1
	s_nop 0
	v_mov_b32_dpp v1, v0 row_bcast:15 row_mask:0xf bank_mask:0xf
	v_and_b32_e32 v1, v5, v1
	v_add_u32_e32 v0, v0, v1
	s_nop 1
	v_mov_b32_dpp v1, v0 row_bcast:31 row_mask:0xf bank_mask:0xf
	v_cndmask_b32_e64 v1, 0, v1, s[26:27]
	v_add_u32_e32 v1, v0, v1
	s_and_saveexec_b64 s[28:29], s[6:7]
	s_cbranch_execz .LBB425_232
; %bb.231:                              ;   in Loop: Header=BB425_20 Depth=1
	ds_write_b32 v36, v1
.LBB425_232:                            ;   in Loop: Header=BB425_20 Depth=1
	s_or_b64 exec, exec, s[28:29]
	v_and_b32_e32 v0, 3, v64
	s_waitcnt lgkmcnt(0)
	s_barrier
	s_and_saveexec_b64 s[28:29], s[8:9]
	s_cbranch_execz .LBB425_234
; %bb.233:                              ;   in Loop: Header=BB425_20 Depth=1
	ds_read_b32 v5, v37
	v_cmp_ne_u32_e32 vcc, 0, v0
	s_waitcnt lgkmcnt(0)
	v_mov_b32_dpp v6, v5 row_shr:1 row_mask:0xf bank_mask:0xf
	v_cndmask_b32_e32 v6, 0, v6, vcc
	v_add_u32_e32 v5, v6, v5
	v_cmp_lt_u32_e32 vcc, 1, v0
	s_nop 0
	v_mov_b32_dpp v6, v5 row_shr:2 row_mask:0xf bank_mask:0xf
	v_cndmask_b32_e32 v6, 0, v6, vcc
	v_add_u32_e32 v5, v5, v6
	ds_write_b32 v37, v5
.LBB425_234:                            ;   in Loop: Header=BB425_20 Depth=1
	s_or_b64 exec, exec, s[28:29]
	v_mov_b32_e32 v5, 0
	s_waitcnt lgkmcnt(0)
	s_barrier
	s_and_saveexec_b64 s[28:29], s[10:11]
	s_cbranch_execz .LBB425_236
; %bb.235:                              ;   in Loop: Header=BB425_20 Depth=1
	ds_read_b32 v5, v38
.LBB425_236:                            ;   in Loop: Header=BB425_20 Depth=1
	s_or_b64 exec, exec, s[28:29]
	v_add_u32_e32 v6, -1, v64
	v_and_b32_e32 v7, 64, v64
	v_cmp_lt_i32_e32 vcc, v6, v7
	v_cndmask_b32_e32 v6, v6, v64, vcc
	s_waitcnt lgkmcnt(0)
	v_add_u32_e32 v1, v5, v1
	v_lshlrev_b32_e32 v65, 2, v6
	ds_bpermute_b32 v1, v65, v1
	v_cmp_eq_u32_e64 s[28:29], 0, v64
	s_waitcnt lgkmcnt(0)
	s_barrier
	s_and_saveexec_b64 s[30:31], s[4:5]
	s_cbranch_execz .LBB425_238
; %bb.237:                              ;   in Loop: Header=BB425_20 Depth=1
	v_cndmask_b32_e64 v1, v1, v5, s[28:29]
	v_add_u32_e32 v1, s51, v1
	ds_write_b32 v3, v1
.LBB425_238:                            ;   in Loop: Header=BB425_20 Depth=1
	s_or_b64 exec, exec, s[30:31]
	s_load_dwordx2 s[30:31], s[74:75], 0x0
	v_and_b32_e32 v21, 63, v64
	v_add_co_u32_e32 v74, vcc, v55, v21
	v_lshlrev_b32_e32 v22, 3, v21
	s_waitcnt lgkmcnt(0)
	s_cmp_lt_u32 s50, s30
	s_cselect_b32 s34, 12, 18
	s_cmp_lt_u32 s33, s31
	s_cselect_b32 s30, 14, 20
	s_add_u32 s30, s74, s30
	s_addc_u32 s31, s75, 0
	s_add_u32 s34, s74, s34
	global_load_ushort v5, v4, s[30:31]
	s_addc_u32 s35, s75, 0
	global_load_ushort v20, v4, s[34:35]
	v_addc_co_u32_e32 v76, vcc, 0, v56, vcc
	v_add_co_u32_e32 v77, vcc, v53, v22
	v_addc_co_u32_e32 v78, vcc, 0, v54, vcc
	v_or_b32_e32 v72, v21, v39
	v_add_co_u32_e32 v86, vcc, 0x1c0, v74
	v_cmp_eq_u32_e64 s[30:31], 0, v0
	v_cmp_lt_u32_e64 s[34:35], 1, v0
	s_mov_b32 s78, s71
	v_or_b32_e32 v79, 64, v72
	v_or_b32_e32 v80, 0x80, v72
	;; [unrolled: 1-line block ×7, first 2 shown]
	v_addc_co_u32_e32 v87, vcc, 0, v76, vcc
	s_mov_b32 s72, s51
                                        ; implicit-def: $vgpr0_vgpr1
                                        ; implicit-def: $vgpr6_vgpr7
                                        ; implicit-def: $vgpr8_vgpr9
                                        ; implicit-def: $vgpr10_vgpr11
                                        ; implicit-def: $vgpr12_vgpr13
                                        ; implicit-def: $vgpr14_vgpr15
                                        ; implicit-def: $vgpr16_vgpr17
                                        ; implicit-def: $vgpr18_vgpr19
                                        ; implicit-def: $vgpr66
                                        ; implicit-def: $vgpr67
                                        ; implicit-def: $vgpr68
                                        ; implicit-def: $vgpr69
                                        ; implicit-def: $vgpr70
                                        ; implicit-def: $vgpr71
                                        ; implicit-def: $vgpr73
                                        ; implicit-def: $vgpr75
	s_waitcnt vmcnt(1)
	v_mad_u32_u24 v5, v40, v5, v41
	s_waitcnt vmcnt(0)
	v_mad_u64_u32 v[20:21], s[36:37], v5, v20, v[2:3]
	v_lshrrev_b32_e32 v88, 6, v20
	s_branch .LBB425_240
.LBB425_239:                            ;   in Loop: Header=BB425_240 Depth=2
	s_or_b64 exec, exec, s[36:37]
	s_addk_i32 s78, 0xf800
	s_cmp_lt_u32 s79, s76
	s_mov_b32 s72, s79
	s_cbranch_scc0 .LBB425_352
.LBB425_240:                            ;   Parent Loop BB425_20 Depth=1
                                        ; =>  This Inner Loop Header: Depth=2
	s_add_i32 s79, s72, 0x800
	s_cmp_gt_u32 s79, s76
	s_cbranch_scc1 .LBB425_243
; %bb.241:                              ;   in Loop: Header=BB425_240 Depth=2
	v_add_co_u32_e32 v20, vcc, s72, v74
	v_addc_co_u32_e32 v21, vcc, 0, v76, vcc
	global_load_ubyte v23, v[20:21], off offset:384
	global_load_ubyte v91, v[20:21], off offset:320
	;; [unrolled: 1-line block ×6, first 2 shown]
	global_load_ubyte v5, v[20:21], off
	s_mov_b64 s[36:37], -1
	s_movk_i32 s40, 0x800
	s_cbranch_execz .LBB425_244
; %bb.242:                              ;   in Loop: Header=BB425_240 Depth=2
                                        ; implicit-def: $vgpr22
	v_mov_b32_e32 v89, s78
	s_and_saveexec_b64 s[38:39], s[36:37]
	s_cbranch_execnz .LBB425_253
	s_branch .LBB425_254
.LBB425_243:                            ;   in Loop: Header=BB425_240 Depth=2
	s_mov_b64 s[36:37], 0
                                        ; implicit-def: $sgpr40
                                        ; implicit-def: $vgpr5
                                        ; implicit-def: $vgpr94
                                        ; implicit-def: $vgpr99
                                        ; implicit-def: $vgpr101
                                        ; implicit-def: $vgpr96
                                        ; implicit-def: $vgpr91
                                        ; implicit-def: $vgpr23
.LBB425_244:                            ;   in Loop: Header=BB425_240 Depth=2
	v_add_co_u32_e32 v20, vcc, s72, v74
	v_addc_co_u32_e32 v21, vcc, 0, v76, vcc
	v_cmp_gt_u32_e32 vcc, s78, v72
	s_waitcnt vmcnt(0)
	v_mov_b32_e32 v5, 0x7f
	v_mov_b32_e32 v22, 0x7f
	;; [unrolled: 1-line block ×8, first 2 shown]
	s_and_saveexec_b64 s[36:37], vcc
	s_cbranch_execz .LBB425_346
; %bb.245:                              ;   in Loop: Header=BB425_240 Depth=2
	global_load_ubyte v5, v[20:21], off
	v_mov_b32_e32 v94, 0x7f
	v_mov_b32_e32 v99, 0x7f
	;; [unrolled: 1-line block ×7, first 2 shown]
	s_or_b64 exec, exec, s[36:37]
	v_cmp_gt_u32_e32 vcc, s78, v79
	s_and_saveexec_b64 s[36:37], vcc
	s_cbranch_execnz .LBB425_347
.LBB425_246:                            ;   in Loop: Header=BB425_240 Depth=2
	s_or_b64 exec, exec, s[36:37]
	v_cmp_gt_u32_e32 vcc, s78, v80
	s_and_saveexec_b64 s[36:37], vcc
	s_cbranch_execz .LBB425_348
.LBB425_247:                            ;   in Loop: Header=BB425_240 Depth=2
	global_load_ubyte v99, v[20:21], off offset:128
	s_or_b64 exec, exec, s[36:37]
	v_cmp_gt_u32_e32 vcc, s78, v81
	s_and_saveexec_b64 s[36:37], vcc
	s_cbranch_execnz .LBB425_349
.LBB425_248:                            ;   in Loop: Header=BB425_240 Depth=2
	s_or_b64 exec, exec, s[36:37]
	v_cmp_gt_u32_e32 vcc, s78, v82
	s_and_saveexec_b64 s[36:37], vcc
	s_cbranch_execz .LBB425_350
.LBB425_249:                            ;   in Loop: Header=BB425_240 Depth=2
	global_load_ubyte v96, v[20:21], off offset:256
	s_or_b64 exec, exec, s[36:37]
	v_cmp_gt_u32_e32 vcc, s78, v83
	s_and_saveexec_b64 s[36:37], vcc
	s_cbranch_execnz .LBB425_351
.LBB425_250:                            ;   in Loop: Header=BB425_240 Depth=2
	s_or_b64 exec, exec, s[36:37]
	v_cmp_gt_u32_e32 vcc, s78, v84
	s_and_saveexec_b64 s[36:37], vcc
	s_cbranch_execz .LBB425_252
.LBB425_251:                            ;   in Loop: Header=BB425_240 Depth=2
	global_load_ubyte v23, v[20:21], off offset:384
.LBB425_252:                            ;   in Loop: Header=BB425_240 Depth=2
	s_or_b64 exec, exec, s[36:37]
	s_sub_i32 s40, s76, s72
	v_cmp_gt_u32_e64 s[36:37], s78, v85
	v_mov_b32_e32 v89, s78
	s_and_saveexec_b64 s[38:39], s[36:37]
	s_cbranch_execz .LBB425_254
.LBB425_253:                            ;   in Loop: Header=BB425_240 Depth=2
	v_mov_b32_e32 v21, s73
	v_add_co_u32_e32 v20, vcc, s72, v86
	v_addc_co_u32_e32 v21, vcc, v87, v21, vcc
	global_load_ubyte v22, v[20:21], off
	v_mov_b32_e32 v89, s40
.LBB425_254:                            ;   in Loop: Header=BB425_240 Depth=2
	s_or_b64 exec, exec, s[38:39]
	s_waitcnt vmcnt(0)
	v_xor_b32_e32 v90, 0xffffff80, v5
	v_add_u32_e32 v5, 0x410, v42
	ds_write2_b32 v5, v4, v4 offset1:1
	ds_write2_b32 v44, v4, v4 offset0:2 offset1:3
	ds_write_b32 v44, v4 offset:16
	v_lshrrev_b32_sdwa v5, s68, v90 dst_sel:DWORD dst_unused:UNUSED_PAD src0_sel:DWORD src1_sel:BYTE_0
	v_and_b32_e32 v20, s77, v5
	v_mad_u32_u24 v5, v20, 5, v88
	v_lshl_add_u32 v92, v5, 2, v43
	v_and_b32_e32 v5, 1, v20
	v_add_co_u32_e32 v21, vcc, -1, v5
	v_addc_co_u32_e64 v93, s[36:37], 0, -1, vcc
	v_cmp_ne_u32_e32 vcc, 0, v5
	v_xor_b32_e32 v5, vcc_hi, v93
	v_and_b32_e32 v93, exec_hi, v5
	v_lshlrev_b32_e32 v5, 30, v20
	v_xor_b32_e32 v21, vcc_lo, v21
	v_cmp_gt_i64_e32 vcc, 0, v[4:5]
	v_not_b32_e32 v5, v5
	v_ashrrev_i32_e32 v5, 31, v5
	v_and_b32_e32 v21, exec_lo, v21
	v_xor_b32_e32 v95, vcc_hi, v5
	v_xor_b32_e32 v5, vcc_lo, v5
	v_and_b32_e32 v21, v21, v5
	v_lshlrev_b32_e32 v5, 29, v20
	v_cmp_gt_i64_e32 vcc, 0, v[4:5]
	v_not_b32_e32 v5, v5
	v_ashrrev_i32_e32 v5, 31, v5
	v_and_b32_e32 v93, v93, v95
	v_xor_b32_e32 v95, vcc_hi, v5
	v_xor_b32_e32 v5, vcc_lo, v5
	v_and_b32_e32 v21, v21, v5
	v_lshlrev_b32_e32 v5, 28, v20
	v_cmp_gt_i64_e32 vcc, 0, v[4:5]
	v_not_b32_e32 v5, v5
	v_ashrrev_i32_e32 v5, 31, v5
	v_and_b32_e32 v93, v93, v95
	;; [unrolled: 8-line block ×5, first 2 shown]
	v_xor_b32_e32 v95, vcc_hi, v5
	v_xor_b32_e32 v5, vcc_lo, v5
	v_and_b32_e32 v93, v93, v95
	v_and_b32_e32 v95, v21, v5
	v_lshlrev_b32_e32 v5, 24, v20
	v_cmp_gt_i64_e32 vcc, 0, v[4:5]
	v_not_b32_e32 v5, v5
	v_ashrrev_i32_e32 v5, 31, v5
	v_xor_b32_e32 v20, vcc_hi, v5
	v_xor_b32_e32 v5, vcc_lo, v5
	v_and_b32_e32 v21, v93, v20
	v_and_b32_e32 v20, v95, v5
	v_mbcnt_lo_u32_b32 v5, v20, 0
	v_mbcnt_hi_u32_b32 v93, v21, v5
	v_cmp_eq_u32_e32 vcc, 0, v93
	v_cmp_ne_u64_e64 s[36:37], 0, v[20:21]
	s_and_b64 s[38:39], s[36:37], vcc
	s_waitcnt lgkmcnt(0)
	s_barrier
	s_waitcnt lgkmcnt(0)
	; wave barrier
	s_and_saveexec_b64 s[36:37], s[38:39]
	s_cbranch_execz .LBB425_256
; %bb.255:                              ;   in Loop: Header=BB425_240 Depth=2
	v_bcnt_u32_b32 v5, v20, 0
	v_bcnt_u32_b32 v5, v21, v5
	ds_write_b32 v92, v5
.LBB425_256:                            ;   in Loop: Header=BB425_240 Depth=2
	s_or_b64 exec, exec, s[36:37]
	v_xor_b32_e32 v94, 0xffffff80, v94
	v_lshrrev_b32_sdwa v5, s68, v94 dst_sel:DWORD dst_unused:UNUSED_PAD src0_sel:DWORD src1_sel:BYTE_0
	v_and_b32_e32 v20, s77, v5
	v_mul_u32_u24_e32 v5, 5, v20
	v_add_lshl_u32 v5, v5, v88, 2
	; wave barrier
	v_add_u32_e32 v97, 0x410, v5
	ds_read_b32 v95, v5 offset:1040
	v_and_b32_e32 v5, 1, v20
	v_add_co_u32_e32 v21, vcc, -1, v5
	v_addc_co_u32_e64 v98, s[36:37], 0, -1, vcc
	v_cmp_ne_u32_e32 vcc, 0, v5
	v_xor_b32_e32 v5, vcc_hi, v98
	v_and_b32_e32 v98, exec_hi, v5
	v_lshlrev_b32_e32 v5, 30, v20
	v_xor_b32_e32 v21, vcc_lo, v21
	v_cmp_gt_i64_e32 vcc, 0, v[4:5]
	v_not_b32_e32 v5, v5
	v_ashrrev_i32_e32 v5, 31, v5
	v_and_b32_e32 v21, exec_lo, v21
	v_xor_b32_e32 v100, vcc_hi, v5
	v_xor_b32_e32 v5, vcc_lo, v5
	v_and_b32_e32 v21, v21, v5
	v_lshlrev_b32_e32 v5, 29, v20
	v_cmp_gt_i64_e32 vcc, 0, v[4:5]
	v_not_b32_e32 v5, v5
	v_ashrrev_i32_e32 v5, 31, v5
	v_and_b32_e32 v98, v98, v100
	v_xor_b32_e32 v100, vcc_hi, v5
	v_xor_b32_e32 v5, vcc_lo, v5
	v_and_b32_e32 v21, v21, v5
	v_lshlrev_b32_e32 v5, 28, v20
	v_cmp_gt_i64_e32 vcc, 0, v[4:5]
	v_not_b32_e32 v5, v5
	v_ashrrev_i32_e32 v5, 31, v5
	v_and_b32_e32 v98, v98, v100
	;; [unrolled: 8-line block ×5, first 2 shown]
	v_xor_b32_e32 v100, vcc_hi, v5
	v_xor_b32_e32 v5, vcc_lo, v5
	v_and_b32_e32 v98, v98, v100
	v_and_b32_e32 v100, v21, v5
	v_lshlrev_b32_e32 v5, 24, v20
	v_cmp_gt_i64_e32 vcc, 0, v[4:5]
	v_not_b32_e32 v5, v5
	v_ashrrev_i32_e32 v5, 31, v5
	v_xor_b32_e32 v20, vcc_hi, v5
	v_xor_b32_e32 v5, vcc_lo, v5
	v_and_b32_e32 v21, v98, v20
	v_and_b32_e32 v20, v100, v5
	v_mbcnt_lo_u32_b32 v5, v20, 0
	v_mbcnt_hi_u32_b32 v98, v21, v5
	v_cmp_eq_u32_e32 vcc, 0, v98
	v_cmp_ne_u64_e64 s[36:37], 0, v[20:21]
	s_and_b64 s[38:39], s[36:37], vcc
	; wave barrier
	s_and_saveexec_b64 s[36:37], s[38:39]
	s_cbranch_execz .LBB425_258
; %bb.257:                              ;   in Loop: Header=BB425_240 Depth=2
	v_bcnt_u32_b32 v5, v20, 0
	v_bcnt_u32_b32 v5, v21, v5
	s_waitcnt lgkmcnt(0)
	v_add_u32_e32 v5, v95, v5
	ds_write_b32 v97, v5
.LBB425_258:                            ;   in Loop: Header=BB425_240 Depth=2
	s_or_b64 exec, exec, s[36:37]
	v_xor_b32_e32 v99, 0xffffff80, v99
	v_lshrrev_b32_sdwa v5, s68, v99 dst_sel:DWORD dst_unused:UNUSED_PAD src0_sel:DWORD src1_sel:BYTE_0
	v_and_b32_e32 v20, s77, v5
	v_mul_u32_u24_e32 v5, 5, v20
	v_add_lshl_u32 v5, v5, v88, 2
	; wave barrier
	v_add_u32_e32 v102, 0x410, v5
	ds_read_b32 v100, v5 offset:1040
	v_and_b32_e32 v5, 1, v20
	v_add_co_u32_e32 v21, vcc, -1, v5
	v_addc_co_u32_e64 v103, s[36:37], 0, -1, vcc
	v_cmp_ne_u32_e32 vcc, 0, v5
	v_xor_b32_e32 v5, vcc_hi, v103
	v_and_b32_e32 v103, exec_hi, v5
	v_lshlrev_b32_e32 v5, 30, v20
	v_xor_b32_e32 v21, vcc_lo, v21
	v_cmp_gt_i64_e32 vcc, 0, v[4:5]
	v_not_b32_e32 v5, v5
	v_ashrrev_i32_e32 v5, 31, v5
	v_and_b32_e32 v21, exec_lo, v21
	v_xor_b32_e32 v104, vcc_hi, v5
	v_xor_b32_e32 v5, vcc_lo, v5
	v_and_b32_e32 v21, v21, v5
	v_lshlrev_b32_e32 v5, 29, v20
	v_cmp_gt_i64_e32 vcc, 0, v[4:5]
	v_not_b32_e32 v5, v5
	v_ashrrev_i32_e32 v5, 31, v5
	v_and_b32_e32 v103, v103, v104
	v_xor_b32_e32 v104, vcc_hi, v5
	v_xor_b32_e32 v5, vcc_lo, v5
	v_and_b32_e32 v21, v21, v5
	v_lshlrev_b32_e32 v5, 28, v20
	v_cmp_gt_i64_e32 vcc, 0, v[4:5]
	v_not_b32_e32 v5, v5
	v_ashrrev_i32_e32 v5, 31, v5
	v_and_b32_e32 v103, v103, v104
	;; [unrolled: 8-line block ×5, first 2 shown]
	v_xor_b32_e32 v104, vcc_hi, v5
	v_xor_b32_e32 v5, vcc_lo, v5
	v_and_b32_e32 v103, v103, v104
	v_and_b32_e32 v104, v21, v5
	v_lshlrev_b32_e32 v5, 24, v20
	v_cmp_gt_i64_e32 vcc, 0, v[4:5]
	v_not_b32_e32 v5, v5
	v_ashrrev_i32_e32 v5, 31, v5
	v_xor_b32_e32 v20, vcc_hi, v5
	v_xor_b32_e32 v5, vcc_lo, v5
	v_and_b32_e32 v21, v103, v20
	v_and_b32_e32 v20, v104, v5
	v_mbcnt_lo_u32_b32 v5, v20, 0
	v_mbcnt_hi_u32_b32 v103, v21, v5
	v_cmp_eq_u32_e32 vcc, 0, v103
	v_cmp_ne_u64_e64 s[36:37], 0, v[20:21]
	s_and_b64 s[38:39], s[36:37], vcc
	; wave barrier
	s_and_saveexec_b64 s[36:37], s[38:39]
	s_cbranch_execz .LBB425_260
; %bb.259:                              ;   in Loop: Header=BB425_240 Depth=2
	v_bcnt_u32_b32 v5, v20, 0
	v_bcnt_u32_b32 v5, v21, v5
	s_waitcnt lgkmcnt(0)
	v_add_u32_e32 v5, v100, v5
	ds_write_b32 v102, v5
.LBB425_260:                            ;   in Loop: Header=BB425_240 Depth=2
	s_or_b64 exec, exec, s[36:37]
	v_xor_b32_e32 v101, 0xffffff80, v101
	v_lshrrev_b32_sdwa v5, s68, v101 dst_sel:DWORD dst_unused:UNUSED_PAD src0_sel:DWORD src1_sel:BYTE_0
	v_and_b32_e32 v20, s77, v5
	v_mul_u32_u24_e32 v5, 5, v20
	v_add_lshl_u32 v5, v5, v88, 2
	; wave barrier
	v_add_u32_e32 v105, 0x410, v5
	ds_read_b32 v104, v5 offset:1040
	v_and_b32_e32 v5, 1, v20
	v_add_co_u32_e32 v21, vcc, -1, v5
	v_addc_co_u32_e64 v106, s[36:37], 0, -1, vcc
	v_cmp_ne_u32_e32 vcc, 0, v5
	v_xor_b32_e32 v5, vcc_hi, v106
	v_and_b32_e32 v106, exec_hi, v5
	v_lshlrev_b32_e32 v5, 30, v20
	v_xor_b32_e32 v21, vcc_lo, v21
	v_cmp_gt_i64_e32 vcc, 0, v[4:5]
	v_not_b32_e32 v5, v5
	v_ashrrev_i32_e32 v5, 31, v5
	v_and_b32_e32 v21, exec_lo, v21
	v_xor_b32_e32 v107, vcc_hi, v5
	v_xor_b32_e32 v5, vcc_lo, v5
	v_and_b32_e32 v21, v21, v5
	v_lshlrev_b32_e32 v5, 29, v20
	v_cmp_gt_i64_e32 vcc, 0, v[4:5]
	v_not_b32_e32 v5, v5
	v_ashrrev_i32_e32 v5, 31, v5
	v_and_b32_e32 v106, v106, v107
	v_xor_b32_e32 v107, vcc_hi, v5
	v_xor_b32_e32 v5, vcc_lo, v5
	v_and_b32_e32 v21, v21, v5
	v_lshlrev_b32_e32 v5, 28, v20
	v_cmp_gt_i64_e32 vcc, 0, v[4:5]
	v_not_b32_e32 v5, v5
	v_ashrrev_i32_e32 v5, 31, v5
	v_and_b32_e32 v106, v106, v107
	;; [unrolled: 8-line block ×5, first 2 shown]
	v_xor_b32_e32 v107, vcc_hi, v5
	v_xor_b32_e32 v5, vcc_lo, v5
	v_and_b32_e32 v106, v106, v107
	v_and_b32_e32 v107, v21, v5
	v_lshlrev_b32_e32 v5, 24, v20
	v_cmp_gt_i64_e32 vcc, 0, v[4:5]
	v_not_b32_e32 v5, v5
	v_ashrrev_i32_e32 v5, 31, v5
	v_xor_b32_e32 v20, vcc_hi, v5
	v_xor_b32_e32 v5, vcc_lo, v5
	v_and_b32_e32 v21, v106, v20
	v_and_b32_e32 v20, v107, v5
	v_mbcnt_lo_u32_b32 v5, v20, 0
	v_mbcnt_hi_u32_b32 v106, v21, v5
	v_cmp_eq_u32_e32 vcc, 0, v106
	v_cmp_ne_u64_e64 s[36:37], 0, v[20:21]
	s_and_b64 s[38:39], s[36:37], vcc
	; wave barrier
	s_and_saveexec_b64 s[36:37], s[38:39]
	s_cbranch_execz .LBB425_262
; %bb.261:                              ;   in Loop: Header=BB425_240 Depth=2
	v_bcnt_u32_b32 v5, v20, 0
	v_bcnt_u32_b32 v5, v21, v5
	s_waitcnt lgkmcnt(0)
	v_add_u32_e32 v5, v104, v5
	ds_write_b32 v105, v5
.LBB425_262:                            ;   in Loop: Header=BB425_240 Depth=2
	s_or_b64 exec, exec, s[36:37]
	v_xor_b32_e32 v96, 0xffffff80, v96
	v_lshrrev_b32_sdwa v5, s68, v96 dst_sel:DWORD dst_unused:UNUSED_PAD src0_sel:DWORD src1_sel:BYTE_0
	v_and_b32_e32 v20, s77, v5
	v_mul_u32_u24_e32 v5, 5, v20
	v_add_lshl_u32 v5, v5, v88, 2
	; wave barrier
	v_add_u32_e32 v108, 0x410, v5
	ds_read_b32 v107, v5 offset:1040
	v_and_b32_e32 v5, 1, v20
	v_add_co_u32_e32 v21, vcc, -1, v5
	v_addc_co_u32_e64 v109, s[36:37], 0, -1, vcc
	v_cmp_ne_u32_e32 vcc, 0, v5
	v_xor_b32_e32 v5, vcc_hi, v109
	v_and_b32_e32 v109, exec_hi, v5
	v_lshlrev_b32_e32 v5, 30, v20
	v_xor_b32_e32 v21, vcc_lo, v21
	v_cmp_gt_i64_e32 vcc, 0, v[4:5]
	v_not_b32_e32 v5, v5
	v_ashrrev_i32_e32 v5, 31, v5
	v_and_b32_e32 v21, exec_lo, v21
	v_xor_b32_e32 v110, vcc_hi, v5
	v_xor_b32_e32 v5, vcc_lo, v5
	v_and_b32_e32 v21, v21, v5
	v_lshlrev_b32_e32 v5, 29, v20
	v_cmp_gt_i64_e32 vcc, 0, v[4:5]
	v_not_b32_e32 v5, v5
	v_ashrrev_i32_e32 v5, 31, v5
	v_and_b32_e32 v109, v109, v110
	v_xor_b32_e32 v110, vcc_hi, v5
	v_xor_b32_e32 v5, vcc_lo, v5
	v_and_b32_e32 v21, v21, v5
	v_lshlrev_b32_e32 v5, 28, v20
	v_cmp_gt_i64_e32 vcc, 0, v[4:5]
	v_not_b32_e32 v5, v5
	v_ashrrev_i32_e32 v5, 31, v5
	v_and_b32_e32 v109, v109, v110
	;; [unrolled: 8-line block ×5, first 2 shown]
	v_xor_b32_e32 v110, vcc_hi, v5
	v_xor_b32_e32 v5, vcc_lo, v5
	v_and_b32_e32 v109, v109, v110
	v_and_b32_e32 v110, v21, v5
	v_lshlrev_b32_e32 v5, 24, v20
	v_cmp_gt_i64_e32 vcc, 0, v[4:5]
	v_not_b32_e32 v5, v5
	v_ashrrev_i32_e32 v5, 31, v5
	v_xor_b32_e32 v20, vcc_hi, v5
	v_xor_b32_e32 v5, vcc_lo, v5
	v_and_b32_e32 v21, v109, v20
	v_and_b32_e32 v20, v110, v5
	v_mbcnt_lo_u32_b32 v5, v20, 0
	v_mbcnt_hi_u32_b32 v109, v21, v5
	v_cmp_eq_u32_e32 vcc, 0, v109
	v_cmp_ne_u64_e64 s[36:37], 0, v[20:21]
	s_and_b64 s[38:39], s[36:37], vcc
	; wave barrier
	s_and_saveexec_b64 s[36:37], s[38:39]
	s_cbranch_execz .LBB425_264
; %bb.263:                              ;   in Loop: Header=BB425_240 Depth=2
	v_bcnt_u32_b32 v5, v20, 0
	v_bcnt_u32_b32 v5, v21, v5
	s_waitcnt lgkmcnt(0)
	v_add_u32_e32 v5, v107, v5
	ds_write_b32 v108, v5
.LBB425_264:                            ;   in Loop: Header=BB425_240 Depth=2
	s_or_b64 exec, exec, s[36:37]
	v_xor_b32_e32 v91, 0xffffff80, v91
	v_lshrrev_b32_sdwa v5, s68, v91 dst_sel:DWORD dst_unused:UNUSED_PAD src0_sel:DWORD src1_sel:BYTE_0
	v_and_b32_e32 v20, s77, v5
	v_mul_u32_u24_e32 v5, 5, v20
	v_add_lshl_u32 v5, v5, v88, 2
	; wave barrier
	v_add_u32_e32 v111, 0x410, v5
	ds_read_b32 v110, v5 offset:1040
	v_and_b32_e32 v5, 1, v20
	v_add_co_u32_e32 v21, vcc, -1, v5
	v_addc_co_u32_e64 v112, s[36:37], 0, -1, vcc
	v_cmp_ne_u32_e32 vcc, 0, v5
	v_xor_b32_e32 v5, vcc_hi, v112
	v_and_b32_e32 v112, exec_hi, v5
	v_lshlrev_b32_e32 v5, 30, v20
	v_xor_b32_e32 v21, vcc_lo, v21
	v_cmp_gt_i64_e32 vcc, 0, v[4:5]
	v_not_b32_e32 v5, v5
	v_ashrrev_i32_e32 v5, 31, v5
	v_and_b32_e32 v21, exec_lo, v21
	v_xor_b32_e32 v113, vcc_hi, v5
	v_xor_b32_e32 v5, vcc_lo, v5
	v_and_b32_e32 v21, v21, v5
	v_lshlrev_b32_e32 v5, 29, v20
	v_cmp_gt_i64_e32 vcc, 0, v[4:5]
	v_not_b32_e32 v5, v5
	v_ashrrev_i32_e32 v5, 31, v5
	v_and_b32_e32 v112, v112, v113
	v_xor_b32_e32 v113, vcc_hi, v5
	v_xor_b32_e32 v5, vcc_lo, v5
	v_and_b32_e32 v21, v21, v5
	v_lshlrev_b32_e32 v5, 28, v20
	v_cmp_gt_i64_e32 vcc, 0, v[4:5]
	v_not_b32_e32 v5, v5
	v_ashrrev_i32_e32 v5, 31, v5
	v_and_b32_e32 v112, v112, v113
	;; [unrolled: 8-line block ×5, first 2 shown]
	v_xor_b32_e32 v113, vcc_hi, v5
	v_xor_b32_e32 v5, vcc_lo, v5
	v_and_b32_e32 v112, v112, v113
	v_and_b32_e32 v113, v21, v5
	v_lshlrev_b32_e32 v5, 24, v20
	v_cmp_gt_i64_e32 vcc, 0, v[4:5]
	v_not_b32_e32 v5, v5
	v_ashrrev_i32_e32 v5, 31, v5
	v_xor_b32_e32 v20, vcc_hi, v5
	v_xor_b32_e32 v5, vcc_lo, v5
	v_and_b32_e32 v21, v112, v20
	v_and_b32_e32 v20, v113, v5
	v_mbcnt_lo_u32_b32 v5, v20, 0
	v_mbcnt_hi_u32_b32 v112, v21, v5
	v_cmp_eq_u32_e32 vcc, 0, v112
	v_cmp_ne_u64_e64 s[36:37], 0, v[20:21]
	s_and_b64 s[38:39], s[36:37], vcc
	; wave barrier
	s_and_saveexec_b64 s[36:37], s[38:39]
	s_cbranch_execz .LBB425_266
; %bb.265:                              ;   in Loop: Header=BB425_240 Depth=2
	v_bcnt_u32_b32 v5, v20, 0
	v_bcnt_u32_b32 v5, v21, v5
	s_waitcnt lgkmcnt(0)
	v_add_u32_e32 v5, v110, v5
	ds_write_b32 v111, v5
.LBB425_266:                            ;   in Loop: Header=BB425_240 Depth=2
	s_or_b64 exec, exec, s[36:37]
	v_xor_b32_e32 v113, 0xffffff80, v23
	v_lshrrev_b32_sdwa v5, s68, v113 dst_sel:DWORD dst_unused:UNUSED_PAD src0_sel:DWORD src1_sel:BYTE_0
	v_and_b32_e32 v20, s77, v5
	v_mul_u32_u24_e32 v5, 5, v20
	v_add_lshl_u32 v5, v5, v88, 2
	; wave barrier
	v_add_u32_e32 v115, 0x410, v5
	ds_read_b32 v114, v5 offset:1040
	v_and_b32_e32 v5, 1, v20
	v_add_co_u32_e32 v21, vcc, -1, v5
	v_addc_co_u32_e64 v23, s[36:37], 0, -1, vcc
	v_cmp_ne_u32_e32 vcc, 0, v5
	v_xor_b32_e32 v5, vcc_hi, v23
	v_and_b32_e32 v23, exec_hi, v5
	v_lshlrev_b32_e32 v5, 30, v20
	v_xor_b32_e32 v21, vcc_lo, v21
	v_cmp_gt_i64_e32 vcc, 0, v[4:5]
	v_not_b32_e32 v5, v5
	v_ashrrev_i32_e32 v5, 31, v5
	v_and_b32_e32 v21, exec_lo, v21
	v_xor_b32_e32 v116, vcc_hi, v5
	v_xor_b32_e32 v5, vcc_lo, v5
	v_and_b32_e32 v21, v21, v5
	v_lshlrev_b32_e32 v5, 29, v20
	v_cmp_gt_i64_e32 vcc, 0, v[4:5]
	v_not_b32_e32 v5, v5
	v_ashrrev_i32_e32 v5, 31, v5
	v_and_b32_e32 v23, v23, v116
	v_xor_b32_e32 v116, vcc_hi, v5
	v_xor_b32_e32 v5, vcc_lo, v5
	v_and_b32_e32 v21, v21, v5
	v_lshlrev_b32_e32 v5, 28, v20
	v_cmp_gt_i64_e32 vcc, 0, v[4:5]
	v_not_b32_e32 v5, v5
	v_ashrrev_i32_e32 v5, 31, v5
	v_and_b32_e32 v23, v23, v116
	;; [unrolled: 8-line block ×5, first 2 shown]
	v_xor_b32_e32 v116, vcc_hi, v5
	v_xor_b32_e32 v5, vcc_lo, v5
	v_and_b32_e32 v23, v23, v116
	v_and_b32_e32 v116, v21, v5
	v_lshlrev_b32_e32 v5, 24, v20
	v_cmp_gt_i64_e32 vcc, 0, v[4:5]
	v_not_b32_e32 v5, v5
	v_ashrrev_i32_e32 v5, 31, v5
	v_xor_b32_e32 v20, vcc_hi, v5
	v_xor_b32_e32 v5, vcc_lo, v5
	v_and_b32_e32 v21, v23, v20
	v_and_b32_e32 v20, v116, v5
	v_mbcnt_lo_u32_b32 v5, v20, 0
	v_mbcnt_hi_u32_b32 v116, v21, v5
	v_cmp_eq_u32_e32 vcc, 0, v116
	v_cmp_ne_u64_e64 s[36:37], 0, v[20:21]
	s_and_b64 s[38:39], s[36:37], vcc
	; wave barrier
	s_and_saveexec_b64 s[36:37], s[38:39]
	s_cbranch_execz .LBB425_268
; %bb.267:                              ;   in Loop: Header=BB425_240 Depth=2
	v_bcnt_u32_b32 v5, v20, 0
	v_bcnt_u32_b32 v5, v21, v5
	s_waitcnt lgkmcnt(0)
	v_add_u32_e32 v5, v114, v5
	ds_write_b32 v115, v5
.LBB425_268:                            ;   in Loop: Header=BB425_240 Depth=2
	s_or_b64 exec, exec, s[36:37]
	v_xor_b32_e32 v117, 0xffffff80, v22
	v_lshrrev_b32_sdwa v5, s68, v117 dst_sel:DWORD dst_unused:UNUSED_PAD src0_sel:DWORD src1_sel:BYTE_0
	v_and_b32_e32 v20, s77, v5
	v_mul_u32_u24_e32 v5, 5, v20
	v_add_lshl_u32 v5, v5, v88, 2
	; wave barrier
	v_add_u32_e32 v119, 0x410, v5
	ds_read_b32 v118, v5 offset:1040
	v_and_b32_e32 v5, 1, v20
	v_add_co_u32_e32 v21, vcc, -1, v5
	v_addc_co_u32_e64 v22, s[36:37], 0, -1, vcc
	v_cmp_ne_u32_e32 vcc, 0, v5
	v_xor_b32_e32 v5, vcc_hi, v22
	v_and_b32_e32 v22, exec_hi, v5
	v_lshlrev_b32_e32 v5, 30, v20
	v_xor_b32_e32 v21, vcc_lo, v21
	v_cmp_gt_i64_e32 vcc, 0, v[4:5]
	v_not_b32_e32 v5, v5
	v_ashrrev_i32_e32 v5, 31, v5
	v_and_b32_e32 v21, exec_lo, v21
	v_xor_b32_e32 v23, vcc_hi, v5
	v_xor_b32_e32 v5, vcc_lo, v5
	v_and_b32_e32 v21, v21, v5
	v_lshlrev_b32_e32 v5, 29, v20
	v_cmp_gt_i64_e32 vcc, 0, v[4:5]
	v_not_b32_e32 v5, v5
	v_ashrrev_i32_e32 v5, 31, v5
	v_and_b32_e32 v22, v22, v23
	v_xor_b32_e32 v23, vcc_hi, v5
	v_xor_b32_e32 v5, vcc_lo, v5
	v_and_b32_e32 v21, v21, v5
	v_lshlrev_b32_e32 v5, 28, v20
	v_cmp_gt_i64_e32 vcc, 0, v[4:5]
	v_not_b32_e32 v5, v5
	v_ashrrev_i32_e32 v5, 31, v5
	v_and_b32_e32 v22, v22, v23
	;; [unrolled: 8-line block ×5, first 2 shown]
	v_xor_b32_e32 v23, vcc_hi, v5
	v_xor_b32_e32 v5, vcc_lo, v5
	v_and_b32_e32 v22, v22, v23
	v_and_b32_e32 v23, v21, v5
	v_lshlrev_b32_e32 v5, 24, v20
	v_cmp_gt_i64_e32 vcc, 0, v[4:5]
	v_not_b32_e32 v5, v5
	v_ashrrev_i32_e32 v5, 31, v5
	v_xor_b32_e32 v20, vcc_hi, v5
	v_xor_b32_e32 v5, vcc_lo, v5
	v_and_b32_e32 v21, v22, v20
	v_and_b32_e32 v20, v23, v5
	v_mbcnt_lo_u32_b32 v5, v20, 0
	v_mbcnt_hi_u32_b32 v120, v21, v5
	v_cmp_eq_u32_e32 vcc, 0, v120
	v_cmp_ne_u64_e64 s[36:37], 0, v[20:21]
	s_and_b64 s[38:39], s[36:37], vcc
	; wave barrier
	s_and_saveexec_b64 s[36:37], s[38:39]
	s_cbranch_execz .LBB425_270
; %bb.269:                              ;   in Loop: Header=BB425_240 Depth=2
	v_bcnt_u32_b32 v5, v20, 0
	v_bcnt_u32_b32 v5, v21, v5
	s_waitcnt lgkmcnt(0)
	v_add_u32_e32 v5, v118, v5
	ds_write_b32 v119, v5
.LBB425_270:                            ;   in Loop: Header=BB425_240 Depth=2
	s_or_b64 exec, exec, s[36:37]
	; wave barrier
	s_waitcnt lgkmcnt(0)
	s_barrier
	ds_read_b32 v5, v42 offset:1040
	ds_read2_b32 v[22:23], v44 offset0:1 offset1:2
	ds_read2_b32 v[20:21], v44 offset0:3 offset1:4
	s_waitcnt lgkmcnt(1)
	v_add3_u32 v121, v22, v5, v23
	s_waitcnt lgkmcnt(0)
	v_add3_u32 v21, v121, v20, v21
	s_nop 1
	v_mov_b32_dpp v121, v21 row_shr:1 row_mask:0xf bank_mask:0xf
	v_cndmask_b32_e64 v121, v121, 0, s[16:17]
	v_add_u32_e32 v21, v121, v21
	s_nop 1
	v_mov_b32_dpp v121, v21 row_shr:2 row_mask:0xf bank_mask:0xf
	v_cndmask_b32_e64 v121, 0, v121, s[18:19]
	v_add_u32_e32 v21, v21, v121
	s_nop 1
	v_mov_b32_dpp v121, v21 row_shr:4 row_mask:0xf bank_mask:0xf
	v_cndmask_b32_e64 v121, 0, v121, s[20:21]
	v_add_u32_e32 v21, v21, v121
	s_nop 1
	v_mov_b32_dpp v121, v21 row_shr:8 row_mask:0xf bank_mask:0xf
	v_cndmask_b32_e64 v121, 0, v121, s[22:23]
	v_add_u32_e32 v21, v21, v121
	s_nop 1
	v_mov_b32_dpp v121, v21 row_bcast:15 row_mask:0xf bank_mask:0xf
	v_cndmask_b32_e64 v121, v121, 0, s[24:25]
	v_add_u32_e32 v21, v21, v121
	s_nop 1
	v_mov_b32_dpp v121, v21 row_bcast:31 row_mask:0xf bank_mask:0xf
	v_cndmask_b32_e64 v121, 0, v121, s[26:27]
	v_add_u32_e32 v21, v21, v121
	s_and_saveexec_b64 s[36:37], s[6:7]
	s_cbranch_execz .LBB425_272
; %bb.271:                              ;   in Loop: Header=BB425_240 Depth=2
	ds_write_b32 v35, v21 offset:1024
.LBB425_272:                            ;   in Loop: Header=BB425_240 Depth=2
	s_or_b64 exec, exec, s[36:37]
	s_waitcnt lgkmcnt(0)
	s_barrier
	s_and_saveexec_b64 s[36:37], s[8:9]
	s_cbranch_execz .LBB425_274
; %bb.273:                              ;   in Loop: Header=BB425_240 Depth=2
	v_add_u32_e32 v121, v42, v45
	ds_read_b32 v122, v121 offset:1024
	s_waitcnt lgkmcnt(0)
	s_nop 0
	v_mov_b32_dpp v123, v122 row_shr:1 row_mask:0xf bank_mask:0xf
	v_cndmask_b32_e64 v123, v123, 0, s[30:31]
	v_add_u32_e32 v122, v123, v122
	s_nop 1
	v_mov_b32_dpp v123, v122 row_shr:2 row_mask:0xf bank_mask:0xf
	v_cndmask_b32_e64 v123, 0, v123, s[34:35]
	v_add_u32_e32 v122, v122, v123
	ds_write_b32 v121, v122 offset:1024
.LBB425_274:                            ;   in Loop: Header=BB425_240 Depth=2
	s_or_b64 exec, exec, s[36:37]
	v_mov_b32_e32 v121, 0
	s_waitcnt lgkmcnt(0)
	s_barrier
	s_and_saveexec_b64 s[36:37], s[10:11]
	s_cbranch_execz .LBB425_276
; %bb.275:                              ;   in Loop: Header=BB425_240 Depth=2
	ds_read_b32 v121, v35 offset:1020
.LBB425_276:                            ;   in Loop: Header=BB425_240 Depth=2
	s_or_b64 exec, exec, s[36:37]
	s_waitcnt lgkmcnt(0)
	v_add_u32_e32 v21, v121, v21
	ds_bpermute_b32 v21, v65, v21
	s_waitcnt lgkmcnt(0)
	v_cndmask_b32_e64 v21, v21, v121, s[28:29]
	v_cndmask_b32_e64 v21, v21, 0, s[12:13]
	v_add_u32_e32 v5, v21, v5
	ds_write_b32 v42, v21 offset:1040
	v_add_u32_e32 v21, v5, v22
	v_add_u32_e32 v22, v21, v23
	ds_write2_b32 v44, v5, v21 offset0:1 offset1:2
	v_add_u32_e32 v5, v22, v20
	ds_write2_b32 v44, v22, v5 offset0:3 offset1:4
	s_waitcnt lgkmcnt(0)
	s_barrier
	ds_read_b32 v20, v97
	ds_read_b32 v21, v102
	;; [unrolled: 1-line block ×8, first 2 shown]
	ds_read_b32 v97, v42 offset:1040
	v_mov_b32_e32 v5, 0x800
	s_and_saveexec_b64 s[36:37], s[14:15]
	s_cbranch_execz .LBB425_278
; %bb.277:                              ;   in Loop: Header=BB425_240 Depth=2
	ds_read_b32 v5, v42 offset:1060
.LBB425_278:                            ;   in Loop: Header=BB425_240 Depth=2
	s_or_b64 exec, exec, s[36:37]
	s_waitcnt lgkmcnt(0)
	s_barrier
	s_and_saveexec_b64 s[36:37], s[4:5]
	s_cbranch_execz .LBB425_280
; %bb.279:                              ;   in Loop: Header=BB425_240 Depth=2
	ds_read_b32 v102, v3
	s_waitcnt lgkmcnt(0)
	v_sub_u32_e32 v97, v102, v97
	ds_write_b32 v3, v97
.LBB425_280:                            ;   in Loop: Header=BB425_240 Depth=2
	s_or_b64 exec, exec, s[36:37]
	v_add_u32_e32 v102, v92, v93
	v_add3_u32 v98, v98, v95, v20
	v_add3_u32 v97, v103, v100, v21
	;; [unrolled: 1-line block ×7, first 2 shown]
	v_cmp_lt_u32_e64 s[48:49], v2, v89
	ds_write_b8 v102, v90 offset:1024
	ds_write_b8 v98, v94 offset:1024
	;; [unrolled: 1-line block ×8, first 2 shown]
	s_waitcnt lgkmcnt(0)
	s_barrier
	s_and_saveexec_b64 s[36:37], s[48:49]
	s_cbranch_execz .LBB425_288
; %bb.281:                              ;   in Loop: Header=BB425_240 Depth=2
	ds_read_u8 v20, v2 offset:1024
	s_waitcnt lgkmcnt(0)
	v_lshrrev_b32_sdwa v21, s68, v20 dst_sel:DWORD dst_unused:UNUSED_PAD src0_sel:DWORD src1_sel:BYTE_0
	v_and_b32_e32 v21, s77, v21
	v_lshlrev_b32_e32 v21, 2, v21
	ds_read_b32 v21, v21
	v_xor_b32_e32 v20, 0x80, v20
	s_waitcnt lgkmcnt(0)
	v_add_u32_e32 v21, v21, v2
	global_store_byte v21, v20, s[60:61]
	s_or_b64 exec, exec, s[36:37]
	v_cmp_lt_u32_e64 s[46:47], v24, v89
	s_and_saveexec_b64 s[36:37], s[46:47]
	s_cbranch_execnz .LBB425_289
.LBB425_282:                            ;   in Loop: Header=BB425_240 Depth=2
	s_or_b64 exec, exec, s[36:37]
	v_cmp_lt_u32_e64 s[44:45], v25, v89
	s_and_saveexec_b64 s[36:37], s[44:45]
	s_cbranch_execz .LBB425_290
.LBB425_283:                            ;   in Loop: Header=BB425_240 Depth=2
	ds_read_u8 v20, v30 offset:512
	s_waitcnt lgkmcnt(0)
	v_lshrrev_b32_sdwa v21, s68, v20 dst_sel:DWORD dst_unused:UNUSED_PAD src0_sel:DWORD src1_sel:BYTE_0
	v_and_b32_e32 v21, s77, v21
	v_lshlrev_b32_e32 v21, 2, v21
	ds_read_b32 v21, v21
	v_xor_b32_e32 v20, 0x80, v20
	s_waitcnt lgkmcnt(0)
	v_add_u32_e32 v21, v21, v25
	global_store_byte v21, v20, s[60:61]
	s_or_b64 exec, exec, s[36:37]
	v_cmp_lt_u32_e64 s[42:43], v26, v89
	s_and_saveexec_b64 s[36:37], s[42:43]
	s_cbranch_execnz .LBB425_291
.LBB425_284:                            ;   in Loop: Header=BB425_240 Depth=2
	s_or_b64 exec, exec, s[36:37]
	v_cmp_lt_u32_e64 s[40:41], v30, v89
	s_and_saveexec_b64 s[36:37], s[40:41]
	s_cbranch_execz .LBB425_292
.LBB425_285:                            ;   in Loop: Header=BB425_240 Depth=2
	ds_read_u8 v20, v30 offset:1024
	s_waitcnt lgkmcnt(0)
	v_lshrrev_b32_sdwa v21, s68, v20 dst_sel:DWORD dst_unused:UNUSED_PAD src0_sel:DWORD src1_sel:BYTE_0
	v_and_b32_e32 v21, s77, v21
	v_lshlrev_b32_e32 v21, 2, v21
	ds_read_b32 v21, v21
	v_xor_b32_e32 v20, 0x80, v20
	s_waitcnt lgkmcnt(0)
	v_add_u32_e32 v21, v21, v30
	global_store_byte v21, v20, s[60:61]
	s_or_b64 exec, exec, s[36:37]
	v_cmp_lt_u32_e64 s[38:39], v31, v89
	s_and_saveexec_b64 s[36:37], s[38:39]
	s_cbranch_execnz .LBB425_293
.LBB425_286:                            ;   in Loop: Header=BB425_240 Depth=2
	s_or_b64 exec, exec, s[36:37]
	v_cmp_lt_u32_e64 s[36:37], v32, v89
	s_and_saveexec_b64 s[52:53], s[36:37]
	s_cbranch_execz .LBB425_294
.LBB425_287:                            ;   in Loop: Header=BB425_240 Depth=2
	ds_read_u8 v20, v30 offset:1536
	s_waitcnt lgkmcnt(0)
	v_lshrrev_b32_sdwa v21, s68, v20 dst_sel:DWORD dst_unused:UNUSED_PAD src0_sel:DWORD src1_sel:BYTE_0
	v_and_b32_e32 v21, s77, v21
	v_lshlrev_b32_e32 v21, 2, v21
	ds_read_b32 v21, v21
	v_xor_b32_e32 v20, 0x80, v20
	s_waitcnt lgkmcnt(0)
	v_add_u32_e32 v21, v21, v32
	global_store_byte v21, v20, s[60:61]
	s_or_b64 exec, exec, s[52:53]
	v_cmp_lt_u32_e32 vcc, v33, v89
	s_and_saveexec_b64 s[52:53], vcc
	s_cbranch_execnz .LBB425_295
	s_branch .LBB425_296
.LBB425_288:                            ;   in Loop: Header=BB425_240 Depth=2
	s_or_b64 exec, exec, s[36:37]
	v_cmp_lt_u32_e64 s[46:47], v24, v89
	s_and_saveexec_b64 s[36:37], s[46:47]
	s_cbranch_execz .LBB425_282
.LBB425_289:                            ;   in Loop: Header=BB425_240 Depth=2
	ds_read_u8 v20, v30 offset:256
	s_waitcnt lgkmcnt(0)
	v_lshrrev_b32_sdwa v21, s68, v20 dst_sel:DWORD dst_unused:UNUSED_PAD src0_sel:DWORD src1_sel:BYTE_0
	v_and_b32_e32 v21, s77, v21
	v_lshlrev_b32_e32 v21, 2, v21
	ds_read_b32 v21, v21
	v_xor_b32_e32 v20, 0x80, v20
	s_waitcnt lgkmcnt(0)
	v_add_u32_e32 v21, v21, v24
	global_store_byte v21, v20, s[60:61]
	s_or_b64 exec, exec, s[36:37]
	v_cmp_lt_u32_e64 s[44:45], v25, v89
	s_and_saveexec_b64 s[36:37], s[44:45]
	s_cbranch_execnz .LBB425_283
.LBB425_290:                            ;   in Loop: Header=BB425_240 Depth=2
	s_or_b64 exec, exec, s[36:37]
	v_cmp_lt_u32_e64 s[42:43], v26, v89
	s_and_saveexec_b64 s[36:37], s[42:43]
	s_cbranch_execz .LBB425_284
.LBB425_291:                            ;   in Loop: Header=BB425_240 Depth=2
	ds_read_u8 v20, v30 offset:768
	s_waitcnt lgkmcnt(0)
	v_lshrrev_b32_sdwa v21, s68, v20 dst_sel:DWORD dst_unused:UNUSED_PAD src0_sel:DWORD src1_sel:BYTE_0
	v_and_b32_e32 v21, s77, v21
	v_lshlrev_b32_e32 v21, 2, v21
	ds_read_b32 v21, v21
	v_xor_b32_e32 v20, 0x80, v20
	s_waitcnt lgkmcnt(0)
	v_add_u32_e32 v21, v21, v26
	global_store_byte v21, v20, s[60:61]
	s_or_b64 exec, exec, s[36:37]
	v_cmp_lt_u32_e64 s[40:41], v30, v89
	s_and_saveexec_b64 s[36:37], s[40:41]
	s_cbranch_execnz .LBB425_285
.LBB425_292:                            ;   in Loop: Header=BB425_240 Depth=2
	s_or_b64 exec, exec, s[36:37]
	v_cmp_lt_u32_e64 s[38:39], v31, v89
	s_and_saveexec_b64 s[36:37], s[38:39]
	s_cbranch_execz .LBB425_286
.LBB425_293:                            ;   in Loop: Header=BB425_240 Depth=2
	ds_read_u8 v20, v30 offset:1280
	s_waitcnt lgkmcnt(0)
	v_lshrrev_b32_sdwa v21, s68, v20 dst_sel:DWORD dst_unused:UNUSED_PAD src0_sel:DWORD src1_sel:BYTE_0
	v_and_b32_e32 v21, s77, v21
	v_lshlrev_b32_e32 v21, 2, v21
	ds_read_b32 v21, v21
	v_xor_b32_e32 v20, 0x80, v20
	s_waitcnt lgkmcnt(0)
	v_add_u32_e32 v21, v21, v31
	global_store_byte v21, v20, s[60:61]
	s_or_b64 exec, exec, s[36:37]
	v_cmp_lt_u32_e64 s[36:37], v32, v89
	s_and_saveexec_b64 s[52:53], s[36:37]
	s_cbranch_execnz .LBB425_287
.LBB425_294:                            ;   in Loop: Header=BB425_240 Depth=2
	s_or_b64 exec, exec, s[52:53]
	v_cmp_lt_u32_e32 vcc, v33, v89
	s_and_saveexec_b64 s[52:53], vcc
	s_cbranch_execz .LBB425_296
.LBB425_295:                            ;   in Loop: Header=BB425_240 Depth=2
	ds_read_u8 v20, v30 offset:1792
	s_waitcnt lgkmcnt(0)
	v_lshrrev_b32_sdwa v21, s68, v20 dst_sel:DWORD dst_unused:UNUSED_PAD src0_sel:DWORD src1_sel:BYTE_0
	v_and_b32_e32 v21, s77, v21
	v_lshlrev_b32_e32 v21, 2, v21
	ds_read_b32 v21, v21
	v_xor_b32_e32 v20, 0x80, v20
	s_waitcnt lgkmcnt(0)
	v_add_u32_e32 v21, v21, v33
	global_store_byte v21, v20, s[60:61]
.LBB425_296:                            ;   in Loop: Header=BB425_240 Depth=2
	s_or_b64 exec, exec, s[52:53]
	s_lshl_b64 s[52:53], s[72:73], 3
	v_mov_b32_e32 v21, s53
	v_add_co_u32_e64 v20, s[52:53], s52, v77
	v_addc_co_u32_e64 v21, s[52:53], v78, v21, s[52:53]
	v_cmp_lt_u32_e64 s[52:53], v72, v89
	s_and_saveexec_b64 s[62:63], s[52:53]
	s_xor_b64 s[52:53], exec, s[62:63]
	s_cbranch_execz .LBB425_312
; %bb.297:                              ;   in Loop: Header=BB425_240 Depth=2
	global_load_dwordx2 v[18:19], v[20:21], off
	s_or_b64 exec, exec, s[52:53]
	v_cmp_lt_u32_e64 s[52:53], v79, v89
	s_and_saveexec_b64 s[62:63], s[52:53]
	s_cbranch_execnz .LBB425_313
.LBB425_298:                            ;   in Loop: Header=BB425_240 Depth=2
	s_or_b64 exec, exec, s[62:63]
	v_cmp_lt_u32_e64 s[52:53], v80, v89
	s_and_saveexec_b64 s[62:63], s[52:53]
	s_cbranch_execz .LBB425_314
.LBB425_299:                            ;   in Loop: Header=BB425_240 Depth=2
	global_load_dwordx2 v[14:15], v[20:21], off offset:1024
	s_or_b64 exec, exec, s[62:63]
	v_cmp_lt_u32_e64 s[52:53], v81, v89
	s_and_saveexec_b64 s[62:63], s[52:53]
	s_cbranch_execnz .LBB425_315
.LBB425_300:                            ;   in Loop: Header=BB425_240 Depth=2
	s_or_b64 exec, exec, s[62:63]
	v_cmp_lt_u32_e64 s[52:53], v82, v89
	s_and_saveexec_b64 s[62:63], s[52:53]
	s_cbranch_execz .LBB425_316
.LBB425_301:                            ;   in Loop: Header=BB425_240 Depth=2
	global_load_dwordx2 v[10:11], v[20:21], off offset:2048
	s_or_b64 exec, exec, s[62:63]
	v_cmp_lt_u32_e64 s[52:53], v83, v89
	s_and_saveexec_b64 s[62:63], s[52:53]
	s_cbranch_execnz .LBB425_317
.LBB425_302:                            ;   in Loop: Header=BB425_240 Depth=2
	s_or_b64 exec, exec, s[62:63]
	v_cmp_lt_u32_e64 s[52:53], v84, v89
	s_and_saveexec_b64 s[62:63], s[52:53]
	s_cbranch_execz .LBB425_318
.LBB425_303:                            ;   in Loop: Header=BB425_240 Depth=2
	global_load_dwordx2 v[6:7], v[20:21], off offset:3072
	s_or_b64 exec, exec, s[62:63]
	v_cmp_lt_u32_e64 s[52:53], v85, v89
	s_and_saveexec_b64 s[62:63], s[52:53]
	s_cbranch_execnz .LBB425_319
.LBB425_304:                            ;   in Loop: Header=BB425_240 Depth=2
	s_or_b64 exec, exec, s[62:63]
	s_and_saveexec_b64 s[52:53], s[48:49]
	s_cbranch_execz .LBB425_320
.LBB425_305:                            ;   in Loop: Header=BB425_240 Depth=2
	ds_read_u8 v20, v2 offset:1024
	s_waitcnt lgkmcnt(0)
	v_lshrrev_b32_e32 v20, s68, v20
	v_and_b32_e32 v75, s77, v20
	s_or_b64 exec, exec, s[52:53]
	s_and_saveexec_b64 s[52:53], s[46:47]
	s_cbranch_execnz .LBB425_321
.LBB425_306:                            ;   in Loop: Header=BB425_240 Depth=2
	s_or_b64 exec, exec, s[52:53]
	s_and_saveexec_b64 s[52:53], s[44:45]
	s_cbranch_execz .LBB425_322
.LBB425_307:                            ;   in Loop: Header=BB425_240 Depth=2
	ds_read_u8 v20, v30 offset:512
	s_waitcnt lgkmcnt(0)
	v_lshrrev_b32_e32 v20, s68, v20
	v_and_b32_e32 v71, s77, v20
	s_or_b64 exec, exec, s[52:53]
	s_and_saveexec_b64 s[52:53], s[42:43]
	s_cbranch_execnz .LBB425_323
.LBB425_308:                            ;   in Loop: Header=BB425_240 Depth=2
	s_or_b64 exec, exec, s[52:53]
	s_and_saveexec_b64 s[52:53], s[40:41]
	s_cbranch_execz .LBB425_324
.LBB425_309:                            ;   in Loop: Header=BB425_240 Depth=2
	ds_read_u8 v20, v30 offset:1024
	s_waitcnt lgkmcnt(0)
	v_lshrrev_b32_e32 v20, s68, v20
	v_and_b32_e32 v69, s77, v20
	s_or_b64 exec, exec, s[52:53]
	s_and_saveexec_b64 s[52:53], s[38:39]
	s_cbranch_execnz .LBB425_325
.LBB425_310:                            ;   in Loop: Header=BB425_240 Depth=2
	s_or_b64 exec, exec, s[52:53]
	s_and_saveexec_b64 s[52:53], s[36:37]
	s_cbranch_execz .LBB425_326
.LBB425_311:                            ;   in Loop: Header=BB425_240 Depth=2
	ds_read_u8 v20, v30 offset:1536
	s_waitcnt lgkmcnt(0)
	v_lshrrev_b32_e32 v20, s68, v20
	v_and_b32_e32 v67, s77, v20
	s_or_b64 exec, exec, s[52:53]
	s_and_saveexec_b64 s[52:53], vcc
	s_cbranch_execnz .LBB425_327
	s_branch .LBB425_328
.LBB425_312:                            ;   in Loop: Header=BB425_240 Depth=2
	s_or_b64 exec, exec, s[52:53]
	v_cmp_lt_u32_e64 s[52:53], v79, v89
	s_and_saveexec_b64 s[62:63], s[52:53]
	s_cbranch_execz .LBB425_298
.LBB425_313:                            ;   in Loop: Header=BB425_240 Depth=2
	global_load_dwordx2 v[16:17], v[20:21], off offset:512
	s_or_b64 exec, exec, s[62:63]
	v_cmp_lt_u32_e64 s[52:53], v80, v89
	s_and_saveexec_b64 s[62:63], s[52:53]
	s_cbranch_execnz .LBB425_299
.LBB425_314:                            ;   in Loop: Header=BB425_240 Depth=2
	s_or_b64 exec, exec, s[62:63]
	v_cmp_lt_u32_e64 s[52:53], v81, v89
	s_and_saveexec_b64 s[62:63], s[52:53]
	s_cbranch_execz .LBB425_300
.LBB425_315:                            ;   in Loop: Header=BB425_240 Depth=2
	global_load_dwordx2 v[12:13], v[20:21], off offset:1536
	s_or_b64 exec, exec, s[62:63]
	v_cmp_lt_u32_e64 s[52:53], v82, v89
	s_and_saveexec_b64 s[62:63], s[52:53]
	s_cbranch_execnz .LBB425_301
.LBB425_316:                            ;   in Loop: Header=BB425_240 Depth=2
	s_or_b64 exec, exec, s[62:63]
	v_cmp_lt_u32_e64 s[52:53], v83, v89
	s_and_saveexec_b64 s[62:63], s[52:53]
	s_cbranch_execz .LBB425_302
.LBB425_317:                            ;   in Loop: Header=BB425_240 Depth=2
	global_load_dwordx2 v[8:9], v[20:21], off offset:2560
	s_or_b64 exec, exec, s[62:63]
	v_cmp_lt_u32_e64 s[52:53], v84, v89
	s_and_saveexec_b64 s[62:63], s[52:53]
	s_cbranch_execnz .LBB425_303
.LBB425_318:                            ;   in Loop: Header=BB425_240 Depth=2
	s_or_b64 exec, exec, s[62:63]
	v_cmp_lt_u32_e64 s[52:53], v85, v89
	s_and_saveexec_b64 s[62:63], s[52:53]
	s_cbranch_execz .LBB425_304
.LBB425_319:                            ;   in Loop: Header=BB425_240 Depth=2
	global_load_dwordx2 v[0:1], v[20:21], off offset:3584
	s_or_b64 exec, exec, s[62:63]
	s_and_saveexec_b64 s[52:53], s[48:49]
	s_cbranch_execnz .LBB425_305
.LBB425_320:                            ;   in Loop: Header=BB425_240 Depth=2
	s_or_b64 exec, exec, s[52:53]
	s_and_saveexec_b64 s[52:53], s[46:47]
	s_cbranch_execz .LBB425_306
.LBB425_321:                            ;   in Loop: Header=BB425_240 Depth=2
	ds_read_u8 v20, v30 offset:256
	s_waitcnt lgkmcnt(0)
	v_lshrrev_b32_e32 v20, s68, v20
	v_and_b32_e32 v73, s77, v20
	s_or_b64 exec, exec, s[52:53]
	s_and_saveexec_b64 s[52:53], s[44:45]
	s_cbranch_execnz .LBB425_307
.LBB425_322:                            ;   in Loop: Header=BB425_240 Depth=2
	s_or_b64 exec, exec, s[52:53]
	s_and_saveexec_b64 s[52:53], s[42:43]
	s_cbranch_execz .LBB425_308
.LBB425_323:                            ;   in Loop: Header=BB425_240 Depth=2
	ds_read_u8 v20, v30 offset:768
	s_waitcnt lgkmcnt(0)
	v_lshrrev_b32_e32 v20, s68, v20
	v_and_b32_e32 v70, s77, v20
	s_or_b64 exec, exec, s[52:53]
	s_and_saveexec_b64 s[52:53], s[40:41]
	s_cbranch_execnz .LBB425_309
.LBB425_324:                            ;   in Loop: Header=BB425_240 Depth=2
	s_or_b64 exec, exec, s[52:53]
	s_and_saveexec_b64 s[52:53], s[38:39]
	s_cbranch_execz .LBB425_310
.LBB425_325:                            ;   in Loop: Header=BB425_240 Depth=2
	ds_read_u8 v20, v30 offset:1280
	s_waitcnt lgkmcnt(0)
	v_lshrrev_b32_e32 v20, s68, v20
	v_and_b32_e32 v68, s77, v20
	s_or_b64 exec, exec, s[52:53]
	s_and_saveexec_b64 s[52:53], s[36:37]
	s_cbranch_execnz .LBB425_311
.LBB425_326:                            ;   in Loop: Header=BB425_240 Depth=2
	s_or_b64 exec, exec, s[52:53]
	s_and_saveexec_b64 s[52:53], vcc
	s_cbranch_execz .LBB425_328
.LBB425_327:                            ;   in Loop: Header=BB425_240 Depth=2
	ds_read_u8 v20, v30 offset:1792
	s_waitcnt lgkmcnt(0)
	v_lshrrev_b32_e32 v20, s68, v20
	v_and_b32_e32 v66, s77, v20
.LBB425_328:                            ;   in Loop: Header=BB425_240 Depth=2
	s_or_b64 exec, exec, s[52:53]
	v_lshlrev_b32_e32 v20, 3, v102
	s_barrier
	s_waitcnt vmcnt(0)
	ds_write_b64 v20, v[18:19] offset:1024
	v_lshlrev_b32_e32 v20, 3, v98
	ds_write_b64 v20, v[16:17] offset:1024
	v_lshlrev_b32_e32 v20, 3, v97
	;; [unrolled: 2-line block ×7, first 2 shown]
	ds_write_b64 v20, v[0:1] offset:1024
	s_waitcnt lgkmcnt(0)
	s_barrier
	s_and_saveexec_b64 s[52:53], s[48:49]
	s_cbranch_execz .LBB425_336
; %bb.329:                              ;   in Loop: Header=BB425_240 Depth=2
	v_lshlrev_b32_e32 v20, 2, v75
	ds_read_b32 v22, v20
	v_add_u32_e32 v20, v2, v50
	ds_read_b64 v[20:21], v20 offset:1024
	v_mov_b32_e32 v23, v4
	v_mov_b32_e32 v89, s67
	s_waitcnt lgkmcnt(1)
	v_add_u32_e32 v22, v22, v2
	v_lshlrev_b64 v[22:23], 3, v[22:23]
	v_add_co_u32_e64 v22, s[48:49], s66, v22
	v_addc_co_u32_e64 v23, s[48:49], v89, v23, s[48:49]
	s_waitcnt lgkmcnt(0)
	global_store_dwordx2 v[22:23], v[20:21], off
	s_or_b64 exec, exec, s[52:53]
	s_and_saveexec_b64 s[48:49], s[46:47]
	s_cbranch_execnz .LBB425_337
.LBB425_330:                            ;   in Loop: Header=BB425_240 Depth=2
	s_or_b64 exec, exec, s[48:49]
	s_and_saveexec_b64 s[46:47], s[44:45]
	s_cbranch_execz .LBB425_338
.LBB425_331:                            ;   in Loop: Header=BB425_240 Depth=2
	v_lshlrev_b32_e32 v20, 2, v71
	ds_read_b32 v22, v20
	v_add_u32_e32 v20, v30, v50
	ds_read_b64 v[20:21], v20 offset:4096
	v_mov_b32_e32 v23, v4
	v_mov_b32_e32 v89, s67
	s_waitcnt lgkmcnt(1)
	v_add_u32_e32 v22, v22, v25
	v_lshlrev_b64 v[22:23], 3, v[22:23]
	v_add_co_u32_e64 v22, s[44:45], s66, v22
	v_addc_co_u32_e64 v23, s[44:45], v89, v23, s[44:45]
	s_waitcnt lgkmcnt(0)
	global_store_dwordx2 v[22:23], v[20:21], off
	s_or_b64 exec, exec, s[46:47]
	s_and_saveexec_b64 s[44:45], s[42:43]
	s_cbranch_execnz .LBB425_339
.LBB425_332:                            ;   in Loop: Header=BB425_240 Depth=2
	s_or_b64 exec, exec, s[44:45]
	s_and_saveexec_b64 s[42:43], s[40:41]
	s_cbranch_execz .LBB425_340
.LBB425_333:                            ;   in Loop: Header=BB425_240 Depth=2
	v_lshlrev_b32_e32 v20, 2, v69
	ds_read_b32 v22, v20
	v_add_u32_e32 v20, v30, v50
	ds_read_b64 v[20:21], v20 offset:8192
	v_mov_b32_e32 v23, v4
	v_mov_b32_e32 v89, s67
	s_waitcnt lgkmcnt(1)
	v_add_u32_e32 v22, v22, v30
	v_lshlrev_b64 v[22:23], 3, v[22:23]
	v_add_co_u32_e64 v22, s[40:41], s66, v22
	v_addc_co_u32_e64 v23, s[40:41], v89, v23, s[40:41]
	s_waitcnt lgkmcnt(0)
	global_store_dwordx2 v[22:23], v[20:21], off
	s_or_b64 exec, exec, s[42:43]
	s_and_saveexec_b64 s[40:41], s[38:39]
	s_cbranch_execnz .LBB425_341
.LBB425_334:                            ;   in Loop: Header=BB425_240 Depth=2
	s_or_b64 exec, exec, s[40:41]
	s_and_saveexec_b64 s[38:39], s[36:37]
	s_cbranch_execz .LBB425_342
.LBB425_335:                            ;   in Loop: Header=BB425_240 Depth=2
	v_lshlrev_b32_e32 v20, 2, v67
	ds_read_b32 v22, v20
	v_add_u32_e32 v20, v30, v50
	ds_read_b64 v[20:21], v20 offset:12288
	v_mov_b32_e32 v23, v4
	v_mov_b32_e32 v89, s67
	s_waitcnt lgkmcnt(1)
	v_add_u32_e32 v22, v22, v32
	v_lshlrev_b64 v[22:23], 3, v[22:23]
	v_add_co_u32_e64 v22, s[36:37], s66, v22
	v_addc_co_u32_e64 v23, s[36:37], v89, v23, s[36:37]
	s_waitcnt lgkmcnt(0)
	global_store_dwordx2 v[22:23], v[20:21], off
	s_or_b64 exec, exec, s[38:39]
	s_and_saveexec_b64 s[36:37], vcc
	s_cbranch_execnz .LBB425_343
	s_branch .LBB425_344
.LBB425_336:                            ;   in Loop: Header=BB425_240 Depth=2
	s_or_b64 exec, exec, s[52:53]
	s_and_saveexec_b64 s[48:49], s[46:47]
	s_cbranch_execz .LBB425_330
.LBB425_337:                            ;   in Loop: Header=BB425_240 Depth=2
	v_lshlrev_b32_e32 v20, 2, v73
	ds_read_b32 v22, v20
	v_add_u32_e32 v20, v30, v50
	ds_read_b64 v[20:21], v20 offset:2048
	v_mov_b32_e32 v23, v4
	v_mov_b32_e32 v89, s67
	s_waitcnt lgkmcnt(1)
	v_add_u32_e32 v22, v22, v24
	v_lshlrev_b64 v[22:23], 3, v[22:23]
	v_add_co_u32_e64 v22, s[46:47], s66, v22
	v_addc_co_u32_e64 v23, s[46:47], v89, v23, s[46:47]
	s_waitcnt lgkmcnt(0)
	global_store_dwordx2 v[22:23], v[20:21], off
	s_or_b64 exec, exec, s[48:49]
	s_and_saveexec_b64 s[46:47], s[44:45]
	s_cbranch_execnz .LBB425_331
.LBB425_338:                            ;   in Loop: Header=BB425_240 Depth=2
	s_or_b64 exec, exec, s[46:47]
	s_and_saveexec_b64 s[44:45], s[42:43]
	s_cbranch_execz .LBB425_332
.LBB425_339:                            ;   in Loop: Header=BB425_240 Depth=2
	v_lshlrev_b32_e32 v20, 2, v70
	ds_read_b32 v22, v20
	v_add_u32_e32 v20, v30, v50
	ds_read_b64 v[20:21], v20 offset:6144
	v_mov_b32_e32 v23, v4
	v_mov_b32_e32 v89, s67
	s_waitcnt lgkmcnt(1)
	v_add_u32_e32 v22, v22, v26
	v_lshlrev_b64 v[22:23], 3, v[22:23]
	v_add_co_u32_e64 v22, s[42:43], s66, v22
	v_addc_co_u32_e64 v23, s[42:43], v89, v23, s[42:43]
	s_waitcnt lgkmcnt(0)
	global_store_dwordx2 v[22:23], v[20:21], off
	s_or_b64 exec, exec, s[44:45]
	s_and_saveexec_b64 s[42:43], s[40:41]
	s_cbranch_execnz .LBB425_333
.LBB425_340:                            ;   in Loop: Header=BB425_240 Depth=2
	s_or_b64 exec, exec, s[42:43]
	s_and_saveexec_b64 s[40:41], s[38:39]
	s_cbranch_execz .LBB425_334
.LBB425_341:                            ;   in Loop: Header=BB425_240 Depth=2
	v_lshlrev_b32_e32 v20, 2, v68
	ds_read_b32 v22, v20
	v_add_u32_e32 v20, v30, v50
	ds_read_b64 v[20:21], v20 offset:10240
	v_mov_b32_e32 v23, v4
	v_mov_b32_e32 v89, s67
	s_waitcnt lgkmcnt(1)
	v_add_u32_e32 v22, v22, v31
	v_lshlrev_b64 v[22:23], 3, v[22:23]
	v_add_co_u32_e64 v22, s[38:39], s66, v22
	v_addc_co_u32_e64 v23, s[38:39], v89, v23, s[38:39]
	s_waitcnt lgkmcnt(0)
	global_store_dwordx2 v[22:23], v[20:21], off
	s_or_b64 exec, exec, s[40:41]
	s_and_saveexec_b64 s[38:39], s[36:37]
	s_cbranch_execnz .LBB425_335
.LBB425_342:                            ;   in Loop: Header=BB425_240 Depth=2
	s_or_b64 exec, exec, s[38:39]
	s_and_saveexec_b64 s[36:37], vcc
	s_cbranch_execz .LBB425_344
.LBB425_343:                            ;   in Loop: Header=BB425_240 Depth=2
	v_lshlrev_b32_e32 v20, 2, v66
	ds_read_b32 v22, v20
	v_add_u32_e32 v20, v30, v50
	ds_read_b64 v[20:21], v20 offset:14336
	v_mov_b32_e32 v23, v4
	v_mov_b32_e32 v89, s67
	s_waitcnt lgkmcnt(1)
	v_add_u32_e32 v22, v22, v33
	v_lshlrev_b64 v[22:23], 3, v[22:23]
	v_add_co_u32_e32 v22, vcc, s66, v22
	v_addc_co_u32_e32 v23, vcc, v89, v23, vcc
	s_waitcnt lgkmcnt(0)
	global_store_dwordx2 v[22:23], v[20:21], off
.LBB425_344:                            ;   in Loop: Header=BB425_240 Depth=2
	s_or_b64 exec, exec, s[36:37]
	s_barrier
	s_and_saveexec_b64 s[36:37], s[4:5]
	s_cbranch_execz .LBB425_239
; %bb.345:                              ;   in Loop: Header=BB425_240 Depth=2
	ds_read_b32 v20, v3
	s_waitcnt lgkmcnt(0)
	v_add_u32_e32 v5, v20, v5
	ds_write_b32 v3, v5
	s_branch .LBB425_239
.LBB425_346:                            ;   in Loop: Header=BB425_240 Depth=2
	s_or_b64 exec, exec, s[36:37]
	v_cmp_gt_u32_e32 vcc, s78, v79
	s_and_saveexec_b64 s[36:37], vcc
	s_cbranch_execz .LBB425_246
.LBB425_347:                            ;   in Loop: Header=BB425_240 Depth=2
	global_load_ubyte v94, v[20:21], off offset:64
	s_or_b64 exec, exec, s[36:37]
	v_cmp_gt_u32_e32 vcc, s78, v80
	s_and_saveexec_b64 s[36:37], vcc
	s_cbranch_execnz .LBB425_247
.LBB425_348:                            ;   in Loop: Header=BB425_240 Depth=2
	s_or_b64 exec, exec, s[36:37]
	v_cmp_gt_u32_e32 vcc, s78, v81
	s_and_saveexec_b64 s[36:37], vcc
	s_cbranch_execz .LBB425_248
.LBB425_349:                            ;   in Loop: Header=BB425_240 Depth=2
	global_load_ubyte v101, v[20:21], off offset:192
	s_or_b64 exec, exec, s[36:37]
	v_cmp_gt_u32_e32 vcc, s78, v82
	s_and_saveexec_b64 s[36:37], vcc
	s_cbranch_execnz .LBB425_249
.LBB425_350:                            ;   in Loop: Header=BB425_240 Depth=2
	s_or_b64 exec, exec, s[36:37]
	v_cmp_gt_u32_e32 vcc, s78, v83
	s_and_saveexec_b64 s[36:37], vcc
	s_cbranch_execz .LBB425_250
.LBB425_351:                            ;   in Loop: Header=BB425_240 Depth=2
	global_load_ubyte v91, v[20:21], off offset:320
	s_or_b64 exec, exec, s[36:37]
	v_cmp_gt_u32_e32 vcc, s78, v84
	s_and_saveexec_b64 s[36:37], vcc
	s_cbranch_execnz .LBB425_251
	s_branch .LBB425_252
.LBB425_352:                            ;   in Loop: Header=BB425_20 Depth=1
	s_waitcnt lgkmcnt(0)
	s_barrier
.LBB425_353:                            ;   in Loop: Header=BB425_20 Depth=1
	s_mov_b64 s[16:17], 0
.LBB425_354:                            ;   in Loop: Header=BB425_20 Depth=1
	s_andn2_b64 vcc, exec, s[16:17]
	s_cbranch_vccnz .LBB425_19
; %bb.355:                              ;   in Loop: Header=BB425_20 Depth=1
	s_mov_b64 s[16:17], -1
	s_and_b64 vcc, exec, s[54:55]
	s_cbranch_vccz .LBB425_521
; %bb.356:                              ;   in Loop: Header=BB425_20 Depth=1
	s_mov_b32 s20, s71
	s_mov_b32 s22, s51
	s_barrier
	s_waitcnt lgkmcnt(0)
                                        ; implicit-def: $vgpr5
                                        ; implicit-def: $vgpr6
                                        ; implicit-def: $vgpr7
                                        ; implicit-def: $vgpr8
                                        ; implicit-def: $vgpr9
                                        ; implicit-def: $vgpr10
                                        ; implicit-def: $vgpr11
                                        ; implicit-def: $vgpr12
	s_branch .LBB425_358
.LBB425_357:                            ;   in Loop: Header=BB425_358 Depth=2
	s_or_b64 exec, exec, s[16:17]
	s_addk_i32 s20, 0xf800
	s_cmp_ge_u32 s21, s76
	s_mov_b32 s22, s21
	s_cbranch_scc1 .LBB425_396
.LBB425_358:                            ;   Parent Loop BB425_20 Depth=1
                                        ; =>  This Inner Loop Header: Depth=2
	s_add_i32 s21, s22, 0x800
	s_cmp_gt_u32 s21, s76
	s_cbranch_scc1 .LBB425_361
; %bb.359:                              ;   in Loop: Header=BB425_358 Depth=2
	v_add_co_u32_e32 v0, vcc, s22, v57
	v_addc_co_u32_e32 v1, vcc, 0, v58, vcc
	global_load_ubyte v20, v[0:1], off offset:1536
	global_load_ubyte v19, v[0:1], off offset:1280
	;; [unrolled: 1-line block ×6, first 2 shown]
	global_load_ubyte v14, v[0:1], off
	v_add_co_u32_e32 v0, vcc, 0x700, v0
	v_addc_co_u32_e32 v1, vcc, 0, v1, vcc
	s_mov_b64 s[16:17], -1
	s_movk_i32 s25, 0x800
	s_cbranch_execz .LBB425_362
; %bb.360:                              ;   in Loop: Header=BB425_358 Depth=2
                                        ; implicit-def: $vgpr5
                                        ; implicit-def: $vgpr6
                                        ; implicit-def: $vgpr7
                                        ; implicit-def: $vgpr8
                                        ; implicit-def: $vgpr9
                                        ; implicit-def: $vgpr10
                                        ; implicit-def: $vgpr11
                                        ; implicit-def: $vgpr12
	v_mov_b32_e32 v13, s20
	s_and_saveexec_b64 s[18:19], s[16:17]
	s_cbranch_execnz .LBB425_373
	s_branch .LBB425_374
.LBB425_361:                            ;   in Loop: Header=BB425_358 Depth=2
	s_mov_b64 s[16:17], 0
                                        ; implicit-def: $sgpr25
                                        ; implicit-def: $vgpr14
                                        ; implicit-def: $vgpr15
                                        ; implicit-def: $vgpr16
                                        ; implicit-def: $vgpr17
                                        ; implicit-def: $vgpr18
                                        ; implicit-def: $vgpr19
                                        ; implicit-def: $vgpr20
                                        ; implicit-def: $vgpr0_vgpr1
.LBB425_362:                            ;   in Loop: Header=BB425_358 Depth=2
	s_add_u32 s23, s56, s22
	s_addc_u32 s24, s57, 0
	v_cmp_gt_u32_e32 vcc, s20, v2
	s_and_saveexec_b64 s[18:19], vcc
	s_cbranch_execz .LBB425_390
; %bb.363:                              ;   in Loop: Header=BB425_358 Depth=2
	v_mov_b32_e32 v1, s24
	v_add_co_u32_e32 v0, vcc, s23, v2
	v_addc_co_u32_e32 v1, vcc, 0, v1, vcc
	global_load_ubyte v5, v[0:1], off
	s_or_b64 exec, exec, s[18:19]
	v_cmp_gt_u32_e32 vcc, s20, v24
	s_and_saveexec_b64 s[18:19], vcc
	s_cbranch_execnz .LBB425_391
.LBB425_364:                            ;   in Loop: Header=BB425_358 Depth=2
	s_or_b64 exec, exec, s[18:19]
	v_cmp_gt_u32_e32 vcc, s20, v25
	s_and_saveexec_b64 s[18:19], vcc
	s_cbranch_execz .LBB425_392
.LBB425_365:                            ;   in Loop: Header=BB425_358 Depth=2
	v_mov_b32_e32 v1, s24
	v_add_co_u32_e32 v0, vcc, s23, v2
	v_addc_co_u32_e32 v1, vcc, 0, v1, vcc
	global_load_ubyte v7, v[0:1], off offset:512
	s_or_b64 exec, exec, s[18:19]
	v_cmp_gt_u32_e32 vcc, s20, v26
	s_and_saveexec_b64 s[18:19], vcc
	s_cbranch_execnz .LBB425_393
.LBB425_366:                            ;   in Loop: Header=BB425_358 Depth=2
	s_or_b64 exec, exec, s[18:19]
	v_cmp_gt_u32_e32 vcc, s20, v30
	s_and_saveexec_b64 s[18:19], vcc
	s_cbranch_execz .LBB425_394
.LBB425_367:                            ;   in Loop: Header=BB425_358 Depth=2
	v_mov_b32_e32 v1, s24
	v_add_co_u32_e32 v0, vcc, s23, v2
	v_addc_co_u32_e32 v1, vcc, 0, v1, vcc
	global_load_ubyte v9, v[0:1], off offset:1024
	s_or_b64 exec, exec, s[18:19]
	v_cmp_gt_u32_e32 vcc, s20, v31
	s_and_saveexec_b64 s[18:19], vcc
	s_cbranch_execnz .LBB425_395
.LBB425_368:                            ;   in Loop: Header=BB425_358 Depth=2
	s_or_b64 exec, exec, s[18:19]
	v_cmp_gt_u32_e32 vcc, s20, v32
	s_and_saveexec_b64 s[18:19], vcc
	s_cbranch_execz .LBB425_370
.LBB425_369:                            ;   in Loop: Header=BB425_358 Depth=2
	v_mov_b32_e32 v1, s24
	v_add_co_u32_e32 v0, vcc, s23, v2
	v_addc_co_u32_e32 v1, vcc, 0, v1, vcc
	global_load_ubyte v11, v[0:1], off offset:1536
.LBB425_370:                            ;   in Loop: Header=BB425_358 Depth=2
	s_or_b64 exec, exec, s[18:19]
	v_cmp_gt_u32_e32 vcc, s20, v33
                                        ; implicit-def: $sgpr25
                                        ; implicit-def: $vgpr0_vgpr1
	s_and_saveexec_b64 s[18:19], vcc
	s_cbranch_execz .LBB425_372
; %bb.371:                              ;   in Loop: Header=BB425_358 Depth=2
	v_mov_b32_e32 v0, s24
	v_add_co_u32_e32 v1, vcc, s23, v2
	s_waitcnt vmcnt(0)
	v_addc_co_u32_e32 v12, vcc, 0, v0, vcc
	v_add_co_u32_e32 v0, vcc, 0x700, v1
	s_sub_i32 s25, s76, s22
	v_addc_co_u32_e32 v1, vcc, 0, v12, vcc
	s_or_b64 s[16:17], s[16:17], exec
                                        ; implicit-def: $vgpr12
.LBB425_372:                            ;   in Loop: Header=BB425_358 Depth=2
	s_or_b64 exec, exec, s[18:19]
	s_waitcnt vmcnt(0)
	v_mov_b32_e32 v14, v5
	v_mov_b32_e32 v15, v6
	;; [unrolled: 1-line block ×8, first 2 shown]
	s_and_saveexec_b64 s[18:19], s[16:17]
	s_cbranch_execz .LBB425_374
.LBB425_373:                            ;   in Loop: Header=BB425_358 Depth=2
	global_load_ubyte v12, v[0:1], off
	v_mov_b32_e32 v13, s25
	s_waitcnt vmcnt(1)
	v_mov_b32_e32 v5, v14
	v_mov_b32_e32 v6, v15
	;; [unrolled: 1-line block ×7, first 2 shown]
.LBB425_374:                            ;   in Loop: Header=BB425_358 Depth=2
	s_or_b64 exec, exec, s[18:19]
	v_cmp_lt_u32_e32 vcc, v2, v13
	s_and_saveexec_b64 s[16:17], vcc
	s_cbranch_execz .LBB425_382
; %bb.375:                              ;   in Loop: Header=BB425_358 Depth=2
	v_xor_b32_e32 v0, 0x80, v5
	v_lshrrev_b32_sdwa v0, s69, v0 dst_sel:DWORD dst_unused:UNUSED_PAD src0_sel:DWORD src1_sel:BYTE_0
	v_and_b32_e32 v0, s77, v0
	v_lshlrev_b32_e32 v1, 2, v27
	v_lshl_or_b32 v0, v0, 4, v1
	ds_add_u32 v0, v63
	s_or_b64 exec, exec, s[16:17]
	v_cmp_lt_u32_e32 vcc, v24, v13
	s_and_saveexec_b64 s[16:17], vcc
	s_cbranch_execnz .LBB425_383
.LBB425_376:                            ;   in Loop: Header=BB425_358 Depth=2
	s_or_b64 exec, exec, s[16:17]
	v_cmp_lt_u32_e32 vcc, v25, v13
	s_and_saveexec_b64 s[16:17], vcc
	s_cbranch_execz .LBB425_384
.LBB425_377:                            ;   in Loop: Header=BB425_358 Depth=2
	v_xor_b32_e32 v0, 0x80, v7
	v_lshrrev_b32_sdwa v0, s69, v0 dst_sel:DWORD dst_unused:UNUSED_PAD src0_sel:DWORD src1_sel:BYTE_0
	v_and_b32_e32 v0, s77, v0
	v_lshlrev_b32_e32 v1, 2, v27
	v_lshl_or_b32 v0, v0, 4, v1
	ds_add_u32 v0, v63
	s_or_b64 exec, exec, s[16:17]
	v_cmp_lt_u32_e32 vcc, v26, v13
	s_and_saveexec_b64 s[16:17], vcc
	s_cbranch_execnz .LBB425_385
.LBB425_378:                            ;   in Loop: Header=BB425_358 Depth=2
	s_or_b64 exec, exec, s[16:17]
	v_cmp_lt_u32_e32 vcc, v30, v13
	s_and_saveexec_b64 s[16:17], vcc
	s_cbranch_execz .LBB425_386
.LBB425_379:                            ;   in Loop: Header=BB425_358 Depth=2
	v_xor_b32_e32 v0, 0x80, v9
	v_lshrrev_b32_sdwa v0, s69, v0 dst_sel:DWORD dst_unused:UNUSED_PAD src0_sel:DWORD src1_sel:BYTE_0
	v_and_b32_e32 v0, s77, v0
	v_lshlrev_b32_e32 v1, 2, v27
	v_lshl_or_b32 v0, v0, 4, v1
	ds_add_u32 v0, v63
	s_or_b64 exec, exec, s[16:17]
	v_cmp_lt_u32_e32 vcc, v31, v13
	s_and_saveexec_b64 s[16:17], vcc
	s_cbranch_execnz .LBB425_387
.LBB425_380:                            ;   in Loop: Header=BB425_358 Depth=2
	s_or_b64 exec, exec, s[16:17]
	v_cmp_lt_u32_e32 vcc, v32, v13
	s_and_saveexec_b64 s[16:17], vcc
	s_cbranch_execz .LBB425_388
.LBB425_381:                            ;   in Loop: Header=BB425_358 Depth=2
	v_xor_b32_e32 v0, 0x80, v11
	v_lshrrev_b32_sdwa v0, s69, v0 dst_sel:DWORD dst_unused:UNUSED_PAD src0_sel:DWORD src1_sel:BYTE_0
	v_and_b32_e32 v0, s77, v0
	v_lshlrev_b32_e32 v1, 2, v27
	v_lshl_or_b32 v0, v0, 4, v1
	ds_add_u32 v0, v63
	s_or_b64 exec, exec, s[16:17]
	v_cmp_lt_u32_e32 vcc, v33, v13
	s_and_saveexec_b64 s[16:17], vcc
	s_cbranch_execz .LBB425_357
	s_branch .LBB425_389
.LBB425_382:                            ;   in Loop: Header=BB425_358 Depth=2
	s_or_b64 exec, exec, s[16:17]
	v_cmp_lt_u32_e32 vcc, v24, v13
	s_and_saveexec_b64 s[16:17], vcc
	s_cbranch_execz .LBB425_376
.LBB425_383:                            ;   in Loop: Header=BB425_358 Depth=2
	v_xor_b32_e32 v0, 0x80, v6
	v_lshrrev_b32_sdwa v0, s69, v0 dst_sel:DWORD dst_unused:UNUSED_PAD src0_sel:DWORD src1_sel:BYTE_0
	v_and_b32_e32 v0, s77, v0
	v_lshlrev_b32_e32 v1, 2, v27
	v_lshl_or_b32 v0, v0, 4, v1
	ds_add_u32 v0, v63
	s_or_b64 exec, exec, s[16:17]
	v_cmp_lt_u32_e32 vcc, v25, v13
	s_and_saveexec_b64 s[16:17], vcc
	s_cbranch_execnz .LBB425_377
.LBB425_384:                            ;   in Loop: Header=BB425_358 Depth=2
	s_or_b64 exec, exec, s[16:17]
	v_cmp_lt_u32_e32 vcc, v26, v13
	s_and_saveexec_b64 s[16:17], vcc
	s_cbranch_execz .LBB425_378
.LBB425_385:                            ;   in Loop: Header=BB425_358 Depth=2
	v_xor_b32_e32 v0, 0x80, v8
	v_lshrrev_b32_sdwa v0, s69, v0 dst_sel:DWORD dst_unused:UNUSED_PAD src0_sel:DWORD src1_sel:BYTE_0
	v_and_b32_e32 v0, s77, v0
	v_lshlrev_b32_e32 v1, 2, v27
	v_lshl_or_b32 v0, v0, 4, v1
	ds_add_u32 v0, v63
	s_or_b64 exec, exec, s[16:17]
	v_cmp_lt_u32_e32 vcc, v30, v13
	s_and_saveexec_b64 s[16:17], vcc
	s_cbranch_execnz .LBB425_379
.LBB425_386:                            ;   in Loop: Header=BB425_358 Depth=2
	s_or_b64 exec, exec, s[16:17]
	v_cmp_lt_u32_e32 vcc, v31, v13
	s_and_saveexec_b64 s[16:17], vcc
	s_cbranch_execz .LBB425_380
.LBB425_387:                            ;   in Loop: Header=BB425_358 Depth=2
	v_xor_b32_e32 v0, 0x80, v10
	v_lshrrev_b32_sdwa v0, s69, v0 dst_sel:DWORD dst_unused:UNUSED_PAD src0_sel:DWORD src1_sel:BYTE_0
	v_and_b32_e32 v0, s77, v0
	v_lshlrev_b32_e32 v1, 2, v27
	v_lshl_or_b32 v0, v0, 4, v1
	ds_add_u32 v0, v63
	s_or_b64 exec, exec, s[16:17]
	v_cmp_lt_u32_e32 vcc, v32, v13
	s_and_saveexec_b64 s[16:17], vcc
	s_cbranch_execnz .LBB425_381
.LBB425_388:                            ;   in Loop: Header=BB425_358 Depth=2
	s_or_b64 exec, exec, s[16:17]
	v_cmp_lt_u32_e32 vcc, v33, v13
	s_and_saveexec_b64 s[16:17], vcc
	s_cbranch_execz .LBB425_357
.LBB425_389:                            ;   in Loop: Header=BB425_358 Depth=2
	s_waitcnt vmcnt(0)
	v_xor_b32_e32 v0, 0x80, v12
	v_lshrrev_b32_sdwa v0, s69, v0 dst_sel:DWORD dst_unused:UNUSED_PAD src0_sel:DWORD src1_sel:BYTE_0
	v_and_b32_e32 v0, s77, v0
	v_lshlrev_b32_e32 v1, 2, v27
	v_lshl_or_b32 v0, v0, 4, v1
	ds_add_u32 v0, v63
	s_branch .LBB425_357
.LBB425_390:                            ;   in Loop: Header=BB425_358 Depth=2
	s_or_b64 exec, exec, s[18:19]
	v_cmp_gt_u32_e32 vcc, s20, v24
	s_and_saveexec_b64 s[18:19], vcc
	s_cbranch_execz .LBB425_364
.LBB425_391:                            ;   in Loop: Header=BB425_358 Depth=2
	v_mov_b32_e32 v1, s24
	v_add_co_u32_e32 v0, vcc, s23, v2
	v_addc_co_u32_e32 v1, vcc, 0, v1, vcc
	global_load_ubyte v6, v[0:1], off offset:256
	s_or_b64 exec, exec, s[18:19]
	v_cmp_gt_u32_e32 vcc, s20, v25
	s_and_saveexec_b64 s[18:19], vcc
	s_cbranch_execnz .LBB425_365
.LBB425_392:                            ;   in Loop: Header=BB425_358 Depth=2
	s_or_b64 exec, exec, s[18:19]
	v_cmp_gt_u32_e32 vcc, s20, v26
	s_and_saveexec_b64 s[18:19], vcc
	s_cbranch_execz .LBB425_366
.LBB425_393:                            ;   in Loop: Header=BB425_358 Depth=2
	v_mov_b32_e32 v1, s24
	v_add_co_u32_e32 v0, vcc, s23, v2
	v_addc_co_u32_e32 v1, vcc, 0, v1, vcc
	global_load_ubyte v8, v[0:1], off offset:768
	s_or_b64 exec, exec, s[18:19]
	v_cmp_gt_u32_e32 vcc, s20, v30
	s_and_saveexec_b64 s[18:19], vcc
	s_cbranch_execnz .LBB425_367
.LBB425_394:                            ;   in Loop: Header=BB425_358 Depth=2
	s_or_b64 exec, exec, s[18:19]
	v_cmp_gt_u32_e32 vcc, s20, v31
	s_and_saveexec_b64 s[18:19], vcc
	s_cbranch_execz .LBB425_368
.LBB425_395:                            ;   in Loop: Header=BB425_358 Depth=2
	v_mov_b32_e32 v1, s24
	v_add_co_u32_e32 v0, vcc, s23, v2
	v_addc_co_u32_e32 v1, vcc, 0, v1, vcc
	global_load_ubyte v10, v[0:1], off offset:1280
	s_or_b64 exec, exec, s[18:19]
	v_cmp_gt_u32_e32 vcc, s20, v32
	s_and_saveexec_b64 s[18:19], vcc
	s_cbranch_execz .LBB425_370
	s_branch .LBB425_369
.LBB425_396:                            ;   in Loop: Header=BB425_20 Depth=1
	v_mov_b32_e32 v0, 0
	s_waitcnt lgkmcnt(0)
	s_barrier
	s_and_saveexec_b64 s[16:17], s[4:5]
	s_cbranch_execz .LBB425_398
; %bb.397:                              ;   in Loop: Header=BB425_20 Depth=1
	ds_read2_b64 v[6:9], v34 offset1:1
	s_waitcnt lgkmcnt(0)
	v_add_u32_e32 v0, v7, v6
	v_add3_u32 v0, v0, v8, v9
.LBB425_398:                            ;   in Loop: Header=BB425_20 Depth=1
	s_or_b64 exec, exec, s[16:17]
	v_and_b32_e32 v1, 15, v64
	v_mov_b32_dpp v5, v0 row_shr:1 row_mask:0xf bank_mask:0xf
	v_cmp_eq_u32_e64 s[16:17], 0, v1
	v_cndmask_b32_e64 v5, v5, 0, s[16:17]
	v_add_u32_e32 v0, v5, v0
	v_cmp_lt_u32_e64 s[18:19], 1, v1
	v_cmp_lt_u32_e64 s[20:21], 3, v1
	v_mov_b32_dpp v5, v0 row_shr:2 row_mask:0xf bank_mask:0xf
	v_cndmask_b32_e64 v5, 0, v5, s[18:19]
	v_add_u32_e32 v0, v0, v5
	v_cmp_lt_u32_e64 s[22:23], 7, v1
	v_cmp_lt_u32_e64 s[26:27], 31, v64
	v_mov_b32_dpp v5, v0 row_shr:4 row_mask:0xf bank_mask:0xf
	v_cndmask_b32_e64 v5, 0, v5, s[20:21]
	v_add_u32_e32 v0, v0, v5
	v_and_b32_e32 v6, 16, v64
	v_cmp_eq_u32_e64 s[24:25], 0, v6
	v_mov_b32_dpp v5, v0 row_shr:8 row_mask:0xf bank_mask:0xf
	v_cndmask_b32_e64 v1, 0, v5, s[22:23]
	v_add_u32_e32 v0, v0, v1
	v_bfe_i32 v5, v64, 4, 1
	s_nop 0
	v_mov_b32_dpp v1, v0 row_bcast:15 row_mask:0xf bank_mask:0xf
	v_and_b32_e32 v1, v5, v1
	v_add_u32_e32 v0, v0, v1
	s_nop 1
	v_mov_b32_dpp v1, v0 row_bcast:31 row_mask:0xf bank_mask:0xf
	v_cndmask_b32_e64 v1, 0, v1, s[26:27]
	v_add_u32_e32 v1, v0, v1
	s_and_saveexec_b64 s[28:29], s[6:7]
	s_cbranch_execz .LBB425_400
; %bb.399:                              ;   in Loop: Header=BB425_20 Depth=1
	ds_write_b32 v36, v1
.LBB425_400:                            ;   in Loop: Header=BB425_20 Depth=1
	s_or_b64 exec, exec, s[28:29]
	v_and_b32_e32 v0, 3, v64
	s_waitcnt lgkmcnt(0)
	s_barrier
	s_and_saveexec_b64 s[28:29], s[8:9]
	s_cbranch_execz .LBB425_402
; %bb.401:                              ;   in Loop: Header=BB425_20 Depth=1
	ds_read_b32 v5, v37
	v_cmp_ne_u32_e32 vcc, 0, v0
	s_waitcnt lgkmcnt(0)
	v_mov_b32_dpp v6, v5 row_shr:1 row_mask:0xf bank_mask:0xf
	v_cndmask_b32_e32 v6, 0, v6, vcc
	v_add_u32_e32 v5, v6, v5
	v_cmp_lt_u32_e32 vcc, 1, v0
	s_nop 0
	v_mov_b32_dpp v6, v5 row_shr:2 row_mask:0xf bank_mask:0xf
	v_cndmask_b32_e32 v6, 0, v6, vcc
	v_add_u32_e32 v5, v5, v6
	ds_write_b32 v37, v5
.LBB425_402:                            ;   in Loop: Header=BB425_20 Depth=1
	s_or_b64 exec, exec, s[28:29]
	v_mov_b32_e32 v5, 0
	s_waitcnt lgkmcnt(0)
	s_barrier
	s_and_saveexec_b64 s[28:29], s[10:11]
	s_cbranch_execz .LBB425_404
; %bb.403:                              ;   in Loop: Header=BB425_20 Depth=1
	ds_read_b32 v5, v38
.LBB425_404:                            ;   in Loop: Header=BB425_20 Depth=1
	s_or_b64 exec, exec, s[28:29]
	v_add_u32_e32 v6, -1, v64
	v_and_b32_e32 v7, 64, v64
	v_cmp_lt_i32_e32 vcc, v6, v7
	v_cndmask_b32_e32 v6, v6, v64, vcc
	s_waitcnt lgkmcnt(0)
	v_add_u32_e32 v1, v5, v1
	v_lshlrev_b32_e32 v65, 2, v6
	ds_bpermute_b32 v1, v65, v1
	v_cmp_eq_u32_e64 s[28:29], 0, v64
	s_waitcnt lgkmcnt(0)
	s_barrier
	s_and_saveexec_b64 s[30:31], s[4:5]
	s_cbranch_execz .LBB425_406
; %bb.405:                              ;   in Loop: Header=BB425_20 Depth=1
	v_cndmask_b32_e64 v1, v1, v5, s[28:29]
	v_add_u32_e32 v1, s51, v1
	ds_write_b32 v3, v1
.LBB425_406:                            ;   in Loop: Header=BB425_20 Depth=1
	s_or_b64 exec, exec, s[30:31]
	s_load_dwordx2 s[30:31], s[74:75], 0x0
	v_and_b32_e32 v21, 63, v64
	v_add_co_u32_e32 v74, vcc, v61, v21
	v_lshlrev_b32_e32 v22, 3, v21
	s_waitcnt lgkmcnt(0)
	s_cmp_lt_u32 s50, s30
	s_cselect_b32 s34, 12, 18
	s_cmp_lt_u32 s33, s31
	s_cselect_b32 s30, 14, 20
	s_add_u32 s30, s74, s30
	s_addc_u32 s31, s75, 0
	s_add_u32 s34, s74, s34
	global_load_ushort v5, v4, s[30:31]
	s_addc_u32 s35, s75, 0
	global_load_ushort v20, v4, s[34:35]
	v_addc_co_u32_e32 v76, vcc, 0, v62, vcc
	v_add_co_u32_e32 v77, vcc, v59, v22
	v_addc_co_u32_e32 v78, vcc, 0, v60, vcc
	v_or_b32_e32 v72, v21, v39
	v_add_co_u32_e32 v86, vcc, 0x1c0, v74
	v_cmp_eq_u32_e64 s[30:31], 0, v0
	v_cmp_lt_u32_e64 s[34:35], 1, v0
	s_mov_b32 s78, s71
	v_or_b32_e32 v79, 64, v72
	v_or_b32_e32 v80, 0x80, v72
	;; [unrolled: 1-line block ×7, first 2 shown]
	v_addc_co_u32_e32 v87, vcc, 0, v76, vcc
	s_mov_b32 s72, s51
                                        ; implicit-def: $vgpr0_vgpr1
                                        ; implicit-def: $vgpr6_vgpr7
                                        ; implicit-def: $vgpr8_vgpr9
                                        ; implicit-def: $vgpr10_vgpr11
                                        ; implicit-def: $vgpr12_vgpr13
                                        ; implicit-def: $vgpr14_vgpr15
                                        ; implicit-def: $vgpr16_vgpr17
                                        ; implicit-def: $vgpr18_vgpr19
                                        ; implicit-def: $vgpr66
                                        ; implicit-def: $vgpr67
                                        ; implicit-def: $vgpr68
                                        ; implicit-def: $vgpr69
                                        ; implicit-def: $vgpr70
                                        ; implicit-def: $vgpr71
                                        ; implicit-def: $vgpr73
                                        ; implicit-def: $vgpr75
	s_waitcnt vmcnt(1)
	v_mad_u32_u24 v5, v40, v5, v41
	s_waitcnt vmcnt(0)
	v_mad_u64_u32 v[20:21], s[36:37], v5, v20, v[2:3]
	v_lshrrev_b32_e32 v88, 6, v20
	s_branch .LBB425_408
.LBB425_407:                            ;   in Loop: Header=BB425_408 Depth=2
	s_or_b64 exec, exec, s[36:37]
	s_addk_i32 s78, 0xf800
	s_cmp_lt_u32 s79, s76
	s_mov_b32 s72, s79
	s_cbranch_scc0 .LBB425_520
.LBB425_408:                            ;   Parent Loop BB425_20 Depth=1
                                        ; =>  This Inner Loop Header: Depth=2
	s_add_i32 s79, s72, 0x800
	s_cmp_gt_u32 s79, s76
	s_cbranch_scc1 .LBB425_411
; %bb.409:                              ;   in Loop: Header=BB425_408 Depth=2
	v_add_co_u32_e32 v20, vcc, s72, v74
	v_addc_co_u32_e32 v21, vcc, 0, v76, vcc
	global_load_ubyte v23, v[20:21], off offset:384
	global_load_ubyte v91, v[20:21], off offset:320
	;; [unrolled: 1-line block ×6, first 2 shown]
	global_load_ubyte v5, v[20:21], off
	s_mov_b64 s[36:37], -1
	s_movk_i32 s40, 0x800
	s_cbranch_execz .LBB425_412
; %bb.410:                              ;   in Loop: Header=BB425_408 Depth=2
                                        ; implicit-def: $vgpr22
	v_mov_b32_e32 v89, s78
	s_and_saveexec_b64 s[38:39], s[36:37]
	s_cbranch_execnz .LBB425_421
	s_branch .LBB425_422
.LBB425_411:                            ;   in Loop: Header=BB425_408 Depth=2
	s_mov_b64 s[36:37], 0
                                        ; implicit-def: $sgpr40
                                        ; implicit-def: $vgpr5
                                        ; implicit-def: $vgpr94
                                        ; implicit-def: $vgpr99
                                        ; implicit-def: $vgpr101
                                        ; implicit-def: $vgpr96
                                        ; implicit-def: $vgpr91
                                        ; implicit-def: $vgpr23
.LBB425_412:                            ;   in Loop: Header=BB425_408 Depth=2
	v_add_co_u32_e32 v20, vcc, s72, v74
	v_addc_co_u32_e32 v21, vcc, 0, v76, vcc
	v_cmp_gt_u32_e32 vcc, s78, v72
	s_waitcnt vmcnt(0)
	v_mov_b32_e32 v5, 0x7f
	v_mov_b32_e32 v22, 0x7f
	;; [unrolled: 1-line block ×8, first 2 shown]
	s_and_saveexec_b64 s[36:37], vcc
	s_cbranch_execz .LBB425_514
; %bb.413:                              ;   in Loop: Header=BB425_408 Depth=2
	global_load_ubyte v5, v[20:21], off
	v_mov_b32_e32 v94, 0x7f
	v_mov_b32_e32 v99, 0x7f
	;; [unrolled: 1-line block ×7, first 2 shown]
	s_or_b64 exec, exec, s[36:37]
	v_cmp_gt_u32_e32 vcc, s78, v79
	s_and_saveexec_b64 s[36:37], vcc
	s_cbranch_execnz .LBB425_515
.LBB425_414:                            ;   in Loop: Header=BB425_408 Depth=2
	s_or_b64 exec, exec, s[36:37]
	v_cmp_gt_u32_e32 vcc, s78, v80
	s_and_saveexec_b64 s[36:37], vcc
	s_cbranch_execz .LBB425_516
.LBB425_415:                            ;   in Loop: Header=BB425_408 Depth=2
	global_load_ubyte v99, v[20:21], off offset:128
	s_or_b64 exec, exec, s[36:37]
	v_cmp_gt_u32_e32 vcc, s78, v81
	s_and_saveexec_b64 s[36:37], vcc
	s_cbranch_execnz .LBB425_517
.LBB425_416:                            ;   in Loop: Header=BB425_408 Depth=2
	s_or_b64 exec, exec, s[36:37]
	v_cmp_gt_u32_e32 vcc, s78, v82
	s_and_saveexec_b64 s[36:37], vcc
	s_cbranch_execz .LBB425_518
.LBB425_417:                            ;   in Loop: Header=BB425_408 Depth=2
	global_load_ubyte v96, v[20:21], off offset:256
	s_or_b64 exec, exec, s[36:37]
	v_cmp_gt_u32_e32 vcc, s78, v83
	s_and_saveexec_b64 s[36:37], vcc
	s_cbranch_execnz .LBB425_519
.LBB425_418:                            ;   in Loop: Header=BB425_408 Depth=2
	s_or_b64 exec, exec, s[36:37]
	v_cmp_gt_u32_e32 vcc, s78, v84
	s_and_saveexec_b64 s[36:37], vcc
	s_cbranch_execz .LBB425_420
.LBB425_419:                            ;   in Loop: Header=BB425_408 Depth=2
	global_load_ubyte v23, v[20:21], off offset:384
.LBB425_420:                            ;   in Loop: Header=BB425_408 Depth=2
	s_or_b64 exec, exec, s[36:37]
	s_sub_i32 s40, s76, s72
	v_cmp_gt_u32_e64 s[36:37], s78, v85
	v_mov_b32_e32 v89, s78
	s_and_saveexec_b64 s[38:39], s[36:37]
	s_cbranch_execz .LBB425_422
.LBB425_421:                            ;   in Loop: Header=BB425_408 Depth=2
	v_mov_b32_e32 v21, s73
	v_add_co_u32_e32 v20, vcc, s72, v86
	v_addc_co_u32_e32 v21, vcc, v87, v21, vcc
	global_load_ubyte v22, v[20:21], off
	v_mov_b32_e32 v89, s40
.LBB425_422:                            ;   in Loop: Header=BB425_408 Depth=2
	s_or_b64 exec, exec, s[38:39]
	s_waitcnt vmcnt(0)
	v_xor_b32_e32 v90, 0xffffff80, v5
	v_add_u32_e32 v5, 0x410, v42
	ds_write2_b32 v5, v4, v4 offset1:1
	ds_write2_b32 v44, v4, v4 offset0:2 offset1:3
	ds_write_b32 v44, v4 offset:16
	v_lshrrev_b32_sdwa v5, s69, v90 dst_sel:DWORD dst_unused:UNUSED_PAD src0_sel:DWORD src1_sel:BYTE_0
	v_and_b32_e32 v20, s77, v5
	v_mad_u32_u24 v5, v20, 5, v88
	v_lshl_add_u32 v92, v5, 2, v43
	v_and_b32_e32 v5, 1, v20
	v_add_co_u32_e32 v21, vcc, -1, v5
	v_addc_co_u32_e64 v93, s[36:37], 0, -1, vcc
	v_cmp_ne_u32_e32 vcc, 0, v5
	v_xor_b32_e32 v5, vcc_hi, v93
	v_and_b32_e32 v93, exec_hi, v5
	v_lshlrev_b32_e32 v5, 30, v20
	v_xor_b32_e32 v21, vcc_lo, v21
	v_cmp_gt_i64_e32 vcc, 0, v[4:5]
	v_not_b32_e32 v5, v5
	v_ashrrev_i32_e32 v5, 31, v5
	v_and_b32_e32 v21, exec_lo, v21
	v_xor_b32_e32 v95, vcc_hi, v5
	v_xor_b32_e32 v5, vcc_lo, v5
	v_and_b32_e32 v21, v21, v5
	v_lshlrev_b32_e32 v5, 29, v20
	v_cmp_gt_i64_e32 vcc, 0, v[4:5]
	v_not_b32_e32 v5, v5
	v_ashrrev_i32_e32 v5, 31, v5
	v_and_b32_e32 v93, v93, v95
	v_xor_b32_e32 v95, vcc_hi, v5
	v_xor_b32_e32 v5, vcc_lo, v5
	v_and_b32_e32 v21, v21, v5
	v_lshlrev_b32_e32 v5, 28, v20
	v_cmp_gt_i64_e32 vcc, 0, v[4:5]
	v_not_b32_e32 v5, v5
	v_ashrrev_i32_e32 v5, 31, v5
	v_and_b32_e32 v93, v93, v95
	;; [unrolled: 8-line block ×5, first 2 shown]
	v_xor_b32_e32 v95, vcc_hi, v5
	v_xor_b32_e32 v5, vcc_lo, v5
	v_and_b32_e32 v93, v93, v95
	v_and_b32_e32 v95, v21, v5
	v_lshlrev_b32_e32 v5, 24, v20
	v_cmp_gt_i64_e32 vcc, 0, v[4:5]
	v_not_b32_e32 v5, v5
	v_ashrrev_i32_e32 v5, 31, v5
	v_xor_b32_e32 v20, vcc_hi, v5
	v_xor_b32_e32 v5, vcc_lo, v5
	v_and_b32_e32 v21, v93, v20
	v_and_b32_e32 v20, v95, v5
	v_mbcnt_lo_u32_b32 v5, v20, 0
	v_mbcnt_hi_u32_b32 v93, v21, v5
	v_cmp_eq_u32_e32 vcc, 0, v93
	v_cmp_ne_u64_e64 s[36:37], 0, v[20:21]
	s_and_b64 s[38:39], s[36:37], vcc
	s_waitcnt lgkmcnt(0)
	s_barrier
	s_waitcnt lgkmcnt(0)
	; wave barrier
	s_and_saveexec_b64 s[36:37], s[38:39]
	s_cbranch_execz .LBB425_424
; %bb.423:                              ;   in Loop: Header=BB425_408 Depth=2
	v_bcnt_u32_b32 v5, v20, 0
	v_bcnt_u32_b32 v5, v21, v5
	ds_write_b32 v92, v5
.LBB425_424:                            ;   in Loop: Header=BB425_408 Depth=2
	s_or_b64 exec, exec, s[36:37]
	v_xor_b32_e32 v94, 0xffffff80, v94
	v_lshrrev_b32_sdwa v5, s69, v94 dst_sel:DWORD dst_unused:UNUSED_PAD src0_sel:DWORD src1_sel:BYTE_0
	v_and_b32_e32 v20, s77, v5
	v_mul_u32_u24_e32 v5, 5, v20
	v_add_lshl_u32 v5, v5, v88, 2
	; wave barrier
	v_add_u32_e32 v97, 0x410, v5
	ds_read_b32 v95, v5 offset:1040
	v_and_b32_e32 v5, 1, v20
	v_add_co_u32_e32 v21, vcc, -1, v5
	v_addc_co_u32_e64 v98, s[36:37], 0, -1, vcc
	v_cmp_ne_u32_e32 vcc, 0, v5
	v_xor_b32_e32 v5, vcc_hi, v98
	v_and_b32_e32 v98, exec_hi, v5
	v_lshlrev_b32_e32 v5, 30, v20
	v_xor_b32_e32 v21, vcc_lo, v21
	v_cmp_gt_i64_e32 vcc, 0, v[4:5]
	v_not_b32_e32 v5, v5
	v_ashrrev_i32_e32 v5, 31, v5
	v_and_b32_e32 v21, exec_lo, v21
	v_xor_b32_e32 v100, vcc_hi, v5
	v_xor_b32_e32 v5, vcc_lo, v5
	v_and_b32_e32 v21, v21, v5
	v_lshlrev_b32_e32 v5, 29, v20
	v_cmp_gt_i64_e32 vcc, 0, v[4:5]
	v_not_b32_e32 v5, v5
	v_ashrrev_i32_e32 v5, 31, v5
	v_and_b32_e32 v98, v98, v100
	v_xor_b32_e32 v100, vcc_hi, v5
	v_xor_b32_e32 v5, vcc_lo, v5
	v_and_b32_e32 v21, v21, v5
	v_lshlrev_b32_e32 v5, 28, v20
	v_cmp_gt_i64_e32 vcc, 0, v[4:5]
	v_not_b32_e32 v5, v5
	v_ashrrev_i32_e32 v5, 31, v5
	v_and_b32_e32 v98, v98, v100
	;; [unrolled: 8-line block ×5, first 2 shown]
	v_xor_b32_e32 v100, vcc_hi, v5
	v_xor_b32_e32 v5, vcc_lo, v5
	v_and_b32_e32 v98, v98, v100
	v_and_b32_e32 v100, v21, v5
	v_lshlrev_b32_e32 v5, 24, v20
	v_cmp_gt_i64_e32 vcc, 0, v[4:5]
	v_not_b32_e32 v5, v5
	v_ashrrev_i32_e32 v5, 31, v5
	v_xor_b32_e32 v20, vcc_hi, v5
	v_xor_b32_e32 v5, vcc_lo, v5
	v_and_b32_e32 v21, v98, v20
	v_and_b32_e32 v20, v100, v5
	v_mbcnt_lo_u32_b32 v5, v20, 0
	v_mbcnt_hi_u32_b32 v98, v21, v5
	v_cmp_eq_u32_e32 vcc, 0, v98
	v_cmp_ne_u64_e64 s[36:37], 0, v[20:21]
	s_and_b64 s[38:39], s[36:37], vcc
	; wave barrier
	s_and_saveexec_b64 s[36:37], s[38:39]
	s_cbranch_execz .LBB425_426
; %bb.425:                              ;   in Loop: Header=BB425_408 Depth=2
	v_bcnt_u32_b32 v5, v20, 0
	v_bcnt_u32_b32 v5, v21, v5
	s_waitcnt lgkmcnt(0)
	v_add_u32_e32 v5, v95, v5
	ds_write_b32 v97, v5
.LBB425_426:                            ;   in Loop: Header=BB425_408 Depth=2
	s_or_b64 exec, exec, s[36:37]
	v_xor_b32_e32 v99, 0xffffff80, v99
	v_lshrrev_b32_sdwa v5, s69, v99 dst_sel:DWORD dst_unused:UNUSED_PAD src0_sel:DWORD src1_sel:BYTE_0
	v_and_b32_e32 v20, s77, v5
	v_mul_u32_u24_e32 v5, 5, v20
	v_add_lshl_u32 v5, v5, v88, 2
	; wave barrier
	v_add_u32_e32 v102, 0x410, v5
	ds_read_b32 v100, v5 offset:1040
	v_and_b32_e32 v5, 1, v20
	v_add_co_u32_e32 v21, vcc, -1, v5
	v_addc_co_u32_e64 v103, s[36:37], 0, -1, vcc
	v_cmp_ne_u32_e32 vcc, 0, v5
	v_xor_b32_e32 v5, vcc_hi, v103
	v_and_b32_e32 v103, exec_hi, v5
	v_lshlrev_b32_e32 v5, 30, v20
	v_xor_b32_e32 v21, vcc_lo, v21
	v_cmp_gt_i64_e32 vcc, 0, v[4:5]
	v_not_b32_e32 v5, v5
	v_ashrrev_i32_e32 v5, 31, v5
	v_and_b32_e32 v21, exec_lo, v21
	v_xor_b32_e32 v104, vcc_hi, v5
	v_xor_b32_e32 v5, vcc_lo, v5
	v_and_b32_e32 v21, v21, v5
	v_lshlrev_b32_e32 v5, 29, v20
	v_cmp_gt_i64_e32 vcc, 0, v[4:5]
	v_not_b32_e32 v5, v5
	v_ashrrev_i32_e32 v5, 31, v5
	v_and_b32_e32 v103, v103, v104
	v_xor_b32_e32 v104, vcc_hi, v5
	v_xor_b32_e32 v5, vcc_lo, v5
	v_and_b32_e32 v21, v21, v5
	v_lshlrev_b32_e32 v5, 28, v20
	v_cmp_gt_i64_e32 vcc, 0, v[4:5]
	v_not_b32_e32 v5, v5
	v_ashrrev_i32_e32 v5, 31, v5
	v_and_b32_e32 v103, v103, v104
	;; [unrolled: 8-line block ×5, first 2 shown]
	v_xor_b32_e32 v104, vcc_hi, v5
	v_xor_b32_e32 v5, vcc_lo, v5
	v_and_b32_e32 v103, v103, v104
	v_and_b32_e32 v104, v21, v5
	v_lshlrev_b32_e32 v5, 24, v20
	v_cmp_gt_i64_e32 vcc, 0, v[4:5]
	v_not_b32_e32 v5, v5
	v_ashrrev_i32_e32 v5, 31, v5
	v_xor_b32_e32 v20, vcc_hi, v5
	v_xor_b32_e32 v5, vcc_lo, v5
	v_and_b32_e32 v21, v103, v20
	v_and_b32_e32 v20, v104, v5
	v_mbcnt_lo_u32_b32 v5, v20, 0
	v_mbcnt_hi_u32_b32 v103, v21, v5
	v_cmp_eq_u32_e32 vcc, 0, v103
	v_cmp_ne_u64_e64 s[36:37], 0, v[20:21]
	s_and_b64 s[38:39], s[36:37], vcc
	; wave barrier
	s_and_saveexec_b64 s[36:37], s[38:39]
	s_cbranch_execz .LBB425_428
; %bb.427:                              ;   in Loop: Header=BB425_408 Depth=2
	v_bcnt_u32_b32 v5, v20, 0
	v_bcnt_u32_b32 v5, v21, v5
	s_waitcnt lgkmcnt(0)
	v_add_u32_e32 v5, v100, v5
	ds_write_b32 v102, v5
.LBB425_428:                            ;   in Loop: Header=BB425_408 Depth=2
	s_or_b64 exec, exec, s[36:37]
	v_xor_b32_e32 v101, 0xffffff80, v101
	v_lshrrev_b32_sdwa v5, s69, v101 dst_sel:DWORD dst_unused:UNUSED_PAD src0_sel:DWORD src1_sel:BYTE_0
	v_and_b32_e32 v20, s77, v5
	v_mul_u32_u24_e32 v5, 5, v20
	v_add_lshl_u32 v5, v5, v88, 2
	; wave barrier
	v_add_u32_e32 v105, 0x410, v5
	ds_read_b32 v104, v5 offset:1040
	v_and_b32_e32 v5, 1, v20
	v_add_co_u32_e32 v21, vcc, -1, v5
	v_addc_co_u32_e64 v106, s[36:37], 0, -1, vcc
	v_cmp_ne_u32_e32 vcc, 0, v5
	v_xor_b32_e32 v5, vcc_hi, v106
	v_and_b32_e32 v106, exec_hi, v5
	v_lshlrev_b32_e32 v5, 30, v20
	v_xor_b32_e32 v21, vcc_lo, v21
	v_cmp_gt_i64_e32 vcc, 0, v[4:5]
	v_not_b32_e32 v5, v5
	v_ashrrev_i32_e32 v5, 31, v5
	v_and_b32_e32 v21, exec_lo, v21
	v_xor_b32_e32 v107, vcc_hi, v5
	v_xor_b32_e32 v5, vcc_lo, v5
	v_and_b32_e32 v21, v21, v5
	v_lshlrev_b32_e32 v5, 29, v20
	v_cmp_gt_i64_e32 vcc, 0, v[4:5]
	v_not_b32_e32 v5, v5
	v_ashrrev_i32_e32 v5, 31, v5
	v_and_b32_e32 v106, v106, v107
	v_xor_b32_e32 v107, vcc_hi, v5
	v_xor_b32_e32 v5, vcc_lo, v5
	v_and_b32_e32 v21, v21, v5
	v_lshlrev_b32_e32 v5, 28, v20
	v_cmp_gt_i64_e32 vcc, 0, v[4:5]
	v_not_b32_e32 v5, v5
	v_ashrrev_i32_e32 v5, 31, v5
	v_and_b32_e32 v106, v106, v107
	;; [unrolled: 8-line block ×5, first 2 shown]
	v_xor_b32_e32 v107, vcc_hi, v5
	v_xor_b32_e32 v5, vcc_lo, v5
	v_and_b32_e32 v106, v106, v107
	v_and_b32_e32 v107, v21, v5
	v_lshlrev_b32_e32 v5, 24, v20
	v_cmp_gt_i64_e32 vcc, 0, v[4:5]
	v_not_b32_e32 v5, v5
	v_ashrrev_i32_e32 v5, 31, v5
	v_xor_b32_e32 v20, vcc_hi, v5
	v_xor_b32_e32 v5, vcc_lo, v5
	v_and_b32_e32 v21, v106, v20
	v_and_b32_e32 v20, v107, v5
	v_mbcnt_lo_u32_b32 v5, v20, 0
	v_mbcnt_hi_u32_b32 v106, v21, v5
	v_cmp_eq_u32_e32 vcc, 0, v106
	v_cmp_ne_u64_e64 s[36:37], 0, v[20:21]
	s_and_b64 s[38:39], s[36:37], vcc
	; wave barrier
	s_and_saveexec_b64 s[36:37], s[38:39]
	s_cbranch_execz .LBB425_430
; %bb.429:                              ;   in Loop: Header=BB425_408 Depth=2
	v_bcnt_u32_b32 v5, v20, 0
	v_bcnt_u32_b32 v5, v21, v5
	s_waitcnt lgkmcnt(0)
	v_add_u32_e32 v5, v104, v5
	ds_write_b32 v105, v5
.LBB425_430:                            ;   in Loop: Header=BB425_408 Depth=2
	s_or_b64 exec, exec, s[36:37]
	v_xor_b32_e32 v96, 0xffffff80, v96
	v_lshrrev_b32_sdwa v5, s69, v96 dst_sel:DWORD dst_unused:UNUSED_PAD src0_sel:DWORD src1_sel:BYTE_0
	v_and_b32_e32 v20, s77, v5
	v_mul_u32_u24_e32 v5, 5, v20
	v_add_lshl_u32 v5, v5, v88, 2
	; wave barrier
	v_add_u32_e32 v108, 0x410, v5
	ds_read_b32 v107, v5 offset:1040
	v_and_b32_e32 v5, 1, v20
	v_add_co_u32_e32 v21, vcc, -1, v5
	v_addc_co_u32_e64 v109, s[36:37], 0, -1, vcc
	v_cmp_ne_u32_e32 vcc, 0, v5
	v_xor_b32_e32 v5, vcc_hi, v109
	v_and_b32_e32 v109, exec_hi, v5
	v_lshlrev_b32_e32 v5, 30, v20
	v_xor_b32_e32 v21, vcc_lo, v21
	v_cmp_gt_i64_e32 vcc, 0, v[4:5]
	v_not_b32_e32 v5, v5
	v_ashrrev_i32_e32 v5, 31, v5
	v_and_b32_e32 v21, exec_lo, v21
	v_xor_b32_e32 v110, vcc_hi, v5
	v_xor_b32_e32 v5, vcc_lo, v5
	v_and_b32_e32 v21, v21, v5
	v_lshlrev_b32_e32 v5, 29, v20
	v_cmp_gt_i64_e32 vcc, 0, v[4:5]
	v_not_b32_e32 v5, v5
	v_ashrrev_i32_e32 v5, 31, v5
	v_and_b32_e32 v109, v109, v110
	v_xor_b32_e32 v110, vcc_hi, v5
	v_xor_b32_e32 v5, vcc_lo, v5
	v_and_b32_e32 v21, v21, v5
	v_lshlrev_b32_e32 v5, 28, v20
	v_cmp_gt_i64_e32 vcc, 0, v[4:5]
	v_not_b32_e32 v5, v5
	v_ashrrev_i32_e32 v5, 31, v5
	v_and_b32_e32 v109, v109, v110
	;; [unrolled: 8-line block ×5, first 2 shown]
	v_xor_b32_e32 v110, vcc_hi, v5
	v_xor_b32_e32 v5, vcc_lo, v5
	v_and_b32_e32 v109, v109, v110
	v_and_b32_e32 v110, v21, v5
	v_lshlrev_b32_e32 v5, 24, v20
	v_cmp_gt_i64_e32 vcc, 0, v[4:5]
	v_not_b32_e32 v5, v5
	v_ashrrev_i32_e32 v5, 31, v5
	v_xor_b32_e32 v20, vcc_hi, v5
	v_xor_b32_e32 v5, vcc_lo, v5
	v_and_b32_e32 v21, v109, v20
	v_and_b32_e32 v20, v110, v5
	v_mbcnt_lo_u32_b32 v5, v20, 0
	v_mbcnt_hi_u32_b32 v109, v21, v5
	v_cmp_eq_u32_e32 vcc, 0, v109
	v_cmp_ne_u64_e64 s[36:37], 0, v[20:21]
	s_and_b64 s[38:39], s[36:37], vcc
	; wave barrier
	s_and_saveexec_b64 s[36:37], s[38:39]
	s_cbranch_execz .LBB425_432
; %bb.431:                              ;   in Loop: Header=BB425_408 Depth=2
	v_bcnt_u32_b32 v5, v20, 0
	v_bcnt_u32_b32 v5, v21, v5
	s_waitcnt lgkmcnt(0)
	v_add_u32_e32 v5, v107, v5
	ds_write_b32 v108, v5
.LBB425_432:                            ;   in Loop: Header=BB425_408 Depth=2
	s_or_b64 exec, exec, s[36:37]
	v_xor_b32_e32 v91, 0xffffff80, v91
	v_lshrrev_b32_sdwa v5, s69, v91 dst_sel:DWORD dst_unused:UNUSED_PAD src0_sel:DWORD src1_sel:BYTE_0
	v_and_b32_e32 v20, s77, v5
	v_mul_u32_u24_e32 v5, 5, v20
	v_add_lshl_u32 v5, v5, v88, 2
	; wave barrier
	v_add_u32_e32 v111, 0x410, v5
	ds_read_b32 v110, v5 offset:1040
	v_and_b32_e32 v5, 1, v20
	v_add_co_u32_e32 v21, vcc, -1, v5
	v_addc_co_u32_e64 v112, s[36:37], 0, -1, vcc
	v_cmp_ne_u32_e32 vcc, 0, v5
	v_xor_b32_e32 v5, vcc_hi, v112
	v_and_b32_e32 v112, exec_hi, v5
	v_lshlrev_b32_e32 v5, 30, v20
	v_xor_b32_e32 v21, vcc_lo, v21
	v_cmp_gt_i64_e32 vcc, 0, v[4:5]
	v_not_b32_e32 v5, v5
	v_ashrrev_i32_e32 v5, 31, v5
	v_and_b32_e32 v21, exec_lo, v21
	v_xor_b32_e32 v113, vcc_hi, v5
	v_xor_b32_e32 v5, vcc_lo, v5
	v_and_b32_e32 v21, v21, v5
	v_lshlrev_b32_e32 v5, 29, v20
	v_cmp_gt_i64_e32 vcc, 0, v[4:5]
	v_not_b32_e32 v5, v5
	v_ashrrev_i32_e32 v5, 31, v5
	v_and_b32_e32 v112, v112, v113
	v_xor_b32_e32 v113, vcc_hi, v5
	v_xor_b32_e32 v5, vcc_lo, v5
	v_and_b32_e32 v21, v21, v5
	v_lshlrev_b32_e32 v5, 28, v20
	v_cmp_gt_i64_e32 vcc, 0, v[4:5]
	v_not_b32_e32 v5, v5
	v_ashrrev_i32_e32 v5, 31, v5
	v_and_b32_e32 v112, v112, v113
	v_xor_b32_e32 v113, vcc_hi, v5
	v_xor_b32_e32 v5, vcc_lo, v5
	v_and_b32_e32 v21, v21, v5
	v_lshlrev_b32_e32 v5, 27, v20
	v_cmp_gt_i64_e32 vcc, 0, v[4:5]
	v_not_b32_e32 v5, v5
	v_ashrrev_i32_e32 v5, 31, v5
	v_and_b32_e32 v112, v112, v113
	v_xor_b32_e32 v113, vcc_hi, v5
	v_xor_b32_e32 v5, vcc_lo, v5
	v_and_b32_e32 v21, v21, v5
	v_lshlrev_b32_e32 v5, 26, v20
	v_cmp_gt_i64_e32 vcc, 0, v[4:5]
	v_not_b32_e32 v5, v5
	v_ashrrev_i32_e32 v5, 31, v5
	v_and_b32_e32 v112, v112, v113
	v_xor_b32_e32 v113, vcc_hi, v5
	v_xor_b32_e32 v5, vcc_lo, v5
	v_and_b32_e32 v21, v21, v5
	v_lshlrev_b32_e32 v5, 25, v20
	v_cmp_gt_i64_e32 vcc, 0, v[4:5]
	v_not_b32_e32 v5, v5
	v_ashrrev_i32_e32 v5, 31, v5
	v_and_b32_e32 v112, v112, v113
	v_xor_b32_e32 v113, vcc_hi, v5
	v_xor_b32_e32 v5, vcc_lo, v5
	v_and_b32_e32 v112, v112, v113
	v_and_b32_e32 v113, v21, v5
	v_lshlrev_b32_e32 v5, 24, v20
	v_cmp_gt_i64_e32 vcc, 0, v[4:5]
	v_not_b32_e32 v5, v5
	v_ashrrev_i32_e32 v5, 31, v5
	v_xor_b32_e32 v20, vcc_hi, v5
	v_xor_b32_e32 v5, vcc_lo, v5
	v_and_b32_e32 v21, v112, v20
	v_and_b32_e32 v20, v113, v5
	v_mbcnt_lo_u32_b32 v5, v20, 0
	v_mbcnt_hi_u32_b32 v112, v21, v5
	v_cmp_eq_u32_e32 vcc, 0, v112
	v_cmp_ne_u64_e64 s[36:37], 0, v[20:21]
	s_and_b64 s[38:39], s[36:37], vcc
	; wave barrier
	s_and_saveexec_b64 s[36:37], s[38:39]
	s_cbranch_execz .LBB425_434
; %bb.433:                              ;   in Loop: Header=BB425_408 Depth=2
	v_bcnt_u32_b32 v5, v20, 0
	v_bcnt_u32_b32 v5, v21, v5
	s_waitcnt lgkmcnt(0)
	v_add_u32_e32 v5, v110, v5
	ds_write_b32 v111, v5
.LBB425_434:                            ;   in Loop: Header=BB425_408 Depth=2
	s_or_b64 exec, exec, s[36:37]
	v_xor_b32_e32 v113, 0xffffff80, v23
	v_lshrrev_b32_sdwa v5, s69, v113 dst_sel:DWORD dst_unused:UNUSED_PAD src0_sel:DWORD src1_sel:BYTE_0
	v_and_b32_e32 v20, s77, v5
	v_mul_u32_u24_e32 v5, 5, v20
	v_add_lshl_u32 v5, v5, v88, 2
	; wave barrier
	v_add_u32_e32 v115, 0x410, v5
	ds_read_b32 v114, v5 offset:1040
	v_and_b32_e32 v5, 1, v20
	v_add_co_u32_e32 v21, vcc, -1, v5
	v_addc_co_u32_e64 v23, s[36:37], 0, -1, vcc
	v_cmp_ne_u32_e32 vcc, 0, v5
	v_xor_b32_e32 v5, vcc_hi, v23
	v_and_b32_e32 v23, exec_hi, v5
	v_lshlrev_b32_e32 v5, 30, v20
	v_xor_b32_e32 v21, vcc_lo, v21
	v_cmp_gt_i64_e32 vcc, 0, v[4:5]
	v_not_b32_e32 v5, v5
	v_ashrrev_i32_e32 v5, 31, v5
	v_and_b32_e32 v21, exec_lo, v21
	v_xor_b32_e32 v116, vcc_hi, v5
	v_xor_b32_e32 v5, vcc_lo, v5
	v_and_b32_e32 v21, v21, v5
	v_lshlrev_b32_e32 v5, 29, v20
	v_cmp_gt_i64_e32 vcc, 0, v[4:5]
	v_not_b32_e32 v5, v5
	v_ashrrev_i32_e32 v5, 31, v5
	v_and_b32_e32 v23, v23, v116
	v_xor_b32_e32 v116, vcc_hi, v5
	v_xor_b32_e32 v5, vcc_lo, v5
	v_and_b32_e32 v21, v21, v5
	v_lshlrev_b32_e32 v5, 28, v20
	v_cmp_gt_i64_e32 vcc, 0, v[4:5]
	v_not_b32_e32 v5, v5
	v_ashrrev_i32_e32 v5, 31, v5
	v_and_b32_e32 v23, v23, v116
	;; [unrolled: 8-line block ×5, first 2 shown]
	v_xor_b32_e32 v116, vcc_hi, v5
	v_xor_b32_e32 v5, vcc_lo, v5
	v_and_b32_e32 v23, v23, v116
	v_and_b32_e32 v116, v21, v5
	v_lshlrev_b32_e32 v5, 24, v20
	v_cmp_gt_i64_e32 vcc, 0, v[4:5]
	v_not_b32_e32 v5, v5
	v_ashrrev_i32_e32 v5, 31, v5
	v_xor_b32_e32 v20, vcc_hi, v5
	v_xor_b32_e32 v5, vcc_lo, v5
	v_and_b32_e32 v21, v23, v20
	v_and_b32_e32 v20, v116, v5
	v_mbcnt_lo_u32_b32 v5, v20, 0
	v_mbcnt_hi_u32_b32 v116, v21, v5
	v_cmp_eq_u32_e32 vcc, 0, v116
	v_cmp_ne_u64_e64 s[36:37], 0, v[20:21]
	s_and_b64 s[38:39], s[36:37], vcc
	; wave barrier
	s_and_saveexec_b64 s[36:37], s[38:39]
	s_cbranch_execz .LBB425_436
; %bb.435:                              ;   in Loop: Header=BB425_408 Depth=2
	v_bcnt_u32_b32 v5, v20, 0
	v_bcnt_u32_b32 v5, v21, v5
	s_waitcnt lgkmcnt(0)
	v_add_u32_e32 v5, v114, v5
	ds_write_b32 v115, v5
.LBB425_436:                            ;   in Loop: Header=BB425_408 Depth=2
	s_or_b64 exec, exec, s[36:37]
	v_xor_b32_e32 v117, 0xffffff80, v22
	v_lshrrev_b32_sdwa v5, s69, v117 dst_sel:DWORD dst_unused:UNUSED_PAD src0_sel:DWORD src1_sel:BYTE_0
	v_and_b32_e32 v20, s77, v5
	v_mul_u32_u24_e32 v5, 5, v20
	v_add_lshl_u32 v5, v5, v88, 2
	; wave barrier
	v_add_u32_e32 v119, 0x410, v5
	ds_read_b32 v118, v5 offset:1040
	v_and_b32_e32 v5, 1, v20
	v_add_co_u32_e32 v21, vcc, -1, v5
	v_addc_co_u32_e64 v22, s[36:37], 0, -1, vcc
	v_cmp_ne_u32_e32 vcc, 0, v5
	v_xor_b32_e32 v5, vcc_hi, v22
	v_and_b32_e32 v22, exec_hi, v5
	v_lshlrev_b32_e32 v5, 30, v20
	v_xor_b32_e32 v21, vcc_lo, v21
	v_cmp_gt_i64_e32 vcc, 0, v[4:5]
	v_not_b32_e32 v5, v5
	v_ashrrev_i32_e32 v5, 31, v5
	v_and_b32_e32 v21, exec_lo, v21
	v_xor_b32_e32 v23, vcc_hi, v5
	v_xor_b32_e32 v5, vcc_lo, v5
	v_and_b32_e32 v21, v21, v5
	v_lshlrev_b32_e32 v5, 29, v20
	v_cmp_gt_i64_e32 vcc, 0, v[4:5]
	v_not_b32_e32 v5, v5
	v_ashrrev_i32_e32 v5, 31, v5
	v_and_b32_e32 v22, v22, v23
	v_xor_b32_e32 v23, vcc_hi, v5
	v_xor_b32_e32 v5, vcc_lo, v5
	v_and_b32_e32 v21, v21, v5
	v_lshlrev_b32_e32 v5, 28, v20
	v_cmp_gt_i64_e32 vcc, 0, v[4:5]
	v_not_b32_e32 v5, v5
	v_ashrrev_i32_e32 v5, 31, v5
	v_and_b32_e32 v22, v22, v23
	;; [unrolled: 8-line block ×5, first 2 shown]
	v_xor_b32_e32 v23, vcc_hi, v5
	v_xor_b32_e32 v5, vcc_lo, v5
	v_and_b32_e32 v22, v22, v23
	v_and_b32_e32 v23, v21, v5
	v_lshlrev_b32_e32 v5, 24, v20
	v_cmp_gt_i64_e32 vcc, 0, v[4:5]
	v_not_b32_e32 v5, v5
	v_ashrrev_i32_e32 v5, 31, v5
	v_xor_b32_e32 v20, vcc_hi, v5
	v_xor_b32_e32 v5, vcc_lo, v5
	v_and_b32_e32 v21, v22, v20
	v_and_b32_e32 v20, v23, v5
	v_mbcnt_lo_u32_b32 v5, v20, 0
	v_mbcnt_hi_u32_b32 v120, v21, v5
	v_cmp_eq_u32_e32 vcc, 0, v120
	v_cmp_ne_u64_e64 s[36:37], 0, v[20:21]
	s_and_b64 s[38:39], s[36:37], vcc
	; wave barrier
	s_and_saveexec_b64 s[36:37], s[38:39]
	s_cbranch_execz .LBB425_438
; %bb.437:                              ;   in Loop: Header=BB425_408 Depth=2
	v_bcnt_u32_b32 v5, v20, 0
	v_bcnt_u32_b32 v5, v21, v5
	s_waitcnt lgkmcnt(0)
	v_add_u32_e32 v5, v118, v5
	ds_write_b32 v119, v5
.LBB425_438:                            ;   in Loop: Header=BB425_408 Depth=2
	s_or_b64 exec, exec, s[36:37]
	; wave barrier
	s_waitcnt lgkmcnt(0)
	s_barrier
	ds_read_b32 v5, v42 offset:1040
	ds_read2_b32 v[22:23], v44 offset0:1 offset1:2
	ds_read2_b32 v[20:21], v44 offset0:3 offset1:4
	s_waitcnt lgkmcnt(1)
	v_add3_u32 v121, v22, v5, v23
	s_waitcnt lgkmcnt(0)
	v_add3_u32 v21, v121, v20, v21
	s_nop 1
	v_mov_b32_dpp v121, v21 row_shr:1 row_mask:0xf bank_mask:0xf
	v_cndmask_b32_e64 v121, v121, 0, s[16:17]
	v_add_u32_e32 v21, v121, v21
	s_nop 1
	v_mov_b32_dpp v121, v21 row_shr:2 row_mask:0xf bank_mask:0xf
	v_cndmask_b32_e64 v121, 0, v121, s[18:19]
	v_add_u32_e32 v21, v21, v121
	;; [unrolled: 4-line block ×4, first 2 shown]
	s_nop 1
	v_mov_b32_dpp v121, v21 row_bcast:15 row_mask:0xf bank_mask:0xf
	v_cndmask_b32_e64 v121, v121, 0, s[24:25]
	v_add_u32_e32 v21, v21, v121
	s_nop 1
	v_mov_b32_dpp v121, v21 row_bcast:31 row_mask:0xf bank_mask:0xf
	v_cndmask_b32_e64 v121, 0, v121, s[26:27]
	v_add_u32_e32 v21, v21, v121
	s_and_saveexec_b64 s[36:37], s[6:7]
	s_cbranch_execz .LBB425_440
; %bb.439:                              ;   in Loop: Header=BB425_408 Depth=2
	ds_write_b32 v35, v21 offset:1024
.LBB425_440:                            ;   in Loop: Header=BB425_408 Depth=2
	s_or_b64 exec, exec, s[36:37]
	s_waitcnt lgkmcnt(0)
	s_barrier
	s_and_saveexec_b64 s[36:37], s[8:9]
	s_cbranch_execz .LBB425_442
; %bb.441:                              ;   in Loop: Header=BB425_408 Depth=2
	v_add_u32_e32 v121, v42, v45
	ds_read_b32 v122, v121 offset:1024
	s_waitcnt lgkmcnt(0)
	s_nop 0
	v_mov_b32_dpp v123, v122 row_shr:1 row_mask:0xf bank_mask:0xf
	v_cndmask_b32_e64 v123, v123, 0, s[30:31]
	v_add_u32_e32 v122, v123, v122
	s_nop 1
	v_mov_b32_dpp v123, v122 row_shr:2 row_mask:0xf bank_mask:0xf
	v_cndmask_b32_e64 v123, 0, v123, s[34:35]
	v_add_u32_e32 v122, v122, v123
	ds_write_b32 v121, v122 offset:1024
.LBB425_442:                            ;   in Loop: Header=BB425_408 Depth=2
	s_or_b64 exec, exec, s[36:37]
	v_mov_b32_e32 v121, 0
	s_waitcnt lgkmcnt(0)
	s_barrier
	s_and_saveexec_b64 s[36:37], s[10:11]
	s_cbranch_execz .LBB425_444
; %bb.443:                              ;   in Loop: Header=BB425_408 Depth=2
	ds_read_b32 v121, v35 offset:1020
.LBB425_444:                            ;   in Loop: Header=BB425_408 Depth=2
	s_or_b64 exec, exec, s[36:37]
	s_waitcnt lgkmcnt(0)
	v_add_u32_e32 v21, v121, v21
	ds_bpermute_b32 v21, v65, v21
	s_waitcnt lgkmcnt(0)
	v_cndmask_b32_e64 v21, v21, v121, s[28:29]
	v_cndmask_b32_e64 v21, v21, 0, s[12:13]
	v_add_u32_e32 v5, v21, v5
	ds_write_b32 v42, v21 offset:1040
	v_add_u32_e32 v21, v5, v22
	v_add_u32_e32 v22, v21, v23
	ds_write2_b32 v44, v5, v21 offset0:1 offset1:2
	v_add_u32_e32 v5, v22, v20
	ds_write2_b32 v44, v22, v5 offset0:3 offset1:4
	s_waitcnt lgkmcnt(0)
	s_barrier
	ds_read_b32 v20, v97
	ds_read_b32 v21, v102
	;; [unrolled: 1-line block ×8, first 2 shown]
	ds_read_b32 v97, v42 offset:1040
	v_mov_b32_e32 v5, 0x800
	s_and_saveexec_b64 s[36:37], s[14:15]
	s_cbranch_execz .LBB425_446
; %bb.445:                              ;   in Loop: Header=BB425_408 Depth=2
	ds_read_b32 v5, v42 offset:1060
.LBB425_446:                            ;   in Loop: Header=BB425_408 Depth=2
	s_or_b64 exec, exec, s[36:37]
	s_waitcnt lgkmcnt(0)
	s_barrier
	s_and_saveexec_b64 s[36:37], s[4:5]
	s_cbranch_execz .LBB425_448
; %bb.447:                              ;   in Loop: Header=BB425_408 Depth=2
	ds_read_b32 v102, v3
	s_waitcnt lgkmcnt(0)
	v_sub_u32_e32 v97, v102, v97
	ds_write_b32 v3, v97
.LBB425_448:                            ;   in Loop: Header=BB425_408 Depth=2
	s_or_b64 exec, exec, s[36:37]
	v_add_u32_e32 v102, v92, v93
	v_add3_u32 v98, v98, v95, v20
	v_add3_u32 v97, v103, v100, v21
	;; [unrolled: 1-line block ×7, first 2 shown]
	v_cmp_lt_u32_e64 s[48:49], v2, v89
	ds_write_b8 v102, v90 offset:1024
	ds_write_b8 v98, v94 offset:1024
	;; [unrolled: 1-line block ×8, first 2 shown]
	s_waitcnt lgkmcnt(0)
	s_barrier
	s_and_saveexec_b64 s[36:37], s[48:49]
	s_cbranch_execz .LBB425_456
; %bb.449:                              ;   in Loop: Header=BB425_408 Depth=2
	ds_read_u8 v20, v2 offset:1024
	s_waitcnt lgkmcnt(0)
	v_lshrrev_b32_sdwa v21, s69, v20 dst_sel:DWORD dst_unused:UNUSED_PAD src0_sel:DWORD src1_sel:BYTE_0
	v_and_b32_e32 v21, s77, v21
	v_lshlrev_b32_e32 v21, 2, v21
	ds_read_b32 v21, v21
	v_xor_b32_e32 v20, 0x80, v20
	s_waitcnt lgkmcnt(0)
	v_add_u32_e32 v21, v21, v2
	global_store_byte v21, v20, s[58:59]
	s_or_b64 exec, exec, s[36:37]
	v_cmp_lt_u32_e64 s[46:47], v24, v89
	s_and_saveexec_b64 s[36:37], s[46:47]
	s_cbranch_execnz .LBB425_457
.LBB425_450:                            ;   in Loop: Header=BB425_408 Depth=2
	s_or_b64 exec, exec, s[36:37]
	v_cmp_lt_u32_e64 s[44:45], v25, v89
	s_and_saveexec_b64 s[36:37], s[44:45]
	s_cbranch_execz .LBB425_458
.LBB425_451:                            ;   in Loop: Header=BB425_408 Depth=2
	ds_read_u8 v20, v30 offset:512
	s_waitcnt lgkmcnt(0)
	v_lshrrev_b32_sdwa v21, s69, v20 dst_sel:DWORD dst_unused:UNUSED_PAD src0_sel:DWORD src1_sel:BYTE_0
	v_and_b32_e32 v21, s77, v21
	v_lshlrev_b32_e32 v21, 2, v21
	ds_read_b32 v21, v21
	v_xor_b32_e32 v20, 0x80, v20
	s_waitcnt lgkmcnt(0)
	v_add_u32_e32 v21, v21, v25
	global_store_byte v21, v20, s[58:59]
	s_or_b64 exec, exec, s[36:37]
	v_cmp_lt_u32_e64 s[42:43], v26, v89
	s_and_saveexec_b64 s[36:37], s[42:43]
	s_cbranch_execnz .LBB425_459
.LBB425_452:                            ;   in Loop: Header=BB425_408 Depth=2
	s_or_b64 exec, exec, s[36:37]
	v_cmp_lt_u32_e64 s[40:41], v30, v89
	s_and_saveexec_b64 s[36:37], s[40:41]
	s_cbranch_execz .LBB425_460
.LBB425_453:                            ;   in Loop: Header=BB425_408 Depth=2
	ds_read_u8 v20, v30 offset:1024
	s_waitcnt lgkmcnt(0)
	v_lshrrev_b32_sdwa v21, s69, v20 dst_sel:DWORD dst_unused:UNUSED_PAD src0_sel:DWORD src1_sel:BYTE_0
	v_and_b32_e32 v21, s77, v21
	v_lshlrev_b32_e32 v21, 2, v21
	ds_read_b32 v21, v21
	v_xor_b32_e32 v20, 0x80, v20
	s_waitcnt lgkmcnt(0)
	v_add_u32_e32 v21, v21, v30
	global_store_byte v21, v20, s[58:59]
	s_or_b64 exec, exec, s[36:37]
	v_cmp_lt_u32_e64 s[38:39], v31, v89
	s_and_saveexec_b64 s[36:37], s[38:39]
	s_cbranch_execnz .LBB425_461
.LBB425_454:                            ;   in Loop: Header=BB425_408 Depth=2
	s_or_b64 exec, exec, s[36:37]
	v_cmp_lt_u32_e64 s[36:37], v32, v89
	s_and_saveexec_b64 s[52:53], s[36:37]
	s_cbranch_execz .LBB425_462
.LBB425_455:                            ;   in Loop: Header=BB425_408 Depth=2
	ds_read_u8 v20, v30 offset:1536
	s_waitcnt lgkmcnt(0)
	v_lshrrev_b32_sdwa v21, s69, v20 dst_sel:DWORD dst_unused:UNUSED_PAD src0_sel:DWORD src1_sel:BYTE_0
	v_and_b32_e32 v21, s77, v21
	v_lshlrev_b32_e32 v21, 2, v21
	ds_read_b32 v21, v21
	v_xor_b32_e32 v20, 0x80, v20
	s_waitcnt lgkmcnt(0)
	v_add_u32_e32 v21, v21, v32
	global_store_byte v21, v20, s[58:59]
	s_or_b64 exec, exec, s[52:53]
	v_cmp_lt_u32_e32 vcc, v33, v89
	s_and_saveexec_b64 s[52:53], vcc
	s_cbranch_execnz .LBB425_463
	s_branch .LBB425_464
.LBB425_456:                            ;   in Loop: Header=BB425_408 Depth=2
	s_or_b64 exec, exec, s[36:37]
	v_cmp_lt_u32_e64 s[46:47], v24, v89
	s_and_saveexec_b64 s[36:37], s[46:47]
	s_cbranch_execz .LBB425_450
.LBB425_457:                            ;   in Loop: Header=BB425_408 Depth=2
	ds_read_u8 v20, v30 offset:256
	s_waitcnt lgkmcnt(0)
	v_lshrrev_b32_sdwa v21, s69, v20 dst_sel:DWORD dst_unused:UNUSED_PAD src0_sel:DWORD src1_sel:BYTE_0
	v_and_b32_e32 v21, s77, v21
	v_lshlrev_b32_e32 v21, 2, v21
	ds_read_b32 v21, v21
	v_xor_b32_e32 v20, 0x80, v20
	s_waitcnt lgkmcnt(0)
	v_add_u32_e32 v21, v21, v24
	global_store_byte v21, v20, s[58:59]
	s_or_b64 exec, exec, s[36:37]
	v_cmp_lt_u32_e64 s[44:45], v25, v89
	s_and_saveexec_b64 s[36:37], s[44:45]
	s_cbranch_execnz .LBB425_451
.LBB425_458:                            ;   in Loop: Header=BB425_408 Depth=2
	s_or_b64 exec, exec, s[36:37]
	v_cmp_lt_u32_e64 s[42:43], v26, v89
	s_and_saveexec_b64 s[36:37], s[42:43]
	s_cbranch_execz .LBB425_452
.LBB425_459:                            ;   in Loop: Header=BB425_408 Depth=2
	ds_read_u8 v20, v30 offset:768
	s_waitcnt lgkmcnt(0)
	v_lshrrev_b32_sdwa v21, s69, v20 dst_sel:DWORD dst_unused:UNUSED_PAD src0_sel:DWORD src1_sel:BYTE_0
	v_and_b32_e32 v21, s77, v21
	v_lshlrev_b32_e32 v21, 2, v21
	ds_read_b32 v21, v21
	v_xor_b32_e32 v20, 0x80, v20
	s_waitcnt lgkmcnt(0)
	v_add_u32_e32 v21, v21, v26
	global_store_byte v21, v20, s[58:59]
	s_or_b64 exec, exec, s[36:37]
	v_cmp_lt_u32_e64 s[40:41], v30, v89
	s_and_saveexec_b64 s[36:37], s[40:41]
	s_cbranch_execnz .LBB425_453
.LBB425_460:                            ;   in Loop: Header=BB425_408 Depth=2
	s_or_b64 exec, exec, s[36:37]
	v_cmp_lt_u32_e64 s[38:39], v31, v89
	s_and_saveexec_b64 s[36:37], s[38:39]
	s_cbranch_execz .LBB425_454
.LBB425_461:                            ;   in Loop: Header=BB425_408 Depth=2
	ds_read_u8 v20, v30 offset:1280
	s_waitcnt lgkmcnt(0)
	v_lshrrev_b32_sdwa v21, s69, v20 dst_sel:DWORD dst_unused:UNUSED_PAD src0_sel:DWORD src1_sel:BYTE_0
	v_and_b32_e32 v21, s77, v21
	v_lshlrev_b32_e32 v21, 2, v21
	ds_read_b32 v21, v21
	v_xor_b32_e32 v20, 0x80, v20
	s_waitcnt lgkmcnt(0)
	v_add_u32_e32 v21, v21, v31
	global_store_byte v21, v20, s[58:59]
	s_or_b64 exec, exec, s[36:37]
	v_cmp_lt_u32_e64 s[36:37], v32, v89
	s_and_saveexec_b64 s[52:53], s[36:37]
	s_cbranch_execnz .LBB425_455
.LBB425_462:                            ;   in Loop: Header=BB425_408 Depth=2
	s_or_b64 exec, exec, s[52:53]
	v_cmp_lt_u32_e32 vcc, v33, v89
	s_and_saveexec_b64 s[52:53], vcc
	s_cbranch_execz .LBB425_464
.LBB425_463:                            ;   in Loop: Header=BB425_408 Depth=2
	ds_read_u8 v20, v30 offset:1792
	s_waitcnt lgkmcnt(0)
	v_lshrrev_b32_sdwa v21, s69, v20 dst_sel:DWORD dst_unused:UNUSED_PAD src0_sel:DWORD src1_sel:BYTE_0
	v_and_b32_e32 v21, s77, v21
	v_lshlrev_b32_e32 v21, 2, v21
	ds_read_b32 v21, v21
	v_xor_b32_e32 v20, 0x80, v20
	s_waitcnt lgkmcnt(0)
	v_add_u32_e32 v21, v21, v33
	global_store_byte v21, v20, s[58:59]
.LBB425_464:                            ;   in Loop: Header=BB425_408 Depth=2
	s_or_b64 exec, exec, s[52:53]
	s_lshl_b64 s[52:53], s[72:73], 3
	v_mov_b32_e32 v21, s53
	v_add_co_u32_e64 v20, s[52:53], s52, v77
	v_addc_co_u32_e64 v21, s[52:53], v78, v21, s[52:53]
	v_cmp_lt_u32_e64 s[52:53], v72, v89
	s_and_saveexec_b64 s[62:63], s[52:53]
	s_xor_b64 s[52:53], exec, s[62:63]
	s_cbranch_execz .LBB425_480
; %bb.465:                              ;   in Loop: Header=BB425_408 Depth=2
	global_load_dwordx2 v[18:19], v[20:21], off
	s_or_b64 exec, exec, s[52:53]
	v_cmp_lt_u32_e64 s[52:53], v79, v89
	s_and_saveexec_b64 s[62:63], s[52:53]
	s_cbranch_execnz .LBB425_481
.LBB425_466:                            ;   in Loop: Header=BB425_408 Depth=2
	s_or_b64 exec, exec, s[62:63]
	v_cmp_lt_u32_e64 s[52:53], v80, v89
	s_and_saveexec_b64 s[62:63], s[52:53]
	s_cbranch_execz .LBB425_482
.LBB425_467:                            ;   in Loop: Header=BB425_408 Depth=2
	global_load_dwordx2 v[14:15], v[20:21], off offset:1024
	s_or_b64 exec, exec, s[62:63]
	v_cmp_lt_u32_e64 s[52:53], v81, v89
	s_and_saveexec_b64 s[62:63], s[52:53]
	s_cbranch_execnz .LBB425_483
.LBB425_468:                            ;   in Loop: Header=BB425_408 Depth=2
	s_or_b64 exec, exec, s[62:63]
	v_cmp_lt_u32_e64 s[52:53], v82, v89
	s_and_saveexec_b64 s[62:63], s[52:53]
	s_cbranch_execz .LBB425_484
.LBB425_469:                            ;   in Loop: Header=BB425_408 Depth=2
	global_load_dwordx2 v[10:11], v[20:21], off offset:2048
	s_or_b64 exec, exec, s[62:63]
	v_cmp_lt_u32_e64 s[52:53], v83, v89
	s_and_saveexec_b64 s[62:63], s[52:53]
	s_cbranch_execnz .LBB425_485
.LBB425_470:                            ;   in Loop: Header=BB425_408 Depth=2
	s_or_b64 exec, exec, s[62:63]
	v_cmp_lt_u32_e64 s[52:53], v84, v89
	s_and_saveexec_b64 s[62:63], s[52:53]
	s_cbranch_execz .LBB425_486
.LBB425_471:                            ;   in Loop: Header=BB425_408 Depth=2
	global_load_dwordx2 v[6:7], v[20:21], off offset:3072
	s_or_b64 exec, exec, s[62:63]
	v_cmp_lt_u32_e64 s[52:53], v85, v89
	s_and_saveexec_b64 s[62:63], s[52:53]
	s_cbranch_execnz .LBB425_487
.LBB425_472:                            ;   in Loop: Header=BB425_408 Depth=2
	s_or_b64 exec, exec, s[62:63]
	s_and_saveexec_b64 s[52:53], s[48:49]
	s_cbranch_execz .LBB425_488
.LBB425_473:                            ;   in Loop: Header=BB425_408 Depth=2
	ds_read_u8 v20, v2 offset:1024
	s_waitcnt lgkmcnt(0)
	v_lshrrev_b32_e32 v20, s69, v20
	v_and_b32_e32 v75, s77, v20
	s_or_b64 exec, exec, s[52:53]
	s_and_saveexec_b64 s[52:53], s[46:47]
	s_cbranch_execnz .LBB425_489
.LBB425_474:                            ;   in Loop: Header=BB425_408 Depth=2
	s_or_b64 exec, exec, s[52:53]
	s_and_saveexec_b64 s[52:53], s[44:45]
	s_cbranch_execz .LBB425_490
.LBB425_475:                            ;   in Loop: Header=BB425_408 Depth=2
	ds_read_u8 v20, v30 offset:512
	s_waitcnt lgkmcnt(0)
	v_lshrrev_b32_e32 v20, s69, v20
	v_and_b32_e32 v71, s77, v20
	s_or_b64 exec, exec, s[52:53]
	s_and_saveexec_b64 s[52:53], s[42:43]
	s_cbranch_execnz .LBB425_491
.LBB425_476:                            ;   in Loop: Header=BB425_408 Depth=2
	s_or_b64 exec, exec, s[52:53]
	s_and_saveexec_b64 s[52:53], s[40:41]
	s_cbranch_execz .LBB425_492
.LBB425_477:                            ;   in Loop: Header=BB425_408 Depth=2
	ds_read_u8 v20, v30 offset:1024
	s_waitcnt lgkmcnt(0)
	v_lshrrev_b32_e32 v20, s69, v20
	v_and_b32_e32 v69, s77, v20
	s_or_b64 exec, exec, s[52:53]
	s_and_saveexec_b64 s[52:53], s[38:39]
	s_cbranch_execnz .LBB425_493
.LBB425_478:                            ;   in Loop: Header=BB425_408 Depth=2
	s_or_b64 exec, exec, s[52:53]
	s_and_saveexec_b64 s[52:53], s[36:37]
	s_cbranch_execz .LBB425_494
.LBB425_479:                            ;   in Loop: Header=BB425_408 Depth=2
	ds_read_u8 v20, v30 offset:1536
	s_waitcnt lgkmcnt(0)
	v_lshrrev_b32_e32 v20, s69, v20
	v_and_b32_e32 v67, s77, v20
	s_or_b64 exec, exec, s[52:53]
	s_and_saveexec_b64 s[52:53], vcc
	s_cbranch_execnz .LBB425_495
	s_branch .LBB425_496
.LBB425_480:                            ;   in Loop: Header=BB425_408 Depth=2
	s_or_b64 exec, exec, s[52:53]
	v_cmp_lt_u32_e64 s[52:53], v79, v89
	s_and_saveexec_b64 s[62:63], s[52:53]
	s_cbranch_execz .LBB425_466
.LBB425_481:                            ;   in Loop: Header=BB425_408 Depth=2
	global_load_dwordx2 v[16:17], v[20:21], off offset:512
	s_or_b64 exec, exec, s[62:63]
	v_cmp_lt_u32_e64 s[52:53], v80, v89
	s_and_saveexec_b64 s[62:63], s[52:53]
	s_cbranch_execnz .LBB425_467
.LBB425_482:                            ;   in Loop: Header=BB425_408 Depth=2
	s_or_b64 exec, exec, s[62:63]
	v_cmp_lt_u32_e64 s[52:53], v81, v89
	s_and_saveexec_b64 s[62:63], s[52:53]
	s_cbranch_execz .LBB425_468
.LBB425_483:                            ;   in Loop: Header=BB425_408 Depth=2
	global_load_dwordx2 v[12:13], v[20:21], off offset:1536
	s_or_b64 exec, exec, s[62:63]
	v_cmp_lt_u32_e64 s[52:53], v82, v89
	s_and_saveexec_b64 s[62:63], s[52:53]
	s_cbranch_execnz .LBB425_469
.LBB425_484:                            ;   in Loop: Header=BB425_408 Depth=2
	s_or_b64 exec, exec, s[62:63]
	v_cmp_lt_u32_e64 s[52:53], v83, v89
	s_and_saveexec_b64 s[62:63], s[52:53]
	s_cbranch_execz .LBB425_470
.LBB425_485:                            ;   in Loop: Header=BB425_408 Depth=2
	global_load_dwordx2 v[8:9], v[20:21], off offset:2560
	s_or_b64 exec, exec, s[62:63]
	v_cmp_lt_u32_e64 s[52:53], v84, v89
	s_and_saveexec_b64 s[62:63], s[52:53]
	s_cbranch_execnz .LBB425_471
.LBB425_486:                            ;   in Loop: Header=BB425_408 Depth=2
	s_or_b64 exec, exec, s[62:63]
	v_cmp_lt_u32_e64 s[52:53], v85, v89
	s_and_saveexec_b64 s[62:63], s[52:53]
	s_cbranch_execz .LBB425_472
.LBB425_487:                            ;   in Loop: Header=BB425_408 Depth=2
	global_load_dwordx2 v[0:1], v[20:21], off offset:3584
	s_or_b64 exec, exec, s[62:63]
	s_and_saveexec_b64 s[52:53], s[48:49]
	s_cbranch_execnz .LBB425_473
.LBB425_488:                            ;   in Loop: Header=BB425_408 Depth=2
	s_or_b64 exec, exec, s[52:53]
	s_and_saveexec_b64 s[52:53], s[46:47]
	s_cbranch_execz .LBB425_474
.LBB425_489:                            ;   in Loop: Header=BB425_408 Depth=2
	ds_read_u8 v20, v30 offset:256
	s_waitcnt lgkmcnt(0)
	v_lshrrev_b32_e32 v20, s69, v20
	v_and_b32_e32 v73, s77, v20
	s_or_b64 exec, exec, s[52:53]
	s_and_saveexec_b64 s[52:53], s[44:45]
	s_cbranch_execnz .LBB425_475
.LBB425_490:                            ;   in Loop: Header=BB425_408 Depth=2
	s_or_b64 exec, exec, s[52:53]
	s_and_saveexec_b64 s[52:53], s[42:43]
	s_cbranch_execz .LBB425_476
.LBB425_491:                            ;   in Loop: Header=BB425_408 Depth=2
	ds_read_u8 v20, v30 offset:768
	s_waitcnt lgkmcnt(0)
	v_lshrrev_b32_e32 v20, s69, v20
	v_and_b32_e32 v70, s77, v20
	s_or_b64 exec, exec, s[52:53]
	s_and_saveexec_b64 s[52:53], s[40:41]
	s_cbranch_execnz .LBB425_477
.LBB425_492:                            ;   in Loop: Header=BB425_408 Depth=2
	s_or_b64 exec, exec, s[52:53]
	s_and_saveexec_b64 s[52:53], s[38:39]
	s_cbranch_execz .LBB425_478
.LBB425_493:                            ;   in Loop: Header=BB425_408 Depth=2
	ds_read_u8 v20, v30 offset:1280
	s_waitcnt lgkmcnt(0)
	v_lshrrev_b32_e32 v20, s69, v20
	v_and_b32_e32 v68, s77, v20
	s_or_b64 exec, exec, s[52:53]
	s_and_saveexec_b64 s[52:53], s[36:37]
	s_cbranch_execnz .LBB425_479
.LBB425_494:                            ;   in Loop: Header=BB425_408 Depth=2
	s_or_b64 exec, exec, s[52:53]
	s_and_saveexec_b64 s[52:53], vcc
	s_cbranch_execz .LBB425_496
.LBB425_495:                            ;   in Loop: Header=BB425_408 Depth=2
	ds_read_u8 v20, v30 offset:1792
	s_waitcnt lgkmcnt(0)
	v_lshrrev_b32_e32 v20, s69, v20
	v_and_b32_e32 v66, s77, v20
.LBB425_496:                            ;   in Loop: Header=BB425_408 Depth=2
	s_or_b64 exec, exec, s[52:53]
	v_lshlrev_b32_e32 v20, 3, v102
	s_barrier
	s_waitcnt vmcnt(0)
	ds_write_b64 v20, v[18:19] offset:1024
	v_lshlrev_b32_e32 v20, 3, v98
	ds_write_b64 v20, v[16:17] offset:1024
	v_lshlrev_b32_e32 v20, 3, v97
	ds_write_b64 v20, v[14:15] offset:1024
	v_lshlrev_b32_e32 v20, 3, v95
	ds_write_b64 v20, v[12:13] offset:1024
	v_lshlrev_b32_e32 v20, 3, v93
	ds_write_b64 v20, v[10:11] offset:1024
	v_lshlrev_b32_e32 v20, 3, v92
	ds_write_b64 v20, v[8:9] offset:1024
	v_lshlrev_b32_e32 v20, 3, v23
	ds_write_b64 v20, v[6:7] offset:1024
	v_lshlrev_b32_e32 v20, 3, v22
	ds_write_b64 v20, v[0:1] offset:1024
	s_waitcnt lgkmcnt(0)
	s_barrier
	s_and_saveexec_b64 s[52:53], s[48:49]
	s_cbranch_execz .LBB425_504
; %bb.497:                              ;   in Loop: Header=BB425_408 Depth=2
	v_lshlrev_b32_e32 v20, 2, v75
	ds_read_b32 v22, v20
	v_add_u32_e32 v20, v2, v50
	ds_read_b64 v[20:21], v20 offset:1024
	v_mov_b32_e32 v23, v4
	v_mov_b32_e32 v89, s65
	s_waitcnt lgkmcnt(1)
	v_add_u32_e32 v22, v22, v2
	v_lshlrev_b64 v[22:23], 3, v[22:23]
	v_add_co_u32_e64 v22, s[48:49], s64, v22
	v_addc_co_u32_e64 v23, s[48:49], v89, v23, s[48:49]
	s_waitcnt lgkmcnt(0)
	global_store_dwordx2 v[22:23], v[20:21], off
	s_or_b64 exec, exec, s[52:53]
	s_and_saveexec_b64 s[48:49], s[46:47]
	s_cbranch_execnz .LBB425_505
.LBB425_498:                            ;   in Loop: Header=BB425_408 Depth=2
	s_or_b64 exec, exec, s[48:49]
	s_and_saveexec_b64 s[46:47], s[44:45]
	s_cbranch_execz .LBB425_506
.LBB425_499:                            ;   in Loop: Header=BB425_408 Depth=2
	v_lshlrev_b32_e32 v20, 2, v71
	ds_read_b32 v22, v20
	v_add_u32_e32 v20, v30, v50
	ds_read_b64 v[20:21], v20 offset:4096
	v_mov_b32_e32 v23, v4
	v_mov_b32_e32 v89, s65
	s_waitcnt lgkmcnt(1)
	v_add_u32_e32 v22, v22, v25
	v_lshlrev_b64 v[22:23], 3, v[22:23]
	v_add_co_u32_e64 v22, s[44:45], s64, v22
	v_addc_co_u32_e64 v23, s[44:45], v89, v23, s[44:45]
	s_waitcnt lgkmcnt(0)
	global_store_dwordx2 v[22:23], v[20:21], off
	s_or_b64 exec, exec, s[46:47]
	s_and_saveexec_b64 s[44:45], s[42:43]
	s_cbranch_execnz .LBB425_507
.LBB425_500:                            ;   in Loop: Header=BB425_408 Depth=2
	s_or_b64 exec, exec, s[44:45]
	s_and_saveexec_b64 s[42:43], s[40:41]
	s_cbranch_execz .LBB425_508
.LBB425_501:                            ;   in Loop: Header=BB425_408 Depth=2
	v_lshlrev_b32_e32 v20, 2, v69
	ds_read_b32 v22, v20
	v_add_u32_e32 v20, v30, v50
	ds_read_b64 v[20:21], v20 offset:8192
	v_mov_b32_e32 v23, v4
	v_mov_b32_e32 v89, s65
	s_waitcnt lgkmcnt(1)
	v_add_u32_e32 v22, v22, v30
	v_lshlrev_b64 v[22:23], 3, v[22:23]
	v_add_co_u32_e64 v22, s[40:41], s64, v22
	v_addc_co_u32_e64 v23, s[40:41], v89, v23, s[40:41]
	s_waitcnt lgkmcnt(0)
	global_store_dwordx2 v[22:23], v[20:21], off
	s_or_b64 exec, exec, s[42:43]
	s_and_saveexec_b64 s[40:41], s[38:39]
	s_cbranch_execnz .LBB425_509
.LBB425_502:                            ;   in Loop: Header=BB425_408 Depth=2
	s_or_b64 exec, exec, s[40:41]
	s_and_saveexec_b64 s[38:39], s[36:37]
	s_cbranch_execz .LBB425_510
.LBB425_503:                            ;   in Loop: Header=BB425_408 Depth=2
	v_lshlrev_b32_e32 v20, 2, v67
	ds_read_b32 v22, v20
	v_add_u32_e32 v20, v30, v50
	ds_read_b64 v[20:21], v20 offset:12288
	v_mov_b32_e32 v23, v4
	v_mov_b32_e32 v89, s65
	s_waitcnt lgkmcnt(1)
	v_add_u32_e32 v22, v22, v32
	v_lshlrev_b64 v[22:23], 3, v[22:23]
	v_add_co_u32_e64 v22, s[36:37], s64, v22
	v_addc_co_u32_e64 v23, s[36:37], v89, v23, s[36:37]
	s_waitcnt lgkmcnt(0)
	global_store_dwordx2 v[22:23], v[20:21], off
	s_or_b64 exec, exec, s[38:39]
	s_and_saveexec_b64 s[36:37], vcc
	s_cbranch_execnz .LBB425_511
	s_branch .LBB425_512
.LBB425_504:                            ;   in Loop: Header=BB425_408 Depth=2
	s_or_b64 exec, exec, s[52:53]
	s_and_saveexec_b64 s[48:49], s[46:47]
	s_cbranch_execz .LBB425_498
.LBB425_505:                            ;   in Loop: Header=BB425_408 Depth=2
	v_lshlrev_b32_e32 v20, 2, v73
	ds_read_b32 v22, v20
	v_add_u32_e32 v20, v30, v50
	ds_read_b64 v[20:21], v20 offset:2048
	v_mov_b32_e32 v23, v4
	v_mov_b32_e32 v89, s65
	s_waitcnt lgkmcnt(1)
	v_add_u32_e32 v22, v22, v24
	v_lshlrev_b64 v[22:23], 3, v[22:23]
	v_add_co_u32_e64 v22, s[46:47], s64, v22
	v_addc_co_u32_e64 v23, s[46:47], v89, v23, s[46:47]
	s_waitcnt lgkmcnt(0)
	global_store_dwordx2 v[22:23], v[20:21], off
	s_or_b64 exec, exec, s[48:49]
	s_and_saveexec_b64 s[46:47], s[44:45]
	s_cbranch_execnz .LBB425_499
.LBB425_506:                            ;   in Loop: Header=BB425_408 Depth=2
	s_or_b64 exec, exec, s[46:47]
	s_and_saveexec_b64 s[44:45], s[42:43]
	s_cbranch_execz .LBB425_500
.LBB425_507:                            ;   in Loop: Header=BB425_408 Depth=2
	v_lshlrev_b32_e32 v20, 2, v70
	ds_read_b32 v22, v20
	v_add_u32_e32 v20, v30, v50
	ds_read_b64 v[20:21], v20 offset:6144
	v_mov_b32_e32 v23, v4
	v_mov_b32_e32 v89, s65
	s_waitcnt lgkmcnt(1)
	v_add_u32_e32 v22, v22, v26
	v_lshlrev_b64 v[22:23], 3, v[22:23]
	v_add_co_u32_e64 v22, s[42:43], s64, v22
	v_addc_co_u32_e64 v23, s[42:43], v89, v23, s[42:43]
	s_waitcnt lgkmcnt(0)
	global_store_dwordx2 v[22:23], v[20:21], off
	s_or_b64 exec, exec, s[44:45]
	s_and_saveexec_b64 s[42:43], s[40:41]
	s_cbranch_execnz .LBB425_501
.LBB425_508:                            ;   in Loop: Header=BB425_408 Depth=2
	s_or_b64 exec, exec, s[42:43]
	s_and_saveexec_b64 s[40:41], s[38:39]
	s_cbranch_execz .LBB425_502
.LBB425_509:                            ;   in Loop: Header=BB425_408 Depth=2
	v_lshlrev_b32_e32 v20, 2, v68
	ds_read_b32 v22, v20
	v_add_u32_e32 v20, v30, v50
	ds_read_b64 v[20:21], v20 offset:10240
	v_mov_b32_e32 v23, v4
	v_mov_b32_e32 v89, s65
	s_waitcnt lgkmcnt(1)
	v_add_u32_e32 v22, v22, v31
	v_lshlrev_b64 v[22:23], 3, v[22:23]
	v_add_co_u32_e64 v22, s[38:39], s64, v22
	v_addc_co_u32_e64 v23, s[38:39], v89, v23, s[38:39]
	s_waitcnt lgkmcnt(0)
	global_store_dwordx2 v[22:23], v[20:21], off
	s_or_b64 exec, exec, s[40:41]
	s_and_saveexec_b64 s[38:39], s[36:37]
	s_cbranch_execnz .LBB425_503
.LBB425_510:                            ;   in Loop: Header=BB425_408 Depth=2
	s_or_b64 exec, exec, s[38:39]
	s_and_saveexec_b64 s[36:37], vcc
	s_cbranch_execz .LBB425_512
.LBB425_511:                            ;   in Loop: Header=BB425_408 Depth=2
	v_lshlrev_b32_e32 v20, 2, v66
	ds_read_b32 v22, v20
	v_add_u32_e32 v20, v30, v50
	ds_read_b64 v[20:21], v20 offset:14336
	v_mov_b32_e32 v23, v4
	v_mov_b32_e32 v89, s65
	s_waitcnt lgkmcnt(1)
	v_add_u32_e32 v22, v22, v33
	v_lshlrev_b64 v[22:23], 3, v[22:23]
	v_add_co_u32_e32 v22, vcc, s64, v22
	v_addc_co_u32_e32 v23, vcc, v89, v23, vcc
	s_waitcnt lgkmcnt(0)
	global_store_dwordx2 v[22:23], v[20:21], off
.LBB425_512:                            ;   in Loop: Header=BB425_408 Depth=2
	s_or_b64 exec, exec, s[36:37]
	s_barrier
	s_and_saveexec_b64 s[36:37], s[4:5]
	s_cbranch_execz .LBB425_407
; %bb.513:                              ;   in Loop: Header=BB425_408 Depth=2
	ds_read_b32 v20, v3
	s_waitcnt lgkmcnt(0)
	v_add_u32_e32 v5, v20, v5
	ds_write_b32 v3, v5
	s_branch .LBB425_407
.LBB425_514:                            ;   in Loop: Header=BB425_408 Depth=2
	s_or_b64 exec, exec, s[36:37]
	v_cmp_gt_u32_e32 vcc, s78, v79
	s_and_saveexec_b64 s[36:37], vcc
	s_cbranch_execz .LBB425_414
.LBB425_515:                            ;   in Loop: Header=BB425_408 Depth=2
	global_load_ubyte v94, v[20:21], off offset:64
	s_or_b64 exec, exec, s[36:37]
	v_cmp_gt_u32_e32 vcc, s78, v80
	s_and_saveexec_b64 s[36:37], vcc
	s_cbranch_execnz .LBB425_415
.LBB425_516:                            ;   in Loop: Header=BB425_408 Depth=2
	s_or_b64 exec, exec, s[36:37]
	v_cmp_gt_u32_e32 vcc, s78, v81
	s_and_saveexec_b64 s[36:37], vcc
	s_cbranch_execz .LBB425_416
.LBB425_517:                            ;   in Loop: Header=BB425_408 Depth=2
	global_load_ubyte v101, v[20:21], off offset:192
	s_or_b64 exec, exec, s[36:37]
	v_cmp_gt_u32_e32 vcc, s78, v82
	s_and_saveexec_b64 s[36:37], vcc
	s_cbranch_execnz .LBB425_417
.LBB425_518:                            ;   in Loop: Header=BB425_408 Depth=2
	s_or_b64 exec, exec, s[36:37]
	v_cmp_gt_u32_e32 vcc, s78, v83
	s_and_saveexec_b64 s[36:37], vcc
	s_cbranch_execz .LBB425_418
.LBB425_519:                            ;   in Loop: Header=BB425_408 Depth=2
	global_load_ubyte v91, v[20:21], off offset:320
	s_or_b64 exec, exec, s[36:37]
	v_cmp_gt_u32_e32 vcc, s78, v84
	s_and_saveexec_b64 s[36:37], vcc
	s_cbranch_execnz .LBB425_419
	s_branch .LBB425_420
.LBB425_520:                            ;   in Loop: Header=BB425_20 Depth=1
	s_waitcnt lgkmcnt(0)
	s_barrier
	s_mov_b64 s[16:17], 0
.LBB425_521:                            ;   in Loop: Header=BB425_20 Depth=1
	s_and_b64 vcc, exec, s[16:17]
	s_cbranch_vccz .LBB425_19
; %bb.522:                              ;   in Loop: Header=BB425_20 Depth=1
	s_mov_b32 s20, s71
	s_mov_b32 s22, s51
	s_barrier
	s_waitcnt lgkmcnt(0)
                                        ; implicit-def: $vgpr5
                                        ; implicit-def: $vgpr6
                                        ; implicit-def: $vgpr7
                                        ; implicit-def: $vgpr8
                                        ; implicit-def: $vgpr9
                                        ; implicit-def: $vgpr10
                                        ; implicit-def: $vgpr11
                                        ; implicit-def: $vgpr12
	s_branch .LBB425_524
.LBB425_523:                            ;   in Loop: Header=BB425_524 Depth=2
	s_or_b64 exec, exec, s[16:17]
	s_addk_i32 s20, 0xf800
	s_cmp_ge_u32 s21, s76
	s_mov_b32 s22, s21
	s_cbranch_scc1 .LBB425_562
.LBB425_524:                            ;   Parent Loop BB425_20 Depth=1
                                        ; =>  This Inner Loop Header: Depth=2
	s_add_i32 s21, s22, 0x800
	s_cmp_gt_u32 s21, s76
	s_cbranch_scc1 .LBB425_527
; %bb.525:                              ;   in Loop: Header=BB425_524 Depth=2
	v_add_co_u32_e32 v0, vcc, s22, v57
	v_addc_co_u32_e32 v1, vcc, 0, v58, vcc
	global_load_ubyte v20, v[0:1], off offset:1536
	global_load_ubyte v19, v[0:1], off offset:1280
	;; [unrolled: 1-line block ×6, first 2 shown]
	global_load_ubyte v14, v[0:1], off
	v_add_co_u32_e32 v0, vcc, 0x700, v0
	v_addc_co_u32_e32 v1, vcc, 0, v1, vcc
	s_mov_b64 s[16:17], -1
	s_movk_i32 s25, 0x800
	s_cbranch_execz .LBB425_528
; %bb.526:                              ;   in Loop: Header=BB425_524 Depth=2
                                        ; implicit-def: $vgpr5
                                        ; implicit-def: $vgpr6
                                        ; implicit-def: $vgpr7
                                        ; implicit-def: $vgpr8
                                        ; implicit-def: $vgpr9
                                        ; implicit-def: $vgpr10
                                        ; implicit-def: $vgpr11
                                        ; implicit-def: $vgpr12
	v_mov_b32_e32 v13, s20
	s_and_saveexec_b64 s[18:19], s[16:17]
	s_cbranch_execnz .LBB425_539
	s_branch .LBB425_540
.LBB425_527:                            ;   in Loop: Header=BB425_524 Depth=2
	s_mov_b64 s[16:17], 0
                                        ; implicit-def: $sgpr25
                                        ; implicit-def: $vgpr14
                                        ; implicit-def: $vgpr15
                                        ; implicit-def: $vgpr16
                                        ; implicit-def: $vgpr17
                                        ; implicit-def: $vgpr18
                                        ; implicit-def: $vgpr19
                                        ; implicit-def: $vgpr20
                                        ; implicit-def: $vgpr0_vgpr1
.LBB425_528:                            ;   in Loop: Header=BB425_524 Depth=2
	s_add_u32 s23, s56, s22
	s_addc_u32 s24, s57, 0
	v_cmp_gt_u32_e32 vcc, s20, v2
	s_and_saveexec_b64 s[18:19], vcc
	s_cbranch_execz .LBB425_556
; %bb.529:                              ;   in Loop: Header=BB425_524 Depth=2
	v_mov_b32_e32 v1, s24
	v_add_co_u32_e32 v0, vcc, s23, v2
	v_addc_co_u32_e32 v1, vcc, 0, v1, vcc
	global_load_ubyte v5, v[0:1], off
	s_or_b64 exec, exec, s[18:19]
	v_cmp_gt_u32_e32 vcc, s20, v24
	s_and_saveexec_b64 s[18:19], vcc
	s_cbranch_execnz .LBB425_557
.LBB425_530:                            ;   in Loop: Header=BB425_524 Depth=2
	s_or_b64 exec, exec, s[18:19]
	v_cmp_gt_u32_e32 vcc, s20, v25
	s_and_saveexec_b64 s[18:19], vcc
	s_cbranch_execz .LBB425_558
.LBB425_531:                            ;   in Loop: Header=BB425_524 Depth=2
	v_mov_b32_e32 v1, s24
	v_add_co_u32_e32 v0, vcc, s23, v2
	v_addc_co_u32_e32 v1, vcc, 0, v1, vcc
	global_load_ubyte v7, v[0:1], off offset:512
	s_or_b64 exec, exec, s[18:19]
	v_cmp_gt_u32_e32 vcc, s20, v26
	s_and_saveexec_b64 s[18:19], vcc
	s_cbranch_execnz .LBB425_559
.LBB425_532:                            ;   in Loop: Header=BB425_524 Depth=2
	s_or_b64 exec, exec, s[18:19]
	v_cmp_gt_u32_e32 vcc, s20, v30
	s_and_saveexec_b64 s[18:19], vcc
	s_cbranch_execz .LBB425_560
.LBB425_533:                            ;   in Loop: Header=BB425_524 Depth=2
	v_mov_b32_e32 v1, s24
	v_add_co_u32_e32 v0, vcc, s23, v2
	v_addc_co_u32_e32 v1, vcc, 0, v1, vcc
	global_load_ubyte v9, v[0:1], off offset:1024
	s_or_b64 exec, exec, s[18:19]
	v_cmp_gt_u32_e32 vcc, s20, v31
	s_and_saveexec_b64 s[18:19], vcc
	s_cbranch_execnz .LBB425_561
.LBB425_534:                            ;   in Loop: Header=BB425_524 Depth=2
	s_or_b64 exec, exec, s[18:19]
	v_cmp_gt_u32_e32 vcc, s20, v32
	s_and_saveexec_b64 s[18:19], vcc
	s_cbranch_execz .LBB425_536
.LBB425_535:                            ;   in Loop: Header=BB425_524 Depth=2
	v_mov_b32_e32 v1, s24
	v_add_co_u32_e32 v0, vcc, s23, v2
	v_addc_co_u32_e32 v1, vcc, 0, v1, vcc
	global_load_ubyte v11, v[0:1], off offset:1536
.LBB425_536:                            ;   in Loop: Header=BB425_524 Depth=2
	s_or_b64 exec, exec, s[18:19]
	v_cmp_gt_u32_e32 vcc, s20, v33
                                        ; implicit-def: $sgpr25
                                        ; implicit-def: $vgpr0_vgpr1
	s_and_saveexec_b64 s[18:19], vcc
	s_cbranch_execz .LBB425_538
; %bb.537:                              ;   in Loop: Header=BB425_524 Depth=2
	v_mov_b32_e32 v0, s24
	v_add_co_u32_e32 v1, vcc, s23, v2
	s_waitcnt vmcnt(0)
	v_addc_co_u32_e32 v12, vcc, 0, v0, vcc
	v_add_co_u32_e32 v0, vcc, 0x700, v1
	s_sub_i32 s25, s76, s22
	v_addc_co_u32_e32 v1, vcc, 0, v12, vcc
	s_or_b64 s[16:17], s[16:17], exec
                                        ; implicit-def: $vgpr12
.LBB425_538:                            ;   in Loop: Header=BB425_524 Depth=2
	s_or_b64 exec, exec, s[18:19]
	s_waitcnt vmcnt(0)
	v_mov_b32_e32 v14, v5
	v_mov_b32_e32 v15, v6
	;; [unrolled: 1-line block ×8, first 2 shown]
	s_and_saveexec_b64 s[18:19], s[16:17]
	s_cbranch_execz .LBB425_540
.LBB425_539:                            ;   in Loop: Header=BB425_524 Depth=2
	global_load_ubyte v12, v[0:1], off
	v_mov_b32_e32 v13, s25
	s_waitcnt vmcnt(1)
	v_mov_b32_e32 v5, v14
	v_mov_b32_e32 v6, v15
	;; [unrolled: 1-line block ×7, first 2 shown]
.LBB425_540:                            ;   in Loop: Header=BB425_524 Depth=2
	s_or_b64 exec, exec, s[18:19]
	v_cmp_lt_u32_e32 vcc, v2, v13
	v_lshlrev_b32_e32 v0, 2, v27
	s_and_saveexec_b64 s[16:17], vcc
	s_cbranch_execz .LBB425_548
; %bb.541:                              ;   in Loop: Header=BB425_524 Depth=2
	v_xor_b32_e32 v1, 0x80, v5
	v_lshrrev_b32_sdwa v1, s69, v1 dst_sel:DWORD dst_unused:UNUSED_PAD src0_sel:DWORD src1_sel:BYTE_0
	v_and_b32_e32 v1, s77, v1
	v_lshl_or_b32 v1, v1, 4, v0
	ds_add_u32 v1, v63
	s_or_b64 exec, exec, s[16:17]
	v_cmp_lt_u32_e32 vcc, v24, v13
	s_and_saveexec_b64 s[16:17], vcc
	s_cbranch_execnz .LBB425_549
.LBB425_542:                            ;   in Loop: Header=BB425_524 Depth=2
	s_or_b64 exec, exec, s[16:17]
	v_cmp_lt_u32_e32 vcc, v25, v13
	s_and_saveexec_b64 s[16:17], vcc
	s_cbranch_execz .LBB425_550
.LBB425_543:                            ;   in Loop: Header=BB425_524 Depth=2
	v_xor_b32_e32 v1, 0x80, v7
	v_lshrrev_b32_sdwa v1, s69, v1 dst_sel:DWORD dst_unused:UNUSED_PAD src0_sel:DWORD src1_sel:BYTE_0
	v_and_b32_e32 v1, s77, v1
	v_lshl_or_b32 v1, v1, 4, v0
	ds_add_u32 v1, v63
	s_or_b64 exec, exec, s[16:17]
	v_cmp_lt_u32_e32 vcc, v26, v13
	s_and_saveexec_b64 s[16:17], vcc
	s_cbranch_execnz .LBB425_551
.LBB425_544:                            ;   in Loop: Header=BB425_524 Depth=2
	s_or_b64 exec, exec, s[16:17]
	v_cmp_lt_u32_e32 vcc, v30, v13
	s_and_saveexec_b64 s[16:17], vcc
	s_cbranch_execz .LBB425_552
.LBB425_545:                            ;   in Loop: Header=BB425_524 Depth=2
	v_xor_b32_e32 v1, 0x80, v9
	v_lshrrev_b32_sdwa v1, s69, v1 dst_sel:DWORD dst_unused:UNUSED_PAD src0_sel:DWORD src1_sel:BYTE_0
	v_and_b32_e32 v1, s77, v1
	v_lshl_or_b32 v1, v1, 4, v0
	ds_add_u32 v1, v63
	s_or_b64 exec, exec, s[16:17]
	v_cmp_lt_u32_e32 vcc, v31, v13
	s_and_saveexec_b64 s[16:17], vcc
	s_cbranch_execnz .LBB425_553
.LBB425_546:                            ;   in Loop: Header=BB425_524 Depth=2
	s_or_b64 exec, exec, s[16:17]
	v_cmp_lt_u32_e32 vcc, v32, v13
	s_and_saveexec_b64 s[16:17], vcc
	s_cbranch_execz .LBB425_554
.LBB425_547:                            ;   in Loop: Header=BB425_524 Depth=2
	v_xor_b32_e32 v1, 0x80, v11
	v_lshrrev_b32_sdwa v1, s69, v1 dst_sel:DWORD dst_unused:UNUSED_PAD src0_sel:DWORD src1_sel:BYTE_0
	v_and_b32_e32 v1, s77, v1
	v_lshl_or_b32 v1, v1, 4, v0
	ds_add_u32 v1, v63
	s_or_b64 exec, exec, s[16:17]
	v_cmp_lt_u32_e32 vcc, v33, v13
	s_and_saveexec_b64 s[16:17], vcc
	s_cbranch_execz .LBB425_523
	s_branch .LBB425_555
.LBB425_548:                            ;   in Loop: Header=BB425_524 Depth=2
	s_or_b64 exec, exec, s[16:17]
	v_cmp_lt_u32_e32 vcc, v24, v13
	s_and_saveexec_b64 s[16:17], vcc
	s_cbranch_execz .LBB425_542
.LBB425_549:                            ;   in Loop: Header=BB425_524 Depth=2
	v_xor_b32_e32 v1, 0x80, v6
	v_lshrrev_b32_sdwa v1, s69, v1 dst_sel:DWORD dst_unused:UNUSED_PAD src0_sel:DWORD src1_sel:BYTE_0
	v_and_b32_e32 v1, s77, v1
	v_lshl_or_b32 v1, v1, 4, v0
	ds_add_u32 v1, v63
	s_or_b64 exec, exec, s[16:17]
	v_cmp_lt_u32_e32 vcc, v25, v13
	s_and_saveexec_b64 s[16:17], vcc
	s_cbranch_execnz .LBB425_543
.LBB425_550:                            ;   in Loop: Header=BB425_524 Depth=2
	s_or_b64 exec, exec, s[16:17]
	v_cmp_lt_u32_e32 vcc, v26, v13
	s_and_saveexec_b64 s[16:17], vcc
	s_cbranch_execz .LBB425_544
.LBB425_551:                            ;   in Loop: Header=BB425_524 Depth=2
	v_xor_b32_e32 v1, 0x80, v8
	v_lshrrev_b32_sdwa v1, s69, v1 dst_sel:DWORD dst_unused:UNUSED_PAD src0_sel:DWORD src1_sel:BYTE_0
	v_and_b32_e32 v1, s77, v1
	v_lshl_or_b32 v1, v1, 4, v0
	ds_add_u32 v1, v63
	s_or_b64 exec, exec, s[16:17]
	v_cmp_lt_u32_e32 vcc, v30, v13
	s_and_saveexec_b64 s[16:17], vcc
	s_cbranch_execnz .LBB425_545
.LBB425_552:                            ;   in Loop: Header=BB425_524 Depth=2
	s_or_b64 exec, exec, s[16:17]
	v_cmp_lt_u32_e32 vcc, v31, v13
	s_and_saveexec_b64 s[16:17], vcc
	s_cbranch_execz .LBB425_546
.LBB425_553:                            ;   in Loop: Header=BB425_524 Depth=2
	v_xor_b32_e32 v1, 0x80, v10
	v_lshrrev_b32_sdwa v1, s69, v1 dst_sel:DWORD dst_unused:UNUSED_PAD src0_sel:DWORD src1_sel:BYTE_0
	v_and_b32_e32 v1, s77, v1
	v_lshl_or_b32 v1, v1, 4, v0
	ds_add_u32 v1, v63
	s_or_b64 exec, exec, s[16:17]
	v_cmp_lt_u32_e32 vcc, v32, v13
	s_and_saveexec_b64 s[16:17], vcc
	s_cbranch_execnz .LBB425_547
.LBB425_554:                            ;   in Loop: Header=BB425_524 Depth=2
	s_or_b64 exec, exec, s[16:17]
	v_cmp_lt_u32_e32 vcc, v33, v13
	s_and_saveexec_b64 s[16:17], vcc
	s_cbranch_execz .LBB425_523
.LBB425_555:                            ;   in Loop: Header=BB425_524 Depth=2
	s_waitcnt vmcnt(0)
	v_xor_b32_e32 v1, 0x80, v12
	v_lshrrev_b32_sdwa v1, s69, v1 dst_sel:DWORD dst_unused:UNUSED_PAD src0_sel:DWORD src1_sel:BYTE_0
	v_and_b32_e32 v1, s77, v1
	v_lshl_or_b32 v0, v1, 4, v0
	ds_add_u32 v0, v63
	s_branch .LBB425_523
.LBB425_556:                            ;   in Loop: Header=BB425_524 Depth=2
	s_or_b64 exec, exec, s[18:19]
	v_cmp_gt_u32_e32 vcc, s20, v24
	s_and_saveexec_b64 s[18:19], vcc
	s_cbranch_execz .LBB425_530
.LBB425_557:                            ;   in Loop: Header=BB425_524 Depth=2
	v_mov_b32_e32 v1, s24
	v_add_co_u32_e32 v0, vcc, s23, v2
	v_addc_co_u32_e32 v1, vcc, 0, v1, vcc
	global_load_ubyte v6, v[0:1], off offset:256
	s_or_b64 exec, exec, s[18:19]
	v_cmp_gt_u32_e32 vcc, s20, v25
	s_and_saveexec_b64 s[18:19], vcc
	s_cbranch_execnz .LBB425_531
.LBB425_558:                            ;   in Loop: Header=BB425_524 Depth=2
	s_or_b64 exec, exec, s[18:19]
	v_cmp_gt_u32_e32 vcc, s20, v26
	s_and_saveexec_b64 s[18:19], vcc
	s_cbranch_execz .LBB425_532
.LBB425_559:                            ;   in Loop: Header=BB425_524 Depth=2
	v_mov_b32_e32 v1, s24
	v_add_co_u32_e32 v0, vcc, s23, v2
	v_addc_co_u32_e32 v1, vcc, 0, v1, vcc
	global_load_ubyte v8, v[0:1], off offset:768
	s_or_b64 exec, exec, s[18:19]
	v_cmp_gt_u32_e32 vcc, s20, v30
	s_and_saveexec_b64 s[18:19], vcc
	s_cbranch_execnz .LBB425_533
.LBB425_560:                            ;   in Loop: Header=BB425_524 Depth=2
	s_or_b64 exec, exec, s[18:19]
	v_cmp_gt_u32_e32 vcc, s20, v31
	s_and_saveexec_b64 s[18:19], vcc
	s_cbranch_execz .LBB425_534
.LBB425_561:                            ;   in Loop: Header=BB425_524 Depth=2
	v_mov_b32_e32 v1, s24
	v_add_co_u32_e32 v0, vcc, s23, v2
	v_addc_co_u32_e32 v1, vcc, 0, v1, vcc
	global_load_ubyte v10, v[0:1], off offset:1280
	s_or_b64 exec, exec, s[18:19]
	v_cmp_gt_u32_e32 vcc, s20, v32
	s_and_saveexec_b64 s[18:19], vcc
	s_cbranch_execz .LBB425_536
	s_branch .LBB425_535
.LBB425_562:                            ;   in Loop: Header=BB425_20 Depth=1
	v_mov_b32_e32 v0, 0
	s_waitcnt lgkmcnt(0)
	s_barrier
	s_and_saveexec_b64 s[16:17], s[4:5]
	s_cbranch_execz .LBB425_564
; %bb.563:                              ;   in Loop: Header=BB425_20 Depth=1
	ds_read2_b64 v[6:9], v34 offset1:1
	s_waitcnt lgkmcnt(0)
	v_add_u32_e32 v0, v7, v6
	v_add3_u32 v0, v0, v8, v9
.LBB425_564:                            ;   in Loop: Header=BB425_20 Depth=1
	s_or_b64 exec, exec, s[16:17]
	v_and_b32_e32 v1, 15, v64
	v_mov_b32_dpp v5, v0 row_shr:1 row_mask:0xf bank_mask:0xf
	v_cmp_eq_u32_e64 s[16:17], 0, v1
	v_cndmask_b32_e64 v5, v5, 0, s[16:17]
	v_add_u32_e32 v0, v5, v0
	v_cmp_lt_u32_e64 s[18:19], 1, v1
	v_cmp_lt_u32_e64 s[20:21], 3, v1
	v_mov_b32_dpp v5, v0 row_shr:2 row_mask:0xf bank_mask:0xf
	v_cndmask_b32_e64 v5, 0, v5, s[18:19]
	v_add_u32_e32 v0, v0, v5
	v_cmp_lt_u32_e64 s[22:23], 7, v1
	v_cmp_lt_u32_e64 s[26:27], 31, v64
	v_mov_b32_dpp v5, v0 row_shr:4 row_mask:0xf bank_mask:0xf
	v_cndmask_b32_e64 v5, 0, v5, s[20:21]
	v_add_u32_e32 v0, v0, v5
	v_and_b32_e32 v6, 16, v64
	v_cmp_eq_u32_e64 s[24:25], 0, v6
	v_mov_b32_dpp v5, v0 row_shr:8 row_mask:0xf bank_mask:0xf
	v_cndmask_b32_e64 v1, 0, v5, s[22:23]
	v_add_u32_e32 v0, v0, v1
	v_bfe_i32 v5, v64, 4, 1
	s_nop 0
	v_mov_b32_dpp v1, v0 row_bcast:15 row_mask:0xf bank_mask:0xf
	v_and_b32_e32 v1, v5, v1
	v_add_u32_e32 v0, v0, v1
	s_nop 1
	v_mov_b32_dpp v1, v0 row_bcast:31 row_mask:0xf bank_mask:0xf
	v_cndmask_b32_e64 v1, 0, v1, s[26:27]
	v_add_u32_e32 v1, v0, v1
	s_and_saveexec_b64 s[28:29], s[6:7]
	s_cbranch_execz .LBB425_566
; %bb.565:                              ;   in Loop: Header=BB425_20 Depth=1
	ds_write_b32 v36, v1
.LBB425_566:                            ;   in Loop: Header=BB425_20 Depth=1
	s_or_b64 exec, exec, s[28:29]
	v_and_b32_e32 v0, 3, v64
	s_waitcnt lgkmcnt(0)
	s_barrier
	s_and_saveexec_b64 s[28:29], s[8:9]
	s_cbranch_execz .LBB425_568
; %bb.567:                              ;   in Loop: Header=BB425_20 Depth=1
	ds_read_b32 v5, v37
	v_cmp_ne_u32_e32 vcc, 0, v0
	s_waitcnt lgkmcnt(0)
	v_mov_b32_dpp v6, v5 row_shr:1 row_mask:0xf bank_mask:0xf
	v_cndmask_b32_e32 v6, 0, v6, vcc
	v_add_u32_e32 v5, v6, v5
	v_cmp_lt_u32_e32 vcc, 1, v0
	s_nop 0
	v_mov_b32_dpp v6, v5 row_shr:2 row_mask:0xf bank_mask:0xf
	v_cndmask_b32_e32 v6, 0, v6, vcc
	v_add_u32_e32 v5, v5, v6
	ds_write_b32 v37, v5
.LBB425_568:                            ;   in Loop: Header=BB425_20 Depth=1
	s_or_b64 exec, exec, s[28:29]
	v_mov_b32_e32 v5, 0
	s_waitcnt lgkmcnt(0)
	s_barrier
	s_and_saveexec_b64 s[28:29], s[10:11]
	s_cbranch_execz .LBB425_570
; %bb.569:                              ;   in Loop: Header=BB425_20 Depth=1
	ds_read_b32 v5, v38
.LBB425_570:                            ;   in Loop: Header=BB425_20 Depth=1
	s_or_b64 exec, exec, s[28:29]
	v_add_u32_e32 v6, -1, v64
	v_and_b32_e32 v7, 64, v64
	v_cmp_lt_i32_e32 vcc, v6, v7
	v_cndmask_b32_e32 v6, v6, v64, vcc
	s_waitcnt lgkmcnt(0)
	v_add_u32_e32 v1, v5, v1
	v_lshlrev_b32_e32 v65, 2, v6
	ds_bpermute_b32 v1, v65, v1
	v_cmp_eq_u32_e64 s[28:29], 0, v64
	s_waitcnt lgkmcnt(0)
	s_barrier
	s_and_saveexec_b64 s[30:31], s[4:5]
	s_cbranch_execz .LBB425_572
; %bb.571:                              ;   in Loop: Header=BB425_20 Depth=1
	v_cndmask_b32_e64 v1, v1, v5, s[28:29]
	v_add_u32_e32 v1, s51, v1
	ds_write_b32 v3, v1
.LBB425_572:                            ;   in Loop: Header=BB425_20 Depth=1
	s_or_b64 exec, exec, s[30:31]
	s_load_dwordx2 s[30:31], s[74:75], 0x0
	v_and_b32_e32 v21, 63, v64
	v_add_co_u32_e32 v74, vcc, v61, v21
	v_lshlrev_b32_e32 v22, 3, v21
	s_waitcnt lgkmcnt(0)
	s_cmp_lt_u32 s50, s30
	s_cselect_b32 s34, 12, 18
	s_cmp_lt_u32 s33, s31
	s_cselect_b32 s30, 14, 20
	s_add_u32 s30, s74, s30
	s_addc_u32 s31, s75, 0
	s_add_u32 s34, s74, s34
	global_load_ushort v5, v4, s[30:31]
	s_addc_u32 s35, s75, 0
	global_load_ushort v20, v4, s[34:35]
	v_addc_co_u32_e32 v76, vcc, 0, v62, vcc
	v_add_co_u32_e32 v77, vcc, v59, v22
	v_addc_co_u32_e32 v78, vcc, 0, v60, vcc
	v_or_b32_e32 v72, v21, v39
	v_add_co_u32_e32 v86, vcc, 0x1c0, v74
	v_cmp_eq_u32_e64 s[30:31], 0, v0
	v_cmp_lt_u32_e64 s[34:35], 1, v0
	s_mov_b32 s78, s71
	v_or_b32_e32 v79, 64, v72
	v_or_b32_e32 v80, 0x80, v72
	;; [unrolled: 1-line block ×7, first 2 shown]
	v_addc_co_u32_e32 v87, vcc, 0, v76, vcc
	s_mov_b32 s72, s51
                                        ; implicit-def: $vgpr0_vgpr1
                                        ; implicit-def: $vgpr6_vgpr7
                                        ; implicit-def: $vgpr8_vgpr9
                                        ; implicit-def: $vgpr10_vgpr11
                                        ; implicit-def: $vgpr12_vgpr13
                                        ; implicit-def: $vgpr14_vgpr15
                                        ; implicit-def: $vgpr16_vgpr17
                                        ; implicit-def: $vgpr18_vgpr19
                                        ; implicit-def: $vgpr66
                                        ; implicit-def: $vgpr67
                                        ; implicit-def: $vgpr68
                                        ; implicit-def: $vgpr69
                                        ; implicit-def: $vgpr70
                                        ; implicit-def: $vgpr71
                                        ; implicit-def: $vgpr73
                                        ; implicit-def: $vgpr75
	s_waitcnt vmcnt(1)
	v_mad_u32_u24 v5, v40, v5, v41
	s_waitcnt vmcnt(0)
	v_mad_u64_u32 v[20:21], s[36:37], v5, v20, v[2:3]
	v_lshrrev_b32_e32 v88, 6, v20
	s_branch .LBB425_574
.LBB425_573:                            ;   in Loop: Header=BB425_574 Depth=2
	s_or_b64 exec, exec, s[36:37]
	s_addk_i32 s78, 0xf800
	s_cmp_lt_u32 s79, s76
	s_mov_b32 s72, s79
	s_cbranch_scc0 .LBB425_18
.LBB425_574:                            ;   Parent Loop BB425_20 Depth=1
                                        ; =>  This Inner Loop Header: Depth=2
	s_add_i32 s79, s72, 0x800
	s_cmp_gt_u32 s79, s76
	s_cbranch_scc1 .LBB425_577
; %bb.575:                              ;   in Loop: Header=BB425_574 Depth=2
	v_add_co_u32_e32 v20, vcc, s72, v74
	v_addc_co_u32_e32 v21, vcc, 0, v76, vcc
	global_load_ubyte v23, v[20:21], off offset:384
	global_load_ubyte v91, v[20:21], off offset:320
	;; [unrolled: 1-line block ×6, first 2 shown]
	global_load_ubyte v5, v[20:21], off
	s_mov_b64 s[36:37], -1
	s_movk_i32 s40, 0x800
	s_cbranch_execz .LBB425_578
; %bb.576:                              ;   in Loop: Header=BB425_574 Depth=2
                                        ; implicit-def: $vgpr22
	v_mov_b32_e32 v89, s78
	s_and_saveexec_b64 s[38:39], s[36:37]
	s_cbranch_execnz .LBB425_587
	s_branch .LBB425_588
.LBB425_577:                            ;   in Loop: Header=BB425_574 Depth=2
	s_mov_b64 s[36:37], 0
                                        ; implicit-def: $sgpr40
                                        ; implicit-def: $vgpr5
                                        ; implicit-def: $vgpr94
                                        ; implicit-def: $vgpr99
                                        ; implicit-def: $vgpr101
                                        ; implicit-def: $vgpr96
                                        ; implicit-def: $vgpr91
                                        ; implicit-def: $vgpr23
.LBB425_578:                            ;   in Loop: Header=BB425_574 Depth=2
	v_add_co_u32_e32 v20, vcc, s72, v74
	v_addc_co_u32_e32 v21, vcc, 0, v76, vcc
	v_cmp_gt_u32_e32 vcc, s78, v72
	s_waitcnt vmcnt(0)
	v_mov_b32_e32 v5, 0x7f
	v_mov_b32_e32 v22, 0x7f
	;; [unrolled: 1-line block ×8, first 2 shown]
	s_and_saveexec_b64 s[36:37], vcc
	s_cbranch_execz .LBB425_680
; %bb.579:                              ;   in Loop: Header=BB425_574 Depth=2
	global_load_ubyte v5, v[20:21], off
	v_mov_b32_e32 v94, 0x7f
	v_mov_b32_e32 v99, 0x7f
	;; [unrolled: 1-line block ×7, first 2 shown]
	s_or_b64 exec, exec, s[36:37]
	v_cmp_gt_u32_e32 vcc, s78, v79
	s_and_saveexec_b64 s[36:37], vcc
	s_cbranch_execnz .LBB425_681
.LBB425_580:                            ;   in Loop: Header=BB425_574 Depth=2
	s_or_b64 exec, exec, s[36:37]
	v_cmp_gt_u32_e32 vcc, s78, v80
	s_and_saveexec_b64 s[36:37], vcc
	s_cbranch_execz .LBB425_682
.LBB425_581:                            ;   in Loop: Header=BB425_574 Depth=2
	global_load_ubyte v99, v[20:21], off offset:128
	s_or_b64 exec, exec, s[36:37]
	v_cmp_gt_u32_e32 vcc, s78, v81
	s_and_saveexec_b64 s[36:37], vcc
	s_cbranch_execnz .LBB425_683
.LBB425_582:                            ;   in Loop: Header=BB425_574 Depth=2
	s_or_b64 exec, exec, s[36:37]
	v_cmp_gt_u32_e32 vcc, s78, v82
	s_and_saveexec_b64 s[36:37], vcc
	s_cbranch_execz .LBB425_684
.LBB425_583:                            ;   in Loop: Header=BB425_574 Depth=2
	global_load_ubyte v96, v[20:21], off offset:256
	s_or_b64 exec, exec, s[36:37]
	v_cmp_gt_u32_e32 vcc, s78, v83
	s_and_saveexec_b64 s[36:37], vcc
	s_cbranch_execnz .LBB425_685
.LBB425_584:                            ;   in Loop: Header=BB425_574 Depth=2
	s_or_b64 exec, exec, s[36:37]
	v_cmp_gt_u32_e32 vcc, s78, v84
	s_and_saveexec_b64 s[36:37], vcc
	s_cbranch_execz .LBB425_586
.LBB425_585:                            ;   in Loop: Header=BB425_574 Depth=2
	global_load_ubyte v23, v[20:21], off offset:384
.LBB425_586:                            ;   in Loop: Header=BB425_574 Depth=2
	s_or_b64 exec, exec, s[36:37]
	s_sub_i32 s40, s76, s72
	v_cmp_gt_u32_e64 s[36:37], s78, v85
	v_mov_b32_e32 v89, s78
	s_and_saveexec_b64 s[38:39], s[36:37]
	s_cbranch_execz .LBB425_588
.LBB425_587:                            ;   in Loop: Header=BB425_574 Depth=2
	v_mov_b32_e32 v21, s73
	v_add_co_u32_e32 v20, vcc, s72, v86
	v_addc_co_u32_e32 v21, vcc, v87, v21, vcc
	global_load_ubyte v22, v[20:21], off
	v_mov_b32_e32 v89, s40
.LBB425_588:                            ;   in Loop: Header=BB425_574 Depth=2
	s_or_b64 exec, exec, s[38:39]
	s_waitcnt vmcnt(0)
	v_xor_b32_e32 v90, 0xffffff80, v5
	v_add_u32_e32 v5, 0x410, v42
	ds_write2_b32 v5, v4, v4 offset1:1
	ds_write2_b32 v44, v4, v4 offset0:2 offset1:3
	ds_write_b32 v44, v4 offset:16
	v_lshrrev_b32_sdwa v5, s69, v90 dst_sel:DWORD dst_unused:UNUSED_PAD src0_sel:DWORD src1_sel:BYTE_0
	v_and_b32_e32 v20, s77, v5
	v_mad_u32_u24 v5, v20, 5, v88
	v_lshl_add_u32 v92, v5, 2, v43
	v_and_b32_e32 v5, 1, v20
	v_add_co_u32_e32 v21, vcc, -1, v5
	v_addc_co_u32_e64 v93, s[36:37], 0, -1, vcc
	v_cmp_ne_u32_e32 vcc, 0, v5
	v_xor_b32_e32 v5, vcc_hi, v93
	v_and_b32_e32 v93, exec_hi, v5
	v_lshlrev_b32_e32 v5, 30, v20
	v_xor_b32_e32 v21, vcc_lo, v21
	v_cmp_gt_i64_e32 vcc, 0, v[4:5]
	v_not_b32_e32 v5, v5
	v_ashrrev_i32_e32 v5, 31, v5
	v_and_b32_e32 v21, exec_lo, v21
	v_xor_b32_e32 v95, vcc_hi, v5
	v_xor_b32_e32 v5, vcc_lo, v5
	v_and_b32_e32 v21, v21, v5
	v_lshlrev_b32_e32 v5, 29, v20
	v_cmp_gt_i64_e32 vcc, 0, v[4:5]
	v_not_b32_e32 v5, v5
	v_ashrrev_i32_e32 v5, 31, v5
	v_and_b32_e32 v93, v93, v95
	v_xor_b32_e32 v95, vcc_hi, v5
	v_xor_b32_e32 v5, vcc_lo, v5
	v_and_b32_e32 v21, v21, v5
	v_lshlrev_b32_e32 v5, 28, v20
	v_cmp_gt_i64_e32 vcc, 0, v[4:5]
	v_not_b32_e32 v5, v5
	v_ashrrev_i32_e32 v5, 31, v5
	v_and_b32_e32 v93, v93, v95
	;; [unrolled: 8-line block ×5, first 2 shown]
	v_xor_b32_e32 v95, vcc_hi, v5
	v_xor_b32_e32 v5, vcc_lo, v5
	v_and_b32_e32 v93, v93, v95
	v_and_b32_e32 v95, v21, v5
	v_lshlrev_b32_e32 v5, 24, v20
	v_cmp_gt_i64_e32 vcc, 0, v[4:5]
	v_not_b32_e32 v5, v5
	v_ashrrev_i32_e32 v5, 31, v5
	v_xor_b32_e32 v20, vcc_hi, v5
	v_xor_b32_e32 v5, vcc_lo, v5
	v_and_b32_e32 v21, v93, v20
	v_and_b32_e32 v20, v95, v5
	v_mbcnt_lo_u32_b32 v5, v20, 0
	v_mbcnt_hi_u32_b32 v93, v21, v5
	v_cmp_eq_u32_e32 vcc, 0, v93
	v_cmp_ne_u64_e64 s[36:37], 0, v[20:21]
	s_and_b64 s[38:39], s[36:37], vcc
	s_waitcnt lgkmcnt(0)
	s_barrier
	s_waitcnt lgkmcnt(0)
	; wave barrier
	s_and_saveexec_b64 s[36:37], s[38:39]
	s_cbranch_execz .LBB425_590
; %bb.589:                              ;   in Loop: Header=BB425_574 Depth=2
	v_bcnt_u32_b32 v5, v20, 0
	v_bcnt_u32_b32 v5, v21, v5
	ds_write_b32 v92, v5
.LBB425_590:                            ;   in Loop: Header=BB425_574 Depth=2
	s_or_b64 exec, exec, s[36:37]
	v_xor_b32_e32 v94, 0xffffff80, v94
	v_lshrrev_b32_sdwa v5, s69, v94 dst_sel:DWORD dst_unused:UNUSED_PAD src0_sel:DWORD src1_sel:BYTE_0
	v_and_b32_e32 v20, s77, v5
	v_mul_u32_u24_e32 v5, 5, v20
	v_add_lshl_u32 v5, v5, v88, 2
	; wave barrier
	v_add_u32_e32 v97, 0x410, v5
	ds_read_b32 v95, v5 offset:1040
	v_and_b32_e32 v5, 1, v20
	v_add_co_u32_e32 v21, vcc, -1, v5
	v_addc_co_u32_e64 v98, s[36:37], 0, -1, vcc
	v_cmp_ne_u32_e32 vcc, 0, v5
	v_xor_b32_e32 v5, vcc_hi, v98
	v_and_b32_e32 v98, exec_hi, v5
	v_lshlrev_b32_e32 v5, 30, v20
	v_xor_b32_e32 v21, vcc_lo, v21
	v_cmp_gt_i64_e32 vcc, 0, v[4:5]
	v_not_b32_e32 v5, v5
	v_ashrrev_i32_e32 v5, 31, v5
	v_and_b32_e32 v21, exec_lo, v21
	v_xor_b32_e32 v100, vcc_hi, v5
	v_xor_b32_e32 v5, vcc_lo, v5
	v_and_b32_e32 v21, v21, v5
	v_lshlrev_b32_e32 v5, 29, v20
	v_cmp_gt_i64_e32 vcc, 0, v[4:5]
	v_not_b32_e32 v5, v5
	v_ashrrev_i32_e32 v5, 31, v5
	v_and_b32_e32 v98, v98, v100
	v_xor_b32_e32 v100, vcc_hi, v5
	v_xor_b32_e32 v5, vcc_lo, v5
	v_and_b32_e32 v21, v21, v5
	v_lshlrev_b32_e32 v5, 28, v20
	v_cmp_gt_i64_e32 vcc, 0, v[4:5]
	v_not_b32_e32 v5, v5
	v_ashrrev_i32_e32 v5, 31, v5
	v_and_b32_e32 v98, v98, v100
	v_xor_b32_e32 v100, vcc_hi, v5
	v_xor_b32_e32 v5, vcc_lo, v5
	v_and_b32_e32 v21, v21, v5
	v_lshlrev_b32_e32 v5, 27, v20
	v_cmp_gt_i64_e32 vcc, 0, v[4:5]
	v_not_b32_e32 v5, v5
	v_ashrrev_i32_e32 v5, 31, v5
	v_and_b32_e32 v98, v98, v100
	v_xor_b32_e32 v100, vcc_hi, v5
	v_xor_b32_e32 v5, vcc_lo, v5
	v_and_b32_e32 v21, v21, v5
	v_lshlrev_b32_e32 v5, 26, v20
	v_cmp_gt_i64_e32 vcc, 0, v[4:5]
	v_not_b32_e32 v5, v5
	v_ashrrev_i32_e32 v5, 31, v5
	v_and_b32_e32 v98, v98, v100
	v_xor_b32_e32 v100, vcc_hi, v5
	v_xor_b32_e32 v5, vcc_lo, v5
	v_and_b32_e32 v21, v21, v5
	v_lshlrev_b32_e32 v5, 25, v20
	v_cmp_gt_i64_e32 vcc, 0, v[4:5]
	v_not_b32_e32 v5, v5
	v_ashrrev_i32_e32 v5, 31, v5
	v_and_b32_e32 v98, v98, v100
	v_xor_b32_e32 v100, vcc_hi, v5
	v_xor_b32_e32 v5, vcc_lo, v5
	v_and_b32_e32 v98, v98, v100
	v_and_b32_e32 v100, v21, v5
	v_lshlrev_b32_e32 v5, 24, v20
	v_cmp_gt_i64_e32 vcc, 0, v[4:5]
	v_not_b32_e32 v5, v5
	v_ashrrev_i32_e32 v5, 31, v5
	v_xor_b32_e32 v20, vcc_hi, v5
	v_xor_b32_e32 v5, vcc_lo, v5
	v_and_b32_e32 v21, v98, v20
	v_and_b32_e32 v20, v100, v5
	v_mbcnt_lo_u32_b32 v5, v20, 0
	v_mbcnt_hi_u32_b32 v98, v21, v5
	v_cmp_eq_u32_e32 vcc, 0, v98
	v_cmp_ne_u64_e64 s[36:37], 0, v[20:21]
	s_and_b64 s[38:39], s[36:37], vcc
	; wave barrier
	s_and_saveexec_b64 s[36:37], s[38:39]
	s_cbranch_execz .LBB425_592
; %bb.591:                              ;   in Loop: Header=BB425_574 Depth=2
	v_bcnt_u32_b32 v5, v20, 0
	v_bcnt_u32_b32 v5, v21, v5
	s_waitcnt lgkmcnt(0)
	v_add_u32_e32 v5, v95, v5
	ds_write_b32 v97, v5
.LBB425_592:                            ;   in Loop: Header=BB425_574 Depth=2
	s_or_b64 exec, exec, s[36:37]
	v_xor_b32_e32 v99, 0xffffff80, v99
	v_lshrrev_b32_sdwa v5, s69, v99 dst_sel:DWORD dst_unused:UNUSED_PAD src0_sel:DWORD src1_sel:BYTE_0
	v_and_b32_e32 v20, s77, v5
	v_mul_u32_u24_e32 v5, 5, v20
	v_add_lshl_u32 v5, v5, v88, 2
	; wave barrier
	v_add_u32_e32 v102, 0x410, v5
	ds_read_b32 v100, v5 offset:1040
	v_and_b32_e32 v5, 1, v20
	v_add_co_u32_e32 v21, vcc, -1, v5
	v_addc_co_u32_e64 v103, s[36:37], 0, -1, vcc
	v_cmp_ne_u32_e32 vcc, 0, v5
	v_xor_b32_e32 v5, vcc_hi, v103
	v_and_b32_e32 v103, exec_hi, v5
	v_lshlrev_b32_e32 v5, 30, v20
	v_xor_b32_e32 v21, vcc_lo, v21
	v_cmp_gt_i64_e32 vcc, 0, v[4:5]
	v_not_b32_e32 v5, v5
	v_ashrrev_i32_e32 v5, 31, v5
	v_and_b32_e32 v21, exec_lo, v21
	v_xor_b32_e32 v104, vcc_hi, v5
	v_xor_b32_e32 v5, vcc_lo, v5
	v_and_b32_e32 v21, v21, v5
	v_lshlrev_b32_e32 v5, 29, v20
	v_cmp_gt_i64_e32 vcc, 0, v[4:5]
	v_not_b32_e32 v5, v5
	v_ashrrev_i32_e32 v5, 31, v5
	v_and_b32_e32 v103, v103, v104
	v_xor_b32_e32 v104, vcc_hi, v5
	v_xor_b32_e32 v5, vcc_lo, v5
	v_and_b32_e32 v21, v21, v5
	v_lshlrev_b32_e32 v5, 28, v20
	v_cmp_gt_i64_e32 vcc, 0, v[4:5]
	v_not_b32_e32 v5, v5
	v_ashrrev_i32_e32 v5, 31, v5
	v_and_b32_e32 v103, v103, v104
	;; [unrolled: 8-line block ×5, first 2 shown]
	v_xor_b32_e32 v104, vcc_hi, v5
	v_xor_b32_e32 v5, vcc_lo, v5
	v_and_b32_e32 v103, v103, v104
	v_and_b32_e32 v104, v21, v5
	v_lshlrev_b32_e32 v5, 24, v20
	v_cmp_gt_i64_e32 vcc, 0, v[4:5]
	v_not_b32_e32 v5, v5
	v_ashrrev_i32_e32 v5, 31, v5
	v_xor_b32_e32 v20, vcc_hi, v5
	v_xor_b32_e32 v5, vcc_lo, v5
	v_and_b32_e32 v21, v103, v20
	v_and_b32_e32 v20, v104, v5
	v_mbcnt_lo_u32_b32 v5, v20, 0
	v_mbcnt_hi_u32_b32 v103, v21, v5
	v_cmp_eq_u32_e32 vcc, 0, v103
	v_cmp_ne_u64_e64 s[36:37], 0, v[20:21]
	s_and_b64 s[38:39], s[36:37], vcc
	; wave barrier
	s_and_saveexec_b64 s[36:37], s[38:39]
	s_cbranch_execz .LBB425_594
; %bb.593:                              ;   in Loop: Header=BB425_574 Depth=2
	v_bcnt_u32_b32 v5, v20, 0
	v_bcnt_u32_b32 v5, v21, v5
	s_waitcnt lgkmcnt(0)
	v_add_u32_e32 v5, v100, v5
	ds_write_b32 v102, v5
.LBB425_594:                            ;   in Loop: Header=BB425_574 Depth=2
	s_or_b64 exec, exec, s[36:37]
	v_xor_b32_e32 v101, 0xffffff80, v101
	v_lshrrev_b32_sdwa v5, s69, v101 dst_sel:DWORD dst_unused:UNUSED_PAD src0_sel:DWORD src1_sel:BYTE_0
	v_and_b32_e32 v20, s77, v5
	v_mul_u32_u24_e32 v5, 5, v20
	v_add_lshl_u32 v5, v5, v88, 2
	; wave barrier
	v_add_u32_e32 v105, 0x410, v5
	ds_read_b32 v104, v5 offset:1040
	v_and_b32_e32 v5, 1, v20
	v_add_co_u32_e32 v21, vcc, -1, v5
	v_addc_co_u32_e64 v106, s[36:37], 0, -1, vcc
	v_cmp_ne_u32_e32 vcc, 0, v5
	v_xor_b32_e32 v5, vcc_hi, v106
	v_and_b32_e32 v106, exec_hi, v5
	v_lshlrev_b32_e32 v5, 30, v20
	v_xor_b32_e32 v21, vcc_lo, v21
	v_cmp_gt_i64_e32 vcc, 0, v[4:5]
	v_not_b32_e32 v5, v5
	v_ashrrev_i32_e32 v5, 31, v5
	v_and_b32_e32 v21, exec_lo, v21
	v_xor_b32_e32 v107, vcc_hi, v5
	v_xor_b32_e32 v5, vcc_lo, v5
	v_and_b32_e32 v21, v21, v5
	v_lshlrev_b32_e32 v5, 29, v20
	v_cmp_gt_i64_e32 vcc, 0, v[4:5]
	v_not_b32_e32 v5, v5
	v_ashrrev_i32_e32 v5, 31, v5
	v_and_b32_e32 v106, v106, v107
	v_xor_b32_e32 v107, vcc_hi, v5
	v_xor_b32_e32 v5, vcc_lo, v5
	v_and_b32_e32 v21, v21, v5
	v_lshlrev_b32_e32 v5, 28, v20
	v_cmp_gt_i64_e32 vcc, 0, v[4:5]
	v_not_b32_e32 v5, v5
	v_ashrrev_i32_e32 v5, 31, v5
	v_and_b32_e32 v106, v106, v107
	;; [unrolled: 8-line block ×5, first 2 shown]
	v_xor_b32_e32 v107, vcc_hi, v5
	v_xor_b32_e32 v5, vcc_lo, v5
	v_and_b32_e32 v106, v106, v107
	v_and_b32_e32 v107, v21, v5
	v_lshlrev_b32_e32 v5, 24, v20
	v_cmp_gt_i64_e32 vcc, 0, v[4:5]
	v_not_b32_e32 v5, v5
	v_ashrrev_i32_e32 v5, 31, v5
	v_xor_b32_e32 v20, vcc_hi, v5
	v_xor_b32_e32 v5, vcc_lo, v5
	v_and_b32_e32 v21, v106, v20
	v_and_b32_e32 v20, v107, v5
	v_mbcnt_lo_u32_b32 v5, v20, 0
	v_mbcnt_hi_u32_b32 v106, v21, v5
	v_cmp_eq_u32_e32 vcc, 0, v106
	v_cmp_ne_u64_e64 s[36:37], 0, v[20:21]
	s_and_b64 s[38:39], s[36:37], vcc
	; wave barrier
	s_and_saveexec_b64 s[36:37], s[38:39]
	s_cbranch_execz .LBB425_596
; %bb.595:                              ;   in Loop: Header=BB425_574 Depth=2
	v_bcnt_u32_b32 v5, v20, 0
	v_bcnt_u32_b32 v5, v21, v5
	s_waitcnt lgkmcnt(0)
	v_add_u32_e32 v5, v104, v5
	ds_write_b32 v105, v5
.LBB425_596:                            ;   in Loop: Header=BB425_574 Depth=2
	s_or_b64 exec, exec, s[36:37]
	v_xor_b32_e32 v96, 0xffffff80, v96
	v_lshrrev_b32_sdwa v5, s69, v96 dst_sel:DWORD dst_unused:UNUSED_PAD src0_sel:DWORD src1_sel:BYTE_0
	v_and_b32_e32 v20, s77, v5
	v_mul_u32_u24_e32 v5, 5, v20
	v_add_lshl_u32 v5, v5, v88, 2
	; wave barrier
	v_add_u32_e32 v108, 0x410, v5
	ds_read_b32 v107, v5 offset:1040
	v_and_b32_e32 v5, 1, v20
	v_add_co_u32_e32 v21, vcc, -1, v5
	v_addc_co_u32_e64 v109, s[36:37], 0, -1, vcc
	v_cmp_ne_u32_e32 vcc, 0, v5
	v_xor_b32_e32 v5, vcc_hi, v109
	v_and_b32_e32 v109, exec_hi, v5
	v_lshlrev_b32_e32 v5, 30, v20
	v_xor_b32_e32 v21, vcc_lo, v21
	v_cmp_gt_i64_e32 vcc, 0, v[4:5]
	v_not_b32_e32 v5, v5
	v_ashrrev_i32_e32 v5, 31, v5
	v_and_b32_e32 v21, exec_lo, v21
	v_xor_b32_e32 v110, vcc_hi, v5
	v_xor_b32_e32 v5, vcc_lo, v5
	v_and_b32_e32 v21, v21, v5
	v_lshlrev_b32_e32 v5, 29, v20
	v_cmp_gt_i64_e32 vcc, 0, v[4:5]
	v_not_b32_e32 v5, v5
	v_ashrrev_i32_e32 v5, 31, v5
	v_and_b32_e32 v109, v109, v110
	v_xor_b32_e32 v110, vcc_hi, v5
	v_xor_b32_e32 v5, vcc_lo, v5
	v_and_b32_e32 v21, v21, v5
	v_lshlrev_b32_e32 v5, 28, v20
	v_cmp_gt_i64_e32 vcc, 0, v[4:5]
	v_not_b32_e32 v5, v5
	v_ashrrev_i32_e32 v5, 31, v5
	v_and_b32_e32 v109, v109, v110
	v_xor_b32_e32 v110, vcc_hi, v5
	v_xor_b32_e32 v5, vcc_lo, v5
	v_and_b32_e32 v21, v21, v5
	v_lshlrev_b32_e32 v5, 27, v20
	v_cmp_gt_i64_e32 vcc, 0, v[4:5]
	v_not_b32_e32 v5, v5
	v_ashrrev_i32_e32 v5, 31, v5
	v_and_b32_e32 v109, v109, v110
	v_xor_b32_e32 v110, vcc_hi, v5
	v_xor_b32_e32 v5, vcc_lo, v5
	v_and_b32_e32 v21, v21, v5
	v_lshlrev_b32_e32 v5, 26, v20
	v_cmp_gt_i64_e32 vcc, 0, v[4:5]
	v_not_b32_e32 v5, v5
	v_ashrrev_i32_e32 v5, 31, v5
	v_and_b32_e32 v109, v109, v110
	v_xor_b32_e32 v110, vcc_hi, v5
	v_xor_b32_e32 v5, vcc_lo, v5
	v_and_b32_e32 v21, v21, v5
	v_lshlrev_b32_e32 v5, 25, v20
	v_cmp_gt_i64_e32 vcc, 0, v[4:5]
	v_not_b32_e32 v5, v5
	v_ashrrev_i32_e32 v5, 31, v5
	v_and_b32_e32 v109, v109, v110
	v_xor_b32_e32 v110, vcc_hi, v5
	v_xor_b32_e32 v5, vcc_lo, v5
	v_and_b32_e32 v109, v109, v110
	v_and_b32_e32 v110, v21, v5
	v_lshlrev_b32_e32 v5, 24, v20
	v_cmp_gt_i64_e32 vcc, 0, v[4:5]
	v_not_b32_e32 v5, v5
	v_ashrrev_i32_e32 v5, 31, v5
	v_xor_b32_e32 v20, vcc_hi, v5
	v_xor_b32_e32 v5, vcc_lo, v5
	v_and_b32_e32 v21, v109, v20
	v_and_b32_e32 v20, v110, v5
	v_mbcnt_lo_u32_b32 v5, v20, 0
	v_mbcnt_hi_u32_b32 v109, v21, v5
	v_cmp_eq_u32_e32 vcc, 0, v109
	v_cmp_ne_u64_e64 s[36:37], 0, v[20:21]
	s_and_b64 s[38:39], s[36:37], vcc
	; wave barrier
	s_and_saveexec_b64 s[36:37], s[38:39]
	s_cbranch_execz .LBB425_598
; %bb.597:                              ;   in Loop: Header=BB425_574 Depth=2
	v_bcnt_u32_b32 v5, v20, 0
	v_bcnt_u32_b32 v5, v21, v5
	s_waitcnt lgkmcnt(0)
	v_add_u32_e32 v5, v107, v5
	ds_write_b32 v108, v5
.LBB425_598:                            ;   in Loop: Header=BB425_574 Depth=2
	s_or_b64 exec, exec, s[36:37]
	v_xor_b32_e32 v91, 0xffffff80, v91
	v_lshrrev_b32_sdwa v5, s69, v91 dst_sel:DWORD dst_unused:UNUSED_PAD src0_sel:DWORD src1_sel:BYTE_0
	v_and_b32_e32 v20, s77, v5
	v_mul_u32_u24_e32 v5, 5, v20
	v_add_lshl_u32 v5, v5, v88, 2
	; wave barrier
	v_add_u32_e32 v111, 0x410, v5
	ds_read_b32 v110, v5 offset:1040
	v_and_b32_e32 v5, 1, v20
	v_add_co_u32_e32 v21, vcc, -1, v5
	v_addc_co_u32_e64 v112, s[36:37], 0, -1, vcc
	v_cmp_ne_u32_e32 vcc, 0, v5
	v_xor_b32_e32 v5, vcc_hi, v112
	v_and_b32_e32 v112, exec_hi, v5
	v_lshlrev_b32_e32 v5, 30, v20
	v_xor_b32_e32 v21, vcc_lo, v21
	v_cmp_gt_i64_e32 vcc, 0, v[4:5]
	v_not_b32_e32 v5, v5
	v_ashrrev_i32_e32 v5, 31, v5
	v_and_b32_e32 v21, exec_lo, v21
	v_xor_b32_e32 v113, vcc_hi, v5
	v_xor_b32_e32 v5, vcc_lo, v5
	v_and_b32_e32 v21, v21, v5
	v_lshlrev_b32_e32 v5, 29, v20
	v_cmp_gt_i64_e32 vcc, 0, v[4:5]
	v_not_b32_e32 v5, v5
	v_ashrrev_i32_e32 v5, 31, v5
	v_and_b32_e32 v112, v112, v113
	v_xor_b32_e32 v113, vcc_hi, v5
	v_xor_b32_e32 v5, vcc_lo, v5
	v_and_b32_e32 v21, v21, v5
	v_lshlrev_b32_e32 v5, 28, v20
	v_cmp_gt_i64_e32 vcc, 0, v[4:5]
	v_not_b32_e32 v5, v5
	v_ashrrev_i32_e32 v5, 31, v5
	v_and_b32_e32 v112, v112, v113
	;; [unrolled: 8-line block ×5, first 2 shown]
	v_xor_b32_e32 v113, vcc_hi, v5
	v_xor_b32_e32 v5, vcc_lo, v5
	v_and_b32_e32 v112, v112, v113
	v_and_b32_e32 v113, v21, v5
	v_lshlrev_b32_e32 v5, 24, v20
	v_cmp_gt_i64_e32 vcc, 0, v[4:5]
	v_not_b32_e32 v5, v5
	v_ashrrev_i32_e32 v5, 31, v5
	v_xor_b32_e32 v20, vcc_hi, v5
	v_xor_b32_e32 v5, vcc_lo, v5
	v_and_b32_e32 v21, v112, v20
	v_and_b32_e32 v20, v113, v5
	v_mbcnt_lo_u32_b32 v5, v20, 0
	v_mbcnt_hi_u32_b32 v112, v21, v5
	v_cmp_eq_u32_e32 vcc, 0, v112
	v_cmp_ne_u64_e64 s[36:37], 0, v[20:21]
	s_and_b64 s[38:39], s[36:37], vcc
	; wave barrier
	s_and_saveexec_b64 s[36:37], s[38:39]
	s_cbranch_execz .LBB425_600
; %bb.599:                              ;   in Loop: Header=BB425_574 Depth=2
	v_bcnt_u32_b32 v5, v20, 0
	v_bcnt_u32_b32 v5, v21, v5
	s_waitcnt lgkmcnt(0)
	v_add_u32_e32 v5, v110, v5
	ds_write_b32 v111, v5
.LBB425_600:                            ;   in Loop: Header=BB425_574 Depth=2
	s_or_b64 exec, exec, s[36:37]
	v_xor_b32_e32 v113, 0xffffff80, v23
	v_lshrrev_b32_sdwa v5, s69, v113 dst_sel:DWORD dst_unused:UNUSED_PAD src0_sel:DWORD src1_sel:BYTE_0
	v_and_b32_e32 v20, s77, v5
	v_mul_u32_u24_e32 v5, 5, v20
	v_add_lshl_u32 v5, v5, v88, 2
	; wave barrier
	v_add_u32_e32 v115, 0x410, v5
	ds_read_b32 v114, v5 offset:1040
	v_and_b32_e32 v5, 1, v20
	v_add_co_u32_e32 v21, vcc, -1, v5
	v_addc_co_u32_e64 v23, s[36:37], 0, -1, vcc
	v_cmp_ne_u32_e32 vcc, 0, v5
	v_xor_b32_e32 v5, vcc_hi, v23
	v_and_b32_e32 v23, exec_hi, v5
	v_lshlrev_b32_e32 v5, 30, v20
	v_xor_b32_e32 v21, vcc_lo, v21
	v_cmp_gt_i64_e32 vcc, 0, v[4:5]
	v_not_b32_e32 v5, v5
	v_ashrrev_i32_e32 v5, 31, v5
	v_and_b32_e32 v21, exec_lo, v21
	v_xor_b32_e32 v116, vcc_hi, v5
	v_xor_b32_e32 v5, vcc_lo, v5
	v_and_b32_e32 v21, v21, v5
	v_lshlrev_b32_e32 v5, 29, v20
	v_cmp_gt_i64_e32 vcc, 0, v[4:5]
	v_not_b32_e32 v5, v5
	v_ashrrev_i32_e32 v5, 31, v5
	v_and_b32_e32 v23, v23, v116
	v_xor_b32_e32 v116, vcc_hi, v5
	v_xor_b32_e32 v5, vcc_lo, v5
	v_and_b32_e32 v21, v21, v5
	v_lshlrev_b32_e32 v5, 28, v20
	v_cmp_gt_i64_e32 vcc, 0, v[4:5]
	v_not_b32_e32 v5, v5
	v_ashrrev_i32_e32 v5, 31, v5
	v_and_b32_e32 v23, v23, v116
	;; [unrolled: 8-line block ×5, first 2 shown]
	v_xor_b32_e32 v116, vcc_hi, v5
	v_xor_b32_e32 v5, vcc_lo, v5
	v_and_b32_e32 v23, v23, v116
	v_and_b32_e32 v116, v21, v5
	v_lshlrev_b32_e32 v5, 24, v20
	v_cmp_gt_i64_e32 vcc, 0, v[4:5]
	v_not_b32_e32 v5, v5
	v_ashrrev_i32_e32 v5, 31, v5
	v_xor_b32_e32 v20, vcc_hi, v5
	v_xor_b32_e32 v5, vcc_lo, v5
	v_and_b32_e32 v21, v23, v20
	v_and_b32_e32 v20, v116, v5
	v_mbcnt_lo_u32_b32 v5, v20, 0
	v_mbcnt_hi_u32_b32 v116, v21, v5
	v_cmp_eq_u32_e32 vcc, 0, v116
	v_cmp_ne_u64_e64 s[36:37], 0, v[20:21]
	s_and_b64 s[38:39], s[36:37], vcc
	; wave barrier
	s_and_saveexec_b64 s[36:37], s[38:39]
	s_cbranch_execz .LBB425_602
; %bb.601:                              ;   in Loop: Header=BB425_574 Depth=2
	v_bcnt_u32_b32 v5, v20, 0
	v_bcnt_u32_b32 v5, v21, v5
	s_waitcnt lgkmcnt(0)
	v_add_u32_e32 v5, v114, v5
	ds_write_b32 v115, v5
.LBB425_602:                            ;   in Loop: Header=BB425_574 Depth=2
	s_or_b64 exec, exec, s[36:37]
	v_xor_b32_e32 v117, 0xffffff80, v22
	v_lshrrev_b32_sdwa v5, s69, v117 dst_sel:DWORD dst_unused:UNUSED_PAD src0_sel:DWORD src1_sel:BYTE_0
	v_and_b32_e32 v20, s77, v5
	v_mul_u32_u24_e32 v5, 5, v20
	v_add_lshl_u32 v5, v5, v88, 2
	; wave barrier
	v_add_u32_e32 v119, 0x410, v5
	ds_read_b32 v118, v5 offset:1040
	v_and_b32_e32 v5, 1, v20
	v_add_co_u32_e32 v21, vcc, -1, v5
	v_addc_co_u32_e64 v22, s[36:37], 0, -1, vcc
	v_cmp_ne_u32_e32 vcc, 0, v5
	v_xor_b32_e32 v5, vcc_hi, v22
	v_and_b32_e32 v22, exec_hi, v5
	v_lshlrev_b32_e32 v5, 30, v20
	v_xor_b32_e32 v21, vcc_lo, v21
	v_cmp_gt_i64_e32 vcc, 0, v[4:5]
	v_not_b32_e32 v5, v5
	v_ashrrev_i32_e32 v5, 31, v5
	v_and_b32_e32 v21, exec_lo, v21
	v_xor_b32_e32 v23, vcc_hi, v5
	v_xor_b32_e32 v5, vcc_lo, v5
	v_and_b32_e32 v21, v21, v5
	v_lshlrev_b32_e32 v5, 29, v20
	v_cmp_gt_i64_e32 vcc, 0, v[4:5]
	v_not_b32_e32 v5, v5
	v_ashrrev_i32_e32 v5, 31, v5
	v_and_b32_e32 v22, v22, v23
	v_xor_b32_e32 v23, vcc_hi, v5
	v_xor_b32_e32 v5, vcc_lo, v5
	v_and_b32_e32 v21, v21, v5
	v_lshlrev_b32_e32 v5, 28, v20
	v_cmp_gt_i64_e32 vcc, 0, v[4:5]
	v_not_b32_e32 v5, v5
	v_ashrrev_i32_e32 v5, 31, v5
	v_and_b32_e32 v22, v22, v23
	;; [unrolled: 8-line block ×5, first 2 shown]
	v_xor_b32_e32 v23, vcc_hi, v5
	v_xor_b32_e32 v5, vcc_lo, v5
	v_and_b32_e32 v22, v22, v23
	v_and_b32_e32 v23, v21, v5
	v_lshlrev_b32_e32 v5, 24, v20
	v_cmp_gt_i64_e32 vcc, 0, v[4:5]
	v_not_b32_e32 v5, v5
	v_ashrrev_i32_e32 v5, 31, v5
	v_xor_b32_e32 v20, vcc_hi, v5
	v_xor_b32_e32 v5, vcc_lo, v5
	v_and_b32_e32 v21, v22, v20
	v_and_b32_e32 v20, v23, v5
	v_mbcnt_lo_u32_b32 v5, v20, 0
	v_mbcnt_hi_u32_b32 v120, v21, v5
	v_cmp_eq_u32_e32 vcc, 0, v120
	v_cmp_ne_u64_e64 s[36:37], 0, v[20:21]
	s_and_b64 s[38:39], s[36:37], vcc
	; wave barrier
	s_and_saveexec_b64 s[36:37], s[38:39]
	s_cbranch_execz .LBB425_604
; %bb.603:                              ;   in Loop: Header=BB425_574 Depth=2
	v_bcnt_u32_b32 v5, v20, 0
	v_bcnt_u32_b32 v5, v21, v5
	s_waitcnt lgkmcnt(0)
	v_add_u32_e32 v5, v118, v5
	ds_write_b32 v119, v5
.LBB425_604:                            ;   in Loop: Header=BB425_574 Depth=2
	s_or_b64 exec, exec, s[36:37]
	; wave barrier
	s_waitcnt lgkmcnt(0)
	s_barrier
	ds_read_b32 v5, v42 offset:1040
	ds_read2_b32 v[22:23], v44 offset0:1 offset1:2
	ds_read2_b32 v[20:21], v44 offset0:3 offset1:4
	s_waitcnt lgkmcnt(1)
	v_add3_u32 v121, v22, v5, v23
	s_waitcnt lgkmcnt(0)
	v_add3_u32 v21, v121, v20, v21
	s_nop 1
	v_mov_b32_dpp v121, v21 row_shr:1 row_mask:0xf bank_mask:0xf
	v_cndmask_b32_e64 v121, v121, 0, s[16:17]
	v_add_u32_e32 v21, v121, v21
	s_nop 1
	v_mov_b32_dpp v121, v21 row_shr:2 row_mask:0xf bank_mask:0xf
	v_cndmask_b32_e64 v121, 0, v121, s[18:19]
	v_add_u32_e32 v21, v21, v121
	;; [unrolled: 4-line block ×4, first 2 shown]
	s_nop 1
	v_mov_b32_dpp v121, v21 row_bcast:15 row_mask:0xf bank_mask:0xf
	v_cndmask_b32_e64 v121, v121, 0, s[24:25]
	v_add_u32_e32 v21, v21, v121
	s_nop 1
	v_mov_b32_dpp v121, v21 row_bcast:31 row_mask:0xf bank_mask:0xf
	v_cndmask_b32_e64 v121, 0, v121, s[26:27]
	v_add_u32_e32 v21, v21, v121
	s_and_saveexec_b64 s[36:37], s[6:7]
	s_cbranch_execz .LBB425_606
; %bb.605:                              ;   in Loop: Header=BB425_574 Depth=2
	ds_write_b32 v35, v21 offset:1024
.LBB425_606:                            ;   in Loop: Header=BB425_574 Depth=2
	s_or_b64 exec, exec, s[36:37]
	s_waitcnt lgkmcnt(0)
	s_barrier
	s_and_saveexec_b64 s[36:37], s[8:9]
	s_cbranch_execz .LBB425_608
; %bb.607:                              ;   in Loop: Header=BB425_574 Depth=2
	v_add_u32_e32 v121, v42, v45
	ds_read_b32 v122, v121 offset:1024
	s_waitcnt lgkmcnt(0)
	s_nop 0
	v_mov_b32_dpp v123, v122 row_shr:1 row_mask:0xf bank_mask:0xf
	v_cndmask_b32_e64 v123, v123, 0, s[30:31]
	v_add_u32_e32 v122, v123, v122
	s_nop 1
	v_mov_b32_dpp v123, v122 row_shr:2 row_mask:0xf bank_mask:0xf
	v_cndmask_b32_e64 v123, 0, v123, s[34:35]
	v_add_u32_e32 v122, v122, v123
	ds_write_b32 v121, v122 offset:1024
.LBB425_608:                            ;   in Loop: Header=BB425_574 Depth=2
	s_or_b64 exec, exec, s[36:37]
	v_mov_b32_e32 v121, 0
	s_waitcnt lgkmcnt(0)
	s_barrier
	s_and_saveexec_b64 s[36:37], s[10:11]
	s_cbranch_execz .LBB425_610
; %bb.609:                              ;   in Loop: Header=BB425_574 Depth=2
	ds_read_b32 v121, v35 offset:1020
.LBB425_610:                            ;   in Loop: Header=BB425_574 Depth=2
	s_or_b64 exec, exec, s[36:37]
	s_waitcnt lgkmcnt(0)
	v_add_u32_e32 v21, v121, v21
	ds_bpermute_b32 v21, v65, v21
	s_waitcnt lgkmcnt(0)
	v_cndmask_b32_e64 v21, v21, v121, s[28:29]
	v_cndmask_b32_e64 v21, v21, 0, s[12:13]
	v_add_u32_e32 v5, v21, v5
	ds_write_b32 v42, v21 offset:1040
	v_add_u32_e32 v21, v5, v22
	v_add_u32_e32 v22, v21, v23
	ds_write2_b32 v44, v5, v21 offset0:1 offset1:2
	v_add_u32_e32 v5, v22, v20
	ds_write2_b32 v44, v22, v5 offset0:3 offset1:4
	s_waitcnt lgkmcnt(0)
	s_barrier
	ds_read_b32 v20, v97
	ds_read_b32 v21, v102
	;; [unrolled: 1-line block ×8, first 2 shown]
	ds_read_b32 v97, v42 offset:1040
	v_mov_b32_e32 v5, 0x800
	s_and_saveexec_b64 s[36:37], s[14:15]
	s_cbranch_execz .LBB425_612
; %bb.611:                              ;   in Loop: Header=BB425_574 Depth=2
	ds_read_b32 v5, v42 offset:1060
.LBB425_612:                            ;   in Loop: Header=BB425_574 Depth=2
	s_or_b64 exec, exec, s[36:37]
	s_waitcnt lgkmcnt(0)
	s_barrier
	s_and_saveexec_b64 s[36:37], s[4:5]
	s_cbranch_execz .LBB425_614
; %bb.613:                              ;   in Loop: Header=BB425_574 Depth=2
	ds_read_b32 v102, v3
	s_waitcnt lgkmcnt(0)
	v_sub_u32_e32 v97, v102, v97
	ds_write_b32 v3, v97
.LBB425_614:                            ;   in Loop: Header=BB425_574 Depth=2
	s_or_b64 exec, exec, s[36:37]
	v_add_u32_e32 v102, v92, v93
	v_add3_u32 v98, v98, v95, v20
	v_add3_u32 v97, v103, v100, v21
	;; [unrolled: 1-line block ×7, first 2 shown]
	v_cmp_lt_u32_e64 s[48:49], v2, v89
	ds_write_b8 v102, v90 offset:1024
	ds_write_b8 v98, v94 offset:1024
	;; [unrolled: 1-line block ×8, first 2 shown]
	s_waitcnt lgkmcnt(0)
	s_barrier
	s_and_saveexec_b64 s[36:37], s[48:49]
	s_cbranch_execz .LBB425_622
; %bb.615:                              ;   in Loop: Header=BB425_574 Depth=2
	ds_read_u8 v20, v2 offset:1024
	s_waitcnt lgkmcnt(0)
	v_lshrrev_b32_sdwa v21, s69, v20 dst_sel:DWORD dst_unused:UNUSED_PAD src0_sel:DWORD src1_sel:BYTE_0
	v_and_b32_e32 v21, s77, v21
	v_lshlrev_b32_e32 v21, 2, v21
	ds_read_b32 v21, v21
	v_xor_b32_e32 v20, 0x80, v20
	s_waitcnt lgkmcnt(0)
	v_add_u32_e32 v21, v21, v2
	global_store_byte v21, v20, s[60:61]
	s_or_b64 exec, exec, s[36:37]
	v_cmp_lt_u32_e64 s[46:47], v24, v89
	s_and_saveexec_b64 s[36:37], s[46:47]
	s_cbranch_execnz .LBB425_623
.LBB425_616:                            ;   in Loop: Header=BB425_574 Depth=2
	s_or_b64 exec, exec, s[36:37]
	v_cmp_lt_u32_e64 s[44:45], v25, v89
	s_and_saveexec_b64 s[36:37], s[44:45]
	s_cbranch_execz .LBB425_624
.LBB425_617:                            ;   in Loop: Header=BB425_574 Depth=2
	ds_read_u8 v20, v30 offset:512
	s_waitcnt lgkmcnt(0)
	v_lshrrev_b32_sdwa v21, s69, v20 dst_sel:DWORD dst_unused:UNUSED_PAD src0_sel:DWORD src1_sel:BYTE_0
	v_and_b32_e32 v21, s77, v21
	v_lshlrev_b32_e32 v21, 2, v21
	ds_read_b32 v21, v21
	v_xor_b32_e32 v20, 0x80, v20
	s_waitcnt lgkmcnt(0)
	v_add_u32_e32 v21, v21, v25
	global_store_byte v21, v20, s[60:61]
	s_or_b64 exec, exec, s[36:37]
	v_cmp_lt_u32_e64 s[42:43], v26, v89
	s_and_saveexec_b64 s[36:37], s[42:43]
	s_cbranch_execnz .LBB425_625
.LBB425_618:                            ;   in Loop: Header=BB425_574 Depth=2
	s_or_b64 exec, exec, s[36:37]
	v_cmp_lt_u32_e64 s[40:41], v30, v89
	s_and_saveexec_b64 s[36:37], s[40:41]
	s_cbranch_execz .LBB425_626
.LBB425_619:                            ;   in Loop: Header=BB425_574 Depth=2
	ds_read_u8 v20, v30 offset:1024
	s_waitcnt lgkmcnt(0)
	v_lshrrev_b32_sdwa v21, s69, v20 dst_sel:DWORD dst_unused:UNUSED_PAD src0_sel:DWORD src1_sel:BYTE_0
	v_and_b32_e32 v21, s77, v21
	v_lshlrev_b32_e32 v21, 2, v21
	ds_read_b32 v21, v21
	v_xor_b32_e32 v20, 0x80, v20
	s_waitcnt lgkmcnt(0)
	v_add_u32_e32 v21, v21, v30
	global_store_byte v21, v20, s[60:61]
	s_or_b64 exec, exec, s[36:37]
	v_cmp_lt_u32_e64 s[38:39], v31, v89
	s_and_saveexec_b64 s[36:37], s[38:39]
	s_cbranch_execnz .LBB425_627
.LBB425_620:                            ;   in Loop: Header=BB425_574 Depth=2
	s_or_b64 exec, exec, s[36:37]
	v_cmp_lt_u32_e64 s[36:37], v32, v89
	s_and_saveexec_b64 s[52:53], s[36:37]
	s_cbranch_execz .LBB425_628
.LBB425_621:                            ;   in Loop: Header=BB425_574 Depth=2
	ds_read_u8 v20, v30 offset:1536
	s_waitcnt lgkmcnt(0)
	v_lshrrev_b32_sdwa v21, s69, v20 dst_sel:DWORD dst_unused:UNUSED_PAD src0_sel:DWORD src1_sel:BYTE_0
	v_and_b32_e32 v21, s77, v21
	v_lshlrev_b32_e32 v21, 2, v21
	ds_read_b32 v21, v21
	v_xor_b32_e32 v20, 0x80, v20
	s_waitcnt lgkmcnt(0)
	v_add_u32_e32 v21, v21, v32
	global_store_byte v21, v20, s[60:61]
	s_or_b64 exec, exec, s[52:53]
	v_cmp_lt_u32_e32 vcc, v33, v89
	s_and_saveexec_b64 s[52:53], vcc
	s_cbranch_execnz .LBB425_629
	s_branch .LBB425_630
.LBB425_622:                            ;   in Loop: Header=BB425_574 Depth=2
	s_or_b64 exec, exec, s[36:37]
	v_cmp_lt_u32_e64 s[46:47], v24, v89
	s_and_saveexec_b64 s[36:37], s[46:47]
	s_cbranch_execz .LBB425_616
.LBB425_623:                            ;   in Loop: Header=BB425_574 Depth=2
	ds_read_u8 v20, v30 offset:256
	s_waitcnt lgkmcnt(0)
	v_lshrrev_b32_sdwa v21, s69, v20 dst_sel:DWORD dst_unused:UNUSED_PAD src0_sel:DWORD src1_sel:BYTE_0
	v_and_b32_e32 v21, s77, v21
	v_lshlrev_b32_e32 v21, 2, v21
	ds_read_b32 v21, v21
	v_xor_b32_e32 v20, 0x80, v20
	s_waitcnt lgkmcnt(0)
	v_add_u32_e32 v21, v21, v24
	global_store_byte v21, v20, s[60:61]
	s_or_b64 exec, exec, s[36:37]
	v_cmp_lt_u32_e64 s[44:45], v25, v89
	s_and_saveexec_b64 s[36:37], s[44:45]
	s_cbranch_execnz .LBB425_617
.LBB425_624:                            ;   in Loop: Header=BB425_574 Depth=2
	s_or_b64 exec, exec, s[36:37]
	v_cmp_lt_u32_e64 s[42:43], v26, v89
	s_and_saveexec_b64 s[36:37], s[42:43]
	s_cbranch_execz .LBB425_618
.LBB425_625:                            ;   in Loop: Header=BB425_574 Depth=2
	ds_read_u8 v20, v30 offset:768
	s_waitcnt lgkmcnt(0)
	v_lshrrev_b32_sdwa v21, s69, v20 dst_sel:DWORD dst_unused:UNUSED_PAD src0_sel:DWORD src1_sel:BYTE_0
	v_and_b32_e32 v21, s77, v21
	v_lshlrev_b32_e32 v21, 2, v21
	ds_read_b32 v21, v21
	v_xor_b32_e32 v20, 0x80, v20
	s_waitcnt lgkmcnt(0)
	v_add_u32_e32 v21, v21, v26
	global_store_byte v21, v20, s[60:61]
	s_or_b64 exec, exec, s[36:37]
	v_cmp_lt_u32_e64 s[40:41], v30, v89
	s_and_saveexec_b64 s[36:37], s[40:41]
	s_cbranch_execnz .LBB425_619
.LBB425_626:                            ;   in Loop: Header=BB425_574 Depth=2
	s_or_b64 exec, exec, s[36:37]
	v_cmp_lt_u32_e64 s[38:39], v31, v89
	s_and_saveexec_b64 s[36:37], s[38:39]
	s_cbranch_execz .LBB425_620
.LBB425_627:                            ;   in Loop: Header=BB425_574 Depth=2
	ds_read_u8 v20, v30 offset:1280
	s_waitcnt lgkmcnt(0)
	v_lshrrev_b32_sdwa v21, s69, v20 dst_sel:DWORD dst_unused:UNUSED_PAD src0_sel:DWORD src1_sel:BYTE_0
	v_and_b32_e32 v21, s77, v21
	v_lshlrev_b32_e32 v21, 2, v21
	ds_read_b32 v21, v21
	v_xor_b32_e32 v20, 0x80, v20
	s_waitcnt lgkmcnt(0)
	v_add_u32_e32 v21, v21, v31
	global_store_byte v21, v20, s[60:61]
	s_or_b64 exec, exec, s[36:37]
	v_cmp_lt_u32_e64 s[36:37], v32, v89
	s_and_saveexec_b64 s[52:53], s[36:37]
	s_cbranch_execnz .LBB425_621
.LBB425_628:                            ;   in Loop: Header=BB425_574 Depth=2
	s_or_b64 exec, exec, s[52:53]
	v_cmp_lt_u32_e32 vcc, v33, v89
	s_and_saveexec_b64 s[52:53], vcc
	s_cbranch_execz .LBB425_630
.LBB425_629:                            ;   in Loop: Header=BB425_574 Depth=2
	ds_read_u8 v20, v30 offset:1792
	s_waitcnt lgkmcnt(0)
	v_lshrrev_b32_sdwa v21, s69, v20 dst_sel:DWORD dst_unused:UNUSED_PAD src0_sel:DWORD src1_sel:BYTE_0
	v_and_b32_e32 v21, s77, v21
	v_lshlrev_b32_e32 v21, 2, v21
	ds_read_b32 v21, v21
	v_xor_b32_e32 v20, 0x80, v20
	s_waitcnt lgkmcnt(0)
	v_add_u32_e32 v21, v21, v33
	global_store_byte v21, v20, s[60:61]
.LBB425_630:                            ;   in Loop: Header=BB425_574 Depth=2
	s_or_b64 exec, exec, s[52:53]
	s_lshl_b64 s[52:53], s[72:73], 3
	v_mov_b32_e32 v21, s53
	v_add_co_u32_e64 v20, s[52:53], s52, v77
	v_addc_co_u32_e64 v21, s[52:53], v78, v21, s[52:53]
	v_cmp_lt_u32_e64 s[52:53], v72, v89
	s_and_saveexec_b64 s[62:63], s[52:53]
	s_xor_b64 s[52:53], exec, s[62:63]
	s_cbranch_execz .LBB425_646
; %bb.631:                              ;   in Loop: Header=BB425_574 Depth=2
	global_load_dwordx2 v[18:19], v[20:21], off
	s_or_b64 exec, exec, s[52:53]
	v_cmp_lt_u32_e64 s[52:53], v79, v89
	s_and_saveexec_b64 s[62:63], s[52:53]
	s_cbranch_execnz .LBB425_647
.LBB425_632:                            ;   in Loop: Header=BB425_574 Depth=2
	s_or_b64 exec, exec, s[62:63]
	v_cmp_lt_u32_e64 s[52:53], v80, v89
	s_and_saveexec_b64 s[62:63], s[52:53]
	s_cbranch_execz .LBB425_648
.LBB425_633:                            ;   in Loop: Header=BB425_574 Depth=2
	global_load_dwordx2 v[14:15], v[20:21], off offset:1024
	s_or_b64 exec, exec, s[62:63]
	v_cmp_lt_u32_e64 s[52:53], v81, v89
	s_and_saveexec_b64 s[62:63], s[52:53]
	s_cbranch_execnz .LBB425_649
.LBB425_634:                            ;   in Loop: Header=BB425_574 Depth=2
	s_or_b64 exec, exec, s[62:63]
	v_cmp_lt_u32_e64 s[52:53], v82, v89
	s_and_saveexec_b64 s[62:63], s[52:53]
	s_cbranch_execz .LBB425_650
.LBB425_635:                            ;   in Loop: Header=BB425_574 Depth=2
	global_load_dwordx2 v[10:11], v[20:21], off offset:2048
	s_or_b64 exec, exec, s[62:63]
	v_cmp_lt_u32_e64 s[52:53], v83, v89
	s_and_saveexec_b64 s[62:63], s[52:53]
	s_cbranch_execnz .LBB425_651
.LBB425_636:                            ;   in Loop: Header=BB425_574 Depth=2
	s_or_b64 exec, exec, s[62:63]
	v_cmp_lt_u32_e64 s[52:53], v84, v89
	s_and_saveexec_b64 s[62:63], s[52:53]
	s_cbranch_execz .LBB425_652
.LBB425_637:                            ;   in Loop: Header=BB425_574 Depth=2
	global_load_dwordx2 v[6:7], v[20:21], off offset:3072
	s_or_b64 exec, exec, s[62:63]
	v_cmp_lt_u32_e64 s[52:53], v85, v89
	s_and_saveexec_b64 s[62:63], s[52:53]
	s_cbranch_execnz .LBB425_653
.LBB425_638:                            ;   in Loop: Header=BB425_574 Depth=2
	s_or_b64 exec, exec, s[62:63]
	s_and_saveexec_b64 s[52:53], s[48:49]
	s_cbranch_execz .LBB425_654
.LBB425_639:                            ;   in Loop: Header=BB425_574 Depth=2
	ds_read_u8 v20, v2 offset:1024
	s_waitcnt lgkmcnt(0)
	v_lshrrev_b32_e32 v20, s69, v20
	v_and_b32_e32 v75, s77, v20
	s_or_b64 exec, exec, s[52:53]
	s_and_saveexec_b64 s[52:53], s[46:47]
	s_cbranch_execnz .LBB425_655
.LBB425_640:                            ;   in Loop: Header=BB425_574 Depth=2
	s_or_b64 exec, exec, s[52:53]
	s_and_saveexec_b64 s[52:53], s[44:45]
	s_cbranch_execz .LBB425_656
.LBB425_641:                            ;   in Loop: Header=BB425_574 Depth=2
	ds_read_u8 v20, v30 offset:512
	s_waitcnt lgkmcnt(0)
	v_lshrrev_b32_e32 v20, s69, v20
	v_and_b32_e32 v71, s77, v20
	s_or_b64 exec, exec, s[52:53]
	s_and_saveexec_b64 s[52:53], s[42:43]
	s_cbranch_execnz .LBB425_657
.LBB425_642:                            ;   in Loop: Header=BB425_574 Depth=2
	s_or_b64 exec, exec, s[52:53]
	s_and_saveexec_b64 s[52:53], s[40:41]
	s_cbranch_execz .LBB425_658
.LBB425_643:                            ;   in Loop: Header=BB425_574 Depth=2
	ds_read_u8 v20, v30 offset:1024
	s_waitcnt lgkmcnt(0)
	v_lshrrev_b32_e32 v20, s69, v20
	v_and_b32_e32 v69, s77, v20
	s_or_b64 exec, exec, s[52:53]
	s_and_saveexec_b64 s[52:53], s[38:39]
	s_cbranch_execnz .LBB425_659
.LBB425_644:                            ;   in Loop: Header=BB425_574 Depth=2
	s_or_b64 exec, exec, s[52:53]
	s_and_saveexec_b64 s[52:53], s[36:37]
	s_cbranch_execz .LBB425_660
.LBB425_645:                            ;   in Loop: Header=BB425_574 Depth=2
	ds_read_u8 v20, v30 offset:1536
	s_waitcnt lgkmcnt(0)
	v_lshrrev_b32_e32 v20, s69, v20
	v_and_b32_e32 v67, s77, v20
	s_or_b64 exec, exec, s[52:53]
	s_and_saveexec_b64 s[52:53], vcc
	s_cbranch_execnz .LBB425_661
	s_branch .LBB425_662
.LBB425_646:                            ;   in Loop: Header=BB425_574 Depth=2
	s_or_b64 exec, exec, s[52:53]
	v_cmp_lt_u32_e64 s[52:53], v79, v89
	s_and_saveexec_b64 s[62:63], s[52:53]
	s_cbranch_execz .LBB425_632
.LBB425_647:                            ;   in Loop: Header=BB425_574 Depth=2
	global_load_dwordx2 v[16:17], v[20:21], off offset:512
	s_or_b64 exec, exec, s[62:63]
	v_cmp_lt_u32_e64 s[52:53], v80, v89
	s_and_saveexec_b64 s[62:63], s[52:53]
	s_cbranch_execnz .LBB425_633
.LBB425_648:                            ;   in Loop: Header=BB425_574 Depth=2
	s_or_b64 exec, exec, s[62:63]
	v_cmp_lt_u32_e64 s[52:53], v81, v89
	s_and_saveexec_b64 s[62:63], s[52:53]
	s_cbranch_execz .LBB425_634
.LBB425_649:                            ;   in Loop: Header=BB425_574 Depth=2
	global_load_dwordx2 v[12:13], v[20:21], off offset:1536
	s_or_b64 exec, exec, s[62:63]
	v_cmp_lt_u32_e64 s[52:53], v82, v89
	s_and_saveexec_b64 s[62:63], s[52:53]
	s_cbranch_execnz .LBB425_635
.LBB425_650:                            ;   in Loop: Header=BB425_574 Depth=2
	s_or_b64 exec, exec, s[62:63]
	v_cmp_lt_u32_e64 s[52:53], v83, v89
	s_and_saveexec_b64 s[62:63], s[52:53]
	s_cbranch_execz .LBB425_636
.LBB425_651:                            ;   in Loop: Header=BB425_574 Depth=2
	global_load_dwordx2 v[8:9], v[20:21], off offset:2560
	s_or_b64 exec, exec, s[62:63]
	v_cmp_lt_u32_e64 s[52:53], v84, v89
	s_and_saveexec_b64 s[62:63], s[52:53]
	s_cbranch_execnz .LBB425_637
.LBB425_652:                            ;   in Loop: Header=BB425_574 Depth=2
	s_or_b64 exec, exec, s[62:63]
	v_cmp_lt_u32_e64 s[52:53], v85, v89
	s_and_saveexec_b64 s[62:63], s[52:53]
	s_cbranch_execz .LBB425_638
.LBB425_653:                            ;   in Loop: Header=BB425_574 Depth=2
	global_load_dwordx2 v[0:1], v[20:21], off offset:3584
	s_or_b64 exec, exec, s[62:63]
	s_and_saveexec_b64 s[52:53], s[48:49]
	s_cbranch_execnz .LBB425_639
.LBB425_654:                            ;   in Loop: Header=BB425_574 Depth=2
	s_or_b64 exec, exec, s[52:53]
	s_and_saveexec_b64 s[52:53], s[46:47]
	s_cbranch_execz .LBB425_640
.LBB425_655:                            ;   in Loop: Header=BB425_574 Depth=2
	ds_read_u8 v20, v30 offset:256
	s_waitcnt lgkmcnt(0)
	v_lshrrev_b32_e32 v20, s69, v20
	v_and_b32_e32 v73, s77, v20
	s_or_b64 exec, exec, s[52:53]
	s_and_saveexec_b64 s[52:53], s[44:45]
	s_cbranch_execnz .LBB425_641
.LBB425_656:                            ;   in Loop: Header=BB425_574 Depth=2
	s_or_b64 exec, exec, s[52:53]
	s_and_saveexec_b64 s[52:53], s[42:43]
	s_cbranch_execz .LBB425_642
.LBB425_657:                            ;   in Loop: Header=BB425_574 Depth=2
	ds_read_u8 v20, v30 offset:768
	s_waitcnt lgkmcnt(0)
	v_lshrrev_b32_e32 v20, s69, v20
	v_and_b32_e32 v70, s77, v20
	s_or_b64 exec, exec, s[52:53]
	s_and_saveexec_b64 s[52:53], s[40:41]
	s_cbranch_execnz .LBB425_643
.LBB425_658:                            ;   in Loop: Header=BB425_574 Depth=2
	s_or_b64 exec, exec, s[52:53]
	s_and_saveexec_b64 s[52:53], s[38:39]
	s_cbranch_execz .LBB425_644
.LBB425_659:                            ;   in Loop: Header=BB425_574 Depth=2
	ds_read_u8 v20, v30 offset:1280
	s_waitcnt lgkmcnt(0)
	v_lshrrev_b32_e32 v20, s69, v20
	v_and_b32_e32 v68, s77, v20
	s_or_b64 exec, exec, s[52:53]
	s_and_saveexec_b64 s[52:53], s[36:37]
	s_cbranch_execnz .LBB425_645
.LBB425_660:                            ;   in Loop: Header=BB425_574 Depth=2
	s_or_b64 exec, exec, s[52:53]
	s_and_saveexec_b64 s[52:53], vcc
	s_cbranch_execz .LBB425_662
.LBB425_661:                            ;   in Loop: Header=BB425_574 Depth=2
	ds_read_u8 v20, v30 offset:1792
	s_waitcnt lgkmcnt(0)
	v_lshrrev_b32_e32 v20, s69, v20
	v_and_b32_e32 v66, s77, v20
.LBB425_662:                            ;   in Loop: Header=BB425_574 Depth=2
	s_or_b64 exec, exec, s[52:53]
	v_lshlrev_b32_e32 v20, 3, v102
	s_barrier
	s_waitcnt vmcnt(0)
	ds_write_b64 v20, v[18:19] offset:1024
	v_lshlrev_b32_e32 v20, 3, v98
	ds_write_b64 v20, v[16:17] offset:1024
	v_lshlrev_b32_e32 v20, 3, v97
	;; [unrolled: 2-line block ×7, first 2 shown]
	ds_write_b64 v20, v[0:1] offset:1024
	s_waitcnt lgkmcnt(0)
	s_barrier
	s_and_saveexec_b64 s[52:53], s[48:49]
	s_cbranch_execz .LBB425_670
; %bb.663:                              ;   in Loop: Header=BB425_574 Depth=2
	v_lshlrev_b32_e32 v20, 2, v75
	ds_read_b32 v22, v20
	v_add_u32_e32 v20, v2, v50
	ds_read_b64 v[20:21], v20 offset:1024
	v_mov_b32_e32 v23, v4
	v_mov_b32_e32 v89, s67
	s_waitcnt lgkmcnt(1)
	v_add_u32_e32 v22, v22, v2
	v_lshlrev_b64 v[22:23], 3, v[22:23]
	v_add_co_u32_e64 v22, s[48:49], s66, v22
	v_addc_co_u32_e64 v23, s[48:49], v89, v23, s[48:49]
	s_waitcnt lgkmcnt(0)
	global_store_dwordx2 v[22:23], v[20:21], off
	s_or_b64 exec, exec, s[52:53]
	v_add_u32_e32 v20, v30, v50
	s_and_saveexec_b64 s[48:49], s[46:47]
	s_cbranch_execnz .LBB425_671
.LBB425_664:                            ;   in Loop: Header=BB425_574 Depth=2
	s_or_b64 exec, exec, s[48:49]
	s_and_saveexec_b64 s[46:47], s[44:45]
	s_cbranch_execz .LBB425_672
.LBB425_665:                            ;   in Loop: Header=BB425_574 Depth=2
	v_lshlrev_b32_e32 v21, 2, v71
	ds_read_b32 v21, v21
	ds_read_b64 v[22:23], v20 offset:4096
	v_mov_b32_e32 v91, v4
	v_mov_b32_e32 v89, s67
	s_waitcnt lgkmcnt(1)
	v_add_u32_e32 v90, v21, v25
	v_lshlrev_b64 v[90:91], 3, v[90:91]
	v_add_co_u32_e64 v90, s[44:45], s66, v90
	v_addc_co_u32_e64 v91, s[44:45], v89, v91, s[44:45]
	s_waitcnt lgkmcnt(0)
	global_store_dwordx2 v[90:91], v[22:23], off
	s_or_b64 exec, exec, s[46:47]
	s_and_saveexec_b64 s[44:45], s[42:43]
	s_cbranch_execnz .LBB425_673
.LBB425_666:                            ;   in Loop: Header=BB425_574 Depth=2
	s_or_b64 exec, exec, s[44:45]
	s_and_saveexec_b64 s[42:43], s[40:41]
	s_cbranch_execz .LBB425_674
.LBB425_667:                            ;   in Loop: Header=BB425_574 Depth=2
	v_lshlrev_b32_e32 v21, 2, v69
	ds_read_b32 v21, v21
	ds_read_b64 v[22:23], v20 offset:8192
	v_mov_b32_e32 v91, v4
	v_mov_b32_e32 v89, s67
	s_waitcnt lgkmcnt(1)
	v_add_u32_e32 v90, v21, v30
	v_lshlrev_b64 v[90:91], 3, v[90:91]
	v_add_co_u32_e64 v90, s[40:41], s66, v90
	v_addc_co_u32_e64 v91, s[40:41], v89, v91, s[40:41]
	s_waitcnt lgkmcnt(0)
	global_store_dwordx2 v[90:91], v[22:23], off
	s_or_b64 exec, exec, s[42:43]
	s_and_saveexec_b64 s[40:41], s[38:39]
	s_cbranch_execnz .LBB425_675
.LBB425_668:                            ;   in Loop: Header=BB425_574 Depth=2
	s_or_b64 exec, exec, s[40:41]
	s_and_saveexec_b64 s[38:39], s[36:37]
	s_cbranch_execz .LBB425_676
.LBB425_669:                            ;   in Loop: Header=BB425_574 Depth=2
	v_lshlrev_b32_e32 v21, 2, v67
	ds_read_b32 v21, v21
	ds_read_b64 v[22:23], v20 offset:12288
	v_mov_b32_e32 v91, v4
	v_mov_b32_e32 v89, s67
	s_waitcnt lgkmcnt(1)
	v_add_u32_e32 v90, v21, v32
	v_lshlrev_b64 v[90:91], 3, v[90:91]
	v_add_co_u32_e64 v90, s[36:37], s66, v90
	v_addc_co_u32_e64 v91, s[36:37], v89, v91, s[36:37]
	s_waitcnt lgkmcnt(0)
	global_store_dwordx2 v[90:91], v[22:23], off
	s_or_b64 exec, exec, s[38:39]
	s_and_saveexec_b64 s[36:37], vcc
	s_cbranch_execnz .LBB425_677
	s_branch .LBB425_678
.LBB425_670:                            ;   in Loop: Header=BB425_574 Depth=2
	s_or_b64 exec, exec, s[52:53]
	v_add_u32_e32 v20, v30, v50
	s_and_saveexec_b64 s[48:49], s[46:47]
	s_cbranch_execz .LBB425_664
.LBB425_671:                            ;   in Loop: Header=BB425_574 Depth=2
	v_lshlrev_b32_e32 v21, 2, v73
	ds_read_b32 v21, v21
	ds_read_b64 v[22:23], v20 offset:2048
	v_mov_b32_e32 v91, v4
	v_mov_b32_e32 v89, s67
	s_waitcnt lgkmcnt(1)
	v_add_u32_e32 v90, v21, v24
	v_lshlrev_b64 v[90:91], 3, v[90:91]
	v_add_co_u32_e64 v90, s[46:47], s66, v90
	v_addc_co_u32_e64 v91, s[46:47], v89, v91, s[46:47]
	s_waitcnt lgkmcnt(0)
	global_store_dwordx2 v[90:91], v[22:23], off
	s_or_b64 exec, exec, s[48:49]
	s_and_saveexec_b64 s[46:47], s[44:45]
	s_cbranch_execnz .LBB425_665
.LBB425_672:                            ;   in Loop: Header=BB425_574 Depth=2
	s_or_b64 exec, exec, s[46:47]
	s_and_saveexec_b64 s[44:45], s[42:43]
	s_cbranch_execz .LBB425_666
.LBB425_673:                            ;   in Loop: Header=BB425_574 Depth=2
	v_lshlrev_b32_e32 v21, 2, v70
	ds_read_b32 v21, v21
	ds_read_b64 v[22:23], v20 offset:6144
	v_mov_b32_e32 v91, v4
	v_mov_b32_e32 v89, s67
	s_waitcnt lgkmcnt(1)
	v_add_u32_e32 v90, v21, v26
	v_lshlrev_b64 v[90:91], 3, v[90:91]
	v_add_co_u32_e64 v90, s[42:43], s66, v90
	v_addc_co_u32_e64 v91, s[42:43], v89, v91, s[42:43]
	s_waitcnt lgkmcnt(0)
	global_store_dwordx2 v[90:91], v[22:23], off
	s_or_b64 exec, exec, s[44:45]
	s_and_saveexec_b64 s[42:43], s[40:41]
	s_cbranch_execnz .LBB425_667
.LBB425_674:                            ;   in Loop: Header=BB425_574 Depth=2
	s_or_b64 exec, exec, s[42:43]
	s_and_saveexec_b64 s[40:41], s[38:39]
	s_cbranch_execz .LBB425_668
.LBB425_675:                            ;   in Loop: Header=BB425_574 Depth=2
	v_lshlrev_b32_e32 v21, 2, v68
	ds_read_b32 v21, v21
	ds_read_b64 v[22:23], v20 offset:10240
	v_mov_b32_e32 v91, v4
	v_mov_b32_e32 v89, s67
	s_waitcnt lgkmcnt(1)
	v_add_u32_e32 v90, v21, v31
	v_lshlrev_b64 v[90:91], 3, v[90:91]
	v_add_co_u32_e64 v90, s[38:39], s66, v90
	v_addc_co_u32_e64 v91, s[38:39], v89, v91, s[38:39]
	s_waitcnt lgkmcnt(0)
	global_store_dwordx2 v[90:91], v[22:23], off
	s_or_b64 exec, exec, s[40:41]
	s_and_saveexec_b64 s[38:39], s[36:37]
	s_cbranch_execnz .LBB425_669
.LBB425_676:                            ;   in Loop: Header=BB425_574 Depth=2
	s_or_b64 exec, exec, s[38:39]
	s_and_saveexec_b64 s[36:37], vcc
	s_cbranch_execz .LBB425_678
.LBB425_677:                            ;   in Loop: Header=BB425_574 Depth=2
	v_lshlrev_b32_e32 v21, 2, v66
	ds_read_b32 v22, v21
	ds_read_b64 v[20:21], v20 offset:14336
	v_mov_b32_e32 v23, v4
	v_mov_b32_e32 v89, s67
	s_waitcnt lgkmcnt(1)
	v_add_u32_e32 v22, v22, v33
	v_lshlrev_b64 v[22:23], 3, v[22:23]
	v_add_co_u32_e32 v22, vcc, s66, v22
	v_addc_co_u32_e32 v23, vcc, v89, v23, vcc
	s_waitcnt lgkmcnt(0)
	global_store_dwordx2 v[22:23], v[20:21], off
.LBB425_678:                            ;   in Loop: Header=BB425_574 Depth=2
	s_or_b64 exec, exec, s[36:37]
	s_barrier
	s_and_saveexec_b64 s[36:37], s[4:5]
	s_cbranch_execz .LBB425_573
; %bb.679:                              ;   in Loop: Header=BB425_574 Depth=2
	ds_read_b32 v20, v3
	s_waitcnt lgkmcnt(0)
	v_add_u32_e32 v5, v20, v5
	ds_write_b32 v3, v5
	s_branch .LBB425_573
.LBB425_680:                            ;   in Loop: Header=BB425_574 Depth=2
	s_or_b64 exec, exec, s[36:37]
	v_cmp_gt_u32_e32 vcc, s78, v79
	s_and_saveexec_b64 s[36:37], vcc
	s_cbranch_execz .LBB425_580
.LBB425_681:                            ;   in Loop: Header=BB425_574 Depth=2
	global_load_ubyte v94, v[20:21], off offset:64
	s_or_b64 exec, exec, s[36:37]
	v_cmp_gt_u32_e32 vcc, s78, v80
	s_and_saveexec_b64 s[36:37], vcc
	s_cbranch_execnz .LBB425_581
.LBB425_682:                            ;   in Loop: Header=BB425_574 Depth=2
	s_or_b64 exec, exec, s[36:37]
	v_cmp_gt_u32_e32 vcc, s78, v81
	s_and_saveexec_b64 s[36:37], vcc
	s_cbranch_execz .LBB425_582
.LBB425_683:                            ;   in Loop: Header=BB425_574 Depth=2
	global_load_ubyte v101, v[20:21], off offset:192
	s_or_b64 exec, exec, s[36:37]
	v_cmp_gt_u32_e32 vcc, s78, v82
	s_and_saveexec_b64 s[36:37], vcc
	s_cbranch_execnz .LBB425_583
.LBB425_684:                            ;   in Loop: Header=BB425_574 Depth=2
	s_or_b64 exec, exec, s[36:37]
	v_cmp_gt_u32_e32 vcc, s78, v83
	s_and_saveexec_b64 s[36:37], vcc
	s_cbranch_execz .LBB425_584
.LBB425_685:                            ;   in Loop: Header=BB425_574 Depth=2
	global_load_ubyte v91, v[20:21], off offset:320
	s_or_b64 exec, exec, s[36:37]
	v_cmp_gt_u32_e32 vcc, s78, v84
	s_and_saveexec_b64 s[36:37], vcc
	s_cbranch_execnz .LBB425_585
	s_branch .LBB425_586
.LBB425_686:
	s_endpgm
	.section	.rodata,"a",@progbits
	.p2align	6, 0x0
	.amdhsa_kernel _ZN7rocprim17ROCPRIM_400000_NS6detail17trampoline_kernelINS0_14default_configENS1_36segmented_radix_sort_config_selectorIalEEZNS1_25segmented_radix_sort_implIS3_Lb0EPKaPaPKlPlN2at6native12_GLOBAL__N_18offset_tEEE10hipError_tPvRmT1_PNSt15iterator_traitsISK_E10value_typeET2_T3_PNSL_ISQ_E10value_typeET4_jRbjT5_SW_jjP12ihipStream_tbEUlT_E2_NS1_11comp_targetILNS1_3genE4ELNS1_11target_archE910ELNS1_3gpuE8ELNS1_3repE0EEENS1_30default_config_static_selectorELNS0_4arch9wavefront6targetE1EEEvSK_
		.amdhsa_group_segment_fixed_size 17424
		.amdhsa_private_segment_fixed_size 8
		.amdhsa_kernarg_size 336
		.amdhsa_user_sgpr_count 8
		.amdhsa_user_sgpr_private_segment_buffer 1
		.amdhsa_user_sgpr_dispatch_ptr 0
		.amdhsa_user_sgpr_queue_ptr 0
		.amdhsa_user_sgpr_kernarg_segment_ptr 1
		.amdhsa_user_sgpr_dispatch_id 0
		.amdhsa_user_sgpr_flat_scratch_init 1
		.amdhsa_user_sgpr_kernarg_preload_length 0
		.amdhsa_user_sgpr_kernarg_preload_offset 0
		.amdhsa_user_sgpr_private_segment_size 0
		.amdhsa_uses_dynamic_stack 0
		.amdhsa_system_sgpr_private_segment_wavefront_offset 1
		.amdhsa_system_sgpr_workgroup_id_x 1
		.amdhsa_system_sgpr_workgroup_id_y 1
		.amdhsa_system_sgpr_workgroup_id_z 0
		.amdhsa_system_sgpr_workgroup_info 0
		.amdhsa_system_vgpr_workitem_id 2
		.amdhsa_next_free_vgpr 168
		.amdhsa_next_free_sgpr 80
		.amdhsa_accum_offset 168
		.amdhsa_reserve_vcc 1
		.amdhsa_reserve_flat_scratch 1
		.amdhsa_float_round_mode_32 0
		.amdhsa_float_round_mode_16_64 0
		.amdhsa_float_denorm_mode_32 3
		.amdhsa_float_denorm_mode_16_64 3
		.amdhsa_dx10_clamp 1
		.amdhsa_ieee_mode 1
		.amdhsa_fp16_overflow 0
		.amdhsa_tg_split 0
		.amdhsa_exception_fp_ieee_invalid_op 0
		.amdhsa_exception_fp_denorm_src 0
		.amdhsa_exception_fp_ieee_div_zero 0
		.amdhsa_exception_fp_ieee_overflow 0
		.amdhsa_exception_fp_ieee_underflow 0
		.amdhsa_exception_fp_ieee_inexact 0
		.amdhsa_exception_int_div_zero 0
	.end_amdhsa_kernel
	.section	.text._ZN7rocprim17ROCPRIM_400000_NS6detail17trampoline_kernelINS0_14default_configENS1_36segmented_radix_sort_config_selectorIalEEZNS1_25segmented_radix_sort_implIS3_Lb0EPKaPaPKlPlN2at6native12_GLOBAL__N_18offset_tEEE10hipError_tPvRmT1_PNSt15iterator_traitsISK_E10value_typeET2_T3_PNSL_ISQ_E10value_typeET4_jRbjT5_SW_jjP12ihipStream_tbEUlT_E2_NS1_11comp_targetILNS1_3genE4ELNS1_11target_archE910ELNS1_3gpuE8ELNS1_3repE0EEENS1_30default_config_static_selectorELNS0_4arch9wavefront6targetE1EEEvSK_,"axG",@progbits,_ZN7rocprim17ROCPRIM_400000_NS6detail17trampoline_kernelINS0_14default_configENS1_36segmented_radix_sort_config_selectorIalEEZNS1_25segmented_radix_sort_implIS3_Lb0EPKaPaPKlPlN2at6native12_GLOBAL__N_18offset_tEEE10hipError_tPvRmT1_PNSt15iterator_traitsISK_E10value_typeET2_T3_PNSL_ISQ_E10value_typeET4_jRbjT5_SW_jjP12ihipStream_tbEUlT_E2_NS1_11comp_targetILNS1_3genE4ELNS1_11target_archE910ELNS1_3gpuE8ELNS1_3repE0EEENS1_30default_config_static_selectorELNS0_4arch9wavefront6targetE1EEEvSK_,comdat
.Lfunc_end425:
	.size	_ZN7rocprim17ROCPRIM_400000_NS6detail17trampoline_kernelINS0_14default_configENS1_36segmented_radix_sort_config_selectorIalEEZNS1_25segmented_radix_sort_implIS3_Lb0EPKaPaPKlPlN2at6native12_GLOBAL__N_18offset_tEEE10hipError_tPvRmT1_PNSt15iterator_traitsISK_E10value_typeET2_T3_PNSL_ISQ_E10value_typeET4_jRbjT5_SW_jjP12ihipStream_tbEUlT_E2_NS1_11comp_targetILNS1_3genE4ELNS1_11target_archE910ELNS1_3gpuE8ELNS1_3repE0EEENS1_30default_config_static_selectorELNS0_4arch9wavefront6targetE1EEEvSK_, .Lfunc_end425-_ZN7rocprim17ROCPRIM_400000_NS6detail17trampoline_kernelINS0_14default_configENS1_36segmented_radix_sort_config_selectorIalEEZNS1_25segmented_radix_sort_implIS3_Lb0EPKaPaPKlPlN2at6native12_GLOBAL__N_18offset_tEEE10hipError_tPvRmT1_PNSt15iterator_traitsISK_E10value_typeET2_T3_PNSL_ISQ_E10value_typeET4_jRbjT5_SW_jjP12ihipStream_tbEUlT_E2_NS1_11comp_targetILNS1_3genE4ELNS1_11target_archE910ELNS1_3gpuE8ELNS1_3repE0EEENS1_30default_config_static_selectorELNS0_4arch9wavefront6targetE1EEEvSK_
                                        ; -- End function
	.section	.AMDGPU.csdata,"",@progbits
; Kernel info:
; codeLenInByte = 36320
; NumSgprs: 86
; NumVgprs: 168
; NumAgprs: 0
; TotalNumVgprs: 168
; ScratchSize: 8
; MemoryBound: 0
; FloatMode: 240
; IeeeMode: 1
; LDSByteSize: 17424 bytes/workgroup (compile time only)
; SGPRBlocks: 10
; VGPRBlocks: 20
; NumSGPRsForWavesPerEU: 86
; NumVGPRsForWavesPerEU: 168
; AccumOffset: 168
; Occupancy: 3
; WaveLimiterHint : 1
; COMPUTE_PGM_RSRC2:SCRATCH_EN: 1
; COMPUTE_PGM_RSRC2:USER_SGPR: 8
; COMPUTE_PGM_RSRC2:TRAP_HANDLER: 0
; COMPUTE_PGM_RSRC2:TGID_X_EN: 1
; COMPUTE_PGM_RSRC2:TGID_Y_EN: 1
; COMPUTE_PGM_RSRC2:TGID_Z_EN: 0
; COMPUTE_PGM_RSRC2:TIDIG_COMP_CNT: 2
; COMPUTE_PGM_RSRC3_GFX90A:ACCUM_OFFSET: 41
; COMPUTE_PGM_RSRC3_GFX90A:TG_SPLIT: 0
	.section	.text._ZN7rocprim17ROCPRIM_400000_NS6detail17trampoline_kernelINS0_14default_configENS1_36segmented_radix_sort_config_selectorIalEEZNS1_25segmented_radix_sort_implIS3_Lb0EPKaPaPKlPlN2at6native12_GLOBAL__N_18offset_tEEE10hipError_tPvRmT1_PNSt15iterator_traitsISK_E10value_typeET2_T3_PNSL_ISQ_E10value_typeET4_jRbjT5_SW_jjP12ihipStream_tbEUlT_E2_NS1_11comp_targetILNS1_3genE3ELNS1_11target_archE908ELNS1_3gpuE7ELNS1_3repE0EEENS1_30default_config_static_selectorELNS0_4arch9wavefront6targetE1EEEvSK_,"axG",@progbits,_ZN7rocprim17ROCPRIM_400000_NS6detail17trampoline_kernelINS0_14default_configENS1_36segmented_radix_sort_config_selectorIalEEZNS1_25segmented_radix_sort_implIS3_Lb0EPKaPaPKlPlN2at6native12_GLOBAL__N_18offset_tEEE10hipError_tPvRmT1_PNSt15iterator_traitsISK_E10value_typeET2_T3_PNSL_ISQ_E10value_typeET4_jRbjT5_SW_jjP12ihipStream_tbEUlT_E2_NS1_11comp_targetILNS1_3genE3ELNS1_11target_archE908ELNS1_3gpuE7ELNS1_3repE0EEENS1_30default_config_static_selectorELNS0_4arch9wavefront6targetE1EEEvSK_,comdat
	.globl	_ZN7rocprim17ROCPRIM_400000_NS6detail17trampoline_kernelINS0_14default_configENS1_36segmented_radix_sort_config_selectorIalEEZNS1_25segmented_radix_sort_implIS3_Lb0EPKaPaPKlPlN2at6native12_GLOBAL__N_18offset_tEEE10hipError_tPvRmT1_PNSt15iterator_traitsISK_E10value_typeET2_T3_PNSL_ISQ_E10value_typeET4_jRbjT5_SW_jjP12ihipStream_tbEUlT_E2_NS1_11comp_targetILNS1_3genE3ELNS1_11target_archE908ELNS1_3gpuE7ELNS1_3repE0EEENS1_30default_config_static_selectorELNS0_4arch9wavefront6targetE1EEEvSK_ ; -- Begin function _ZN7rocprim17ROCPRIM_400000_NS6detail17trampoline_kernelINS0_14default_configENS1_36segmented_radix_sort_config_selectorIalEEZNS1_25segmented_radix_sort_implIS3_Lb0EPKaPaPKlPlN2at6native12_GLOBAL__N_18offset_tEEE10hipError_tPvRmT1_PNSt15iterator_traitsISK_E10value_typeET2_T3_PNSL_ISQ_E10value_typeET4_jRbjT5_SW_jjP12ihipStream_tbEUlT_E2_NS1_11comp_targetILNS1_3genE3ELNS1_11target_archE908ELNS1_3gpuE7ELNS1_3repE0EEENS1_30default_config_static_selectorELNS0_4arch9wavefront6targetE1EEEvSK_
	.p2align	8
	.type	_ZN7rocprim17ROCPRIM_400000_NS6detail17trampoline_kernelINS0_14default_configENS1_36segmented_radix_sort_config_selectorIalEEZNS1_25segmented_radix_sort_implIS3_Lb0EPKaPaPKlPlN2at6native12_GLOBAL__N_18offset_tEEE10hipError_tPvRmT1_PNSt15iterator_traitsISK_E10value_typeET2_T3_PNSL_ISQ_E10value_typeET4_jRbjT5_SW_jjP12ihipStream_tbEUlT_E2_NS1_11comp_targetILNS1_3genE3ELNS1_11target_archE908ELNS1_3gpuE7ELNS1_3repE0EEENS1_30default_config_static_selectorELNS0_4arch9wavefront6targetE1EEEvSK_,@function
_ZN7rocprim17ROCPRIM_400000_NS6detail17trampoline_kernelINS0_14default_configENS1_36segmented_radix_sort_config_selectorIalEEZNS1_25segmented_radix_sort_implIS3_Lb0EPKaPaPKlPlN2at6native12_GLOBAL__N_18offset_tEEE10hipError_tPvRmT1_PNSt15iterator_traitsISK_E10value_typeET2_T3_PNSL_ISQ_E10value_typeET4_jRbjT5_SW_jjP12ihipStream_tbEUlT_E2_NS1_11comp_targetILNS1_3genE3ELNS1_11target_archE908ELNS1_3gpuE7ELNS1_3repE0EEENS1_30default_config_static_selectorELNS0_4arch9wavefront6targetE1EEEvSK_: ; @_ZN7rocprim17ROCPRIM_400000_NS6detail17trampoline_kernelINS0_14default_configENS1_36segmented_radix_sort_config_selectorIalEEZNS1_25segmented_radix_sort_implIS3_Lb0EPKaPaPKlPlN2at6native12_GLOBAL__N_18offset_tEEE10hipError_tPvRmT1_PNSt15iterator_traitsISK_E10value_typeET2_T3_PNSL_ISQ_E10value_typeET4_jRbjT5_SW_jjP12ihipStream_tbEUlT_E2_NS1_11comp_targetILNS1_3genE3ELNS1_11target_archE908ELNS1_3gpuE7ELNS1_3repE0EEENS1_30default_config_static_selectorELNS0_4arch9wavefront6targetE1EEEvSK_
; %bb.0:
	.section	.rodata,"a",@progbits
	.p2align	6, 0x0
	.amdhsa_kernel _ZN7rocprim17ROCPRIM_400000_NS6detail17trampoline_kernelINS0_14default_configENS1_36segmented_radix_sort_config_selectorIalEEZNS1_25segmented_radix_sort_implIS3_Lb0EPKaPaPKlPlN2at6native12_GLOBAL__N_18offset_tEEE10hipError_tPvRmT1_PNSt15iterator_traitsISK_E10value_typeET2_T3_PNSL_ISQ_E10value_typeET4_jRbjT5_SW_jjP12ihipStream_tbEUlT_E2_NS1_11comp_targetILNS1_3genE3ELNS1_11target_archE908ELNS1_3gpuE7ELNS1_3repE0EEENS1_30default_config_static_selectorELNS0_4arch9wavefront6targetE1EEEvSK_
		.amdhsa_group_segment_fixed_size 0
		.amdhsa_private_segment_fixed_size 0
		.amdhsa_kernarg_size 80
		.amdhsa_user_sgpr_count 6
		.amdhsa_user_sgpr_private_segment_buffer 1
		.amdhsa_user_sgpr_dispatch_ptr 0
		.amdhsa_user_sgpr_queue_ptr 0
		.amdhsa_user_sgpr_kernarg_segment_ptr 1
		.amdhsa_user_sgpr_dispatch_id 0
		.amdhsa_user_sgpr_flat_scratch_init 0
		.amdhsa_user_sgpr_kernarg_preload_length 0
		.amdhsa_user_sgpr_kernarg_preload_offset 0
		.amdhsa_user_sgpr_private_segment_size 0
		.amdhsa_uses_dynamic_stack 0
		.amdhsa_system_sgpr_private_segment_wavefront_offset 0
		.amdhsa_system_sgpr_workgroup_id_x 1
		.amdhsa_system_sgpr_workgroup_id_y 0
		.amdhsa_system_sgpr_workgroup_id_z 0
		.amdhsa_system_sgpr_workgroup_info 0
		.amdhsa_system_vgpr_workitem_id 0
		.amdhsa_next_free_vgpr 1
		.amdhsa_next_free_sgpr 0
		.amdhsa_accum_offset 4
		.amdhsa_reserve_vcc 0
		.amdhsa_reserve_flat_scratch 0
		.amdhsa_float_round_mode_32 0
		.amdhsa_float_round_mode_16_64 0
		.amdhsa_float_denorm_mode_32 3
		.amdhsa_float_denorm_mode_16_64 3
		.amdhsa_dx10_clamp 1
		.amdhsa_ieee_mode 1
		.amdhsa_fp16_overflow 0
		.amdhsa_tg_split 0
		.amdhsa_exception_fp_ieee_invalid_op 0
		.amdhsa_exception_fp_denorm_src 0
		.amdhsa_exception_fp_ieee_div_zero 0
		.amdhsa_exception_fp_ieee_overflow 0
		.amdhsa_exception_fp_ieee_underflow 0
		.amdhsa_exception_fp_ieee_inexact 0
		.amdhsa_exception_int_div_zero 0
	.end_amdhsa_kernel
	.section	.text._ZN7rocprim17ROCPRIM_400000_NS6detail17trampoline_kernelINS0_14default_configENS1_36segmented_radix_sort_config_selectorIalEEZNS1_25segmented_radix_sort_implIS3_Lb0EPKaPaPKlPlN2at6native12_GLOBAL__N_18offset_tEEE10hipError_tPvRmT1_PNSt15iterator_traitsISK_E10value_typeET2_T3_PNSL_ISQ_E10value_typeET4_jRbjT5_SW_jjP12ihipStream_tbEUlT_E2_NS1_11comp_targetILNS1_3genE3ELNS1_11target_archE908ELNS1_3gpuE7ELNS1_3repE0EEENS1_30default_config_static_selectorELNS0_4arch9wavefront6targetE1EEEvSK_,"axG",@progbits,_ZN7rocprim17ROCPRIM_400000_NS6detail17trampoline_kernelINS0_14default_configENS1_36segmented_radix_sort_config_selectorIalEEZNS1_25segmented_radix_sort_implIS3_Lb0EPKaPaPKlPlN2at6native12_GLOBAL__N_18offset_tEEE10hipError_tPvRmT1_PNSt15iterator_traitsISK_E10value_typeET2_T3_PNSL_ISQ_E10value_typeET4_jRbjT5_SW_jjP12ihipStream_tbEUlT_E2_NS1_11comp_targetILNS1_3genE3ELNS1_11target_archE908ELNS1_3gpuE7ELNS1_3repE0EEENS1_30default_config_static_selectorELNS0_4arch9wavefront6targetE1EEEvSK_,comdat
.Lfunc_end426:
	.size	_ZN7rocprim17ROCPRIM_400000_NS6detail17trampoline_kernelINS0_14default_configENS1_36segmented_radix_sort_config_selectorIalEEZNS1_25segmented_radix_sort_implIS3_Lb0EPKaPaPKlPlN2at6native12_GLOBAL__N_18offset_tEEE10hipError_tPvRmT1_PNSt15iterator_traitsISK_E10value_typeET2_T3_PNSL_ISQ_E10value_typeET4_jRbjT5_SW_jjP12ihipStream_tbEUlT_E2_NS1_11comp_targetILNS1_3genE3ELNS1_11target_archE908ELNS1_3gpuE7ELNS1_3repE0EEENS1_30default_config_static_selectorELNS0_4arch9wavefront6targetE1EEEvSK_, .Lfunc_end426-_ZN7rocprim17ROCPRIM_400000_NS6detail17trampoline_kernelINS0_14default_configENS1_36segmented_radix_sort_config_selectorIalEEZNS1_25segmented_radix_sort_implIS3_Lb0EPKaPaPKlPlN2at6native12_GLOBAL__N_18offset_tEEE10hipError_tPvRmT1_PNSt15iterator_traitsISK_E10value_typeET2_T3_PNSL_ISQ_E10value_typeET4_jRbjT5_SW_jjP12ihipStream_tbEUlT_E2_NS1_11comp_targetILNS1_3genE3ELNS1_11target_archE908ELNS1_3gpuE7ELNS1_3repE0EEENS1_30default_config_static_selectorELNS0_4arch9wavefront6targetE1EEEvSK_
                                        ; -- End function
	.section	.AMDGPU.csdata,"",@progbits
; Kernel info:
; codeLenInByte = 0
; NumSgprs: 4
; NumVgprs: 0
; NumAgprs: 0
; TotalNumVgprs: 0
; ScratchSize: 0
; MemoryBound: 0
; FloatMode: 240
; IeeeMode: 1
; LDSByteSize: 0 bytes/workgroup (compile time only)
; SGPRBlocks: 0
; VGPRBlocks: 0
; NumSGPRsForWavesPerEU: 4
; NumVGPRsForWavesPerEU: 1
; AccumOffset: 4
; Occupancy: 8
; WaveLimiterHint : 0
; COMPUTE_PGM_RSRC2:SCRATCH_EN: 0
; COMPUTE_PGM_RSRC2:USER_SGPR: 6
; COMPUTE_PGM_RSRC2:TRAP_HANDLER: 0
; COMPUTE_PGM_RSRC2:TGID_X_EN: 1
; COMPUTE_PGM_RSRC2:TGID_Y_EN: 0
; COMPUTE_PGM_RSRC2:TGID_Z_EN: 0
; COMPUTE_PGM_RSRC2:TIDIG_COMP_CNT: 0
; COMPUTE_PGM_RSRC3_GFX90A:ACCUM_OFFSET: 0
; COMPUTE_PGM_RSRC3_GFX90A:TG_SPLIT: 0
	.section	.text._ZN7rocprim17ROCPRIM_400000_NS6detail17trampoline_kernelINS0_14default_configENS1_36segmented_radix_sort_config_selectorIalEEZNS1_25segmented_radix_sort_implIS3_Lb0EPKaPaPKlPlN2at6native12_GLOBAL__N_18offset_tEEE10hipError_tPvRmT1_PNSt15iterator_traitsISK_E10value_typeET2_T3_PNSL_ISQ_E10value_typeET4_jRbjT5_SW_jjP12ihipStream_tbEUlT_E2_NS1_11comp_targetILNS1_3genE2ELNS1_11target_archE906ELNS1_3gpuE6ELNS1_3repE0EEENS1_30default_config_static_selectorELNS0_4arch9wavefront6targetE1EEEvSK_,"axG",@progbits,_ZN7rocprim17ROCPRIM_400000_NS6detail17trampoline_kernelINS0_14default_configENS1_36segmented_radix_sort_config_selectorIalEEZNS1_25segmented_radix_sort_implIS3_Lb0EPKaPaPKlPlN2at6native12_GLOBAL__N_18offset_tEEE10hipError_tPvRmT1_PNSt15iterator_traitsISK_E10value_typeET2_T3_PNSL_ISQ_E10value_typeET4_jRbjT5_SW_jjP12ihipStream_tbEUlT_E2_NS1_11comp_targetILNS1_3genE2ELNS1_11target_archE906ELNS1_3gpuE6ELNS1_3repE0EEENS1_30default_config_static_selectorELNS0_4arch9wavefront6targetE1EEEvSK_,comdat
	.globl	_ZN7rocprim17ROCPRIM_400000_NS6detail17trampoline_kernelINS0_14default_configENS1_36segmented_radix_sort_config_selectorIalEEZNS1_25segmented_radix_sort_implIS3_Lb0EPKaPaPKlPlN2at6native12_GLOBAL__N_18offset_tEEE10hipError_tPvRmT1_PNSt15iterator_traitsISK_E10value_typeET2_T3_PNSL_ISQ_E10value_typeET4_jRbjT5_SW_jjP12ihipStream_tbEUlT_E2_NS1_11comp_targetILNS1_3genE2ELNS1_11target_archE906ELNS1_3gpuE6ELNS1_3repE0EEENS1_30default_config_static_selectorELNS0_4arch9wavefront6targetE1EEEvSK_ ; -- Begin function _ZN7rocprim17ROCPRIM_400000_NS6detail17trampoline_kernelINS0_14default_configENS1_36segmented_radix_sort_config_selectorIalEEZNS1_25segmented_radix_sort_implIS3_Lb0EPKaPaPKlPlN2at6native12_GLOBAL__N_18offset_tEEE10hipError_tPvRmT1_PNSt15iterator_traitsISK_E10value_typeET2_T3_PNSL_ISQ_E10value_typeET4_jRbjT5_SW_jjP12ihipStream_tbEUlT_E2_NS1_11comp_targetILNS1_3genE2ELNS1_11target_archE906ELNS1_3gpuE6ELNS1_3repE0EEENS1_30default_config_static_selectorELNS0_4arch9wavefront6targetE1EEEvSK_
	.p2align	8
	.type	_ZN7rocprim17ROCPRIM_400000_NS6detail17trampoline_kernelINS0_14default_configENS1_36segmented_radix_sort_config_selectorIalEEZNS1_25segmented_radix_sort_implIS3_Lb0EPKaPaPKlPlN2at6native12_GLOBAL__N_18offset_tEEE10hipError_tPvRmT1_PNSt15iterator_traitsISK_E10value_typeET2_T3_PNSL_ISQ_E10value_typeET4_jRbjT5_SW_jjP12ihipStream_tbEUlT_E2_NS1_11comp_targetILNS1_3genE2ELNS1_11target_archE906ELNS1_3gpuE6ELNS1_3repE0EEENS1_30default_config_static_selectorELNS0_4arch9wavefront6targetE1EEEvSK_,@function
_ZN7rocprim17ROCPRIM_400000_NS6detail17trampoline_kernelINS0_14default_configENS1_36segmented_radix_sort_config_selectorIalEEZNS1_25segmented_radix_sort_implIS3_Lb0EPKaPaPKlPlN2at6native12_GLOBAL__N_18offset_tEEE10hipError_tPvRmT1_PNSt15iterator_traitsISK_E10value_typeET2_T3_PNSL_ISQ_E10value_typeET4_jRbjT5_SW_jjP12ihipStream_tbEUlT_E2_NS1_11comp_targetILNS1_3genE2ELNS1_11target_archE906ELNS1_3gpuE6ELNS1_3repE0EEENS1_30default_config_static_selectorELNS0_4arch9wavefront6targetE1EEEvSK_: ; @_ZN7rocprim17ROCPRIM_400000_NS6detail17trampoline_kernelINS0_14default_configENS1_36segmented_radix_sort_config_selectorIalEEZNS1_25segmented_radix_sort_implIS3_Lb0EPKaPaPKlPlN2at6native12_GLOBAL__N_18offset_tEEE10hipError_tPvRmT1_PNSt15iterator_traitsISK_E10value_typeET2_T3_PNSL_ISQ_E10value_typeET4_jRbjT5_SW_jjP12ihipStream_tbEUlT_E2_NS1_11comp_targetILNS1_3genE2ELNS1_11target_archE906ELNS1_3gpuE6ELNS1_3repE0EEENS1_30default_config_static_selectorELNS0_4arch9wavefront6targetE1EEEvSK_
; %bb.0:
	.section	.rodata,"a",@progbits
	.p2align	6, 0x0
	.amdhsa_kernel _ZN7rocprim17ROCPRIM_400000_NS6detail17trampoline_kernelINS0_14default_configENS1_36segmented_radix_sort_config_selectorIalEEZNS1_25segmented_radix_sort_implIS3_Lb0EPKaPaPKlPlN2at6native12_GLOBAL__N_18offset_tEEE10hipError_tPvRmT1_PNSt15iterator_traitsISK_E10value_typeET2_T3_PNSL_ISQ_E10value_typeET4_jRbjT5_SW_jjP12ihipStream_tbEUlT_E2_NS1_11comp_targetILNS1_3genE2ELNS1_11target_archE906ELNS1_3gpuE6ELNS1_3repE0EEENS1_30default_config_static_selectorELNS0_4arch9wavefront6targetE1EEEvSK_
		.amdhsa_group_segment_fixed_size 0
		.amdhsa_private_segment_fixed_size 0
		.amdhsa_kernarg_size 80
		.amdhsa_user_sgpr_count 6
		.amdhsa_user_sgpr_private_segment_buffer 1
		.amdhsa_user_sgpr_dispatch_ptr 0
		.amdhsa_user_sgpr_queue_ptr 0
		.amdhsa_user_sgpr_kernarg_segment_ptr 1
		.amdhsa_user_sgpr_dispatch_id 0
		.amdhsa_user_sgpr_flat_scratch_init 0
		.amdhsa_user_sgpr_kernarg_preload_length 0
		.amdhsa_user_sgpr_kernarg_preload_offset 0
		.amdhsa_user_sgpr_private_segment_size 0
		.amdhsa_uses_dynamic_stack 0
		.amdhsa_system_sgpr_private_segment_wavefront_offset 0
		.amdhsa_system_sgpr_workgroup_id_x 1
		.amdhsa_system_sgpr_workgroup_id_y 0
		.amdhsa_system_sgpr_workgroup_id_z 0
		.amdhsa_system_sgpr_workgroup_info 0
		.amdhsa_system_vgpr_workitem_id 0
		.amdhsa_next_free_vgpr 1
		.amdhsa_next_free_sgpr 0
		.amdhsa_accum_offset 4
		.amdhsa_reserve_vcc 0
		.amdhsa_reserve_flat_scratch 0
		.amdhsa_float_round_mode_32 0
		.amdhsa_float_round_mode_16_64 0
		.amdhsa_float_denorm_mode_32 3
		.amdhsa_float_denorm_mode_16_64 3
		.amdhsa_dx10_clamp 1
		.amdhsa_ieee_mode 1
		.amdhsa_fp16_overflow 0
		.amdhsa_tg_split 0
		.amdhsa_exception_fp_ieee_invalid_op 0
		.amdhsa_exception_fp_denorm_src 0
		.amdhsa_exception_fp_ieee_div_zero 0
		.amdhsa_exception_fp_ieee_overflow 0
		.amdhsa_exception_fp_ieee_underflow 0
		.amdhsa_exception_fp_ieee_inexact 0
		.amdhsa_exception_int_div_zero 0
	.end_amdhsa_kernel
	.section	.text._ZN7rocprim17ROCPRIM_400000_NS6detail17trampoline_kernelINS0_14default_configENS1_36segmented_radix_sort_config_selectorIalEEZNS1_25segmented_radix_sort_implIS3_Lb0EPKaPaPKlPlN2at6native12_GLOBAL__N_18offset_tEEE10hipError_tPvRmT1_PNSt15iterator_traitsISK_E10value_typeET2_T3_PNSL_ISQ_E10value_typeET4_jRbjT5_SW_jjP12ihipStream_tbEUlT_E2_NS1_11comp_targetILNS1_3genE2ELNS1_11target_archE906ELNS1_3gpuE6ELNS1_3repE0EEENS1_30default_config_static_selectorELNS0_4arch9wavefront6targetE1EEEvSK_,"axG",@progbits,_ZN7rocprim17ROCPRIM_400000_NS6detail17trampoline_kernelINS0_14default_configENS1_36segmented_radix_sort_config_selectorIalEEZNS1_25segmented_radix_sort_implIS3_Lb0EPKaPaPKlPlN2at6native12_GLOBAL__N_18offset_tEEE10hipError_tPvRmT1_PNSt15iterator_traitsISK_E10value_typeET2_T3_PNSL_ISQ_E10value_typeET4_jRbjT5_SW_jjP12ihipStream_tbEUlT_E2_NS1_11comp_targetILNS1_3genE2ELNS1_11target_archE906ELNS1_3gpuE6ELNS1_3repE0EEENS1_30default_config_static_selectorELNS0_4arch9wavefront6targetE1EEEvSK_,comdat
.Lfunc_end427:
	.size	_ZN7rocprim17ROCPRIM_400000_NS6detail17trampoline_kernelINS0_14default_configENS1_36segmented_radix_sort_config_selectorIalEEZNS1_25segmented_radix_sort_implIS3_Lb0EPKaPaPKlPlN2at6native12_GLOBAL__N_18offset_tEEE10hipError_tPvRmT1_PNSt15iterator_traitsISK_E10value_typeET2_T3_PNSL_ISQ_E10value_typeET4_jRbjT5_SW_jjP12ihipStream_tbEUlT_E2_NS1_11comp_targetILNS1_3genE2ELNS1_11target_archE906ELNS1_3gpuE6ELNS1_3repE0EEENS1_30default_config_static_selectorELNS0_4arch9wavefront6targetE1EEEvSK_, .Lfunc_end427-_ZN7rocprim17ROCPRIM_400000_NS6detail17trampoline_kernelINS0_14default_configENS1_36segmented_radix_sort_config_selectorIalEEZNS1_25segmented_radix_sort_implIS3_Lb0EPKaPaPKlPlN2at6native12_GLOBAL__N_18offset_tEEE10hipError_tPvRmT1_PNSt15iterator_traitsISK_E10value_typeET2_T3_PNSL_ISQ_E10value_typeET4_jRbjT5_SW_jjP12ihipStream_tbEUlT_E2_NS1_11comp_targetILNS1_3genE2ELNS1_11target_archE906ELNS1_3gpuE6ELNS1_3repE0EEENS1_30default_config_static_selectorELNS0_4arch9wavefront6targetE1EEEvSK_
                                        ; -- End function
	.section	.AMDGPU.csdata,"",@progbits
; Kernel info:
; codeLenInByte = 0
; NumSgprs: 4
; NumVgprs: 0
; NumAgprs: 0
; TotalNumVgprs: 0
; ScratchSize: 0
; MemoryBound: 0
; FloatMode: 240
; IeeeMode: 1
; LDSByteSize: 0 bytes/workgroup (compile time only)
; SGPRBlocks: 0
; VGPRBlocks: 0
; NumSGPRsForWavesPerEU: 4
; NumVGPRsForWavesPerEU: 1
; AccumOffset: 4
; Occupancy: 8
; WaveLimiterHint : 0
; COMPUTE_PGM_RSRC2:SCRATCH_EN: 0
; COMPUTE_PGM_RSRC2:USER_SGPR: 6
; COMPUTE_PGM_RSRC2:TRAP_HANDLER: 0
; COMPUTE_PGM_RSRC2:TGID_X_EN: 1
; COMPUTE_PGM_RSRC2:TGID_Y_EN: 0
; COMPUTE_PGM_RSRC2:TGID_Z_EN: 0
; COMPUTE_PGM_RSRC2:TIDIG_COMP_CNT: 0
; COMPUTE_PGM_RSRC3_GFX90A:ACCUM_OFFSET: 0
; COMPUTE_PGM_RSRC3_GFX90A:TG_SPLIT: 0
	.section	.text._ZN7rocprim17ROCPRIM_400000_NS6detail17trampoline_kernelINS0_14default_configENS1_36segmented_radix_sort_config_selectorIalEEZNS1_25segmented_radix_sort_implIS3_Lb0EPKaPaPKlPlN2at6native12_GLOBAL__N_18offset_tEEE10hipError_tPvRmT1_PNSt15iterator_traitsISK_E10value_typeET2_T3_PNSL_ISQ_E10value_typeET4_jRbjT5_SW_jjP12ihipStream_tbEUlT_E2_NS1_11comp_targetILNS1_3genE10ELNS1_11target_archE1201ELNS1_3gpuE5ELNS1_3repE0EEENS1_30default_config_static_selectorELNS0_4arch9wavefront6targetE1EEEvSK_,"axG",@progbits,_ZN7rocprim17ROCPRIM_400000_NS6detail17trampoline_kernelINS0_14default_configENS1_36segmented_radix_sort_config_selectorIalEEZNS1_25segmented_radix_sort_implIS3_Lb0EPKaPaPKlPlN2at6native12_GLOBAL__N_18offset_tEEE10hipError_tPvRmT1_PNSt15iterator_traitsISK_E10value_typeET2_T3_PNSL_ISQ_E10value_typeET4_jRbjT5_SW_jjP12ihipStream_tbEUlT_E2_NS1_11comp_targetILNS1_3genE10ELNS1_11target_archE1201ELNS1_3gpuE5ELNS1_3repE0EEENS1_30default_config_static_selectorELNS0_4arch9wavefront6targetE1EEEvSK_,comdat
	.globl	_ZN7rocprim17ROCPRIM_400000_NS6detail17trampoline_kernelINS0_14default_configENS1_36segmented_radix_sort_config_selectorIalEEZNS1_25segmented_radix_sort_implIS3_Lb0EPKaPaPKlPlN2at6native12_GLOBAL__N_18offset_tEEE10hipError_tPvRmT1_PNSt15iterator_traitsISK_E10value_typeET2_T3_PNSL_ISQ_E10value_typeET4_jRbjT5_SW_jjP12ihipStream_tbEUlT_E2_NS1_11comp_targetILNS1_3genE10ELNS1_11target_archE1201ELNS1_3gpuE5ELNS1_3repE0EEENS1_30default_config_static_selectorELNS0_4arch9wavefront6targetE1EEEvSK_ ; -- Begin function _ZN7rocprim17ROCPRIM_400000_NS6detail17trampoline_kernelINS0_14default_configENS1_36segmented_radix_sort_config_selectorIalEEZNS1_25segmented_radix_sort_implIS3_Lb0EPKaPaPKlPlN2at6native12_GLOBAL__N_18offset_tEEE10hipError_tPvRmT1_PNSt15iterator_traitsISK_E10value_typeET2_T3_PNSL_ISQ_E10value_typeET4_jRbjT5_SW_jjP12ihipStream_tbEUlT_E2_NS1_11comp_targetILNS1_3genE10ELNS1_11target_archE1201ELNS1_3gpuE5ELNS1_3repE0EEENS1_30default_config_static_selectorELNS0_4arch9wavefront6targetE1EEEvSK_
	.p2align	8
	.type	_ZN7rocprim17ROCPRIM_400000_NS6detail17trampoline_kernelINS0_14default_configENS1_36segmented_radix_sort_config_selectorIalEEZNS1_25segmented_radix_sort_implIS3_Lb0EPKaPaPKlPlN2at6native12_GLOBAL__N_18offset_tEEE10hipError_tPvRmT1_PNSt15iterator_traitsISK_E10value_typeET2_T3_PNSL_ISQ_E10value_typeET4_jRbjT5_SW_jjP12ihipStream_tbEUlT_E2_NS1_11comp_targetILNS1_3genE10ELNS1_11target_archE1201ELNS1_3gpuE5ELNS1_3repE0EEENS1_30default_config_static_selectorELNS0_4arch9wavefront6targetE1EEEvSK_,@function
_ZN7rocprim17ROCPRIM_400000_NS6detail17trampoline_kernelINS0_14default_configENS1_36segmented_radix_sort_config_selectorIalEEZNS1_25segmented_radix_sort_implIS3_Lb0EPKaPaPKlPlN2at6native12_GLOBAL__N_18offset_tEEE10hipError_tPvRmT1_PNSt15iterator_traitsISK_E10value_typeET2_T3_PNSL_ISQ_E10value_typeET4_jRbjT5_SW_jjP12ihipStream_tbEUlT_E2_NS1_11comp_targetILNS1_3genE10ELNS1_11target_archE1201ELNS1_3gpuE5ELNS1_3repE0EEENS1_30default_config_static_selectorELNS0_4arch9wavefront6targetE1EEEvSK_: ; @_ZN7rocprim17ROCPRIM_400000_NS6detail17trampoline_kernelINS0_14default_configENS1_36segmented_radix_sort_config_selectorIalEEZNS1_25segmented_radix_sort_implIS3_Lb0EPKaPaPKlPlN2at6native12_GLOBAL__N_18offset_tEEE10hipError_tPvRmT1_PNSt15iterator_traitsISK_E10value_typeET2_T3_PNSL_ISQ_E10value_typeET4_jRbjT5_SW_jjP12ihipStream_tbEUlT_E2_NS1_11comp_targetILNS1_3genE10ELNS1_11target_archE1201ELNS1_3gpuE5ELNS1_3repE0EEENS1_30default_config_static_selectorELNS0_4arch9wavefront6targetE1EEEvSK_
; %bb.0:
	.section	.rodata,"a",@progbits
	.p2align	6, 0x0
	.amdhsa_kernel _ZN7rocprim17ROCPRIM_400000_NS6detail17trampoline_kernelINS0_14default_configENS1_36segmented_radix_sort_config_selectorIalEEZNS1_25segmented_radix_sort_implIS3_Lb0EPKaPaPKlPlN2at6native12_GLOBAL__N_18offset_tEEE10hipError_tPvRmT1_PNSt15iterator_traitsISK_E10value_typeET2_T3_PNSL_ISQ_E10value_typeET4_jRbjT5_SW_jjP12ihipStream_tbEUlT_E2_NS1_11comp_targetILNS1_3genE10ELNS1_11target_archE1201ELNS1_3gpuE5ELNS1_3repE0EEENS1_30default_config_static_selectorELNS0_4arch9wavefront6targetE1EEEvSK_
		.amdhsa_group_segment_fixed_size 0
		.amdhsa_private_segment_fixed_size 0
		.amdhsa_kernarg_size 80
		.amdhsa_user_sgpr_count 6
		.amdhsa_user_sgpr_private_segment_buffer 1
		.amdhsa_user_sgpr_dispatch_ptr 0
		.amdhsa_user_sgpr_queue_ptr 0
		.amdhsa_user_sgpr_kernarg_segment_ptr 1
		.amdhsa_user_sgpr_dispatch_id 0
		.amdhsa_user_sgpr_flat_scratch_init 0
		.amdhsa_user_sgpr_kernarg_preload_length 0
		.amdhsa_user_sgpr_kernarg_preload_offset 0
		.amdhsa_user_sgpr_private_segment_size 0
		.amdhsa_uses_dynamic_stack 0
		.amdhsa_system_sgpr_private_segment_wavefront_offset 0
		.amdhsa_system_sgpr_workgroup_id_x 1
		.amdhsa_system_sgpr_workgroup_id_y 0
		.amdhsa_system_sgpr_workgroup_id_z 0
		.amdhsa_system_sgpr_workgroup_info 0
		.amdhsa_system_vgpr_workitem_id 0
		.amdhsa_next_free_vgpr 1
		.amdhsa_next_free_sgpr 0
		.amdhsa_accum_offset 4
		.amdhsa_reserve_vcc 0
		.amdhsa_reserve_flat_scratch 0
		.amdhsa_float_round_mode_32 0
		.amdhsa_float_round_mode_16_64 0
		.amdhsa_float_denorm_mode_32 3
		.amdhsa_float_denorm_mode_16_64 3
		.amdhsa_dx10_clamp 1
		.amdhsa_ieee_mode 1
		.amdhsa_fp16_overflow 0
		.amdhsa_tg_split 0
		.amdhsa_exception_fp_ieee_invalid_op 0
		.amdhsa_exception_fp_denorm_src 0
		.amdhsa_exception_fp_ieee_div_zero 0
		.amdhsa_exception_fp_ieee_overflow 0
		.amdhsa_exception_fp_ieee_underflow 0
		.amdhsa_exception_fp_ieee_inexact 0
		.amdhsa_exception_int_div_zero 0
	.end_amdhsa_kernel
	.section	.text._ZN7rocprim17ROCPRIM_400000_NS6detail17trampoline_kernelINS0_14default_configENS1_36segmented_radix_sort_config_selectorIalEEZNS1_25segmented_radix_sort_implIS3_Lb0EPKaPaPKlPlN2at6native12_GLOBAL__N_18offset_tEEE10hipError_tPvRmT1_PNSt15iterator_traitsISK_E10value_typeET2_T3_PNSL_ISQ_E10value_typeET4_jRbjT5_SW_jjP12ihipStream_tbEUlT_E2_NS1_11comp_targetILNS1_3genE10ELNS1_11target_archE1201ELNS1_3gpuE5ELNS1_3repE0EEENS1_30default_config_static_selectorELNS0_4arch9wavefront6targetE1EEEvSK_,"axG",@progbits,_ZN7rocprim17ROCPRIM_400000_NS6detail17trampoline_kernelINS0_14default_configENS1_36segmented_radix_sort_config_selectorIalEEZNS1_25segmented_radix_sort_implIS3_Lb0EPKaPaPKlPlN2at6native12_GLOBAL__N_18offset_tEEE10hipError_tPvRmT1_PNSt15iterator_traitsISK_E10value_typeET2_T3_PNSL_ISQ_E10value_typeET4_jRbjT5_SW_jjP12ihipStream_tbEUlT_E2_NS1_11comp_targetILNS1_3genE10ELNS1_11target_archE1201ELNS1_3gpuE5ELNS1_3repE0EEENS1_30default_config_static_selectorELNS0_4arch9wavefront6targetE1EEEvSK_,comdat
.Lfunc_end428:
	.size	_ZN7rocprim17ROCPRIM_400000_NS6detail17trampoline_kernelINS0_14default_configENS1_36segmented_radix_sort_config_selectorIalEEZNS1_25segmented_radix_sort_implIS3_Lb0EPKaPaPKlPlN2at6native12_GLOBAL__N_18offset_tEEE10hipError_tPvRmT1_PNSt15iterator_traitsISK_E10value_typeET2_T3_PNSL_ISQ_E10value_typeET4_jRbjT5_SW_jjP12ihipStream_tbEUlT_E2_NS1_11comp_targetILNS1_3genE10ELNS1_11target_archE1201ELNS1_3gpuE5ELNS1_3repE0EEENS1_30default_config_static_selectorELNS0_4arch9wavefront6targetE1EEEvSK_, .Lfunc_end428-_ZN7rocprim17ROCPRIM_400000_NS6detail17trampoline_kernelINS0_14default_configENS1_36segmented_radix_sort_config_selectorIalEEZNS1_25segmented_radix_sort_implIS3_Lb0EPKaPaPKlPlN2at6native12_GLOBAL__N_18offset_tEEE10hipError_tPvRmT1_PNSt15iterator_traitsISK_E10value_typeET2_T3_PNSL_ISQ_E10value_typeET4_jRbjT5_SW_jjP12ihipStream_tbEUlT_E2_NS1_11comp_targetILNS1_3genE10ELNS1_11target_archE1201ELNS1_3gpuE5ELNS1_3repE0EEENS1_30default_config_static_selectorELNS0_4arch9wavefront6targetE1EEEvSK_
                                        ; -- End function
	.section	.AMDGPU.csdata,"",@progbits
; Kernel info:
; codeLenInByte = 0
; NumSgprs: 4
; NumVgprs: 0
; NumAgprs: 0
; TotalNumVgprs: 0
; ScratchSize: 0
; MemoryBound: 0
; FloatMode: 240
; IeeeMode: 1
; LDSByteSize: 0 bytes/workgroup (compile time only)
; SGPRBlocks: 0
; VGPRBlocks: 0
; NumSGPRsForWavesPerEU: 4
; NumVGPRsForWavesPerEU: 1
; AccumOffset: 4
; Occupancy: 8
; WaveLimiterHint : 0
; COMPUTE_PGM_RSRC2:SCRATCH_EN: 0
; COMPUTE_PGM_RSRC2:USER_SGPR: 6
; COMPUTE_PGM_RSRC2:TRAP_HANDLER: 0
; COMPUTE_PGM_RSRC2:TGID_X_EN: 1
; COMPUTE_PGM_RSRC2:TGID_Y_EN: 0
; COMPUTE_PGM_RSRC2:TGID_Z_EN: 0
; COMPUTE_PGM_RSRC2:TIDIG_COMP_CNT: 0
; COMPUTE_PGM_RSRC3_GFX90A:ACCUM_OFFSET: 0
; COMPUTE_PGM_RSRC3_GFX90A:TG_SPLIT: 0
	.section	.text._ZN7rocprim17ROCPRIM_400000_NS6detail17trampoline_kernelINS0_14default_configENS1_36segmented_radix_sort_config_selectorIalEEZNS1_25segmented_radix_sort_implIS3_Lb0EPKaPaPKlPlN2at6native12_GLOBAL__N_18offset_tEEE10hipError_tPvRmT1_PNSt15iterator_traitsISK_E10value_typeET2_T3_PNSL_ISQ_E10value_typeET4_jRbjT5_SW_jjP12ihipStream_tbEUlT_E2_NS1_11comp_targetILNS1_3genE10ELNS1_11target_archE1200ELNS1_3gpuE4ELNS1_3repE0EEENS1_30default_config_static_selectorELNS0_4arch9wavefront6targetE1EEEvSK_,"axG",@progbits,_ZN7rocprim17ROCPRIM_400000_NS6detail17trampoline_kernelINS0_14default_configENS1_36segmented_radix_sort_config_selectorIalEEZNS1_25segmented_radix_sort_implIS3_Lb0EPKaPaPKlPlN2at6native12_GLOBAL__N_18offset_tEEE10hipError_tPvRmT1_PNSt15iterator_traitsISK_E10value_typeET2_T3_PNSL_ISQ_E10value_typeET4_jRbjT5_SW_jjP12ihipStream_tbEUlT_E2_NS1_11comp_targetILNS1_3genE10ELNS1_11target_archE1200ELNS1_3gpuE4ELNS1_3repE0EEENS1_30default_config_static_selectorELNS0_4arch9wavefront6targetE1EEEvSK_,comdat
	.globl	_ZN7rocprim17ROCPRIM_400000_NS6detail17trampoline_kernelINS0_14default_configENS1_36segmented_radix_sort_config_selectorIalEEZNS1_25segmented_radix_sort_implIS3_Lb0EPKaPaPKlPlN2at6native12_GLOBAL__N_18offset_tEEE10hipError_tPvRmT1_PNSt15iterator_traitsISK_E10value_typeET2_T3_PNSL_ISQ_E10value_typeET4_jRbjT5_SW_jjP12ihipStream_tbEUlT_E2_NS1_11comp_targetILNS1_3genE10ELNS1_11target_archE1200ELNS1_3gpuE4ELNS1_3repE0EEENS1_30default_config_static_selectorELNS0_4arch9wavefront6targetE1EEEvSK_ ; -- Begin function _ZN7rocprim17ROCPRIM_400000_NS6detail17trampoline_kernelINS0_14default_configENS1_36segmented_radix_sort_config_selectorIalEEZNS1_25segmented_radix_sort_implIS3_Lb0EPKaPaPKlPlN2at6native12_GLOBAL__N_18offset_tEEE10hipError_tPvRmT1_PNSt15iterator_traitsISK_E10value_typeET2_T3_PNSL_ISQ_E10value_typeET4_jRbjT5_SW_jjP12ihipStream_tbEUlT_E2_NS1_11comp_targetILNS1_3genE10ELNS1_11target_archE1200ELNS1_3gpuE4ELNS1_3repE0EEENS1_30default_config_static_selectorELNS0_4arch9wavefront6targetE1EEEvSK_
	.p2align	8
	.type	_ZN7rocprim17ROCPRIM_400000_NS6detail17trampoline_kernelINS0_14default_configENS1_36segmented_radix_sort_config_selectorIalEEZNS1_25segmented_radix_sort_implIS3_Lb0EPKaPaPKlPlN2at6native12_GLOBAL__N_18offset_tEEE10hipError_tPvRmT1_PNSt15iterator_traitsISK_E10value_typeET2_T3_PNSL_ISQ_E10value_typeET4_jRbjT5_SW_jjP12ihipStream_tbEUlT_E2_NS1_11comp_targetILNS1_3genE10ELNS1_11target_archE1200ELNS1_3gpuE4ELNS1_3repE0EEENS1_30default_config_static_selectorELNS0_4arch9wavefront6targetE1EEEvSK_,@function
_ZN7rocprim17ROCPRIM_400000_NS6detail17trampoline_kernelINS0_14default_configENS1_36segmented_radix_sort_config_selectorIalEEZNS1_25segmented_radix_sort_implIS3_Lb0EPKaPaPKlPlN2at6native12_GLOBAL__N_18offset_tEEE10hipError_tPvRmT1_PNSt15iterator_traitsISK_E10value_typeET2_T3_PNSL_ISQ_E10value_typeET4_jRbjT5_SW_jjP12ihipStream_tbEUlT_E2_NS1_11comp_targetILNS1_3genE10ELNS1_11target_archE1200ELNS1_3gpuE4ELNS1_3repE0EEENS1_30default_config_static_selectorELNS0_4arch9wavefront6targetE1EEEvSK_: ; @_ZN7rocprim17ROCPRIM_400000_NS6detail17trampoline_kernelINS0_14default_configENS1_36segmented_radix_sort_config_selectorIalEEZNS1_25segmented_radix_sort_implIS3_Lb0EPKaPaPKlPlN2at6native12_GLOBAL__N_18offset_tEEE10hipError_tPvRmT1_PNSt15iterator_traitsISK_E10value_typeET2_T3_PNSL_ISQ_E10value_typeET4_jRbjT5_SW_jjP12ihipStream_tbEUlT_E2_NS1_11comp_targetILNS1_3genE10ELNS1_11target_archE1200ELNS1_3gpuE4ELNS1_3repE0EEENS1_30default_config_static_selectorELNS0_4arch9wavefront6targetE1EEEvSK_
; %bb.0:
	.section	.rodata,"a",@progbits
	.p2align	6, 0x0
	.amdhsa_kernel _ZN7rocprim17ROCPRIM_400000_NS6detail17trampoline_kernelINS0_14default_configENS1_36segmented_radix_sort_config_selectorIalEEZNS1_25segmented_radix_sort_implIS3_Lb0EPKaPaPKlPlN2at6native12_GLOBAL__N_18offset_tEEE10hipError_tPvRmT1_PNSt15iterator_traitsISK_E10value_typeET2_T3_PNSL_ISQ_E10value_typeET4_jRbjT5_SW_jjP12ihipStream_tbEUlT_E2_NS1_11comp_targetILNS1_3genE10ELNS1_11target_archE1200ELNS1_3gpuE4ELNS1_3repE0EEENS1_30default_config_static_selectorELNS0_4arch9wavefront6targetE1EEEvSK_
		.amdhsa_group_segment_fixed_size 0
		.amdhsa_private_segment_fixed_size 0
		.amdhsa_kernarg_size 80
		.amdhsa_user_sgpr_count 6
		.amdhsa_user_sgpr_private_segment_buffer 1
		.amdhsa_user_sgpr_dispatch_ptr 0
		.amdhsa_user_sgpr_queue_ptr 0
		.amdhsa_user_sgpr_kernarg_segment_ptr 1
		.amdhsa_user_sgpr_dispatch_id 0
		.amdhsa_user_sgpr_flat_scratch_init 0
		.amdhsa_user_sgpr_kernarg_preload_length 0
		.amdhsa_user_sgpr_kernarg_preload_offset 0
		.amdhsa_user_sgpr_private_segment_size 0
		.amdhsa_uses_dynamic_stack 0
		.amdhsa_system_sgpr_private_segment_wavefront_offset 0
		.amdhsa_system_sgpr_workgroup_id_x 1
		.amdhsa_system_sgpr_workgroup_id_y 0
		.amdhsa_system_sgpr_workgroup_id_z 0
		.amdhsa_system_sgpr_workgroup_info 0
		.amdhsa_system_vgpr_workitem_id 0
		.amdhsa_next_free_vgpr 1
		.amdhsa_next_free_sgpr 0
		.amdhsa_accum_offset 4
		.amdhsa_reserve_vcc 0
		.amdhsa_reserve_flat_scratch 0
		.amdhsa_float_round_mode_32 0
		.amdhsa_float_round_mode_16_64 0
		.amdhsa_float_denorm_mode_32 3
		.amdhsa_float_denorm_mode_16_64 3
		.amdhsa_dx10_clamp 1
		.amdhsa_ieee_mode 1
		.amdhsa_fp16_overflow 0
		.amdhsa_tg_split 0
		.amdhsa_exception_fp_ieee_invalid_op 0
		.amdhsa_exception_fp_denorm_src 0
		.amdhsa_exception_fp_ieee_div_zero 0
		.amdhsa_exception_fp_ieee_overflow 0
		.amdhsa_exception_fp_ieee_underflow 0
		.amdhsa_exception_fp_ieee_inexact 0
		.amdhsa_exception_int_div_zero 0
	.end_amdhsa_kernel
	.section	.text._ZN7rocprim17ROCPRIM_400000_NS6detail17trampoline_kernelINS0_14default_configENS1_36segmented_radix_sort_config_selectorIalEEZNS1_25segmented_radix_sort_implIS3_Lb0EPKaPaPKlPlN2at6native12_GLOBAL__N_18offset_tEEE10hipError_tPvRmT1_PNSt15iterator_traitsISK_E10value_typeET2_T3_PNSL_ISQ_E10value_typeET4_jRbjT5_SW_jjP12ihipStream_tbEUlT_E2_NS1_11comp_targetILNS1_3genE10ELNS1_11target_archE1200ELNS1_3gpuE4ELNS1_3repE0EEENS1_30default_config_static_selectorELNS0_4arch9wavefront6targetE1EEEvSK_,"axG",@progbits,_ZN7rocprim17ROCPRIM_400000_NS6detail17trampoline_kernelINS0_14default_configENS1_36segmented_radix_sort_config_selectorIalEEZNS1_25segmented_radix_sort_implIS3_Lb0EPKaPaPKlPlN2at6native12_GLOBAL__N_18offset_tEEE10hipError_tPvRmT1_PNSt15iterator_traitsISK_E10value_typeET2_T3_PNSL_ISQ_E10value_typeET4_jRbjT5_SW_jjP12ihipStream_tbEUlT_E2_NS1_11comp_targetILNS1_3genE10ELNS1_11target_archE1200ELNS1_3gpuE4ELNS1_3repE0EEENS1_30default_config_static_selectorELNS0_4arch9wavefront6targetE1EEEvSK_,comdat
.Lfunc_end429:
	.size	_ZN7rocprim17ROCPRIM_400000_NS6detail17trampoline_kernelINS0_14default_configENS1_36segmented_radix_sort_config_selectorIalEEZNS1_25segmented_radix_sort_implIS3_Lb0EPKaPaPKlPlN2at6native12_GLOBAL__N_18offset_tEEE10hipError_tPvRmT1_PNSt15iterator_traitsISK_E10value_typeET2_T3_PNSL_ISQ_E10value_typeET4_jRbjT5_SW_jjP12ihipStream_tbEUlT_E2_NS1_11comp_targetILNS1_3genE10ELNS1_11target_archE1200ELNS1_3gpuE4ELNS1_3repE0EEENS1_30default_config_static_selectorELNS0_4arch9wavefront6targetE1EEEvSK_, .Lfunc_end429-_ZN7rocprim17ROCPRIM_400000_NS6detail17trampoline_kernelINS0_14default_configENS1_36segmented_radix_sort_config_selectorIalEEZNS1_25segmented_radix_sort_implIS3_Lb0EPKaPaPKlPlN2at6native12_GLOBAL__N_18offset_tEEE10hipError_tPvRmT1_PNSt15iterator_traitsISK_E10value_typeET2_T3_PNSL_ISQ_E10value_typeET4_jRbjT5_SW_jjP12ihipStream_tbEUlT_E2_NS1_11comp_targetILNS1_3genE10ELNS1_11target_archE1200ELNS1_3gpuE4ELNS1_3repE0EEENS1_30default_config_static_selectorELNS0_4arch9wavefront6targetE1EEEvSK_
                                        ; -- End function
	.section	.AMDGPU.csdata,"",@progbits
; Kernel info:
; codeLenInByte = 0
; NumSgprs: 4
; NumVgprs: 0
; NumAgprs: 0
; TotalNumVgprs: 0
; ScratchSize: 0
; MemoryBound: 0
; FloatMode: 240
; IeeeMode: 1
; LDSByteSize: 0 bytes/workgroup (compile time only)
; SGPRBlocks: 0
; VGPRBlocks: 0
; NumSGPRsForWavesPerEU: 4
; NumVGPRsForWavesPerEU: 1
; AccumOffset: 4
; Occupancy: 8
; WaveLimiterHint : 0
; COMPUTE_PGM_RSRC2:SCRATCH_EN: 0
; COMPUTE_PGM_RSRC2:USER_SGPR: 6
; COMPUTE_PGM_RSRC2:TRAP_HANDLER: 0
; COMPUTE_PGM_RSRC2:TGID_X_EN: 1
; COMPUTE_PGM_RSRC2:TGID_Y_EN: 0
; COMPUTE_PGM_RSRC2:TGID_Z_EN: 0
; COMPUTE_PGM_RSRC2:TIDIG_COMP_CNT: 0
; COMPUTE_PGM_RSRC3_GFX90A:ACCUM_OFFSET: 0
; COMPUTE_PGM_RSRC3_GFX90A:TG_SPLIT: 0
	.section	.text._ZN7rocprim17ROCPRIM_400000_NS6detail17trampoline_kernelINS0_14default_configENS1_36segmented_radix_sort_config_selectorIalEEZNS1_25segmented_radix_sort_implIS3_Lb0EPKaPaPKlPlN2at6native12_GLOBAL__N_18offset_tEEE10hipError_tPvRmT1_PNSt15iterator_traitsISK_E10value_typeET2_T3_PNSL_ISQ_E10value_typeET4_jRbjT5_SW_jjP12ihipStream_tbEUlT_E2_NS1_11comp_targetILNS1_3genE9ELNS1_11target_archE1100ELNS1_3gpuE3ELNS1_3repE0EEENS1_30default_config_static_selectorELNS0_4arch9wavefront6targetE1EEEvSK_,"axG",@progbits,_ZN7rocprim17ROCPRIM_400000_NS6detail17trampoline_kernelINS0_14default_configENS1_36segmented_radix_sort_config_selectorIalEEZNS1_25segmented_radix_sort_implIS3_Lb0EPKaPaPKlPlN2at6native12_GLOBAL__N_18offset_tEEE10hipError_tPvRmT1_PNSt15iterator_traitsISK_E10value_typeET2_T3_PNSL_ISQ_E10value_typeET4_jRbjT5_SW_jjP12ihipStream_tbEUlT_E2_NS1_11comp_targetILNS1_3genE9ELNS1_11target_archE1100ELNS1_3gpuE3ELNS1_3repE0EEENS1_30default_config_static_selectorELNS0_4arch9wavefront6targetE1EEEvSK_,comdat
	.globl	_ZN7rocprim17ROCPRIM_400000_NS6detail17trampoline_kernelINS0_14default_configENS1_36segmented_radix_sort_config_selectorIalEEZNS1_25segmented_radix_sort_implIS3_Lb0EPKaPaPKlPlN2at6native12_GLOBAL__N_18offset_tEEE10hipError_tPvRmT1_PNSt15iterator_traitsISK_E10value_typeET2_T3_PNSL_ISQ_E10value_typeET4_jRbjT5_SW_jjP12ihipStream_tbEUlT_E2_NS1_11comp_targetILNS1_3genE9ELNS1_11target_archE1100ELNS1_3gpuE3ELNS1_3repE0EEENS1_30default_config_static_selectorELNS0_4arch9wavefront6targetE1EEEvSK_ ; -- Begin function _ZN7rocprim17ROCPRIM_400000_NS6detail17trampoline_kernelINS0_14default_configENS1_36segmented_radix_sort_config_selectorIalEEZNS1_25segmented_radix_sort_implIS3_Lb0EPKaPaPKlPlN2at6native12_GLOBAL__N_18offset_tEEE10hipError_tPvRmT1_PNSt15iterator_traitsISK_E10value_typeET2_T3_PNSL_ISQ_E10value_typeET4_jRbjT5_SW_jjP12ihipStream_tbEUlT_E2_NS1_11comp_targetILNS1_3genE9ELNS1_11target_archE1100ELNS1_3gpuE3ELNS1_3repE0EEENS1_30default_config_static_selectorELNS0_4arch9wavefront6targetE1EEEvSK_
	.p2align	8
	.type	_ZN7rocprim17ROCPRIM_400000_NS6detail17trampoline_kernelINS0_14default_configENS1_36segmented_radix_sort_config_selectorIalEEZNS1_25segmented_radix_sort_implIS3_Lb0EPKaPaPKlPlN2at6native12_GLOBAL__N_18offset_tEEE10hipError_tPvRmT1_PNSt15iterator_traitsISK_E10value_typeET2_T3_PNSL_ISQ_E10value_typeET4_jRbjT5_SW_jjP12ihipStream_tbEUlT_E2_NS1_11comp_targetILNS1_3genE9ELNS1_11target_archE1100ELNS1_3gpuE3ELNS1_3repE0EEENS1_30default_config_static_selectorELNS0_4arch9wavefront6targetE1EEEvSK_,@function
_ZN7rocprim17ROCPRIM_400000_NS6detail17trampoline_kernelINS0_14default_configENS1_36segmented_radix_sort_config_selectorIalEEZNS1_25segmented_radix_sort_implIS3_Lb0EPKaPaPKlPlN2at6native12_GLOBAL__N_18offset_tEEE10hipError_tPvRmT1_PNSt15iterator_traitsISK_E10value_typeET2_T3_PNSL_ISQ_E10value_typeET4_jRbjT5_SW_jjP12ihipStream_tbEUlT_E2_NS1_11comp_targetILNS1_3genE9ELNS1_11target_archE1100ELNS1_3gpuE3ELNS1_3repE0EEENS1_30default_config_static_selectorELNS0_4arch9wavefront6targetE1EEEvSK_: ; @_ZN7rocprim17ROCPRIM_400000_NS6detail17trampoline_kernelINS0_14default_configENS1_36segmented_radix_sort_config_selectorIalEEZNS1_25segmented_radix_sort_implIS3_Lb0EPKaPaPKlPlN2at6native12_GLOBAL__N_18offset_tEEE10hipError_tPvRmT1_PNSt15iterator_traitsISK_E10value_typeET2_T3_PNSL_ISQ_E10value_typeET4_jRbjT5_SW_jjP12ihipStream_tbEUlT_E2_NS1_11comp_targetILNS1_3genE9ELNS1_11target_archE1100ELNS1_3gpuE3ELNS1_3repE0EEENS1_30default_config_static_selectorELNS0_4arch9wavefront6targetE1EEEvSK_
; %bb.0:
	.section	.rodata,"a",@progbits
	.p2align	6, 0x0
	.amdhsa_kernel _ZN7rocprim17ROCPRIM_400000_NS6detail17trampoline_kernelINS0_14default_configENS1_36segmented_radix_sort_config_selectorIalEEZNS1_25segmented_radix_sort_implIS3_Lb0EPKaPaPKlPlN2at6native12_GLOBAL__N_18offset_tEEE10hipError_tPvRmT1_PNSt15iterator_traitsISK_E10value_typeET2_T3_PNSL_ISQ_E10value_typeET4_jRbjT5_SW_jjP12ihipStream_tbEUlT_E2_NS1_11comp_targetILNS1_3genE9ELNS1_11target_archE1100ELNS1_3gpuE3ELNS1_3repE0EEENS1_30default_config_static_selectorELNS0_4arch9wavefront6targetE1EEEvSK_
		.amdhsa_group_segment_fixed_size 0
		.amdhsa_private_segment_fixed_size 0
		.amdhsa_kernarg_size 80
		.amdhsa_user_sgpr_count 6
		.amdhsa_user_sgpr_private_segment_buffer 1
		.amdhsa_user_sgpr_dispatch_ptr 0
		.amdhsa_user_sgpr_queue_ptr 0
		.amdhsa_user_sgpr_kernarg_segment_ptr 1
		.amdhsa_user_sgpr_dispatch_id 0
		.amdhsa_user_sgpr_flat_scratch_init 0
		.amdhsa_user_sgpr_kernarg_preload_length 0
		.amdhsa_user_sgpr_kernarg_preload_offset 0
		.amdhsa_user_sgpr_private_segment_size 0
		.amdhsa_uses_dynamic_stack 0
		.amdhsa_system_sgpr_private_segment_wavefront_offset 0
		.amdhsa_system_sgpr_workgroup_id_x 1
		.amdhsa_system_sgpr_workgroup_id_y 0
		.amdhsa_system_sgpr_workgroup_id_z 0
		.amdhsa_system_sgpr_workgroup_info 0
		.amdhsa_system_vgpr_workitem_id 0
		.amdhsa_next_free_vgpr 1
		.amdhsa_next_free_sgpr 0
		.amdhsa_accum_offset 4
		.amdhsa_reserve_vcc 0
		.amdhsa_reserve_flat_scratch 0
		.amdhsa_float_round_mode_32 0
		.amdhsa_float_round_mode_16_64 0
		.amdhsa_float_denorm_mode_32 3
		.amdhsa_float_denorm_mode_16_64 3
		.amdhsa_dx10_clamp 1
		.amdhsa_ieee_mode 1
		.amdhsa_fp16_overflow 0
		.amdhsa_tg_split 0
		.amdhsa_exception_fp_ieee_invalid_op 0
		.amdhsa_exception_fp_denorm_src 0
		.amdhsa_exception_fp_ieee_div_zero 0
		.amdhsa_exception_fp_ieee_overflow 0
		.amdhsa_exception_fp_ieee_underflow 0
		.amdhsa_exception_fp_ieee_inexact 0
		.amdhsa_exception_int_div_zero 0
	.end_amdhsa_kernel
	.section	.text._ZN7rocprim17ROCPRIM_400000_NS6detail17trampoline_kernelINS0_14default_configENS1_36segmented_radix_sort_config_selectorIalEEZNS1_25segmented_radix_sort_implIS3_Lb0EPKaPaPKlPlN2at6native12_GLOBAL__N_18offset_tEEE10hipError_tPvRmT1_PNSt15iterator_traitsISK_E10value_typeET2_T3_PNSL_ISQ_E10value_typeET4_jRbjT5_SW_jjP12ihipStream_tbEUlT_E2_NS1_11comp_targetILNS1_3genE9ELNS1_11target_archE1100ELNS1_3gpuE3ELNS1_3repE0EEENS1_30default_config_static_selectorELNS0_4arch9wavefront6targetE1EEEvSK_,"axG",@progbits,_ZN7rocprim17ROCPRIM_400000_NS6detail17trampoline_kernelINS0_14default_configENS1_36segmented_radix_sort_config_selectorIalEEZNS1_25segmented_radix_sort_implIS3_Lb0EPKaPaPKlPlN2at6native12_GLOBAL__N_18offset_tEEE10hipError_tPvRmT1_PNSt15iterator_traitsISK_E10value_typeET2_T3_PNSL_ISQ_E10value_typeET4_jRbjT5_SW_jjP12ihipStream_tbEUlT_E2_NS1_11comp_targetILNS1_3genE9ELNS1_11target_archE1100ELNS1_3gpuE3ELNS1_3repE0EEENS1_30default_config_static_selectorELNS0_4arch9wavefront6targetE1EEEvSK_,comdat
.Lfunc_end430:
	.size	_ZN7rocprim17ROCPRIM_400000_NS6detail17trampoline_kernelINS0_14default_configENS1_36segmented_radix_sort_config_selectorIalEEZNS1_25segmented_radix_sort_implIS3_Lb0EPKaPaPKlPlN2at6native12_GLOBAL__N_18offset_tEEE10hipError_tPvRmT1_PNSt15iterator_traitsISK_E10value_typeET2_T3_PNSL_ISQ_E10value_typeET4_jRbjT5_SW_jjP12ihipStream_tbEUlT_E2_NS1_11comp_targetILNS1_3genE9ELNS1_11target_archE1100ELNS1_3gpuE3ELNS1_3repE0EEENS1_30default_config_static_selectorELNS0_4arch9wavefront6targetE1EEEvSK_, .Lfunc_end430-_ZN7rocprim17ROCPRIM_400000_NS6detail17trampoline_kernelINS0_14default_configENS1_36segmented_radix_sort_config_selectorIalEEZNS1_25segmented_radix_sort_implIS3_Lb0EPKaPaPKlPlN2at6native12_GLOBAL__N_18offset_tEEE10hipError_tPvRmT1_PNSt15iterator_traitsISK_E10value_typeET2_T3_PNSL_ISQ_E10value_typeET4_jRbjT5_SW_jjP12ihipStream_tbEUlT_E2_NS1_11comp_targetILNS1_3genE9ELNS1_11target_archE1100ELNS1_3gpuE3ELNS1_3repE0EEENS1_30default_config_static_selectorELNS0_4arch9wavefront6targetE1EEEvSK_
                                        ; -- End function
	.section	.AMDGPU.csdata,"",@progbits
; Kernel info:
; codeLenInByte = 0
; NumSgprs: 4
; NumVgprs: 0
; NumAgprs: 0
; TotalNumVgprs: 0
; ScratchSize: 0
; MemoryBound: 0
; FloatMode: 240
; IeeeMode: 1
; LDSByteSize: 0 bytes/workgroup (compile time only)
; SGPRBlocks: 0
; VGPRBlocks: 0
; NumSGPRsForWavesPerEU: 4
; NumVGPRsForWavesPerEU: 1
; AccumOffset: 4
; Occupancy: 8
; WaveLimiterHint : 0
; COMPUTE_PGM_RSRC2:SCRATCH_EN: 0
; COMPUTE_PGM_RSRC2:USER_SGPR: 6
; COMPUTE_PGM_RSRC2:TRAP_HANDLER: 0
; COMPUTE_PGM_RSRC2:TGID_X_EN: 1
; COMPUTE_PGM_RSRC2:TGID_Y_EN: 0
; COMPUTE_PGM_RSRC2:TGID_Z_EN: 0
; COMPUTE_PGM_RSRC2:TIDIG_COMP_CNT: 0
; COMPUTE_PGM_RSRC3_GFX90A:ACCUM_OFFSET: 0
; COMPUTE_PGM_RSRC3_GFX90A:TG_SPLIT: 0
	.section	.text._ZN7rocprim17ROCPRIM_400000_NS6detail17trampoline_kernelINS0_14default_configENS1_36segmented_radix_sort_config_selectorIalEEZNS1_25segmented_radix_sort_implIS3_Lb0EPKaPaPKlPlN2at6native12_GLOBAL__N_18offset_tEEE10hipError_tPvRmT1_PNSt15iterator_traitsISK_E10value_typeET2_T3_PNSL_ISQ_E10value_typeET4_jRbjT5_SW_jjP12ihipStream_tbEUlT_E2_NS1_11comp_targetILNS1_3genE8ELNS1_11target_archE1030ELNS1_3gpuE2ELNS1_3repE0EEENS1_30default_config_static_selectorELNS0_4arch9wavefront6targetE1EEEvSK_,"axG",@progbits,_ZN7rocprim17ROCPRIM_400000_NS6detail17trampoline_kernelINS0_14default_configENS1_36segmented_radix_sort_config_selectorIalEEZNS1_25segmented_radix_sort_implIS3_Lb0EPKaPaPKlPlN2at6native12_GLOBAL__N_18offset_tEEE10hipError_tPvRmT1_PNSt15iterator_traitsISK_E10value_typeET2_T3_PNSL_ISQ_E10value_typeET4_jRbjT5_SW_jjP12ihipStream_tbEUlT_E2_NS1_11comp_targetILNS1_3genE8ELNS1_11target_archE1030ELNS1_3gpuE2ELNS1_3repE0EEENS1_30default_config_static_selectorELNS0_4arch9wavefront6targetE1EEEvSK_,comdat
	.globl	_ZN7rocprim17ROCPRIM_400000_NS6detail17trampoline_kernelINS0_14default_configENS1_36segmented_radix_sort_config_selectorIalEEZNS1_25segmented_radix_sort_implIS3_Lb0EPKaPaPKlPlN2at6native12_GLOBAL__N_18offset_tEEE10hipError_tPvRmT1_PNSt15iterator_traitsISK_E10value_typeET2_T3_PNSL_ISQ_E10value_typeET4_jRbjT5_SW_jjP12ihipStream_tbEUlT_E2_NS1_11comp_targetILNS1_3genE8ELNS1_11target_archE1030ELNS1_3gpuE2ELNS1_3repE0EEENS1_30default_config_static_selectorELNS0_4arch9wavefront6targetE1EEEvSK_ ; -- Begin function _ZN7rocprim17ROCPRIM_400000_NS6detail17trampoline_kernelINS0_14default_configENS1_36segmented_radix_sort_config_selectorIalEEZNS1_25segmented_radix_sort_implIS3_Lb0EPKaPaPKlPlN2at6native12_GLOBAL__N_18offset_tEEE10hipError_tPvRmT1_PNSt15iterator_traitsISK_E10value_typeET2_T3_PNSL_ISQ_E10value_typeET4_jRbjT5_SW_jjP12ihipStream_tbEUlT_E2_NS1_11comp_targetILNS1_3genE8ELNS1_11target_archE1030ELNS1_3gpuE2ELNS1_3repE0EEENS1_30default_config_static_selectorELNS0_4arch9wavefront6targetE1EEEvSK_
	.p2align	8
	.type	_ZN7rocprim17ROCPRIM_400000_NS6detail17trampoline_kernelINS0_14default_configENS1_36segmented_radix_sort_config_selectorIalEEZNS1_25segmented_radix_sort_implIS3_Lb0EPKaPaPKlPlN2at6native12_GLOBAL__N_18offset_tEEE10hipError_tPvRmT1_PNSt15iterator_traitsISK_E10value_typeET2_T3_PNSL_ISQ_E10value_typeET4_jRbjT5_SW_jjP12ihipStream_tbEUlT_E2_NS1_11comp_targetILNS1_3genE8ELNS1_11target_archE1030ELNS1_3gpuE2ELNS1_3repE0EEENS1_30default_config_static_selectorELNS0_4arch9wavefront6targetE1EEEvSK_,@function
_ZN7rocprim17ROCPRIM_400000_NS6detail17trampoline_kernelINS0_14default_configENS1_36segmented_radix_sort_config_selectorIalEEZNS1_25segmented_radix_sort_implIS3_Lb0EPKaPaPKlPlN2at6native12_GLOBAL__N_18offset_tEEE10hipError_tPvRmT1_PNSt15iterator_traitsISK_E10value_typeET2_T3_PNSL_ISQ_E10value_typeET4_jRbjT5_SW_jjP12ihipStream_tbEUlT_E2_NS1_11comp_targetILNS1_3genE8ELNS1_11target_archE1030ELNS1_3gpuE2ELNS1_3repE0EEENS1_30default_config_static_selectorELNS0_4arch9wavefront6targetE1EEEvSK_: ; @_ZN7rocprim17ROCPRIM_400000_NS6detail17trampoline_kernelINS0_14default_configENS1_36segmented_radix_sort_config_selectorIalEEZNS1_25segmented_radix_sort_implIS3_Lb0EPKaPaPKlPlN2at6native12_GLOBAL__N_18offset_tEEE10hipError_tPvRmT1_PNSt15iterator_traitsISK_E10value_typeET2_T3_PNSL_ISQ_E10value_typeET4_jRbjT5_SW_jjP12ihipStream_tbEUlT_E2_NS1_11comp_targetILNS1_3genE8ELNS1_11target_archE1030ELNS1_3gpuE2ELNS1_3repE0EEENS1_30default_config_static_selectorELNS0_4arch9wavefront6targetE1EEEvSK_
; %bb.0:
	.section	.rodata,"a",@progbits
	.p2align	6, 0x0
	.amdhsa_kernel _ZN7rocprim17ROCPRIM_400000_NS6detail17trampoline_kernelINS0_14default_configENS1_36segmented_radix_sort_config_selectorIalEEZNS1_25segmented_radix_sort_implIS3_Lb0EPKaPaPKlPlN2at6native12_GLOBAL__N_18offset_tEEE10hipError_tPvRmT1_PNSt15iterator_traitsISK_E10value_typeET2_T3_PNSL_ISQ_E10value_typeET4_jRbjT5_SW_jjP12ihipStream_tbEUlT_E2_NS1_11comp_targetILNS1_3genE8ELNS1_11target_archE1030ELNS1_3gpuE2ELNS1_3repE0EEENS1_30default_config_static_selectorELNS0_4arch9wavefront6targetE1EEEvSK_
		.amdhsa_group_segment_fixed_size 0
		.amdhsa_private_segment_fixed_size 0
		.amdhsa_kernarg_size 80
		.amdhsa_user_sgpr_count 6
		.amdhsa_user_sgpr_private_segment_buffer 1
		.amdhsa_user_sgpr_dispatch_ptr 0
		.amdhsa_user_sgpr_queue_ptr 0
		.amdhsa_user_sgpr_kernarg_segment_ptr 1
		.amdhsa_user_sgpr_dispatch_id 0
		.amdhsa_user_sgpr_flat_scratch_init 0
		.amdhsa_user_sgpr_kernarg_preload_length 0
		.amdhsa_user_sgpr_kernarg_preload_offset 0
		.amdhsa_user_sgpr_private_segment_size 0
		.amdhsa_uses_dynamic_stack 0
		.amdhsa_system_sgpr_private_segment_wavefront_offset 0
		.amdhsa_system_sgpr_workgroup_id_x 1
		.amdhsa_system_sgpr_workgroup_id_y 0
		.amdhsa_system_sgpr_workgroup_id_z 0
		.amdhsa_system_sgpr_workgroup_info 0
		.amdhsa_system_vgpr_workitem_id 0
		.amdhsa_next_free_vgpr 1
		.amdhsa_next_free_sgpr 0
		.amdhsa_accum_offset 4
		.amdhsa_reserve_vcc 0
		.amdhsa_reserve_flat_scratch 0
		.amdhsa_float_round_mode_32 0
		.amdhsa_float_round_mode_16_64 0
		.amdhsa_float_denorm_mode_32 3
		.amdhsa_float_denorm_mode_16_64 3
		.amdhsa_dx10_clamp 1
		.amdhsa_ieee_mode 1
		.amdhsa_fp16_overflow 0
		.amdhsa_tg_split 0
		.amdhsa_exception_fp_ieee_invalid_op 0
		.amdhsa_exception_fp_denorm_src 0
		.amdhsa_exception_fp_ieee_div_zero 0
		.amdhsa_exception_fp_ieee_overflow 0
		.amdhsa_exception_fp_ieee_underflow 0
		.amdhsa_exception_fp_ieee_inexact 0
		.amdhsa_exception_int_div_zero 0
	.end_amdhsa_kernel
	.section	.text._ZN7rocprim17ROCPRIM_400000_NS6detail17trampoline_kernelINS0_14default_configENS1_36segmented_radix_sort_config_selectorIalEEZNS1_25segmented_radix_sort_implIS3_Lb0EPKaPaPKlPlN2at6native12_GLOBAL__N_18offset_tEEE10hipError_tPvRmT1_PNSt15iterator_traitsISK_E10value_typeET2_T3_PNSL_ISQ_E10value_typeET4_jRbjT5_SW_jjP12ihipStream_tbEUlT_E2_NS1_11comp_targetILNS1_3genE8ELNS1_11target_archE1030ELNS1_3gpuE2ELNS1_3repE0EEENS1_30default_config_static_selectorELNS0_4arch9wavefront6targetE1EEEvSK_,"axG",@progbits,_ZN7rocprim17ROCPRIM_400000_NS6detail17trampoline_kernelINS0_14default_configENS1_36segmented_radix_sort_config_selectorIalEEZNS1_25segmented_radix_sort_implIS3_Lb0EPKaPaPKlPlN2at6native12_GLOBAL__N_18offset_tEEE10hipError_tPvRmT1_PNSt15iterator_traitsISK_E10value_typeET2_T3_PNSL_ISQ_E10value_typeET4_jRbjT5_SW_jjP12ihipStream_tbEUlT_E2_NS1_11comp_targetILNS1_3genE8ELNS1_11target_archE1030ELNS1_3gpuE2ELNS1_3repE0EEENS1_30default_config_static_selectorELNS0_4arch9wavefront6targetE1EEEvSK_,comdat
.Lfunc_end431:
	.size	_ZN7rocprim17ROCPRIM_400000_NS6detail17trampoline_kernelINS0_14default_configENS1_36segmented_radix_sort_config_selectorIalEEZNS1_25segmented_radix_sort_implIS3_Lb0EPKaPaPKlPlN2at6native12_GLOBAL__N_18offset_tEEE10hipError_tPvRmT1_PNSt15iterator_traitsISK_E10value_typeET2_T3_PNSL_ISQ_E10value_typeET4_jRbjT5_SW_jjP12ihipStream_tbEUlT_E2_NS1_11comp_targetILNS1_3genE8ELNS1_11target_archE1030ELNS1_3gpuE2ELNS1_3repE0EEENS1_30default_config_static_selectorELNS0_4arch9wavefront6targetE1EEEvSK_, .Lfunc_end431-_ZN7rocprim17ROCPRIM_400000_NS6detail17trampoline_kernelINS0_14default_configENS1_36segmented_radix_sort_config_selectorIalEEZNS1_25segmented_radix_sort_implIS3_Lb0EPKaPaPKlPlN2at6native12_GLOBAL__N_18offset_tEEE10hipError_tPvRmT1_PNSt15iterator_traitsISK_E10value_typeET2_T3_PNSL_ISQ_E10value_typeET4_jRbjT5_SW_jjP12ihipStream_tbEUlT_E2_NS1_11comp_targetILNS1_3genE8ELNS1_11target_archE1030ELNS1_3gpuE2ELNS1_3repE0EEENS1_30default_config_static_selectorELNS0_4arch9wavefront6targetE1EEEvSK_
                                        ; -- End function
	.section	.AMDGPU.csdata,"",@progbits
; Kernel info:
; codeLenInByte = 0
; NumSgprs: 4
; NumVgprs: 0
; NumAgprs: 0
; TotalNumVgprs: 0
; ScratchSize: 0
; MemoryBound: 0
; FloatMode: 240
; IeeeMode: 1
; LDSByteSize: 0 bytes/workgroup (compile time only)
; SGPRBlocks: 0
; VGPRBlocks: 0
; NumSGPRsForWavesPerEU: 4
; NumVGPRsForWavesPerEU: 1
; AccumOffset: 4
; Occupancy: 8
; WaveLimiterHint : 0
; COMPUTE_PGM_RSRC2:SCRATCH_EN: 0
; COMPUTE_PGM_RSRC2:USER_SGPR: 6
; COMPUTE_PGM_RSRC2:TRAP_HANDLER: 0
; COMPUTE_PGM_RSRC2:TGID_X_EN: 1
; COMPUTE_PGM_RSRC2:TGID_Y_EN: 0
; COMPUTE_PGM_RSRC2:TGID_Z_EN: 0
; COMPUTE_PGM_RSRC2:TIDIG_COMP_CNT: 0
; COMPUTE_PGM_RSRC3_GFX90A:ACCUM_OFFSET: 0
; COMPUTE_PGM_RSRC3_GFX90A:TG_SPLIT: 0
	.section	.text._ZN2at6native12_GLOBAL__N_123sort_postprocess_kernelIiEEvPKT_PS3_PlPK15HIP_vector_typeIiLj2EEii,"axG",@progbits,_ZN2at6native12_GLOBAL__N_123sort_postprocess_kernelIiEEvPKT_PS3_PlPK15HIP_vector_typeIiLj2EEii,comdat
	.globl	_ZN2at6native12_GLOBAL__N_123sort_postprocess_kernelIiEEvPKT_PS3_PlPK15HIP_vector_typeIiLj2EEii ; -- Begin function _ZN2at6native12_GLOBAL__N_123sort_postprocess_kernelIiEEvPKT_PS3_PlPK15HIP_vector_typeIiLj2EEii
	.p2align	8
	.type	_ZN2at6native12_GLOBAL__N_123sort_postprocess_kernelIiEEvPKT_PS3_PlPK15HIP_vector_typeIiLj2EEii,@function
_ZN2at6native12_GLOBAL__N_123sort_postprocess_kernelIiEEvPKT_PS3_PlPK15HIP_vector_typeIiLj2EEii: ; @_ZN2at6native12_GLOBAL__N_123sort_postprocess_kernelIiEEvPKT_PS3_PlPK15HIP_vector_typeIiLj2EEii
; %bb.0:
	s_load_dword s0, s[4:5], 0x34
	s_load_dwordx2 s[8:9], s[4:5], 0x20
	s_add_u32 s2, s4, 40
	s_addc_u32 s3, s5, 0
	v_mov_b32_e32 v1, 0
	s_waitcnt lgkmcnt(0)
	s_and_b32 s7, s0, 0xffff
	v_mov_b32_e32 v2, s6
	v_mad_u64_u32 v[0:1], s[0:1], s7, v2, v[0:1]
	s_mul_i32 s0, s9, s8
	s_ashr_i32 s1, s0, 31
	v_cmp_gt_i64_e32 vcc, s[0:1], v[0:1]
	s_and_saveexec_b64 s[10:11], vcc
	s_cbranch_execz .LBB432_3
; %bb.1:
	s_abs_i32 s6, s9
	v_cvt_f32_u32_e32 v2, s6
	s_load_dwordx8 s[8:15], s[4:5], 0x0
	s_load_dword s16, s[2:3], 0x0
	s_sub_i32 s17, 0, s6
	s_mov_b32 s5, 0
	v_rcp_iflag_f32_e32 v2, v2
	s_mov_b64 s[2:3], 0
	s_waitcnt lgkmcnt(0)
	s_mul_i32 s4, s16, s7
	v_mov_b32_e32 v3, s11
	v_mul_f32_e32 v2, 0x4f7ffffe, v2
	v_cvt_u32_f32_e32 v5, v2
	v_mov_b32_e32 v2, s9
	v_mov_b32_e32 v4, s13
	;; [unrolled: 1-line block ×3, first 2 shown]
	v_mul_lo_u32 v6, s17, v5
	v_mul_hi_u32 v6, v5, v6
	v_add_u32_e32 v5, v5, v6
	v_mov_b32_e32 v6, s15
.LBB432_2:                              ; =>This Inner Loop Header: Depth=1
	v_sub_u32_e32 v9, 0, v0
	v_max_i32_e32 v9, v0, v9
	v_mul_hi_u32 v11, v9, v5
	v_mul_lo_u32 v11, v11, s6
	v_sub_u32_e32 v9, v9, v11
	v_subrev_u32_e32 v11, s6, v9
	v_cmp_le_u32_e32 vcc, s6, v9
	v_cndmask_b32_e32 v9, v9, v11, vcc
	v_subrev_u32_e32 v11, s6, v9
	v_cmp_le_u32_e32 vcc, s6, v9
	v_ashrrev_i32_e32 v8, 31, v0
	v_cndmask_b32_e32 v9, v9, v11, vcc
	v_add_u32_e32 v10, v0, v8
	v_xor_b32_e32 v9, v9, v8
	v_sub_u32_e32 v10, v10, v9
	v_ashrrev_i32_e32 v11, 31, v10
	v_sub_u32_e32 v8, v9, v8
	v_lshlrev_b64 v[12:13], 3, v[10:11]
	v_ashrrev_i32_e32 v9, 31, v8
	v_add_co_u32_e32 v16, vcc, s14, v12
	v_lshlrev_b64 v[14:15], 3, v[8:9]
	v_addc_co_u32_e32 v17, vcc, v6, v13, vcc
	v_add_co_u32_e32 v16, vcc, v16, v14
	v_addc_co_u32_e32 v17, vcc, v17, v15, vcc
	global_load_dword v16, v[16:17], off offset:4
	v_lshlrev_b64 v[10:11], 2, v[10:11]
	v_add_co_u32_e32 v20, vcc, s8, v10
	v_addc_co_u32_e32 v21, vcc, v2, v11, vcc
	v_lshlrev_b64 v[8:9], 2, v[8:9]
	s_waitcnt vmcnt(0)
	v_ashrrev_i32_e32 v17, 31, v16
	v_lshlrev_b64 v[18:19], 2, v[16:17]
	v_add_co_u32_e32 v18, vcc, v20, v18
	v_addc_co_u32_e32 v19, vcc, v21, v19, vcc
	global_load_dword v18, v[18:19], off
	v_add_co_u32_e32 v0, vcc, s4, v0
	v_addc_co_u32_e32 v1, vcc, v1, v7, vcc
	v_cmp_le_i64_e32 vcc, s[0:1], v[0:1]
	s_or_b64 s[2:3], vcc, s[2:3]
	v_add_co_u32_e32 v19, vcc, s10, v10
	v_addc_co_u32_e32 v20, vcc, v3, v11, vcc
	v_add_co_u32_e32 v10, vcc, s12, v12
	v_addc_co_u32_e32 v11, vcc, v4, v13, vcc
	;; [unrolled: 2-line block ×4, first 2 shown]
	global_store_dwordx2 v[10:11], v[16:17], off
	s_waitcnt vmcnt(1)
	global_store_dword v[8:9], v18, off
	s_andn2_b64 exec, exec, s[2:3]
	s_cbranch_execnz .LBB432_2
.LBB432_3:
	s_endpgm
	.section	.rodata,"a",@progbits
	.p2align	6, 0x0
	.amdhsa_kernel _ZN2at6native12_GLOBAL__N_123sort_postprocess_kernelIiEEvPKT_PS3_PlPK15HIP_vector_typeIiLj2EEii
		.amdhsa_group_segment_fixed_size 0
		.amdhsa_private_segment_fixed_size 0
		.amdhsa_kernarg_size 296
		.amdhsa_user_sgpr_count 6
		.amdhsa_user_sgpr_private_segment_buffer 1
		.amdhsa_user_sgpr_dispatch_ptr 0
		.amdhsa_user_sgpr_queue_ptr 0
		.amdhsa_user_sgpr_kernarg_segment_ptr 1
		.amdhsa_user_sgpr_dispatch_id 0
		.amdhsa_user_sgpr_flat_scratch_init 0
		.amdhsa_user_sgpr_kernarg_preload_length 0
		.amdhsa_user_sgpr_kernarg_preload_offset 0
		.amdhsa_user_sgpr_private_segment_size 0
		.amdhsa_uses_dynamic_stack 0
		.amdhsa_system_sgpr_private_segment_wavefront_offset 0
		.amdhsa_system_sgpr_workgroup_id_x 1
		.amdhsa_system_sgpr_workgroup_id_y 0
		.amdhsa_system_sgpr_workgroup_id_z 0
		.amdhsa_system_sgpr_workgroup_info 0
		.amdhsa_system_vgpr_workitem_id 0
		.amdhsa_next_free_vgpr 22
		.amdhsa_next_free_sgpr 18
		.amdhsa_accum_offset 24
		.amdhsa_reserve_vcc 1
		.amdhsa_reserve_flat_scratch 0
		.amdhsa_float_round_mode_32 0
		.amdhsa_float_round_mode_16_64 0
		.amdhsa_float_denorm_mode_32 3
		.amdhsa_float_denorm_mode_16_64 3
		.amdhsa_dx10_clamp 1
		.amdhsa_ieee_mode 1
		.amdhsa_fp16_overflow 0
		.amdhsa_tg_split 0
		.amdhsa_exception_fp_ieee_invalid_op 0
		.amdhsa_exception_fp_denorm_src 0
		.amdhsa_exception_fp_ieee_div_zero 0
		.amdhsa_exception_fp_ieee_overflow 0
		.amdhsa_exception_fp_ieee_underflow 0
		.amdhsa_exception_fp_ieee_inexact 0
		.amdhsa_exception_int_div_zero 0
	.end_amdhsa_kernel
	.section	.text._ZN2at6native12_GLOBAL__N_123sort_postprocess_kernelIiEEvPKT_PS3_PlPK15HIP_vector_typeIiLj2EEii,"axG",@progbits,_ZN2at6native12_GLOBAL__N_123sort_postprocess_kernelIiEEvPKT_PS3_PlPK15HIP_vector_typeIiLj2EEii,comdat
.Lfunc_end432:
	.size	_ZN2at6native12_GLOBAL__N_123sort_postprocess_kernelIiEEvPKT_PS3_PlPK15HIP_vector_typeIiLj2EEii, .Lfunc_end432-_ZN2at6native12_GLOBAL__N_123sort_postprocess_kernelIiEEvPKT_PS3_PlPK15HIP_vector_typeIiLj2EEii
                                        ; -- End function
	.section	.AMDGPU.csdata,"",@progbits
; Kernel info:
; codeLenInByte = 428
; NumSgprs: 22
; NumVgprs: 22
; NumAgprs: 0
; TotalNumVgprs: 22
; ScratchSize: 0
; MemoryBound: 0
; FloatMode: 240
; IeeeMode: 1
; LDSByteSize: 0 bytes/workgroup (compile time only)
; SGPRBlocks: 2
; VGPRBlocks: 2
; NumSGPRsForWavesPerEU: 22
; NumVGPRsForWavesPerEU: 22
; AccumOffset: 24
; Occupancy: 8
; WaveLimiterHint : 1
; COMPUTE_PGM_RSRC2:SCRATCH_EN: 0
; COMPUTE_PGM_RSRC2:USER_SGPR: 6
; COMPUTE_PGM_RSRC2:TRAP_HANDLER: 0
; COMPUTE_PGM_RSRC2:TGID_X_EN: 1
; COMPUTE_PGM_RSRC2:TGID_Y_EN: 0
; COMPUTE_PGM_RSRC2:TGID_Z_EN: 0
; COMPUTE_PGM_RSRC2:TIDIG_COMP_CNT: 0
; COMPUTE_PGM_RSRC3_GFX90A:ACCUM_OFFSET: 5
; COMPUTE_PGM_RSRC3_GFX90A:TG_SPLIT: 0
	.section	.text._ZN7rocprim17ROCPRIM_400000_NS6detail17trampoline_kernelINS0_13select_configILj256ELj13ELNS0_17block_load_methodE3ELS4_3ELS4_3ELNS0_20block_scan_algorithmE0ELj4294967295EEENS1_25partition_config_selectorILNS1_17partition_subalgoE4EjNS0_10empty_typeEbEEZZNS1_14partition_implILS8_4ELb0ES6_15HIP_vector_typeIjLj2EENS0_17counting_iteratorIjlEEPS9_SG_NS0_5tupleIJPjSI_NS0_16reverse_iteratorISI_EEEEENSH_IJSG_SG_SG_EEES9_SI_JZNS1_25segmented_radix_sort_implINS0_14default_configELb1EPKiPiPKlPlN2at6native12_GLOBAL__N_18offset_tEEE10hipError_tPvRmT1_PNSt15iterator_traitsIS12_E10value_typeET2_T3_PNS13_IS18_E10value_typeET4_jRbjT5_S1E_jjP12ihipStream_tbEUljE_ZNSN_ISO_Lb1ESQ_SR_ST_SU_SY_EESZ_S10_S11_S12_S16_S17_S18_S1B_S1C_jS1D_jS1E_S1E_jjS1G_bEUljE0_EEESZ_S10_S11_S18_S1C_S1E_T6_T7_T9_mT8_S1G_bDpT10_ENKUlT_T0_E_clISt17integral_constantIbLb0EES1U_EEDaS1P_S1Q_EUlS1P_E_NS1_11comp_targetILNS1_3genE0ELNS1_11target_archE4294967295ELNS1_3gpuE0ELNS1_3repE0EEENS1_30default_config_static_selectorELNS0_4arch9wavefront6targetE1EEEvS12_,"axG",@progbits,_ZN7rocprim17ROCPRIM_400000_NS6detail17trampoline_kernelINS0_13select_configILj256ELj13ELNS0_17block_load_methodE3ELS4_3ELS4_3ELNS0_20block_scan_algorithmE0ELj4294967295EEENS1_25partition_config_selectorILNS1_17partition_subalgoE4EjNS0_10empty_typeEbEEZZNS1_14partition_implILS8_4ELb0ES6_15HIP_vector_typeIjLj2EENS0_17counting_iteratorIjlEEPS9_SG_NS0_5tupleIJPjSI_NS0_16reverse_iteratorISI_EEEEENSH_IJSG_SG_SG_EEES9_SI_JZNS1_25segmented_radix_sort_implINS0_14default_configELb1EPKiPiPKlPlN2at6native12_GLOBAL__N_18offset_tEEE10hipError_tPvRmT1_PNSt15iterator_traitsIS12_E10value_typeET2_T3_PNS13_IS18_E10value_typeET4_jRbjT5_S1E_jjP12ihipStream_tbEUljE_ZNSN_ISO_Lb1ESQ_SR_ST_SU_SY_EESZ_S10_S11_S12_S16_S17_S18_S1B_S1C_jS1D_jS1E_S1E_jjS1G_bEUljE0_EEESZ_S10_S11_S18_S1C_S1E_T6_T7_T9_mT8_S1G_bDpT10_ENKUlT_T0_E_clISt17integral_constantIbLb0EES1U_EEDaS1P_S1Q_EUlS1P_E_NS1_11comp_targetILNS1_3genE0ELNS1_11target_archE4294967295ELNS1_3gpuE0ELNS1_3repE0EEENS1_30default_config_static_selectorELNS0_4arch9wavefront6targetE1EEEvS12_,comdat
	.globl	_ZN7rocprim17ROCPRIM_400000_NS6detail17trampoline_kernelINS0_13select_configILj256ELj13ELNS0_17block_load_methodE3ELS4_3ELS4_3ELNS0_20block_scan_algorithmE0ELj4294967295EEENS1_25partition_config_selectorILNS1_17partition_subalgoE4EjNS0_10empty_typeEbEEZZNS1_14partition_implILS8_4ELb0ES6_15HIP_vector_typeIjLj2EENS0_17counting_iteratorIjlEEPS9_SG_NS0_5tupleIJPjSI_NS0_16reverse_iteratorISI_EEEEENSH_IJSG_SG_SG_EEES9_SI_JZNS1_25segmented_radix_sort_implINS0_14default_configELb1EPKiPiPKlPlN2at6native12_GLOBAL__N_18offset_tEEE10hipError_tPvRmT1_PNSt15iterator_traitsIS12_E10value_typeET2_T3_PNS13_IS18_E10value_typeET4_jRbjT5_S1E_jjP12ihipStream_tbEUljE_ZNSN_ISO_Lb1ESQ_SR_ST_SU_SY_EESZ_S10_S11_S12_S16_S17_S18_S1B_S1C_jS1D_jS1E_S1E_jjS1G_bEUljE0_EEESZ_S10_S11_S18_S1C_S1E_T6_T7_T9_mT8_S1G_bDpT10_ENKUlT_T0_E_clISt17integral_constantIbLb0EES1U_EEDaS1P_S1Q_EUlS1P_E_NS1_11comp_targetILNS1_3genE0ELNS1_11target_archE4294967295ELNS1_3gpuE0ELNS1_3repE0EEENS1_30default_config_static_selectorELNS0_4arch9wavefront6targetE1EEEvS12_ ; -- Begin function _ZN7rocprim17ROCPRIM_400000_NS6detail17trampoline_kernelINS0_13select_configILj256ELj13ELNS0_17block_load_methodE3ELS4_3ELS4_3ELNS0_20block_scan_algorithmE0ELj4294967295EEENS1_25partition_config_selectorILNS1_17partition_subalgoE4EjNS0_10empty_typeEbEEZZNS1_14partition_implILS8_4ELb0ES6_15HIP_vector_typeIjLj2EENS0_17counting_iteratorIjlEEPS9_SG_NS0_5tupleIJPjSI_NS0_16reverse_iteratorISI_EEEEENSH_IJSG_SG_SG_EEES9_SI_JZNS1_25segmented_radix_sort_implINS0_14default_configELb1EPKiPiPKlPlN2at6native12_GLOBAL__N_18offset_tEEE10hipError_tPvRmT1_PNSt15iterator_traitsIS12_E10value_typeET2_T3_PNS13_IS18_E10value_typeET4_jRbjT5_S1E_jjP12ihipStream_tbEUljE_ZNSN_ISO_Lb1ESQ_SR_ST_SU_SY_EESZ_S10_S11_S12_S16_S17_S18_S1B_S1C_jS1D_jS1E_S1E_jjS1G_bEUljE0_EEESZ_S10_S11_S18_S1C_S1E_T6_T7_T9_mT8_S1G_bDpT10_ENKUlT_T0_E_clISt17integral_constantIbLb0EES1U_EEDaS1P_S1Q_EUlS1P_E_NS1_11comp_targetILNS1_3genE0ELNS1_11target_archE4294967295ELNS1_3gpuE0ELNS1_3repE0EEENS1_30default_config_static_selectorELNS0_4arch9wavefront6targetE1EEEvS12_
	.p2align	8
	.type	_ZN7rocprim17ROCPRIM_400000_NS6detail17trampoline_kernelINS0_13select_configILj256ELj13ELNS0_17block_load_methodE3ELS4_3ELS4_3ELNS0_20block_scan_algorithmE0ELj4294967295EEENS1_25partition_config_selectorILNS1_17partition_subalgoE4EjNS0_10empty_typeEbEEZZNS1_14partition_implILS8_4ELb0ES6_15HIP_vector_typeIjLj2EENS0_17counting_iteratorIjlEEPS9_SG_NS0_5tupleIJPjSI_NS0_16reverse_iteratorISI_EEEEENSH_IJSG_SG_SG_EEES9_SI_JZNS1_25segmented_radix_sort_implINS0_14default_configELb1EPKiPiPKlPlN2at6native12_GLOBAL__N_18offset_tEEE10hipError_tPvRmT1_PNSt15iterator_traitsIS12_E10value_typeET2_T3_PNS13_IS18_E10value_typeET4_jRbjT5_S1E_jjP12ihipStream_tbEUljE_ZNSN_ISO_Lb1ESQ_SR_ST_SU_SY_EESZ_S10_S11_S12_S16_S17_S18_S1B_S1C_jS1D_jS1E_S1E_jjS1G_bEUljE0_EEESZ_S10_S11_S18_S1C_S1E_T6_T7_T9_mT8_S1G_bDpT10_ENKUlT_T0_E_clISt17integral_constantIbLb0EES1U_EEDaS1P_S1Q_EUlS1P_E_NS1_11comp_targetILNS1_3genE0ELNS1_11target_archE4294967295ELNS1_3gpuE0ELNS1_3repE0EEENS1_30default_config_static_selectorELNS0_4arch9wavefront6targetE1EEEvS12_,@function
_ZN7rocprim17ROCPRIM_400000_NS6detail17trampoline_kernelINS0_13select_configILj256ELj13ELNS0_17block_load_methodE3ELS4_3ELS4_3ELNS0_20block_scan_algorithmE0ELj4294967295EEENS1_25partition_config_selectorILNS1_17partition_subalgoE4EjNS0_10empty_typeEbEEZZNS1_14partition_implILS8_4ELb0ES6_15HIP_vector_typeIjLj2EENS0_17counting_iteratorIjlEEPS9_SG_NS0_5tupleIJPjSI_NS0_16reverse_iteratorISI_EEEEENSH_IJSG_SG_SG_EEES9_SI_JZNS1_25segmented_radix_sort_implINS0_14default_configELb1EPKiPiPKlPlN2at6native12_GLOBAL__N_18offset_tEEE10hipError_tPvRmT1_PNSt15iterator_traitsIS12_E10value_typeET2_T3_PNS13_IS18_E10value_typeET4_jRbjT5_S1E_jjP12ihipStream_tbEUljE_ZNSN_ISO_Lb1ESQ_SR_ST_SU_SY_EESZ_S10_S11_S12_S16_S17_S18_S1B_S1C_jS1D_jS1E_S1E_jjS1G_bEUljE0_EEESZ_S10_S11_S18_S1C_S1E_T6_T7_T9_mT8_S1G_bDpT10_ENKUlT_T0_E_clISt17integral_constantIbLb0EES1U_EEDaS1P_S1Q_EUlS1P_E_NS1_11comp_targetILNS1_3genE0ELNS1_11target_archE4294967295ELNS1_3gpuE0ELNS1_3repE0EEENS1_30default_config_static_selectorELNS0_4arch9wavefront6targetE1EEEvS12_: ; @_ZN7rocprim17ROCPRIM_400000_NS6detail17trampoline_kernelINS0_13select_configILj256ELj13ELNS0_17block_load_methodE3ELS4_3ELS4_3ELNS0_20block_scan_algorithmE0ELj4294967295EEENS1_25partition_config_selectorILNS1_17partition_subalgoE4EjNS0_10empty_typeEbEEZZNS1_14partition_implILS8_4ELb0ES6_15HIP_vector_typeIjLj2EENS0_17counting_iteratorIjlEEPS9_SG_NS0_5tupleIJPjSI_NS0_16reverse_iteratorISI_EEEEENSH_IJSG_SG_SG_EEES9_SI_JZNS1_25segmented_radix_sort_implINS0_14default_configELb1EPKiPiPKlPlN2at6native12_GLOBAL__N_18offset_tEEE10hipError_tPvRmT1_PNSt15iterator_traitsIS12_E10value_typeET2_T3_PNS13_IS18_E10value_typeET4_jRbjT5_S1E_jjP12ihipStream_tbEUljE_ZNSN_ISO_Lb1ESQ_SR_ST_SU_SY_EESZ_S10_S11_S12_S16_S17_S18_S1B_S1C_jS1D_jS1E_S1E_jjS1G_bEUljE0_EEESZ_S10_S11_S18_S1C_S1E_T6_T7_T9_mT8_S1G_bDpT10_ENKUlT_T0_E_clISt17integral_constantIbLb0EES1U_EEDaS1P_S1Q_EUlS1P_E_NS1_11comp_targetILNS1_3genE0ELNS1_11target_archE4294967295ELNS1_3gpuE0ELNS1_3repE0EEENS1_30default_config_static_selectorELNS0_4arch9wavefront6targetE1EEEvS12_
; %bb.0:
	.section	.rodata,"a",@progbits
	.p2align	6, 0x0
	.amdhsa_kernel _ZN7rocprim17ROCPRIM_400000_NS6detail17trampoline_kernelINS0_13select_configILj256ELj13ELNS0_17block_load_methodE3ELS4_3ELS4_3ELNS0_20block_scan_algorithmE0ELj4294967295EEENS1_25partition_config_selectorILNS1_17partition_subalgoE4EjNS0_10empty_typeEbEEZZNS1_14partition_implILS8_4ELb0ES6_15HIP_vector_typeIjLj2EENS0_17counting_iteratorIjlEEPS9_SG_NS0_5tupleIJPjSI_NS0_16reverse_iteratorISI_EEEEENSH_IJSG_SG_SG_EEES9_SI_JZNS1_25segmented_radix_sort_implINS0_14default_configELb1EPKiPiPKlPlN2at6native12_GLOBAL__N_18offset_tEEE10hipError_tPvRmT1_PNSt15iterator_traitsIS12_E10value_typeET2_T3_PNS13_IS18_E10value_typeET4_jRbjT5_S1E_jjP12ihipStream_tbEUljE_ZNSN_ISO_Lb1ESQ_SR_ST_SU_SY_EESZ_S10_S11_S12_S16_S17_S18_S1B_S1C_jS1D_jS1E_S1E_jjS1G_bEUljE0_EEESZ_S10_S11_S18_S1C_S1E_T6_T7_T9_mT8_S1G_bDpT10_ENKUlT_T0_E_clISt17integral_constantIbLb0EES1U_EEDaS1P_S1Q_EUlS1P_E_NS1_11comp_targetILNS1_3genE0ELNS1_11target_archE4294967295ELNS1_3gpuE0ELNS1_3repE0EEENS1_30default_config_static_selectorELNS0_4arch9wavefront6targetE1EEEvS12_
		.amdhsa_group_segment_fixed_size 0
		.amdhsa_private_segment_fixed_size 0
		.amdhsa_kernarg_size 176
		.amdhsa_user_sgpr_count 6
		.amdhsa_user_sgpr_private_segment_buffer 1
		.amdhsa_user_sgpr_dispatch_ptr 0
		.amdhsa_user_sgpr_queue_ptr 0
		.amdhsa_user_sgpr_kernarg_segment_ptr 1
		.amdhsa_user_sgpr_dispatch_id 0
		.amdhsa_user_sgpr_flat_scratch_init 0
		.amdhsa_user_sgpr_kernarg_preload_length 0
		.amdhsa_user_sgpr_kernarg_preload_offset 0
		.amdhsa_user_sgpr_private_segment_size 0
		.amdhsa_uses_dynamic_stack 0
		.amdhsa_system_sgpr_private_segment_wavefront_offset 0
		.amdhsa_system_sgpr_workgroup_id_x 1
		.amdhsa_system_sgpr_workgroup_id_y 0
		.amdhsa_system_sgpr_workgroup_id_z 0
		.amdhsa_system_sgpr_workgroup_info 0
		.amdhsa_system_vgpr_workitem_id 0
		.amdhsa_next_free_vgpr 1
		.amdhsa_next_free_sgpr 0
		.amdhsa_accum_offset 4
		.amdhsa_reserve_vcc 0
		.amdhsa_reserve_flat_scratch 0
		.amdhsa_float_round_mode_32 0
		.amdhsa_float_round_mode_16_64 0
		.amdhsa_float_denorm_mode_32 3
		.amdhsa_float_denorm_mode_16_64 3
		.amdhsa_dx10_clamp 1
		.amdhsa_ieee_mode 1
		.amdhsa_fp16_overflow 0
		.amdhsa_tg_split 0
		.amdhsa_exception_fp_ieee_invalid_op 0
		.amdhsa_exception_fp_denorm_src 0
		.amdhsa_exception_fp_ieee_div_zero 0
		.amdhsa_exception_fp_ieee_overflow 0
		.amdhsa_exception_fp_ieee_underflow 0
		.amdhsa_exception_fp_ieee_inexact 0
		.amdhsa_exception_int_div_zero 0
	.end_amdhsa_kernel
	.section	.text._ZN7rocprim17ROCPRIM_400000_NS6detail17trampoline_kernelINS0_13select_configILj256ELj13ELNS0_17block_load_methodE3ELS4_3ELS4_3ELNS0_20block_scan_algorithmE0ELj4294967295EEENS1_25partition_config_selectorILNS1_17partition_subalgoE4EjNS0_10empty_typeEbEEZZNS1_14partition_implILS8_4ELb0ES6_15HIP_vector_typeIjLj2EENS0_17counting_iteratorIjlEEPS9_SG_NS0_5tupleIJPjSI_NS0_16reverse_iteratorISI_EEEEENSH_IJSG_SG_SG_EEES9_SI_JZNS1_25segmented_radix_sort_implINS0_14default_configELb1EPKiPiPKlPlN2at6native12_GLOBAL__N_18offset_tEEE10hipError_tPvRmT1_PNSt15iterator_traitsIS12_E10value_typeET2_T3_PNS13_IS18_E10value_typeET4_jRbjT5_S1E_jjP12ihipStream_tbEUljE_ZNSN_ISO_Lb1ESQ_SR_ST_SU_SY_EESZ_S10_S11_S12_S16_S17_S18_S1B_S1C_jS1D_jS1E_S1E_jjS1G_bEUljE0_EEESZ_S10_S11_S18_S1C_S1E_T6_T7_T9_mT8_S1G_bDpT10_ENKUlT_T0_E_clISt17integral_constantIbLb0EES1U_EEDaS1P_S1Q_EUlS1P_E_NS1_11comp_targetILNS1_3genE0ELNS1_11target_archE4294967295ELNS1_3gpuE0ELNS1_3repE0EEENS1_30default_config_static_selectorELNS0_4arch9wavefront6targetE1EEEvS12_,"axG",@progbits,_ZN7rocprim17ROCPRIM_400000_NS6detail17trampoline_kernelINS0_13select_configILj256ELj13ELNS0_17block_load_methodE3ELS4_3ELS4_3ELNS0_20block_scan_algorithmE0ELj4294967295EEENS1_25partition_config_selectorILNS1_17partition_subalgoE4EjNS0_10empty_typeEbEEZZNS1_14partition_implILS8_4ELb0ES6_15HIP_vector_typeIjLj2EENS0_17counting_iteratorIjlEEPS9_SG_NS0_5tupleIJPjSI_NS0_16reverse_iteratorISI_EEEEENSH_IJSG_SG_SG_EEES9_SI_JZNS1_25segmented_radix_sort_implINS0_14default_configELb1EPKiPiPKlPlN2at6native12_GLOBAL__N_18offset_tEEE10hipError_tPvRmT1_PNSt15iterator_traitsIS12_E10value_typeET2_T3_PNS13_IS18_E10value_typeET4_jRbjT5_S1E_jjP12ihipStream_tbEUljE_ZNSN_ISO_Lb1ESQ_SR_ST_SU_SY_EESZ_S10_S11_S12_S16_S17_S18_S1B_S1C_jS1D_jS1E_S1E_jjS1G_bEUljE0_EEESZ_S10_S11_S18_S1C_S1E_T6_T7_T9_mT8_S1G_bDpT10_ENKUlT_T0_E_clISt17integral_constantIbLb0EES1U_EEDaS1P_S1Q_EUlS1P_E_NS1_11comp_targetILNS1_3genE0ELNS1_11target_archE4294967295ELNS1_3gpuE0ELNS1_3repE0EEENS1_30default_config_static_selectorELNS0_4arch9wavefront6targetE1EEEvS12_,comdat
.Lfunc_end433:
	.size	_ZN7rocprim17ROCPRIM_400000_NS6detail17trampoline_kernelINS0_13select_configILj256ELj13ELNS0_17block_load_methodE3ELS4_3ELS4_3ELNS0_20block_scan_algorithmE0ELj4294967295EEENS1_25partition_config_selectorILNS1_17partition_subalgoE4EjNS0_10empty_typeEbEEZZNS1_14partition_implILS8_4ELb0ES6_15HIP_vector_typeIjLj2EENS0_17counting_iteratorIjlEEPS9_SG_NS0_5tupleIJPjSI_NS0_16reverse_iteratorISI_EEEEENSH_IJSG_SG_SG_EEES9_SI_JZNS1_25segmented_radix_sort_implINS0_14default_configELb1EPKiPiPKlPlN2at6native12_GLOBAL__N_18offset_tEEE10hipError_tPvRmT1_PNSt15iterator_traitsIS12_E10value_typeET2_T3_PNS13_IS18_E10value_typeET4_jRbjT5_S1E_jjP12ihipStream_tbEUljE_ZNSN_ISO_Lb1ESQ_SR_ST_SU_SY_EESZ_S10_S11_S12_S16_S17_S18_S1B_S1C_jS1D_jS1E_S1E_jjS1G_bEUljE0_EEESZ_S10_S11_S18_S1C_S1E_T6_T7_T9_mT8_S1G_bDpT10_ENKUlT_T0_E_clISt17integral_constantIbLb0EES1U_EEDaS1P_S1Q_EUlS1P_E_NS1_11comp_targetILNS1_3genE0ELNS1_11target_archE4294967295ELNS1_3gpuE0ELNS1_3repE0EEENS1_30default_config_static_selectorELNS0_4arch9wavefront6targetE1EEEvS12_, .Lfunc_end433-_ZN7rocprim17ROCPRIM_400000_NS6detail17trampoline_kernelINS0_13select_configILj256ELj13ELNS0_17block_load_methodE3ELS4_3ELS4_3ELNS0_20block_scan_algorithmE0ELj4294967295EEENS1_25partition_config_selectorILNS1_17partition_subalgoE4EjNS0_10empty_typeEbEEZZNS1_14partition_implILS8_4ELb0ES6_15HIP_vector_typeIjLj2EENS0_17counting_iteratorIjlEEPS9_SG_NS0_5tupleIJPjSI_NS0_16reverse_iteratorISI_EEEEENSH_IJSG_SG_SG_EEES9_SI_JZNS1_25segmented_radix_sort_implINS0_14default_configELb1EPKiPiPKlPlN2at6native12_GLOBAL__N_18offset_tEEE10hipError_tPvRmT1_PNSt15iterator_traitsIS12_E10value_typeET2_T3_PNS13_IS18_E10value_typeET4_jRbjT5_S1E_jjP12ihipStream_tbEUljE_ZNSN_ISO_Lb1ESQ_SR_ST_SU_SY_EESZ_S10_S11_S12_S16_S17_S18_S1B_S1C_jS1D_jS1E_S1E_jjS1G_bEUljE0_EEESZ_S10_S11_S18_S1C_S1E_T6_T7_T9_mT8_S1G_bDpT10_ENKUlT_T0_E_clISt17integral_constantIbLb0EES1U_EEDaS1P_S1Q_EUlS1P_E_NS1_11comp_targetILNS1_3genE0ELNS1_11target_archE4294967295ELNS1_3gpuE0ELNS1_3repE0EEENS1_30default_config_static_selectorELNS0_4arch9wavefront6targetE1EEEvS12_
                                        ; -- End function
	.section	.AMDGPU.csdata,"",@progbits
; Kernel info:
; codeLenInByte = 0
; NumSgprs: 4
; NumVgprs: 0
; NumAgprs: 0
; TotalNumVgprs: 0
; ScratchSize: 0
; MemoryBound: 0
; FloatMode: 240
; IeeeMode: 1
; LDSByteSize: 0 bytes/workgroup (compile time only)
; SGPRBlocks: 0
; VGPRBlocks: 0
; NumSGPRsForWavesPerEU: 4
; NumVGPRsForWavesPerEU: 1
; AccumOffset: 4
; Occupancy: 8
; WaveLimiterHint : 0
; COMPUTE_PGM_RSRC2:SCRATCH_EN: 0
; COMPUTE_PGM_RSRC2:USER_SGPR: 6
; COMPUTE_PGM_RSRC2:TRAP_HANDLER: 0
; COMPUTE_PGM_RSRC2:TGID_X_EN: 1
; COMPUTE_PGM_RSRC2:TGID_Y_EN: 0
; COMPUTE_PGM_RSRC2:TGID_Z_EN: 0
; COMPUTE_PGM_RSRC2:TIDIG_COMP_CNT: 0
; COMPUTE_PGM_RSRC3_GFX90A:ACCUM_OFFSET: 0
; COMPUTE_PGM_RSRC3_GFX90A:TG_SPLIT: 0
	.section	.text._ZN7rocprim17ROCPRIM_400000_NS6detail17trampoline_kernelINS0_13select_configILj256ELj13ELNS0_17block_load_methodE3ELS4_3ELS4_3ELNS0_20block_scan_algorithmE0ELj4294967295EEENS1_25partition_config_selectorILNS1_17partition_subalgoE4EjNS0_10empty_typeEbEEZZNS1_14partition_implILS8_4ELb0ES6_15HIP_vector_typeIjLj2EENS0_17counting_iteratorIjlEEPS9_SG_NS0_5tupleIJPjSI_NS0_16reverse_iteratorISI_EEEEENSH_IJSG_SG_SG_EEES9_SI_JZNS1_25segmented_radix_sort_implINS0_14default_configELb1EPKiPiPKlPlN2at6native12_GLOBAL__N_18offset_tEEE10hipError_tPvRmT1_PNSt15iterator_traitsIS12_E10value_typeET2_T3_PNS13_IS18_E10value_typeET4_jRbjT5_S1E_jjP12ihipStream_tbEUljE_ZNSN_ISO_Lb1ESQ_SR_ST_SU_SY_EESZ_S10_S11_S12_S16_S17_S18_S1B_S1C_jS1D_jS1E_S1E_jjS1G_bEUljE0_EEESZ_S10_S11_S18_S1C_S1E_T6_T7_T9_mT8_S1G_bDpT10_ENKUlT_T0_E_clISt17integral_constantIbLb0EES1U_EEDaS1P_S1Q_EUlS1P_E_NS1_11comp_targetILNS1_3genE5ELNS1_11target_archE942ELNS1_3gpuE9ELNS1_3repE0EEENS1_30default_config_static_selectorELNS0_4arch9wavefront6targetE1EEEvS12_,"axG",@progbits,_ZN7rocprim17ROCPRIM_400000_NS6detail17trampoline_kernelINS0_13select_configILj256ELj13ELNS0_17block_load_methodE3ELS4_3ELS4_3ELNS0_20block_scan_algorithmE0ELj4294967295EEENS1_25partition_config_selectorILNS1_17partition_subalgoE4EjNS0_10empty_typeEbEEZZNS1_14partition_implILS8_4ELb0ES6_15HIP_vector_typeIjLj2EENS0_17counting_iteratorIjlEEPS9_SG_NS0_5tupleIJPjSI_NS0_16reverse_iteratorISI_EEEEENSH_IJSG_SG_SG_EEES9_SI_JZNS1_25segmented_radix_sort_implINS0_14default_configELb1EPKiPiPKlPlN2at6native12_GLOBAL__N_18offset_tEEE10hipError_tPvRmT1_PNSt15iterator_traitsIS12_E10value_typeET2_T3_PNS13_IS18_E10value_typeET4_jRbjT5_S1E_jjP12ihipStream_tbEUljE_ZNSN_ISO_Lb1ESQ_SR_ST_SU_SY_EESZ_S10_S11_S12_S16_S17_S18_S1B_S1C_jS1D_jS1E_S1E_jjS1G_bEUljE0_EEESZ_S10_S11_S18_S1C_S1E_T6_T7_T9_mT8_S1G_bDpT10_ENKUlT_T0_E_clISt17integral_constantIbLb0EES1U_EEDaS1P_S1Q_EUlS1P_E_NS1_11comp_targetILNS1_3genE5ELNS1_11target_archE942ELNS1_3gpuE9ELNS1_3repE0EEENS1_30default_config_static_selectorELNS0_4arch9wavefront6targetE1EEEvS12_,comdat
	.globl	_ZN7rocprim17ROCPRIM_400000_NS6detail17trampoline_kernelINS0_13select_configILj256ELj13ELNS0_17block_load_methodE3ELS4_3ELS4_3ELNS0_20block_scan_algorithmE0ELj4294967295EEENS1_25partition_config_selectorILNS1_17partition_subalgoE4EjNS0_10empty_typeEbEEZZNS1_14partition_implILS8_4ELb0ES6_15HIP_vector_typeIjLj2EENS0_17counting_iteratorIjlEEPS9_SG_NS0_5tupleIJPjSI_NS0_16reverse_iteratorISI_EEEEENSH_IJSG_SG_SG_EEES9_SI_JZNS1_25segmented_radix_sort_implINS0_14default_configELb1EPKiPiPKlPlN2at6native12_GLOBAL__N_18offset_tEEE10hipError_tPvRmT1_PNSt15iterator_traitsIS12_E10value_typeET2_T3_PNS13_IS18_E10value_typeET4_jRbjT5_S1E_jjP12ihipStream_tbEUljE_ZNSN_ISO_Lb1ESQ_SR_ST_SU_SY_EESZ_S10_S11_S12_S16_S17_S18_S1B_S1C_jS1D_jS1E_S1E_jjS1G_bEUljE0_EEESZ_S10_S11_S18_S1C_S1E_T6_T7_T9_mT8_S1G_bDpT10_ENKUlT_T0_E_clISt17integral_constantIbLb0EES1U_EEDaS1P_S1Q_EUlS1P_E_NS1_11comp_targetILNS1_3genE5ELNS1_11target_archE942ELNS1_3gpuE9ELNS1_3repE0EEENS1_30default_config_static_selectorELNS0_4arch9wavefront6targetE1EEEvS12_ ; -- Begin function _ZN7rocprim17ROCPRIM_400000_NS6detail17trampoline_kernelINS0_13select_configILj256ELj13ELNS0_17block_load_methodE3ELS4_3ELS4_3ELNS0_20block_scan_algorithmE0ELj4294967295EEENS1_25partition_config_selectorILNS1_17partition_subalgoE4EjNS0_10empty_typeEbEEZZNS1_14partition_implILS8_4ELb0ES6_15HIP_vector_typeIjLj2EENS0_17counting_iteratorIjlEEPS9_SG_NS0_5tupleIJPjSI_NS0_16reverse_iteratorISI_EEEEENSH_IJSG_SG_SG_EEES9_SI_JZNS1_25segmented_radix_sort_implINS0_14default_configELb1EPKiPiPKlPlN2at6native12_GLOBAL__N_18offset_tEEE10hipError_tPvRmT1_PNSt15iterator_traitsIS12_E10value_typeET2_T3_PNS13_IS18_E10value_typeET4_jRbjT5_S1E_jjP12ihipStream_tbEUljE_ZNSN_ISO_Lb1ESQ_SR_ST_SU_SY_EESZ_S10_S11_S12_S16_S17_S18_S1B_S1C_jS1D_jS1E_S1E_jjS1G_bEUljE0_EEESZ_S10_S11_S18_S1C_S1E_T6_T7_T9_mT8_S1G_bDpT10_ENKUlT_T0_E_clISt17integral_constantIbLb0EES1U_EEDaS1P_S1Q_EUlS1P_E_NS1_11comp_targetILNS1_3genE5ELNS1_11target_archE942ELNS1_3gpuE9ELNS1_3repE0EEENS1_30default_config_static_selectorELNS0_4arch9wavefront6targetE1EEEvS12_
	.p2align	8
	.type	_ZN7rocprim17ROCPRIM_400000_NS6detail17trampoline_kernelINS0_13select_configILj256ELj13ELNS0_17block_load_methodE3ELS4_3ELS4_3ELNS0_20block_scan_algorithmE0ELj4294967295EEENS1_25partition_config_selectorILNS1_17partition_subalgoE4EjNS0_10empty_typeEbEEZZNS1_14partition_implILS8_4ELb0ES6_15HIP_vector_typeIjLj2EENS0_17counting_iteratorIjlEEPS9_SG_NS0_5tupleIJPjSI_NS0_16reverse_iteratorISI_EEEEENSH_IJSG_SG_SG_EEES9_SI_JZNS1_25segmented_radix_sort_implINS0_14default_configELb1EPKiPiPKlPlN2at6native12_GLOBAL__N_18offset_tEEE10hipError_tPvRmT1_PNSt15iterator_traitsIS12_E10value_typeET2_T3_PNS13_IS18_E10value_typeET4_jRbjT5_S1E_jjP12ihipStream_tbEUljE_ZNSN_ISO_Lb1ESQ_SR_ST_SU_SY_EESZ_S10_S11_S12_S16_S17_S18_S1B_S1C_jS1D_jS1E_S1E_jjS1G_bEUljE0_EEESZ_S10_S11_S18_S1C_S1E_T6_T7_T9_mT8_S1G_bDpT10_ENKUlT_T0_E_clISt17integral_constantIbLb0EES1U_EEDaS1P_S1Q_EUlS1P_E_NS1_11comp_targetILNS1_3genE5ELNS1_11target_archE942ELNS1_3gpuE9ELNS1_3repE0EEENS1_30default_config_static_selectorELNS0_4arch9wavefront6targetE1EEEvS12_,@function
_ZN7rocprim17ROCPRIM_400000_NS6detail17trampoline_kernelINS0_13select_configILj256ELj13ELNS0_17block_load_methodE3ELS4_3ELS4_3ELNS0_20block_scan_algorithmE0ELj4294967295EEENS1_25partition_config_selectorILNS1_17partition_subalgoE4EjNS0_10empty_typeEbEEZZNS1_14partition_implILS8_4ELb0ES6_15HIP_vector_typeIjLj2EENS0_17counting_iteratorIjlEEPS9_SG_NS0_5tupleIJPjSI_NS0_16reverse_iteratorISI_EEEEENSH_IJSG_SG_SG_EEES9_SI_JZNS1_25segmented_radix_sort_implINS0_14default_configELb1EPKiPiPKlPlN2at6native12_GLOBAL__N_18offset_tEEE10hipError_tPvRmT1_PNSt15iterator_traitsIS12_E10value_typeET2_T3_PNS13_IS18_E10value_typeET4_jRbjT5_S1E_jjP12ihipStream_tbEUljE_ZNSN_ISO_Lb1ESQ_SR_ST_SU_SY_EESZ_S10_S11_S12_S16_S17_S18_S1B_S1C_jS1D_jS1E_S1E_jjS1G_bEUljE0_EEESZ_S10_S11_S18_S1C_S1E_T6_T7_T9_mT8_S1G_bDpT10_ENKUlT_T0_E_clISt17integral_constantIbLb0EES1U_EEDaS1P_S1Q_EUlS1P_E_NS1_11comp_targetILNS1_3genE5ELNS1_11target_archE942ELNS1_3gpuE9ELNS1_3repE0EEENS1_30default_config_static_selectorELNS0_4arch9wavefront6targetE1EEEvS12_: ; @_ZN7rocprim17ROCPRIM_400000_NS6detail17trampoline_kernelINS0_13select_configILj256ELj13ELNS0_17block_load_methodE3ELS4_3ELS4_3ELNS0_20block_scan_algorithmE0ELj4294967295EEENS1_25partition_config_selectorILNS1_17partition_subalgoE4EjNS0_10empty_typeEbEEZZNS1_14partition_implILS8_4ELb0ES6_15HIP_vector_typeIjLj2EENS0_17counting_iteratorIjlEEPS9_SG_NS0_5tupleIJPjSI_NS0_16reverse_iteratorISI_EEEEENSH_IJSG_SG_SG_EEES9_SI_JZNS1_25segmented_radix_sort_implINS0_14default_configELb1EPKiPiPKlPlN2at6native12_GLOBAL__N_18offset_tEEE10hipError_tPvRmT1_PNSt15iterator_traitsIS12_E10value_typeET2_T3_PNS13_IS18_E10value_typeET4_jRbjT5_S1E_jjP12ihipStream_tbEUljE_ZNSN_ISO_Lb1ESQ_SR_ST_SU_SY_EESZ_S10_S11_S12_S16_S17_S18_S1B_S1C_jS1D_jS1E_S1E_jjS1G_bEUljE0_EEESZ_S10_S11_S18_S1C_S1E_T6_T7_T9_mT8_S1G_bDpT10_ENKUlT_T0_E_clISt17integral_constantIbLb0EES1U_EEDaS1P_S1Q_EUlS1P_E_NS1_11comp_targetILNS1_3genE5ELNS1_11target_archE942ELNS1_3gpuE9ELNS1_3repE0EEENS1_30default_config_static_selectorELNS0_4arch9wavefront6targetE1EEEvS12_
; %bb.0:
	.section	.rodata,"a",@progbits
	.p2align	6, 0x0
	.amdhsa_kernel _ZN7rocprim17ROCPRIM_400000_NS6detail17trampoline_kernelINS0_13select_configILj256ELj13ELNS0_17block_load_methodE3ELS4_3ELS4_3ELNS0_20block_scan_algorithmE0ELj4294967295EEENS1_25partition_config_selectorILNS1_17partition_subalgoE4EjNS0_10empty_typeEbEEZZNS1_14partition_implILS8_4ELb0ES6_15HIP_vector_typeIjLj2EENS0_17counting_iteratorIjlEEPS9_SG_NS0_5tupleIJPjSI_NS0_16reverse_iteratorISI_EEEEENSH_IJSG_SG_SG_EEES9_SI_JZNS1_25segmented_radix_sort_implINS0_14default_configELb1EPKiPiPKlPlN2at6native12_GLOBAL__N_18offset_tEEE10hipError_tPvRmT1_PNSt15iterator_traitsIS12_E10value_typeET2_T3_PNS13_IS18_E10value_typeET4_jRbjT5_S1E_jjP12ihipStream_tbEUljE_ZNSN_ISO_Lb1ESQ_SR_ST_SU_SY_EESZ_S10_S11_S12_S16_S17_S18_S1B_S1C_jS1D_jS1E_S1E_jjS1G_bEUljE0_EEESZ_S10_S11_S18_S1C_S1E_T6_T7_T9_mT8_S1G_bDpT10_ENKUlT_T0_E_clISt17integral_constantIbLb0EES1U_EEDaS1P_S1Q_EUlS1P_E_NS1_11comp_targetILNS1_3genE5ELNS1_11target_archE942ELNS1_3gpuE9ELNS1_3repE0EEENS1_30default_config_static_selectorELNS0_4arch9wavefront6targetE1EEEvS12_
		.amdhsa_group_segment_fixed_size 0
		.amdhsa_private_segment_fixed_size 0
		.amdhsa_kernarg_size 176
		.amdhsa_user_sgpr_count 6
		.amdhsa_user_sgpr_private_segment_buffer 1
		.amdhsa_user_sgpr_dispatch_ptr 0
		.amdhsa_user_sgpr_queue_ptr 0
		.amdhsa_user_sgpr_kernarg_segment_ptr 1
		.amdhsa_user_sgpr_dispatch_id 0
		.amdhsa_user_sgpr_flat_scratch_init 0
		.amdhsa_user_sgpr_kernarg_preload_length 0
		.amdhsa_user_sgpr_kernarg_preload_offset 0
		.amdhsa_user_sgpr_private_segment_size 0
		.amdhsa_uses_dynamic_stack 0
		.amdhsa_system_sgpr_private_segment_wavefront_offset 0
		.amdhsa_system_sgpr_workgroup_id_x 1
		.amdhsa_system_sgpr_workgroup_id_y 0
		.amdhsa_system_sgpr_workgroup_id_z 0
		.amdhsa_system_sgpr_workgroup_info 0
		.amdhsa_system_vgpr_workitem_id 0
		.amdhsa_next_free_vgpr 1
		.amdhsa_next_free_sgpr 0
		.amdhsa_accum_offset 4
		.amdhsa_reserve_vcc 0
		.amdhsa_reserve_flat_scratch 0
		.amdhsa_float_round_mode_32 0
		.amdhsa_float_round_mode_16_64 0
		.amdhsa_float_denorm_mode_32 3
		.amdhsa_float_denorm_mode_16_64 3
		.amdhsa_dx10_clamp 1
		.amdhsa_ieee_mode 1
		.amdhsa_fp16_overflow 0
		.amdhsa_tg_split 0
		.amdhsa_exception_fp_ieee_invalid_op 0
		.amdhsa_exception_fp_denorm_src 0
		.amdhsa_exception_fp_ieee_div_zero 0
		.amdhsa_exception_fp_ieee_overflow 0
		.amdhsa_exception_fp_ieee_underflow 0
		.amdhsa_exception_fp_ieee_inexact 0
		.amdhsa_exception_int_div_zero 0
	.end_amdhsa_kernel
	.section	.text._ZN7rocprim17ROCPRIM_400000_NS6detail17trampoline_kernelINS0_13select_configILj256ELj13ELNS0_17block_load_methodE3ELS4_3ELS4_3ELNS0_20block_scan_algorithmE0ELj4294967295EEENS1_25partition_config_selectorILNS1_17partition_subalgoE4EjNS0_10empty_typeEbEEZZNS1_14partition_implILS8_4ELb0ES6_15HIP_vector_typeIjLj2EENS0_17counting_iteratorIjlEEPS9_SG_NS0_5tupleIJPjSI_NS0_16reverse_iteratorISI_EEEEENSH_IJSG_SG_SG_EEES9_SI_JZNS1_25segmented_radix_sort_implINS0_14default_configELb1EPKiPiPKlPlN2at6native12_GLOBAL__N_18offset_tEEE10hipError_tPvRmT1_PNSt15iterator_traitsIS12_E10value_typeET2_T3_PNS13_IS18_E10value_typeET4_jRbjT5_S1E_jjP12ihipStream_tbEUljE_ZNSN_ISO_Lb1ESQ_SR_ST_SU_SY_EESZ_S10_S11_S12_S16_S17_S18_S1B_S1C_jS1D_jS1E_S1E_jjS1G_bEUljE0_EEESZ_S10_S11_S18_S1C_S1E_T6_T7_T9_mT8_S1G_bDpT10_ENKUlT_T0_E_clISt17integral_constantIbLb0EES1U_EEDaS1P_S1Q_EUlS1P_E_NS1_11comp_targetILNS1_3genE5ELNS1_11target_archE942ELNS1_3gpuE9ELNS1_3repE0EEENS1_30default_config_static_selectorELNS0_4arch9wavefront6targetE1EEEvS12_,"axG",@progbits,_ZN7rocprim17ROCPRIM_400000_NS6detail17trampoline_kernelINS0_13select_configILj256ELj13ELNS0_17block_load_methodE3ELS4_3ELS4_3ELNS0_20block_scan_algorithmE0ELj4294967295EEENS1_25partition_config_selectorILNS1_17partition_subalgoE4EjNS0_10empty_typeEbEEZZNS1_14partition_implILS8_4ELb0ES6_15HIP_vector_typeIjLj2EENS0_17counting_iteratorIjlEEPS9_SG_NS0_5tupleIJPjSI_NS0_16reverse_iteratorISI_EEEEENSH_IJSG_SG_SG_EEES9_SI_JZNS1_25segmented_radix_sort_implINS0_14default_configELb1EPKiPiPKlPlN2at6native12_GLOBAL__N_18offset_tEEE10hipError_tPvRmT1_PNSt15iterator_traitsIS12_E10value_typeET2_T3_PNS13_IS18_E10value_typeET4_jRbjT5_S1E_jjP12ihipStream_tbEUljE_ZNSN_ISO_Lb1ESQ_SR_ST_SU_SY_EESZ_S10_S11_S12_S16_S17_S18_S1B_S1C_jS1D_jS1E_S1E_jjS1G_bEUljE0_EEESZ_S10_S11_S18_S1C_S1E_T6_T7_T9_mT8_S1G_bDpT10_ENKUlT_T0_E_clISt17integral_constantIbLb0EES1U_EEDaS1P_S1Q_EUlS1P_E_NS1_11comp_targetILNS1_3genE5ELNS1_11target_archE942ELNS1_3gpuE9ELNS1_3repE0EEENS1_30default_config_static_selectorELNS0_4arch9wavefront6targetE1EEEvS12_,comdat
.Lfunc_end434:
	.size	_ZN7rocprim17ROCPRIM_400000_NS6detail17trampoline_kernelINS0_13select_configILj256ELj13ELNS0_17block_load_methodE3ELS4_3ELS4_3ELNS0_20block_scan_algorithmE0ELj4294967295EEENS1_25partition_config_selectorILNS1_17partition_subalgoE4EjNS0_10empty_typeEbEEZZNS1_14partition_implILS8_4ELb0ES6_15HIP_vector_typeIjLj2EENS0_17counting_iteratorIjlEEPS9_SG_NS0_5tupleIJPjSI_NS0_16reverse_iteratorISI_EEEEENSH_IJSG_SG_SG_EEES9_SI_JZNS1_25segmented_radix_sort_implINS0_14default_configELb1EPKiPiPKlPlN2at6native12_GLOBAL__N_18offset_tEEE10hipError_tPvRmT1_PNSt15iterator_traitsIS12_E10value_typeET2_T3_PNS13_IS18_E10value_typeET4_jRbjT5_S1E_jjP12ihipStream_tbEUljE_ZNSN_ISO_Lb1ESQ_SR_ST_SU_SY_EESZ_S10_S11_S12_S16_S17_S18_S1B_S1C_jS1D_jS1E_S1E_jjS1G_bEUljE0_EEESZ_S10_S11_S18_S1C_S1E_T6_T7_T9_mT8_S1G_bDpT10_ENKUlT_T0_E_clISt17integral_constantIbLb0EES1U_EEDaS1P_S1Q_EUlS1P_E_NS1_11comp_targetILNS1_3genE5ELNS1_11target_archE942ELNS1_3gpuE9ELNS1_3repE0EEENS1_30default_config_static_selectorELNS0_4arch9wavefront6targetE1EEEvS12_, .Lfunc_end434-_ZN7rocprim17ROCPRIM_400000_NS6detail17trampoline_kernelINS0_13select_configILj256ELj13ELNS0_17block_load_methodE3ELS4_3ELS4_3ELNS0_20block_scan_algorithmE0ELj4294967295EEENS1_25partition_config_selectorILNS1_17partition_subalgoE4EjNS0_10empty_typeEbEEZZNS1_14partition_implILS8_4ELb0ES6_15HIP_vector_typeIjLj2EENS0_17counting_iteratorIjlEEPS9_SG_NS0_5tupleIJPjSI_NS0_16reverse_iteratorISI_EEEEENSH_IJSG_SG_SG_EEES9_SI_JZNS1_25segmented_radix_sort_implINS0_14default_configELb1EPKiPiPKlPlN2at6native12_GLOBAL__N_18offset_tEEE10hipError_tPvRmT1_PNSt15iterator_traitsIS12_E10value_typeET2_T3_PNS13_IS18_E10value_typeET4_jRbjT5_S1E_jjP12ihipStream_tbEUljE_ZNSN_ISO_Lb1ESQ_SR_ST_SU_SY_EESZ_S10_S11_S12_S16_S17_S18_S1B_S1C_jS1D_jS1E_S1E_jjS1G_bEUljE0_EEESZ_S10_S11_S18_S1C_S1E_T6_T7_T9_mT8_S1G_bDpT10_ENKUlT_T0_E_clISt17integral_constantIbLb0EES1U_EEDaS1P_S1Q_EUlS1P_E_NS1_11comp_targetILNS1_3genE5ELNS1_11target_archE942ELNS1_3gpuE9ELNS1_3repE0EEENS1_30default_config_static_selectorELNS0_4arch9wavefront6targetE1EEEvS12_
                                        ; -- End function
	.section	.AMDGPU.csdata,"",@progbits
; Kernel info:
; codeLenInByte = 0
; NumSgprs: 4
; NumVgprs: 0
; NumAgprs: 0
; TotalNumVgprs: 0
; ScratchSize: 0
; MemoryBound: 0
; FloatMode: 240
; IeeeMode: 1
; LDSByteSize: 0 bytes/workgroup (compile time only)
; SGPRBlocks: 0
; VGPRBlocks: 0
; NumSGPRsForWavesPerEU: 4
; NumVGPRsForWavesPerEU: 1
; AccumOffset: 4
; Occupancy: 8
; WaveLimiterHint : 0
; COMPUTE_PGM_RSRC2:SCRATCH_EN: 0
; COMPUTE_PGM_RSRC2:USER_SGPR: 6
; COMPUTE_PGM_RSRC2:TRAP_HANDLER: 0
; COMPUTE_PGM_RSRC2:TGID_X_EN: 1
; COMPUTE_PGM_RSRC2:TGID_Y_EN: 0
; COMPUTE_PGM_RSRC2:TGID_Z_EN: 0
; COMPUTE_PGM_RSRC2:TIDIG_COMP_CNT: 0
; COMPUTE_PGM_RSRC3_GFX90A:ACCUM_OFFSET: 0
; COMPUTE_PGM_RSRC3_GFX90A:TG_SPLIT: 0
	.section	.text._ZN7rocprim17ROCPRIM_400000_NS6detail17trampoline_kernelINS0_13select_configILj256ELj13ELNS0_17block_load_methodE3ELS4_3ELS4_3ELNS0_20block_scan_algorithmE0ELj4294967295EEENS1_25partition_config_selectorILNS1_17partition_subalgoE4EjNS0_10empty_typeEbEEZZNS1_14partition_implILS8_4ELb0ES6_15HIP_vector_typeIjLj2EENS0_17counting_iteratorIjlEEPS9_SG_NS0_5tupleIJPjSI_NS0_16reverse_iteratorISI_EEEEENSH_IJSG_SG_SG_EEES9_SI_JZNS1_25segmented_radix_sort_implINS0_14default_configELb1EPKiPiPKlPlN2at6native12_GLOBAL__N_18offset_tEEE10hipError_tPvRmT1_PNSt15iterator_traitsIS12_E10value_typeET2_T3_PNS13_IS18_E10value_typeET4_jRbjT5_S1E_jjP12ihipStream_tbEUljE_ZNSN_ISO_Lb1ESQ_SR_ST_SU_SY_EESZ_S10_S11_S12_S16_S17_S18_S1B_S1C_jS1D_jS1E_S1E_jjS1G_bEUljE0_EEESZ_S10_S11_S18_S1C_S1E_T6_T7_T9_mT8_S1G_bDpT10_ENKUlT_T0_E_clISt17integral_constantIbLb0EES1U_EEDaS1P_S1Q_EUlS1P_E_NS1_11comp_targetILNS1_3genE4ELNS1_11target_archE910ELNS1_3gpuE8ELNS1_3repE0EEENS1_30default_config_static_selectorELNS0_4arch9wavefront6targetE1EEEvS12_,"axG",@progbits,_ZN7rocprim17ROCPRIM_400000_NS6detail17trampoline_kernelINS0_13select_configILj256ELj13ELNS0_17block_load_methodE3ELS4_3ELS4_3ELNS0_20block_scan_algorithmE0ELj4294967295EEENS1_25partition_config_selectorILNS1_17partition_subalgoE4EjNS0_10empty_typeEbEEZZNS1_14partition_implILS8_4ELb0ES6_15HIP_vector_typeIjLj2EENS0_17counting_iteratorIjlEEPS9_SG_NS0_5tupleIJPjSI_NS0_16reverse_iteratorISI_EEEEENSH_IJSG_SG_SG_EEES9_SI_JZNS1_25segmented_radix_sort_implINS0_14default_configELb1EPKiPiPKlPlN2at6native12_GLOBAL__N_18offset_tEEE10hipError_tPvRmT1_PNSt15iterator_traitsIS12_E10value_typeET2_T3_PNS13_IS18_E10value_typeET4_jRbjT5_S1E_jjP12ihipStream_tbEUljE_ZNSN_ISO_Lb1ESQ_SR_ST_SU_SY_EESZ_S10_S11_S12_S16_S17_S18_S1B_S1C_jS1D_jS1E_S1E_jjS1G_bEUljE0_EEESZ_S10_S11_S18_S1C_S1E_T6_T7_T9_mT8_S1G_bDpT10_ENKUlT_T0_E_clISt17integral_constantIbLb0EES1U_EEDaS1P_S1Q_EUlS1P_E_NS1_11comp_targetILNS1_3genE4ELNS1_11target_archE910ELNS1_3gpuE8ELNS1_3repE0EEENS1_30default_config_static_selectorELNS0_4arch9wavefront6targetE1EEEvS12_,comdat
	.globl	_ZN7rocprim17ROCPRIM_400000_NS6detail17trampoline_kernelINS0_13select_configILj256ELj13ELNS0_17block_load_methodE3ELS4_3ELS4_3ELNS0_20block_scan_algorithmE0ELj4294967295EEENS1_25partition_config_selectorILNS1_17partition_subalgoE4EjNS0_10empty_typeEbEEZZNS1_14partition_implILS8_4ELb0ES6_15HIP_vector_typeIjLj2EENS0_17counting_iteratorIjlEEPS9_SG_NS0_5tupleIJPjSI_NS0_16reverse_iteratorISI_EEEEENSH_IJSG_SG_SG_EEES9_SI_JZNS1_25segmented_radix_sort_implINS0_14default_configELb1EPKiPiPKlPlN2at6native12_GLOBAL__N_18offset_tEEE10hipError_tPvRmT1_PNSt15iterator_traitsIS12_E10value_typeET2_T3_PNS13_IS18_E10value_typeET4_jRbjT5_S1E_jjP12ihipStream_tbEUljE_ZNSN_ISO_Lb1ESQ_SR_ST_SU_SY_EESZ_S10_S11_S12_S16_S17_S18_S1B_S1C_jS1D_jS1E_S1E_jjS1G_bEUljE0_EEESZ_S10_S11_S18_S1C_S1E_T6_T7_T9_mT8_S1G_bDpT10_ENKUlT_T0_E_clISt17integral_constantIbLb0EES1U_EEDaS1P_S1Q_EUlS1P_E_NS1_11comp_targetILNS1_3genE4ELNS1_11target_archE910ELNS1_3gpuE8ELNS1_3repE0EEENS1_30default_config_static_selectorELNS0_4arch9wavefront6targetE1EEEvS12_ ; -- Begin function _ZN7rocprim17ROCPRIM_400000_NS6detail17trampoline_kernelINS0_13select_configILj256ELj13ELNS0_17block_load_methodE3ELS4_3ELS4_3ELNS0_20block_scan_algorithmE0ELj4294967295EEENS1_25partition_config_selectorILNS1_17partition_subalgoE4EjNS0_10empty_typeEbEEZZNS1_14partition_implILS8_4ELb0ES6_15HIP_vector_typeIjLj2EENS0_17counting_iteratorIjlEEPS9_SG_NS0_5tupleIJPjSI_NS0_16reverse_iteratorISI_EEEEENSH_IJSG_SG_SG_EEES9_SI_JZNS1_25segmented_radix_sort_implINS0_14default_configELb1EPKiPiPKlPlN2at6native12_GLOBAL__N_18offset_tEEE10hipError_tPvRmT1_PNSt15iterator_traitsIS12_E10value_typeET2_T3_PNS13_IS18_E10value_typeET4_jRbjT5_S1E_jjP12ihipStream_tbEUljE_ZNSN_ISO_Lb1ESQ_SR_ST_SU_SY_EESZ_S10_S11_S12_S16_S17_S18_S1B_S1C_jS1D_jS1E_S1E_jjS1G_bEUljE0_EEESZ_S10_S11_S18_S1C_S1E_T6_T7_T9_mT8_S1G_bDpT10_ENKUlT_T0_E_clISt17integral_constantIbLb0EES1U_EEDaS1P_S1Q_EUlS1P_E_NS1_11comp_targetILNS1_3genE4ELNS1_11target_archE910ELNS1_3gpuE8ELNS1_3repE0EEENS1_30default_config_static_selectorELNS0_4arch9wavefront6targetE1EEEvS12_
	.p2align	8
	.type	_ZN7rocprim17ROCPRIM_400000_NS6detail17trampoline_kernelINS0_13select_configILj256ELj13ELNS0_17block_load_methodE3ELS4_3ELS4_3ELNS0_20block_scan_algorithmE0ELj4294967295EEENS1_25partition_config_selectorILNS1_17partition_subalgoE4EjNS0_10empty_typeEbEEZZNS1_14partition_implILS8_4ELb0ES6_15HIP_vector_typeIjLj2EENS0_17counting_iteratorIjlEEPS9_SG_NS0_5tupleIJPjSI_NS0_16reverse_iteratorISI_EEEEENSH_IJSG_SG_SG_EEES9_SI_JZNS1_25segmented_radix_sort_implINS0_14default_configELb1EPKiPiPKlPlN2at6native12_GLOBAL__N_18offset_tEEE10hipError_tPvRmT1_PNSt15iterator_traitsIS12_E10value_typeET2_T3_PNS13_IS18_E10value_typeET4_jRbjT5_S1E_jjP12ihipStream_tbEUljE_ZNSN_ISO_Lb1ESQ_SR_ST_SU_SY_EESZ_S10_S11_S12_S16_S17_S18_S1B_S1C_jS1D_jS1E_S1E_jjS1G_bEUljE0_EEESZ_S10_S11_S18_S1C_S1E_T6_T7_T9_mT8_S1G_bDpT10_ENKUlT_T0_E_clISt17integral_constantIbLb0EES1U_EEDaS1P_S1Q_EUlS1P_E_NS1_11comp_targetILNS1_3genE4ELNS1_11target_archE910ELNS1_3gpuE8ELNS1_3repE0EEENS1_30default_config_static_selectorELNS0_4arch9wavefront6targetE1EEEvS12_,@function
_ZN7rocprim17ROCPRIM_400000_NS6detail17trampoline_kernelINS0_13select_configILj256ELj13ELNS0_17block_load_methodE3ELS4_3ELS4_3ELNS0_20block_scan_algorithmE0ELj4294967295EEENS1_25partition_config_selectorILNS1_17partition_subalgoE4EjNS0_10empty_typeEbEEZZNS1_14partition_implILS8_4ELb0ES6_15HIP_vector_typeIjLj2EENS0_17counting_iteratorIjlEEPS9_SG_NS0_5tupleIJPjSI_NS0_16reverse_iteratorISI_EEEEENSH_IJSG_SG_SG_EEES9_SI_JZNS1_25segmented_radix_sort_implINS0_14default_configELb1EPKiPiPKlPlN2at6native12_GLOBAL__N_18offset_tEEE10hipError_tPvRmT1_PNSt15iterator_traitsIS12_E10value_typeET2_T3_PNS13_IS18_E10value_typeET4_jRbjT5_S1E_jjP12ihipStream_tbEUljE_ZNSN_ISO_Lb1ESQ_SR_ST_SU_SY_EESZ_S10_S11_S12_S16_S17_S18_S1B_S1C_jS1D_jS1E_S1E_jjS1G_bEUljE0_EEESZ_S10_S11_S18_S1C_S1E_T6_T7_T9_mT8_S1G_bDpT10_ENKUlT_T0_E_clISt17integral_constantIbLb0EES1U_EEDaS1P_S1Q_EUlS1P_E_NS1_11comp_targetILNS1_3genE4ELNS1_11target_archE910ELNS1_3gpuE8ELNS1_3repE0EEENS1_30default_config_static_selectorELNS0_4arch9wavefront6targetE1EEEvS12_: ; @_ZN7rocprim17ROCPRIM_400000_NS6detail17trampoline_kernelINS0_13select_configILj256ELj13ELNS0_17block_load_methodE3ELS4_3ELS4_3ELNS0_20block_scan_algorithmE0ELj4294967295EEENS1_25partition_config_selectorILNS1_17partition_subalgoE4EjNS0_10empty_typeEbEEZZNS1_14partition_implILS8_4ELb0ES6_15HIP_vector_typeIjLj2EENS0_17counting_iteratorIjlEEPS9_SG_NS0_5tupleIJPjSI_NS0_16reverse_iteratorISI_EEEEENSH_IJSG_SG_SG_EEES9_SI_JZNS1_25segmented_radix_sort_implINS0_14default_configELb1EPKiPiPKlPlN2at6native12_GLOBAL__N_18offset_tEEE10hipError_tPvRmT1_PNSt15iterator_traitsIS12_E10value_typeET2_T3_PNS13_IS18_E10value_typeET4_jRbjT5_S1E_jjP12ihipStream_tbEUljE_ZNSN_ISO_Lb1ESQ_SR_ST_SU_SY_EESZ_S10_S11_S12_S16_S17_S18_S1B_S1C_jS1D_jS1E_S1E_jjS1G_bEUljE0_EEESZ_S10_S11_S18_S1C_S1E_T6_T7_T9_mT8_S1G_bDpT10_ENKUlT_T0_E_clISt17integral_constantIbLb0EES1U_EEDaS1P_S1Q_EUlS1P_E_NS1_11comp_targetILNS1_3genE4ELNS1_11target_archE910ELNS1_3gpuE8ELNS1_3repE0EEENS1_30default_config_static_selectorELNS0_4arch9wavefront6targetE1EEEvS12_
; %bb.0:
	s_load_dwordx2 s[0:1], s[4:5], 0x68
	s_load_dword s7, s[4:5], 0x8
	s_load_dwordx2 s[56:57], s[4:5], 0x10
	s_load_dwordx4 s[44:47], s[4:5], 0x58
	s_mul_i32 s33, s6, 0xd00
	s_waitcnt lgkmcnt(0)
	v_mov_b32_e32 v3, s1
	v_mov_b32_e32 v2, s0
	s_load_dword s1, s[4:5], 0x80
	s_load_dwordx2 s[60:61], s[4:5], 0xa8
	s_load_dwordx8 s[36:43], s[4:5], 0x88
	s_load_dwordx4 s[48:51], s[46:47], 0x0
	s_waitcnt lgkmcnt(0)
	s_add_i32 s8, s1, -1
	s_mulk_i32 s1, 0xd00
	s_add_u32 s2, s56, s1
	s_addc_u32 s3, s57, 0
	s_cmp_eq_u32 s6, s8
	s_cselect_b64 s[30:31], -1, 0
	s_cmp_lg_u32 s6, s8
	v_cmp_lt_u64_e32 vcc, s[2:3], v[2:3]
	s_cselect_b64 s[2:3], -1, 0
	s_add_i32 s7, s7, s33
	s_or_b64 s[2:3], s[2:3], vcc
	s_add_i32 s7, s7, s56
	v_add_u32_e32 v1, s7, v0
	s_mov_b64 s[8:9], -1
	s_and_b64 vcc, exec, s[2:3]
	s_cbranch_vccz .LBB435_2
; %bb.1:
	v_add_u32_e32 v2, 0x100, v1
	v_lshlrev_b32_e32 v14, 2, v0
	v_add_u32_e32 v3, 0x200, v1
	v_add_u32_e32 v4, 0x300, v1
	;; [unrolled: 1-line block ×11, first 2 shown]
	ds_write2st64_b32 v14, v1, v2 offset1:4
	ds_write2st64_b32 v14, v3, v4 offset0:8 offset1:12
	ds_write2st64_b32 v14, v5, v6 offset0:16 offset1:20
	;; [unrolled: 1-line block ×5, first 2 shown]
	ds_write_b32 v14, v13 offset:12288
	s_waitcnt lgkmcnt(0)
	s_barrier
	s_mov_b64 s[8:9], 0
.LBB435_2:
	s_andn2_b64 vcc, exec, s[8:9]
	s_add_i32 s1, s1, s56
	s_cbranch_vccnz .LBB435_4
; %bb.3:
	v_add_u32_e32 v2, 0x100, v1
	v_lshlrev_b32_e32 v14, 2, v0
	v_add_u32_e32 v3, 0x200, v1
	v_add_u32_e32 v4, 0x300, v1
	;; [unrolled: 1-line block ×11, first 2 shown]
	ds_write2st64_b32 v14, v1, v2 offset1:4
	ds_write2st64_b32 v14, v3, v4 offset0:8 offset1:12
	ds_write2st64_b32 v14, v5, v6 offset0:16 offset1:20
	;; [unrolled: 1-line block ×5, first 2 shown]
	ds_write_b32 v14, v13 offset:12288
	s_waitcnt lgkmcnt(0)
	s_barrier
.LBB435_4:
	v_mul_u32_u24_e32 v31, 13, v0
	v_lshlrev_b32_e32 v1, 2, v31
	s_load_dwordx4 s[52:55], s[4:5], 0x28
	s_load_dwordx2 s[34:35], s[4:5], 0x38
	s_waitcnt lgkmcnt(0)
	ds_read2_b32 v[18:19], v1 offset1:1
	ds_read2_b32 v[16:17], v1 offset0:2 offset1:3
	ds_read2_b32 v[14:15], v1 offset0:4 offset1:5
	;; [unrolled: 1-line block ×5, first 2 shown]
	ds_read_b32 v30, v1 offset:48
	v_cndmask_b32_e64 v1, 0, 1, s[2:3]
	s_sub_i32 s7, s0, s1
	v_cmp_ne_u32_e64 s[0:1], 1, v1
	s_andn2_b64 vcc, exec, s[2:3]
	s_waitcnt lgkmcnt(0)
	s_barrier
	s_cbranch_vccnz .LBB435_32
; %bb.5:
	v_add_u32_e32 v1, s37, v18
	v_add_u32_e32 v2, s39, v18
	v_mul_lo_u32 v1, v1, s36
	v_mul_lo_u32 v2, v2, s38
	v_sub_u32_e32 v1, v1, v2
	v_cmp_lt_u32_e32 vcc, s40, v1
	v_cmp_ge_u32_e64 s[2:3], s40, v1
	s_mov_b64 s[64:65], 0
	s_mov_b64 s[62:63], 0
	s_and_saveexec_b64 s[8:9], s[2:3]
; %bb.6:
	v_add_u32_e32 v1, s42, v18
	v_add_u32_e32 v2, s60, v18
	v_mul_lo_u32 v1, v1, s41
	v_mul_lo_u32 v2, v2, s43
	v_sub_u32_e32 v1, v1, v2
	v_cmp_lt_u32_e64 s[2:3], s61, v1
	s_and_b64 s[62:63], s[2:3], exec
; %bb.7:
	s_or_b64 exec, exec, s[8:9]
	v_add_u32_e32 v1, s37, v19
	v_add_u32_e32 v2, s39, v19
	v_mul_lo_u32 v1, v1, s36
	v_mul_lo_u32 v2, v2, s38
	v_sub_u32_e32 v1, v1, v2
	v_cmp_lt_u32_e64 s[2:3], s40, v1
	v_cmp_ge_u32_e64 s[8:9], s40, v1
	s_and_saveexec_b64 s[10:11], s[8:9]
; %bb.8:
	v_add_u32_e32 v1, s42, v19
	v_add_u32_e32 v2, s60, v19
	v_mul_lo_u32 v1, v1, s41
	v_mul_lo_u32 v2, v2, s43
	v_sub_u32_e32 v1, v1, v2
	v_cmp_lt_u32_e64 s[8:9], s61, v1
	s_and_b64 s[64:65], s[8:9], exec
; %bb.9:
	s_or_b64 exec, exec, s[10:11]
	v_add_u32_e32 v1, s37, v16
	v_add_u32_e32 v2, s39, v16
	v_mul_lo_u32 v1, v1, s36
	v_mul_lo_u32 v2, v2, s38
	v_sub_u32_e32 v1, v1, v2
	v_cmp_lt_u32_e64 s[26:27], s40, v1
	v_cmp_ge_u32_e64 s[8:9], s40, v1
	s_mov_b64 s[68:69], 0
	s_mov_b64 s[66:67], 0
	s_and_saveexec_b64 s[10:11], s[8:9]
; %bb.10:
	v_add_u32_e32 v1, s42, v16
	v_add_u32_e32 v2, s60, v16
	v_mul_lo_u32 v1, v1, s41
	v_mul_lo_u32 v2, v2, s43
	v_sub_u32_e32 v1, v1, v2
	v_cmp_lt_u32_e64 s[8:9], s61, v1
	s_and_b64 s[66:67], s[8:9], exec
; %bb.11:
	s_or_b64 exec, exec, s[10:11]
	v_add_u32_e32 v1, s37, v17
	v_add_u32_e32 v2, s39, v17
	v_mul_lo_u32 v1, v1, s36
	v_mul_lo_u32 v2, v2, s38
	v_sub_u32_e32 v1, v1, v2
	v_cmp_lt_u32_e64 s[8:9], s40, v1
	v_cmp_ge_u32_e64 s[10:11], s40, v1
	s_and_saveexec_b64 s[12:13], s[10:11]
; %bb.12:
	v_add_u32_e32 v1, s42, v17
	v_add_u32_e32 v2, s60, v17
	v_mul_lo_u32 v1, v1, s41
	v_mul_lo_u32 v2, v2, s43
	v_sub_u32_e32 v1, v1, v2
	v_cmp_lt_u32_e64 s[10:11], s61, v1
	s_and_b64 s[68:69], s[10:11], exec
; %bb.13:
	s_or_b64 exec, exec, s[12:13]
	v_add_u32_e32 v1, s37, v14
	v_add_u32_e32 v2, s39, v14
	v_mul_lo_u32 v1, v1, s36
	v_mul_lo_u32 v2, v2, s38
	v_sub_u32_e32 v1, v1, v2
	v_cmp_lt_u32_e64 s[10:11], s40, v1
	v_cmp_ge_u32_e64 s[12:13], s40, v1
	s_mov_b64 s[72:73], 0
	s_mov_b64 s[70:71], 0
	s_and_saveexec_b64 s[14:15], s[12:13]
; %bb.14:
	v_add_u32_e32 v1, s42, v14
	v_add_u32_e32 v2, s60, v14
	v_mul_lo_u32 v1, v1, s41
	v_mul_lo_u32 v2, v2, s43
	v_sub_u32_e32 v1, v1, v2
	v_cmp_lt_u32_e64 s[12:13], s61, v1
	s_and_b64 s[70:71], s[12:13], exec
; %bb.15:
	s_or_b64 exec, exec, s[14:15]
	v_add_u32_e32 v1, s37, v15
	v_add_u32_e32 v2, s39, v15
	v_mul_lo_u32 v1, v1, s36
	v_mul_lo_u32 v2, v2, s38
	v_sub_u32_e32 v1, v1, v2
	v_cmp_lt_u32_e64 s[12:13], s40, v1
	v_cmp_ge_u32_e64 s[14:15], s40, v1
	s_and_saveexec_b64 s[16:17], s[14:15]
; %bb.16:
	v_add_u32_e32 v1, s42, v15
	v_add_u32_e32 v2, s60, v15
	v_mul_lo_u32 v1, v1, s41
	v_mul_lo_u32 v2, v2, s43
	v_sub_u32_e32 v1, v1, v2
	v_cmp_lt_u32_e64 s[14:15], s61, v1
	s_and_b64 s[72:73], s[14:15], exec
; %bb.17:
	s_or_b64 exec, exec, s[16:17]
	v_add_u32_e32 v1, s37, v12
	v_add_u32_e32 v2, s39, v12
	v_mul_lo_u32 v1, v1, s36
	v_mul_lo_u32 v2, v2, s38
	v_sub_u32_e32 v1, v1, v2
	v_cmp_lt_u32_e64 s[14:15], s40, v1
	v_cmp_ge_u32_e64 s[16:17], s40, v1
	s_mov_b64 s[76:77], 0
	s_mov_b64 s[74:75], 0
	s_and_saveexec_b64 s[18:19], s[16:17]
; %bb.18:
	v_add_u32_e32 v1, s42, v12
	v_add_u32_e32 v2, s60, v12
	v_mul_lo_u32 v1, v1, s41
	v_mul_lo_u32 v2, v2, s43
	v_sub_u32_e32 v1, v1, v2
	v_cmp_lt_u32_e64 s[16:17], s61, v1
	s_and_b64 s[74:75], s[16:17], exec
; %bb.19:
	s_or_b64 exec, exec, s[18:19]
	v_add_u32_e32 v1, s37, v13
	v_add_u32_e32 v2, s39, v13
	v_mul_lo_u32 v1, v1, s36
	v_mul_lo_u32 v2, v2, s38
	v_sub_u32_e32 v1, v1, v2
	v_cmp_lt_u32_e64 s[16:17], s40, v1
	v_cmp_ge_u32_e64 s[18:19], s40, v1
	s_and_saveexec_b64 s[20:21], s[18:19]
; %bb.20:
	v_add_u32_e32 v1, s42, v13
	v_add_u32_e32 v2, s60, v13
	v_mul_lo_u32 v1, v1, s41
	v_mul_lo_u32 v2, v2, s43
	v_sub_u32_e32 v1, v1, v2
	v_cmp_lt_u32_e64 s[18:19], s61, v1
	s_and_b64 s[76:77], s[18:19], exec
; %bb.21:
	s_or_b64 exec, exec, s[20:21]
	v_add_u32_e32 v1, s37, v10
	v_add_u32_e32 v2, s39, v10
	v_mul_lo_u32 v1, v1, s36
	v_mul_lo_u32 v2, v2, s38
	v_sub_u32_e32 v1, v1, v2
	v_cmp_lt_u32_e64 s[18:19], s40, v1
	v_cmp_ge_u32_e64 s[20:21], s40, v1
	s_mov_b64 s[82:83], 0
	s_mov_b64 s[80:81], 0
	s_and_saveexec_b64 s[22:23], s[20:21]
; %bb.22:
	v_add_u32_e32 v1, s42, v10
	v_add_u32_e32 v2, s60, v10
	v_mul_lo_u32 v1, v1, s41
	v_mul_lo_u32 v2, v2, s43
	v_sub_u32_e32 v1, v1, v2
	v_cmp_lt_u32_e64 s[20:21], s61, v1
	s_and_b64 s[80:81], s[20:21], exec
; %bb.23:
	s_or_b64 exec, exec, s[22:23]
	v_add_u32_e32 v1, s37, v11
	v_add_u32_e32 v2, s39, v11
	v_mul_lo_u32 v1, v1, s36
	v_mul_lo_u32 v2, v2, s38
	v_sub_u32_e32 v1, v1, v2
	v_cmp_lt_u32_e64 s[20:21], s40, v1
	v_cmp_ge_u32_e64 s[22:23], s40, v1
	s_and_saveexec_b64 s[24:25], s[22:23]
; %bb.24:
	v_add_u32_e32 v1, s42, v11
	v_add_u32_e32 v2, s60, v11
	v_mul_lo_u32 v1, v1, s41
	v_mul_lo_u32 v2, v2, s43
	v_sub_u32_e32 v1, v1, v2
	v_cmp_lt_u32_e64 s[22:23], s61, v1
	s_and_b64 s[82:83], s[22:23], exec
; %bb.25:
	s_or_b64 exec, exec, s[24:25]
	v_add_u32_e32 v1, s37, v8
	v_add_u32_e32 v2, s39, v8
	v_mul_lo_u32 v1, v1, s36
	v_mul_lo_u32 v2, v2, s38
	v_sub_u32_e32 v1, v1, v2
	v_cmp_lt_u32_e64 s[22:23], s40, v1
	v_cmp_ge_u32_e64 s[24:25], s40, v1
	s_mov_b64 s[84:85], 0
	s_mov_b64 s[86:87], 0
	s_and_saveexec_b64 s[28:29], s[24:25]
; %bb.26:
	v_add_u32_e32 v1, s42, v8
	v_add_u32_e32 v2, s60, v8
	v_mul_lo_u32 v1, v1, s41
	v_mul_lo_u32 v2, v2, s43
	v_sub_u32_e32 v1, v1, v2
	v_cmp_lt_u32_e64 s[24:25], s61, v1
	s_and_b64 s[86:87], s[24:25], exec
; %bb.27:
	s_or_b64 exec, exec, s[28:29]
	v_add_u32_e32 v1, s37, v9
	v_add_u32_e32 v2, s39, v9
	v_mul_lo_u32 v1, v1, s36
	v_mul_lo_u32 v2, v2, s38
	v_sub_u32_e32 v1, v1, v2
	v_cmp_lt_u32_e64 s[24:25], s40, v1
	v_cmp_ge_u32_e64 s[28:29], s40, v1
	s_and_saveexec_b64 s[46:47], s[28:29]
; %bb.28:
	v_add_u32_e32 v1, s42, v9
	v_add_u32_e32 v2, s60, v9
	v_mul_lo_u32 v1, v1, s41
	v_mul_lo_u32 v2, v2, s43
	v_sub_u32_e32 v1, v1, v2
	v_cmp_lt_u32_e64 s[28:29], s61, v1
	s_and_b64 s[84:85], s[28:29], exec
; %bb.29:
	s_or_b64 exec, exec, s[46:47]
	v_add_u32_e32 v1, s37, v30
	v_add_u32_e32 v2, s39, v30
	v_mul_lo_u32 v1, v1, s36
	v_mul_lo_u32 v2, v2, s38
	v_sub_u32_e32 v1, v1, v2
	v_cmp_ge_u32_e64 s[28:29], s40, v1
	s_mov_b64 s[46:47], -1
	s_mov_b64 s[78:79], 0
	s_mov_b64 s[58:59], 0
	s_and_saveexec_b64 s[88:89], s[28:29]
; %bb.30:
	v_add_u32_e32 v1, s42, v30
	v_add_u32_e32 v2, s60, v30
	v_mul_lo_u32 v1, v1, s41
	v_mul_lo_u32 v2, v2, s43
	v_sub_u32_e32 v1, v1, v2
	v_cmp_lt_u32_e64 s[28:29], s61, v1
	s_and_b64 s[58:59], s[28:29], exec
	s_xor_b64 s[46:47], exec, -1
; %bb.31:
	s_or_b64 exec, exec, s[88:89]
	v_cndmask_b32_e64 v52, 0, 1, s[86:87]
	v_cndmask_b32_e64 v55, 0, 1, s[24:25]
	;; [unrolled: 1-line block ×22, first 2 shown]
	v_cndmask_b32_e64 v32, 0, 1, vcc
	v_cndmask_b32_e64 v54, 0, 1, s[84:85]
	s_load_dwordx2 s[12:13], s[4:5], 0x78
	s_add_i32 s18, s7, 0xd00
	s_and_b64 vcc, exec, s[78:79]
	s_cbranch_vccnz .LBB435_33
	s_branch .LBB435_86
.LBB435_32:
                                        ; implicit-def: $sgpr46_sgpr47
                                        ; implicit-def: $sgpr58_sgpr59
                                        ; implicit-def: $vgpr54
                                        ; implicit-def: $vgpr52
                                        ; implicit-def: $vgpr50
                                        ; implicit-def: $vgpr48
                                        ; implicit-def: $vgpr46
                                        ; implicit-def: $vgpr44
                                        ; implicit-def: $vgpr42
                                        ; implicit-def: $vgpr40
                                        ; implicit-def: $vgpr38
                                        ; implicit-def: $vgpr32
                                        ; implicit-def: $vgpr34
                                        ; implicit-def: $vgpr36
                                        ; implicit-def: $vgpr39
                                        ; implicit-def: $vgpr41
                                        ; implicit-def: $vgpr43
                                        ; implicit-def: $vgpr45
                                        ; implicit-def: $vgpr47
                                        ; implicit-def: $vgpr49
                                        ; implicit-def: $vgpr51
                                        ; implicit-def: $vgpr53
                                        ; implicit-def: $vgpr55
                                        ; implicit-def: $vgpr33
                                        ; implicit-def: $vgpr35
                                        ; implicit-def: $vgpr37
	s_load_dwordx2 s[12:13], s[4:5], 0x78
	s_add_i32 s18, s7, 0xd00
	s_cbranch_execz .LBB435_86
.LBB435_33:
	v_cmp_gt_u32_e32 vcc, s18, v31
	v_mov_b32_e32 v33, 0
	v_mov_b32_e32 v32, 0
	s_and_saveexec_b64 s[4:5], vcc
	s_cbranch_execz .LBB435_37
; %bb.34:
	v_add_u32_e32 v1, s37, v18
	v_add_u32_e32 v2, s39, v18
	v_mul_lo_u32 v1, v1, s36
	v_mul_lo_u32 v2, v2, s38
	v_sub_u32_e32 v1, v1, v2
	v_cmp_lt_u32_e32 vcc, s40, v1
	v_cmp_ge_u32_e64 s[2:3], s40, v1
	s_mov_b64 s[10:11], 0
	s_and_saveexec_b64 s[8:9], s[2:3]
; %bb.35:
	v_add_u32_e32 v1, s42, v18
	v_add_u32_e32 v2, s60, v18
	v_mul_lo_u32 v1, v1, s41
	v_mul_lo_u32 v2, v2, s43
	v_sub_u32_e32 v1, v1, v2
	v_cmp_lt_u32_e64 s[2:3], s61, v1
	s_and_b64 s[10:11], s[2:3], exec
; %bb.36:
	s_or_b64 exec, exec, s[8:9]
	v_cndmask_b32_e64 v32, 0, 1, vcc
	v_cndmask_b32_e64 v33, 0, 1, s[10:11]
.LBB435_37:
	s_or_b64 exec, exec, s[4:5]
	v_add_u32_e32 v1, 1, v31
	v_cmp_gt_u32_e32 vcc, s18, v1
	v_mov_b32_e32 v34, 0
	v_mov_b32_e32 v35, 0
	s_and_saveexec_b64 s[4:5], vcc
	s_cbranch_execz .LBB435_41
; %bb.38:
	v_add_u32_e32 v1, s37, v19
	v_add_u32_e32 v2, s39, v19
	v_mul_lo_u32 v1, v1, s36
	v_mul_lo_u32 v2, v2, s38
	v_sub_u32_e32 v1, v1, v2
	v_cmp_lt_u32_e32 vcc, s40, v1
	v_cmp_ge_u32_e64 s[2:3], s40, v1
	s_mov_b64 s[10:11], 0
	s_and_saveexec_b64 s[8:9], s[2:3]
; %bb.39:
	v_add_u32_e32 v1, s42, v19
	v_add_u32_e32 v2, s60, v19
	v_mul_lo_u32 v1, v1, s41
	v_mul_lo_u32 v2, v2, s43
	v_sub_u32_e32 v1, v1, v2
	v_cmp_lt_u32_e64 s[2:3], s61, v1
	s_and_b64 s[10:11], s[2:3], exec
; %bb.40:
	s_or_b64 exec, exec, s[8:9]
	v_cndmask_b32_e64 v34, 0, 1, vcc
	v_cndmask_b32_e64 v35, 0, 1, s[10:11]
.LBB435_41:
	s_or_b64 exec, exec, s[4:5]
	v_add_u32_e32 v1, 2, v31
	;; [unrolled: 30-line block ×12, first 2 shown]
	v_cmp_gt_u32_e32 vcc, s18, v1
	s_mov_b64 s[46:47], 0
	s_mov_b64 s[58:59], 0
	s_and_saveexec_b64 s[2:3], vcc
	s_cbranch_execz .LBB435_85
; %bb.82:
	v_add_u32_e32 v1, s37, v30
	v_add_u32_e32 v2, s39, v30
	v_mul_lo_u32 v1, v1, s36
	v_mul_lo_u32 v2, v2, s38
	v_sub_u32_e32 v1, v1, v2
	v_cmp_ge_u32_e32 vcc, s40, v1
	s_mov_b64 s[8:9], -1
	s_mov_b64 s[10:11], 0
	s_and_saveexec_b64 s[4:5], vcc
; %bb.83:
	v_add_u32_e32 v1, s42, v30
	v_add_u32_e32 v2, s60, v30
	v_mul_lo_u32 v1, v1, s41
	v_mul_lo_u32 v2, v2, s43
	v_sub_u32_e32 v1, v1, v2
	v_cmp_lt_u32_e32 vcc, s61, v1
	s_and_b64 s[10:11], vcc, exec
	s_xor_b64 s[8:9], exec, -1
; %bb.84:
	s_or_b64 exec, exec, s[4:5]
	s_and_b64 s[58:59], s[10:11], exec
	s_and_b64 s[46:47], s[8:9], exec
.LBB435_85:
	s_or_b64 exec, exec, s[2:3]
.LBB435_86:
	v_and_b32_e32 v63, 0xff, v33
	v_and_b32_e32 v74, 0xff, v35
	;; [unrolled: 1-line block ×5, first 2 shown]
	v_add3_u32 v2, v74, v65, v63
	v_and_b32_e32 v76, 0xff, v42
	v_and_b32_e32 v69, 0xff, v44
	v_add3_u32 v2, v2, v75, v67
	v_and_b32_e32 v62, 0xff, v32
	v_and_b32_e32 v56, 0xff, v34
	;; [unrolled: 1-line block ×5, first 2 shown]
	v_add3_u32 v2, v2, v76, v69
	v_and_b32_e32 v57, 0xff, v39
	v_and_b32_e32 v66, 0xff, v41
	;; [unrolled: 1-line block ×4, first 2 shown]
	v_add3_u32 v3, v56, v64, v62
	v_add3_u32 v2, v2, v77, v71
	v_and_b32_e32 v58, 0xff, v43
	v_and_b32_e32 v68, 0xff, v45
	;; [unrolled: 1-line block ×3, first 2 shown]
	v_cndmask_b32_e64 v1, 0, 1, s[58:59]
	v_add3_u32 v3, v3, v57, v66
	v_add3_u32 v2, v2, v78, v73
	v_and_b32_e32 v59, 0xff, v47
	v_and_b32_e32 v70, 0xff, v49
	v_add3_u32 v3, v3, v58, v68
	v_add3_u32 v86, v2, v79, v1
	v_mbcnt_lo_u32_b32 v1, -1, 0
	v_and_b32_e32 v60, 0xff, v51
	v_and_b32_e32 v72, 0xff, v53
	v_add3_u32 v3, v3, v59, v70
	v_mbcnt_hi_u32_b32 v80, -1, v1
	v_and_b32_e32 v61, 0xff, v55
	v_add3_u32 v3, v3, v60, v72
	v_cndmask_b32_e64 v4, 0, 1, s[46:47]
	v_and_b32_e32 v84, 15, v80
	s_cmp_lg_u32 s6, 0
	v_add3_u32 v85, v3, v61, v4
	v_cmp_eq_u32_e64 s[4:5], 0, v84
	v_cmp_lt_u32_e64 s[2:3], 1, v84
	v_cmp_lt_u32_e64 s[8:9], 3, v84
	;; [unrolled: 1-line block ×3, first 2 shown]
	v_and_b32_e32 v83, 16, v80
	v_cmp_lt_u32_e32 vcc, 31, v80
	v_lshrrev_b32_e32 v81, 6, v0
	v_or_b32_e32 v82, 63, v0
	s_cbranch_scc0 .LBB435_115
; %bb.87:
	v_mov_b32_dpp v1, v85 row_shr:1 row_mask:0xf bank_mask:0xf
	v_mov_b32_dpp v2, v86 row_shr:1 row_mask:0xf bank_mask:0xf
	v_add_u32_e32 v1, v1, v85
	v_add_u32_e32 v2, v2, v86
	v_cndmask_b32_e64 v2, v2, v86, s[4:5]
	v_cndmask_b32_e64 v1, v1, v85, s[4:5]
	s_nop 0
	v_mov_b32_dpp v4, v2 row_shr:2 row_mask:0xf bank_mask:0xf
	v_mov_b32_dpp v3, v1 row_shr:2 row_mask:0xf bank_mask:0xf
	v_add_u32_e32 v3, v1, v3
	v_add_u32_e32 v4, v2, v4
	v_cndmask_b32_e64 v2, v2, v4, s[2:3]
	v_cndmask_b32_e64 v1, v1, v3, s[2:3]
	s_nop 0
	v_mov_b32_dpp v4, v2 row_shr:4 row_mask:0xf bank_mask:0xf
	v_mov_b32_dpp v3, v1 row_shr:4 row_mask:0xf bank_mask:0xf
	v_add_u32_e32 v3, v1, v3
	v_add_u32_e32 v4, v2, v4
	v_cndmask_b32_e64 v2, v2, v4, s[8:9]
	v_cndmask_b32_e64 v1, v1, v3, s[8:9]
	v_cmp_eq_u32_e64 s[8:9], 0, v83
	v_mov_b32_dpp v4, v2 row_shr:8 row_mask:0xf bank_mask:0xf
	v_mov_b32_dpp v3, v1 row_shr:8 row_mask:0xf bank_mask:0xf
	v_add_u32_e32 v3, v1, v3
	v_add_u32_e32 v4, v2, v4
	v_cndmask_b32_e64 v2, v2, v4, s[10:11]
	v_cndmask_b32_e64 v1, v1, v3, s[10:11]
	s_nop 0
	v_mov_b32_dpp v4, v2 row_bcast:15 row_mask:0xf bank_mask:0xf
	v_mov_b32_dpp v3, v1 row_bcast:15 row_mask:0xf bank_mask:0xf
	v_add_u32_e32 v3, v1, v3
	v_add_u32_e32 v4, v2, v4
	v_cndmask_b32_e64 v2, v4, v2, s[8:9]
	v_cndmask_b32_e64 v1, v3, v1, s[8:9]
	s_nop 0
	v_mov_b32_dpp v4, v2 row_bcast:31 row_mask:0xf bank_mask:0xf
	v_mov_b32_dpp v3, v1 row_bcast:31 row_mask:0xf bank_mask:0xf
	v_add_u32_e32 v4, v2, v4
	v_add_u32_e32 v5, v1, v3
	v_cndmask_b32_e32 v3, v2, v4, vcc
	v_cndmask_b32_e32 v2, v1, v5, vcc
	v_cmp_eq_u32_e32 vcc, v82, v0
	s_and_saveexec_b64 s[8:9], vcc
	s_cbranch_execz .LBB435_89
; %bb.88:
	v_lshlrev_b32_e32 v1, 3, v81
	ds_write_b64 v1, v[2:3]
.LBB435_89:
	s_or_b64 exec, exec, s[8:9]
	v_cmp_gt_u32_e32 vcc, 4, v0
	s_waitcnt lgkmcnt(0)
	s_barrier
	s_and_saveexec_b64 s[8:9], vcc
	s_cbranch_execz .LBB435_91
; %bb.90:
	v_lshlrev_b32_e32 v1, 3, v0
	ds_read_b64 v[4:5], v1
	v_and_b32_e32 v6, 3, v80
	v_cmp_eq_u32_e32 vcc, 0, v6
	s_waitcnt lgkmcnt(0)
	v_mov_b32_dpp v7, v4 row_shr:1 row_mask:0xf bank_mask:0xf
	v_mov_b32_dpp v20, v5 row_shr:1 row_mask:0xf bank_mask:0xf
	v_add_u32_e32 v7, v7, v4
	v_add_u32_e32 v20, v20, v5
	v_cndmask_b32_e32 v5, v20, v5, vcc
	v_cndmask_b32_e32 v4, v7, v4, vcc
	v_cmp_lt_u32_e32 vcc, 1, v6
	v_mov_b32_dpp v20, v5 row_shr:2 row_mask:0xf bank_mask:0xf
	v_mov_b32_dpp v7, v4 row_shr:2 row_mask:0xf bank_mask:0xf
	v_cndmask_b32_e32 v6, 0, v7, vcc
	v_cndmask_b32_e32 v7, 0, v20, vcc
	v_add_u32_e32 v5, v7, v5
	v_add_u32_e32 v4, v6, v4
	ds_write_b64 v1, v[4:5]
.LBB435_91:
	s_or_b64 exec, exec, s[8:9]
	v_cmp_gt_u32_e32 vcc, 64, v0
	v_cmp_lt_u32_e64 s[8:9], 63, v0
	s_waitcnt lgkmcnt(0)
	s_barrier
	s_waitcnt lgkmcnt(0)
                                        ; implicit-def: $vgpr21
	s_and_saveexec_b64 s[10:11], s[8:9]
	s_xor_b64 s[8:9], exec, s[10:11]
	s_cbranch_execz .LBB435_93
; %bb.92:
	v_lshl_add_u32 v1, v81, 3, -8
	ds_read_b64 v[20:21], v1
	s_waitcnt lgkmcnt(0)
	v_add_u32_e32 v3, v21, v3
	v_add_u32_e32 v2, v20, v2
.LBB435_93:
	s_andn2_saveexec_b64 s[8:9], s[8:9]
; %bb.94:
                                        ; implicit-def: $vgpr20
; %bb.95:
	s_or_b64 exec, exec, s[8:9]
	v_add_u32_e32 v1, -1, v80
	v_and_b32_e32 v4, 64, v80
	v_cmp_lt_i32_e64 s[8:9], v1, v4
	v_cndmask_b32_e64 v1, v1, v80, s[8:9]
	v_lshlrev_b32_e32 v4, 2, v1
	ds_bpermute_b32 v1, v4, v2
	ds_bpermute_b32 v87, v4, v3
	v_cmp_eq_u32_e64 s[8:9], 0, v80
	s_and_saveexec_b64 s[10:11], vcc
	s_cbranch_execz .LBB435_114
; %bb.96:
	v_mov_b32_e32 v7, 0
	ds_read_b64 v[22:23], v7 offset:24
	s_and_saveexec_b64 s[14:15], s[8:9]
	s_cbranch_execz .LBB435_98
; %bb.97:
	s_add_i32 s16, s6, 64
	s_mov_b32 s17, 0
	s_lshl_b64 s[16:17], s[16:17], 4
	s_waitcnt lgkmcnt(0)
	v_and_b32_e32 v2, 0xff000000, v23
	v_and_b32_e32 v3, 0xff0000, v23
	s_add_u32 s16, s12, s16
	v_or_b32_e32 v2, v3, v2
	v_and_b32_e32 v3, 0xff00, v23
	s_addc_u32 s17, s13, s17
	v_or_b32_e32 v2, v2, v3
	v_or_b32_sdwa v5, v2, v23 dst_sel:DWORD dst_unused:UNUSED_PAD src0_sel:DWORD src1_sel:BYTE_0
	v_mov_b32_e32 v6, 1
	v_mov_b32_e32 v4, v22
	v_pk_mov_b32 v[2:3], s[16:17], s[16:17] op_sel:[0,1]
	;;#ASMSTART
	global_store_dwordx4 v[2:3], v[4:7] off	
s_waitcnt vmcnt(0)
	;;#ASMEND
.LBB435_98:
	s_or_b64 exec, exec, s[14:15]
	v_xad_u32 v24, v80, -1, s6
	v_add_u32_e32 v6, 64, v24
	v_lshlrev_b64 v[2:3], 4, v[6:7]
	v_mov_b32_e32 v4, s13
	v_add_co_u32_e32 v26, vcc, s12, v2
	v_addc_co_u32_e32 v27, vcc, v4, v3, vcc
	;;#ASMSTART
	global_load_dwordx4 v[2:5], v[26:27] off glc	
s_waitcnt vmcnt(0)
	;;#ASMEND
	v_and_b32_e32 v5, 0xff, v3
	v_and_b32_e32 v6, 0xff00, v3
	v_or3_b32 v5, 0, v5, v6
	v_or3_b32 v2, v2, 0, 0
	v_and_b32_e32 v6, 0xff000000, v3
	v_and_b32_e32 v3, 0xff0000, v3
	v_or3_b32 v3, v5, v3, v6
	v_or3_b32 v2, v2, 0, 0
	v_cmp_eq_u16_sdwa s[16:17], v4, v7 src0_sel:BYTE_0 src1_sel:DWORD
	s_and_saveexec_b64 s[14:15], s[16:17]
	s_cbranch_execz .LBB435_102
; %bb.99:
	s_mov_b64 s[16:17], 0
	v_mov_b32_e32 v6, 0
.LBB435_100:                            ; =>This Inner Loop Header: Depth=1
	;;#ASMSTART
	global_load_dwordx4 v[2:5], v[26:27] off glc	
s_waitcnt vmcnt(0)
	;;#ASMEND
	v_cmp_ne_u16_sdwa s[20:21], v4, v6 src0_sel:BYTE_0 src1_sel:DWORD
	s_or_b64 s[16:17], s[20:21], s[16:17]
	s_andn2_b64 exec, exec, s[16:17]
	s_cbranch_execnz .LBB435_100
; %bb.101:
	s_or_b64 exec, exec, s[16:17]
.LBB435_102:
	s_or_b64 exec, exec, s[14:15]
	v_and_b32_e32 v89, 63, v80
	v_cmp_ne_u32_e32 vcc, 63, v89
	v_mov_b32_e32 v88, 2
	v_addc_co_u32_e32 v26, vcc, 0, v80, vcc
	v_cmp_eq_u16_sdwa s[14:15], v4, v88 src0_sel:BYTE_0 src1_sel:DWORD
	v_lshlrev_b64 v[6:7], v80, -1
	v_lshlrev_b32_e32 v90, 2, v26
	v_and_b32_e32 v5, s15, v7
	ds_bpermute_b32 v26, v90, v2
	ds_bpermute_b32 v27, v90, v3
	v_or_b32_e32 v5, 0x80000000, v5
	v_and_b32_e32 v25, s14, v6
	v_ffbl_b32_e32 v5, v5
	v_add_u32_e32 v5, 32, v5
	v_ffbl_b32_e32 v25, v25
	v_min_u32_e32 v5, v25, v5
	s_waitcnt lgkmcnt(1)
	v_add_u32_e32 v25, v26, v2
	s_waitcnt lgkmcnt(0)
	v_add_u32_e32 v26, v27, v3
	v_cmp_lt_u32_e32 vcc, v89, v5
	v_cndmask_b32_e32 v3, v3, v26, vcc
	v_cndmask_b32_e32 v2, v2, v25, vcc
	v_cmp_gt_u32_e32 vcc, 62, v89
	v_cndmask_b32_e64 v25, 0, 1, vcc
	v_lshlrev_b32_e32 v25, 1, v25
	v_add_lshl_u32 v91, v25, v80, 2
	ds_bpermute_b32 v25, v91, v2
	ds_bpermute_b32 v26, v91, v3
	v_add_u32_e32 v92, 2, v89
	v_cmp_gt_u32_e32 vcc, v92, v5
	v_add_u32_e32 v94, 4, v89
	s_waitcnt lgkmcnt(1)
	v_add_u32_e32 v25, v2, v25
	s_waitcnt lgkmcnt(0)
	v_add_u32_e32 v26, v3, v26
	v_cndmask_b32_e32 v3, v26, v3, vcc
	v_cndmask_b32_e32 v2, v25, v2, vcc
	v_cmp_gt_u32_e32 vcc, 60, v89
	v_cndmask_b32_e64 v25, 0, 1, vcc
	v_lshlrev_b32_e32 v25, 2, v25
	v_add_lshl_u32 v93, v25, v80, 2
	ds_bpermute_b32 v25, v93, v2
	ds_bpermute_b32 v26, v93, v3
	v_cmp_gt_u32_e32 vcc, v94, v5
	v_add_u32_e32 v96, 8, v89
	v_add_u32_e32 v98, 16, v89
	s_waitcnt lgkmcnt(1)
	v_add_u32_e32 v25, v2, v25
	s_waitcnt lgkmcnt(0)
	v_add_u32_e32 v26, v3, v26
	v_cndmask_b32_e32 v3, v26, v3, vcc
	v_cndmask_b32_e32 v2, v25, v2, vcc
	v_cmp_gt_u32_e32 vcc, 56, v89
	v_cndmask_b32_e64 v25, 0, 1, vcc
	v_lshlrev_b32_e32 v25, 3, v25
	v_add_lshl_u32 v95, v25, v80, 2
	ds_bpermute_b32 v25, v95, v2
	ds_bpermute_b32 v26, v95, v3
	v_cmp_gt_u32_e32 vcc, v96, v5
	v_add_u32_e32 v100, 32, v89
	s_waitcnt lgkmcnt(1)
	v_add_u32_e32 v25, v2, v25
	s_waitcnt lgkmcnt(0)
	v_add_u32_e32 v26, v3, v26
	v_cndmask_b32_e32 v3, v26, v3, vcc
	v_cndmask_b32_e32 v2, v25, v2, vcc
	v_cmp_gt_u32_e32 vcc, 48, v89
	v_cndmask_b32_e64 v25, 0, 1, vcc
	v_lshlrev_b32_e32 v25, 4, v25
	v_add_lshl_u32 v97, v25, v80, 2
	ds_bpermute_b32 v25, v97, v2
	ds_bpermute_b32 v26, v97, v3
	v_cmp_gt_u32_e32 vcc, v98, v5
	s_waitcnt lgkmcnt(1)
	v_add_u32_e32 v25, v2, v25
	s_waitcnt lgkmcnt(0)
	v_add_u32_e32 v26, v3, v26
	v_cndmask_b32_e32 v3, v26, v3, vcc
	v_cndmask_b32_e32 v2, v25, v2, vcc
	v_cmp_gt_u32_e32 vcc, 32, v89
	v_cndmask_b32_e64 v25, 0, 1, vcc
	v_lshlrev_b32_e32 v25, 5, v25
	v_add_lshl_u32 v99, v25, v80, 2
	ds_bpermute_b32 v25, v99, v2
	ds_bpermute_b32 v26, v99, v3
	v_cmp_le_u32_e32 vcc, v100, v5
	s_waitcnt lgkmcnt(1)
	v_cndmask_b32_e32 v5, 0, v25, vcc
	s_waitcnt lgkmcnt(0)
	v_cndmask_b32_e32 v25, 0, v26, vcc
	v_add_u32_e32 v3, v3, v25
	v_add_u32_e32 v2, v2, v5
	v_mov_b32_e32 v25, 0
	s_branch .LBB435_104
.LBB435_103:                            ;   in Loop: Header=BB435_104 Depth=1
	s_or_b64 exec, exec, s[14:15]
	v_cmp_eq_u16_sdwa s[14:15], v4, v88 src0_sel:BYTE_0 src1_sel:DWORD
	v_and_b32_e32 v5, s15, v7
	ds_bpermute_b32 v29, v90, v2
	ds_bpermute_b32 v101, v90, v3
	v_or_b32_e32 v5, 0x80000000, v5
	v_and_b32_e32 v28, s14, v6
	v_ffbl_b32_e32 v5, v5
	v_add_u32_e32 v5, 32, v5
	v_ffbl_b32_e32 v28, v28
	v_min_u32_e32 v5, v28, v5
	s_waitcnt lgkmcnt(1)
	v_add_u32_e32 v28, v29, v2
	s_waitcnt lgkmcnt(0)
	v_add_u32_e32 v29, v101, v3
	v_cmp_lt_u32_e32 vcc, v89, v5
	v_cndmask_b32_e32 v3, v3, v29, vcc
	v_cndmask_b32_e32 v2, v2, v28, vcc
	ds_bpermute_b32 v28, v91, v2
	ds_bpermute_b32 v29, v91, v3
	v_cmp_gt_u32_e32 vcc, v92, v5
	v_subrev_u32_e32 v24, 64, v24
	s_waitcnt lgkmcnt(1)
	v_add_u32_e32 v28, v2, v28
	s_waitcnt lgkmcnt(0)
	v_add_u32_e32 v29, v3, v29
	v_cndmask_b32_e32 v3, v29, v3, vcc
	v_cndmask_b32_e32 v2, v28, v2, vcc
	ds_bpermute_b32 v28, v93, v2
	ds_bpermute_b32 v29, v93, v3
	v_cmp_gt_u32_e32 vcc, v94, v5
	s_waitcnt lgkmcnt(1)
	v_add_u32_e32 v28, v2, v28
	s_waitcnt lgkmcnt(0)
	v_add_u32_e32 v29, v3, v29
	v_cndmask_b32_e32 v3, v29, v3, vcc
	v_cndmask_b32_e32 v2, v28, v2, vcc
	ds_bpermute_b32 v28, v95, v2
	ds_bpermute_b32 v29, v95, v3
	v_cmp_gt_u32_e32 vcc, v96, v5
	;; [unrolled: 9-line block ×3, first 2 shown]
	s_waitcnt lgkmcnt(1)
	v_add_u32_e32 v28, v2, v28
	s_waitcnt lgkmcnt(0)
	v_add_u32_e32 v29, v3, v29
	v_cndmask_b32_e32 v3, v29, v3, vcc
	v_cndmask_b32_e32 v2, v28, v2, vcc
	ds_bpermute_b32 v28, v99, v2
	ds_bpermute_b32 v29, v99, v3
	v_cmp_le_u32_e32 vcc, v100, v5
	s_waitcnt lgkmcnt(1)
	v_cndmask_b32_e32 v5, 0, v28, vcc
	s_waitcnt lgkmcnt(0)
	v_cndmask_b32_e32 v28, 0, v29, vcc
	v_add3_u32 v3, v28, v27, v3
	v_add3_u32 v2, v5, v26, v2
.LBB435_104:                            ; =>This Loop Header: Depth=1
                                        ;     Child Loop BB435_107 Depth 2
	v_cmp_ne_u16_sdwa s[14:15], v4, v88 src0_sel:BYTE_0 src1_sel:DWORD
	v_cndmask_b32_e64 v4, 0, 1, s[14:15]
	;;#ASMSTART
	;;#ASMEND
	v_cmp_ne_u32_e32 vcc, 0, v4
	s_cmp_lg_u64 vcc, exec
	v_pk_mov_b32 v[26:27], v[2:3], v[2:3] op_sel:[0,1]
	s_cbranch_scc1 .LBB435_109
; %bb.105:                              ;   in Loop: Header=BB435_104 Depth=1
	v_lshlrev_b64 v[2:3], 4, v[24:25]
	v_mov_b32_e32 v4, s13
	v_add_co_u32_e32 v28, vcc, s12, v2
	v_addc_co_u32_e32 v29, vcc, v4, v3, vcc
	;;#ASMSTART
	global_load_dwordx4 v[2:5], v[28:29] off glc	
s_waitcnt vmcnt(0)
	;;#ASMEND
	v_and_b32_e32 v5, 0xff, v3
	v_and_b32_e32 v101, 0xff00, v3
	v_or3_b32 v5, 0, v5, v101
	v_or3_b32 v2, v2, 0, 0
	v_and_b32_e32 v101, 0xff000000, v3
	v_and_b32_e32 v3, 0xff0000, v3
	v_or3_b32 v3, v5, v3, v101
	v_or3_b32 v2, v2, 0, 0
	v_cmp_eq_u16_sdwa s[16:17], v4, v25 src0_sel:BYTE_0 src1_sel:DWORD
	s_and_saveexec_b64 s[14:15], s[16:17]
	s_cbranch_execz .LBB435_103
; %bb.106:                              ;   in Loop: Header=BB435_104 Depth=1
	s_mov_b64 s[16:17], 0
.LBB435_107:                            ;   Parent Loop BB435_104 Depth=1
                                        ; =>  This Inner Loop Header: Depth=2
	;;#ASMSTART
	global_load_dwordx4 v[2:5], v[28:29] off glc	
s_waitcnt vmcnt(0)
	;;#ASMEND
	v_cmp_ne_u16_sdwa s[20:21], v4, v25 src0_sel:BYTE_0 src1_sel:DWORD
	s_or_b64 s[16:17], s[20:21], s[16:17]
	s_andn2_b64 exec, exec, s[16:17]
	s_cbranch_execnz .LBB435_107
; %bb.108:                              ;   in Loop: Header=BB435_104 Depth=1
	s_or_b64 exec, exec, s[16:17]
	s_branch .LBB435_103
.LBB435_109:                            ;   in Loop: Header=BB435_104 Depth=1
                                        ; implicit-def: $vgpr4
                                        ; implicit-def: $vgpr2_vgpr3
	s_cbranch_execz .LBB435_104
; %bb.110:
	s_and_saveexec_b64 s[14:15], s[8:9]
	s_cbranch_execz .LBB435_112
; %bb.111:
	s_add_i32 s6, s6, 64
	s_mov_b32 s7, 0
	v_add_u32_e32 v3, v27, v23
	s_lshl_b64 s[6:7], s[6:7], 4
	s_add_u32 s6, s12, s6
	v_and_b32_e32 v4, 0xff000000, v3
	v_and_b32_e32 v6, 0xff0000, v3
	s_addc_u32 s7, s13, s7
	v_or_b32_e32 v4, v6, v4
	v_and_b32_e32 v6, 0xff00, v3
	v_and_b32_e32 v3, 0xff, v3
	v_add_u32_e32 v2, v26, v22
	v_mov_b32_e32 v5, 0
	v_or3_b32 v3, v4, v6, v3
	v_mov_b32_e32 v4, 2
	v_pk_mov_b32 v[6:7], s[6:7], s[6:7] op_sel:[0,1]
	;;#ASMSTART
	global_store_dwordx4 v[6:7], v[2:5] off	
s_waitcnt vmcnt(0)
	;;#ASMEND
	s_movk_i32 s6, 0x3400
	v_add_u32_e64 v2, s6, 0
	ds_write2_b32 v2, v22, v23 offset1:2
	ds_write2_b32 v2, v26, v27 offset0:4 offset1:6
.LBB435_112:
	s_or_b64 exec, exec, s[14:15]
	v_cmp_eq_u32_e32 vcc, 0, v0
	s_and_b64 exec, exec, vcc
	s_cbranch_execz .LBB435_114
; %bb.113:
	v_mov_b32_e32 v2, 0
	ds_write_b64 v2, v[26:27] offset:24
.LBB435_114:
	s_or_b64 exec, exec, s[10:11]
	v_mov_b32_e32 v2, 0
	s_waitcnt lgkmcnt(0)
	s_barrier
	ds_read_b64 v[6:7], v2 offset:24
	s_movk_i32 s6, 0x3400
	v_cndmask_b32_e64 v2, v87, v21, s[8:9]
	v_cndmask_b32_e64 v1, v1, v20, s[8:9]
	v_add_u32_e64 v4, s6, 0
	s_waitcnt lgkmcnt(0)
	v_add_u32_e32 v20, v6, v1
	v_add_u32_e32 v1, v7, v2
	s_barrier
	ds_read2_b32 v[2:3], v4 offset1:2
	ds_read2_b32 v[4:5], v4 offset0:4 offset1:6
	v_cmp_eq_u32_e32 vcc, 0, v0
	v_cndmask_b32_e32 v1, v1, v7, vcc
	v_cndmask_b32_e32 v20, v20, v6, vcc
	s_branch .LBB435_125
.LBB435_115:
                                        ; implicit-def: $vgpr1
                                        ; implicit-def: $vgpr4
                                        ; implicit-def: $vgpr2
                                        ; implicit-def: $vgpr20_vgpr21
	s_cbranch_execz .LBB435_125
; %bb.116:
	s_nop 0
	v_mov_b32_dpp v1, v85 row_shr:1 row_mask:0xf bank_mask:0xf
	s_waitcnt lgkmcnt(0)
	v_mov_b32_dpp v2, v86 row_shr:1 row_mask:0xf bank_mask:0xf
	v_add_u32_e32 v1, v1, v85
	v_add_u32_e32 v2, v2, v86
	v_cndmask_b32_e64 v2, v2, v86, s[4:5]
	v_cndmask_b32_e64 v1, v1, v85, s[4:5]
	v_cmp_lt_u32_e32 vcc, 3, v84
	v_mov_b32_dpp v4, v2 row_shr:2 row_mask:0xf bank_mask:0xf
	v_mov_b32_dpp v3, v1 row_shr:2 row_mask:0xf bank_mask:0xf
	v_add_u32_e32 v3, v1, v3
	v_add_u32_e32 v4, v2, v4
	v_cndmask_b32_e64 v2, v2, v4, s[2:3]
	v_cndmask_b32_e64 v1, v1, v3, s[2:3]
	s_nop 0
	v_mov_b32_dpp v4, v2 row_shr:4 row_mask:0xf bank_mask:0xf
	v_mov_b32_dpp v3, v1 row_shr:4 row_mask:0xf bank_mask:0xf
	v_add_u32_e32 v3, v1, v3
	v_add_u32_e32 v4, v2, v4
	v_cndmask_b32_e32 v2, v2, v4, vcc
	v_cndmask_b32_e32 v1, v1, v3, vcc
	v_cmp_lt_u32_e32 vcc, 7, v84
	v_mov_b32_dpp v4, v2 row_shr:8 row_mask:0xf bank_mask:0xf
	v_mov_b32_dpp v3, v1 row_shr:8 row_mask:0xf bank_mask:0xf
	v_add_u32_e32 v3, v1, v3
	v_add_u32_e32 v4, v2, v4
	v_cndmask_b32_e32 v2, v2, v4, vcc
	v_cndmask_b32_e32 v1, v1, v3, vcc
	v_cmp_eq_u32_e32 vcc, 0, v83
	v_mov_b32_dpp v4, v2 row_bcast:15 row_mask:0xf bank_mask:0xf
	v_mov_b32_dpp v3, v1 row_bcast:15 row_mask:0xf bank_mask:0xf
	v_add_u32_e32 v3, v1, v3
	v_add_u32_e32 v4, v2, v4
	v_cndmask_b32_e32 v2, v4, v2, vcc
	v_cndmask_b32_e32 v1, v3, v1, vcc
	v_cmp_lt_u32_e32 vcc, 31, v80
	v_mov_b32_dpp v4, v2 row_bcast:31 row_mask:0xf bank_mask:0xf
	v_mov_b32_dpp v3, v1 row_bcast:31 row_mask:0xf bank_mask:0xf
	v_add_u32_e32 v4, v2, v4
	v_add_u32_e32 v5, v1, v3
	v_cndmask_b32_e32 v3, v2, v4, vcc
	v_cndmask_b32_e32 v2, v1, v5, vcc
	v_cmp_eq_u32_e32 vcc, v82, v0
	s_and_saveexec_b64 s[2:3], vcc
	s_cbranch_execz .LBB435_118
; %bb.117:
	v_lshlrev_b32_e32 v1, 3, v81
	ds_write_b64 v1, v[2:3]
.LBB435_118:
	s_or_b64 exec, exec, s[2:3]
	v_cmp_gt_u32_e32 vcc, 4, v0
	s_waitcnt lgkmcnt(0)
	s_barrier
	s_and_saveexec_b64 s[2:3], vcc
	s_cbranch_execz .LBB435_120
; %bb.119:
	v_lshlrev_b32_e32 v1, 3, v0
	ds_read_b64 v[4:5], v1
	v_and_b32_e32 v6, 3, v80
	v_cmp_eq_u32_e32 vcc, 0, v6
	s_waitcnt lgkmcnt(0)
	v_mov_b32_dpp v7, v4 row_shr:1 row_mask:0xf bank_mask:0xf
	v_mov_b32_dpp v20, v5 row_shr:1 row_mask:0xf bank_mask:0xf
	v_add_u32_e32 v7, v7, v4
	v_add_u32_e32 v20, v20, v5
	v_cndmask_b32_e32 v5, v20, v5, vcc
	v_cndmask_b32_e32 v4, v7, v4, vcc
	v_cmp_lt_u32_e32 vcc, 1, v6
	v_mov_b32_dpp v20, v5 row_shr:2 row_mask:0xf bank_mask:0xf
	v_mov_b32_dpp v7, v4 row_shr:2 row_mask:0xf bank_mask:0xf
	v_cndmask_b32_e32 v6, 0, v7, vcc
	v_cndmask_b32_e32 v7, 0, v20, vcc
	v_add_u32_e32 v5, v7, v5
	v_add_u32_e32 v4, v6, v4
	ds_write_b64 v1, v[4:5]
.LBB435_120:
	s_or_b64 exec, exec, s[2:3]
	v_cmp_lt_u32_e32 vcc, 63, v0
	v_mov_b32_e32 v4, 0
	v_mov_b32_e32 v6, 0
	;; [unrolled: 1-line block ×3, first 2 shown]
	s_waitcnt lgkmcnt(0)
	s_barrier
	s_and_saveexec_b64 s[2:3], vcc
	s_cbranch_execz .LBB435_122
; %bb.121:
	v_lshl_add_u32 v1, v81, 3, -8
	ds_read_b64 v[6:7], v1
.LBB435_122:
	s_or_b64 exec, exec, s[2:3]
	s_waitcnt lgkmcnt(0)
	v_add_u32_e32 v5, v7, v3
	v_add_u32_e32 v1, v6, v2
	v_add_u32_e32 v2, -1, v80
	v_and_b32_e32 v3, 64, v80
	v_cmp_lt_i32_e32 vcc, v2, v3
	v_cndmask_b32_e32 v2, v2, v80, vcc
	v_lshlrev_b32_e32 v20, 2, v2
	ds_read_b64 v[2:3], v4 offset:24
	ds_bpermute_b32 v1, v20, v1
	ds_bpermute_b32 v20, v20, v5
	v_cmp_eq_u32_e32 vcc, 0, v0
	s_waitcnt lgkmcnt(2)
	v_readfirstlane_b32 s4, v3
	s_and_saveexec_b64 s[2:3], vcc
	s_cbranch_execz .LBB435_124
; %bb.123:
	s_add_u32 s6, s12, 0x400
	s_mov_b32 s8, 0
	s_addc_u32 s7, s13, 0
	s_and_b32 s9, s4, 0xff000000
	s_and_b32 s11, s4, 0xff0000
	s_mov_b32 s10, s8
	s_or_b64 s[10:11], s[10:11], s[8:9]
	s_and_b32 s9, s4, 0xff00
	s_or_b64 s[10:11], s[10:11], s[8:9]
	s_and_b32 s9, s4, 0xff
	s_or_b64 s[8:9], s[10:11], s[8:9]
	v_mov_b32_e32 v3, s9
	v_mov_b32_e32 v4, 2
	v_mov_b32_e32 v5, 0
	v_pk_mov_b32 v[22:23], s[6:7], s[6:7] op_sel:[0,1]
	;;#ASMSTART
	global_store_dwordx4 v[22:23], v[2:5] off	
s_waitcnt vmcnt(0)
	;;#ASMEND
.LBB435_124:
	s_or_b64 exec, exec, s[2:3]
	v_cmp_eq_u32_e64 s[2:3], 0, v80
	s_waitcnt lgkmcnt(1)
	v_cndmask_b32_e64 v3, v1, v6, s[2:3]
	s_waitcnt lgkmcnt(0)
	v_cndmask_b32_e64 v1, v20, v7, s[2:3]
	v_mov_b32_e32 v4, 0
	v_cndmask_b32_e64 v1, v1, 0, vcc
	v_cndmask_b32_e64 v20, v3, 0, vcc
	s_barrier
	v_mov_b32_e32 v3, s4
	v_mov_b32_e32 v5, 0
.LBB435_125:
	v_add_u32_e32 v24, v1, v63
	v_add_u32_e32 v25, v24, v74
	;; [unrolled: 1-line block ×14, first 2 shown]
	v_mov_b32_e32 v7, s49
	s_waitcnt lgkmcnt(0)
	v_add_co_u32_e32 v6, vcc, s48, v4
	v_add_u32_e32 v64, v58, v68
	v_add_u32_e32 v68, v66, v71
	v_addc_co_u32_e32 v7, vcc, 0, v7, vcc
	v_add_u32_e32 v69, v68, v78
	v_mov_b32_e32 v22, s51
	v_sub_co_u32_e32 v23, vcc, s50, v2
	v_add_u32_e32 v71, v69, v73
	v_subbrev_co_u32_e32 v73, vcc, 0, v22, vcc
	v_add_co_u32_e32 v22, vcc, v23, v5
	v_addc_co_u32_e32 v23, vcc, 0, v73, vcc
	v_lshlrev_b32_e32 v73, 1, v2
	v_sub_u32_e32 v1, v1, v5
	v_add_u32_e32 v74, v73, v3
	v_sub_u32_e32 v20, v20, v4
	v_add_u32_e32 v1, v1, v2
	v_add_u32_e32 v31, v74, v31
	v_and_b32_e32 v33, 1, v33
	v_add_u32_e32 v74, v20, v1
	v_and_b32_e32 v32, 1, v32
	v_sub_u32_e32 v74, v31, v74
	v_cmp_eq_u32_e32 vcc, 1, v33
	v_cndmask_b32_e32 v1, v74, v1, vcc
	v_cmp_eq_u32_e32 vcc, 1, v32
	v_cndmask_b32_e32 v1, v1, v20, vcc
	v_lshlrev_b32_e32 v1, 2, v1
	v_sub_u32_e32 v20, v24, v5
	ds_write_b32 v1, v18
	v_sub_u32_e32 v1, v21, v4
	v_add_u32_e32 v20, v20, v2
	v_add_u32_e32 v24, v20, v1
	v_and_b32_e32 v21, 1, v35
	v_sub_u32_e32 v24, v31, v24
	v_and_b32_e32 v18, 1, v34
	v_add_u32_e32 v24, 1, v24
	v_cmp_eq_u32_e32 vcc, 1, v21
	v_cndmask_b32_e32 v20, v24, v20, vcc
	v_cmp_eq_u32_e32 vcc, 1, v18
	v_cndmask_b32_e32 v1, v20, v1, vcc
	v_lshlrev_b32_e32 v1, 2, v1
	ds_write_b32 v1, v19
	v_sub_u32_e32 v19, v25, v5
	v_sub_u32_e32 v1, v26, v4
	v_add_u32_e32 v19, v19, v2
	v_add_u32_e32 v21, v19, v1
	v_and_b32_e32 v20, 1, v37
	v_sub_u32_e32 v21, v31, v21
	v_and_b32_e32 v18, 1, v36
	v_add_u32_e32 v21, 2, v21
	v_cmp_eq_u32_e32 vcc, 1, v20
	v_cndmask_b32_e32 v19, v21, v19, vcc
	v_cmp_eq_u32_e32 vcc, 1, v18
	v_cndmask_b32_e32 v1, v19, v1, vcc
	v_lshlrev_b32_e32 v1, 2, v1
	v_sub_u32_e32 v18, v28, v5
	ds_write_b32 v1, v16
	v_sub_u32_e32 v1, v27, v4
	v_add_u32_e32 v18, v18, v2
	v_add_u32_e32 v20, v1, v18
	v_and_b32_e32 v19, 1, v38
	v_sub_u32_e32 v20, v31, v20
	v_and_b32_e32 v16, 1, v39
	v_add_u32_e32 v20, 3, v20
	v_cmp_eq_u32_e32 vcc, 1, v19
	v_cndmask_b32_e32 v18, v20, v18, vcc
	v_cmp_eq_u32_e32 vcc, 1, v16
	v_cndmask_b32_e32 v1, v18, v1, vcc
	v_lshlrev_b32_e32 v1, 2, v1
	ds_write_b32 v1, v17
	v_sub_u32_e32 v17, v29, v5
	v_sub_u32_e32 v1, v56, v4
	v_add_u32_e32 v17, v17, v2
	v_add_u32_e32 v19, v1, v17
	v_and_b32_e32 v18, 1, v40
	v_sub_u32_e32 v19, v31, v19
	v_and_b32_e32 v16, 1, v41
	v_add_u32_e32 v19, 4, v19
	;; [unrolled: 28-line block ×3, first 2 shown]
	v_cmp_eq_u32_e32 vcc, 1, v16
	v_cndmask_b32_e32 v15, v17, v15, vcc
	v_cmp_eq_u32_e32 vcc, 1, v14
	v_cndmask_b32_e32 v1, v15, v1, vcc
	v_lshlrev_b32_e32 v1, 2, v1
	v_sub_u32_e32 v14, v65, v5
	ds_write_b32 v1, v12
	v_sub_u32_e32 v1, v64, v4
	v_add_u32_e32 v14, v14, v2
	v_add_u32_e32 v16, v1, v14
	v_and_b32_e32 v15, 1, v46
	v_sub_u32_e32 v16, v31, v16
	v_and_b32_e32 v12, 1, v47
	v_add_u32_e32 v16, 7, v16
	v_cmp_eq_u32_e32 vcc, 1, v15
	v_cndmask_b32_e32 v14, v16, v14, vcc
	v_cmp_eq_u32_e32 vcc, 1, v12
	v_cndmask_b32_e32 v1, v14, v1, vcc
	v_lshlrev_b32_e32 v1, 2, v1
	v_add_u32_e32 v59, v64, v59
	ds_write_b32 v1, v13
	v_sub_u32_e32 v13, v66, v5
	v_sub_u32_e32 v1, v59, v4
	v_add_u32_e32 v13, v13, v2
	v_add_u32_e32 v15, v1, v13
	v_and_b32_e32 v14, 1, v48
	v_sub_u32_e32 v15, v31, v15
	v_and_b32_e32 v12, 1, v49
	v_add_u32_e32 v15, 8, v15
	v_cmp_eq_u32_e32 vcc, 1, v14
	v_cndmask_b32_e32 v13, v15, v13, vcc
	v_cmp_eq_u32_e32 vcc, 1, v12
	v_cndmask_b32_e32 v1, v13, v1, vcc
	v_add_u32_e32 v67, v59, v70
	v_lshlrev_b32_e32 v1, 2, v1
	v_sub_u32_e32 v12, v68, v5
	ds_write_b32 v1, v10
	v_sub_u32_e32 v1, v67, v4
	v_add_u32_e32 v12, v12, v2
	v_add_u32_e32 v14, v1, v12
	v_and_b32_e32 v13, 1, v50
	v_sub_u32_e32 v14, v31, v14
	v_and_b32_e32 v10, 1, v51
	v_add_u32_e32 v14, 9, v14
	v_cmp_eq_u32_e32 vcc, 1, v13
	v_cndmask_b32_e32 v12, v14, v12, vcc
	v_cmp_eq_u32_e32 vcc, 1, v10
	v_cndmask_b32_e32 v1, v12, v1, vcc
	v_lshlrev_b32_e32 v1, 2, v1
	v_add_u32_e32 v60, v67, v60
	ds_write_b32 v1, v11
	v_sub_u32_e32 v11, v69, v5
	v_sub_u32_e32 v1, v60, v4
	v_add_u32_e32 v11, v11, v2
	v_add_u32_e32 v13, v1, v11
	v_and_b32_e32 v12, 1, v52
	v_sub_u32_e32 v13, v31, v13
	v_and_b32_e32 v10, 1, v53
	v_add_u32_e32 v13, 10, v13
	v_cmp_eq_u32_e32 vcc, 1, v12
	v_cndmask_b32_e32 v11, v13, v11, vcc
	v_cmp_eq_u32_e32 vcc, 1, v10
	v_cndmask_b32_e32 v1, v11, v1, vcc
	v_add_u32_e32 v70, v60, v72
	v_lshlrev_b32_e32 v1, 2, v1
	v_sub_u32_e32 v10, v71, v5
	ds_write_b32 v1, v8
	v_sub_u32_e32 v1, v70, v4
	v_add_u32_e32 v10, v10, v2
	v_add_u32_e32 v12, v1, v10
	v_and_b32_e32 v11, 1, v54
	v_sub_u32_e32 v12, v31, v12
	v_and_b32_e32 v8, 1, v55
	v_add_u32_e32 v12, 11, v12
	v_cmp_eq_u32_e32 vcc, 1, v11
	v_cndmask_b32_e32 v10, v12, v10, vcc
	v_cmp_eq_u32_e32 vcc, 1, v8
	v_cndmask_b32_e32 v1, v10, v1, vcc
	v_add_u32_e32 v72, v71, v79
	v_add_u32_e32 v61, v70, v61
	v_lshlrev_b32_e32 v1, 2, v1
	ds_write_b32 v1, v9
	v_sub_u32_e32 v1, v61, v4
	v_sub_u32_e32 v4, v72, v5
	v_add_u32_e32 v4, v4, v2
	v_add_u32_e32 v8, v1, v4
	v_sub_u32_e32 v8, v31, v8
	v_add_u32_e32 v8, 12, v8
	v_cndmask_b32_e64 v4, v8, v4, s[58:59]
	v_cndmask_b32_e64 v1, v4, v1, s[46:47]
	v_lshlrev_b32_e32 v1, 2, v1
	ds_write_b32 v1, v30
	v_add_co_u32_e32 v1, vcc, v3, v73
	v_addc_co_u32_e64 v4, s[2:3], 0, 0, vcc
	v_add_co_u32_e32 v1, vcc, v1, v22
	v_addc_co_u32_e32 v4, vcc, v4, v23, vcc
	s_add_u32 s4, s56, s33
	v_add_co_u32_e32 v1, vcc, v1, v6
	s_addc_u32 s5, s57, 0
	v_addc_co_u32_e32 v4, vcc, v4, v7, vcc
	v_mov_b32_e32 v8, s5
	v_sub_co_u32_e32 v1, vcc, s4, v1
	v_subb_co_u32_e32 v4, vcc, v8, v4, vcc
	v_lshlrev_b64 v[8:9], 2, v[22:23]
	v_mov_b32_e32 v10, s55
	v_add_co_u32_e32 v8, vcc, s54, v8
	v_addc_co_u32_e32 v9, vcc, v10, v9, vcc
	v_lshlrev_b64 v[10:11], 2, v[6:7]
	v_mov_b32_e32 v13, s53
	v_add_co_u32_e32 v10, vcc, s52, v10
	s_add_u32 s6, s34, -4
	v_addc_co_u32_e32 v11, vcc, v13, v11, vcc
	s_addc_u32 s7, s35, -1
	v_add_u32_e32 v12, v2, v3
	s_and_b64 vcc, exec, s[0:1]
	s_mov_b64 s[0:1], -1
	s_waitcnt lgkmcnt(0)
	s_barrier
	s_cbranch_vccz .LBB435_129
; %bb.126:
	s_and_b64 vcc, exec, s[0:1]
	s_cbranch_vccnz .LBB435_234
.LBB435_127:
	v_cmp_eq_u32_e32 vcc, 0, v0
	s_and_b64 s[0:1], vcc, s[30:31]
	s_and_saveexec_b64 s[2:3], s[0:1]
	s_cbranch_execnz .LBB435_352
.LBB435_128:
	s_endpgm
.LBB435_129:
	v_cmp_le_u32_e32 vcc, v2, v0
	s_and_saveexec_b64 s[0:1], vcc
	s_xor_b64 s[0:1], exec, s[0:1]
	s_cbranch_execz .LBB435_135
; %bb.130:
	v_cmp_le_u32_e32 vcc, v12, v0
	s_and_saveexec_b64 s[2:3], vcc
	s_xor_b64 s[2:3], exec, s[2:3]
	s_cbranch_execz .LBB435_132
; %bb.131:
	v_lshlrev_b32_e32 v13, 2, v0
	v_add_co_u32_e32 v14, vcc, v1, v0
	ds_read_b32 v13, v13
	v_addc_co_u32_e32 v15, vcc, 0, v4, vcc
	v_lshlrev_b64 v[14:15], 2, v[14:15]
	v_mov_b32_e32 v16, s35
	v_sub_co_u32_e32 v14, vcc, s34, v14
	v_subb_co_u32_e32 v15, vcc, v16, v15, vcc
	s_waitcnt lgkmcnt(0)
	global_store_dword v[14:15], v13, off offset:-4
.LBB435_132:
	s_andn2_saveexec_b64 s[2:3], s[2:3]
	s_cbranch_execz .LBB435_134
; %bb.133:
	v_lshlrev_b32_e32 v13, 2, v0
	ds_read_b32 v14, v13
	v_readfirstlane_b32 s4, v8
	v_readfirstlane_b32 s5, v9
	s_waitcnt lgkmcnt(0)
	s_nop 3
	global_store_dword v13, v14, s[4:5]
.LBB435_134:
	s_or_b64 exec, exec, s[2:3]
.LBB435_135:
	s_andn2_saveexec_b64 s[0:1], s[0:1]
	s_cbranch_execz .LBB435_137
; %bb.136:
	v_lshlrev_b32_e32 v13, 2, v0
	ds_read_b32 v14, v13
	v_readfirstlane_b32 s2, v10
	v_readfirstlane_b32 s3, v11
	s_waitcnt lgkmcnt(0)
	s_nop 3
	global_store_dword v13, v14, s[2:3]
.LBB435_137:
	s_or_b64 exec, exec, s[0:1]
	v_or_b32_e32 v13, 0x100, v0
	v_cmp_le_u32_e32 vcc, v2, v13
	s_and_saveexec_b64 s[0:1], vcc
	s_xor_b64 s[0:1], exec, s[0:1]
	s_cbranch_execz .LBB435_143
; %bb.138:
	v_cmp_le_u32_e32 vcc, v12, v13
	s_and_saveexec_b64 s[2:3], vcc
	s_xor_b64 s[2:3], exec, s[2:3]
	s_cbranch_execz .LBB435_140
; %bb.139:
	v_lshlrev_b32_e32 v13, 2, v0
	ds_read_b32 v13, v13 offset:1024
	v_add_co_u32_e32 v14, vcc, v1, v0
	v_addc_co_u32_e32 v15, vcc, 0, v4, vcc
	v_lshlrev_b64 v[14:15], 2, v[14:15]
	v_mov_b32_e32 v16, s7
	v_sub_co_u32_e32 v14, vcc, s6, v14
	v_subb_co_u32_e32 v15, vcc, v16, v15, vcc
	s_waitcnt lgkmcnt(0)
	global_store_dword v[14:15], v13, off offset:-1024
.LBB435_140:
	s_andn2_saveexec_b64 s[2:3], s[2:3]
	s_cbranch_execz .LBB435_142
; %bb.141:
	v_lshlrev_b32_e32 v13, 2, v0
	ds_read_b32 v14, v13 offset:1024
	v_readfirstlane_b32 s4, v8
	v_readfirstlane_b32 s5, v9
	s_waitcnt lgkmcnt(0)
	s_nop 3
	global_store_dword v13, v14, s[4:5] offset:1024
.LBB435_142:
	s_or_b64 exec, exec, s[2:3]
.LBB435_143:
	s_andn2_saveexec_b64 s[0:1], s[0:1]
	s_cbranch_execz .LBB435_145
; %bb.144:
	v_lshlrev_b32_e32 v13, 2, v0
	ds_read_b32 v14, v13 offset:1024
	v_readfirstlane_b32 s2, v10
	v_readfirstlane_b32 s3, v11
	s_waitcnt lgkmcnt(0)
	s_nop 3
	global_store_dword v13, v14, s[2:3] offset:1024
.LBB435_145:
	s_or_b64 exec, exec, s[0:1]
	v_or_b32_e32 v13, 0x200, v0
	v_cmp_le_u32_e32 vcc, v2, v13
	s_and_saveexec_b64 s[0:1], vcc
	s_xor_b64 s[0:1], exec, s[0:1]
	s_cbranch_execz .LBB435_151
; %bb.146:
	v_cmp_le_u32_e32 vcc, v12, v13
	s_and_saveexec_b64 s[2:3], vcc
	s_xor_b64 s[2:3], exec, s[2:3]
	s_cbranch_execz .LBB435_148
; %bb.147:
	v_lshlrev_b32_e32 v13, 2, v0
	ds_read_b32 v13, v13 offset:2048
	v_add_co_u32_e32 v14, vcc, v1, v0
	v_addc_co_u32_e32 v15, vcc, 0, v4, vcc
	v_lshlrev_b64 v[14:15], 2, v[14:15]
	v_mov_b32_e32 v16, s7
	v_sub_co_u32_e32 v14, vcc, s6, v14
	v_subb_co_u32_e32 v15, vcc, v16, v15, vcc
	s_waitcnt lgkmcnt(0)
	global_store_dword v[14:15], v13, off offset:-2048
.LBB435_148:
	s_andn2_saveexec_b64 s[2:3], s[2:3]
	s_cbranch_execz .LBB435_150
; %bb.149:
	v_lshlrev_b32_e32 v13, 2, v0
	ds_read_b32 v14, v13 offset:2048
	v_readfirstlane_b32 s4, v8
	v_readfirstlane_b32 s5, v9
	s_waitcnt lgkmcnt(0)
	s_nop 3
	global_store_dword v13, v14, s[4:5] offset:2048
.LBB435_150:
	s_or_b64 exec, exec, s[2:3]
.LBB435_151:
	s_andn2_saveexec_b64 s[0:1], s[0:1]
	s_cbranch_execz .LBB435_153
; %bb.152:
	v_lshlrev_b32_e32 v13, 2, v0
	ds_read_b32 v14, v13 offset:2048
	v_readfirstlane_b32 s2, v10
	v_readfirstlane_b32 s3, v11
	s_waitcnt lgkmcnt(0)
	s_nop 3
	global_store_dword v13, v14, s[2:3] offset:2048
.LBB435_153:
	;; [unrolled: 47-line block ×3, first 2 shown]
	s_or_b64 exec, exec, s[0:1]
	v_or_b32_e32 v13, 0x400, v0
	v_cmp_le_u32_e32 vcc, v2, v13
	s_and_saveexec_b64 s[0:1], vcc
	s_xor_b64 s[0:1], exec, s[0:1]
	s_cbranch_execz .LBB435_167
; %bb.162:
	v_cmp_le_u32_e32 vcc, v12, v13
	s_and_saveexec_b64 s[2:3], vcc
	s_xor_b64 s[2:3], exec, s[2:3]
	s_cbranch_execz .LBB435_164
; %bb.163:
	v_lshlrev_b32_e32 v13, 2, v0
	ds_read_b32 v13, v13 offset:4096
	v_add_co_u32_e32 v14, vcc, v1, v0
	v_addc_co_u32_e32 v15, vcc, 0, v4, vcc
	v_lshlrev_b64 v[14:15], 2, v[14:15]
	v_mov_b32_e32 v16, s7
	v_sub_co_u32_e32 v14, vcc, s6, v14
	v_subb_co_u32_e32 v15, vcc, v16, v15, vcc
	s_waitcnt lgkmcnt(0)
	global_store_dword v[14:15], v13, off offset:-4096
                                        ; implicit-def: $vgpr13
.LBB435_164:
	s_andn2_saveexec_b64 s[2:3], s[2:3]
	s_cbranch_execz .LBB435_166
; %bb.165:
	v_lshlrev_b32_e32 v14, 2, v0
	ds_read_b32 v14, v14 offset:4096
	v_lshlrev_b32_e32 v13, 2, v13
	v_readfirstlane_b32 s4, v8
	v_readfirstlane_b32 s5, v9
	s_waitcnt lgkmcnt(0)
	s_nop 3
	global_store_dword v13, v14, s[4:5]
.LBB435_166:
	s_or_b64 exec, exec, s[2:3]
                                        ; implicit-def: $vgpr13
.LBB435_167:
	s_andn2_saveexec_b64 s[0:1], s[0:1]
	s_cbranch_execz .LBB435_169
; %bb.168:
	v_lshlrev_b32_e32 v14, 2, v0
	ds_read_b32 v14, v14 offset:4096
	v_lshlrev_b32_e32 v13, 2, v13
	v_readfirstlane_b32 s2, v10
	v_readfirstlane_b32 s3, v11
	s_waitcnt lgkmcnt(0)
	s_nop 3
	global_store_dword v13, v14, s[2:3]
.LBB435_169:
	s_or_b64 exec, exec, s[0:1]
	v_or_b32_e32 v13, 0x500, v0
	v_cmp_le_u32_e32 vcc, v2, v13
	s_and_saveexec_b64 s[0:1], vcc
	s_xor_b64 s[0:1], exec, s[0:1]
	s_cbranch_execz .LBB435_175
; %bb.170:
	v_cmp_le_u32_e32 vcc, v12, v13
	s_and_saveexec_b64 s[2:3], vcc
	s_xor_b64 s[2:3], exec, s[2:3]
	s_cbranch_execz .LBB435_172
; %bb.171:
	v_add_co_u32_e32 v14, vcc, v1, v13
	v_lshlrev_b32_e32 v13, 2, v0
	ds_read_b32 v13, v13 offset:5120
	v_addc_co_u32_e32 v15, vcc, 0, v4, vcc
	v_lshlrev_b64 v[14:15], 2, v[14:15]
	v_mov_b32_e32 v16, s7
	v_sub_co_u32_e32 v14, vcc, s6, v14
	v_subb_co_u32_e32 v15, vcc, v16, v15, vcc
	s_waitcnt lgkmcnt(0)
	global_store_dword v[14:15], v13, off
                                        ; implicit-def: $vgpr13
.LBB435_172:
	s_andn2_saveexec_b64 s[2:3], s[2:3]
	s_cbranch_execz .LBB435_174
; %bb.173:
	v_lshlrev_b32_e32 v14, 2, v0
	ds_read_b32 v14, v14 offset:5120
	v_lshlrev_b32_e32 v13, 2, v13
	v_readfirstlane_b32 s4, v8
	v_readfirstlane_b32 s5, v9
	s_waitcnt lgkmcnt(0)
	s_nop 3
	global_store_dword v13, v14, s[4:5]
.LBB435_174:
	s_or_b64 exec, exec, s[2:3]
                                        ; implicit-def: $vgpr13
.LBB435_175:
	s_andn2_saveexec_b64 s[0:1], s[0:1]
	s_cbranch_execz .LBB435_177
; %bb.176:
	v_lshlrev_b32_e32 v14, 2, v0
	ds_read_b32 v14, v14 offset:5120
	v_lshlrev_b32_e32 v13, 2, v13
	v_readfirstlane_b32 s2, v10
	v_readfirstlane_b32 s3, v11
	s_waitcnt lgkmcnt(0)
	s_nop 3
	global_store_dword v13, v14, s[2:3]
.LBB435_177:
	s_or_b64 exec, exec, s[0:1]
	v_or_b32_e32 v13, 0x600, v0
	v_cmp_le_u32_e32 vcc, v2, v13
	s_and_saveexec_b64 s[0:1], vcc
	s_xor_b64 s[0:1], exec, s[0:1]
	s_cbranch_execz .LBB435_183
; %bb.178:
	v_cmp_le_u32_e32 vcc, v12, v13
	s_and_saveexec_b64 s[2:3], vcc
	s_xor_b64 s[2:3], exec, s[2:3]
	s_cbranch_execz .LBB435_180
; %bb.179:
	v_add_co_u32_e32 v14, vcc, v1, v13
	v_lshlrev_b32_e32 v13, 2, v0
	ds_read_b32 v13, v13 offset:6144
	v_addc_co_u32_e32 v15, vcc, 0, v4, vcc
	v_lshlrev_b64 v[14:15], 2, v[14:15]
	v_mov_b32_e32 v16, s7
	v_sub_co_u32_e32 v14, vcc, s6, v14
	v_subb_co_u32_e32 v15, vcc, v16, v15, vcc
	s_waitcnt lgkmcnt(0)
	global_store_dword v[14:15], v13, off
                                        ; implicit-def: $vgpr13
.LBB435_180:
	s_andn2_saveexec_b64 s[2:3], s[2:3]
	s_cbranch_execz .LBB435_182
; %bb.181:
	v_lshlrev_b32_e32 v14, 2, v0
	ds_read_b32 v14, v14 offset:6144
	v_lshlrev_b32_e32 v13, 2, v13
	v_readfirstlane_b32 s4, v8
	v_readfirstlane_b32 s5, v9
	s_waitcnt lgkmcnt(0)
	s_nop 3
	global_store_dword v13, v14, s[4:5]
.LBB435_182:
	s_or_b64 exec, exec, s[2:3]
                                        ; implicit-def: $vgpr13
.LBB435_183:
	;; [unrolled: 51-line block ×8, first 2 shown]
	s_andn2_saveexec_b64 s[0:1], s[0:1]
	s_cbranch_execz .LBB435_233
; %bb.232:
	v_lshlrev_b32_e32 v14, 2, v0
	ds_read_b32 v14, v14 offset:12288
	v_lshlrev_b32_e32 v13, 2, v13
	v_readfirstlane_b32 s2, v10
	v_readfirstlane_b32 s3, v11
	s_waitcnt lgkmcnt(0)
	s_nop 3
	global_store_dword v13, v14, s[2:3]
.LBB435_233:
	s_or_b64 exec, exec, s[0:1]
	s_branch .LBB435_127
.LBB435_234:
	v_cmp_gt_u32_e32 vcc, s18, v0
	s_and_saveexec_b64 s[0:1], vcc
	s_cbranch_execz .LBB435_243
; %bb.235:
	v_cmp_le_u32_e32 vcc, v2, v0
	s_and_saveexec_b64 s[2:3], vcc
	s_xor_b64 s[2:3], exec, s[2:3]
	s_cbranch_execz .LBB435_241
; %bb.236:
	v_cmp_le_u32_e32 vcc, v12, v0
	s_and_saveexec_b64 s[4:5], vcc
	s_xor_b64 s[4:5], exec, s[4:5]
	s_cbranch_execz .LBB435_238
; %bb.237:
	v_lshlrev_b32_e32 v13, 2, v0
	v_add_co_u32_e32 v14, vcc, v1, v0
	ds_read_b32 v13, v13
	v_addc_co_u32_e32 v15, vcc, 0, v4, vcc
	v_lshlrev_b64 v[14:15], 2, v[14:15]
	v_mov_b32_e32 v16, s35
	v_sub_co_u32_e32 v14, vcc, s34, v14
	v_subb_co_u32_e32 v15, vcc, v16, v15, vcc
	s_waitcnt lgkmcnt(0)
	global_store_dword v[14:15], v13, off offset:-4
.LBB435_238:
	s_andn2_saveexec_b64 s[4:5], s[4:5]
	s_cbranch_execz .LBB435_240
; %bb.239:
	v_lshlrev_b32_e32 v13, 2, v0
	ds_read_b32 v14, v13
	v_readfirstlane_b32 s8, v8
	v_readfirstlane_b32 s9, v9
	s_waitcnt lgkmcnt(0)
	s_nop 3
	global_store_dword v13, v14, s[8:9]
.LBB435_240:
	s_or_b64 exec, exec, s[4:5]
.LBB435_241:
	s_andn2_saveexec_b64 s[2:3], s[2:3]
	s_cbranch_execz .LBB435_243
; %bb.242:
	v_lshlrev_b32_e32 v13, 2, v0
	ds_read_b32 v14, v13
	v_readfirstlane_b32 s2, v10
	v_readfirstlane_b32 s3, v11
	s_waitcnt lgkmcnt(0)
	s_nop 3
	global_store_dword v13, v14, s[2:3]
.LBB435_243:
	s_or_b64 exec, exec, s[0:1]
	v_or_b32_e32 v13, 0x100, v0
	v_cmp_gt_u32_e32 vcc, s18, v13
	s_and_saveexec_b64 s[0:1], vcc
	s_cbranch_execz .LBB435_252
; %bb.244:
	v_cmp_le_u32_e32 vcc, v2, v13
	s_and_saveexec_b64 s[2:3], vcc
	s_xor_b64 s[2:3], exec, s[2:3]
	s_cbranch_execz .LBB435_250
; %bb.245:
	v_cmp_le_u32_e32 vcc, v12, v13
	s_and_saveexec_b64 s[4:5], vcc
	s_xor_b64 s[4:5], exec, s[4:5]
	s_cbranch_execz .LBB435_247
; %bb.246:
	v_lshlrev_b32_e32 v13, 2, v0
	ds_read_b32 v13, v13 offset:1024
	v_add_co_u32_e32 v14, vcc, v1, v0
	v_addc_co_u32_e32 v15, vcc, 0, v4, vcc
	v_lshlrev_b64 v[14:15], 2, v[14:15]
	v_mov_b32_e32 v16, s7
	v_sub_co_u32_e32 v14, vcc, s6, v14
	v_subb_co_u32_e32 v15, vcc, v16, v15, vcc
	s_waitcnt lgkmcnt(0)
	global_store_dword v[14:15], v13, off offset:-1024
.LBB435_247:
	s_andn2_saveexec_b64 s[4:5], s[4:5]
	s_cbranch_execz .LBB435_249
; %bb.248:
	v_lshlrev_b32_e32 v13, 2, v0
	ds_read_b32 v14, v13 offset:1024
	v_readfirstlane_b32 s8, v8
	v_readfirstlane_b32 s9, v9
	s_waitcnt lgkmcnt(0)
	s_nop 3
	global_store_dword v13, v14, s[8:9] offset:1024
.LBB435_249:
	s_or_b64 exec, exec, s[4:5]
.LBB435_250:
	s_andn2_saveexec_b64 s[2:3], s[2:3]
	s_cbranch_execz .LBB435_252
; %bb.251:
	v_lshlrev_b32_e32 v13, 2, v0
	ds_read_b32 v14, v13 offset:1024
	v_readfirstlane_b32 s2, v10
	v_readfirstlane_b32 s3, v11
	s_waitcnt lgkmcnt(0)
	s_nop 3
	global_store_dword v13, v14, s[2:3] offset:1024
.LBB435_252:
	s_or_b64 exec, exec, s[0:1]
	v_or_b32_e32 v13, 0x200, v0
	v_cmp_gt_u32_e32 vcc, s18, v13
	s_and_saveexec_b64 s[0:1], vcc
	s_cbranch_execz .LBB435_261
; %bb.253:
	v_cmp_le_u32_e32 vcc, v2, v13
	s_and_saveexec_b64 s[2:3], vcc
	s_xor_b64 s[2:3], exec, s[2:3]
	s_cbranch_execz .LBB435_259
; %bb.254:
	v_cmp_le_u32_e32 vcc, v12, v13
	s_and_saveexec_b64 s[4:5], vcc
	s_xor_b64 s[4:5], exec, s[4:5]
	s_cbranch_execz .LBB435_256
; %bb.255:
	v_lshlrev_b32_e32 v13, 2, v0
	ds_read_b32 v13, v13 offset:2048
	v_add_co_u32_e32 v14, vcc, v1, v0
	v_addc_co_u32_e32 v15, vcc, 0, v4, vcc
	v_lshlrev_b64 v[14:15], 2, v[14:15]
	v_mov_b32_e32 v16, s7
	v_sub_co_u32_e32 v14, vcc, s6, v14
	v_subb_co_u32_e32 v15, vcc, v16, v15, vcc
	s_waitcnt lgkmcnt(0)
	global_store_dword v[14:15], v13, off offset:-2048
.LBB435_256:
	s_andn2_saveexec_b64 s[4:5], s[4:5]
	s_cbranch_execz .LBB435_258
; %bb.257:
	v_lshlrev_b32_e32 v13, 2, v0
	ds_read_b32 v14, v13 offset:2048
	v_readfirstlane_b32 s8, v8
	v_readfirstlane_b32 s9, v9
	s_waitcnt lgkmcnt(0)
	s_nop 3
	global_store_dword v13, v14, s[8:9] offset:2048
.LBB435_258:
	s_or_b64 exec, exec, s[4:5]
.LBB435_259:
	s_andn2_saveexec_b64 s[2:3], s[2:3]
	s_cbranch_execz .LBB435_261
; %bb.260:
	v_lshlrev_b32_e32 v13, 2, v0
	ds_read_b32 v14, v13 offset:2048
	v_readfirstlane_b32 s2, v10
	v_readfirstlane_b32 s3, v11
	s_waitcnt lgkmcnt(0)
	s_nop 3
	global_store_dword v13, v14, s[2:3] offset:2048
.LBB435_261:
	;; [unrolled: 51-line block ×3, first 2 shown]
	s_or_b64 exec, exec, s[0:1]
	v_or_b32_e32 v13, 0x400, v0
	v_cmp_gt_u32_e32 vcc, s18, v13
	s_and_saveexec_b64 s[0:1], vcc
	s_cbranch_execz .LBB435_279
; %bb.271:
	v_cmp_le_u32_e32 vcc, v2, v13
	s_and_saveexec_b64 s[2:3], vcc
	s_xor_b64 s[2:3], exec, s[2:3]
	s_cbranch_execz .LBB435_277
; %bb.272:
	v_cmp_le_u32_e32 vcc, v12, v13
	s_and_saveexec_b64 s[4:5], vcc
	s_xor_b64 s[4:5], exec, s[4:5]
	s_cbranch_execz .LBB435_274
; %bb.273:
	v_lshlrev_b32_e32 v13, 2, v0
	ds_read_b32 v13, v13 offset:4096
	v_add_co_u32_e32 v14, vcc, v1, v0
	v_addc_co_u32_e32 v15, vcc, 0, v4, vcc
	v_lshlrev_b64 v[14:15], 2, v[14:15]
	v_mov_b32_e32 v16, s7
	v_sub_co_u32_e32 v14, vcc, s6, v14
	v_subb_co_u32_e32 v15, vcc, v16, v15, vcc
	s_waitcnt lgkmcnt(0)
	global_store_dword v[14:15], v13, off offset:-4096
                                        ; implicit-def: $vgpr13
.LBB435_274:
	s_andn2_saveexec_b64 s[4:5], s[4:5]
	s_cbranch_execz .LBB435_276
; %bb.275:
	v_lshlrev_b32_e32 v14, 2, v0
	ds_read_b32 v14, v14 offset:4096
	v_lshlrev_b32_e32 v13, 2, v13
	v_readfirstlane_b32 s8, v8
	v_readfirstlane_b32 s9, v9
	s_waitcnt lgkmcnt(0)
	s_nop 3
	global_store_dword v13, v14, s[8:9]
.LBB435_276:
	s_or_b64 exec, exec, s[4:5]
                                        ; implicit-def: $vgpr13
.LBB435_277:
	s_andn2_saveexec_b64 s[2:3], s[2:3]
	s_cbranch_execz .LBB435_279
; %bb.278:
	v_lshlrev_b32_e32 v14, 2, v0
	ds_read_b32 v14, v14 offset:4096
	v_lshlrev_b32_e32 v13, 2, v13
	v_readfirstlane_b32 s2, v10
	v_readfirstlane_b32 s3, v11
	s_waitcnt lgkmcnt(0)
	s_nop 3
	global_store_dword v13, v14, s[2:3]
.LBB435_279:
	s_or_b64 exec, exec, s[0:1]
	v_or_b32_e32 v13, 0x500, v0
	v_cmp_gt_u32_e32 vcc, s18, v13
	s_and_saveexec_b64 s[0:1], vcc
	s_cbranch_execz .LBB435_288
; %bb.280:
	v_cmp_le_u32_e32 vcc, v2, v13
	s_and_saveexec_b64 s[2:3], vcc
	s_xor_b64 s[2:3], exec, s[2:3]
	s_cbranch_execz .LBB435_286
; %bb.281:
	v_cmp_le_u32_e32 vcc, v12, v13
	s_and_saveexec_b64 s[4:5], vcc
	s_xor_b64 s[4:5], exec, s[4:5]
	s_cbranch_execz .LBB435_283
; %bb.282:
	v_add_co_u32_e32 v14, vcc, v1, v13
	v_lshlrev_b32_e32 v13, 2, v0
	ds_read_b32 v13, v13 offset:5120
	v_addc_co_u32_e32 v15, vcc, 0, v4, vcc
	v_lshlrev_b64 v[14:15], 2, v[14:15]
	v_mov_b32_e32 v16, s7
	v_sub_co_u32_e32 v14, vcc, s6, v14
	v_subb_co_u32_e32 v15, vcc, v16, v15, vcc
	s_waitcnt lgkmcnt(0)
	global_store_dword v[14:15], v13, off
                                        ; implicit-def: $vgpr13
.LBB435_283:
	s_andn2_saveexec_b64 s[4:5], s[4:5]
	s_cbranch_execz .LBB435_285
; %bb.284:
	v_lshlrev_b32_e32 v14, 2, v0
	ds_read_b32 v14, v14 offset:5120
	v_lshlrev_b32_e32 v13, 2, v13
	v_readfirstlane_b32 s8, v8
	v_readfirstlane_b32 s9, v9
	s_waitcnt lgkmcnt(0)
	s_nop 3
	global_store_dword v13, v14, s[8:9]
.LBB435_285:
	s_or_b64 exec, exec, s[4:5]
                                        ; implicit-def: $vgpr13
.LBB435_286:
	s_andn2_saveexec_b64 s[2:3], s[2:3]
	s_cbranch_execz .LBB435_288
; %bb.287:
	v_lshlrev_b32_e32 v14, 2, v0
	ds_read_b32 v14, v14 offset:5120
	v_lshlrev_b32_e32 v13, 2, v13
	v_readfirstlane_b32 s2, v10
	v_readfirstlane_b32 s3, v11
	s_waitcnt lgkmcnt(0)
	s_nop 3
	global_store_dword v13, v14, s[2:3]
.LBB435_288:
	s_or_b64 exec, exec, s[0:1]
	v_or_b32_e32 v13, 0x600, v0
	v_cmp_gt_u32_e32 vcc, s18, v13
	s_and_saveexec_b64 s[0:1], vcc
	s_cbranch_execz .LBB435_297
; %bb.289:
	v_cmp_le_u32_e32 vcc, v2, v13
	s_and_saveexec_b64 s[2:3], vcc
	s_xor_b64 s[2:3], exec, s[2:3]
	s_cbranch_execz .LBB435_295
; %bb.290:
	v_cmp_le_u32_e32 vcc, v12, v13
	s_and_saveexec_b64 s[4:5], vcc
	s_xor_b64 s[4:5], exec, s[4:5]
	s_cbranch_execz .LBB435_292
; %bb.291:
	v_add_co_u32_e32 v14, vcc, v1, v13
	v_lshlrev_b32_e32 v13, 2, v0
	ds_read_b32 v13, v13 offset:6144
	v_addc_co_u32_e32 v15, vcc, 0, v4, vcc
	v_lshlrev_b64 v[14:15], 2, v[14:15]
	v_mov_b32_e32 v16, s7
	v_sub_co_u32_e32 v14, vcc, s6, v14
	v_subb_co_u32_e32 v15, vcc, v16, v15, vcc
	s_waitcnt lgkmcnt(0)
	global_store_dword v[14:15], v13, off
                                        ; implicit-def: $vgpr13
.LBB435_292:
	s_andn2_saveexec_b64 s[4:5], s[4:5]
	s_cbranch_execz .LBB435_294
; %bb.293:
	v_lshlrev_b32_e32 v14, 2, v0
	ds_read_b32 v14, v14 offset:6144
	v_lshlrev_b32_e32 v13, 2, v13
	v_readfirstlane_b32 s8, v8
	v_readfirstlane_b32 s9, v9
	s_waitcnt lgkmcnt(0)
	s_nop 3
	global_store_dword v13, v14, s[8:9]
.LBB435_294:
	s_or_b64 exec, exec, s[4:5]
                                        ; implicit-def: $vgpr13
.LBB435_295:
	s_andn2_saveexec_b64 s[2:3], s[2:3]
	s_cbranch_execz .LBB435_297
; %bb.296:
	v_lshlrev_b32_e32 v14, 2, v0
	ds_read_b32 v14, v14 offset:6144
	v_lshlrev_b32_e32 v13, 2, v13
	v_readfirstlane_b32 s2, v10
	v_readfirstlane_b32 s3, v11
	s_waitcnt lgkmcnt(0)
	s_nop 3
	global_store_dword v13, v14, s[2:3]
.LBB435_297:
	;; [unrolled: 55-line block ×7, first 2 shown]
	s_or_b64 exec, exec, s[0:1]
	v_or_b32_e32 v13, 0xc00, v0
	v_cmp_gt_u32_e32 vcc, s18, v13
	s_and_saveexec_b64 s[0:1], vcc
	s_cbranch_execz .LBB435_351
; %bb.343:
	v_cmp_le_u32_e32 vcc, v2, v13
	s_and_saveexec_b64 s[2:3], vcc
	s_xor_b64 s[2:3], exec, s[2:3]
	s_cbranch_execz .LBB435_349
; %bb.344:
	v_cmp_le_u32_e32 vcc, v12, v13
	s_and_saveexec_b64 s[4:5], vcc
	s_xor_b64 s[4:5], exec, s[4:5]
	s_cbranch_execz .LBB435_346
; %bb.345:
	v_add_co_u32_e32 v8, vcc, v1, v13
	v_lshlrev_b32_e32 v1, 2, v0
	ds_read_b32 v1, v1 offset:12288
	v_addc_co_u32_e32 v9, vcc, 0, v4, vcc
	v_lshlrev_b64 v[8:9], 2, v[8:9]
	v_mov_b32_e32 v4, s7
	v_sub_co_u32_e32 v8, vcc, s6, v8
	v_subb_co_u32_e32 v9, vcc, v4, v9, vcc
	s_waitcnt lgkmcnt(0)
	global_store_dword v[8:9], v1, off
                                        ; implicit-def: $vgpr13
                                        ; implicit-def: $vgpr8_vgpr9
.LBB435_346:
	s_andn2_saveexec_b64 s[4:5], s[4:5]
	s_cbranch_execz .LBB435_348
; %bb.347:
	v_lshlrev_b32_e32 v1, 2, v0
	ds_read_b32 v1, v1 offset:12288
	v_lshlrev_b32_e32 v4, 2, v13
	v_readfirstlane_b32 s6, v8
	v_readfirstlane_b32 s7, v9
	s_waitcnt lgkmcnt(0)
	s_nop 3
	global_store_dword v4, v1, s[6:7]
.LBB435_348:
	s_or_b64 exec, exec, s[4:5]
                                        ; implicit-def: $vgpr13
                                        ; implicit-def: $vgpr10_vgpr11
.LBB435_349:
	s_andn2_saveexec_b64 s[2:3], s[2:3]
	s_cbranch_execz .LBB435_351
; %bb.350:
	v_lshlrev_b32_e32 v1, 2, v0
	ds_read_b32 v1, v1 offset:12288
	v_lshlrev_b32_e32 v4, 2, v13
	v_readfirstlane_b32 s2, v10
	v_readfirstlane_b32 s3, v11
	s_waitcnt lgkmcnt(0)
	s_nop 3
	global_store_dword v4, v1, s[2:3]
.LBB435_351:
	s_or_b64 exec, exec, s[0:1]
	v_cmp_eq_u32_e32 vcc, 0, v0
	s_and_b64 s[0:1], vcc, s[30:31]
	s_and_saveexec_b64 s[2:3], s[0:1]
	s_cbranch_execz .LBB435_128
.LBB435_352:
	v_add_co_u32_e32 v0, vcc, v6, v2
	v_addc_co_u32_e32 v1, vcc, 0, v7, vcc
	v_mov_b32_e32 v2, s51
	v_add_co_u32_e32 v3, vcc, s50, v3
	v_addc_co_u32_e32 v6, vcc, 0, v2, vcc
	v_add_co_u32_e32 v2, vcc, v3, v5
	v_mov_b32_e32 v4, 0
	v_addc_co_u32_e32 v3, vcc, 0, v6, vcc
	global_store_dwordx4 v4, v[0:3], s[44:45]
	s_endpgm
	.section	.rodata,"a",@progbits
	.p2align	6, 0x0
	.amdhsa_kernel _ZN7rocprim17ROCPRIM_400000_NS6detail17trampoline_kernelINS0_13select_configILj256ELj13ELNS0_17block_load_methodE3ELS4_3ELS4_3ELNS0_20block_scan_algorithmE0ELj4294967295EEENS1_25partition_config_selectorILNS1_17partition_subalgoE4EjNS0_10empty_typeEbEEZZNS1_14partition_implILS8_4ELb0ES6_15HIP_vector_typeIjLj2EENS0_17counting_iteratorIjlEEPS9_SG_NS0_5tupleIJPjSI_NS0_16reverse_iteratorISI_EEEEENSH_IJSG_SG_SG_EEES9_SI_JZNS1_25segmented_radix_sort_implINS0_14default_configELb1EPKiPiPKlPlN2at6native12_GLOBAL__N_18offset_tEEE10hipError_tPvRmT1_PNSt15iterator_traitsIS12_E10value_typeET2_T3_PNS13_IS18_E10value_typeET4_jRbjT5_S1E_jjP12ihipStream_tbEUljE_ZNSN_ISO_Lb1ESQ_SR_ST_SU_SY_EESZ_S10_S11_S12_S16_S17_S18_S1B_S1C_jS1D_jS1E_S1E_jjS1G_bEUljE0_EEESZ_S10_S11_S18_S1C_S1E_T6_T7_T9_mT8_S1G_bDpT10_ENKUlT_T0_E_clISt17integral_constantIbLb0EES1U_EEDaS1P_S1Q_EUlS1P_E_NS1_11comp_targetILNS1_3genE4ELNS1_11target_archE910ELNS1_3gpuE8ELNS1_3repE0EEENS1_30default_config_static_selectorELNS0_4arch9wavefront6targetE1EEEvS12_
		.amdhsa_group_segment_fixed_size 13340
		.amdhsa_private_segment_fixed_size 0
		.amdhsa_kernarg_size 176
		.amdhsa_user_sgpr_count 6
		.amdhsa_user_sgpr_private_segment_buffer 1
		.amdhsa_user_sgpr_dispatch_ptr 0
		.amdhsa_user_sgpr_queue_ptr 0
		.amdhsa_user_sgpr_kernarg_segment_ptr 1
		.amdhsa_user_sgpr_dispatch_id 0
		.amdhsa_user_sgpr_flat_scratch_init 0
		.amdhsa_user_sgpr_kernarg_preload_length 0
		.amdhsa_user_sgpr_kernarg_preload_offset 0
		.amdhsa_user_sgpr_private_segment_size 0
		.amdhsa_uses_dynamic_stack 0
		.amdhsa_system_sgpr_private_segment_wavefront_offset 0
		.amdhsa_system_sgpr_workgroup_id_x 1
		.amdhsa_system_sgpr_workgroup_id_y 0
		.amdhsa_system_sgpr_workgroup_id_z 0
		.amdhsa_system_sgpr_workgroup_info 0
		.amdhsa_system_vgpr_workitem_id 0
		.amdhsa_next_free_vgpr 102
		.amdhsa_next_free_sgpr 90
		.amdhsa_accum_offset 104
		.amdhsa_reserve_vcc 1
		.amdhsa_reserve_flat_scratch 0
		.amdhsa_float_round_mode_32 0
		.amdhsa_float_round_mode_16_64 0
		.amdhsa_float_denorm_mode_32 3
		.amdhsa_float_denorm_mode_16_64 3
		.amdhsa_dx10_clamp 1
		.amdhsa_ieee_mode 1
		.amdhsa_fp16_overflow 0
		.amdhsa_tg_split 0
		.amdhsa_exception_fp_ieee_invalid_op 0
		.amdhsa_exception_fp_denorm_src 0
		.amdhsa_exception_fp_ieee_div_zero 0
		.amdhsa_exception_fp_ieee_overflow 0
		.amdhsa_exception_fp_ieee_underflow 0
		.amdhsa_exception_fp_ieee_inexact 0
		.amdhsa_exception_int_div_zero 0
	.end_amdhsa_kernel
	.section	.text._ZN7rocprim17ROCPRIM_400000_NS6detail17trampoline_kernelINS0_13select_configILj256ELj13ELNS0_17block_load_methodE3ELS4_3ELS4_3ELNS0_20block_scan_algorithmE0ELj4294967295EEENS1_25partition_config_selectorILNS1_17partition_subalgoE4EjNS0_10empty_typeEbEEZZNS1_14partition_implILS8_4ELb0ES6_15HIP_vector_typeIjLj2EENS0_17counting_iteratorIjlEEPS9_SG_NS0_5tupleIJPjSI_NS0_16reverse_iteratorISI_EEEEENSH_IJSG_SG_SG_EEES9_SI_JZNS1_25segmented_radix_sort_implINS0_14default_configELb1EPKiPiPKlPlN2at6native12_GLOBAL__N_18offset_tEEE10hipError_tPvRmT1_PNSt15iterator_traitsIS12_E10value_typeET2_T3_PNS13_IS18_E10value_typeET4_jRbjT5_S1E_jjP12ihipStream_tbEUljE_ZNSN_ISO_Lb1ESQ_SR_ST_SU_SY_EESZ_S10_S11_S12_S16_S17_S18_S1B_S1C_jS1D_jS1E_S1E_jjS1G_bEUljE0_EEESZ_S10_S11_S18_S1C_S1E_T6_T7_T9_mT8_S1G_bDpT10_ENKUlT_T0_E_clISt17integral_constantIbLb0EES1U_EEDaS1P_S1Q_EUlS1P_E_NS1_11comp_targetILNS1_3genE4ELNS1_11target_archE910ELNS1_3gpuE8ELNS1_3repE0EEENS1_30default_config_static_selectorELNS0_4arch9wavefront6targetE1EEEvS12_,"axG",@progbits,_ZN7rocprim17ROCPRIM_400000_NS6detail17trampoline_kernelINS0_13select_configILj256ELj13ELNS0_17block_load_methodE3ELS4_3ELS4_3ELNS0_20block_scan_algorithmE0ELj4294967295EEENS1_25partition_config_selectorILNS1_17partition_subalgoE4EjNS0_10empty_typeEbEEZZNS1_14partition_implILS8_4ELb0ES6_15HIP_vector_typeIjLj2EENS0_17counting_iteratorIjlEEPS9_SG_NS0_5tupleIJPjSI_NS0_16reverse_iteratorISI_EEEEENSH_IJSG_SG_SG_EEES9_SI_JZNS1_25segmented_radix_sort_implINS0_14default_configELb1EPKiPiPKlPlN2at6native12_GLOBAL__N_18offset_tEEE10hipError_tPvRmT1_PNSt15iterator_traitsIS12_E10value_typeET2_T3_PNS13_IS18_E10value_typeET4_jRbjT5_S1E_jjP12ihipStream_tbEUljE_ZNSN_ISO_Lb1ESQ_SR_ST_SU_SY_EESZ_S10_S11_S12_S16_S17_S18_S1B_S1C_jS1D_jS1E_S1E_jjS1G_bEUljE0_EEESZ_S10_S11_S18_S1C_S1E_T6_T7_T9_mT8_S1G_bDpT10_ENKUlT_T0_E_clISt17integral_constantIbLb0EES1U_EEDaS1P_S1Q_EUlS1P_E_NS1_11comp_targetILNS1_3genE4ELNS1_11target_archE910ELNS1_3gpuE8ELNS1_3repE0EEENS1_30default_config_static_selectorELNS0_4arch9wavefront6targetE1EEEvS12_,comdat
.Lfunc_end435:
	.size	_ZN7rocprim17ROCPRIM_400000_NS6detail17trampoline_kernelINS0_13select_configILj256ELj13ELNS0_17block_load_methodE3ELS4_3ELS4_3ELNS0_20block_scan_algorithmE0ELj4294967295EEENS1_25partition_config_selectorILNS1_17partition_subalgoE4EjNS0_10empty_typeEbEEZZNS1_14partition_implILS8_4ELb0ES6_15HIP_vector_typeIjLj2EENS0_17counting_iteratorIjlEEPS9_SG_NS0_5tupleIJPjSI_NS0_16reverse_iteratorISI_EEEEENSH_IJSG_SG_SG_EEES9_SI_JZNS1_25segmented_radix_sort_implINS0_14default_configELb1EPKiPiPKlPlN2at6native12_GLOBAL__N_18offset_tEEE10hipError_tPvRmT1_PNSt15iterator_traitsIS12_E10value_typeET2_T3_PNS13_IS18_E10value_typeET4_jRbjT5_S1E_jjP12ihipStream_tbEUljE_ZNSN_ISO_Lb1ESQ_SR_ST_SU_SY_EESZ_S10_S11_S12_S16_S17_S18_S1B_S1C_jS1D_jS1E_S1E_jjS1G_bEUljE0_EEESZ_S10_S11_S18_S1C_S1E_T6_T7_T9_mT8_S1G_bDpT10_ENKUlT_T0_E_clISt17integral_constantIbLb0EES1U_EEDaS1P_S1Q_EUlS1P_E_NS1_11comp_targetILNS1_3genE4ELNS1_11target_archE910ELNS1_3gpuE8ELNS1_3repE0EEENS1_30default_config_static_selectorELNS0_4arch9wavefront6targetE1EEEvS12_, .Lfunc_end435-_ZN7rocprim17ROCPRIM_400000_NS6detail17trampoline_kernelINS0_13select_configILj256ELj13ELNS0_17block_load_methodE3ELS4_3ELS4_3ELNS0_20block_scan_algorithmE0ELj4294967295EEENS1_25partition_config_selectorILNS1_17partition_subalgoE4EjNS0_10empty_typeEbEEZZNS1_14partition_implILS8_4ELb0ES6_15HIP_vector_typeIjLj2EENS0_17counting_iteratorIjlEEPS9_SG_NS0_5tupleIJPjSI_NS0_16reverse_iteratorISI_EEEEENSH_IJSG_SG_SG_EEES9_SI_JZNS1_25segmented_radix_sort_implINS0_14default_configELb1EPKiPiPKlPlN2at6native12_GLOBAL__N_18offset_tEEE10hipError_tPvRmT1_PNSt15iterator_traitsIS12_E10value_typeET2_T3_PNS13_IS18_E10value_typeET4_jRbjT5_S1E_jjP12ihipStream_tbEUljE_ZNSN_ISO_Lb1ESQ_SR_ST_SU_SY_EESZ_S10_S11_S12_S16_S17_S18_S1B_S1C_jS1D_jS1E_S1E_jjS1G_bEUljE0_EEESZ_S10_S11_S18_S1C_S1E_T6_T7_T9_mT8_S1G_bDpT10_ENKUlT_T0_E_clISt17integral_constantIbLb0EES1U_EEDaS1P_S1Q_EUlS1P_E_NS1_11comp_targetILNS1_3genE4ELNS1_11target_archE910ELNS1_3gpuE8ELNS1_3repE0EEENS1_30default_config_static_selectorELNS0_4arch9wavefront6targetE1EEEvS12_
                                        ; -- End function
	.section	.AMDGPU.csdata,"",@progbits
; Kernel info:
; codeLenInByte = 13332
; NumSgprs: 94
; NumVgprs: 102
; NumAgprs: 0
; TotalNumVgprs: 102
; ScratchSize: 0
; MemoryBound: 0
; FloatMode: 240
; IeeeMode: 1
; LDSByteSize: 13340 bytes/workgroup (compile time only)
; SGPRBlocks: 11
; VGPRBlocks: 12
; NumSGPRsForWavesPerEU: 94
; NumVGPRsForWavesPerEU: 102
; AccumOffset: 104
; Occupancy: 4
; WaveLimiterHint : 1
; COMPUTE_PGM_RSRC2:SCRATCH_EN: 0
; COMPUTE_PGM_RSRC2:USER_SGPR: 6
; COMPUTE_PGM_RSRC2:TRAP_HANDLER: 0
; COMPUTE_PGM_RSRC2:TGID_X_EN: 1
; COMPUTE_PGM_RSRC2:TGID_Y_EN: 0
; COMPUTE_PGM_RSRC2:TGID_Z_EN: 0
; COMPUTE_PGM_RSRC2:TIDIG_COMP_CNT: 0
; COMPUTE_PGM_RSRC3_GFX90A:ACCUM_OFFSET: 25
; COMPUTE_PGM_RSRC3_GFX90A:TG_SPLIT: 0
	.section	.text._ZN7rocprim17ROCPRIM_400000_NS6detail17trampoline_kernelINS0_13select_configILj256ELj13ELNS0_17block_load_methodE3ELS4_3ELS4_3ELNS0_20block_scan_algorithmE0ELj4294967295EEENS1_25partition_config_selectorILNS1_17partition_subalgoE4EjNS0_10empty_typeEbEEZZNS1_14partition_implILS8_4ELb0ES6_15HIP_vector_typeIjLj2EENS0_17counting_iteratorIjlEEPS9_SG_NS0_5tupleIJPjSI_NS0_16reverse_iteratorISI_EEEEENSH_IJSG_SG_SG_EEES9_SI_JZNS1_25segmented_radix_sort_implINS0_14default_configELb1EPKiPiPKlPlN2at6native12_GLOBAL__N_18offset_tEEE10hipError_tPvRmT1_PNSt15iterator_traitsIS12_E10value_typeET2_T3_PNS13_IS18_E10value_typeET4_jRbjT5_S1E_jjP12ihipStream_tbEUljE_ZNSN_ISO_Lb1ESQ_SR_ST_SU_SY_EESZ_S10_S11_S12_S16_S17_S18_S1B_S1C_jS1D_jS1E_S1E_jjS1G_bEUljE0_EEESZ_S10_S11_S18_S1C_S1E_T6_T7_T9_mT8_S1G_bDpT10_ENKUlT_T0_E_clISt17integral_constantIbLb0EES1U_EEDaS1P_S1Q_EUlS1P_E_NS1_11comp_targetILNS1_3genE3ELNS1_11target_archE908ELNS1_3gpuE7ELNS1_3repE0EEENS1_30default_config_static_selectorELNS0_4arch9wavefront6targetE1EEEvS12_,"axG",@progbits,_ZN7rocprim17ROCPRIM_400000_NS6detail17trampoline_kernelINS0_13select_configILj256ELj13ELNS0_17block_load_methodE3ELS4_3ELS4_3ELNS0_20block_scan_algorithmE0ELj4294967295EEENS1_25partition_config_selectorILNS1_17partition_subalgoE4EjNS0_10empty_typeEbEEZZNS1_14partition_implILS8_4ELb0ES6_15HIP_vector_typeIjLj2EENS0_17counting_iteratorIjlEEPS9_SG_NS0_5tupleIJPjSI_NS0_16reverse_iteratorISI_EEEEENSH_IJSG_SG_SG_EEES9_SI_JZNS1_25segmented_radix_sort_implINS0_14default_configELb1EPKiPiPKlPlN2at6native12_GLOBAL__N_18offset_tEEE10hipError_tPvRmT1_PNSt15iterator_traitsIS12_E10value_typeET2_T3_PNS13_IS18_E10value_typeET4_jRbjT5_S1E_jjP12ihipStream_tbEUljE_ZNSN_ISO_Lb1ESQ_SR_ST_SU_SY_EESZ_S10_S11_S12_S16_S17_S18_S1B_S1C_jS1D_jS1E_S1E_jjS1G_bEUljE0_EEESZ_S10_S11_S18_S1C_S1E_T6_T7_T9_mT8_S1G_bDpT10_ENKUlT_T0_E_clISt17integral_constantIbLb0EES1U_EEDaS1P_S1Q_EUlS1P_E_NS1_11comp_targetILNS1_3genE3ELNS1_11target_archE908ELNS1_3gpuE7ELNS1_3repE0EEENS1_30default_config_static_selectorELNS0_4arch9wavefront6targetE1EEEvS12_,comdat
	.globl	_ZN7rocprim17ROCPRIM_400000_NS6detail17trampoline_kernelINS0_13select_configILj256ELj13ELNS0_17block_load_methodE3ELS4_3ELS4_3ELNS0_20block_scan_algorithmE0ELj4294967295EEENS1_25partition_config_selectorILNS1_17partition_subalgoE4EjNS0_10empty_typeEbEEZZNS1_14partition_implILS8_4ELb0ES6_15HIP_vector_typeIjLj2EENS0_17counting_iteratorIjlEEPS9_SG_NS0_5tupleIJPjSI_NS0_16reverse_iteratorISI_EEEEENSH_IJSG_SG_SG_EEES9_SI_JZNS1_25segmented_radix_sort_implINS0_14default_configELb1EPKiPiPKlPlN2at6native12_GLOBAL__N_18offset_tEEE10hipError_tPvRmT1_PNSt15iterator_traitsIS12_E10value_typeET2_T3_PNS13_IS18_E10value_typeET4_jRbjT5_S1E_jjP12ihipStream_tbEUljE_ZNSN_ISO_Lb1ESQ_SR_ST_SU_SY_EESZ_S10_S11_S12_S16_S17_S18_S1B_S1C_jS1D_jS1E_S1E_jjS1G_bEUljE0_EEESZ_S10_S11_S18_S1C_S1E_T6_T7_T9_mT8_S1G_bDpT10_ENKUlT_T0_E_clISt17integral_constantIbLb0EES1U_EEDaS1P_S1Q_EUlS1P_E_NS1_11comp_targetILNS1_3genE3ELNS1_11target_archE908ELNS1_3gpuE7ELNS1_3repE0EEENS1_30default_config_static_selectorELNS0_4arch9wavefront6targetE1EEEvS12_ ; -- Begin function _ZN7rocprim17ROCPRIM_400000_NS6detail17trampoline_kernelINS0_13select_configILj256ELj13ELNS0_17block_load_methodE3ELS4_3ELS4_3ELNS0_20block_scan_algorithmE0ELj4294967295EEENS1_25partition_config_selectorILNS1_17partition_subalgoE4EjNS0_10empty_typeEbEEZZNS1_14partition_implILS8_4ELb0ES6_15HIP_vector_typeIjLj2EENS0_17counting_iteratorIjlEEPS9_SG_NS0_5tupleIJPjSI_NS0_16reverse_iteratorISI_EEEEENSH_IJSG_SG_SG_EEES9_SI_JZNS1_25segmented_radix_sort_implINS0_14default_configELb1EPKiPiPKlPlN2at6native12_GLOBAL__N_18offset_tEEE10hipError_tPvRmT1_PNSt15iterator_traitsIS12_E10value_typeET2_T3_PNS13_IS18_E10value_typeET4_jRbjT5_S1E_jjP12ihipStream_tbEUljE_ZNSN_ISO_Lb1ESQ_SR_ST_SU_SY_EESZ_S10_S11_S12_S16_S17_S18_S1B_S1C_jS1D_jS1E_S1E_jjS1G_bEUljE0_EEESZ_S10_S11_S18_S1C_S1E_T6_T7_T9_mT8_S1G_bDpT10_ENKUlT_T0_E_clISt17integral_constantIbLb0EES1U_EEDaS1P_S1Q_EUlS1P_E_NS1_11comp_targetILNS1_3genE3ELNS1_11target_archE908ELNS1_3gpuE7ELNS1_3repE0EEENS1_30default_config_static_selectorELNS0_4arch9wavefront6targetE1EEEvS12_
	.p2align	8
	.type	_ZN7rocprim17ROCPRIM_400000_NS6detail17trampoline_kernelINS0_13select_configILj256ELj13ELNS0_17block_load_methodE3ELS4_3ELS4_3ELNS0_20block_scan_algorithmE0ELj4294967295EEENS1_25partition_config_selectorILNS1_17partition_subalgoE4EjNS0_10empty_typeEbEEZZNS1_14partition_implILS8_4ELb0ES6_15HIP_vector_typeIjLj2EENS0_17counting_iteratorIjlEEPS9_SG_NS0_5tupleIJPjSI_NS0_16reverse_iteratorISI_EEEEENSH_IJSG_SG_SG_EEES9_SI_JZNS1_25segmented_radix_sort_implINS0_14default_configELb1EPKiPiPKlPlN2at6native12_GLOBAL__N_18offset_tEEE10hipError_tPvRmT1_PNSt15iterator_traitsIS12_E10value_typeET2_T3_PNS13_IS18_E10value_typeET4_jRbjT5_S1E_jjP12ihipStream_tbEUljE_ZNSN_ISO_Lb1ESQ_SR_ST_SU_SY_EESZ_S10_S11_S12_S16_S17_S18_S1B_S1C_jS1D_jS1E_S1E_jjS1G_bEUljE0_EEESZ_S10_S11_S18_S1C_S1E_T6_T7_T9_mT8_S1G_bDpT10_ENKUlT_T0_E_clISt17integral_constantIbLb0EES1U_EEDaS1P_S1Q_EUlS1P_E_NS1_11comp_targetILNS1_3genE3ELNS1_11target_archE908ELNS1_3gpuE7ELNS1_3repE0EEENS1_30default_config_static_selectorELNS0_4arch9wavefront6targetE1EEEvS12_,@function
_ZN7rocprim17ROCPRIM_400000_NS6detail17trampoline_kernelINS0_13select_configILj256ELj13ELNS0_17block_load_methodE3ELS4_3ELS4_3ELNS0_20block_scan_algorithmE0ELj4294967295EEENS1_25partition_config_selectorILNS1_17partition_subalgoE4EjNS0_10empty_typeEbEEZZNS1_14partition_implILS8_4ELb0ES6_15HIP_vector_typeIjLj2EENS0_17counting_iteratorIjlEEPS9_SG_NS0_5tupleIJPjSI_NS0_16reverse_iteratorISI_EEEEENSH_IJSG_SG_SG_EEES9_SI_JZNS1_25segmented_radix_sort_implINS0_14default_configELb1EPKiPiPKlPlN2at6native12_GLOBAL__N_18offset_tEEE10hipError_tPvRmT1_PNSt15iterator_traitsIS12_E10value_typeET2_T3_PNS13_IS18_E10value_typeET4_jRbjT5_S1E_jjP12ihipStream_tbEUljE_ZNSN_ISO_Lb1ESQ_SR_ST_SU_SY_EESZ_S10_S11_S12_S16_S17_S18_S1B_S1C_jS1D_jS1E_S1E_jjS1G_bEUljE0_EEESZ_S10_S11_S18_S1C_S1E_T6_T7_T9_mT8_S1G_bDpT10_ENKUlT_T0_E_clISt17integral_constantIbLb0EES1U_EEDaS1P_S1Q_EUlS1P_E_NS1_11comp_targetILNS1_3genE3ELNS1_11target_archE908ELNS1_3gpuE7ELNS1_3repE0EEENS1_30default_config_static_selectorELNS0_4arch9wavefront6targetE1EEEvS12_: ; @_ZN7rocprim17ROCPRIM_400000_NS6detail17trampoline_kernelINS0_13select_configILj256ELj13ELNS0_17block_load_methodE3ELS4_3ELS4_3ELNS0_20block_scan_algorithmE0ELj4294967295EEENS1_25partition_config_selectorILNS1_17partition_subalgoE4EjNS0_10empty_typeEbEEZZNS1_14partition_implILS8_4ELb0ES6_15HIP_vector_typeIjLj2EENS0_17counting_iteratorIjlEEPS9_SG_NS0_5tupleIJPjSI_NS0_16reverse_iteratorISI_EEEEENSH_IJSG_SG_SG_EEES9_SI_JZNS1_25segmented_radix_sort_implINS0_14default_configELb1EPKiPiPKlPlN2at6native12_GLOBAL__N_18offset_tEEE10hipError_tPvRmT1_PNSt15iterator_traitsIS12_E10value_typeET2_T3_PNS13_IS18_E10value_typeET4_jRbjT5_S1E_jjP12ihipStream_tbEUljE_ZNSN_ISO_Lb1ESQ_SR_ST_SU_SY_EESZ_S10_S11_S12_S16_S17_S18_S1B_S1C_jS1D_jS1E_S1E_jjS1G_bEUljE0_EEESZ_S10_S11_S18_S1C_S1E_T6_T7_T9_mT8_S1G_bDpT10_ENKUlT_T0_E_clISt17integral_constantIbLb0EES1U_EEDaS1P_S1Q_EUlS1P_E_NS1_11comp_targetILNS1_3genE3ELNS1_11target_archE908ELNS1_3gpuE7ELNS1_3repE0EEENS1_30default_config_static_selectorELNS0_4arch9wavefront6targetE1EEEvS12_
; %bb.0:
	.section	.rodata,"a",@progbits
	.p2align	6, 0x0
	.amdhsa_kernel _ZN7rocprim17ROCPRIM_400000_NS6detail17trampoline_kernelINS0_13select_configILj256ELj13ELNS0_17block_load_methodE3ELS4_3ELS4_3ELNS0_20block_scan_algorithmE0ELj4294967295EEENS1_25partition_config_selectorILNS1_17partition_subalgoE4EjNS0_10empty_typeEbEEZZNS1_14partition_implILS8_4ELb0ES6_15HIP_vector_typeIjLj2EENS0_17counting_iteratorIjlEEPS9_SG_NS0_5tupleIJPjSI_NS0_16reverse_iteratorISI_EEEEENSH_IJSG_SG_SG_EEES9_SI_JZNS1_25segmented_radix_sort_implINS0_14default_configELb1EPKiPiPKlPlN2at6native12_GLOBAL__N_18offset_tEEE10hipError_tPvRmT1_PNSt15iterator_traitsIS12_E10value_typeET2_T3_PNS13_IS18_E10value_typeET4_jRbjT5_S1E_jjP12ihipStream_tbEUljE_ZNSN_ISO_Lb1ESQ_SR_ST_SU_SY_EESZ_S10_S11_S12_S16_S17_S18_S1B_S1C_jS1D_jS1E_S1E_jjS1G_bEUljE0_EEESZ_S10_S11_S18_S1C_S1E_T6_T7_T9_mT8_S1G_bDpT10_ENKUlT_T0_E_clISt17integral_constantIbLb0EES1U_EEDaS1P_S1Q_EUlS1P_E_NS1_11comp_targetILNS1_3genE3ELNS1_11target_archE908ELNS1_3gpuE7ELNS1_3repE0EEENS1_30default_config_static_selectorELNS0_4arch9wavefront6targetE1EEEvS12_
		.amdhsa_group_segment_fixed_size 0
		.amdhsa_private_segment_fixed_size 0
		.amdhsa_kernarg_size 176
		.amdhsa_user_sgpr_count 6
		.amdhsa_user_sgpr_private_segment_buffer 1
		.amdhsa_user_sgpr_dispatch_ptr 0
		.amdhsa_user_sgpr_queue_ptr 0
		.amdhsa_user_sgpr_kernarg_segment_ptr 1
		.amdhsa_user_sgpr_dispatch_id 0
		.amdhsa_user_sgpr_flat_scratch_init 0
		.amdhsa_user_sgpr_kernarg_preload_length 0
		.amdhsa_user_sgpr_kernarg_preload_offset 0
		.amdhsa_user_sgpr_private_segment_size 0
		.amdhsa_uses_dynamic_stack 0
		.amdhsa_system_sgpr_private_segment_wavefront_offset 0
		.amdhsa_system_sgpr_workgroup_id_x 1
		.amdhsa_system_sgpr_workgroup_id_y 0
		.amdhsa_system_sgpr_workgroup_id_z 0
		.amdhsa_system_sgpr_workgroup_info 0
		.amdhsa_system_vgpr_workitem_id 0
		.amdhsa_next_free_vgpr 1
		.amdhsa_next_free_sgpr 0
		.amdhsa_accum_offset 4
		.amdhsa_reserve_vcc 0
		.amdhsa_reserve_flat_scratch 0
		.amdhsa_float_round_mode_32 0
		.amdhsa_float_round_mode_16_64 0
		.amdhsa_float_denorm_mode_32 3
		.amdhsa_float_denorm_mode_16_64 3
		.amdhsa_dx10_clamp 1
		.amdhsa_ieee_mode 1
		.amdhsa_fp16_overflow 0
		.amdhsa_tg_split 0
		.amdhsa_exception_fp_ieee_invalid_op 0
		.amdhsa_exception_fp_denorm_src 0
		.amdhsa_exception_fp_ieee_div_zero 0
		.amdhsa_exception_fp_ieee_overflow 0
		.amdhsa_exception_fp_ieee_underflow 0
		.amdhsa_exception_fp_ieee_inexact 0
		.amdhsa_exception_int_div_zero 0
	.end_amdhsa_kernel
	.section	.text._ZN7rocprim17ROCPRIM_400000_NS6detail17trampoline_kernelINS0_13select_configILj256ELj13ELNS0_17block_load_methodE3ELS4_3ELS4_3ELNS0_20block_scan_algorithmE0ELj4294967295EEENS1_25partition_config_selectorILNS1_17partition_subalgoE4EjNS0_10empty_typeEbEEZZNS1_14partition_implILS8_4ELb0ES6_15HIP_vector_typeIjLj2EENS0_17counting_iteratorIjlEEPS9_SG_NS0_5tupleIJPjSI_NS0_16reverse_iteratorISI_EEEEENSH_IJSG_SG_SG_EEES9_SI_JZNS1_25segmented_radix_sort_implINS0_14default_configELb1EPKiPiPKlPlN2at6native12_GLOBAL__N_18offset_tEEE10hipError_tPvRmT1_PNSt15iterator_traitsIS12_E10value_typeET2_T3_PNS13_IS18_E10value_typeET4_jRbjT5_S1E_jjP12ihipStream_tbEUljE_ZNSN_ISO_Lb1ESQ_SR_ST_SU_SY_EESZ_S10_S11_S12_S16_S17_S18_S1B_S1C_jS1D_jS1E_S1E_jjS1G_bEUljE0_EEESZ_S10_S11_S18_S1C_S1E_T6_T7_T9_mT8_S1G_bDpT10_ENKUlT_T0_E_clISt17integral_constantIbLb0EES1U_EEDaS1P_S1Q_EUlS1P_E_NS1_11comp_targetILNS1_3genE3ELNS1_11target_archE908ELNS1_3gpuE7ELNS1_3repE0EEENS1_30default_config_static_selectorELNS0_4arch9wavefront6targetE1EEEvS12_,"axG",@progbits,_ZN7rocprim17ROCPRIM_400000_NS6detail17trampoline_kernelINS0_13select_configILj256ELj13ELNS0_17block_load_methodE3ELS4_3ELS4_3ELNS0_20block_scan_algorithmE0ELj4294967295EEENS1_25partition_config_selectorILNS1_17partition_subalgoE4EjNS0_10empty_typeEbEEZZNS1_14partition_implILS8_4ELb0ES6_15HIP_vector_typeIjLj2EENS0_17counting_iteratorIjlEEPS9_SG_NS0_5tupleIJPjSI_NS0_16reverse_iteratorISI_EEEEENSH_IJSG_SG_SG_EEES9_SI_JZNS1_25segmented_radix_sort_implINS0_14default_configELb1EPKiPiPKlPlN2at6native12_GLOBAL__N_18offset_tEEE10hipError_tPvRmT1_PNSt15iterator_traitsIS12_E10value_typeET2_T3_PNS13_IS18_E10value_typeET4_jRbjT5_S1E_jjP12ihipStream_tbEUljE_ZNSN_ISO_Lb1ESQ_SR_ST_SU_SY_EESZ_S10_S11_S12_S16_S17_S18_S1B_S1C_jS1D_jS1E_S1E_jjS1G_bEUljE0_EEESZ_S10_S11_S18_S1C_S1E_T6_T7_T9_mT8_S1G_bDpT10_ENKUlT_T0_E_clISt17integral_constantIbLb0EES1U_EEDaS1P_S1Q_EUlS1P_E_NS1_11comp_targetILNS1_3genE3ELNS1_11target_archE908ELNS1_3gpuE7ELNS1_3repE0EEENS1_30default_config_static_selectorELNS0_4arch9wavefront6targetE1EEEvS12_,comdat
.Lfunc_end436:
	.size	_ZN7rocprim17ROCPRIM_400000_NS6detail17trampoline_kernelINS0_13select_configILj256ELj13ELNS0_17block_load_methodE3ELS4_3ELS4_3ELNS0_20block_scan_algorithmE0ELj4294967295EEENS1_25partition_config_selectorILNS1_17partition_subalgoE4EjNS0_10empty_typeEbEEZZNS1_14partition_implILS8_4ELb0ES6_15HIP_vector_typeIjLj2EENS0_17counting_iteratorIjlEEPS9_SG_NS0_5tupleIJPjSI_NS0_16reverse_iteratorISI_EEEEENSH_IJSG_SG_SG_EEES9_SI_JZNS1_25segmented_radix_sort_implINS0_14default_configELb1EPKiPiPKlPlN2at6native12_GLOBAL__N_18offset_tEEE10hipError_tPvRmT1_PNSt15iterator_traitsIS12_E10value_typeET2_T3_PNS13_IS18_E10value_typeET4_jRbjT5_S1E_jjP12ihipStream_tbEUljE_ZNSN_ISO_Lb1ESQ_SR_ST_SU_SY_EESZ_S10_S11_S12_S16_S17_S18_S1B_S1C_jS1D_jS1E_S1E_jjS1G_bEUljE0_EEESZ_S10_S11_S18_S1C_S1E_T6_T7_T9_mT8_S1G_bDpT10_ENKUlT_T0_E_clISt17integral_constantIbLb0EES1U_EEDaS1P_S1Q_EUlS1P_E_NS1_11comp_targetILNS1_3genE3ELNS1_11target_archE908ELNS1_3gpuE7ELNS1_3repE0EEENS1_30default_config_static_selectorELNS0_4arch9wavefront6targetE1EEEvS12_, .Lfunc_end436-_ZN7rocprim17ROCPRIM_400000_NS6detail17trampoline_kernelINS0_13select_configILj256ELj13ELNS0_17block_load_methodE3ELS4_3ELS4_3ELNS0_20block_scan_algorithmE0ELj4294967295EEENS1_25partition_config_selectorILNS1_17partition_subalgoE4EjNS0_10empty_typeEbEEZZNS1_14partition_implILS8_4ELb0ES6_15HIP_vector_typeIjLj2EENS0_17counting_iteratorIjlEEPS9_SG_NS0_5tupleIJPjSI_NS0_16reverse_iteratorISI_EEEEENSH_IJSG_SG_SG_EEES9_SI_JZNS1_25segmented_radix_sort_implINS0_14default_configELb1EPKiPiPKlPlN2at6native12_GLOBAL__N_18offset_tEEE10hipError_tPvRmT1_PNSt15iterator_traitsIS12_E10value_typeET2_T3_PNS13_IS18_E10value_typeET4_jRbjT5_S1E_jjP12ihipStream_tbEUljE_ZNSN_ISO_Lb1ESQ_SR_ST_SU_SY_EESZ_S10_S11_S12_S16_S17_S18_S1B_S1C_jS1D_jS1E_S1E_jjS1G_bEUljE0_EEESZ_S10_S11_S18_S1C_S1E_T6_T7_T9_mT8_S1G_bDpT10_ENKUlT_T0_E_clISt17integral_constantIbLb0EES1U_EEDaS1P_S1Q_EUlS1P_E_NS1_11comp_targetILNS1_3genE3ELNS1_11target_archE908ELNS1_3gpuE7ELNS1_3repE0EEENS1_30default_config_static_selectorELNS0_4arch9wavefront6targetE1EEEvS12_
                                        ; -- End function
	.section	.AMDGPU.csdata,"",@progbits
; Kernel info:
; codeLenInByte = 0
; NumSgprs: 4
; NumVgprs: 0
; NumAgprs: 0
; TotalNumVgprs: 0
; ScratchSize: 0
; MemoryBound: 0
; FloatMode: 240
; IeeeMode: 1
; LDSByteSize: 0 bytes/workgroup (compile time only)
; SGPRBlocks: 0
; VGPRBlocks: 0
; NumSGPRsForWavesPerEU: 4
; NumVGPRsForWavesPerEU: 1
; AccumOffset: 4
; Occupancy: 8
; WaveLimiterHint : 0
; COMPUTE_PGM_RSRC2:SCRATCH_EN: 0
; COMPUTE_PGM_RSRC2:USER_SGPR: 6
; COMPUTE_PGM_RSRC2:TRAP_HANDLER: 0
; COMPUTE_PGM_RSRC2:TGID_X_EN: 1
; COMPUTE_PGM_RSRC2:TGID_Y_EN: 0
; COMPUTE_PGM_RSRC2:TGID_Z_EN: 0
; COMPUTE_PGM_RSRC2:TIDIG_COMP_CNT: 0
; COMPUTE_PGM_RSRC3_GFX90A:ACCUM_OFFSET: 0
; COMPUTE_PGM_RSRC3_GFX90A:TG_SPLIT: 0
	.section	.text._ZN7rocprim17ROCPRIM_400000_NS6detail17trampoline_kernelINS0_13select_configILj256ELj13ELNS0_17block_load_methodE3ELS4_3ELS4_3ELNS0_20block_scan_algorithmE0ELj4294967295EEENS1_25partition_config_selectorILNS1_17partition_subalgoE4EjNS0_10empty_typeEbEEZZNS1_14partition_implILS8_4ELb0ES6_15HIP_vector_typeIjLj2EENS0_17counting_iteratorIjlEEPS9_SG_NS0_5tupleIJPjSI_NS0_16reverse_iteratorISI_EEEEENSH_IJSG_SG_SG_EEES9_SI_JZNS1_25segmented_radix_sort_implINS0_14default_configELb1EPKiPiPKlPlN2at6native12_GLOBAL__N_18offset_tEEE10hipError_tPvRmT1_PNSt15iterator_traitsIS12_E10value_typeET2_T3_PNS13_IS18_E10value_typeET4_jRbjT5_S1E_jjP12ihipStream_tbEUljE_ZNSN_ISO_Lb1ESQ_SR_ST_SU_SY_EESZ_S10_S11_S12_S16_S17_S18_S1B_S1C_jS1D_jS1E_S1E_jjS1G_bEUljE0_EEESZ_S10_S11_S18_S1C_S1E_T6_T7_T9_mT8_S1G_bDpT10_ENKUlT_T0_E_clISt17integral_constantIbLb0EES1U_EEDaS1P_S1Q_EUlS1P_E_NS1_11comp_targetILNS1_3genE2ELNS1_11target_archE906ELNS1_3gpuE6ELNS1_3repE0EEENS1_30default_config_static_selectorELNS0_4arch9wavefront6targetE1EEEvS12_,"axG",@progbits,_ZN7rocprim17ROCPRIM_400000_NS6detail17trampoline_kernelINS0_13select_configILj256ELj13ELNS0_17block_load_methodE3ELS4_3ELS4_3ELNS0_20block_scan_algorithmE0ELj4294967295EEENS1_25partition_config_selectorILNS1_17partition_subalgoE4EjNS0_10empty_typeEbEEZZNS1_14partition_implILS8_4ELb0ES6_15HIP_vector_typeIjLj2EENS0_17counting_iteratorIjlEEPS9_SG_NS0_5tupleIJPjSI_NS0_16reverse_iteratorISI_EEEEENSH_IJSG_SG_SG_EEES9_SI_JZNS1_25segmented_radix_sort_implINS0_14default_configELb1EPKiPiPKlPlN2at6native12_GLOBAL__N_18offset_tEEE10hipError_tPvRmT1_PNSt15iterator_traitsIS12_E10value_typeET2_T3_PNS13_IS18_E10value_typeET4_jRbjT5_S1E_jjP12ihipStream_tbEUljE_ZNSN_ISO_Lb1ESQ_SR_ST_SU_SY_EESZ_S10_S11_S12_S16_S17_S18_S1B_S1C_jS1D_jS1E_S1E_jjS1G_bEUljE0_EEESZ_S10_S11_S18_S1C_S1E_T6_T7_T9_mT8_S1G_bDpT10_ENKUlT_T0_E_clISt17integral_constantIbLb0EES1U_EEDaS1P_S1Q_EUlS1P_E_NS1_11comp_targetILNS1_3genE2ELNS1_11target_archE906ELNS1_3gpuE6ELNS1_3repE0EEENS1_30default_config_static_selectorELNS0_4arch9wavefront6targetE1EEEvS12_,comdat
	.globl	_ZN7rocprim17ROCPRIM_400000_NS6detail17trampoline_kernelINS0_13select_configILj256ELj13ELNS0_17block_load_methodE3ELS4_3ELS4_3ELNS0_20block_scan_algorithmE0ELj4294967295EEENS1_25partition_config_selectorILNS1_17partition_subalgoE4EjNS0_10empty_typeEbEEZZNS1_14partition_implILS8_4ELb0ES6_15HIP_vector_typeIjLj2EENS0_17counting_iteratorIjlEEPS9_SG_NS0_5tupleIJPjSI_NS0_16reverse_iteratorISI_EEEEENSH_IJSG_SG_SG_EEES9_SI_JZNS1_25segmented_radix_sort_implINS0_14default_configELb1EPKiPiPKlPlN2at6native12_GLOBAL__N_18offset_tEEE10hipError_tPvRmT1_PNSt15iterator_traitsIS12_E10value_typeET2_T3_PNS13_IS18_E10value_typeET4_jRbjT5_S1E_jjP12ihipStream_tbEUljE_ZNSN_ISO_Lb1ESQ_SR_ST_SU_SY_EESZ_S10_S11_S12_S16_S17_S18_S1B_S1C_jS1D_jS1E_S1E_jjS1G_bEUljE0_EEESZ_S10_S11_S18_S1C_S1E_T6_T7_T9_mT8_S1G_bDpT10_ENKUlT_T0_E_clISt17integral_constantIbLb0EES1U_EEDaS1P_S1Q_EUlS1P_E_NS1_11comp_targetILNS1_3genE2ELNS1_11target_archE906ELNS1_3gpuE6ELNS1_3repE0EEENS1_30default_config_static_selectorELNS0_4arch9wavefront6targetE1EEEvS12_ ; -- Begin function _ZN7rocprim17ROCPRIM_400000_NS6detail17trampoline_kernelINS0_13select_configILj256ELj13ELNS0_17block_load_methodE3ELS4_3ELS4_3ELNS0_20block_scan_algorithmE0ELj4294967295EEENS1_25partition_config_selectorILNS1_17partition_subalgoE4EjNS0_10empty_typeEbEEZZNS1_14partition_implILS8_4ELb0ES6_15HIP_vector_typeIjLj2EENS0_17counting_iteratorIjlEEPS9_SG_NS0_5tupleIJPjSI_NS0_16reverse_iteratorISI_EEEEENSH_IJSG_SG_SG_EEES9_SI_JZNS1_25segmented_radix_sort_implINS0_14default_configELb1EPKiPiPKlPlN2at6native12_GLOBAL__N_18offset_tEEE10hipError_tPvRmT1_PNSt15iterator_traitsIS12_E10value_typeET2_T3_PNS13_IS18_E10value_typeET4_jRbjT5_S1E_jjP12ihipStream_tbEUljE_ZNSN_ISO_Lb1ESQ_SR_ST_SU_SY_EESZ_S10_S11_S12_S16_S17_S18_S1B_S1C_jS1D_jS1E_S1E_jjS1G_bEUljE0_EEESZ_S10_S11_S18_S1C_S1E_T6_T7_T9_mT8_S1G_bDpT10_ENKUlT_T0_E_clISt17integral_constantIbLb0EES1U_EEDaS1P_S1Q_EUlS1P_E_NS1_11comp_targetILNS1_3genE2ELNS1_11target_archE906ELNS1_3gpuE6ELNS1_3repE0EEENS1_30default_config_static_selectorELNS0_4arch9wavefront6targetE1EEEvS12_
	.p2align	8
	.type	_ZN7rocprim17ROCPRIM_400000_NS6detail17trampoline_kernelINS0_13select_configILj256ELj13ELNS0_17block_load_methodE3ELS4_3ELS4_3ELNS0_20block_scan_algorithmE0ELj4294967295EEENS1_25partition_config_selectorILNS1_17partition_subalgoE4EjNS0_10empty_typeEbEEZZNS1_14partition_implILS8_4ELb0ES6_15HIP_vector_typeIjLj2EENS0_17counting_iteratorIjlEEPS9_SG_NS0_5tupleIJPjSI_NS0_16reverse_iteratorISI_EEEEENSH_IJSG_SG_SG_EEES9_SI_JZNS1_25segmented_radix_sort_implINS0_14default_configELb1EPKiPiPKlPlN2at6native12_GLOBAL__N_18offset_tEEE10hipError_tPvRmT1_PNSt15iterator_traitsIS12_E10value_typeET2_T3_PNS13_IS18_E10value_typeET4_jRbjT5_S1E_jjP12ihipStream_tbEUljE_ZNSN_ISO_Lb1ESQ_SR_ST_SU_SY_EESZ_S10_S11_S12_S16_S17_S18_S1B_S1C_jS1D_jS1E_S1E_jjS1G_bEUljE0_EEESZ_S10_S11_S18_S1C_S1E_T6_T7_T9_mT8_S1G_bDpT10_ENKUlT_T0_E_clISt17integral_constantIbLb0EES1U_EEDaS1P_S1Q_EUlS1P_E_NS1_11comp_targetILNS1_3genE2ELNS1_11target_archE906ELNS1_3gpuE6ELNS1_3repE0EEENS1_30default_config_static_selectorELNS0_4arch9wavefront6targetE1EEEvS12_,@function
_ZN7rocprim17ROCPRIM_400000_NS6detail17trampoline_kernelINS0_13select_configILj256ELj13ELNS0_17block_load_methodE3ELS4_3ELS4_3ELNS0_20block_scan_algorithmE0ELj4294967295EEENS1_25partition_config_selectorILNS1_17partition_subalgoE4EjNS0_10empty_typeEbEEZZNS1_14partition_implILS8_4ELb0ES6_15HIP_vector_typeIjLj2EENS0_17counting_iteratorIjlEEPS9_SG_NS0_5tupleIJPjSI_NS0_16reverse_iteratorISI_EEEEENSH_IJSG_SG_SG_EEES9_SI_JZNS1_25segmented_radix_sort_implINS0_14default_configELb1EPKiPiPKlPlN2at6native12_GLOBAL__N_18offset_tEEE10hipError_tPvRmT1_PNSt15iterator_traitsIS12_E10value_typeET2_T3_PNS13_IS18_E10value_typeET4_jRbjT5_S1E_jjP12ihipStream_tbEUljE_ZNSN_ISO_Lb1ESQ_SR_ST_SU_SY_EESZ_S10_S11_S12_S16_S17_S18_S1B_S1C_jS1D_jS1E_S1E_jjS1G_bEUljE0_EEESZ_S10_S11_S18_S1C_S1E_T6_T7_T9_mT8_S1G_bDpT10_ENKUlT_T0_E_clISt17integral_constantIbLb0EES1U_EEDaS1P_S1Q_EUlS1P_E_NS1_11comp_targetILNS1_3genE2ELNS1_11target_archE906ELNS1_3gpuE6ELNS1_3repE0EEENS1_30default_config_static_selectorELNS0_4arch9wavefront6targetE1EEEvS12_: ; @_ZN7rocprim17ROCPRIM_400000_NS6detail17trampoline_kernelINS0_13select_configILj256ELj13ELNS0_17block_load_methodE3ELS4_3ELS4_3ELNS0_20block_scan_algorithmE0ELj4294967295EEENS1_25partition_config_selectorILNS1_17partition_subalgoE4EjNS0_10empty_typeEbEEZZNS1_14partition_implILS8_4ELb0ES6_15HIP_vector_typeIjLj2EENS0_17counting_iteratorIjlEEPS9_SG_NS0_5tupleIJPjSI_NS0_16reverse_iteratorISI_EEEEENSH_IJSG_SG_SG_EEES9_SI_JZNS1_25segmented_radix_sort_implINS0_14default_configELb1EPKiPiPKlPlN2at6native12_GLOBAL__N_18offset_tEEE10hipError_tPvRmT1_PNSt15iterator_traitsIS12_E10value_typeET2_T3_PNS13_IS18_E10value_typeET4_jRbjT5_S1E_jjP12ihipStream_tbEUljE_ZNSN_ISO_Lb1ESQ_SR_ST_SU_SY_EESZ_S10_S11_S12_S16_S17_S18_S1B_S1C_jS1D_jS1E_S1E_jjS1G_bEUljE0_EEESZ_S10_S11_S18_S1C_S1E_T6_T7_T9_mT8_S1G_bDpT10_ENKUlT_T0_E_clISt17integral_constantIbLb0EES1U_EEDaS1P_S1Q_EUlS1P_E_NS1_11comp_targetILNS1_3genE2ELNS1_11target_archE906ELNS1_3gpuE6ELNS1_3repE0EEENS1_30default_config_static_selectorELNS0_4arch9wavefront6targetE1EEEvS12_
; %bb.0:
	.section	.rodata,"a",@progbits
	.p2align	6, 0x0
	.amdhsa_kernel _ZN7rocprim17ROCPRIM_400000_NS6detail17trampoline_kernelINS0_13select_configILj256ELj13ELNS0_17block_load_methodE3ELS4_3ELS4_3ELNS0_20block_scan_algorithmE0ELj4294967295EEENS1_25partition_config_selectorILNS1_17partition_subalgoE4EjNS0_10empty_typeEbEEZZNS1_14partition_implILS8_4ELb0ES6_15HIP_vector_typeIjLj2EENS0_17counting_iteratorIjlEEPS9_SG_NS0_5tupleIJPjSI_NS0_16reverse_iteratorISI_EEEEENSH_IJSG_SG_SG_EEES9_SI_JZNS1_25segmented_radix_sort_implINS0_14default_configELb1EPKiPiPKlPlN2at6native12_GLOBAL__N_18offset_tEEE10hipError_tPvRmT1_PNSt15iterator_traitsIS12_E10value_typeET2_T3_PNS13_IS18_E10value_typeET4_jRbjT5_S1E_jjP12ihipStream_tbEUljE_ZNSN_ISO_Lb1ESQ_SR_ST_SU_SY_EESZ_S10_S11_S12_S16_S17_S18_S1B_S1C_jS1D_jS1E_S1E_jjS1G_bEUljE0_EEESZ_S10_S11_S18_S1C_S1E_T6_T7_T9_mT8_S1G_bDpT10_ENKUlT_T0_E_clISt17integral_constantIbLb0EES1U_EEDaS1P_S1Q_EUlS1P_E_NS1_11comp_targetILNS1_3genE2ELNS1_11target_archE906ELNS1_3gpuE6ELNS1_3repE0EEENS1_30default_config_static_selectorELNS0_4arch9wavefront6targetE1EEEvS12_
		.amdhsa_group_segment_fixed_size 0
		.amdhsa_private_segment_fixed_size 0
		.amdhsa_kernarg_size 176
		.amdhsa_user_sgpr_count 6
		.amdhsa_user_sgpr_private_segment_buffer 1
		.amdhsa_user_sgpr_dispatch_ptr 0
		.amdhsa_user_sgpr_queue_ptr 0
		.amdhsa_user_sgpr_kernarg_segment_ptr 1
		.amdhsa_user_sgpr_dispatch_id 0
		.amdhsa_user_sgpr_flat_scratch_init 0
		.amdhsa_user_sgpr_kernarg_preload_length 0
		.amdhsa_user_sgpr_kernarg_preload_offset 0
		.amdhsa_user_sgpr_private_segment_size 0
		.amdhsa_uses_dynamic_stack 0
		.amdhsa_system_sgpr_private_segment_wavefront_offset 0
		.amdhsa_system_sgpr_workgroup_id_x 1
		.amdhsa_system_sgpr_workgroup_id_y 0
		.amdhsa_system_sgpr_workgroup_id_z 0
		.amdhsa_system_sgpr_workgroup_info 0
		.amdhsa_system_vgpr_workitem_id 0
		.amdhsa_next_free_vgpr 1
		.amdhsa_next_free_sgpr 0
		.amdhsa_accum_offset 4
		.amdhsa_reserve_vcc 0
		.amdhsa_reserve_flat_scratch 0
		.amdhsa_float_round_mode_32 0
		.amdhsa_float_round_mode_16_64 0
		.amdhsa_float_denorm_mode_32 3
		.amdhsa_float_denorm_mode_16_64 3
		.amdhsa_dx10_clamp 1
		.amdhsa_ieee_mode 1
		.amdhsa_fp16_overflow 0
		.amdhsa_tg_split 0
		.amdhsa_exception_fp_ieee_invalid_op 0
		.amdhsa_exception_fp_denorm_src 0
		.amdhsa_exception_fp_ieee_div_zero 0
		.amdhsa_exception_fp_ieee_overflow 0
		.amdhsa_exception_fp_ieee_underflow 0
		.amdhsa_exception_fp_ieee_inexact 0
		.amdhsa_exception_int_div_zero 0
	.end_amdhsa_kernel
	.section	.text._ZN7rocprim17ROCPRIM_400000_NS6detail17trampoline_kernelINS0_13select_configILj256ELj13ELNS0_17block_load_methodE3ELS4_3ELS4_3ELNS0_20block_scan_algorithmE0ELj4294967295EEENS1_25partition_config_selectorILNS1_17partition_subalgoE4EjNS0_10empty_typeEbEEZZNS1_14partition_implILS8_4ELb0ES6_15HIP_vector_typeIjLj2EENS0_17counting_iteratorIjlEEPS9_SG_NS0_5tupleIJPjSI_NS0_16reverse_iteratorISI_EEEEENSH_IJSG_SG_SG_EEES9_SI_JZNS1_25segmented_radix_sort_implINS0_14default_configELb1EPKiPiPKlPlN2at6native12_GLOBAL__N_18offset_tEEE10hipError_tPvRmT1_PNSt15iterator_traitsIS12_E10value_typeET2_T3_PNS13_IS18_E10value_typeET4_jRbjT5_S1E_jjP12ihipStream_tbEUljE_ZNSN_ISO_Lb1ESQ_SR_ST_SU_SY_EESZ_S10_S11_S12_S16_S17_S18_S1B_S1C_jS1D_jS1E_S1E_jjS1G_bEUljE0_EEESZ_S10_S11_S18_S1C_S1E_T6_T7_T9_mT8_S1G_bDpT10_ENKUlT_T0_E_clISt17integral_constantIbLb0EES1U_EEDaS1P_S1Q_EUlS1P_E_NS1_11comp_targetILNS1_3genE2ELNS1_11target_archE906ELNS1_3gpuE6ELNS1_3repE0EEENS1_30default_config_static_selectorELNS0_4arch9wavefront6targetE1EEEvS12_,"axG",@progbits,_ZN7rocprim17ROCPRIM_400000_NS6detail17trampoline_kernelINS0_13select_configILj256ELj13ELNS0_17block_load_methodE3ELS4_3ELS4_3ELNS0_20block_scan_algorithmE0ELj4294967295EEENS1_25partition_config_selectorILNS1_17partition_subalgoE4EjNS0_10empty_typeEbEEZZNS1_14partition_implILS8_4ELb0ES6_15HIP_vector_typeIjLj2EENS0_17counting_iteratorIjlEEPS9_SG_NS0_5tupleIJPjSI_NS0_16reverse_iteratorISI_EEEEENSH_IJSG_SG_SG_EEES9_SI_JZNS1_25segmented_radix_sort_implINS0_14default_configELb1EPKiPiPKlPlN2at6native12_GLOBAL__N_18offset_tEEE10hipError_tPvRmT1_PNSt15iterator_traitsIS12_E10value_typeET2_T3_PNS13_IS18_E10value_typeET4_jRbjT5_S1E_jjP12ihipStream_tbEUljE_ZNSN_ISO_Lb1ESQ_SR_ST_SU_SY_EESZ_S10_S11_S12_S16_S17_S18_S1B_S1C_jS1D_jS1E_S1E_jjS1G_bEUljE0_EEESZ_S10_S11_S18_S1C_S1E_T6_T7_T9_mT8_S1G_bDpT10_ENKUlT_T0_E_clISt17integral_constantIbLb0EES1U_EEDaS1P_S1Q_EUlS1P_E_NS1_11comp_targetILNS1_3genE2ELNS1_11target_archE906ELNS1_3gpuE6ELNS1_3repE0EEENS1_30default_config_static_selectorELNS0_4arch9wavefront6targetE1EEEvS12_,comdat
.Lfunc_end437:
	.size	_ZN7rocprim17ROCPRIM_400000_NS6detail17trampoline_kernelINS0_13select_configILj256ELj13ELNS0_17block_load_methodE3ELS4_3ELS4_3ELNS0_20block_scan_algorithmE0ELj4294967295EEENS1_25partition_config_selectorILNS1_17partition_subalgoE4EjNS0_10empty_typeEbEEZZNS1_14partition_implILS8_4ELb0ES6_15HIP_vector_typeIjLj2EENS0_17counting_iteratorIjlEEPS9_SG_NS0_5tupleIJPjSI_NS0_16reverse_iteratorISI_EEEEENSH_IJSG_SG_SG_EEES9_SI_JZNS1_25segmented_radix_sort_implINS0_14default_configELb1EPKiPiPKlPlN2at6native12_GLOBAL__N_18offset_tEEE10hipError_tPvRmT1_PNSt15iterator_traitsIS12_E10value_typeET2_T3_PNS13_IS18_E10value_typeET4_jRbjT5_S1E_jjP12ihipStream_tbEUljE_ZNSN_ISO_Lb1ESQ_SR_ST_SU_SY_EESZ_S10_S11_S12_S16_S17_S18_S1B_S1C_jS1D_jS1E_S1E_jjS1G_bEUljE0_EEESZ_S10_S11_S18_S1C_S1E_T6_T7_T9_mT8_S1G_bDpT10_ENKUlT_T0_E_clISt17integral_constantIbLb0EES1U_EEDaS1P_S1Q_EUlS1P_E_NS1_11comp_targetILNS1_3genE2ELNS1_11target_archE906ELNS1_3gpuE6ELNS1_3repE0EEENS1_30default_config_static_selectorELNS0_4arch9wavefront6targetE1EEEvS12_, .Lfunc_end437-_ZN7rocprim17ROCPRIM_400000_NS6detail17trampoline_kernelINS0_13select_configILj256ELj13ELNS0_17block_load_methodE3ELS4_3ELS4_3ELNS0_20block_scan_algorithmE0ELj4294967295EEENS1_25partition_config_selectorILNS1_17partition_subalgoE4EjNS0_10empty_typeEbEEZZNS1_14partition_implILS8_4ELb0ES6_15HIP_vector_typeIjLj2EENS0_17counting_iteratorIjlEEPS9_SG_NS0_5tupleIJPjSI_NS0_16reverse_iteratorISI_EEEEENSH_IJSG_SG_SG_EEES9_SI_JZNS1_25segmented_radix_sort_implINS0_14default_configELb1EPKiPiPKlPlN2at6native12_GLOBAL__N_18offset_tEEE10hipError_tPvRmT1_PNSt15iterator_traitsIS12_E10value_typeET2_T3_PNS13_IS18_E10value_typeET4_jRbjT5_S1E_jjP12ihipStream_tbEUljE_ZNSN_ISO_Lb1ESQ_SR_ST_SU_SY_EESZ_S10_S11_S12_S16_S17_S18_S1B_S1C_jS1D_jS1E_S1E_jjS1G_bEUljE0_EEESZ_S10_S11_S18_S1C_S1E_T6_T7_T9_mT8_S1G_bDpT10_ENKUlT_T0_E_clISt17integral_constantIbLb0EES1U_EEDaS1P_S1Q_EUlS1P_E_NS1_11comp_targetILNS1_3genE2ELNS1_11target_archE906ELNS1_3gpuE6ELNS1_3repE0EEENS1_30default_config_static_selectorELNS0_4arch9wavefront6targetE1EEEvS12_
                                        ; -- End function
	.section	.AMDGPU.csdata,"",@progbits
; Kernel info:
; codeLenInByte = 0
; NumSgprs: 4
; NumVgprs: 0
; NumAgprs: 0
; TotalNumVgprs: 0
; ScratchSize: 0
; MemoryBound: 0
; FloatMode: 240
; IeeeMode: 1
; LDSByteSize: 0 bytes/workgroup (compile time only)
; SGPRBlocks: 0
; VGPRBlocks: 0
; NumSGPRsForWavesPerEU: 4
; NumVGPRsForWavesPerEU: 1
; AccumOffset: 4
; Occupancy: 8
; WaveLimiterHint : 0
; COMPUTE_PGM_RSRC2:SCRATCH_EN: 0
; COMPUTE_PGM_RSRC2:USER_SGPR: 6
; COMPUTE_PGM_RSRC2:TRAP_HANDLER: 0
; COMPUTE_PGM_RSRC2:TGID_X_EN: 1
; COMPUTE_PGM_RSRC2:TGID_Y_EN: 0
; COMPUTE_PGM_RSRC2:TGID_Z_EN: 0
; COMPUTE_PGM_RSRC2:TIDIG_COMP_CNT: 0
; COMPUTE_PGM_RSRC3_GFX90A:ACCUM_OFFSET: 0
; COMPUTE_PGM_RSRC3_GFX90A:TG_SPLIT: 0
	.section	.text._ZN7rocprim17ROCPRIM_400000_NS6detail17trampoline_kernelINS0_13select_configILj256ELj13ELNS0_17block_load_methodE3ELS4_3ELS4_3ELNS0_20block_scan_algorithmE0ELj4294967295EEENS1_25partition_config_selectorILNS1_17partition_subalgoE4EjNS0_10empty_typeEbEEZZNS1_14partition_implILS8_4ELb0ES6_15HIP_vector_typeIjLj2EENS0_17counting_iteratorIjlEEPS9_SG_NS0_5tupleIJPjSI_NS0_16reverse_iteratorISI_EEEEENSH_IJSG_SG_SG_EEES9_SI_JZNS1_25segmented_radix_sort_implINS0_14default_configELb1EPKiPiPKlPlN2at6native12_GLOBAL__N_18offset_tEEE10hipError_tPvRmT1_PNSt15iterator_traitsIS12_E10value_typeET2_T3_PNS13_IS18_E10value_typeET4_jRbjT5_S1E_jjP12ihipStream_tbEUljE_ZNSN_ISO_Lb1ESQ_SR_ST_SU_SY_EESZ_S10_S11_S12_S16_S17_S18_S1B_S1C_jS1D_jS1E_S1E_jjS1G_bEUljE0_EEESZ_S10_S11_S18_S1C_S1E_T6_T7_T9_mT8_S1G_bDpT10_ENKUlT_T0_E_clISt17integral_constantIbLb0EES1U_EEDaS1P_S1Q_EUlS1P_E_NS1_11comp_targetILNS1_3genE10ELNS1_11target_archE1200ELNS1_3gpuE4ELNS1_3repE0EEENS1_30default_config_static_selectorELNS0_4arch9wavefront6targetE1EEEvS12_,"axG",@progbits,_ZN7rocprim17ROCPRIM_400000_NS6detail17trampoline_kernelINS0_13select_configILj256ELj13ELNS0_17block_load_methodE3ELS4_3ELS4_3ELNS0_20block_scan_algorithmE0ELj4294967295EEENS1_25partition_config_selectorILNS1_17partition_subalgoE4EjNS0_10empty_typeEbEEZZNS1_14partition_implILS8_4ELb0ES6_15HIP_vector_typeIjLj2EENS0_17counting_iteratorIjlEEPS9_SG_NS0_5tupleIJPjSI_NS0_16reverse_iteratorISI_EEEEENSH_IJSG_SG_SG_EEES9_SI_JZNS1_25segmented_radix_sort_implINS0_14default_configELb1EPKiPiPKlPlN2at6native12_GLOBAL__N_18offset_tEEE10hipError_tPvRmT1_PNSt15iterator_traitsIS12_E10value_typeET2_T3_PNS13_IS18_E10value_typeET4_jRbjT5_S1E_jjP12ihipStream_tbEUljE_ZNSN_ISO_Lb1ESQ_SR_ST_SU_SY_EESZ_S10_S11_S12_S16_S17_S18_S1B_S1C_jS1D_jS1E_S1E_jjS1G_bEUljE0_EEESZ_S10_S11_S18_S1C_S1E_T6_T7_T9_mT8_S1G_bDpT10_ENKUlT_T0_E_clISt17integral_constantIbLb0EES1U_EEDaS1P_S1Q_EUlS1P_E_NS1_11comp_targetILNS1_3genE10ELNS1_11target_archE1200ELNS1_3gpuE4ELNS1_3repE0EEENS1_30default_config_static_selectorELNS0_4arch9wavefront6targetE1EEEvS12_,comdat
	.globl	_ZN7rocprim17ROCPRIM_400000_NS6detail17trampoline_kernelINS0_13select_configILj256ELj13ELNS0_17block_load_methodE3ELS4_3ELS4_3ELNS0_20block_scan_algorithmE0ELj4294967295EEENS1_25partition_config_selectorILNS1_17partition_subalgoE4EjNS0_10empty_typeEbEEZZNS1_14partition_implILS8_4ELb0ES6_15HIP_vector_typeIjLj2EENS0_17counting_iteratorIjlEEPS9_SG_NS0_5tupleIJPjSI_NS0_16reverse_iteratorISI_EEEEENSH_IJSG_SG_SG_EEES9_SI_JZNS1_25segmented_radix_sort_implINS0_14default_configELb1EPKiPiPKlPlN2at6native12_GLOBAL__N_18offset_tEEE10hipError_tPvRmT1_PNSt15iterator_traitsIS12_E10value_typeET2_T3_PNS13_IS18_E10value_typeET4_jRbjT5_S1E_jjP12ihipStream_tbEUljE_ZNSN_ISO_Lb1ESQ_SR_ST_SU_SY_EESZ_S10_S11_S12_S16_S17_S18_S1B_S1C_jS1D_jS1E_S1E_jjS1G_bEUljE0_EEESZ_S10_S11_S18_S1C_S1E_T6_T7_T9_mT8_S1G_bDpT10_ENKUlT_T0_E_clISt17integral_constantIbLb0EES1U_EEDaS1P_S1Q_EUlS1P_E_NS1_11comp_targetILNS1_3genE10ELNS1_11target_archE1200ELNS1_3gpuE4ELNS1_3repE0EEENS1_30default_config_static_selectorELNS0_4arch9wavefront6targetE1EEEvS12_ ; -- Begin function _ZN7rocprim17ROCPRIM_400000_NS6detail17trampoline_kernelINS0_13select_configILj256ELj13ELNS0_17block_load_methodE3ELS4_3ELS4_3ELNS0_20block_scan_algorithmE0ELj4294967295EEENS1_25partition_config_selectorILNS1_17partition_subalgoE4EjNS0_10empty_typeEbEEZZNS1_14partition_implILS8_4ELb0ES6_15HIP_vector_typeIjLj2EENS0_17counting_iteratorIjlEEPS9_SG_NS0_5tupleIJPjSI_NS0_16reverse_iteratorISI_EEEEENSH_IJSG_SG_SG_EEES9_SI_JZNS1_25segmented_radix_sort_implINS0_14default_configELb1EPKiPiPKlPlN2at6native12_GLOBAL__N_18offset_tEEE10hipError_tPvRmT1_PNSt15iterator_traitsIS12_E10value_typeET2_T3_PNS13_IS18_E10value_typeET4_jRbjT5_S1E_jjP12ihipStream_tbEUljE_ZNSN_ISO_Lb1ESQ_SR_ST_SU_SY_EESZ_S10_S11_S12_S16_S17_S18_S1B_S1C_jS1D_jS1E_S1E_jjS1G_bEUljE0_EEESZ_S10_S11_S18_S1C_S1E_T6_T7_T9_mT8_S1G_bDpT10_ENKUlT_T0_E_clISt17integral_constantIbLb0EES1U_EEDaS1P_S1Q_EUlS1P_E_NS1_11comp_targetILNS1_3genE10ELNS1_11target_archE1200ELNS1_3gpuE4ELNS1_3repE0EEENS1_30default_config_static_selectorELNS0_4arch9wavefront6targetE1EEEvS12_
	.p2align	8
	.type	_ZN7rocprim17ROCPRIM_400000_NS6detail17trampoline_kernelINS0_13select_configILj256ELj13ELNS0_17block_load_methodE3ELS4_3ELS4_3ELNS0_20block_scan_algorithmE0ELj4294967295EEENS1_25partition_config_selectorILNS1_17partition_subalgoE4EjNS0_10empty_typeEbEEZZNS1_14partition_implILS8_4ELb0ES6_15HIP_vector_typeIjLj2EENS0_17counting_iteratorIjlEEPS9_SG_NS0_5tupleIJPjSI_NS0_16reverse_iteratorISI_EEEEENSH_IJSG_SG_SG_EEES9_SI_JZNS1_25segmented_radix_sort_implINS0_14default_configELb1EPKiPiPKlPlN2at6native12_GLOBAL__N_18offset_tEEE10hipError_tPvRmT1_PNSt15iterator_traitsIS12_E10value_typeET2_T3_PNS13_IS18_E10value_typeET4_jRbjT5_S1E_jjP12ihipStream_tbEUljE_ZNSN_ISO_Lb1ESQ_SR_ST_SU_SY_EESZ_S10_S11_S12_S16_S17_S18_S1B_S1C_jS1D_jS1E_S1E_jjS1G_bEUljE0_EEESZ_S10_S11_S18_S1C_S1E_T6_T7_T9_mT8_S1G_bDpT10_ENKUlT_T0_E_clISt17integral_constantIbLb0EES1U_EEDaS1P_S1Q_EUlS1P_E_NS1_11comp_targetILNS1_3genE10ELNS1_11target_archE1200ELNS1_3gpuE4ELNS1_3repE0EEENS1_30default_config_static_selectorELNS0_4arch9wavefront6targetE1EEEvS12_,@function
_ZN7rocprim17ROCPRIM_400000_NS6detail17trampoline_kernelINS0_13select_configILj256ELj13ELNS0_17block_load_methodE3ELS4_3ELS4_3ELNS0_20block_scan_algorithmE0ELj4294967295EEENS1_25partition_config_selectorILNS1_17partition_subalgoE4EjNS0_10empty_typeEbEEZZNS1_14partition_implILS8_4ELb0ES6_15HIP_vector_typeIjLj2EENS0_17counting_iteratorIjlEEPS9_SG_NS0_5tupleIJPjSI_NS0_16reverse_iteratorISI_EEEEENSH_IJSG_SG_SG_EEES9_SI_JZNS1_25segmented_radix_sort_implINS0_14default_configELb1EPKiPiPKlPlN2at6native12_GLOBAL__N_18offset_tEEE10hipError_tPvRmT1_PNSt15iterator_traitsIS12_E10value_typeET2_T3_PNS13_IS18_E10value_typeET4_jRbjT5_S1E_jjP12ihipStream_tbEUljE_ZNSN_ISO_Lb1ESQ_SR_ST_SU_SY_EESZ_S10_S11_S12_S16_S17_S18_S1B_S1C_jS1D_jS1E_S1E_jjS1G_bEUljE0_EEESZ_S10_S11_S18_S1C_S1E_T6_T7_T9_mT8_S1G_bDpT10_ENKUlT_T0_E_clISt17integral_constantIbLb0EES1U_EEDaS1P_S1Q_EUlS1P_E_NS1_11comp_targetILNS1_3genE10ELNS1_11target_archE1200ELNS1_3gpuE4ELNS1_3repE0EEENS1_30default_config_static_selectorELNS0_4arch9wavefront6targetE1EEEvS12_: ; @_ZN7rocprim17ROCPRIM_400000_NS6detail17trampoline_kernelINS0_13select_configILj256ELj13ELNS0_17block_load_methodE3ELS4_3ELS4_3ELNS0_20block_scan_algorithmE0ELj4294967295EEENS1_25partition_config_selectorILNS1_17partition_subalgoE4EjNS0_10empty_typeEbEEZZNS1_14partition_implILS8_4ELb0ES6_15HIP_vector_typeIjLj2EENS0_17counting_iteratorIjlEEPS9_SG_NS0_5tupleIJPjSI_NS0_16reverse_iteratorISI_EEEEENSH_IJSG_SG_SG_EEES9_SI_JZNS1_25segmented_radix_sort_implINS0_14default_configELb1EPKiPiPKlPlN2at6native12_GLOBAL__N_18offset_tEEE10hipError_tPvRmT1_PNSt15iterator_traitsIS12_E10value_typeET2_T3_PNS13_IS18_E10value_typeET4_jRbjT5_S1E_jjP12ihipStream_tbEUljE_ZNSN_ISO_Lb1ESQ_SR_ST_SU_SY_EESZ_S10_S11_S12_S16_S17_S18_S1B_S1C_jS1D_jS1E_S1E_jjS1G_bEUljE0_EEESZ_S10_S11_S18_S1C_S1E_T6_T7_T9_mT8_S1G_bDpT10_ENKUlT_T0_E_clISt17integral_constantIbLb0EES1U_EEDaS1P_S1Q_EUlS1P_E_NS1_11comp_targetILNS1_3genE10ELNS1_11target_archE1200ELNS1_3gpuE4ELNS1_3repE0EEENS1_30default_config_static_selectorELNS0_4arch9wavefront6targetE1EEEvS12_
; %bb.0:
	.section	.rodata,"a",@progbits
	.p2align	6, 0x0
	.amdhsa_kernel _ZN7rocprim17ROCPRIM_400000_NS6detail17trampoline_kernelINS0_13select_configILj256ELj13ELNS0_17block_load_methodE3ELS4_3ELS4_3ELNS0_20block_scan_algorithmE0ELj4294967295EEENS1_25partition_config_selectorILNS1_17partition_subalgoE4EjNS0_10empty_typeEbEEZZNS1_14partition_implILS8_4ELb0ES6_15HIP_vector_typeIjLj2EENS0_17counting_iteratorIjlEEPS9_SG_NS0_5tupleIJPjSI_NS0_16reverse_iteratorISI_EEEEENSH_IJSG_SG_SG_EEES9_SI_JZNS1_25segmented_radix_sort_implINS0_14default_configELb1EPKiPiPKlPlN2at6native12_GLOBAL__N_18offset_tEEE10hipError_tPvRmT1_PNSt15iterator_traitsIS12_E10value_typeET2_T3_PNS13_IS18_E10value_typeET4_jRbjT5_S1E_jjP12ihipStream_tbEUljE_ZNSN_ISO_Lb1ESQ_SR_ST_SU_SY_EESZ_S10_S11_S12_S16_S17_S18_S1B_S1C_jS1D_jS1E_S1E_jjS1G_bEUljE0_EEESZ_S10_S11_S18_S1C_S1E_T6_T7_T9_mT8_S1G_bDpT10_ENKUlT_T0_E_clISt17integral_constantIbLb0EES1U_EEDaS1P_S1Q_EUlS1P_E_NS1_11comp_targetILNS1_3genE10ELNS1_11target_archE1200ELNS1_3gpuE4ELNS1_3repE0EEENS1_30default_config_static_selectorELNS0_4arch9wavefront6targetE1EEEvS12_
		.amdhsa_group_segment_fixed_size 0
		.amdhsa_private_segment_fixed_size 0
		.amdhsa_kernarg_size 176
		.amdhsa_user_sgpr_count 6
		.amdhsa_user_sgpr_private_segment_buffer 1
		.amdhsa_user_sgpr_dispatch_ptr 0
		.amdhsa_user_sgpr_queue_ptr 0
		.amdhsa_user_sgpr_kernarg_segment_ptr 1
		.amdhsa_user_sgpr_dispatch_id 0
		.amdhsa_user_sgpr_flat_scratch_init 0
		.amdhsa_user_sgpr_kernarg_preload_length 0
		.amdhsa_user_sgpr_kernarg_preload_offset 0
		.amdhsa_user_sgpr_private_segment_size 0
		.amdhsa_uses_dynamic_stack 0
		.amdhsa_system_sgpr_private_segment_wavefront_offset 0
		.amdhsa_system_sgpr_workgroup_id_x 1
		.amdhsa_system_sgpr_workgroup_id_y 0
		.amdhsa_system_sgpr_workgroup_id_z 0
		.amdhsa_system_sgpr_workgroup_info 0
		.amdhsa_system_vgpr_workitem_id 0
		.amdhsa_next_free_vgpr 1
		.amdhsa_next_free_sgpr 0
		.amdhsa_accum_offset 4
		.amdhsa_reserve_vcc 0
		.amdhsa_reserve_flat_scratch 0
		.amdhsa_float_round_mode_32 0
		.amdhsa_float_round_mode_16_64 0
		.amdhsa_float_denorm_mode_32 3
		.amdhsa_float_denorm_mode_16_64 3
		.amdhsa_dx10_clamp 1
		.amdhsa_ieee_mode 1
		.amdhsa_fp16_overflow 0
		.amdhsa_tg_split 0
		.amdhsa_exception_fp_ieee_invalid_op 0
		.amdhsa_exception_fp_denorm_src 0
		.amdhsa_exception_fp_ieee_div_zero 0
		.amdhsa_exception_fp_ieee_overflow 0
		.amdhsa_exception_fp_ieee_underflow 0
		.amdhsa_exception_fp_ieee_inexact 0
		.amdhsa_exception_int_div_zero 0
	.end_amdhsa_kernel
	.section	.text._ZN7rocprim17ROCPRIM_400000_NS6detail17trampoline_kernelINS0_13select_configILj256ELj13ELNS0_17block_load_methodE3ELS4_3ELS4_3ELNS0_20block_scan_algorithmE0ELj4294967295EEENS1_25partition_config_selectorILNS1_17partition_subalgoE4EjNS0_10empty_typeEbEEZZNS1_14partition_implILS8_4ELb0ES6_15HIP_vector_typeIjLj2EENS0_17counting_iteratorIjlEEPS9_SG_NS0_5tupleIJPjSI_NS0_16reverse_iteratorISI_EEEEENSH_IJSG_SG_SG_EEES9_SI_JZNS1_25segmented_radix_sort_implINS0_14default_configELb1EPKiPiPKlPlN2at6native12_GLOBAL__N_18offset_tEEE10hipError_tPvRmT1_PNSt15iterator_traitsIS12_E10value_typeET2_T3_PNS13_IS18_E10value_typeET4_jRbjT5_S1E_jjP12ihipStream_tbEUljE_ZNSN_ISO_Lb1ESQ_SR_ST_SU_SY_EESZ_S10_S11_S12_S16_S17_S18_S1B_S1C_jS1D_jS1E_S1E_jjS1G_bEUljE0_EEESZ_S10_S11_S18_S1C_S1E_T6_T7_T9_mT8_S1G_bDpT10_ENKUlT_T0_E_clISt17integral_constantIbLb0EES1U_EEDaS1P_S1Q_EUlS1P_E_NS1_11comp_targetILNS1_3genE10ELNS1_11target_archE1200ELNS1_3gpuE4ELNS1_3repE0EEENS1_30default_config_static_selectorELNS0_4arch9wavefront6targetE1EEEvS12_,"axG",@progbits,_ZN7rocprim17ROCPRIM_400000_NS6detail17trampoline_kernelINS0_13select_configILj256ELj13ELNS0_17block_load_methodE3ELS4_3ELS4_3ELNS0_20block_scan_algorithmE0ELj4294967295EEENS1_25partition_config_selectorILNS1_17partition_subalgoE4EjNS0_10empty_typeEbEEZZNS1_14partition_implILS8_4ELb0ES6_15HIP_vector_typeIjLj2EENS0_17counting_iteratorIjlEEPS9_SG_NS0_5tupleIJPjSI_NS0_16reverse_iteratorISI_EEEEENSH_IJSG_SG_SG_EEES9_SI_JZNS1_25segmented_radix_sort_implINS0_14default_configELb1EPKiPiPKlPlN2at6native12_GLOBAL__N_18offset_tEEE10hipError_tPvRmT1_PNSt15iterator_traitsIS12_E10value_typeET2_T3_PNS13_IS18_E10value_typeET4_jRbjT5_S1E_jjP12ihipStream_tbEUljE_ZNSN_ISO_Lb1ESQ_SR_ST_SU_SY_EESZ_S10_S11_S12_S16_S17_S18_S1B_S1C_jS1D_jS1E_S1E_jjS1G_bEUljE0_EEESZ_S10_S11_S18_S1C_S1E_T6_T7_T9_mT8_S1G_bDpT10_ENKUlT_T0_E_clISt17integral_constantIbLb0EES1U_EEDaS1P_S1Q_EUlS1P_E_NS1_11comp_targetILNS1_3genE10ELNS1_11target_archE1200ELNS1_3gpuE4ELNS1_3repE0EEENS1_30default_config_static_selectorELNS0_4arch9wavefront6targetE1EEEvS12_,comdat
.Lfunc_end438:
	.size	_ZN7rocprim17ROCPRIM_400000_NS6detail17trampoline_kernelINS0_13select_configILj256ELj13ELNS0_17block_load_methodE3ELS4_3ELS4_3ELNS0_20block_scan_algorithmE0ELj4294967295EEENS1_25partition_config_selectorILNS1_17partition_subalgoE4EjNS0_10empty_typeEbEEZZNS1_14partition_implILS8_4ELb0ES6_15HIP_vector_typeIjLj2EENS0_17counting_iteratorIjlEEPS9_SG_NS0_5tupleIJPjSI_NS0_16reverse_iteratorISI_EEEEENSH_IJSG_SG_SG_EEES9_SI_JZNS1_25segmented_radix_sort_implINS0_14default_configELb1EPKiPiPKlPlN2at6native12_GLOBAL__N_18offset_tEEE10hipError_tPvRmT1_PNSt15iterator_traitsIS12_E10value_typeET2_T3_PNS13_IS18_E10value_typeET4_jRbjT5_S1E_jjP12ihipStream_tbEUljE_ZNSN_ISO_Lb1ESQ_SR_ST_SU_SY_EESZ_S10_S11_S12_S16_S17_S18_S1B_S1C_jS1D_jS1E_S1E_jjS1G_bEUljE0_EEESZ_S10_S11_S18_S1C_S1E_T6_T7_T9_mT8_S1G_bDpT10_ENKUlT_T0_E_clISt17integral_constantIbLb0EES1U_EEDaS1P_S1Q_EUlS1P_E_NS1_11comp_targetILNS1_3genE10ELNS1_11target_archE1200ELNS1_3gpuE4ELNS1_3repE0EEENS1_30default_config_static_selectorELNS0_4arch9wavefront6targetE1EEEvS12_, .Lfunc_end438-_ZN7rocprim17ROCPRIM_400000_NS6detail17trampoline_kernelINS0_13select_configILj256ELj13ELNS0_17block_load_methodE3ELS4_3ELS4_3ELNS0_20block_scan_algorithmE0ELj4294967295EEENS1_25partition_config_selectorILNS1_17partition_subalgoE4EjNS0_10empty_typeEbEEZZNS1_14partition_implILS8_4ELb0ES6_15HIP_vector_typeIjLj2EENS0_17counting_iteratorIjlEEPS9_SG_NS0_5tupleIJPjSI_NS0_16reverse_iteratorISI_EEEEENSH_IJSG_SG_SG_EEES9_SI_JZNS1_25segmented_radix_sort_implINS0_14default_configELb1EPKiPiPKlPlN2at6native12_GLOBAL__N_18offset_tEEE10hipError_tPvRmT1_PNSt15iterator_traitsIS12_E10value_typeET2_T3_PNS13_IS18_E10value_typeET4_jRbjT5_S1E_jjP12ihipStream_tbEUljE_ZNSN_ISO_Lb1ESQ_SR_ST_SU_SY_EESZ_S10_S11_S12_S16_S17_S18_S1B_S1C_jS1D_jS1E_S1E_jjS1G_bEUljE0_EEESZ_S10_S11_S18_S1C_S1E_T6_T7_T9_mT8_S1G_bDpT10_ENKUlT_T0_E_clISt17integral_constantIbLb0EES1U_EEDaS1P_S1Q_EUlS1P_E_NS1_11comp_targetILNS1_3genE10ELNS1_11target_archE1200ELNS1_3gpuE4ELNS1_3repE0EEENS1_30default_config_static_selectorELNS0_4arch9wavefront6targetE1EEEvS12_
                                        ; -- End function
	.section	.AMDGPU.csdata,"",@progbits
; Kernel info:
; codeLenInByte = 0
; NumSgprs: 4
; NumVgprs: 0
; NumAgprs: 0
; TotalNumVgprs: 0
; ScratchSize: 0
; MemoryBound: 0
; FloatMode: 240
; IeeeMode: 1
; LDSByteSize: 0 bytes/workgroup (compile time only)
; SGPRBlocks: 0
; VGPRBlocks: 0
; NumSGPRsForWavesPerEU: 4
; NumVGPRsForWavesPerEU: 1
; AccumOffset: 4
; Occupancy: 8
; WaveLimiterHint : 0
; COMPUTE_PGM_RSRC2:SCRATCH_EN: 0
; COMPUTE_PGM_RSRC2:USER_SGPR: 6
; COMPUTE_PGM_RSRC2:TRAP_HANDLER: 0
; COMPUTE_PGM_RSRC2:TGID_X_EN: 1
; COMPUTE_PGM_RSRC2:TGID_Y_EN: 0
; COMPUTE_PGM_RSRC2:TGID_Z_EN: 0
; COMPUTE_PGM_RSRC2:TIDIG_COMP_CNT: 0
; COMPUTE_PGM_RSRC3_GFX90A:ACCUM_OFFSET: 0
; COMPUTE_PGM_RSRC3_GFX90A:TG_SPLIT: 0
	.section	.text._ZN7rocprim17ROCPRIM_400000_NS6detail17trampoline_kernelINS0_13select_configILj256ELj13ELNS0_17block_load_methodE3ELS4_3ELS4_3ELNS0_20block_scan_algorithmE0ELj4294967295EEENS1_25partition_config_selectorILNS1_17partition_subalgoE4EjNS0_10empty_typeEbEEZZNS1_14partition_implILS8_4ELb0ES6_15HIP_vector_typeIjLj2EENS0_17counting_iteratorIjlEEPS9_SG_NS0_5tupleIJPjSI_NS0_16reverse_iteratorISI_EEEEENSH_IJSG_SG_SG_EEES9_SI_JZNS1_25segmented_radix_sort_implINS0_14default_configELb1EPKiPiPKlPlN2at6native12_GLOBAL__N_18offset_tEEE10hipError_tPvRmT1_PNSt15iterator_traitsIS12_E10value_typeET2_T3_PNS13_IS18_E10value_typeET4_jRbjT5_S1E_jjP12ihipStream_tbEUljE_ZNSN_ISO_Lb1ESQ_SR_ST_SU_SY_EESZ_S10_S11_S12_S16_S17_S18_S1B_S1C_jS1D_jS1E_S1E_jjS1G_bEUljE0_EEESZ_S10_S11_S18_S1C_S1E_T6_T7_T9_mT8_S1G_bDpT10_ENKUlT_T0_E_clISt17integral_constantIbLb0EES1U_EEDaS1P_S1Q_EUlS1P_E_NS1_11comp_targetILNS1_3genE9ELNS1_11target_archE1100ELNS1_3gpuE3ELNS1_3repE0EEENS1_30default_config_static_selectorELNS0_4arch9wavefront6targetE1EEEvS12_,"axG",@progbits,_ZN7rocprim17ROCPRIM_400000_NS6detail17trampoline_kernelINS0_13select_configILj256ELj13ELNS0_17block_load_methodE3ELS4_3ELS4_3ELNS0_20block_scan_algorithmE0ELj4294967295EEENS1_25partition_config_selectorILNS1_17partition_subalgoE4EjNS0_10empty_typeEbEEZZNS1_14partition_implILS8_4ELb0ES6_15HIP_vector_typeIjLj2EENS0_17counting_iteratorIjlEEPS9_SG_NS0_5tupleIJPjSI_NS0_16reverse_iteratorISI_EEEEENSH_IJSG_SG_SG_EEES9_SI_JZNS1_25segmented_radix_sort_implINS0_14default_configELb1EPKiPiPKlPlN2at6native12_GLOBAL__N_18offset_tEEE10hipError_tPvRmT1_PNSt15iterator_traitsIS12_E10value_typeET2_T3_PNS13_IS18_E10value_typeET4_jRbjT5_S1E_jjP12ihipStream_tbEUljE_ZNSN_ISO_Lb1ESQ_SR_ST_SU_SY_EESZ_S10_S11_S12_S16_S17_S18_S1B_S1C_jS1D_jS1E_S1E_jjS1G_bEUljE0_EEESZ_S10_S11_S18_S1C_S1E_T6_T7_T9_mT8_S1G_bDpT10_ENKUlT_T0_E_clISt17integral_constantIbLb0EES1U_EEDaS1P_S1Q_EUlS1P_E_NS1_11comp_targetILNS1_3genE9ELNS1_11target_archE1100ELNS1_3gpuE3ELNS1_3repE0EEENS1_30default_config_static_selectorELNS0_4arch9wavefront6targetE1EEEvS12_,comdat
	.globl	_ZN7rocprim17ROCPRIM_400000_NS6detail17trampoline_kernelINS0_13select_configILj256ELj13ELNS0_17block_load_methodE3ELS4_3ELS4_3ELNS0_20block_scan_algorithmE0ELj4294967295EEENS1_25partition_config_selectorILNS1_17partition_subalgoE4EjNS0_10empty_typeEbEEZZNS1_14partition_implILS8_4ELb0ES6_15HIP_vector_typeIjLj2EENS0_17counting_iteratorIjlEEPS9_SG_NS0_5tupleIJPjSI_NS0_16reverse_iteratorISI_EEEEENSH_IJSG_SG_SG_EEES9_SI_JZNS1_25segmented_radix_sort_implINS0_14default_configELb1EPKiPiPKlPlN2at6native12_GLOBAL__N_18offset_tEEE10hipError_tPvRmT1_PNSt15iterator_traitsIS12_E10value_typeET2_T3_PNS13_IS18_E10value_typeET4_jRbjT5_S1E_jjP12ihipStream_tbEUljE_ZNSN_ISO_Lb1ESQ_SR_ST_SU_SY_EESZ_S10_S11_S12_S16_S17_S18_S1B_S1C_jS1D_jS1E_S1E_jjS1G_bEUljE0_EEESZ_S10_S11_S18_S1C_S1E_T6_T7_T9_mT8_S1G_bDpT10_ENKUlT_T0_E_clISt17integral_constantIbLb0EES1U_EEDaS1P_S1Q_EUlS1P_E_NS1_11comp_targetILNS1_3genE9ELNS1_11target_archE1100ELNS1_3gpuE3ELNS1_3repE0EEENS1_30default_config_static_selectorELNS0_4arch9wavefront6targetE1EEEvS12_ ; -- Begin function _ZN7rocprim17ROCPRIM_400000_NS6detail17trampoline_kernelINS0_13select_configILj256ELj13ELNS0_17block_load_methodE3ELS4_3ELS4_3ELNS0_20block_scan_algorithmE0ELj4294967295EEENS1_25partition_config_selectorILNS1_17partition_subalgoE4EjNS0_10empty_typeEbEEZZNS1_14partition_implILS8_4ELb0ES6_15HIP_vector_typeIjLj2EENS0_17counting_iteratorIjlEEPS9_SG_NS0_5tupleIJPjSI_NS0_16reverse_iteratorISI_EEEEENSH_IJSG_SG_SG_EEES9_SI_JZNS1_25segmented_radix_sort_implINS0_14default_configELb1EPKiPiPKlPlN2at6native12_GLOBAL__N_18offset_tEEE10hipError_tPvRmT1_PNSt15iterator_traitsIS12_E10value_typeET2_T3_PNS13_IS18_E10value_typeET4_jRbjT5_S1E_jjP12ihipStream_tbEUljE_ZNSN_ISO_Lb1ESQ_SR_ST_SU_SY_EESZ_S10_S11_S12_S16_S17_S18_S1B_S1C_jS1D_jS1E_S1E_jjS1G_bEUljE0_EEESZ_S10_S11_S18_S1C_S1E_T6_T7_T9_mT8_S1G_bDpT10_ENKUlT_T0_E_clISt17integral_constantIbLb0EES1U_EEDaS1P_S1Q_EUlS1P_E_NS1_11comp_targetILNS1_3genE9ELNS1_11target_archE1100ELNS1_3gpuE3ELNS1_3repE0EEENS1_30default_config_static_selectorELNS0_4arch9wavefront6targetE1EEEvS12_
	.p2align	8
	.type	_ZN7rocprim17ROCPRIM_400000_NS6detail17trampoline_kernelINS0_13select_configILj256ELj13ELNS0_17block_load_methodE3ELS4_3ELS4_3ELNS0_20block_scan_algorithmE0ELj4294967295EEENS1_25partition_config_selectorILNS1_17partition_subalgoE4EjNS0_10empty_typeEbEEZZNS1_14partition_implILS8_4ELb0ES6_15HIP_vector_typeIjLj2EENS0_17counting_iteratorIjlEEPS9_SG_NS0_5tupleIJPjSI_NS0_16reverse_iteratorISI_EEEEENSH_IJSG_SG_SG_EEES9_SI_JZNS1_25segmented_radix_sort_implINS0_14default_configELb1EPKiPiPKlPlN2at6native12_GLOBAL__N_18offset_tEEE10hipError_tPvRmT1_PNSt15iterator_traitsIS12_E10value_typeET2_T3_PNS13_IS18_E10value_typeET4_jRbjT5_S1E_jjP12ihipStream_tbEUljE_ZNSN_ISO_Lb1ESQ_SR_ST_SU_SY_EESZ_S10_S11_S12_S16_S17_S18_S1B_S1C_jS1D_jS1E_S1E_jjS1G_bEUljE0_EEESZ_S10_S11_S18_S1C_S1E_T6_T7_T9_mT8_S1G_bDpT10_ENKUlT_T0_E_clISt17integral_constantIbLb0EES1U_EEDaS1P_S1Q_EUlS1P_E_NS1_11comp_targetILNS1_3genE9ELNS1_11target_archE1100ELNS1_3gpuE3ELNS1_3repE0EEENS1_30default_config_static_selectorELNS0_4arch9wavefront6targetE1EEEvS12_,@function
_ZN7rocprim17ROCPRIM_400000_NS6detail17trampoline_kernelINS0_13select_configILj256ELj13ELNS0_17block_load_methodE3ELS4_3ELS4_3ELNS0_20block_scan_algorithmE0ELj4294967295EEENS1_25partition_config_selectorILNS1_17partition_subalgoE4EjNS0_10empty_typeEbEEZZNS1_14partition_implILS8_4ELb0ES6_15HIP_vector_typeIjLj2EENS0_17counting_iteratorIjlEEPS9_SG_NS0_5tupleIJPjSI_NS0_16reverse_iteratorISI_EEEEENSH_IJSG_SG_SG_EEES9_SI_JZNS1_25segmented_radix_sort_implINS0_14default_configELb1EPKiPiPKlPlN2at6native12_GLOBAL__N_18offset_tEEE10hipError_tPvRmT1_PNSt15iterator_traitsIS12_E10value_typeET2_T3_PNS13_IS18_E10value_typeET4_jRbjT5_S1E_jjP12ihipStream_tbEUljE_ZNSN_ISO_Lb1ESQ_SR_ST_SU_SY_EESZ_S10_S11_S12_S16_S17_S18_S1B_S1C_jS1D_jS1E_S1E_jjS1G_bEUljE0_EEESZ_S10_S11_S18_S1C_S1E_T6_T7_T9_mT8_S1G_bDpT10_ENKUlT_T0_E_clISt17integral_constantIbLb0EES1U_EEDaS1P_S1Q_EUlS1P_E_NS1_11comp_targetILNS1_3genE9ELNS1_11target_archE1100ELNS1_3gpuE3ELNS1_3repE0EEENS1_30default_config_static_selectorELNS0_4arch9wavefront6targetE1EEEvS12_: ; @_ZN7rocprim17ROCPRIM_400000_NS6detail17trampoline_kernelINS0_13select_configILj256ELj13ELNS0_17block_load_methodE3ELS4_3ELS4_3ELNS0_20block_scan_algorithmE0ELj4294967295EEENS1_25partition_config_selectorILNS1_17partition_subalgoE4EjNS0_10empty_typeEbEEZZNS1_14partition_implILS8_4ELb0ES6_15HIP_vector_typeIjLj2EENS0_17counting_iteratorIjlEEPS9_SG_NS0_5tupleIJPjSI_NS0_16reverse_iteratorISI_EEEEENSH_IJSG_SG_SG_EEES9_SI_JZNS1_25segmented_radix_sort_implINS0_14default_configELb1EPKiPiPKlPlN2at6native12_GLOBAL__N_18offset_tEEE10hipError_tPvRmT1_PNSt15iterator_traitsIS12_E10value_typeET2_T3_PNS13_IS18_E10value_typeET4_jRbjT5_S1E_jjP12ihipStream_tbEUljE_ZNSN_ISO_Lb1ESQ_SR_ST_SU_SY_EESZ_S10_S11_S12_S16_S17_S18_S1B_S1C_jS1D_jS1E_S1E_jjS1G_bEUljE0_EEESZ_S10_S11_S18_S1C_S1E_T6_T7_T9_mT8_S1G_bDpT10_ENKUlT_T0_E_clISt17integral_constantIbLb0EES1U_EEDaS1P_S1Q_EUlS1P_E_NS1_11comp_targetILNS1_3genE9ELNS1_11target_archE1100ELNS1_3gpuE3ELNS1_3repE0EEENS1_30default_config_static_selectorELNS0_4arch9wavefront6targetE1EEEvS12_
; %bb.0:
	.section	.rodata,"a",@progbits
	.p2align	6, 0x0
	.amdhsa_kernel _ZN7rocprim17ROCPRIM_400000_NS6detail17trampoline_kernelINS0_13select_configILj256ELj13ELNS0_17block_load_methodE3ELS4_3ELS4_3ELNS0_20block_scan_algorithmE0ELj4294967295EEENS1_25partition_config_selectorILNS1_17partition_subalgoE4EjNS0_10empty_typeEbEEZZNS1_14partition_implILS8_4ELb0ES6_15HIP_vector_typeIjLj2EENS0_17counting_iteratorIjlEEPS9_SG_NS0_5tupleIJPjSI_NS0_16reverse_iteratorISI_EEEEENSH_IJSG_SG_SG_EEES9_SI_JZNS1_25segmented_radix_sort_implINS0_14default_configELb1EPKiPiPKlPlN2at6native12_GLOBAL__N_18offset_tEEE10hipError_tPvRmT1_PNSt15iterator_traitsIS12_E10value_typeET2_T3_PNS13_IS18_E10value_typeET4_jRbjT5_S1E_jjP12ihipStream_tbEUljE_ZNSN_ISO_Lb1ESQ_SR_ST_SU_SY_EESZ_S10_S11_S12_S16_S17_S18_S1B_S1C_jS1D_jS1E_S1E_jjS1G_bEUljE0_EEESZ_S10_S11_S18_S1C_S1E_T6_T7_T9_mT8_S1G_bDpT10_ENKUlT_T0_E_clISt17integral_constantIbLb0EES1U_EEDaS1P_S1Q_EUlS1P_E_NS1_11comp_targetILNS1_3genE9ELNS1_11target_archE1100ELNS1_3gpuE3ELNS1_3repE0EEENS1_30default_config_static_selectorELNS0_4arch9wavefront6targetE1EEEvS12_
		.amdhsa_group_segment_fixed_size 0
		.amdhsa_private_segment_fixed_size 0
		.amdhsa_kernarg_size 176
		.amdhsa_user_sgpr_count 6
		.amdhsa_user_sgpr_private_segment_buffer 1
		.amdhsa_user_sgpr_dispatch_ptr 0
		.amdhsa_user_sgpr_queue_ptr 0
		.amdhsa_user_sgpr_kernarg_segment_ptr 1
		.amdhsa_user_sgpr_dispatch_id 0
		.amdhsa_user_sgpr_flat_scratch_init 0
		.amdhsa_user_sgpr_kernarg_preload_length 0
		.amdhsa_user_sgpr_kernarg_preload_offset 0
		.amdhsa_user_sgpr_private_segment_size 0
		.amdhsa_uses_dynamic_stack 0
		.amdhsa_system_sgpr_private_segment_wavefront_offset 0
		.amdhsa_system_sgpr_workgroup_id_x 1
		.amdhsa_system_sgpr_workgroup_id_y 0
		.amdhsa_system_sgpr_workgroup_id_z 0
		.amdhsa_system_sgpr_workgroup_info 0
		.amdhsa_system_vgpr_workitem_id 0
		.amdhsa_next_free_vgpr 1
		.amdhsa_next_free_sgpr 0
		.amdhsa_accum_offset 4
		.amdhsa_reserve_vcc 0
		.amdhsa_reserve_flat_scratch 0
		.amdhsa_float_round_mode_32 0
		.amdhsa_float_round_mode_16_64 0
		.amdhsa_float_denorm_mode_32 3
		.amdhsa_float_denorm_mode_16_64 3
		.amdhsa_dx10_clamp 1
		.amdhsa_ieee_mode 1
		.amdhsa_fp16_overflow 0
		.amdhsa_tg_split 0
		.amdhsa_exception_fp_ieee_invalid_op 0
		.amdhsa_exception_fp_denorm_src 0
		.amdhsa_exception_fp_ieee_div_zero 0
		.amdhsa_exception_fp_ieee_overflow 0
		.amdhsa_exception_fp_ieee_underflow 0
		.amdhsa_exception_fp_ieee_inexact 0
		.amdhsa_exception_int_div_zero 0
	.end_amdhsa_kernel
	.section	.text._ZN7rocprim17ROCPRIM_400000_NS6detail17trampoline_kernelINS0_13select_configILj256ELj13ELNS0_17block_load_methodE3ELS4_3ELS4_3ELNS0_20block_scan_algorithmE0ELj4294967295EEENS1_25partition_config_selectorILNS1_17partition_subalgoE4EjNS0_10empty_typeEbEEZZNS1_14partition_implILS8_4ELb0ES6_15HIP_vector_typeIjLj2EENS0_17counting_iteratorIjlEEPS9_SG_NS0_5tupleIJPjSI_NS0_16reverse_iteratorISI_EEEEENSH_IJSG_SG_SG_EEES9_SI_JZNS1_25segmented_radix_sort_implINS0_14default_configELb1EPKiPiPKlPlN2at6native12_GLOBAL__N_18offset_tEEE10hipError_tPvRmT1_PNSt15iterator_traitsIS12_E10value_typeET2_T3_PNS13_IS18_E10value_typeET4_jRbjT5_S1E_jjP12ihipStream_tbEUljE_ZNSN_ISO_Lb1ESQ_SR_ST_SU_SY_EESZ_S10_S11_S12_S16_S17_S18_S1B_S1C_jS1D_jS1E_S1E_jjS1G_bEUljE0_EEESZ_S10_S11_S18_S1C_S1E_T6_T7_T9_mT8_S1G_bDpT10_ENKUlT_T0_E_clISt17integral_constantIbLb0EES1U_EEDaS1P_S1Q_EUlS1P_E_NS1_11comp_targetILNS1_3genE9ELNS1_11target_archE1100ELNS1_3gpuE3ELNS1_3repE0EEENS1_30default_config_static_selectorELNS0_4arch9wavefront6targetE1EEEvS12_,"axG",@progbits,_ZN7rocprim17ROCPRIM_400000_NS6detail17trampoline_kernelINS0_13select_configILj256ELj13ELNS0_17block_load_methodE3ELS4_3ELS4_3ELNS0_20block_scan_algorithmE0ELj4294967295EEENS1_25partition_config_selectorILNS1_17partition_subalgoE4EjNS0_10empty_typeEbEEZZNS1_14partition_implILS8_4ELb0ES6_15HIP_vector_typeIjLj2EENS0_17counting_iteratorIjlEEPS9_SG_NS0_5tupleIJPjSI_NS0_16reverse_iteratorISI_EEEEENSH_IJSG_SG_SG_EEES9_SI_JZNS1_25segmented_radix_sort_implINS0_14default_configELb1EPKiPiPKlPlN2at6native12_GLOBAL__N_18offset_tEEE10hipError_tPvRmT1_PNSt15iterator_traitsIS12_E10value_typeET2_T3_PNS13_IS18_E10value_typeET4_jRbjT5_S1E_jjP12ihipStream_tbEUljE_ZNSN_ISO_Lb1ESQ_SR_ST_SU_SY_EESZ_S10_S11_S12_S16_S17_S18_S1B_S1C_jS1D_jS1E_S1E_jjS1G_bEUljE0_EEESZ_S10_S11_S18_S1C_S1E_T6_T7_T9_mT8_S1G_bDpT10_ENKUlT_T0_E_clISt17integral_constantIbLb0EES1U_EEDaS1P_S1Q_EUlS1P_E_NS1_11comp_targetILNS1_3genE9ELNS1_11target_archE1100ELNS1_3gpuE3ELNS1_3repE0EEENS1_30default_config_static_selectorELNS0_4arch9wavefront6targetE1EEEvS12_,comdat
.Lfunc_end439:
	.size	_ZN7rocprim17ROCPRIM_400000_NS6detail17trampoline_kernelINS0_13select_configILj256ELj13ELNS0_17block_load_methodE3ELS4_3ELS4_3ELNS0_20block_scan_algorithmE0ELj4294967295EEENS1_25partition_config_selectorILNS1_17partition_subalgoE4EjNS0_10empty_typeEbEEZZNS1_14partition_implILS8_4ELb0ES6_15HIP_vector_typeIjLj2EENS0_17counting_iteratorIjlEEPS9_SG_NS0_5tupleIJPjSI_NS0_16reverse_iteratorISI_EEEEENSH_IJSG_SG_SG_EEES9_SI_JZNS1_25segmented_radix_sort_implINS0_14default_configELb1EPKiPiPKlPlN2at6native12_GLOBAL__N_18offset_tEEE10hipError_tPvRmT1_PNSt15iterator_traitsIS12_E10value_typeET2_T3_PNS13_IS18_E10value_typeET4_jRbjT5_S1E_jjP12ihipStream_tbEUljE_ZNSN_ISO_Lb1ESQ_SR_ST_SU_SY_EESZ_S10_S11_S12_S16_S17_S18_S1B_S1C_jS1D_jS1E_S1E_jjS1G_bEUljE0_EEESZ_S10_S11_S18_S1C_S1E_T6_T7_T9_mT8_S1G_bDpT10_ENKUlT_T0_E_clISt17integral_constantIbLb0EES1U_EEDaS1P_S1Q_EUlS1P_E_NS1_11comp_targetILNS1_3genE9ELNS1_11target_archE1100ELNS1_3gpuE3ELNS1_3repE0EEENS1_30default_config_static_selectorELNS0_4arch9wavefront6targetE1EEEvS12_, .Lfunc_end439-_ZN7rocprim17ROCPRIM_400000_NS6detail17trampoline_kernelINS0_13select_configILj256ELj13ELNS0_17block_load_methodE3ELS4_3ELS4_3ELNS0_20block_scan_algorithmE0ELj4294967295EEENS1_25partition_config_selectorILNS1_17partition_subalgoE4EjNS0_10empty_typeEbEEZZNS1_14partition_implILS8_4ELb0ES6_15HIP_vector_typeIjLj2EENS0_17counting_iteratorIjlEEPS9_SG_NS0_5tupleIJPjSI_NS0_16reverse_iteratorISI_EEEEENSH_IJSG_SG_SG_EEES9_SI_JZNS1_25segmented_radix_sort_implINS0_14default_configELb1EPKiPiPKlPlN2at6native12_GLOBAL__N_18offset_tEEE10hipError_tPvRmT1_PNSt15iterator_traitsIS12_E10value_typeET2_T3_PNS13_IS18_E10value_typeET4_jRbjT5_S1E_jjP12ihipStream_tbEUljE_ZNSN_ISO_Lb1ESQ_SR_ST_SU_SY_EESZ_S10_S11_S12_S16_S17_S18_S1B_S1C_jS1D_jS1E_S1E_jjS1G_bEUljE0_EEESZ_S10_S11_S18_S1C_S1E_T6_T7_T9_mT8_S1G_bDpT10_ENKUlT_T0_E_clISt17integral_constantIbLb0EES1U_EEDaS1P_S1Q_EUlS1P_E_NS1_11comp_targetILNS1_3genE9ELNS1_11target_archE1100ELNS1_3gpuE3ELNS1_3repE0EEENS1_30default_config_static_selectorELNS0_4arch9wavefront6targetE1EEEvS12_
                                        ; -- End function
	.section	.AMDGPU.csdata,"",@progbits
; Kernel info:
; codeLenInByte = 0
; NumSgprs: 4
; NumVgprs: 0
; NumAgprs: 0
; TotalNumVgprs: 0
; ScratchSize: 0
; MemoryBound: 0
; FloatMode: 240
; IeeeMode: 1
; LDSByteSize: 0 bytes/workgroup (compile time only)
; SGPRBlocks: 0
; VGPRBlocks: 0
; NumSGPRsForWavesPerEU: 4
; NumVGPRsForWavesPerEU: 1
; AccumOffset: 4
; Occupancy: 8
; WaveLimiterHint : 0
; COMPUTE_PGM_RSRC2:SCRATCH_EN: 0
; COMPUTE_PGM_RSRC2:USER_SGPR: 6
; COMPUTE_PGM_RSRC2:TRAP_HANDLER: 0
; COMPUTE_PGM_RSRC2:TGID_X_EN: 1
; COMPUTE_PGM_RSRC2:TGID_Y_EN: 0
; COMPUTE_PGM_RSRC2:TGID_Z_EN: 0
; COMPUTE_PGM_RSRC2:TIDIG_COMP_CNT: 0
; COMPUTE_PGM_RSRC3_GFX90A:ACCUM_OFFSET: 0
; COMPUTE_PGM_RSRC3_GFX90A:TG_SPLIT: 0
	.section	.text._ZN7rocprim17ROCPRIM_400000_NS6detail17trampoline_kernelINS0_13select_configILj256ELj13ELNS0_17block_load_methodE3ELS4_3ELS4_3ELNS0_20block_scan_algorithmE0ELj4294967295EEENS1_25partition_config_selectorILNS1_17partition_subalgoE4EjNS0_10empty_typeEbEEZZNS1_14partition_implILS8_4ELb0ES6_15HIP_vector_typeIjLj2EENS0_17counting_iteratorIjlEEPS9_SG_NS0_5tupleIJPjSI_NS0_16reverse_iteratorISI_EEEEENSH_IJSG_SG_SG_EEES9_SI_JZNS1_25segmented_radix_sort_implINS0_14default_configELb1EPKiPiPKlPlN2at6native12_GLOBAL__N_18offset_tEEE10hipError_tPvRmT1_PNSt15iterator_traitsIS12_E10value_typeET2_T3_PNS13_IS18_E10value_typeET4_jRbjT5_S1E_jjP12ihipStream_tbEUljE_ZNSN_ISO_Lb1ESQ_SR_ST_SU_SY_EESZ_S10_S11_S12_S16_S17_S18_S1B_S1C_jS1D_jS1E_S1E_jjS1G_bEUljE0_EEESZ_S10_S11_S18_S1C_S1E_T6_T7_T9_mT8_S1G_bDpT10_ENKUlT_T0_E_clISt17integral_constantIbLb0EES1U_EEDaS1P_S1Q_EUlS1P_E_NS1_11comp_targetILNS1_3genE8ELNS1_11target_archE1030ELNS1_3gpuE2ELNS1_3repE0EEENS1_30default_config_static_selectorELNS0_4arch9wavefront6targetE1EEEvS12_,"axG",@progbits,_ZN7rocprim17ROCPRIM_400000_NS6detail17trampoline_kernelINS0_13select_configILj256ELj13ELNS0_17block_load_methodE3ELS4_3ELS4_3ELNS0_20block_scan_algorithmE0ELj4294967295EEENS1_25partition_config_selectorILNS1_17partition_subalgoE4EjNS0_10empty_typeEbEEZZNS1_14partition_implILS8_4ELb0ES6_15HIP_vector_typeIjLj2EENS0_17counting_iteratorIjlEEPS9_SG_NS0_5tupleIJPjSI_NS0_16reverse_iteratorISI_EEEEENSH_IJSG_SG_SG_EEES9_SI_JZNS1_25segmented_radix_sort_implINS0_14default_configELb1EPKiPiPKlPlN2at6native12_GLOBAL__N_18offset_tEEE10hipError_tPvRmT1_PNSt15iterator_traitsIS12_E10value_typeET2_T3_PNS13_IS18_E10value_typeET4_jRbjT5_S1E_jjP12ihipStream_tbEUljE_ZNSN_ISO_Lb1ESQ_SR_ST_SU_SY_EESZ_S10_S11_S12_S16_S17_S18_S1B_S1C_jS1D_jS1E_S1E_jjS1G_bEUljE0_EEESZ_S10_S11_S18_S1C_S1E_T6_T7_T9_mT8_S1G_bDpT10_ENKUlT_T0_E_clISt17integral_constantIbLb0EES1U_EEDaS1P_S1Q_EUlS1P_E_NS1_11comp_targetILNS1_3genE8ELNS1_11target_archE1030ELNS1_3gpuE2ELNS1_3repE0EEENS1_30default_config_static_selectorELNS0_4arch9wavefront6targetE1EEEvS12_,comdat
	.globl	_ZN7rocprim17ROCPRIM_400000_NS6detail17trampoline_kernelINS0_13select_configILj256ELj13ELNS0_17block_load_methodE3ELS4_3ELS4_3ELNS0_20block_scan_algorithmE0ELj4294967295EEENS1_25partition_config_selectorILNS1_17partition_subalgoE4EjNS0_10empty_typeEbEEZZNS1_14partition_implILS8_4ELb0ES6_15HIP_vector_typeIjLj2EENS0_17counting_iteratorIjlEEPS9_SG_NS0_5tupleIJPjSI_NS0_16reverse_iteratorISI_EEEEENSH_IJSG_SG_SG_EEES9_SI_JZNS1_25segmented_radix_sort_implINS0_14default_configELb1EPKiPiPKlPlN2at6native12_GLOBAL__N_18offset_tEEE10hipError_tPvRmT1_PNSt15iterator_traitsIS12_E10value_typeET2_T3_PNS13_IS18_E10value_typeET4_jRbjT5_S1E_jjP12ihipStream_tbEUljE_ZNSN_ISO_Lb1ESQ_SR_ST_SU_SY_EESZ_S10_S11_S12_S16_S17_S18_S1B_S1C_jS1D_jS1E_S1E_jjS1G_bEUljE0_EEESZ_S10_S11_S18_S1C_S1E_T6_T7_T9_mT8_S1G_bDpT10_ENKUlT_T0_E_clISt17integral_constantIbLb0EES1U_EEDaS1P_S1Q_EUlS1P_E_NS1_11comp_targetILNS1_3genE8ELNS1_11target_archE1030ELNS1_3gpuE2ELNS1_3repE0EEENS1_30default_config_static_selectorELNS0_4arch9wavefront6targetE1EEEvS12_ ; -- Begin function _ZN7rocprim17ROCPRIM_400000_NS6detail17trampoline_kernelINS0_13select_configILj256ELj13ELNS0_17block_load_methodE3ELS4_3ELS4_3ELNS0_20block_scan_algorithmE0ELj4294967295EEENS1_25partition_config_selectorILNS1_17partition_subalgoE4EjNS0_10empty_typeEbEEZZNS1_14partition_implILS8_4ELb0ES6_15HIP_vector_typeIjLj2EENS0_17counting_iteratorIjlEEPS9_SG_NS0_5tupleIJPjSI_NS0_16reverse_iteratorISI_EEEEENSH_IJSG_SG_SG_EEES9_SI_JZNS1_25segmented_radix_sort_implINS0_14default_configELb1EPKiPiPKlPlN2at6native12_GLOBAL__N_18offset_tEEE10hipError_tPvRmT1_PNSt15iterator_traitsIS12_E10value_typeET2_T3_PNS13_IS18_E10value_typeET4_jRbjT5_S1E_jjP12ihipStream_tbEUljE_ZNSN_ISO_Lb1ESQ_SR_ST_SU_SY_EESZ_S10_S11_S12_S16_S17_S18_S1B_S1C_jS1D_jS1E_S1E_jjS1G_bEUljE0_EEESZ_S10_S11_S18_S1C_S1E_T6_T7_T9_mT8_S1G_bDpT10_ENKUlT_T0_E_clISt17integral_constantIbLb0EES1U_EEDaS1P_S1Q_EUlS1P_E_NS1_11comp_targetILNS1_3genE8ELNS1_11target_archE1030ELNS1_3gpuE2ELNS1_3repE0EEENS1_30default_config_static_selectorELNS0_4arch9wavefront6targetE1EEEvS12_
	.p2align	8
	.type	_ZN7rocprim17ROCPRIM_400000_NS6detail17trampoline_kernelINS0_13select_configILj256ELj13ELNS0_17block_load_methodE3ELS4_3ELS4_3ELNS0_20block_scan_algorithmE0ELj4294967295EEENS1_25partition_config_selectorILNS1_17partition_subalgoE4EjNS0_10empty_typeEbEEZZNS1_14partition_implILS8_4ELb0ES6_15HIP_vector_typeIjLj2EENS0_17counting_iteratorIjlEEPS9_SG_NS0_5tupleIJPjSI_NS0_16reverse_iteratorISI_EEEEENSH_IJSG_SG_SG_EEES9_SI_JZNS1_25segmented_radix_sort_implINS0_14default_configELb1EPKiPiPKlPlN2at6native12_GLOBAL__N_18offset_tEEE10hipError_tPvRmT1_PNSt15iterator_traitsIS12_E10value_typeET2_T3_PNS13_IS18_E10value_typeET4_jRbjT5_S1E_jjP12ihipStream_tbEUljE_ZNSN_ISO_Lb1ESQ_SR_ST_SU_SY_EESZ_S10_S11_S12_S16_S17_S18_S1B_S1C_jS1D_jS1E_S1E_jjS1G_bEUljE0_EEESZ_S10_S11_S18_S1C_S1E_T6_T7_T9_mT8_S1G_bDpT10_ENKUlT_T0_E_clISt17integral_constantIbLb0EES1U_EEDaS1P_S1Q_EUlS1P_E_NS1_11comp_targetILNS1_3genE8ELNS1_11target_archE1030ELNS1_3gpuE2ELNS1_3repE0EEENS1_30default_config_static_selectorELNS0_4arch9wavefront6targetE1EEEvS12_,@function
_ZN7rocprim17ROCPRIM_400000_NS6detail17trampoline_kernelINS0_13select_configILj256ELj13ELNS0_17block_load_methodE3ELS4_3ELS4_3ELNS0_20block_scan_algorithmE0ELj4294967295EEENS1_25partition_config_selectorILNS1_17partition_subalgoE4EjNS0_10empty_typeEbEEZZNS1_14partition_implILS8_4ELb0ES6_15HIP_vector_typeIjLj2EENS0_17counting_iteratorIjlEEPS9_SG_NS0_5tupleIJPjSI_NS0_16reverse_iteratorISI_EEEEENSH_IJSG_SG_SG_EEES9_SI_JZNS1_25segmented_radix_sort_implINS0_14default_configELb1EPKiPiPKlPlN2at6native12_GLOBAL__N_18offset_tEEE10hipError_tPvRmT1_PNSt15iterator_traitsIS12_E10value_typeET2_T3_PNS13_IS18_E10value_typeET4_jRbjT5_S1E_jjP12ihipStream_tbEUljE_ZNSN_ISO_Lb1ESQ_SR_ST_SU_SY_EESZ_S10_S11_S12_S16_S17_S18_S1B_S1C_jS1D_jS1E_S1E_jjS1G_bEUljE0_EEESZ_S10_S11_S18_S1C_S1E_T6_T7_T9_mT8_S1G_bDpT10_ENKUlT_T0_E_clISt17integral_constantIbLb0EES1U_EEDaS1P_S1Q_EUlS1P_E_NS1_11comp_targetILNS1_3genE8ELNS1_11target_archE1030ELNS1_3gpuE2ELNS1_3repE0EEENS1_30default_config_static_selectorELNS0_4arch9wavefront6targetE1EEEvS12_: ; @_ZN7rocprim17ROCPRIM_400000_NS6detail17trampoline_kernelINS0_13select_configILj256ELj13ELNS0_17block_load_methodE3ELS4_3ELS4_3ELNS0_20block_scan_algorithmE0ELj4294967295EEENS1_25partition_config_selectorILNS1_17partition_subalgoE4EjNS0_10empty_typeEbEEZZNS1_14partition_implILS8_4ELb0ES6_15HIP_vector_typeIjLj2EENS0_17counting_iteratorIjlEEPS9_SG_NS0_5tupleIJPjSI_NS0_16reverse_iteratorISI_EEEEENSH_IJSG_SG_SG_EEES9_SI_JZNS1_25segmented_radix_sort_implINS0_14default_configELb1EPKiPiPKlPlN2at6native12_GLOBAL__N_18offset_tEEE10hipError_tPvRmT1_PNSt15iterator_traitsIS12_E10value_typeET2_T3_PNS13_IS18_E10value_typeET4_jRbjT5_S1E_jjP12ihipStream_tbEUljE_ZNSN_ISO_Lb1ESQ_SR_ST_SU_SY_EESZ_S10_S11_S12_S16_S17_S18_S1B_S1C_jS1D_jS1E_S1E_jjS1G_bEUljE0_EEESZ_S10_S11_S18_S1C_S1E_T6_T7_T9_mT8_S1G_bDpT10_ENKUlT_T0_E_clISt17integral_constantIbLb0EES1U_EEDaS1P_S1Q_EUlS1P_E_NS1_11comp_targetILNS1_3genE8ELNS1_11target_archE1030ELNS1_3gpuE2ELNS1_3repE0EEENS1_30default_config_static_selectorELNS0_4arch9wavefront6targetE1EEEvS12_
; %bb.0:
	.section	.rodata,"a",@progbits
	.p2align	6, 0x0
	.amdhsa_kernel _ZN7rocprim17ROCPRIM_400000_NS6detail17trampoline_kernelINS0_13select_configILj256ELj13ELNS0_17block_load_methodE3ELS4_3ELS4_3ELNS0_20block_scan_algorithmE0ELj4294967295EEENS1_25partition_config_selectorILNS1_17partition_subalgoE4EjNS0_10empty_typeEbEEZZNS1_14partition_implILS8_4ELb0ES6_15HIP_vector_typeIjLj2EENS0_17counting_iteratorIjlEEPS9_SG_NS0_5tupleIJPjSI_NS0_16reverse_iteratorISI_EEEEENSH_IJSG_SG_SG_EEES9_SI_JZNS1_25segmented_radix_sort_implINS0_14default_configELb1EPKiPiPKlPlN2at6native12_GLOBAL__N_18offset_tEEE10hipError_tPvRmT1_PNSt15iterator_traitsIS12_E10value_typeET2_T3_PNS13_IS18_E10value_typeET4_jRbjT5_S1E_jjP12ihipStream_tbEUljE_ZNSN_ISO_Lb1ESQ_SR_ST_SU_SY_EESZ_S10_S11_S12_S16_S17_S18_S1B_S1C_jS1D_jS1E_S1E_jjS1G_bEUljE0_EEESZ_S10_S11_S18_S1C_S1E_T6_T7_T9_mT8_S1G_bDpT10_ENKUlT_T0_E_clISt17integral_constantIbLb0EES1U_EEDaS1P_S1Q_EUlS1P_E_NS1_11comp_targetILNS1_3genE8ELNS1_11target_archE1030ELNS1_3gpuE2ELNS1_3repE0EEENS1_30default_config_static_selectorELNS0_4arch9wavefront6targetE1EEEvS12_
		.amdhsa_group_segment_fixed_size 0
		.amdhsa_private_segment_fixed_size 0
		.amdhsa_kernarg_size 176
		.amdhsa_user_sgpr_count 6
		.amdhsa_user_sgpr_private_segment_buffer 1
		.amdhsa_user_sgpr_dispatch_ptr 0
		.amdhsa_user_sgpr_queue_ptr 0
		.amdhsa_user_sgpr_kernarg_segment_ptr 1
		.amdhsa_user_sgpr_dispatch_id 0
		.amdhsa_user_sgpr_flat_scratch_init 0
		.amdhsa_user_sgpr_kernarg_preload_length 0
		.amdhsa_user_sgpr_kernarg_preload_offset 0
		.amdhsa_user_sgpr_private_segment_size 0
		.amdhsa_uses_dynamic_stack 0
		.amdhsa_system_sgpr_private_segment_wavefront_offset 0
		.amdhsa_system_sgpr_workgroup_id_x 1
		.amdhsa_system_sgpr_workgroup_id_y 0
		.amdhsa_system_sgpr_workgroup_id_z 0
		.amdhsa_system_sgpr_workgroup_info 0
		.amdhsa_system_vgpr_workitem_id 0
		.amdhsa_next_free_vgpr 1
		.amdhsa_next_free_sgpr 0
		.amdhsa_accum_offset 4
		.amdhsa_reserve_vcc 0
		.amdhsa_reserve_flat_scratch 0
		.amdhsa_float_round_mode_32 0
		.amdhsa_float_round_mode_16_64 0
		.amdhsa_float_denorm_mode_32 3
		.amdhsa_float_denorm_mode_16_64 3
		.amdhsa_dx10_clamp 1
		.amdhsa_ieee_mode 1
		.amdhsa_fp16_overflow 0
		.amdhsa_tg_split 0
		.amdhsa_exception_fp_ieee_invalid_op 0
		.amdhsa_exception_fp_denorm_src 0
		.amdhsa_exception_fp_ieee_div_zero 0
		.amdhsa_exception_fp_ieee_overflow 0
		.amdhsa_exception_fp_ieee_underflow 0
		.amdhsa_exception_fp_ieee_inexact 0
		.amdhsa_exception_int_div_zero 0
	.end_amdhsa_kernel
	.section	.text._ZN7rocprim17ROCPRIM_400000_NS6detail17trampoline_kernelINS0_13select_configILj256ELj13ELNS0_17block_load_methodE3ELS4_3ELS4_3ELNS0_20block_scan_algorithmE0ELj4294967295EEENS1_25partition_config_selectorILNS1_17partition_subalgoE4EjNS0_10empty_typeEbEEZZNS1_14partition_implILS8_4ELb0ES6_15HIP_vector_typeIjLj2EENS0_17counting_iteratorIjlEEPS9_SG_NS0_5tupleIJPjSI_NS0_16reverse_iteratorISI_EEEEENSH_IJSG_SG_SG_EEES9_SI_JZNS1_25segmented_radix_sort_implINS0_14default_configELb1EPKiPiPKlPlN2at6native12_GLOBAL__N_18offset_tEEE10hipError_tPvRmT1_PNSt15iterator_traitsIS12_E10value_typeET2_T3_PNS13_IS18_E10value_typeET4_jRbjT5_S1E_jjP12ihipStream_tbEUljE_ZNSN_ISO_Lb1ESQ_SR_ST_SU_SY_EESZ_S10_S11_S12_S16_S17_S18_S1B_S1C_jS1D_jS1E_S1E_jjS1G_bEUljE0_EEESZ_S10_S11_S18_S1C_S1E_T6_T7_T9_mT8_S1G_bDpT10_ENKUlT_T0_E_clISt17integral_constantIbLb0EES1U_EEDaS1P_S1Q_EUlS1P_E_NS1_11comp_targetILNS1_3genE8ELNS1_11target_archE1030ELNS1_3gpuE2ELNS1_3repE0EEENS1_30default_config_static_selectorELNS0_4arch9wavefront6targetE1EEEvS12_,"axG",@progbits,_ZN7rocprim17ROCPRIM_400000_NS6detail17trampoline_kernelINS0_13select_configILj256ELj13ELNS0_17block_load_methodE3ELS4_3ELS4_3ELNS0_20block_scan_algorithmE0ELj4294967295EEENS1_25partition_config_selectorILNS1_17partition_subalgoE4EjNS0_10empty_typeEbEEZZNS1_14partition_implILS8_4ELb0ES6_15HIP_vector_typeIjLj2EENS0_17counting_iteratorIjlEEPS9_SG_NS0_5tupleIJPjSI_NS0_16reverse_iteratorISI_EEEEENSH_IJSG_SG_SG_EEES9_SI_JZNS1_25segmented_radix_sort_implINS0_14default_configELb1EPKiPiPKlPlN2at6native12_GLOBAL__N_18offset_tEEE10hipError_tPvRmT1_PNSt15iterator_traitsIS12_E10value_typeET2_T3_PNS13_IS18_E10value_typeET4_jRbjT5_S1E_jjP12ihipStream_tbEUljE_ZNSN_ISO_Lb1ESQ_SR_ST_SU_SY_EESZ_S10_S11_S12_S16_S17_S18_S1B_S1C_jS1D_jS1E_S1E_jjS1G_bEUljE0_EEESZ_S10_S11_S18_S1C_S1E_T6_T7_T9_mT8_S1G_bDpT10_ENKUlT_T0_E_clISt17integral_constantIbLb0EES1U_EEDaS1P_S1Q_EUlS1P_E_NS1_11comp_targetILNS1_3genE8ELNS1_11target_archE1030ELNS1_3gpuE2ELNS1_3repE0EEENS1_30default_config_static_selectorELNS0_4arch9wavefront6targetE1EEEvS12_,comdat
.Lfunc_end440:
	.size	_ZN7rocprim17ROCPRIM_400000_NS6detail17trampoline_kernelINS0_13select_configILj256ELj13ELNS0_17block_load_methodE3ELS4_3ELS4_3ELNS0_20block_scan_algorithmE0ELj4294967295EEENS1_25partition_config_selectorILNS1_17partition_subalgoE4EjNS0_10empty_typeEbEEZZNS1_14partition_implILS8_4ELb0ES6_15HIP_vector_typeIjLj2EENS0_17counting_iteratorIjlEEPS9_SG_NS0_5tupleIJPjSI_NS0_16reverse_iteratorISI_EEEEENSH_IJSG_SG_SG_EEES9_SI_JZNS1_25segmented_radix_sort_implINS0_14default_configELb1EPKiPiPKlPlN2at6native12_GLOBAL__N_18offset_tEEE10hipError_tPvRmT1_PNSt15iterator_traitsIS12_E10value_typeET2_T3_PNS13_IS18_E10value_typeET4_jRbjT5_S1E_jjP12ihipStream_tbEUljE_ZNSN_ISO_Lb1ESQ_SR_ST_SU_SY_EESZ_S10_S11_S12_S16_S17_S18_S1B_S1C_jS1D_jS1E_S1E_jjS1G_bEUljE0_EEESZ_S10_S11_S18_S1C_S1E_T6_T7_T9_mT8_S1G_bDpT10_ENKUlT_T0_E_clISt17integral_constantIbLb0EES1U_EEDaS1P_S1Q_EUlS1P_E_NS1_11comp_targetILNS1_3genE8ELNS1_11target_archE1030ELNS1_3gpuE2ELNS1_3repE0EEENS1_30default_config_static_selectorELNS0_4arch9wavefront6targetE1EEEvS12_, .Lfunc_end440-_ZN7rocprim17ROCPRIM_400000_NS6detail17trampoline_kernelINS0_13select_configILj256ELj13ELNS0_17block_load_methodE3ELS4_3ELS4_3ELNS0_20block_scan_algorithmE0ELj4294967295EEENS1_25partition_config_selectorILNS1_17partition_subalgoE4EjNS0_10empty_typeEbEEZZNS1_14partition_implILS8_4ELb0ES6_15HIP_vector_typeIjLj2EENS0_17counting_iteratorIjlEEPS9_SG_NS0_5tupleIJPjSI_NS0_16reverse_iteratorISI_EEEEENSH_IJSG_SG_SG_EEES9_SI_JZNS1_25segmented_radix_sort_implINS0_14default_configELb1EPKiPiPKlPlN2at6native12_GLOBAL__N_18offset_tEEE10hipError_tPvRmT1_PNSt15iterator_traitsIS12_E10value_typeET2_T3_PNS13_IS18_E10value_typeET4_jRbjT5_S1E_jjP12ihipStream_tbEUljE_ZNSN_ISO_Lb1ESQ_SR_ST_SU_SY_EESZ_S10_S11_S12_S16_S17_S18_S1B_S1C_jS1D_jS1E_S1E_jjS1G_bEUljE0_EEESZ_S10_S11_S18_S1C_S1E_T6_T7_T9_mT8_S1G_bDpT10_ENKUlT_T0_E_clISt17integral_constantIbLb0EES1U_EEDaS1P_S1Q_EUlS1P_E_NS1_11comp_targetILNS1_3genE8ELNS1_11target_archE1030ELNS1_3gpuE2ELNS1_3repE0EEENS1_30default_config_static_selectorELNS0_4arch9wavefront6targetE1EEEvS12_
                                        ; -- End function
	.section	.AMDGPU.csdata,"",@progbits
; Kernel info:
; codeLenInByte = 0
; NumSgprs: 4
; NumVgprs: 0
; NumAgprs: 0
; TotalNumVgprs: 0
; ScratchSize: 0
; MemoryBound: 0
; FloatMode: 240
; IeeeMode: 1
; LDSByteSize: 0 bytes/workgroup (compile time only)
; SGPRBlocks: 0
; VGPRBlocks: 0
; NumSGPRsForWavesPerEU: 4
; NumVGPRsForWavesPerEU: 1
; AccumOffset: 4
; Occupancy: 8
; WaveLimiterHint : 0
; COMPUTE_PGM_RSRC2:SCRATCH_EN: 0
; COMPUTE_PGM_RSRC2:USER_SGPR: 6
; COMPUTE_PGM_RSRC2:TRAP_HANDLER: 0
; COMPUTE_PGM_RSRC2:TGID_X_EN: 1
; COMPUTE_PGM_RSRC2:TGID_Y_EN: 0
; COMPUTE_PGM_RSRC2:TGID_Z_EN: 0
; COMPUTE_PGM_RSRC2:TIDIG_COMP_CNT: 0
; COMPUTE_PGM_RSRC3_GFX90A:ACCUM_OFFSET: 0
; COMPUTE_PGM_RSRC3_GFX90A:TG_SPLIT: 0
	.section	.text._ZN7rocprim17ROCPRIM_400000_NS6detail17trampoline_kernelINS0_13select_configILj256ELj13ELNS0_17block_load_methodE3ELS4_3ELS4_3ELNS0_20block_scan_algorithmE0ELj4294967295EEENS1_25partition_config_selectorILNS1_17partition_subalgoE4EjNS0_10empty_typeEbEEZZNS1_14partition_implILS8_4ELb0ES6_15HIP_vector_typeIjLj2EENS0_17counting_iteratorIjlEEPS9_SG_NS0_5tupleIJPjSI_NS0_16reverse_iteratorISI_EEEEENSH_IJSG_SG_SG_EEES9_SI_JZNS1_25segmented_radix_sort_implINS0_14default_configELb1EPKiPiPKlPlN2at6native12_GLOBAL__N_18offset_tEEE10hipError_tPvRmT1_PNSt15iterator_traitsIS12_E10value_typeET2_T3_PNS13_IS18_E10value_typeET4_jRbjT5_S1E_jjP12ihipStream_tbEUljE_ZNSN_ISO_Lb1ESQ_SR_ST_SU_SY_EESZ_S10_S11_S12_S16_S17_S18_S1B_S1C_jS1D_jS1E_S1E_jjS1G_bEUljE0_EEESZ_S10_S11_S18_S1C_S1E_T6_T7_T9_mT8_S1G_bDpT10_ENKUlT_T0_E_clISt17integral_constantIbLb1EES1U_EEDaS1P_S1Q_EUlS1P_E_NS1_11comp_targetILNS1_3genE0ELNS1_11target_archE4294967295ELNS1_3gpuE0ELNS1_3repE0EEENS1_30default_config_static_selectorELNS0_4arch9wavefront6targetE1EEEvS12_,"axG",@progbits,_ZN7rocprim17ROCPRIM_400000_NS6detail17trampoline_kernelINS0_13select_configILj256ELj13ELNS0_17block_load_methodE3ELS4_3ELS4_3ELNS0_20block_scan_algorithmE0ELj4294967295EEENS1_25partition_config_selectorILNS1_17partition_subalgoE4EjNS0_10empty_typeEbEEZZNS1_14partition_implILS8_4ELb0ES6_15HIP_vector_typeIjLj2EENS0_17counting_iteratorIjlEEPS9_SG_NS0_5tupleIJPjSI_NS0_16reverse_iteratorISI_EEEEENSH_IJSG_SG_SG_EEES9_SI_JZNS1_25segmented_radix_sort_implINS0_14default_configELb1EPKiPiPKlPlN2at6native12_GLOBAL__N_18offset_tEEE10hipError_tPvRmT1_PNSt15iterator_traitsIS12_E10value_typeET2_T3_PNS13_IS18_E10value_typeET4_jRbjT5_S1E_jjP12ihipStream_tbEUljE_ZNSN_ISO_Lb1ESQ_SR_ST_SU_SY_EESZ_S10_S11_S12_S16_S17_S18_S1B_S1C_jS1D_jS1E_S1E_jjS1G_bEUljE0_EEESZ_S10_S11_S18_S1C_S1E_T6_T7_T9_mT8_S1G_bDpT10_ENKUlT_T0_E_clISt17integral_constantIbLb1EES1U_EEDaS1P_S1Q_EUlS1P_E_NS1_11comp_targetILNS1_3genE0ELNS1_11target_archE4294967295ELNS1_3gpuE0ELNS1_3repE0EEENS1_30default_config_static_selectorELNS0_4arch9wavefront6targetE1EEEvS12_,comdat
	.globl	_ZN7rocprim17ROCPRIM_400000_NS6detail17trampoline_kernelINS0_13select_configILj256ELj13ELNS0_17block_load_methodE3ELS4_3ELS4_3ELNS0_20block_scan_algorithmE0ELj4294967295EEENS1_25partition_config_selectorILNS1_17partition_subalgoE4EjNS0_10empty_typeEbEEZZNS1_14partition_implILS8_4ELb0ES6_15HIP_vector_typeIjLj2EENS0_17counting_iteratorIjlEEPS9_SG_NS0_5tupleIJPjSI_NS0_16reverse_iteratorISI_EEEEENSH_IJSG_SG_SG_EEES9_SI_JZNS1_25segmented_radix_sort_implINS0_14default_configELb1EPKiPiPKlPlN2at6native12_GLOBAL__N_18offset_tEEE10hipError_tPvRmT1_PNSt15iterator_traitsIS12_E10value_typeET2_T3_PNS13_IS18_E10value_typeET4_jRbjT5_S1E_jjP12ihipStream_tbEUljE_ZNSN_ISO_Lb1ESQ_SR_ST_SU_SY_EESZ_S10_S11_S12_S16_S17_S18_S1B_S1C_jS1D_jS1E_S1E_jjS1G_bEUljE0_EEESZ_S10_S11_S18_S1C_S1E_T6_T7_T9_mT8_S1G_bDpT10_ENKUlT_T0_E_clISt17integral_constantIbLb1EES1U_EEDaS1P_S1Q_EUlS1P_E_NS1_11comp_targetILNS1_3genE0ELNS1_11target_archE4294967295ELNS1_3gpuE0ELNS1_3repE0EEENS1_30default_config_static_selectorELNS0_4arch9wavefront6targetE1EEEvS12_ ; -- Begin function _ZN7rocprim17ROCPRIM_400000_NS6detail17trampoline_kernelINS0_13select_configILj256ELj13ELNS0_17block_load_methodE3ELS4_3ELS4_3ELNS0_20block_scan_algorithmE0ELj4294967295EEENS1_25partition_config_selectorILNS1_17partition_subalgoE4EjNS0_10empty_typeEbEEZZNS1_14partition_implILS8_4ELb0ES6_15HIP_vector_typeIjLj2EENS0_17counting_iteratorIjlEEPS9_SG_NS0_5tupleIJPjSI_NS0_16reverse_iteratorISI_EEEEENSH_IJSG_SG_SG_EEES9_SI_JZNS1_25segmented_radix_sort_implINS0_14default_configELb1EPKiPiPKlPlN2at6native12_GLOBAL__N_18offset_tEEE10hipError_tPvRmT1_PNSt15iterator_traitsIS12_E10value_typeET2_T3_PNS13_IS18_E10value_typeET4_jRbjT5_S1E_jjP12ihipStream_tbEUljE_ZNSN_ISO_Lb1ESQ_SR_ST_SU_SY_EESZ_S10_S11_S12_S16_S17_S18_S1B_S1C_jS1D_jS1E_S1E_jjS1G_bEUljE0_EEESZ_S10_S11_S18_S1C_S1E_T6_T7_T9_mT8_S1G_bDpT10_ENKUlT_T0_E_clISt17integral_constantIbLb1EES1U_EEDaS1P_S1Q_EUlS1P_E_NS1_11comp_targetILNS1_3genE0ELNS1_11target_archE4294967295ELNS1_3gpuE0ELNS1_3repE0EEENS1_30default_config_static_selectorELNS0_4arch9wavefront6targetE1EEEvS12_
	.p2align	8
	.type	_ZN7rocprim17ROCPRIM_400000_NS6detail17trampoline_kernelINS0_13select_configILj256ELj13ELNS0_17block_load_methodE3ELS4_3ELS4_3ELNS0_20block_scan_algorithmE0ELj4294967295EEENS1_25partition_config_selectorILNS1_17partition_subalgoE4EjNS0_10empty_typeEbEEZZNS1_14partition_implILS8_4ELb0ES6_15HIP_vector_typeIjLj2EENS0_17counting_iteratorIjlEEPS9_SG_NS0_5tupleIJPjSI_NS0_16reverse_iteratorISI_EEEEENSH_IJSG_SG_SG_EEES9_SI_JZNS1_25segmented_radix_sort_implINS0_14default_configELb1EPKiPiPKlPlN2at6native12_GLOBAL__N_18offset_tEEE10hipError_tPvRmT1_PNSt15iterator_traitsIS12_E10value_typeET2_T3_PNS13_IS18_E10value_typeET4_jRbjT5_S1E_jjP12ihipStream_tbEUljE_ZNSN_ISO_Lb1ESQ_SR_ST_SU_SY_EESZ_S10_S11_S12_S16_S17_S18_S1B_S1C_jS1D_jS1E_S1E_jjS1G_bEUljE0_EEESZ_S10_S11_S18_S1C_S1E_T6_T7_T9_mT8_S1G_bDpT10_ENKUlT_T0_E_clISt17integral_constantIbLb1EES1U_EEDaS1P_S1Q_EUlS1P_E_NS1_11comp_targetILNS1_3genE0ELNS1_11target_archE4294967295ELNS1_3gpuE0ELNS1_3repE0EEENS1_30default_config_static_selectorELNS0_4arch9wavefront6targetE1EEEvS12_,@function
_ZN7rocprim17ROCPRIM_400000_NS6detail17trampoline_kernelINS0_13select_configILj256ELj13ELNS0_17block_load_methodE3ELS4_3ELS4_3ELNS0_20block_scan_algorithmE0ELj4294967295EEENS1_25partition_config_selectorILNS1_17partition_subalgoE4EjNS0_10empty_typeEbEEZZNS1_14partition_implILS8_4ELb0ES6_15HIP_vector_typeIjLj2EENS0_17counting_iteratorIjlEEPS9_SG_NS0_5tupleIJPjSI_NS0_16reverse_iteratorISI_EEEEENSH_IJSG_SG_SG_EEES9_SI_JZNS1_25segmented_radix_sort_implINS0_14default_configELb1EPKiPiPKlPlN2at6native12_GLOBAL__N_18offset_tEEE10hipError_tPvRmT1_PNSt15iterator_traitsIS12_E10value_typeET2_T3_PNS13_IS18_E10value_typeET4_jRbjT5_S1E_jjP12ihipStream_tbEUljE_ZNSN_ISO_Lb1ESQ_SR_ST_SU_SY_EESZ_S10_S11_S12_S16_S17_S18_S1B_S1C_jS1D_jS1E_S1E_jjS1G_bEUljE0_EEESZ_S10_S11_S18_S1C_S1E_T6_T7_T9_mT8_S1G_bDpT10_ENKUlT_T0_E_clISt17integral_constantIbLb1EES1U_EEDaS1P_S1Q_EUlS1P_E_NS1_11comp_targetILNS1_3genE0ELNS1_11target_archE4294967295ELNS1_3gpuE0ELNS1_3repE0EEENS1_30default_config_static_selectorELNS0_4arch9wavefront6targetE1EEEvS12_: ; @_ZN7rocprim17ROCPRIM_400000_NS6detail17trampoline_kernelINS0_13select_configILj256ELj13ELNS0_17block_load_methodE3ELS4_3ELS4_3ELNS0_20block_scan_algorithmE0ELj4294967295EEENS1_25partition_config_selectorILNS1_17partition_subalgoE4EjNS0_10empty_typeEbEEZZNS1_14partition_implILS8_4ELb0ES6_15HIP_vector_typeIjLj2EENS0_17counting_iteratorIjlEEPS9_SG_NS0_5tupleIJPjSI_NS0_16reverse_iteratorISI_EEEEENSH_IJSG_SG_SG_EEES9_SI_JZNS1_25segmented_radix_sort_implINS0_14default_configELb1EPKiPiPKlPlN2at6native12_GLOBAL__N_18offset_tEEE10hipError_tPvRmT1_PNSt15iterator_traitsIS12_E10value_typeET2_T3_PNS13_IS18_E10value_typeET4_jRbjT5_S1E_jjP12ihipStream_tbEUljE_ZNSN_ISO_Lb1ESQ_SR_ST_SU_SY_EESZ_S10_S11_S12_S16_S17_S18_S1B_S1C_jS1D_jS1E_S1E_jjS1G_bEUljE0_EEESZ_S10_S11_S18_S1C_S1E_T6_T7_T9_mT8_S1G_bDpT10_ENKUlT_T0_E_clISt17integral_constantIbLb1EES1U_EEDaS1P_S1Q_EUlS1P_E_NS1_11comp_targetILNS1_3genE0ELNS1_11target_archE4294967295ELNS1_3gpuE0ELNS1_3repE0EEENS1_30default_config_static_selectorELNS0_4arch9wavefront6targetE1EEEvS12_
; %bb.0:
	.section	.rodata,"a",@progbits
	.p2align	6, 0x0
	.amdhsa_kernel _ZN7rocprim17ROCPRIM_400000_NS6detail17trampoline_kernelINS0_13select_configILj256ELj13ELNS0_17block_load_methodE3ELS4_3ELS4_3ELNS0_20block_scan_algorithmE0ELj4294967295EEENS1_25partition_config_selectorILNS1_17partition_subalgoE4EjNS0_10empty_typeEbEEZZNS1_14partition_implILS8_4ELb0ES6_15HIP_vector_typeIjLj2EENS0_17counting_iteratorIjlEEPS9_SG_NS0_5tupleIJPjSI_NS0_16reverse_iteratorISI_EEEEENSH_IJSG_SG_SG_EEES9_SI_JZNS1_25segmented_radix_sort_implINS0_14default_configELb1EPKiPiPKlPlN2at6native12_GLOBAL__N_18offset_tEEE10hipError_tPvRmT1_PNSt15iterator_traitsIS12_E10value_typeET2_T3_PNS13_IS18_E10value_typeET4_jRbjT5_S1E_jjP12ihipStream_tbEUljE_ZNSN_ISO_Lb1ESQ_SR_ST_SU_SY_EESZ_S10_S11_S12_S16_S17_S18_S1B_S1C_jS1D_jS1E_S1E_jjS1G_bEUljE0_EEESZ_S10_S11_S18_S1C_S1E_T6_T7_T9_mT8_S1G_bDpT10_ENKUlT_T0_E_clISt17integral_constantIbLb1EES1U_EEDaS1P_S1Q_EUlS1P_E_NS1_11comp_targetILNS1_3genE0ELNS1_11target_archE4294967295ELNS1_3gpuE0ELNS1_3repE0EEENS1_30default_config_static_selectorELNS0_4arch9wavefront6targetE1EEEvS12_
		.amdhsa_group_segment_fixed_size 0
		.amdhsa_private_segment_fixed_size 0
		.amdhsa_kernarg_size 184
		.amdhsa_user_sgpr_count 6
		.amdhsa_user_sgpr_private_segment_buffer 1
		.amdhsa_user_sgpr_dispatch_ptr 0
		.amdhsa_user_sgpr_queue_ptr 0
		.amdhsa_user_sgpr_kernarg_segment_ptr 1
		.amdhsa_user_sgpr_dispatch_id 0
		.amdhsa_user_sgpr_flat_scratch_init 0
		.amdhsa_user_sgpr_kernarg_preload_length 0
		.amdhsa_user_sgpr_kernarg_preload_offset 0
		.amdhsa_user_sgpr_private_segment_size 0
		.amdhsa_uses_dynamic_stack 0
		.amdhsa_system_sgpr_private_segment_wavefront_offset 0
		.amdhsa_system_sgpr_workgroup_id_x 1
		.amdhsa_system_sgpr_workgroup_id_y 0
		.amdhsa_system_sgpr_workgroup_id_z 0
		.amdhsa_system_sgpr_workgroup_info 0
		.amdhsa_system_vgpr_workitem_id 0
		.amdhsa_next_free_vgpr 1
		.amdhsa_next_free_sgpr 0
		.amdhsa_accum_offset 4
		.amdhsa_reserve_vcc 0
		.amdhsa_reserve_flat_scratch 0
		.amdhsa_float_round_mode_32 0
		.amdhsa_float_round_mode_16_64 0
		.amdhsa_float_denorm_mode_32 3
		.amdhsa_float_denorm_mode_16_64 3
		.amdhsa_dx10_clamp 1
		.amdhsa_ieee_mode 1
		.amdhsa_fp16_overflow 0
		.amdhsa_tg_split 0
		.amdhsa_exception_fp_ieee_invalid_op 0
		.amdhsa_exception_fp_denorm_src 0
		.amdhsa_exception_fp_ieee_div_zero 0
		.amdhsa_exception_fp_ieee_overflow 0
		.amdhsa_exception_fp_ieee_underflow 0
		.amdhsa_exception_fp_ieee_inexact 0
		.amdhsa_exception_int_div_zero 0
	.end_amdhsa_kernel
	.section	.text._ZN7rocprim17ROCPRIM_400000_NS6detail17trampoline_kernelINS0_13select_configILj256ELj13ELNS0_17block_load_methodE3ELS4_3ELS4_3ELNS0_20block_scan_algorithmE0ELj4294967295EEENS1_25partition_config_selectorILNS1_17partition_subalgoE4EjNS0_10empty_typeEbEEZZNS1_14partition_implILS8_4ELb0ES6_15HIP_vector_typeIjLj2EENS0_17counting_iteratorIjlEEPS9_SG_NS0_5tupleIJPjSI_NS0_16reverse_iteratorISI_EEEEENSH_IJSG_SG_SG_EEES9_SI_JZNS1_25segmented_radix_sort_implINS0_14default_configELb1EPKiPiPKlPlN2at6native12_GLOBAL__N_18offset_tEEE10hipError_tPvRmT1_PNSt15iterator_traitsIS12_E10value_typeET2_T3_PNS13_IS18_E10value_typeET4_jRbjT5_S1E_jjP12ihipStream_tbEUljE_ZNSN_ISO_Lb1ESQ_SR_ST_SU_SY_EESZ_S10_S11_S12_S16_S17_S18_S1B_S1C_jS1D_jS1E_S1E_jjS1G_bEUljE0_EEESZ_S10_S11_S18_S1C_S1E_T6_T7_T9_mT8_S1G_bDpT10_ENKUlT_T0_E_clISt17integral_constantIbLb1EES1U_EEDaS1P_S1Q_EUlS1P_E_NS1_11comp_targetILNS1_3genE0ELNS1_11target_archE4294967295ELNS1_3gpuE0ELNS1_3repE0EEENS1_30default_config_static_selectorELNS0_4arch9wavefront6targetE1EEEvS12_,"axG",@progbits,_ZN7rocprim17ROCPRIM_400000_NS6detail17trampoline_kernelINS0_13select_configILj256ELj13ELNS0_17block_load_methodE3ELS4_3ELS4_3ELNS0_20block_scan_algorithmE0ELj4294967295EEENS1_25partition_config_selectorILNS1_17partition_subalgoE4EjNS0_10empty_typeEbEEZZNS1_14partition_implILS8_4ELb0ES6_15HIP_vector_typeIjLj2EENS0_17counting_iteratorIjlEEPS9_SG_NS0_5tupleIJPjSI_NS0_16reverse_iteratorISI_EEEEENSH_IJSG_SG_SG_EEES9_SI_JZNS1_25segmented_radix_sort_implINS0_14default_configELb1EPKiPiPKlPlN2at6native12_GLOBAL__N_18offset_tEEE10hipError_tPvRmT1_PNSt15iterator_traitsIS12_E10value_typeET2_T3_PNS13_IS18_E10value_typeET4_jRbjT5_S1E_jjP12ihipStream_tbEUljE_ZNSN_ISO_Lb1ESQ_SR_ST_SU_SY_EESZ_S10_S11_S12_S16_S17_S18_S1B_S1C_jS1D_jS1E_S1E_jjS1G_bEUljE0_EEESZ_S10_S11_S18_S1C_S1E_T6_T7_T9_mT8_S1G_bDpT10_ENKUlT_T0_E_clISt17integral_constantIbLb1EES1U_EEDaS1P_S1Q_EUlS1P_E_NS1_11comp_targetILNS1_3genE0ELNS1_11target_archE4294967295ELNS1_3gpuE0ELNS1_3repE0EEENS1_30default_config_static_selectorELNS0_4arch9wavefront6targetE1EEEvS12_,comdat
.Lfunc_end441:
	.size	_ZN7rocprim17ROCPRIM_400000_NS6detail17trampoline_kernelINS0_13select_configILj256ELj13ELNS0_17block_load_methodE3ELS4_3ELS4_3ELNS0_20block_scan_algorithmE0ELj4294967295EEENS1_25partition_config_selectorILNS1_17partition_subalgoE4EjNS0_10empty_typeEbEEZZNS1_14partition_implILS8_4ELb0ES6_15HIP_vector_typeIjLj2EENS0_17counting_iteratorIjlEEPS9_SG_NS0_5tupleIJPjSI_NS0_16reverse_iteratorISI_EEEEENSH_IJSG_SG_SG_EEES9_SI_JZNS1_25segmented_radix_sort_implINS0_14default_configELb1EPKiPiPKlPlN2at6native12_GLOBAL__N_18offset_tEEE10hipError_tPvRmT1_PNSt15iterator_traitsIS12_E10value_typeET2_T3_PNS13_IS18_E10value_typeET4_jRbjT5_S1E_jjP12ihipStream_tbEUljE_ZNSN_ISO_Lb1ESQ_SR_ST_SU_SY_EESZ_S10_S11_S12_S16_S17_S18_S1B_S1C_jS1D_jS1E_S1E_jjS1G_bEUljE0_EEESZ_S10_S11_S18_S1C_S1E_T6_T7_T9_mT8_S1G_bDpT10_ENKUlT_T0_E_clISt17integral_constantIbLb1EES1U_EEDaS1P_S1Q_EUlS1P_E_NS1_11comp_targetILNS1_3genE0ELNS1_11target_archE4294967295ELNS1_3gpuE0ELNS1_3repE0EEENS1_30default_config_static_selectorELNS0_4arch9wavefront6targetE1EEEvS12_, .Lfunc_end441-_ZN7rocprim17ROCPRIM_400000_NS6detail17trampoline_kernelINS0_13select_configILj256ELj13ELNS0_17block_load_methodE3ELS4_3ELS4_3ELNS0_20block_scan_algorithmE0ELj4294967295EEENS1_25partition_config_selectorILNS1_17partition_subalgoE4EjNS0_10empty_typeEbEEZZNS1_14partition_implILS8_4ELb0ES6_15HIP_vector_typeIjLj2EENS0_17counting_iteratorIjlEEPS9_SG_NS0_5tupleIJPjSI_NS0_16reverse_iteratorISI_EEEEENSH_IJSG_SG_SG_EEES9_SI_JZNS1_25segmented_radix_sort_implINS0_14default_configELb1EPKiPiPKlPlN2at6native12_GLOBAL__N_18offset_tEEE10hipError_tPvRmT1_PNSt15iterator_traitsIS12_E10value_typeET2_T3_PNS13_IS18_E10value_typeET4_jRbjT5_S1E_jjP12ihipStream_tbEUljE_ZNSN_ISO_Lb1ESQ_SR_ST_SU_SY_EESZ_S10_S11_S12_S16_S17_S18_S1B_S1C_jS1D_jS1E_S1E_jjS1G_bEUljE0_EEESZ_S10_S11_S18_S1C_S1E_T6_T7_T9_mT8_S1G_bDpT10_ENKUlT_T0_E_clISt17integral_constantIbLb1EES1U_EEDaS1P_S1Q_EUlS1P_E_NS1_11comp_targetILNS1_3genE0ELNS1_11target_archE4294967295ELNS1_3gpuE0ELNS1_3repE0EEENS1_30default_config_static_selectorELNS0_4arch9wavefront6targetE1EEEvS12_
                                        ; -- End function
	.section	.AMDGPU.csdata,"",@progbits
; Kernel info:
; codeLenInByte = 0
; NumSgprs: 4
; NumVgprs: 0
; NumAgprs: 0
; TotalNumVgprs: 0
; ScratchSize: 0
; MemoryBound: 0
; FloatMode: 240
; IeeeMode: 1
; LDSByteSize: 0 bytes/workgroup (compile time only)
; SGPRBlocks: 0
; VGPRBlocks: 0
; NumSGPRsForWavesPerEU: 4
; NumVGPRsForWavesPerEU: 1
; AccumOffset: 4
; Occupancy: 8
; WaveLimiterHint : 0
; COMPUTE_PGM_RSRC2:SCRATCH_EN: 0
; COMPUTE_PGM_RSRC2:USER_SGPR: 6
; COMPUTE_PGM_RSRC2:TRAP_HANDLER: 0
; COMPUTE_PGM_RSRC2:TGID_X_EN: 1
; COMPUTE_PGM_RSRC2:TGID_Y_EN: 0
; COMPUTE_PGM_RSRC2:TGID_Z_EN: 0
; COMPUTE_PGM_RSRC2:TIDIG_COMP_CNT: 0
; COMPUTE_PGM_RSRC3_GFX90A:ACCUM_OFFSET: 0
; COMPUTE_PGM_RSRC3_GFX90A:TG_SPLIT: 0
	.section	.text._ZN7rocprim17ROCPRIM_400000_NS6detail17trampoline_kernelINS0_13select_configILj256ELj13ELNS0_17block_load_methodE3ELS4_3ELS4_3ELNS0_20block_scan_algorithmE0ELj4294967295EEENS1_25partition_config_selectorILNS1_17partition_subalgoE4EjNS0_10empty_typeEbEEZZNS1_14partition_implILS8_4ELb0ES6_15HIP_vector_typeIjLj2EENS0_17counting_iteratorIjlEEPS9_SG_NS0_5tupleIJPjSI_NS0_16reverse_iteratorISI_EEEEENSH_IJSG_SG_SG_EEES9_SI_JZNS1_25segmented_radix_sort_implINS0_14default_configELb1EPKiPiPKlPlN2at6native12_GLOBAL__N_18offset_tEEE10hipError_tPvRmT1_PNSt15iterator_traitsIS12_E10value_typeET2_T3_PNS13_IS18_E10value_typeET4_jRbjT5_S1E_jjP12ihipStream_tbEUljE_ZNSN_ISO_Lb1ESQ_SR_ST_SU_SY_EESZ_S10_S11_S12_S16_S17_S18_S1B_S1C_jS1D_jS1E_S1E_jjS1G_bEUljE0_EEESZ_S10_S11_S18_S1C_S1E_T6_T7_T9_mT8_S1G_bDpT10_ENKUlT_T0_E_clISt17integral_constantIbLb1EES1U_EEDaS1P_S1Q_EUlS1P_E_NS1_11comp_targetILNS1_3genE5ELNS1_11target_archE942ELNS1_3gpuE9ELNS1_3repE0EEENS1_30default_config_static_selectorELNS0_4arch9wavefront6targetE1EEEvS12_,"axG",@progbits,_ZN7rocprim17ROCPRIM_400000_NS6detail17trampoline_kernelINS0_13select_configILj256ELj13ELNS0_17block_load_methodE3ELS4_3ELS4_3ELNS0_20block_scan_algorithmE0ELj4294967295EEENS1_25partition_config_selectorILNS1_17partition_subalgoE4EjNS0_10empty_typeEbEEZZNS1_14partition_implILS8_4ELb0ES6_15HIP_vector_typeIjLj2EENS0_17counting_iteratorIjlEEPS9_SG_NS0_5tupleIJPjSI_NS0_16reverse_iteratorISI_EEEEENSH_IJSG_SG_SG_EEES9_SI_JZNS1_25segmented_radix_sort_implINS0_14default_configELb1EPKiPiPKlPlN2at6native12_GLOBAL__N_18offset_tEEE10hipError_tPvRmT1_PNSt15iterator_traitsIS12_E10value_typeET2_T3_PNS13_IS18_E10value_typeET4_jRbjT5_S1E_jjP12ihipStream_tbEUljE_ZNSN_ISO_Lb1ESQ_SR_ST_SU_SY_EESZ_S10_S11_S12_S16_S17_S18_S1B_S1C_jS1D_jS1E_S1E_jjS1G_bEUljE0_EEESZ_S10_S11_S18_S1C_S1E_T6_T7_T9_mT8_S1G_bDpT10_ENKUlT_T0_E_clISt17integral_constantIbLb1EES1U_EEDaS1P_S1Q_EUlS1P_E_NS1_11comp_targetILNS1_3genE5ELNS1_11target_archE942ELNS1_3gpuE9ELNS1_3repE0EEENS1_30default_config_static_selectorELNS0_4arch9wavefront6targetE1EEEvS12_,comdat
	.globl	_ZN7rocprim17ROCPRIM_400000_NS6detail17trampoline_kernelINS0_13select_configILj256ELj13ELNS0_17block_load_methodE3ELS4_3ELS4_3ELNS0_20block_scan_algorithmE0ELj4294967295EEENS1_25partition_config_selectorILNS1_17partition_subalgoE4EjNS0_10empty_typeEbEEZZNS1_14partition_implILS8_4ELb0ES6_15HIP_vector_typeIjLj2EENS0_17counting_iteratorIjlEEPS9_SG_NS0_5tupleIJPjSI_NS0_16reverse_iteratorISI_EEEEENSH_IJSG_SG_SG_EEES9_SI_JZNS1_25segmented_radix_sort_implINS0_14default_configELb1EPKiPiPKlPlN2at6native12_GLOBAL__N_18offset_tEEE10hipError_tPvRmT1_PNSt15iterator_traitsIS12_E10value_typeET2_T3_PNS13_IS18_E10value_typeET4_jRbjT5_S1E_jjP12ihipStream_tbEUljE_ZNSN_ISO_Lb1ESQ_SR_ST_SU_SY_EESZ_S10_S11_S12_S16_S17_S18_S1B_S1C_jS1D_jS1E_S1E_jjS1G_bEUljE0_EEESZ_S10_S11_S18_S1C_S1E_T6_T7_T9_mT8_S1G_bDpT10_ENKUlT_T0_E_clISt17integral_constantIbLb1EES1U_EEDaS1P_S1Q_EUlS1P_E_NS1_11comp_targetILNS1_3genE5ELNS1_11target_archE942ELNS1_3gpuE9ELNS1_3repE0EEENS1_30default_config_static_selectorELNS0_4arch9wavefront6targetE1EEEvS12_ ; -- Begin function _ZN7rocprim17ROCPRIM_400000_NS6detail17trampoline_kernelINS0_13select_configILj256ELj13ELNS0_17block_load_methodE3ELS4_3ELS4_3ELNS0_20block_scan_algorithmE0ELj4294967295EEENS1_25partition_config_selectorILNS1_17partition_subalgoE4EjNS0_10empty_typeEbEEZZNS1_14partition_implILS8_4ELb0ES6_15HIP_vector_typeIjLj2EENS0_17counting_iteratorIjlEEPS9_SG_NS0_5tupleIJPjSI_NS0_16reverse_iteratorISI_EEEEENSH_IJSG_SG_SG_EEES9_SI_JZNS1_25segmented_radix_sort_implINS0_14default_configELb1EPKiPiPKlPlN2at6native12_GLOBAL__N_18offset_tEEE10hipError_tPvRmT1_PNSt15iterator_traitsIS12_E10value_typeET2_T3_PNS13_IS18_E10value_typeET4_jRbjT5_S1E_jjP12ihipStream_tbEUljE_ZNSN_ISO_Lb1ESQ_SR_ST_SU_SY_EESZ_S10_S11_S12_S16_S17_S18_S1B_S1C_jS1D_jS1E_S1E_jjS1G_bEUljE0_EEESZ_S10_S11_S18_S1C_S1E_T6_T7_T9_mT8_S1G_bDpT10_ENKUlT_T0_E_clISt17integral_constantIbLb1EES1U_EEDaS1P_S1Q_EUlS1P_E_NS1_11comp_targetILNS1_3genE5ELNS1_11target_archE942ELNS1_3gpuE9ELNS1_3repE0EEENS1_30default_config_static_selectorELNS0_4arch9wavefront6targetE1EEEvS12_
	.p2align	8
	.type	_ZN7rocprim17ROCPRIM_400000_NS6detail17trampoline_kernelINS0_13select_configILj256ELj13ELNS0_17block_load_methodE3ELS4_3ELS4_3ELNS0_20block_scan_algorithmE0ELj4294967295EEENS1_25partition_config_selectorILNS1_17partition_subalgoE4EjNS0_10empty_typeEbEEZZNS1_14partition_implILS8_4ELb0ES6_15HIP_vector_typeIjLj2EENS0_17counting_iteratorIjlEEPS9_SG_NS0_5tupleIJPjSI_NS0_16reverse_iteratorISI_EEEEENSH_IJSG_SG_SG_EEES9_SI_JZNS1_25segmented_radix_sort_implINS0_14default_configELb1EPKiPiPKlPlN2at6native12_GLOBAL__N_18offset_tEEE10hipError_tPvRmT1_PNSt15iterator_traitsIS12_E10value_typeET2_T3_PNS13_IS18_E10value_typeET4_jRbjT5_S1E_jjP12ihipStream_tbEUljE_ZNSN_ISO_Lb1ESQ_SR_ST_SU_SY_EESZ_S10_S11_S12_S16_S17_S18_S1B_S1C_jS1D_jS1E_S1E_jjS1G_bEUljE0_EEESZ_S10_S11_S18_S1C_S1E_T6_T7_T9_mT8_S1G_bDpT10_ENKUlT_T0_E_clISt17integral_constantIbLb1EES1U_EEDaS1P_S1Q_EUlS1P_E_NS1_11comp_targetILNS1_3genE5ELNS1_11target_archE942ELNS1_3gpuE9ELNS1_3repE0EEENS1_30default_config_static_selectorELNS0_4arch9wavefront6targetE1EEEvS12_,@function
_ZN7rocprim17ROCPRIM_400000_NS6detail17trampoline_kernelINS0_13select_configILj256ELj13ELNS0_17block_load_methodE3ELS4_3ELS4_3ELNS0_20block_scan_algorithmE0ELj4294967295EEENS1_25partition_config_selectorILNS1_17partition_subalgoE4EjNS0_10empty_typeEbEEZZNS1_14partition_implILS8_4ELb0ES6_15HIP_vector_typeIjLj2EENS0_17counting_iteratorIjlEEPS9_SG_NS0_5tupleIJPjSI_NS0_16reverse_iteratorISI_EEEEENSH_IJSG_SG_SG_EEES9_SI_JZNS1_25segmented_radix_sort_implINS0_14default_configELb1EPKiPiPKlPlN2at6native12_GLOBAL__N_18offset_tEEE10hipError_tPvRmT1_PNSt15iterator_traitsIS12_E10value_typeET2_T3_PNS13_IS18_E10value_typeET4_jRbjT5_S1E_jjP12ihipStream_tbEUljE_ZNSN_ISO_Lb1ESQ_SR_ST_SU_SY_EESZ_S10_S11_S12_S16_S17_S18_S1B_S1C_jS1D_jS1E_S1E_jjS1G_bEUljE0_EEESZ_S10_S11_S18_S1C_S1E_T6_T7_T9_mT8_S1G_bDpT10_ENKUlT_T0_E_clISt17integral_constantIbLb1EES1U_EEDaS1P_S1Q_EUlS1P_E_NS1_11comp_targetILNS1_3genE5ELNS1_11target_archE942ELNS1_3gpuE9ELNS1_3repE0EEENS1_30default_config_static_selectorELNS0_4arch9wavefront6targetE1EEEvS12_: ; @_ZN7rocprim17ROCPRIM_400000_NS6detail17trampoline_kernelINS0_13select_configILj256ELj13ELNS0_17block_load_methodE3ELS4_3ELS4_3ELNS0_20block_scan_algorithmE0ELj4294967295EEENS1_25partition_config_selectorILNS1_17partition_subalgoE4EjNS0_10empty_typeEbEEZZNS1_14partition_implILS8_4ELb0ES6_15HIP_vector_typeIjLj2EENS0_17counting_iteratorIjlEEPS9_SG_NS0_5tupleIJPjSI_NS0_16reverse_iteratorISI_EEEEENSH_IJSG_SG_SG_EEES9_SI_JZNS1_25segmented_radix_sort_implINS0_14default_configELb1EPKiPiPKlPlN2at6native12_GLOBAL__N_18offset_tEEE10hipError_tPvRmT1_PNSt15iterator_traitsIS12_E10value_typeET2_T3_PNS13_IS18_E10value_typeET4_jRbjT5_S1E_jjP12ihipStream_tbEUljE_ZNSN_ISO_Lb1ESQ_SR_ST_SU_SY_EESZ_S10_S11_S12_S16_S17_S18_S1B_S1C_jS1D_jS1E_S1E_jjS1G_bEUljE0_EEESZ_S10_S11_S18_S1C_S1E_T6_T7_T9_mT8_S1G_bDpT10_ENKUlT_T0_E_clISt17integral_constantIbLb1EES1U_EEDaS1P_S1Q_EUlS1P_E_NS1_11comp_targetILNS1_3genE5ELNS1_11target_archE942ELNS1_3gpuE9ELNS1_3repE0EEENS1_30default_config_static_selectorELNS0_4arch9wavefront6targetE1EEEvS12_
; %bb.0:
	.section	.rodata,"a",@progbits
	.p2align	6, 0x0
	.amdhsa_kernel _ZN7rocprim17ROCPRIM_400000_NS6detail17trampoline_kernelINS0_13select_configILj256ELj13ELNS0_17block_load_methodE3ELS4_3ELS4_3ELNS0_20block_scan_algorithmE0ELj4294967295EEENS1_25partition_config_selectorILNS1_17partition_subalgoE4EjNS0_10empty_typeEbEEZZNS1_14partition_implILS8_4ELb0ES6_15HIP_vector_typeIjLj2EENS0_17counting_iteratorIjlEEPS9_SG_NS0_5tupleIJPjSI_NS0_16reverse_iteratorISI_EEEEENSH_IJSG_SG_SG_EEES9_SI_JZNS1_25segmented_radix_sort_implINS0_14default_configELb1EPKiPiPKlPlN2at6native12_GLOBAL__N_18offset_tEEE10hipError_tPvRmT1_PNSt15iterator_traitsIS12_E10value_typeET2_T3_PNS13_IS18_E10value_typeET4_jRbjT5_S1E_jjP12ihipStream_tbEUljE_ZNSN_ISO_Lb1ESQ_SR_ST_SU_SY_EESZ_S10_S11_S12_S16_S17_S18_S1B_S1C_jS1D_jS1E_S1E_jjS1G_bEUljE0_EEESZ_S10_S11_S18_S1C_S1E_T6_T7_T9_mT8_S1G_bDpT10_ENKUlT_T0_E_clISt17integral_constantIbLb1EES1U_EEDaS1P_S1Q_EUlS1P_E_NS1_11comp_targetILNS1_3genE5ELNS1_11target_archE942ELNS1_3gpuE9ELNS1_3repE0EEENS1_30default_config_static_selectorELNS0_4arch9wavefront6targetE1EEEvS12_
		.amdhsa_group_segment_fixed_size 0
		.amdhsa_private_segment_fixed_size 0
		.amdhsa_kernarg_size 184
		.amdhsa_user_sgpr_count 6
		.amdhsa_user_sgpr_private_segment_buffer 1
		.amdhsa_user_sgpr_dispatch_ptr 0
		.amdhsa_user_sgpr_queue_ptr 0
		.amdhsa_user_sgpr_kernarg_segment_ptr 1
		.amdhsa_user_sgpr_dispatch_id 0
		.amdhsa_user_sgpr_flat_scratch_init 0
		.amdhsa_user_sgpr_kernarg_preload_length 0
		.amdhsa_user_sgpr_kernarg_preload_offset 0
		.amdhsa_user_sgpr_private_segment_size 0
		.amdhsa_uses_dynamic_stack 0
		.amdhsa_system_sgpr_private_segment_wavefront_offset 0
		.amdhsa_system_sgpr_workgroup_id_x 1
		.amdhsa_system_sgpr_workgroup_id_y 0
		.amdhsa_system_sgpr_workgroup_id_z 0
		.amdhsa_system_sgpr_workgroup_info 0
		.amdhsa_system_vgpr_workitem_id 0
		.amdhsa_next_free_vgpr 1
		.amdhsa_next_free_sgpr 0
		.amdhsa_accum_offset 4
		.amdhsa_reserve_vcc 0
		.amdhsa_reserve_flat_scratch 0
		.amdhsa_float_round_mode_32 0
		.amdhsa_float_round_mode_16_64 0
		.amdhsa_float_denorm_mode_32 3
		.amdhsa_float_denorm_mode_16_64 3
		.amdhsa_dx10_clamp 1
		.amdhsa_ieee_mode 1
		.amdhsa_fp16_overflow 0
		.amdhsa_tg_split 0
		.amdhsa_exception_fp_ieee_invalid_op 0
		.amdhsa_exception_fp_denorm_src 0
		.amdhsa_exception_fp_ieee_div_zero 0
		.amdhsa_exception_fp_ieee_overflow 0
		.amdhsa_exception_fp_ieee_underflow 0
		.amdhsa_exception_fp_ieee_inexact 0
		.amdhsa_exception_int_div_zero 0
	.end_amdhsa_kernel
	.section	.text._ZN7rocprim17ROCPRIM_400000_NS6detail17trampoline_kernelINS0_13select_configILj256ELj13ELNS0_17block_load_methodE3ELS4_3ELS4_3ELNS0_20block_scan_algorithmE0ELj4294967295EEENS1_25partition_config_selectorILNS1_17partition_subalgoE4EjNS0_10empty_typeEbEEZZNS1_14partition_implILS8_4ELb0ES6_15HIP_vector_typeIjLj2EENS0_17counting_iteratorIjlEEPS9_SG_NS0_5tupleIJPjSI_NS0_16reverse_iteratorISI_EEEEENSH_IJSG_SG_SG_EEES9_SI_JZNS1_25segmented_radix_sort_implINS0_14default_configELb1EPKiPiPKlPlN2at6native12_GLOBAL__N_18offset_tEEE10hipError_tPvRmT1_PNSt15iterator_traitsIS12_E10value_typeET2_T3_PNS13_IS18_E10value_typeET4_jRbjT5_S1E_jjP12ihipStream_tbEUljE_ZNSN_ISO_Lb1ESQ_SR_ST_SU_SY_EESZ_S10_S11_S12_S16_S17_S18_S1B_S1C_jS1D_jS1E_S1E_jjS1G_bEUljE0_EEESZ_S10_S11_S18_S1C_S1E_T6_T7_T9_mT8_S1G_bDpT10_ENKUlT_T0_E_clISt17integral_constantIbLb1EES1U_EEDaS1P_S1Q_EUlS1P_E_NS1_11comp_targetILNS1_3genE5ELNS1_11target_archE942ELNS1_3gpuE9ELNS1_3repE0EEENS1_30default_config_static_selectorELNS0_4arch9wavefront6targetE1EEEvS12_,"axG",@progbits,_ZN7rocprim17ROCPRIM_400000_NS6detail17trampoline_kernelINS0_13select_configILj256ELj13ELNS0_17block_load_methodE3ELS4_3ELS4_3ELNS0_20block_scan_algorithmE0ELj4294967295EEENS1_25partition_config_selectorILNS1_17partition_subalgoE4EjNS0_10empty_typeEbEEZZNS1_14partition_implILS8_4ELb0ES6_15HIP_vector_typeIjLj2EENS0_17counting_iteratorIjlEEPS9_SG_NS0_5tupleIJPjSI_NS0_16reverse_iteratorISI_EEEEENSH_IJSG_SG_SG_EEES9_SI_JZNS1_25segmented_radix_sort_implINS0_14default_configELb1EPKiPiPKlPlN2at6native12_GLOBAL__N_18offset_tEEE10hipError_tPvRmT1_PNSt15iterator_traitsIS12_E10value_typeET2_T3_PNS13_IS18_E10value_typeET4_jRbjT5_S1E_jjP12ihipStream_tbEUljE_ZNSN_ISO_Lb1ESQ_SR_ST_SU_SY_EESZ_S10_S11_S12_S16_S17_S18_S1B_S1C_jS1D_jS1E_S1E_jjS1G_bEUljE0_EEESZ_S10_S11_S18_S1C_S1E_T6_T7_T9_mT8_S1G_bDpT10_ENKUlT_T0_E_clISt17integral_constantIbLb1EES1U_EEDaS1P_S1Q_EUlS1P_E_NS1_11comp_targetILNS1_3genE5ELNS1_11target_archE942ELNS1_3gpuE9ELNS1_3repE0EEENS1_30default_config_static_selectorELNS0_4arch9wavefront6targetE1EEEvS12_,comdat
.Lfunc_end442:
	.size	_ZN7rocprim17ROCPRIM_400000_NS6detail17trampoline_kernelINS0_13select_configILj256ELj13ELNS0_17block_load_methodE3ELS4_3ELS4_3ELNS0_20block_scan_algorithmE0ELj4294967295EEENS1_25partition_config_selectorILNS1_17partition_subalgoE4EjNS0_10empty_typeEbEEZZNS1_14partition_implILS8_4ELb0ES6_15HIP_vector_typeIjLj2EENS0_17counting_iteratorIjlEEPS9_SG_NS0_5tupleIJPjSI_NS0_16reverse_iteratorISI_EEEEENSH_IJSG_SG_SG_EEES9_SI_JZNS1_25segmented_radix_sort_implINS0_14default_configELb1EPKiPiPKlPlN2at6native12_GLOBAL__N_18offset_tEEE10hipError_tPvRmT1_PNSt15iterator_traitsIS12_E10value_typeET2_T3_PNS13_IS18_E10value_typeET4_jRbjT5_S1E_jjP12ihipStream_tbEUljE_ZNSN_ISO_Lb1ESQ_SR_ST_SU_SY_EESZ_S10_S11_S12_S16_S17_S18_S1B_S1C_jS1D_jS1E_S1E_jjS1G_bEUljE0_EEESZ_S10_S11_S18_S1C_S1E_T6_T7_T9_mT8_S1G_bDpT10_ENKUlT_T0_E_clISt17integral_constantIbLb1EES1U_EEDaS1P_S1Q_EUlS1P_E_NS1_11comp_targetILNS1_3genE5ELNS1_11target_archE942ELNS1_3gpuE9ELNS1_3repE0EEENS1_30default_config_static_selectorELNS0_4arch9wavefront6targetE1EEEvS12_, .Lfunc_end442-_ZN7rocprim17ROCPRIM_400000_NS6detail17trampoline_kernelINS0_13select_configILj256ELj13ELNS0_17block_load_methodE3ELS4_3ELS4_3ELNS0_20block_scan_algorithmE0ELj4294967295EEENS1_25partition_config_selectorILNS1_17partition_subalgoE4EjNS0_10empty_typeEbEEZZNS1_14partition_implILS8_4ELb0ES6_15HIP_vector_typeIjLj2EENS0_17counting_iteratorIjlEEPS9_SG_NS0_5tupleIJPjSI_NS0_16reverse_iteratorISI_EEEEENSH_IJSG_SG_SG_EEES9_SI_JZNS1_25segmented_radix_sort_implINS0_14default_configELb1EPKiPiPKlPlN2at6native12_GLOBAL__N_18offset_tEEE10hipError_tPvRmT1_PNSt15iterator_traitsIS12_E10value_typeET2_T3_PNS13_IS18_E10value_typeET4_jRbjT5_S1E_jjP12ihipStream_tbEUljE_ZNSN_ISO_Lb1ESQ_SR_ST_SU_SY_EESZ_S10_S11_S12_S16_S17_S18_S1B_S1C_jS1D_jS1E_S1E_jjS1G_bEUljE0_EEESZ_S10_S11_S18_S1C_S1E_T6_T7_T9_mT8_S1G_bDpT10_ENKUlT_T0_E_clISt17integral_constantIbLb1EES1U_EEDaS1P_S1Q_EUlS1P_E_NS1_11comp_targetILNS1_3genE5ELNS1_11target_archE942ELNS1_3gpuE9ELNS1_3repE0EEENS1_30default_config_static_selectorELNS0_4arch9wavefront6targetE1EEEvS12_
                                        ; -- End function
	.section	.AMDGPU.csdata,"",@progbits
; Kernel info:
; codeLenInByte = 0
; NumSgprs: 4
; NumVgprs: 0
; NumAgprs: 0
; TotalNumVgprs: 0
; ScratchSize: 0
; MemoryBound: 0
; FloatMode: 240
; IeeeMode: 1
; LDSByteSize: 0 bytes/workgroup (compile time only)
; SGPRBlocks: 0
; VGPRBlocks: 0
; NumSGPRsForWavesPerEU: 4
; NumVGPRsForWavesPerEU: 1
; AccumOffset: 4
; Occupancy: 8
; WaveLimiterHint : 0
; COMPUTE_PGM_RSRC2:SCRATCH_EN: 0
; COMPUTE_PGM_RSRC2:USER_SGPR: 6
; COMPUTE_PGM_RSRC2:TRAP_HANDLER: 0
; COMPUTE_PGM_RSRC2:TGID_X_EN: 1
; COMPUTE_PGM_RSRC2:TGID_Y_EN: 0
; COMPUTE_PGM_RSRC2:TGID_Z_EN: 0
; COMPUTE_PGM_RSRC2:TIDIG_COMP_CNT: 0
; COMPUTE_PGM_RSRC3_GFX90A:ACCUM_OFFSET: 0
; COMPUTE_PGM_RSRC3_GFX90A:TG_SPLIT: 0
	.section	.text._ZN7rocprim17ROCPRIM_400000_NS6detail17trampoline_kernelINS0_13select_configILj256ELj13ELNS0_17block_load_methodE3ELS4_3ELS4_3ELNS0_20block_scan_algorithmE0ELj4294967295EEENS1_25partition_config_selectorILNS1_17partition_subalgoE4EjNS0_10empty_typeEbEEZZNS1_14partition_implILS8_4ELb0ES6_15HIP_vector_typeIjLj2EENS0_17counting_iteratorIjlEEPS9_SG_NS0_5tupleIJPjSI_NS0_16reverse_iteratorISI_EEEEENSH_IJSG_SG_SG_EEES9_SI_JZNS1_25segmented_radix_sort_implINS0_14default_configELb1EPKiPiPKlPlN2at6native12_GLOBAL__N_18offset_tEEE10hipError_tPvRmT1_PNSt15iterator_traitsIS12_E10value_typeET2_T3_PNS13_IS18_E10value_typeET4_jRbjT5_S1E_jjP12ihipStream_tbEUljE_ZNSN_ISO_Lb1ESQ_SR_ST_SU_SY_EESZ_S10_S11_S12_S16_S17_S18_S1B_S1C_jS1D_jS1E_S1E_jjS1G_bEUljE0_EEESZ_S10_S11_S18_S1C_S1E_T6_T7_T9_mT8_S1G_bDpT10_ENKUlT_T0_E_clISt17integral_constantIbLb1EES1U_EEDaS1P_S1Q_EUlS1P_E_NS1_11comp_targetILNS1_3genE4ELNS1_11target_archE910ELNS1_3gpuE8ELNS1_3repE0EEENS1_30default_config_static_selectorELNS0_4arch9wavefront6targetE1EEEvS12_,"axG",@progbits,_ZN7rocprim17ROCPRIM_400000_NS6detail17trampoline_kernelINS0_13select_configILj256ELj13ELNS0_17block_load_methodE3ELS4_3ELS4_3ELNS0_20block_scan_algorithmE0ELj4294967295EEENS1_25partition_config_selectorILNS1_17partition_subalgoE4EjNS0_10empty_typeEbEEZZNS1_14partition_implILS8_4ELb0ES6_15HIP_vector_typeIjLj2EENS0_17counting_iteratorIjlEEPS9_SG_NS0_5tupleIJPjSI_NS0_16reverse_iteratorISI_EEEEENSH_IJSG_SG_SG_EEES9_SI_JZNS1_25segmented_radix_sort_implINS0_14default_configELb1EPKiPiPKlPlN2at6native12_GLOBAL__N_18offset_tEEE10hipError_tPvRmT1_PNSt15iterator_traitsIS12_E10value_typeET2_T3_PNS13_IS18_E10value_typeET4_jRbjT5_S1E_jjP12ihipStream_tbEUljE_ZNSN_ISO_Lb1ESQ_SR_ST_SU_SY_EESZ_S10_S11_S12_S16_S17_S18_S1B_S1C_jS1D_jS1E_S1E_jjS1G_bEUljE0_EEESZ_S10_S11_S18_S1C_S1E_T6_T7_T9_mT8_S1G_bDpT10_ENKUlT_T0_E_clISt17integral_constantIbLb1EES1U_EEDaS1P_S1Q_EUlS1P_E_NS1_11comp_targetILNS1_3genE4ELNS1_11target_archE910ELNS1_3gpuE8ELNS1_3repE0EEENS1_30default_config_static_selectorELNS0_4arch9wavefront6targetE1EEEvS12_,comdat
	.globl	_ZN7rocprim17ROCPRIM_400000_NS6detail17trampoline_kernelINS0_13select_configILj256ELj13ELNS0_17block_load_methodE3ELS4_3ELS4_3ELNS0_20block_scan_algorithmE0ELj4294967295EEENS1_25partition_config_selectorILNS1_17partition_subalgoE4EjNS0_10empty_typeEbEEZZNS1_14partition_implILS8_4ELb0ES6_15HIP_vector_typeIjLj2EENS0_17counting_iteratorIjlEEPS9_SG_NS0_5tupleIJPjSI_NS0_16reverse_iteratorISI_EEEEENSH_IJSG_SG_SG_EEES9_SI_JZNS1_25segmented_radix_sort_implINS0_14default_configELb1EPKiPiPKlPlN2at6native12_GLOBAL__N_18offset_tEEE10hipError_tPvRmT1_PNSt15iterator_traitsIS12_E10value_typeET2_T3_PNS13_IS18_E10value_typeET4_jRbjT5_S1E_jjP12ihipStream_tbEUljE_ZNSN_ISO_Lb1ESQ_SR_ST_SU_SY_EESZ_S10_S11_S12_S16_S17_S18_S1B_S1C_jS1D_jS1E_S1E_jjS1G_bEUljE0_EEESZ_S10_S11_S18_S1C_S1E_T6_T7_T9_mT8_S1G_bDpT10_ENKUlT_T0_E_clISt17integral_constantIbLb1EES1U_EEDaS1P_S1Q_EUlS1P_E_NS1_11comp_targetILNS1_3genE4ELNS1_11target_archE910ELNS1_3gpuE8ELNS1_3repE0EEENS1_30default_config_static_selectorELNS0_4arch9wavefront6targetE1EEEvS12_ ; -- Begin function _ZN7rocprim17ROCPRIM_400000_NS6detail17trampoline_kernelINS0_13select_configILj256ELj13ELNS0_17block_load_methodE3ELS4_3ELS4_3ELNS0_20block_scan_algorithmE0ELj4294967295EEENS1_25partition_config_selectorILNS1_17partition_subalgoE4EjNS0_10empty_typeEbEEZZNS1_14partition_implILS8_4ELb0ES6_15HIP_vector_typeIjLj2EENS0_17counting_iteratorIjlEEPS9_SG_NS0_5tupleIJPjSI_NS0_16reverse_iteratorISI_EEEEENSH_IJSG_SG_SG_EEES9_SI_JZNS1_25segmented_radix_sort_implINS0_14default_configELb1EPKiPiPKlPlN2at6native12_GLOBAL__N_18offset_tEEE10hipError_tPvRmT1_PNSt15iterator_traitsIS12_E10value_typeET2_T3_PNS13_IS18_E10value_typeET4_jRbjT5_S1E_jjP12ihipStream_tbEUljE_ZNSN_ISO_Lb1ESQ_SR_ST_SU_SY_EESZ_S10_S11_S12_S16_S17_S18_S1B_S1C_jS1D_jS1E_S1E_jjS1G_bEUljE0_EEESZ_S10_S11_S18_S1C_S1E_T6_T7_T9_mT8_S1G_bDpT10_ENKUlT_T0_E_clISt17integral_constantIbLb1EES1U_EEDaS1P_S1Q_EUlS1P_E_NS1_11comp_targetILNS1_3genE4ELNS1_11target_archE910ELNS1_3gpuE8ELNS1_3repE0EEENS1_30default_config_static_selectorELNS0_4arch9wavefront6targetE1EEEvS12_
	.p2align	8
	.type	_ZN7rocprim17ROCPRIM_400000_NS6detail17trampoline_kernelINS0_13select_configILj256ELj13ELNS0_17block_load_methodE3ELS4_3ELS4_3ELNS0_20block_scan_algorithmE0ELj4294967295EEENS1_25partition_config_selectorILNS1_17partition_subalgoE4EjNS0_10empty_typeEbEEZZNS1_14partition_implILS8_4ELb0ES6_15HIP_vector_typeIjLj2EENS0_17counting_iteratorIjlEEPS9_SG_NS0_5tupleIJPjSI_NS0_16reverse_iteratorISI_EEEEENSH_IJSG_SG_SG_EEES9_SI_JZNS1_25segmented_radix_sort_implINS0_14default_configELb1EPKiPiPKlPlN2at6native12_GLOBAL__N_18offset_tEEE10hipError_tPvRmT1_PNSt15iterator_traitsIS12_E10value_typeET2_T3_PNS13_IS18_E10value_typeET4_jRbjT5_S1E_jjP12ihipStream_tbEUljE_ZNSN_ISO_Lb1ESQ_SR_ST_SU_SY_EESZ_S10_S11_S12_S16_S17_S18_S1B_S1C_jS1D_jS1E_S1E_jjS1G_bEUljE0_EEESZ_S10_S11_S18_S1C_S1E_T6_T7_T9_mT8_S1G_bDpT10_ENKUlT_T0_E_clISt17integral_constantIbLb1EES1U_EEDaS1P_S1Q_EUlS1P_E_NS1_11comp_targetILNS1_3genE4ELNS1_11target_archE910ELNS1_3gpuE8ELNS1_3repE0EEENS1_30default_config_static_selectorELNS0_4arch9wavefront6targetE1EEEvS12_,@function
_ZN7rocprim17ROCPRIM_400000_NS6detail17trampoline_kernelINS0_13select_configILj256ELj13ELNS0_17block_load_methodE3ELS4_3ELS4_3ELNS0_20block_scan_algorithmE0ELj4294967295EEENS1_25partition_config_selectorILNS1_17partition_subalgoE4EjNS0_10empty_typeEbEEZZNS1_14partition_implILS8_4ELb0ES6_15HIP_vector_typeIjLj2EENS0_17counting_iteratorIjlEEPS9_SG_NS0_5tupleIJPjSI_NS0_16reverse_iteratorISI_EEEEENSH_IJSG_SG_SG_EEES9_SI_JZNS1_25segmented_radix_sort_implINS0_14default_configELb1EPKiPiPKlPlN2at6native12_GLOBAL__N_18offset_tEEE10hipError_tPvRmT1_PNSt15iterator_traitsIS12_E10value_typeET2_T3_PNS13_IS18_E10value_typeET4_jRbjT5_S1E_jjP12ihipStream_tbEUljE_ZNSN_ISO_Lb1ESQ_SR_ST_SU_SY_EESZ_S10_S11_S12_S16_S17_S18_S1B_S1C_jS1D_jS1E_S1E_jjS1G_bEUljE0_EEESZ_S10_S11_S18_S1C_S1E_T6_T7_T9_mT8_S1G_bDpT10_ENKUlT_T0_E_clISt17integral_constantIbLb1EES1U_EEDaS1P_S1Q_EUlS1P_E_NS1_11comp_targetILNS1_3genE4ELNS1_11target_archE910ELNS1_3gpuE8ELNS1_3repE0EEENS1_30default_config_static_selectorELNS0_4arch9wavefront6targetE1EEEvS12_: ; @_ZN7rocprim17ROCPRIM_400000_NS6detail17trampoline_kernelINS0_13select_configILj256ELj13ELNS0_17block_load_methodE3ELS4_3ELS4_3ELNS0_20block_scan_algorithmE0ELj4294967295EEENS1_25partition_config_selectorILNS1_17partition_subalgoE4EjNS0_10empty_typeEbEEZZNS1_14partition_implILS8_4ELb0ES6_15HIP_vector_typeIjLj2EENS0_17counting_iteratorIjlEEPS9_SG_NS0_5tupleIJPjSI_NS0_16reverse_iteratorISI_EEEEENSH_IJSG_SG_SG_EEES9_SI_JZNS1_25segmented_radix_sort_implINS0_14default_configELb1EPKiPiPKlPlN2at6native12_GLOBAL__N_18offset_tEEE10hipError_tPvRmT1_PNSt15iterator_traitsIS12_E10value_typeET2_T3_PNS13_IS18_E10value_typeET4_jRbjT5_S1E_jjP12ihipStream_tbEUljE_ZNSN_ISO_Lb1ESQ_SR_ST_SU_SY_EESZ_S10_S11_S12_S16_S17_S18_S1B_S1C_jS1D_jS1E_S1E_jjS1G_bEUljE0_EEESZ_S10_S11_S18_S1C_S1E_T6_T7_T9_mT8_S1G_bDpT10_ENKUlT_T0_E_clISt17integral_constantIbLb1EES1U_EEDaS1P_S1Q_EUlS1P_E_NS1_11comp_targetILNS1_3genE4ELNS1_11target_archE910ELNS1_3gpuE8ELNS1_3repE0EEENS1_30default_config_static_selectorELNS0_4arch9wavefront6targetE1EEEvS12_
; %bb.0:
	s_load_dwordx2 s[48:49], s[4:5], 0x10
	s_load_dwordx4 s[44:47], s[4:5], 0x28
	s_load_dwordx2 s[34:35], s[4:5], 0x38
	s_load_dwordx4 s[28:31], s[4:5], 0x58
	s_load_dwordx2 s[2:3], s[4:5], 0x68
	s_load_dwordx2 s[50:51], s[4:5], 0x78
	;; [unrolled: 1-line block ×3, first 2 shown]
	s_load_dwordx8 s[36:43], s[4:5], 0x90
	v_cmp_eq_u32_e64 s[0:1], 0, v0
	s_and_saveexec_b64 s[6:7], s[0:1]
	s_cbranch_execz .LBB443_4
; %bb.1:
	s_mov_b64 s[10:11], exec
	v_mbcnt_lo_u32_b32 v1, s10, 0
	v_mbcnt_hi_u32_b32 v1, s11, v1
	v_cmp_eq_u32_e32 vcc, 0, v1
                                        ; implicit-def: $vgpr2
	s_and_saveexec_b64 s[8:9], vcc
	s_cbranch_execz .LBB443_3
; %bb.2:
	s_load_dwordx2 s[12:13], s[4:5], 0x88
	s_bcnt1_i32_b64 s10, s[10:11]
	v_mov_b32_e32 v2, 0
	v_mov_b32_e32 v3, s10
	s_waitcnt lgkmcnt(0)
	global_atomic_add v2, v2, v3, s[12:13] glc
.LBB443_3:
	s_or_b64 exec, exec, s[8:9]
	s_waitcnt vmcnt(0)
	v_readfirstlane_b32 s8, v2
	v_add_u32_e32 v1, s8, v1
	v_mov_b32_e32 v2, 0
	ds_write_b32 v2, v1
.LBB443_4:
	s_or_b64 exec, exec, s[6:7]
	v_mov_b32_e32 v1, 0
	s_load_dword s7, s[4:5], 0x8
	s_load_dword s6, s[4:5], 0x80
	s_waitcnt lgkmcnt(0)
	s_barrier
	ds_read_b32 v8, v1
	s_waitcnt lgkmcnt(0)
	s_barrier
	global_load_dwordx4 v[2:5], v1, s[30:31]
	v_mov_b32_e32 v7, s3
	s_movk_i32 s3, 0xd00
	s_add_i32 s8, s7, s48
	v_mul_lo_u32 v34, v8, s3
	s_add_i32 s7, s6, -1
	s_mul_i32 s3, s6, 0xd00
	s_add_u32 s4, s48, s3
	v_readfirstlane_b32 s33, v8
	s_addc_u32 s5, s49, 0
	s_cmp_eq_u32 s33, s7
	v_mov_b32_e32 v6, s2
	s_cselect_b64 s[30:31], -1, 0
	s_cmp_lg_u32 s33, s7
	v_cmp_lt_u64_e32 vcc, s[4:5], v[6:7]
	s_cselect_b64 s[4:5], -1, 0
	s_or_b64 s[4:5], vcc, s[4:5]
	v_add_u32_e32 v1, s8, v34
	s_mov_b64 s[6:7], -1
	s_and_b64 vcc, exec, s[4:5]
	v_add_u32_e32 v1, v1, v0
	s_cbranch_vccz .LBB443_6
; %bb.5:
	v_add_u32_e32 v6, 0x100, v1
	v_lshlrev_b32_e32 v18, 2, v0
	v_add_u32_e32 v7, 0x200, v1
	v_add_u32_e32 v8, 0x300, v1
	;; [unrolled: 1-line block ×11, first 2 shown]
	ds_write2st64_b32 v18, v1, v6 offset1:4
	ds_write2st64_b32 v18, v7, v8 offset0:8 offset1:12
	ds_write2st64_b32 v18, v9, v10 offset0:16 offset1:20
	;; [unrolled: 1-line block ×5, first 2 shown]
	ds_write_b32 v18, v17 offset:12288
	s_waitcnt lgkmcnt(0)
	s_barrier
	s_mov_b64 s[6:7], 0
.LBB443_6:
	s_andn2_b64 vcc, exec, s[6:7]
	s_add_i32 s3, s3, s48
	s_cbranch_vccnz .LBB443_8
; %bb.7:
	v_add_u32_e32 v6, 0x100, v1
	v_lshlrev_b32_e32 v18, 2, v0
	v_add_u32_e32 v7, 0x200, v1
	v_add_u32_e32 v8, 0x300, v1
	;; [unrolled: 1-line block ×11, first 2 shown]
	ds_write2st64_b32 v18, v1, v6 offset1:4
	ds_write2st64_b32 v18, v7, v8 offset0:8 offset1:12
	ds_write2st64_b32 v18, v9, v10 offset0:16 offset1:20
	;; [unrolled: 1-line block ×5, first 2 shown]
	ds_write_b32 v18, v17 offset:12288
	s_waitcnt lgkmcnt(0)
	s_barrier
.LBB443_8:
	v_mul_u32_u24_e32 v36, 13, v0
	v_lshlrev_b32_e32 v1, 2, v36
	ds_read2_b32 v[22:23], v1 offset1:1
	ds_read2_b32 v[20:21], v1 offset0:2 offset1:3
	ds_read2_b32 v[18:19], v1 offset0:4 offset1:5
	;; [unrolled: 1-line block ×5, first 2 shown]
	ds_read_b32 v35, v1 offset:48
	v_cndmask_b32_e64 v1, 0, 1, s[4:5]
	s_sub_i32 s86, s2, s3
	v_cmp_ne_u32_e64 s[2:3], 1, v1
	s_andn2_b64 vcc, exec, s[4:5]
	s_waitcnt lgkmcnt(0)
	s_barrier
	s_cbranch_vccnz .LBB443_36
; %bb.9:
	v_add_u32_e32 v1, s37, v22
	v_add_u32_e32 v6, s39, v22
	v_mul_lo_u32 v1, v1, s36
	v_mul_lo_u32 v6, v6, s38
	v_sub_u32_e32 v1, v1, v6
	v_cmp_lt_u32_e32 vcc, s40, v1
	v_cmp_ge_u32_e64 s[4:5], s40, v1
	s_mov_b64 s[60:61], 0
	s_mov_b64 s[58:59], 0
	s_and_saveexec_b64 s[6:7], s[4:5]
; %bb.10:
	v_add_u32_e32 v1, s42, v22
	v_add_u32_e32 v6, s56, v22
	v_mul_lo_u32 v1, v1, s41
	v_mul_lo_u32 v6, v6, s43
	v_sub_u32_e32 v1, v1, v6
	v_cmp_lt_u32_e64 s[4:5], s57, v1
	s_and_b64 s[58:59], s[4:5], exec
; %bb.11:
	s_or_b64 exec, exec, s[6:7]
	v_add_u32_e32 v1, s37, v23
	v_add_u32_e32 v6, s39, v23
	v_mul_lo_u32 v1, v1, s36
	v_mul_lo_u32 v6, v6, s38
	v_sub_u32_e32 v1, v1, v6
	v_cmp_lt_u32_e64 s[4:5], s40, v1
	v_cmp_ge_u32_e64 s[6:7], s40, v1
	s_and_saveexec_b64 s[8:9], s[6:7]
; %bb.12:
	v_add_u32_e32 v1, s42, v23
	v_add_u32_e32 v6, s56, v23
	v_mul_lo_u32 v1, v1, s41
	v_mul_lo_u32 v6, v6, s43
	v_sub_u32_e32 v1, v1, v6
	v_cmp_lt_u32_e64 s[6:7], s57, v1
	s_and_b64 s[60:61], s[6:7], exec
; %bb.13:
	s_or_b64 exec, exec, s[8:9]
	v_add_u32_e32 v1, s37, v20
	v_add_u32_e32 v6, s39, v20
	v_mul_lo_u32 v1, v1, s36
	v_mul_lo_u32 v6, v6, s38
	v_sub_u32_e32 v1, v1, v6
	v_cmp_lt_u32_e64 s[6:7], s40, v1
	v_cmp_ge_u32_e64 s[8:9], s40, v1
	s_mov_b64 s[64:65], 0
	s_mov_b64 s[62:63], 0
	s_and_saveexec_b64 s[10:11], s[8:9]
; %bb.14:
	v_add_u32_e32 v1, s42, v20
	v_add_u32_e32 v6, s56, v20
	v_mul_lo_u32 v1, v1, s41
	v_mul_lo_u32 v6, v6, s43
	v_sub_u32_e32 v1, v1, v6
	v_cmp_lt_u32_e64 s[8:9], s57, v1
	s_and_b64 s[62:63], s[8:9], exec
; %bb.15:
	s_or_b64 exec, exec, s[10:11]
	v_add_u32_e32 v1, s37, v21
	v_add_u32_e32 v6, s39, v21
	v_mul_lo_u32 v1, v1, s36
	v_mul_lo_u32 v6, v6, s38
	v_sub_u32_e32 v1, v1, v6
	v_cmp_lt_u32_e64 s[8:9], s40, v1
	v_cmp_ge_u32_e64 s[10:11], s40, v1
	s_and_saveexec_b64 s[12:13], s[10:11]
; %bb.16:
	v_add_u32_e32 v1, s42, v21
	v_add_u32_e32 v6, s56, v21
	v_mul_lo_u32 v1, v1, s41
	v_mul_lo_u32 v6, v6, s43
	v_sub_u32_e32 v1, v1, v6
	v_cmp_lt_u32_e64 s[10:11], s57, v1
	s_and_b64 s[64:65], s[10:11], exec
; %bb.17:
	s_or_b64 exec, exec, s[12:13]
	v_add_u32_e32 v1, s37, v18
	v_add_u32_e32 v6, s39, v18
	v_mul_lo_u32 v1, v1, s36
	v_mul_lo_u32 v6, v6, s38
	v_sub_u32_e32 v1, v1, v6
	v_cmp_lt_u32_e64 s[10:11], s40, v1
	;; [unrolled: 38-line block ×5, first 2 shown]
	v_cmp_ge_u32_e64 s[24:25], s40, v1
	s_mov_b64 s[80:81], 0
	s_mov_b64 s[82:83], 0
	s_and_saveexec_b64 s[26:27], s[24:25]
; %bb.30:
	v_add_u32_e32 v1, s42, v12
	v_add_u32_e32 v6, s56, v12
	v_mul_lo_u32 v1, v1, s41
	v_mul_lo_u32 v6, v6, s43
	v_sub_u32_e32 v1, v1, v6
	v_cmp_lt_u32_e64 s[24:25], s57, v1
	s_and_b64 s[82:83], s[24:25], exec
; %bb.31:
	s_or_b64 exec, exec, s[26:27]
	v_add_u32_e32 v1, s37, v13
	v_add_u32_e32 v6, s39, v13
	v_mul_lo_u32 v1, v1, s36
	v_mul_lo_u32 v6, v6, s38
	v_sub_u32_e32 v1, v1, v6
	v_cmp_lt_u32_e64 s[24:25], s40, v1
	v_cmp_ge_u32_e64 s[26:27], s40, v1
	s_and_saveexec_b64 s[52:53], s[26:27]
; %bb.32:
	v_add_u32_e32 v1, s42, v13
	v_add_u32_e32 v6, s56, v13
	v_mul_lo_u32 v1, v1, s41
	v_mul_lo_u32 v6, v6, s43
	v_sub_u32_e32 v1, v1, v6
	v_cmp_lt_u32_e64 s[26:27], s57, v1
	s_and_b64 s[80:81], s[26:27], exec
; %bb.33:
	s_or_b64 exec, exec, s[52:53]
	v_add_u32_e32 v1, s37, v35
	v_add_u32_e32 v6, s39, v35
	v_mul_lo_u32 v1, v1, s36
	v_mul_lo_u32 v6, v6, s38
	v_sub_u32_e32 v1, v1, v6
	v_cmp_ge_u32_e64 s[26:27], s40, v1
	s_mov_b64 s[52:53], -1
	s_mov_b64 s[74:75], 0
	s_mov_b64 s[54:55], 0
	s_and_saveexec_b64 s[84:85], s[26:27]
; %bb.34:
	v_add_u32_e32 v1, s42, v35
	v_add_u32_e32 v6, s56, v35
	v_mul_lo_u32 v1, v1, s41
	v_mul_lo_u32 v6, v6, s43
	v_sub_u32_e32 v1, v1, v6
	v_cmp_lt_u32_e64 s[26:27], s57, v1
	s_and_b64 s[54:55], s[26:27], exec
	s_xor_b64 s[52:53], exec, -1
; %bb.35:
	s_or_b64 exec, exec, s[84:85]
	v_cndmask_b32_e64 v57, 0, 1, s[82:83]
	v_cndmask_b32_e64 v60, 0, 1, s[24:25]
	;; [unrolled: 1-line block ×22, first 2 shown]
	v_cndmask_b32_e64 v37, 0, 1, vcc
	v_cndmask_b32_e64 v59, 0, 1, s[80:81]
	s_add_i32 s16, s86, 0xd00
	s_and_b64 vcc, exec, s[74:75]
	s_cbranch_vccnz .LBB443_37
	s_branch .LBB443_90
.LBB443_36:
                                        ; implicit-def: $sgpr52_sgpr53
                                        ; implicit-def: $sgpr54_sgpr55
                                        ; implicit-def: $vgpr59
                                        ; implicit-def: $vgpr57
                                        ; implicit-def: $vgpr55
                                        ; implicit-def: $vgpr53
                                        ; implicit-def: $vgpr51
                                        ; implicit-def: $vgpr49
                                        ; implicit-def: $vgpr47
                                        ; implicit-def: $vgpr45
                                        ; implicit-def: $vgpr43
                                        ; implicit-def: $vgpr37
                                        ; implicit-def: $vgpr39
                                        ; implicit-def: $vgpr41
                                        ; implicit-def: $vgpr44
                                        ; implicit-def: $vgpr46
                                        ; implicit-def: $vgpr48
                                        ; implicit-def: $vgpr50
                                        ; implicit-def: $vgpr52
                                        ; implicit-def: $vgpr54
                                        ; implicit-def: $vgpr56
                                        ; implicit-def: $vgpr58
                                        ; implicit-def: $vgpr60
                                        ; implicit-def: $vgpr38
                                        ; implicit-def: $vgpr40
                                        ; implicit-def: $vgpr42
	s_add_i32 s16, s86, 0xd00
	s_cbranch_execz .LBB443_90
.LBB443_37:
	v_cmp_gt_u32_e32 vcc, s16, v36
	v_mov_b32_e32 v38, 0
	v_mov_b32_e32 v37, 0
	s_and_saveexec_b64 s[6:7], vcc
	s_cbranch_execz .LBB443_41
; %bb.38:
	v_add_u32_e32 v1, s37, v22
	v_add_u32_e32 v6, s39, v22
	v_mul_lo_u32 v1, v1, s36
	v_mul_lo_u32 v6, v6, s38
	v_sub_u32_e32 v1, v1, v6
	v_cmp_lt_u32_e32 vcc, s40, v1
	v_cmp_ge_u32_e64 s[4:5], s40, v1
	s_mov_b64 s[10:11], 0
	s_and_saveexec_b64 s[8:9], s[4:5]
; %bb.39:
	v_add_u32_e32 v1, s42, v22
	v_add_u32_e32 v6, s56, v22
	v_mul_lo_u32 v1, v1, s41
	v_mul_lo_u32 v6, v6, s43
	v_sub_u32_e32 v1, v1, v6
	v_cmp_lt_u32_e64 s[4:5], s57, v1
	s_and_b64 s[10:11], s[4:5], exec
; %bb.40:
	s_or_b64 exec, exec, s[8:9]
	v_cndmask_b32_e64 v37, 0, 1, vcc
	v_cndmask_b32_e64 v38, 0, 1, s[10:11]
.LBB443_41:
	s_or_b64 exec, exec, s[6:7]
	v_add_u32_e32 v1, 1, v36
	v_cmp_gt_u32_e32 vcc, s16, v1
	v_mov_b32_e32 v39, 0
	v_mov_b32_e32 v40, 0
	s_and_saveexec_b64 s[6:7], vcc
	s_cbranch_execz .LBB443_45
; %bb.42:
	v_add_u32_e32 v1, s37, v23
	v_add_u32_e32 v6, s39, v23
	v_mul_lo_u32 v1, v1, s36
	v_mul_lo_u32 v6, v6, s38
	v_sub_u32_e32 v1, v1, v6
	v_cmp_lt_u32_e32 vcc, s40, v1
	v_cmp_ge_u32_e64 s[4:5], s40, v1
	s_mov_b64 s[10:11], 0
	s_and_saveexec_b64 s[8:9], s[4:5]
; %bb.43:
	v_add_u32_e32 v1, s42, v23
	v_add_u32_e32 v6, s56, v23
	v_mul_lo_u32 v1, v1, s41
	v_mul_lo_u32 v6, v6, s43
	v_sub_u32_e32 v1, v1, v6
	v_cmp_lt_u32_e64 s[4:5], s57, v1
	s_and_b64 s[10:11], s[4:5], exec
; %bb.44:
	s_or_b64 exec, exec, s[8:9]
	v_cndmask_b32_e64 v39, 0, 1, vcc
	v_cndmask_b32_e64 v40, 0, 1, s[10:11]
.LBB443_45:
	s_or_b64 exec, exec, s[6:7]
	v_add_u32_e32 v1, 2, v36
	;; [unrolled: 30-line block ×12, first 2 shown]
	v_cmp_gt_u32_e32 vcc, s16, v1
	s_mov_b64 s[52:53], 0
	s_mov_b64 s[54:55], 0
	s_and_saveexec_b64 s[4:5], vcc
	s_cbranch_execz .LBB443_89
; %bb.86:
	v_add_u32_e32 v1, s37, v35
	v_add_u32_e32 v6, s39, v35
	v_mul_lo_u32 v1, v1, s36
	v_mul_lo_u32 v6, v6, s38
	v_sub_u32_e32 v1, v1, v6
	v_cmp_ge_u32_e32 vcc, s40, v1
	s_mov_b64 s[8:9], -1
	s_mov_b64 s[10:11], 0
	s_and_saveexec_b64 s[6:7], vcc
; %bb.87:
	v_add_u32_e32 v1, s42, v35
	v_add_u32_e32 v6, s56, v35
	v_mul_lo_u32 v1, v1, s41
	v_mul_lo_u32 v6, v6, s43
	v_sub_u32_e32 v1, v1, v6
	v_cmp_lt_u32_e32 vcc, s57, v1
	s_and_b64 s[10:11], vcc, exec
	s_xor_b64 s[8:9], exec, -1
; %bb.88:
	s_or_b64 exec, exec, s[6:7]
	s_and_b64 s[54:55], s[10:11], exec
	s_and_b64 s[52:53], s[8:9], exec
.LBB443_89:
	s_or_b64 exec, exec, s[4:5]
.LBB443_90:
	v_and_b32_e32 v68, 0xff, v38
	v_and_b32_e32 v79, 0xff, v40
	;; [unrolled: 1-line block ×5, first 2 shown]
	v_add3_u32 v6, v79, v70, v68
	v_and_b32_e32 v81, 0xff, v47
	v_and_b32_e32 v74, 0xff, v49
	v_add3_u32 v6, v6, v80, v72
	v_and_b32_e32 v67, 0xff, v37
	v_and_b32_e32 v61, 0xff, v39
	;; [unrolled: 1-line block ×5, first 2 shown]
	v_add3_u32 v6, v6, v81, v74
	v_and_b32_e32 v62, 0xff, v44
	v_and_b32_e32 v71, 0xff, v46
	;; [unrolled: 1-line block ×4, first 2 shown]
	v_add3_u32 v7, v61, v69, v67
	v_add3_u32 v6, v6, v82, v76
	v_and_b32_e32 v63, 0xff, v48
	v_and_b32_e32 v73, 0xff, v50
	;; [unrolled: 1-line block ×3, first 2 shown]
	v_cndmask_b32_e64 v1, 0, 1, s[54:55]
	v_add3_u32 v7, v7, v62, v71
	v_add3_u32 v6, v6, v83, v78
	v_and_b32_e32 v64, 0xff, v52
	v_and_b32_e32 v75, 0xff, v54
	v_add3_u32 v7, v7, v63, v73
	v_add3_u32 v91, v6, v84, v1
	v_mbcnt_lo_u32_b32 v1, -1, 0
	v_and_b32_e32 v65, 0xff, v56
	v_and_b32_e32 v77, 0xff, v58
	v_add3_u32 v7, v7, v64, v75
	v_mbcnt_hi_u32_b32 v85, -1, v1
	v_and_b32_e32 v66, 0xff, v60
	v_add3_u32 v7, v7, v65, v77
	v_cndmask_b32_e64 v8, 0, 1, s[52:53]
	v_and_b32_e32 v89, 15, v85
	s_cmp_lg_u32 s33, 0
	v_add3_u32 v90, v7, v66, v8
	v_cmp_eq_u32_e64 s[6:7], 0, v89
	v_cmp_lt_u32_e64 s[4:5], 1, v89
	v_cmp_lt_u32_e64 s[10:11], 3, v89
	;; [unrolled: 1-line block ×3, first 2 shown]
	v_and_b32_e32 v88, 16, v85
	v_cmp_lt_u32_e32 vcc, 31, v85
	v_lshrrev_b32_e32 v86, 6, v0
	v_or_b32_e32 v87, 63, v0
	s_cbranch_scc0 .LBB443_123
; %bb.91:
	v_mov_b32_dpp v1, v90 row_shr:1 row_mask:0xf bank_mask:0xf
	v_mov_b32_dpp v6, v91 row_shr:1 row_mask:0xf bank_mask:0xf
	v_add_u32_e32 v1, v1, v90
	v_add_u32_e32 v6, v6, v91
	v_cndmask_b32_e64 v6, v6, v91, s[6:7]
	v_cndmask_b32_e64 v1, v1, v90, s[6:7]
	s_nop 0
	v_mov_b32_dpp v8, v6 row_shr:2 row_mask:0xf bank_mask:0xf
	v_mov_b32_dpp v7, v1 row_shr:2 row_mask:0xf bank_mask:0xf
	v_add_u32_e32 v7, v1, v7
	v_add_u32_e32 v8, v6, v8
	v_cndmask_b32_e64 v6, v6, v8, s[4:5]
	v_cndmask_b32_e64 v1, v1, v7, s[4:5]
	s_nop 0
	;; [unrolled: 7-line block ×3, first 2 shown]
	v_mov_b32_dpp v8, v6 row_shr:8 row_mask:0xf bank_mask:0xf
	v_mov_b32_dpp v7, v1 row_shr:8 row_mask:0xf bank_mask:0xf
	v_add_u32_e32 v7, v1, v7
	v_add_u32_e32 v8, v6, v8
	v_cndmask_b32_e64 v6, v6, v8, s[8:9]
	v_cndmask_b32_e64 v1, v1, v7, s[8:9]
	v_cmp_eq_u32_e64 s[8:9], 0, v88
	v_mov_b32_dpp v8, v6 row_bcast:15 row_mask:0xf bank_mask:0xf
	v_mov_b32_dpp v7, v1 row_bcast:15 row_mask:0xf bank_mask:0xf
	v_add_u32_e32 v7, v1, v7
	v_add_u32_e32 v8, v6, v8
	v_cndmask_b32_e64 v6, v8, v6, s[8:9]
	v_cndmask_b32_e64 v1, v7, v1, s[8:9]
	s_nop 0
	v_mov_b32_dpp v8, v6 row_bcast:31 row_mask:0xf bank_mask:0xf
	v_mov_b32_dpp v7, v1 row_bcast:31 row_mask:0xf bank_mask:0xf
	v_add_u32_e32 v8, v6, v8
	v_add_u32_e32 v9, v1, v7
	v_cndmask_b32_e32 v7, v6, v8, vcc
	v_cndmask_b32_e32 v6, v1, v9, vcc
	v_cmp_eq_u32_e32 vcc, v87, v0
	s_and_saveexec_b64 s[8:9], vcc
	s_cbranch_execz .LBB443_93
; %bb.92:
	v_lshlrev_b32_e32 v1, 3, v86
	ds_write_b64 v1, v[6:7]
.LBB443_93:
	s_or_b64 exec, exec, s[8:9]
	v_cmp_gt_u32_e32 vcc, 4, v0
	s_waitcnt lgkmcnt(0)
	s_barrier
	s_and_saveexec_b64 s[8:9], vcc
	s_cbranch_execz .LBB443_95
; %bb.94:
	v_lshlrev_b32_e32 v1, 3, v0
	ds_read_b64 v[8:9], v1
	v_and_b32_e32 v10, 3, v85
	v_cmp_eq_u32_e32 vcc, 0, v10
	s_waitcnt lgkmcnt(0)
	v_mov_b32_dpp v11, v8 row_shr:1 row_mask:0xf bank_mask:0xf
	v_mov_b32_dpp v24, v9 row_shr:1 row_mask:0xf bank_mask:0xf
	v_add_u32_e32 v11, v11, v8
	v_add_u32_e32 v24, v24, v9
	v_cndmask_b32_e32 v9, v24, v9, vcc
	v_cndmask_b32_e32 v8, v11, v8, vcc
	v_cmp_lt_u32_e32 vcc, 1, v10
	v_mov_b32_dpp v24, v9 row_shr:2 row_mask:0xf bank_mask:0xf
	v_mov_b32_dpp v11, v8 row_shr:2 row_mask:0xf bank_mask:0xf
	v_cndmask_b32_e32 v10, 0, v11, vcc
	v_cndmask_b32_e32 v11, 0, v24, vcc
	v_add_u32_e32 v9, v11, v9
	v_add_u32_e32 v8, v10, v8
	ds_write_b64 v1, v[8:9]
.LBB443_95:
	s_or_b64 exec, exec, s[8:9]
	v_cmp_gt_u32_e32 vcc, 64, v0
	v_cmp_lt_u32_e64 s[8:9], 63, v0
	s_waitcnt lgkmcnt(0)
	s_barrier
	s_waitcnt lgkmcnt(0)
                                        ; implicit-def: $vgpr25
	s_and_saveexec_b64 s[10:11], s[8:9]
	s_xor_b64 s[8:9], exec, s[10:11]
	s_cbranch_execz .LBB443_97
; %bb.96:
	v_lshl_add_u32 v1, v86, 3, -8
	ds_read_b64 v[24:25], v1
	s_waitcnt lgkmcnt(0)
	v_add_u32_e32 v7, v25, v7
	v_add_u32_e32 v6, v24, v6
.LBB443_97:
	s_andn2_saveexec_b64 s[8:9], s[8:9]
; %bb.98:
                                        ; implicit-def: $vgpr24
; %bb.99:
	s_or_b64 exec, exec, s[8:9]
	v_add_u32_e32 v1, -1, v85
	v_and_b32_e32 v8, 64, v85
	v_cmp_lt_i32_e64 s[8:9], v1, v8
	v_cndmask_b32_e64 v1, v1, v85, s[8:9]
	v_lshlrev_b32_e32 v8, 2, v1
	ds_bpermute_b32 v1, v8, v6
	ds_bpermute_b32 v92, v8, v7
	v_cmp_eq_u32_e64 s[8:9], 0, v85
	s_and_saveexec_b64 s[10:11], vcc
	s_cbranch_execz .LBB443_122
; %bb.100:
	v_mov_b32_e32 v11, 0
	ds_read_b64 v[26:27], v11 offset:24
	s_and_saveexec_b64 s[12:13], s[8:9]
	s_cbranch_execz .LBB443_102
; %bb.101:
	s_add_i32 s14, s33, 64
	s_mov_b32 s15, 0
	s_lshl_b64 s[14:15], s[14:15], 4
	s_waitcnt lgkmcnt(0)
	v_and_b32_e32 v6, 0xff000000, v27
	v_and_b32_e32 v7, 0xff0000, v27
	s_add_u32 s14, s50, s14
	v_or_b32_e32 v6, v7, v6
	v_and_b32_e32 v7, 0xff00, v27
	s_addc_u32 s15, s51, s15
	v_or_b32_e32 v6, v6, v7
	v_or_b32_sdwa v9, v6, v27 dst_sel:DWORD dst_unused:UNUSED_PAD src0_sel:DWORD src1_sel:BYTE_0
	v_mov_b32_e32 v10, 1
	v_mov_b32_e32 v8, v26
	v_pk_mov_b32 v[6:7], s[14:15], s[14:15] op_sel:[0,1]
	;;#ASMSTART
	global_store_dwordx4 v[6:7], v[8:11] off	
s_waitcnt vmcnt(0)
	;;#ASMEND
.LBB443_102:
	s_or_b64 exec, exec, s[12:13]
	v_xad_u32 v28, v85, -1, s33
	v_add_u32_e32 v10, 64, v28
	v_lshlrev_b64 v[6:7], 4, v[10:11]
	v_mov_b32_e32 v8, s51
	v_add_co_u32_e32 v30, vcc, s50, v6
	v_addc_co_u32_e32 v31, vcc, v8, v7, vcc
	;;#ASMSTART
	global_load_dwordx4 v[6:9], v[30:31] off glc	
s_waitcnt vmcnt(0)
	;;#ASMEND
	v_and_b32_e32 v9, 0xff, v7
	v_and_b32_e32 v10, 0xff00, v7
	v_or3_b32 v9, 0, v9, v10
	v_or3_b32 v6, v6, 0, 0
	v_and_b32_e32 v10, 0xff000000, v7
	v_and_b32_e32 v7, 0xff0000, v7
	v_or3_b32 v7, v9, v7, v10
	v_or3_b32 v6, v6, 0, 0
	v_cmp_eq_u16_sdwa s[14:15], v8, v11 src0_sel:BYTE_0 src1_sel:DWORD
	s_and_saveexec_b64 s[12:13], s[14:15]
	s_cbranch_execz .LBB443_108
; %bb.103:
	s_mov_b32 s17, 1
	s_mov_b64 s[14:15], 0
	v_mov_b32_e32 v10, 0
.LBB443_104:                            ; =>This Loop Header: Depth=1
                                        ;     Child Loop BB443_105 Depth 2
	s_max_u32 s18, s17, 1
.LBB443_105:                            ;   Parent Loop BB443_104 Depth=1
                                        ; =>  This Inner Loop Header: Depth=2
	s_add_i32 s18, s18, -1
	s_cmp_eq_u32 s18, 0
	s_sleep 1
	s_cbranch_scc0 .LBB443_105
; %bb.106:                              ;   in Loop: Header=BB443_104 Depth=1
	s_cmp_lt_u32 s17, 32
	s_cselect_b64 s[18:19], -1, 0
	s_cmp_lg_u64 s[18:19], 0
	s_addc_u32 s17, s17, 0
	;;#ASMSTART
	global_load_dwordx4 v[6:9], v[30:31] off glc	
s_waitcnt vmcnt(0)
	;;#ASMEND
	v_cmp_ne_u16_sdwa s[18:19], v8, v10 src0_sel:BYTE_0 src1_sel:DWORD
	s_or_b64 s[14:15], s[18:19], s[14:15]
	s_andn2_b64 exec, exec, s[14:15]
	s_cbranch_execnz .LBB443_104
; %bb.107:
	s_or_b64 exec, exec, s[14:15]
.LBB443_108:
	s_or_b64 exec, exec, s[12:13]
	v_and_b32_e32 v94, 63, v85
	v_cmp_ne_u32_e32 vcc, 63, v94
	v_mov_b32_e32 v93, 2
	v_addc_co_u32_e32 v30, vcc, 0, v85, vcc
	v_cmp_eq_u16_sdwa s[12:13], v8, v93 src0_sel:BYTE_0 src1_sel:DWORD
	v_lshlrev_b64 v[10:11], v85, -1
	v_lshlrev_b32_e32 v95, 2, v30
	v_and_b32_e32 v9, s13, v11
	ds_bpermute_b32 v30, v95, v6
	ds_bpermute_b32 v31, v95, v7
	v_or_b32_e32 v9, 0x80000000, v9
	v_and_b32_e32 v29, s12, v10
	v_ffbl_b32_e32 v9, v9
	v_add_u32_e32 v9, 32, v9
	v_ffbl_b32_e32 v29, v29
	v_min_u32_e32 v9, v29, v9
	s_waitcnt lgkmcnt(1)
	v_add_u32_e32 v29, v30, v6
	s_waitcnt lgkmcnt(0)
	v_add_u32_e32 v30, v31, v7
	v_cmp_lt_u32_e32 vcc, v94, v9
	v_cndmask_b32_e32 v7, v7, v30, vcc
	v_cndmask_b32_e32 v6, v6, v29, vcc
	v_cmp_gt_u32_e32 vcc, 62, v94
	v_cndmask_b32_e64 v29, 0, 1, vcc
	v_lshlrev_b32_e32 v29, 1, v29
	v_add_lshl_u32 v96, v29, v85, 2
	ds_bpermute_b32 v29, v96, v6
	ds_bpermute_b32 v30, v96, v7
	v_add_u32_e32 v97, 2, v94
	v_cmp_gt_u32_e32 vcc, v97, v9
	v_add_u32_e32 v99, 4, v94
	s_waitcnt lgkmcnt(1)
	v_add_u32_e32 v29, v6, v29
	s_waitcnt lgkmcnt(0)
	v_add_u32_e32 v30, v7, v30
	v_cndmask_b32_e32 v7, v30, v7, vcc
	v_cndmask_b32_e32 v6, v29, v6, vcc
	v_cmp_gt_u32_e32 vcc, 60, v94
	v_cndmask_b32_e64 v29, 0, 1, vcc
	v_lshlrev_b32_e32 v29, 2, v29
	v_add_lshl_u32 v98, v29, v85, 2
	ds_bpermute_b32 v29, v98, v6
	ds_bpermute_b32 v30, v98, v7
	v_cmp_gt_u32_e32 vcc, v99, v9
	v_add_u32_e32 v101, 8, v94
	v_add_u32_e32 v103, 16, v94
	s_waitcnt lgkmcnt(1)
	v_add_u32_e32 v29, v6, v29
	s_waitcnt lgkmcnt(0)
	v_add_u32_e32 v30, v7, v30
	v_cndmask_b32_e32 v7, v30, v7, vcc
	v_cndmask_b32_e32 v6, v29, v6, vcc
	v_cmp_gt_u32_e32 vcc, 56, v94
	v_cndmask_b32_e64 v29, 0, 1, vcc
	v_lshlrev_b32_e32 v29, 3, v29
	v_add_lshl_u32 v100, v29, v85, 2
	ds_bpermute_b32 v29, v100, v6
	ds_bpermute_b32 v30, v100, v7
	v_cmp_gt_u32_e32 vcc, v101, v9
	v_add_u32_e32 v105, 32, v94
	s_waitcnt lgkmcnt(1)
	v_add_u32_e32 v29, v6, v29
	s_waitcnt lgkmcnt(0)
	v_add_u32_e32 v30, v7, v30
	v_cndmask_b32_e32 v7, v30, v7, vcc
	v_cndmask_b32_e32 v6, v29, v6, vcc
	v_cmp_gt_u32_e32 vcc, 48, v94
	v_cndmask_b32_e64 v29, 0, 1, vcc
	v_lshlrev_b32_e32 v29, 4, v29
	v_add_lshl_u32 v102, v29, v85, 2
	ds_bpermute_b32 v29, v102, v6
	ds_bpermute_b32 v30, v102, v7
	v_cmp_gt_u32_e32 vcc, v103, v9
	s_waitcnt lgkmcnt(1)
	v_add_u32_e32 v29, v6, v29
	s_waitcnt lgkmcnt(0)
	v_add_u32_e32 v30, v7, v30
	v_cndmask_b32_e32 v7, v30, v7, vcc
	v_cndmask_b32_e32 v6, v29, v6, vcc
	v_cmp_gt_u32_e32 vcc, 32, v94
	v_cndmask_b32_e64 v29, 0, 1, vcc
	v_lshlrev_b32_e32 v29, 5, v29
	v_add_lshl_u32 v104, v29, v85, 2
	ds_bpermute_b32 v29, v104, v6
	ds_bpermute_b32 v30, v104, v7
	v_cmp_le_u32_e32 vcc, v105, v9
	s_waitcnt lgkmcnt(1)
	v_cndmask_b32_e32 v9, 0, v29, vcc
	s_waitcnt lgkmcnt(0)
	v_cndmask_b32_e32 v29, 0, v30, vcc
	v_add_u32_e32 v7, v7, v29
	v_add_u32_e32 v6, v6, v9
	v_mov_b32_e32 v29, 0
	s_branch .LBB443_110
.LBB443_109:                            ;   in Loop: Header=BB443_110 Depth=1
	s_or_b64 exec, exec, s[12:13]
	v_cmp_eq_u16_sdwa s[12:13], v8, v93 src0_sel:BYTE_0 src1_sel:DWORD
	v_and_b32_e32 v9, s13, v11
	ds_bpermute_b32 v33, v95, v6
	ds_bpermute_b32 v106, v95, v7
	v_or_b32_e32 v9, 0x80000000, v9
	v_and_b32_e32 v32, s12, v10
	v_ffbl_b32_e32 v9, v9
	v_add_u32_e32 v9, 32, v9
	v_ffbl_b32_e32 v32, v32
	v_min_u32_e32 v9, v32, v9
	s_waitcnt lgkmcnt(1)
	v_add_u32_e32 v32, v33, v6
	s_waitcnt lgkmcnt(0)
	v_add_u32_e32 v33, v106, v7
	v_cmp_lt_u32_e32 vcc, v94, v9
	v_cndmask_b32_e32 v7, v7, v33, vcc
	v_cndmask_b32_e32 v6, v6, v32, vcc
	ds_bpermute_b32 v32, v96, v6
	ds_bpermute_b32 v33, v96, v7
	v_cmp_gt_u32_e32 vcc, v97, v9
	v_subrev_u32_e32 v28, 64, v28
	s_waitcnt lgkmcnt(1)
	v_add_u32_e32 v32, v6, v32
	s_waitcnt lgkmcnt(0)
	v_add_u32_e32 v33, v7, v33
	v_cndmask_b32_e32 v7, v33, v7, vcc
	v_cndmask_b32_e32 v6, v32, v6, vcc
	ds_bpermute_b32 v32, v98, v6
	ds_bpermute_b32 v33, v98, v7
	v_cmp_gt_u32_e32 vcc, v99, v9
	s_waitcnt lgkmcnt(1)
	v_add_u32_e32 v32, v6, v32
	s_waitcnt lgkmcnt(0)
	v_add_u32_e32 v33, v7, v33
	v_cndmask_b32_e32 v7, v33, v7, vcc
	v_cndmask_b32_e32 v6, v32, v6, vcc
	ds_bpermute_b32 v32, v100, v6
	ds_bpermute_b32 v33, v100, v7
	v_cmp_gt_u32_e32 vcc, v101, v9
	;; [unrolled: 9-line block ×3, first 2 shown]
	s_waitcnt lgkmcnt(1)
	v_add_u32_e32 v32, v6, v32
	s_waitcnt lgkmcnt(0)
	v_add_u32_e32 v33, v7, v33
	v_cndmask_b32_e32 v7, v33, v7, vcc
	v_cndmask_b32_e32 v6, v32, v6, vcc
	ds_bpermute_b32 v32, v104, v6
	ds_bpermute_b32 v33, v104, v7
	v_cmp_le_u32_e32 vcc, v105, v9
	s_waitcnt lgkmcnt(1)
	v_cndmask_b32_e32 v9, 0, v32, vcc
	s_waitcnt lgkmcnt(0)
	v_cndmask_b32_e32 v32, 0, v33, vcc
	v_add3_u32 v7, v32, v31, v7
	v_add3_u32 v6, v9, v30, v6
.LBB443_110:                            ; =>This Loop Header: Depth=1
                                        ;     Child Loop BB443_113 Depth 2
                                        ;       Child Loop BB443_114 Depth 3
	v_cmp_ne_u16_sdwa s[12:13], v8, v93 src0_sel:BYTE_0 src1_sel:DWORD
	v_cndmask_b32_e64 v8, 0, 1, s[12:13]
	;;#ASMSTART
	;;#ASMEND
	v_cmp_ne_u32_e32 vcc, 0, v8
	s_cmp_lg_u64 vcc, exec
	v_pk_mov_b32 v[30:31], v[6:7], v[6:7] op_sel:[0,1]
	s_cbranch_scc1 .LBB443_117
; %bb.111:                              ;   in Loop: Header=BB443_110 Depth=1
	v_lshlrev_b64 v[6:7], 4, v[28:29]
	v_mov_b32_e32 v8, s51
	v_add_co_u32_e32 v32, vcc, s50, v6
	v_addc_co_u32_e32 v33, vcc, v8, v7, vcc
	;;#ASMSTART
	global_load_dwordx4 v[6:9], v[32:33] off glc	
s_waitcnt vmcnt(0)
	;;#ASMEND
	v_and_b32_e32 v9, 0xff, v7
	v_and_b32_e32 v106, 0xff00, v7
	v_or3_b32 v9, 0, v9, v106
	v_or3_b32 v6, v6, 0, 0
	v_and_b32_e32 v106, 0xff000000, v7
	v_and_b32_e32 v7, 0xff0000, v7
	v_or3_b32 v7, v9, v7, v106
	v_or3_b32 v6, v6, 0, 0
	v_cmp_eq_u16_sdwa s[14:15], v8, v29 src0_sel:BYTE_0 src1_sel:DWORD
	s_and_saveexec_b64 s[12:13], s[14:15]
	s_cbranch_execz .LBB443_109
; %bb.112:                              ;   in Loop: Header=BB443_110 Depth=1
	s_mov_b32 s17, 1
	s_mov_b64 s[14:15], 0
.LBB443_113:                            ;   Parent Loop BB443_110 Depth=1
                                        ; =>  This Loop Header: Depth=2
                                        ;       Child Loop BB443_114 Depth 3
	s_max_u32 s18, s17, 1
.LBB443_114:                            ;   Parent Loop BB443_110 Depth=1
                                        ;     Parent Loop BB443_113 Depth=2
                                        ; =>    This Inner Loop Header: Depth=3
	s_add_i32 s18, s18, -1
	s_cmp_eq_u32 s18, 0
	s_sleep 1
	s_cbranch_scc0 .LBB443_114
; %bb.115:                              ;   in Loop: Header=BB443_113 Depth=2
	s_cmp_lt_u32 s17, 32
	s_cselect_b64 s[18:19], -1, 0
	s_cmp_lg_u64 s[18:19], 0
	s_addc_u32 s17, s17, 0
	;;#ASMSTART
	global_load_dwordx4 v[6:9], v[32:33] off glc	
s_waitcnt vmcnt(0)
	;;#ASMEND
	v_cmp_ne_u16_sdwa s[18:19], v8, v29 src0_sel:BYTE_0 src1_sel:DWORD
	s_or_b64 s[14:15], s[18:19], s[14:15]
	s_andn2_b64 exec, exec, s[14:15]
	s_cbranch_execnz .LBB443_113
; %bb.116:                              ;   in Loop: Header=BB443_110 Depth=1
	s_or_b64 exec, exec, s[14:15]
	s_branch .LBB443_109
.LBB443_117:                            ;   in Loop: Header=BB443_110 Depth=1
                                        ; implicit-def: $vgpr8
                                        ; implicit-def: $vgpr6_vgpr7
	s_cbranch_execz .LBB443_110
; %bb.118:
	s_and_saveexec_b64 s[12:13], s[8:9]
	s_cbranch_execz .LBB443_120
; %bb.119:
	s_add_i32 s14, s33, 64
	s_mov_b32 s15, 0
	v_add_u32_e32 v7, v31, v27
	s_lshl_b64 s[14:15], s[14:15], 4
	s_add_u32 s14, s50, s14
	v_and_b32_e32 v8, 0xff000000, v7
	v_and_b32_e32 v10, 0xff0000, v7
	s_addc_u32 s15, s51, s15
	v_or_b32_e32 v8, v10, v8
	v_and_b32_e32 v10, 0xff00, v7
	v_and_b32_e32 v7, 0xff, v7
	v_add_u32_e32 v6, v30, v26
	v_mov_b32_e32 v9, 0
	v_or3_b32 v7, v8, v10, v7
	v_mov_b32_e32 v8, 2
	v_pk_mov_b32 v[10:11], s[14:15], s[14:15] op_sel:[0,1]
	;;#ASMSTART
	global_store_dwordx4 v[10:11], v[6:9] off	
s_waitcnt vmcnt(0)
	;;#ASMEND
	s_movk_i32 s14, 0x3400
	v_add_u32_e64 v6, s14, 0
	ds_write2_b32 v6, v26, v27 offset1:2
	ds_write2_b32 v6, v30, v31 offset0:4 offset1:6
.LBB443_120:
	s_or_b64 exec, exec, s[12:13]
	s_and_b64 exec, exec, s[0:1]
	s_cbranch_execz .LBB443_122
; %bb.121:
	v_mov_b32_e32 v6, 0
	ds_write_b64 v6, v[30:31] offset:24
.LBB443_122:
	s_or_b64 exec, exec, s[10:11]
	v_mov_b32_e32 v6, 0
	s_waitcnt lgkmcnt(0)
	s_barrier
	ds_read_b64 v[10:11], v6 offset:24
	v_cndmask_b32_e64 v25, v92, v25, s[8:9]
	v_cndmask_b32_e64 v1, v1, v24, s[8:9]
	s_movk_i32 s8, 0x3400
	s_waitcnt lgkmcnt(0)
	v_add_u32_e32 v24, v10, v1
	v_add_u32_e64 v1, s8, 0
	s_barrier
	ds_read2_b32 v[6:7], v1 offset1:2
	ds_read2_b32 v[8:9], v1 offset0:4 offset1:6
	v_add_u32_e32 v1, v11, v25
	v_cndmask_b32_e64 v1, v1, v11, s[0:1]
	v_cndmask_b32_e64 v10, v24, v10, s[0:1]
	s_branch .LBB443_133
.LBB443_123:
                                        ; implicit-def: $vgpr1
                                        ; implicit-def: $vgpr8
                                        ; implicit-def: $vgpr6
                                        ; implicit-def: $vgpr10_vgpr11
	s_cbranch_execz .LBB443_133
; %bb.124:
	s_nop 0
	v_mov_b32_dpp v1, v90 row_shr:1 row_mask:0xf bank_mask:0xf
	s_waitcnt lgkmcnt(1)
	v_mov_b32_dpp v6, v91 row_shr:1 row_mask:0xf bank_mask:0xf
	v_add_u32_e32 v1, v1, v90
	v_add_u32_e32 v6, v6, v91
	v_cndmask_b32_e64 v6, v6, v91, s[6:7]
	v_cndmask_b32_e64 v1, v1, v90, s[6:7]
	v_cmp_lt_u32_e32 vcc, 3, v89
	s_waitcnt lgkmcnt(0)
	v_mov_b32_dpp v8, v6 row_shr:2 row_mask:0xf bank_mask:0xf
	v_mov_b32_dpp v7, v1 row_shr:2 row_mask:0xf bank_mask:0xf
	v_add_u32_e32 v7, v1, v7
	v_add_u32_e32 v8, v6, v8
	v_cndmask_b32_e64 v6, v6, v8, s[4:5]
	v_cndmask_b32_e64 v1, v1, v7, s[4:5]
	s_nop 0
	v_mov_b32_dpp v8, v6 row_shr:4 row_mask:0xf bank_mask:0xf
	v_mov_b32_dpp v7, v1 row_shr:4 row_mask:0xf bank_mask:0xf
	v_add_u32_e32 v7, v1, v7
	v_add_u32_e32 v8, v6, v8
	v_cndmask_b32_e32 v6, v6, v8, vcc
	v_cndmask_b32_e32 v1, v1, v7, vcc
	v_cmp_lt_u32_e32 vcc, 7, v89
	v_mov_b32_dpp v8, v6 row_shr:8 row_mask:0xf bank_mask:0xf
	v_mov_b32_dpp v7, v1 row_shr:8 row_mask:0xf bank_mask:0xf
	v_add_u32_e32 v7, v1, v7
	v_add_u32_e32 v8, v6, v8
	v_cndmask_b32_e32 v6, v6, v8, vcc
	v_cndmask_b32_e32 v1, v1, v7, vcc
	v_cmp_eq_u32_e32 vcc, 0, v88
	v_mov_b32_dpp v8, v6 row_bcast:15 row_mask:0xf bank_mask:0xf
	v_mov_b32_dpp v7, v1 row_bcast:15 row_mask:0xf bank_mask:0xf
	v_add_u32_e32 v7, v1, v7
	v_add_u32_e32 v8, v6, v8
	v_cndmask_b32_e32 v6, v8, v6, vcc
	v_cndmask_b32_e32 v1, v7, v1, vcc
	v_cmp_lt_u32_e32 vcc, 31, v85
	v_mov_b32_dpp v8, v6 row_bcast:31 row_mask:0xf bank_mask:0xf
	v_mov_b32_dpp v7, v1 row_bcast:31 row_mask:0xf bank_mask:0xf
	v_add_u32_e32 v8, v6, v8
	v_add_u32_e32 v9, v1, v7
	v_cndmask_b32_e32 v7, v6, v8, vcc
	v_cndmask_b32_e32 v6, v1, v9, vcc
	v_cmp_eq_u32_e32 vcc, v87, v0
	s_and_saveexec_b64 s[4:5], vcc
	s_cbranch_execz .LBB443_126
; %bb.125:
	v_lshlrev_b32_e32 v1, 3, v86
	ds_write_b64 v1, v[6:7]
.LBB443_126:
	s_or_b64 exec, exec, s[4:5]
	v_cmp_gt_u32_e32 vcc, 4, v0
	s_waitcnt lgkmcnt(0)
	s_barrier
	s_and_saveexec_b64 s[4:5], vcc
	s_cbranch_execz .LBB443_128
; %bb.127:
	v_lshlrev_b32_e32 v1, 3, v0
	ds_read_b64 v[8:9], v1
	v_and_b32_e32 v10, 3, v85
	v_cmp_eq_u32_e32 vcc, 0, v10
	s_waitcnt lgkmcnt(0)
	v_mov_b32_dpp v11, v8 row_shr:1 row_mask:0xf bank_mask:0xf
	v_mov_b32_dpp v24, v9 row_shr:1 row_mask:0xf bank_mask:0xf
	v_add_u32_e32 v11, v11, v8
	v_add_u32_e32 v24, v24, v9
	v_cndmask_b32_e32 v9, v24, v9, vcc
	v_cndmask_b32_e32 v8, v11, v8, vcc
	v_cmp_lt_u32_e32 vcc, 1, v10
	v_mov_b32_dpp v24, v9 row_shr:2 row_mask:0xf bank_mask:0xf
	v_mov_b32_dpp v11, v8 row_shr:2 row_mask:0xf bank_mask:0xf
	v_cndmask_b32_e32 v10, 0, v11, vcc
	v_cndmask_b32_e32 v11, 0, v24, vcc
	v_add_u32_e32 v9, v11, v9
	v_add_u32_e32 v8, v10, v8
	ds_write_b64 v1, v[8:9]
.LBB443_128:
	s_or_b64 exec, exec, s[4:5]
	v_cmp_lt_u32_e32 vcc, 63, v0
	v_mov_b32_e32 v8, 0
	v_mov_b32_e32 v10, 0
	;; [unrolled: 1-line block ×3, first 2 shown]
	s_waitcnt lgkmcnt(0)
	s_barrier
	s_and_saveexec_b64 s[4:5], vcc
	s_cbranch_execz .LBB443_130
; %bb.129:
	v_lshl_add_u32 v1, v86, 3, -8
	ds_read_b64 v[10:11], v1
.LBB443_130:
	s_or_b64 exec, exec, s[4:5]
	s_waitcnt lgkmcnt(0)
	v_add_u32_e32 v9, v11, v7
	v_add_u32_e32 v1, v10, v6
	v_add_u32_e32 v6, -1, v85
	v_and_b32_e32 v7, 64, v85
	v_cmp_lt_i32_e32 vcc, v6, v7
	v_cndmask_b32_e32 v6, v6, v85, vcc
	v_lshlrev_b32_e32 v24, 2, v6
	ds_read_b64 v[6:7], v8 offset:24
	ds_bpermute_b32 v1, v24, v1
	ds_bpermute_b32 v24, v24, v9
	s_waitcnt lgkmcnt(2)
	v_readfirstlane_b32 s6, v7
	s_and_saveexec_b64 s[4:5], s[0:1]
	s_cbranch_execz .LBB443_132
; %bb.131:
	s_add_u32 s8, s50, 0x400
	s_mov_b32 s10, 0
	s_addc_u32 s9, s51, 0
	s_and_b32 s11, s6, 0xff000000
	s_and_b32 s13, s6, 0xff0000
	s_mov_b32 s12, s10
	s_or_b64 s[12:13], s[12:13], s[10:11]
	s_and_b32 s11, s6, 0xff00
	s_or_b64 s[12:13], s[12:13], s[10:11]
	s_and_b32 s11, s6, 0xff
	s_or_b64 s[10:11], s[12:13], s[10:11]
	v_mov_b32_e32 v7, s11
	v_mov_b32_e32 v8, 2
	;; [unrolled: 1-line block ×3, first 2 shown]
	v_pk_mov_b32 v[26:27], s[8:9], s[8:9] op_sel:[0,1]
	;;#ASMSTART
	global_store_dwordx4 v[26:27], v[6:9] off	
s_waitcnt vmcnt(0)
	;;#ASMEND
.LBB443_132:
	s_or_b64 exec, exec, s[4:5]
	v_cmp_eq_u32_e32 vcc, 0, v85
	s_waitcnt lgkmcnt(1)
	v_cndmask_b32_e32 v7, v1, v10, vcc
	s_waitcnt lgkmcnt(0)
	v_cndmask_b32_e32 v1, v24, v11, vcc
	v_mov_b32_e32 v8, 0
	v_cndmask_b32_e64 v1, v1, 0, s[0:1]
	v_cndmask_b32_e64 v10, v7, 0, s[0:1]
	s_barrier
	v_mov_b32_e32 v7, s6
	v_mov_b32_e32 v9, 0
.LBB443_133:
	v_add_u32_e32 v11, v10, v67
	v_add_u32_e32 v26, v1, v68
	;; [unrolled: 1-line block ×13, first 2 shown]
	s_waitcnt vmcnt(0) lgkmcnt(0)
	v_add_co_u32_e32 v2, vcc, v2, v8
	v_add_u32_e32 v68, v62, v74
	v_add_u32_e32 v64, v67, v64
	v_addc_co_u32_e32 v3, vcc, 0, v3, vcc
	v_add_u32_e32 v69, v68, v82
	v_add_u32_e32 v70, v64, v75
	v_sub_co_u32_e32 v24, vcc, v4, v6
	v_add_u32_e32 v71, v69, v76
	v_add_u32_e32 v65, v70, v65
	v_subbrev_co_u32_e32 v25, vcc, 0, v5, vcc
	v_lshlrev_b32_e32 v76, 1, v6
	v_sub_u32_e32 v1, v1, v9
	v_add_u32_e32 v73, v65, v77
	v_add_co_u32_e32 v24, vcc, v24, v9
	v_add_u32_e32 v77, v76, v7
	v_sub_u32_e32 v10, v10, v8
	v_add_u32_e32 v1, v1, v6
	v_addc_co_u32_e32 v25, vcc, 0, v25, vcc
	v_add_u32_e32 v36, v77, v36
	v_and_b32_e32 v38, 1, v38
	v_add_u32_e32 v77, v10, v1
	v_and_b32_e32 v37, 1, v37
	v_sub_u32_e32 v77, v36, v77
	v_cmp_eq_u32_e32 vcc, 1, v38
	v_cndmask_b32_e32 v1, v77, v1, vcc
	v_cmp_eq_u32_e32 vcc, 1, v37
	v_cndmask_b32_e32 v1, v1, v10, vcc
	v_lshlrev_b32_e32 v1, 2, v1
	ds_write_b32 v1, v22
	v_sub_u32_e32 v1, v11, v8
	v_sub_u32_e32 v11, v26, v9
	v_add_u32_e32 v11, v11, v6
	v_add_u32_e32 v26, v11, v1
	v_and_b32_e32 v22, 1, v40
	v_sub_u32_e32 v26, v36, v26
	v_and_b32_e32 v10, 1, v39
	v_add_u32_e32 v26, 1, v26
	v_cmp_eq_u32_e32 vcc, 1, v22
	v_cndmask_b32_e32 v11, v26, v11, vcc
	v_cmp_eq_u32_e32 vcc, 1, v10
	v_cndmask_b32_e32 v1, v11, v1, vcc
	v_lshlrev_b32_e32 v1, 2, v1
	v_sub_u32_e32 v11, v27, v9
	ds_write_b32 v1, v23
	v_sub_u32_e32 v1, v28, v8
	v_add_u32_e32 v11, v11, v6
	v_add_u32_e32 v23, v11, v1
	v_and_b32_e32 v22, 1, v42
	v_sub_u32_e32 v23, v36, v23
	v_and_b32_e32 v10, 1, v41
	v_add_u32_e32 v23, 2, v23
	v_cmp_eq_u32_e32 vcc, 1, v22
	v_cndmask_b32_e32 v11, v23, v11, vcc
	v_cmp_eq_u32_e32 vcc, 1, v10
	v_cndmask_b32_e32 v1, v11, v1, vcc
	v_lshlrev_b32_e32 v1, 2, v1
	v_sub_u32_e32 v11, v30, v9
	ds_write_b32 v1, v20
	;; [unrolled: 14-line block ×8, first 2 shown]
	v_sub_u32_e32 v1, v70, v8
	v_add_u32_e32 v11, v11, v6
	v_add_u32_e32 v16, v1, v11
	v_and_b32_e32 v14, 1, v55
	v_sub_u32_e32 v16, v36, v16
	v_and_b32_e32 v10, 1, v56
	v_add_u32_e32 v16, 9, v16
	v_cmp_eq_u32_e32 vcc, 1, v14
	v_cndmask_b32_e32 v11, v16, v11, vcc
	v_cmp_eq_u32_e32 vcc, 1, v10
	v_add_u32_e32 v72, v71, v83
	v_cndmask_b32_e32 v1, v11, v1, vcc
	v_lshlrev_b32_e32 v1, 2, v1
	v_sub_u32_e32 v11, v72, v9
	ds_write_b32 v1, v15
	v_sub_u32_e32 v1, v65, v8
	v_add_u32_e32 v11, v11, v6
	v_add_u32_e32 v15, v1, v11
	v_and_b32_e32 v14, 1, v57
	v_sub_u32_e32 v15, v36, v15
	v_and_b32_e32 v10, 1, v58
	v_add_u32_e32 v15, 10, v15
	v_cmp_eq_u32_e32 vcc, 1, v14
	v_cndmask_b32_e32 v11, v15, v11, vcc
	v_cmp_eq_u32_e32 vcc, 1, v10
	v_add_u32_e32 v74, v72, v78
	v_cndmask_b32_e32 v1, v11, v1, vcc
	v_lshlrev_b32_e32 v1, 2, v1
	v_sub_u32_e32 v11, v74, v9
	ds_write_b32 v1, v12
	v_sub_u32_e32 v1, v73, v8
	v_add_u32_e32 v11, v11, v6
	v_add_u32_e32 v14, v1, v11
	v_and_b32_e32 v12, 1, v59
	v_sub_u32_e32 v14, v36, v14
	v_and_b32_e32 v10, 1, v60
	v_add_u32_e32 v14, 11, v14
	v_cmp_eq_u32_e32 vcc, 1, v12
	v_cndmask_b32_e32 v11, v14, v11, vcc
	v_cmp_eq_u32_e32 vcc, 1, v10
	v_cndmask_b32_e32 v1, v11, v1, vcc
	v_add_u32_e32 v75, v74, v84
	v_add_u32_e32 v66, v73, v66
	v_lshlrev_b32_e32 v1, 2, v1
	ds_write_b32 v1, v13
	v_sub_u32_e32 v1, v66, v8
	v_sub_u32_e32 v8, v75, v9
	v_add_u32_e32 v8, v8, v6
	v_add_u32_e32 v10, v1, v8
	v_sub_u32_e32 v10, v36, v10
	v_add_u32_e32 v10, 12, v10
	v_cndmask_b32_e64 v8, v10, v8, s[54:55]
	v_cndmask_b32_e64 v1, v8, v1, s[52:53]
	v_lshlrev_b32_e32 v1, 2, v1
	ds_write_b32 v1, v35
	v_mov_b32_e32 v1, s49
	v_add_co_u32_e32 v8, vcc, s48, v34
	v_addc_co_u32_e32 v10, vcc, 0, v1, vcc
	v_add_co_u32_e32 v1, vcc, v7, v76
	v_addc_co_u32_e64 v11, s[4:5], 0, 0, vcc
	v_add_co_u32_e32 v1, vcc, v1, v24
	v_addc_co_u32_e32 v11, vcc, v11, v25, vcc
	v_add_co_u32_e32 v1, vcc, v1, v2
	v_addc_co_u32_e32 v11, vcc, v11, v3, vcc
	v_sub_co_u32_e32 v1, vcc, v8, v1
	v_subb_co_u32_e32 v8, vcc, v10, v11, vcc
	v_lshlrev_b64 v[10:11], 2, v[24:25]
	v_mov_b32_e32 v12, s47
	v_add_co_u32_e32 v10, vcc, s46, v10
	v_addc_co_u32_e32 v11, vcc, v12, v11, vcc
	v_lshlrev_b64 v[12:13], 2, v[2:3]
	v_mov_b32_e32 v15, s45
	v_add_co_u32_e32 v12, vcc, s44, v12
	s_add_u32 s8, s34, -4
	v_addc_co_u32_e32 v13, vcc, v15, v13, vcc
	s_addc_u32 s9, s35, -1
	v_add_u32_e32 v14, v6, v7
	s_and_b64 vcc, exec, s[2:3]
	s_mov_b64 s[2:3], -1
	s_waitcnt lgkmcnt(0)
	s_barrier
	s_cbranch_vccz .LBB443_137
; %bb.134:
	s_and_b64 vcc, exec, s[2:3]
	s_cbranch_vccnz .LBB443_242
.LBB443_135:
	s_and_b64 s[0:1], s[0:1], s[30:31]
	s_and_saveexec_b64 s[2:3], s[0:1]
	s_cbranch_execnz .LBB443_360
.LBB443_136:
	s_endpgm
.LBB443_137:
	v_cmp_le_u32_e32 vcc, v6, v0
	s_and_saveexec_b64 s[2:3], vcc
	s_xor_b64 s[2:3], exec, s[2:3]
	s_cbranch_execz .LBB443_143
; %bb.138:
	v_cmp_le_u32_e32 vcc, v14, v0
	s_and_saveexec_b64 s[4:5], vcc
	s_xor_b64 s[4:5], exec, s[4:5]
	s_cbranch_execz .LBB443_140
; %bb.139:
	v_lshlrev_b32_e32 v15, 2, v0
	v_add_co_u32_e32 v16, vcc, v1, v0
	ds_read_b32 v15, v15
	v_addc_co_u32_e32 v17, vcc, 0, v8, vcc
	v_lshlrev_b64 v[16:17], 2, v[16:17]
	v_mov_b32_e32 v18, s35
	v_sub_co_u32_e32 v16, vcc, s34, v16
	v_subb_co_u32_e32 v17, vcc, v18, v17, vcc
	s_waitcnt lgkmcnt(0)
	global_store_dword v[16:17], v15, off offset:-4
.LBB443_140:
	s_andn2_saveexec_b64 s[4:5], s[4:5]
	s_cbranch_execz .LBB443_142
; %bb.141:
	v_lshlrev_b32_e32 v15, 2, v0
	ds_read_b32 v16, v15
	v_readfirstlane_b32 s6, v10
	v_readfirstlane_b32 s7, v11
	s_waitcnt lgkmcnt(0)
	s_nop 3
	global_store_dword v15, v16, s[6:7]
.LBB443_142:
	s_or_b64 exec, exec, s[4:5]
.LBB443_143:
	s_andn2_saveexec_b64 s[2:3], s[2:3]
	s_cbranch_execz .LBB443_145
; %bb.144:
	v_lshlrev_b32_e32 v15, 2, v0
	ds_read_b32 v16, v15
	v_readfirstlane_b32 s4, v12
	v_readfirstlane_b32 s5, v13
	s_waitcnt lgkmcnt(0)
	s_nop 3
	global_store_dword v15, v16, s[4:5]
.LBB443_145:
	s_or_b64 exec, exec, s[2:3]
	v_or_b32_e32 v15, 0x100, v0
	v_cmp_le_u32_e32 vcc, v6, v15
	s_and_saveexec_b64 s[2:3], vcc
	s_xor_b64 s[2:3], exec, s[2:3]
	s_cbranch_execz .LBB443_151
; %bb.146:
	v_cmp_le_u32_e32 vcc, v14, v15
	s_and_saveexec_b64 s[4:5], vcc
	s_xor_b64 s[4:5], exec, s[4:5]
	s_cbranch_execz .LBB443_148
; %bb.147:
	v_lshlrev_b32_e32 v15, 2, v0
	ds_read_b32 v15, v15 offset:1024
	v_add_co_u32_e32 v16, vcc, v1, v0
	v_addc_co_u32_e32 v17, vcc, 0, v8, vcc
	v_lshlrev_b64 v[16:17], 2, v[16:17]
	v_mov_b32_e32 v18, s9
	v_sub_co_u32_e32 v16, vcc, s8, v16
	v_subb_co_u32_e32 v17, vcc, v18, v17, vcc
	s_waitcnt lgkmcnt(0)
	global_store_dword v[16:17], v15, off offset:-1024
.LBB443_148:
	s_andn2_saveexec_b64 s[4:5], s[4:5]
	s_cbranch_execz .LBB443_150
; %bb.149:
	v_lshlrev_b32_e32 v15, 2, v0
	ds_read_b32 v16, v15 offset:1024
	v_readfirstlane_b32 s6, v10
	v_readfirstlane_b32 s7, v11
	s_waitcnt lgkmcnt(0)
	s_nop 3
	global_store_dword v15, v16, s[6:7] offset:1024
.LBB443_150:
	s_or_b64 exec, exec, s[4:5]
.LBB443_151:
	s_andn2_saveexec_b64 s[2:3], s[2:3]
	s_cbranch_execz .LBB443_153
; %bb.152:
	v_lshlrev_b32_e32 v15, 2, v0
	ds_read_b32 v16, v15 offset:1024
	v_readfirstlane_b32 s4, v12
	v_readfirstlane_b32 s5, v13
	s_waitcnt lgkmcnt(0)
	s_nop 3
	global_store_dword v15, v16, s[4:5] offset:1024
.LBB443_153:
	s_or_b64 exec, exec, s[2:3]
	v_or_b32_e32 v15, 0x200, v0
	v_cmp_le_u32_e32 vcc, v6, v15
	s_and_saveexec_b64 s[2:3], vcc
	s_xor_b64 s[2:3], exec, s[2:3]
	s_cbranch_execz .LBB443_159
; %bb.154:
	v_cmp_le_u32_e32 vcc, v14, v15
	s_and_saveexec_b64 s[4:5], vcc
	s_xor_b64 s[4:5], exec, s[4:5]
	s_cbranch_execz .LBB443_156
; %bb.155:
	v_lshlrev_b32_e32 v15, 2, v0
	ds_read_b32 v15, v15 offset:2048
	v_add_co_u32_e32 v16, vcc, v1, v0
	v_addc_co_u32_e32 v17, vcc, 0, v8, vcc
	v_lshlrev_b64 v[16:17], 2, v[16:17]
	v_mov_b32_e32 v18, s9
	v_sub_co_u32_e32 v16, vcc, s8, v16
	v_subb_co_u32_e32 v17, vcc, v18, v17, vcc
	s_waitcnt lgkmcnt(0)
	global_store_dword v[16:17], v15, off offset:-2048
.LBB443_156:
	s_andn2_saveexec_b64 s[4:5], s[4:5]
	s_cbranch_execz .LBB443_158
; %bb.157:
	v_lshlrev_b32_e32 v15, 2, v0
	ds_read_b32 v16, v15 offset:2048
	v_readfirstlane_b32 s6, v10
	v_readfirstlane_b32 s7, v11
	s_waitcnt lgkmcnt(0)
	s_nop 3
	global_store_dword v15, v16, s[6:7] offset:2048
.LBB443_158:
	s_or_b64 exec, exec, s[4:5]
.LBB443_159:
	s_andn2_saveexec_b64 s[2:3], s[2:3]
	s_cbranch_execz .LBB443_161
; %bb.160:
	v_lshlrev_b32_e32 v15, 2, v0
	ds_read_b32 v16, v15 offset:2048
	v_readfirstlane_b32 s4, v12
	v_readfirstlane_b32 s5, v13
	s_waitcnt lgkmcnt(0)
	s_nop 3
	global_store_dword v15, v16, s[4:5] offset:2048
.LBB443_161:
	;; [unrolled: 47-line block ×3, first 2 shown]
	s_or_b64 exec, exec, s[2:3]
	v_or_b32_e32 v15, 0x400, v0
	v_cmp_le_u32_e32 vcc, v6, v15
	s_and_saveexec_b64 s[2:3], vcc
	s_xor_b64 s[2:3], exec, s[2:3]
	s_cbranch_execz .LBB443_175
; %bb.170:
	v_cmp_le_u32_e32 vcc, v14, v15
	s_and_saveexec_b64 s[4:5], vcc
	s_xor_b64 s[4:5], exec, s[4:5]
	s_cbranch_execz .LBB443_172
; %bb.171:
	v_lshlrev_b32_e32 v15, 2, v0
	ds_read_b32 v15, v15 offset:4096
	v_add_co_u32_e32 v16, vcc, v1, v0
	v_addc_co_u32_e32 v17, vcc, 0, v8, vcc
	v_lshlrev_b64 v[16:17], 2, v[16:17]
	v_mov_b32_e32 v18, s9
	v_sub_co_u32_e32 v16, vcc, s8, v16
	v_subb_co_u32_e32 v17, vcc, v18, v17, vcc
	s_waitcnt lgkmcnt(0)
	global_store_dword v[16:17], v15, off offset:-4096
                                        ; implicit-def: $vgpr15
.LBB443_172:
	s_andn2_saveexec_b64 s[4:5], s[4:5]
	s_cbranch_execz .LBB443_174
; %bb.173:
	v_lshlrev_b32_e32 v16, 2, v0
	ds_read_b32 v16, v16 offset:4096
	v_lshlrev_b32_e32 v15, 2, v15
	v_readfirstlane_b32 s6, v10
	v_readfirstlane_b32 s7, v11
	s_waitcnt lgkmcnt(0)
	s_nop 3
	global_store_dword v15, v16, s[6:7]
.LBB443_174:
	s_or_b64 exec, exec, s[4:5]
                                        ; implicit-def: $vgpr15
.LBB443_175:
	s_andn2_saveexec_b64 s[2:3], s[2:3]
	s_cbranch_execz .LBB443_177
; %bb.176:
	v_lshlrev_b32_e32 v16, 2, v0
	ds_read_b32 v16, v16 offset:4096
	v_lshlrev_b32_e32 v15, 2, v15
	v_readfirstlane_b32 s4, v12
	v_readfirstlane_b32 s5, v13
	s_waitcnt lgkmcnt(0)
	s_nop 3
	global_store_dword v15, v16, s[4:5]
.LBB443_177:
	s_or_b64 exec, exec, s[2:3]
	v_or_b32_e32 v15, 0x500, v0
	v_cmp_le_u32_e32 vcc, v6, v15
	s_and_saveexec_b64 s[2:3], vcc
	s_xor_b64 s[2:3], exec, s[2:3]
	s_cbranch_execz .LBB443_183
; %bb.178:
	v_cmp_le_u32_e32 vcc, v14, v15
	s_and_saveexec_b64 s[4:5], vcc
	s_xor_b64 s[4:5], exec, s[4:5]
	s_cbranch_execz .LBB443_180
; %bb.179:
	v_add_co_u32_e32 v16, vcc, v1, v15
	v_lshlrev_b32_e32 v15, 2, v0
	ds_read_b32 v15, v15 offset:5120
	v_addc_co_u32_e32 v17, vcc, 0, v8, vcc
	v_lshlrev_b64 v[16:17], 2, v[16:17]
	v_mov_b32_e32 v18, s9
	v_sub_co_u32_e32 v16, vcc, s8, v16
	v_subb_co_u32_e32 v17, vcc, v18, v17, vcc
	s_waitcnt lgkmcnt(0)
	global_store_dword v[16:17], v15, off
                                        ; implicit-def: $vgpr15
.LBB443_180:
	s_andn2_saveexec_b64 s[4:5], s[4:5]
	s_cbranch_execz .LBB443_182
; %bb.181:
	v_lshlrev_b32_e32 v16, 2, v0
	ds_read_b32 v16, v16 offset:5120
	v_lshlrev_b32_e32 v15, 2, v15
	v_readfirstlane_b32 s6, v10
	v_readfirstlane_b32 s7, v11
	s_waitcnt lgkmcnt(0)
	s_nop 3
	global_store_dword v15, v16, s[6:7]
.LBB443_182:
	s_or_b64 exec, exec, s[4:5]
                                        ; implicit-def: $vgpr15
.LBB443_183:
	s_andn2_saveexec_b64 s[2:3], s[2:3]
	s_cbranch_execz .LBB443_185
; %bb.184:
	v_lshlrev_b32_e32 v16, 2, v0
	ds_read_b32 v16, v16 offset:5120
	v_lshlrev_b32_e32 v15, 2, v15
	v_readfirstlane_b32 s4, v12
	v_readfirstlane_b32 s5, v13
	s_waitcnt lgkmcnt(0)
	s_nop 3
	global_store_dword v15, v16, s[4:5]
.LBB443_185:
	s_or_b64 exec, exec, s[2:3]
	v_or_b32_e32 v15, 0x600, v0
	v_cmp_le_u32_e32 vcc, v6, v15
	s_and_saveexec_b64 s[2:3], vcc
	s_xor_b64 s[2:3], exec, s[2:3]
	s_cbranch_execz .LBB443_191
; %bb.186:
	v_cmp_le_u32_e32 vcc, v14, v15
	s_and_saveexec_b64 s[4:5], vcc
	s_xor_b64 s[4:5], exec, s[4:5]
	s_cbranch_execz .LBB443_188
; %bb.187:
	v_add_co_u32_e32 v16, vcc, v1, v15
	v_lshlrev_b32_e32 v15, 2, v0
	ds_read_b32 v15, v15 offset:6144
	v_addc_co_u32_e32 v17, vcc, 0, v8, vcc
	v_lshlrev_b64 v[16:17], 2, v[16:17]
	v_mov_b32_e32 v18, s9
	v_sub_co_u32_e32 v16, vcc, s8, v16
	v_subb_co_u32_e32 v17, vcc, v18, v17, vcc
	s_waitcnt lgkmcnt(0)
	global_store_dword v[16:17], v15, off
                                        ; implicit-def: $vgpr15
.LBB443_188:
	s_andn2_saveexec_b64 s[4:5], s[4:5]
	s_cbranch_execz .LBB443_190
; %bb.189:
	v_lshlrev_b32_e32 v16, 2, v0
	ds_read_b32 v16, v16 offset:6144
	v_lshlrev_b32_e32 v15, 2, v15
	v_readfirstlane_b32 s6, v10
	v_readfirstlane_b32 s7, v11
	s_waitcnt lgkmcnt(0)
	s_nop 3
	global_store_dword v15, v16, s[6:7]
.LBB443_190:
	s_or_b64 exec, exec, s[4:5]
                                        ; implicit-def: $vgpr15
.LBB443_191:
	s_andn2_saveexec_b64 s[2:3], s[2:3]
	s_cbranch_execz .LBB443_193
; %bb.192:
	v_lshlrev_b32_e32 v16, 2, v0
	ds_read_b32 v16, v16 offset:6144
	v_lshlrev_b32_e32 v15, 2, v15
	v_readfirstlane_b32 s4, v12
	v_readfirstlane_b32 s5, v13
	s_waitcnt lgkmcnt(0)
	s_nop 3
	global_store_dword v15, v16, s[4:5]
.LBB443_193:
	s_or_b64 exec, exec, s[2:3]
	v_or_b32_e32 v15, 0x700, v0
	v_cmp_le_u32_e32 vcc, v6, v15
	s_and_saveexec_b64 s[2:3], vcc
	s_xor_b64 s[2:3], exec, s[2:3]
	s_cbranch_execz .LBB443_199
; %bb.194:
	v_cmp_le_u32_e32 vcc, v14, v15
	s_and_saveexec_b64 s[4:5], vcc
	s_xor_b64 s[4:5], exec, s[4:5]
	s_cbranch_execz .LBB443_196
; %bb.195:
	v_add_co_u32_e32 v16, vcc, v1, v15
	v_lshlrev_b32_e32 v15, 2, v0
	ds_read_b32 v15, v15 offset:7168
	v_addc_co_u32_e32 v17, vcc, 0, v8, vcc
	v_lshlrev_b64 v[16:17], 2, v[16:17]
	v_mov_b32_e32 v18, s9
	v_sub_co_u32_e32 v16, vcc, s8, v16
	v_subb_co_u32_e32 v17, vcc, v18, v17, vcc
	s_waitcnt lgkmcnt(0)
	global_store_dword v[16:17], v15, off
                                        ; implicit-def: $vgpr15
.LBB443_196:
	s_andn2_saveexec_b64 s[4:5], s[4:5]
	s_cbranch_execz .LBB443_198
; %bb.197:
	v_lshlrev_b32_e32 v16, 2, v0
	ds_read_b32 v16, v16 offset:7168
	v_lshlrev_b32_e32 v15, 2, v15
	v_readfirstlane_b32 s6, v10
	v_readfirstlane_b32 s7, v11
	s_waitcnt lgkmcnt(0)
	s_nop 3
	global_store_dword v15, v16, s[6:7]
.LBB443_198:
	s_or_b64 exec, exec, s[4:5]
                                        ; implicit-def: $vgpr15
.LBB443_199:
	s_andn2_saveexec_b64 s[2:3], s[2:3]
	s_cbranch_execz .LBB443_201
; %bb.200:
	v_lshlrev_b32_e32 v16, 2, v0
	ds_read_b32 v16, v16 offset:7168
	v_lshlrev_b32_e32 v15, 2, v15
	v_readfirstlane_b32 s4, v12
	v_readfirstlane_b32 s5, v13
	s_waitcnt lgkmcnt(0)
	s_nop 3
	global_store_dword v15, v16, s[4:5]
.LBB443_201:
	s_or_b64 exec, exec, s[2:3]
	v_or_b32_e32 v15, 0x800, v0
	v_cmp_le_u32_e32 vcc, v6, v15
	s_and_saveexec_b64 s[2:3], vcc
	s_xor_b64 s[2:3], exec, s[2:3]
	s_cbranch_execz .LBB443_207
; %bb.202:
	v_cmp_le_u32_e32 vcc, v14, v15
	s_and_saveexec_b64 s[4:5], vcc
	s_xor_b64 s[4:5], exec, s[4:5]
	s_cbranch_execz .LBB443_204
; %bb.203:
	v_add_co_u32_e32 v16, vcc, v1, v15
	v_lshlrev_b32_e32 v15, 2, v0
	ds_read_b32 v15, v15 offset:8192
	v_addc_co_u32_e32 v17, vcc, 0, v8, vcc
	v_lshlrev_b64 v[16:17], 2, v[16:17]
	v_mov_b32_e32 v18, s9
	v_sub_co_u32_e32 v16, vcc, s8, v16
	v_subb_co_u32_e32 v17, vcc, v18, v17, vcc
	s_waitcnt lgkmcnt(0)
	global_store_dword v[16:17], v15, off
                                        ; implicit-def: $vgpr15
.LBB443_204:
	s_andn2_saveexec_b64 s[4:5], s[4:5]
	s_cbranch_execz .LBB443_206
; %bb.205:
	v_lshlrev_b32_e32 v16, 2, v0
	ds_read_b32 v16, v16 offset:8192
	v_lshlrev_b32_e32 v15, 2, v15
	v_readfirstlane_b32 s6, v10
	v_readfirstlane_b32 s7, v11
	s_waitcnt lgkmcnt(0)
	s_nop 3
	global_store_dword v15, v16, s[6:7]
.LBB443_206:
	s_or_b64 exec, exec, s[4:5]
                                        ; implicit-def: $vgpr15
.LBB443_207:
	s_andn2_saveexec_b64 s[2:3], s[2:3]
	s_cbranch_execz .LBB443_209
; %bb.208:
	v_lshlrev_b32_e32 v16, 2, v0
	ds_read_b32 v16, v16 offset:8192
	v_lshlrev_b32_e32 v15, 2, v15
	v_readfirstlane_b32 s4, v12
	v_readfirstlane_b32 s5, v13
	s_waitcnt lgkmcnt(0)
	s_nop 3
	global_store_dword v15, v16, s[4:5]
.LBB443_209:
	s_or_b64 exec, exec, s[2:3]
	v_or_b32_e32 v15, 0x900, v0
	v_cmp_le_u32_e32 vcc, v6, v15
	s_and_saveexec_b64 s[2:3], vcc
	s_xor_b64 s[2:3], exec, s[2:3]
	s_cbranch_execz .LBB443_215
; %bb.210:
	v_cmp_le_u32_e32 vcc, v14, v15
	s_and_saveexec_b64 s[4:5], vcc
	s_xor_b64 s[4:5], exec, s[4:5]
	s_cbranch_execz .LBB443_212
; %bb.211:
	v_add_co_u32_e32 v16, vcc, v1, v15
	v_lshlrev_b32_e32 v15, 2, v0
	ds_read_b32 v15, v15 offset:9216
	v_addc_co_u32_e32 v17, vcc, 0, v8, vcc
	v_lshlrev_b64 v[16:17], 2, v[16:17]
	v_mov_b32_e32 v18, s9
	v_sub_co_u32_e32 v16, vcc, s8, v16
	v_subb_co_u32_e32 v17, vcc, v18, v17, vcc
	s_waitcnt lgkmcnt(0)
	global_store_dword v[16:17], v15, off
                                        ; implicit-def: $vgpr15
.LBB443_212:
	s_andn2_saveexec_b64 s[4:5], s[4:5]
	s_cbranch_execz .LBB443_214
; %bb.213:
	v_lshlrev_b32_e32 v16, 2, v0
	ds_read_b32 v16, v16 offset:9216
	v_lshlrev_b32_e32 v15, 2, v15
	v_readfirstlane_b32 s6, v10
	v_readfirstlane_b32 s7, v11
	s_waitcnt lgkmcnt(0)
	s_nop 3
	global_store_dword v15, v16, s[6:7]
.LBB443_214:
	s_or_b64 exec, exec, s[4:5]
                                        ; implicit-def: $vgpr15
.LBB443_215:
	s_andn2_saveexec_b64 s[2:3], s[2:3]
	s_cbranch_execz .LBB443_217
; %bb.216:
	v_lshlrev_b32_e32 v16, 2, v0
	ds_read_b32 v16, v16 offset:9216
	v_lshlrev_b32_e32 v15, 2, v15
	v_readfirstlane_b32 s4, v12
	v_readfirstlane_b32 s5, v13
	s_waitcnt lgkmcnt(0)
	s_nop 3
	global_store_dword v15, v16, s[4:5]
.LBB443_217:
	s_or_b64 exec, exec, s[2:3]
	v_or_b32_e32 v15, 0xa00, v0
	v_cmp_le_u32_e32 vcc, v6, v15
	s_and_saveexec_b64 s[2:3], vcc
	s_xor_b64 s[2:3], exec, s[2:3]
	s_cbranch_execz .LBB443_223
; %bb.218:
	v_cmp_le_u32_e32 vcc, v14, v15
	s_and_saveexec_b64 s[4:5], vcc
	s_xor_b64 s[4:5], exec, s[4:5]
	s_cbranch_execz .LBB443_220
; %bb.219:
	v_add_co_u32_e32 v16, vcc, v1, v15
	v_lshlrev_b32_e32 v15, 2, v0
	ds_read_b32 v15, v15 offset:10240
	v_addc_co_u32_e32 v17, vcc, 0, v8, vcc
	v_lshlrev_b64 v[16:17], 2, v[16:17]
	v_mov_b32_e32 v18, s9
	v_sub_co_u32_e32 v16, vcc, s8, v16
	v_subb_co_u32_e32 v17, vcc, v18, v17, vcc
	s_waitcnt lgkmcnt(0)
	global_store_dword v[16:17], v15, off
                                        ; implicit-def: $vgpr15
.LBB443_220:
	s_andn2_saveexec_b64 s[4:5], s[4:5]
	s_cbranch_execz .LBB443_222
; %bb.221:
	v_lshlrev_b32_e32 v16, 2, v0
	ds_read_b32 v16, v16 offset:10240
	v_lshlrev_b32_e32 v15, 2, v15
	v_readfirstlane_b32 s6, v10
	v_readfirstlane_b32 s7, v11
	s_waitcnt lgkmcnt(0)
	s_nop 3
	global_store_dword v15, v16, s[6:7]
.LBB443_222:
	s_or_b64 exec, exec, s[4:5]
                                        ; implicit-def: $vgpr15
.LBB443_223:
	s_andn2_saveexec_b64 s[2:3], s[2:3]
	s_cbranch_execz .LBB443_225
; %bb.224:
	v_lshlrev_b32_e32 v16, 2, v0
	ds_read_b32 v16, v16 offset:10240
	v_lshlrev_b32_e32 v15, 2, v15
	v_readfirstlane_b32 s4, v12
	v_readfirstlane_b32 s5, v13
	s_waitcnt lgkmcnt(0)
	s_nop 3
	global_store_dword v15, v16, s[4:5]
.LBB443_225:
	s_or_b64 exec, exec, s[2:3]
	v_or_b32_e32 v15, 0xb00, v0
	v_cmp_le_u32_e32 vcc, v6, v15
	s_and_saveexec_b64 s[2:3], vcc
	s_xor_b64 s[2:3], exec, s[2:3]
	s_cbranch_execz .LBB443_231
; %bb.226:
	v_cmp_le_u32_e32 vcc, v14, v15
	s_and_saveexec_b64 s[4:5], vcc
	s_xor_b64 s[4:5], exec, s[4:5]
	s_cbranch_execz .LBB443_228
; %bb.227:
	v_add_co_u32_e32 v16, vcc, v1, v15
	v_lshlrev_b32_e32 v15, 2, v0
	ds_read_b32 v15, v15 offset:11264
	v_addc_co_u32_e32 v17, vcc, 0, v8, vcc
	v_lshlrev_b64 v[16:17], 2, v[16:17]
	v_mov_b32_e32 v18, s9
	v_sub_co_u32_e32 v16, vcc, s8, v16
	v_subb_co_u32_e32 v17, vcc, v18, v17, vcc
	s_waitcnt lgkmcnt(0)
	global_store_dword v[16:17], v15, off
                                        ; implicit-def: $vgpr15
.LBB443_228:
	s_andn2_saveexec_b64 s[4:5], s[4:5]
	s_cbranch_execz .LBB443_230
; %bb.229:
	v_lshlrev_b32_e32 v16, 2, v0
	ds_read_b32 v16, v16 offset:11264
	v_lshlrev_b32_e32 v15, 2, v15
	v_readfirstlane_b32 s6, v10
	v_readfirstlane_b32 s7, v11
	s_waitcnt lgkmcnt(0)
	s_nop 3
	global_store_dword v15, v16, s[6:7]
.LBB443_230:
	s_or_b64 exec, exec, s[4:5]
                                        ; implicit-def: $vgpr15
.LBB443_231:
	s_andn2_saveexec_b64 s[2:3], s[2:3]
	s_cbranch_execz .LBB443_233
; %bb.232:
	v_lshlrev_b32_e32 v16, 2, v0
	ds_read_b32 v16, v16 offset:11264
	v_lshlrev_b32_e32 v15, 2, v15
	v_readfirstlane_b32 s4, v12
	v_readfirstlane_b32 s5, v13
	s_waitcnt lgkmcnt(0)
	s_nop 3
	global_store_dword v15, v16, s[4:5]
.LBB443_233:
	s_or_b64 exec, exec, s[2:3]
	v_or_b32_e32 v15, 0xc00, v0
	v_cmp_le_u32_e32 vcc, v6, v15
	s_and_saveexec_b64 s[2:3], vcc
	s_xor_b64 s[2:3], exec, s[2:3]
	s_cbranch_execz .LBB443_239
; %bb.234:
	v_cmp_le_u32_e32 vcc, v14, v15
	s_and_saveexec_b64 s[4:5], vcc
	s_xor_b64 s[4:5], exec, s[4:5]
	s_cbranch_execz .LBB443_236
; %bb.235:
	v_add_co_u32_e32 v16, vcc, v1, v15
	v_lshlrev_b32_e32 v15, 2, v0
	ds_read_b32 v15, v15 offset:12288
	v_addc_co_u32_e32 v17, vcc, 0, v8, vcc
	v_lshlrev_b64 v[16:17], 2, v[16:17]
	v_mov_b32_e32 v18, s9
	v_sub_co_u32_e32 v16, vcc, s8, v16
	v_subb_co_u32_e32 v17, vcc, v18, v17, vcc
	s_waitcnt lgkmcnt(0)
	global_store_dword v[16:17], v15, off
                                        ; implicit-def: $vgpr15
.LBB443_236:
	s_andn2_saveexec_b64 s[4:5], s[4:5]
	s_cbranch_execz .LBB443_238
; %bb.237:
	v_lshlrev_b32_e32 v16, 2, v0
	ds_read_b32 v16, v16 offset:12288
	v_lshlrev_b32_e32 v15, 2, v15
	v_readfirstlane_b32 s6, v10
	v_readfirstlane_b32 s7, v11
	s_waitcnt lgkmcnt(0)
	s_nop 3
	global_store_dword v15, v16, s[6:7]
.LBB443_238:
	s_or_b64 exec, exec, s[4:5]
                                        ; implicit-def: $vgpr15
.LBB443_239:
	s_andn2_saveexec_b64 s[2:3], s[2:3]
	s_cbranch_execz .LBB443_241
; %bb.240:
	v_lshlrev_b32_e32 v16, 2, v0
	ds_read_b32 v16, v16 offset:12288
	v_lshlrev_b32_e32 v15, 2, v15
	v_readfirstlane_b32 s4, v12
	v_readfirstlane_b32 s5, v13
	s_waitcnt lgkmcnt(0)
	s_nop 3
	global_store_dword v15, v16, s[4:5]
.LBB443_241:
	s_or_b64 exec, exec, s[2:3]
	s_branch .LBB443_135
.LBB443_242:
	v_cmp_gt_u32_e32 vcc, s16, v0
	s_and_saveexec_b64 s[2:3], vcc
	s_cbranch_execz .LBB443_251
; %bb.243:
	v_cmp_le_u32_e32 vcc, v6, v0
	s_and_saveexec_b64 s[4:5], vcc
	s_xor_b64 s[4:5], exec, s[4:5]
	s_cbranch_execz .LBB443_249
; %bb.244:
	v_cmp_le_u32_e32 vcc, v14, v0
	s_and_saveexec_b64 s[6:7], vcc
	s_xor_b64 s[6:7], exec, s[6:7]
	s_cbranch_execz .LBB443_246
; %bb.245:
	v_lshlrev_b32_e32 v15, 2, v0
	v_add_co_u32_e32 v16, vcc, v1, v0
	ds_read_b32 v15, v15
	v_addc_co_u32_e32 v17, vcc, 0, v8, vcc
	v_lshlrev_b64 v[16:17], 2, v[16:17]
	v_mov_b32_e32 v18, s35
	v_sub_co_u32_e32 v16, vcc, s34, v16
	v_subb_co_u32_e32 v17, vcc, v18, v17, vcc
	s_waitcnt lgkmcnt(0)
	global_store_dword v[16:17], v15, off offset:-4
.LBB443_246:
	s_andn2_saveexec_b64 s[6:7], s[6:7]
	s_cbranch_execz .LBB443_248
; %bb.247:
	v_lshlrev_b32_e32 v15, 2, v0
	ds_read_b32 v16, v15
	v_readfirstlane_b32 s10, v10
	v_readfirstlane_b32 s11, v11
	s_waitcnt lgkmcnt(0)
	s_nop 3
	global_store_dword v15, v16, s[10:11]
.LBB443_248:
	s_or_b64 exec, exec, s[6:7]
.LBB443_249:
	s_andn2_saveexec_b64 s[4:5], s[4:5]
	s_cbranch_execz .LBB443_251
; %bb.250:
	v_lshlrev_b32_e32 v15, 2, v0
	ds_read_b32 v16, v15
	v_readfirstlane_b32 s4, v12
	v_readfirstlane_b32 s5, v13
	s_waitcnt lgkmcnt(0)
	s_nop 3
	global_store_dword v15, v16, s[4:5]
.LBB443_251:
	s_or_b64 exec, exec, s[2:3]
	v_or_b32_e32 v15, 0x100, v0
	v_cmp_gt_u32_e32 vcc, s16, v15
	s_and_saveexec_b64 s[2:3], vcc
	s_cbranch_execz .LBB443_260
; %bb.252:
	v_cmp_le_u32_e32 vcc, v6, v15
	s_and_saveexec_b64 s[4:5], vcc
	s_xor_b64 s[4:5], exec, s[4:5]
	s_cbranch_execz .LBB443_258
; %bb.253:
	v_cmp_le_u32_e32 vcc, v14, v15
	s_and_saveexec_b64 s[6:7], vcc
	s_xor_b64 s[6:7], exec, s[6:7]
	s_cbranch_execz .LBB443_255
; %bb.254:
	v_lshlrev_b32_e32 v15, 2, v0
	ds_read_b32 v15, v15 offset:1024
	v_add_co_u32_e32 v16, vcc, v1, v0
	v_addc_co_u32_e32 v17, vcc, 0, v8, vcc
	v_lshlrev_b64 v[16:17], 2, v[16:17]
	v_mov_b32_e32 v18, s9
	v_sub_co_u32_e32 v16, vcc, s8, v16
	v_subb_co_u32_e32 v17, vcc, v18, v17, vcc
	s_waitcnt lgkmcnt(0)
	global_store_dword v[16:17], v15, off offset:-1024
.LBB443_255:
	s_andn2_saveexec_b64 s[6:7], s[6:7]
	s_cbranch_execz .LBB443_257
; %bb.256:
	v_lshlrev_b32_e32 v15, 2, v0
	ds_read_b32 v16, v15 offset:1024
	v_readfirstlane_b32 s10, v10
	v_readfirstlane_b32 s11, v11
	s_waitcnt lgkmcnt(0)
	s_nop 3
	global_store_dword v15, v16, s[10:11] offset:1024
.LBB443_257:
	s_or_b64 exec, exec, s[6:7]
.LBB443_258:
	s_andn2_saveexec_b64 s[4:5], s[4:5]
	s_cbranch_execz .LBB443_260
; %bb.259:
	v_lshlrev_b32_e32 v15, 2, v0
	ds_read_b32 v16, v15 offset:1024
	v_readfirstlane_b32 s4, v12
	v_readfirstlane_b32 s5, v13
	s_waitcnt lgkmcnt(0)
	s_nop 3
	global_store_dword v15, v16, s[4:5] offset:1024
.LBB443_260:
	s_or_b64 exec, exec, s[2:3]
	v_or_b32_e32 v15, 0x200, v0
	v_cmp_gt_u32_e32 vcc, s16, v15
	s_and_saveexec_b64 s[2:3], vcc
	s_cbranch_execz .LBB443_269
; %bb.261:
	v_cmp_le_u32_e32 vcc, v6, v15
	s_and_saveexec_b64 s[4:5], vcc
	s_xor_b64 s[4:5], exec, s[4:5]
	s_cbranch_execz .LBB443_267
; %bb.262:
	v_cmp_le_u32_e32 vcc, v14, v15
	s_and_saveexec_b64 s[6:7], vcc
	s_xor_b64 s[6:7], exec, s[6:7]
	s_cbranch_execz .LBB443_264
; %bb.263:
	v_lshlrev_b32_e32 v15, 2, v0
	ds_read_b32 v15, v15 offset:2048
	v_add_co_u32_e32 v16, vcc, v1, v0
	v_addc_co_u32_e32 v17, vcc, 0, v8, vcc
	v_lshlrev_b64 v[16:17], 2, v[16:17]
	v_mov_b32_e32 v18, s9
	v_sub_co_u32_e32 v16, vcc, s8, v16
	v_subb_co_u32_e32 v17, vcc, v18, v17, vcc
	s_waitcnt lgkmcnt(0)
	global_store_dword v[16:17], v15, off offset:-2048
.LBB443_264:
	s_andn2_saveexec_b64 s[6:7], s[6:7]
	s_cbranch_execz .LBB443_266
; %bb.265:
	v_lshlrev_b32_e32 v15, 2, v0
	ds_read_b32 v16, v15 offset:2048
	v_readfirstlane_b32 s10, v10
	v_readfirstlane_b32 s11, v11
	s_waitcnt lgkmcnt(0)
	s_nop 3
	global_store_dword v15, v16, s[10:11] offset:2048
.LBB443_266:
	s_or_b64 exec, exec, s[6:7]
.LBB443_267:
	s_andn2_saveexec_b64 s[4:5], s[4:5]
	s_cbranch_execz .LBB443_269
; %bb.268:
	v_lshlrev_b32_e32 v15, 2, v0
	ds_read_b32 v16, v15 offset:2048
	v_readfirstlane_b32 s4, v12
	v_readfirstlane_b32 s5, v13
	s_waitcnt lgkmcnt(0)
	s_nop 3
	global_store_dword v15, v16, s[4:5] offset:2048
.LBB443_269:
	;; [unrolled: 51-line block ×3, first 2 shown]
	s_or_b64 exec, exec, s[2:3]
	v_or_b32_e32 v15, 0x400, v0
	v_cmp_gt_u32_e32 vcc, s16, v15
	s_and_saveexec_b64 s[2:3], vcc
	s_cbranch_execz .LBB443_287
; %bb.279:
	v_cmp_le_u32_e32 vcc, v6, v15
	s_and_saveexec_b64 s[4:5], vcc
	s_xor_b64 s[4:5], exec, s[4:5]
	s_cbranch_execz .LBB443_285
; %bb.280:
	v_cmp_le_u32_e32 vcc, v14, v15
	s_and_saveexec_b64 s[6:7], vcc
	s_xor_b64 s[6:7], exec, s[6:7]
	s_cbranch_execz .LBB443_282
; %bb.281:
	v_lshlrev_b32_e32 v15, 2, v0
	ds_read_b32 v15, v15 offset:4096
	v_add_co_u32_e32 v16, vcc, v1, v0
	v_addc_co_u32_e32 v17, vcc, 0, v8, vcc
	v_lshlrev_b64 v[16:17], 2, v[16:17]
	v_mov_b32_e32 v18, s9
	v_sub_co_u32_e32 v16, vcc, s8, v16
	v_subb_co_u32_e32 v17, vcc, v18, v17, vcc
	s_waitcnt lgkmcnt(0)
	global_store_dword v[16:17], v15, off offset:-4096
                                        ; implicit-def: $vgpr15
.LBB443_282:
	s_andn2_saveexec_b64 s[6:7], s[6:7]
	s_cbranch_execz .LBB443_284
; %bb.283:
	v_lshlrev_b32_e32 v16, 2, v0
	ds_read_b32 v16, v16 offset:4096
	v_lshlrev_b32_e32 v15, 2, v15
	v_readfirstlane_b32 s10, v10
	v_readfirstlane_b32 s11, v11
	s_waitcnt lgkmcnt(0)
	s_nop 3
	global_store_dword v15, v16, s[10:11]
.LBB443_284:
	s_or_b64 exec, exec, s[6:7]
                                        ; implicit-def: $vgpr15
.LBB443_285:
	s_andn2_saveexec_b64 s[4:5], s[4:5]
	s_cbranch_execz .LBB443_287
; %bb.286:
	v_lshlrev_b32_e32 v16, 2, v0
	ds_read_b32 v16, v16 offset:4096
	v_lshlrev_b32_e32 v15, 2, v15
	v_readfirstlane_b32 s4, v12
	v_readfirstlane_b32 s5, v13
	s_waitcnt lgkmcnt(0)
	s_nop 3
	global_store_dword v15, v16, s[4:5]
.LBB443_287:
	s_or_b64 exec, exec, s[2:3]
	v_or_b32_e32 v15, 0x500, v0
	v_cmp_gt_u32_e32 vcc, s16, v15
	s_and_saveexec_b64 s[2:3], vcc
	s_cbranch_execz .LBB443_296
; %bb.288:
	v_cmp_le_u32_e32 vcc, v6, v15
	s_and_saveexec_b64 s[4:5], vcc
	s_xor_b64 s[4:5], exec, s[4:5]
	s_cbranch_execz .LBB443_294
; %bb.289:
	v_cmp_le_u32_e32 vcc, v14, v15
	s_and_saveexec_b64 s[6:7], vcc
	s_xor_b64 s[6:7], exec, s[6:7]
	s_cbranch_execz .LBB443_291
; %bb.290:
	v_add_co_u32_e32 v16, vcc, v1, v15
	v_lshlrev_b32_e32 v15, 2, v0
	ds_read_b32 v15, v15 offset:5120
	v_addc_co_u32_e32 v17, vcc, 0, v8, vcc
	v_lshlrev_b64 v[16:17], 2, v[16:17]
	v_mov_b32_e32 v18, s9
	v_sub_co_u32_e32 v16, vcc, s8, v16
	v_subb_co_u32_e32 v17, vcc, v18, v17, vcc
	s_waitcnt lgkmcnt(0)
	global_store_dword v[16:17], v15, off
                                        ; implicit-def: $vgpr15
.LBB443_291:
	s_andn2_saveexec_b64 s[6:7], s[6:7]
	s_cbranch_execz .LBB443_293
; %bb.292:
	v_lshlrev_b32_e32 v16, 2, v0
	ds_read_b32 v16, v16 offset:5120
	v_lshlrev_b32_e32 v15, 2, v15
	v_readfirstlane_b32 s10, v10
	v_readfirstlane_b32 s11, v11
	s_waitcnt lgkmcnt(0)
	s_nop 3
	global_store_dword v15, v16, s[10:11]
.LBB443_293:
	s_or_b64 exec, exec, s[6:7]
                                        ; implicit-def: $vgpr15
.LBB443_294:
	s_andn2_saveexec_b64 s[4:5], s[4:5]
	s_cbranch_execz .LBB443_296
; %bb.295:
	v_lshlrev_b32_e32 v16, 2, v0
	ds_read_b32 v16, v16 offset:5120
	v_lshlrev_b32_e32 v15, 2, v15
	v_readfirstlane_b32 s4, v12
	v_readfirstlane_b32 s5, v13
	s_waitcnt lgkmcnt(0)
	s_nop 3
	global_store_dword v15, v16, s[4:5]
.LBB443_296:
	s_or_b64 exec, exec, s[2:3]
	v_or_b32_e32 v15, 0x600, v0
	v_cmp_gt_u32_e32 vcc, s16, v15
	s_and_saveexec_b64 s[2:3], vcc
	s_cbranch_execz .LBB443_305
; %bb.297:
	v_cmp_le_u32_e32 vcc, v6, v15
	s_and_saveexec_b64 s[4:5], vcc
	s_xor_b64 s[4:5], exec, s[4:5]
	s_cbranch_execz .LBB443_303
; %bb.298:
	v_cmp_le_u32_e32 vcc, v14, v15
	s_and_saveexec_b64 s[6:7], vcc
	s_xor_b64 s[6:7], exec, s[6:7]
	s_cbranch_execz .LBB443_300
; %bb.299:
	v_add_co_u32_e32 v16, vcc, v1, v15
	v_lshlrev_b32_e32 v15, 2, v0
	ds_read_b32 v15, v15 offset:6144
	v_addc_co_u32_e32 v17, vcc, 0, v8, vcc
	v_lshlrev_b64 v[16:17], 2, v[16:17]
	v_mov_b32_e32 v18, s9
	v_sub_co_u32_e32 v16, vcc, s8, v16
	v_subb_co_u32_e32 v17, vcc, v18, v17, vcc
	s_waitcnt lgkmcnt(0)
	global_store_dword v[16:17], v15, off
                                        ; implicit-def: $vgpr15
.LBB443_300:
	s_andn2_saveexec_b64 s[6:7], s[6:7]
	s_cbranch_execz .LBB443_302
; %bb.301:
	v_lshlrev_b32_e32 v16, 2, v0
	ds_read_b32 v16, v16 offset:6144
	v_lshlrev_b32_e32 v15, 2, v15
	v_readfirstlane_b32 s10, v10
	v_readfirstlane_b32 s11, v11
	s_waitcnt lgkmcnt(0)
	s_nop 3
	global_store_dword v15, v16, s[10:11]
.LBB443_302:
	s_or_b64 exec, exec, s[6:7]
                                        ; implicit-def: $vgpr15
.LBB443_303:
	s_andn2_saveexec_b64 s[4:5], s[4:5]
	s_cbranch_execz .LBB443_305
; %bb.304:
	v_lshlrev_b32_e32 v16, 2, v0
	ds_read_b32 v16, v16 offset:6144
	v_lshlrev_b32_e32 v15, 2, v15
	v_readfirstlane_b32 s4, v12
	v_readfirstlane_b32 s5, v13
	s_waitcnt lgkmcnt(0)
	s_nop 3
	global_store_dword v15, v16, s[4:5]
.LBB443_305:
	;; [unrolled: 55-line block ×7, first 2 shown]
	s_or_b64 exec, exec, s[2:3]
	v_or_b32_e32 v15, 0xc00, v0
	v_cmp_gt_u32_e32 vcc, s16, v15
	s_and_saveexec_b64 s[2:3], vcc
	s_cbranch_execz .LBB443_359
; %bb.351:
	v_cmp_le_u32_e32 vcc, v6, v15
	s_and_saveexec_b64 s[4:5], vcc
	s_xor_b64 s[4:5], exec, s[4:5]
	s_cbranch_execz .LBB443_357
; %bb.352:
	v_cmp_le_u32_e32 vcc, v14, v15
	s_and_saveexec_b64 s[6:7], vcc
	s_xor_b64 s[6:7], exec, s[6:7]
	s_cbranch_execz .LBB443_354
; %bb.353:
	v_add_co_u32_e32 v10, vcc, v1, v15
	v_lshlrev_b32_e32 v0, 2, v0
	v_addc_co_u32_e32 v11, vcc, 0, v8, vcc
	ds_read_b32 v8, v0 offset:12288
	v_lshlrev_b64 v[0:1], 2, v[10:11]
	v_mov_b32_e32 v10, s9
	v_sub_co_u32_e32 v0, vcc, s8, v0
	v_subb_co_u32_e32 v1, vcc, v10, v1, vcc
	s_waitcnt lgkmcnt(0)
	global_store_dword v[0:1], v8, off
                                        ; implicit-def: $vgpr0
                                        ; implicit-def: $vgpr15
                                        ; implicit-def: $vgpr10_vgpr11
.LBB443_354:
	s_andn2_saveexec_b64 s[6:7], s[6:7]
	s_cbranch_execz .LBB443_356
; %bb.355:
	v_lshlrev_b32_e32 v0, 2, v0
	ds_read_b32 v0, v0 offset:12288
	v_lshlrev_b32_e32 v1, 2, v15
	v_readfirstlane_b32 s8, v10
	v_readfirstlane_b32 s9, v11
	s_waitcnt lgkmcnt(0)
	s_nop 3
	global_store_dword v1, v0, s[8:9]
.LBB443_356:
	s_or_b64 exec, exec, s[6:7]
                                        ; implicit-def: $vgpr0
                                        ; implicit-def: $vgpr15
                                        ; implicit-def: $vgpr12_vgpr13
.LBB443_357:
	s_andn2_saveexec_b64 s[4:5], s[4:5]
	s_cbranch_execz .LBB443_359
; %bb.358:
	v_lshlrev_b32_e32 v0, 2, v0
	ds_read_b32 v0, v0 offset:12288
	v_lshlrev_b32_e32 v1, 2, v15
	v_readfirstlane_b32 s4, v12
	v_readfirstlane_b32 s5, v13
	s_waitcnt lgkmcnt(0)
	s_nop 3
	global_store_dword v1, v0, s[4:5]
.LBB443_359:
	s_or_b64 exec, exec, s[2:3]
	s_and_b64 s[0:1], s[0:1], s[30:31]
	s_and_saveexec_b64 s[2:3], s[0:1]
	s_cbranch_execz .LBB443_136
.LBB443_360:
	v_add_co_u32_e32 v0, vcc, v2, v6
	v_addc_co_u32_e32 v1, vcc, 0, v3, vcc
	v_add_co_u32_e32 v2, vcc, v4, v7
	v_addc_co_u32_e32 v3, vcc, 0, v5, vcc
	v_add_co_u32_e32 v2, vcc, v2, v9
	v_mov_b32_e32 v8, 0
	v_addc_co_u32_e32 v3, vcc, 0, v3, vcc
	global_store_dwordx4 v8, v[0:3], s[28:29]
	s_endpgm
	.section	.rodata,"a",@progbits
	.p2align	6, 0x0
	.amdhsa_kernel _ZN7rocprim17ROCPRIM_400000_NS6detail17trampoline_kernelINS0_13select_configILj256ELj13ELNS0_17block_load_methodE3ELS4_3ELS4_3ELNS0_20block_scan_algorithmE0ELj4294967295EEENS1_25partition_config_selectorILNS1_17partition_subalgoE4EjNS0_10empty_typeEbEEZZNS1_14partition_implILS8_4ELb0ES6_15HIP_vector_typeIjLj2EENS0_17counting_iteratorIjlEEPS9_SG_NS0_5tupleIJPjSI_NS0_16reverse_iteratorISI_EEEEENSH_IJSG_SG_SG_EEES9_SI_JZNS1_25segmented_radix_sort_implINS0_14default_configELb1EPKiPiPKlPlN2at6native12_GLOBAL__N_18offset_tEEE10hipError_tPvRmT1_PNSt15iterator_traitsIS12_E10value_typeET2_T3_PNS13_IS18_E10value_typeET4_jRbjT5_S1E_jjP12ihipStream_tbEUljE_ZNSN_ISO_Lb1ESQ_SR_ST_SU_SY_EESZ_S10_S11_S12_S16_S17_S18_S1B_S1C_jS1D_jS1E_S1E_jjS1G_bEUljE0_EEESZ_S10_S11_S18_S1C_S1E_T6_T7_T9_mT8_S1G_bDpT10_ENKUlT_T0_E_clISt17integral_constantIbLb1EES1U_EEDaS1P_S1Q_EUlS1P_E_NS1_11comp_targetILNS1_3genE4ELNS1_11target_archE910ELNS1_3gpuE8ELNS1_3repE0EEENS1_30default_config_static_selectorELNS0_4arch9wavefront6targetE1EEEvS12_
		.amdhsa_group_segment_fixed_size 13340
		.amdhsa_private_segment_fixed_size 0
		.amdhsa_kernarg_size 184
		.amdhsa_user_sgpr_count 6
		.amdhsa_user_sgpr_private_segment_buffer 1
		.amdhsa_user_sgpr_dispatch_ptr 0
		.amdhsa_user_sgpr_queue_ptr 0
		.amdhsa_user_sgpr_kernarg_segment_ptr 1
		.amdhsa_user_sgpr_dispatch_id 0
		.amdhsa_user_sgpr_flat_scratch_init 0
		.amdhsa_user_sgpr_kernarg_preload_length 0
		.amdhsa_user_sgpr_kernarg_preload_offset 0
		.amdhsa_user_sgpr_private_segment_size 0
		.amdhsa_uses_dynamic_stack 0
		.amdhsa_system_sgpr_private_segment_wavefront_offset 0
		.amdhsa_system_sgpr_workgroup_id_x 1
		.amdhsa_system_sgpr_workgroup_id_y 0
		.amdhsa_system_sgpr_workgroup_id_z 0
		.amdhsa_system_sgpr_workgroup_info 0
		.amdhsa_system_vgpr_workitem_id 0
		.amdhsa_next_free_vgpr 107
		.amdhsa_next_free_sgpr 87
		.amdhsa_accum_offset 108
		.amdhsa_reserve_vcc 1
		.amdhsa_reserve_flat_scratch 0
		.amdhsa_float_round_mode_32 0
		.amdhsa_float_round_mode_16_64 0
		.amdhsa_float_denorm_mode_32 3
		.amdhsa_float_denorm_mode_16_64 3
		.amdhsa_dx10_clamp 1
		.amdhsa_ieee_mode 1
		.amdhsa_fp16_overflow 0
		.amdhsa_tg_split 0
		.amdhsa_exception_fp_ieee_invalid_op 0
		.amdhsa_exception_fp_denorm_src 0
		.amdhsa_exception_fp_ieee_div_zero 0
		.amdhsa_exception_fp_ieee_overflow 0
		.amdhsa_exception_fp_ieee_underflow 0
		.amdhsa_exception_fp_ieee_inexact 0
		.amdhsa_exception_int_div_zero 0
	.end_amdhsa_kernel
	.section	.text._ZN7rocprim17ROCPRIM_400000_NS6detail17trampoline_kernelINS0_13select_configILj256ELj13ELNS0_17block_load_methodE3ELS4_3ELS4_3ELNS0_20block_scan_algorithmE0ELj4294967295EEENS1_25partition_config_selectorILNS1_17partition_subalgoE4EjNS0_10empty_typeEbEEZZNS1_14partition_implILS8_4ELb0ES6_15HIP_vector_typeIjLj2EENS0_17counting_iteratorIjlEEPS9_SG_NS0_5tupleIJPjSI_NS0_16reverse_iteratorISI_EEEEENSH_IJSG_SG_SG_EEES9_SI_JZNS1_25segmented_radix_sort_implINS0_14default_configELb1EPKiPiPKlPlN2at6native12_GLOBAL__N_18offset_tEEE10hipError_tPvRmT1_PNSt15iterator_traitsIS12_E10value_typeET2_T3_PNS13_IS18_E10value_typeET4_jRbjT5_S1E_jjP12ihipStream_tbEUljE_ZNSN_ISO_Lb1ESQ_SR_ST_SU_SY_EESZ_S10_S11_S12_S16_S17_S18_S1B_S1C_jS1D_jS1E_S1E_jjS1G_bEUljE0_EEESZ_S10_S11_S18_S1C_S1E_T6_T7_T9_mT8_S1G_bDpT10_ENKUlT_T0_E_clISt17integral_constantIbLb1EES1U_EEDaS1P_S1Q_EUlS1P_E_NS1_11comp_targetILNS1_3genE4ELNS1_11target_archE910ELNS1_3gpuE8ELNS1_3repE0EEENS1_30default_config_static_selectorELNS0_4arch9wavefront6targetE1EEEvS12_,"axG",@progbits,_ZN7rocprim17ROCPRIM_400000_NS6detail17trampoline_kernelINS0_13select_configILj256ELj13ELNS0_17block_load_methodE3ELS4_3ELS4_3ELNS0_20block_scan_algorithmE0ELj4294967295EEENS1_25partition_config_selectorILNS1_17partition_subalgoE4EjNS0_10empty_typeEbEEZZNS1_14partition_implILS8_4ELb0ES6_15HIP_vector_typeIjLj2EENS0_17counting_iteratorIjlEEPS9_SG_NS0_5tupleIJPjSI_NS0_16reverse_iteratorISI_EEEEENSH_IJSG_SG_SG_EEES9_SI_JZNS1_25segmented_radix_sort_implINS0_14default_configELb1EPKiPiPKlPlN2at6native12_GLOBAL__N_18offset_tEEE10hipError_tPvRmT1_PNSt15iterator_traitsIS12_E10value_typeET2_T3_PNS13_IS18_E10value_typeET4_jRbjT5_S1E_jjP12ihipStream_tbEUljE_ZNSN_ISO_Lb1ESQ_SR_ST_SU_SY_EESZ_S10_S11_S12_S16_S17_S18_S1B_S1C_jS1D_jS1E_S1E_jjS1G_bEUljE0_EEESZ_S10_S11_S18_S1C_S1E_T6_T7_T9_mT8_S1G_bDpT10_ENKUlT_T0_E_clISt17integral_constantIbLb1EES1U_EEDaS1P_S1Q_EUlS1P_E_NS1_11comp_targetILNS1_3genE4ELNS1_11target_archE910ELNS1_3gpuE8ELNS1_3repE0EEENS1_30default_config_static_selectorELNS0_4arch9wavefront6targetE1EEEvS12_,comdat
.Lfunc_end443:
	.size	_ZN7rocprim17ROCPRIM_400000_NS6detail17trampoline_kernelINS0_13select_configILj256ELj13ELNS0_17block_load_methodE3ELS4_3ELS4_3ELNS0_20block_scan_algorithmE0ELj4294967295EEENS1_25partition_config_selectorILNS1_17partition_subalgoE4EjNS0_10empty_typeEbEEZZNS1_14partition_implILS8_4ELb0ES6_15HIP_vector_typeIjLj2EENS0_17counting_iteratorIjlEEPS9_SG_NS0_5tupleIJPjSI_NS0_16reverse_iteratorISI_EEEEENSH_IJSG_SG_SG_EEES9_SI_JZNS1_25segmented_radix_sort_implINS0_14default_configELb1EPKiPiPKlPlN2at6native12_GLOBAL__N_18offset_tEEE10hipError_tPvRmT1_PNSt15iterator_traitsIS12_E10value_typeET2_T3_PNS13_IS18_E10value_typeET4_jRbjT5_S1E_jjP12ihipStream_tbEUljE_ZNSN_ISO_Lb1ESQ_SR_ST_SU_SY_EESZ_S10_S11_S12_S16_S17_S18_S1B_S1C_jS1D_jS1E_S1E_jjS1G_bEUljE0_EEESZ_S10_S11_S18_S1C_S1E_T6_T7_T9_mT8_S1G_bDpT10_ENKUlT_T0_E_clISt17integral_constantIbLb1EES1U_EEDaS1P_S1Q_EUlS1P_E_NS1_11comp_targetILNS1_3genE4ELNS1_11target_archE910ELNS1_3gpuE8ELNS1_3repE0EEENS1_30default_config_static_selectorELNS0_4arch9wavefront6targetE1EEEvS12_, .Lfunc_end443-_ZN7rocprim17ROCPRIM_400000_NS6detail17trampoline_kernelINS0_13select_configILj256ELj13ELNS0_17block_load_methodE3ELS4_3ELS4_3ELNS0_20block_scan_algorithmE0ELj4294967295EEENS1_25partition_config_selectorILNS1_17partition_subalgoE4EjNS0_10empty_typeEbEEZZNS1_14partition_implILS8_4ELb0ES6_15HIP_vector_typeIjLj2EENS0_17counting_iteratorIjlEEPS9_SG_NS0_5tupleIJPjSI_NS0_16reverse_iteratorISI_EEEEENSH_IJSG_SG_SG_EEES9_SI_JZNS1_25segmented_radix_sort_implINS0_14default_configELb1EPKiPiPKlPlN2at6native12_GLOBAL__N_18offset_tEEE10hipError_tPvRmT1_PNSt15iterator_traitsIS12_E10value_typeET2_T3_PNS13_IS18_E10value_typeET4_jRbjT5_S1E_jjP12ihipStream_tbEUljE_ZNSN_ISO_Lb1ESQ_SR_ST_SU_SY_EESZ_S10_S11_S12_S16_S17_S18_S1B_S1C_jS1D_jS1E_S1E_jjS1G_bEUljE0_EEESZ_S10_S11_S18_S1C_S1E_T6_T7_T9_mT8_S1G_bDpT10_ENKUlT_T0_E_clISt17integral_constantIbLb1EES1U_EEDaS1P_S1Q_EUlS1P_E_NS1_11comp_targetILNS1_3genE4ELNS1_11target_archE910ELNS1_3gpuE8ELNS1_3repE0EEENS1_30default_config_static_selectorELNS0_4arch9wavefront6targetE1EEEvS12_
                                        ; -- End function
	.section	.AMDGPU.csdata,"",@progbits
; Kernel info:
; codeLenInByte = 13512
; NumSgprs: 91
; NumVgprs: 107
; NumAgprs: 0
; TotalNumVgprs: 107
; ScratchSize: 0
; MemoryBound: 0
; FloatMode: 240
; IeeeMode: 1
; LDSByteSize: 13340 bytes/workgroup (compile time only)
; SGPRBlocks: 11
; VGPRBlocks: 13
; NumSGPRsForWavesPerEU: 91
; NumVGPRsForWavesPerEU: 107
; AccumOffset: 108
; Occupancy: 4
; WaveLimiterHint : 1
; COMPUTE_PGM_RSRC2:SCRATCH_EN: 0
; COMPUTE_PGM_RSRC2:USER_SGPR: 6
; COMPUTE_PGM_RSRC2:TRAP_HANDLER: 0
; COMPUTE_PGM_RSRC2:TGID_X_EN: 1
; COMPUTE_PGM_RSRC2:TGID_Y_EN: 0
; COMPUTE_PGM_RSRC2:TGID_Z_EN: 0
; COMPUTE_PGM_RSRC2:TIDIG_COMP_CNT: 0
; COMPUTE_PGM_RSRC3_GFX90A:ACCUM_OFFSET: 26
; COMPUTE_PGM_RSRC3_GFX90A:TG_SPLIT: 0
	.section	.text._ZN7rocprim17ROCPRIM_400000_NS6detail17trampoline_kernelINS0_13select_configILj256ELj13ELNS0_17block_load_methodE3ELS4_3ELS4_3ELNS0_20block_scan_algorithmE0ELj4294967295EEENS1_25partition_config_selectorILNS1_17partition_subalgoE4EjNS0_10empty_typeEbEEZZNS1_14partition_implILS8_4ELb0ES6_15HIP_vector_typeIjLj2EENS0_17counting_iteratorIjlEEPS9_SG_NS0_5tupleIJPjSI_NS0_16reverse_iteratorISI_EEEEENSH_IJSG_SG_SG_EEES9_SI_JZNS1_25segmented_radix_sort_implINS0_14default_configELb1EPKiPiPKlPlN2at6native12_GLOBAL__N_18offset_tEEE10hipError_tPvRmT1_PNSt15iterator_traitsIS12_E10value_typeET2_T3_PNS13_IS18_E10value_typeET4_jRbjT5_S1E_jjP12ihipStream_tbEUljE_ZNSN_ISO_Lb1ESQ_SR_ST_SU_SY_EESZ_S10_S11_S12_S16_S17_S18_S1B_S1C_jS1D_jS1E_S1E_jjS1G_bEUljE0_EEESZ_S10_S11_S18_S1C_S1E_T6_T7_T9_mT8_S1G_bDpT10_ENKUlT_T0_E_clISt17integral_constantIbLb1EES1U_EEDaS1P_S1Q_EUlS1P_E_NS1_11comp_targetILNS1_3genE3ELNS1_11target_archE908ELNS1_3gpuE7ELNS1_3repE0EEENS1_30default_config_static_selectorELNS0_4arch9wavefront6targetE1EEEvS12_,"axG",@progbits,_ZN7rocprim17ROCPRIM_400000_NS6detail17trampoline_kernelINS0_13select_configILj256ELj13ELNS0_17block_load_methodE3ELS4_3ELS4_3ELNS0_20block_scan_algorithmE0ELj4294967295EEENS1_25partition_config_selectorILNS1_17partition_subalgoE4EjNS0_10empty_typeEbEEZZNS1_14partition_implILS8_4ELb0ES6_15HIP_vector_typeIjLj2EENS0_17counting_iteratorIjlEEPS9_SG_NS0_5tupleIJPjSI_NS0_16reverse_iteratorISI_EEEEENSH_IJSG_SG_SG_EEES9_SI_JZNS1_25segmented_radix_sort_implINS0_14default_configELb1EPKiPiPKlPlN2at6native12_GLOBAL__N_18offset_tEEE10hipError_tPvRmT1_PNSt15iterator_traitsIS12_E10value_typeET2_T3_PNS13_IS18_E10value_typeET4_jRbjT5_S1E_jjP12ihipStream_tbEUljE_ZNSN_ISO_Lb1ESQ_SR_ST_SU_SY_EESZ_S10_S11_S12_S16_S17_S18_S1B_S1C_jS1D_jS1E_S1E_jjS1G_bEUljE0_EEESZ_S10_S11_S18_S1C_S1E_T6_T7_T9_mT8_S1G_bDpT10_ENKUlT_T0_E_clISt17integral_constantIbLb1EES1U_EEDaS1P_S1Q_EUlS1P_E_NS1_11comp_targetILNS1_3genE3ELNS1_11target_archE908ELNS1_3gpuE7ELNS1_3repE0EEENS1_30default_config_static_selectorELNS0_4arch9wavefront6targetE1EEEvS12_,comdat
	.globl	_ZN7rocprim17ROCPRIM_400000_NS6detail17trampoline_kernelINS0_13select_configILj256ELj13ELNS0_17block_load_methodE3ELS4_3ELS4_3ELNS0_20block_scan_algorithmE0ELj4294967295EEENS1_25partition_config_selectorILNS1_17partition_subalgoE4EjNS0_10empty_typeEbEEZZNS1_14partition_implILS8_4ELb0ES6_15HIP_vector_typeIjLj2EENS0_17counting_iteratorIjlEEPS9_SG_NS0_5tupleIJPjSI_NS0_16reverse_iteratorISI_EEEEENSH_IJSG_SG_SG_EEES9_SI_JZNS1_25segmented_radix_sort_implINS0_14default_configELb1EPKiPiPKlPlN2at6native12_GLOBAL__N_18offset_tEEE10hipError_tPvRmT1_PNSt15iterator_traitsIS12_E10value_typeET2_T3_PNS13_IS18_E10value_typeET4_jRbjT5_S1E_jjP12ihipStream_tbEUljE_ZNSN_ISO_Lb1ESQ_SR_ST_SU_SY_EESZ_S10_S11_S12_S16_S17_S18_S1B_S1C_jS1D_jS1E_S1E_jjS1G_bEUljE0_EEESZ_S10_S11_S18_S1C_S1E_T6_T7_T9_mT8_S1G_bDpT10_ENKUlT_T0_E_clISt17integral_constantIbLb1EES1U_EEDaS1P_S1Q_EUlS1P_E_NS1_11comp_targetILNS1_3genE3ELNS1_11target_archE908ELNS1_3gpuE7ELNS1_3repE0EEENS1_30default_config_static_selectorELNS0_4arch9wavefront6targetE1EEEvS12_ ; -- Begin function _ZN7rocprim17ROCPRIM_400000_NS6detail17trampoline_kernelINS0_13select_configILj256ELj13ELNS0_17block_load_methodE3ELS4_3ELS4_3ELNS0_20block_scan_algorithmE0ELj4294967295EEENS1_25partition_config_selectorILNS1_17partition_subalgoE4EjNS0_10empty_typeEbEEZZNS1_14partition_implILS8_4ELb0ES6_15HIP_vector_typeIjLj2EENS0_17counting_iteratorIjlEEPS9_SG_NS0_5tupleIJPjSI_NS0_16reverse_iteratorISI_EEEEENSH_IJSG_SG_SG_EEES9_SI_JZNS1_25segmented_radix_sort_implINS0_14default_configELb1EPKiPiPKlPlN2at6native12_GLOBAL__N_18offset_tEEE10hipError_tPvRmT1_PNSt15iterator_traitsIS12_E10value_typeET2_T3_PNS13_IS18_E10value_typeET4_jRbjT5_S1E_jjP12ihipStream_tbEUljE_ZNSN_ISO_Lb1ESQ_SR_ST_SU_SY_EESZ_S10_S11_S12_S16_S17_S18_S1B_S1C_jS1D_jS1E_S1E_jjS1G_bEUljE0_EEESZ_S10_S11_S18_S1C_S1E_T6_T7_T9_mT8_S1G_bDpT10_ENKUlT_T0_E_clISt17integral_constantIbLb1EES1U_EEDaS1P_S1Q_EUlS1P_E_NS1_11comp_targetILNS1_3genE3ELNS1_11target_archE908ELNS1_3gpuE7ELNS1_3repE0EEENS1_30default_config_static_selectorELNS0_4arch9wavefront6targetE1EEEvS12_
	.p2align	8
	.type	_ZN7rocprim17ROCPRIM_400000_NS6detail17trampoline_kernelINS0_13select_configILj256ELj13ELNS0_17block_load_methodE3ELS4_3ELS4_3ELNS0_20block_scan_algorithmE0ELj4294967295EEENS1_25partition_config_selectorILNS1_17partition_subalgoE4EjNS0_10empty_typeEbEEZZNS1_14partition_implILS8_4ELb0ES6_15HIP_vector_typeIjLj2EENS0_17counting_iteratorIjlEEPS9_SG_NS0_5tupleIJPjSI_NS0_16reverse_iteratorISI_EEEEENSH_IJSG_SG_SG_EEES9_SI_JZNS1_25segmented_radix_sort_implINS0_14default_configELb1EPKiPiPKlPlN2at6native12_GLOBAL__N_18offset_tEEE10hipError_tPvRmT1_PNSt15iterator_traitsIS12_E10value_typeET2_T3_PNS13_IS18_E10value_typeET4_jRbjT5_S1E_jjP12ihipStream_tbEUljE_ZNSN_ISO_Lb1ESQ_SR_ST_SU_SY_EESZ_S10_S11_S12_S16_S17_S18_S1B_S1C_jS1D_jS1E_S1E_jjS1G_bEUljE0_EEESZ_S10_S11_S18_S1C_S1E_T6_T7_T9_mT8_S1G_bDpT10_ENKUlT_T0_E_clISt17integral_constantIbLb1EES1U_EEDaS1P_S1Q_EUlS1P_E_NS1_11comp_targetILNS1_3genE3ELNS1_11target_archE908ELNS1_3gpuE7ELNS1_3repE0EEENS1_30default_config_static_selectorELNS0_4arch9wavefront6targetE1EEEvS12_,@function
_ZN7rocprim17ROCPRIM_400000_NS6detail17trampoline_kernelINS0_13select_configILj256ELj13ELNS0_17block_load_methodE3ELS4_3ELS4_3ELNS0_20block_scan_algorithmE0ELj4294967295EEENS1_25partition_config_selectorILNS1_17partition_subalgoE4EjNS0_10empty_typeEbEEZZNS1_14partition_implILS8_4ELb0ES6_15HIP_vector_typeIjLj2EENS0_17counting_iteratorIjlEEPS9_SG_NS0_5tupleIJPjSI_NS0_16reverse_iteratorISI_EEEEENSH_IJSG_SG_SG_EEES9_SI_JZNS1_25segmented_radix_sort_implINS0_14default_configELb1EPKiPiPKlPlN2at6native12_GLOBAL__N_18offset_tEEE10hipError_tPvRmT1_PNSt15iterator_traitsIS12_E10value_typeET2_T3_PNS13_IS18_E10value_typeET4_jRbjT5_S1E_jjP12ihipStream_tbEUljE_ZNSN_ISO_Lb1ESQ_SR_ST_SU_SY_EESZ_S10_S11_S12_S16_S17_S18_S1B_S1C_jS1D_jS1E_S1E_jjS1G_bEUljE0_EEESZ_S10_S11_S18_S1C_S1E_T6_T7_T9_mT8_S1G_bDpT10_ENKUlT_T0_E_clISt17integral_constantIbLb1EES1U_EEDaS1P_S1Q_EUlS1P_E_NS1_11comp_targetILNS1_3genE3ELNS1_11target_archE908ELNS1_3gpuE7ELNS1_3repE0EEENS1_30default_config_static_selectorELNS0_4arch9wavefront6targetE1EEEvS12_: ; @_ZN7rocprim17ROCPRIM_400000_NS6detail17trampoline_kernelINS0_13select_configILj256ELj13ELNS0_17block_load_methodE3ELS4_3ELS4_3ELNS0_20block_scan_algorithmE0ELj4294967295EEENS1_25partition_config_selectorILNS1_17partition_subalgoE4EjNS0_10empty_typeEbEEZZNS1_14partition_implILS8_4ELb0ES6_15HIP_vector_typeIjLj2EENS0_17counting_iteratorIjlEEPS9_SG_NS0_5tupleIJPjSI_NS0_16reverse_iteratorISI_EEEEENSH_IJSG_SG_SG_EEES9_SI_JZNS1_25segmented_radix_sort_implINS0_14default_configELb1EPKiPiPKlPlN2at6native12_GLOBAL__N_18offset_tEEE10hipError_tPvRmT1_PNSt15iterator_traitsIS12_E10value_typeET2_T3_PNS13_IS18_E10value_typeET4_jRbjT5_S1E_jjP12ihipStream_tbEUljE_ZNSN_ISO_Lb1ESQ_SR_ST_SU_SY_EESZ_S10_S11_S12_S16_S17_S18_S1B_S1C_jS1D_jS1E_S1E_jjS1G_bEUljE0_EEESZ_S10_S11_S18_S1C_S1E_T6_T7_T9_mT8_S1G_bDpT10_ENKUlT_T0_E_clISt17integral_constantIbLb1EES1U_EEDaS1P_S1Q_EUlS1P_E_NS1_11comp_targetILNS1_3genE3ELNS1_11target_archE908ELNS1_3gpuE7ELNS1_3repE0EEENS1_30default_config_static_selectorELNS0_4arch9wavefront6targetE1EEEvS12_
; %bb.0:
	.section	.rodata,"a",@progbits
	.p2align	6, 0x0
	.amdhsa_kernel _ZN7rocprim17ROCPRIM_400000_NS6detail17trampoline_kernelINS0_13select_configILj256ELj13ELNS0_17block_load_methodE3ELS4_3ELS4_3ELNS0_20block_scan_algorithmE0ELj4294967295EEENS1_25partition_config_selectorILNS1_17partition_subalgoE4EjNS0_10empty_typeEbEEZZNS1_14partition_implILS8_4ELb0ES6_15HIP_vector_typeIjLj2EENS0_17counting_iteratorIjlEEPS9_SG_NS0_5tupleIJPjSI_NS0_16reverse_iteratorISI_EEEEENSH_IJSG_SG_SG_EEES9_SI_JZNS1_25segmented_radix_sort_implINS0_14default_configELb1EPKiPiPKlPlN2at6native12_GLOBAL__N_18offset_tEEE10hipError_tPvRmT1_PNSt15iterator_traitsIS12_E10value_typeET2_T3_PNS13_IS18_E10value_typeET4_jRbjT5_S1E_jjP12ihipStream_tbEUljE_ZNSN_ISO_Lb1ESQ_SR_ST_SU_SY_EESZ_S10_S11_S12_S16_S17_S18_S1B_S1C_jS1D_jS1E_S1E_jjS1G_bEUljE0_EEESZ_S10_S11_S18_S1C_S1E_T6_T7_T9_mT8_S1G_bDpT10_ENKUlT_T0_E_clISt17integral_constantIbLb1EES1U_EEDaS1P_S1Q_EUlS1P_E_NS1_11comp_targetILNS1_3genE3ELNS1_11target_archE908ELNS1_3gpuE7ELNS1_3repE0EEENS1_30default_config_static_selectorELNS0_4arch9wavefront6targetE1EEEvS12_
		.amdhsa_group_segment_fixed_size 0
		.amdhsa_private_segment_fixed_size 0
		.amdhsa_kernarg_size 184
		.amdhsa_user_sgpr_count 6
		.amdhsa_user_sgpr_private_segment_buffer 1
		.amdhsa_user_sgpr_dispatch_ptr 0
		.amdhsa_user_sgpr_queue_ptr 0
		.amdhsa_user_sgpr_kernarg_segment_ptr 1
		.amdhsa_user_sgpr_dispatch_id 0
		.amdhsa_user_sgpr_flat_scratch_init 0
		.amdhsa_user_sgpr_kernarg_preload_length 0
		.amdhsa_user_sgpr_kernarg_preload_offset 0
		.amdhsa_user_sgpr_private_segment_size 0
		.amdhsa_uses_dynamic_stack 0
		.amdhsa_system_sgpr_private_segment_wavefront_offset 0
		.amdhsa_system_sgpr_workgroup_id_x 1
		.amdhsa_system_sgpr_workgroup_id_y 0
		.amdhsa_system_sgpr_workgroup_id_z 0
		.amdhsa_system_sgpr_workgroup_info 0
		.amdhsa_system_vgpr_workitem_id 0
		.amdhsa_next_free_vgpr 1
		.amdhsa_next_free_sgpr 0
		.amdhsa_accum_offset 4
		.amdhsa_reserve_vcc 0
		.amdhsa_reserve_flat_scratch 0
		.amdhsa_float_round_mode_32 0
		.amdhsa_float_round_mode_16_64 0
		.amdhsa_float_denorm_mode_32 3
		.amdhsa_float_denorm_mode_16_64 3
		.amdhsa_dx10_clamp 1
		.amdhsa_ieee_mode 1
		.amdhsa_fp16_overflow 0
		.amdhsa_tg_split 0
		.amdhsa_exception_fp_ieee_invalid_op 0
		.amdhsa_exception_fp_denorm_src 0
		.amdhsa_exception_fp_ieee_div_zero 0
		.amdhsa_exception_fp_ieee_overflow 0
		.amdhsa_exception_fp_ieee_underflow 0
		.amdhsa_exception_fp_ieee_inexact 0
		.amdhsa_exception_int_div_zero 0
	.end_amdhsa_kernel
	.section	.text._ZN7rocprim17ROCPRIM_400000_NS6detail17trampoline_kernelINS0_13select_configILj256ELj13ELNS0_17block_load_methodE3ELS4_3ELS4_3ELNS0_20block_scan_algorithmE0ELj4294967295EEENS1_25partition_config_selectorILNS1_17partition_subalgoE4EjNS0_10empty_typeEbEEZZNS1_14partition_implILS8_4ELb0ES6_15HIP_vector_typeIjLj2EENS0_17counting_iteratorIjlEEPS9_SG_NS0_5tupleIJPjSI_NS0_16reverse_iteratorISI_EEEEENSH_IJSG_SG_SG_EEES9_SI_JZNS1_25segmented_radix_sort_implINS0_14default_configELb1EPKiPiPKlPlN2at6native12_GLOBAL__N_18offset_tEEE10hipError_tPvRmT1_PNSt15iterator_traitsIS12_E10value_typeET2_T3_PNS13_IS18_E10value_typeET4_jRbjT5_S1E_jjP12ihipStream_tbEUljE_ZNSN_ISO_Lb1ESQ_SR_ST_SU_SY_EESZ_S10_S11_S12_S16_S17_S18_S1B_S1C_jS1D_jS1E_S1E_jjS1G_bEUljE0_EEESZ_S10_S11_S18_S1C_S1E_T6_T7_T9_mT8_S1G_bDpT10_ENKUlT_T0_E_clISt17integral_constantIbLb1EES1U_EEDaS1P_S1Q_EUlS1P_E_NS1_11comp_targetILNS1_3genE3ELNS1_11target_archE908ELNS1_3gpuE7ELNS1_3repE0EEENS1_30default_config_static_selectorELNS0_4arch9wavefront6targetE1EEEvS12_,"axG",@progbits,_ZN7rocprim17ROCPRIM_400000_NS6detail17trampoline_kernelINS0_13select_configILj256ELj13ELNS0_17block_load_methodE3ELS4_3ELS4_3ELNS0_20block_scan_algorithmE0ELj4294967295EEENS1_25partition_config_selectorILNS1_17partition_subalgoE4EjNS0_10empty_typeEbEEZZNS1_14partition_implILS8_4ELb0ES6_15HIP_vector_typeIjLj2EENS0_17counting_iteratorIjlEEPS9_SG_NS0_5tupleIJPjSI_NS0_16reverse_iteratorISI_EEEEENSH_IJSG_SG_SG_EEES9_SI_JZNS1_25segmented_radix_sort_implINS0_14default_configELb1EPKiPiPKlPlN2at6native12_GLOBAL__N_18offset_tEEE10hipError_tPvRmT1_PNSt15iterator_traitsIS12_E10value_typeET2_T3_PNS13_IS18_E10value_typeET4_jRbjT5_S1E_jjP12ihipStream_tbEUljE_ZNSN_ISO_Lb1ESQ_SR_ST_SU_SY_EESZ_S10_S11_S12_S16_S17_S18_S1B_S1C_jS1D_jS1E_S1E_jjS1G_bEUljE0_EEESZ_S10_S11_S18_S1C_S1E_T6_T7_T9_mT8_S1G_bDpT10_ENKUlT_T0_E_clISt17integral_constantIbLb1EES1U_EEDaS1P_S1Q_EUlS1P_E_NS1_11comp_targetILNS1_3genE3ELNS1_11target_archE908ELNS1_3gpuE7ELNS1_3repE0EEENS1_30default_config_static_selectorELNS0_4arch9wavefront6targetE1EEEvS12_,comdat
.Lfunc_end444:
	.size	_ZN7rocprim17ROCPRIM_400000_NS6detail17trampoline_kernelINS0_13select_configILj256ELj13ELNS0_17block_load_methodE3ELS4_3ELS4_3ELNS0_20block_scan_algorithmE0ELj4294967295EEENS1_25partition_config_selectorILNS1_17partition_subalgoE4EjNS0_10empty_typeEbEEZZNS1_14partition_implILS8_4ELb0ES6_15HIP_vector_typeIjLj2EENS0_17counting_iteratorIjlEEPS9_SG_NS0_5tupleIJPjSI_NS0_16reverse_iteratorISI_EEEEENSH_IJSG_SG_SG_EEES9_SI_JZNS1_25segmented_radix_sort_implINS0_14default_configELb1EPKiPiPKlPlN2at6native12_GLOBAL__N_18offset_tEEE10hipError_tPvRmT1_PNSt15iterator_traitsIS12_E10value_typeET2_T3_PNS13_IS18_E10value_typeET4_jRbjT5_S1E_jjP12ihipStream_tbEUljE_ZNSN_ISO_Lb1ESQ_SR_ST_SU_SY_EESZ_S10_S11_S12_S16_S17_S18_S1B_S1C_jS1D_jS1E_S1E_jjS1G_bEUljE0_EEESZ_S10_S11_S18_S1C_S1E_T6_T7_T9_mT8_S1G_bDpT10_ENKUlT_T0_E_clISt17integral_constantIbLb1EES1U_EEDaS1P_S1Q_EUlS1P_E_NS1_11comp_targetILNS1_3genE3ELNS1_11target_archE908ELNS1_3gpuE7ELNS1_3repE0EEENS1_30default_config_static_selectorELNS0_4arch9wavefront6targetE1EEEvS12_, .Lfunc_end444-_ZN7rocprim17ROCPRIM_400000_NS6detail17trampoline_kernelINS0_13select_configILj256ELj13ELNS0_17block_load_methodE3ELS4_3ELS4_3ELNS0_20block_scan_algorithmE0ELj4294967295EEENS1_25partition_config_selectorILNS1_17partition_subalgoE4EjNS0_10empty_typeEbEEZZNS1_14partition_implILS8_4ELb0ES6_15HIP_vector_typeIjLj2EENS0_17counting_iteratorIjlEEPS9_SG_NS0_5tupleIJPjSI_NS0_16reverse_iteratorISI_EEEEENSH_IJSG_SG_SG_EEES9_SI_JZNS1_25segmented_radix_sort_implINS0_14default_configELb1EPKiPiPKlPlN2at6native12_GLOBAL__N_18offset_tEEE10hipError_tPvRmT1_PNSt15iterator_traitsIS12_E10value_typeET2_T3_PNS13_IS18_E10value_typeET4_jRbjT5_S1E_jjP12ihipStream_tbEUljE_ZNSN_ISO_Lb1ESQ_SR_ST_SU_SY_EESZ_S10_S11_S12_S16_S17_S18_S1B_S1C_jS1D_jS1E_S1E_jjS1G_bEUljE0_EEESZ_S10_S11_S18_S1C_S1E_T6_T7_T9_mT8_S1G_bDpT10_ENKUlT_T0_E_clISt17integral_constantIbLb1EES1U_EEDaS1P_S1Q_EUlS1P_E_NS1_11comp_targetILNS1_3genE3ELNS1_11target_archE908ELNS1_3gpuE7ELNS1_3repE0EEENS1_30default_config_static_selectorELNS0_4arch9wavefront6targetE1EEEvS12_
                                        ; -- End function
	.section	.AMDGPU.csdata,"",@progbits
; Kernel info:
; codeLenInByte = 0
; NumSgprs: 4
; NumVgprs: 0
; NumAgprs: 0
; TotalNumVgprs: 0
; ScratchSize: 0
; MemoryBound: 0
; FloatMode: 240
; IeeeMode: 1
; LDSByteSize: 0 bytes/workgroup (compile time only)
; SGPRBlocks: 0
; VGPRBlocks: 0
; NumSGPRsForWavesPerEU: 4
; NumVGPRsForWavesPerEU: 1
; AccumOffset: 4
; Occupancy: 8
; WaveLimiterHint : 0
; COMPUTE_PGM_RSRC2:SCRATCH_EN: 0
; COMPUTE_PGM_RSRC2:USER_SGPR: 6
; COMPUTE_PGM_RSRC2:TRAP_HANDLER: 0
; COMPUTE_PGM_RSRC2:TGID_X_EN: 1
; COMPUTE_PGM_RSRC2:TGID_Y_EN: 0
; COMPUTE_PGM_RSRC2:TGID_Z_EN: 0
; COMPUTE_PGM_RSRC2:TIDIG_COMP_CNT: 0
; COMPUTE_PGM_RSRC3_GFX90A:ACCUM_OFFSET: 0
; COMPUTE_PGM_RSRC3_GFX90A:TG_SPLIT: 0
	.section	.text._ZN7rocprim17ROCPRIM_400000_NS6detail17trampoline_kernelINS0_13select_configILj256ELj13ELNS0_17block_load_methodE3ELS4_3ELS4_3ELNS0_20block_scan_algorithmE0ELj4294967295EEENS1_25partition_config_selectorILNS1_17partition_subalgoE4EjNS0_10empty_typeEbEEZZNS1_14partition_implILS8_4ELb0ES6_15HIP_vector_typeIjLj2EENS0_17counting_iteratorIjlEEPS9_SG_NS0_5tupleIJPjSI_NS0_16reverse_iteratorISI_EEEEENSH_IJSG_SG_SG_EEES9_SI_JZNS1_25segmented_radix_sort_implINS0_14default_configELb1EPKiPiPKlPlN2at6native12_GLOBAL__N_18offset_tEEE10hipError_tPvRmT1_PNSt15iterator_traitsIS12_E10value_typeET2_T3_PNS13_IS18_E10value_typeET4_jRbjT5_S1E_jjP12ihipStream_tbEUljE_ZNSN_ISO_Lb1ESQ_SR_ST_SU_SY_EESZ_S10_S11_S12_S16_S17_S18_S1B_S1C_jS1D_jS1E_S1E_jjS1G_bEUljE0_EEESZ_S10_S11_S18_S1C_S1E_T6_T7_T9_mT8_S1G_bDpT10_ENKUlT_T0_E_clISt17integral_constantIbLb1EES1U_EEDaS1P_S1Q_EUlS1P_E_NS1_11comp_targetILNS1_3genE2ELNS1_11target_archE906ELNS1_3gpuE6ELNS1_3repE0EEENS1_30default_config_static_selectorELNS0_4arch9wavefront6targetE1EEEvS12_,"axG",@progbits,_ZN7rocprim17ROCPRIM_400000_NS6detail17trampoline_kernelINS0_13select_configILj256ELj13ELNS0_17block_load_methodE3ELS4_3ELS4_3ELNS0_20block_scan_algorithmE0ELj4294967295EEENS1_25partition_config_selectorILNS1_17partition_subalgoE4EjNS0_10empty_typeEbEEZZNS1_14partition_implILS8_4ELb0ES6_15HIP_vector_typeIjLj2EENS0_17counting_iteratorIjlEEPS9_SG_NS0_5tupleIJPjSI_NS0_16reverse_iteratorISI_EEEEENSH_IJSG_SG_SG_EEES9_SI_JZNS1_25segmented_radix_sort_implINS0_14default_configELb1EPKiPiPKlPlN2at6native12_GLOBAL__N_18offset_tEEE10hipError_tPvRmT1_PNSt15iterator_traitsIS12_E10value_typeET2_T3_PNS13_IS18_E10value_typeET4_jRbjT5_S1E_jjP12ihipStream_tbEUljE_ZNSN_ISO_Lb1ESQ_SR_ST_SU_SY_EESZ_S10_S11_S12_S16_S17_S18_S1B_S1C_jS1D_jS1E_S1E_jjS1G_bEUljE0_EEESZ_S10_S11_S18_S1C_S1E_T6_T7_T9_mT8_S1G_bDpT10_ENKUlT_T0_E_clISt17integral_constantIbLb1EES1U_EEDaS1P_S1Q_EUlS1P_E_NS1_11comp_targetILNS1_3genE2ELNS1_11target_archE906ELNS1_3gpuE6ELNS1_3repE0EEENS1_30default_config_static_selectorELNS0_4arch9wavefront6targetE1EEEvS12_,comdat
	.globl	_ZN7rocprim17ROCPRIM_400000_NS6detail17trampoline_kernelINS0_13select_configILj256ELj13ELNS0_17block_load_methodE3ELS4_3ELS4_3ELNS0_20block_scan_algorithmE0ELj4294967295EEENS1_25partition_config_selectorILNS1_17partition_subalgoE4EjNS0_10empty_typeEbEEZZNS1_14partition_implILS8_4ELb0ES6_15HIP_vector_typeIjLj2EENS0_17counting_iteratorIjlEEPS9_SG_NS0_5tupleIJPjSI_NS0_16reverse_iteratorISI_EEEEENSH_IJSG_SG_SG_EEES9_SI_JZNS1_25segmented_radix_sort_implINS0_14default_configELb1EPKiPiPKlPlN2at6native12_GLOBAL__N_18offset_tEEE10hipError_tPvRmT1_PNSt15iterator_traitsIS12_E10value_typeET2_T3_PNS13_IS18_E10value_typeET4_jRbjT5_S1E_jjP12ihipStream_tbEUljE_ZNSN_ISO_Lb1ESQ_SR_ST_SU_SY_EESZ_S10_S11_S12_S16_S17_S18_S1B_S1C_jS1D_jS1E_S1E_jjS1G_bEUljE0_EEESZ_S10_S11_S18_S1C_S1E_T6_T7_T9_mT8_S1G_bDpT10_ENKUlT_T0_E_clISt17integral_constantIbLb1EES1U_EEDaS1P_S1Q_EUlS1P_E_NS1_11comp_targetILNS1_3genE2ELNS1_11target_archE906ELNS1_3gpuE6ELNS1_3repE0EEENS1_30default_config_static_selectorELNS0_4arch9wavefront6targetE1EEEvS12_ ; -- Begin function _ZN7rocprim17ROCPRIM_400000_NS6detail17trampoline_kernelINS0_13select_configILj256ELj13ELNS0_17block_load_methodE3ELS4_3ELS4_3ELNS0_20block_scan_algorithmE0ELj4294967295EEENS1_25partition_config_selectorILNS1_17partition_subalgoE4EjNS0_10empty_typeEbEEZZNS1_14partition_implILS8_4ELb0ES6_15HIP_vector_typeIjLj2EENS0_17counting_iteratorIjlEEPS9_SG_NS0_5tupleIJPjSI_NS0_16reverse_iteratorISI_EEEEENSH_IJSG_SG_SG_EEES9_SI_JZNS1_25segmented_radix_sort_implINS0_14default_configELb1EPKiPiPKlPlN2at6native12_GLOBAL__N_18offset_tEEE10hipError_tPvRmT1_PNSt15iterator_traitsIS12_E10value_typeET2_T3_PNS13_IS18_E10value_typeET4_jRbjT5_S1E_jjP12ihipStream_tbEUljE_ZNSN_ISO_Lb1ESQ_SR_ST_SU_SY_EESZ_S10_S11_S12_S16_S17_S18_S1B_S1C_jS1D_jS1E_S1E_jjS1G_bEUljE0_EEESZ_S10_S11_S18_S1C_S1E_T6_T7_T9_mT8_S1G_bDpT10_ENKUlT_T0_E_clISt17integral_constantIbLb1EES1U_EEDaS1P_S1Q_EUlS1P_E_NS1_11comp_targetILNS1_3genE2ELNS1_11target_archE906ELNS1_3gpuE6ELNS1_3repE0EEENS1_30default_config_static_selectorELNS0_4arch9wavefront6targetE1EEEvS12_
	.p2align	8
	.type	_ZN7rocprim17ROCPRIM_400000_NS6detail17trampoline_kernelINS0_13select_configILj256ELj13ELNS0_17block_load_methodE3ELS4_3ELS4_3ELNS0_20block_scan_algorithmE0ELj4294967295EEENS1_25partition_config_selectorILNS1_17partition_subalgoE4EjNS0_10empty_typeEbEEZZNS1_14partition_implILS8_4ELb0ES6_15HIP_vector_typeIjLj2EENS0_17counting_iteratorIjlEEPS9_SG_NS0_5tupleIJPjSI_NS0_16reverse_iteratorISI_EEEEENSH_IJSG_SG_SG_EEES9_SI_JZNS1_25segmented_radix_sort_implINS0_14default_configELb1EPKiPiPKlPlN2at6native12_GLOBAL__N_18offset_tEEE10hipError_tPvRmT1_PNSt15iterator_traitsIS12_E10value_typeET2_T3_PNS13_IS18_E10value_typeET4_jRbjT5_S1E_jjP12ihipStream_tbEUljE_ZNSN_ISO_Lb1ESQ_SR_ST_SU_SY_EESZ_S10_S11_S12_S16_S17_S18_S1B_S1C_jS1D_jS1E_S1E_jjS1G_bEUljE0_EEESZ_S10_S11_S18_S1C_S1E_T6_T7_T9_mT8_S1G_bDpT10_ENKUlT_T0_E_clISt17integral_constantIbLb1EES1U_EEDaS1P_S1Q_EUlS1P_E_NS1_11comp_targetILNS1_3genE2ELNS1_11target_archE906ELNS1_3gpuE6ELNS1_3repE0EEENS1_30default_config_static_selectorELNS0_4arch9wavefront6targetE1EEEvS12_,@function
_ZN7rocprim17ROCPRIM_400000_NS6detail17trampoline_kernelINS0_13select_configILj256ELj13ELNS0_17block_load_methodE3ELS4_3ELS4_3ELNS0_20block_scan_algorithmE0ELj4294967295EEENS1_25partition_config_selectorILNS1_17partition_subalgoE4EjNS0_10empty_typeEbEEZZNS1_14partition_implILS8_4ELb0ES6_15HIP_vector_typeIjLj2EENS0_17counting_iteratorIjlEEPS9_SG_NS0_5tupleIJPjSI_NS0_16reverse_iteratorISI_EEEEENSH_IJSG_SG_SG_EEES9_SI_JZNS1_25segmented_radix_sort_implINS0_14default_configELb1EPKiPiPKlPlN2at6native12_GLOBAL__N_18offset_tEEE10hipError_tPvRmT1_PNSt15iterator_traitsIS12_E10value_typeET2_T3_PNS13_IS18_E10value_typeET4_jRbjT5_S1E_jjP12ihipStream_tbEUljE_ZNSN_ISO_Lb1ESQ_SR_ST_SU_SY_EESZ_S10_S11_S12_S16_S17_S18_S1B_S1C_jS1D_jS1E_S1E_jjS1G_bEUljE0_EEESZ_S10_S11_S18_S1C_S1E_T6_T7_T9_mT8_S1G_bDpT10_ENKUlT_T0_E_clISt17integral_constantIbLb1EES1U_EEDaS1P_S1Q_EUlS1P_E_NS1_11comp_targetILNS1_3genE2ELNS1_11target_archE906ELNS1_3gpuE6ELNS1_3repE0EEENS1_30default_config_static_selectorELNS0_4arch9wavefront6targetE1EEEvS12_: ; @_ZN7rocprim17ROCPRIM_400000_NS6detail17trampoline_kernelINS0_13select_configILj256ELj13ELNS0_17block_load_methodE3ELS4_3ELS4_3ELNS0_20block_scan_algorithmE0ELj4294967295EEENS1_25partition_config_selectorILNS1_17partition_subalgoE4EjNS0_10empty_typeEbEEZZNS1_14partition_implILS8_4ELb0ES6_15HIP_vector_typeIjLj2EENS0_17counting_iteratorIjlEEPS9_SG_NS0_5tupleIJPjSI_NS0_16reverse_iteratorISI_EEEEENSH_IJSG_SG_SG_EEES9_SI_JZNS1_25segmented_radix_sort_implINS0_14default_configELb1EPKiPiPKlPlN2at6native12_GLOBAL__N_18offset_tEEE10hipError_tPvRmT1_PNSt15iterator_traitsIS12_E10value_typeET2_T3_PNS13_IS18_E10value_typeET4_jRbjT5_S1E_jjP12ihipStream_tbEUljE_ZNSN_ISO_Lb1ESQ_SR_ST_SU_SY_EESZ_S10_S11_S12_S16_S17_S18_S1B_S1C_jS1D_jS1E_S1E_jjS1G_bEUljE0_EEESZ_S10_S11_S18_S1C_S1E_T6_T7_T9_mT8_S1G_bDpT10_ENKUlT_T0_E_clISt17integral_constantIbLb1EES1U_EEDaS1P_S1Q_EUlS1P_E_NS1_11comp_targetILNS1_3genE2ELNS1_11target_archE906ELNS1_3gpuE6ELNS1_3repE0EEENS1_30default_config_static_selectorELNS0_4arch9wavefront6targetE1EEEvS12_
; %bb.0:
	.section	.rodata,"a",@progbits
	.p2align	6, 0x0
	.amdhsa_kernel _ZN7rocprim17ROCPRIM_400000_NS6detail17trampoline_kernelINS0_13select_configILj256ELj13ELNS0_17block_load_methodE3ELS4_3ELS4_3ELNS0_20block_scan_algorithmE0ELj4294967295EEENS1_25partition_config_selectorILNS1_17partition_subalgoE4EjNS0_10empty_typeEbEEZZNS1_14partition_implILS8_4ELb0ES6_15HIP_vector_typeIjLj2EENS0_17counting_iteratorIjlEEPS9_SG_NS0_5tupleIJPjSI_NS0_16reverse_iteratorISI_EEEEENSH_IJSG_SG_SG_EEES9_SI_JZNS1_25segmented_radix_sort_implINS0_14default_configELb1EPKiPiPKlPlN2at6native12_GLOBAL__N_18offset_tEEE10hipError_tPvRmT1_PNSt15iterator_traitsIS12_E10value_typeET2_T3_PNS13_IS18_E10value_typeET4_jRbjT5_S1E_jjP12ihipStream_tbEUljE_ZNSN_ISO_Lb1ESQ_SR_ST_SU_SY_EESZ_S10_S11_S12_S16_S17_S18_S1B_S1C_jS1D_jS1E_S1E_jjS1G_bEUljE0_EEESZ_S10_S11_S18_S1C_S1E_T6_T7_T9_mT8_S1G_bDpT10_ENKUlT_T0_E_clISt17integral_constantIbLb1EES1U_EEDaS1P_S1Q_EUlS1P_E_NS1_11comp_targetILNS1_3genE2ELNS1_11target_archE906ELNS1_3gpuE6ELNS1_3repE0EEENS1_30default_config_static_selectorELNS0_4arch9wavefront6targetE1EEEvS12_
		.amdhsa_group_segment_fixed_size 0
		.amdhsa_private_segment_fixed_size 0
		.amdhsa_kernarg_size 184
		.amdhsa_user_sgpr_count 6
		.amdhsa_user_sgpr_private_segment_buffer 1
		.amdhsa_user_sgpr_dispatch_ptr 0
		.amdhsa_user_sgpr_queue_ptr 0
		.amdhsa_user_sgpr_kernarg_segment_ptr 1
		.amdhsa_user_sgpr_dispatch_id 0
		.amdhsa_user_sgpr_flat_scratch_init 0
		.amdhsa_user_sgpr_kernarg_preload_length 0
		.amdhsa_user_sgpr_kernarg_preload_offset 0
		.amdhsa_user_sgpr_private_segment_size 0
		.amdhsa_uses_dynamic_stack 0
		.amdhsa_system_sgpr_private_segment_wavefront_offset 0
		.amdhsa_system_sgpr_workgroup_id_x 1
		.amdhsa_system_sgpr_workgroup_id_y 0
		.amdhsa_system_sgpr_workgroup_id_z 0
		.amdhsa_system_sgpr_workgroup_info 0
		.amdhsa_system_vgpr_workitem_id 0
		.amdhsa_next_free_vgpr 1
		.amdhsa_next_free_sgpr 0
		.amdhsa_accum_offset 4
		.amdhsa_reserve_vcc 0
		.amdhsa_reserve_flat_scratch 0
		.amdhsa_float_round_mode_32 0
		.amdhsa_float_round_mode_16_64 0
		.amdhsa_float_denorm_mode_32 3
		.amdhsa_float_denorm_mode_16_64 3
		.amdhsa_dx10_clamp 1
		.amdhsa_ieee_mode 1
		.amdhsa_fp16_overflow 0
		.amdhsa_tg_split 0
		.amdhsa_exception_fp_ieee_invalid_op 0
		.amdhsa_exception_fp_denorm_src 0
		.amdhsa_exception_fp_ieee_div_zero 0
		.amdhsa_exception_fp_ieee_overflow 0
		.amdhsa_exception_fp_ieee_underflow 0
		.amdhsa_exception_fp_ieee_inexact 0
		.amdhsa_exception_int_div_zero 0
	.end_amdhsa_kernel
	.section	.text._ZN7rocprim17ROCPRIM_400000_NS6detail17trampoline_kernelINS0_13select_configILj256ELj13ELNS0_17block_load_methodE3ELS4_3ELS4_3ELNS0_20block_scan_algorithmE0ELj4294967295EEENS1_25partition_config_selectorILNS1_17partition_subalgoE4EjNS0_10empty_typeEbEEZZNS1_14partition_implILS8_4ELb0ES6_15HIP_vector_typeIjLj2EENS0_17counting_iteratorIjlEEPS9_SG_NS0_5tupleIJPjSI_NS0_16reverse_iteratorISI_EEEEENSH_IJSG_SG_SG_EEES9_SI_JZNS1_25segmented_radix_sort_implINS0_14default_configELb1EPKiPiPKlPlN2at6native12_GLOBAL__N_18offset_tEEE10hipError_tPvRmT1_PNSt15iterator_traitsIS12_E10value_typeET2_T3_PNS13_IS18_E10value_typeET4_jRbjT5_S1E_jjP12ihipStream_tbEUljE_ZNSN_ISO_Lb1ESQ_SR_ST_SU_SY_EESZ_S10_S11_S12_S16_S17_S18_S1B_S1C_jS1D_jS1E_S1E_jjS1G_bEUljE0_EEESZ_S10_S11_S18_S1C_S1E_T6_T7_T9_mT8_S1G_bDpT10_ENKUlT_T0_E_clISt17integral_constantIbLb1EES1U_EEDaS1P_S1Q_EUlS1P_E_NS1_11comp_targetILNS1_3genE2ELNS1_11target_archE906ELNS1_3gpuE6ELNS1_3repE0EEENS1_30default_config_static_selectorELNS0_4arch9wavefront6targetE1EEEvS12_,"axG",@progbits,_ZN7rocprim17ROCPRIM_400000_NS6detail17trampoline_kernelINS0_13select_configILj256ELj13ELNS0_17block_load_methodE3ELS4_3ELS4_3ELNS0_20block_scan_algorithmE0ELj4294967295EEENS1_25partition_config_selectorILNS1_17partition_subalgoE4EjNS0_10empty_typeEbEEZZNS1_14partition_implILS8_4ELb0ES6_15HIP_vector_typeIjLj2EENS0_17counting_iteratorIjlEEPS9_SG_NS0_5tupleIJPjSI_NS0_16reverse_iteratorISI_EEEEENSH_IJSG_SG_SG_EEES9_SI_JZNS1_25segmented_radix_sort_implINS0_14default_configELb1EPKiPiPKlPlN2at6native12_GLOBAL__N_18offset_tEEE10hipError_tPvRmT1_PNSt15iterator_traitsIS12_E10value_typeET2_T3_PNS13_IS18_E10value_typeET4_jRbjT5_S1E_jjP12ihipStream_tbEUljE_ZNSN_ISO_Lb1ESQ_SR_ST_SU_SY_EESZ_S10_S11_S12_S16_S17_S18_S1B_S1C_jS1D_jS1E_S1E_jjS1G_bEUljE0_EEESZ_S10_S11_S18_S1C_S1E_T6_T7_T9_mT8_S1G_bDpT10_ENKUlT_T0_E_clISt17integral_constantIbLb1EES1U_EEDaS1P_S1Q_EUlS1P_E_NS1_11comp_targetILNS1_3genE2ELNS1_11target_archE906ELNS1_3gpuE6ELNS1_3repE0EEENS1_30default_config_static_selectorELNS0_4arch9wavefront6targetE1EEEvS12_,comdat
.Lfunc_end445:
	.size	_ZN7rocprim17ROCPRIM_400000_NS6detail17trampoline_kernelINS0_13select_configILj256ELj13ELNS0_17block_load_methodE3ELS4_3ELS4_3ELNS0_20block_scan_algorithmE0ELj4294967295EEENS1_25partition_config_selectorILNS1_17partition_subalgoE4EjNS0_10empty_typeEbEEZZNS1_14partition_implILS8_4ELb0ES6_15HIP_vector_typeIjLj2EENS0_17counting_iteratorIjlEEPS9_SG_NS0_5tupleIJPjSI_NS0_16reverse_iteratorISI_EEEEENSH_IJSG_SG_SG_EEES9_SI_JZNS1_25segmented_radix_sort_implINS0_14default_configELb1EPKiPiPKlPlN2at6native12_GLOBAL__N_18offset_tEEE10hipError_tPvRmT1_PNSt15iterator_traitsIS12_E10value_typeET2_T3_PNS13_IS18_E10value_typeET4_jRbjT5_S1E_jjP12ihipStream_tbEUljE_ZNSN_ISO_Lb1ESQ_SR_ST_SU_SY_EESZ_S10_S11_S12_S16_S17_S18_S1B_S1C_jS1D_jS1E_S1E_jjS1G_bEUljE0_EEESZ_S10_S11_S18_S1C_S1E_T6_T7_T9_mT8_S1G_bDpT10_ENKUlT_T0_E_clISt17integral_constantIbLb1EES1U_EEDaS1P_S1Q_EUlS1P_E_NS1_11comp_targetILNS1_3genE2ELNS1_11target_archE906ELNS1_3gpuE6ELNS1_3repE0EEENS1_30default_config_static_selectorELNS0_4arch9wavefront6targetE1EEEvS12_, .Lfunc_end445-_ZN7rocprim17ROCPRIM_400000_NS6detail17trampoline_kernelINS0_13select_configILj256ELj13ELNS0_17block_load_methodE3ELS4_3ELS4_3ELNS0_20block_scan_algorithmE0ELj4294967295EEENS1_25partition_config_selectorILNS1_17partition_subalgoE4EjNS0_10empty_typeEbEEZZNS1_14partition_implILS8_4ELb0ES6_15HIP_vector_typeIjLj2EENS0_17counting_iteratorIjlEEPS9_SG_NS0_5tupleIJPjSI_NS0_16reverse_iteratorISI_EEEEENSH_IJSG_SG_SG_EEES9_SI_JZNS1_25segmented_radix_sort_implINS0_14default_configELb1EPKiPiPKlPlN2at6native12_GLOBAL__N_18offset_tEEE10hipError_tPvRmT1_PNSt15iterator_traitsIS12_E10value_typeET2_T3_PNS13_IS18_E10value_typeET4_jRbjT5_S1E_jjP12ihipStream_tbEUljE_ZNSN_ISO_Lb1ESQ_SR_ST_SU_SY_EESZ_S10_S11_S12_S16_S17_S18_S1B_S1C_jS1D_jS1E_S1E_jjS1G_bEUljE0_EEESZ_S10_S11_S18_S1C_S1E_T6_T7_T9_mT8_S1G_bDpT10_ENKUlT_T0_E_clISt17integral_constantIbLb1EES1U_EEDaS1P_S1Q_EUlS1P_E_NS1_11comp_targetILNS1_3genE2ELNS1_11target_archE906ELNS1_3gpuE6ELNS1_3repE0EEENS1_30default_config_static_selectorELNS0_4arch9wavefront6targetE1EEEvS12_
                                        ; -- End function
	.section	.AMDGPU.csdata,"",@progbits
; Kernel info:
; codeLenInByte = 0
; NumSgprs: 4
; NumVgprs: 0
; NumAgprs: 0
; TotalNumVgprs: 0
; ScratchSize: 0
; MemoryBound: 0
; FloatMode: 240
; IeeeMode: 1
; LDSByteSize: 0 bytes/workgroup (compile time only)
; SGPRBlocks: 0
; VGPRBlocks: 0
; NumSGPRsForWavesPerEU: 4
; NumVGPRsForWavesPerEU: 1
; AccumOffset: 4
; Occupancy: 8
; WaveLimiterHint : 0
; COMPUTE_PGM_RSRC2:SCRATCH_EN: 0
; COMPUTE_PGM_RSRC2:USER_SGPR: 6
; COMPUTE_PGM_RSRC2:TRAP_HANDLER: 0
; COMPUTE_PGM_RSRC2:TGID_X_EN: 1
; COMPUTE_PGM_RSRC2:TGID_Y_EN: 0
; COMPUTE_PGM_RSRC2:TGID_Z_EN: 0
; COMPUTE_PGM_RSRC2:TIDIG_COMP_CNT: 0
; COMPUTE_PGM_RSRC3_GFX90A:ACCUM_OFFSET: 0
; COMPUTE_PGM_RSRC3_GFX90A:TG_SPLIT: 0
	.section	.text._ZN7rocprim17ROCPRIM_400000_NS6detail17trampoline_kernelINS0_13select_configILj256ELj13ELNS0_17block_load_methodE3ELS4_3ELS4_3ELNS0_20block_scan_algorithmE0ELj4294967295EEENS1_25partition_config_selectorILNS1_17partition_subalgoE4EjNS0_10empty_typeEbEEZZNS1_14partition_implILS8_4ELb0ES6_15HIP_vector_typeIjLj2EENS0_17counting_iteratorIjlEEPS9_SG_NS0_5tupleIJPjSI_NS0_16reverse_iteratorISI_EEEEENSH_IJSG_SG_SG_EEES9_SI_JZNS1_25segmented_radix_sort_implINS0_14default_configELb1EPKiPiPKlPlN2at6native12_GLOBAL__N_18offset_tEEE10hipError_tPvRmT1_PNSt15iterator_traitsIS12_E10value_typeET2_T3_PNS13_IS18_E10value_typeET4_jRbjT5_S1E_jjP12ihipStream_tbEUljE_ZNSN_ISO_Lb1ESQ_SR_ST_SU_SY_EESZ_S10_S11_S12_S16_S17_S18_S1B_S1C_jS1D_jS1E_S1E_jjS1G_bEUljE0_EEESZ_S10_S11_S18_S1C_S1E_T6_T7_T9_mT8_S1G_bDpT10_ENKUlT_T0_E_clISt17integral_constantIbLb1EES1U_EEDaS1P_S1Q_EUlS1P_E_NS1_11comp_targetILNS1_3genE10ELNS1_11target_archE1200ELNS1_3gpuE4ELNS1_3repE0EEENS1_30default_config_static_selectorELNS0_4arch9wavefront6targetE1EEEvS12_,"axG",@progbits,_ZN7rocprim17ROCPRIM_400000_NS6detail17trampoline_kernelINS0_13select_configILj256ELj13ELNS0_17block_load_methodE3ELS4_3ELS4_3ELNS0_20block_scan_algorithmE0ELj4294967295EEENS1_25partition_config_selectorILNS1_17partition_subalgoE4EjNS0_10empty_typeEbEEZZNS1_14partition_implILS8_4ELb0ES6_15HIP_vector_typeIjLj2EENS0_17counting_iteratorIjlEEPS9_SG_NS0_5tupleIJPjSI_NS0_16reverse_iteratorISI_EEEEENSH_IJSG_SG_SG_EEES9_SI_JZNS1_25segmented_radix_sort_implINS0_14default_configELb1EPKiPiPKlPlN2at6native12_GLOBAL__N_18offset_tEEE10hipError_tPvRmT1_PNSt15iterator_traitsIS12_E10value_typeET2_T3_PNS13_IS18_E10value_typeET4_jRbjT5_S1E_jjP12ihipStream_tbEUljE_ZNSN_ISO_Lb1ESQ_SR_ST_SU_SY_EESZ_S10_S11_S12_S16_S17_S18_S1B_S1C_jS1D_jS1E_S1E_jjS1G_bEUljE0_EEESZ_S10_S11_S18_S1C_S1E_T6_T7_T9_mT8_S1G_bDpT10_ENKUlT_T0_E_clISt17integral_constantIbLb1EES1U_EEDaS1P_S1Q_EUlS1P_E_NS1_11comp_targetILNS1_3genE10ELNS1_11target_archE1200ELNS1_3gpuE4ELNS1_3repE0EEENS1_30default_config_static_selectorELNS0_4arch9wavefront6targetE1EEEvS12_,comdat
	.globl	_ZN7rocprim17ROCPRIM_400000_NS6detail17trampoline_kernelINS0_13select_configILj256ELj13ELNS0_17block_load_methodE3ELS4_3ELS4_3ELNS0_20block_scan_algorithmE0ELj4294967295EEENS1_25partition_config_selectorILNS1_17partition_subalgoE4EjNS0_10empty_typeEbEEZZNS1_14partition_implILS8_4ELb0ES6_15HIP_vector_typeIjLj2EENS0_17counting_iteratorIjlEEPS9_SG_NS0_5tupleIJPjSI_NS0_16reverse_iteratorISI_EEEEENSH_IJSG_SG_SG_EEES9_SI_JZNS1_25segmented_radix_sort_implINS0_14default_configELb1EPKiPiPKlPlN2at6native12_GLOBAL__N_18offset_tEEE10hipError_tPvRmT1_PNSt15iterator_traitsIS12_E10value_typeET2_T3_PNS13_IS18_E10value_typeET4_jRbjT5_S1E_jjP12ihipStream_tbEUljE_ZNSN_ISO_Lb1ESQ_SR_ST_SU_SY_EESZ_S10_S11_S12_S16_S17_S18_S1B_S1C_jS1D_jS1E_S1E_jjS1G_bEUljE0_EEESZ_S10_S11_S18_S1C_S1E_T6_T7_T9_mT8_S1G_bDpT10_ENKUlT_T0_E_clISt17integral_constantIbLb1EES1U_EEDaS1P_S1Q_EUlS1P_E_NS1_11comp_targetILNS1_3genE10ELNS1_11target_archE1200ELNS1_3gpuE4ELNS1_3repE0EEENS1_30default_config_static_selectorELNS0_4arch9wavefront6targetE1EEEvS12_ ; -- Begin function _ZN7rocprim17ROCPRIM_400000_NS6detail17trampoline_kernelINS0_13select_configILj256ELj13ELNS0_17block_load_methodE3ELS4_3ELS4_3ELNS0_20block_scan_algorithmE0ELj4294967295EEENS1_25partition_config_selectorILNS1_17partition_subalgoE4EjNS0_10empty_typeEbEEZZNS1_14partition_implILS8_4ELb0ES6_15HIP_vector_typeIjLj2EENS0_17counting_iteratorIjlEEPS9_SG_NS0_5tupleIJPjSI_NS0_16reverse_iteratorISI_EEEEENSH_IJSG_SG_SG_EEES9_SI_JZNS1_25segmented_radix_sort_implINS0_14default_configELb1EPKiPiPKlPlN2at6native12_GLOBAL__N_18offset_tEEE10hipError_tPvRmT1_PNSt15iterator_traitsIS12_E10value_typeET2_T3_PNS13_IS18_E10value_typeET4_jRbjT5_S1E_jjP12ihipStream_tbEUljE_ZNSN_ISO_Lb1ESQ_SR_ST_SU_SY_EESZ_S10_S11_S12_S16_S17_S18_S1B_S1C_jS1D_jS1E_S1E_jjS1G_bEUljE0_EEESZ_S10_S11_S18_S1C_S1E_T6_T7_T9_mT8_S1G_bDpT10_ENKUlT_T0_E_clISt17integral_constantIbLb1EES1U_EEDaS1P_S1Q_EUlS1P_E_NS1_11comp_targetILNS1_3genE10ELNS1_11target_archE1200ELNS1_3gpuE4ELNS1_3repE0EEENS1_30default_config_static_selectorELNS0_4arch9wavefront6targetE1EEEvS12_
	.p2align	8
	.type	_ZN7rocprim17ROCPRIM_400000_NS6detail17trampoline_kernelINS0_13select_configILj256ELj13ELNS0_17block_load_methodE3ELS4_3ELS4_3ELNS0_20block_scan_algorithmE0ELj4294967295EEENS1_25partition_config_selectorILNS1_17partition_subalgoE4EjNS0_10empty_typeEbEEZZNS1_14partition_implILS8_4ELb0ES6_15HIP_vector_typeIjLj2EENS0_17counting_iteratorIjlEEPS9_SG_NS0_5tupleIJPjSI_NS0_16reverse_iteratorISI_EEEEENSH_IJSG_SG_SG_EEES9_SI_JZNS1_25segmented_radix_sort_implINS0_14default_configELb1EPKiPiPKlPlN2at6native12_GLOBAL__N_18offset_tEEE10hipError_tPvRmT1_PNSt15iterator_traitsIS12_E10value_typeET2_T3_PNS13_IS18_E10value_typeET4_jRbjT5_S1E_jjP12ihipStream_tbEUljE_ZNSN_ISO_Lb1ESQ_SR_ST_SU_SY_EESZ_S10_S11_S12_S16_S17_S18_S1B_S1C_jS1D_jS1E_S1E_jjS1G_bEUljE0_EEESZ_S10_S11_S18_S1C_S1E_T6_T7_T9_mT8_S1G_bDpT10_ENKUlT_T0_E_clISt17integral_constantIbLb1EES1U_EEDaS1P_S1Q_EUlS1P_E_NS1_11comp_targetILNS1_3genE10ELNS1_11target_archE1200ELNS1_3gpuE4ELNS1_3repE0EEENS1_30default_config_static_selectorELNS0_4arch9wavefront6targetE1EEEvS12_,@function
_ZN7rocprim17ROCPRIM_400000_NS6detail17trampoline_kernelINS0_13select_configILj256ELj13ELNS0_17block_load_methodE3ELS4_3ELS4_3ELNS0_20block_scan_algorithmE0ELj4294967295EEENS1_25partition_config_selectorILNS1_17partition_subalgoE4EjNS0_10empty_typeEbEEZZNS1_14partition_implILS8_4ELb0ES6_15HIP_vector_typeIjLj2EENS0_17counting_iteratorIjlEEPS9_SG_NS0_5tupleIJPjSI_NS0_16reverse_iteratorISI_EEEEENSH_IJSG_SG_SG_EEES9_SI_JZNS1_25segmented_radix_sort_implINS0_14default_configELb1EPKiPiPKlPlN2at6native12_GLOBAL__N_18offset_tEEE10hipError_tPvRmT1_PNSt15iterator_traitsIS12_E10value_typeET2_T3_PNS13_IS18_E10value_typeET4_jRbjT5_S1E_jjP12ihipStream_tbEUljE_ZNSN_ISO_Lb1ESQ_SR_ST_SU_SY_EESZ_S10_S11_S12_S16_S17_S18_S1B_S1C_jS1D_jS1E_S1E_jjS1G_bEUljE0_EEESZ_S10_S11_S18_S1C_S1E_T6_T7_T9_mT8_S1G_bDpT10_ENKUlT_T0_E_clISt17integral_constantIbLb1EES1U_EEDaS1P_S1Q_EUlS1P_E_NS1_11comp_targetILNS1_3genE10ELNS1_11target_archE1200ELNS1_3gpuE4ELNS1_3repE0EEENS1_30default_config_static_selectorELNS0_4arch9wavefront6targetE1EEEvS12_: ; @_ZN7rocprim17ROCPRIM_400000_NS6detail17trampoline_kernelINS0_13select_configILj256ELj13ELNS0_17block_load_methodE3ELS4_3ELS4_3ELNS0_20block_scan_algorithmE0ELj4294967295EEENS1_25partition_config_selectorILNS1_17partition_subalgoE4EjNS0_10empty_typeEbEEZZNS1_14partition_implILS8_4ELb0ES6_15HIP_vector_typeIjLj2EENS0_17counting_iteratorIjlEEPS9_SG_NS0_5tupleIJPjSI_NS0_16reverse_iteratorISI_EEEEENSH_IJSG_SG_SG_EEES9_SI_JZNS1_25segmented_radix_sort_implINS0_14default_configELb1EPKiPiPKlPlN2at6native12_GLOBAL__N_18offset_tEEE10hipError_tPvRmT1_PNSt15iterator_traitsIS12_E10value_typeET2_T3_PNS13_IS18_E10value_typeET4_jRbjT5_S1E_jjP12ihipStream_tbEUljE_ZNSN_ISO_Lb1ESQ_SR_ST_SU_SY_EESZ_S10_S11_S12_S16_S17_S18_S1B_S1C_jS1D_jS1E_S1E_jjS1G_bEUljE0_EEESZ_S10_S11_S18_S1C_S1E_T6_T7_T9_mT8_S1G_bDpT10_ENKUlT_T0_E_clISt17integral_constantIbLb1EES1U_EEDaS1P_S1Q_EUlS1P_E_NS1_11comp_targetILNS1_3genE10ELNS1_11target_archE1200ELNS1_3gpuE4ELNS1_3repE0EEENS1_30default_config_static_selectorELNS0_4arch9wavefront6targetE1EEEvS12_
; %bb.0:
	.section	.rodata,"a",@progbits
	.p2align	6, 0x0
	.amdhsa_kernel _ZN7rocprim17ROCPRIM_400000_NS6detail17trampoline_kernelINS0_13select_configILj256ELj13ELNS0_17block_load_methodE3ELS4_3ELS4_3ELNS0_20block_scan_algorithmE0ELj4294967295EEENS1_25partition_config_selectorILNS1_17partition_subalgoE4EjNS0_10empty_typeEbEEZZNS1_14partition_implILS8_4ELb0ES6_15HIP_vector_typeIjLj2EENS0_17counting_iteratorIjlEEPS9_SG_NS0_5tupleIJPjSI_NS0_16reverse_iteratorISI_EEEEENSH_IJSG_SG_SG_EEES9_SI_JZNS1_25segmented_radix_sort_implINS0_14default_configELb1EPKiPiPKlPlN2at6native12_GLOBAL__N_18offset_tEEE10hipError_tPvRmT1_PNSt15iterator_traitsIS12_E10value_typeET2_T3_PNS13_IS18_E10value_typeET4_jRbjT5_S1E_jjP12ihipStream_tbEUljE_ZNSN_ISO_Lb1ESQ_SR_ST_SU_SY_EESZ_S10_S11_S12_S16_S17_S18_S1B_S1C_jS1D_jS1E_S1E_jjS1G_bEUljE0_EEESZ_S10_S11_S18_S1C_S1E_T6_T7_T9_mT8_S1G_bDpT10_ENKUlT_T0_E_clISt17integral_constantIbLb1EES1U_EEDaS1P_S1Q_EUlS1P_E_NS1_11comp_targetILNS1_3genE10ELNS1_11target_archE1200ELNS1_3gpuE4ELNS1_3repE0EEENS1_30default_config_static_selectorELNS0_4arch9wavefront6targetE1EEEvS12_
		.amdhsa_group_segment_fixed_size 0
		.amdhsa_private_segment_fixed_size 0
		.amdhsa_kernarg_size 184
		.amdhsa_user_sgpr_count 6
		.amdhsa_user_sgpr_private_segment_buffer 1
		.amdhsa_user_sgpr_dispatch_ptr 0
		.amdhsa_user_sgpr_queue_ptr 0
		.amdhsa_user_sgpr_kernarg_segment_ptr 1
		.amdhsa_user_sgpr_dispatch_id 0
		.amdhsa_user_sgpr_flat_scratch_init 0
		.amdhsa_user_sgpr_kernarg_preload_length 0
		.amdhsa_user_sgpr_kernarg_preload_offset 0
		.amdhsa_user_sgpr_private_segment_size 0
		.amdhsa_uses_dynamic_stack 0
		.amdhsa_system_sgpr_private_segment_wavefront_offset 0
		.amdhsa_system_sgpr_workgroup_id_x 1
		.amdhsa_system_sgpr_workgroup_id_y 0
		.amdhsa_system_sgpr_workgroup_id_z 0
		.amdhsa_system_sgpr_workgroup_info 0
		.amdhsa_system_vgpr_workitem_id 0
		.amdhsa_next_free_vgpr 1
		.amdhsa_next_free_sgpr 0
		.amdhsa_accum_offset 4
		.amdhsa_reserve_vcc 0
		.amdhsa_reserve_flat_scratch 0
		.amdhsa_float_round_mode_32 0
		.amdhsa_float_round_mode_16_64 0
		.amdhsa_float_denorm_mode_32 3
		.amdhsa_float_denorm_mode_16_64 3
		.amdhsa_dx10_clamp 1
		.amdhsa_ieee_mode 1
		.amdhsa_fp16_overflow 0
		.amdhsa_tg_split 0
		.amdhsa_exception_fp_ieee_invalid_op 0
		.amdhsa_exception_fp_denorm_src 0
		.amdhsa_exception_fp_ieee_div_zero 0
		.amdhsa_exception_fp_ieee_overflow 0
		.amdhsa_exception_fp_ieee_underflow 0
		.amdhsa_exception_fp_ieee_inexact 0
		.amdhsa_exception_int_div_zero 0
	.end_amdhsa_kernel
	.section	.text._ZN7rocprim17ROCPRIM_400000_NS6detail17trampoline_kernelINS0_13select_configILj256ELj13ELNS0_17block_load_methodE3ELS4_3ELS4_3ELNS0_20block_scan_algorithmE0ELj4294967295EEENS1_25partition_config_selectorILNS1_17partition_subalgoE4EjNS0_10empty_typeEbEEZZNS1_14partition_implILS8_4ELb0ES6_15HIP_vector_typeIjLj2EENS0_17counting_iteratorIjlEEPS9_SG_NS0_5tupleIJPjSI_NS0_16reverse_iteratorISI_EEEEENSH_IJSG_SG_SG_EEES9_SI_JZNS1_25segmented_radix_sort_implINS0_14default_configELb1EPKiPiPKlPlN2at6native12_GLOBAL__N_18offset_tEEE10hipError_tPvRmT1_PNSt15iterator_traitsIS12_E10value_typeET2_T3_PNS13_IS18_E10value_typeET4_jRbjT5_S1E_jjP12ihipStream_tbEUljE_ZNSN_ISO_Lb1ESQ_SR_ST_SU_SY_EESZ_S10_S11_S12_S16_S17_S18_S1B_S1C_jS1D_jS1E_S1E_jjS1G_bEUljE0_EEESZ_S10_S11_S18_S1C_S1E_T6_T7_T9_mT8_S1G_bDpT10_ENKUlT_T0_E_clISt17integral_constantIbLb1EES1U_EEDaS1P_S1Q_EUlS1P_E_NS1_11comp_targetILNS1_3genE10ELNS1_11target_archE1200ELNS1_3gpuE4ELNS1_3repE0EEENS1_30default_config_static_selectorELNS0_4arch9wavefront6targetE1EEEvS12_,"axG",@progbits,_ZN7rocprim17ROCPRIM_400000_NS6detail17trampoline_kernelINS0_13select_configILj256ELj13ELNS0_17block_load_methodE3ELS4_3ELS4_3ELNS0_20block_scan_algorithmE0ELj4294967295EEENS1_25partition_config_selectorILNS1_17partition_subalgoE4EjNS0_10empty_typeEbEEZZNS1_14partition_implILS8_4ELb0ES6_15HIP_vector_typeIjLj2EENS0_17counting_iteratorIjlEEPS9_SG_NS0_5tupleIJPjSI_NS0_16reverse_iteratorISI_EEEEENSH_IJSG_SG_SG_EEES9_SI_JZNS1_25segmented_radix_sort_implINS0_14default_configELb1EPKiPiPKlPlN2at6native12_GLOBAL__N_18offset_tEEE10hipError_tPvRmT1_PNSt15iterator_traitsIS12_E10value_typeET2_T3_PNS13_IS18_E10value_typeET4_jRbjT5_S1E_jjP12ihipStream_tbEUljE_ZNSN_ISO_Lb1ESQ_SR_ST_SU_SY_EESZ_S10_S11_S12_S16_S17_S18_S1B_S1C_jS1D_jS1E_S1E_jjS1G_bEUljE0_EEESZ_S10_S11_S18_S1C_S1E_T6_T7_T9_mT8_S1G_bDpT10_ENKUlT_T0_E_clISt17integral_constantIbLb1EES1U_EEDaS1P_S1Q_EUlS1P_E_NS1_11comp_targetILNS1_3genE10ELNS1_11target_archE1200ELNS1_3gpuE4ELNS1_3repE0EEENS1_30default_config_static_selectorELNS0_4arch9wavefront6targetE1EEEvS12_,comdat
.Lfunc_end446:
	.size	_ZN7rocprim17ROCPRIM_400000_NS6detail17trampoline_kernelINS0_13select_configILj256ELj13ELNS0_17block_load_methodE3ELS4_3ELS4_3ELNS0_20block_scan_algorithmE0ELj4294967295EEENS1_25partition_config_selectorILNS1_17partition_subalgoE4EjNS0_10empty_typeEbEEZZNS1_14partition_implILS8_4ELb0ES6_15HIP_vector_typeIjLj2EENS0_17counting_iteratorIjlEEPS9_SG_NS0_5tupleIJPjSI_NS0_16reverse_iteratorISI_EEEEENSH_IJSG_SG_SG_EEES9_SI_JZNS1_25segmented_radix_sort_implINS0_14default_configELb1EPKiPiPKlPlN2at6native12_GLOBAL__N_18offset_tEEE10hipError_tPvRmT1_PNSt15iterator_traitsIS12_E10value_typeET2_T3_PNS13_IS18_E10value_typeET4_jRbjT5_S1E_jjP12ihipStream_tbEUljE_ZNSN_ISO_Lb1ESQ_SR_ST_SU_SY_EESZ_S10_S11_S12_S16_S17_S18_S1B_S1C_jS1D_jS1E_S1E_jjS1G_bEUljE0_EEESZ_S10_S11_S18_S1C_S1E_T6_T7_T9_mT8_S1G_bDpT10_ENKUlT_T0_E_clISt17integral_constantIbLb1EES1U_EEDaS1P_S1Q_EUlS1P_E_NS1_11comp_targetILNS1_3genE10ELNS1_11target_archE1200ELNS1_3gpuE4ELNS1_3repE0EEENS1_30default_config_static_selectorELNS0_4arch9wavefront6targetE1EEEvS12_, .Lfunc_end446-_ZN7rocprim17ROCPRIM_400000_NS6detail17trampoline_kernelINS0_13select_configILj256ELj13ELNS0_17block_load_methodE3ELS4_3ELS4_3ELNS0_20block_scan_algorithmE0ELj4294967295EEENS1_25partition_config_selectorILNS1_17partition_subalgoE4EjNS0_10empty_typeEbEEZZNS1_14partition_implILS8_4ELb0ES6_15HIP_vector_typeIjLj2EENS0_17counting_iteratorIjlEEPS9_SG_NS0_5tupleIJPjSI_NS0_16reverse_iteratorISI_EEEEENSH_IJSG_SG_SG_EEES9_SI_JZNS1_25segmented_radix_sort_implINS0_14default_configELb1EPKiPiPKlPlN2at6native12_GLOBAL__N_18offset_tEEE10hipError_tPvRmT1_PNSt15iterator_traitsIS12_E10value_typeET2_T3_PNS13_IS18_E10value_typeET4_jRbjT5_S1E_jjP12ihipStream_tbEUljE_ZNSN_ISO_Lb1ESQ_SR_ST_SU_SY_EESZ_S10_S11_S12_S16_S17_S18_S1B_S1C_jS1D_jS1E_S1E_jjS1G_bEUljE0_EEESZ_S10_S11_S18_S1C_S1E_T6_T7_T9_mT8_S1G_bDpT10_ENKUlT_T0_E_clISt17integral_constantIbLb1EES1U_EEDaS1P_S1Q_EUlS1P_E_NS1_11comp_targetILNS1_3genE10ELNS1_11target_archE1200ELNS1_3gpuE4ELNS1_3repE0EEENS1_30default_config_static_selectorELNS0_4arch9wavefront6targetE1EEEvS12_
                                        ; -- End function
	.section	.AMDGPU.csdata,"",@progbits
; Kernel info:
; codeLenInByte = 0
; NumSgprs: 4
; NumVgprs: 0
; NumAgprs: 0
; TotalNumVgprs: 0
; ScratchSize: 0
; MemoryBound: 0
; FloatMode: 240
; IeeeMode: 1
; LDSByteSize: 0 bytes/workgroup (compile time only)
; SGPRBlocks: 0
; VGPRBlocks: 0
; NumSGPRsForWavesPerEU: 4
; NumVGPRsForWavesPerEU: 1
; AccumOffset: 4
; Occupancy: 8
; WaveLimiterHint : 0
; COMPUTE_PGM_RSRC2:SCRATCH_EN: 0
; COMPUTE_PGM_RSRC2:USER_SGPR: 6
; COMPUTE_PGM_RSRC2:TRAP_HANDLER: 0
; COMPUTE_PGM_RSRC2:TGID_X_EN: 1
; COMPUTE_PGM_RSRC2:TGID_Y_EN: 0
; COMPUTE_PGM_RSRC2:TGID_Z_EN: 0
; COMPUTE_PGM_RSRC2:TIDIG_COMP_CNT: 0
; COMPUTE_PGM_RSRC3_GFX90A:ACCUM_OFFSET: 0
; COMPUTE_PGM_RSRC3_GFX90A:TG_SPLIT: 0
	.section	.text._ZN7rocprim17ROCPRIM_400000_NS6detail17trampoline_kernelINS0_13select_configILj256ELj13ELNS0_17block_load_methodE3ELS4_3ELS4_3ELNS0_20block_scan_algorithmE0ELj4294967295EEENS1_25partition_config_selectorILNS1_17partition_subalgoE4EjNS0_10empty_typeEbEEZZNS1_14partition_implILS8_4ELb0ES6_15HIP_vector_typeIjLj2EENS0_17counting_iteratorIjlEEPS9_SG_NS0_5tupleIJPjSI_NS0_16reverse_iteratorISI_EEEEENSH_IJSG_SG_SG_EEES9_SI_JZNS1_25segmented_radix_sort_implINS0_14default_configELb1EPKiPiPKlPlN2at6native12_GLOBAL__N_18offset_tEEE10hipError_tPvRmT1_PNSt15iterator_traitsIS12_E10value_typeET2_T3_PNS13_IS18_E10value_typeET4_jRbjT5_S1E_jjP12ihipStream_tbEUljE_ZNSN_ISO_Lb1ESQ_SR_ST_SU_SY_EESZ_S10_S11_S12_S16_S17_S18_S1B_S1C_jS1D_jS1E_S1E_jjS1G_bEUljE0_EEESZ_S10_S11_S18_S1C_S1E_T6_T7_T9_mT8_S1G_bDpT10_ENKUlT_T0_E_clISt17integral_constantIbLb1EES1U_EEDaS1P_S1Q_EUlS1P_E_NS1_11comp_targetILNS1_3genE9ELNS1_11target_archE1100ELNS1_3gpuE3ELNS1_3repE0EEENS1_30default_config_static_selectorELNS0_4arch9wavefront6targetE1EEEvS12_,"axG",@progbits,_ZN7rocprim17ROCPRIM_400000_NS6detail17trampoline_kernelINS0_13select_configILj256ELj13ELNS0_17block_load_methodE3ELS4_3ELS4_3ELNS0_20block_scan_algorithmE0ELj4294967295EEENS1_25partition_config_selectorILNS1_17partition_subalgoE4EjNS0_10empty_typeEbEEZZNS1_14partition_implILS8_4ELb0ES6_15HIP_vector_typeIjLj2EENS0_17counting_iteratorIjlEEPS9_SG_NS0_5tupleIJPjSI_NS0_16reverse_iteratorISI_EEEEENSH_IJSG_SG_SG_EEES9_SI_JZNS1_25segmented_radix_sort_implINS0_14default_configELb1EPKiPiPKlPlN2at6native12_GLOBAL__N_18offset_tEEE10hipError_tPvRmT1_PNSt15iterator_traitsIS12_E10value_typeET2_T3_PNS13_IS18_E10value_typeET4_jRbjT5_S1E_jjP12ihipStream_tbEUljE_ZNSN_ISO_Lb1ESQ_SR_ST_SU_SY_EESZ_S10_S11_S12_S16_S17_S18_S1B_S1C_jS1D_jS1E_S1E_jjS1G_bEUljE0_EEESZ_S10_S11_S18_S1C_S1E_T6_T7_T9_mT8_S1G_bDpT10_ENKUlT_T0_E_clISt17integral_constantIbLb1EES1U_EEDaS1P_S1Q_EUlS1P_E_NS1_11comp_targetILNS1_3genE9ELNS1_11target_archE1100ELNS1_3gpuE3ELNS1_3repE0EEENS1_30default_config_static_selectorELNS0_4arch9wavefront6targetE1EEEvS12_,comdat
	.globl	_ZN7rocprim17ROCPRIM_400000_NS6detail17trampoline_kernelINS0_13select_configILj256ELj13ELNS0_17block_load_methodE3ELS4_3ELS4_3ELNS0_20block_scan_algorithmE0ELj4294967295EEENS1_25partition_config_selectorILNS1_17partition_subalgoE4EjNS0_10empty_typeEbEEZZNS1_14partition_implILS8_4ELb0ES6_15HIP_vector_typeIjLj2EENS0_17counting_iteratorIjlEEPS9_SG_NS0_5tupleIJPjSI_NS0_16reverse_iteratorISI_EEEEENSH_IJSG_SG_SG_EEES9_SI_JZNS1_25segmented_radix_sort_implINS0_14default_configELb1EPKiPiPKlPlN2at6native12_GLOBAL__N_18offset_tEEE10hipError_tPvRmT1_PNSt15iterator_traitsIS12_E10value_typeET2_T3_PNS13_IS18_E10value_typeET4_jRbjT5_S1E_jjP12ihipStream_tbEUljE_ZNSN_ISO_Lb1ESQ_SR_ST_SU_SY_EESZ_S10_S11_S12_S16_S17_S18_S1B_S1C_jS1D_jS1E_S1E_jjS1G_bEUljE0_EEESZ_S10_S11_S18_S1C_S1E_T6_T7_T9_mT8_S1G_bDpT10_ENKUlT_T0_E_clISt17integral_constantIbLb1EES1U_EEDaS1P_S1Q_EUlS1P_E_NS1_11comp_targetILNS1_3genE9ELNS1_11target_archE1100ELNS1_3gpuE3ELNS1_3repE0EEENS1_30default_config_static_selectorELNS0_4arch9wavefront6targetE1EEEvS12_ ; -- Begin function _ZN7rocprim17ROCPRIM_400000_NS6detail17trampoline_kernelINS0_13select_configILj256ELj13ELNS0_17block_load_methodE3ELS4_3ELS4_3ELNS0_20block_scan_algorithmE0ELj4294967295EEENS1_25partition_config_selectorILNS1_17partition_subalgoE4EjNS0_10empty_typeEbEEZZNS1_14partition_implILS8_4ELb0ES6_15HIP_vector_typeIjLj2EENS0_17counting_iteratorIjlEEPS9_SG_NS0_5tupleIJPjSI_NS0_16reverse_iteratorISI_EEEEENSH_IJSG_SG_SG_EEES9_SI_JZNS1_25segmented_radix_sort_implINS0_14default_configELb1EPKiPiPKlPlN2at6native12_GLOBAL__N_18offset_tEEE10hipError_tPvRmT1_PNSt15iterator_traitsIS12_E10value_typeET2_T3_PNS13_IS18_E10value_typeET4_jRbjT5_S1E_jjP12ihipStream_tbEUljE_ZNSN_ISO_Lb1ESQ_SR_ST_SU_SY_EESZ_S10_S11_S12_S16_S17_S18_S1B_S1C_jS1D_jS1E_S1E_jjS1G_bEUljE0_EEESZ_S10_S11_S18_S1C_S1E_T6_T7_T9_mT8_S1G_bDpT10_ENKUlT_T0_E_clISt17integral_constantIbLb1EES1U_EEDaS1P_S1Q_EUlS1P_E_NS1_11comp_targetILNS1_3genE9ELNS1_11target_archE1100ELNS1_3gpuE3ELNS1_3repE0EEENS1_30default_config_static_selectorELNS0_4arch9wavefront6targetE1EEEvS12_
	.p2align	8
	.type	_ZN7rocprim17ROCPRIM_400000_NS6detail17trampoline_kernelINS0_13select_configILj256ELj13ELNS0_17block_load_methodE3ELS4_3ELS4_3ELNS0_20block_scan_algorithmE0ELj4294967295EEENS1_25partition_config_selectorILNS1_17partition_subalgoE4EjNS0_10empty_typeEbEEZZNS1_14partition_implILS8_4ELb0ES6_15HIP_vector_typeIjLj2EENS0_17counting_iteratorIjlEEPS9_SG_NS0_5tupleIJPjSI_NS0_16reverse_iteratorISI_EEEEENSH_IJSG_SG_SG_EEES9_SI_JZNS1_25segmented_radix_sort_implINS0_14default_configELb1EPKiPiPKlPlN2at6native12_GLOBAL__N_18offset_tEEE10hipError_tPvRmT1_PNSt15iterator_traitsIS12_E10value_typeET2_T3_PNS13_IS18_E10value_typeET4_jRbjT5_S1E_jjP12ihipStream_tbEUljE_ZNSN_ISO_Lb1ESQ_SR_ST_SU_SY_EESZ_S10_S11_S12_S16_S17_S18_S1B_S1C_jS1D_jS1E_S1E_jjS1G_bEUljE0_EEESZ_S10_S11_S18_S1C_S1E_T6_T7_T9_mT8_S1G_bDpT10_ENKUlT_T0_E_clISt17integral_constantIbLb1EES1U_EEDaS1P_S1Q_EUlS1P_E_NS1_11comp_targetILNS1_3genE9ELNS1_11target_archE1100ELNS1_3gpuE3ELNS1_3repE0EEENS1_30default_config_static_selectorELNS0_4arch9wavefront6targetE1EEEvS12_,@function
_ZN7rocprim17ROCPRIM_400000_NS6detail17trampoline_kernelINS0_13select_configILj256ELj13ELNS0_17block_load_methodE3ELS4_3ELS4_3ELNS0_20block_scan_algorithmE0ELj4294967295EEENS1_25partition_config_selectorILNS1_17partition_subalgoE4EjNS0_10empty_typeEbEEZZNS1_14partition_implILS8_4ELb0ES6_15HIP_vector_typeIjLj2EENS0_17counting_iteratorIjlEEPS9_SG_NS0_5tupleIJPjSI_NS0_16reverse_iteratorISI_EEEEENSH_IJSG_SG_SG_EEES9_SI_JZNS1_25segmented_radix_sort_implINS0_14default_configELb1EPKiPiPKlPlN2at6native12_GLOBAL__N_18offset_tEEE10hipError_tPvRmT1_PNSt15iterator_traitsIS12_E10value_typeET2_T3_PNS13_IS18_E10value_typeET4_jRbjT5_S1E_jjP12ihipStream_tbEUljE_ZNSN_ISO_Lb1ESQ_SR_ST_SU_SY_EESZ_S10_S11_S12_S16_S17_S18_S1B_S1C_jS1D_jS1E_S1E_jjS1G_bEUljE0_EEESZ_S10_S11_S18_S1C_S1E_T6_T7_T9_mT8_S1G_bDpT10_ENKUlT_T0_E_clISt17integral_constantIbLb1EES1U_EEDaS1P_S1Q_EUlS1P_E_NS1_11comp_targetILNS1_3genE9ELNS1_11target_archE1100ELNS1_3gpuE3ELNS1_3repE0EEENS1_30default_config_static_selectorELNS0_4arch9wavefront6targetE1EEEvS12_: ; @_ZN7rocprim17ROCPRIM_400000_NS6detail17trampoline_kernelINS0_13select_configILj256ELj13ELNS0_17block_load_methodE3ELS4_3ELS4_3ELNS0_20block_scan_algorithmE0ELj4294967295EEENS1_25partition_config_selectorILNS1_17partition_subalgoE4EjNS0_10empty_typeEbEEZZNS1_14partition_implILS8_4ELb0ES6_15HIP_vector_typeIjLj2EENS0_17counting_iteratorIjlEEPS9_SG_NS0_5tupleIJPjSI_NS0_16reverse_iteratorISI_EEEEENSH_IJSG_SG_SG_EEES9_SI_JZNS1_25segmented_radix_sort_implINS0_14default_configELb1EPKiPiPKlPlN2at6native12_GLOBAL__N_18offset_tEEE10hipError_tPvRmT1_PNSt15iterator_traitsIS12_E10value_typeET2_T3_PNS13_IS18_E10value_typeET4_jRbjT5_S1E_jjP12ihipStream_tbEUljE_ZNSN_ISO_Lb1ESQ_SR_ST_SU_SY_EESZ_S10_S11_S12_S16_S17_S18_S1B_S1C_jS1D_jS1E_S1E_jjS1G_bEUljE0_EEESZ_S10_S11_S18_S1C_S1E_T6_T7_T9_mT8_S1G_bDpT10_ENKUlT_T0_E_clISt17integral_constantIbLb1EES1U_EEDaS1P_S1Q_EUlS1P_E_NS1_11comp_targetILNS1_3genE9ELNS1_11target_archE1100ELNS1_3gpuE3ELNS1_3repE0EEENS1_30default_config_static_selectorELNS0_4arch9wavefront6targetE1EEEvS12_
; %bb.0:
	.section	.rodata,"a",@progbits
	.p2align	6, 0x0
	.amdhsa_kernel _ZN7rocprim17ROCPRIM_400000_NS6detail17trampoline_kernelINS0_13select_configILj256ELj13ELNS0_17block_load_methodE3ELS4_3ELS4_3ELNS0_20block_scan_algorithmE0ELj4294967295EEENS1_25partition_config_selectorILNS1_17partition_subalgoE4EjNS0_10empty_typeEbEEZZNS1_14partition_implILS8_4ELb0ES6_15HIP_vector_typeIjLj2EENS0_17counting_iteratorIjlEEPS9_SG_NS0_5tupleIJPjSI_NS0_16reverse_iteratorISI_EEEEENSH_IJSG_SG_SG_EEES9_SI_JZNS1_25segmented_radix_sort_implINS0_14default_configELb1EPKiPiPKlPlN2at6native12_GLOBAL__N_18offset_tEEE10hipError_tPvRmT1_PNSt15iterator_traitsIS12_E10value_typeET2_T3_PNS13_IS18_E10value_typeET4_jRbjT5_S1E_jjP12ihipStream_tbEUljE_ZNSN_ISO_Lb1ESQ_SR_ST_SU_SY_EESZ_S10_S11_S12_S16_S17_S18_S1B_S1C_jS1D_jS1E_S1E_jjS1G_bEUljE0_EEESZ_S10_S11_S18_S1C_S1E_T6_T7_T9_mT8_S1G_bDpT10_ENKUlT_T0_E_clISt17integral_constantIbLb1EES1U_EEDaS1P_S1Q_EUlS1P_E_NS1_11comp_targetILNS1_3genE9ELNS1_11target_archE1100ELNS1_3gpuE3ELNS1_3repE0EEENS1_30default_config_static_selectorELNS0_4arch9wavefront6targetE1EEEvS12_
		.amdhsa_group_segment_fixed_size 0
		.amdhsa_private_segment_fixed_size 0
		.amdhsa_kernarg_size 184
		.amdhsa_user_sgpr_count 6
		.amdhsa_user_sgpr_private_segment_buffer 1
		.amdhsa_user_sgpr_dispatch_ptr 0
		.amdhsa_user_sgpr_queue_ptr 0
		.amdhsa_user_sgpr_kernarg_segment_ptr 1
		.amdhsa_user_sgpr_dispatch_id 0
		.amdhsa_user_sgpr_flat_scratch_init 0
		.amdhsa_user_sgpr_kernarg_preload_length 0
		.amdhsa_user_sgpr_kernarg_preload_offset 0
		.amdhsa_user_sgpr_private_segment_size 0
		.amdhsa_uses_dynamic_stack 0
		.amdhsa_system_sgpr_private_segment_wavefront_offset 0
		.amdhsa_system_sgpr_workgroup_id_x 1
		.amdhsa_system_sgpr_workgroup_id_y 0
		.amdhsa_system_sgpr_workgroup_id_z 0
		.amdhsa_system_sgpr_workgroup_info 0
		.amdhsa_system_vgpr_workitem_id 0
		.amdhsa_next_free_vgpr 1
		.amdhsa_next_free_sgpr 0
		.amdhsa_accum_offset 4
		.amdhsa_reserve_vcc 0
		.amdhsa_reserve_flat_scratch 0
		.amdhsa_float_round_mode_32 0
		.amdhsa_float_round_mode_16_64 0
		.amdhsa_float_denorm_mode_32 3
		.amdhsa_float_denorm_mode_16_64 3
		.amdhsa_dx10_clamp 1
		.amdhsa_ieee_mode 1
		.amdhsa_fp16_overflow 0
		.amdhsa_tg_split 0
		.amdhsa_exception_fp_ieee_invalid_op 0
		.amdhsa_exception_fp_denorm_src 0
		.amdhsa_exception_fp_ieee_div_zero 0
		.amdhsa_exception_fp_ieee_overflow 0
		.amdhsa_exception_fp_ieee_underflow 0
		.amdhsa_exception_fp_ieee_inexact 0
		.amdhsa_exception_int_div_zero 0
	.end_amdhsa_kernel
	.section	.text._ZN7rocprim17ROCPRIM_400000_NS6detail17trampoline_kernelINS0_13select_configILj256ELj13ELNS0_17block_load_methodE3ELS4_3ELS4_3ELNS0_20block_scan_algorithmE0ELj4294967295EEENS1_25partition_config_selectorILNS1_17partition_subalgoE4EjNS0_10empty_typeEbEEZZNS1_14partition_implILS8_4ELb0ES6_15HIP_vector_typeIjLj2EENS0_17counting_iteratorIjlEEPS9_SG_NS0_5tupleIJPjSI_NS0_16reverse_iteratorISI_EEEEENSH_IJSG_SG_SG_EEES9_SI_JZNS1_25segmented_radix_sort_implINS0_14default_configELb1EPKiPiPKlPlN2at6native12_GLOBAL__N_18offset_tEEE10hipError_tPvRmT1_PNSt15iterator_traitsIS12_E10value_typeET2_T3_PNS13_IS18_E10value_typeET4_jRbjT5_S1E_jjP12ihipStream_tbEUljE_ZNSN_ISO_Lb1ESQ_SR_ST_SU_SY_EESZ_S10_S11_S12_S16_S17_S18_S1B_S1C_jS1D_jS1E_S1E_jjS1G_bEUljE0_EEESZ_S10_S11_S18_S1C_S1E_T6_T7_T9_mT8_S1G_bDpT10_ENKUlT_T0_E_clISt17integral_constantIbLb1EES1U_EEDaS1P_S1Q_EUlS1P_E_NS1_11comp_targetILNS1_3genE9ELNS1_11target_archE1100ELNS1_3gpuE3ELNS1_3repE0EEENS1_30default_config_static_selectorELNS0_4arch9wavefront6targetE1EEEvS12_,"axG",@progbits,_ZN7rocprim17ROCPRIM_400000_NS6detail17trampoline_kernelINS0_13select_configILj256ELj13ELNS0_17block_load_methodE3ELS4_3ELS4_3ELNS0_20block_scan_algorithmE0ELj4294967295EEENS1_25partition_config_selectorILNS1_17partition_subalgoE4EjNS0_10empty_typeEbEEZZNS1_14partition_implILS8_4ELb0ES6_15HIP_vector_typeIjLj2EENS0_17counting_iteratorIjlEEPS9_SG_NS0_5tupleIJPjSI_NS0_16reverse_iteratorISI_EEEEENSH_IJSG_SG_SG_EEES9_SI_JZNS1_25segmented_radix_sort_implINS0_14default_configELb1EPKiPiPKlPlN2at6native12_GLOBAL__N_18offset_tEEE10hipError_tPvRmT1_PNSt15iterator_traitsIS12_E10value_typeET2_T3_PNS13_IS18_E10value_typeET4_jRbjT5_S1E_jjP12ihipStream_tbEUljE_ZNSN_ISO_Lb1ESQ_SR_ST_SU_SY_EESZ_S10_S11_S12_S16_S17_S18_S1B_S1C_jS1D_jS1E_S1E_jjS1G_bEUljE0_EEESZ_S10_S11_S18_S1C_S1E_T6_T7_T9_mT8_S1G_bDpT10_ENKUlT_T0_E_clISt17integral_constantIbLb1EES1U_EEDaS1P_S1Q_EUlS1P_E_NS1_11comp_targetILNS1_3genE9ELNS1_11target_archE1100ELNS1_3gpuE3ELNS1_3repE0EEENS1_30default_config_static_selectorELNS0_4arch9wavefront6targetE1EEEvS12_,comdat
.Lfunc_end447:
	.size	_ZN7rocprim17ROCPRIM_400000_NS6detail17trampoline_kernelINS0_13select_configILj256ELj13ELNS0_17block_load_methodE3ELS4_3ELS4_3ELNS0_20block_scan_algorithmE0ELj4294967295EEENS1_25partition_config_selectorILNS1_17partition_subalgoE4EjNS0_10empty_typeEbEEZZNS1_14partition_implILS8_4ELb0ES6_15HIP_vector_typeIjLj2EENS0_17counting_iteratorIjlEEPS9_SG_NS0_5tupleIJPjSI_NS0_16reverse_iteratorISI_EEEEENSH_IJSG_SG_SG_EEES9_SI_JZNS1_25segmented_radix_sort_implINS0_14default_configELb1EPKiPiPKlPlN2at6native12_GLOBAL__N_18offset_tEEE10hipError_tPvRmT1_PNSt15iterator_traitsIS12_E10value_typeET2_T3_PNS13_IS18_E10value_typeET4_jRbjT5_S1E_jjP12ihipStream_tbEUljE_ZNSN_ISO_Lb1ESQ_SR_ST_SU_SY_EESZ_S10_S11_S12_S16_S17_S18_S1B_S1C_jS1D_jS1E_S1E_jjS1G_bEUljE0_EEESZ_S10_S11_S18_S1C_S1E_T6_T7_T9_mT8_S1G_bDpT10_ENKUlT_T0_E_clISt17integral_constantIbLb1EES1U_EEDaS1P_S1Q_EUlS1P_E_NS1_11comp_targetILNS1_3genE9ELNS1_11target_archE1100ELNS1_3gpuE3ELNS1_3repE0EEENS1_30default_config_static_selectorELNS0_4arch9wavefront6targetE1EEEvS12_, .Lfunc_end447-_ZN7rocprim17ROCPRIM_400000_NS6detail17trampoline_kernelINS0_13select_configILj256ELj13ELNS0_17block_load_methodE3ELS4_3ELS4_3ELNS0_20block_scan_algorithmE0ELj4294967295EEENS1_25partition_config_selectorILNS1_17partition_subalgoE4EjNS0_10empty_typeEbEEZZNS1_14partition_implILS8_4ELb0ES6_15HIP_vector_typeIjLj2EENS0_17counting_iteratorIjlEEPS9_SG_NS0_5tupleIJPjSI_NS0_16reverse_iteratorISI_EEEEENSH_IJSG_SG_SG_EEES9_SI_JZNS1_25segmented_radix_sort_implINS0_14default_configELb1EPKiPiPKlPlN2at6native12_GLOBAL__N_18offset_tEEE10hipError_tPvRmT1_PNSt15iterator_traitsIS12_E10value_typeET2_T3_PNS13_IS18_E10value_typeET4_jRbjT5_S1E_jjP12ihipStream_tbEUljE_ZNSN_ISO_Lb1ESQ_SR_ST_SU_SY_EESZ_S10_S11_S12_S16_S17_S18_S1B_S1C_jS1D_jS1E_S1E_jjS1G_bEUljE0_EEESZ_S10_S11_S18_S1C_S1E_T6_T7_T9_mT8_S1G_bDpT10_ENKUlT_T0_E_clISt17integral_constantIbLb1EES1U_EEDaS1P_S1Q_EUlS1P_E_NS1_11comp_targetILNS1_3genE9ELNS1_11target_archE1100ELNS1_3gpuE3ELNS1_3repE0EEENS1_30default_config_static_selectorELNS0_4arch9wavefront6targetE1EEEvS12_
                                        ; -- End function
	.section	.AMDGPU.csdata,"",@progbits
; Kernel info:
; codeLenInByte = 0
; NumSgprs: 4
; NumVgprs: 0
; NumAgprs: 0
; TotalNumVgprs: 0
; ScratchSize: 0
; MemoryBound: 0
; FloatMode: 240
; IeeeMode: 1
; LDSByteSize: 0 bytes/workgroup (compile time only)
; SGPRBlocks: 0
; VGPRBlocks: 0
; NumSGPRsForWavesPerEU: 4
; NumVGPRsForWavesPerEU: 1
; AccumOffset: 4
; Occupancy: 8
; WaveLimiterHint : 0
; COMPUTE_PGM_RSRC2:SCRATCH_EN: 0
; COMPUTE_PGM_RSRC2:USER_SGPR: 6
; COMPUTE_PGM_RSRC2:TRAP_HANDLER: 0
; COMPUTE_PGM_RSRC2:TGID_X_EN: 1
; COMPUTE_PGM_RSRC2:TGID_Y_EN: 0
; COMPUTE_PGM_RSRC2:TGID_Z_EN: 0
; COMPUTE_PGM_RSRC2:TIDIG_COMP_CNT: 0
; COMPUTE_PGM_RSRC3_GFX90A:ACCUM_OFFSET: 0
; COMPUTE_PGM_RSRC3_GFX90A:TG_SPLIT: 0
	.section	.text._ZN7rocprim17ROCPRIM_400000_NS6detail17trampoline_kernelINS0_13select_configILj256ELj13ELNS0_17block_load_methodE3ELS4_3ELS4_3ELNS0_20block_scan_algorithmE0ELj4294967295EEENS1_25partition_config_selectorILNS1_17partition_subalgoE4EjNS0_10empty_typeEbEEZZNS1_14partition_implILS8_4ELb0ES6_15HIP_vector_typeIjLj2EENS0_17counting_iteratorIjlEEPS9_SG_NS0_5tupleIJPjSI_NS0_16reverse_iteratorISI_EEEEENSH_IJSG_SG_SG_EEES9_SI_JZNS1_25segmented_radix_sort_implINS0_14default_configELb1EPKiPiPKlPlN2at6native12_GLOBAL__N_18offset_tEEE10hipError_tPvRmT1_PNSt15iterator_traitsIS12_E10value_typeET2_T3_PNS13_IS18_E10value_typeET4_jRbjT5_S1E_jjP12ihipStream_tbEUljE_ZNSN_ISO_Lb1ESQ_SR_ST_SU_SY_EESZ_S10_S11_S12_S16_S17_S18_S1B_S1C_jS1D_jS1E_S1E_jjS1G_bEUljE0_EEESZ_S10_S11_S18_S1C_S1E_T6_T7_T9_mT8_S1G_bDpT10_ENKUlT_T0_E_clISt17integral_constantIbLb1EES1U_EEDaS1P_S1Q_EUlS1P_E_NS1_11comp_targetILNS1_3genE8ELNS1_11target_archE1030ELNS1_3gpuE2ELNS1_3repE0EEENS1_30default_config_static_selectorELNS0_4arch9wavefront6targetE1EEEvS12_,"axG",@progbits,_ZN7rocprim17ROCPRIM_400000_NS6detail17trampoline_kernelINS0_13select_configILj256ELj13ELNS0_17block_load_methodE3ELS4_3ELS4_3ELNS0_20block_scan_algorithmE0ELj4294967295EEENS1_25partition_config_selectorILNS1_17partition_subalgoE4EjNS0_10empty_typeEbEEZZNS1_14partition_implILS8_4ELb0ES6_15HIP_vector_typeIjLj2EENS0_17counting_iteratorIjlEEPS9_SG_NS0_5tupleIJPjSI_NS0_16reverse_iteratorISI_EEEEENSH_IJSG_SG_SG_EEES9_SI_JZNS1_25segmented_radix_sort_implINS0_14default_configELb1EPKiPiPKlPlN2at6native12_GLOBAL__N_18offset_tEEE10hipError_tPvRmT1_PNSt15iterator_traitsIS12_E10value_typeET2_T3_PNS13_IS18_E10value_typeET4_jRbjT5_S1E_jjP12ihipStream_tbEUljE_ZNSN_ISO_Lb1ESQ_SR_ST_SU_SY_EESZ_S10_S11_S12_S16_S17_S18_S1B_S1C_jS1D_jS1E_S1E_jjS1G_bEUljE0_EEESZ_S10_S11_S18_S1C_S1E_T6_T7_T9_mT8_S1G_bDpT10_ENKUlT_T0_E_clISt17integral_constantIbLb1EES1U_EEDaS1P_S1Q_EUlS1P_E_NS1_11comp_targetILNS1_3genE8ELNS1_11target_archE1030ELNS1_3gpuE2ELNS1_3repE0EEENS1_30default_config_static_selectorELNS0_4arch9wavefront6targetE1EEEvS12_,comdat
	.globl	_ZN7rocprim17ROCPRIM_400000_NS6detail17trampoline_kernelINS0_13select_configILj256ELj13ELNS0_17block_load_methodE3ELS4_3ELS4_3ELNS0_20block_scan_algorithmE0ELj4294967295EEENS1_25partition_config_selectorILNS1_17partition_subalgoE4EjNS0_10empty_typeEbEEZZNS1_14partition_implILS8_4ELb0ES6_15HIP_vector_typeIjLj2EENS0_17counting_iteratorIjlEEPS9_SG_NS0_5tupleIJPjSI_NS0_16reverse_iteratorISI_EEEEENSH_IJSG_SG_SG_EEES9_SI_JZNS1_25segmented_radix_sort_implINS0_14default_configELb1EPKiPiPKlPlN2at6native12_GLOBAL__N_18offset_tEEE10hipError_tPvRmT1_PNSt15iterator_traitsIS12_E10value_typeET2_T3_PNS13_IS18_E10value_typeET4_jRbjT5_S1E_jjP12ihipStream_tbEUljE_ZNSN_ISO_Lb1ESQ_SR_ST_SU_SY_EESZ_S10_S11_S12_S16_S17_S18_S1B_S1C_jS1D_jS1E_S1E_jjS1G_bEUljE0_EEESZ_S10_S11_S18_S1C_S1E_T6_T7_T9_mT8_S1G_bDpT10_ENKUlT_T0_E_clISt17integral_constantIbLb1EES1U_EEDaS1P_S1Q_EUlS1P_E_NS1_11comp_targetILNS1_3genE8ELNS1_11target_archE1030ELNS1_3gpuE2ELNS1_3repE0EEENS1_30default_config_static_selectorELNS0_4arch9wavefront6targetE1EEEvS12_ ; -- Begin function _ZN7rocprim17ROCPRIM_400000_NS6detail17trampoline_kernelINS0_13select_configILj256ELj13ELNS0_17block_load_methodE3ELS4_3ELS4_3ELNS0_20block_scan_algorithmE0ELj4294967295EEENS1_25partition_config_selectorILNS1_17partition_subalgoE4EjNS0_10empty_typeEbEEZZNS1_14partition_implILS8_4ELb0ES6_15HIP_vector_typeIjLj2EENS0_17counting_iteratorIjlEEPS9_SG_NS0_5tupleIJPjSI_NS0_16reverse_iteratorISI_EEEEENSH_IJSG_SG_SG_EEES9_SI_JZNS1_25segmented_radix_sort_implINS0_14default_configELb1EPKiPiPKlPlN2at6native12_GLOBAL__N_18offset_tEEE10hipError_tPvRmT1_PNSt15iterator_traitsIS12_E10value_typeET2_T3_PNS13_IS18_E10value_typeET4_jRbjT5_S1E_jjP12ihipStream_tbEUljE_ZNSN_ISO_Lb1ESQ_SR_ST_SU_SY_EESZ_S10_S11_S12_S16_S17_S18_S1B_S1C_jS1D_jS1E_S1E_jjS1G_bEUljE0_EEESZ_S10_S11_S18_S1C_S1E_T6_T7_T9_mT8_S1G_bDpT10_ENKUlT_T0_E_clISt17integral_constantIbLb1EES1U_EEDaS1P_S1Q_EUlS1P_E_NS1_11comp_targetILNS1_3genE8ELNS1_11target_archE1030ELNS1_3gpuE2ELNS1_3repE0EEENS1_30default_config_static_selectorELNS0_4arch9wavefront6targetE1EEEvS12_
	.p2align	8
	.type	_ZN7rocprim17ROCPRIM_400000_NS6detail17trampoline_kernelINS0_13select_configILj256ELj13ELNS0_17block_load_methodE3ELS4_3ELS4_3ELNS0_20block_scan_algorithmE0ELj4294967295EEENS1_25partition_config_selectorILNS1_17partition_subalgoE4EjNS0_10empty_typeEbEEZZNS1_14partition_implILS8_4ELb0ES6_15HIP_vector_typeIjLj2EENS0_17counting_iteratorIjlEEPS9_SG_NS0_5tupleIJPjSI_NS0_16reverse_iteratorISI_EEEEENSH_IJSG_SG_SG_EEES9_SI_JZNS1_25segmented_radix_sort_implINS0_14default_configELb1EPKiPiPKlPlN2at6native12_GLOBAL__N_18offset_tEEE10hipError_tPvRmT1_PNSt15iterator_traitsIS12_E10value_typeET2_T3_PNS13_IS18_E10value_typeET4_jRbjT5_S1E_jjP12ihipStream_tbEUljE_ZNSN_ISO_Lb1ESQ_SR_ST_SU_SY_EESZ_S10_S11_S12_S16_S17_S18_S1B_S1C_jS1D_jS1E_S1E_jjS1G_bEUljE0_EEESZ_S10_S11_S18_S1C_S1E_T6_T7_T9_mT8_S1G_bDpT10_ENKUlT_T0_E_clISt17integral_constantIbLb1EES1U_EEDaS1P_S1Q_EUlS1P_E_NS1_11comp_targetILNS1_3genE8ELNS1_11target_archE1030ELNS1_3gpuE2ELNS1_3repE0EEENS1_30default_config_static_selectorELNS0_4arch9wavefront6targetE1EEEvS12_,@function
_ZN7rocprim17ROCPRIM_400000_NS6detail17trampoline_kernelINS0_13select_configILj256ELj13ELNS0_17block_load_methodE3ELS4_3ELS4_3ELNS0_20block_scan_algorithmE0ELj4294967295EEENS1_25partition_config_selectorILNS1_17partition_subalgoE4EjNS0_10empty_typeEbEEZZNS1_14partition_implILS8_4ELb0ES6_15HIP_vector_typeIjLj2EENS0_17counting_iteratorIjlEEPS9_SG_NS0_5tupleIJPjSI_NS0_16reverse_iteratorISI_EEEEENSH_IJSG_SG_SG_EEES9_SI_JZNS1_25segmented_radix_sort_implINS0_14default_configELb1EPKiPiPKlPlN2at6native12_GLOBAL__N_18offset_tEEE10hipError_tPvRmT1_PNSt15iterator_traitsIS12_E10value_typeET2_T3_PNS13_IS18_E10value_typeET4_jRbjT5_S1E_jjP12ihipStream_tbEUljE_ZNSN_ISO_Lb1ESQ_SR_ST_SU_SY_EESZ_S10_S11_S12_S16_S17_S18_S1B_S1C_jS1D_jS1E_S1E_jjS1G_bEUljE0_EEESZ_S10_S11_S18_S1C_S1E_T6_T7_T9_mT8_S1G_bDpT10_ENKUlT_T0_E_clISt17integral_constantIbLb1EES1U_EEDaS1P_S1Q_EUlS1P_E_NS1_11comp_targetILNS1_3genE8ELNS1_11target_archE1030ELNS1_3gpuE2ELNS1_3repE0EEENS1_30default_config_static_selectorELNS0_4arch9wavefront6targetE1EEEvS12_: ; @_ZN7rocprim17ROCPRIM_400000_NS6detail17trampoline_kernelINS0_13select_configILj256ELj13ELNS0_17block_load_methodE3ELS4_3ELS4_3ELNS0_20block_scan_algorithmE0ELj4294967295EEENS1_25partition_config_selectorILNS1_17partition_subalgoE4EjNS0_10empty_typeEbEEZZNS1_14partition_implILS8_4ELb0ES6_15HIP_vector_typeIjLj2EENS0_17counting_iteratorIjlEEPS9_SG_NS0_5tupleIJPjSI_NS0_16reverse_iteratorISI_EEEEENSH_IJSG_SG_SG_EEES9_SI_JZNS1_25segmented_radix_sort_implINS0_14default_configELb1EPKiPiPKlPlN2at6native12_GLOBAL__N_18offset_tEEE10hipError_tPvRmT1_PNSt15iterator_traitsIS12_E10value_typeET2_T3_PNS13_IS18_E10value_typeET4_jRbjT5_S1E_jjP12ihipStream_tbEUljE_ZNSN_ISO_Lb1ESQ_SR_ST_SU_SY_EESZ_S10_S11_S12_S16_S17_S18_S1B_S1C_jS1D_jS1E_S1E_jjS1G_bEUljE0_EEESZ_S10_S11_S18_S1C_S1E_T6_T7_T9_mT8_S1G_bDpT10_ENKUlT_T0_E_clISt17integral_constantIbLb1EES1U_EEDaS1P_S1Q_EUlS1P_E_NS1_11comp_targetILNS1_3genE8ELNS1_11target_archE1030ELNS1_3gpuE2ELNS1_3repE0EEENS1_30default_config_static_selectorELNS0_4arch9wavefront6targetE1EEEvS12_
; %bb.0:
	.section	.rodata,"a",@progbits
	.p2align	6, 0x0
	.amdhsa_kernel _ZN7rocprim17ROCPRIM_400000_NS6detail17trampoline_kernelINS0_13select_configILj256ELj13ELNS0_17block_load_methodE3ELS4_3ELS4_3ELNS0_20block_scan_algorithmE0ELj4294967295EEENS1_25partition_config_selectorILNS1_17partition_subalgoE4EjNS0_10empty_typeEbEEZZNS1_14partition_implILS8_4ELb0ES6_15HIP_vector_typeIjLj2EENS0_17counting_iteratorIjlEEPS9_SG_NS0_5tupleIJPjSI_NS0_16reverse_iteratorISI_EEEEENSH_IJSG_SG_SG_EEES9_SI_JZNS1_25segmented_radix_sort_implINS0_14default_configELb1EPKiPiPKlPlN2at6native12_GLOBAL__N_18offset_tEEE10hipError_tPvRmT1_PNSt15iterator_traitsIS12_E10value_typeET2_T3_PNS13_IS18_E10value_typeET4_jRbjT5_S1E_jjP12ihipStream_tbEUljE_ZNSN_ISO_Lb1ESQ_SR_ST_SU_SY_EESZ_S10_S11_S12_S16_S17_S18_S1B_S1C_jS1D_jS1E_S1E_jjS1G_bEUljE0_EEESZ_S10_S11_S18_S1C_S1E_T6_T7_T9_mT8_S1G_bDpT10_ENKUlT_T0_E_clISt17integral_constantIbLb1EES1U_EEDaS1P_S1Q_EUlS1P_E_NS1_11comp_targetILNS1_3genE8ELNS1_11target_archE1030ELNS1_3gpuE2ELNS1_3repE0EEENS1_30default_config_static_selectorELNS0_4arch9wavefront6targetE1EEEvS12_
		.amdhsa_group_segment_fixed_size 0
		.amdhsa_private_segment_fixed_size 0
		.amdhsa_kernarg_size 184
		.amdhsa_user_sgpr_count 6
		.amdhsa_user_sgpr_private_segment_buffer 1
		.amdhsa_user_sgpr_dispatch_ptr 0
		.amdhsa_user_sgpr_queue_ptr 0
		.amdhsa_user_sgpr_kernarg_segment_ptr 1
		.amdhsa_user_sgpr_dispatch_id 0
		.amdhsa_user_sgpr_flat_scratch_init 0
		.amdhsa_user_sgpr_kernarg_preload_length 0
		.amdhsa_user_sgpr_kernarg_preload_offset 0
		.amdhsa_user_sgpr_private_segment_size 0
		.amdhsa_uses_dynamic_stack 0
		.amdhsa_system_sgpr_private_segment_wavefront_offset 0
		.amdhsa_system_sgpr_workgroup_id_x 1
		.amdhsa_system_sgpr_workgroup_id_y 0
		.amdhsa_system_sgpr_workgroup_id_z 0
		.amdhsa_system_sgpr_workgroup_info 0
		.amdhsa_system_vgpr_workitem_id 0
		.amdhsa_next_free_vgpr 1
		.amdhsa_next_free_sgpr 0
		.amdhsa_accum_offset 4
		.amdhsa_reserve_vcc 0
		.amdhsa_reserve_flat_scratch 0
		.amdhsa_float_round_mode_32 0
		.amdhsa_float_round_mode_16_64 0
		.amdhsa_float_denorm_mode_32 3
		.amdhsa_float_denorm_mode_16_64 3
		.amdhsa_dx10_clamp 1
		.amdhsa_ieee_mode 1
		.amdhsa_fp16_overflow 0
		.amdhsa_tg_split 0
		.amdhsa_exception_fp_ieee_invalid_op 0
		.amdhsa_exception_fp_denorm_src 0
		.amdhsa_exception_fp_ieee_div_zero 0
		.amdhsa_exception_fp_ieee_overflow 0
		.amdhsa_exception_fp_ieee_underflow 0
		.amdhsa_exception_fp_ieee_inexact 0
		.amdhsa_exception_int_div_zero 0
	.end_amdhsa_kernel
	.section	.text._ZN7rocprim17ROCPRIM_400000_NS6detail17trampoline_kernelINS0_13select_configILj256ELj13ELNS0_17block_load_methodE3ELS4_3ELS4_3ELNS0_20block_scan_algorithmE0ELj4294967295EEENS1_25partition_config_selectorILNS1_17partition_subalgoE4EjNS0_10empty_typeEbEEZZNS1_14partition_implILS8_4ELb0ES6_15HIP_vector_typeIjLj2EENS0_17counting_iteratorIjlEEPS9_SG_NS0_5tupleIJPjSI_NS0_16reverse_iteratorISI_EEEEENSH_IJSG_SG_SG_EEES9_SI_JZNS1_25segmented_radix_sort_implINS0_14default_configELb1EPKiPiPKlPlN2at6native12_GLOBAL__N_18offset_tEEE10hipError_tPvRmT1_PNSt15iterator_traitsIS12_E10value_typeET2_T3_PNS13_IS18_E10value_typeET4_jRbjT5_S1E_jjP12ihipStream_tbEUljE_ZNSN_ISO_Lb1ESQ_SR_ST_SU_SY_EESZ_S10_S11_S12_S16_S17_S18_S1B_S1C_jS1D_jS1E_S1E_jjS1G_bEUljE0_EEESZ_S10_S11_S18_S1C_S1E_T6_T7_T9_mT8_S1G_bDpT10_ENKUlT_T0_E_clISt17integral_constantIbLb1EES1U_EEDaS1P_S1Q_EUlS1P_E_NS1_11comp_targetILNS1_3genE8ELNS1_11target_archE1030ELNS1_3gpuE2ELNS1_3repE0EEENS1_30default_config_static_selectorELNS0_4arch9wavefront6targetE1EEEvS12_,"axG",@progbits,_ZN7rocprim17ROCPRIM_400000_NS6detail17trampoline_kernelINS0_13select_configILj256ELj13ELNS0_17block_load_methodE3ELS4_3ELS4_3ELNS0_20block_scan_algorithmE0ELj4294967295EEENS1_25partition_config_selectorILNS1_17partition_subalgoE4EjNS0_10empty_typeEbEEZZNS1_14partition_implILS8_4ELb0ES6_15HIP_vector_typeIjLj2EENS0_17counting_iteratorIjlEEPS9_SG_NS0_5tupleIJPjSI_NS0_16reverse_iteratorISI_EEEEENSH_IJSG_SG_SG_EEES9_SI_JZNS1_25segmented_radix_sort_implINS0_14default_configELb1EPKiPiPKlPlN2at6native12_GLOBAL__N_18offset_tEEE10hipError_tPvRmT1_PNSt15iterator_traitsIS12_E10value_typeET2_T3_PNS13_IS18_E10value_typeET4_jRbjT5_S1E_jjP12ihipStream_tbEUljE_ZNSN_ISO_Lb1ESQ_SR_ST_SU_SY_EESZ_S10_S11_S12_S16_S17_S18_S1B_S1C_jS1D_jS1E_S1E_jjS1G_bEUljE0_EEESZ_S10_S11_S18_S1C_S1E_T6_T7_T9_mT8_S1G_bDpT10_ENKUlT_T0_E_clISt17integral_constantIbLb1EES1U_EEDaS1P_S1Q_EUlS1P_E_NS1_11comp_targetILNS1_3genE8ELNS1_11target_archE1030ELNS1_3gpuE2ELNS1_3repE0EEENS1_30default_config_static_selectorELNS0_4arch9wavefront6targetE1EEEvS12_,comdat
.Lfunc_end448:
	.size	_ZN7rocprim17ROCPRIM_400000_NS6detail17trampoline_kernelINS0_13select_configILj256ELj13ELNS0_17block_load_methodE3ELS4_3ELS4_3ELNS0_20block_scan_algorithmE0ELj4294967295EEENS1_25partition_config_selectorILNS1_17partition_subalgoE4EjNS0_10empty_typeEbEEZZNS1_14partition_implILS8_4ELb0ES6_15HIP_vector_typeIjLj2EENS0_17counting_iteratorIjlEEPS9_SG_NS0_5tupleIJPjSI_NS0_16reverse_iteratorISI_EEEEENSH_IJSG_SG_SG_EEES9_SI_JZNS1_25segmented_radix_sort_implINS0_14default_configELb1EPKiPiPKlPlN2at6native12_GLOBAL__N_18offset_tEEE10hipError_tPvRmT1_PNSt15iterator_traitsIS12_E10value_typeET2_T3_PNS13_IS18_E10value_typeET4_jRbjT5_S1E_jjP12ihipStream_tbEUljE_ZNSN_ISO_Lb1ESQ_SR_ST_SU_SY_EESZ_S10_S11_S12_S16_S17_S18_S1B_S1C_jS1D_jS1E_S1E_jjS1G_bEUljE0_EEESZ_S10_S11_S18_S1C_S1E_T6_T7_T9_mT8_S1G_bDpT10_ENKUlT_T0_E_clISt17integral_constantIbLb1EES1U_EEDaS1P_S1Q_EUlS1P_E_NS1_11comp_targetILNS1_3genE8ELNS1_11target_archE1030ELNS1_3gpuE2ELNS1_3repE0EEENS1_30default_config_static_selectorELNS0_4arch9wavefront6targetE1EEEvS12_, .Lfunc_end448-_ZN7rocprim17ROCPRIM_400000_NS6detail17trampoline_kernelINS0_13select_configILj256ELj13ELNS0_17block_load_methodE3ELS4_3ELS4_3ELNS0_20block_scan_algorithmE0ELj4294967295EEENS1_25partition_config_selectorILNS1_17partition_subalgoE4EjNS0_10empty_typeEbEEZZNS1_14partition_implILS8_4ELb0ES6_15HIP_vector_typeIjLj2EENS0_17counting_iteratorIjlEEPS9_SG_NS0_5tupleIJPjSI_NS0_16reverse_iteratorISI_EEEEENSH_IJSG_SG_SG_EEES9_SI_JZNS1_25segmented_radix_sort_implINS0_14default_configELb1EPKiPiPKlPlN2at6native12_GLOBAL__N_18offset_tEEE10hipError_tPvRmT1_PNSt15iterator_traitsIS12_E10value_typeET2_T3_PNS13_IS18_E10value_typeET4_jRbjT5_S1E_jjP12ihipStream_tbEUljE_ZNSN_ISO_Lb1ESQ_SR_ST_SU_SY_EESZ_S10_S11_S12_S16_S17_S18_S1B_S1C_jS1D_jS1E_S1E_jjS1G_bEUljE0_EEESZ_S10_S11_S18_S1C_S1E_T6_T7_T9_mT8_S1G_bDpT10_ENKUlT_T0_E_clISt17integral_constantIbLb1EES1U_EEDaS1P_S1Q_EUlS1P_E_NS1_11comp_targetILNS1_3genE8ELNS1_11target_archE1030ELNS1_3gpuE2ELNS1_3repE0EEENS1_30default_config_static_selectorELNS0_4arch9wavefront6targetE1EEEvS12_
                                        ; -- End function
	.section	.AMDGPU.csdata,"",@progbits
; Kernel info:
; codeLenInByte = 0
; NumSgprs: 4
; NumVgprs: 0
; NumAgprs: 0
; TotalNumVgprs: 0
; ScratchSize: 0
; MemoryBound: 0
; FloatMode: 240
; IeeeMode: 1
; LDSByteSize: 0 bytes/workgroup (compile time only)
; SGPRBlocks: 0
; VGPRBlocks: 0
; NumSGPRsForWavesPerEU: 4
; NumVGPRsForWavesPerEU: 1
; AccumOffset: 4
; Occupancy: 8
; WaveLimiterHint : 0
; COMPUTE_PGM_RSRC2:SCRATCH_EN: 0
; COMPUTE_PGM_RSRC2:USER_SGPR: 6
; COMPUTE_PGM_RSRC2:TRAP_HANDLER: 0
; COMPUTE_PGM_RSRC2:TGID_X_EN: 1
; COMPUTE_PGM_RSRC2:TGID_Y_EN: 0
; COMPUTE_PGM_RSRC2:TGID_Z_EN: 0
; COMPUTE_PGM_RSRC2:TIDIG_COMP_CNT: 0
; COMPUTE_PGM_RSRC3_GFX90A:ACCUM_OFFSET: 0
; COMPUTE_PGM_RSRC3_GFX90A:TG_SPLIT: 0
	.section	.text._ZN7rocprim17ROCPRIM_400000_NS6detail17trampoline_kernelINS0_13select_configILj256ELj13ELNS0_17block_load_methodE3ELS4_3ELS4_3ELNS0_20block_scan_algorithmE0ELj4294967295EEENS1_25partition_config_selectorILNS1_17partition_subalgoE4EjNS0_10empty_typeEbEEZZNS1_14partition_implILS8_4ELb0ES6_15HIP_vector_typeIjLj2EENS0_17counting_iteratorIjlEEPS9_SG_NS0_5tupleIJPjSI_NS0_16reverse_iteratorISI_EEEEENSH_IJSG_SG_SG_EEES9_SI_JZNS1_25segmented_radix_sort_implINS0_14default_configELb1EPKiPiPKlPlN2at6native12_GLOBAL__N_18offset_tEEE10hipError_tPvRmT1_PNSt15iterator_traitsIS12_E10value_typeET2_T3_PNS13_IS18_E10value_typeET4_jRbjT5_S1E_jjP12ihipStream_tbEUljE_ZNSN_ISO_Lb1ESQ_SR_ST_SU_SY_EESZ_S10_S11_S12_S16_S17_S18_S1B_S1C_jS1D_jS1E_S1E_jjS1G_bEUljE0_EEESZ_S10_S11_S18_S1C_S1E_T6_T7_T9_mT8_S1G_bDpT10_ENKUlT_T0_E_clISt17integral_constantIbLb1EES1T_IbLb0EEEEDaS1P_S1Q_EUlS1P_E_NS1_11comp_targetILNS1_3genE0ELNS1_11target_archE4294967295ELNS1_3gpuE0ELNS1_3repE0EEENS1_30default_config_static_selectorELNS0_4arch9wavefront6targetE1EEEvS12_,"axG",@progbits,_ZN7rocprim17ROCPRIM_400000_NS6detail17trampoline_kernelINS0_13select_configILj256ELj13ELNS0_17block_load_methodE3ELS4_3ELS4_3ELNS0_20block_scan_algorithmE0ELj4294967295EEENS1_25partition_config_selectorILNS1_17partition_subalgoE4EjNS0_10empty_typeEbEEZZNS1_14partition_implILS8_4ELb0ES6_15HIP_vector_typeIjLj2EENS0_17counting_iteratorIjlEEPS9_SG_NS0_5tupleIJPjSI_NS0_16reverse_iteratorISI_EEEEENSH_IJSG_SG_SG_EEES9_SI_JZNS1_25segmented_radix_sort_implINS0_14default_configELb1EPKiPiPKlPlN2at6native12_GLOBAL__N_18offset_tEEE10hipError_tPvRmT1_PNSt15iterator_traitsIS12_E10value_typeET2_T3_PNS13_IS18_E10value_typeET4_jRbjT5_S1E_jjP12ihipStream_tbEUljE_ZNSN_ISO_Lb1ESQ_SR_ST_SU_SY_EESZ_S10_S11_S12_S16_S17_S18_S1B_S1C_jS1D_jS1E_S1E_jjS1G_bEUljE0_EEESZ_S10_S11_S18_S1C_S1E_T6_T7_T9_mT8_S1G_bDpT10_ENKUlT_T0_E_clISt17integral_constantIbLb1EES1T_IbLb0EEEEDaS1P_S1Q_EUlS1P_E_NS1_11comp_targetILNS1_3genE0ELNS1_11target_archE4294967295ELNS1_3gpuE0ELNS1_3repE0EEENS1_30default_config_static_selectorELNS0_4arch9wavefront6targetE1EEEvS12_,comdat
	.globl	_ZN7rocprim17ROCPRIM_400000_NS6detail17trampoline_kernelINS0_13select_configILj256ELj13ELNS0_17block_load_methodE3ELS4_3ELS4_3ELNS0_20block_scan_algorithmE0ELj4294967295EEENS1_25partition_config_selectorILNS1_17partition_subalgoE4EjNS0_10empty_typeEbEEZZNS1_14partition_implILS8_4ELb0ES6_15HIP_vector_typeIjLj2EENS0_17counting_iteratorIjlEEPS9_SG_NS0_5tupleIJPjSI_NS0_16reverse_iteratorISI_EEEEENSH_IJSG_SG_SG_EEES9_SI_JZNS1_25segmented_radix_sort_implINS0_14default_configELb1EPKiPiPKlPlN2at6native12_GLOBAL__N_18offset_tEEE10hipError_tPvRmT1_PNSt15iterator_traitsIS12_E10value_typeET2_T3_PNS13_IS18_E10value_typeET4_jRbjT5_S1E_jjP12ihipStream_tbEUljE_ZNSN_ISO_Lb1ESQ_SR_ST_SU_SY_EESZ_S10_S11_S12_S16_S17_S18_S1B_S1C_jS1D_jS1E_S1E_jjS1G_bEUljE0_EEESZ_S10_S11_S18_S1C_S1E_T6_T7_T9_mT8_S1G_bDpT10_ENKUlT_T0_E_clISt17integral_constantIbLb1EES1T_IbLb0EEEEDaS1P_S1Q_EUlS1P_E_NS1_11comp_targetILNS1_3genE0ELNS1_11target_archE4294967295ELNS1_3gpuE0ELNS1_3repE0EEENS1_30default_config_static_selectorELNS0_4arch9wavefront6targetE1EEEvS12_ ; -- Begin function _ZN7rocprim17ROCPRIM_400000_NS6detail17trampoline_kernelINS0_13select_configILj256ELj13ELNS0_17block_load_methodE3ELS4_3ELS4_3ELNS0_20block_scan_algorithmE0ELj4294967295EEENS1_25partition_config_selectorILNS1_17partition_subalgoE4EjNS0_10empty_typeEbEEZZNS1_14partition_implILS8_4ELb0ES6_15HIP_vector_typeIjLj2EENS0_17counting_iteratorIjlEEPS9_SG_NS0_5tupleIJPjSI_NS0_16reverse_iteratorISI_EEEEENSH_IJSG_SG_SG_EEES9_SI_JZNS1_25segmented_radix_sort_implINS0_14default_configELb1EPKiPiPKlPlN2at6native12_GLOBAL__N_18offset_tEEE10hipError_tPvRmT1_PNSt15iterator_traitsIS12_E10value_typeET2_T3_PNS13_IS18_E10value_typeET4_jRbjT5_S1E_jjP12ihipStream_tbEUljE_ZNSN_ISO_Lb1ESQ_SR_ST_SU_SY_EESZ_S10_S11_S12_S16_S17_S18_S1B_S1C_jS1D_jS1E_S1E_jjS1G_bEUljE0_EEESZ_S10_S11_S18_S1C_S1E_T6_T7_T9_mT8_S1G_bDpT10_ENKUlT_T0_E_clISt17integral_constantIbLb1EES1T_IbLb0EEEEDaS1P_S1Q_EUlS1P_E_NS1_11comp_targetILNS1_3genE0ELNS1_11target_archE4294967295ELNS1_3gpuE0ELNS1_3repE0EEENS1_30default_config_static_selectorELNS0_4arch9wavefront6targetE1EEEvS12_
	.p2align	8
	.type	_ZN7rocprim17ROCPRIM_400000_NS6detail17trampoline_kernelINS0_13select_configILj256ELj13ELNS0_17block_load_methodE3ELS4_3ELS4_3ELNS0_20block_scan_algorithmE0ELj4294967295EEENS1_25partition_config_selectorILNS1_17partition_subalgoE4EjNS0_10empty_typeEbEEZZNS1_14partition_implILS8_4ELb0ES6_15HIP_vector_typeIjLj2EENS0_17counting_iteratorIjlEEPS9_SG_NS0_5tupleIJPjSI_NS0_16reverse_iteratorISI_EEEEENSH_IJSG_SG_SG_EEES9_SI_JZNS1_25segmented_radix_sort_implINS0_14default_configELb1EPKiPiPKlPlN2at6native12_GLOBAL__N_18offset_tEEE10hipError_tPvRmT1_PNSt15iterator_traitsIS12_E10value_typeET2_T3_PNS13_IS18_E10value_typeET4_jRbjT5_S1E_jjP12ihipStream_tbEUljE_ZNSN_ISO_Lb1ESQ_SR_ST_SU_SY_EESZ_S10_S11_S12_S16_S17_S18_S1B_S1C_jS1D_jS1E_S1E_jjS1G_bEUljE0_EEESZ_S10_S11_S18_S1C_S1E_T6_T7_T9_mT8_S1G_bDpT10_ENKUlT_T0_E_clISt17integral_constantIbLb1EES1T_IbLb0EEEEDaS1P_S1Q_EUlS1P_E_NS1_11comp_targetILNS1_3genE0ELNS1_11target_archE4294967295ELNS1_3gpuE0ELNS1_3repE0EEENS1_30default_config_static_selectorELNS0_4arch9wavefront6targetE1EEEvS12_,@function
_ZN7rocprim17ROCPRIM_400000_NS6detail17trampoline_kernelINS0_13select_configILj256ELj13ELNS0_17block_load_methodE3ELS4_3ELS4_3ELNS0_20block_scan_algorithmE0ELj4294967295EEENS1_25partition_config_selectorILNS1_17partition_subalgoE4EjNS0_10empty_typeEbEEZZNS1_14partition_implILS8_4ELb0ES6_15HIP_vector_typeIjLj2EENS0_17counting_iteratorIjlEEPS9_SG_NS0_5tupleIJPjSI_NS0_16reverse_iteratorISI_EEEEENSH_IJSG_SG_SG_EEES9_SI_JZNS1_25segmented_radix_sort_implINS0_14default_configELb1EPKiPiPKlPlN2at6native12_GLOBAL__N_18offset_tEEE10hipError_tPvRmT1_PNSt15iterator_traitsIS12_E10value_typeET2_T3_PNS13_IS18_E10value_typeET4_jRbjT5_S1E_jjP12ihipStream_tbEUljE_ZNSN_ISO_Lb1ESQ_SR_ST_SU_SY_EESZ_S10_S11_S12_S16_S17_S18_S1B_S1C_jS1D_jS1E_S1E_jjS1G_bEUljE0_EEESZ_S10_S11_S18_S1C_S1E_T6_T7_T9_mT8_S1G_bDpT10_ENKUlT_T0_E_clISt17integral_constantIbLb1EES1T_IbLb0EEEEDaS1P_S1Q_EUlS1P_E_NS1_11comp_targetILNS1_3genE0ELNS1_11target_archE4294967295ELNS1_3gpuE0ELNS1_3repE0EEENS1_30default_config_static_selectorELNS0_4arch9wavefront6targetE1EEEvS12_: ; @_ZN7rocprim17ROCPRIM_400000_NS6detail17trampoline_kernelINS0_13select_configILj256ELj13ELNS0_17block_load_methodE3ELS4_3ELS4_3ELNS0_20block_scan_algorithmE0ELj4294967295EEENS1_25partition_config_selectorILNS1_17partition_subalgoE4EjNS0_10empty_typeEbEEZZNS1_14partition_implILS8_4ELb0ES6_15HIP_vector_typeIjLj2EENS0_17counting_iteratorIjlEEPS9_SG_NS0_5tupleIJPjSI_NS0_16reverse_iteratorISI_EEEEENSH_IJSG_SG_SG_EEES9_SI_JZNS1_25segmented_radix_sort_implINS0_14default_configELb1EPKiPiPKlPlN2at6native12_GLOBAL__N_18offset_tEEE10hipError_tPvRmT1_PNSt15iterator_traitsIS12_E10value_typeET2_T3_PNS13_IS18_E10value_typeET4_jRbjT5_S1E_jjP12ihipStream_tbEUljE_ZNSN_ISO_Lb1ESQ_SR_ST_SU_SY_EESZ_S10_S11_S12_S16_S17_S18_S1B_S1C_jS1D_jS1E_S1E_jjS1G_bEUljE0_EEESZ_S10_S11_S18_S1C_S1E_T6_T7_T9_mT8_S1G_bDpT10_ENKUlT_T0_E_clISt17integral_constantIbLb1EES1T_IbLb0EEEEDaS1P_S1Q_EUlS1P_E_NS1_11comp_targetILNS1_3genE0ELNS1_11target_archE4294967295ELNS1_3gpuE0ELNS1_3repE0EEENS1_30default_config_static_selectorELNS0_4arch9wavefront6targetE1EEEvS12_
; %bb.0:
	.section	.rodata,"a",@progbits
	.p2align	6, 0x0
	.amdhsa_kernel _ZN7rocprim17ROCPRIM_400000_NS6detail17trampoline_kernelINS0_13select_configILj256ELj13ELNS0_17block_load_methodE3ELS4_3ELS4_3ELNS0_20block_scan_algorithmE0ELj4294967295EEENS1_25partition_config_selectorILNS1_17partition_subalgoE4EjNS0_10empty_typeEbEEZZNS1_14partition_implILS8_4ELb0ES6_15HIP_vector_typeIjLj2EENS0_17counting_iteratorIjlEEPS9_SG_NS0_5tupleIJPjSI_NS0_16reverse_iteratorISI_EEEEENSH_IJSG_SG_SG_EEES9_SI_JZNS1_25segmented_radix_sort_implINS0_14default_configELb1EPKiPiPKlPlN2at6native12_GLOBAL__N_18offset_tEEE10hipError_tPvRmT1_PNSt15iterator_traitsIS12_E10value_typeET2_T3_PNS13_IS18_E10value_typeET4_jRbjT5_S1E_jjP12ihipStream_tbEUljE_ZNSN_ISO_Lb1ESQ_SR_ST_SU_SY_EESZ_S10_S11_S12_S16_S17_S18_S1B_S1C_jS1D_jS1E_S1E_jjS1G_bEUljE0_EEESZ_S10_S11_S18_S1C_S1E_T6_T7_T9_mT8_S1G_bDpT10_ENKUlT_T0_E_clISt17integral_constantIbLb1EES1T_IbLb0EEEEDaS1P_S1Q_EUlS1P_E_NS1_11comp_targetILNS1_3genE0ELNS1_11target_archE4294967295ELNS1_3gpuE0ELNS1_3repE0EEENS1_30default_config_static_selectorELNS0_4arch9wavefront6targetE1EEEvS12_
		.amdhsa_group_segment_fixed_size 0
		.amdhsa_private_segment_fixed_size 0
		.amdhsa_kernarg_size 176
		.amdhsa_user_sgpr_count 6
		.amdhsa_user_sgpr_private_segment_buffer 1
		.amdhsa_user_sgpr_dispatch_ptr 0
		.amdhsa_user_sgpr_queue_ptr 0
		.amdhsa_user_sgpr_kernarg_segment_ptr 1
		.amdhsa_user_sgpr_dispatch_id 0
		.amdhsa_user_sgpr_flat_scratch_init 0
		.amdhsa_user_sgpr_kernarg_preload_length 0
		.amdhsa_user_sgpr_kernarg_preload_offset 0
		.amdhsa_user_sgpr_private_segment_size 0
		.amdhsa_uses_dynamic_stack 0
		.amdhsa_system_sgpr_private_segment_wavefront_offset 0
		.amdhsa_system_sgpr_workgroup_id_x 1
		.amdhsa_system_sgpr_workgroup_id_y 0
		.amdhsa_system_sgpr_workgroup_id_z 0
		.amdhsa_system_sgpr_workgroup_info 0
		.amdhsa_system_vgpr_workitem_id 0
		.amdhsa_next_free_vgpr 1
		.amdhsa_next_free_sgpr 0
		.amdhsa_accum_offset 4
		.amdhsa_reserve_vcc 0
		.amdhsa_reserve_flat_scratch 0
		.amdhsa_float_round_mode_32 0
		.amdhsa_float_round_mode_16_64 0
		.amdhsa_float_denorm_mode_32 3
		.amdhsa_float_denorm_mode_16_64 3
		.amdhsa_dx10_clamp 1
		.amdhsa_ieee_mode 1
		.amdhsa_fp16_overflow 0
		.amdhsa_tg_split 0
		.amdhsa_exception_fp_ieee_invalid_op 0
		.amdhsa_exception_fp_denorm_src 0
		.amdhsa_exception_fp_ieee_div_zero 0
		.amdhsa_exception_fp_ieee_overflow 0
		.amdhsa_exception_fp_ieee_underflow 0
		.amdhsa_exception_fp_ieee_inexact 0
		.amdhsa_exception_int_div_zero 0
	.end_amdhsa_kernel
	.section	.text._ZN7rocprim17ROCPRIM_400000_NS6detail17trampoline_kernelINS0_13select_configILj256ELj13ELNS0_17block_load_methodE3ELS4_3ELS4_3ELNS0_20block_scan_algorithmE0ELj4294967295EEENS1_25partition_config_selectorILNS1_17partition_subalgoE4EjNS0_10empty_typeEbEEZZNS1_14partition_implILS8_4ELb0ES6_15HIP_vector_typeIjLj2EENS0_17counting_iteratorIjlEEPS9_SG_NS0_5tupleIJPjSI_NS0_16reverse_iteratorISI_EEEEENSH_IJSG_SG_SG_EEES9_SI_JZNS1_25segmented_radix_sort_implINS0_14default_configELb1EPKiPiPKlPlN2at6native12_GLOBAL__N_18offset_tEEE10hipError_tPvRmT1_PNSt15iterator_traitsIS12_E10value_typeET2_T3_PNS13_IS18_E10value_typeET4_jRbjT5_S1E_jjP12ihipStream_tbEUljE_ZNSN_ISO_Lb1ESQ_SR_ST_SU_SY_EESZ_S10_S11_S12_S16_S17_S18_S1B_S1C_jS1D_jS1E_S1E_jjS1G_bEUljE0_EEESZ_S10_S11_S18_S1C_S1E_T6_T7_T9_mT8_S1G_bDpT10_ENKUlT_T0_E_clISt17integral_constantIbLb1EES1T_IbLb0EEEEDaS1P_S1Q_EUlS1P_E_NS1_11comp_targetILNS1_3genE0ELNS1_11target_archE4294967295ELNS1_3gpuE0ELNS1_3repE0EEENS1_30default_config_static_selectorELNS0_4arch9wavefront6targetE1EEEvS12_,"axG",@progbits,_ZN7rocprim17ROCPRIM_400000_NS6detail17trampoline_kernelINS0_13select_configILj256ELj13ELNS0_17block_load_methodE3ELS4_3ELS4_3ELNS0_20block_scan_algorithmE0ELj4294967295EEENS1_25partition_config_selectorILNS1_17partition_subalgoE4EjNS0_10empty_typeEbEEZZNS1_14partition_implILS8_4ELb0ES6_15HIP_vector_typeIjLj2EENS0_17counting_iteratorIjlEEPS9_SG_NS0_5tupleIJPjSI_NS0_16reverse_iteratorISI_EEEEENSH_IJSG_SG_SG_EEES9_SI_JZNS1_25segmented_radix_sort_implINS0_14default_configELb1EPKiPiPKlPlN2at6native12_GLOBAL__N_18offset_tEEE10hipError_tPvRmT1_PNSt15iterator_traitsIS12_E10value_typeET2_T3_PNS13_IS18_E10value_typeET4_jRbjT5_S1E_jjP12ihipStream_tbEUljE_ZNSN_ISO_Lb1ESQ_SR_ST_SU_SY_EESZ_S10_S11_S12_S16_S17_S18_S1B_S1C_jS1D_jS1E_S1E_jjS1G_bEUljE0_EEESZ_S10_S11_S18_S1C_S1E_T6_T7_T9_mT8_S1G_bDpT10_ENKUlT_T0_E_clISt17integral_constantIbLb1EES1T_IbLb0EEEEDaS1P_S1Q_EUlS1P_E_NS1_11comp_targetILNS1_3genE0ELNS1_11target_archE4294967295ELNS1_3gpuE0ELNS1_3repE0EEENS1_30default_config_static_selectorELNS0_4arch9wavefront6targetE1EEEvS12_,comdat
.Lfunc_end449:
	.size	_ZN7rocprim17ROCPRIM_400000_NS6detail17trampoline_kernelINS0_13select_configILj256ELj13ELNS0_17block_load_methodE3ELS4_3ELS4_3ELNS0_20block_scan_algorithmE0ELj4294967295EEENS1_25partition_config_selectorILNS1_17partition_subalgoE4EjNS0_10empty_typeEbEEZZNS1_14partition_implILS8_4ELb0ES6_15HIP_vector_typeIjLj2EENS0_17counting_iteratorIjlEEPS9_SG_NS0_5tupleIJPjSI_NS0_16reverse_iteratorISI_EEEEENSH_IJSG_SG_SG_EEES9_SI_JZNS1_25segmented_radix_sort_implINS0_14default_configELb1EPKiPiPKlPlN2at6native12_GLOBAL__N_18offset_tEEE10hipError_tPvRmT1_PNSt15iterator_traitsIS12_E10value_typeET2_T3_PNS13_IS18_E10value_typeET4_jRbjT5_S1E_jjP12ihipStream_tbEUljE_ZNSN_ISO_Lb1ESQ_SR_ST_SU_SY_EESZ_S10_S11_S12_S16_S17_S18_S1B_S1C_jS1D_jS1E_S1E_jjS1G_bEUljE0_EEESZ_S10_S11_S18_S1C_S1E_T6_T7_T9_mT8_S1G_bDpT10_ENKUlT_T0_E_clISt17integral_constantIbLb1EES1T_IbLb0EEEEDaS1P_S1Q_EUlS1P_E_NS1_11comp_targetILNS1_3genE0ELNS1_11target_archE4294967295ELNS1_3gpuE0ELNS1_3repE0EEENS1_30default_config_static_selectorELNS0_4arch9wavefront6targetE1EEEvS12_, .Lfunc_end449-_ZN7rocprim17ROCPRIM_400000_NS6detail17trampoline_kernelINS0_13select_configILj256ELj13ELNS0_17block_load_methodE3ELS4_3ELS4_3ELNS0_20block_scan_algorithmE0ELj4294967295EEENS1_25partition_config_selectorILNS1_17partition_subalgoE4EjNS0_10empty_typeEbEEZZNS1_14partition_implILS8_4ELb0ES6_15HIP_vector_typeIjLj2EENS0_17counting_iteratorIjlEEPS9_SG_NS0_5tupleIJPjSI_NS0_16reverse_iteratorISI_EEEEENSH_IJSG_SG_SG_EEES9_SI_JZNS1_25segmented_radix_sort_implINS0_14default_configELb1EPKiPiPKlPlN2at6native12_GLOBAL__N_18offset_tEEE10hipError_tPvRmT1_PNSt15iterator_traitsIS12_E10value_typeET2_T3_PNS13_IS18_E10value_typeET4_jRbjT5_S1E_jjP12ihipStream_tbEUljE_ZNSN_ISO_Lb1ESQ_SR_ST_SU_SY_EESZ_S10_S11_S12_S16_S17_S18_S1B_S1C_jS1D_jS1E_S1E_jjS1G_bEUljE0_EEESZ_S10_S11_S18_S1C_S1E_T6_T7_T9_mT8_S1G_bDpT10_ENKUlT_T0_E_clISt17integral_constantIbLb1EES1T_IbLb0EEEEDaS1P_S1Q_EUlS1P_E_NS1_11comp_targetILNS1_3genE0ELNS1_11target_archE4294967295ELNS1_3gpuE0ELNS1_3repE0EEENS1_30default_config_static_selectorELNS0_4arch9wavefront6targetE1EEEvS12_
                                        ; -- End function
	.section	.AMDGPU.csdata,"",@progbits
; Kernel info:
; codeLenInByte = 0
; NumSgprs: 4
; NumVgprs: 0
; NumAgprs: 0
; TotalNumVgprs: 0
; ScratchSize: 0
; MemoryBound: 0
; FloatMode: 240
; IeeeMode: 1
; LDSByteSize: 0 bytes/workgroup (compile time only)
; SGPRBlocks: 0
; VGPRBlocks: 0
; NumSGPRsForWavesPerEU: 4
; NumVGPRsForWavesPerEU: 1
; AccumOffset: 4
; Occupancy: 8
; WaveLimiterHint : 0
; COMPUTE_PGM_RSRC2:SCRATCH_EN: 0
; COMPUTE_PGM_RSRC2:USER_SGPR: 6
; COMPUTE_PGM_RSRC2:TRAP_HANDLER: 0
; COMPUTE_PGM_RSRC2:TGID_X_EN: 1
; COMPUTE_PGM_RSRC2:TGID_Y_EN: 0
; COMPUTE_PGM_RSRC2:TGID_Z_EN: 0
; COMPUTE_PGM_RSRC2:TIDIG_COMP_CNT: 0
; COMPUTE_PGM_RSRC3_GFX90A:ACCUM_OFFSET: 0
; COMPUTE_PGM_RSRC3_GFX90A:TG_SPLIT: 0
	.section	.text._ZN7rocprim17ROCPRIM_400000_NS6detail17trampoline_kernelINS0_13select_configILj256ELj13ELNS0_17block_load_methodE3ELS4_3ELS4_3ELNS0_20block_scan_algorithmE0ELj4294967295EEENS1_25partition_config_selectorILNS1_17partition_subalgoE4EjNS0_10empty_typeEbEEZZNS1_14partition_implILS8_4ELb0ES6_15HIP_vector_typeIjLj2EENS0_17counting_iteratorIjlEEPS9_SG_NS0_5tupleIJPjSI_NS0_16reverse_iteratorISI_EEEEENSH_IJSG_SG_SG_EEES9_SI_JZNS1_25segmented_radix_sort_implINS0_14default_configELb1EPKiPiPKlPlN2at6native12_GLOBAL__N_18offset_tEEE10hipError_tPvRmT1_PNSt15iterator_traitsIS12_E10value_typeET2_T3_PNS13_IS18_E10value_typeET4_jRbjT5_S1E_jjP12ihipStream_tbEUljE_ZNSN_ISO_Lb1ESQ_SR_ST_SU_SY_EESZ_S10_S11_S12_S16_S17_S18_S1B_S1C_jS1D_jS1E_S1E_jjS1G_bEUljE0_EEESZ_S10_S11_S18_S1C_S1E_T6_T7_T9_mT8_S1G_bDpT10_ENKUlT_T0_E_clISt17integral_constantIbLb1EES1T_IbLb0EEEEDaS1P_S1Q_EUlS1P_E_NS1_11comp_targetILNS1_3genE5ELNS1_11target_archE942ELNS1_3gpuE9ELNS1_3repE0EEENS1_30default_config_static_selectorELNS0_4arch9wavefront6targetE1EEEvS12_,"axG",@progbits,_ZN7rocprim17ROCPRIM_400000_NS6detail17trampoline_kernelINS0_13select_configILj256ELj13ELNS0_17block_load_methodE3ELS4_3ELS4_3ELNS0_20block_scan_algorithmE0ELj4294967295EEENS1_25partition_config_selectorILNS1_17partition_subalgoE4EjNS0_10empty_typeEbEEZZNS1_14partition_implILS8_4ELb0ES6_15HIP_vector_typeIjLj2EENS0_17counting_iteratorIjlEEPS9_SG_NS0_5tupleIJPjSI_NS0_16reverse_iteratorISI_EEEEENSH_IJSG_SG_SG_EEES9_SI_JZNS1_25segmented_radix_sort_implINS0_14default_configELb1EPKiPiPKlPlN2at6native12_GLOBAL__N_18offset_tEEE10hipError_tPvRmT1_PNSt15iterator_traitsIS12_E10value_typeET2_T3_PNS13_IS18_E10value_typeET4_jRbjT5_S1E_jjP12ihipStream_tbEUljE_ZNSN_ISO_Lb1ESQ_SR_ST_SU_SY_EESZ_S10_S11_S12_S16_S17_S18_S1B_S1C_jS1D_jS1E_S1E_jjS1G_bEUljE0_EEESZ_S10_S11_S18_S1C_S1E_T6_T7_T9_mT8_S1G_bDpT10_ENKUlT_T0_E_clISt17integral_constantIbLb1EES1T_IbLb0EEEEDaS1P_S1Q_EUlS1P_E_NS1_11comp_targetILNS1_3genE5ELNS1_11target_archE942ELNS1_3gpuE9ELNS1_3repE0EEENS1_30default_config_static_selectorELNS0_4arch9wavefront6targetE1EEEvS12_,comdat
	.globl	_ZN7rocprim17ROCPRIM_400000_NS6detail17trampoline_kernelINS0_13select_configILj256ELj13ELNS0_17block_load_methodE3ELS4_3ELS4_3ELNS0_20block_scan_algorithmE0ELj4294967295EEENS1_25partition_config_selectorILNS1_17partition_subalgoE4EjNS0_10empty_typeEbEEZZNS1_14partition_implILS8_4ELb0ES6_15HIP_vector_typeIjLj2EENS0_17counting_iteratorIjlEEPS9_SG_NS0_5tupleIJPjSI_NS0_16reverse_iteratorISI_EEEEENSH_IJSG_SG_SG_EEES9_SI_JZNS1_25segmented_radix_sort_implINS0_14default_configELb1EPKiPiPKlPlN2at6native12_GLOBAL__N_18offset_tEEE10hipError_tPvRmT1_PNSt15iterator_traitsIS12_E10value_typeET2_T3_PNS13_IS18_E10value_typeET4_jRbjT5_S1E_jjP12ihipStream_tbEUljE_ZNSN_ISO_Lb1ESQ_SR_ST_SU_SY_EESZ_S10_S11_S12_S16_S17_S18_S1B_S1C_jS1D_jS1E_S1E_jjS1G_bEUljE0_EEESZ_S10_S11_S18_S1C_S1E_T6_T7_T9_mT8_S1G_bDpT10_ENKUlT_T0_E_clISt17integral_constantIbLb1EES1T_IbLb0EEEEDaS1P_S1Q_EUlS1P_E_NS1_11comp_targetILNS1_3genE5ELNS1_11target_archE942ELNS1_3gpuE9ELNS1_3repE0EEENS1_30default_config_static_selectorELNS0_4arch9wavefront6targetE1EEEvS12_ ; -- Begin function _ZN7rocprim17ROCPRIM_400000_NS6detail17trampoline_kernelINS0_13select_configILj256ELj13ELNS0_17block_load_methodE3ELS4_3ELS4_3ELNS0_20block_scan_algorithmE0ELj4294967295EEENS1_25partition_config_selectorILNS1_17partition_subalgoE4EjNS0_10empty_typeEbEEZZNS1_14partition_implILS8_4ELb0ES6_15HIP_vector_typeIjLj2EENS0_17counting_iteratorIjlEEPS9_SG_NS0_5tupleIJPjSI_NS0_16reverse_iteratorISI_EEEEENSH_IJSG_SG_SG_EEES9_SI_JZNS1_25segmented_radix_sort_implINS0_14default_configELb1EPKiPiPKlPlN2at6native12_GLOBAL__N_18offset_tEEE10hipError_tPvRmT1_PNSt15iterator_traitsIS12_E10value_typeET2_T3_PNS13_IS18_E10value_typeET4_jRbjT5_S1E_jjP12ihipStream_tbEUljE_ZNSN_ISO_Lb1ESQ_SR_ST_SU_SY_EESZ_S10_S11_S12_S16_S17_S18_S1B_S1C_jS1D_jS1E_S1E_jjS1G_bEUljE0_EEESZ_S10_S11_S18_S1C_S1E_T6_T7_T9_mT8_S1G_bDpT10_ENKUlT_T0_E_clISt17integral_constantIbLb1EES1T_IbLb0EEEEDaS1P_S1Q_EUlS1P_E_NS1_11comp_targetILNS1_3genE5ELNS1_11target_archE942ELNS1_3gpuE9ELNS1_3repE0EEENS1_30default_config_static_selectorELNS0_4arch9wavefront6targetE1EEEvS12_
	.p2align	8
	.type	_ZN7rocprim17ROCPRIM_400000_NS6detail17trampoline_kernelINS0_13select_configILj256ELj13ELNS0_17block_load_methodE3ELS4_3ELS4_3ELNS0_20block_scan_algorithmE0ELj4294967295EEENS1_25partition_config_selectorILNS1_17partition_subalgoE4EjNS0_10empty_typeEbEEZZNS1_14partition_implILS8_4ELb0ES6_15HIP_vector_typeIjLj2EENS0_17counting_iteratorIjlEEPS9_SG_NS0_5tupleIJPjSI_NS0_16reverse_iteratorISI_EEEEENSH_IJSG_SG_SG_EEES9_SI_JZNS1_25segmented_radix_sort_implINS0_14default_configELb1EPKiPiPKlPlN2at6native12_GLOBAL__N_18offset_tEEE10hipError_tPvRmT1_PNSt15iterator_traitsIS12_E10value_typeET2_T3_PNS13_IS18_E10value_typeET4_jRbjT5_S1E_jjP12ihipStream_tbEUljE_ZNSN_ISO_Lb1ESQ_SR_ST_SU_SY_EESZ_S10_S11_S12_S16_S17_S18_S1B_S1C_jS1D_jS1E_S1E_jjS1G_bEUljE0_EEESZ_S10_S11_S18_S1C_S1E_T6_T7_T9_mT8_S1G_bDpT10_ENKUlT_T0_E_clISt17integral_constantIbLb1EES1T_IbLb0EEEEDaS1P_S1Q_EUlS1P_E_NS1_11comp_targetILNS1_3genE5ELNS1_11target_archE942ELNS1_3gpuE9ELNS1_3repE0EEENS1_30default_config_static_selectorELNS0_4arch9wavefront6targetE1EEEvS12_,@function
_ZN7rocprim17ROCPRIM_400000_NS6detail17trampoline_kernelINS0_13select_configILj256ELj13ELNS0_17block_load_methodE3ELS4_3ELS4_3ELNS0_20block_scan_algorithmE0ELj4294967295EEENS1_25partition_config_selectorILNS1_17partition_subalgoE4EjNS0_10empty_typeEbEEZZNS1_14partition_implILS8_4ELb0ES6_15HIP_vector_typeIjLj2EENS0_17counting_iteratorIjlEEPS9_SG_NS0_5tupleIJPjSI_NS0_16reverse_iteratorISI_EEEEENSH_IJSG_SG_SG_EEES9_SI_JZNS1_25segmented_radix_sort_implINS0_14default_configELb1EPKiPiPKlPlN2at6native12_GLOBAL__N_18offset_tEEE10hipError_tPvRmT1_PNSt15iterator_traitsIS12_E10value_typeET2_T3_PNS13_IS18_E10value_typeET4_jRbjT5_S1E_jjP12ihipStream_tbEUljE_ZNSN_ISO_Lb1ESQ_SR_ST_SU_SY_EESZ_S10_S11_S12_S16_S17_S18_S1B_S1C_jS1D_jS1E_S1E_jjS1G_bEUljE0_EEESZ_S10_S11_S18_S1C_S1E_T6_T7_T9_mT8_S1G_bDpT10_ENKUlT_T0_E_clISt17integral_constantIbLb1EES1T_IbLb0EEEEDaS1P_S1Q_EUlS1P_E_NS1_11comp_targetILNS1_3genE5ELNS1_11target_archE942ELNS1_3gpuE9ELNS1_3repE0EEENS1_30default_config_static_selectorELNS0_4arch9wavefront6targetE1EEEvS12_: ; @_ZN7rocprim17ROCPRIM_400000_NS6detail17trampoline_kernelINS0_13select_configILj256ELj13ELNS0_17block_load_methodE3ELS4_3ELS4_3ELNS0_20block_scan_algorithmE0ELj4294967295EEENS1_25partition_config_selectorILNS1_17partition_subalgoE4EjNS0_10empty_typeEbEEZZNS1_14partition_implILS8_4ELb0ES6_15HIP_vector_typeIjLj2EENS0_17counting_iteratorIjlEEPS9_SG_NS0_5tupleIJPjSI_NS0_16reverse_iteratorISI_EEEEENSH_IJSG_SG_SG_EEES9_SI_JZNS1_25segmented_radix_sort_implINS0_14default_configELb1EPKiPiPKlPlN2at6native12_GLOBAL__N_18offset_tEEE10hipError_tPvRmT1_PNSt15iterator_traitsIS12_E10value_typeET2_T3_PNS13_IS18_E10value_typeET4_jRbjT5_S1E_jjP12ihipStream_tbEUljE_ZNSN_ISO_Lb1ESQ_SR_ST_SU_SY_EESZ_S10_S11_S12_S16_S17_S18_S1B_S1C_jS1D_jS1E_S1E_jjS1G_bEUljE0_EEESZ_S10_S11_S18_S1C_S1E_T6_T7_T9_mT8_S1G_bDpT10_ENKUlT_T0_E_clISt17integral_constantIbLb1EES1T_IbLb0EEEEDaS1P_S1Q_EUlS1P_E_NS1_11comp_targetILNS1_3genE5ELNS1_11target_archE942ELNS1_3gpuE9ELNS1_3repE0EEENS1_30default_config_static_selectorELNS0_4arch9wavefront6targetE1EEEvS12_
; %bb.0:
	.section	.rodata,"a",@progbits
	.p2align	6, 0x0
	.amdhsa_kernel _ZN7rocprim17ROCPRIM_400000_NS6detail17trampoline_kernelINS0_13select_configILj256ELj13ELNS0_17block_load_methodE3ELS4_3ELS4_3ELNS0_20block_scan_algorithmE0ELj4294967295EEENS1_25partition_config_selectorILNS1_17partition_subalgoE4EjNS0_10empty_typeEbEEZZNS1_14partition_implILS8_4ELb0ES6_15HIP_vector_typeIjLj2EENS0_17counting_iteratorIjlEEPS9_SG_NS0_5tupleIJPjSI_NS0_16reverse_iteratorISI_EEEEENSH_IJSG_SG_SG_EEES9_SI_JZNS1_25segmented_radix_sort_implINS0_14default_configELb1EPKiPiPKlPlN2at6native12_GLOBAL__N_18offset_tEEE10hipError_tPvRmT1_PNSt15iterator_traitsIS12_E10value_typeET2_T3_PNS13_IS18_E10value_typeET4_jRbjT5_S1E_jjP12ihipStream_tbEUljE_ZNSN_ISO_Lb1ESQ_SR_ST_SU_SY_EESZ_S10_S11_S12_S16_S17_S18_S1B_S1C_jS1D_jS1E_S1E_jjS1G_bEUljE0_EEESZ_S10_S11_S18_S1C_S1E_T6_T7_T9_mT8_S1G_bDpT10_ENKUlT_T0_E_clISt17integral_constantIbLb1EES1T_IbLb0EEEEDaS1P_S1Q_EUlS1P_E_NS1_11comp_targetILNS1_3genE5ELNS1_11target_archE942ELNS1_3gpuE9ELNS1_3repE0EEENS1_30default_config_static_selectorELNS0_4arch9wavefront6targetE1EEEvS12_
		.amdhsa_group_segment_fixed_size 0
		.amdhsa_private_segment_fixed_size 0
		.amdhsa_kernarg_size 176
		.amdhsa_user_sgpr_count 6
		.amdhsa_user_sgpr_private_segment_buffer 1
		.amdhsa_user_sgpr_dispatch_ptr 0
		.amdhsa_user_sgpr_queue_ptr 0
		.amdhsa_user_sgpr_kernarg_segment_ptr 1
		.amdhsa_user_sgpr_dispatch_id 0
		.amdhsa_user_sgpr_flat_scratch_init 0
		.amdhsa_user_sgpr_kernarg_preload_length 0
		.amdhsa_user_sgpr_kernarg_preload_offset 0
		.amdhsa_user_sgpr_private_segment_size 0
		.amdhsa_uses_dynamic_stack 0
		.amdhsa_system_sgpr_private_segment_wavefront_offset 0
		.amdhsa_system_sgpr_workgroup_id_x 1
		.amdhsa_system_sgpr_workgroup_id_y 0
		.amdhsa_system_sgpr_workgroup_id_z 0
		.amdhsa_system_sgpr_workgroup_info 0
		.amdhsa_system_vgpr_workitem_id 0
		.amdhsa_next_free_vgpr 1
		.amdhsa_next_free_sgpr 0
		.amdhsa_accum_offset 4
		.amdhsa_reserve_vcc 0
		.amdhsa_reserve_flat_scratch 0
		.amdhsa_float_round_mode_32 0
		.amdhsa_float_round_mode_16_64 0
		.amdhsa_float_denorm_mode_32 3
		.amdhsa_float_denorm_mode_16_64 3
		.amdhsa_dx10_clamp 1
		.amdhsa_ieee_mode 1
		.amdhsa_fp16_overflow 0
		.amdhsa_tg_split 0
		.amdhsa_exception_fp_ieee_invalid_op 0
		.amdhsa_exception_fp_denorm_src 0
		.amdhsa_exception_fp_ieee_div_zero 0
		.amdhsa_exception_fp_ieee_overflow 0
		.amdhsa_exception_fp_ieee_underflow 0
		.amdhsa_exception_fp_ieee_inexact 0
		.amdhsa_exception_int_div_zero 0
	.end_amdhsa_kernel
	.section	.text._ZN7rocprim17ROCPRIM_400000_NS6detail17trampoline_kernelINS0_13select_configILj256ELj13ELNS0_17block_load_methodE3ELS4_3ELS4_3ELNS0_20block_scan_algorithmE0ELj4294967295EEENS1_25partition_config_selectorILNS1_17partition_subalgoE4EjNS0_10empty_typeEbEEZZNS1_14partition_implILS8_4ELb0ES6_15HIP_vector_typeIjLj2EENS0_17counting_iteratorIjlEEPS9_SG_NS0_5tupleIJPjSI_NS0_16reverse_iteratorISI_EEEEENSH_IJSG_SG_SG_EEES9_SI_JZNS1_25segmented_radix_sort_implINS0_14default_configELb1EPKiPiPKlPlN2at6native12_GLOBAL__N_18offset_tEEE10hipError_tPvRmT1_PNSt15iterator_traitsIS12_E10value_typeET2_T3_PNS13_IS18_E10value_typeET4_jRbjT5_S1E_jjP12ihipStream_tbEUljE_ZNSN_ISO_Lb1ESQ_SR_ST_SU_SY_EESZ_S10_S11_S12_S16_S17_S18_S1B_S1C_jS1D_jS1E_S1E_jjS1G_bEUljE0_EEESZ_S10_S11_S18_S1C_S1E_T6_T7_T9_mT8_S1G_bDpT10_ENKUlT_T0_E_clISt17integral_constantIbLb1EES1T_IbLb0EEEEDaS1P_S1Q_EUlS1P_E_NS1_11comp_targetILNS1_3genE5ELNS1_11target_archE942ELNS1_3gpuE9ELNS1_3repE0EEENS1_30default_config_static_selectorELNS0_4arch9wavefront6targetE1EEEvS12_,"axG",@progbits,_ZN7rocprim17ROCPRIM_400000_NS6detail17trampoline_kernelINS0_13select_configILj256ELj13ELNS0_17block_load_methodE3ELS4_3ELS4_3ELNS0_20block_scan_algorithmE0ELj4294967295EEENS1_25partition_config_selectorILNS1_17partition_subalgoE4EjNS0_10empty_typeEbEEZZNS1_14partition_implILS8_4ELb0ES6_15HIP_vector_typeIjLj2EENS0_17counting_iteratorIjlEEPS9_SG_NS0_5tupleIJPjSI_NS0_16reverse_iteratorISI_EEEEENSH_IJSG_SG_SG_EEES9_SI_JZNS1_25segmented_radix_sort_implINS0_14default_configELb1EPKiPiPKlPlN2at6native12_GLOBAL__N_18offset_tEEE10hipError_tPvRmT1_PNSt15iterator_traitsIS12_E10value_typeET2_T3_PNS13_IS18_E10value_typeET4_jRbjT5_S1E_jjP12ihipStream_tbEUljE_ZNSN_ISO_Lb1ESQ_SR_ST_SU_SY_EESZ_S10_S11_S12_S16_S17_S18_S1B_S1C_jS1D_jS1E_S1E_jjS1G_bEUljE0_EEESZ_S10_S11_S18_S1C_S1E_T6_T7_T9_mT8_S1G_bDpT10_ENKUlT_T0_E_clISt17integral_constantIbLb1EES1T_IbLb0EEEEDaS1P_S1Q_EUlS1P_E_NS1_11comp_targetILNS1_3genE5ELNS1_11target_archE942ELNS1_3gpuE9ELNS1_3repE0EEENS1_30default_config_static_selectorELNS0_4arch9wavefront6targetE1EEEvS12_,comdat
.Lfunc_end450:
	.size	_ZN7rocprim17ROCPRIM_400000_NS6detail17trampoline_kernelINS0_13select_configILj256ELj13ELNS0_17block_load_methodE3ELS4_3ELS4_3ELNS0_20block_scan_algorithmE0ELj4294967295EEENS1_25partition_config_selectorILNS1_17partition_subalgoE4EjNS0_10empty_typeEbEEZZNS1_14partition_implILS8_4ELb0ES6_15HIP_vector_typeIjLj2EENS0_17counting_iteratorIjlEEPS9_SG_NS0_5tupleIJPjSI_NS0_16reverse_iteratorISI_EEEEENSH_IJSG_SG_SG_EEES9_SI_JZNS1_25segmented_radix_sort_implINS0_14default_configELb1EPKiPiPKlPlN2at6native12_GLOBAL__N_18offset_tEEE10hipError_tPvRmT1_PNSt15iterator_traitsIS12_E10value_typeET2_T3_PNS13_IS18_E10value_typeET4_jRbjT5_S1E_jjP12ihipStream_tbEUljE_ZNSN_ISO_Lb1ESQ_SR_ST_SU_SY_EESZ_S10_S11_S12_S16_S17_S18_S1B_S1C_jS1D_jS1E_S1E_jjS1G_bEUljE0_EEESZ_S10_S11_S18_S1C_S1E_T6_T7_T9_mT8_S1G_bDpT10_ENKUlT_T0_E_clISt17integral_constantIbLb1EES1T_IbLb0EEEEDaS1P_S1Q_EUlS1P_E_NS1_11comp_targetILNS1_3genE5ELNS1_11target_archE942ELNS1_3gpuE9ELNS1_3repE0EEENS1_30default_config_static_selectorELNS0_4arch9wavefront6targetE1EEEvS12_, .Lfunc_end450-_ZN7rocprim17ROCPRIM_400000_NS6detail17trampoline_kernelINS0_13select_configILj256ELj13ELNS0_17block_load_methodE3ELS4_3ELS4_3ELNS0_20block_scan_algorithmE0ELj4294967295EEENS1_25partition_config_selectorILNS1_17partition_subalgoE4EjNS0_10empty_typeEbEEZZNS1_14partition_implILS8_4ELb0ES6_15HIP_vector_typeIjLj2EENS0_17counting_iteratorIjlEEPS9_SG_NS0_5tupleIJPjSI_NS0_16reverse_iteratorISI_EEEEENSH_IJSG_SG_SG_EEES9_SI_JZNS1_25segmented_radix_sort_implINS0_14default_configELb1EPKiPiPKlPlN2at6native12_GLOBAL__N_18offset_tEEE10hipError_tPvRmT1_PNSt15iterator_traitsIS12_E10value_typeET2_T3_PNS13_IS18_E10value_typeET4_jRbjT5_S1E_jjP12ihipStream_tbEUljE_ZNSN_ISO_Lb1ESQ_SR_ST_SU_SY_EESZ_S10_S11_S12_S16_S17_S18_S1B_S1C_jS1D_jS1E_S1E_jjS1G_bEUljE0_EEESZ_S10_S11_S18_S1C_S1E_T6_T7_T9_mT8_S1G_bDpT10_ENKUlT_T0_E_clISt17integral_constantIbLb1EES1T_IbLb0EEEEDaS1P_S1Q_EUlS1P_E_NS1_11comp_targetILNS1_3genE5ELNS1_11target_archE942ELNS1_3gpuE9ELNS1_3repE0EEENS1_30default_config_static_selectorELNS0_4arch9wavefront6targetE1EEEvS12_
                                        ; -- End function
	.section	.AMDGPU.csdata,"",@progbits
; Kernel info:
; codeLenInByte = 0
; NumSgprs: 4
; NumVgprs: 0
; NumAgprs: 0
; TotalNumVgprs: 0
; ScratchSize: 0
; MemoryBound: 0
; FloatMode: 240
; IeeeMode: 1
; LDSByteSize: 0 bytes/workgroup (compile time only)
; SGPRBlocks: 0
; VGPRBlocks: 0
; NumSGPRsForWavesPerEU: 4
; NumVGPRsForWavesPerEU: 1
; AccumOffset: 4
; Occupancy: 8
; WaveLimiterHint : 0
; COMPUTE_PGM_RSRC2:SCRATCH_EN: 0
; COMPUTE_PGM_RSRC2:USER_SGPR: 6
; COMPUTE_PGM_RSRC2:TRAP_HANDLER: 0
; COMPUTE_PGM_RSRC2:TGID_X_EN: 1
; COMPUTE_PGM_RSRC2:TGID_Y_EN: 0
; COMPUTE_PGM_RSRC2:TGID_Z_EN: 0
; COMPUTE_PGM_RSRC2:TIDIG_COMP_CNT: 0
; COMPUTE_PGM_RSRC3_GFX90A:ACCUM_OFFSET: 0
; COMPUTE_PGM_RSRC3_GFX90A:TG_SPLIT: 0
	.section	.text._ZN7rocprim17ROCPRIM_400000_NS6detail17trampoline_kernelINS0_13select_configILj256ELj13ELNS0_17block_load_methodE3ELS4_3ELS4_3ELNS0_20block_scan_algorithmE0ELj4294967295EEENS1_25partition_config_selectorILNS1_17partition_subalgoE4EjNS0_10empty_typeEbEEZZNS1_14partition_implILS8_4ELb0ES6_15HIP_vector_typeIjLj2EENS0_17counting_iteratorIjlEEPS9_SG_NS0_5tupleIJPjSI_NS0_16reverse_iteratorISI_EEEEENSH_IJSG_SG_SG_EEES9_SI_JZNS1_25segmented_radix_sort_implINS0_14default_configELb1EPKiPiPKlPlN2at6native12_GLOBAL__N_18offset_tEEE10hipError_tPvRmT1_PNSt15iterator_traitsIS12_E10value_typeET2_T3_PNS13_IS18_E10value_typeET4_jRbjT5_S1E_jjP12ihipStream_tbEUljE_ZNSN_ISO_Lb1ESQ_SR_ST_SU_SY_EESZ_S10_S11_S12_S16_S17_S18_S1B_S1C_jS1D_jS1E_S1E_jjS1G_bEUljE0_EEESZ_S10_S11_S18_S1C_S1E_T6_T7_T9_mT8_S1G_bDpT10_ENKUlT_T0_E_clISt17integral_constantIbLb1EES1T_IbLb0EEEEDaS1P_S1Q_EUlS1P_E_NS1_11comp_targetILNS1_3genE4ELNS1_11target_archE910ELNS1_3gpuE8ELNS1_3repE0EEENS1_30default_config_static_selectorELNS0_4arch9wavefront6targetE1EEEvS12_,"axG",@progbits,_ZN7rocprim17ROCPRIM_400000_NS6detail17trampoline_kernelINS0_13select_configILj256ELj13ELNS0_17block_load_methodE3ELS4_3ELS4_3ELNS0_20block_scan_algorithmE0ELj4294967295EEENS1_25partition_config_selectorILNS1_17partition_subalgoE4EjNS0_10empty_typeEbEEZZNS1_14partition_implILS8_4ELb0ES6_15HIP_vector_typeIjLj2EENS0_17counting_iteratorIjlEEPS9_SG_NS0_5tupleIJPjSI_NS0_16reverse_iteratorISI_EEEEENSH_IJSG_SG_SG_EEES9_SI_JZNS1_25segmented_radix_sort_implINS0_14default_configELb1EPKiPiPKlPlN2at6native12_GLOBAL__N_18offset_tEEE10hipError_tPvRmT1_PNSt15iterator_traitsIS12_E10value_typeET2_T3_PNS13_IS18_E10value_typeET4_jRbjT5_S1E_jjP12ihipStream_tbEUljE_ZNSN_ISO_Lb1ESQ_SR_ST_SU_SY_EESZ_S10_S11_S12_S16_S17_S18_S1B_S1C_jS1D_jS1E_S1E_jjS1G_bEUljE0_EEESZ_S10_S11_S18_S1C_S1E_T6_T7_T9_mT8_S1G_bDpT10_ENKUlT_T0_E_clISt17integral_constantIbLb1EES1T_IbLb0EEEEDaS1P_S1Q_EUlS1P_E_NS1_11comp_targetILNS1_3genE4ELNS1_11target_archE910ELNS1_3gpuE8ELNS1_3repE0EEENS1_30default_config_static_selectorELNS0_4arch9wavefront6targetE1EEEvS12_,comdat
	.globl	_ZN7rocprim17ROCPRIM_400000_NS6detail17trampoline_kernelINS0_13select_configILj256ELj13ELNS0_17block_load_methodE3ELS4_3ELS4_3ELNS0_20block_scan_algorithmE0ELj4294967295EEENS1_25partition_config_selectorILNS1_17partition_subalgoE4EjNS0_10empty_typeEbEEZZNS1_14partition_implILS8_4ELb0ES6_15HIP_vector_typeIjLj2EENS0_17counting_iteratorIjlEEPS9_SG_NS0_5tupleIJPjSI_NS0_16reverse_iteratorISI_EEEEENSH_IJSG_SG_SG_EEES9_SI_JZNS1_25segmented_radix_sort_implINS0_14default_configELb1EPKiPiPKlPlN2at6native12_GLOBAL__N_18offset_tEEE10hipError_tPvRmT1_PNSt15iterator_traitsIS12_E10value_typeET2_T3_PNS13_IS18_E10value_typeET4_jRbjT5_S1E_jjP12ihipStream_tbEUljE_ZNSN_ISO_Lb1ESQ_SR_ST_SU_SY_EESZ_S10_S11_S12_S16_S17_S18_S1B_S1C_jS1D_jS1E_S1E_jjS1G_bEUljE0_EEESZ_S10_S11_S18_S1C_S1E_T6_T7_T9_mT8_S1G_bDpT10_ENKUlT_T0_E_clISt17integral_constantIbLb1EES1T_IbLb0EEEEDaS1P_S1Q_EUlS1P_E_NS1_11comp_targetILNS1_3genE4ELNS1_11target_archE910ELNS1_3gpuE8ELNS1_3repE0EEENS1_30default_config_static_selectorELNS0_4arch9wavefront6targetE1EEEvS12_ ; -- Begin function _ZN7rocprim17ROCPRIM_400000_NS6detail17trampoline_kernelINS0_13select_configILj256ELj13ELNS0_17block_load_methodE3ELS4_3ELS4_3ELNS0_20block_scan_algorithmE0ELj4294967295EEENS1_25partition_config_selectorILNS1_17partition_subalgoE4EjNS0_10empty_typeEbEEZZNS1_14partition_implILS8_4ELb0ES6_15HIP_vector_typeIjLj2EENS0_17counting_iteratorIjlEEPS9_SG_NS0_5tupleIJPjSI_NS0_16reverse_iteratorISI_EEEEENSH_IJSG_SG_SG_EEES9_SI_JZNS1_25segmented_radix_sort_implINS0_14default_configELb1EPKiPiPKlPlN2at6native12_GLOBAL__N_18offset_tEEE10hipError_tPvRmT1_PNSt15iterator_traitsIS12_E10value_typeET2_T3_PNS13_IS18_E10value_typeET4_jRbjT5_S1E_jjP12ihipStream_tbEUljE_ZNSN_ISO_Lb1ESQ_SR_ST_SU_SY_EESZ_S10_S11_S12_S16_S17_S18_S1B_S1C_jS1D_jS1E_S1E_jjS1G_bEUljE0_EEESZ_S10_S11_S18_S1C_S1E_T6_T7_T9_mT8_S1G_bDpT10_ENKUlT_T0_E_clISt17integral_constantIbLb1EES1T_IbLb0EEEEDaS1P_S1Q_EUlS1P_E_NS1_11comp_targetILNS1_3genE4ELNS1_11target_archE910ELNS1_3gpuE8ELNS1_3repE0EEENS1_30default_config_static_selectorELNS0_4arch9wavefront6targetE1EEEvS12_
	.p2align	8
	.type	_ZN7rocprim17ROCPRIM_400000_NS6detail17trampoline_kernelINS0_13select_configILj256ELj13ELNS0_17block_load_methodE3ELS4_3ELS4_3ELNS0_20block_scan_algorithmE0ELj4294967295EEENS1_25partition_config_selectorILNS1_17partition_subalgoE4EjNS0_10empty_typeEbEEZZNS1_14partition_implILS8_4ELb0ES6_15HIP_vector_typeIjLj2EENS0_17counting_iteratorIjlEEPS9_SG_NS0_5tupleIJPjSI_NS0_16reverse_iteratorISI_EEEEENSH_IJSG_SG_SG_EEES9_SI_JZNS1_25segmented_radix_sort_implINS0_14default_configELb1EPKiPiPKlPlN2at6native12_GLOBAL__N_18offset_tEEE10hipError_tPvRmT1_PNSt15iterator_traitsIS12_E10value_typeET2_T3_PNS13_IS18_E10value_typeET4_jRbjT5_S1E_jjP12ihipStream_tbEUljE_ZNSN_ISO_Lb1ESQ_SR_ST_SU_SY_EESZ_S10_S11_S12_S16_S17_S18_S1B_S1C_jS1D_jS1E_S1E_jjS1G_bEUljE0_EEESZ_S10_S11_S18_S1C_S1E_T6_T7_T9_mT8_S1G_bDpT10_ENKUlT_T0_E_clISt17integral_constantIbLb1EES1T_IbLb0EEEEDaS1P_S1Q_EUlS1P_E_NS1_11comp_targetILNS1_3genE4ELNS1_11target_archE910ELNS1_3gpuE8ELNS1_3repE0EEENS1_30default_config_static_selectorELNS0_4arch9wavefront6targetE1EEEvS12_,@function
_ZN7rocprim17ROCPRIM_400000_NS6detail17trampoline_kernelINS0_13select_configILj256ELj13ELNS0_17block_load_methodE3ELS4_3ELS4_3ELNS0_20block_scan_algorithmE0ELj4294967295EEENS1_25partition_config_selectorILNS1_17partition_subalgoE4EjNS0_10empty_typeEbEEZZNS1_14partition_implILS8_4ELb0ES6_15HIP_vector_typeIjLj2EENS0_17counting_iteratorIjlEEPS9_SG_NS0_5tupleIJPjSI_NS0_16reverse_iteratorISI_EEEEENSH_IJSG_SG_SG_EEES9_SI_JZNS1_25segmented_radix_sort_implINS0_14default_configELb1EPKiPiPKlPlN2at6native12_GLOBAL__N_18offset_tEEE10hipError_tPvRmT1_PNSt15iterator_traitsIS12_E10value_typeET2_T3_PNS13_IS18_E10value_typeET4_jRbjT5_S1E_jjP12ihipStream_tbEUljE_ZNSN_ISO_Lb1ESQ_SR_ST_SU_SY_EESZ_S10_S11_S12_S16_S17_S18_S1B_S1C_jS1D_jS1E_S1E_jjS1G_bEUljE0_EEESZ_S10_S11_S18_S1C_S1E_T6_T7_T9_mT8_S1G_bDpT10_ENKUlT_T0_E_clISt17integral_constantIbLb1EES1T_IbLb0EEEEDaS1P_S1Q_EUlS1P_E_NS1_11comp_targetILNS1_3genE4ELNS1_11target_archE910ELNS1_3gpuE8ELNS1_3repE0EEENS1_30default_config_static_selectorELNS0_4arch9wavefront6targetE1EEEvS12_: ; @_ZN7rocprim17ROCPRIM_400000_NS6detail17trampoline_kernelINS0_13select_configILj256ELj13ELNS0_17block_load_methodE3ELS4_3ELS4_3ELNS0_20block_scan_algorithmE0ELj4294967295EEENS1_25partition_config_selectorILNS1_17partition_subalgoE4EjNS0_10empty_typeEbEEZZNS1_14partition_implILS8_4ELb0ES6_15HIP_vector_typeIjLj2EENS0_17counting_iteratorIjlEEPS9_SG_NS0_5tupleIJPjSI_NS0_16reverse_iteratorISI_EEEEENSH_IJSG_SG_SG_EEES9_SI_JZNS1_25segmented_radix_sort_implINS0_14default_configELb1EPKiPiPKlPlN2at6native12_GLOBAL__N_18offset_tEEE10hipError_tPvRmT1_PNSt15iterator_traitsIS12_E10value_typeET2_T3_PNS13_IS18_E10value_typeET4_jRbjT5_S1E_jjP12ihipStream_tbEUljE_ZNSN_ISO_Lb1ESQ_SR_ST_SU_SY_EESZ_S10_S11_S12_S16_S17_S18_S1B_S1C_jS1D_jS1E_S1E_jjS1G_bEUljE0_EEESZ_S10_S11_S18_S1C_S1E_T6_T7_T9_mT8_S1G_bDpT10_ENKUlT_T0_E_clISt17integral_constantIbLb1EES1T_IbLb0EEEEDaS1P_S1Q_EUlS1P_E_NS1_11comp_targetILNS1_3genE4ELNS1_11target_archE910ELNS1_3gpuE8ELNS1_3repE0EEENS1_30default_config_static_selectorELNS0_4arch9wavefront6targetE1EEEvS12_
; %bb.0:
	s_load_dwordx2 s[0:1], s[4:5], 0x68
	s_load_dword s7, s[4:5], 0x8
	s_load_dwordx2 s[56:57], s[4:5], 0x10
	s_load_dwordx4 s[44:47], s[4:5], 0x58
	s_mul_i32 s33, s6, 0xd00
	s_waitcnt lgkmcnt(0)
	v_mov_b32_e32 v3, s1
	v_mov_b32_e32 v2, s0
	s_load_dword s1, s[4:5], 0x80
	s_load_dwordx2 s[60:61], s[4:5], 0xa8
	s_load_dwordx8 s[36:43], s[4:5], 0x88
	s_load_dwordx4 s[48:51], s[46:47], 0x0
	s_waitcnt lgkmcnt(0)
	s_add_i32 s8, s1, -1
	s_mulk_i32 s1, 0xd00
	s_add_u32 s2, s56, s1
	s_addc_u32 s3, s57, 0
	s_cmp_eq_u32 s6, s8
	s_cselect_b64 s[30:31], -1, 0
	s_cmp_lg_u32 s6, s8
	v_cmp_lt_u64_e32 vcc, s[2:3], v[2:3]
	s_cselect_b64 s[2:3], -1, 0
	s_add_i32 s7, s7, s33
	s_or_b64 s[2:3], s[2:3], vcc
	s_add_i32 s7, s7, s56
	v_add_u32_e32 v1, s7, v0
	s_mov_b64 s[8:9], -1
	s_and_b64 vcc, exec, s[2:3]
	s_cbranch_vccz .LBB451_2
; %bb.1:
	v_add_u32_e32 v2, 0x100, v1
	v_lshlrev_b32_e32 v14, 2, v0
	v_add_u32_e32 v3, 0x200, v1
	v_add_u32_e32 v4, 0x300, v1
	;; [unrolled: 1-line block ×11, first 2 shown]
	ds_write2st64_b32 v14, v1, v2 offset1:4
	ds_write2st64_b32 v14, v3, v4 offset0:8 offset1:12
	ds_write2st64_b32 v14, v5, v6 offset0:16 offset1:20
	;; [unrolled: 1-line block ×5, first 2 shown]
	ds_write_b32 v14, v13 offset:12288
	s_waitcnt lgkmcnt(0)
	s_barrier
	s_mov_b64 s[8:9], 0
.LBB451_2:
	s_andn2_b64 vcc, exec, s[8:9]
	s_add_i32 s1, s1, s56
	s_cbranch_vccnz .LBB451_4
; %bb.3:
	v_add_u32_e32 v2, 0x100, v1
	v_lshlrev_b32_e32 v14, 2, v0
	v_add_u32_e32 v3, 0x200, v1
	v_add_u32_e32 v4, 0x300, v1
	;; [unrolled: 1-line block ×11, first 2 shown]
	ds_write2st64_b32 v14, v1, v2 offset1:4
	ds_write2st64_b32 v14, v3, v4 offset0:8 offset1:12
	ds_write2st64_b32 v14, v5, v6 offset0:16 offset1:20
	;; [unrolled: 1-line block ×5, first 2 shown]
	ds_write_b32 v14, v13 offset:12288
	s_waitcnt lgkmcnt(0)
	s_barrier
.LBB451_4:
	v_mul_u32_u24_e32 v31, 13, v0
	v_lshlrev_b32_e32 v1, 2, v31
	s_load_dwordx4 s[52:55], s[4:5], 0x28
	s_load_dwordx2 s[34:35], s[4:5], 0x38
	s_waitcnt lgkmcnt(0)
	ds_read2_b32 v[18:19], v1 offset1:1
	ds_read2_b32 v[16:17], v1 offset0:2 offset1:3
	ds_read2_b32 v[14:15], v1 offset0:4 offset1:5
	;; [unrolled: 1-line block ×5, first 2 shown]
	ds_read_b32 v30, v1 offset:48
	v_cndmask_b32_e64 v1, 0, 1, s[2:3]
	s_sub_i32 s7, s0, s1
	v_cmp_ne_u32_e64 s[0:1], 1, v1
	s_andn2_b64 vcc, exec, s[2:3]
	s_waitcnt lgkmcnt(0)
	s_barrier
	s_cbranch_vccnz .LBB451_32
; %bb.5:
	v_add_u32_e32 v1, s37, v18
	v_add_u32_e32 v2, s39, v18
	v_mul_lo_u32 v1, v1, s36
	v_mul_lo_u32 v2, v2, s38
	v_sub_u32_e32 v1, v1, v2
	v_cmp_lt_u32_e32 vcc, s40, v1
	v_cmp_ge_u32_e64 s[2:3], s40, v1
	s_mov_b64 s[64:65], 0
	s_mov_b64 s[62:63], 0
	s_and_saveexec_b64 s[8:9], s[2:3]
; %bb.6:
	v_add_u32_e32 v1, s42, v18
	v_add_u32_e32 v2, s60, v18
	v_mul_lo_u32 v1, v1, s41
	v_mul_lo_u32 v2, v2, s43
	v_sub_u32_e32 v1, v1, v2
	v_cmp_lt_u32_e64 s[2:3], s61, v1
	s_and_b64 s[62:63], s[2:3], exec
; %bb.7:
	s_or_b64 exec, exec, s[8:9]
	v_add_u32_e32 v1, s37, v19
	v_add_u32_e32 v2, s39, v19
	v_mul_lo_u32 v1, v1, s36
	v_mul_lo_u32 v2, v2, s38
	v_sub_u32_e32 v1, v1, v2
	v_cmp_lt_u32_e64 s[2:3], s40, v1
	v_cmp_ge_u32_e64 s[8:9], s40, v1
	s_and_saveexec_b64 s[10:11], s[8:9]
; %bb.8:
	v_add_u32_e32 v1, s42, v19
	v_add_u32_e32 v2, s60, v19
	v_mul_lo_u32 v1, v1, s41
	v_mul_lo_u32 v2, v2, s43
	v_sub_u32_e32 v1, v1, v2
	v_cmp_lt_u32_e64 s[8:9], s61, v1
	s_and_b64 s[64:65], s[8:9], exec
; %bb.9:
	s_or_b64 exec, exec, s[10:11]
	v_add_u32_e32 v1, s37, v16
	v_add_u32_e32 v2, s39, v16
	v_mul_lo_u32 v1, v1, s36
	v_mul_lo_u32 v2, v2, s38
	v_sub_u32_e32 v1, v1, v2
	v_cmp_lt_u32_e64 s[26:27], s40, v1
	v_cmp_ge_u32_e64 s[8:9], s40, v1
	s_mov_b64 s[68:69], 0
	s_mov_b64 s[66:67], 0
	s_and_saveexec_b64 s[10:11], s[8:9]
; %bb.10:
	v_add_u32_e32 v1, s42, v16
	v_add_u32_e32 v2, s60, v16
	v_mul_lo_u32 v1, v1, s41
	v_mul_lo_u32 v2, v2, s43
	v_sub_u32_e32 v1, v1, v2
	v_cmp_lt_u32_e64 s[8:9], s61, v1
	s_and_b64 s[66:67], s[8:9], exec
; %bb.11:
	s_or_b64 exec, exec, s[10:11]
	v_add_u32_e32 v1, s37, v17
	v_add_u32_e32 v2, s39, v17
	v_mul_lo_u32 v1, v1, s36
	v_mul_lo_u32 v2, v2, s38
	v_sub_u32_e32 v1, v1, v2
	v_cmp_lt_u32_e64 s[8:9], s40, v1
	v_cmp_ge_u32_e64 s[10:11], s40, v1
	s_and_saveexec_b64 s[12:13], s[10:11]
; %bb.12:
	v_add_u32_e32 v1, s42, v17
	v_add_u32_e32 v2, s60, v17
	v_mul_lo_u32 v1, v1, s41
	v_mul_lo_u32 v2, v2, s43
	v_sub_u32_e32 v1, v1, v2
	v_cmp_lt_u32_e64 s[10:11], s61, v1
	s_and_b64 s[68:69], s[10:11], exec
; %bb.13:
	s_or_b64 exec, exec, s[12:13]
	v_add_u32_e32 v1, s37, v14
	v_add_u32_e32 v2, s39, v14
	v_mul_lo_u32 v1, v1, s36
	v_mul_lo_u32 v2, v2, s38
	v_sub_u32_e32 v1, v1, v2
	v_cmp_lt_u32_e64 s[10:11], s40, v1
	;; [unrolled: 38-line block ×5, first 2 shown]
	v_cmp_ge_u32_e64 s[24:25], s40, v1
	s_mov_b64 s[84:85], 0
	s_mov_b64 s[86:87], 0
	s_and_saveexec_b64 s[28:29], s[24:25]
; %bb.26:
	v_add_u32_e32 v1, s42, v8
	v_add_u32_e32 v2, s60, v8
	v_mul_lo_u32 v1, v1, s41
	v_mul_lo_u32 v2, v2, s43
	v_sub_u32_e32 v1, v1, v2
	v_cmp_lt_u32_e64 s[24:25], s61, v1
	s_and_b64 s[86:87], s[24:25], exec
; %bb.27:
	s_or_b64 exec, exec, s[28:29]
	v_add_u32_e32 v1, s37, v9
	v_add_u32_e32 v2, s39, v9
	v_mul_lo_u32 v1, v1, s36
	v_mul_lo_u32 v2, v2, s38
	v_sub_u32_e32 v1, v1, v2
	v_cmp_lt_u32_e64 s[24:25], s40, v1
	v_cmp_ge_u32_e64 s[28:29], s40, v1
	s_and_saveexec_b64 s[46:47], s[28:29]
; %bb.28:
	v_add_u32_e32 v1, s42, v9
	v_add_u32_e32 v2, s60, v9
	v_mul_lo_u32 v1, v1, s41
	v_mul_lo_u32 v2, v2, s43
	v_sub_u32_e32 v1, v1, v2
	v_cmp_lt_u32_e64 s[28:29], s61, v1
	s_and_b64 s[84:85], s[28:29], exec
; %bb.29:
	s_or_b64 exec, exec, s[46:47]
	v_add_u32_e32 v1, s37, v30
	v_add_u32_e32 v2, s39, v30
	v_mul_lo_u32 v1, v1, s36
	v_mul_lo_u32 v2, v2, s38
	v_sub_u32_e32 v1, v1, v2
	v_cmp_ge_u32_e64 s[28:29], s40, v1
	s_mov_b64 s[46:47], -1
	s_mov_b64 s[78:79], 0
	s_mov_b64 s[58:59], 0
	s_and_saveexec_b64 s[88:89], s[28:29]
; %bb.30:
	v_add_u32_e32 v1, s42, v30
	v_add_u32_e32 v2, s60, v30
	v_mul_lo_u32 v1, v1, s41
	v_mul_lo_u32 v2, v2, s43
	v_sub_u32_e32 v1, v1, v2
	v_cmp_lt_u32_e64 s[28:29], s61, v1
	s_and_b64 s[58:59], s[28:29], exec
	s_xor_b64 s[46:47], exec, -1
; %bb.31:
	s_or_b64 exec, exec, s[88:89]
	v_cndmask_b32_e64 v52, 0, 1, s[86:87]
	v_cndmask_b32_e64 v55, 0, 1, s[24:25]
	;; [unrolled: 1-line block ×22, first 2 shown]
	v_cndmask_b32_e64 v32, 0, 1, vcc
	v_cndmask_b32_e64 v54, 0, 1, s[84:85]
	s_load_dwordx2 s[12:13], s[4:5], 0x78
	s_add_i32 s18, s7, 0xd00
	s_and_b64 vcc, exec, s[78:79]
	s_cbranch_vccnz .LBB451_33
	s_branch .LBB451_86
.LBB451_32:
                                        ; implicit-def: $sgpr46_sgpr47
                                        ; implicit-def: $sgpr58_sgpr59
                                        ; implicit-def: $vgpr54
                                        ; implicit-def: $vgpr52
                                        ; implicit-def: $vgpr50
                                        ; implicit-def: $vgpr48
                                        ; implicit-def: $vgpr46
                                        ; implicit-def: $vgpr44
                                        ; implicit-def: $vgpr42
                                        ; implicit-def: $vgpr40
                                        ; implicit-def: $vgpr38
                                        ; implicit-def: $vgpr32
                                        ; implicit-def: $vgpr34
                                        ; implicit-def: $vgpr36
                                        ; implicit-def: $vgpr39
                                        ; implicit-def: $vgpr41
                                        ; implicit-def: $vgpr43
                                        ; implicit-def: $vgpr45
                                        ; implicit-def: $vgpr47
                                        ; implicit-def: $vgpr49
                                        ; implicit-def: $vgpr51
                                        ; implicit-def: $vgpr53
                                        ; implicit-def: $vgpr55
                                        ; implicit-def: $vgpr33
                                        ; implicit-def: $vgpr35
                                        ; implicit-def: $vgpr37
	s_load_dwordx2 s[12:13], s[4:5], 0x78
	s_add_i32 s18, s7, 0xd00
	s_cbranch_execz .LBB451_86
.LBB451_33:
	v_cmp_gt_u32_e32 vcc, s18, v31
	v_mov_b32_e32 v33, 0
	v_mov_b32_e32 v32, 0
	s_and_saveexec_b64 s[4:5], vcc
	s_cbranch_execz .LBB451_37
; %bb.34:
	v_add_u32_e32 v1, s37, v18
	v_add_u32_e32 v2, s39, v18
	v_mul_lo_u32 v1, v1, s36
	v_mul_lo_u32 v2, v2, s38
	v_sub_u32_e32 v1, v1, v2
	v_cmp_lt_u32_e32 vcc, s40, v1
	v_cmp_ge_u32_e64 s[2:3], s40, v1
	s_mov_b64 s[10:11], 0
	s_and_saveexec_b64 s[8:9], s[2:3]
; %bb.35:
	v_add_u32_e32 v1, s42, v18
	v_add_u32_e32 v2, s60, v18
	v_mul_lo_u32 v1, v1, s41
	v_mul_lo_u32 v2, v2, s43
	v_sub_u32_e32 v1, v1, v2
	v_cmp_lt_u32_e64 s[2:3], s61, v1
	s_and_b64 s[10:11], s[2:3], exec
; %bb.36:
	s_or_b64 exec, exec, s[8:9]
	v_cndmask_b32_e64 v32, 0, 1, vcc
	v_cndmask_b32_e64 v33, 0, 1, s[10:11]
.LBB451_37:
	s_or_b64 exec, exec, s[4:5]
	v_add_u32_e32 v1, 1, v31
	v_cmp_gt_u32_e32 vcc, s18, v1
	v_mov_b32_e32 v34, 0
	v_mov_b32_e32 v35, 0
	s_and_saveexec_b64 s[4:5], vcc
	s_cbranch_execz .LBB451_41
; %bb.38:
	v_add_u32_e32 v1, s37, v19
	v_add_u32_e32 v2, s39, v19
	v_mul_lo_u32 v1, v1, s36
	v_mul_lo_u32 v2, v2, s38
	v_sub_u32_e32 v1, v1, v2
	v_cmp_lt_u32_e32 vcc, s40, v1
	v_cmp_ge_u32_e64 s[2:3], s40, v1
	s_mov_b64 s[10:11], 0
	s_and_saveexec_b64 s[8:9], s[2:3]
; %bb.39:
	v_add_u32_e32 v1, s42, v19
	v_add_u32_e32 v2, s60, v19
	v_mul_lo_u32 v1, v1, s41
	v_mul_lo_u32 v2, v2, s43
	v_sub_u32_e32 v1, v1, v2
	v_cmp_lt_u32_e64 s[2:3], s61, v1
	s_and_b64 s[10:11], s[2:3], exec
; %bb.40:
	s_or_b64 exec, exec, s[8:9]
	v_cndmask_b32_e64 v34, 0, 1, vcc
	v_cndmask_b32_e64 v35, 0, 1, s[10:11]
.LBB451_41:
	s_or_b64 exec, exec, s[4:5]
	v_add_u32_e32 v1, 2, v31
	;; [unrolled: 30-line block ×12, first 2 shown]
	v_cmp_gt_u32_e32 vcc, s18, v1
	s_mov_b64 s[46:47], 0
	s_mov_b64 s[58:59], 0
	s_and_saveexec_b64 s[2:3], vcc
	s_cbranch_execz .LBB451_85
; %bb.82:
	v_add_u32_e32 v1, s37, v30
	v_add_u32_e32 v2, s39, v30
	v_mul_lo_u32 v1, v1, s36
	v_mul_lo_u32 v2, v2, s38
	v_sub_u32_e32 v1, v1, v2
	v_cmp_ge_u32_e32 vcc, s40, v1
	s_mov_b64 s[8:9], -1
	s_mov_b64 s[10:11], 0
	s_and_saveexec_b64 s[4:5], vcc
; %bb.83:
	v_add_u32_e32 v1, s42, v30
	v_add_u32_e32 v2, s60, v30
	v_mul_lo_u32 v1, v1, s41
	v_mul_lo_u32 v2, v2, s43
	v_sub_u32_e32 v1, v1, v2
	v_cmp_lt_u32_e32 vcc, s61, v1
	s_and_b64 s[10:11], vcc, exec
	s_xor_b64 s[8:9], exec, -1
; %bb.84:
	s_or_b64 exec, exec, s[4:5]
	s_and_b64 s[58:59], s[10:11], exec
	s_and_b64 s[46:47], s[8:9], exec
.LBB451_85:
	s_or_b64 exec, exec, s[2:3]
.LBB451_86:
	v_and_b32_e32 v63, 0xff, v33
	v_and_b32_e32 v74, 0xff, v35
	;; [unrolled: 1-line block ×5, first 2 shown]
	v_add3_u32 v2, v74, v65, v63
	v_and_b32_e32 v76, 0xff, v42
	v_and_b32_e32 v69, 0xff, v44
	v_add3_u32 v2, v2, v75, v67
	v_and_b32_e32 v62, 0xff, v32
	v_and_b32_e32 v56, 0xff, v34
	;; [unrolled: 1-line block ×5, first 2 shown]
	v_add3_u32 v2, v2, v76, v69
	v_and_b32_e32 v57, 0xff, v39
	v_and_b32_e32 v66, 0xff, v41
	;; [unrolled: 1-line block ×4, first 2 shown]
	v_add3_u32 v3, v56, v64, v62
	v_add3_u32 v2, v2, v77, v71
	v_and_b32_e32 v58, 0xff, v43
	v_and_b32_e32 v68, 0xff, v45
	;; [unrolled: 1-line block ×3, first 2 shown]
	v_cndmask_b32_e64 v1, 0, 1, s[58:59]
	v_add3_u32 v3, v3, v57, v66
	v_add3_u32 v2, v2, v78, v73
	v_and_b32_e32 v59, 0xff, v47
	v_and_b32_e32 v70, 0xff, v49
	v_add3_u32 v3, v3, v58, v68
	v_add3_u32 v86, v2, v79, v1
	v_mbcnt_lo_u32_b32 v1, -1, 0
	v_and_b32_e32 v60, 0xff, v51
	v_and_b32_e32 v72, 0xff, v53
	v_add3_u32 v3, v3, v59, v70
	v_mbcnt_hi_u32_b32 v80, -1, v1
	v_and_b32_e32 v61, 0xff, v55
	v_add3_u32 v3, v3, v60, v72
	v_cndmask_b32_e64 v4, 0, 1, s[46:47]
	v_and_b32_e32 v84, 15, v80
	s_cmp_lg_u32 s6, 0
	v_add3_u32 v85, v3, v61, v4
	v_cmp_eq_u32_e64 s[4:5], 0, v84
	v_cmp_lt_u32_e64 s[2:3], 1, v84
	v_cmp_lt_u32_e64 s[8:9], 3, v84
	;; [unrolled: 1-line block ×3, first 2 shown]
	v_and_b32_e32 v83, 16, v80
	v_cmp_lt_u32_e32 vcc, 31, v80
	v_lshrrev_b32_e32 v81, 6, v0
	v_or_b32_e32 v82, 63, v0
	s_cbranch_scc0 .LBB451_119
; %bb.87:
	v_mov_b32_dpp v1, v85 row_shr:1 row_mask:0xf bank_mask:0xf
	v_mov_b32_dpp v2, v86 row_shr:1 row_mask:0xf bank_mask:0xf
	v_add_u32_e32 v1, v1, v85
	v_add_u32_e32 v2, v2, v86
	v_cndmask_b32_e64 v2, v2, v86, s[4:5]
	v_cndmask_b32_e64 v1, v1, v85, s[4:5]
	s_nop 0
	v_mov_b32_dpp v4, v2 row_shr:2 row_mask:0xf bank_mask:0xf
	v_mov_b32_dpp v3, v1 row_shr:2 row_mask:0xf bank_mask:0xf
	v_add_u32_e32 v3, v1, v3
	v_add_u32_e32 v4, v2, v4
	v_cndmask_b32_e64 v2, v2, v4, s[2:3]
	v_cndmask_b32_e64 v1, v1, v3, s[2:3]
	s_nop 0
	v_mov_b32_dpp v4, v2 row_shr:4 row_mask:0xf bank_mask:0xf
	v_mov_b32_dpp v3, v1 row_shr:4 row_mask:0xf bank_mask:0xf
	v_add_u32_e32 v3, v1, v3
	v_add_u32_e32 v4, v2, v4
	v_cndmask_b32_e64 v2, v2, v4, s[8:9]
	v_cndmask_b32_e64 v1, v1, v3, s[8:9]
	v_cmp_eq_u32_e64 s[8:9], 0, v83
	v_mov_b32_dpp v4, v2 row_shr:8 row_mask:0xf bank_mask:0xf
	v_mov_b32_dpp v3, v1 row_shr:8 row_mask:0xf bank_mask:0xf
	v_add_u32_e32 v3, v1, v3
	v_add_u32_e32 v4, v2, v4
	v_cndmask_b32_e64 v2, v2, v4, s[10:11]
	v_cndmask_b32_e64 v1, v1, v3, s[10:11]
	s_nop 0
	v_mov_b32_dpp v4, v2 row_bcast:15 row_mask:0xf bank_mask:0xf
	v_mov_b32_dpp v3, v1 row_bcast:15 row_mask:0xf bank_mask:0xf
	v_add_u32_e32 v3, v1, v3
	v_add_u32_e32 v4, v2, v4
	v_cndmask_b32_e64 v2, v4, v2, s[8:9]
	v_cndmask_b32_e64 v1, v3, v1, s[8:9]
	s_nop 0
	v_mov_b32_dpp v4, v2 row_bcast:31 row_mask:0xf bank_mask:0xf
	v_mov_b32_dpp v3, v1 row_bcast:31 row_mask:0xf bank_mask:0xf
	v_add_u32_e32 v4, v2, v4
	v_add_u32_e32 v5, v1, v3
	v_cndmask_b32_e32 v3, v2, v4, vcc
	v_cndmask_b32_e32 v2, v1, v5, vcc
	v_cmp_eq_u32_e32 vcc, v82, v0
	s_and_saveexec_b64 s[8:9], vcc
	s_cbranch_execz .LBB451_89
; %bb.88:
	v_lshlrev_b32_e32 v1, 3, v81
	ds_write_b64 v1, v[2:3]
.LBB451_89:
	s_or_b64 exec, exec, s[8:9]
	v_cmp_gt_u32_e32 vcc, 4, v0
	s_waitcnt lgkmcnt(0)
	s_barrier
	s_and_saveexec_b64 s[8:9], vcc
	s_cbranch_execz .LBB451_91
; %bb.90:
	v_lshlrev_b32_e32 v1, 3, v0
	ds_read_b64 v[4:5], v1
	v_and_b32_e32 v6, 3, v80
	v_cmp_eq_u32_e32 vcc, 0, v6
	s_waitcnt lgkmcnt(0)
	v_mov_b32_dpp v7, v4 row_shr:1 row_mask:0xf bank_mask:0xf
	v_mov_b32_dpp v20, v5 row_shr:1 row_mask:0xf bank_mask:0xf
	v_add_u32_e32 v7, v7, v4
	v_add_u32_e32 v20, v20, v5
	v_cndmask_b32_e32 v5, v20, v5, vcc
	v_cndmask_b32_e32 v4, v7, v4, vcc
	v_cmp_lt_u32_e32 vcc, 1, v6
	v_mov_b32_dpp v20, v5 row_shr:2 row_mask:0xf bank_mask:0xf
	v_mov_b32_dpp v7, v4 row_shr:2 row_mask:0xf bank_mask:0xf
	v_cndmask_b32_e32 v6, 0, v7, vcc
	v_cndmask_b32_e32 v7, 0, v20, vcc
	v_add_u32_e32 v5, v7, v5
	v_add_u32_e32 v4, v6, v4
	ds_write_b64 v1, v[4:5]
.LBB451_91:
	s_or_b64 exec, exec, s[8:9]
	v_cmp_gt_u32_e32 vcc, 64, v0
	v_cmp_lt_u32_e64 s[8:9], 63, v0
	s_waitcnt lgkmcnt(0)
	s_barrier
	s_waitcnt lgkmcnt(0)
                                        ; implicit-def: $vgpr21
	s_and_saveexec_b64 s[10:11], s[8:9]
	s_xor_b64 s[8:9], exec, s[10:11]
	s_cbranch_execz .LBB451_93
; %bb.92:
	v_lshl_add_u32 v1, v81, 3, -8
	ds_read_b64 v[20:21], v1
	s_waitcnt lgkmcnt(0)
	v_add_u32_e32 v3, v21, v3
	v_add_u32_e32 v2, v20, v2
.LBB451_93:
	s_andn2_saveexec_b64 s[8:9], s[8:9]
; %bb.94:
                                        ; implicit-def: $vgpr20
; %bb.95:
	s_or_b64 exec, exec, s[8:9]
	v_add_u32_e32 v1, -1, v80
	v_and_b32_e32 v4, 64, v80
	v_cmp_lt_i32_e64 s[8:9], v1, v4
	v_cndmask_b32_e64 v1, v1, v80, s[8:9]
	v_lshlrev_b32_e32 v4, 2, v1
	ds_bpermute_b32 v1, v4, v2
	ds_bpermute_b32 v87, v4, v3
	v_cmp_eq_u32_e64 s[8:9], 0, v80
	s_and_saveexec_b64 s[10:11], vcc
	s_cbranch_execz .LBB451_118
; %bb.96:
	v_mov_b32_e32 v7, 0
	ds_read_b64 v[22:23], v7 offset:24
	s_and_saveexec_b64 s[14:15], s[8:9]
	s_cbranch_execz .LBB451_98
; %bb.97:
	s_add_i32 s16, s6, 64
	s_mov_b32 s17, 0
	s_lshl_b64 s[16:17], s[16:17], 4
	s_waitcnt lgkmcnt(0)
	v_and_b32_e32 v2, 0xff000000, v23
	v_and_b32_e32 v3, 0xff0000, v23
	s_add_u32 s16, s12, s16
	v_or_b32_e32 v2, v3, v2
	v_and_b32_e32 v3, 0xff00, v23
	s_addc_u32 s17, s13, s17
	v_or_b32_e32 v2, v2, v3
	v_or_b32_sdwa v5, v2, v23 dst_sel:DWORD dst_unused:UNUSED_PAD src0_sel:DWORD src1_sel:BYTE_0
	v_mov_b32_e32 v6, 1
	v_mov_b32_e32 v4, v22
	v_pk_mov_b32 v[2:3], s[16:17], s[16:17] op_sel:[0,1]
	;;#ASMSTART
	global_store_dwordx4 v[2:3], v[4:7] off	
s_waitcnt vmcnt(0)
	;;#ASMEND
.LBB451_98:
	s_or_b64 exec, exec, s[14:15]
	v_xad_u32 v24, v80, -1, s6
	v_add_u32_e32 v6, 64, v24
	v_lshlrev_b64 v[2:3], 4, v[6:7]
	v_mov_b32_e32 v4, s13
	v_add_co_u32_e32 v26, vcc, s12, v2
	v_addc_co_u32_e32 v27, vcc, v4, v3, vcc
	;;#ASMSTART
	global_load_dwordx4 v[2:5], v[26:27] off glc	
s_waitcnt vmcnt(0)
	;;#ASMEND
	v_and_b32_e32 v5, 0xff, v3
	v_and_b32_e32 v6, 0xff00, v3
	v_or3_b32 v5, 0, v5, v6
	v_or3_b32 v2, v2, 0, 0
	v_and_b32_e32 v6, 0xff000000, v3
	v_and_b32_e32 v3, 0xff0000, v3
	v_or3_b32 v3, v5, v3, v6
	v_or3_b32 v2, v2, 0, 0
	v_cmp_eq_u16_sdwa s[16:17], v4, v7 src0_sel:BYTE_0 src1_sel:DWORD
	s_and_saveexec_b64 s[14:15], s[16:17]
	s_cbranch_execz .LBB451_104
; %bb.99:
	s_mov_b32 s7, 1
	s_mov_b64 s[16:17], 0
	v_mov_b32_e32 v6, 0
.LBB451_100:                            ; =>This Loop Header: Depth=1
                                        ;     Child Loop BB451_101 Depth 2
	s_max_u32 s19, s7, 1
.LBB451_101:                            ;   Parent Loop BB451_100 Depth=1
                                        ; =>  This Inner Loop Header: Depth=2
	s_add_i32 s19, s19, -1
	s_cmp_eq_u32 s19, 0
	s_sleep 1
	s_cbranch_scc0 .LBB451_101
; %bb.102:                              ;   in Loop: Header=BB451_100 Depth=1
	s_cmp_lt_u32 s7, 32
	s_cselect_b64 s[20:21], -1, 0
	s_cmp_lg_u64 s[20:21], 0
	s_addc_u32 s7, s7, 0
	;;#ASMSTART
	global_load_dwordx4 v[2:5], v[26:27] off glc	
s_waitcnt vmcnt(0)
	;;#ASMEND
	v_cmp_ne_u16_sdwa s[20:21], v4, v6 src0_sel:BYTE_0 src1_sel:DWORD
	s_or_b64 s[16:17], s[20:21], s[16:17]
	s_andn2_b64 exec, exec, s[16:17]
	s_cbranch_execnz .LBB451_100
; %bb.103:
	s_or_b64 exec, exec, s[16:17]
.LBB451_104:
	s_or_b64 exec, exec, s[14:15]
	v_and_b32_e32 v89, 63, v80
	v_cmp_ne_u32_e32 vcc, 63, v89
	v_mov_b32_e32 v88, 2
	v_addc_co_u32_e32 v26, vcc, 0, v80, vcc
	v_cmp_eq_u16_sdwa s[14:15], v4, v88 src0_sel:BYTE_0 src1_sel:DWORD
	v_lshlrev_b64 v[6:7], v80, -1
	v_lshlrev_b32_e32 v90, 2, v26
	v_and_b32_e32 v5, s15, v7
	ds_bpermute_b32 v26, v90, v2
	ds_bpermute_b32 v27, v90, v3
	v_or_b32_e32 v5, 0x80000000, v5
	v_and_b32_e32 v25, s14, v6
	v_ffbl_b32_e32 v5, v5
	v_add_u32_e32 v5, 32, v5
	v_ffbl_b32_e32 v25, v25
	v_min_u32_e32 v5, v25, v5
	s_waitcnt lgkmcnt(1)
	v_add_u32_e32 v25, v26, v2
	s_waitcnt lgkmcnt(0)
	v_add_u32_e32 v26, v27, v3
	v_cmp_lt_u32_e32 vcc, v89, v5
	v_cndmask_b32_e32 v3, v3, v26, vcc
	v_cndmask_b32_e32 v2, v2, v25, vcc
	v_cmp_gt_u32_e32 vcc, 62, v89
	v_cndmask_b32_e64 v25, 0, 1, vcc
	v_lshlrev_b32_e32 v25, 1, v25
	v_add_lshl_u32 v91, v25, v80, 2
	ds_bpermute_b32 v25, v91, v2
	ds_bpermute_b32 v26, v91, v3
	v_add_u32_e32 v92, 2, v89
	v_cmp_gt_u32_e32 vcc, v92, v5
	v_add_u32_e32 v94, 4, v89
	s_waitcnt lgkmcnt(1)
	v_add_u32_e32 v25, v2, v25
	s_waitcnt lgkmcnt(0)
	v_add_u32_e32 v26, v3, v26
	v_cndmask_b32_e32 v3, v26, v3, vcc
	v_cndmask_b32_e32 v2, v25, v2, vcc
	v_cmp_gt_u32_e32 vcc, 60, v89
	v_cndmask_b32_e64 v25, 0, 1, vcc
	v_lshlrev_b32_e32 v25, 2, v25
	v_add_lshl_u32 v93, v25, v80, 2
	ds_bpermute_b32 v25, v93, v2
	ds_bpermute_b32 v26, v93, v3
	v_cmp_gt_u32_e32 vcc, v94, v5
	v_add_u32_e32 v96, 8, v89
	v_add_u32_e32 v98, 16, v89
	s_waitcnt lgkmcnt(1)
	v_add_u32_e32 v25, v2, v25
	s_waitcnt lgkmcnt(0)
	v_add_u32_e32 v26, v3, v26
	v_cndmask_b32_e32 v3, v26, v3, vcc
	v_cndmask_b32_e32 v2, v25, v2, vcc
	v_cmp_gt_u32_e32 vcc, 56, v89
	v_cndmask_b32_e64 v25, 0, 1, vcc
	v_lshlrev_b32_e32 v25, 3, v25
	v_add_lshl_u32 v95, v25, v80, 2
	ds_bpermute_b32 v25, v95, v2
	ds_bpermute_b32 v26, v95, v3
	v_cmp_gt_u32_e32 vcc, v96, v5
	v_add_u32_e32 v100, 32, v89
	s_waitcnt lgkmcnt(1)
	v_add_u32_e32 v25, v2, v25
	s_waitcnt lgkmcnt(0)
	v_add_u32_e32 v26, v3, v26
	v_cndmask_b32_e32 v3, v26, v3, vcc
	v_cndmask_b32_e32 v2, v25, v2, vcc
	v_cmp_gt_u32_e32 vcc, 48, v89
	v_cndmask_b32_e64 v25, 0, 1, vcc
	v_lshlrev_b32_e32 v25, 4, v25
	v_add_lshl_u32 v97, v25, v80, 2
	ds_bpermute_b32 v25, v97, v2
	ds_bpermute_b32 v26, v97, v3
	v_cmp_gt_u32_e32 vcc, v98, v5
	s_waitcnt lgkmcnt(1)
	v_add_u32_e32 v25, v2, v25
	s_waitcnt lgkmcnt(0)
	v_add_u32_e32 v26, v3, v26
	v_cndmask_b32_e32 v3, v26, v3, vcc
	v_cndmask_b32_e32 v2, v25, v2, vcc
	v_cmp_gt_u32_e32 vcc, 32, v89
	v_cndmask_b32_e64 v25, 0, 1, vcc
	v_lshlrev_b32_e32 v25, 5, v25
	v_add_lshl_u32 v99, v25, v80, 2
	ds_bpermute_b32 v25, v99, v2
	ds_bpermute_b32 v26, v99, v3
	v_cmp_le_u32_e32 vcc, v100, v5
	s_waitcnt lgkmcnt(1)
	v_cndmask_b32_e32 v5, 0, v25, vcc
	s_waitcnt lgkmcnt(0)
	v_cndmask_b32_e32 v25, 0, v26, vcc
	v_add_u32_e32 v3, v3, v25
	v_add_u32_e32 v2, v2, v5
	v_mov_b32_e32 v25, 0
	s_branch .LBB451_106
.LBB451_105:                            ;   in Loop: Header=BB451_106 Depth=1
	s_or_b64 exec, exec, s[14:15]
	v_cmp_eq_u16_sdwa s[14:15], v4, v88 src0_sel:BYTE_0 src1_sel:DWORD
	v_and_b32_e32 v5, s15, v7
	ds_bpermute_b32 v29, v90, v2
	ds_bpermute_b32 v101, v90, v3
	v_or_b32_e32 v5, 0x80000000, v5
	v_and_b32_e32 v28, s14, v6
	v_ffbl_b32_e32 v5, v5
	v_add_u32_e32 v5, 32, v5
	v_ffbl_b32_e32 v28, v28
	v_min_u32_e32 v5, v28, v5
	s_waitcnt lgkmcnt(1)
	v_add_u32_e32 v28, v29, v2
	s_waitcnt lgkmcnt(0)
	v_add_u32_e32 v29, v101, v3
	v_cmp_lt_u32_e32 vcc, v89, v5
	v_cndmask_b32_e32 v3, v3, v29, vcc
	v_cndmask_b32_e32 v2, v2, v28, vcc
	ds_bpermute_b32 v28, v91, v2
	ds_bpermute_b32 v29, v91, v3
	v_cmp_gt_u32_e32 vcc, v92, v5
	v_subrev_u32_e32 v24, 64, v24
	s_waitcnt lgkmcnt(1)
	v_add_u32_e32 v28, v2, v28
	s_waitcnt lgkmcnt(0)
	v_add_u32_e32 v29, v3, v29
	v_cndmask_b32_e32 v3, v29, v3, vcc
	v_cndmask_b32_e32 v2, v28, v2, vcc
	ds_bpermute_b32 v28, v93, v2
	ds_bpermute_b32 v29, v93, v3
	v_cmp_gt_u32_e32 vcc, v94, v5
	s_waitcnt lgkmcnt(1)
	v_add_u32_e32 v28, v2, v28
	s_waitcnt lgkmcnt(0)
	v_add_u32_e32 v29, v3, v29
	v_cndmask_b32_e32 v3, v29, v3, vcc
	v_cndmask_b32_e32 v2, v28, v2, vcc
	ds_bpermute_b32 v28, v95, v2
	ds_bpermute_b32 v29, v95, v3
	v_cmp_gt_u32_e32 vcc, v96, v5
	;; [unrolled: 9-line block ×3, first 2 shown]
	s_waitcnt lgkmcnt(1)
	v_add_u32_e32 v28, v2, v28
	s_waitcnt lgkmcnt(0)
	v_add_u32_e32 v29, v3, v29
	v_cndmask_b32_e32 v3, v29, v3, vcc
	v_cndmask_b32_e32 v2, v28, v2, vcc
	ds_bpermute_b32 v28, v99, v2
	ds_bpermute_b32 v29, v99, v3
	v_cmp_le_u32_e32 vcc, v100, v5
	s_waitcnt lgkmcnt(1)
	v_cndmask_b32_e32 v5, 0, v28, vcc
	s_waitcnt lgkmcnt(0)
	v_cndmask_b32_e32 v28, 0, v29, vcc
	v_add3_u32 v3, v28, v27, v3
	v_add3_u32 v2, v5, v26, v2
.LBB451_106:                            ; =>This Loop Header: Depth=1
                                        ;     Child Loop BB451_109 Depth 2
                                        ;       Child Loop BB451_110 Depth 3
	v_cmp_ne_u16_sdwa s[14:15], v4, v88 src0_sel:BYTE_0 src1_sel:DWORD
	v_cndmask_b32_e64 v4, 0, 1, s[14:15]
	;;#ASMSTART
	;;#ASMEND
	v_cmp_ne_u32_e32 vcc, 0, v4
	s_cmp_lg_u64 vcc, exec
	v_pk_mov_b32 v[26:27], v[2:3], v[2:3] op_sel:[0,1]
	s_cbranch_scc1 .LBB451_113
; %bb.107:                              ;   in Loop: Header=BB451_106 Depth=1
	v_lshlrev_b64 v[2:3], 4, v[24:25]
	v_mov_b32_e32 v4, s13
	v_add_co_u32_e32 v28, vcc, s12, v2
	v_addc_co_u32_e32 v29, vcc, v4, v3, vcc
	;;#ASMSTART
	global_load_dwordx4 v[2:5], v[28:29] off glc	
s_waitcnt vmcnt(0)
	;;#ASMEND
	v_and_b32_e32 v5, 0xff, v3
	v_and_b32_e32 v101, 0xff00, v3
	v_or3_b32 v5, 0, v5, v101
	v_or3_b32 v2, v2, 0, 0
	v_and_b32_e32 v101, 0xff000000, v3
	v_and_b32_e32 v3, 0xff0000, v3
	v_or3_b32 v3, v5, v3, v101
	v_or3_b32 v2, v2, 0, 0
	v_cmp_eq_u16_sdwa s[16:17], v4, v25 src0_sel:BYTE_0 src1_sel:DWORD
	s_and_saveexec_b64 s[14:15], s[16:17]
	s_cbranch_execz .LBB451_105
; %bb.108:                              ;   in Loop: Header=BB451_106 Depth=1
	s_mov_b32 s7, 1
	s_mov_b64 s[16:17], 0
.LBB451_109:                            ;   Parent Loop BB451_106 Depth=1
                                        ; =>  This Loop Header: Depth=2
                                        ;       Child Loop BB451_110 Depth 3
	s_max_u32 s19, s7, 1
.LBB451_110:                            ;   Parent Loop BB451_106 Depth=1
                                        ;     Parent Loop BB451_109 Depth=2
                                        ; =>    This Inner Loop Header: Depth=3
	s_add_i32 s19, s19, -1
	s_cmp_eq_u32 s19, 0
	s_sleep 1
	s_cbranch_scc0 .LBB451_110
; %bb.111:                              ;   in Loop: Header=BB451_109 Depth=2
	s_cmp_lt_u32 s7, 32
	s_cselect_b64 s[20:21], -1, 0
	s_cmp_lg_u64 s[20:21], 0
	s_addc_u32 s7, s7, 0
	;;#ASMSTART
	global_load_dwordx4 v[2:5], v[28:29] off glc	
s_waitcnt vmcnt(0)
	;;#ASMEND
	v_cmp_ne_u16_sdwa s[20:21], v4, v25 src0_sel:BYTE_0 src1_sel:DWORD
	s_or_b64 s[16:17], s[20:21], s[16:17]
	s_andn2_b64 exec, exec, s[16:17]
	s_cbranch_execnz .LBB451_109
; %bb.112:                              ;   in Loop: Header=BB451_106 Depth=1
	s_or_b64 exec, exec, s[16:17]
	s_branch .LBB451_105
.LBB451_113:                            ;   in Loop: Header=BB451_106 Depth=1
                                        ; implicit-def: $vgpr4
                                        ; implicit-def: $vgpr2_vgpr3
	s_cbranch_execz .LBB451_106
; %bb.114:
	s_and_saveexec_b64 s[14:15], s[8:9]
	s_cbranch_execz .LBB451_116
; %bb.115:
	s_add_i32 s6, s6, 64
	s_mov_b32 s7, 0
	v_add_u32_e32 v3, v27, v23
	s_lshl_b64 s[6:7], s[6:7], 4
	s_add_u32 s6, s12, s6
	v_and_b32_e32 v4, 0xff000000, v3
	v_and_b32_e32 v6, 0xff0000, v3
	s_addc_u32 s7, s13, s7
	v_or_b32_e32 v4, v6, v4
	v_and_b32_e32 v6, 0xff00, v3
	v_and_b32_e32 v3, 0xff, v3
	v_add_u32_e32 v2, v26, v22
	v_mov_b32_e32 v5, 0
	v_or3_b32 v3, v4, v6, v3
	v_mov_b32_e32 v4, 2
	v_pk_mov_b32 v[6:7], s[6:7], s[6:7] op_sel:[0,1]
	;;#ASMSTART
	global_store_dwordx4 v[6:7], v[2:5] off	
s_waitcnt vmcnt(0)
	;;#ASMEND
	s_movk_i32 s6, 0x3400
	v_add_u32_e64 v2, s6, 0
	ds_write2_b32 v2, v22, v23 offset1:2
	ds_write2_b32 v2, v26, v27 offset0:4 offset1:6
.LBB451_116:
	s_or_b64 exec, exec, s[14:15]
	v_cmp_eq_u32_e32 vcc, 0, v0
	s_and_b64 exec, exec, vcc
	s_cbranch_execz .LBB451_118
; %bb.117:
	v_mov_b32_e32 v2, 0
	ds_write_b64 v2, v[26:27] offset:24
.LBB451_118:
	s_or_b64 exec, exec, s[10:11]
	v_mov_b32_e32 v2, 0
	s_waitcnt lgkmcnt(0)
	s_barrier
	ds_read_b64 v[6:7], v2 offset:24
	s_movk_i32 s6, 0x3400
	v_cndmask_b32_e64 v2, v87, v21, s[8:9]
	v_cndmask_b32_e64 v1, v1, v20, s[8:9]
	v_add_u32_e64 v4, s6, 0
	s_waitcnt lgkmcnt(0)
	v_add_u32_e32 v20, v6, v1
	v_add_u32_e32 v1, v7, v2
	s_barrier
	ds_read2_b32 v[2:3], v4 offset1:2
	ds_read2_b32 v[4:5], v4 offset0:4 offset1:6
	v_cmp_eq_u32_e32 vcc, 0, v0
	v_cndmask_b32_e32 v1, v1, v7, vcc
	v_cndmask_b32_e32 v20, v20, v6, vcc
	s_branch .LBB451_129
.LBB451_119:
                                        ; implicit-def: $vgpr1
                                        ; implicit-def: $vgpr4
                                        ; implicit-def: $vgpr2
                                        ; implicit-def: $vgpr20_vgpr21
	s_cbranch_execz .LBB451_129
; %bb.120:
	s_nop 0
	v_mov_b32_dpp v1, v85 row_shr:1 row_mask:0xf bank_mask:0xf
	s_waitcnt lgkmcnt(0)
	v_mov_b32_dpp v2, v86 row_shr:1 row_mask:0xf bank_mask:0xf
	v_add_u32_e32 v1, v1, v85
	v_add_u32_e32 v2, v2, v86
	v_cndmask_b32_e64 v2, v2, v86, s[4:5]
	v_cndmask_b32_e64 v1, v1, v85, s[4:5]
	v_cmp_lt_u32_e32 vcc, 3, v84
	v_mov_b32_dpp v4, v2 row_shr:2 row_mask:0xf bank_mask:0xf
	v_mov_b32_dpp v3, v1 row_shr:2 row_mask:0xf bank_mask:0xf
	v_add_u32_e32 v3, v1, v3
	v_add_u32_e32 v4, v2, v4
	v_cndmask_b32_e64 v2, v2, v4, s[2:3]
	v_cndmask_b32_e64 v1, v1, v3, s[2:3]
	s_nop 0
	v_mov_b32_dpp v4, v2 row_shr:4 row_mask:0xf bank_mask:0xf
	v_mov_b32_dpp v3, v1 row_shr:4 row_mask:0xf bank_mask:0xf
	v_add_u32_e32 v3, v1, v3
	v_add_u32_e32 v4, v2, v4
	v_cndmask_b32_e32 v2, v2, v4, vcc
	v_cndmask_b32_e32 v1, v1, v3, vcc
	v_cmp_lt_u32_e32 vcc, 7, v84
	v_mov_b32_dpp v4, v2 row_shr:8 row_mask:0xf bank_mask:0xf
	v_mov_b32_dpp v3, v1 row_shr:8 row_mask:0xf bank_mask:0xf
	v_add_u32_e32 v3, v1, v3
	v_add_u32_e32 v4, v2, v4
	v_cndmask_b32_e32 v2, v2, v4, vcc
	v_cndmask_b32_e32 v1, v1, v3, vcc
	v_cmp_eq_u32_e32 vcc, 0, v83
	v_mov_b32_dpp v4, v2 row_bcast:15 row_mask:0xf bank_mask:0xf
	v_mov_b32_dpp v3, v1 row_bcast:15 row_mask:0xf bank_mask:0xf
	v_add_u32_e32 v3, v1, v3
	v_add_u32_e32 v4, v2, v4
	v_cndmask_b32_e32 v2, v4, v2, vcc
	v_cndmask_b32_e32 v1, v3, v1, vcc
	v_cmp_lt_u32_e32 vcc, 31, v80
	v_mov_b32_dpp v4, v2 row_bcast:31 row_mask:0xf bank_mask:0xf
	v_mov_b32_dpp v3, v1 row_bcast:31 row_mask:0xf bank_mask:0xf
	v_add_u32_e32 v4, v2, v4
	v_add_u32_e32 v5, v1, v3
	v_cndmask_b32_e32 v3, v2, v4, vcc
	v_cndmask_b32_e32 v2, v1, v5, vcc
	v_cmp_eq_u32_e32 vcc, v82, v0
	s_and_saveexec_b64 s[2:3], vcc
	s_cbranch_execz .LBB451_122
; %bb.121:
	v_lshlrev_b32_e32 v1, 3, v81
	ds_write_b64 v1, v[2:3]
.LBB451_122:
	s_or_b64 exec, exec, s[2:3]
	v_cmp_gt_u32_e32 vcc, 4, v0
	s_waitcnt lgkmcnt(0)
	s_barrier
	s_and_saveexec_b64 s[2:3], vcc
	s_cbranch_execz .LBB451_124
; %bb.123:
	v_lshlrev_b32_e32 v1, 3, v0
	ds_read_b64 v[4:5], v1
	v_and_b32_e32 v6, 3, v80
	v_cmp_eq_u32_e32 vcc, 0, v6
	s_waitcnt lgkmcnt(0)
	v_mov_b32_dpp v7, v4 row_shr:1 row_mask:0xf bank_mask:0xf
	v_mov_b32_dpp v20, v5 row_shr:1 row_mask:0xf bank_mask:0xf
	v_add_u32_e32 v7, v7, v4
	v_add_u32_e32 v20, v20, v5
	v_cndmask_b32_e32 v5, v20, v5, vcc
	v_cndmask_b32_e32 v4, v7, v4, vcc
	v_cmp_lt_u32_e32 vcc, 1, v6
	v_mov_b32_dpp v20, v5 row_shr:2 row_mask:0xf bank_mask:0xf
	v_mov_b32_dpp v7, v4 row_shr:2 row_mask:0xf bank_mask:0xf
	v_cndmask_b32_e32 v6, 0, v7, vcc
	v_cndmask_b32_e32 v7, 0, v20, vcc
	v_add_u32_e32 v5, v7, v5
	v_add_u32_e32 v4, v6, v4
	ds_write_b64 v1, v[4:5]
.LBB451_124:
	s_or_b64 exec, exec, s[2:3]
	v_cmp_lt_u32_e32 vcc, 63, v0
	v_mov_b32_e32 v4, 0
	v_mov_b32_e32 v6, 0
	;; [unrolled: 1-line block ×3, first 2 shown]
	s_waitcnt lgkmcnt(0)
	s_barrier
	s_and_saveexec_b64 s[2:3], vcc
	s_cbranch_execz .LBB451_126
; %bb.125:
	v_lshl_add_u32 v1, v81, 3, -8
	ds_read_b64 v[6:7], v1
.LBB451_126:
	s_or_b64 exec, exec, s[2:3]
	s_waitcnt lgkmcnt(0)
	v_add_u32_e32 v5, v7, v3
	v_add_u32_e32 v1, v6, v2
	v_add_u32_e32 v2, -1, v80
	v_and_b32_e32 v3, 64, v80
	v_cmp_lt_i32_e32 vcc, v2, v3
	v_cndmask_b32_e32 v2, v2, v80, vcc
	v_lshlrev_b32_e32 v20, 2, v2
	ds_read_b64 v[2:3], v4 offset:24
	ds_bpermute_b32 v1, v20, v1
	ds_bpermute_b32 v20, v20, v5
	v_cmp_eq_u32_e32 vcc, 0, v0
	s_waitcnt lgkmcnt(2)
	v_readfirstlane_b32 s4, v3
	s_and_saveexec_b64 s[2:3], vcc
	s_cbranch_execz .LBB451_128
; %bb.127:
	s_add_u32 s6, s12, 0x400
	s_mov_b32 s8, 0
	s_addc_u32 s7, s13, 0
	s_and_b32 s9, s4, 0xff000000
	s_and_b32 s11, s4, 0xff0000
	s_mov_b32 s10, s8
	s_or_b64 s[10:11], s[10:11], s[8:9]
	s_and_b32 s9, s4, 0xff00
	s_or_b64 s[10:11], s[10:11], s[8:9]
	s_and_b32 s9, s4, 0xff
	s_or_b64 s[8:9], s[10:11], s[8:9]
	v_mov_b32_e32 v3, s9
	v_mov_b32_e32 v4, 2
	;; [unrolled: 1-line block ×3, first 2 shown]
	v_pk_mov_b32 v[22:23], s[6:7], s[6:7] op_sel:[0,1]
	;;#ASMSTART
	global_store_dwordx4 v[22:23], v[2:5] off	
s_waitcnt vmcnt(0)
	;;#ASMEND
.LBB451_128:
	s_or_b64 exec, exec, s[2:3]
	v_cmp_eq_u32_e64 s[2:3], 0, v80
	s_waitcnt lgkmcnt(1)
	v_cndmask_b32_e64 v3, v1, v6, s[2:3]
	s_waitcnt lgkmcnt(0)
	v_cndmask_b32_e64 v1, v20, v7, s[2:3]
	v_mov_b32_e32 v4, 0
	v_cndmask_b32_e64 v1, v1, 0, vcc
	v_cndmask_b32_e64 v20, v3, 0, vcc
	s_barrier
	v_mov_b32_e32 v3, s4
	v_mov_b32_e32 v5, 0
.LBB451_129:
	v_add_u32_e32 v24, v1, v63
	v_add_u32_e32 v25, v24, v74
	;; [unrolled: 1-line block ×14, first 2 shown]
	v_mov_b32_e32 v7, s49
	s_waitcnt lgkmcnt(0)
	v_add_co_u32_e32 v6, vcc, s48, v4
	v_add_u32_e32 v64, v58, v68
	v_add_u32_e32 v68, v66, v71
	v_addc_co_u32_e32 v7, vcc, 0, v7, vcc
	v_add_u32_e32 v69, v68, v78
	v_mov_b32_e32 v22, s51
	v_sub_co_u32_e32 v23, vcc, s50, v2
	v_add_u32_e32 v71, v69, v73
	v_subbrev_co_u32_e32 v73, vcc, 0, v22, vcc
	v_add_co_u32_e32 v22, vcc, v23, v5
	v_addc_co_u32_e32 v23, vcc, 0, v73, vcc
	v_lshlrev_b32_e32 v73, 1, v2
	v_sub_u32_e32 v1, v1, v5
	v_add_u32_e32 v74, v73, v3
	v_sub_u32_e32 v20, v20, v4
	v_add_u32_e32 v1, v1, v2
	v_add_u32_e32 v31, v74, v31
	v_and_b32_e32 v33, 1, v33
	v_add_u32_e32 v74, v20, v1
	v_and_b32_e32 v32, 1, v32
	v_sub_u32_e32 v74, v31, v74
	v_cmp_eq_u32_e32 vcc, 1, v33
	v_cndmask_b32_e32 v1, v74, v1, vcc
	v_cmp_eq_u32_e32 vcc, 1, v32
	v_cndmask_b32_e32 v1, v1, v20, vcc
	v_lshlrev_b32_e32 v1, 2, v1
	v_sub_u32_e32 v20, v24, v5
	ds_write_b32 v1, v18
	v_sub_u32_e32 v1, v21, v4
	v_add_u32_e32 v20, v20, v2
	v_add_u32_e32 v24, v20, v1
	v_and_b32_e32 v21, 1, v35
	v_sub_u32_e32 v24, v31, v24
	v_and_b32_e32 v18, 1, v34
	v_add_u32_e32 v24, 1, v24
	v_cmp_eq_u32_e32 vcc, 1, v21
	v_cndmask_b32_e32 v20, v24, v20, vcc
	v_cmp_eq_u32_e32 vcc, 1, v18
	v_cndmask_b32_e32 v1, v20, v1, vcc
	v_lshlrev_b32_e32 v1, 2, v1
	ds_write_b32 v1, v19
	v_sub_u32_e32 v19, v25, v5
	v_sub_u32_e32 v1, v26, v4
	v_add_u32_e32 v19, v19, v2
	v_add_u32_e32 v21, v19, v1
	v_and_b32_e32 v20, 1, v37
	v_sub_u32_e32 v21, v31, v21
	v_and_b32_e32 v18, 1, v36
	v_add_u32_e32 v21, 2, v21
	v_cmp_eq_u32_e32 vcc, 1, v20
	v_cndmask_b32_e32 v19, v21, v19, vcc
	v_cmp_eq_u32_e32 vcc, 1, v18
	v_cndmask_b32_e32 v1, v19, v1, vcc
	v_lshlrev_b32_e32 v1, 2, v1
	v_sub_u32_e32 v18, v28, v5
	ds_write_b32 v1, v16
	v_sub_u32_e32 v1, v27, v4
	v_add_u32_e32 v18, v18, v2
	v_add_u32_e32 v20, v1, v18
	v_and_b32_e32 v19, 1, v38
	v_sub_u32_e32 v20, v31, v20
	v_and_b32_e32 v16, 1, v39
	v_add_u32_e32 v20, 3, v20
	v_cmp_eq_u32_e32 vcc, 1, v19
	v_cndmask_b32_e32 v18, v20, v18, vcc
	v_cmp_eq_u32_e32 vcc, 1, v16
	v_cndmask_b32_e32 v1, v18, v1, vcc
	v_lshlrev_b32_e32 v1, 2, v1
	ds_write_b32 v1, v17
	v_sub_u32_e32 v17, v29, v5
	v_sub_u32_e32 v1, v56, v4
	v_add_u32_e32 v17, v17, v2
	v_add_u32_e32 v19, v1, v17
	v_and_b32_e32 v18, 1, v40
	v_sub_u32_e32 v19, v31, v19
	v_and_b32_e32 v16, 1, v41
	v_add_u32_e32 v19, 4, v19
	;; [unrolled: 28-line block ×3, first 2 shown]
	v_cmp_eq_u32_e32 vcc, 1, v16
	v_cndmask_b32_e32 v15, v17, v15, vcc
	v_cmp_eq_u32_e32 vcc, 1, v14
	v_cndmask_b32_e32 v1, v15, v1, vcc
	v_lshlrev_b32_e32 v1, 2, v1
	v_sub_u32_e32 v14, v65, v5
	ds_write_b32 v1, v12
	v_sub_u32_e32 v1, v64, v4
	v_add_u32_e32 v14, v14, v2
	v_add_u32_e32 v16, v1, v14
	v_and_b32_e32 v15, 1, v46
	v_sub_u32_e32 v16, v31, v16
	v_and_b32_e32 v12, 1, v47
	v_add_u32_e32 v16, 7, v16
	v_cmp_eq_u32_e32 vcc, 1, v15
	v_cndmask_b32_e32 v14, v16, v14, vcc
	v_cmp_eq_u32_e32 vcc, 1, v12
	v_cndmask_b32_e32 v1, v14, v1, vcc
	v_lshlrev_b32_e32 v1, 2, v1
	v_add_u32_e32 v59, v64, v59
	ds_write_b32 v1, v13
	v_sub_u32_e32 v13, v66, v5
	v_sub_u32_e32 v1, v59, v4
	v_add_u32_e32 v13, v13, v2
	v_add_u32_e32 v15, v1, v13
	v_and_b32_e32 v14, 1, v48
	v_sub_u32_e32 v15, v31, v15
	v_and_b32_e32 v12, 1, v49
	v_add_u32_e32 v15, 8, v15
	v_cmp_eq_u32_e32 vcc, 1, v14
	v_cndmask_b32_e32 v13, v15, v13, vcc
	v_cmp_eq_u32_e32 vcc, 1, v12
	v_cndmask_b32_e32 v1, v13, v1, vcc
	v_add_u32_e32 v67, v59, v70
	v_lshlrev_b32_e32 v1, 2, v1
	v_sub_u32_e32 v12, v68, v5
	ds_write_b32 v1, v10
	v_sub_u32_e32 v1, v67, v4
	v_add_u32_e32 v12, v12, v2
	v_add_u32_e32 v14, v1, v12
	v_and_b32_e32 v13, 1, v50
	v_sub_u32_e32 v14, v31, v14
	v_and_b32_e32 v10, 1, v51
	v_add_u32_e32 v14, 9, v14
	v_cmp_eq_u32_e32 vcc, 1, v13
	v_cndmask_b32_e32 v12, v14, v12, vcc
	v_cmp_eq_u32_e32 vcc, 1, v10
	v_cndmask_b32_e32 v1, v12, v1, vcc
	v_lshlrev_b32_e32 v1, 2, v1
	v_add_u32_e32 v60, v67, v60
	ds_write_b32 v1, v11
	v_sub_u32_e32 v11, v69, v5
	v_sub_u32_e32 v1, v60, v4
	v_add_u32_e32 v11, v11, v2
	v_add_u32_e32 v13, v1, v11
	v_and_b32_e32 v12, 1, v52
	v_sub_u32_e32 v13, v31, v13
	v_and_b32_e32 v10, 1, v53
	v_add_u32_e32 v13, 10, v13
	v_cmp_eq_u32_e32 vcc, 1, v12
	v_cndmask_b32_e32 v11, v13, v11, vcc
	v_cmp_eq_u32_e32 vcc, 1, v10
	v_cndmask_b32_e32 v1, v11, v1, vcc
	v_add_u32_e32 v70, v60, v72
	v_lshlrev_b32_e32 v1, 2, v1
	v_sub_u32_e32 v10, v71, v5
	ds_write_b32 v1, v8
	v_sub_u32_e32 v1, v70, v4
	v_add_u32_e32 v10, v10, v2
	v_add_u32_e32 v12, v1, v10
	v_and_b32_e32 v11, 1, v54
	v_sub_u32_e32 v12, v31, v12
	v_and_b32_e32 v8, 1, v55
	v_add_u32_e32 v12, 11, v12
	v_cmp_eq_u32_e32 vcc, 1, v11
	v_cndmask_b32_e32 v10, v12, v10, vcc
	v_cmp_eq_u32_e32 vcc, 1, v8
	v_cndmask_b32_e32 v1, v10, v1, vcc
	v_add_u32_e32 v72, v71, v79
	v_add_u32_e32 v61, v70, v61
	v_lshlrev_b32_e32 v1, 2, v1
	ds_write_b32 v1, v9
	v_sub_u32_e32 v1, v61, v4
	v_sub_u32_e32 v4, v72, v5
	v_add_u32_e32 v4, v4, v2
	v_add_u32_e32 v8, v1, v4
	v_sub_u32_e32 v8, v31, v8
	v_add_u32_e32 v8, 12, v8
	v_cndmask_b32_e64 v4, v8, v4, s[58:59]
	v_cndmask_b32_e64 v1, v4, v1, s[46:47]
	v_lshlrev_b32_e32 v1, 2, v1
	ds_write_b32 v1, v30
	v_add_co_u32_e32 v1, vcc, v3, v73
	v_addc_co_u32_e64 v4, s[2:3], 0, 0, vcc
	v_add_co_u32_e32 v1, vcc, v1, v22
	v_addc_co_u32_e32 v4, vcc, v4, v23, vcc
	s_add_u32 s4, s56, s33
	v_add_co_u32_e32 v1, vcc, v1, v6
	s_addc_u32 s5, s57, 0
	v_addc_co_u32_e32 v4, vcc, v4, v7, vcc
	v_mov_b32_e32 v8, s5
	v_sub_co_u32_e32 v1, vcc, s4, v1
	v_subb_co_u32_e32 v4, vcc, v8, v4, vcc
	v_lshlrev_b64 v[8:9], 2, v[22:23]
	v_mov_b32_e32 v10, s55
	v_add_co_u32_e32 v8, vcc, s54, v8
	v_addc_co_u32_e32 v9, vcc, v10, v9, vcc
	v_lshlrev_b64 v[10:11], 2, v[6:7]
	v_mov_b32_e32 v13, s53
	v_add_co_u32_e32 v10, vcc, s52, v10
	s_add_u32 s6, s34, -4
	v_addc_co_u32_e32 v11, vcc, v13, v11, vcc
	s_addc_u32 s7, s35, -1
	v_add_u32_e32 v12, v2, v3
	s_and_b64 vcc, exec, s[0:1]
	s_mov_b64 s[0:1], -1
	s_waitcnt lgkmcnt(0)
	s_barrier
	s_cbranch_vccz .LBB451_133
; %bb.130:
	s_and_b64 vcc, exec, s[0:1]
	s_cbranch_vccnz .LBB451_238
.LBB451_131:
	v_cmp_eq_u32_e32 vcc, 0, v0
	s_and_b64 s[0:1], vcc, s[30:31]
	s_and_saveexec_b64 s[2:3], s[0:1]
	s_cbranch_execnz .LBB451_356
.LBB451_132:
	s_endpgm
.LBB451_133:
	v_cmp_le_u32_e32 vcc, v2, v0
	s_and_saveexec_b64 s[0:1], vcc
	s_xor_b64 s[0:1], exec, s[0:1]
	s_cbranch_execz .LBB451_139
; %bb.134:
	v_cmp_le_u32_e32 vcc, v12, v0
	s_and_saveexec_b64 s[2:3], vcc
	s_xor_b64 s[2:3], exec, s[2:3]
	s_cbranch_execz .LBB451_136
; %bb.135:
	v_lshlrev_b32_e32 v13, 2, v0
	v_add_co_u32_e32 v14, vcc, v1, v0
	ds_read_b32 v13, v13
	v_addc_co_u32_e32 v15, vcc, 0, v4, vcc
	v_lshlrev_b64 v[14:15], 2, v[14:15]
	v_mov_b32_e32 v16, s35
	v_sub_co_u32_e32 v14, vcc, s34, v14
	v_subb_co_u32_e32 v15, vcc, v16, v15, vcc
	s_waitcnt lgkmcnt(0)
	global_store_dword v[14:15], v13, off offset:-4
.LBB451_136:
	s_andn2_saveexec_b64 s[2:3], s[2:3]
	s_cbranch_execz .LBB451_138
; %bb.137:
	v_lshlrev_b32_e32 v13, 2, v0
	ds_read_b32 v14, v13
	v_readfirstlane_b32 s4, v8
	v_readfirstlane_b32 s5, v9
	s_waitcnt lgkmcnt(0)
	s_nop 3
	global_store_dword v13, v14, s[4:5]
.LBB451_138:
	s_or_b64 exec, exec, s[2:3]
.LBB451_139:
	s_andn2_saveexec_b64 s[0:1], s[0:1]
	s_cbranch_execz .LBB451_141
; %bb.140:
	v_lshlrev_b32_e32 v13, 2, v0
	ds_read_b32 v14, v13
	v_readfirstlane_b32 s2, v10
	v_readfirstlane_b32 s3, v11
	s_waitcnt lgkmcnt(0)
	s_nop 3
	global_store_dword v13, v14, s[2:3]
.LBB451_141:
	s_or_b64 exec, exec, s[0:1]
	v_or_b32_e32 v13, 0x100, v0
	v_cmp_le_u32_e32 vcc, v2, v13
	s_and_saveexec_b64 s[0:1], vcc
	s_xor_b64 s[0:1], exec, s[0:1]
	s_cbranch_execz .LBB451_147
; %bb.142:
	v_cmp_le_u32_e32 vcc, v12, v13
	s_and_saveexec_b64 s[2:3], vcc
	s_xor_b64 s[2:3], exec, s[2:3]
	s_cbranch_execz .LBB451_144
; %bb.143:
	v_lshlrev_b32_e32 v13, 2, v0
	ds_read_b32 v13, v13 offset:1024
	v_add_co_u32_e32 v14, vcc, v1, v0
	v_addc_co_u32_e32 v15, vcc, 0, v4, vcc
	v_lshlrev_b64 v[14:15], 2, v[14:15]
	v_mov_b32_e32 v16, s7
	v_sub_co_u32_e32 v14, vcc, s6, v14
	v_subb_co_u32_e32 v15, vcc, v16, v15, vcc
	s_waitcnt lgkmcnt(0)
	global_store_dword v[14:15], v13, off offset:-1024
.LBB451_144:
	s_andn2_saveexec_b64 s[2:3], s[2:3]
	s_cbranch_execz .LBB451_146
; %bb.145:
	v_lshlrev_b32_e32 v13, 2, v0
	ds_read_b32 v14, v13 offset:1024
	v_readfirstlane_b32 s4, v8
	v_readfirstlane_b32 s5, v9
	s_waitcnt lgkmcnt(0)
	s_nop 3
	global_store_dword v13, v14, s[4:5] offset:1024
.LBB451_146:
	s_or_b64 exec, exec, s[2:3]
.LBB451_147:
	s_andn2_saveexec_b64 s[0:1], s[0:1]
	s_cbranch_execz .LBB451_149
; %bb.148:
	v_lshlrev_b32_e32 v13, 2, v0
	ds_read_b32 v14, v13 offset:1024
	v_readfirstlane_b32 s2, v10
	v_readfirstlane_b32 s3, v11
	s_waitcnt lgkmcnt(0)
	s_nop 3
	global_store_dword v13, v14, s[2:3] offset:1024
.LBB451_149:
	s_or_b64 exec, exec, s[0:1]
	v_or_b32_e32 v13, 0x200, v0
	v_cmp_le_u32_e32 vcc, v2, v13
	s_and_saveexec_b64 s[0:1], vcc
	s_xor_b64 s[0:1], exec, s[0:1]
	s_cbranch_execz .LBB451_155
; %bb.150:
	v_cmp_le_u32_e32 vcc, v12, v13
	s_and_saveexec_b64 s[2:3], vcc
	s_xor_b64 s[2:3], exec, s[2:3]
	s_cbranch_execz .LBB451_152
; %bb.151:
	v_lshlrev_b32_e32 v13, 2, v0
	ds_read_b32 v13, v13 offset:2048
	v_add_co_u32_e32 v14, vcc, v1, v0
	v_addc_co_u32_e32 v15, vcc, 0, v4, vcc
	v_lshlrev_b64 v[14:15], 2, v[14:15]
	v_mov_b32_e32 v16, s7
	v_sub_co_u32_e32 v14, vcc, s6, v14
	v_subb_co_u32_e32 v15, vcc, v16, v15, vcc
	s_waitcnt lgkmcnt(0)
	global_store_dword v[14:15], v13, off offset:-2048
.LBB451_152:
	s_andn2_saveexec_b64 s[2:3], s[2:3]
	s_cbranch_execz .LBB451_154
; %bb.153:
	v_lshlrev_b32_e32 v13, 2, v0
	ds_read_b32 v14, v13 offset:2048
	v_readfirstlane_b32 s4, v8
	v_readfirstlane_b32 s5, v9
	s_waitcnt lgkmcnt(0)
	s_nop 3
	global_store_dword v13, v14, s[4:5] offset:2048
.LBB451_154:
	s_or_b64 exec, exec, s[2:3]
.LBB451_155:
	s_andn2_saveexec_b64 s[0:1], s[0:1]
	s_cbranch_execz .LBB451_157
; %bb.156:
	v_lshlrev_b32_e32 v13, 2, v0
	ds_read_b32 v14, v13 offset:2048
	v_readfirstlane_b32 s2, v10
	v_readfirstlane_b32 s3, v11
	s_waitcnt lgkmcnt(0)
	s_nop 3
	global_store_dword v13, v14, s[2:3] offset:2048
.LBB451_157:
	;; [unrolled: 47-line block ×3, first 2 shown]
	s_or_b64 exec, exec, s[0:1]
	v_or_b32_e32 v13, 0x400, v0
	v_cmp_le_u32_e32 vcc, v2, v13
	s_and_saveexec_b64 s[0:1], vcc
	s_xor_b64 s[0:1], exec, s[0:1]
	s_cbranch_execz .LBB451_171
; %bb.166:
	v_cmp_le_u32_e32 vcc, v12, v13
	s_and_saveexec_b64 s[2:3], vcc
	s_xor_b64 s[2:3], exec, s[2:3]
	s_cbranch_execz .LBB451_168
; %bb.167:
	v_lshlrev_b32_e32 v13, 2, v0
	ds_read_b32 v13, v13 offset:4096
	v_add_co_u32_e32 v14, vcc, v1, v0
	v_addc_co_u32_e32 v15, vcc, 0, v4, vcc
	v_lshlrev_b64 v[14:15], 2, v[14:15]
	v_mov_b32_e32 v16, s7
	v_sub_co_u32_e32 v14, vcc, s6, v14
	v_subb_co_u32_e32 v15, vcc, v16, v15, vcc
	s_waitcnt lgkmcnt(0)
	global_store_dword v[14:15], v13, off offset:-4096
                                        ; implicit-def: $vgpr13
.LBB451_168:
	s_andn2_saveexec_b64 s[2:3], s[2:3]
	s_cbranch_execz .LBB451_170
; %bb.169:
	v_lshlrev_b32_e32 v14, 2, v0
	ds_read_b32 v14, v14 offset:4096
	v_lshlrev_b32_e32 v13, 2, v13
	v_readfirstlane_b32 s4, v8
	v_readfirstlane_b32 s5, v9
	s_waitcnt lgkmcnt(0)
	s_nop 3
	global_store_dword v13, v14, s[4:5]
.LBB451_170:
	s_or_b64 exec, exec, s[2:3]
                                        ; implicit-def: $vgpr13
.LBB451_171:
	s_andn2_saveexec_b64 s[0:1], s[0:1]
	s_cbranch_execz .LBB451_173
; %bb.172:
	v_lshlrev_b32_e32 v14, 2, v0
	ds_read_b32 v14, v14 offset:4096
	v_lshlrev_b32_e32 v13, 2, v13
	v_readfirstlane_b32 s2, v10
	v_readfirstlane_b32 s3, v11
	s_waitcnt lgkmcnt(0)
	s_nop 3
	global_store_dword v13, v14, s[2:3]
.LBB451_173:
	s_or_b64 exec, exec, s[0:1]
	v_or_b32_e32 v13, 0x500, v0
	v_cmp_le_u32_e32 vcc, v2, v13
	s_and_saveexec_b64 s[0:1], vcc
	s_xor_b64 s[0:1], exec, s[0:1]
	s_cbranch_execz .LBB451_179
; %bb.174:
	v_cmp_le_u32_e32 vcc, v12, v13
	s_and_saveexec_b64 s[2:3], vcc
	s_xor_b64 s[2:3], exec, s[2:3]
	s_cbranch_execz .LBB451_176
; %bb.175:
	v_add_co_u32_e32 v14, vcc, v1, v13
	v_lshlrev_b32_e32 v13, 2, v0
	ds_read_b32 v13, v13 offset:5120
	v_addc_co_u32_e32 v15, vcc, 0, v4, vcc
	v_lshlrev_b64 v[14:15], 2, v[14:15]
	v_mov_b32_e32 v16, s7
	v_sub_co_u32_e32 v14, vcc, s6, v14
	v_subb_co_u32_e32 v15, vcc, v16, v15, vcc
	s_waitcnt lgkmcnt(0)
	global_store_dword v[14:15], v13, off
                                        ; implicit-def: $vgpr13
.LBB451_176:
	s_andn2_saveexec_b64 s[2:3], s[2:3]
	s_cbranch_execz .LBB451_178
; %bb.177:
	v_lshlrev_b32_e32 v14, 2, v0
	ds_read_b32 v14, v14 offset:5120
	v_lshlrev_b32_e32 v13, 2, v13
	v_readfirstlane_b32 s4, v8
	v_readfirstlane_b32 s5, v9
	s_waitcnt lgkmcnt(0)
	s_nop 3
	global_store_dword v13, v14, s[4:5]
.LBB451_178:
	s_or_b64 exec, exec, s[2:3]
                                        ; implicit-def: $vgpr13
.LBB451_179:
	s_andn2_saveexec_b64 s[0:1], s[0:1]
	s_cbranch_execz .LBB451_181
; %bb.180:
	v_lshlrev_b32_e32 v14, 2, v0
	ds_read_b32 v14, v14 offset:5120
	v_lshlrev_b32_e32 v13, 2, v13
	v_readfirstlane_b32 s2, v10
	v_readfirstlane_b32 s3, v11
	s_waitcnt lgkmcnt(0)
	s_nop 3
	global_store_dword v13, v14, s[2:3]
.LBB451_181:
	s_or_b64 exec, exec, s[0:1]
	v_or_b32_e32 v13, 0x600, v0
	v_cmp_le_u32_e32 vcc, v2, v13
	s_and_saveexec_b64 s[0:1], vcc
	s_xor_b64 s[0:1], exec, s[0:1]
	s_cbranch_execz .LBB451_187
; %bb.182:
	v_cmp_le_u32_e32 vcc, v12, v13
	s_and_saveexec_b64 s[2:3], vcc
	s_xor_b64 s[2:3], exec, s[2:3]
	s_cbranch_execz .LBB451_184
; %bb.183:
	v_add_co_u32_e32 v14, vcc, v1, v13
	v_lshlrev_b32_e32 v13, 2, v0
	ds_read_b32 v13, v13 offset:6144
	v_addc_co_u32_e32 v15, vcc, 0, v4, vcc
	v_lshlrev_b64 v[14:15], 2, v[14:15]
	v_mov_b32_e32 v16, s7
	v_sub_co_u32_e32 v14, vcc, s6, v14
	v_subb_co_u32_e32 v15, vcc, v16, v15, vcc
	s_waitcnt lgkmcnt(0)
	global_store_dword v[14:15], v13, off
                                        ; implicit-def: $vgpr13
.LBB451_184:
	s_andn2_saveexec_b64 s[2:3], s[2:3]
	s_cbranch_execz .LBB451_186
; %bb.185:
	v_lshlrev_b32_e32 v14, 2, v0
	ds_read_b32 v14, v14 offset:6144
	v_lshlrev_b32_e32 v13, 2, v13
	v_readfirstlane_b32 s4, v8
	v_readfirstlane_b32 s5, v9
	s_waitcnt lgkmcnt(0)
	s_nop 3
	global_store_dword v13, v14, s[4:5]
.LBB451_186:
	s_or_b64 exec, exec, s[2:3]
                                        ; implicit-def: $vgpr13
.LBB451_187:
	s_andn2_saveexec_b64 s[0:1], s[0:1]
	s_cbranch_execz .LBB451_189
; %bb.188:
	v_lshlrev_b32_e32 v14, 2, v0
	ds_read_b32 v14, v14 offset:6144
	v_lshlrev_b32_e32 v13, 2, v13
	v_readfirstlane_b32 s2, v10
	v_readfirstlane_b32 s3, v11
	s_waitcnt lgkmcnt(0)
	s_nop 3
	global_store_dword v13, v14, s[2:3]
.LBB451_189:
	s_or_b64 exec, exec, s[0:1]
	v_or_b32_e32 v13, 0x700, v0
	v_cmp_le_u32_e32 vcc, v2, v13
	s_and_saveexec_b64 s[0:1], vcc
	s_xor_b64 s[0:1], exec, s[0:1]
	s_cbranch_execz .LBB451_195
; %bb.190:
	v_cmp_le_u32_e32 vcc, v12, v13
	s_and_saveexec_b64 s[2:3], vcc
	s_xor_b64 s[2:3], exec, s[2:3]
	s_cbranch_execz .LBB451_192
; %bb.191:
	v_add_co_u32_e32 v14, vcc, v1, v13
	v_lshlrev_b32_e32 v13, 2, v0
	ds_read_b32 v13, v13 offset:7168
	v_addc_co_u32_e32 v15, vcc, 0, v4, vcc
	v_lshlrev_b64 v[14:15], 2, v[14:15]
	v_mov_b32_e32 v16, s7
	v_sub_co_u32_e32 v14, vcc, s6, v14
	v_subb_co_u32_e32 v15, vcc, v16, v15, vcc
	s_waitcnt lgkmcnt(0)
	global_store_dword v[14:15], v13, off
                                        ; implicit-def: $vgpr13
.LBB451_192:
	s_andn2_saveexec_b64 s[2:3], s[2:3]
	s_cbranch_execz .LBB451_194
; %bb.193:
	v_lshlrev_b32_e32 v14, 2, v0
	ds_read_b32 v14, v14 offset:7168
	v_lshlrev_b32_e32 v13, 2, v13
	v_readfirstlane_b32 s4, v8
	v_readfirstlane_b32 s5, v9
	s_waitcnt lgkmcnt(0)
	s_nop 3
	global_store_dword v13, v14, s[4:5]
.LBB451_194:
	s_or_b64 exec, exec, s[2:3]
                                        ; implicit-def: $vgpr13
.LBB451_195:
	s_andn2_saveexec_b64 s[0:1], s[0:1]
	s_cbranch_execz .LBB451_197
; %bb.196:
	v_lshlrev_b32_e32 v14, 2, v0
	ds_read_b32 v14, v14 offset:7168
	v_lshlrev_b32_e32 v13, 2, v13
	v_readfirstlane_b32 s2, v10
	v_readfirstlane_b32 s3, v11
	s_waitcnt lgkmcnt(0)
	s_nop 3
	global_store_dword v13, v14, s[2:3]
.LBB451_197:
	s_or_b64 exec, exec, s[0:1]
	v_or_b32_e32 v13, 0x800, v0
	v_cmp_le_u32_e32 vcc, v2, v13
	s_and_saveexec_b64 s[0:1], vcc
	s_xor_b64 s[0:1], exec, s[0:1]
	s_cbranch_execz .LBB451_203
; %bb.198:
	v_cmp_le_u32_e32 vcc, v12, v13
	s_and_saveexec_b64 s[2:3], vcc
	s_xor_b64 s[2:3], exec, s[2:3]
	s_cbranch_execz .LBB451_200
; %bb.199:
	v_add_co_u32_e32 v14, vcc, v1, v13
	v_lshlrev_b32_e32 v13, 2, v0
	ds_read_b32 v13, v13 offset:8192
	v_addc_co_u32_e32 v15, vcc, 0, v4, vcc
	v_lshlrev_b64 v[14:15], 2, v[14:15]
	v_mov_b32_e32 v16, s7
	v_sub_co_u32_e32 v14, vcc, s6, v14
	v_subb_co_u32_e32 v15, vcc, v16, v15, vcc
	s_waitcnt lgkmcnt(0)
	global_store_dword v[14:15], v13, off
                                        ; implicit-def: $vgpr13
.LBB451_200:
	s_andn2_saveexec_b64 s[2:3], s[2:3]
	s_cbranch_execz .LBB451_202
; %bb.201:
	v_lshlrev_b32_e32 v14, 2, v0
	ds_read_b32 v14, v14 offset:8192
	v_lshlrev_b32_e32 v13, 2, v13
	v_readfirstlane_b32 s4, v8
	v_readfirstlane_b32 s5, v9
	s_waitcnt lgkmcnt(0)
	s_nop 3
	global_store_dword v13, v14, s[4:5]
.LBB451_202:
	s_or_b64 exec, exec, s[2:3]
                                        ; implicit-def: $vgpr13
.LBB451_203:
	s_andn2_saveexec_b64 s[0:1], s[0:1]
	s_cbranch_execz .LBB451_205
; %bb.204:
	v_lshlrev_b32_e32 v14, 2, v0
	ds_read_b32 v14, v14 offset:8192
	v_lshlrev_b32_e32 v13, 2, v13
	v_readfirstlane_b32 s2, v10
	v_readfirstlane_b32 s3, v11
	s_waitcnt lgkmcnt(0)
	s_nop 3
	global_store_dword v13, v14, s[2:3]
.LBB451_205:
	s_or_b64 exec, exec, s[0:1]
	v_or_b32_e32 v13, 0x900, v0
	v_cmp_le_u32_e32 vcc, v2, v13
	s_and_saveexec_b64 s[0:1], vcc
	s_xor_b64 s[0:1], exec, s[0:1]
	s_cbranch_execz .LBB451_211
; %bb.206:
	v_cmp_le_u32_e32 vcc, v12, v13
	s_and_saveexec_b64 s[2:3], vcc
	s_xor_b64 s[2:3], exec, s[2:3]
	s_cbranch_execz .LBB451_208
; %bb.207:
	v_add_co_u32_e32 v14, vcc, v1, v13
	v_lshlrev_b32_e32 v13, 2, v0
	ds_read_b32 v13, v13 offset:9216
	v_addc_co_u32_e32 v15, vcc, 0, v4, vcc
	v_lshlrev_b64 v[14:15], 2, v[14:15]
	v_mov_b32_e32 v16, s7
	v_sub_co_u32_e32 v14, vcc, s6, v14
	v_subb_co_u32_e32 v15, vcc, v16, v15, vcc
	s_waitcnt lgkmcnt(0)
	global_store_dword v[14:15], v13, off
                                        ; implicit-def: $vgpr13
.LBB451_208:
	s_andn2_saveexec_b64 s[2:3], s[2:3]
	s_cbranch_execz .LBB451_210
; %bb.209:
	v_lshlrev_b32_e32 v14, 2, v0
	ds_read_b32 v14, v14 offset:9216
	v_lshlrev_b32_e32 v13, 2, v13
	v_readfirstlane_b32 s4, v8
	v_readfirstlane_b32 s5, v9
	s_waitcnt lgkmcnt(0)
	s_nop 3
	global_store_dword v13, v14, s[4:5]
.LBB451_210:
	s_or_b64 exec, exec, s[2:3]
                                        ; implicit-def: $vgpr13
.LBB451_211:
	s_andn2_saveexec_b64 s[0:1], s[0:1]
	s_cbranch_execz .LBB451_213
; %bb.212:
	v_lshlrev_b32_e32 v14, 2, v0
	ds_read_b32 v14, v14 offset:9216
	v_lshlrev_b32_e32 v13, 2, v13
	v_readfirstlane_b32 s2, v10
	v_readfirstlane_b32 s3, v11
	s_waitcnt lgkmcnt(0)
	s_nop 3
	global_store_dword v13, v14, s[2:3]
.LBB451_213:
	s_or_b64 exec, exec, s[0:1]
	v_or_b32_e32 v13, 0xa00, v0
	v_cmp_le_u32_e32 vcc, v2, v13
	s_and_saveexec_b64 s[0:1], vcc
	s_xor_b64 s[0:1], exec, s[0:1]
	s_cbranch_execz .LBB451_219
; %bb.214:
	v_cmp_le_u32_e32 vcc, v12, v13
	s_and_saveexec_b64 s[2:3], vcc
	s_xor_b64 s[2:3], exec, s[2:3]
	s_cbranch_execz .LBB451_216
; %bb.215:
	v_add_co_u32_e32 v14, vcc, v1, v13
	v_lshlrev_b32_e32 v13, 2, v0
	ds_read_b32 v13, v13 offset:10240
	v_addc_co_u32_e32 v15, vcc, 0, v4, vcc
	v_lshlrev_b64 v[14:15], 2, v[14:15]
	v_mov_b32_e32 v16, s7
	v_sub_co_u32_e32 v14, vcc, s6, v14
	v_subb_co_u32_e32 v15, vcc, v16, v15, vcc
	s_waitcnt lgkmcnt(0)
	global_store_dword v[14:15], v13, off
                                        ; implicit-def: $vgpr13
.LBB451_216:
	s_andn2_saveexec_b64 s[2:3], s[2:3]
	s_cbranch_execz .LBB451_218
; %bb.217:
	v_lshlrev_b32_e32 v14, 2, v0
	ds_read_b32 v14, v14 offset:10240
	v_lshlrev_b32_e32 v13, 2, v13
	v_readfirstlane_b32 s4, v8
	v_readfirstlane_b32 s5, v9
	s_waitcnt lgkmcnt(0)
	s_nop 3
	global_store_dword v13, v14, s[4:5]
.LBB451_218:
	s_or_b64 exec, exec, s[2:3]
                                        ; implicit-def: $vgpr13
.LBB451_219:
	s_andn2_saveexec_b64 s[0:1], s[0:1]
	s_cbranch_execz .LBB451_221
; %bb.220:
	v_lshlrev_b32_e32 v14, 2, v0
	ds_read_b32 v14, v14 offset:10240
	v_lshlrev_b32_e32 v13, 2, v13
	v_readfirstlane_b32 s2, v10
	v_readfirstlane_b32 s3, v11
	s_waitcnt lgkmcnt(0)
	s_nop 3
	global_store_dword v13, v14, s[2:3]
.LBB451_221:
	s_or_b64 exec, exec, s[0:1]
	v_or_b32_e32 v13, 0xb00, v0
	v_cmp_le_u32_e32 vcc, v2, v13
	s_and_saveexec_b64 s[0:1], vcc
	s_xor_b64 s[0:1], exec, s[0:1]
	s_cbranch_execz .LBB451_227
; %bb.222:
	v_cmp_le_u32_e32 vcc, v12, v13
	s_and_saveexec_b64 s[2:3], vcc
	s_xor_b64 s[2:3], exec, s[2:3]
	s_cbranch_execz .LBB451_224
; %bb.223:
	v_add_co_u32_e32 v14, vcc, v1, v13
	v_lshlrev_b32_e32 v13, 2, v0
	ds_read_b32 v13, v13 offset:11264
	v_addc_co_u32_e32 v15, vcc, 0, v4, vcc
	v_lshlrev_b64 v[14:15], 2, v[14:15]
	v_mov_b32_e32 v16, s7
	v_sub_co_u32_e32 v14, vcc, s6, v14
	v_subb_co_u32_e32 v15, vcc, v16, v15, vcc
	s_waitcnt lgkmcnt(0)
	global_store_dword v[14:15], v13, off
                                        ; implicit-def: $vgpr13
.LBB451_224:
	s_andn2_saveexec_b64 s[2:3], s[2:3]
	s_cbranch_execz .LBB451_226
; %bb.225:
	v_lshlrev_b32_e32 v14, 2, v0
	ds_read_b32 v14, v14 offset:11264
	v_lshlrev_b32_e32 v13, 2, v13
	v_readfirstlane_b32 s4, v8
	v_readfirstlane_b32 s5, v9
	s_waitcnt lgkmcnt(0)
	s_nop 3
	global_store_dword v13, v14, s[4:5]
.LBB451_226:
	s_or_b64 exec, exec, s[2:3]
                                        ; implicit-def: $vgpr13
.LBB451_227:
	s_andn2_saveexec_b64 s[0:1], s[0:1]
	s_cbranch_execz .LBB451_229
; %bb.228:
	v_lshlrev_b32_e32 v14, 2, v0
	ds_read_b32 v14, v14 offset:11264
	v_lshlrev_b32_e32 v13, 2, v13
	v_readfirstlane_b32 s2, v10
	v_readfirstlane_b32 s3, v11
	s_waitcnt lgkmcnt(0)
	s_nop 3
	global_store_dword v13, v14, s[2:3]
.LBB451_229:
	s_or_b64 exec, exec, s[0:1]
	v_or_b32_e32 v13, 0xc00, v0
	v_cmp_le_u32_e32 vcc, v2, v13
	s_and_saveexec_b64 s[0:1], vcc
	s_xor_b64 s[0:1], exec, s[0:1]
	s_cbranch_execz .LBB451_235
; %bb.230:
	v_cmp_le_u32_e32 vcc, v12, v13
	s_and_saveexec_b64 s[2:3], vcc
	s_xor_b64 s[2:3], exec, s[2:3]
	s_cbranch_execz .LBB451_232
; %bb.231:
	v_add_co_u32_e32 v14, vcc, v1, v13
	v_lshlrev_b32_e32 v13, 2, v0
	ds_read_b32 v13, v13 offset:12288
	v_addc_co_u32_e32 v15, vcc, 0, v4, vcc
	v_lshlrev_b64 v[14:15], 2, v[14:15]
	v_mov_b32_e32 v16, s7
	v_sub_co_u32_e32 v14, vcc, s6, v14
	v_subb_co_u32_e32 v15, vcc, v16, v15, vcc
	s_waitcnt lgkmcnt(0)
	global_store_dword v[14:15], v13, off
                                        ; implicit-def: $vgpr13
.LBB451_232:
	s_andn2_saveexec_b64 s[2:3], s[2:3]
	s_cbranch_execz .LBB451_234
; %bb.233:
	v_lshlrev_b32_e32 v14, 2, v0
	ds_read_b32 v14, v14 offset:12288
	v_lshlrev_b32_e32 v13, 2, v13
	v_readfirstlane_b32 s4, v8
	v_readfirstlane_b32 s5, v9
	s_waitcnt lgkmcnt(0)
	s_nop 3
	global_store_dword v13, v14, s[4:5]
.LBB451_234:
	s_or_b64 exec, exec, s[2:3]
                                        ; implicit-def: $vgpr13
.LBB451_235:
	s_andn2_saveexec_b64 s[0:1], s[0:1]
	s_cbranch_execz .LBB451_237
; %bb.236:
	v_lshlrev_b32_e32 v14, 2, v0
	ds_read_b32 v14, v14 offset:12288
	v_lshlrev_b32_e32 v13, 2, v13
	v_readfirstlane_b32 s2, v10
	v_readfirstlane_b32 s3, v11
	s_waitcnt lgkmcnt(0)
	s_nop 3
	global_store_dword v13, v14, s[2:3]
.LBB451_237:
	s_or_b64 exec, exec, s[0:1]
	s_branch .LBB451_131
.LBB451_238:
	v_cmp_gt_u32_e32 vcc, s18, v0
	s_and_saveexec_b64 s[0:1], vcc
	s_cbranch_execz .LBB451_247
; %bb.239:
	v_cmp_le_u32_e32 vcc, v2, v0
	s_and_saveexec_b64 s[2:3], vcc
	s_xor_b64 s[2:3], exec, s[2:3]
	s_cbranch_execz .LBB451_245
; %bb.240:
	v_cmp_le_u32_e32 vcc, v12, v0
	s_and_saveexec_b64 s[4:5], vcc
	s_xor_b64 s[4:5], exec, s[4:5]
	s_cbranch_execz .LBB451_242
; %bb.241:
	v_lshlrev_b32_e32 v13, 2, v0
	v_add_co_u32_e32 v14, vcc, v1, v0
	ds_read_b32 v13, v13
	v_addc_co_u32_e32 v15, vcc, 0, v4, vcc
	v_lshlrev_b64 v[14:15], 2, v[14:15]
	v_mov_b32_e32 v16, s35
	v_sub_co_u32_e32 v14, vcc, s34, v14
	v_subb_co_u32_e32 v15, vcc, v16, v15, vcc
	s_waitcnt lgkmcnt(0)
	global_store_dword v[14:15], v13, off offset:-4
.LBB451_242:
	s_andn2_saveexec_b64 s[4:5], s[4:5]
	s_cbranch_execz .LBB451_244
; %bb.243:
	v_lshlrev_b32_e32 v13, 2, v0
	ds_read_b32 v14, v13
	v_readfirstlane_b32 s8, v8
	v_readfirstlane_b32 s9, v9
	s_waitcnt lgkmcnt(0)
	s_nop 3
	global_store_dword v13, v14, s[8:9]
.LBB451_244:
	s_or_b64 exec, exec, s[4:5]
.LBB451_245:
	s_andn2_saveexec_b64 s[2:3], s[2:3]
	s_cbranch_execz .LBB451_247
; %bb.246:
	v_lshlrev_b32_e32 v13, 2, v0
	ds_read_b32 v14, v13
	v_readfirstlane_b32 s2, v10
	v_readfirstlane_b32 s3, v11
	s_waitcnt lgkmcnt(0)
	s_nop 3
	global_store_dword v13, v14, s[2:3]
.LBB451_247:
	s_or_b64 exec, exec, s[0:1]
	v_or_b32_e32 v13, 0x100, v0
	v_cmp_gt_u32_e32 vcc, s18, v13
	s_and_saveexec_b64 s[0:1], vcc
	s_cbranch_execz .LBB451_256
; %bb.248:
	v_cmp_le_u32_e32 vcc, v2, v13
	s_and_saveexec_b64 s[2:3], vcc
	s_xor_b64 s[2:3], exec, s[2:3]
	s_cbranch_execz .LBB451_254
; %bb.249:
	v_cmp_le_u32_e32 vcc, v12, v13
	s_and_saveexec_b64 s[4:5], vcc
	s_xor_b64 s[4:5], exec, s[4:5]
	s_cbranch_execz .LBB451_251
; %bb.250:
	v_lshlrev_b32_e32 v13, 2, v0
	ds_read_b32 v13, v13 offset:1024
	v_add_co_u32_e32 v14, vcc, v1, v0
	v_addc_co_u32_e32 v15, vcc, 0, v4, vcc
	v_lshlrev_b64 v[14:15], 2, v[14:15]
	v_mov_b32_e32 v16, s7
	v_sub_co_u32_e32 v14, vcc, s6, v14
	v_subb_co_u32_e32 v15, vcc, v16, v15, vcc
	s_waitcnt lgkmcnt(0)
	global_store_dword v[14:15], v13, off offset:-1024
.LBB451_251:
	s_andn2_saveexec_b64 s[4:5], s[4:5]
	s_cbranch_execz .LBB451_253
; %bb.252:
	v_lshlrev_b32_e32 v13, 2, v0
	ds_read_b32 v14, v13 offset:1024
	v_readfirstlane_b32 s8, v8
	v_readfirstlane_b32 s9, v9
	s_waitcnt lgkmcnt(0)
	s_nop 3
	global_store_dword v13, v14, s[8:9] offset:1024
.LBB451_253:
	s_or_b64 exec, exec, s[4:5]
.LBB451_254:
	s_andn2_saveexec_b64 s[2:3], s[2:3]
	s_cbranch_execz .LBB451_256
; %bb.255:
	v_lshlrev_b32_e32 v13, 2, v0
	ds_read_b32 v14, v13 offset:1024
	v_readfirstlane_b32 s2, v10
	v_readfirstlane_b32 s3, v11
	s_waitcnt lgkmcnt(0)
	s_nop 3
	global_store_dword v13, v14, s[2:3] offset:1024
.LBB451_256:
	s_or_b64 exec, exec, s[0:1]
	v_or_b32_e32 v13, 0x200, v0
	v_cmp_gt_u32_e32 vcc, s18, v13
	s_and_saveexec_b64 s[0:1], vcc
	s_cbranch_execz .LBB451_265
; %bb.257:
	v_cmp_le_u32_e32 vcc, v2, v13
	s_and_saveexec_b64 s[2:3], vcc
	s_xor_b64 s[2:3], exec, s[2:3]
	s_cbranch_execz .LBB451_263
; %bb.258:
	v_cmp_le_u32_e32 vcc, v12, v13
	s_and_saveexec_b64 s[4:5], vcc
	s_xor_b64 s[4:5], exec, s[4:5]
	s_cbranch_execz .LBB451_260
; %bb.259:
	v_lshlrev_b32_e32 v13, 2, v0
	ds_read_b32 v13, v13 offset:2048
	v_add_co_u32_e32 v14, vcc, v1, v0
	v_addc_co_u32_e32 v15, vcc, 0, v4, vcc
	v_lshlrev_b64 v[14:15], 2, v[14:15]
	v_mov_b32_e32 v16, s7
	v_sub_co_u32_e32 v14, vcc, s6, v14
	v_subb_co_u32_e32 v15, vcc, v16, v15, vcc
	s_waitcnt lgkmcnt(0)
	global_store_dword v[14:15], v13, off offset:-2048
.LBB451_260:
	s_andn2_saveexec_b64 s[4:5], s[4:5]
	s_cbranch_execz .LBB451_262
; %bb.261:
	v_lshlrev_b32_e32 v13, 2, v0
	ds_read_b32 v14, v13 offset:2048
	v_readfirstlane_b32 s8, v8
	v_readfirstlane_b32 s9, v9
	s_waitcnt lgkmcnt(0)
	s_nop 3
	global_store_dword v13, v14, s[8:9] offset:2048
.LBB451_262:
	s_or_b64 exec, exec, s[4:5]
.LBB451_263:
	s_andn2_saveexec_b64 s[2:3], s[2:3]
	s_cbranch_execz .LBB451_265
; %bb.264:
	v_lshlrev_b32_e32 v13, 2, v0
	ds_read_b32 v14, v13 offset:2048
	v_readfirstlane_b32 s2, v10
	v_readfirstlane_b32 s3, v11
	s_waitcnt lgkmcnt(0)
	s_nop 3
	global_store_dword v13, v14, s[2:3] offset:2048
.LBB451_265:
	;; [unrolled: 51-line block ×3, first 2 shown]
	s_or_b64 exec, exec, s[0:1]
	v_or_b32_e32 v13, 0x400, v0
	v_cmp_gt_u32_e32 vcc, s18, v13
	s_and_saveexec_b64 s[0:1], vcc
	s_cbranch_execz .LBB451_283
; %bb.275:
	v_cmp_le_u32_e32 vcc, v2, v13
	s_and_saveexec_b64 s[2:3], vcc
	s_xor_b64 s[2:3], exec, s[2:3]
	s_cbranch_execz .LBB451_281
; %bb.276:
	v_cmp_le_u32_e32 vcc, v12, v13
	s_and_saveexec_b64 s[4:5], vcc
	s_xor_b64 s[4:5], exec, s[4:5]
	s_cbranch_execz .LBB451_278
; %bb.277:
	v_lshlrev_b32_e32 v13, 2, v0
	ds_read_b32 v13, v13 offset:4096
	v_add_co_u32_e32 v14, vcc, v1, v0
	v_addc_co_u32_e32 v15, vcc, 0, v4, vcc
	v_lshlrev_b64 v[14:15], 2, v[14:15]
	v_mov_b32_e32 v16, s7
	v_sub_co_u32_e32 v14, vcc, s6, v14
	v_subb_co_u32_e32 v15, vcc, v16, v15, vcc
	s_waitcnt lgkmcnt(0)
	global_store_dword v[14:15], v13, off offset:-4096
                                        ; implicit-def: $vgpr13
.LBB451_278:
	s_andn2_saveexec_b64 s[4:5], s[4:5]
	s_cbranch_execz .LBB451_280
; %bb.279:
	v_lshlrev_b32_e32 v14, 2, v0
	ds_read_b32 v14, v14 offset:4096
	v_lshlrev_b32_e32 v13, 2, v13
	v_readfirstlane_b32 s8, v8
	v_readfirstlane_b32 s9, v9
	s_waitcnt lgkmcnt(0)
	s_nop 3
	global_store_dword v13, v14, s[8:9]
.LBB451_280:
	s_or_b64 exec, exec, s[4:5]
                                        ; implicit-def: $vgpr13
.LBB451_281:
	s_andn2_saveexec_b64 s[2:3], s[2:3]
	s_cbranch_execz .LBB451_283
; %bb.282:
	v_lshlrev_b32_e32 v14, 2, v0
	ds_read_b32 v14, v14 offset:4096
	v_lshlrev_b32_e32 v13, 2, v13
	v_readfirstlane_b32 s2, v10
	v_readfirstlane_b32 s3, v11
	s_waitcnt lgkmcnt(0)
	s_nop 3
	global_store_dword v13, v14, s[2:3]
.LBB451_283:
	s_or_b64 exec, exec, s[0:1]
	v_or_b32_e32 v13, 0x500, v0
	v_cmp_gt_u32_e32 vcc, s18, v13
	s_and_saveexec_b64 s[0:1], vcc
	s_cbranch_execz .LBB451_292
; %bb.284:
	v_cmp_le_u32_e32 vcc, v2, v13
	s_and_saveexec_b64 s[2:3], vcc
	s_xor_b64 s[2:3], exec, s[2:3]
	s_cbranch_execz .LBB451_290
; %bb.285:
	v_cmp_le_u32_e32 vcc, v12, v13
	s_and_saveexec_b64 s[4:5], vcc
	s_xor_b64 s[4:5], exec, s[4:5]
	s_cbranch_execz .LBB451_287
; %bb.286:
	v_add_co_u32_e32 v14, vcc, v1, v13
	v_lshlrev_b32_e32 v13, 2, v0
	ds_read_b32 v13, v13 offset:5120
	v_addc_co_u32_e32 v15, vcc, 0, v4, vcc
	v_lshlrev_b64 v[14:15], 2, v[14:15]
	v_mov_b32_e32 v16, s7
	v_sub_co_u32_e32 v14, vcc, s6, v14
	v_subb_co_u32_e32 v15, vcc, v16, v15, vcc
	s_waitcnt lgkmcnt(0)
	global_store_dword v[14:15], v13, off
                                        ; implicit-def: $vgpr13
.LBB451_287:
	s_andn2_saveexec_b64 s[4:5], s[4:5]
	s_cbranch_execz .LBB451_289
; %bb.288:
	v_lshlrev_b32_e32 v14, 2, v0
	ds_read_b32 v14, v14 offset:5120
	v_lshlrev_b32_e32 v13, 2, v13
	v_readfirstlane_b32 s8, v8
	v_readfirstlane_b32 s9, v9
	s_waitcnt lgkmcnt(0)
	s_nop 3
	global_store_dword v13, v14, s[8:9]
.LBB451_289:
	s_or_b64 exec, exec, s[4:5]
                                        ; implicit-def: $vgpr13
.LBB451_290:
	s_andn2_saveexec_b64 s[2:3], s[2:3]
	s_cbranch_execz .LBB451_292
; %bb.291:
	v_lshlrev_b32_e32 v14, 2, v0
	ds_read_b32 v14, v14 offset:5120
	v_lshlrev_b32_e32 v13, 2, v13
	v_readfirstlane_b32 s2, v10
	v_readfirstlane_b32 s3, v11
	s_waitcnt lgkmcnt(0)
	s_nop 3
	global_store_dword v13, v14, s[2:3]
.LBB451_292:
	s_or_b64 exec, exec, s[0:1]
	v_or_b32_e32 v13, 0x600, v0
	v_cmp_gt_u32_e32 vcc, s18, v13
	s_and_saveexec_b64 s[0:1], vcc
	s_cbranch_execz .LBB451_301
; %bb.293:
	v_cmp_le_u32_e32 vcc, v2, v13
	s_and_saveexec_b64 s[2:3], vcc
	s_xor_b64 s[2:3], exec, s[2:3]
	s_cbranch_execz .LBB451_299
; %bb.294:
	v_cmp_le_u32_e32 vcc, v12, v13
	s_and_saveexec_b64 s[4:5], vcc
	s_xor_b64 s[4:5], exec, s[4:5]
	s_cbranch_execz .LBB451_296
; %bb.295:
	v_add_co_u32_e32 v14, vcc, v1, v13
	v_lshlrev_b32_e32 v13, 2, v0
	ds_read_b32 v13, v13 offset:6144
	v_addc_co_u32_e32 v15, vcc, 0, v4, vcc
	v_lshlrev_b64 v[14:15], 2, v[14:15]
	v_mov_b32_e32 v16, s7
	v_sub_co_u32_e32 v14, vcc, s6, v14
	v_subb_co_u32_e32 v15, vcc, v16, v15, vcc
	s_waitcnt lgkmcnt(0)
	global_store_dword v[14:15], v13, off
                                        ; implicit-def: $vgpr13
.LBB451_296:
	s_andn2_saveexec_b64 s[4:5], s[4:5]
	s_cbranch_execz .LBB451_298
; %bb.297:
	v_lshlrev_b32_e32 v14, 2, v0
	ds_read_b32 v14, v14 offset:6144
	v_lshlrev_b32_e32 v13, 2, v13
	v_readfirstlane_b32 s8, v8
	v_readfirstlane_b32 s9, v9
	s_waitcnt lgkmcnt(0)
	s_nop 3
	global_store_dword v13, v14, s[8:9]
.LBB451_298:
	s_or_b64 exec, exec, s[4:5]
                                        ; implicit-def: $vgpr13
.LBB451_299:
	s_andn2_saveexec_b64 s[2:3], s[2:3]
	s_cbranch_execz .LBB451_301
; %bb.300:
	v_lshlrev_b32_e32 v14, 2, v0
	ds_read_b32 v14, v14 offset:6144
	v_lshlrev_b32_e32 v13, 2, v13
	v_readfirstlane_b32 s2, v10
	v_readfirstlane_b32 s3, v11
	s_waitcnt lgkmcnt(0)
	s_nop 3
	global_store_dword v13, v14, s[2:3]
.LBB451_301:
	;; [unrolled: 55-line block ×7, first 2 shown]
	s_or_b64 exec, exec, s[0:1]
	v_or_b32_e32 v13, 0xc00, v0
	v_cmp_gt_u32_e32 vcc, s18, v13
	s_and_saveexec_b64 s[0:1], vcc
	s_cbranch_execz .LBB451_355
; %bb.347:
	v_cmp_le_u32_e32 vcc, v2, v13
	s_and_saveexec_b64 s[2:3], vcc
	s_xor_b64 s[2:3], exec, s[2:3]
	s_cbranch_execz .LBB451_353
; %bb.348:
	v_cmp_le_u32_e32 vcc, v12, v13
	s_and_saveexec_b64 s[4:5], vcc
	s_xor_b64 s[4:5], exec, s[4:5]
	s_cbranch_execz .LBB451_350
; %bb.349:
	v_add_co_u32_e32 v8, vcc, v1, v13
	v_lshlrev_b32_e32 v1, 2, v0
	ds_read_b32 v1, v1 offset:12288
	v_addc_co_u32_e32 v9, vcc, 0, v4, vcc
	v_lshlrev_b64 v[8:9], 2, v[8:9]
	v_mov_b32_e32 v4, s7
	v_sub_co_u32_e32 v8, vcc, s6, v8
	v_subb_co_u32_e32 v9, vcc, v4, v9, vcc
	s_waitcnt lgkmcnt(0)
	global_store_dword v[8:9], v1, off
                                        ; implicit-def: $vgpr13
                                        ; implicit-def: $vgpr8_vgpr9
.LBB451_350:
	s_andn2_saveexec_b64 s[4:5], s[4:5]
	s_cbranch_execz .LBB451_352
; %bb.351:
	v_lshlrev_b32_e32 v1, 2, v0
	ds_read_b32 v1, v1 offset:12288
	v_lshlrev_b32_e32 v4, 2, v13
	v_readfirstlane_b32 s6, v8
	v_readfirstlane_b32 s7, v9
	s_waitcnt lgkmcnt(0)
	s_nop 3
	global_store_dword v4, v1, s[6:7]
.LBB451_352:
	s_or_b64 exec, exec, s[4:5]
                                        ; implicit-def: $vgpr13
                                        ; implicit-def: $vgpr10_vgpr11
.LBB451_353:
	s_andn2_saveexec_b64 s[2:3], s[2:3]
	s_cbranch_execz .LBB451_355
; %bb.354:
	v_lshlrev_b32_e32 v1, 2, v0
	ds_read_b32 v1, v1 offset:12288
	v_lshlrev_b32_e32 v4, 2, v13
	v_readfirstlane_b32 s2, v10
	v_readfirstlane_b32 s3, v11
	s_waitcnt lgkmcnt(0)
	s_nop 3
	global_store_dword v4, v1, s[2:3]
.LBB451_355:
	s_or_b64 exec, exec, s[0:1]
	v_cmp_eq_u32_e32 vcc, 0, v0
	s_and_b64 s[0:1], vcc, s[30:31]
	s_and_saveexec_b64 s[2:3], s[0:1]
	s_cbranch_execz .LBB451_132
.LBB451_356:
	v_add_co_u32_e32 v0, vcc, v6, v2
	v_addc_co_u32_e32 v1, vcc, 0, v7, vcc
	v_mov_b32_e32 v2, s51
	v_add_co_u32_e32 v3, vcc, s50, v3
	v_addc_co_u32_e32 v6, vcc, 0, v2, vcc
	v_add_co_u32_e32 v2, vcc, v3, v5
	v_mov_b32_e32 v4, 0
	v_addc_co_u32_e32 v3, vcc, 0, v6, vcc
	global_store_dwordx4 v4, v[0:3], s[44:45]
	s_endpgm
	.section	.rodata,"a",@progbits
	.p2align	6, 0x0
	.amdhsa_kernel _ZN7rocprim17ROCPRIM_400000_NS6detail17trampoline_kernelINS0_13select_configILj256ELj13ELNS0_17block_load_methodE3ELS4_3ELS4_3ELNS0_20block_scan_algorithmE0ELj4294967295EEENS1_25partition_config_selectorILNS1_17partition_subalgoE4EjNS0_10empty_typeEbEEZZNS1_14partition_implILS8_4ELb0ES6_15HIP_vector_typeIjLj2EENS0_17counting_iteratorIjlEEPS9_SG_NS0_5tupleIJPjSI_NS0_16reverse_iteratorISI_EEEEENSH_IJSG_SG_SG_EEES9_SI_JZNS1_25segmented_radix_sort_implINS0_14default_configELb1EPKiPiPKlPlN2at6native12_GLOBAL__N_18offset_tEEE10hipError_tPvRmT1_PNSt15iterator_traitsIS12_E10value_typeET2_T3_PNS13_IS18_E10value_typeET4_jRbjT5_S1E_jjP12ihipStream_tbEUljE_ZNSN_ISO_Lb1ESQ_SR_ST_SU_SY_EESZ_S10_S11_S12_S16_S17_S18_S1B_S1C_jS1D_jS1E_S1E_jjS1G_bEUljE0_EEESZ_S10_S11_S18_S1C_S1E_T6_T7_T9_mT8_S1G_bDpT10_ENKUlT_T0_E_clISt17integral_constantIbLb1EES1T_IbLb0EEEEDaS1P_S1Q_EUlS1P_E_NS1_11comp_targetILNS1_3genE4ELNS1_11target_archE910ELNS1_3gpuE8ELNS1_3repE0EEENS1_30default_config_static_selectorELNS0_4arch9wavefront6targetE1EEEvS12_
		.amdhsa_group_segment_fixed_size 13340
		.amdhsa_private_segment_fixed_size 0
		.amdhsa_kernarg_size 176
		.amdhsa_user_sgpr_count 6
		.amdhsa_user_sgpr_private_segment_buffer 1
		.amdhsa_user_sgpr_dispatch_ptr 0
		.amdhsa_user_sgpr_queue_ptr 0
		.amdhsa_user_sgpr_kernarg_segment_ptr 1
		.amdhsa_user_sgpr_dispatch_id 0
		.amdhsa_user_sgpr_flat_scratch_init 0
		.amdhsa_user_sgpr_kernarg_preload_length 0
		.amdhsa_user_sgpr_kernarg_preload_offset 0
		.amdhsa_user_sgpr_private_segment_size 0
		.amdhsa_uses_dynamic_stack 0
		.amdhsa_system_sgpr_private_segment_wavefront_offset 0
		.amdhsa_system_sgpr_workgroup_id_x 1
		.amdhsa_system_sgpr_workgroup_id_y 0
		.amdhsa_system_sgpr_workgroup_id_z 0
		.amdhsa_system_sgpr_workgroup_info 0
		.amdhsa_system_vgpr_workitem_id 0
		.amdhsa_next_free_vgpr 102
		.amdhsa_next_free_sgpr 90
		.amdhsa_accum_offset 104
		.amdhsa_reserve_vcc 1
		.amdhsa_reserve_flat_scratch 0
		.amdhsa_float_round_mode_32 0
		.amdhsa_float_round_mode_16_64 0
		.amdhsa_float_denorm_mode_32 3
		.amdhsa_float_denorm_mode_16_64 3
		.amdhsa_dx10_clamp 1
		.amdhsa_ieee_mode 1
		.amdhsa_fp16_overflow 0
		.amdhsa_tg_split 0
		.amdhsa_exception_fp_ieee_invalid_op 0
		.amdhsa_exception_fp_denorm_src 0
		.amdhsa_exception_fp_ieee_div_zero 0
		.amdhsa_exception_fp_ieee_overflow 0
		.amdhsa_exception_fp_ieee_underflow 0
		.amdhsa_exception_fp_ieee_inexact 0
		.amdhsa_exception_int_div_zero 0
	.end_amdhsa_kernel
	.section	.text._ZN7rocprim17ROCPRIM_400000_NS6detail17trampoline_kernelINS0_13select_configILj256ELj13ELNS0_17block_load_methodE3ELS4_3ELS4_3ELNS0_20block_scan_algorithmE0ELj4294967295EEENS1_25partition_config_selectorILNS1_17partition_subalgoE4EjNS0_10empty_typeEbEEZZNS1_14partition_implILS8_4ELb0ES6_15HIP_vector_typeIjLj2EENS0_17counting_iteratorIjlEEPS9_SG_NS0_5tupleIJPjSI_NS0_16reverse_iteratorISI_EEEEENSH_IJSG_SG_SG_EEES9_SI_JZNS1_25segmented_radix_sort_implINS0_14default_configELb1EPKiPiPKlPlN2at6native12_GLOBAL__N_18offset_tEEE10hipError_tPvRmT1_PNSt15iterator_traitsIS12_E10value_typeET2_T3_PNS13_IS18_E10value_typeET4_jRbjT5_S1E_jjP12ihipStream_tbEUljE_ZNSN_ISO_Lb1ESQ_SR_ST_SU_SY_EESZ_S10_S11_S12_S16_S17_S18_S1B_S1C_jS1D_jS1E_S1E_jjS1G_bEUljE0_EEESZ_S10_S11_S18_S1C_S1E_T6_T7_T9_mT8_S1G_bDpT10_ENKUlT_T0_E_clISt17integral_constantIbLb1EES1T_IbLb0EEEEDaS1P_S1Q_EUlS1P_E_NS1_11comp_targetILNS1_3genE4ELNS1_11target_archE910ELNS1_3gpuE8ELNS1_3repE0EEENS1_30default_config_static_selectorELNS0_4arch9wavefront6targetE1EEEvS12_,"axG",@progbits,_ZN7rocprim17ROCPRIM_400000_NS6detail17trampoline_kernelINS0_13select_configILj256ELj13ELNS0_17block_load_methodE3ELS4_3ELS4_3ELNS0_20block_scan_algorithmE0ELj4294967295EEENS1_25partition_config_selectorILNS1_17partition_subalgoE4EjNS0_10empty_typeEbEEZZNS1_14partition_implILS8_4ELb0ES6_15HIP_vector_typeIjLj2EENS0_17counting_iteratorIjlEEPS9_SG_NS0_5tupleIJPjSI_NS0_16reverse_iteratorISI_EEEEENSH_IJSG_SG_SG_EEES9_SI_JZNS1_25segmented_radix_sort_implINS0_14default_configELb1EPKiPiPKlPlN2at6native12_GLOBAL__N_18offset_tEEE10hipError_tPvRmT1_PNSt15iterator_traitsIS12_E10value_typeET2_T3_PNS13_IS18_E10value_typeET4_jRbjT5_S1E_jjP12ihipStream_tbEUljE_ZNSN_ISO_Lb1ESQ_SR_ST_SU_SY_EESZ_S10_S11_S12_S16_S17_S18_S1B_S1C_jS1D_jS1E_S1E_jjS1G_bEUljE0_EEESZ_S10_S11_S18_S1C_S1E_T6_T7_T9_mT8_S1G_bDpT10_ENKUlT_T0_E_clISt17integral_constantIbLb1EES1T_IbLb0EEEEDaS1P_S1Q_EUlS1P_E_NS1_11comp_targetILNS1_3genE4ELNS1_11target_archE910ELNS1_3gpuE8ELNS1_3repE0EEENS1_30default_config_static_selectorELNS0_4arch9wavefront6targetE1EEEvS12_,comdat
.Lfunc_end451:
	.size	_ZN7rocprim17ROCPRIM_400000_NS6detail17trampoline_kernelINS0_13select_configILj256ELj13ELNS0_17block_load_methodE3ELS4_3ELS4_3ELNS0_20block_scan_algorithmE0ELj4294967295EEENS1_25partition_config_selectorILNS1_17partition_subalgoE4EjNS0_10empty_typeEbEEZZNS1_14partition_implILS8_4ELb0ES6_15HIP_vector_typeIjLj2EENS0_17counting_iteratorIjlEEPS9_SG_NS0_5tupleIJPjSI_NS0_16reverse_iteratorISI_EEEEENSH_IJSG_SG_SG_EEES9_SI_JZNS1_25segmented_radix_sort_implINS0_14default_configELb1EPKiPiPKlPlN2at6native12_GLOBAL__N_18offset_tEEE10hipError_tPvRmT1_PNSt15iterator_traitsIS12_E10value_typeET2_T3_PNS13_IS18_E10value_typeET4_jRbjT5_S1E_jjP12ihipStream_tbEUljE_ZNSN_ISO_Lb1ESQ_SR_ST_SU_SY_EESZ_S10_S11_S12_S16_S17_S18_S1B_S1C_jS1D_jS1E_S1E_jjS1G_bEUljE0_EEESZ_S10_S11_S18_S1C_S1E_T6_T7_T9_mT8_S1G_bDpT10_ENKUlT_T0_E_clISt17integral_constantIbLb1EES1T_IbLb0EEEEDaS1P_S1Q_EUlS1P_E_NS1_11comp_targetILNS1_3genE4ELNS1_11target_archE910ELNS1_3gpuE8ELNS1_3repE0EEENS1_30default_config_static_selectorELNS0_4arch9wavefront6targetE1EEEvS12_, .Lfunc_end451-_ZN7rocprim17ROCPRIM_400000_NS6detail17trampoline_kernelINS0_13select_configILj256ELj13ELNS0_17block_load_methodE3ELS4_3ELS4_3ELNS0_20block_scan_algorithmE0ELj4294967295EEENS1_25partition_config_selectorILNS1_17partition_subalgoE4EjNS0_10empty_typeEbEEZZNS1_14partition_implILS8_4ELb0ES6_15HIP_vector_typeIjLj2EENS0_17counting_iteratorIjlEEPS9_SG_NS0_5tupleIJPjSI_NS0_16reverse_iteratorISI_EEEEENSH_IJSG_SG_SG_EEES9_SI_JZNS1_25segmented_radix_sort_implINS0_14default_configELb1EPKiPiPKlPlN2at6native12_GLOBAL__N_18offset_tEEE10hipError_tPvRmT1_PNSt15iterator_traitsIS12_E10value_typeET2_T3_PNS13_IS18_E10value_typeET4_jRbjT5_S1E_jjP12ihipStream_tbEUljE_ZNSN_ISO_Lb1ESQ_SR_ST_SU_SY_EESZ_S10_S11_S12_S16_S17_S18_S1B_S1C_jS1D_jS1E_S1E_jjS1G_bEUljE0_EEESZ_S10_S11_S18_S1C_S1E_T6_T7_T9_mT8_S1G_bDpT10_ENKUlT_T0_E_clISt17integral_constantIbLb1EES1T_IbLb0EEEEDaS1P_S1Q_EUlS1P_E_NS1_11comp_targetILNS1_3genE4ELNS1_11target_archE910ELNS1_3gpuE8ELNS1_3repE0EEENS1_30default_config_static_selectorELNS0_4arch9wavefront6targetE1EEEvS12_
                                        ; -- End function
	.section	.AMDGPU.csdata,"",@progbits
; Kernel info:
; codeLenInByte = 13412
; NumSgprs: 94
; NumVgprs: 102
; NumAgprs: 0
; TotalNumVgprs: 102
; ScratchSize: 0
; MemoryBound: 0
; FloatMode: 240
; IeeeMode: 1
; LDSByteSize: 13340 bytes/workgroup (compile time only)
; SGPRBlocks: 11
; VGPRBlocks: 12
; NumSGPRsForWavesPerEU: 94
; NumVGPRsForWavesPerEU: 102
; AccumOffset: 104
; Occupancy: 4
; WaveLimiterHint : 1
; COMPUTE_PGM_RSRC2:SCRATCH_EN: 0
; COMPUTE_PGM_RSRC2:USER_SGPR: 6
; COMPUTE_PGM_RSRC2:TRAP_HANDLER: 0
; COMPUTE_PGM_RSRC2:TGID_X_EN: 1
; COMPUTE_PGM_RSRC2:TGID_Y_EN: 0
; COMPUTE_PGM_RSRC2:TGID_Z_EN: 0
; COMPUTE_PGM_RSRC2:TIDIG_COMP_CNT: 0
; COMPUTE_PGM_RSRC3_GFX90A:ACCUM_OFFSET: 25
; COMPUTE_PGM_RSRC3_GFX90A:TG_SPLIT: 0
	.section	.text._ZN7rocprim17ROCPRIM_400000_NS6detail17trampoline_kernelINS0_13select_configILj256ELj13ELNS0_17block_load_methodE3ELS4_3ELS4_3ELNS0_20block_scan_algorithmE0ELj4294967295EEENS1_25partition_config_selectorILNS1_17partition_subalgoE4EjNS0_10empty_typeEbEEZZNS1_14partition_implILS8_4ELb0ES6_15HIP_vector_typeIjLj2EENS0_17counting_iteratorIjlEEPS9_SG_NS0_5tupleIJPjSI_NS0_16reverse_iteratorISI_EEEEENSH_IJSG_SG_SG_EEES9_SI_JZNS1_25segmented_radix_sort_implINS0_14default_configELb1EPKiPiPKlPlN2at6native12_GLOBAL__N_18offset_tEEE10hipError_tPvRmT1_PNSt15iterator_traitsIS12_E10value_typeET2_T3_PNS13_IS18_E10value_typeET4_jRbjT5_S1E_jjP12ihipStream_tbEUljE_ZNSN_ISO_Lb1ESQ_SR_ST_SU_SY_EESZ_S10_S11_S12_S16_S17_S18_S1B_S1C_jS1D_jS1E_S1E_jjS1G_bEUljE0_EEESZ_S10_S11_S18_S1C_S1E_T6_T7_T9_mT8_S1G_bDpT10_ENKUlT_T0_E_clISt17integral_constantIbLb1EES1T_IbLb0EEEEDaS1P_S1Q_EUlS1P_E_NS1_11comp_targetILNS1_3genE3ELNS1_11target_archE908ELNS1_3gpuE7ELNS1_3repE0EEENS1_30default_config_static_selectorELNS0_4arch9wavefront6targetE1EEEvS12_,"axG",@progbits,_ZN7rocprim17ROCPRIM_400000_NS6detail17trampoline_kernelINS0_13select_configILj256ELj13ELNS0_17block_load_methodE3ELS4_3ELS4_3ELNS0_20block_scan_algorithmE0ELj4294967295EEENS1_25partition_config_selectorILNS1_17partition_subalgoE4EjNS0_10empty_typeEbEEZZNS1_14partition_implILS8_4ELb0ES6_15HIP_vector_typeIjLj2EENS0_17counting_iteratorIjlEEPS9_SG_NS0_5tupleIJPjSI_NS0_16reverse_iteratorISI_EEEEENSH_IJSG_SG_SG_EEES9_SI_JZNS1_25segmented_radix_sort_implINS0_14default_configELb1EPKiPiPKlPlN2at6native12_GLOBAL__N_18offset_tEEE10hipError_tPvRmT1_PNSt15iterator_traitsIS12_E10value_typeET2_T3_PNS13_IS18_E10value_typeET4_jRbjT5_S1E_jjP12ihipStream_tbEUljE_ZNSN_ISO_Lb1ESQ_SR_ST_SU_SY_EESZ_S10_S11_S12_S16_S17_S18_S1B_S1C_jS1D_jS1E_S1E_jjS1G_bEUljE0_EEESZ_S10_S11_S18_S1C_S1E_T6_T7_T9_mT8_S1G_bDpT10_ENKUlT_T0_E_clISt17integral_constantIbLb1EES1T_IbLb0EEEEDaS1P_S1Q_EUlS1P_E_NS1_11comp_targetILNS1_3genE3ELNS1_11target_archE908ELNS1_3gpuE7ELNS1_3repE0EEENS1_30default_config_static_selectorELNS0_4arch9wavefront6targetE1EEEvS12_,comdat
	.globl	_ZN7rocprim17ROCPRIM_400000_NS6detail17trampoline_kernelINS0_13select_configILj256ELj13ELNS0_17block_load_methodE3ELS4_3ELS4_3ELNS0_20block_scan_algorithmE0ELj4294967295EEENS1_25partition_config_selectorILNS1_17partition_subalgoE4EjNS0_10empty_typeEbEEZZNS1_14partition_implILS8_4ELb0ES6_15HIP_vector_typeIjLj2EENS0_17counting_iteratorIjlEEPS9_SG_NS0_5tupleIJPjSI_NS0_16reverse_iteratorISI_EEEEENSH_IJSG_SG_SG_EEES9_SI_JZNS1_25segmented_radix_sort_implINS0_14default_configELb1EPKiPiPKlPlN2at6native12_GLOBAL__N_18offset_tEEE10hipError_tPvRmT1_PNSt15iterator_traitsIS12_E10value_typeET2_T3_PNS13_IS18_E10value_typeET4_jRbjT5_S1E_jjP12ihipStream_tbEUljE_ZNSN_ISO_Lb1ESQ_SR_ST_SU_SY_EESZ_S10_S11_S12_S16_S17_S18_S1B_S1C_jS1D_jS1E_S1E_jjS1G_bEUljE0_EEESZ_S10_S11_S18_S1C_S1E_T6_T7_T9_mT8_S1G_bDpT10_ENKUlT_T0_E_clISt17integral_constantIbLb1EES1T_IbLb0EEEEDaS1P_S1Q_EUlS1P_E_NS1_11comp_targetILNS1_3genE3ELNS1_11target_archE908ELNS1_3gpuE7ELNS1_3repE0EEENS1_30default_config_static_selectorELNS0_4arch9wavefront6targetE1EEEvS12_ ; -- Begin function _ZN7rocprim17ROCPRIM_400000_NS6detail17trampoline_kernelINS0_13select_configILj256ELj13ELNS0_17block_load_methodE3ELS4_3ELS4_3ELNS0_20block_scan_algorithmE0ELj4294967295EEENS1_25partition_config_selectorILNS1_17partition_subalgoE4EjNS0_10empty_typeEbEEZZNS1_14partition_implILS8_4ELb0ES6_15HIP_vector_typeIjLj2EENS0_17counting_iteratorIjlEEPS9_SG_NS0_5tupleIJPjSI_NS0_16reverse_iteratorISI_EEEEENSH_IJSG_SG_SG_EEES9_SI_JZNS1_25segmented_radix_sort_implINS0_14default_configELb1EPKiPiPKlPlN2at6native12_GLOBAL__N_18offset_tEEE10hipError_tPvRmT1_PNSt15iterator_traitsIS12_E10value_typeET2_T3_PNS13_IS18_E10value_typeET4_jRbjT5_S1E_jjP12ihipStream_tbEUljE_ZNSN_ISO_Lb1ESQ_SR_ST_SU_SY_EESZ_S10_S11_S12_S16_S17_S18_S1B_S1C_jS1D_jS1E_S1E_jjS1G_bEUljE0_EEESZ_S10_S11_S18_S1C_S1E_T6_T7_T9_mT8_S1G_bDpT10_ENKUlT_T0_E_clISt17integral_constantIbLb1EES1T_IbLb0EEEEDaS1P_S1Q_EUlS1P_E_NS1_11comp_targetILNS1_3genE3ELNS1_11target_archE908ELNS1_3gpuE7ELNS1_3repE0EEENS1_30default_config_static_selectorELNS0_4arch9wavefront6targetE1EEEvS12_
	.p2align	8
	.type	_ZN7rocprim17ROCPRIM_400000_NS6detail17trampoline_kernelINS0_13select_configILj256ELj13ELNS0_17block_load_methodE3ELS4_3ELS4_3ELNS0_20block_scan_algorithmE0ELj4294967295EEENS1_25partition_config_selectorILNS1_17partition_subalgoE4EjNS0_10empty_typeEbEEZZNS1_14partition_implILS8_4ELb0ES6_15HIP_vector_typeIjLj2EENS0_17counting_iteratorIjlEEPS9_SG_NS0_5tupleIJPjSI_NS0_16reverse_iteratorISI_EEEEENSH_IJSG_SG_SG_EEES9_SI_JZNS1_25segmented_radix_sort_implINS0_14default_configELb1EPKiPiPKlPlN2at6native12_GLOBAL__N_18offset_tEEE10hipError_tPvRmT1_PNSt15iterator_traitsIS12_E10value_typeET2_T3_PNS13_IS18_E10value_typeET4_jRbjT5_S1E_jjP12ihipStream_tbEUljE_ZNSN_ISO_Lb1ESQ_SR_ST_SU_SY_EESZ_S10_S11_S12_S16_S17_S18_S1B_S1C_jS1D_jS1E_S1E_jjS1G_bEUljE0_EEESZ_S10_S11_S18_S1C_S1E_T6_T7_T9_mT8_S1G_bDpT10_ENKUlT_T0_E_clISt17integral_constantIbLb1EES1T_IbLb0EEEEDaS1P_S1Q_EUlS1P_E_NS1_11comp_targetILNS1_3genE3ELNS1_11target_archE908ELNS1_3gpuE7ELNS1_3repE0EEENS1_30default_config_static_selectorELNS0_4arch9wavefront6targetE1EEEvS12_,@function
_ZN7rocprim17ROCPRIM_400000_NS6detail17trampoline_kernelINS0_13select_configILj256ELj13ELNS0_17block_load_methodE3ELS4_3ELS4_3ELNS0_20block_scan_algorithmE0ELj4294967295EEENS1_25partition_config_selectorILNS1_17partition_subalgoE4EjNS0_10empty_typeEbEEZZNS1_14partition_implILS8_4ELb0ES6_15HIP_vector_typeIjLj2EENS0_17counting_iteratorIjlEEPS9_SG_NS0_5tupleIJPjSI_NS0_16reverse_iteratorISI_EEEEENSH_IJSG_SG_SG_EEES9_SI_JZNS1_25segmented_radix_sort_implINS0_14default_configELb1EPKiPiPKlPlN2at6native12_GLOBAL__N_18offset_tEEE10hipError_tPvRmT1_PNSt15iterator_traitsIS12_E10value_typeET2_T3_PNS13_IS18_E10value_typeET4_jRbjT5_S1E_jjP12ihipStream_tbEUljE_ZNSN_ISO_Lb1ESQ_SR_ST_SU_SY_EESZ_S10_S11_S12_S16_S17_S18_S1B_S1C_jS1D_jS1E_S1E_jjS1G_bEUljE0_EEESZ_S10_S11_S18_S1C_S1E_T6_T7_T9_mT8_S1G_bDpT10_ENKUlT_T0_E_clISt17integral_constantIbLb1EES1T_IbLb0EEEEDaS1P_S1Q_EUlS1P_E_NS1_11comp_targetILNS1_3genE3ELNS1_11target_archE908ELNS1_3gpuE7ELNS1_3repE0EEENS1_30default_config_static_selectorELNS0_4arch9wavefront6targetE1EEEvS12_: ; @_ZN7rocprim17ROCPRIM_400000_NS6detail17trampoline_kernelINS0_13select_configILj256ELj13ELNS0_17block_load_methodE3ELS4_3ELS4_3ELNS0_20block_scan_algorithmE0ELj4294967295EEENS1_25partition_config_selectorILNS1_17partition_subalgoE4EjNS0_10empty_typeEbEEZZNS1_14partition_implILS8_4ELb0ES6_15HIP_vector_typeIjLj2EENS0_17counting_iteratorIjlEEPS9_SG_NS0_5tupleIJPjSI_NS0_16reverse_iteratorISI_EEEEENSH_IJSG_SG_SG_EEES9_SI_JZNS1_25segmented_radix_sort_implINS0_14default_configELb1EPKiPiPKlPlN2at6native12_GLOBAL__N_18offset_tEEE10hipError_tPvRmT1_PNSt15iterator_traitsIS12_E10value_typeET2_T3_PNS13_IS18_E10value_typeET4_jRbjT5_S1E_jjP12ihipStream_tbEUljE_ZNSN_ISO_Lb1ESQ_SR_ST_SU_SY_EESZ_S10_S11_S12_S16_S17_S18_S1B_S1C_jS1D_jS1E_S1E_jjS1G_bEUljE0_EEESZ_S10_S11_S18_S1C_S1E_T6_T7_T9_mT8_S1G_bDpT10_ENKUlT_T0_E_clISt17integral_constantIbLb1EES1T_IbLb0EEEEDaS1P_S1Q_EUlS1P_E_NS1_11comp_targetILNS1_3genE3ELNS1_11target_archE908ELNS1_3gpuE7ELNS1_3repE0EEENS1_30default_config_static_selectorELNS0_4arch9wavefront6targetE1EEEvS12_
; %bb.0:
	.section	.rodata,"a",@progbits
	.p2align	6, 0x0
	.amdhsa_kernel _ZN7rocprim17ROCPRIM_400000_NS6detail17trampoline_kernelINS0_13select_configILj256ELj13ELNS0_17block_load_methodE3ELS4_3ELS4_3ELNS0_20block_scan_algorithmE0ELj4294967295EEENS1_25partition_config_selectorILNS1_17partition_subalgoE4EjNS0_10empty_typeEbEEZZNS1_14partition_implILS8_4ELb0ES6_15HIP_vector_typeIjLj2EENS0_17counting_iteratorIjlEEPS9_SG_NS0_5tupleIJPjSI_NS0_16reverse_iteratorISI_EEEEENSH_IJSG_SG_SG_EEES9_SI_JZNS1_25segmented_radix_sort_implINS0_14default_configELb1EPKiPiPKlPlN2at6native12_GLOBAL__N_18offset_tEEE10hipError_tPvRmT1_PNSt15iterator_traitsIS12_E10value_typeET2_T3_PNS13_IS18_E10value_typeET4_jRbjT5_S1E_jjP12ihipStream_tbEUljE_ZNSN_ISO_Lb1ESQ_SR_ST_SU_SY_EESZ_S10_S11_S12_S16_S17_S18_S1B_S1C_jS1D_jS1E_S1E_jjS1G_bEUljE0_EEESZ_S10_S11_S18_S1C_S1E_T6_T7_T9_mT8_S1G_bDpT10_ENKUlT_T0_E_clISt17integral_constantIbLb1EES1T_IbLb0EEEEDaS1P_S1Q_EUlS1P_E_NS1_11comp_targetILNS1_3genE3ELNS1_11target_archE908ELNS1_3gpuE7ELNS1_3repE0EEENS1_30default_config_static_selectorELNS0_4arch9wavefront6targetE1EEEvS12_
		.amdhsa_group_segment_fixed_size 0
		.amdhsa_private_segment_fixed_size 0
		.amdhsa_kernarg_size 176
		.amdhsa_user_sgpr_count 6
		.amdhsa_user_sgpr_private_segment_buffer 1
		.amdhsa_user_sgpr_dispatch_ptr 0
		.amdhsa_user_sgpr_queue_ptr 0
		.amdhsa_user_sgpr_kernarg_segment_ptr 1
		.amdhsa_user_sgpr_dispatch_id 0
		.amdhsa_user_sgpr_flat_scratch_init 0
		.amdhsa_user_sgpr_kernarg_preload_length 0
		.amdhsa_user_sgpr_kernarg_preload_offset 0
		.amdhsa_user_sgpr_private_segment_size 0
		.amdhsa_uses_dynamic_stack 0
		.amdhsa_system_sgpr_private_segment_wavefront_offset 0
		.amdhsa_system_sgpr_workgroup_id_x 1
		.amdhsa_system_sgpr_workgroup_id_y 0
		.amdhsa_system_sgpr_workgroup_id_z 0
		.amdhsa_system_sgpr_workgroup_info 0
		.amdhsa_system_vgpr_workitem_id 0
		.amdhsa_next_free_vgpr 1
		.amdhsa_next_free_sgpr 0
		.amdhsa_accum_offset 4
		.amdhsa_reserve_vcc 0
		.amdhsa_reserve_flat_scratch 0
		.amdhsa_float_round_mode_32 0
		.amdhsa_float_round_mode_16_64 0
		.amdhsa_float_denorm_mode_32 3
		.amdhsa_float_denorm_mode_16_64 3
		.amdhsa_dx10_clamp 1
		.amdhsa_ieee_mode 1
		.amdhsa_fp16_overflow 0
		.amdhsa_tg_split 0
		.amdhsa_exception_fp_ieee_invalid_op 0
		.amdhsa_exception_fp_denorm_src 0
		.amdhsa_exception_fp_ieee_div_zero 0
		.amdhsa_exception_fp_ieee_overflow 0
		.amdhsa_exception_fp_ieee_underflow 0
		.amdhsa_exception_fp_ieee_inexact 0
		.amdhsa_exception_int_div_zero 0
	.end_amdhsa_kernel
	.section	.text._ZN7rocprim17ROCPRIM_400000_NS6detail17trampoline_kernelINS0_13select_configILj256ELj13ELNS0_17block_load_methodE3ELS4_3ELS4_3ELNS0_20block_scan_algorithmE0ELj4294967295EEENS1_25partition_config_selectorILNS1_17partition_subalgoE4EjNS0_10empty_typeEbEEZZNS1_14partition_implILS8_4ELb0ES6_15HIP_vector_typeIjLj2EENS0_17counting_iteratorIjlEEPS9_SG_NS0_5tupleIJPjSI_NS0_16reverse_iteratorISI_EEEEENSH_IJSG_SG_SG_EEES9_SI_JZNS1_25segmented_radix_sort_implINS0_14default_configELb1EPKiPiPKlPlN2at6native12_GLOBAL__N_18offset_tEEE10hipError_tPvRmT1_PNSt15iterator_traitsIS12_E10value_typeET2_T3_PNS13_IS18_E10value_typeET4_jRbjT5_S1E_jjP12ihipStream_tbEUljE_ZNSN_ISO_Lb1ESQ_SR_ST_SU_SY_EESZ_S10_S11_S12_S16_S17_S18_S1B_S1C_jS1D_jS1E_S1E_jjS1G_bEUljE0_EEESZ_S10_S11_S18_S1C_S1E_T6_T7_T9_mT8_S1G_bDpT10_ENKUlT_T0_E_clISt17integral_constantIbLb1EES1T_IbLb0EEEEDaS1P_S1Q_EUlS1P_E_NS1_11comp_targetILNS1_3genE3ELNS1_11target_archE908ELNS1_3gpuE7ELNS1_3repE0EEENS1_30default_config_static_selectorELNS0_4arch9wavefront6targetE1EEEvS12_,"axG",@progbits,_ZN7rocprim17ROCPRIM_400000_NS6detail17trampoline_kernelINS0_13select_configILj256ELj13ELNS0_17block_load_methodE3ELS4_3ELS4_3ELNS0_20block_scan_algorithmE0ELj4294967295EEENS1_25partition_config_selectorILNS1_17partition_subalgoE4EjNS0_10empty_typeEbEEZZNS1_14partition_implILS8_4ELb0ES6_15HIP_vector_typeIjLj2EENS0_17counting_iteratorIjlEEPS9_SG_NS0_5tupleIJPjSI_NS0_16reverse_iteratorISI_EEEEENSH_IJSG_SG_SG_EEES9_SI_JZNS1_25segmented_radix_sort_implINS0_14default_configELb1EPKiPiPKlPlN2at6native12_GLOBAL__N_18offset_tEEE10hipError_tPvRmT1_PNSt15iterator_traitsIS12_E10value_typeET2_T3_PNS13_IS18_E10value_typeET4_jRbjT5_S1E_jjP12ihipStream_tbEUljE_ZNSN_ISO_Lb1ESQ_SR_ST_SU_SY_EESZ_S10_S11_S12_S16_S17_S18_S1B_S1C_jS1D_jS1E_S1E_jjS1G_bEUljE0_EEESZ_S10_S11_S18_S1C_S1E_T6_T7_T9_mT8_S1G_bDpT10_ENKUlT_T0_E_clISt17integral_constantIbLb1EES1T_IbLb0EEEEDaS1P_S1Q_EUlS1P_E_NS1_11comp_targetILNS1_3genE3ELNS1_11target_archE908ELNS1_3gpuE7ELNS1_3repE0EEENS1_30default_config_static_selectorELNS0_4arch9wavefront6targetE1EEEvS12_,comdat
.Lfunc_end452:
	.size	_ZN7rocprim17ROCPRIM_400000_NS6detail17trampoline_kernelINS0_13select_configILj256ELj13ELNS0_17block_load_methodE3ELS4_3ELS4_3ELNS0_20block_scan_algorithmE0ELj4294967295EEENS1_25partition_config_selectorILNS1_17partition_subalgoE4EjNS0_10empty_typeEbEEZZNS1_14partition_implILS8_4ELb0ES6_15HIP_vector_typeIjLj2EENS0_17counting_iteratorIjlEEPS9_SG_NS0_5tupleIJPjSI_NS0_16reverse_iteratorISI_EEEEENSH_IJSG_SG_SG_EEES9_SI_JZNS1_25segmented_radix_sort_implINS0_14default_configELb1EPKiPiPKlPlN2at6native12_GLOBAL__N_18offset_tEEE10hipError_tPvRmT1_PNSt15iterator_traitsIS12_E10value_typeET2_T3_PNS13_IS18_E10value_typeET4_jRbjT5_S1E_jjP12ihipStream_tbEUljE_ZNSN_ISO_Lb1ESQ_SR_ST_SU_SY_EESZ_S10_S11_S12_S16_S17_S18_S1B_S1C_jS1D_jS1E_S1E_jjS1G_bEUljE0_EEESZ_S10_S11_S18_S1C_S1E_T6_T7_T9_mT8_S1G_bDpT10_ENKUlT_T0_E_clISt17integral_constantIbLb1EES1T_IbLb0EEEEDaS1P_S1Q_EUlS1P_E_NS1_11comp_targetILNS1_3genE3ELNS1_11target_archE908ELNS1_3gpuE7ELNS1_3repE0EEENS1_30default_config_static_selectorELNS0_4arch9wavefront6targetE1EEEvS12_, .Lfunc_end452-_ZN7rocprim17ROCPRIM_400000_NS6detail17trampoline_kernelINS0_13select_configILj256ELj13ELNS0_17block_load_methodE3ELS4_3ELS4_3ELNS0_20block_scan_algorithmE0ELj4294967295EEENS1_25partition_config_selectorILNS1_17partition_subalgoE4EjNS0_10empty_typeEbEEZZNS1_14partition_implILS8_4ELb0ES6_15HIP_vector_typeIjLj2EENS0_17counting_iteratorIjlEEPS9_SG_NS0_5tupleIJPjSI_NS0_16reverse_iteratorISI_EEEEENSH_IJSG_SG_SG_EEES9_SI_JZNS1_25segmented_radix_sort_implINS0_14default_configELb1EPKiPiPKlPlN2at6native12_GLOBAL__N_18offset_tEEE10hipError_tPvRmT1_PNSt15iterator_traitsIS12_E10value_typeET2_T3_PNS13_IS18_E10value_typeET4_jRbjT5_S1E_jjP12ihipStream_tbEUljE_ZNSN_ISO_Lb1ESQ_SR_ST_SU_SY_EESZ_S10_S11_S12_S16_S17_S18_S1B_S1C_jS1D_jS1E_S1E_jjS1G_bEUljE0_EEESZ_S10_S11_S18_S1C_S1E_T6_T7_T9_mT8_S1G_bDpT10_ENKUlT_T0_E_clISt17integral_constantIbLb1EES1T_IbLb0EEEEDaS1P_S1Q_EUlS1P_E_NS1_11comp_targetILNS1_3genE3ELNS1_11target_archE908ELNS1_3gpuE7ELNS1_3repE0EEENS1_30default_config_static_selectorELNS0_4arch9wavefront6targetE1EEEvS12_
                                        ; -- End function
	.section	.AMDGPU.csdata,"",@progbits
; Kernel info:
; codeLenInByte = 0
; NumSgprs: 4
; NumVgprs: 0
; NumAgprs: 0
; TotalNumVgprs: 0
; ScratchSize: 0
; MemoryBound: 0
; FloatMode: 240
; IeeeMode: 1
; LDSByteSize: 0 bytes/workgroup (compile time only)
; SGPRBlocks: 0
; VGPRBlocks: 0
; NumSGPRsForWavesPerEU: 4
; NumVGPRsForWavesPerEU: 1
; AccumOffset: 4
; Occupancy: 8
; WaveLimiterHint : 0
; COMPUTE_PGM_RSRC2:SCRATCH_EN: 0
; COMPUTE_PGM_RSRC2:USER_SGPR: 6
; COMPUTE_PGM_RSRC2:TRAP_HANDLER: 0
; COMPUTE_PGM_RSRC2:TGID_X_EN: 1
; COMPUTE_PGM_RSRC2:TGID_Y_EN: 0
; COMPUTE_PGM_RSRC2:TGID_Z_EN: 0
; COMPUTE_PGM_RSRC2:TIDIG_COMP_CNT: 0
; COMPUTE_PGM_RSRC3_GFX90A:ACCUM_OFFSET: 0
; COMPUTE_PGM_RSRC3_GFX90A:TG_SPLIT: 0
	.section	.text._ZN7rocprim17ROCPRIM_400000_NS6detail17trampoline_kernelINS0_13select_configILj256ELj13ELNS0_17block_load_methodE3ELS4_3ELS4_3ELNS0_20block_scan_algorithmE0ELj4294967295EEENS1_25partition_config_selectorILNS1_17partition_subalgoE4EjNS0_10empty_typeEbEEZZNS1_14partition_implILS8_4ELb0ES6_15HIP_vector_typeIjLj2EENS0_17counting_iteratorIjlEEPS9_SG_NS0_5tupleIJPjSI_NS0_16reverse_iteratorISI_EEEEENSH_IJSG_SG_SG_EEES9_SI_JZNS1_25segmented_radix_sort_implINS0_14default_configELb1EPKiPiPKlPlN2at6native12_GLOBAL__N_18offset_tEEE10hipError_tPvRmT1_PNSt15iterator_traitsIS12_E10value_typeET2_T3_PNS13_IS18_E10value_typeET4_jRbjT5_S1E_jjP12ihipStream_tbEUljE_ZNSN_ISO_Lb1ESQ_SR_ST_SU_SY_EESZ_S10_S11_S12_S16_S17_S18_S1B_S1C_jS1D_jS1E_S1E_jjS1G_bEUljE0_EEESZ_S10_S11_S18_S1C_S1E_T6_T7_T9_mT8_S1G_bDpT10_ENKUlT_T0_E_clISt17integral_constantIbLb1EES1T_IbLb0EEEEDaS1P_S1Q_EUlS1P_E_NS1_11comp_targetILNS1_3genE2ELNS1_11target_archE906ELNS1_3gpuE6ELNS1_3repE0EEENS1_30default_config_static_selectorELNS0_4arch9wavefront6targetE1EEEvS12_,"axG",@progbits,_ZN7rocprim17ROCPRIM_400000_NS6detail17trampoline_kernelINS0_13select_configILj256ELj13ELNS0_17block_load_methodE3ELS4_3ELS4_3ELNS0_20block_scan_algorithmE0ELj4294967295EEENS1_25partition_config_selectorILNS1_17partition_subalgoE4EjNS0_10empty_typeEbEEZZNS1_14partition_implILS8_4ELb0ES6_15HIP_vector_typeIjLj2EENS0_17counting_iteratorIjlEEPS9_SG_NS0_5tupleIJPjSI_NS0_16reverse_iteratorISI_EEEEENSH_IJSG_SG_SG_EEES9_SI_JZNS1_25segmented_radix_sort_implINS0_14default_configELb1EPKiPiPKlPlN2at6native12_GLOBAL__N_18offset_tEEE10hipError_tPvRmT1_PNSt15iterator_traitsIS12_E10value_typeET2_T3_PNS13_IS18_E10value_typeET4_jRbjT5_S1E_jjP12ihipStream_tbEUljE_ZNSN_ISO_Lb1ESQ_SR_ST_SU_SY_EESZ_S10_S11_S12_S16_S17_S18_S1B_S1C_jS1D_jS1E_S1E_jjS1G_bEUljE0_EEESZ_S10_S11_S18_S1C_S1E_T6_T7_T9_mT8_S1G_bDpT10_ENKUlT_T0_E_clISt17integral_constantIbLb1EES1T_IbLb0EEEEDaS1P_S1Q_EUlS1P_E_NS1_11comp_targetILNS1_3genE2ELNS1_11target_archE906ELNS1_3gpuE6ELNS1_3repE0EEENS1_30default_config_static_selectorELNS0_4arch9wavefront6targetE1EEEvS12_,comdat
	.globl	_ZN7rocprim17ROCPRIM_400000_NS6detail17trampoline_kernelINS0_13select_configILj256ELj13ELNS0_17block_load_methodE3ELS4_3ELS4_3ELNS0_20block_scan_algorithmE0ELj4294967295EEENS1_25partition_config_selectorILNS1_17partition_subalgoE4EjNS0_10empty_typeEbEEZZNS1_14partition_implILS8_4ELb0ES6_15HIP_vector_typeIjLj2EENS0_17counting_iteratorIjlEEPS9_SG_NS0_5tupleIJPjSI_NS0_16reverse_iteratorISI_EEEEENSH_IJSG_SG_SG_EEES9_SI_JZNS1_25segmented_radix_sort_implINS0_14default_configELb1EPKiPiPKlPlN2at6native12_GLOBAL__N_18offset_tEEE10hipError_tPvRmT1_PNSt15iterator_traitsIS12_E10value_typeET2_T3_PNS13_IS18_E10value_typeET4_jRbjT5_S1E_jjP12ihipStream_tbEUljE_ZNSN_ISO_Lb1ESQ_SR_ST_SU_SY_EESZ_S10_S11_S12_S16_S17_S18_S1B_S1C_jS1D_jS1E_S1E_jjS1G_bEUljE0_EEESZ_S10_S11_S18_S1C_S1E_T6_T7_T9_mT8_S1G_bDpT10_ENKUlT_T0_E_clISt17integral_constantIbLb1EES1T_IbLb0EEEEDaS1P_S1Q_EUlS1P_E_NS1_11comp_targetILNS1_3genE2ELNS1_11target_archE906ELNS1_3gpuE6ELNS1_3repE0EEENS1_30default_config_static_selectorELNS0_4arch9wavefront6targetE1EEEvS12_ ; -- Begin function _ZN7rocprim17ROCPRIM_400000_NS6detail17trampoline_kernelINS0_13select_configILj256ELj13ELNS0_17block_load_methodE3ELS4_3ELS4_3ELNS0_20block_scan_algorithmE0ELj4294967295EEENS1_25partition_config_selectorILNS1_17partition_subalgoE4EjNS0_10empty_typeEbEEZZNS1_14partition_implILS8_4ELb0ES6_15HIP_vector_typeIjLj2EENS0_17counting_iteratorIjlEEPS9_SG_NS0_5tupleIJPjSI_NS0_16reverse_iteratorISI_EEEEENSH_IJSG_SG_SG_EEES9_SI_JZNS1_25segmented_radix_sort_implINS0_14default_configELb1EPKiPiPKlPlN2at6native12_GLOBAL__N_18offset_tEEE10hipError_tPvRmT1_PNSt15iterator_traitsIS12_E10value_typeET2_T3_PNS13_IS18_E10value_typeET4_jRbjT5_S1E_jjP12ihipStream_tbEUljE_ZNSN_ISO_Lb1ESQ_SR_ST_SU_SY_EESZ_S10_S11_S12_S16_S17_S18_S1B_S1C_jS1D_jS1E_S1E_jjS1G_bEUljE0_EEESZ_S10_S11_S18_S1C_S1E_T6_T7_T9_mT8_S1G_bDpT10_ENKUlT_T0_E_clISt17integral_constantIbLb1EES1T_IbLb0EEEEDaS1P_S1Q_EUlS1P_E_NS1_11comp_targetILNS1_3genE2ELNS1_11target_archE906ELNS1_3gpuE6ELNS1_3repE0EEENS1_30default_config_static_selectorELNS0_4arch9wavefront6targetE1EEEvS12_
	.p2align	8
	.type	_ZN7rocprim17ROCPRIM_400000_NS6detail17trampoline_kernelINS0_13select_configILj256ELj13ELNS0_17block_load_methodE3ELS4_3ELS4_3ELNS0_20block_scan_algorithmE0ELj4294967295EEENS1_25partition_config_selectorILNS1_17partition_subalgoE4EjNS0_10empty_typeEbEEZZNS1_14partition_implILS8_4ELb0ES6_15HIP_vector_typeIjLj2EENS0_17counting_iteratorIjlEEPS9_SG_NS0_5tupleIJPjSI_NS0_16reverse_iteratorISI_EEEEENSH_IJSG_SG_SG_EEES9_SI_JZNS1_25segmented_radix_sort_implINS0_14default_configELb1EPKiPiPKlPlN2at6native12_GLOBAL__N_18offset_tEEE10hipError_tPvRmT1_PNSt15iterator_traitsIS12_E10value_typeET2_T3_PNS13_IS18_E10value_typeET4_jRbjT5_S1E_jjP12ihipStream_tbEUljE_ZNSN_ISO_Lb1ESQ_SR_ST_SU_SY_EESZ_S10_S11_S12_S16_S17_S18_S1B_S1C_jS1D_jS1E_S1E_jjS1G_bEUljE0_EEESZ_S10_S11_S18_S1C_S1E_T6_T7_T9_mT8_S1G_bDpT10_ENKUlT_T0_E_clISt17integral_constantIbLb1EES1T_IbLb0EEEEDaS1P_S1Q_EUlS1P_E_NS1_11comp_targetILNS1_3genE2ELNS1_11target_archE906ELNS1_3gpuE6ELNS1_3repE0EEENS1_30default_config_static_selectorELNS0_4arch9wavefront6targetE1EEEvS12_,@function
_ZN7rocprim17ROCPRIM_400000_NS6detail17trampoline_kernelINS0_13select_configILj256ELj13ELNS0_17block_load_methodE3ELS4_3ELS4_3ELNS0_20block_scan_algorithmE0ELj4294967295EEENS1_25partition_config_selectorILNS1_17partition_subalgoE4EjNS0_10empty_typeEbEEZZNS1_14partition_implILS8_4ELb0ES6_15HIP_vector_typeIjLj2EENS0_17counting_iteratorIjlEEPS9_SG_NS0_5tupleIJPjSI_NS0_16reverse_iteratorISI_EEEEENSH_IJSG_SG_SG_EEES9_SI_JZNS1_25segmented_radix_sort_implINS0_14default_configELb1EPKiPiPKlPlN2at6native12_GLOBAL__N_18offset_tEEE10hipError_tPvRmT1_PNSt15iterator_traitsIS12_E10value_typeET2_T3_PNS13_IS18_E10value_typeET4_jRbjT5_S1E_jjP12ihipStream_tbEUljE_ZNSN_ISO_Lb1ESQ_SR_ST_SU_SY_EESZ_S10_S11_S12_S16_S17_S18_S1B_S1C_jS1D_jS1E_S1E_jjS1G_bEUljE0_EEESZ_S10_S11_S18_S1C_S1E_T6_T7_T9_mT8_S1G_bDpT10_ENKUlT_T0_E_clISt17integral_constantIbLb1EES1T_IbLb0EEEEDaS1P_S1Q_EUlS1P_E_NS1_11comp_targetILNS1_3genE2ELNS1_11target_archE906ELNS1_3gpuE6ELNS1_3repE0EEENS1_30default_config_static_selectorELNS0_4arch9wavefront6targetE1EEEvS12_: ; @_ZN7rocprim17ROCPRIM_400000_NS6detail17trampoline_kernelINS0_13select_configILj256ELj13ELNS0_17block_load_methodE3ELS4_3ELS4_3ELNS0_20block_scan_algorithmE0ELj4294967295EEENS1_25partition_config_selectorILNS1_17partition_subalgoE4EjNS0_10empty_typeEbEEZZNS1_14partition_implILS8_4ELb0ES6_15HIP_vector_typeIjLj2EENS0_17counting_iteratorIjlEEPS9_SG_NS0_5tupleIJPjSI_NS0_16reverse_iteratorISI_EEEEENSH_IJSG_SG_SG_EEES9_SI_JZNS1_25segmented_radix_sort_implINS0_14default_configELb1EPKiPiPKlPlN2at6native12_GLOBAL__N_18offset_tEEE10hipError_tPvRmT1_PNSt15iterator_traitsIS12_E10value_typeET2_T3_PNS13_IS18_E10value_typeET4_jRbjT5_S1E_jjP12ihipStream_tbEUljE_ZNSN_ISO_Lb1ESQ_SR_ST_SU_SY_EESZ_S10_S11_S12_S16_S17_S18_S1B_S1C_jS1D_jS1E_S1E_jjS1G_bEUljE0_EEESZ_S10_S11_S18_S1C_S1E_T6_T7_T9_mT8_S1G_bDpT10_ENKUlT_T0_E_clISt17integral_constantIbLb1EES1T_IbLb0EEEEDaS1P_S1Q_EUlS1P_E_NS1_11comp_targetILNS1_3genE2ELNS1_11target_archE906ELNS1_3gpuE6ELNS1_3repE0EEENS1_30default_config_static_selectorELNS0_4arch9wavefront6targetE1EEEvS12_
; %bb.0:
	.section	.rodata,"a",@progbits
	.p2align	6, 0x0
	.amdhsa_kernel _ZN7rocprim17ROCPRIM_400000_NS6detail17trampoline_kernelINS0_13select_configILj256ELj13ELNS0_17block_load_methodE3ELS4_3ELS4_3ELNS0_20block_scan_algorithmE0ELj4294967295EEENS1_25partition_config_selectorILNS1_17partition_subalgoE4EjNS0_10empty_typeEbEEZZNS1_14partition_implILS8_4ELb0ES6_15HIP_vector_typeIjLj2EENS0_17counting_iteratorIjlEEPS9_SG_NS0_5tupleIJPjSI_NS0_16reverse_iteratorISI_EEEEENSH_IJSG_SG_SG_EEES9_SI_JZNS1_25segmented_radix_sort_implINS0_14default_configELb1EPKiPiPKlPlN2at6native12_GLOBAL__N_18offset_tEEE10hipError_tPvRmT1_PNSt15iterator_traitsIS12_E10value_typeET2_T3_PNS13_IS18_E10value_typeET4_jRbjT5_S1E_jjP12ihipStream_tbEUljE_ZNSN_ISO_Lb1ESQ_SR_ST_SU_SY_EESZ_S10_S11_S12_S16_S17_S18_S1B_S1C_jS1D_jS1E_S1E_jjS1G_bEUljE0_EEESZ_S10_S11_S18_S1C_S1E_T6_T7_T9_mT8_S1G_bDpT10_ENKUlT_T0_E_clISt17integral_constantIbLb1EES1T_IbLb0EEEEDaS1P_S1Q_EUlS1P_E_NS1_11comp_targetILNS1_3genE2ELNS1_11target_archE906ELNS1_3gpuE6ELNS1_3repE0EEENS1_30default_config_static_selectorELNS0_4arch9wavefront6targetE1EEEvS12_
		.amdhsa_group_segment_fixed_size 0
		.amdhsa_private_segment_fixed_size 0
		.amdhsa_kernarg_size 176
		.amdhsa_user_sgpr_count 6
		.amdhsa_user_sgpr_private_segment_buffer 1
		.amdhsa_user_sgpr_dispatch_ptr 0
		.amdhsa_user_sgpr_queue_ptr 0
		.amdhsa_user_sgpr_kernarg_segment_ptr 1
		.amdhsa_user_sgpr_dispatch_id 0
		.amdhsa_user_sgpr_flat_scratch_init 0
		.amdhsa_user_sgpr_kernarg_preload_length 0
		.amdhsa_user_sgpr_kernarg_preload_offset 0
		.amdhsa_user_sgpr_private_segment_size 0
		.amdhsa_uses_dynamic_stack 0
		.amdhsa_system_sgpr_private_segment_wavefront_offset 0
		.amdhsa_system_sgpr_workgroup_id_x 1
		.amdhsa_system_sgpr_workgroup_id_y 0
		.amdhsa_system_sgpr_workgroup_id_z 0
		.amdhsa_system_sgpr_workgroup_info 0
		.amdhsa_system_vgpr_workitem_id 0
		.amdhsa_next_free_vgpr 1
		.amdhsa_next_free_sgpr 0
		.amdhsa_accum_offset 4
		.amdhsa_reserve_vcc 0
		.amdhsa_reserve_flat_scratch 0
		.amdhsa_float_round_mode_32 0
		.amdhsa_float_round_mode_16_64 0
		.amdhsa_float_denorm_mode_32 3
		.amdhsa_float_denorm_mode_16_64 3
		.amdhsa_dx10_clamp 1
		.amdhsa_ieee_mode 1
		.amdhsa_fp16_overflow 0
		.amdhsa_tg_split 0
		.amdhsa_exception_fp_ieee_invalid_op 0
		.amdhsa_exception_fp_denorm_src 0
		.amdhsa_exception_fp_ieee_div_zero 0
		.amdhsa_exception_fp_ieee_overflow 0
		.amdhsa_exception_fp_ieee_underflow 0
		.amdhsa_exception_fp_ieee_inexact 0
		.amdhsa_exception_int_div_zero 0
	.end_amdhsa_kernel
	.section	.text._ZN7rocprim17ROCPRIM_400000_NS6detail17trampoline_kernelINS0_13select_configILj256ELj13ELNS0_17block_load_methodE3ELS4_3ELS4_3ELNS0_20block_scan_algorithmE0ELj4294967295EEENS1_25partition_config_selectorILNS1_17partition_subalgoE4EjNS0_10empty_typeEbEEZZNS1_14partition_implILS8_4ELb0ES6_15HIP_vector_typeIjLj2EENS0_17counting_iteratorIjlEEPS9_SG_NS0_5tupleIJPjSI_NS0_16reverse_iteratorISI_EEEEENSH_IJSG_SG_SG_EEES9_SI_JZNS1_25segmented_radix_sort_implINS0_14default_configELb1EPKiPiPKlPlN2at6native12_GLOBAL__N_18offset_tEEE10hipError_tPvRmT1_PNSt15iterator_traitsIS12_E10value_typeET2_T3_PNS13_IS18_E10value_typeET4_jRbjT5_S1E_jjP12ihipStream_tbEUljE_ZNSN_ISO_Lb1ESQ_SR_ST_SU_SY_EESZ_S10_S11_S12_S16_S17_S18_S1B_S1C_jS1D_jS1E_S1E_jjS1G_bEUljE0_EEESZ_S10_S11_S18_S1C_S1E_T6_T7_T9_mT8_S1G_bDpT10_ENKUlT_T0_E_clISt17integral_constantIbLb1EES1T_IbLb0EEEEDaS1P_S1Q_EUlS1P_E_NS1_11comp_targetILNS1_3genE2ELNS1_11target_archE906ELNS1_3gpuE6ELNS1_3repE0EEENS1_30default_config_static_selectorELNS0_4arch9wavefront6targetE1EEEvS12_,"axG",@progbits,_ZN7rocprim17ROCPRIM_400000_NS6detail17trampoline_kernelINS0_13select_configILj256ELj13ELNS0_17block_load_methodE3ELS4_3ELS4_3ELNS0_20block_scan_algorithmE0ELj4294967295EEENS1_25partition_config_selectorILNS1_17partition_subalgoE4EjNS0_10empty_typeEbEEZZNS1_14partition_implILS8_4ELb0ES6_15HIP_vector_typeIjLj2EENS0_17counting_iteratorIjlEEPS9_SG_NS0_5tupleIJPjSI_NS0_16reverse_iteratorISI_EEEEENSH_IJSG_SG_SG_EEES9_SI_JZNS1_25segmented_radix_sort_implINS0_14default_configELb1EPKiPiPKlPlN2at6native12_GLOBAL__N_18offset_tEEE10hipError_tPvRmT1_PNSt15iterator_traitsIS12_E10value_typeET2_T3_PNS13_IS18_E10value_typeET4_jRbjT5_S1E_jjP12ihipStream_tbEUljE_ZNSN_ISO_Lb1ESQ_SR_ST_SU_SY_EESZ_S10_S11_S12_S16_S17_S18_S1B_S1C_jS1D_jS1E_S1E_jjS1G_bEUljE0_EEESZ_S10_S11_S18_S1C_S1E_T6_T7_T9_mT8_S1G_bDpT10_ENKUlT_T0_E_clISt17integral_constantIbLb1EES1T_IbLb0EEEEDaS1P_S1Q_EUlS1P_E_NS1_11comp_targetILNS1_3genE2ELNS1_11target_archE906ELNS1_3gpuE6ELNS1_3repE0EEENS1_30default_config_static_selectorELNS0_4arch9wavefront6targetE1EEEvS12_,comdat
.Lfunc_end453:
	.size	_ZN7rocprim17ROCPRIM_400000_NS6detail17trampoline_kernelINS0_13select_configILj256ELj13ELNS0_17block_load_methodE3ELS4_3ELS4_3ELNS0_20block_scan_algorithmE0ELj4294967295EEENS1_25partition_config_selectorILNS1_17partition_subalgoE4EjNS0_10empty_typeEbEEZZNS1_14partition_implILS8_4ELb0ES6_15HIP_vector_typeIjLj2EENS0_17counting_iteratorIjlEEPS9_SG_NS0_5tupleIJPjSI_NS0_16reverse_iteratorISI_EEEEENSH_IJSG_SG_SG_EEES9_SI_JZNS1_25segmented_radix_sort_implINS0_14default_configELb1EPKiPiPKlPlN2at6native12_GLOBAL__N_18offset_tEEE10hipError_tPvRmT1_PNSt15iterator_traitsIS12_E10value_typeET2_T3_PNS13_IS18_E10value_typeET4_jRbjT5_S1E_jjP12ihipStream_tbEUljE_ZNSN_ISO_Lb1ESQ_SR_ST_SU_SY_EESZ_S10_S11_S12_S16_S17_S18_S1B_S1C_jS1D_jS1E_S1E_jjS1G_bEUljE0_EEESZ_S10_S11_S18_S1C_S1E_T6_T7_T9_mT8_S1G_bDpT10_ENKUlT_T0_E_clISt17integral_constantIbLb1EES1T_IbLb0EEEEDaS1P_S1Q_EUlS1P_E_NS1_11comp_targetILNS1_3genE2ELNS1_11target_archE906ELNS1_3gpuE6ELNS1_3repE0EEENS1_30default_config_static_selectorELNS0_4arch9wavefront6targetE1EEEvS12_, .Lfunc_end453-_ZN7rocprim17ROCPRIM_400000_NS6detail17trampoline_kernelINS0_13select_configILj256ELj13ELNS0_17block_load_methodE3ELS4_3ELS4_3ELNS0_20block_scan_algorithmE0ELj4294967295EEENS1_25partition_config_selectorILNS1_17partition_subalgoE4EjNS0_10empty_typeEbEEZZNS1_14partition_implILS8_4ELb0ES6_15HIP_vector_typeIjLj2EENS0_17counting_iteratorIjlEEPS9_SG_NS0_5tupleIJPjSI_NS0_16reverse_iteratorISI_EEEEENSH_IJSG_SG_SG_EEES9_SI_JZNS1_25segmented_radix_sort_implINS0_14default_configELb1EPKiPiPKlPlN2at6native12_GLOBAL__N_18offset_tEEE10hipError_tPvRmT1_PNSt15iterator_traitsIS12_E10value_typeET2_T3_PNS13_IS18_E10value_typeET4_jRbjT5_S1E_jjP12ihipStream_tbEUljE_ZNSN_ISO_Lb1ESQ_SR_ST_SU_SY_EESZ_S10_S11_S12_S16_S17_S18_S1B_S1C_jS1D_jS1E_S1E_jjS1G_bEUljE0_EEESZ_S10_S11_S18_S1C_S1E_T6_T7_T9_mT8_S1G_bDpT10_ENKUlT_T0_E_clISt17integral_constantIbLb1EES1T_IbLb0EEEEDaS1P_S1Q_EUlS1P_E_NS1_11comp_targetILNS1_3genE2ELNS1_11target_archE906ELNS1_3gpuE6ELNS1_3repE0EEENS1_30default_config_static_selectorELNS0_4arch9wavefront6targetE1EEEvS12_
                                        ; -- End function
	.section	.AMDGPU.csdata,"",@progbits
; Kernel info:
; codeLenInByte = 0
; NumSgprs: 4
; NumVgprs: 0
; NumAgprs: 0
; TotalNumVgprs: 0
; ScratchSize: 0
; MemoryBound: 0
; FloatMode: 240
; IeeeMode: 1
; LDSByteSize: 0 bytes/workgroup (compile time only)
; SGPRBlocks: 0
; VGPRBlocks: 0
; NumSGPRsForWavesPerEU: 4
; NumVGPRsForWavesPerEU: 1
; AccumOffset: 4
; Occupancy: 8
; WaveLimiterHint : 0
; COMPUTE_PGM_RSRC2:SCRATCH_EN: 0
; COMPUTE_PGM_RSRC2:USER_SGPR: 6
; COMPUTE_PGM_RSRC2:TRAP_HANDLER: 0
; COMPUTE_PGM_RSRC2:TGID_X_EN: 1
; COMPUTE_PGM_RSRC2:TGID_Y_EN: 0
; COMPUTE_PGM_RSRC2:TGID_Z_EN: 0
; COMPUTE_PGM_RSRC2:TIDIG_COMP_CNT: 0
; COMPUTE_PGM_RSRC3_GFX90A:ACCUM_OFFSET: 0
; COMPUTE_PGM_RSRC3_GFX90A:TG_SPLIT: 0
	.section	.text._ZN7rocprim17ROCPRIM_400000_NS6detail17trampoline_kernelINS0_13select_configILj256ELj13ELNS0_17block_load_methodE3ELS4_3ELS4_3ELNS0_20block_scan_algorithmE0ELj4294967295EEENS1_25partition_config_selectorILNS1_17partition_subalgoE4EjNS0_10empty_typeEbEEZZNS1_14partition_implILS8_4ELb0ES6_15HIP_vector_typeIjLj2EENS0_17counting_iteratorIjlEEPS9_SG_NS0_5tupleIJPjSI_NS0_16reverse_iteratorISI_EEEEENSH_IJSG_SG_SG_EEES9_SI_JZNS1_25segmented_radix_sort_implINS0_14default_configELb1EPKiPiPKlPlN2at6native12_GLOBAL__N_18offset_tEEE10hipError_tPvRmT1_PNSt15iterator_traitsIS12_E10value_typeET2_T3_PNS13_IS18_E10value_typeET4_jRbjT5_S1E_jjP12ihipStream_tbEUljE_ZNSN_ISO_Lb1ESQ_SR_ST_SU_SY_EESZ_S10_S11_S12_S16_S17_S18_S1B_S1C_jS1D_jS1E_S1E_jjS1G_bEUljE0_EEESZ_S10_S11_S18_S1C_S1E_T6_T7_T9_mT8_S1G_bDpT10_ENKUlT_T0_E_clISt17integral_constantIbLb1EES1T_IbLb0EEEEDaS1P_S1Q_EUlS1P_E_NS1_11comp_targetILNS1_3genE10ELNS1_11target_archE1200ELNS1_3gpuE4ELNS1_3repE0EEENS1_30default_config_static_selectorELNS0_4arch9wavefront6targetE1EEEvS12_,"axG",@progbits,_ZN7rocprim17ROCPRIM_400000_NS6detail17trampoline_kernelINS0_13select_configILj256ELj13ELNS0_17block_load_methodE3ELS4_3ELS4_3ELNS0_20block_scan_algorithmE0ELj4294967295EEENS1_25partition_config_selectorILNS1_17partition_subalgoE4EjNS0_10empty_typeEbEEZZNS1_14partition_implILS8_4ELb0ES6_15HIP_vector_typeIjLj2EENS0_17counting_iteratorIjlEEPS9_SG_NS0_5tupleIJPjSI_NS0_16reverse_iteratorISI_EEEEENSH_IJSG_SG_SG_EEES9_SI_JZNS1_25segmented_radix_sort_implINS0_14default_configELb1EPKiPiPKlPlN2at6native12_GLOBAL__N_18offset_tEEE10hipError_tPvRmT1_PNSt15iterator_traitsIS12_E10value_typeET2_T3_PNS13_IS18_E10value_typeET4_jRbjT5_S1E_jjP12ihipStream_tbEUljE_ZNSN_ISO_Lb1ESQ_SR_ST_SU_SY_EESZ_S10_S11_S12_S16_S17_S18_S1B_S1C_jS1D_jS1E_S1E_jjS1G_bEUljE0_EEESZ_S10_S11_S18_S1C_S1E_T6_T7_T9_mT8_S1G_bDpT10_ENKUlT_T0_E_clISt17integral_constantIbLb1EES1T_IbLb0EEEEDaS1P_S1Q_EUlS1P_E_NS1_11comp_targetILNS1_3genE10ELNS1_11target_archE1200ELNS1_3gpuE4ELNS1_3repE0EEENS1_30default_config_static_selectorELNS0_4arch9wavefront6targetE1EEEvS12_,comdat
	.globl	_ZN7rocprim17ROCPRIM_400000_NS6detail17trampoline_kernelINS0_13select_configILj256ELj13ELNS0_17block_load_methodE3ELS4_3ELS4_3ELNS0_20block_scan_algorithmE0ELj4294967295EEENS1_25partition_config_selectorILNS1_17partition_subalgoE4EjNS0_10empty_typeEbEEZZNS1_14partition_implILS8_4ELb0ES6_15HIP_vector_typeIjLj2EENS0_17counting_iteratorIjlEEPS9_SG_NS0_5tupleIJPjSI_NS0_16reverse_iteratorISI_EEEEENSH_IJSG_SG_SG_EEES9_SI_JZNS1_25segmented_radix_sort_implINS0_14default_configELb1EPKiPiPKlPlN2at6native12_GLOBAL__N_18offset_tEEE10hipError_tPvRmT1_PNSt15iterator_traitsIS12_E10value_typeET2_T3_PNS13_IS18_E10value_typeET4_jRbjT5_S1E_jjP12ihipStream_tbEUljE_ZNSN_ISO_Lb1ESQ_SR_ST_SU_SY_EESZ_S10_S11_S12_S16_S17_S18_S1B_S1C_jS1D_jS1E_S1E_jjS1G_bEUljE0_EEESZ_S10_S11_S18_S1C_S1E_T6_T7_T9_mT8_S1G_bDpT10_ENKUlT_T0_E_clISt17integral_constantIbLb1EES1T_IbLb0EEEEDaS1P_S1Q_EUlS1P_E_NS1_11comp_targetILNS1_3genE10ELNS1_11target_archE1200ELNS1_3gpuE4ELNS1_3repE0EEENS1_30default_config_static_selectorELNS0_4arch9wavefront6targetE1EEEvS12_ ; -- Begin function _ZN7rocprim17ROCPRIM_400000_NS6detail17trampoline_kernelINS0_13select_configILj256ELj13ELNS0_17block_load_methodE3ELS4_3ELS4_3ELNS0_20block_scan_algorithmE0ELj4294967295EEENS1_25partition_config_selectorILNS1_17partition_subalgoE4EjNS0_10empty_typeEbEEZZNS1_14partition_implILS8_4ELb0ES6_15HIP_vector_typeIjLj2EENS0_17counting_iteratorIjlEEPS9_SG_NS0_5tupleIJPjSI_NS0_16reverse_iteratorISI_EEEEENSH_IJSG_SG_SG_EEES9_SI_JZNS1_25segmented_radix_sort_implINS0_14default_configELb1EPKiPiPKlPlN2at6native12_GLOBAL__N_18offset_tEEE10hipError_tPvRmT1_PNSt15iterator_traitsIS12_E10value_typeET2_T3_PNS13_IS18_E10value_typeET4_jRbjT5_S1E_jjP12ihipStream_tbEUljE_ZNSN_ISO_Lb1ESQ_SR_ST_SU_SY_EESZ_S10_S11_S12_S16_S17_S18_S1B_S1C_jS1D_jS1E_S1E_jjS1G_bEUljE0_EEESZ_S10_S11_S18_S1C_S1E_T6_T7_T9_mT8_S1G_bDpT10_ENKUlT_T0_E_clISt17integral_constantIbLb1EES1T_IbLb0EEEEDaS1P_S1Q_EUlS1P_E_NS1_11comp_targetILNS1_3genE10ELNS1_11target_archE1200ELNS1_3gpuE4ELNS1_3repE0EEENS1_30default_config_static_selectorELNS0_4arch9wavefront6targetE1EEEvS12_
	.p2align	8
	.type	_ZN7rocprim17ROCPRIM_400000_NS6detail17trampoline_kernelINS0_13select_configILj256ELj13ELNS0_17block_load_methodE3ELS4_3ELS4_3ELNS0_20block_scan_algorithmE0ELj4294967295EEENS1_25partition_config_selectorILNS1_17partition_subalgoE4EjNS0_10empty_typeEbEEZZNS1_14partition_implILS8_4ELb0ES6_15HIP_vector_typeIjLj2EENS0_17counting_iteratorIjlEEPS9_SG_NS0_5tupleIJPjSI_NS0_16reverse_iteratorISI_EEEEENSH_IJSG_SG_SG_EEES9_SI_JZNS1_25segmented_radix_sort_implINS0_14default_configELb1EPKiPiPKlPlN2at6native12_GLOBAL__N_18offset_tEEE10hipError_tPvRmT1_PNSt15iterator_traitsIS12_E10value_typeET2_T3_PNS13_IS18_E10value_typeET4_jRbjT5_S1E_jjP12ihipStream_tbEUljE_ZNSN_ISO_Lb1ESQ_SR_ST_SU_SY_EESZ_S10_S11_S12_S16_S17_S18_S1B_S1C_jS1D_jS1E_S1E_jjS1G_bEUljE0_EEESZ_S10_S11_S18_S1C_S1E_T6_T7_T9_mT8_S1G_bDpT10_ENKUlT_T0_E_clISt17integral_constantIbLb1EES1T_IbLb0EEEEDaS1P_S1Q_EUlS1P_E_NS1_11comp_targetILNS1_3genE10ELNS1_11target_archE1200ELNS1_3gpuE4ELNS1_3repE0EEENS1_30default_config_static_selectorELNS0_4arch9wavefront6targetE1EEEvS12_,@function
_ZN7rocprim17ROCPRIM_400000_NS6detail17trampoline_kernelINS0_13select_configILj256ELj13ELNS0_17block_load_methodE3ELS4_3ELS4_3ELNS0_20block_scan_algorithmE0ELj4294967295EEENS1_25partition_config_selectorILNS1_17partition_subalgoE4EjNS0_10empty_typeEbEEZZNS1_14partition_implILS8_4ELb0ES6_15HIP_vector_typeIjLj2EENS0_17counting_iteratorIjlEEPS9_SG_NS0_5tupleIJPjSI_NS0_16reverse_iteratorISI_EEEEENSH_IJSG_SG_SG_EEES9_SI_JZNS1_25segmented_radix_sort_implINS0_14default_configELb1EPKiPiPKlPlN2at6native12_GLOBAL__N_18offset_tEEE10hipError_tPvRmT1_PNSt15iterator_traitsIS12_E10value_typeET2_T3_PNS13_IS18_E10value_typeET4_jRbjT5_S1E_jjP12ihipStream_tbEUljE_ZNSN_ISO_Lb1ESQ_SR_ST_SU_SY_EESZ_S10_S11_S12_S16_S17_S18_S1B_S1C_jS1D_jS1E_S1E_jjS1G_bEUljE0_EEESZ_S10_S11_S18_S1C_S1E_T6_T7_T9_mT8_S1G_bDpT10_ENKUlT_T0_E_clISt17integral_constantIbLb1EES1T_IbLb0EEEEDaS1P_S1Q_EUlS1P_E_NS1_11comp_targetILNS1_3genE10ELNS1_11target_archE1200ELNS1_3gpuE4ELNS1_3repE0EEENS1_30default_config_static_selectorELNS0_4arch9wavefront6targetE1EEEvS12_: ; @_ZN7rocprim17ROCPRIM_400000_NS6detail17trampoline_kernelINS0_13select_configILj256ELj13ELNS0_17block_load_methodE3ELS4_3ELS4_3ELNS0_20block_scan_algorithmE0ELj4294967295EEENS1_25partition_config_selectorILNS1_17partition_subalgoE4EjNS0_10empty_typeEbEEZZNS1_14partition_implILS8_4ELb0ES6_15HIP_vector_typeIjLj2EENS0_17counting_iteratorIjlEEPS9_SG_NS0_5tupleIJPjSI_NS0_16reverse_iteratorISI_EEEEENSH_IJSG_SG_SG_EEES9_SI_JZNS1_25segmented_radix_sort_implINS0_14default_configELb1EPKiPiPKlPlN2at6native12_GLOBAL__N_18offset_tEEE10hipError_tPvRmT1_PNSt15iterator_traitsIS12_E10value_typeET2_T3_PNS13_IS18_E10value_typeET4_jRbjT5_S1E_jjP12ihipStream_tbEUljE_ZNSN_ISO_Lb1ESQ_SR_ST_SU_SY_EESZ_S10_S11_S12_S16_S17_S18_S1B_S1C_jS1D_jS1E_S1E_jjS1G_bEUljE0_EEESZ_S10_S11_S18_S1C_S1E_T6_T7_T9_mT8_S1G_bDpT10_ENKUlT_T0_E_clISt17integral_constantIbLb1EES1T_IbLb0EEEEDaS1P_S1Q_EUlS1P_E_NS1_11comp_targetILNS1_3genE10ELNS1_11target_archE1200ELNS1_3gpuE4ELNS1_3repE0EEENS1_30default_config_static_selectorELNS0_4arch9wavefront6targetE1EEEvS12_
; %bb.0:
	.section	.rodata,"a",@progbits
	.p2align	6, 0x0
	.amdhsa_kernel _ZN7rocprim17ROCPRIM_400000_NS6detail17trampoline_kernelINS0_13select_configILj256ELj13ELNS0_17block_load_methodE3ELS4_3ELS4_3ELNS0_20block_scan_algorithmE0ELj4294967295EEENS1_25partition_config_selectorILNS1_17partition_subalgoE4EjNS0_10empty_typeEbEEZZNS1_14partition_implILS8_4ELb0ES6_15HIP_vector_typeIjLj2EENS0_17counting_iteratorIjlEEPS9_SG_NS0_5tupleIJPjSI_NS0_16reverse_iteratorISI_EEEEENSH_IJSG_SG_SG_EEES9_SI_JZNS1_25segmented_radix_sort_implINS0_14default_configELb1EPKiPiPKlPlN2at6native12_GLOBAL__N_18offset_tEEE10hipError_tPvRmT1_PNSt15iterator_traitsIS12_E10value_typeET2_T3_PNS13_IS18_E10value_typeET4_jRbjT5_S1E_jjP12ihipStream_tbEUljE_ZNSN_ISO_Lb1ESQ_SR_ST_SU_SY_EESZ_S10_S11_S12_S16_S17_S18_S1B_S1C_jS1D_jS1E_S1E_jjS1G_bEUljE0_EEESZ_S10_S11_S18_S1C_S1E_T6_T7_T9_mT8_S1G_bDpT10_ENKUlT_T0_E_clISt17integral_constantIbLb1EES1T_IbLb0EEEEDaS1P_S1Q_EUlS1P_E_NS1_11comp_targetILNS1_3genE10ELNS1_11target_archE1200ELNS1_3gpuE4ELNS1_3repE0EEENS1_30default_config_static_selectorELNS0_4arch9wavefront6targetE1EEEvS12_
		.amdhsa_group_segment_fixed_size 0
		.amdhsa_private_segment_fixed_size 0
		.amdhsa_kernarg_size 176
		.amdhsa_user_sgpr_count 6
		.amdhsa_user_sgpr_private_segment_buffer 1
		.amdhsa_user_sgpr_dispatch_ptr 0
		.amdhsa_user_sgpr_queue_ptr 0
		.amdhsa_user_sgpr_kernarg_segment_ptr 1
		.amdhsa_user_sgpr_dispatch_id 0
		.amdhsa_user_sgpr_flat_scratch_init 0
		.amdhsa_user_sgpr_kernarg_preload_length 0
		.amdhsa_user_sgpr_kernarg_preload_offset 0
		.amdhsa_user_sgpr_private_segment_size 0
		.amdhsa_uses_dynamic_stack 0
		.amdhsa_system_sgpr_private_segment_wavefront_offset 0
		.amdhsa_system_sgpr_workgroup_id_x 1
		.amdhsa_system_sgpr_workgroup_id_y 0
		.amdhsa_system_sgpr_workgroup_id_z 0
		.amdhsa_system_sgpr_workgroup_info 0
		.amdhsa_system_vgpr_workitem_id 0
		.amdhsa_next_free_vgpr 1
		.amdhsa_next_free_sgpr 0
		.amdhsa_accum_offset 4
		.amdhsa_reserve_vcc 0
		.amdhsa_reserve_flat_scratch 0
		.amdhsa_float_round_mode_32 0
		.amdhsa_float_round_mode_16_64 0
		.amdhsa_float_denorm_mode_32 3
		.amdhsa_float_denorm_mode_16_64 3
		.amdhsa_dx10_clamp 1
		.amdhsa_ieee_mode 1
		.amdhsa_fp16_overflow 0
		.amdhsa_tg_split 0
		.amdhsa_exception_fp_ieee_invalid_op 0
		.amdhsa_exception_fp_denorm_src 0
		.amdhsa_exception_fp_ieee_div_zero 0
		.amdhsa_exception_fp_ieee_overflow 0
		.amdhsa_exception_fp_ieee_underflow 0
		.amdhsa_exception_fp_ieee_inexact 0
		.amdhsa_exception_int_div_zero 0
	.end_amdhsa_kernel
	.section	.text._ZN7rocprim17ROCPRIM_400000_NS6detail17trampoline_kernelINS0_13select_configILj256ELj13ELNS0_17block_load_methodE3ELS4_3ELS4_3ELNS0_20block_scan_algorithmE0ELj4294967295EEENS1_25partition_config_selectorILNS1_17partition_subalgoE4EjNS0_10empty_typeEbEEZZNS1_14partition_implILS8_4ELb0ES6_15HIP_vector_typeIjLj2EENS0_17counting_iteratorIjlEEPS9_SG_NS0_5tupleIJPjSI_NS0_16reverse_iteratorISI_EEEEENSH_IJSG_SG_SG_EEES9_SI_JZNS1_25segmented_radix_sort_implINS0_14default_configELb1EPKiPiPKlPlN2at6native12_GLOBAL__N_18offset_tEEE10hipError_tPvRmT1_PNSt15iterator_traitsIS12_E10value_typeET2_T3_PNS13_IS18_E10value_typeET4_jRbjT5_S1E_jjP12ihipStream_tbEUljE_ZNSN_ISO_Lb1ESQ_SR_ST_SU_SY_EESZ_S10_S11_S12_S16_S17_S18_S1B_S1C_jS1D_jS1E_S1E_jjS1G_bEUljE0_EEESZ_S10_S11_S18_S1C_S1E_T6_T7_T9_mT8_S1G_bDpT10_ENKUlT_T0_E_clISt17integral_constantIbLb1EES1T_IbLb0EEEEDaS1P_S1Q_EUlS1P_E_NS1_11comp_targetILNS1_3genE10ELNS1_11target_archE1200ELNS1_3gpuE4ELNS1_3repE0EEENS1_30default_config_static_selectorELNS0_4arch9wavefront6targetE1EEEvS12_,"axG",@progbits,_ZN7rocprim17ROCPRIM_400000_NS6detail17trampoline_kernelINS0_13select_configILj256ELj13ELNS0_17block_load_methodE3ELS4_3ELS4_3ELNS0_20block_scan_algorithmE0ELj4294967295EEENS1_25partition_config_selectorILNS1_17partition_subalgoE4EjNS0_10empty_typeEbEEZZNS1_14partition_implILS8_4ELb0ES6_15HIP_vector_typeIjLj2EENS0_17counting_iteratorIjlEEPS9_SG_NS0_5tupleIJPjSI_NS0_16reverse_iteratorISI_EEEEENSH_IJSG_SG_SG_EEES9_SI_JZNS1_25segmented_radix_sort_implINS0_14default_configELb1EPKiPiPKlPlN2at6native12_GLOBAL__N_18offset_tEEE10hipError_tPvRmT1_PNSt15iterator_traitsIS12_E10value_typeET2_T3_PNS13_IS18_E10value_typeET4_jRbjT5_S1E_jjP12ihipStream_tbEUljE_ZNSN_ISO_Lb1ESQ_SR_ST_SU_SY_EESZ_S10_S11_S12_S16_S17_S18_S1B_S1C_jS1D_jS1E_S1E_jjS1G_bEUljE0_EEESZ_S10_S11_S18_S1C_S1E_T6_T7_T9_mT8_S1G_bDpT10_ENKUlT_T0_E_clISt17integral_constantIbLb1EES1T_IbLb0EEEEDaS1P_S1Q_EUlS1P_E_NS1_11comp_targetILNS1_3genE10ELNS1_11target_archE1200ELNS1_3gpuE4ELNS1_3repE0EEENS1_30default_config_static_selectorELNS0_4arch9wavefront6targetE1EEEvS12_,comdat
.Lfunc_end454:
	.size	_ZN7rocprim17ROCPRIM_400000_NS6detail17trampoline_kernelINS0_13select_configILj256ELj13ELNS0_17block_load_methodE3ELS4_3ELS4_3ELNS0_20block_scan_algorithmE0ELj4294967295EEENS1_25partition_config_selectorILNS1_17partition_subalgoE4EjNS0_10empty_typeEbEEZZNS1_14partition_implILS8_4ELb0ES6_15HIP_vector_typeIjLj2EENS0_17counting_iteratorIjlEEPS9_SG_NS0_5tupleIJPjSI_NS0_16reverse_iteratorISI_EEEEENSH_IJSG_SG_SG_EEES9_SI_JZNS1_25segmented_radix_sort_implINS0_14default_configELb1EPKiPiPKlPlN2at6native12_GLOBAL__N_18offset_tEEE10hipError_tPvRmT1_PNSt15iterator_traitsIS12_E10value_typeET2_T3_PNS13_IS18_E10value_typeET4_jRbjT5_S1E_jjP12ihipStream_tbEUljE_ZNSN_ISO_Lb1ESQ_SR_ST_SU_SY_EESZ_S10_S11_S12_S16_S17_S18_S1B_S1C_jS1D_jS1E_S1E_jjS1G_bEUljE0_EEESZ_S10_S11_S18_S1C_S1E_T6_T7_T9_mT8_S1G_bDpT10_ENKUlT_T0_E_clISt17integral_constantIbLb1EES1T_IbLb0EEEEDaS1P_S1Q_EUlS1P_E_NS1_11comp_targetILNS1_3genE10ELNS1_11target_archE1200ELNS1_3gpuE4ELNS1_3repE0EEENS1_30default_config_static_selectorELNS0_4arch9wavefront6targetE1EEEvS12_, .Lfunc_end454-_ZN7rocprim17ROCPRIM_400000_NS6detail17trampoline_kernelINS0_13select_configILj256ELj13ELNS0_17block_load_methodE3ELS4_3ELS4_3ELNS0_20block_scan_algorithmE0ELj4294967295EEENS1_25partition_config_selectorILNS1_17partition_subalgoE4EjNS0_10empty_typeEbEEZZNS1_14partition_implILS8_4ELb0ES6_15HIP_vector_typeIjLj2EENS0_17counting_iteratorIjlEEPS9_SG_NS0_5tupleIJPjSI_NS0_16reverse_iteratorISI_EEEEENSH_IJSG_SG_SG_EEES9_SI_JZNS1_25segmented_radix_sort_implINS0_14default_configELb1EPKiPiPKlPlN2at6native12_GLOBAL__N_18offset_tEEE10hipError_tPvRmT1_PNSt15iterator_traitsIS12_E10value_typeET2_T3_PNS13_IS18_E10value_typeET4_jRbjT5_S1E_jjP12ihipStream_tbEUljE_ZNSN_ISO_Lb1ESQ_SR_ST_SU_SY_EESZ_S10_S11_S12_S16_S17_S18_S1B_S1C_jS1D_jS1E_S1E_jjS1G_bEUljE0_EEESZ_S10_S11_S18_S1C_S1E_T6_T7_T9_mT8_S1G_bDpT10_ENKUlT_T0_E_clISt17integral_constantIbLb1EES1T_IbLb0EEEEDaS1P_S1Q_EUlS1P_E_NS1_11comp_targetILNS1_3genE10ELNS1_11target_archE1200ELNS1_3gpuE4ELNS1_3repE0EEENS1_30default_config_static_selectorELNS0_4arch9wavefront6targetE1EEEvS12_
                                        ; -- End function
	.section	.AMDGPU.csdata,"",@progbits
; Kernel info:
; codeLenInByte = 0
; NumSgprs: 4
; NumVgprs: 0
; NumAgprs: 0
; TotalNumVgprs: 0
; ScratchSize: 0
; MemoryBound: 0
; FloatMode: 240
; IeeeMode: 1
; LDSByteSize: 0 bytes/workgroup (compile time only)
; SGPRBlocks: 0
; VGPRBlocks: 0
; NumSGPRsForWavesPerEU: 4
; NumVGPRsForWavesPerEU: 1
; AccumOffset: 4
; Occupancy: 8
; WaveLimiterHint : 0
; COMPUTE_PGM_RSRC2:SCRATCH_EN: 0
; COMPUTE_PGM_RSRC2:USER_SGPR: 6
; COMPUTE_PGM_RSRC2:TRAP_HANDLER: 0
; COMPUTE_PGM_RSRC2:TGID_X_EN: 1
; COMPUTE_PGM_RSRC2:TGID_Y_EN: 0
; COMPUTE_PGM_RSRC2:TGID_Z_EN: 0
; COMPUTE_PGM_RSRC2:TIDIG_COMP_CNT: 0
; COMPUTE_PGM_RSRC3_GFX90A:ACCUM_OFFSET: 0
; COMPUTE_PGM_RSRC3_GFX90A:TG_SPLIT: 0
	.section	.text._ZN7rocprim17ROCPRIM_400000_NS6detail17trampoline_kernelINS0_13select_configILj256ELj13ELNS0_17block_load_methodE3ELS4_3ELS4_3ELNS0_20block_scan_algorithmE0ELj4294967295EEENS1_25partition_config_selectorILNS1_17partition_subalgoE4EjNS0_10empty_typeEbEEZZNS1_14partition_implILS8_4ELb0ES6_15HIP_vector_typeIjLj2EENS0_17counting_iteratorIjlEEPS9_SG_NS0_5tupleIJPjSI_NS0_16reverse_iteratorISI_EEEEENSH_IJSG_SG_SG_EEES9_SI_JZNS1_25segmented_radix_sort_implINS0_14default_configELb1EPKiPiPKlPlN2at6native12_GLOBAL__N_18offset_tEEE10hipError_tPvRmT1_PNSt15iterator_traitsIS12_E10value_typeET2_T3_PNS13_IS18_E10value_typeET4_jRbjT5_S1E_jjP12ihipStream_tbEUljE_ZNSN_ISO_Lb1ESQ_SR_ST_SU_SY_EESZ_S10_S11_S12_S16_S17_S18_S1B_S1C_jS1D_jS1E_S1E_jjS1G_bEUljE0_EEESZ_S10_S11_S18_S1C_S1E_T6_T7_T9_mT8_S1G_bDpT10_ENKUlT_T0_E_clISt17integral_constantIbLb1EES1T_IbLb0EEEEDaS1P_S1Q_EUlS1P_E_NS1_11comp_targetILNS1_3genE9ELNS1_11target_archE1100ELNS1_3gpuE3ELNS1_3repE0EEENS1_30default_config_static_selectorELNS0_4arch9wavefront6targetE1EEEvS12_,"axG",@progbits,_ZN7rocprim17ROCPRIM_400000_NS6detail17trampoline_kernelINS0_13select_configILj256ELj13ELNS0_17block_load_methodE3ELS4_3ELS4_3ELNS0_20block_scan_algorithmE0ELj4294967295EEENS1_25partition_config_selectorILNS1_17partition_subalgoE4EjNS0_10empty_typeEbEEZZNS1_14partition_implILS8_4ELb0ES6_15HIP_vector_typeIjLj2EENS0_17counting_iteratorIjlEEPS9_SG_NS0_5tupleIJPjSI_NS0_16reverse_iteratorISI_EEEEENSH_IJSG_SG_SG_EEES9_SI_JZNS1_25segmented_radix_sort_implINS0_14default_configELb1EPKiPiPKlPlN2at6native12_GLOBAL__N_18offset_tEEE10hipError_tPvRmT1_PNSt15iterator_traitsIS12_E10value_typeET2_T3_PNS13_IS18_E10value_typeET4_jRbjT5_S1E_jjP12ihipStream_tbEUljE_ZNSN_ISO_Lb1ESQ_SR_ST_SU_SY_EESZ_S10_S11_S12_S16_S17_S18_S1B_S1C_jS1D_jS1E_S1E_jjS1G_bEUljE0_EEESZ_S10_S11_S18_S1C_S1E_T6_T7_T9_mT8_S1G_bDpT10_ENKUlT_T0_E_clISt17integral_constantIbLb1EES1T_IbLb0EEEEDaS1P_S1Q_EUlS1P_E_NS1_11comp_targetILNS1_3genE9ELNS1_11target_archE1100ELNS1_3gpuE3ELNS1_3repE0EEENS1_30default_config_static_selectorELNS0_4arch9wavefront6targetE1EEEvS12_,comdat
	.globl	_ZN7rocprim17ROCPRIM_400000_NS6detail17trampoline_kernelINS0_13select_configILj256ELj13ELNS0_17block_load_methodE3ELS4_3ELS4_3ELNS0_20block_scan_algorithmE0ELj4294967295EEENS1_25partition_config_selectorILNS1_17partition_subalgoE4EjNS0_10empty_typeEbEEZZNS1_14partition_implILS8_4ELb0ES6_15HIP_vector_typeIjLj2EENS0_17counting_iteratorIjlEEPS9_SG_NS0_5tupleIJPjSI_NS0_16reverse_iteratorISI_EEEEENSH_IJSG_SG_SG_EEES9_SI_JZNS1_25segmented_radix_sort_implINS0_14default_configELb1EPKiPiPKlPlN2at6native12_GLOBAL__N_18offset_tEEE10hipError_tPvRmT1_PNSt15iterator_traitsIS12_E10value_typeET2_T3_PNS13_IS18_E10value_typeET4_jRbjT5_S1E_jjP12ihipStream_tbEUljE_ZNSN_ISO_Lb1ESQ_SR_ST_SU_SY_EESZ_S10_S11_S12_S16_S17_S18_S1B_S1C_jS1D_jS1E_S1E_jjS1G_bEUljE0_EEESZ_S10_S11_S18_S1C_S1E_T6_T7_T9_mT8_S1G_bDpT10_ENKUlT_T0_E_clISt17integral_constantIbLb1EES1T_IbLb0EEEEDaS1P_S1Q_EUlS1P_E_NS1_11comp_targetILNS1_3genE9ELNS1_11target_archE1100ELNS1_3gpuE3ELNS1_3repE0EEENS1_30default_config_static_selectorELNS0_4arch9wavefront6targetE1EEEvS12_ ; -- Begin function _ZN7rocprim17ROCPRIM_400000_NS6detail17trampoline_kernelINS0_13select_configILj256ELj13ELNS0_17block_load_methodE3ELS4_3ELS4_3ELNS0_20block_scan_algorithmE0ELj4294967295EEENS1_25partition_config_selectorILNS1_17partition_subalgoE4EjNS0_10empty_typeEbEEZZNS1_14partition_implILS8_4ELb0ES6_15HIP_vector_typeIjLj2EENS0_17counting_iteratorIjlEEPS9_SG_NS0_5tupleIJPjSI_NS0_16reverse_iteratorISI_EEEEENSH_IJSG_SG_SG_EEES9_SI_JZNS1_25segmented_radix_sort_implINS0_14default_configELb1EPKiPiPKlPlN2at6native12_GLOBAL__N_18offset_tEEE10hipError_tPvRmT1_PNSt15iterator_traitsIS12_E10value_typeET2_T3_PNS13_IS18_E10value_typeET4_jRbjT5_S1E_jjP12ihipStream_tbEUljE_ZNSN_ISO_Lb1ESQ_SR_ST_SU_SY_EESZ_S10_S11_S12_S16_S17_S18_S1B_S1C_jS1D_jS1E_S1E_jjS1G_bEUljE0_EEESZ_S10_S11_S18_S1C_S1E_T6_T7_T9_mT8_S1G_bDpT10_ENKUlT_T0_E_clISt17integral_constantIbLb1EES1T_IbLb0EEEEDaS1P_S1Q_EUlS1P_E_NS1_11comp_targetILNS1_3genE9ELNS1_11target_archE1100ELNS1_3gpuE3ELNS1_3repE0EEENS1_30default_config_static_selectorELNS0_4arch9wavefront6targetE1EEEvS12_
	.p2align	8
	.type	_ZN7rocprim17ROCPRIM_400000_NS6detail17trampoline_kernelINS0_13select_configILj256ELj13ELNS0_17block_load_methodE3ELS4_3ELS4_3ELNS0_20block_scan_algorithmE0ELj4294967295EEENS1_25partition_config_selectorILNS1_17partition_subalgoE4EjNS0_10empty_typeEbEEZZNS1_14partition_implILS8_4ELb0ES6_15HIP_vector_typeIjLj2EENS0_17counting_iteratorIjlEEPS9_SG_NS0_5tupleIJPjSI_NS0_16reverse_iteratorISI_EEEEENSH_IJSG_SG_SG_EEES9_SI_JZNS1_25segmented_radix_sort_implINS0_14default_configELb1EPKiPiPKlPlN2at6native12_GLOBAL__N_18offset_tEEE10hipError_tPvRmT1_PNSt15iterator_traitsIS12_E10value_typeET2_T3_PNS13_IS18_E10value_typeET4_jRbjT5_S1E_jjP12ihipStream_tbEUljE_ZNSN_ISO_Lb1ESQ_SR_ST_SU_SY_EESZ_S10_S11_S12_S16_S17_S18_S1B_S1C_jS1D_jS1E_S1E_jjS1G_bEUljE0_EEESZ_S10_S11_S18_S1C_S1E_T6_T7_T9_mT8_S1G_bDpT10_ENKUlT_T0_E_clISt17integral_constantIbLb1EES1T_IbLb0EEEEDaS1P_S1Q_EUlS1P_E_NS1_11comp_targetILNS1_3genE9ELNS1_11target_archE1100ELNS1_3gpuE3ELNS1_3repE0EEENS1_30default_config_static_selectorELNS0_4arch9wavefront6targetE1EEEvS12_,@function
_ZN7rocprim17ROCPRIM_400000_NS6detail17trampoline_kernelINS0_13select_configILj256ELj13ELNS0_17block_load_methodE3ELS4_3ELS4_3ELNS0_20block_scan_algorithmE0ELj4294967295EEENS1_25partition_config_selectorILNS1_17partition_subalgoE4EjNS0_10empty_typeEbEEZZNS1_14partition_implILS8_4ELb0ES6_15HIP_vector_typeIjLj2EENS0_17counting_iteratorIjlEEPS9_SG_NS0_5tupleIJPjSI_NS0_16reverse_iteratorISI_EEEEENSH_IJSG_SG_SG_EEES9_SI_JZNS1_25segmented_radix_sort_implINS0_14default_configELb1EPKiPiPKlPlN2at6native12_GLOBAL__N_18offset_tEEE10hipError_tPvRmT1_PNSt15iterator_traitsIS12_E10value_typeET2_T3_PNS13_IS18_E10value_typeET4_jRbjT5_S1E_jjP12ihipStream_tbEUljE_ZNSN_ISO_Lb1ESQ_SR_ST_SU_SY_EESZ_S10_S11_S12_S16_S17_S18_S1B_S1C_jS1D_jS1E_S1E_jjS1G_bEUljE0_EEESZ_S10_S11_S18_S1C_S1E_T6_T7_T9_mT8_S1G_bDpT10_ENKUlT_T0_E_clISt17integral_constantIbLb1EES1T_IbLb0EEEEDaS1P_S1Q_EUlS1P_E_NS1_11comp_targetILNS1_3genE9ELNS1_11target_archE1100ELNS1_3gpuE3ELNS1_3repE0EEENS1_30default_config_static_selectorELNS0_4arch9wavefront6targetE1EEEvS12_: ; @_ZN7rocprim17ROCPRIM_400000_NS6detail17trampoline_kernelINS0_13select_configILj256ELj13ELNS0_17block_load_methodE3ELS4_3ELS4_3ELNS0_20block_scan_algorithmE0ELj4294967295EEENS1_25partition_config_selectorILNS1_17partition_subalgoE4EjNS0_10empty_typeEbEEZZNS1_14partition_implILS8_4ELb0ES6_15HIP_vector_typeIjLj2EENS0_17counting_iteratorIjlEEPS9_SG_NS0_5tupleIJPjSI_NS0_16reverse_iteratorISI_EEEEENSH_IJSG_SG_SG_EEES9_SI_JZNS1_25segmented_radix_sort_implINS0_14default_configELb1EPKiPiPKlPlN2at6native12_GLOBAL__N_18offset_tEEE10hipError_tPvRmT1_PNSt15iterator_traitsIS12_E10value_typeET2_T3_PNS13_IS18_E10value_typeET4_jRbjT5_S1E_jjP12ihipStream_tbEUljE_ZNSN_ISO_Lb1ESQ_SR_ST_SU_SY_EESZ_S10_S11_S12_S16_S17_S18_S1B_S1C_jS1D_jS1E_S1E_jjS1G_bEUljE0_EEESZ_S10_S11_S18_S1C_S1E_T6_T7_T9_mT8_S1G_bDpT10_ENKUlT_T0_E_clISt17integral_constantIbLb1EES1T_IbLb0EEEEDaS1P_S1Q_EUlS1P_E_NS1_11comp_targetILNS1_3genE9ELNS1_11target_archE1100ELNS1_3gpuE3ELNS1_3repE0EEENS1_30default_config_static_selectorELNS0_4arch9wavefront6targetE1EEEvS12_
; %bb.0:
	.section	.rodata,"a",@progbits
	.p2align	6, 0x0
	.amdhsa_kernel _ZN7rocprim17ROCPRIM_400000_NS6detail17trampoline_kernelINS0_13select_configILj256ELj13ELNS0_17block_load_methodE3ELS4_3ELS4_3ELNS0_20block_scan_algorithmE0ELj4294967295EEENS1_25partition_config_selectorILNS1_17partition_subalgoE4EjNS0_10empty_typeEbEEZZNS1_14partition_implILS8_4ELb0ES6_15HIP_vector_typeIjLj2EENS0_17counting_iteratorIjlEEPS9_SG_NS0_5tupleIJPjSI_NS0_16reverse_iteratorISI_EEEEENSH_IJSG_SG_SG_EEES9_SI_JZNS1_25segmented_radix_sort_implINS0_14default_configELb1EPKiPiPKlPlN2at6native12_GLOBAL__N_18offset_tEEE10hipError_tPvRmT1_PNSt15iterator_traitsIS12_E10value_typeET2_T3_PNS13_IS18_E10value_typeET4_jRbjT5_S1E_jjP12ihipStream_tbEUljE_ZNSN_ISO_Lb1ESQ_SR_ST_SU_SY_EESZ_S10_S11_S12_S16_S17_S18_S1B_S1C_jS1D_jS1E_S1E_jjS1G_bEUljE0_EEESZ_S10_S11_S18_S1C_S1E_T6_T7_T9_mT8_S1G_bDpT10_ENKUlT_T0_E_clISt17integral_constantIbLb1EES1T_IbLb0EEEEDaS1P_S1Q_EUlS1P_E_NS1_11comp_targetILNS1_3genE9ELNS1_11target_archE1100ELNS1_3gpuE3ELNS1_3repE0EEENS1_30default_config_static_selectorELNS0_4arch9wavefront6targetE1EEEvS12_
		.amdhsa_group_segment_fixed_size 0
		.amdhsa_private_segment_fixed_size 0
		.amdhsa_kernarg_size 176
		.amdhsa_user_sgpr_count 6
		.amdhsa_user_sgpr_private_segment_buffer 1
		.amdhsa_user_sgpr_dispatch_ptr 0
		.amdhsa_user_sgpr_queue_ptr 0
		.amdhsa_user_sgpr_kernarg_segment_ptr 1
		.amdhsa_user_sgpr_dispatch_id 0
		.amdhsa_user_sgpr_flat_scratch_init 0
		.amdhsa_user_sgpr_kernarg_preload_length 0
		.amdhsa_user_sgpr_kernarg_preload_offset 0
		.amdhsa_user_sgpr_private_segment_size 0
		.amdhsa_uses_dynamic_stack 0
		.amdhsa_system_sgpr_private_segment_wavefront_offset 0
		.amdhsa_system_sgpr_workgroup_id_x 1
		.amdhsa_system_sgpr_workgroup_id_y 0
		.amdhsa_system_sgpr_workgroup_id_z 0
		.amdhsa_system_sgpr_workgroup_info 0
		.amdhsa_system_vgpr_workitem_id 0
		.amdhsa_next_free_vgpr 1
		.amdhsa_next_free_sgpr 0
		.amdhsa_accum_offset 4
		.amdhsa_reserve_vcc 0
		.amdhsa_reserve_flat_scratch 0
		.amdhsa_float_round_mode_32 0
		.amdhsa_float_round_mode_16_64 0
		.amdhsa_float_denorm_mode_32 3
		.amdhsa_float_denorm_mode_16_64 3
		.amdhsa_dx10_clamp 1
		.amdhsa_ieee_mode 1
		.amdhsa_fp16_overflow 0
		.amdhsa_tg_split 0
		.amdhsa_exception_fp_ieee_invalid_op 0
		.amdhsa_exception_fp_denorm_src 0
		.amdhsa_exception_fp_ieee_div_zero 0
		.amdhsa_exception_fp_ieee_overflow 0
		.amdhsa_exception_fp_ieee_underflow 0
		.amdhsa_exception_fp_ieee_inexact 0
		.amdhsa_exception_int_div_zero 0
	.end_amdhsa_kernel
	.section	.text._ZN7rocprim17ROCPRIM_400000_NS6detail17trampoline_kernelINS0_13select_configILj256ELj13ELNS0_17block_load_methodE3ELS4_3ELS4_3ELNS0_20block_scan_algorithmE0ELj4294967295EEENS1_25partition_config_selectorILNS1_17partition_subalgoE4EjNS0_10empty_typeEbEEZZNS1_14partition_implILS8_4ELb0ES6_15HIP_vector_typeIjLj2EENS0_17counting_iteratorIjlEEPS9_SG_NS0_5tupleIJPjSI_NS0_16reverse_iteratorISI_EEEEENSH_IJSG_SG_SG_EEES9_SI_JZNS1_25segmented_radix_sort_implINS0_14default_configELb1EPKiPiPKlPlN2at6native12_GLOBAL__N_18offset_tEEE10hipError_tPvRmT1_PNSt15iterator_traitsIS12_E10value_typeET2_T3_PNS13_IS18_E10value_typeET4_jRbjT5_S1E_jjP12ihipStream_tbEUljE_ZNSN_ISO_Lb1ESQ_SR_ST_SU_SY_EESZ_S10_S11_S12_S16_S17_S18_S1B_S1C_jS1D_jS1E_S1E_jjS1G_bEUljE0_EEESZ_S10_S11_S18_S1C_S1E_T6_T7_T9_mT8_S1G_bDpT10_ENKUlT_T0_E_clISt17integral_constantIbLb1EES1T_IbLb0EEEEDaS1P_S1Q_EUlS1P_E_NS1_11comp_targetILNS1_3genE9ELNS1_11target_archE1100ELNS1_3gpuE3ELNS1_3repE0EEENS1_30default_config_static_selectorELNS0_4arch9wavefront6targetE1EEEvS12_,"axG",@progbits,_ZN7rocprim17ROCPRIM_400000_NS6detail17trampoline_kernelINS0_13select_configILj256ELj13ELNS0_17block_load_methodE3ELS4_3ELS4_3ELNS0_20block_scan_algorithmE0ELj4294967295EEENS1_25partition_config_selectorILNS1_17partition_subalgoE4EjNS0_10empty_typeEbEEZZNS1_14partition_implILS8_4ELb0ES6_15HIP_vector_typeIjLj2EENS0_17counting_iteratorIjlEEPS9_SG_NS0_5tupleIJPjSI_NS0_16reverse_iteratorISI_EEEEENSH_IJSG_SG_SG_EEES9_SI_JZNS1_25segmented_radix_sort_implINS0_14default_configELb1EPKiPiPKlPlN2at6native12_GLOBAL__N_18offset_tEEE10hipError_tPvRmT1_PNSt15iterator_traitsIS12_E10value_typeET2_T3_PNS13_IS18_E10value_typeET4_jRbjT5_S1E_jjP12ihipStream_tbEUljE_ZNSN_ISO_Lb1ESQ_SR_ST_SU_SY_EESZ_S10_S11_S12_S16_S17_S18_S1B_S1C_jS1D_jS1E_S1E_jjS1G_bEUljE0_EEESZ_S10_S11_S18_S1C_S1E_T6_T7_T9_mT8_S1G_bDpT10_ENKUlT_T0_E_clISt17integral_constantIbLb1EES1T_IbLb0EEEEDaS1P_S1Q_EUlS1P_E_NS1_11comp_targetILNS1_3genE9ELNS1_11target_archE1100ELNS1_3gpuE3ELNS1_3repE0EEENS1_30default_config_static_selectorELNS0_4arch9wavefront6targetE1EEEvS12_,comdat
.Lfunc_end455:
	.size	_ZN7rocprim17ROCPRIM_400000_NS6detail17trampoline_kernelINS0_13select_configILj256ELj13ELNS0_17block_load_methodE3ELS4_3ELS4_3ELNS0_20block_scan_algorithmE0ELj4294967295EEENS1_25partition_config_selectorILNS1_17partition_subalgoE4EjNS0_10empty_typeEbEEZZNS1_14partition_implILS8_4ELb0ES6_15HIP_vector_typeIjLj2EENS0_17counting_iteratorIjlEEPS9_SG_NS0_5tupleIJPjSI_NS0_16reverse_iteratorISI_EEEEENSH_IJSG_SG_SG_EEES9_SI_JZNS1_25segmented_radix_sort_implINS0_14default_configELb1EPKiPiPKlPlN2at6native12_GLOBAL__N_18offset_tEEE10hipError_tPvRmT1_PNSt15iterator_traitsIS12_E10value_typeET2_T3_PNS13_IS18_E10value_typeET4_jRbjT5_S1E_jjP12ihipStream_tbEUljE_ZNSN_ISO_Lb1ESQ_SR_ST_SU_SY_EESZ_S10_S11_S12_S16_S17_S18_S1B_S1C_jS1D_jS1E_S1E_jjS1G_bEUljE0_EEESZ_S10_S11_S18_S1C_S1E_T6_T7_T9_mT8_S1G_bDpT10_ENKUlT_T0_E_clISt17integral_constantIbLb1EES1T_IbLb0EEEEDaS1P_S1Q_EUlS1P_E_NS1_11comp_targetILNS1_3genE9ELNS1_11target_archE1100ELNS1_3gpuE3ELNS1_3repE0EEENS1_30default_config_static_selectorELNS0_4arch9wavefront6targetE1EEEvS12_, .Lfunc_end455-_ZN7rocprim17ROCPRIM_400000_NS6detail17trampoline_kernelINS0_13select_configILj256ELj13ELNS0_17block_load_methodE3ELS4_3ELS4_3ELNS0_20block_scan_algorithmE0ELj4294967295EEENS1_25partition_config_selectorILNS1_17partition_subalgoE4EjNS0_10empty_typeEbEEZZNS1_14partition_implILS8_4ELb0ES6_15HIP_vector_typeIjLj2EENS0_17counting_iteratorIjlEEPS9_SG_NS0_5tupleIJPjSI_NS0_16reverse_iteratorISI_EEEEENSH_IJSG_SG_SG_EEES9_SI_JZNS1_25segmented_radix_sort_implINS0_14default_configELb1EPKiPiPKlPlN2at6native12_GLOBAL__N_18offset_tEEE10hipError_tPvRmT1_PNSt15iterator_traitsIS12_E10value_typeET2_T3_PNS13_IS18_E10value_typeET4_jRbjT5_S1E_jjP12ihipStream_tbEUljE_ZNSN_ISO_Lb1ESQ_SR_ST_SU_SY_EESZ_S10_S11_S12_S16_S17_S18_S1B_S1C_jS1D_jS1E_S1E_jjS1G_bEUljE0_EEESZ_S10_S11_S18_S1C_S1E_T6_T7_T9_mT8_S1G_bDpT10_ENKUlT_T0_E_clISt17integral_constantIbLb1EES1T_IbLb0EEEEDaS1P_S1Q_EUlS1P_E_NS1_11comp_targetILNS1_3genE9ELNS1_11target_archE1100ELNS1_3gpuE3ELNS1_3repE0EEENS1_30default_config_static_selectorELNS0_4arch9wavefront6targetE1EEEvS12_
                                        ; -- End function
	.section	.AMDGPU.csdata,"",@progbits
; Kernel info:
; codeLenInByte = 0
; NumSgprs: 4
; NumVgprs: 0
; NumAgprs: 0
; TotalNumVgprs: 0
; ScratchSize: 0
; MemoryBound: 0
; FloatMode: 240
; IeeeMode: 1
; LDSByteSize: 0 bytes/workgroup (compile time only)
; SGPRBlocks: 0
; VGPRBlocks: 0
; NumSGPRsForWavesPerEU: 4
; NumVGPRsForWavesPerEU: 1
; AccumOffset: 4
; Occupancy: 8
; WaveLimiterHint : 0
; COMPUTE_PGM_RSRC2:SCRATCH_EN: 0
; COMPUTE_PGM_RSRC2:USER_SGPR: 6
; COMPUTE_PGM_RSRC2:TRAP_HANDLER: 0
; COMPUTE_PGM_RSRC2:TGID_X_EN: 1
; COMPUTE_PGM_RSRC2:TGID_Y_EN: 0
; COMPUTE_PGM_RSRC2:TGID_Z_EN: 0
; COMPUTE_PGM_RSRC2:TIDIG_COMP_CNT: 0
; COMPUTE_PGM_RSRC3_GFX90A:ACCUM_OFFSET: 0
; COMPUTE_PGM_RSRC3_GFX90A:TG_SPLIT: 0
	.section	.text._ZN7rocprim17ROCPRIM_400000_NS6detail17trampoline_kernelINS0_13select_configILj256ELj13ELNS0_17block_load_methodE3ELS4_3ELS4_3ELNS0_20block_scan_algorithmE0ELj4294967295EEENS1_25partition_config_selectorILNS1_17partition_subalgoE4EjNS0_10empty_typeEbEEZZNS1_14partition_implILS8_4ELb0ES6_15HIP_vector_typeIjLj2EENS0_17counting_iteratorIjlEEPS9_SG_NS0_5tupleIJPjSI_NS0_16reverse_iteratorISI_EEEEENSH_IJSG_SG_SG_EEES9_SI_JZNS1_25segmented_radix_sort_implINS0_14default_configELb1EPKiPiPKlPlN2at6native12_GLOBAL__N_18offset_tEEE10hipError_tPvRmT1_PNSt15iterator_traitsIS12_E10value_typeET2_T3_PNS13_IS18_E10value_typeET4_jRbjT5_S1E_jjP12ihipStream_tbEUljE_ZNSN_ISO_Lb1ESQ_SR_ST_SU_SY_EESZ_S10_S11_S12_S16_S17_S18_S1B_S1C_jS1D_jS1E_S1E_jjS1G_bEUljE0_EEESZ_S10_S11_S18_S1C_S1E_T6_T7_T9_mT8_S1G_bDpT10_ENKUlT_T0_E_clISt17integral_constantIbLb1EES1T_IbLb0EEEEDaS1P_S1Q_EUlS1P_E_NS1_11comp_targetILNS1_3genE8ELNS1_11target_archE1030ELNS1_3gpuE2ELNS1_3repE0EEENS1_30default_config_static_selectorELNS0_4arch9wavefront6targetE1EEEvS12_,"axG",@progbits,_ZN7rocprim17ROCPRIM_400000_NS6detail17trampoline_kernelINS0_13select_configILj256ELj13ELNS0_17block_load_methodE3ELS4_3ELS4_3ELNS0_20block_scan_algorithmE0ELj4294967295EEENS1_25partition_config_selectorILNS1_17partition_subalgoE4EjNS0_10empty_typeEbEEZZNS1_14partition_implILS8_4ELb0ES6_15HIP_vector_typeIjLj2EENS0_17counting_iteratorIjlEEPS9_SG_NS0_5tupleIJPjSI_NS0_16reverse_iteratorISI_EEEEENSH_IJSG_SG_SG_EEES9_SI_JZNS1_25segmented_radix_sort_implINS0_14default_configELb1EPKiPiPKlPlN2at6native12_GLOBAL__N_18offset_tEEE10hipError_tPvRmT1_PNSt15iterator_traitsIS12_E10value_typeET2_T3_PNS13_IS18_E10value_typeET4_jRbjT5_S1E_jjP12ihipStream_tbEUljE_ZNSN_ISO_Lb1ESQ_SR_ST_SU_SY_EESZ_S10_S11_S12_S16_S17_S18_S1B_S1C_jS1D_jS1E_S1E_jjS1G_bEUljE0_EEESZ_S10_S11_S18_S1C_S1E_T6_T7_T9_mT8_S1G_bDpT10_ENKUlT_T0_E_clISt17integral_constantIbLb1EES1T_IbLb0EEEEDaS1P_S1Q_EUlS1P_E_NS1_11comp_targetILNS1_3genE8ELNS1_11target_archE1030ELNS1_3gpuE2ELNS1_3repE0EEENS1_30default_config_static_selectorELNS0_4arch9wavefront6targetE1EEEvS12_,comdat
	.globl	_ZN7rocprim17ROCPRIM_400000_NS6detail17trampoline_kernelINS0_13select_configILj256ELj13ELNS0_17block_load_methodE3ELS4_3ELS4_3ELNS0_20block_scan_algorithmE0ELj4294967295EEENS1_25partition_config_selectorILNS1_17partition_subalgoE4EjNS0_10empty_typeEbEEZZNS1_14partition_implILS8_4ELb0ES6_15HIP_vector_typeIjLj2EENS0_17counting_iteratorIjlEEPS9_SG_NS0_5tupleIJPjSI_NS0_16reverse_iteratorISI_EEEEENSH_IJSG_SG_SG_EEES9_SI_JZNS1_25segmented_radix_sort_implINS0_14default_configELb1EPKiPiPKlPlN2at6native12_GLOBAL__N_18offset_tEEE10hipError_tPvRmT1_PNSt15iterator_traitsIS12_E10value_typeET2_T3_PNS13_IS18_E10value_typeET4_jRbjT5_S1E_jjP12ihipStream_tbEUljE_ZNSN_ISO_Lb1ESQ_SR_ST_SU_SY_EESZ_S10_S11_S12_S16_S17_S18_S1B_S1C_jS1D_jS1E_S1E_jjS1G_bEUljE0_EEESZ_S10_S11_S18_S1C_S1E_T6_T7_T9_mT8_S1G_bDpT10_ENKUlT_T0_E_clISt17integral_constantIbLb1EES1T_IbLb0EEEEDaS1P_S1Q_EUlS1P_E_NS1_11comp_targetILNS1_3genE8ELNS1_11target_archE1030ELNS1_3gpuE2ELNS1_3repE0EEENS1_30default_config_static_selectorELNS0_4arch9wavefront6targetE1EEEvS12_ ; -- Begin function _ZN7rocprim17ROCPRIM_400000_NS6detail17trampoline_kernelINS0_13select_configILj256ELj13ELNS0_17block_load_methodE3ELS4_3ELS4_3ELNS0_20block_scan_algorithmE0ELj4294967295EEENS1_25partition_config_selectorILNS1_17partition_subalgoE4EjNS0_10empty_typeEbEEZZNS1_14partition_implILS8_4ELb0ES6_15HIP_vector_typeIjLj2EENS0_17counting_iteratorIjlEEPS9_SG_NS0_5tupleIJPjSI_NS0_16reverse_iteratorISI_EEEEENSH_IJSG_SG_SG_EEES9_SI_JZNS1_25segmented_radix_sort_implINS0_14default_configELb1EPKiPiPKlPlN2at6native12_GLOBAL__N_18offset_tEEE10hipError_tPvRmT1_PNSt15iterator_traitsIS12_E10value_typeET2_T3_PNS13_IS18_E10value_typeET4_jRbjT5_S1E_jjP12ihipStream_tbEUljE_ZNSN_ISO_Lb1ESQ_SR_ST_SU_SY_EESZ_S10_S11_S12_S16_S17_S18_S1B_S1C_jS1D_jS1E_S1E_jjS1G_bEUljE0_EEESZ_S10_S11_S18_S1C_S1E_T6_T7_T9_mT8_S1G_bDpT10_ENKUlT_T0_E_clISt17integral_constantIbLb1EES1T_IbLb0EEEEDaS1P_S1Q_EUlS1P_E_NS1_11comp_targetILNS1_3genE8ELNS1_11target_archE1030ELNS1_3gpuE2ELNS1_3repE0EEENS1_30default_config_static_selectorELNS0_4arch9wavefront6targetE1EEEvS12_
	.p2align	8
	.type	_ZN7rocprim17ROCPRIM_400000_NS6detail17trampoline_kernelINS0_13select_configILj256ELj13ELNS0_17block_load_methodE3ELS4_3ELS4_3ELNS0_20block_scan_algorithmE0ELj4294967295EEENS1_25partition_config_selectorILNS1_17partition_subalgoE4EjNS0_10empty_typeEbEEZZNS1_14partition_implILS8_4ELb0ES6_15HIP_vector_typeIjLj2EENS0_17counting_iteratorIjlEEPS9_SG_NS0_5tupleIJPjSI_NS0_16reverse_iteratorISI_EEEEENSH_IJSG_SG_SG_EEES9_SI_JZNS1_25segmented_radix_sort_implINS0_14default_configELb1EPKiPiPKlPlN2at6native12_GLOBAL__N_18offset_tEEE10hipError_tPvRmT1_PNSt15iterator_traitsIS12_E10value_typeET2_T3_PNS13_IS18_E10value_typeET4_jRbjT5_S1E_jjP12ihipStream_tbEUljE_ZNSN_ISO_Lb1ESQ_SR_ST_SU_SY_EESZ_S10_S11_S12_S16_S17_S18_S1B_S1C_jS1D_jS1E_S1E_jjS1G_bEUljE0_EEESZ_S10_S11_S18_S1C_S1E_T6_T7_T9_mT8_S1G_bDpT10_ENKUlT_T0_E_clISt17integral_constantIbLb1EES1T_IbLb0EEEEDaS1P_S1Q_EUlS1P_E_NS1_11comp_targetILNS1_3genE8ELNS1_11target_archE1030ELNS1_3gpuE2ELNS1_3repE0EEENS1_30default_config_static_selectorELNS0_4arch9wavefront6targetE1EEEvS12_,@function
_ZN7rocprim17ROCPRIM_400000_NS6detail17trampoline_kernelINS0_13select_configILj256ELj13ELNS0_17block_load_methodE3ELS4_3ELS4_3ELNS0_20block_scan_algorithmE0ELj4294967295EEENS1_25partition_config_selectorILNS1_17partition_subalgoE4EjNS0_10empty_typeEbEEZZNS1_14partition_implILS8_4ELb0ES6_15HIP_vector_typeIjLj2EENS0_17counting_iteratorIjlEEPS9_SG_NS0_5tupleIJPjSI_NS0_16reverse_iteratorISI_EEEEENSH_IJSG_SG_SG_EEES9_SI_JZNS1_25segmented_radix_sort_implINS0_14default_configELb1EPKiPiPKlPlN2at6native12_GLOBAL__N_18offset_tEEE10hipError_tPvRmT1_PNSt15iterator_traitsIS12_E10value_typeET2_T3_PNS13_IS18_E10value_typeET4_jRbjT5_S1E_jjP12ihipStream_tbEUljE_ZNSN_ISO_Lb1ESQ_SR_ST_SU_SY_EESZ_S10_S11_S12_S16_S17_S18_S1B_S1C_jS1D_jS1E_S1E_jjS1G_bEUljE0_EEESZ_S10_S11_S18_S1C_S1E_T6_T7_T9_mT8_S1G_bDpT10_ENKUlT_T0_E_clISt17integral_constantIbLb1EES1T_IbLb0EEEEDaS1P_S1Q_EUlS1P_E_NS1_11comp_targetILNS1_3genE8ELNS1_11target_archE1030ELNS1_3gpuE2ELNS1_3repE0EEENS1_30default_config_static_selectorELNS0_4arch9wavefront6targetE1EEEvS12_: ; @_ZN7rocprim17ROCPRIM_400000_NS6detail17trampoline_kernelINS0_13select_configILj256ELj13ELNS0_17block_load_methodE3ELS4_3ELS4_3ELNS0_20block_scan_algorithmE0ELj4294967295EEENS1_25partition_config_selectorILNS1_17partition_subalgoE4EjNS0_10empty_typeEbEEZZNS1_14partition_implILS8_4ELb0ES6_15HIP_vector_typeIjLj2EENS0_17counting_iteratorIjlEEPS9_SG_NS0_5tupleIJPjSI_NS0_16reverse_iteratorISI_EEEEENSH_IJSG_SG_SG_EEES9_SI_JZNS1_25segmented_radix_sort_implINS0_14default_configELb1EPKiPiPKlPlN2at6native12_GLOBAL__N_18offset_tEEE10hipError_tPvRmT1_PNSt15iterator_traitsIS12_E10value_typeET2_T3_PNS13_IS18_E10value_typeET4_jRbjT5_S1E_jjP12ihipStream_tbEUljE_ZNSN_ISO_Lb1ESQ_SR_ST_SU_SY_EESZ_S10_S11_S12_S16_S17_S18_S1B_S1C_jS1D_jS1E_S1E_jjS1G_bEUljE0_EEESZ_S10_S11_S18_S1C_S1E_T6_T7_T9_mT8_S1G_bDpT10_ENKUlT_T0_E_clISt17integral_constantIbLb1EES1T_IbLb0EEEEDaS1P_S1Q_EUlS1P_E_NS1_11comp_targetILNS1_3genE8ELNS1_11target_archE1030ELNS1_3gpuE2ELNS1_3repE0EEENS1_30default_config_static_selectorELNS0_4arch9wavefront6targetE1EEEvS12_
; %bb.0:
	.section	.rodata,"a",@progbits
	.p2align	6, 0x0
	.amdhsa_kernel _ZN7rocprim17ROCPRIM_400000_NS6detail17trampoline_kernelINS0_13select_configILj256ELj13ELNS0_17block_load_methodE3ELS4_3ELS4_3ELNS0_20block_scan_algorithmE0ELj4294967295EEENS1_25partition_config_selectorILNS1_17partition_subalgoE4EjNS0_10empty_typeEbEEZZNS1_14partition_implILS8_4ELb0ES6_15HIP_vector_typeIjLj2EENS0_17counting_iteratorIjlEEPS9_SG_NS0_5tupleIJPjSI_NS0_16reverse_iteratorISI_EEEEENSH_IJSG_SG_SG_EEES9_SI_JZNS1_25segmented_radix_sort_implINS0_14default_configELb1EPKiPiPKlPlN2at6native12_GLOBAL__N_18offset_tEEE10hipError_tPvRmT1_PNSt15iterator_traitsIS12_E10value_typeET2_T3_PNS13_IS18_E10value_typeET4_jRbjT5_S1E_jjP12ihipStream_tbEUljE_ZNSN_ISO_Lb1ESQ_SR_ST_SU_SY_EESZ_S10_S11_S12_S16_S17_S18_S1B_S1C_jS1D_jS1E_S1E_jjS1G_bEUljE0_EEESZ_S10_S11_S18_S1C_S1E_T6_T7_T9_mT8_S1G_bDpT10_ENKUlT_T0_E_clISt17integral_constantIbLb1EES1T_IbLb0EEEEDaS1P_S1Q_EUlS1P_E_NS1_11comp_targetILNS1_3genE8ELNS1_11target_archE1030ELNS1_3gpuE2ELNS1_3repE0EEENS1_30default_config_static_selectorELNS0_4arch9wavefront6targetE1EEEvS12_
		.amdhsa_group_segment_fixed_size 0
		.amdhsa_private_segment_fixed_size 0
		.amdhsa_kernarg_size 176
		.amdhsa_user_sgpr_count 6
		.amdhsa_user_sgpr_private_segment_buffer 1
		.amdhsa_user_sgpr_dispatch_ptr 0
		.amdhsa_user_sgpr_queue_ptr 0
		.amdhsa_user_sgpr_kernarg_segment_ptr 1
		.amdhsa_user_sgpr_dispatch_id 0
		.amdhsa_user_sgpr_flat_scratch_init 0
		.amdhsa_user_sgpr_kernarg_preload_length 0
		.amdhsa_user_sgpr_kernarg_preload_offset 0
		.amdhsa_user_sgpr_private_segment_size 0
		.amdhsa_uses_dynamic_stack 0
		.amdhsa_system_sgpr_private_segment_wavefront_offset 0
		.amdhsa_system_sgpr_workgroup_id_x 1
		.amdhsa_system_sgpr_workgroup_id_y 0
		.amdhsa_system_sgpr_workgroup_id_z 0
		.amdhsa_system_sgpr_workgroup_info 0
		.amdhsa_system_vgpr_workitem_id 0
		.amdhsa_next_free_vgpr 1
		.amdhsa_next_free_sgpr 0
		.amdhsa_accum_offset 4
		.amdhsa_reserve_vcc 0
		.amdhsa_reserve_flat_scratch 0
		.amdhsa_float_round_mode_32 0
		.amdhsa_float_round_mode_16_64 0
		.amdhsa_float_denorm_mode_32 3
		.amdhsa_float_denorm_mode_16_64 3
		.amdhsa_dx10_clamp 1
		.amdhsa_ieee_mode 1
		.amdhsa_fp16_overflow 0
		.amdhsa_tg_split 0
		.amdhsa_exception_fp_ieee_invalid_op 0
		.amdhsa_exception_fp_denorm_src 0
		.amdhsa_exception_fp_ieee_div_zero 0
		.amdhsa_exception_fp_ieee_overflow 0
		.amdhsa_exception_fp_ieee_underflow 0
		.amdhsa_exception_fp_ieee_inexact 0
		.amdhsa_exception_int_div_zero 0
	.end_amdhsa_kernel
	.section	.text._ZN7rocprim17ROCPRIM_400000_NS6detail17trampoline_kernelINS0_13select_configILj256ELj13ELNS0_17block_load_methodE3ELS4_3ELS4_3ELNS0_20block_scan_algorithmE0ELj4294967295EEENS1_25partition_config_selectorILNS1_17partition_subalgoE4EjNS0_10empty_typeEbEEZZNS1_14partition_implILS8_4ELb0ES6_15HIP_vector_typeIjLj2EENS0_17counting_iteratorIjlEEPS9_SG_NS0_5tupleIJPjSI_NS0_16reverse_iteratorISI_EEEEENSH_IJSG_SG_SG_EEES9_SI_JZNS1_25segmented_radix_sort_implINS0_14default_configELb1EPKiPiPKlPlN2at6native12_GLOBAL__N_18offset_tEEE10hipError_tPvRmT1_PNSt15iterator_traitsIS12_E10value_typeET2_T3_PNS13_IS18_E10value_typeET4_jRbjT5_S1E_jjP12ihipStream_tbEUljE_ZNSN_ISO_Lb1ESQ_SR_ST_SU_SY_EESZ_S10_S11_S12_S16_S17_S18_S1B_S1C_jS1D_jS1E_S1E_jjS1G_bEUljE0_EEESZ_S10_S11_S18_S1C_S1E_T6_T7_T9_mT8_S1G_bDpT10_ENKUlT_T0_E_clISt17integral_constantIbLb1EES1T_IbLb0EEEEDaS1P_S1Q_EUlS1P_E_NS1_11comp_targetILNS1_3genE8ELNS1_11target_archE1030ELNS1_3gpuE2ELNS1_3repE0EEENS1_30default_config_static_selectorELNS0_4arch9wavefront6targetE1EEEvS12_,"axG",@progbits,_ZN7rocprim17ROCPRIM_400000_NS6detail17trampoline_kernelINS0_13select_configILj256ELj13ELNS0_17block_load_methodE3ELS4_3ELS4_3ELNS0_20block_scan_algorithmE0ELj4294967295EEENS1_25partition_config_selectorILNS1_17partition_subalgoE4EjNS0_10empty_typeEbEEZZNS1_14partition_implILS8_4ELb0ES6_15HIP_vector_typeIjLj2EENS0_17counting_iteratorIjlEEPS9_SG_NS0_5tupleIJPjSI_NS0_16reverse_iteratorISI_EEEEENSH_IJSG_SG_SG_EEES9_SI_JZNS1_25segmented_radix_sort_implINS0_14default_configELb1EPKiPiPKlPlN2at6native12_GLOBAL__N_18offset_tEEE10hipError_tPvRmT1_PNSt15iterator_traitsIS12_E10value_typeET2_T3_PNS13_IS18_E10value_typeET4_jRbjT5_S1E_jjP12ihipStream_tbEUljE_ZNSN_ISO_Lb1ESQ_SR_ST_SU_SY_EESZ_S10_S11_S12_S16_S17_S18_S1B_S1C_jS1D_jS1E_S1E_jjS1G_bEUljE0_EEESZ_S10_S11_S18_S1C_S1E_T6_T7_T9_mT8_S1G_bDpT10_ENKUlT_T0_E_clISt17integral_constantIbLb1EES1T_IbLb0EEEEDaS1P_S1Q_EUlS1P_E_NS1_11comp_targetILNS1_3genE8ELNS1_11target_archE1030ELNS1_3gpuE2ELNS1_3repE0EEENS1_30default_config_static_selectorELNS0_4arch9wavefront6targetE1EEEvS12_,comdat
.Lfunc_end456:
	.size	_ZN7rocprim17ROCPRIM_400000_NS6detail17trampoline_kernelINS0_13select_configILj256ELj13ELNS0_17block_load_methodE3ELS4_3ELS4_3ELNS0_20block_scan_algorithmE0ELj4294967295EEENS1_25partition_config_selectorILNS1_17partition_subalgoE4EjNS0_10empty_typeEbEEZZNS1_14partition_implILS8_4ELb0ES6_15HIP_vector_typeIjLj2EENS0_17counting_iteratorIjlEEPS9_SG_NS0_5tupleIJPjSI_NS0_16reverse_iteratorISI_EEEEENSH_IJSG_SG_SG_EEES9_SI_JZNS1_25segmented_radix_sort_implINS0_14default_configELb1EPKiPiPKlPlN2at6native12_GLOBAL__N_18offset_tEEE10hipError_tPvRmT1_PNSt15iterator_traitsIS12_E10value_typeET2_T3_PNS13_IS18_E10value_typeET4_jRbjT5_S1E_jjP12ihipStream_tbEUljE_ZNSN_ISO_Lb1ESQ_SR_ST_SU_SY_EESZ_S10_S11_S12_S16_S17_S18_S1B_S1C_jS1D_jS1E_S1E_jjS1G_bEUljE0_EEESZ_S10_S11_S18_S1C_S1E_T6_T7_T9_mT8_S1G_bDpT10_ENKUlT_T0_E_clISt17integral_constantIbLb1EES1T_IbLb0EEEEDaS1P_S1Q_EUlS1P_E_NS1_11comp_targetILNS1_3genE8ELNS1_11target_archE1030ELNS1_3gpuE2ELNS1_3repE0EEENS1_30default_config_static_selectorELNS0_4arch9wavefront6targetE1EEEvS12_, .Lfunc_end456-_ZN7rocprim17ROCPRIM_400000_NS6detail17trampoline_kernelINS0_13select_configILj256ELj13ELNS0_17block_load_methodE3ELS4_3ELS4_3ELNS0_20block_scan_algorithmE0ELj4294967295EEENS1_25partition_config_selectorILNS1_17partition_subalgoE4EjNS0_10empty_typeEbEEZZNS1_14partition_implILS8_4ELb0ES6_15HIP_vector_typeIjLj2EENS0_17counting_iteratorIjlEEPS9_SG_NS0_5tupleIJPjSI_NS0_16reverse_iteratorISI_EEEEENSH_IJSG_SG_SG_EEES9_SI_JZNS1_25segmented_radix_sort_implINS0_14default_configELb1EPKiPiPKlPlN2at6native12_GLOBAL__N_18offset_tEEE10hipError_tPvRmT1_PNSt15iterator_traitsIS12_E10value_typeET2_T3_PNS13_IS18_E10value_typeET4_jRbjT5_S1E_jjP12ihipStream_tbEUljE_ZNSN_ISO_Lb1ESQ_SR_ST_SU_SY_EESZ_S10_S11_S12_S16_S17_S18_S1B_S1C_jS1D_jS1E_S1E_jjS1G_bEUljE0_EEESZ_S10_S11_S18_S1C_S1E_T6_T7_T9_mT8_S1G_bDpT10_ENKUlT_T0_E_clISt17integral_constantIbLb1EES1T_IbLb0EEEEDaS1P_S1Q_EUlS1P_E_NS1_11comp_targetILNS1_3genE8ELNS1_11target_archE1030ELNS1_3gpuE2ELNS1_3repE0EEENS1_30default_config_static_selectorELNS0_4arch9wavefront6targetE1EEEvS12_
                                        ; -- End function
	.section	.AMDGPU.csdata,"",@progbits
; Kernel info:
; codeLenInByte = 0
; NumSgprs: 4
; NumVgprs: 0
; NumAgprs: 0
; TotalNumVgprs: 0
; ScratchSize: 0
; MemoryBound: 0
; FloatMode: 240
; IeeeMode: 1
; LDSByteSize: 0 bytes/workgroup (compile time only)
; SGPRBlocks: 0
; VGPRBlocks: 0
; NumSGPRsForWavesPerEU: 4
; NumVGPRsForWavesPerEU: 1
; AccumOffset: 4
; Occupancy: 8
; WaveLimiterHint : 0
; COMPUTE_PGM_RSRC2:SCRATCH_EN: 0
; COMPUTE_PGM_RSRC2:USER_SGPR: 6
; COMPUTE_PGM_RSRC2:TRAP_HANDLER: 0
; COMPUTE_PGM_RSRC2:TGID_X_EN: 1
; COMPUTE_PGM_RSRC2:TGID_Y_EN: 0
; COMPUTE_PGM_RSRC2:TGID_Z_EN: 0
; COMPUTE_PGM_RSRC2:TIDIG_COMP_CNT: 0
; COMPUTE_PGM_RSRC3_GFX90A:ACCUM_OFFSET: 0
; COMPUTE_PGM_RSRC3_GFX90A:TG_SPLIT: 0
	.section	.text._ZN7rocprim17ROCPRIM_400000_NS6detail17trampoline_kernelINS0_13select_configILj256ELj13ELNS0_17block_load_methodE3ELS4_3ELS4_3ELNS0_20block_scan_algorithmE0ELj4294967295EEENS1_25partition_config_selectorILNS1_17partition_subalgoE4EjNS0_10empty_typeEbEEZZNS1_14partition_implILS8_4ELb0ES6_15HIP_vector_typeIjLj2EENS0_17counting_iteratorIjlEEPS9_SG_NS0_5tupleIJPjSI_NS0_16reverse_iteratorISI_EEEEENSH_IJSG_SG_SG_EEES9_SI_JZNS1_25segmented_radix_sort_implINS0_14default_configELb1EPKiPiPKlPlN2at6native12_GLOBAL__N_18offset_tEEE10hipError_tPvRmT1_PNSt15iterator_traitsIS12_E10value_typeET2_T3_PNS13_IS18_E10value_typeET4_jRbjT5_S1E_jjP12ihipStream_tbEUljE_ZNSN_ISO_Lb1ESQ_SR_ST_SU_SY_EESZ_S10_S11_S12_S16_S17_S18_S1B_S1C_jS1D_jS1E_S1E_jjS1G_bEUljE0_EEESZ_S10_S11_S18_S1C_S1E_T6_T7_T9_mT8_S1G_bDpT10_ENKUlT_T0_E_clISt17integral_constantIbLb0EES1T_IbLb1EEEEDaS1P_S1Q_EUlS1P_E_NS1_11comp_targetILNS1_3genE0ELNS1_11target_archE4294967295ELNS1_3gpuE0ELNS1_3repE0EEENS1_30default_config_static_selectorELNS0_4arch9wavefront6targetE1EEEvS12_,"axG",@progbits,_ZN7rocprim17ROCPRIM_400000_NS6detail17trampoline_kernelINS0_13select_configILj256ELj13ELNS0_17block_load_methodE3ELS4_3ELS4_3ELNS0_20block_scan_algorithmE0ELj4294967295EEENS1_25partition_config_selectorILNS1_17partition_subalgoE4EjNS0_10empty_typeEbEEZZNS1_14partition_implILS8_4ELb0ES6_15HIP_vector_typeIjLj2EENS0_17counting_iteratorIjlEEPS9_SG_NS0_5tupleIJPjSI_NS0_16reverse_iteratorISI_EEEEENSH_IJSG_SG_SG_EEES9_SI_JZNS1_25segmented_radix_sort_implINS0_14default_configELb1EPKiPiPKlPlN2at6native12_GLOBAL__N_18offset_tEEE10hipError_tPvRmT1_PNSt15iterator_traitsIS12_E10value_typeET2_T3_PNS13_IS18_E10value_typeET4_jRbjT5_S1E_jjP12ihipStream_tbEUljE_ZNSN_ISO_Lb1ESQ_SR_ST_SU_SY_EESZ_S10_S11_S12_S16_S17_S18_S1B_S1C_jS1D_jS1E_S1E_jjS1G_bEUljE0_EEESZ_S10_S11_S18_S1C_S1E_T6_T7_T9_mT8_S1G_bDpT10_ENKUlT_T0_E_clISt17integral_constantIbLb0EES1T_IbLb1EEEEDaS1P_S1Q_EUlS1P_E_NS1_11comp_targetILNS1_3genE0ELNS1_11target_archE4294967295ELNS1_3gpuE0ELNS1_3repE0EEENS1_30default_config_static_selectorELNS0_4arch9wavefront6targetE1EEEvS12_,comdat
	.globl	_ZN7rocprim17ROCPRIM_400000_NS6detail17trampoline_kernelINS0_13select_configILj256ELj13ELNS0_17block_load_methodE3ELS4_3ELS4_3ELNS0_20block_scan_algorithmE0ELj4294967295EEENS1_25partition_config_selectorILNS1_17partition_subalgoE4EjNS0_10empty_typeEbEEZZNS1_14partition_implILS8_4ELb0ES6_15HIP_vector_typeIjLj2EENS0_17counting_iteratorIjlEEPS9_SG_NS0_5tupleIJPjSI_NS0_16reverse_iteratorISI_EEEEENSH_IJSG_SG_SG_EEES9_SI_JZNS1_25segmented_radix_sort_implINS0_14default_configELb1EPKiPiPKlPlN2at6native12_GLOBAL__N_18offset_tEEE10hipError_tPvRmT1_PNSt15iterator_traitsIS12_E10value_typeET2_T3_PNS13_IS18_E10value_typeET4_jRbjT5_S1E_jjP12ihipStream_tbEUljE_ZNSN_ISO_Lb1ESQ_SR_ST_SU_SY_EESZ_S10_S11_S12_S16_S17_S18_S1B_S1C_jS1D_jS1E_S1E_jjS1G_bEUljE0_EEESZ_S10_S11_S18_S1C_S1E_T6_T7_T9_mT8_S1G_bDpT10_ENKUlT_T0_E_clISt17integral_constantIbLb0EES1T_IbLb1EEEEDaS1P_S1Q_EUlS1P_E_NS1_11comp_targetILNS1_3genE0ELNS1_11target_archE4294967295ELNS1_3gpuE0ELNS1_3repE0EEENS1_30default_config_static_selectorELNS0_4arch9wavefront6targetE1EEEvS12_ ; -- Begin function _ZN7rocprim17ROCPRIM_400000_NS6detail17trampoline_kernelINS0_13select_configILj256ELj13ELNS0_17block_load_methodE3ELS4_3ELS4_3ELNS0_20block_scan_algorithmE0ELj4294967295EEENS1_25partition_config_selectorILNS1_17partition_subalgoE4EjNS0_10empty_typeEbEEZZNS1_14partition_implILS8_4ELb0ES6_15HIP_vector_typeIjLj2EENS0_17counting_iteratorIjlEEPS9_SG_NS0_5tupleIJPjSI_NS0_16reverse_iteratorISI_EEEEENSH_IJSG_SG_SG_EEES9_SI_JZNS1_25segmented_radix_sort_implINS0_14default_configELb1EPKiPiPKlPlN2at6native12_GLOBAL__N_18offset_tEEE10hipError_tPvRmT1_PNSt15iterator_traitsIS12_E10value_typeET2_T3_PNS13_IS18_E10value_typeET4_jRbjT5_S1E_jjP12ihipStream_tbEUljE_ZNSN_ISO_Lb1ESQ_SR_ST_SU_SY_EESZ_S10_S11_S12_S16_S17_S18_S1B_S1C_jS1D_jS1E_S1E_jjS1G_bEUljE0_EEESZ_S10_S11_S18_S1C_S1E_T6_T7_T9_mT8_S1G_bDpT10_ENKUlT_T0_E_clISt17integral_constantIbLb0EES1T_IbLb1EEEEDaS1P_S1Q_EUlS1P_E_NS1_11comp_targetILNS1_3genE0ELNS1_11target_archE4294967295ELNS1_3gpuE0ELNS1_3repE0EEENS1_30default_config_static_selectorELNS0_4arch9wavefront6targetE1EEEvS12_
	.p2align	8
	.type	_ZN7rocprim17ROCPRIM_400000_NS6detail17trampoline_kernelINS0_13select_configILj256ELj13ELNS0_17block_load_methodE3ELS4_3ELS4_3ELNS0_20block_scan_algorithmE0ELj4294967295EEENS1_25partition_config_selectorILNS1_17partition_subalgoE4EjNS0_10empty_typeEbEEZZNS1_14partition_implILS8_4ELb0ES6_15HIP_vector_typeIjLj2EENS0_17counting_iteratorIjlEEPS9_SG_NS0_5tupleIJPjSI_NS0_16reverse_iteratorISI_EEEEENSH_IJSG_SG_SG_EEES9_SI_JZNS1_25segmented_radix_sort_implINS0_14default_configELb1EPKiPiPKlPlN2at6native12_GLOBAL__N_18offset_tEEE10hipError_tPvRmT1_PNSt15iterator_traitsIS12_E10value_typeET2_T3_PNS13_IS18_E10value_typeET4_jRbjT5_S1E_jjP12ihipStream_tbEUljE_ZNSN_ISO_Lb1ESQ_SR_ST_SU_SY_EESZ_S10_S11_S12_S16_S17_S18_S1B_S1C_jS1D_jS1E_S1E_jjS1G_bEUljE0_EEESZ_S10_S11_S18_S1C_S1E_T6_T7_T9_mT8_S1G_bDpT10_ENKUlT_T0_E_clISt17integral_constantIbLb0EES1T_IbLb1EEEEDaS1P_S1Q_EUlS1P_E_NS1_11comp_targetILNS1_3genE0ELNS1_11target_archE4294967295ELNS1_3gpuE0ELNS1_3repE0EEENS1_30default_config_static_selectorELNS0_4arch9wavefront6targetE1EEEvS12_,@function
_ZN7rocprim17ROCPRIM_400000_NS6detail17trampoline_kernelINS0_13select_configILj256ELj13ELNS0_17block_load_methodE3ELS4_3ELS4_3ELNS0_20block_scan_algorithmE0ELj4294967295EEENS1_25partition_config_selectorILNS1_17partition_subalgoE4EjNS0_10empty_typeEbEEZZNS1_14partition_implILS8_4ELb0ES6_15HIP_vector_typeIjLj2EENS0_17counting_iteratorIjlEEPS9_SG_NS0_5tupleIJPjSI_NS0_16reverse_iteratorISI_EEEEENSH_IJSG_SG_SG_EEES9_SI_JZNS1_25segmented_radix_sort_implINS0_14default_configELb1EPKiPiPKlPlN2at6native12_GLOBAL__N_18offset_tEEE10hipError_tPvRmT1_PNSt15iterator_traitsIS12_E10value_typeET2_T3_PNS13_IS18_E10value_typeET4_jRbjT5_S1E_jjP12ihipStream_tbEUljE_ZNSN_ISO_Lb1ESQ_SR_ST_SU_SY_EESZ_S10_S11_S12_S16_S17_S18_S1B_S1C_jS1D_jS1E_S1E_jjS1G_bEUljE0_EEESZ_S10_S11_S18_S1C_S1E_T6_T7_T9_mT8_S1G_bDpT10_ENKUlT_T0_E_clISt17integral_constantIbLb0EES1T_IbLb1EEEEDaS1P_S1Q_EUlS1P_E_NS1_11comp_targetILNS1_3genE0ELNS1_11target_archE4294967295ELNS1_3gpuE0ELNS1_3repE0EEENS1_30default_config_static_selectorELNS0_4arch9wavefront6targetE1EEEvS12_: ; @_ZN7rocprim17ROCPRIM_400000_NS6detail17trampoline_kernelINS0_13select_configILj256ELj13ELNS0_17block_load_methodE3ELS4_3ELS4_3ELNS0_20block_scan_algorithmE0ELj4294967295EEENS1_25partition_config_selectorILNS1_17partition_subalgoE4EjNS0_10empty_typeEbEEZZNS1_14partition_implILS8_4ELb0ES6_15HIP_vector_typeIjLj2EENS0_17counting_iteratorIjlEEPS9_SG_NS0_5tupleIJPjSI_NS0_16reverse_iteratorISI_EEEEENSH_IJSG_SG_SG_EEES9_SI_JZNS1_25segmented_radix_sort_implINS0_14default_configELb1EPKiPiPKlPlN2at6native12_GLOBAL__N_18offset_tEEE10hipError_tPvRmT1_PNSt15iterator_traitsIS12_E10value_typeET2_T3_PNS13_IS18_E10value_typeET4_jRbjT5_S1E_jjP12ihipStream_tbEUljE_ZNSN_ISO_Lb1ESQ_SR_ST_SU_SY_EESZ_S10_S11_S12_S16_S17_S18_S1B_S1C_jS1D_jS1E_S1E_jjS1G_bEUljE0_EEESZ_S10_S11_S18_S1C_S1E_T6_T7_T9_mT8_S1G_bDpT10_ENKUlT_T0_E_clISt17integral_constantIbLb0EES1T_IbLb1EEEEDaS1P_S1Q_EUlS1P_E_NS1_11comp_targetILNS1_3genE0ELNS1_11target_archE4294967295ELNS1_3gpuE0ELNS1_3repE0EEENS1_30default_config_static_selectorELNS0_4arch9wavefront6targetE1EEEvS12_
; %bb.0:
	.section	.rodata,"a",@progbits
	.p2align	6, 0x0
	.amdhsa_kernel _ZN7rocprim17ROCPRIM_400000_NS6detail17trampoline_kernelINS0_13select_configILj256ELj13ELNS0_17block_load_methodE3ELS4_3ELS4_3ELNS0_20block_scan_algorithmE0ELj4294967295EEENS1_25partition_config_selectorILNS1_17partition_subalgoE4EjNS0_10empty_typeEbEEZZNS1_14partition_implILS8_4ELb0ES6_15HIP_vector_typeIjLj2EENS0_17counting_iteratorIjlEEPS9_SG_NS0_5tupleIJPjSI_NS0_16reverse_iteratorISI_EEEEENSH_IJSG_SG_SG_EEES9_SI_JZNS1_25segmented_radix_sort_implINS0_14default_configELb1EPKiPiPKlPlN2at6native12_GLOBAL__N_18offset_tEEE10hipError_tPvRmT1_PNSt15iterator_traitsIS12_E10value_typeET2_T3_PNS13_IS18_E10value_typeET4_jRbjT5_S1E_jjP12ihipStream_tbEUljE_ZNSN_ISO_Lb1ESQ_SR_ST_SU_SY_EESZ_S10_S11_S12_S16_S17_S18_S1B_S1C_jS1D_jS1E_S1E_jjS1G_bEUljE0_EEESZ_S10_S11_S18_S1C_S1E_T6_T7_T9_mT8_S1G_bDpT10_ENKUlT_T0_E_clISt17integral_constantIbLb0EES1T_IbLb1EEEEDaS1P_S1Q_EUlS1P_E_NS1_11comp_targetILNS1_3genE0ELNS1_11target_archE4294967295ELNS1_3gpuE0ELNS1_3repE0EEENS1_30default_config_static_selectorELNS0_4arch9wavefront6targetE1EEEvS12_
		.amdhsa_group_segment_fixed_size 0
		.amdhsa_private_segment_fixed_size 0
		.amdhsa_kernarg_size 184
		.amdhsa_user_sgpr_count 6
		.amdhsa_user_sgpr_private_segment_buffer 1
		.amdhsa_user_sgpr_dispatch_ptr 0
		.amdhsa_user_sgpr_queue_ptr 0
		.amdhsa_user_sgpr_kernarg_segment_ptr 1
		.amdhsa_user_sgpr_dispatch_id 0
		.amdhsa_user_sgpr_flat_scratch_init 0
		.amdhsa_user_sgpr_kernarg_preload_length 0
		.amdhsa_user_sgpr_kernarg_preload_offset 0
		.amdhsa_user_sgpr_private_segment_size 0
		.amdhsa_uses_dynamic_stack 0
		.amdhsa_system_sgpr_private_segment_wavefront_offset 0
		.amdhsa_system_sgpr_workgroup_id_x 1
		.amdhsa_system_sgpr_workgroup_id_y 0
		.amdhsa_system_sgpr_workgroup_id_z 0
		.amdhsa_system_sgpr_workgroup_info 0
		.amdhsa_system_vgpr_workitem_id 0
		.amdhsa_next_free_vgpr 1
		.amdhsa_next_free_sgpr 0
		.amdhsa_accum_offset 4
		.amdhsa_reserve_vcc 0
		.amdhsa_reserve_flat_scratch 0
		.amdhsa_float_round_mode_32 0
		.amdhsa_float_round_mode_16_64 0
		.amdhsa_float_denorm_mode_32 3
		.amdhsa_float_denorm_mode_16_64 3
		.amdhsa_dx10_clamp 1
		.amdhsa_ieee_mode 1
		.amdhsa_fp16_overflow 0
		.amdhsa_tg_split 0
		.amdhsa_exception_fp_ieee_invalid_op 0
		.amdhsa_exception_fp_denorm_src 0
		.amdhsa_exception_fp_ieee_div_zero 0
		.amdhsa_exception_fp_ieee_overflow 0
		.amdhsa_exception_fp_ieee_underflow 0
		.amdhsa_exception_fp_ieee_inexact 0
		.amdhsa_exception_int_div_zero 0
	.end_amdhsa_kernel
	.section	.text._ZN7rocprim17ROCPRIM_400000_NS6detail17trampoline_kernelINS0_13select_configILj256ELj13ELNS0_17block_load_methodE3ELS4_3ELS4_3ELNS0_20block_scan_algorithmE0ELj4294967295EEENS1_25partition_config_selectorILNS1_17partition_subalgoE4EjNS0_10empty_typeEbEEZZNS1_14partition_implILS8_4ELb0ES6_15HIP_vector_typeIjLj2EENS0_17counting_iteratorIjlEEPS9_SG_NS0_5tupleIJPjSI_NS0_16reverse_iteratorISI_EEEEENSH_IJSG_SG_SG_EEES9_SI_JZNS1_25segmented_radix_sort_implINS0_14default_configELb1EPKiPiPKlPlN2at6native12_GLOBAL__N_18offset_tEEE10hipError_tPvRmT1_PNSt15iterator_traitsIS12_E10value_typeET2_T3_PNS13_IS18_E10value_typeET4_jRbjT5_S1E_jjP12ihipStream_tbEUljE_ZNSN_ISO_Lb1ESQ_SR_ST_SU_SY_EESZ_S10_S11_S12_S16_S17_S18_S1B_S1C_jS1D_jS1E_S1E_jjS1G_bEUljE0_EEESZ_S10_S11_S18_S1C_S1E_T6_T7_T9_mT8_S1G_bDpT10_ENKUlT_T0_E_clISt17integral_constantIbLb0EES1T_IbLb1EEEEDaS1P_S1Q_EUlS1P_E_NS1_11comp_targetILNS1_3genE0ELNS1_11target_archE4294967295ELNS1_3gpuE0ELNS1_3repE0EEENS1_30default_config_static_selectorELNS0_4arch9wavefront6targetE1EEEvS12_,"axG",@progbits,_ZN7rocprim17ROCPRIM_400000_NS6detail17trampoline_kernelINS0_13select_configILj256ELj13ELNS0_17block_load_methodE3ELS4_3ELS4_3ELNS0_20block_scan_algorithmE0ELj4294967295EEENS1_25partition_config_selectorILNS1_17partition_subalgoE4EjNS0_10empty_typeEbEEZZNS1_14partition_implILS8_4ELb0ES6_15HIP_vector_typeIjLj2EENS0_17counting_iteratorIjlEEPS9_SG_NS0_5tupleIJPjSI_NS0_16reverse_iteratorISI_EEEEENSH_IJSG_SG_SG_EEES9_SI_JZNS1_25segmented_radix_sort_implINS0_14default_configELb1EPKiPiPKlPlN2at6native12_GLOBAL__N_18offset_tEEE10hipError_tPvRmT1_PNSt15iterator_traitsIS12_E10value_typeET2_T3_PNS13_IS18_E10value_typeET4_jRbjT5_S1E_jjP12ihipStream_tbEUljE_ZNSN_ISO_Lb1ESQ_SR_ST_SU_SY_EESZ_S10_S11_S12_S16_S17_S18_S1B_S1C_jS1D_jS1E_S1E_jjS1G_bEUljE0_EEESZ_S10_S11_S18_S1C_S1E_T6_T7_T9_mT8_S1G_bDpT10_ENKUlT_T0_E_clISt17integral_constantIbLb0EES1T_IbLb1EEEEDaS1P_S1Q_EUlS1P_E_NS1_11comp_targetILNS1_3genE0ELNS1_11target_archE4294967295ELNS1_3gpuE0ELNS1_3repE0EEENS1_30default_config_static_selectorELNS0_4arch9wavefront6targetE1EEEvS12_,comdat
.Lfunc_end457:
	.size	_ZN7rocprim17ROCPRIM_400000_NS6detail17trampoline_kernelINS0_13select_configILj256ELj13ELNS0_17block_load_methodE3ELS4_3ELS4_3ELNS0_20block_scan_algorithmE0ELj4294967295EEENS1_25partition_config_selectorILNS1_17partition_subalgoE4EjNS0_10empty_typeEbEEZZNS1_14partition_implILS8_4ELb0ES6_15HIP_vector_typeIjLj2EENS0_17counting_iteratorIjlEEPS9_SG_NS0_5tupleIJPjSI_NS0_16reverse_iteratorISI_EEEEENSH_IJSG_SG_SG_EEES9_SI_JZNS1_25segmented_radix_sort_implINS0_14default_configELb1EPKiPiPKlPlN2at6native12_GLOBAL__N_18offset_tEEE10hipError_tPvRmT1_PNSt15iterator_traitsIS12_E10value_typeET2_T3_PNS13_IS18_E10value_typeET4_jRbjT5_S1E_jjP12ihipStream_tbEUljE_ZNSN_ISO_Lb1ESQ_SR_ST_SU_SY_EESZ_S10_S11_S12_S16_S17_S18_S1B_S1C_jS1D_jS1E_S1E_jjS1G_bEUljE0_EEESZ_S10_S11_S18_S1C_S1E_T6_T7_T9_mT8_S1G_bDpT10_ENKUlT_T0_E_clISt17integral_constantIbLb0EES1T_IbLb1EEEEDaS1P_S1Q_EUlS1P_E_NS1_11comp_targetILNS1_3genE0ELNS1_11target_archE4294967295ELNS1_3gpuE0ELNS1_3repE0EEENS1_30default_config_static_selectorELNS0_4arch9wavefront6targetE1EEEvS12_, .Lfunc_end457-_ZN7rocprim17ROCPRIM_400000_NS6detail17trampoline_kernelINS0_13select_configILj256ELj13ELNS0_17block_load_methodE3ELS4_3ELS4_3ELNS0_20block_scan_algorithmE0ELj4294967295EEENS1_25partition_config_selectorILNS1_17partition_subalgoE4EjNS0_10empty_typeEbEEZZNS1_14partition_implILS8_4ELb0ES6_15HIP_vector_typeIjLj2EENS0_17counting_iteratorIjlEEPS9_SG_NS0_5tupleIJPjSI_NS0_16reverse_iteratorISI_EEEEENSH_IJSG_SG_SG_EEES9_SI_JZNS1_25segmented_radix_sort_implINS0_14default_configELb1EPKiPiPKlPlN2at6native12_GLOBAL__N_18offset_tEEE10hipError_tPvRmT1_PNSt15iterator_traitsIS12_E10value_typeET2_T3_PNS13_IS18_E10value_typeET4_jRbjT5_S1E_jjP12ihipStream_tbEUljE_ZNSN_ISO_Lb1ESQ_SR_ST_SU_SY_EESZ_S10_S11_S12_S16_S17_S18_S1B_S1C_jS1D_jS1E_S1E_jjS1G_bEUljE0_EEESZ_S10_S11_S18_S1C_S1E_T6_T7_T9_mT8_S1G_bDpT10_ENKUlT_T0_E_clISt17integral_constantIbLb0EES1T_IbLb1EEEEDaS1P_S1Q_EUlS1P_E_NS1_11comp_targetILNS1_3genE0ELNS1_11target_archE4294967295ELNS1_3gpuE0ELNS1_3repE0EEENS1_30default_config_static_selectorELNS0_4arch9wavefront6targetE1EEEvS12_
                                        ; -- End function
	.section	.AMDGPU.csdata,"",@progbits
; Kernel info:
; codeLenInByte = 0
; NumSgprs: 4
; NumVgprs: 0
; NumAgprs: 0
; TotalNumVgprs: 0
; ScratchSize: 0
; MemoryBound: 0
; FloatMode: 240
; IeeeMode: 1
; LDSByteSize: 0 bytes/workgroup (compile time only)
; SGPRBlocks: 0
; VGPRBlocks: 0
; NumSGPRsForWavesPerEU: 4
; NumVGPRsForWavesPerEU: 1
; AccumOffset: 4
; Occupancy: 8
; WaveLimiterHint : 0
; COMPUTE_PGM_RSRC2:SCRATCH_EN: 0
; COMPUTE_PGM_RSRC2:USER_SGPR: 6
; COMPUTE_PGM_RSRC2:TRAP_HANDLER: 0
; COMPUTE_PGM_RSRC2:TGID_X_EN: 1
; COMPUTE_PGM_RSRC2:TGID_Y_EN: 0
; COMPUTE_PGM_RSRC2:TGID_Z_EN: 0
; COMPUTE_PGM_RSRC2:TIDIG_COMP_CNT: 0
; COMPUTE_PGM_RSRC3_GFX90A:ACCUM_OFFSET: 0
; COMPUTE_PGM_RSRC3_GFX90A:TG_SPLIT: 0
	.section	.text._ZN7rocprim17ROCPRIM_400000_NS6detail17trampoline_kernelINS0_13select_configILj256ELj13ELNS0_17block_load_methodE3ELS4_3ELS4_3ELNS0_20block_scan_algorithmE0ELj4294967295EEENS1_25partition_config_selectorILNS1_17partition_subalgoE4EjNS0_10empty_typeEbEEZZNS1_14partition_implILS8_4ELb0ES6_15HIP_vector_typeIjLj2EENS0_17counting_iteratorIjlEEPS9_SG_NS0_5tupleIJPjSI_NS0_16reverse_iteratorISI_EEEEENSH_IJSG_SG_SG_EEES9_SI_JZNS1_25segmented_radix_sort_implINS0_14default_configELb1EPKiPiPKlPlN2at6native12_GLOBAL__N_18offset_tEEE10hipError_tPvRmT1_PNSt15iterator_traitsIS12_E10value_typeET2_T3_PNS13_IS18_E10value_typeET4_jRbjT5_S1E_jjP12ihipStream_tbEUljE_ZNSN_ISO_Lb1ESQ_SR_ST_SU_SY_EESZ_S10_S11_S12_S16_S17_S18_S1B_S1C_jS1D_jS1E_S1E_jjS1G_bEUljE0_EEESZ_S10_S11_S18_S1C_S1E_T6_T7_T9_mT8_S1G_bDpT10_ENKUlT_T0_E_clISt17integral_constantIbLb0EES1T_IbLb1EEEEDaS1P_S1Q_EUlS1P_E_NS1_11comp_targetILNS1_3genE5ELNS1_11target_archE942ELNS1_3gpuE9ELNS1_3repE0EEENS1_30default_config_static_selectorELNS0_4arch9wavefront6targetE1EEEvS12_,"axG",@progbits,_ZN7rocprim17ROCPRIM_400000_NS6detail17trampoline_kernelINS0_13select_configILj256ELj13ELNS0_17block_load_methodE3ELS4_3ELS4_3ELNS0_20block_scan_algorithmE0ELj4294967295EEENS1_25partition_config_selectorILNS1_17partition_subalgoE4EjNS0_10empty_typeEbEEZZNS1_14partition_implILS8_4ELb0ES6_15HIP_vector_typeIjLj2EENS0_17counting_iteratorIjlEEPS9_SG_NS0_5tupleIJPjSI_NS0_16reverse_iteratorISI_EEEEENSH_IJSG_SG_SG_EEES9_SI_JZNS1_25segmented_radix_sort_implINS0_14default_configELb1EPKiPiPKlPlN2at6native12_GLOBAL__N_18offset_tEEE10hipError_tPvRmT1_PNSt15iterator_traitsIS12_E10value_typeET2_T3_PNS13_IS18_E10value_typeET4_jRbjT5_S1E_jjP12ihipStream_tbEUljE_ZNSN_ISO_Lb1ESQ_SR_ST_SU_SY_EESZ_S10_S11_S12_S16_S17_S18_S1B_S1C_jS1D_jS1E_S1E_jjS1G_bEUljE0_EEESZ_S10_S11_S18_S1C_S1E_T6_T7_T9_mT8_S1G_bDpT10_ENKUlT_T0_E_clISt17integral_constantIbLb0EES1T_IbLb1EEEEDaS1P_S1Q_EUlS1P_E_NS1_11comp_targetILNS1_3genE5ELNS1_11target_archE942ELNS1_3gpuE9ELNS1_3repE0EEENS1_30default_config_static_selectorELNS0_4arch9wavefront6targetE1EEEvS12_,comdat
	.globl	_ZN7rocprim17ROCPRIM_400000_NS6detail17trampoline_kernelINS0_13select_configILj256ELj13ELNS0_17block_load_methodE3ELS4_3ELS4_3ELNS0_20block_scan_algorithmE0ELj4294967295EEENS1_25partition_config_selectorILNS1_17partition_subalgoE4EjNS0_10empty_typeEbEEZZNS1_14partition_implILS8_4ELb0ES6_15HIP_vector_typeIjLj2EENS0_17counting_iteratorIjlEEPS9_SG_NS0_5tupleIJPjSI_NS0_16reverse_iteratorISI_EEEEENSH_IJSG_SG_SG_EEES9_SI_JZNS1_25segmented_radix_sort_implINS0_14default_configELb1EPKiPiPKlPlN2at6native12_GLOBAL__N_18offset_tEEE10hipError_tPvRmT1_PNSt15iterator_traitsIS12_E10value_typeET2_T3_PNS13_IS18_E10value_typeET4_jRbjT5_S1E_jjP12ihipStream_tbEUljE_ZNSN_ISO_Lb1ESQ_SR_ST_SU_SY_EESZ_S10_S11_S12_S16_S17_S18_S1B_S1C_jS1D_jS1E_S1E_jjS1G_bEUljE0_EEESZ_S10_S11_S18_S1C_S1E_T6_T7_T9_mT8_S1G_bDpT10_ENKUlT_T0_E_clISt17integral_constantIbLb0EES1T_IbLb1EEEEDaS1P_S1Q_EUlS1P_E_NS1_11comp_targetILNS1_3genE5ELNS1_11target_archE942ELNS1_3gpuE9ELNS1_3repE0EEENS1_30default_config_static_selectorELNS0_4arch9wavefront6targetE1EEEvS12_ ; -- Begin function _ZN7rocprim17ROCPRIM_400000_NS6detail17trampoline_kernelINS0_13select_configILj256ELj13ELNS0_17block_load_methodE3ELS4_3ELS4_3ELNS0_20block_scan_algorithmE0ELj4294967295EEENS1_25partition_config_selectorILNS1_17partition_subalgoE4EjNS0_10empty_typeEbEEZZNS1_14partition_implILS8_4ELb0ES6_15HIP_vector_typeIjLj2EENS0_17counting_iteratorIjlEEPS9_SG_NS0_5tupleIJPjSI_NS0_16reverse_iteratorISI_EEEEENSH_IJSG_SG_SG_EEES9_SI_JZNS1_25segmented_radix_sort_implINS0_14default_configELb1EPKiPiPKlPlN2at6native12_GLOBAL__N_18offset_tEEE10hipError_tPvRmT1_PNSt15iterator_traitsIS12_E10value_typeET2_T3_PNS13_IS18_E10value_typeET4_jRbjT5_S1E_jjP12ihipStream_tbEUljE_ZNSN_ISO_Lb1ESQ_SR_ST_SU_SY_EESZ_S10_S11_S12_S16_S17_S18_S1B_S1C_jS1D_jS1E_S1E_jjS1G_bEUljE0_EEESZ_S10_S11_S18_S1C_S1E_T6_T7_T9_mT8_S1G_bDpT10_ENKUlT_T0_E_clISt17integral_constantIbLb0EES1T_IbLb1EEEEDaS1P_S1Q_EUlS1P_E_NS1_11comp_targetILNS1_3genE5ELNS1_11target_archE942ELNS1_3gpuE9ELNS1_3repE0EEENS1_30default_config_static_selectorELNS0_4arch9wavefront6targetE1EEEvS12_
	.p2align	8
	.type	_ZN7rocprim17ROCPRIM_400000_NS6detail17trampoline_kernelINS0_13select_configILj256ELj13ELNS0_17block_load_methodE3ELS4_3ELS4_3ELNS0_20block_scan_algorithmE0ELj4294967295EEENS1_25partition_config_selectorILNS1_17partition_subalgoE4EjNS0_10empty_typeEbEEZZNS1_14partition_implILS8_4ELb0ES6_15HIP_vector_typeIjLj2EENS0_17counting_iteratorIjlEEPS9_SG_NS0_5tupleIJPjSI_NS0_16reverse_iteratorISI_EEEEENSH_IJSG_SG_SG_EEES9_SI_JZNS1_25segmented_radix_sort_implINS0_14default_configELb1EPKiPiPKlPlN2at6native12_GLOBAL__N_18offset_tEEE10hipError_tPvRmT1_PNSt15iterator_traitsIS12_E10value_typeET2_T3_PNS13_IS18_E10value_typeET4_jRbjT5_S1E_jjP12ihipStream_tbEUljE_ZNSN_ISO_Lb1ESQ_SR_ST_SU_SY_EESZ_S10_S11_S12_S16_S17_S18_S1B_S1C_jS1D_jS1E_S1E_jjS1G_bEUljE0_EEESZ_S10_S11_S18_S1C_S1E_T6_T7_T9_mT8_S1G_bDpT10_ENKUlT_T0_E_clISt17integral_constantIbLb0EES1T_IbLb1EEEEDaS1P_S1Q_EUlS1P_E_NS1_11comp_targetILNS1_3genE5ELNS1_11target_archE942ELNS1_3gpuE9ELNS1_3repE0EEENS1_30default_config_static_selectorELNS0_4arch9wavefront6targetE1EEEvS12_,@function
_ZN7rocprim17ROCPRIM_400000_NS6detail17trampoline_kernelINS0_13select_configILj256ELj13ELNS0_17block_load_methodE3ELS4_3ELS4_3ELNS0_20block_scan_algorithmE0ELj4294967295EEENS1_25partition_config_selectorILNS1_17partition_subalgoE4EjNS0_10empty_typeEbEEZZNS1_14partition_implILS8_4ELb0ES6_15HIP_vector_typeIjLj2EENS0_17counting_iteratorIjlEEPS9_SG_NS0_5tupleIJPjSI_NS0_16reverse_iteratorISI_EEEEENSH_IJSG_SG_SG_EEES9_SI_JZNS1_25segmented_radix_sort_implINS0_14default_configELb1EPKiPiPKlPlN2at6native12_GLOBAL__N_18offset_tEEE10hipError_tPvRmT1_PNSt15iterator_traitsIS12_E10value_typeET2_T3_PNS13_IS18_E10value_typeET4_jRbjT5_S1E_jjP12ihipStream_tbEUljE_ZNSN_ISO_Lb1ESQ_SR_ST_SU_SY_EESZ_S10_S11_S12_S16_S17_S18_S1B_S1C_jS1D_jS1E_S1E_jjS1G_bEUljE0_EEESZ_S10_S11_S18_S1C_S1E_T6_T7_T9_mT8_S1G_bDpT10_ENKUlT_T0_E_clISt17integral_constantIbLb0EES1T_IbLb1EEEEDaS1P_S1Q_EUlS1P_E_NS1_11comp_targetILNS1_3genE5ELNS1_11target_archE942ELNS1_3gpuE9ELNS1_3repE0EEENS1_30default_config_static_selectorELNS0_4arch9wavefront6targetE1EEEvS12_: ; @_ZN7rocprim17ROCPRIM_400000_NS6detail17trampoline_kernelINS0_13select_configILj256ELj13ELNS0_17block_load_methodE3ELS4_3ELS4_3ELNS0_20block_scan_algorithmE0ELj4294967295EEENS1_25partition_config_selectorILNS1_17partition_subalgoE4EjNS0_10empty_typeEbEEZZNS1_14partition_implILS8_4ELb0ES6_15HIP_vector_typeIjLj2EENS0_17counting_iteratorIjlEEPS9_SG_NS0_5tupleIJPjSI_NS0_16reverse_iteratorISI_EEEEENSH_IJSG_SG_SG_EEES9_SI_JZNS1_25segmented_radix_sort_implINS0_14default_configELb1EPKiPiPKlPlN2at6native12_GLOBAL__N_18offset_tEEE10hipError_tPvRmT1_PNSt15iterator_traitsIS12_E10value_typeET2_T3_PNS13_IS18_E10value_typeET4_jRbjT5_S1E_jjP12ihipStream_tbEUljE_ZNSN_ISO_Lb1ESQ_SR_ST_SU_SY_EESZ_S10_S11_S12_S16_S17_S18_S1B_S1C_jS1D_jS1E_S1E_jjS1G_bEUljE0_EEESZ_S10_S11_S18_S1C_S1E_T6_T7_T9_mT8_S1G_bDpT10_ENKUlT_T0_E_clISt17integral_constantIbLb0EES1T_IbLb1EEEEDaS1P_S1Q_EUlS1P_E_NS1_11comp_targetILNS1_3genE5ELNS1_11target_archE942ELNS1_3gpuE9ELNS1_3repE0EEENS1_30default_config_static_selectorELNS0_4arch9wavefront6targetE1EEEvS12_
; %bb.0:
	.section	.rodata,"a",@progbits
	.p2align	6, 0x0
	.amdhsa_kernel _ZN7rocprim17ROCPRIM_400000_NS6detail17trampoline_kernelINS0_13select_configILj256ELj13ELNS0_17block_load_methodE3ELS4_3ELS4_3ELNS0_20block_scan_algorithmE0ELj4294967295EEENS1_25partition_config_selectorILNS1_17partition_subalgoE4EjNS0_10empty_typeEbEEZZNS1_14partition_implILS8_4ELb0ES6_15HIP_vector_typeIjLj2EENS0_17counting_iteratorIjlEEPS9_SG_NS0_5tupleIJPjSI_NS0_16reverse_iteratorISI_EEEEENSH_IJSG_SG_SG_EEES9_SI_JZNS1_25segmented_radix_sort_implINS0_14default_configELb1EPKiPiPKlPlN2at6native12_GLOBAL__N_18offset_tEEE10hipError_tPvRmT1_PNSt15iterator_traitsIS12_E10value_typeET2_T3_PNS13_IS18_E10value_typeET4_jRbjT5_S1E_jjP12ihipStream_tbEUljE_ZNSN_ISO_Lb1ESQ_SR_ST_SU_SY_EESZ_S10_S11_S12_S16_S17_S18_S1B_S1C_jS1D_jS1E_S1E_jjS1G_bEUljE0_EEESZ_S10_S11_S18_S1C_S1E_T6_T7_T9_mT8_S1G_bDpT10_ENKUlT_T0_E_clISt17integral_constantIbLb0EES1T_IbLb1EEEEDaS1P_S1Q_EUlS1P_E_NS1_11comp_targetILNS1_3genE5ELNS1_11target_archE942ELNS1_3gpuE9ELNS1_3repE0EEENS1_30default_config_static_selectorELNS0_4arch9wavefront6targetE1EEEvS12_
		.amdhsa_group_segment_fixed_size 0
		.amdhsa_private_segment_fixed_size 0
		.amdhsa_kernarg_size 184
		.amdhsa_user_sgpr_count 6
		.amdhsa_user_sgpr_private_segment_buffer 1
		.amdhsa_user_sgpr_dispatch_ptr 0
		.amdhsa_user_sgpr_queue_ptr 0
		.amdhsa_user_sgpr_kernarg_segment_ptr 1
		.amdhsa_user_sgpr_dispatch_id 0
		.amdhsa_user_sgpr_flat_scratch_init 0
		.amdhsa_user_sgpr_kernarg_preload_length 0
		.amdhsa_user_sgpr_kernarg_preload_offset 0
		.amdhsa_user_sgpr_private_segment_size 0
		.amdhsa_uses_dynamic_stack 0
		.amdhsa_system_sgpr_private_segment_wavefront_offset 0
		.amdhsa_system_sgpr_workgroup_id_x 1
		.amdhsa_system_sgpr_workgroup_id_y 0
		.amdhsa_system_sgpr_workgroup_id_z 0
		.amdhsa_system_sgpr_workgroup_info 0
		.amdhsa_system_vgpr_workitem_id 0
		.amdhsa_next_free_vgpr 1
		.amdhsa_next_free_sgpr 0
		.amdhsa_accum_offset 4
		.amdhsa_reserve_vcc 0
		.amdhsa_reserve_flat_scratch 0
		.amdhsa_float_round_mode_32 0
		.amdhsa_float_round_mode_16_64 0
		.amdhsa_float_denorm_mode_32 3
		.amdhsa_float_denorm_mode_16_64 3
		.amdhsa_dx10_clamp 1
		.amdhsa_ieee_mode 1
		.amdhsa_fp16_overflow 0
		.amdhsa_tg_split 0
		.amdhsa_exception_fp_ieee_invalid_op 0
		.amdhsa_exception_fp_denorm_src 0
		.amdhsa_exception_fp_ieee_div_zero 0
		.amdhsa_exception_fp_ieee_overflow 0
		.amdhsa_exception_fp_ieee_underflow 0
		.amdhsa_exception_fp_ieee_inexact 0
		.amdhsa_exception_int_div_zero 0
	.end_amdhsa_kernel
	.section	.text._ZN7rocprim17ROCPRIM_400000_NS6detail17trampoline_kernelINS0_13select_configILj256ELj13ELNS0_17block_load_methodE3ELS4_3ELS4_3ELNS0_20block_scan_algorithmE0ELj4294967295EEENS1_25partition_config_selectorILNS1_17partition_subalgoE4EjNS0_10empty_typeEbEEZZNS1_14partition_implILS8_4ELb0ES6_15HIP_vector_typeIjLj2EENS0_17counting_iteratorIjlEEPS9_SG_NS0_5tupleIJPjSI_NS0_16reverse_iteratorISI_EEEEENSH_IJSG_SG_SG_EEES9_SI_JZNS1_25segmented_radix_sort_implINS0_14default_configELb1EPKiPiPKlPlN2at6native12_GLOBAL__N_18offset_tEEE10hipError_tPvRmT1_PNSt15iterator_traitsIS12_E10value_typeET2_T3_PNS13_IS18_E10value_typeET4_jRbjT5_S1E_jjP12ihipStream_tbEUljE_ZNSN_ISO_Lb1ESQ_SR_ST_SU_SY_EESZ_S10_S11_S12_S16_S17_S18_S1B_S1C_jS1D_jS1E_S1E_jjS1G_bEUljE0_EEESZ_S10_S11_S18_S1C_S1E_T6_T7_T9_mT8_S1G_bDpT10_ENKUlT_T0_E_clISt17integral_constantIbLb0EES1T_IbLb1EEEEDaS1P_S1Q_EUlS1P_E_NS1_11comp_targetILNS1_3genE5ELNS1_11target_archE942ELNS1_3gpuE9ELNS1_3repE0EEENS1_30default_config_static_selectorELNS0_4arch9wavefront6targetE1EEEvS12_,"axG",@progbits,_ZN7rocprim17ROCPRIM_400000_NS6detail17trampoline_kernelINS0_13select_configILj256ELj13ELNS0_17block_load_methodE3ELS4_3ELS4_3ELNS0_20block_scan_algorithmE0ELj4294967295EEENS1_25partition_config_selectorILNS1_17partition_subalgoE4EjNS0_10empty_typeEbEEZZNS1_14partition_implILS8_4ELb0ES6_15HIP_vector_typeIjLj2EENS0_17counting_iteratorIjlEEPS9_SG_NS0_5tupleIJPjSI_NS0_16reverse_iteratorISI_EEEEENSH_IJSG_SG_SG_EEES9_SI_JZNS1_25segmented_radix_sort_implINS0_14default_configELb1EPKiPiPKlPlN2at6native12_GLOBAL__N_18offset_tEEE10hipError_tPvRmT1_PNSt15iterator_traitsIS12_E10value_typeET2_T3_PNS13_IS18_E10value_typeET4_jRbjT5_S1E_jjP12ihipStream_tbEUljE_ZNSN_ISO_Lb1ESQ_SR_ST_SU_SY_EESZ_S10_S11_S12_S16_S17_S18_S1B_S1C_jS1D_jS1E_S1E_jjS1G_bEUljE0_EEESZ_S10_S11_S18_S1C_S1E_T6_T7_T9_mT8_S1G_bDpT10_ENKUlT_T0_E_clISt17integral_constantIbLb0EES1T_IbLb1EEEEDaS1P_S1Q_EUlS1P_E_NS1_11comp_targetILNS1_3genE5ELNS1_11target_archE942ELNS1_3gpuE9ELNS1_3repE0EEENS1_30default_config_static_selectorELNS0_4arch9wavefront6targetE1EEEvS12_,comdat
.Lfunc_end458:
	.size	_ZN7rocprim17ROCPRIM_400000_NS6detail17trampoline_kernelINS0_13select_configILj256ELj13ELNS0_17block_load_methodE3ELS4_3ELS4_3ELNS0_20block_scan_algorithmE0ELj4294967295EEENS1_25partition_config_selectorILNS1_17partition_subalgoE4EjNS0_10empty_typeEbEEZZNS1_14partition_implILS8_4ELb0ES6_15HIP_vector_typeIjLj2EENS0_17counting_iteratorIjlEEPS9_SG_NS0_5tupleIJPjSI_NS0_16reverse_iteratorISI_EEEEENSH_IJSG_SG_SG_EEES9_SI_JZNS1_25segmented_radix_sort_implINS0_14default_configELb1EPKiPiPKlPlN2at6native12_GLOBAL__N_18offset_tEEE10hipError_tPvRmT1_PNSt15iterator_traitsIS12_E10value_typeET2_T3_PNS13_IS18_E10value_typeET4_jRbjT5_S1E_jjP12ihipStream_tbEUljE_ZNSN_ISO_Lb1ESQ_SR_ST_SU_SY_EESZ_S10_S11_S12_S16_S17_S18_S1B_S1C_jS1D_jS1E_S1E_jjS1G_bEUljE0_EEESZ_S10_S11_S18_S1C_S1E_T6_T7_T9_mT8_S1G_bDpT10_ENKUlT_T0_E_clISt17integral_constantIbLb0EES1T_IbLb1EEEEDaS1P_S1Q_EUlS1P_E_NS1_11comp_targetILNS1_3genE5ELNS1_11target_archE942ELNS1_3gpuE9ELNS1_3repE0EEENS1_30default_config_static_selectorELNS0_4arch9wavefront6targetE1EEEvS12_, .Lfunc_end458-_ZN7rocprim17ROCPRIM_400000_NS6detail17trampoline_kernelINS0_13select_configILj256ELj13ELNS0_17block_load_methodE3ELS4_3ELS4_3ELNS0_20block_scan_algorithmE0ELj4294967295EEENS1_25partition_config_selectorILNS1_17partition_subalgoE4EjNS0_10empty_typeEbEEZZNS1_14partition_implILS8_4ELb0ES6_15HIP_vector_typeIjLj2EENS0_17counting_iteratorIjlEEPS9_SG_NS0_5tupleIJPjSI_NS0_16reverse_iteratorISI_EEEEENSH_IJSG_SG_SG_EEES9_SI_JZNS1_25segmented_radix_sort_implINS0_14default_configELb1EPKiPiPKlPlN2at6native12_GLOBAL__N_18offset_tEEE10hipError_tPvRmT1_PNSt15iterator_traitsIS12_E10value_typeET2_T3_PNS13_IS18_E10value_typeET4_jRbjT5_S1E_jjP12ihipStream_tbEUljE_ZNSN_ISO_Lb1ESQ_SR_ST_SU_SY_EESZ_S10_S11_S12_S16_S17_S18_S1B_S1C_jS1D_jS1E_S1E_jjS1G_bEUljE0_EEESZ_S10_S11_S18_S1C_S1E_T6_T7_T9_mT8_S1G_bDpT10_ENKUlT_T0_E_clISt17integral_constantIbLb0EES1T_IbLb1EEEEDaS1P_S1Q_EUlS1P_E_NS1_11comp_targetILNS1_3genE5ELNS1_11target_archE942ELNS1_3gpuE9ELNS1_3repE0EEENS1_30default_config_static_selectorELNS0_4arch9wavefront6targetE1EEEvS12_
                                        ; -- End function
	.section	.AMDGPU.csdata,"",@progbits
; Kernel info:
; codeLenInByte = 0
; NumSgprs: 4
; NumVgprs: 0
; NumAgprs: 0
; TotalNumVgprs: 0
; ScratchSize: 0
; MemoryBound: 0
; FloatMode: 240
; IeeeMode: 1
; LDSByteSize: 0 bytes/workgroup (compile time only)
; SGPRBlocks: 0
; VGPRBlocks: 0
; NumSGPRsForWavesPerEU: 4
; NumVGPRsForWavesPerEU: 1
; AccumOffset: 4
; Occupancy: 8
; WaveLimiterHint : 0
; COMPUTE_PGM_RSRC2:SCRATCH_EN: 0
; COMPUTE_PGM_RSRC2:USER_SGPR: 6
; COMPUTE_PGM_RSRC2:TRAP_HANDLER: 0
; COMPUTE_PGM_RSRC2:TGID_X_EN: 1
; COMPUTE_PGM_RSRC2:TGID_Y_EN: 0
; COMPUTE_PGM_RSRC2:TGID_Z_EN: 0
; COMPUTE_PGM_RSRC2:TIDIG_COMP_CNT: 0
; COMPUTE_PGM_RSRC3_GFX90A:ACCUM_OFFSET: 0
; COMPUTE_PGM_RSRC3_GFX90A:TG_SPLIT: 0
	.section	.text._ZN7rocprim17ROCPRIM_400000_NS6detail17trampoline_kernelINS0_13select_configILj256ELj13ELNS0_17block_load_methodE3ELS4_3ELS4_3ELNS0_20block_scan_algorithmE0ELj4294967295EEENS1_25partition_config_selectorILNS1_17partition_subalgoE4EjNS0_10empty_typeEbEEZZNS1_14partition_implILS8_4ELb0ES6_15HIP_vector_typeIjLj2EENS0_17counting_iteratorIjlEEPS9_SG_NS0_5tupleIJPjSI_NS0_16reverse_iteratorISI_EEEEENSH_IJSG_SG_SG_EEES9_SI_JZNS1_25segmented_radix_sort_implINS0_14default_configELb1EPKiPiPKlPlN2at6native12_GLOBAL__N_18offset_tEEE10hipError_tPvRmT1_PNSt15iterator_traitsIS12_E10value_typeET2_T3_PNS13_IS18_E10value_typeET4_jRbjT5_S1E_jjP12ihipStream_tbEUljE_ZNSN_ISO_Lb1ESQ_SR_ST_SU_SY_EESZ_S10_S11_S12_S16_S17_S18_S1B_S1C_jS1D_jS1E_S1E_jjS1G_bEUljE0_EEESZ_S10_S11_S18_S1C_S1E_T6_T7_T9_mT8_S1G_bDpT10_ENKUlT_T0_E_clISt17integral_constantIbLb0EES1T_IbLb1EEEEDaS1P_S1Q_EUlS1P_E_NS1_11comp_targetILNS1_3genE4ELNS1_11target_archE910ELNS1_3gpuE8ELNS1_3repE0EEENS1_30default_config_static_selectorELNS0_4arch9wavefront6targetE1EEEvS12_,"axG",@progbits,_ZN7rocprim17ROCPRIM_400000_NS6detail17trampoline_kernelINS0_13select_configILj256ELj13ELNS0_17block_load_methodE3ELS4_3ELS4_3ELNS0_20block_scan_algorithmE0ELj4294967295EEENS1_25partition_config_selectorILNS1_17partition_subalgoE4EjNS0_10empty_typeEbEEZZNS1_14partition_implILS8_4ELb0ES6_15HIP_vector_typeIjLj2EENS0_17counting_iteratorIjlEEPS9_SG_NS0_5tupleIJPjSI_NS0_16reverse_iteratorISI_EEEEENSH_IJSG_SG_SG_EEES9_SI_JZNS1_25segmented_radix_sort_implINS0_14default_configELb1EPKiPiPKlPlN2at6native12_GLOBAL__N_18offset_tEEE10hipError_tPvRmT1_PNSt15iterator_traitsIS12_E10value_typeET2_T3_PNS13_IS18_E10value_typeET4_jRbjT5_S1E_jjP12ihipStream_tbEUljE_ZNSN_ISO_Lb1ESQ_SR_ST_SU_SY_EESZ_S10_S11_S12_S16_S17_S18_S1B_S1C_jS1D_jS1E_S1E_jjS1G_bEUljE0_EEESZ_S10_S11_S18_S1C_S1E_T6_T7_T9_mT8_S1G_bDpT10_ENKUlT_T0_E_clISt17integral_constantIbLb0EES1T_IbLb1EEEEDaS1P_S1Q_EUlS1P_E_NS1_11comp_targetILNS1_3genE4ELNS1_11target_archE910ELNS1_3gpuE8ELNS1_3repE0EEENS1_30default_config_static_selectorELNS0_4arch9wavefront6targetE1EEEvS12_,comdat
	.globl	_ZN7rocprim17ROCPRIM_400000_NS6detail17trampoline_kernelINS0_13select_configILj256ELj13ELNS0_17block_load_methodE3ELS4_3ELS4_3ELNS0_20block_scan_algorithmE0ELj4294967295EEENS1_25partition_config_selectorILNS1_17partition_subalgoE4EjNS0_10empty_typeEbEEZZNS1_14partition_implILS8_4ELb0ES6_15HIP_vector_typeIjLj2EENS0_17counting_iteratorIjlEEPS9_SG_NS0_5tupleIJPjSI_NS0_16reverse_iteratorISI_EEEEENSH_IJSG_SG_SG_EEES9_SI_JZNS1_25segmented_radix_sort_implINS0_14default_configELb1EPKiPiPKlPlN2at6native12_GLOBAL__N_18offset_tEEE10hipError_tPvRmT1_PNSt15iterator_traitsIS12_E10value_typeET2_T3_PNS13_IS18_E10value_typeET4_jRbjT5_S1E_jjP12ihipStream_tbEUljE_ZNSN_ISO_Lb1ESQ_SR_ST_SU_SY_EESZ_S10_S11_S12_S16_S17_S18_S1B_S1C_jS1D_jS1E_S1E_jjS1G_bEUljE0_EEESZ_S10_S11_S18_S1C_S1E_T6_T7_T9_mT8_S1G_bDpT10_ENKUlT_T0_E_clISt17integral_constantIbLb0EES1T_IbLb1EEEEDaS1P_S1Q_EUlS1P_E_NS1_11comp_targetILNS1_3genE4ELNS1_11target_archE910ELNS1_3gpuE8ELNS1_3repE0EEENS1_30default_config_static_selectorELNS0_4arch9wavefront6targetE1EEEvS12_ ; -- Begin function _ZN7rocprim17ROCPRIM_400000_NS6detail17trampoline_kernelINS0_13select_configILj256ELj13ELNS0_17block_load_methodE3ELS4_3ELS4_3ELNS0_20block_scan_algorithmE0ELj4294967295EEENS1_25partition_config_selectorILNS1_17partition_subalgoE4EjNS0_10empty_typeEbEEZZNS1_14partition_implILS8_4ELb0ES6_15HIP_vector_typeIjLj2EENS0_17counting_iteratorIjlEEPS9_SG_NS0_5tupleIJPjSI_NS0_16reverse_iteratorISI_EEEEENSH_IJSG_SG_SG_EEES9_SI_JZNS1_25segmented_radix_sort_implINS0_14default_configELb1EPKiPiPKlPlN2at6native12_GLOBAL__N_18offset_tEEE10hipError_tPvRmT1_PNSt15iterator_traitsIS12_E10value_typeET2_T3_PNS13_IS18_E10value_typeET4_jRbjT5_S1E_jjP12ihipStream_tbEUljE_ZNSN_ISO_Lb1ESQ_SR_ST_SU_SY_EESZ_S10_S11_S12_S16_S17_S18_S1B_S1C_jS1D_jS1E_S1E_jjS1G_bEUljE0_EEESZ_S10_S11_S18_S1C_S1E_T6_T7_T9_mT8_S1G_bDpT10_ENKUlT_T0_E_clISt17integral_constantIbLb0EES1T_IbLb1EEEEDaS1P_S1Q_EUlS1P_E_NS1_11comp_targetILNS1_3genE4ELNS1_11target_archE910ELNS1_3gpuE8ELNS1_3repE0EEENS1_30default_config_static_selectorELNS0_4arch9wavefront6targetE1EEEvS12_
	.p2align	8
	.type	_ZN7rocprim17ROCPRIM_400000_NS6detail17trampoline_kernelINS0_13select_configILj256ELj13ELNS0_17block_load_methodE3ELS4_3ELS4_3ELNS0_20block_scan_algorithmE0ELj4294967295EEENS1_25partition_config_selectorILNS1_17partition_subalgoE4EjNS0_10empty_typeEbEEZZNS1_14partition_implILS8_4ELb0ES6_15HIP_vector_typeIjLj2EENS0_17counting_iteratorIjlEEPS9_SG_NS0_5tupleIJPjSI_NS0_16reverse_iteratorISI_EEEEENSH_IJSG_SG_SG_EEES9_SI_JZNS1_25segmented_radix_sort_implINS0_14default_configELb1EPKiPiPKlPlN2at6native12_GLOBAL__N_18offset_tEEE10hipError_tPvRmT1_PNSt15iterator_traitsIS12_E10value_typeET2_T3_PNS13_IS18_E10value_typeET4_jRbjT5_S1E_jjP12ihipStream_tbEUljE_ZNSN_ISO_Lb1ESQ_SR_ST_SU_SY_EESZ_S10_S11_S12_S16_S17_S18_S1B_S1C_jS1D_jS1E_S1E_jjS1G_bEUljE0_EEESZ_S10_S11_S18_S1C_S1E_T6_T7_T9_mT8_S1G_bDpT10_ENKUlT_T0_E_clISt17integral_constantIbLb0EES1T_IbLb1EEEEDaS1P_S1Q_EUlS1P_E_NS1_11comp_targetILNS1_3genE4ELNS1_11target_archE910ELNS1_3gpuE8ELNS1_3repE0EEENS1_30default_config_static_selectorELNS0_4arch9wavefront6targetE1EEEvS12_,@function
_ZN7rocprim17ROCPRIM_400000_NS6detail17trampoline_kernelINS0_13select_configILj256ELj13ELNS0_17block_load_methodE3ELS4_3ELS4_3ELNS0_20block_scan_algorithmE0ELj4294967295EEENS1_25partition_config_selectorILNS1_17partition_subalgoE4EjNS0_10empty_typeEbEEZZNS1_14partition_implILS8_4ELb0ES6_15HIP_vector_typeIjLj2EENS0_17counting_iteratorIjlEEPS9_SG_NS0_5tupleIJPjSI_NS0_16reverse_iteratorISI_EEEEENSH_IJSG_SG_SG_EEES9_SI_JZNS1_25segmented_radix_sort_implINS0_14default_configELb1EPKiPiPKlPlN2at6native12_GLOBAL__N_18offset_tEEE10hipError_tPvRmT1_PNSt15iterator_traitsIS12_E10value_typeET2_T3_PNS13_IS18_E10value_typeET4_jRbjT5_S1E_jjP12ihipStream_tbEUljE_ZNSN_ISO_Lb1ESQ_SR_ST_SU_SY_EESZ_S10_S11_S12_S16_S17_S18_S1B_S1C_jS1D_jS1E_S1E_jjS1G_bEUljE0_EEESZ_S10_S11_S18_S1C_S1E_T6_T7_T9_mT8_S1G_bDpT10_ENKUlT_T0_E_clISt17integral_constantIbLb0EES1T_IbLb1EEEEDaS1P_S1Q_EUlS1P_E_NS1_11comp_targetILNS1_3genE4ELNS1_11target_archE910ELNS1_3gpuE8ELNS1_3repE0EEENS1_30default_config_static_selectorELNS0_4arch9wavefront6targetE1EEEvS12_: ; @_ZN7rocprim17ROCPRIM_400000_NS6detail17trampoline_kernelINS0_13select_configILj256ELj13ELNS0_17block_load_methodE3ELS4_3ELS4_3ELNS0_20block_scan_algorithmE0ELj4294967295EEENS1_25partition_config_selectorILNS1_17partition_subalgoE4EjNS0_10empty_typeEbEEZZNS1_14partition_implILS8_4ELb0ES6_15HIP_vector_typeIjLj2EENS0_17counting_iteratorIjlEEPS9_SG_NS0_5tupleIJPjSI_NS0_16reverse_iteratorISI_EEEEENSH_IJSG_SG_SG_EEES9_SI_JZNS1_25segmented_radix_sort_implINS0_14default_configELb1EPKiPiPKlPlN2at6native12_GLOBAL__N_18offset_tEEE10hipError_tPvRmT1_PNSt15iterator_traitsIS12_E10value_typeET2_T3_PNS13_IS18_E10value_typeET4_jRbjT5_S1E_jjP12ihipStream_tbEUljE_ZNSN_ISO_Lb1ESQ_SR_ST_SU_SY_EESZ_S10_S11_S12_S16_S17_S18_S1B_S1C_jS1D_jS1E_S1E_jjS1G_bEUljE0_EEESZ_S10_S11_S18_S1C_S1E_T6_T7_T9_mT8_S1G_bDpT10_ENKUlT_T0_E_clISt17integral_constantIbLb0EES1T_IbLb1EEEEDaS1P_S1Q_EUlS1P_E_NS1_11comp_targetILNS1_3genE4ELNS1_11target_archE910ELNS1_3gpuE8ELNS1_3repE0EEENS1_30default_config_static_selectorELNS0_4arch9wavefront6targetE1EEEvS12_
; %bb.0:
	s_load_dwordx2 s[48:49], s[4:5], 0x10
	s_load_dwordx4 s[44:47], s[4:5], 0x28
	s_load_dwordx2 s[34:35], s[4:5], 0x38
	s_load_dwordx4 s[28:31], s[4:5], 0x58
	s_load_dwordx2 s[2:3], s[4:5], 0x68
	s_load_dwordx2 s[50:51], s[4:5], 0x78
	;; [unrolled: 1-line block ×3, first 2 shown]
	s_load_dwordx8 s[36:43], s[4:5], 0x90
	v_cmp_eq_u32_e64 s[0:1], 0, v0
	s_and_saveexec_b64 s[6:7], s[0:1]
	s_cbranch_execz .LBB459_4
; %bb.1:
	s_mov_b64 s[10:11], exec
	v_mbcnt_lo_u32_b32 v1, s10, 0
	v_mbcnt_hi_u32_b32 v1, s11, v1
	v_cmp_eq_u32_e32 vcc, 0, v1
                                        ; implicit-def: $vgpr2
	s_and_saveexec_b64 s[8:9], vcc
	s_cbranch_execz .LBB459_3
; %bb.2:
	s_load_dwordx2 s[12:13], s[4:5], 0x88
	s_bcnt1_i32_b64 s10, s[10:11]
	v_mov_b32_e32 v2, 0
	v_mov_b32_e32 v3, s10
	s_waitcnt lgkmcnt(0)
	global_atomic_add v2, v2, v3, s[12:13] glc
.LBB459_3:
	s_or_b64 exec, exec, s[8:9]
	s_waitcnt vmcnt(0)
	v_readfirstlane_b32 s8, v2
	v_add_u32_e32 v1, s8, v1
	v_mov_b32_e32 v2, 0
	ds_write_b32 v2, v1
.LBB459_4:
	s_or_b64 exec, exec, s[6:7]
	v_mov_b32_e32 v1, 0
	s_load_dword s7, s[4:5], 0x8
	s_load_dword s6, s[4:5], 0x80
	s_waitcnt lgkmcnt(0)
	s_barrier
	ds_read_b32 v8, v1
	s_waitcnt lgkmcnt(0)
	s_barrier
	global_load_dwordx4 v[2:5], v1, s[30:31]
	v_mov_b32_e32 v7, s3
	s_movk_i32 s3, 0xd00
	s_add_i32 s8, s7, s48
	v_mul_lo_u32 v34, v8, s3
	s_add_i32 s7, s6, -1
	s_mul_i32 s3, s6, 0xd00
	s_add_u32 s4, s48, s3
	v_readfirstlane_b32 s33, v8
	s_addc_u32 s5, s49, 0
	s_cmp_eq_u32 s33, s7
	v_mov_b32_e32 v6, s2
	s_cselect_b64 s[30:31], -1, 0
	s_cmp_lg_u32 s33, s7
	v_cmp_lt_u64_e32 vcc, s[4:5], v[6:7]
	s_cselect_b64 s[4:5], -1, 0
	s_or_b64 s[4:5], vcc, s[4:5]
	v_add_u32_e32 v1, s8, v34
	s_mov_b64 s[6:7], -1
	s_and_b64 vcc, exec, s[4:5]
	v_add_u32_e32 v1, v1, v0
	s_cbranch_vccz .LBB459_6
; %bb.5:
	v_add_u32_e32 v6, 0x100, v1
	v_lshlrev_b32_e32 v18, 2, v0
	v_add_u32_e32 v7, 0x200, v1
	v_add_u32_e32 v8, 0x300, v1
	;; [unrolled: 1-line block ×11, first 2 shown]
	ds_write2st64_b32 v18, v1, v6 offset1:4
	ds_write2st64_b32 v18, v7, v8 offset0:8 offset1:12
	ds_write2st64_b32 v18, v9, v10 offset0:16 offset1:20
	;; [unrolled: 1-line block ×5, first 2 shown]
	ds_write_b32 v18, v17 offset:12288
	s_waitcnt lgkmcnt(0)
	s_barrier
	s_mov_b64 s[6:7], 0
.LBB459_6:
	s_andn2_b64 vcc, exec, s[6:7]
	s_add_i32 s3, s3, s48
	s_cbranch_vccnz .LBB459_8
; %bb.7:
	v_add_u32_e32 v6, 0x100, v1
	v_lshlrev_b32_e32 v18, 2, v0
	v_add_u32_e32 v7, 0x200, v1
	v_add_u32_e32 v8, 0x300, v1
	;; [unrolled: 1-line block ×11, first 2 shown]
	ds_write2st64_b32 v18, v1, v6 offset1:4
	ds_write2st64_b32 v18, v7, v8 offset0:8 offset1:12
	ds_write2st64_b32 v18, v9, v10 offset0:16 offset1:20
	;; [unrolled: 1-line block ×5, first 2 shown]
	ds_write_b32 v18, v17 offset:12288
	s_waitcnt lgkmcnt(0)
	s_barrier
.LBB459_8:
	v_mul_u32_u24_e32 v36, 13, v0
	v_lshlrev_b32_e32 v1, 2, v36
	ds_read2_b32 v[22:23], v1 offset1:1
	ds_read2_b32 v[20:21], v1 offset0:2 offset1:3
	ds_read2_b32 v[18:19], v1 offset0:4 offset1:5
	;; [unrolled: 1-line block ×5, first 2 shown]
	ds_read_b32 v35, v1 offset:48
	v_cndmask_b32_e64 v1, 0, 1, s[4:5]
	s_sub_i32 s86, s2, s3
	v_cmp_ne_u32_e64 s[2:3], 1, v1
	s_andn2_b64 vcc, exec, s[4:5]
	s_waitcnt lgkmcnt(0)
	s_barrier
	s_cbranch_vccnz .LBB459_36
; %bb.9:
	v_add_u32_e32 v1, s37, v22
	v_add_u32_e32 v6, s39, v22
	v_mul_lo_u32 v1, v1, s36
	v_mul_lo_u32 v6, v6, s38
	v_sub_u32_e32 v1, v1, v6
	v_cmp_lt_u32_e32 vcc, s40, v1
	v_cmp_ge_u32_e64 s[4:5], s40, v1
	s_mov_b64 s[60:61], 0
	s_mov_b64 s[58:59], 0
	s_and_saveexec_b64 s[6:7], s[4:5]
; %bb.10:
	v_add_u32_e32 v1, s42, v22
	v_add_u32_e32 v6, s56, v22
	v_mul_lo_u32 v1, v1, s41
	v_mul_lo_u32 v6, v6, s43
	v_sub_u32_e32 v1, v1, v6
	v_cmp_lt_u32_e64 s[4:5], s57, v1
	s_and_b64 s[58:59], s[4:5], exec
; %bb.11:
	s_or_b64 exec, exec, s[6:7]
	v_add_u32_e32 v1, s37, v23
	v_add_u32_e32 v6, s39, v23
	v_mul_lo_u32 v1, v1, s36
	v_mul_lo_u32 v6, v6, s38
	v_sub_u32_e32 v1, v1, v6
	v_cmp_lt_u32_e64 s[4:5], s40, v1
	v_cmp_ge_u32_e64 s[6:7], s40, v1
	s_and_saveexec_b64 s[8:9], s[6:7]
; %bb.12:
	v_add_u32_e32 v1, s42, v23
	v_add_u32_e32 v6, s56, v23
	v_mul_lo_u32 v1, v1, s41
	v_mul_lo_u32 v6, v6, s43
	v_sub_u32_e32 v1, v1, v6
	v_cmp_lt_u32_e64 s[6:7], s57, v1
	s_and_b64 s[60:61], s[6:7], exec
; %bb.13:
	s_or_b64 exec, exec, s[8:9]
	v_add_u32_e32 v1, s37, v20
	v_add_u32_e32 v6, s39, v20
	v_mul_lo_u32 v1, v1, s36
	v_mul_lo_u32 v6, v6, s38
	v_sub_u32_e32 v1, v1, v6
	v_cmp_lt_u32_e64 s[6:7], s40, v1
	v_cmp_ge_u32_e64 s[8:9], s40, v1
	s_mov_b64 s[64:65], 0
	s_mov_b64 s[62:63], 0
	s_and_saveexec_b64 s[10:11], s[8:9]
; %bb.14:
	v_add_u32_e32 v1, s42, v20
	v_add_u32_e32 v6, s56, v20
	v_mul_lo_u32 v1, v1, s41
	v_mul_lo_u32 v6, v6, s43
	v_sub_u32_e32 v1, v1, v6
	v_cmp_lt_u32_e64 s[8:9], s57, v1
	s_and_b64 s[62:63], s[8:9], exec
; %bb.15:
	s_or_b64 exec, exec, s[10:11]
	v_add_u32_e32 v1, s37, v21
	v_add_u32_e32 v6, s39, v21
	v_mul_lo_u32 v1, v1, s36
	v_mul_lo_u32 v6, v6, s38
	v_sub_u32_e32 v1, v1, v6
	v_cmp_lt_u32_e64 s[8:9], s40, v1
	v_cmp_ge_u32_e64 s[10:11], s40, v1
	s_and_saveexec_b64 s[12:13], s[10:11]
; %bb.16:
	v_add_u32_e32 v1, s42, v21
	v_add_u32_e32 v6, s56, v21
	v_mul_lo_u32 v1, v1, s41
	v_mul_lo_u32 v6, v6, s43
	v_sub_u32_e32 v1, v1, v6
	v_cmp_lt_u32_e64 s[10:11], s57, v1
	s_and_b64 s[64:65], s[10:11], exec
; %bb.17:
	s_or_b64 exec, exec, s[12:13]
	v_add_u32_e32 v1, s37, v18
	v_add_u32_e32 v6, s39, v18
	v_mul_lo_u32 v1, v1, s36
	v_mul_lo_u32 v6, v6, s38
	v_sub_u32_e32 v1, v1, v6
	v_cmp_lt_u32_e64 s[10:11], s40, v1
	;; [unrolled: 38-line block ×5, first 2 shown]
	v_cmp_ge_u32_e64 s[24:25], s40, v1
	s_mov_b64 s[80:81], 0
	s_mov_b64 s[82:83], 0
	s_and_saveexec_b64 s[26:27], s[24:25]
; %bb.30:
	v_add_u32_e32 v1, s42, v12
	v_add_u32_e32 v6, s56, v12
	v_mul_lo_u32 v1, v1, s41
	v_mul_lo_u32 v6, v6, s43
	v_sub_u32_e32 v1, v1, v6
	v_cmp_lt_u32_e64 s[24:25], s57, v1
	s_and_b64 s[82:83], s[24:25], exec
; %bb.31:
	s_or_b64 exec, exec, s[26:27]
	v_add_u32_e32 v1, s37, v13
	v_add_u32_e32 v6, s39, v13
	v_mul_lo_u32 v1, v1, s36
	v_mul_lo_u32 v6, v6, s38
	v_sub_u32_e32 v1, v1, v6
	v_cmp_lt_u32_e64 s[24:25], s40, v1
	v_cmp_ge_u32_e64 s[26:27], s40, v1
	s_and_saveexec_b64 s[52:53], s[26:27]
; %bb.32:
	v_add_u32_e32 v1, s42, v13
	v_add_u32_e32 v6, s56, v13
	v_mul_lo_u32 v1, v1, s41
	v_mul_lo_u32 v6, v6, s43
	v_sub_u32_e32 v1, v1, v6
	v_cmp_lt_u32_e64 s[26:27], s57, v1
	s_and_b64 s[80:81], s[26:27], exec
; %bb.33:
	s_or_b64 exec, exec, s[52:53]
	v_add_u32_e32 v1, s37, v35
	v_add_u32_e32 v6, s39, v35
	v_mul_lo_u32 v1, v1, s36
	v_mul_lo_u32 v6, v6, s38
	v_sub_u32_e32 v1, v1, v6
	v_cmp_ge_u32_e64 s[26:27], s40, v1
	s_mov_b64 s[52:53], -1
	s_mov_b64 s[74:75], 0
	s_mov_b64 s[54:55], 0
	s_and_saveexec_b64 s[84:85], s[26:27]
; %bb.34:
	v_add_u32_e32 v1, s42, v35
	v_add_u32_e32 v6, s56, v35
	v_mul_lo_u32 v1, v1, s41
	v_mul_lo_u32 v6, v6, s43
	v_sub_u32_e32 v1, v1, v6
	v_cmp_lt_u32_e64 s[26:27], s57, v1
	s_and_b64 s[54:55], s[26:27], exec
	s_xor_b64 s[52:53], exec, -1
; %bb.35:
	s_or_b64 exec, exec, s[84:85]
	v_cndmask_b32_e64 v57, 0, 1, s[82:83]
	v_cndmask_b32_e64 v60, 0, 1, s[24:25]
	;; [unrolled: 1-line block ×22, first 2 shown]
	v_cndmask_b32_e64 v37, 0, 1, vcc
	v_cndmask_b32_e64 v59, 0, 1, s[80:81]
	s_add_i32 s16, s86, 0xd00
	s_and_b64 vcc, exec, s[74:75]
	s_cbranch_vccnz .LBB459_37
	s_branch .LBB459_90
.LBB459_36:
                                        ; implicit-def: $sgpr52_sgpr53
                                        ; implicit-def: $sgpr54_sgpr55
                                        ; implicit-def: $vgpr59
                                        ; implicit-def: $vgpr57
                                        ; implicit-def: $vgpr55
                                        ; implicit-def: $vgpr53
                                        ; implicit-def: $vgpr51
                                        ; implicit-def: $vgpr49
                                        ; implicit-def: $vgpr47
                                        ; implicit-def: $vgpr45
                                        ; implicit-def: $vgpr43
                                        ; implicit-def: $vgpr37
                                        ; implicit-def: $vgpr39
                                        ; implicit-def: $vgpr41
                                        ; implicit-def: $vgpr44
                                        ; implicit-def: $vgpr46
                                        ; implicit-def: $vgpr48
                                        ; implicit-def: $vgpr50
                                        ; implicit-def: $vgpr52
                                        ; implicit-def: $vgpr54
                                        ; implicit-def: $vgpr56
                                        ; implicit-def: $vgpr58
                                        ; implicit-def: $vgpr60
                                        ; implicit-def: $vgpr38
                                        ; implicit-def: $vgpr40
                                        ; implicit-def: $vgpr42
	s_add_i32 s16, s86, 0xd00
	s_cbranch_execz .LBB459_90
.LBB459_37:
	v_cmp_gt_u32_e32 vcc, s16, v36
	v_mov_b32_e32 v38, 0
	v_mov_b32_e32 v37, 0
	s_and_saveexec_b64 s[6:7], vcc
	s_cbranch_execz .LBB459_41
; %bb.38:
	v_add_u32_e32 v1, s37, v22
	v_add_u32_e32 v6, s39, v22
	v_mul_lo_u32 v1, v1, s36
	v_mul_lo_u32 v6, v6, s38
	v_sub_u32_e32 v1, v1, v6
	v_cmp_lt_u32_e32 vcc, s40, v1
	v_cmp_ge_u32_e64 s[4:5], s40, v1
	s_mov_b64 s[10:11], 0
	s_and_saveexec_b64 s[8:9], s[4:5]
; %bb.39:
	v_add_u32_e32 v1, s42, v22
	v_add_u32_e32 v6, s56, v22
	v_mul_lo_u32 v1, v1, s41
	v_mul_lo_u32 v6, v6, s43
	v_sub_u32_e32 v1, v1, v6
	v_cmp_lt_u32_e64 s[4:5], s57, v1
	s_and_b64 s[10:11], s[4:5], exec
; %bb.40:
	s_or_b64 exec, exec, s[8:9]
	v_cndmask_b32_e64 v37, 0, 1, vcc
	v_cndmask_b32_e64 v38, 0, 1, s[10:11]
.LBB459_41:
	s_or_b64 exec, exec, s[6:7]
	v_add_u32_e32 v1, 1, v36
	v_cmp_gt_u32_e32 vcc, s16, v1
	v_mov_b32_e32 v39, 0
	v_mov_b32_e32 v40, 0
	s_and_saveexec_b64 s[6:7], vcc
	s_cbranch_execz .LBB459_45
; %bb.42:
	v_add_u32_e32 v1, s37, v23
	v_add_u32_e32 v6, s39, v23
	v_mul_lo_u32 v1, v1, s36
	v_mul_lo_u32 v6, v6, s38
	v_sub_u32_e32 v1, v1, v6
	v_cmp_lt_u32_e32 vcc, s40, v1
	v_cmp_ge_u32_e64 s[4:5], s40, v1
	s_mov_b64 s[10:11], 0
	s_and_saveexec_b64 s[8:9], s[4:5]
; %bb.43:
	v_add_u32_e32 v1, s42, v23
	v_add_u32_e32 v6, s56, v23
	v_mul_lo_u32 v1, v1, s41
	v_mul_lo_u32 v6, v6, s43
	v_sub_u32_e32 v1, v1, v6
	v_cmp_lt_u32_e64 s[4:5], s57, v1
	s_and_b64 s[10:11], s[4:5], exec
; %bb.44:
	s_or_b64 exec, exec, s[8:9]
	v_cndmask_b32_e64 v39, 0, 1, vcc
	v_cndmask_b32_e64 v40, 0, 1, s[10:11]
.LBB459_45:
	s_or_b64 exec, exec, s[6:7]
	v_add_u32_e32 v1, 2, v36
	;; [unrolled: 30-line block ×12, first 2 shown]
	v_cmp_gt_u32_e32 vcc, s16, v1
	s_mov_b64 s[52:53], 0
	s_mov_b64 s[54:55], 0
	s_and_saveexec_b64 s[4:5], vcc
	s_cbranch_execz .LBB459_89
; %bb.86:
	v_add_u32_e32 v1, s37, v35
	v_add_u32_e32 v6, s39, v35
	v_mul_lo_u32 v1, v1, s36
	v_mul_lo_u32 v6, v6, s38
	v_sub_u32_e32 v1, v1, v6
	v_cmp_ge_u32_e32 vcc, s40, v1
	s_mov_b64 s[8:9], -1
	s_mov_b64 s[10:11], 0
	s_and_saveexec_b64 s[6:7], vcc
; %bb.87:
	v_add_u32_e32 v1, s42, v35
	v_add_u32_e32 v6, s56, v35
	v_mul_lo_u32 v1, v1, s41
	v_mul_lo_u32 v6, v6, s43
	v_sub_u32_e32 v1, v1, v6
	v_cmp_lt_u32_e32 vcc, s57, v1
	s_and_b64 s[10:11], vcc, exec
	s_xor_b64 s[8:9], exec, -1
; %bb.88:
	s_or_b64 exec, exec, s[6:7]
	s_and_b64 s[54:55], s[10:11], exec
	s_and_b64 s[52:53], s[8:9], exec
.LBB459_89:
	s_or_b64 exec, exec, s[4:5]
.LBB459_90:
	v_and_b32_e32 v68, 0xff, v38
	v_and_b32_e32 v79, 0xff, v40
	;; [unrolled: 1-line block ×5, first 2 shown]
	v_add3_u32 v6, v79, v70, v68
	v_and_b32_e32 v81, 0xff, v47
	v_and_b32_e32 v74, 0xff, v49
	v_add3_u32 v6, v6, v80, v72
	v_and_b32_e32 v67, 0xff, v37
	v_and_b32_e32 v61, 0xff, v39
	;; [unrolled: 1-line block ×5, first 2 shown]
	v_add3_u32 v6, v6, v81, v74
	v_and_b32_e32 v62, 0xff, v44
	v_and_b32_e32 v71, 0xff, v46
	v_and_b32_e32 v83, 0xff, v55
	v_and_b32_e32 v78, 0xff, v57
	v_add3_u32 v7, v61, v69, v67
	v_add3_u32 v6, v6, v82, v76
	v_and_b32_e32 v63, 0xff, v48
	v_and_b32_e32 v73, 0xff, v50
	;; [unrolled: 1-line block ×3, first 2 shown]
	v_cndmask_b32_e64 v1, 0, 1, s[54:55]
	v_add3_u32 v7, v7, v62, v71
	v_add3_u32 v6, v6, v83, v78
	v_and_b32_e32 v64, 0xff, v52
	v_and_b32_e32 v75, 0xff, v54
	v_add3_u32 v7, v7, v63, v73
	v_add3_u32 v91, v6, v84, v1
	v_mbcnt_lo_u32_b32 v1, -1, 0
	v_and_b32_e32 v65, 0xff, v56
	v_and_b32_e32 v77, 0xff, v58
	v_add3_u32 v7, v7, v64, v75
	v_mbcnt_hi_u32_b32 v85, -1, v1
	v_and_b32_e32 v66, 0xff, v60
	v_add3_u32 v7, v7, v65, v77
	v_cndmask_b32_e64 v8, 0, 1, s[52:53]
	v_and_b32_e32 v89, 15, v85
	s_cmp_lg_u32 s33, 0
	v_add3_u32 v90, v7, v66, v8
	v_cmp_eq_u32_e64 s[6:7], 0, v89
	v_cmp_lt_u32_e64 s[4:5], 1, v89
	v_cmp_lt_u32_e64 s[10:11], 3, v89
	;; [unrolled: 1-line block ×3, first 2 shown]
	v_and_b32_e32 v88, 16, v85
	v_cmp_lt_u32_e32 vcc, 31, v85
	v_lshrrev_b32_e32 v86, 6, v0
	v_or_b32_e32 v87, 63, v0
	s_cbranch_scc0 .LBB459_119
; %bb.91:
	v_mov_b32_dpp v1, v90 row_shr:1 row_mask:0xf bank_mask:0xf
	v_mov_b32_dpp v6, v91 row_shr:1 row_mask:0xf bank_mask:0xf
	v_add_u32_e32 v1, v1, v90
	v_add_u32_e32 v6, v6, v91
	v_cndmask_b32_e64 v6, v6, v91, s[6:7]
	v_cndmask_b32_e64 v1, v1, v90, s[6:7]
	s_nop 0
	v_mov_b32_dpp v8, v6 row_shr:2 row_mask:0xf bank_mask:0xf
	v_mov_b32_dpp v7, v1 row_shr:2 row_mask:0xf bank_mask:0xf
	v_add_u32_e32 v7, v1, v7
	v_add_u32_e32 v8, v6, v8
	v_cndmask_b32_e64 v6, v6, v8, s[4:5]
	v_cndmask_b32_e64 v1, v1, v7, s[4:5]
	s_nop 0
	;; [unrolled: 7-line block ×3, first 2 shown]
	v_mov_b32_dpp v8, v6 row_shr:8 row_mask:0xf bank_mask:0xf
	v_mov_b32_dpp v7, v1 row_shr:8 row_mask:0xf bank_mask:0xf
	v_add_u32_e32 v7, v1, v7
	v_add_u32_e32 v8, v6, v8
	v_cndmask_b32_e64 v6, v6, v8, s[8:9]
	v_cndmask_b32_e64 v1, v1, v7, s[8:9]
	v_cmp_eq_u32_e64 s[8:9], 0, v88
	v_mov_b32_dpp v8, v6 row_bcast:15 row_mask:0xf bank_mask:0xf
	v_mov_b32_dpp v7, v1 row_bcast:15 row_mask:0xf bank_mask:0xf
	v_add_u32_e32 v7, v1, v7
	v_add_u32_e32 v8, v6, v8
	v_cndmask_b32_e64 v6, v8, v6, s[8:9]
	v_cndmask_b32_e64 v1, v7, v1, s[8:9]
	s_nop 0
	v_mov_b32_dpp v8, v6 row_bcast:31 row_mask:0xf bank_mask:0xf
	v_mov_b32_dpp v7, v1 row_bcast:31 row_mask:0xf bank_mask:0xf
	v_add_u32_e32 v8, v6, v8
	v_add_u32_e32 v9, v1, v7
	v_cndmask_b32_e32 v7, v6, v8, vcc
	v_cndmask_b32_e32 v6, v1, v9, vcc
	v_cmp_eq_u32_e32 vcc, v87, v0
	s_and_saveexec_b64 s[8:9], vcc
	s_cbranch_execz .LBB459_93
; %bb.92:
	v_lshlrev_b32_e32 v1, 3, v86
	ds_write_b64 v1, v[6:7]
.LBB459_93:
	s_or_b64 exec, exec, s[8:9]
	v_cmp_gt_u32_e32 vcc, 4, v0
	s_waitcnt lgkmcnt(0)
	s_barrier
	s_and_saveexec_b64 s[8:9], vcc
	s_cbranch_execz .LBB459_95
; %bb.94:
	v_lshlrev_b32_e32 v1, 3, v0
	ds_read_b64 v[8:9], v1
	v_and_b32_e32 v10, 3, v85
	v_cmp_eq_u32_e32 vcc, 0, v10
	s_waitcnt lgkmcnt(0)
	v_mov_b32_dpp v11, v8 row_shr:1 row_mask:0xf bank_mask:0xf
	v_mov_b32_dpp v24, v9 row_shr:1 row_mask:0xf bank_mask:0xf
	v_add_u32_e32 v11, v11, v8
	v_add_u32_e32 v24, v24, v9
	v_cndmask_b32_e32 v9, v24, v9, vcc
	v_cndmask_b32_e32 v8, v11, v8, vcc
	v_cmp_lt_u32_e32 vcc, 1, v10
	v_mov_b32_dpp v24, v9 row_shr:2 row_mask:0xf bank_mask:0xf
	v_mov_b32_dpp v11, v8 row_shr:2 row_mask:0xf bank_mask:0xf
	v_cndmask_b32_e32 v10, 0, v11, vcc
	v_cndmask_b32_e32 v11, 0, v24, vcc
	v_add_u32_e32 v9, v11, v9
	v_add_u32_e32 v8, v10, v8
	ds_write_b64 v1, v[8:9]
.LBB459_95:
	s_or_b64 exec, exec, s[8:9]
	v_cmp_gt_u32_e32 vcc, 64, v0
	v_cmp_lt_u32_e64 s[8:9], 63, v0
	s_waitcnt lgkmcnt(0)
	s_barrier
	s_waitcnt lgkmcnt(0)
                                        ; implicit-def: $vgpr25
	s_and_saveexec_b64 s[10:11], s[8:9]
	s_xor_b64 s[8:9], exec, s[10:11]
	s_cbranch_execz .LBB459_97
; %bb.96:
	v_lshl_add_u32 v1, v86, 3, -8
	ds_read_b64 v[24:25], v1
	s_waitcnt lgkmcnt(0)
	v_add_u32_e32 v7, v25, v7
	v_add_u32_e32 v6, v24, v6
.LBB459_97:
	s_andn2_saveexec_b64 s[8:9], s[8:9]
; %bb.98:
                                        ; implicit-def: $vgpr24
; %bb.99:
	s_or_b64 exec, exec, s[8:9]
	v_add_u32_e32 v1, -1, v85
	v_and_b32_e32 v8, 64, v85
	v_cmp_lt_i32_e64 s[8:9], v1, v8
	v_cndmask_b32_e64 v1, v1, v85, s[8:9]
	v_lshlrev_b32_e32 v8, 2, v1
	ds_bpermute_b32 v1, v8, v6
	ds_bpermute_b32 v92, v8, v7
	v_cmp_eq_u32_e64 s[8:9], 0, v85
	s_and_saveexec_b64 s[10:11], vcc
	s_cbranch_execz .LBB459_118
; %bb.100:
	v_mov_b32_e32 v11, 0
	ds_read_b64 v[26:27], v11 offset:24
	s_and_saveexec_b64 s[12:13], s[8:9]
	s_cbranch_execz .LBB459_102
; %bb.101:
	s_add_i32 s14, s33, 64
	s_mov_b32 s15, 0
	s_lshl_b64 s[14:15], s[14:15], 4
	s_waitcnt lgkmcnt(0)
	v_and_b32_e32 v6, 0xff000000, v27
	v_and_b32_e32 v7, 0xff0000, v27
	s_add_u32 s14, s50, s14
	v_or_b32_e32 v6, v7, v6
	v_and_b32_e32 v7, 0xff00, v27
	s_addc_u32 s15, s51, s15
	v_or_b32_e32 v6, v6, v7
	v_or_b32_sdwa v9, v6, v27 dst_sel:DWORD dst_unused:UNUSED_PAD src0_sel:DWORD src1_sel:BYTE_0
	v_mov_b32_e32 v10, 1
	v_mov_b32_e32 v8, v26
	v_pk_mov_b32 v[6:7], s[14:15], s[14:15] op_sel:[0,1]
	;;#ASMSTART
	global_store_dwordx4 v[6:7], v[8:11] off	
s_waitcnt vmcnt(0)
	;;#ASMEND
.LBB459_102:
	s_or_b64 exec, exec, s[12:13]
	v_xad_u32 v28, v85, -1, s33
	v_add_u32_e32 v10, 64, v28
	v_lshlrev_b64 v[6:7], 4, v[10:11]
	v_mov_b32_e32 v8, s51
	v_add_co_u32_e32 v30, vcc, s50, v6
	v_addc_co_u32_e32 v31, vcc, v8, v7, vcc
	;;#ASMSTART
	global_load_dwordx4 v[6:9], v[30:31] off glc	
s_waitcnt vmcnt(0)
	;;#ASMEND
	v_and_b32_e32 v9, 0xff, v7
	v_and_b32_e32 v10, 0xff00, v7
	v_or3_b32 v9, 0, v9, v10
	v_or3_b32 v6, v6, 0, 0
	v_and_b32_e32 v10, 0xff000000, v7
	v_and_b32_e32 v7, 0xff0000, v7
	v_or3_b32 v7, v9, v7, v10
	v_or3_b32 v6, v6, 0, 0
	v_cmp_eq_u16_sdwa s[14:15], v8, v11 src0_sel:BYTE_0 src1_sel:DWORD
	s_and_saveexec_b64 s[12:13], s[14:15]
	s_cbranch_execz .LBB459_106
; %bb.103:
	s_mov_b64 s[14:15], 0
	v_mov_b32_e32 v10, 0
.LBB459_104:                            ; =>This Inner Loop Header: Depth=1
	;;#ASMSTART
	global_load_dwordx4 v[6:9], v[30:31] off glc	
s_waitcnt vmcnt(0)
	;;#ASMEND
	v_cmp_ne_u16_sdwa s[18:19], v8, v10 src0_sel:BYTE_0 src1_sel:DWORD
	s_or_b64 s[14:15], s[18:19], s[14:15]
	s_andn2_b64 exec, exec, s[14:15]
	s_cbranch_execnz .LBB459_104
; %bb.105:
	s_or_b64 exec, exec, s[14:15]
.LBB459_106:
	s_or_b64 exec, exec, s[12:13]
	v_and_b32_e32 v94, 63, v85
	v_cmp_ne_u32_e32 vcc, 63, v94
	v_mov_b32_e32 v93, 2
	v_addc_co_u32_e32 v30, vcc, 0, v85, vcc
	v_cmp_eq_u16_sdwa s[12:13], v8, v93 src0_sel:BYTE_0 src1_sel:DWORD
	v_lshlrev_b64 v[10:11], v85, -1
	v_lshlrev_b32_e32 v95, 2, v30
	v_and_b32_e32 v9, s13, v11
	ds_bpermute_b32 v30, v95, v6
	ds_bpermute_b32 v31, v95, v7
	v_or_b32_e32 v9, 0x80000000, v9
	v_and_b32_e32 v29, s12, v10
	v_ffbl_b32_e32 v9, v9
	v_add_u32_e32 v9, 32, v9
	v_ffbl_b32_e32 v29, v29
	v_min_u32_e32 v9, v29, v9
	s_waitcnt lgkmcnt(1)
	v_add_u32_e32 v29, v30, v6
	s_waitcnt lgkmcnt(0)
	v_add_u32_e32 v30, v31, v7
	v_cmp_lt_u32_e32 vcc, v94, v9
	v_cndmask_b32_e32 v7, v7, v30, vcc
	v_cndmask_b32_e32 v6, v6, v29, vcc
	v_cmp_gt_u32_e32 vcc, 62, v94
	v_cndmask_b32_e64 v29, 0, 1, vcc
	v_lshlrev_b32_e32 v29, 1, v29
	v_add_lshl_u32 v96, v29, v85, 2
	ds_bpermute_b32 v29, v96, v6
	ds_bpermute_b32 v30, v96, v7
	v_add_u32_e32 v97, 2, v94
	v_cmp_gt_u32_e32 vcc, v97, v9
	v_add_u32_e32 v99, 4, v94
	s_waitcnt lgkmcnt(1)
	v_add_u32_e32 v29, v6, v29
	s_waitcnt lgkmcnt(0)
	v_add_u32_e32 v30, v7, v30
	v_cndmask_b32_e32 v7, v30, v7, vcc
	v_cndmask_b32_e32 v6, v29, v6, vcc
	v_cmp_gt_u32_e32 vcc, 60, v94
	v_cndmask_b32_e64 v29, 0, 1, vcc
	v_lshlrev_b32_e32 v29, 2, v29
	v_add_lshl_u32 v98, v29, v85, 2
	ds_bpermute_b32 v29, v98, v6
	ds_bpermute_b32 v30, v98, v7
	v_cmp_gt_u32_e32 vcc, v99, v9
	v_add_u32_e32 v101, 8, v94
	v_add_u32_e32 v103, 16, v94
	s_waitcnt lgkmcnt(1)
	v_add_u32_e32 v29, v6, v29
	s_waitcnt lgkmcnt(0)
	v_add_u32_e32 v30, v7, v30
	v_cndmask_b32_e32 v7, v30, v7, vcc
	v_cndmask_b32_e32 v6, v29, v6, vcc
	v_cmp_gt_u32_e32 vcc, 56, v94
	v_cndmask_b32_e64 v29, 0, 1, vcc
	v_lshlrev_b32_e32 v29, 3, v29
	v_add_lshl_u32 v100, v29, v85, 2
	ds_bpermute_b32 v29, v100, v6
	ds_bpermute_b32 v30, v100, v7
	v_cmp_gt_u32_e32 vcc, v101, v9
	v_add_u32_e32 v105, 32, v94
	s_waitcnt lgkmcnt(1)
	v_add_u32_e32 v29, v6, v29
	s_waitcnt lgkmcnt(0)
	v_add_u32_e32 v30, v7, v30
	v_cndmask_b32_e32 v7, v30, v7, vcc
	v_cndmask_b32_e32 v6, v29, v6, vcc
	v_cmp_gt_u32_e32 vcc, 48, v94
	v_cndmask_b32_e64 v29, 0, 1, vcc
	v_lshlrev_b32_e32 v29, 4, v29
	v_add_lshl_u32 v102, v29, v85, 2
	ds_bpermute_b32 v29, v102, v6
	ds_bpermute_b32 v30, v102, v7
	v_cmp_gt_u32_e32 vcc, v103, v9
	s_waitcnt lgkmcnt(1)
	v_add_u32_e32 v29, v6, v29
	s_waitcnt lgkmcnt(0)
	v_add_u32_e32 v30, v7, v30
	v_cndmask_b32_e32 v7, v30, v7, vcc
	v_cndmask_b32_e32 v6, v29, v6, vcc
	v_cmp_gt_u32_e32 vcc, 32, v94
	v_cndmask_b32_e64 v29, 0, 1, vcc
	v_lshlrev_b32_e32 v29, 5, v29
	v_add_lshl_u32 v104, v29, v85, 2
	ds_bpermute_b32 v29, v104, v6
	ds_bpermute_b32 v30, v104, v7
	v_cmp_le_u32_e32 vcc, v105, v9
	s_waitcnt lgkmcnt(1)
	v_cndmask_b32_e32 v9, 0, v29, vcc
	s_waitcnt lgkmcnt(0)
	v_cndmask_b32_e32 v29, 0, v30, vcc
	v_add_u32_e32 v7, v7, v29
	v_add_u32_e32 v6, v6, v9
	v_mov_b32_e32 v29, 0
	s_branch .LBB459_108
.LBB459_107:                            ;   in Loop: Header=BB459_108 Depth=1
	s_or_b64 exec, exec, s[12:13]
	v_cmp_eq_u16_sdwa s[12:13], v8, v93 src0_sel:BYTE_0 src1_sel:DWORD
	v_and_b32_e32 v9, s13, v11
	ds_bpermute_b32 v33, v95, v6
	ds_bpermute_b32 v106, v95, v7
	v_or_b32_e32 v9, 0x80000000, v9
	v_and_b32_e32 v32, s12, v10
	v_ffbl_b32_e32 v9, v9
	v_add_u32_e32 v9, 32, v9
	v_ffbl_b32_e32 v32, v32
	v_min_u32_e32 v9, v32, v9
	s_waitcnt lgkmcnt(1)
	v_add_u32_e32 v32, v33, v6
	s_waitcnt lgkmcnt(0)
	v_add_u32_e32 v33, v106, v7
	v_cmp_lt_u32_e32 vcc, v94, v9
	v_cndmask_b32_e32 v7, v7, v33, vcc
	v_cndmask_b32_e32 v6, v6, v32, vcc
	ds_bpermute_b32 v32, v96, v6
	ds_bpermute_b32 v33, v96, v7
	v_cmp_gt_u32_e32 vcc, v97, v9
	v_subrev_u32_e32 v28, 64, v28
	s_waitcnt lgkmcnt(1)
	v_add_u32_e32 v32, v6, v32
	s_waitcnt lgkmcnt(0)
	v_add_u32_e32 v33, v7, v33
	v_cndmask_b32_e32 v7, v33, v7, vcc
	v_cndmask_b32_e32 v6, v32, v6, vcc
	ds_bpermute_b32 v32, v98, v6
	ds_bpermute_b32 v33, v98, v7
	v_cmp_gt_u32_e32 vcc, v99, v9
	s_waitcnt lgkmcnt(1)
	v_add_u32_e32 v32, v6, v32
	s_waitcnt lgkmcnt(0)
	v_add_u32_e32 v33, v7, v33
	v_cndmask_b32_e32 v7, v33, v7, vcc
	v_cndmask_b32_e32 v6, v32, v6, vcc
	ds_bpermute_b32 v32, v100, v6
	ds_bpermute_b32 v33, v100, v7
	v_cmp_gt_u32_e32 vcc, v101, v9
	;; [unrolled: 9-line block ×3, first 2 shown]
	s_waitcnt lgkmcnt(1)
	v_add_u32_e32 v32, v6, v32
	s_waitcnt lgkmcnt(0)
	v_add_u32_e32 v33, v7, v33
	v_cndmask_b32_e32 v7, v33, v7, vcc
	v_cndmask_b32_e32 v6, v32, v6, vcc
	ds_bpermute_b32 v32, v104, v6
	ds_bpermute_b32 v33, v104, v7
	v_cmp_le_u32_e32 vcc, v105, v9
	s_waitcnt lgkmcnt(1)
	v_cndmask_b32_e32 v9, 0, v32, vcc
	s_waitcnt lgkmcnt(0)
	v_cndmask_b32_e32 v32, 0, v33, vcc
	v_add3_u32 v7, v32, v31, v7
	v_add3_u32 v6, v9, v30, v6
.LBB459_108:                            ; =>This Loop Header: Depth=1
                                        ;     Child Loop BB459_111 Depth 2
	v_cmp_ne_u16_sdwa s[12:13], v8, v93 src0_sel:BYTE_0 src1_sel:DWORD
	v_cndmask_b32_e64 v8, 0, 1, s[12:13]
	;;#ASMSTART
	;;#ASMEND
	v_cmp_ne_u32_e32 vcc, 0, v8
	s_cmp_lg_u64 vcc, exec
	v_pk_mov_b32 v[30:31], v[6:7], v[6:7] op_sel:[0,1]
	s_cbranch_scc1 .LBB459_113
; %bb.109:                              ;   in Loop: Header=BB459_108 Depth=1
	v_lshlrev_b64 v[6:7], 4, v[28:29]
	v_mov_b32_e32 v8, s51
	v_add_co_u32_e32 v32, vcc, s50, v6
	v_addc_co_u32_e32 v33, vcc, v8, v7, vcc
	;;#ASMSTART
	global_load_dwordx4 v[6:9], v[32:33] off glc	
s_waitcnt vmcnt(0)
	;;#ASMEND
	v_and_b32_e32 v9, 0xff, v7
	v_and_b32_e32 v106, 0xff00, v7
	v_or3_b32 v9, 0, v9, v106
	v_or3_b32 v6, v6, 0, 0
	v_and_b32_e32 v106, 0xff000000, v7
	v_and_b32_e32 v7, 0xff0000, v7
	v_or3_b32 v7, v9, v7, v106
	v_or3_b32 v6, v6, 0, 0
	v_cmp_eq_u16_sdwa s[14:15], v8, v29 src0_sel:BYTE_0 src1_sel:DWORD
	s_and_saveexec_b64 s[12:13], s[14:15]
	s_cbranch_execz .LBB459_107
; %bb.110:                              ;   in Loop: Header=BB459_108 Depth=1
	s_mov_b64 s[14:15], 0
.LBB459_111:                            ;   Parent Loop BB459_108 Depth=1
                                        ; =>  This Inner Loop Header: Depth=2
	;;#ASMSTART
	global_load_dwordx4 v[6:9], v[32:33] off glc	
s_waitcnt vmcnt(0)
	;;#ASMEND
	v_cmp_ne_u16_sdwa s[18:19], v8, v29 src0_sel:BYTE_0 src1_sel:DWORD
	s_or_b64 s[14:15], s[18:19], s[14:15]
	s_andn2_b64 exec, exec, s[14:15]
	s_cbranch_execnz .LBB459_111
; %bb.112:                              ;   in Loop: Header=BB459_108 Depth=1
	s_or_b64 exec, exec, s[14:15]
	s_branch .LBB459_107
.LBB459_113:                            ;   in Loop: Header=BB459_108 Depth=1
                                        ; implicit-def: $vgpr8
                                        ; implicit-def: $vgpr6_vgpr7
	s_cbranch_execz .LBB459_108
; %bb.114:
	s_and_saveexec_b64 s[12:13], s[8:9]
	s_cbranch_execz .LBB459_116
; %bb.115:
	s_add_i32 s14, s33, 64
	s_mov_b32 s15, 0
	v_add_u32_e32 v7, v31, v27
	s_lshl_b64 s[14:15], s[14:15], 4
	s_add_u32 s14, s50, s14
	v_and_b32_e32 v8, 0xff000000, v7
	v_and_b32_e32 v10, 0xff0000, v7
	s_addc_u32 s15, s51, s15
	v_or_b32_e32 v8, v10, v8
	v_and_b32_e32 v10, 0xff00, v7
	v_and_b32_e32 v7, 0xff, v7
	v_add_u32_e32 v6, v30, v26
	v_mov_b32_e32 v9, 0
	v_or3_b32 v7, v8, v10, v7
	v_mov_b32_e32 v8, 2
	v_pk_mov_b32 v[10:11], s[14:15], s[14:15] op_sel:[0,1]
	;;#ASMSTART
	global_store_dwordx4 v[10:11], v[6:9] off	
s_waitcnt vmcnt(0)
	;;#ASMEND
	s_movk_i32 s14, 0x3400
	v_add_u32_e64 v6, s14, 0
	ds_write2_b32 v6, v26, v27 offset1:2
	ds_write2_b32 v6, v30, v31 offset0:4 offset1:6
.LBB459_116:
	s_or_b64 exec, exec, s[12:13]
	s_and_b64 exec, exec, s[0:1]
	s_cbranch_execz .LBB459_118
; %bb.117:
	v_mov_b32_e32 v6, 0
	ds_write_b64 v6, v[30:31] offset:24
.LBB459_118:
	s_or_b64 exec, exec, s[10:11]
	v_mov_b32_e32 v6, 0
	s_waitcnt lgkmcnt(0)
	s_barrier
	ds_read_b64 v[10:11], v6 offset:24
	v_cndmask_b32_e64 v25, v92, v25, s[8:9]
	v_cndmask_b32_e64 v1, v1, v24, s[8:9]
	s_movk_i32 s8, 0x3400
	s_waitcnt lgkmcnt(0)
	v_add_u32_e32 v24, v10, v1
	v_add_u32_e64 v1, s8, 0
	s_barrier
	ds_read2_b32 v[6:7], v1 offset1:2
	ds_read2_b32 v[8:9], v1 offset0:4 offset1:6
	v_add_u32_e32 v1, v11, v25
	v_cndmask_b32_e64 v1, v1, v11, s[0:1]
	v_cndmask_b32_e64 v10, v24, v10, s[0:1]
	s_branch .LBB459_129
.LBB459_119:
                                        ; implicit-def: $vgpr1
                                        ; implicit-def: $vgpr8
                                        ; implicit-def: $vgpr6
                                        ; implicit-def: $vgpr10_vgpr11
	s_cbranch_execz .LBB459_129
; %bb.120:
	s_nop 0
	v_mov_b32_dpp v1, v90 row_shr:1 row_mask:0xf bank_mask:0xf
	s_waitcnt lgkmcnt(1)
	v_mov_b32_dpp v6, v91 row_shr:1 row_mask:0xf bank_mask:0xf
	v_add_u32_e32 v1, v1, v90
	v_add_u32_e32 v6, v6, v91
	v_cndmask_b32_e64 v6, v6, v91, s[6:7]
	v_cndmask_b32_e64 v1, v1, v90, s[6:7]
	v_cmp_lt_u32_e32 vcc, 3, v89
	s_waitcnt lgkmcnt(0)
	v_mov_b32_dpp v8, v6 row_shr:2 row_mask:0xf bank_mask:0xf
	v_mov_b32_dpp v7, v1 row_shr:2 row_mask:0xf bank_mask:0xf
	v_add_u32_e32 v7, v1, v7
	v_add_u32_e32 v8, v6, v8
	v_cndmask_b32_e64 v6, v6, v8, s[4:5]
	v_cndmask_b32_e64 v1, v1, v7, s[4:5]
	s_nop 0
	v_mov_b32_dpp v8, v6 row_shr:4 row_mask:0xf bank_mask:0xf
	v_mov_b32_dpp v7, v1 row_shr:4 row_mask:0xf bank_mask:0xf
	v_add_u32_e32 v7, v1, v7
	v_add_u32_e32 v8, v6, v8
	v_cndmask_b32_e32 v6, v6, v8, vcc
	v_cndmask_b32_e32 v1, v1, v7, vcc
	v_cmp_lt_u32_e32 vcc, 7, v89
	v_mov_b32_dpp v8, v6 row_shr:8 row_mask:0xf bank_mask:0xf
	v_mov_b32_dpp v7, v1 row_shr:8 row_mask:0xf bank_mask:0xf
	v_add_u32_e32 v7, v1, v7
	v_add_u32_e32 v8, v6, v8
	v_cndmask_b32_e32 v6, v6, v8, vcc
	v_cndmask_b32_e32 v1, v1, v7, vcc
	v_cmp_eq_u32_e32 vcc, 0, v88
	v_mov_b32_dpp v8, v6 row_bcast:15 row_mask:0xf bank_mask:0xf
	v_mov_b32_dpp v7, v1 row_bcast:15 row_mask:0xf bank_mask:0xf
	v_add_u32_e32 v7, v1, v7
	v_add_u32_e32 v8, v6, v8
	v_cndmask_b32_e32 v6, v8, v6, vcc
	v_cndmask_b32_e32 v1, v7, v1, vcc
	v_cmp_lt_u32_e32 vcc, 31, v85
	v_mov_b32_dpp v8, v6 row_bcast:31 row_mask:0xf bank_mask:0xf
	v_mov_b32_dpp v7, v1 row_bcast:31 row_mask:0xf bank_mask:0xf
	v_add_u32_e32 v8, v6, v8
	v_add_u32_e32 v9, v1, v7
	v_cndmask_b32_e32 v7, v6, v8, vcc
	v_cndmask_b32_e32 v6, v1, v9, vcc
	v_cmp_eq_u32_e32 vcc, v87, v0
	s_and_saveexec_b64 s[4:5], vcc
	s_cbranch_execz .LBB459_122
; %bb.121:
	v_lshlrev_b32_e32 v1, 3, v86
	ds_write_b64 v1, v[6:7]
.LBB459_122:
	s_or_b64 exec, exec, s[4:5]
	v_cmp_gt_u32_e32 vcc, 4, v0
	s_waitcnt lgkmcnt(0)
	s_barrier
	s_and_saveexec_b64 s[4:5], vcc
	s_cbranch_execz .LBB459_124
; %bb.123:
	v_lshlrev_b32_e32 v1, 3, v0
	ds_read_b64 v[8:9], v1
	v_and_b32_e32 v10, 3, v85
	v_cmp_eq_u32_e32 vcc, 0, v10
	s_waitcnt lgkmcnt(0)
	v_mov_b32_dpp v11, v8 row_shr:1 row_mask:0xf bank_mask:0xf
	v_mov_b32_dpp v24, v9 row_shr:1 row_mask:0xf bank_mask:0xf
	v_add_u32_e32 v11, v11, v8
	v_add_u32_e32 v24, v24, v9
	v_cndmask_b32_e32 v9, v24, v9, vcc
	v_cndmask_b32_e32 v8, v11, v8, vcc
	v_cmp_lt_u32_e32 vcc, 1, v10
	v_mov_b32_dpp v24, v9 row_shr:2 row_mask:0xf bank_mask:0xf
	v_mov_b32_dpp v11, v8 row_shr:2 row_mask:0xf bank_mask:0xf
	v_cndmask_b32_e32 v10, 0, v11, vcc
	v_cndmask_b32_e32 v11, 0, v24, vcc
	v_add_u32_e32 v9, v11, v9
	v_add_u32_e32 v8, v10, v8
	ds_write_b64 v1, v[8:9]
.LBB459_124:
	s_or_b64 exec, exec, s[4:5]
	v_cmp_lt_u32_e32 vcc, 63, v0
	v_mov_b32_e32 v8, 0
	v_mov_b32_e32 v10, 0
	;; [unrolled: 1-line block ×3, first 2 shown]
	s_waitcnt lgkmcnt(0)
	s_barrier
	s_and_saveexec_b64 s[4:5], vcc
	s_cbranch_execz .LBB459_126
; %bb.125:
	v_lshl_add_u32 v1, v86, 3, -8
	ds_read_b64 v[10:11], v1
.LBB459_126:
	s_or_b64 exec, exec, s[4:5]
	s_waitcnt lgkmcnt(0)
	v_add_u32_e32 v9, v11, v7
	v_add_u32_e32 v1, v10, v6
	v_add_u32_e32 v6, -1, v85
	v_and_b32_e32 v7, 64, v85
	v_cmp_lt_i32_e32 vcc, v6, v7
	v_cndmask_b32_e32 v6, v6, v85, vcc
	v_lshlrev_b32_e32 v24, 2, v6
	ds_read_b64 v[6:7], v8 offset:24
	ds_bpermute_b32 v1, v24, v1
	ds_bpermute_b32 v24, v24, v9
	s_waitcnt lgkmcnt(2)
	v_readfirstlane_b32 s6, v7
	s_and_saveexec_b64 s[4:5], s[0:1]
	s_cbranch_execz .LBB459_128
; %bb.127:
	s_add_u32 s8, s50, 0x400
	s_mov_b32 s10, 0
	s_addc_u32 s9, s51, 0
	s_and_b32 s11, s6, 0xff000000
	s_and_b32 s13, s6, 0xff0000
	s_mov_b32 s12, s10
	s_or_b64 s[12:13], s[12:13], s[10:11]
	s_and_b32 s11, s6, 0xff00
	s_or_b64 s[12:13], s[12:13], s[10:11]
	s_and_b32 s11, s6, 0xff
	s_or_b64 s[10:11], s[12:13], s[10:11]
	v_mov_b32_e32 v7, s11
	v_mov_b32_e32 v8, 2
	;; [unrolled: 1-line block ×3, first 2 shown]
	v_pk_mov_b32 v[26:27], s[8:9], s[8:9] op_sel:[0,1]
	;;#ASMSTART
	global_store_dwordx4 v[26:27], v[6:9] off	
s_waitcnt vmcnt(0)
	;;#ASMEND
.LBB459_128:
	s_or_b64 exec, exec, s[4:5]
	v_cmp_eq_u32_e32 vcc, 0, v85
	s_waitcnt lgkmcnt(1)
	v_cndmask_b32_e32 v7, v1, v10, vcc
	s_waitcnt lgkmcnt(0)
	v_cndmask_b32_e32 v1, v24, v11, vcc
	v_mov_b32_e32 v8, 0
	v_cndmask_b32_e64 v1, v1, 0, s[0:1]
	v_cndmask_b32_e64 v10, v7, 0, s[0:1]
	s_barrier
	v_mov_b32_e32 v7, s6
	v_mov_b32_e32 v9, 0
.LBB459_129:
	v_add_u32_e32 v11, v10, v67
	v_add_u32_e32 v26, v1, v68
	;; [unrolled: 1-line block ×13, first 2 shown]
	s_waitcnt vmcnt(0) lgkmcnt(0)
	v_add_co_u32_e32 v2, vcc, v2, v8
	v_add_u32_e32 v68, v62, v74
	v_add_u32_e32 v64, v67, v64
	v_addc_co_u32_e32 v3, vcc, 0, v3, vcc
	v_add_u32_e32 v69, v68, v82
	v_add_u32_e32 v70, v64, v75
	v_sub_co_u32_e32 v24, vcc, v4, v6
	v_add_u32_e32 v71, v69, v76
	v_add_u32_e32 v65, v70, v65
	v_subbrev_co_u32_e32 v25, vcc, 0, v5, vcc
	v_lshlrev_b32_e32 v76, 1, v6
	v_sub_u32_e32 v1, v1, v9
	v_add_u32_e32 v73, v65, v77
	v_add_co_u32_e32 v24, vcc, v24, v9
	v_add_u32_e32 v77, v76, v7
	v_sub_u32_e32 v10, v10, v8
	v_add_u32_e32 v1, v1, v6
	v_addc_co_u32_e32 v25, vcc, 0, v25, vcc
	v_add_u32_e32 v36, v77, v36
	v_and_b32_e32 v38, 1, v38
	v_add_u32_e32 v77, v10, v1
	v_and_b32_e32 v37, 1, v37
	v_sub_u32_e32 v77, v36, v77
	v_cmp_eq_u32_e32 vcc, 1, v38
	v_cndmask_b32_e32 v1, v77, v1, vcc
	v_cmp_eq_u32_e32 vcc, 1, v37
	v_cndmask_b32_e32 v1, v1, v10, vcc
	v_lshlrev_b32_e32 v1, 2, v1
	ds_write_b32 v1, v22
	v_sub_u32_e32 v1, v11, v8
	v_sub_u32_e32 v11, v26, v9
	v_add_u32_e32 v11, v11, v6
	v_add_u32_e32 v26, v11, v1
	v_and_b32_e32 v22, 1, v40
	v_sub_u32_e32 v26, v36, v26
	v_and_b32_e32 v10, 1, v39
	v_add_u32_e32 v26, 1, v26
	v_cmp_eq_u32_e32 vcc, 1, v22
	v_cndmask_b32_e32 v11, v26, v11, vcc
	v_cmp_eq_u32_e32 vcc, 1, v10
	v_cndmask_b32_e32 v1, v11, v1, vcc
	v_lshlrev_b32_e32 v1, 2, v1
	v_sub_u32_e32 v11, v27, v9
	ds_write_b32 v1, v23
	v_sub_u32_e32 v1, v28, v8
	v_add_u32_e32 v11, v11, v6
	v_add_u32_e32 v23, v11, v1
	v_and_b32_e32 v22, 1, v42
	v_sub_u32_e32 v23, v36, v23
	v_and_b32_e32 v10, 1, v41
	v_add_u32_e32 v23, 2, v23
	v_cmp_eq_u32_e32 vcc, 1, v22
	v_cndmask_b32_e32 v11, v23, v11, vcc
	v_cmp_eq_u32_e32 vcc, 1, v10
	v_cndmask_b32_e32 v1, v11, v1, vcc
	v_lshlrev_b32_e32 v1, 2, v1
	v_sub_u32_e32 v11, v30, v9
	ds_write_b32 v1, v20
	;; [unrolled: 14-line block ×8, first 2 shown]
	v_sub_u32_e32 v1, v70, v8
	v_add_u32_e32 v11, v11, v6
	v_add_u32_e32 v16, v1, v11
	v_and_b32_e32 v14, 1, v55
	v_sub_u32_e32 v16, v36, v16
	v_and_b32_e32 v10, 1, v56
	v_add_u32_e32 v16, 9, v16
	v_cmp_eq_u32_e32 vcc, 1, v14
	v_cndmask_b32_e32 v11, v16, v11, vcc
	v_cmp_eq_u32_e32 vcc, 1, v10
	v_add_u32_e32 v72, v71, v83
	v_cndmask_b32_e32 v1, v11, v1, vcc
	v_lshlrev_b32_e32 v1, 2, v1
	v_sub_u32_e32 v11, v72, v9
	ds_write_b32 v1, v15
	v_sub_u32_e32 v1, v65, v8
	v_add_u32_e32 v11, v11, v6
	v_add_u32_e32 v15, v1, v11
	v_and_b32_e32 v14, 1, v57
	v_sub_u32_e32 v15, v36, v15
	v_and_b32_e32 v10, 1, v58
	v_add_u32_e32 v15, 10, v15
	v_cmp_eq_u32_e32 vcc, 1, v14
	v_cndmask_b32_e32 v11, v15, v11, vcc
	v_cmp_eq_u32_e32 vcc, 1, v10
	v_add_u32_e32 v74, v72, v78
	v_cndmask_b32_e32 v1, v11, v1, vcc
	v_lshlrev_b32_e32 v1, 2, v1
	v_sub_u32_e32 v11, v74, v9
	ds_write_b32 v1, v12
	v_sub_u32_e32 v1, v73, v8
	v_add_u32_e32 v11, v11, v6
	v_add_u32_e32 v14, v1, v11
	v_and_b32_e32 v12, 1, v59
	v_sub_u32_e32 v14, v36, v14
	v_and_b32_e32 v10, 1, v60
	v_add_u32_e32 v14, 11, v14
	v_cmp_eq_u32_e32 vcc, 1, v12
	v_cndmask_b32_e32 v11, v14, v11, vcc
	v_cmp_eq_u32_e32 vcc, 1, v10
	v_cndmask_b32_e32 v1, v11, v1, vcc
	v_add_u32_e32 v75, v74, v84
	v_add_u32_e32 v66, v73, v66
	v_lshlrev_b32_e32 v1, 2, v1
	ds_write_b32 v1, v13
	v_sub_u32_e32 v1, v66, v8
	v_sub_u32_e32 v8, v75, v9
	v_add_u32_e32 v8, v8, v6
	v_add_u32_e32 v10, v1, v8
	v_sub_u32_e32 v10, v36, v10
	v_add_u32_e32 v10, 12, v10
	v_cndmask_b32_e64 v8, v10, v8, s[54:55]
	v_cndmask_b32_e64 v1, v8, v1, s[52:53]
	v_lshlrev_b32_e32 v1, 2, v1
	ds_write_b32 v1, v35
	v_mov_b32_e32 v1, s49
	v_add_co_u32_e32 v8, vcc, s48, v34
	v_addc_co_u32_e32 v10, vcc, 0, v1, vcc
	v_add_co_u32_e32 v1, vcc, v7, v76
	v_addc_co_u32_e64 v11, s[4:5], 0, 0, vcc
	v_add_co_u32_e32 v1, vcc, v1, v24
	v_addc_co_u32_e32 v11, vcc, v11, v25, vcc
	v_add_co_u32_e32 v1, vcc, v1, v2
	v_addc_co_u32_e32 v11, vcc, v11, v3, vcc
	v_sub_co_u32_e32 v1, vcc, v8, v1
	v_subb_co_u32_e32 v8, vcc, v10, v11, vcc
	v_lshlrev_b64 v[10:11], 2, v[24:25]
	v_mov_b32_e32 v12, s47
	v_add_co_u32_e32 v10, vcc, s46, v10
	v_addc_co_u32_e32 v11, vcc, v12, v11, vcc
	v_lshlrev_b64 v[12:13], 2, v[2:3]
	v_mov_b32_e32 v15, s45
	v_add_co_u32_e32 v12, vcc, s44, v12
	s_add_u32 s8, s34, -4
	v_addc_co_u32_e32 v13, vcc, v15, v13, vcc
	s_addc_u32 s9, s35, -1
	v_add_u32_e32 v14, v6, v7
	s_and_b64 vcc, exec, s[2:3]
	s_mov_b64 s[2:3], -1
	s_waitcnt lgkmcnt(0)
	s_barrier
	s_cbranch_vccz .LBB459_133
; %bb.130:
	s_and_b64 vcc, exec, s[2:3]
	s_cbranch_vccnz .LBB459_238
.LBB459_131:
	s_and_b64 s[0:1], s[0:1], s[30:31]
	s_and_saveexec_b64 s[2:3], s[0:1]
	s_cbranch_execnz .LBB459_356
.LBB459_132:
	s_endpgm
.LBB459_133:
	v_cmp_le_u32_e32 vcc, v6, v0
	s_and_saveexec_b64 s[2:3], vcc
	s_xor_b64 s[2:3], exec, s[2:3]
	s_cbranch_execz .LBB459_139
; %bb.134:
	v_cmp_le_u32_e32 vcc, v14, v0
	s_and_saveexec_b64 s[4:5], vcc
	s_xor_b64 s[4:5], exec, s[4:5]
	s_cbranch_execz .LBB459_136
; %bb.135:
	v_lshlrev_b32_e32 v15, 2, v0
	v_add_co_u32_e32 v16, vcc, v1, v0
	ds_read_b32 v15, v15
	v_addc_co_u32_e32 v17, vcc, 0, v8, vcc
	v_lshlrev_b64 v[16:17], 2, v[16:17]
	v_mov_b32_e32 v18, s35
	v_sub_co_u32_e32 v16, vcc, s34, v16
	v_subb_co_u32_e32 v17, vcc, v18, v17, vcc
	s_waitcnt lgkmcnt(0)
	global_store_dword v[16:17], v15, off offset:-4
.LBB459_136:
	s_andn2_saveexec_b64 s[4:5], s[4:5]
	s_cbranch_execz .LBB459_138
; %bb.137:
	v_lshlrev_b32_e32 v15, 2, v0
	ds_read_b32 v16, v15
	v_readfirstlane_b32 s6, v10
	v_readfirstlane_b32 s7, v11
	s_waitcnt lgkmcnt(0)
	s_nop 3
	global_store_dword v15, v16, s[6:7]
.LBB459_138:
	s_or_b64 exec, exec, s[4:5]
.LBB459_139:
	s_andn2_saveexec_b64 s[2:3], s[2:3]
	s_cbranch_execz .LBB459_141
; %bb.140:
	v_lshlrev_b32_e32 v15, 2, v0
	ds_read_b32 v16, v15
	v_readfirstlane_b32 s4, v12
	v_readfirstlane_b32 s5, v13
	s_waitcnt lgkmcnt(0)
	s_nop 3
	global_store_dword v15, v16, s[4:5]
.LBB459_141:
	s_or_b64 exec, exec, s[2:3]
	v_or_b32_e32 v15, 0x100, v0
	v_cmp_le_u32_e32 vcc, v6, v15
	s_and_saveexec_b64 s[2:3], vcc
	s_xor_b64 s[2:3], exec, s[2:3]
	s_cbranch_execz .LBB459_147
; %bb.142:
	v_cmp_le_u32_e32 vcc, v14, v15
	s_and_saveexec_b64 s[4:5], vcc
	s_xor_b64 s[4:5], exec, s[4:5]
	s_cbranch_execz .LBB459_144
; %bb.143:
	v_lshlrev_b32_e32 v15, 2, v0
	ds_read_b32 v15, v15 offset:1024
	v_add_co_u32_e32 v16, vcc, v1, v0
	v_addc_co_u32_e32 v17, vcc, 0, v8, vcc
	v_lshlrev_b64 v[16:17], 2, v[16:17]
	v_mov_b32_e32 v18, s9
	v_sub_co_u32_e32 v16, vcc, s8, v16
	v_subb_co_u32_e32 v17, vcc, v18, v17, vcc
	s_waitcnt lgkmcnt(0)
	global_store_dword v[16:17], v15, off offset:-1024
.LBB459_144:
	s_andn2_saveexec_b64 s[4:5], s[4:5]
	s_cbranch_execz .LBB459_146
; %bb.145:
	v_lshlrev_b32_e32 v15, 2, v0
	ds_read_b32 v16, v15 offset:1024
	v_readfirstlane_b32 s6, v10
	v_readfirstlane_b32 s7, v11
	s_waitcnt lgkmcnt(0)
	s_nop 3
	global_store_dword v15, v16, s[6:7] offset:1024
.LBB459_146:
	s_or_b64 exec, exec, s[4:5]
.LBB459_147:
	s_andn2_saveexec_b64 s[2:3], s[2:3]
	s_cbranch_execz .LBB459_149
; %bb.148:
	v_lshlrev_b32_e32 v15, 2, v0
	ds_read_b32 v16, v15 offset:1024
	v_readfirstlane_b32 s4, v12
	v_readfirstlane_b32 s5, v13
	s_waitcnt lgkmcnt(0)
	s_nop 3
	global_store_dword v15, v16, s[4:5] offset:1024
.LBB459_149:
	s_or_b64 exec, exec, s[2:3]
	v_or_b32_e32 v15, 0x200, v0
	v_cmp_le_u32_e32 vcc, v6, v15
	s_and_saveexec_b64 s[2:3], vcc
	s_xor_b64 s[2:3], exec, s[2:3]
	s_cbranch_execz .LBB459_155
; %bb.150:
	v_cmp_le_u32_e32 vcc, v14, v15
	s_and_saveexec_b64 s[4:5], vcc
	s_xor_b64 s[4:5], exec, s[4:5]
	s_cbranch_execz .LBB459_152
; %bb.151:
	v_lshlrev_b32_e32 v15, 2, v0
	ds_read_b32 v15, v15 offset:2048
	v_add_co_u32_e32 v16, vcc, v1, v0
	v_addc_co_u32_e32 v17, vcc, 0, v8, vcc
	v_lshlrev_b64 v[16:17], 2, v[16:17]
	v_mov_b32_e32 v18, s9
	v_sub_co_u32_e32 v16, vcc, s8, v16
	v_subb_co_u32_e32 v17, vcc, v18, v17, vcc
	s_waitcnt lgkmcnt(0)
	global_store_dword v[16:17], v15, off offset:-2048
.LBB459_152:
	s_andn2_saveexec_b64 s[4:5], s[4:5]
	s_cbranch_execz .LBB459_154
; %bb.153:
	v_lshlrev_b32_e32 v15, 2, v0
	ds_read_b32 v16, v15 offset:2048
	v_readfirstlane_b32 s6, v10
	v_readfirstlane_b32 s7, v11
	s_waitcnt lgkmcnt(0)
	s_nop 3
	global_store_dword v15, v16, s[6:7] offset:2048
.LBB459_154:
	s_or_b64 exec, exec, s[4:5]
.LBB459_155:
	s_andn2_saveexec_b64 s[2:3], s[2:3]
	s_cbranch_execz .LBB459_157
; %bb.156:
	v_lshlrev_b32_e32 v15, 2, v0
	ds_read_b32 v16, v15 offset:2048
	v_readfirstlane_b32 s4, v12
	v_readfirstlane_b32 s5, v13
	s_waitcnt lgkmcnt(0)
	s_nop 3
	global_store_dword v15, v16, s[4:5] offset:2048
.LBB459_157:
	;; [unrolled: 47-line block ×3, first 2 shown]
	s_or_b64 exec, exec, s[2:3]
	v_or_b32_e32 v15, 0x400, v0
	v_cmp_le_u32_e32 vcc, v6, v15
	s_and_saveexec_b64 s[2:3], vcc
	s_xor_b64 s[2:3], exec, s[2:3]
	s_cbranch_execz .LBB459_171
; %bb.166:
	v_cmp_le_u32_e32 vcc, v14, v15
	s_and_saveexec_b64 s[4:5], vcc
	s_xor_b64 s[4:5], exec, s[4:5]
	s_cbranch_execz .LBB459_168
; %bb.167:
	v_lshlrev_b32_e32 v15, 2, v0
	ds_read_b32 v15, v15 offset:4096
	v_add_co_u32_e32 v16, vcc, v1, v0
	v_addc_co_u32_e32 v17, vcc, 0, v8, vcc
	v_lshlrev_b64 v[16:17], 2, v[16:17]
	v_mov_b32_e32 v18, s9
	v_sub_co_u32_e32 v16, vcc, s8, v16
	v_subb_co_u32_e32 v17, vcc, v18, v17, vcc
	s_waitcnt lgkmcnt(0)
	global_store_dword v[16:17], v15, off offset:-4096
                                        ; implicit-def: $vgpr15
.LBB459_168:
	s_andn2_saveexec_b64 s[4:5], s[4:5]
	s_cbranch_execz .LBB459_170
; %bb.169:
	v_lshlrev_b32_e32 v16, 2, v0
	ds_read_b32 v16, v16 offset:4096
	v_lshlrev_b32_e32 v15, 2, v15
	v_readfirstlane_b32 s6, v10
	v_readfirstlane_b32 s7, v11
	s_waitcnt lgkmcnt(0)
	s_nop 3
	global_store_dword v15, v16, s[6:7]
.LBB459_170:
	s_or_b64 exec, exec, s[4:5]
                                        ; implicit-def: $vgpr15
.LBB459_171:
	s_andn2_saveexec_b64 s[2:3], s[2:3]
	s_cbranch_execz .LBB459_173
; %bb.172:
	v_lshlrev_b32_e32 v16, 2, v0
	ds_read_b32 v16, v16 offset:4096
	v_lshlrev_b32_e32 v15, 2, v15
	v_readfirstlane_b32 s4, v12
	v_readfirstlane_b32 s5, v13
	s_waitcnt lgkmcnt(0)
	s_nop 3
	global_store_dword v15, v16, s[4:5]
.LBB459_173:
	s_or_b64 exec, exec, s[2:3]
	v_or_b32_e32 v15, 0x500, v0
	v_cmp_le_u32_e32 vcc, v6, v15
	s_and_saveexec_b64 s[2:3], vcc
	s_xor_b64 s[2:3], exec, s[2:3]
	s_cbranch_execz .LBB459_179
; %bb.174:
	v_cmp_le_u32_e32 vcc, v14, v15
	s_and_saveexec_b64 s[4:5], vcc
	s_xor_b64 s[4:5], exec, s[4:5]
	s_cbranch_execz .LBB459_176
; %bb.175:
	v_add_co_u32_e32 v16, vcc, v1, v15
	v_lshlrev_b32_e32 v15, 2, v0
	ds_read_b32 v15, v15 offset:5120
	v_addc_co_u32_e32 v17, vcc, 0, v8, vcc
	v_lshlrev_b64 v[16:17], 2, v[16:17]
	v_mov_b32_e32 v18, s9
	v_sub_co_u32_e32 v16, vcc, s8, v16
	v_subb_co_u32_e32 v17, vcc, v18, v17, vcc
	s_waitcnt lgkmcnt(0)
	global_store_dword v[16:17], v15, off
                                        ; implicit-def: $vgpr15
.LBB459_176:
	s_andn2_saveexec_b64 s[4:5], s[4:5]
	s_cbranch_execz .LBB459_178
; %bb.177:
	v_lshlrev_b32_e32 v16, 2, v0
	ds_read_b32 v16, v16 offset:5120
	v_lshlrev_b32_e32 v15, 2, v15
	v_readfirstlane_b32 s6, v10
	v_readfirstlane_b32 s7, v11
	s_waitcnt lgkmcnt(0)
	s_nop 3
	global_store_dword v15, v16, s[6:7]
.LBB459_178:
	s_or_b64 exec, exec, s[4:5]
                                        ; implicit-def: $vgpr15
.LBB459_179:
	s_andn2_saveexec_b64 s[2:3], s[2:3]
	s_cbranch_execz .LBB459_181
; %bb.180:
	v_lshlrev_b32_e32 v16, 2, v0
	ds_read_b32 v16, v16 offset:5120
	v_lshlrev_b32_e32 v15, 2, v15
	v_readfirstlane_b32 s4, v12
	v_readfirstlane_b32 s5, v13
	s_waitcnt lgkmcnt(0)
	s_nop 3
	global_store_dword v15, v16, s[4:5]
.LBB459_181:
	s_or_b64 exec, exec, s[2:3]
	v_or_b32_e32 v15, 0x600, v0
	v_cmp_le_u32_e32 vcc, v6, v15
	s_and_saveexec_b64 s[2:3], vcc
	s_xor_b64 s[2:3], exec, s[2:3]
	s_cbranch_execz .LBB459_187
; %bb.182:
	v_cmp_le_u32_e32 vcc, v14, v15
	s_and_saveexec_b64 s[4:5], vcc
	s_xor_b64 s[4:5], exec, s[4:5]
	s_cbranch_execz .LBB459_184
; %bb.183:
	v_add_co_u32_e32 v16, vcc, v1, v15
	v_lshlrev_b32_e32 v15, 2, v0
	ds_read_b32 v15, v15 offset:6144
	v_addc_co_u32_e32 v17, vcc, 0, v8, vcc
	v_lshlrev_b64 v[16:17], 2, v[16:17]
	v_mov_b32_e32 v18, s9
	v_sub_co_u32_e32 v16, vcc, s8, v16
	v_subb_co_u32_e32 v17, vcc, v18, v17, vcc
	s_waitcnt lgkmcnt(0)
	global_store_dword v[16:17], v15, off
                                        ; implicit-def: $vgpr15
.LBB459_184:
	s_andn2_saveexec_b64 s[4:5], s[4:5]
	s_cbranch_execz .LBB459_186
; %bb.185:
	v_lshlrev_b32_e32 v16, 2, v0
	ds_read_b32 v16, v16 offset:6144
	v_lshlrev_b32_e32 v15, 2, v15
	v_readfirstlane_b32 s6, v10
	v_readfirstlane_b32 s7, v11
	s_waitcnt lgkmcnt(0)
	s_nop 3
	global_store_dword v15, v16, s[6:7]
.LBB459_186:
	s_or_b64 exec, exec, s[4:5]
                                        ; implicit-def: $vgpr15
.LBB459_187:
	;; [unrolled: 51-line block ×8, first 2 shown]
	s_andn2_saveexec_b64 s[2:3], s[2:3]
	s_cbranch_execz .LBB459_237
; %bb.236:
	v_lshlrev_b32_e32 v16, 2, v0
	ds_read_b32 v16, v16 offset:12288
	v_lshlrev_b32_e32 v15, 2, v15
	v_readfirstlane_b32 s4, v12
	v_readfirstlane_b32 s5, v13
	s_waitcnt lgkmcnt(0)
	s_nop 3
	global_store_dword v15, v16, s[4:5]
.LBB459_237:
	s_or_b64 exec, exec, s[2:3]
	s_branch .LBB459_131
.LBB459_238:
	v_cmp_gt_u32_e32 vcc, s16, v0
	s_and_saveexec_b64 s[2:3], vcc
	s_cbranch_execz .LBB459_247
; %bb.239:
	v_cmp_le_u32_e32 vcc, v6, v0
	s_and_saveexec_b64 s[4:5], vcc
	s_xor_b64 s[4:5], exec, s[4:5]
	s_cbranch_execz .LBB459_245
; %bb.240:
	v_cmp_le_u32_e32 vcc, v14, v0
	s_and_saveexec_b64 s[6:7], vcc
	s_xor_b64 s[6:7], exec, s[6:7]
	s_cbranch_execz .LBB459_242
; %bb.241:
	v_lshlrev_b32_e32 v15, 2, v0
	v_add_co_u32_e32 v16, vcc, v1, v0
	ds_read_b32 v15, v15
	v_addc_co_u32_e32 v17, vcc, 0, v8, vcc
	v_lshlrev_b64 v[16:17], 2, v[16:17]
	v_mov_b32_e32 v18, s35
	v_sub_co_u32_e32 v16, vcc, s34, v16
	v_subb_co_u32_e32 v17, vcc, v18, v17, vcc
	s_waitcnt lgkmcnt(0)
	global_store_dword v[16:17], v15, off offset:-4
.LBB459_242:
	s_andn2_saveexec_b64 s[6:7], s[6:7]
	s_cbranch_execz .LBB459_244
; %bb.243:
	v_lshlrev_b32_e32 v15, 2, v0
	ds_read_b32 v16, v15
	v_readfirstlane_b32 s10, v10
	v_readfirstlane_b32 s11, v11
	s_waitcnt lgkmcnt(0)
	s_nop 3
	global_store_dword v15, v16, s[10:11]
.LBB459_244:
	s_or_b64 exec, exec, s[6:7]
.LBB459_245:
	s_andn2_saveexec_b64 s[4:5], s[4:5]
	s_cbranch_execz .LBB459_247
; %bb.246:
	v_lshlrev_b32_e32 v15, 2, v0
	ds_read_b32 v16, v15
	v_readfirstlane_b32 s4, v12
	v_readfirstlane_b32 s5, v13
	s_waitcnt lgkmcnt(0)
	s_nop 3
	global_store_dword v15, v16, s[4:5]
.LBB459_247:
	s_or_b64 exec, exec, s[2:3]
	v_or_b32_e32 v15, 0x100, v0
	v_cmp_gt_u32_e32 vcc, s16, v15
	s_and_saveexec_b64 s[2:3], vcc
	s_cbranch_execz .LBB459_256
; %bb.248:
	v_cmp_le_u32_e32 vcc, v6, v15
	s_and_saveexec_b64 s[4:5], vcc
	s_xor_b64 s[4:5], exec, s[4:5]
	s_cbranch_execz .LBB459_254
; %bb.249:
	v_cmp_le_u32_e32 vcc, v14, v15
	s_and_saveexec_b64 s[6:7], vcc
	s_xor_b64 s[6:7], exec, s[6:7]
	s_cbranch_execz .LBB459_251
; %bb.250:
	v_lshlrev_b32_e32 v15, 2, v0
	ds_read_b32 v15, v15 offset:1024
	v_add_co_u32_e32 v16, vcc, v1, v0
	v_addc_co_u32_e32 v17, vcc, 0, v8, vcc
	v_lshlrev_b64 v[16:17], 2, v[16:17]
	v_mov_b32_e32 v18, s9
	v_sub_co_u32_e32 v16, vcc, s8, v16
	v_subb_co_u32_e32 v17, vcc, v18, v17, vcc
	s_waitcnt lgkmcnt(0)
	global_store_dword v[16:17], v15, off offset:-1024
.LBB459_251:
	s_andn2_saveexec_b64 s[6:7], s[6:7]
	s_cbranch_execz .LBB459_253
; %bb.252:
	v_lshlrev_b32_e32 v15, 2, v0
	ds_read_b32 v16, v15 offset:1024
	v_readfirstlane_b32 s10, v10
	v_readfirstlane_b32 s11, v11
	s_waitcnt lgkmcnt(0)
	s_nop 3
	global_store_dword v15, v16, s[10:11] offset:1024
.LBB459_253:
	s_or_b64 exec, exec, s[6:7]
.LBB459_254:
	s_andn2_saveexec_b64 s[4:5], s[4:5]
	s_cbranch_execz .LBB459_256
; %bb.255:
	v_lshlrev_b32_e32 v15, 2, v0
	ds_read_b32 v16, v15 offset:1024
	v_readfirstlane_b32 s4, v12
	v_readfirstlane_b32 s5, v13
	s_waitcnt lgkmcnt(0)
	s_nop 3
	global_store_dword v15, v16, s[4:5] offset:1024
.LBB459_256:
	s_or_b64 exec, exec, s[2:3]
	v_or_b32_e32 v15, 0x200, v0
	v_cmp_gt_u32_e32 vcc, s16, v15
	s_and_saveexec_b64 s[2:3], vcc
	s_cbranch_execz .LBB459_265
; %bb.257:
	v_cmp_le_u32_e32 vcc, v6, v15
	s_and_saveexec_b64 s[4:5], vcc
	s_xor_b64 s[4:5], exec, s[4:5]
	s_cbranch_execz .LBB459_263
; %bb.258:
	v_cmp_le_u32_e32 vcc, v14, v15
	s_and_saveexec_b64 s[6:7], vcc
	s_xor_b64 s[6:7], exec, s[6:7]
	s_cbranch_execz .LBB459_260
; %bb.259:
	v_lshlrev_b32_e32 v15, 2, v0
	ds_read_b32 v15, v15 offset:2048
	v_add_co_u32_e32 v16, vcc, v1, v0
	v_addc_co_u32_e32 v17, vcc, 0, v8, vcc
	v_lshlrev_b64 v[16:17], 2, v[16:17]
	v_mov_b32_e32 v18, s9
	v_sub_co_u32_e32 v16, vcc, s8, v16
	v_subb_co_u32_e32 v17, vcc, v18, v17, vcc
	s_waitcnt lgkmcnt(0)
	global_store_dword v[16:17], v15, off offset:-2048
.LBB459_260:
	s_andn2_saveexec_b64 s[6:7], s[6:7]
	s_cbranch_execz .LBB459_262
; %bb.261:
	v_lshlrev_b32_e32 v15, 2, v0
	ds_read_b32 v16, v15 offset:2048
	v_readfirstlane_b32 s10, v10
	v_readfirstlane_b32 s11, v11
	s_waitcnt lgkmcnt(0)
	s_nop 3
	global_store_dword v15, v16, s[10:11] offset:2048
.LBB459_262:
	s_or_b64 exec, exec, s[6:7]
.LBB459_263:
	s_andn2_saveexec_b64 s[4:5], s[4:5]
	s_cbranch_execz .LBB459_265
; %bb.264:
	v_lshlrev_b32_e32 v15, 2, v0
	ds_read_b32 v16, v15 offset:2048
	v_readfirstlane_b32 s4, v12
	v_readfirstlane_b32 s5, v13
	s_waitcnt lgkmcnt(0)
	s_nop 3
	global_store_dword v15, v16, s[4:5] offset:2048
.LBB459_265:
	;; [unrolled: 51-line block ×3, first 2 shown]
	s_or_b64 exec, exec, s[2:3]
	v_or_b32_e32 v15, 0x400, v0
	v_cmp_gt_u32_e32 vcc, s16, v15
	s_and_saveexec_b64 s[2:3], vcc
	s_cbranch_execz .LBB459_283
; %bb.275:
	v_cmp_le_u32_e32 vcc, v6, v15
	s_and_saveexec_b64 s[4:5], vcc
	s_xor_b64 s[4:5], exec, s[4:5]
	s_cbranch_execz .LBB459_281
; %bb.276:
	v_cmp_le_u32_e32 vcc, v14, v15
	s_and_saveexec_b64 s[6:7], vcc
	s_xor_b64 s[6:7], exec, s[6:7]
	s_cbranch_execz .LBB459_278
; %bb.277:
	v_lshlrev_b32_e32 v15, 2, v0
	ds_read_b32 v15, v15 offset:4096
	v_add_co_u32_e32 v16, vcc, v1, v0
	v_addc_co_u32_e32 v17, vcc, 0, v8, vcc
	v_lshlrev_b64 v[16:17], 2, v[16:17]
	v_mov_b32_e32 v18, s9
	v_sub_co_u32_e32 v16, vcc, s8, v16
	v_subb_co_u32_e32 v17, vcc, v18, v17, vcc
	s_waitcnt lgkmcnt(0)
	global_store_dword v[16:17], v15, off offset:-4096
                                        ; implicit-def: $vgpr15
.LBB459_278:
	s_andn2_saveexec_b64 s[6:7], s[6:7]
	s_cbranch_execz .LBB459_280
; %bb.279:
	v_lshlrev_b32_e32 v16, 2, v0
	ds_read_b32 v16, v16 offset:4096
	v_lshlrev_b32_e32 v15, 2, v15
	v_readfirstlane_b32 s10, v10
	v_readfirstlane_b32 s11, v11
	s_waitcnt lgkmcnt(0)
	s_nop 3
	global_store_dword v15, v16, s[10:11]
.LBB459_280:
	s_or_b64 exec, exec, s[6:7]
                                        ; implicit-def: $vgpr15
.LBB459_281:
	s_andn2_saveexec_b64 s[4:5], s[4:5]
	s_cbranch_execz .LBB459_283
; %bb.282:
	v_lshlrev_b32_e32 v16, 2, v0
	ds_read_b32 v16, v16 offset:4096
	v_lshlrev_b32_e32 v15, 2, v15
	v_readfirstlane_b32 s4, v12
	v_readfirstlane_b32 s5, v13
	s_waitcnt lgkmcnt(0)
	s_nop 3
	global_store_dword v15, v16, s[4:5]
.LBB459_283:
	s_or_b64 exec, exec, s[2:3]
	v_or_b32_e32 v15, 0x500, v0
	v_cmp_gt_u32_e32 vcc, s16, v15
	s_and_saveexec_b64 s[2:3], vcc
	s_cbranch_execz .LBB459_292
; %bb.284:
	v_cmp_le_u32_e32 vcc, v6, v15
	s_and_saveexec_b64 s[4:5], vcc
	s_xor_b64 s[4:5], exec, s[4:5]
	s_cbranch_execz .LBB459_290
; %bb.285:
	v_cmp_le_u32_e32 vcc, v14, v15
	s_and_saveexec_b64 s[6:7], vcc
	s_xor_b64 s[6:7], exec, s[6:7]
	s_cbranch_execz .LBB459_287
; %bb.286:
	v_add_co_u32_e32 v16, vcc, v1, v15
	v_lshlrev_b32_e32 v15, 2, v0
	ds_read_b32 v15, v15 offset:5120
	v_addc_co_u32_e32 v17, vcc, 0, v8, vcc
	v_lshlrev_b64 v[16:17], 2, v[16:17]
	v_mov_b32_e32 v18, s9
	v_sub_co_u32_e32 v16, vcc, s8, v16
	v_subb_co_u32_e32 v17, vcc, v18, v17, vcc
	s_waitcnt lgkmcnt(0)
	global_store_dword v[16:17], v15, off
                                        ; implicit-def: $vgpr15
.LBB459_287:
	s_andn2_saveexec_b64 s[6:7], s[6:7]
	s_cbranch_execz .LBB459_289
; %bb.288:
	v_lshlrev_b32_e32 v16, 2, v0
	ds_read_b32 v16, v16 offset:5120
	v_lshlrev_b32_e32 v15, 2, v15
	v_readfirstlane_b32 s10, v10
	v_readfirstlane_b32 s11, v11
	s_waitcnt lgkmcnt(0)
	s_nop 3
	global_store_dword v15, v16, s[10:11]
.LBB459_289:
	s_or_b64 exec, exec, s[6:7]
                                        ; implicit-def: $vgpr15
.LBB459_290:
	s_andn2_saveexec_b64 s[4:5], s[4:5]
	s_cbranch_execz .LBB459_292
; %bb.291:
	v_lshlrev_b32_e32 v16, 2, v0
	ds_read_b32 v16, v16 offset:5120
	v_lshlrev_b32_e32 v15, 2, v15
	v_readfirstlane_b32 s4, v12
	v_readfirstlane_b32 s5, v13
	s_waitcnt lgkmcnt(0)
	s_nop 3
	global_store_dword v15, v16, s[4:5]
.LBB459_292:
	s_or_b64 exec, exec, s[2:3]
	v_or_b32_e32 v15, 0x600, v0
	v_cmp_gt_u32_e32 vcc, s16, v15
	s_and_saveexec_b64 s[2:3], vcc
	s_cbranch_execz .LBB459_301
; %bb.293:
	v_cmp_le_u32_e32 vcc, v6, v15
	s_and_saveexec_b64 s[4:5], vcc
	s_xor_b64 s[4:5], exec, s[4:5]
	s_cbranch_execz .LBB459_299
; %bb.294:
	v_cmp_le_u32_e32 vcc, v14, v15
	s_and_saveexec_b64 s[6:7], vcc
	s_xor_b64 s[6:7], exec, s[6:7]
	s_cbranch_execz .LBB459_296
; %bb.295:
	v_add_co_u32_e32 v16, vcc, v1, v15
	v_lshlrev_b32_e32 v15, 2, v0
	ds_read_b32 v15, v15 offset:6144
	v_addc_co_u32_e32 v17, vcc, 0, v8, vcc
	v_lshlrev_b64 v[16:17], 2, v[16:17]
	v_mov_b32_e32 v18, s9
	v_sub_co_u32_e32 v16, vcc, s8, v16
	v_subb_co_u32_e32 v17, vcc, v18, v17, vcc
	s_waitcnt lgkmcnt(0)
	global_store_dword v[16:17], v15, off
                                        ; implicit-def: $vgpr15
.LBB459_296:
	s_andn2_saveexec_b64 s[6:7], s[6:7]
	s_cbranch_execz .LBB459_298
; %bb.297:
	v_lshlrev_b32_e32 v16, 2, v0
	ds_read_b32 v16, v16 offset:6144
	v_lshlrev_b32_e32 v15, 2, v15
	v_readfirstlane_b32 s10, v10
	v_readfirstlane_b32 s11, v11
	s_waitcnt lgkmcnt(0)
	s_nop 3
	global_store_dword v15, v16, s[10:11]
.LBB459_298:
	s_or_b64 exec, exec, s[6:7]
                                        ; implicit-def: $vgpr15
.LBB459_299:
	s_andn2_saveexec_b64 s[4:5], s[4:5]
	s_cbranch_execz .LBB459_301
; %bb.300:
	v_lshlrev_b32_e32 v16, 2, v0
	ds_read_b32 v16, v16 offset:6144
	v_lshlrev_b32_e32 v15, 2, v15
	v_readfirstlane_b32 s4, v12
	v_readfirstlane_b32 s5, v13
	s_waitcnt lgkmcnt(0)
	s_nop 3
	global_store_dword v15, v16, s[4:5]
.LBB459_301:
	;; [unrolled: 55-line block ×7, first 2 shown]
	s_or_b64 exec, exec, s[2:3]
	v_or_b32_e32 v15, 0xc00, v0
	v_cmp_gt_u32_e32 vcc, s16, v15
	s_and_saveexec_b64 s[2:3], vcc
	s_cbranch_execz .LBB459_355
; %bb.347:
	v_cmp_le_u32_e32 vcc, v6, v15
	s_and_saveexec_b64 s[4:5], vcc
	s_xor_b64 s[4:5], exec, s[4:5]
	s_cbranch_execz .LBB459_353
; %bb.348:
	v_cmp_le_u32_e32 vcc, v14, v15
	s_and_saveexec_b64 s[6:7], vcc
	s_xor_b64 s[6:7], exec, s[6:7]
	s_cbranch_execz .LBB459_350
; %bb.349:
	v_add_co_u32_e32 v10, vcc, v1, v15
	v_lshlrev_b32_e32 v0, 2, v0
	v_addc_co_u32_e32 v11, vcc, 0, v8, vcc
	ds_read_b32 v8, v0 offset:12288
	v_lshlrev_b64 v[0:1], 2, v[10:11]
	v_mov_b32_e32 v10, s9
	v_sub_co_u32_e32 v0, vcc, s8, v0
	v_subb_co_u32_e32 v1, vcc, v10, v1, vcc
	s_waitcnt lgkmcnt(0)
	global_store_dword v[0:1], v8, off
                                        ; implicit-def: $vgpr0
                                        ; implicit-def: $vgpr15
                                        ; implicit-def: $vgpr10_vgpr11
.LBB459_350:
	s_andn2_saveexec_b64 s[6:7], s[6:7]
	s_cbranch_execz .LBB459_352
; %bb.351:
	v_lshlrev_b32_e32 v0, 2, v0
	ds_read_b32 v0, v0 offset:12288
	v_lshlrev_b32_e32 v1, 2, v15
	v_readfirstlane_b32 s8, v10
	v_readfirstlane_b32 s9, v11
	s_waitcnt lgkmcnt(0)
	s_nop 3
	global_store_dword v1, v0, s[8:9]
.LBB459_352:
	s_or_b64 exec, exec, s[6:7]
                                        ; implicit-def: $vgpr0
                                        ; implicit-def: $vgpr15
                                        ; implicit-def: $vgpr12_vgpr13
.LBB459_353:
	s_andn2_saveexec_b64 s[4:5], s[4:5]
	s_cbranch_execz .LBB459_355
; %bb.354:
	v_lshlrev_b32_e32 v0, 2, v0
	ds_read_b32 v0, v0 offset:12288
	v_lshlrev_b32_e32 v1, 2, v15
	v_readfirstlane_b32 s4, v12
	v_readfirstlane_b32 s5, v13
	s_waitcnt lgkmcnt(0)
	s_nop 3
	global_store_dword v1, v0, s[4:5]
.LBB459_355:
	s_or_b64 exec, exec, s[2:3]
	s_and_b64 s[0:1], s[0:1], s[30:31]
	s_and_saveexec_b64 s[2:3], s[0:1]
	s_cbranch_execz .LBB459_132
.LBB459_356:
	v_add_co_u32_e32 v0, vcc, v2, v6
	v_addc_co_u32_e32 v1, vcc, 0, v3, vcc
	v_add_co_u32_e32 v2, vcc, v4, v7
	v_addc_co_u32_e32 v3, vcc, 0, v5, vcc
	v_add_co_u32_e32 v2, vcc, v2, v9
	v_mov_b32_e32 v8, 0
	v_addc_co_u32_e32 v3, vcc, 0, v3, vcc
	global_store_dwordx4 v8, v[0:3], s[28:29]
	s_endpgm
	.section	.rodata,"a",@progbits
	.p2align	6, 0x0
	.amdhsa_kernel _ZN7rocprim17ROCPRIM_400000_NS6detail17trampoline_kernelINS0_13select_configILj256ELj13ELNS0_17block_load_methodE3ELS4_3ELS4_3ELNS0_20block_scan_algorithmE0ELj4294967295EEENS1_25partition_config_selectorILNS1_17partition_subalgoE4EjNS0_10empty_typeEbEEZZNS1_14partition_implILS8_4ELb0ES6_15HIP_vector_typeIjLj2EENS0_17counting_iteratorIjlEEPS9_SG_NS0_5tupleIJPjSI_NS0_16reverse_iteratorISI_EEEEENSH_IJSG_SG_SG_EEES9_SI_JZNS1_25segmented_radix_sort_implINS0_14default_configELb1EPKiPiPKlPlN2at6native12_GLOBAL__N_18offset_tEEE10hipError_tPvRmT1_PNSt15iterator_traitsIS12_E10value_typeET2_T3_PNS13_IS18_E10value_typeET4_jRbjT5_S1E_jjP12ihipStream_tbEUljE_ZNSN_ISO_Lb1ESQ_SR_ST_SU_SY_EESZ_S10_S11_S12_S16_S17_S18_S1B_S1C_jS1D_jS1E_S1E_jjS1G_bEUljE0_EEESZ_S10_S11_S18_S1C_S1E_T6_T7_T9_mT8_S1G_bDpT10_ENKUlT_T0_E_clISt17integral_constantIbLb0EES1T_IbLb1EEEEDaS1P_S1Q_EUlS1P_E_NS1_11comp_targetILNS1_3genE4ELNS1_11target_archE910ELNS1_3gpuE8ELNS1_3repE0EEENS1_30default_config_static_selectorELNS0_4arch9wavefront6targetE1EEEvS12_
		.amdhsa_group_segment_fixed_size 13340
		.amdhsa_private_segment_fixed_size 0
		.amdhsa_kernarg_size 184
		.amdhsa_user_sgpr_count 6
		.amdhsa_user_sgpr_private_segment_buffer 1
		.amdhsa_user_sgpr_dispatch_ptr 0
		.amdhsa_user_sgpr_queue_ptr 0
		.amdhsa_user_sgpr_kernarg_segment_ptr 1
		.amdhsa_user_sgpr_dispatch_id 0
		.amdhsa_user_sgpr_flat_scratch_init 0
		.amdhsa_user_sgpr_kernarg_preload_length 0
		.amdhsa_user_sgpr_kernarg_preload_offset 0
		.amdhsa_user_sgpr_private_segment_size 0
		.amdhsa_uses_dynamic_stack 0
		.amdhsa_system_sgpr_private_segment_wavefront_offset 0
		.amdhsa_system_sgpr_workgroup_id_x 1
		.amdhsa_system_sgpr_workgroup_id_y 0
		.amdhsa_system_sgpr_workgroup_id_z 0
		.amdhsa_system_sgpr_workgroup_info 0
		.amdhsa_system_vgpr_workitem_id 0
		.amdhsa_next_free_vgpr 107
		.amdhsa_next_free_sgpr 87
		.amdhsa_accum_offset 108
		.amdhsa_reserve_vcc 1
		.amdhsa_reserve_flat_scratch 0
		.amdhsa_float_round_mode_32 0
		.amdhsa_float_round_mode_16_64 0
		.amdhsa_float_denorm_mode_32 3
		.amdhsa_float_denorm_mode_16_64 3
		.amdhsa_dx10_clamp 1
		.amdhsa_ieee_mode 1
		.amdhsa_fp16_overflow 0
		.amdhsa_tg_split 0
		.amdhsa_exception_fp_ieee_invalid_op 0
		.amdhsa_exception_fp_denorm_src 0
		.amdhsa_exception_fp_ieee_div_zero 0
		.amdhsa_exception_fp_ieee_overflow 0
		.amdhsa_exception_fp_ieee_underflow 0
		.amdhsa_exception_fp_ieee_inexact 0
		.amdhsa_exception_int_div_zero 0
	.end_amdhsa_kernel
	.section	.text._ZN7rocprim17ROCPRIM_400000_NS6detail17trampoline_kernelINS0_13select_configILj256ELj13ELNS0_17block_load_methodE3ELS4_3ELS4_3ELNS0_20block_scan_algorithmE0ELj4294967295EEENS1_25partition_config_selectorILNS1_17partition_subalgoE4EjNS0_10empty_typeEbEEZZNS1_14partition_implILS8_4ELb0ES6_15HIP_vector_typeIjLj2EENS0_17counting_iteratorIjlEEPS9_SG_NS0_5tupleIJPjSI_NS0_16reverse_iteratorISI_EEEEENSH_IJSG_SG_SG_EEES9_SI_JZNS1_25segmented_radix_sort_implINS0_14default_configELb1EPKiPiPKlPlN2at6native12_GLOBAL__N_18offset_tEEE10hipError_tPvRmT1_PNSt15iterator_traitsIS12_E10value_typeET2_T3_PNS13_IS18_E10value_typeET4_jRbjT5_S1E_jjP12ihipStream_tbEUljE_ZNSN_ISO_Lb1ESQ_SR_ST_SU_SY_EESZ_S10_S11_S12_S16_S17_S18_S1B_S1C_jS1D_jS1E_S1E_jjS1G_bEUljE0_EEESZ_S10_S11_S18_S1C_S1E_T6_T7_T9_mT8_S1G_bDpT10_ENKUlT_T0_E_clISt17integral_constantIbLb0EES1T_IbLb1EEEEDaS1P_S1Q_EUlS1P_E_NS1_11comp_targetILNS1_3genE4ELNS1_11target_archE910ELNS1_3gpuE8ELNS1_3repE0EEENS1_30default_config_static_selectorELNS0_4arch9wavefront6targetE1EEEvS12_,"axG",@progbits,_ZN7rocprim17ROCPRIM_400000_NS6detail17trampoline_kernelINS0_13select_configILj256ELj13ELNS0_17block_load_methodE3ELS4_3ELS4_3ELNS0_20block_scan_algorithmE0ELj4294967295EEENS1_25partition_config_selectorILNS1_17partition_subalgoE4EjNS0_10empty_typeEbEEZZNS1_14partition_implILS8_4ELb0ES6_15HIP_vector_typeIjLj2EENS0_17counting_iteratorIjlEEPS9_SG_NS0_5tupleIJPjSI_NS0_16reverse_iteratorISI_EEEEENSH_IJSG_SG_SG_EEES9_SI_JZNS1_25segmented_radix_sort_implINS0_14default_configELb1EPKiPiPKlPlN2at6native12_GLOBAL__N_18offset_tEEE10hipError_tPvRmT1_PNSt15iterator_traitsIS12_E10value_typeET2_T3_PNS13_IS18_E10value_typeET4_jRbjT5_S1E_jjP12ihipStream_tbEUljE_ZNSN_ISO_Lb1ESQ_SR_ST_SU_SY_EESZ_S10_S11_S12_S16_S17_S18_S1B_S1C_jS1D_jS1E_S1E_jjS1G_bEUljE0_EEESZ_S10_S11_S18_S1C_S1E_T6_T7_T9_mT8_S1G_bDpT10_ENKUlT_T0_E_clISt17integral_constantIbLb0EES1T_IbLb1EEEEDaS1P_S1Q_EUlS1P_E_NS1_11comp_targetILNS1_3genE4ELNS1_11target_archE910ELNS1_3gpuE8ELNS1_3repE0EEENS1_30default_config_static_selectorELNS0_4arch9wavefront6targetE1EEEvS12_,comdat
.Lfunc_end459:
	.size	_ZN7rocprim17ROCPRIM_400000_NS6detail17trampoline_kernelINS0_13select_configILj256ELj13ELNS0_17block_load_methodE3ELS4_3ELS4_3ELNS0_20block_scan_algorithmE0ELj4294967295EEENS1_25partition_config_selectorILNS1_17partition_subalgoE4EjNS0_10empty_typeEbEEZZNS1_14partition_implILS8_4ELb0ES6_15HIP_vector_typeIjLj2EENS0_17counting_iteratorIjlEEPS9_SG_NS0_5tupleIJPjSI_NS0_16reverse_iteratorISI_EEEEENSH_IJSG_SG_SG_EEES9_SI_JZNS1_25segmented_radix_sort_implINS0_14default_configELb1EPKiPiPKlPlN2at6native12_GLOBAL__N_18offset_tEEE10hipError_tPvRmT1_PNSt15iterator_traitsIS12_E10value_typeET2_T3_PNS13_IS18_E10value_typeET4_jRbjT5_S1E_jjP12ihipStream_tbEUljE_ZNSN_ISO_Lb1ESQ_SR_ST_SU_SY_EESZ_S10_S11_S12_S16_S17_S18_S1B_S1C_jS1D_jS1E_S1E_jjS1G_bEUljE0_EEESZ_S10_S11_S18_S1C_S1E_T6_T7_T9_mT8_S1G_bDpT10_ENKUlT_T0_E_clISt17integral_constantIbLb0EES1T_IbLb1EEEEDaS1P_S1Q_EUlS1P_E_NS1_11comp_targetILNS1_3genE4ELNS1_11target_archE910ELNS1_3gpuE8ELNS1_3repE0EEENS1_30default_config_static_selectorELNS0_4arch9wavefront6targetE1EEEvS12_, .Lfunc_end459-_ZN7rocprim17ROCPRIM_400000_NS6detail17trampoline_kernelINS0_13select_configILj256ELj13ELNS0_17block_load_methodE3ELS4_3ELS4_3ELNS0_20block_scan_algorithmE0ELj4294967295EEENS1_25partition_config_selectorILNS1_17partition_subalgoE4EjNS0_10empty_typeEbEEZZNS1_14partition_implILS8_4ELb0ES6_15HIP_vector_typeIjLj2EENS0_17counting_iteratorIjlEEPS9_SG_NS0_5tupleIJPjSI_NS0_16reverse_iteratorISI_EEEEENSH_IJSG_SG_SG_EEES9_SI_JZNS1_25segmented_radix_sort_implINS0_14default_configELb1EPKiPiPKlPlN2at6native12_GLOBAL__N_18offset_tEEE10hipError_tPvRmT1_PNSt15iterator_traitsIS12_E10value_typeET2_T3_PNS13_IS18_E10value_typeET4_jRbjT5_S1E_jjP12ihipStream_tbEUljE_ZNSN_ISO_Lb1ESQ_SR_ST_SU_SY_EESZ_S10_S11_S12_S16_S17_S18_S1B_S1C_jS1D_jS1E_S1E_jjS1G_bEUljE0_EEESZ_S10_S11_S18_S1C_S1E_T6_T7_T9_mT8_S1G_bDpT10_ENKUlT_T0_E_clISt17integral_constantIbLb0EES1T_IbLb1EEEEDaS1P_S1Q_EUlS1P_E_NS1_11comp_targetILNS1_3genE4ELNS1_11target_archE910ELNS1_3gpuE8ELNS1_3repE0EEENS1_30default_config_static_selectorELNS0_4arch9wavefront6targetE1EEEvS12_
                                        ; -- End function
	.section	.AMDGPU.csdata,"",@progbits
; Kernel info:
; codeLenInByte = 13432
; NumSgprs: 91
; NumVgprs: 107
; NumAgprs: 0
; TotalNumVgprs: 107
; ScratchSize: 0
; MemoryBound: 0
; FloatMode: 240
; IeeeMode: 1
; LDSByteSize: 13340 bytes/workgroup (compile time only)
; SGPRBlocks: 11
; VGPRBlocks: 13
; NumSGPRsForWavesPerEU: 91
; NumVGPRsForWavesPerEU: 107
; AccumOffset: 108
; Occupancy: 4
; WaveLimiterHint : 1
; COMPUTE_PGM_RSRC2:SCRATCH_EN: 0
; COMPUTE_PGM_RSRC2:USER_SGPR: 6
; COMPUTE_PGM_RSRC2:TRAP_HANDLER: 0
; COMPUTE_PGM_RSRC2:TGID_X_EN: 1
; COMPUTE_PGM_RSRC2:TGID_Y_EN: 0
; COMPUTE_PGM_RSRC2:TGID_Z_EN: 0
; COMPUTE_PGM_RSRC2:TIDIG_COMP_CNT: 0
; COMPUTE_PGM_RSRC3_GFX90A:ACCUM_OFFSET: 26
; COMPUTE_PGM_RSRC3_GFX90A:TG_SPLIT: 0
	.section	.text._ZN7rocprim17ROCPRIM_400000_NS6detail17trampoline_kernelINS0_13select_configILj256ELj13ELNS0_17block_load_methodE3ELS4_3ELS4_3ELNS0_20block_scan_algorithmE0ELj4294967295EEENS1_25partition_config_selectorILNS1_17partition_subalgoE4EjNS0_10empty_typeEbEEZZNS1_14partition_implILS8_4ELb0ES6_15HIP_vector_typeIjLj2EENS0_17counting_iteratorIjlEEPS9_SG_NS0_5tupleIJPjSI_NS0_16reverse_iteratorISI_EEEEENSH_IJSG_SG_SG_EEES9_SI_JZNS1_25segmented_radix_sort_implINS0_14default_configELb1EPKiPiPKlPlN2at6native12_GLOBAL__N_18offset_tEEE10hipError_tPvRmT1_PNSt15iterator_traitsIS12_E10value_typeET2_T3_PNS13_IS18_E10value_typeET4_jRbjT5_S1E_jjP12ihipStream_tbEUljE_ZNSN_ISO_Lb1ESQ_SR_ST_SU_SY_EESZ_S10_S11_S12_S16_S17_S18_S1B_S1C_jS1D_jS1E_S1E_jjS1G_bEUljE0_EEESZ_S10_S11_S18_S1C_S1E_T6_T7_T9_mT8_S1G_bDpT10_ENKUlT_T0_E_clISt17integral_constantIbLb0EES1T_IbLb1EEEEDaS1P_S1Q_EUlS1P_E_NS1_11comp_targetILNS1_3genE3ELNS1_11target_archE908ELNS1_3gpuE7ELNS1_3repE0EEENS1_30default_config_static_selectorELNS0_4arch9wavefront6targetE1EEEvS12_,"axG",@progbits,_ZN7rocprim17ROCPRIM_400000_NS6detail17trampoline_kernelINS0_13select_configILj256ELj13ELNS0_17block_load_methodE3ELS4_3ELS4_3ELNS0_20block_scan_algorithmE0ELj4294967295EEENS1_25partition_config_selectorILNS1_17partition_subalgoE4EjNS0_10empty_typeEbEEZZNS1_14partition_implILS8_4ELb0ES6_15HIP_vector_typeIjLj2EENS0_17counting_iteratorIjlEEPS9_SG_NS0_5tupleIJPjSI_NS0_16reverse_iteratorISI_EEEEENSH_IJSG_SG_SG_EEES9_SI_JZNS1_25segmented_radix_sort_implINS0_14default_configELb1EPKiPiPKlPlN2at6native12_GLOBAL__N_18offset_tEEE10hipError_tPvRmT1_PNSt15iterator_traitsIS12_E10value_typeET2_T3_PNS13_IS18_E10value_typeET4_jRbjT5_S1E_jjP12ihipStream_tbEUljE_ZNSN_ISO_Lb1ESQ_SR_ST_SU_SY_EESZ_S10_S11_S12_S16_S17_S18_S1B_S1C_jS1D_jS1E_S1E_jjS1G_bEUljE0_EEESZ_S10_S11_S18_S1C_S1E_T6_T7_T9_mT8_S1G_bDpT10_ENKUlT_T0_E_clISt17integral_constantIbLb0EES1T_IbLb1EEEEDaS1P_S1Q_EUlS1P_E_NS1_11comp_targetILNS1_3genE3ELNS1_11target_archE908ELNS1_3gpuE7ELNS1_3repE0EEENS1_30default_config_static_selectorELNS0_4arch9wavefront6targetE1EEEvS12_,comdat
	.globl	_ZN7rocprim17ROCPRIM_400000_NS6detail17trampoline_kernelINS0_13select_configILj256ELj13ELNS0_17block_load_methodE3ELS4_3ELS4_3ELNS0_20block_scan_algorithmE0ELj4294967295EEENS1_25partition_config_selectorILNS1_17partition_subalgoE4EjNS0_10empty_typeEbEEZZNS1_14partition_implILS8_4ELb0ES6_15HIP_vector_typeIjLj2EENS0_17counting_iteratorIjlEEPS9_SG_NS0_5tupleIJPjSI_NS0_16reverse_iteratorISI_EEEEENSH_IJSG_SG_SG_EEES9_SI_JZNS1_25segmented_radix_sort_implINS0_14default_configELb1EPKiPiPKlPlN2at6native12_GLOBAL__N_18offset_tEEE10hipError_tPvRmT1_PNSt15iterator_traitsIS12_E10value_typeET2_T3_PNS13_IS18_E10value_typeET4_jRbjT5_S1E_jjP12ihipStream_tbEUljE_ZNSN_ISO_Lb1ESQ_SR_ST_SU_SY_EESZ_S10_S11_S12_S16_S17_S18_S1B_S1C_jS1D_jS1E_S1E_jjS1G_bEUljE0_EEESZ_S10_S11_S18_S1C_S1E_T6_T7_T9_mT8_S1G_bDpT10_ENKUlT_T0_E_clISt17integral_constantIbLb0EES1T_IbLb1EEEEDaS1P_S1Q_EUlS1P_E_NS1_11comp_targetILNS1_3genE3ELNS1_11target_archE908ELNS1_3gpuE7ELNS1_3repE0EEENS1_30default_config_static_selectorELNS0_4arch9wavefront6targetE1EEEvS12_ ; -- Begin function _ZN7rocprim17ROCPRIM_400000_NS6detail17trampoline_kernelINS0_13select_configILj256ELj13ELNS0_17block_load_methodE3ELS4_3ELS4_3ELNS0_20block_scan_algorithmE0ELj4294967295EEENS1_25partition_config_selectorILNS1_17partition_subalgoE4EjNS0_10empty_typeEbEEZZNS1_14partition_implILS8_4ELb0ES6_15HIP_vector_typeIjLj2EENS0_17counting_iteratorIjlEEPS9_SG_NS0_5tupleIJPjSI_NS0_16reverse_iteratorISI_EEEEENSH_IJSG_SG_SG_EEES9_SI_JZNS1_25segmented_radix_sort_implINS0_14default_configELb1EPKiPiPKlPlN2at6native12_GLOBAL__N_18offset_tEEE10hipError_tPvRmT1_PNSt15iterator_traitsIS12_E10value_typeET2_T3_PNS13_IS18_E10value_typeET4_jRbjT5_S1E_jjP12ihipStream_tbEUljE_ZNSN_ISO_Lb1ESQ_SR_ST_SU_SY_EESZ_S10_S11_S12_S16_S17_S18_S1B_S1C_jS1D_jS1E_S1E_jjS1G_bEUljE0_EEESZ_S10_S11_S18_S1C_S1E_T6_T7_T9_mT8_S1G_bDpT10_ENKUlT_T0_E_clISt17integral_constantIbLb0EES1T_IbLb1EEEEDaS1P_S1Q_EUlS1P_E_NS1_11comp_targetILNS1_3genE3ELNS1_11target_archE908ELNS1_3gpuE7ELNS1_3repE0EEENS1_30default_config_static_selectorELNS0_4arch9wavefront6targetE1EEEvS12_
	.p2align	8
	.type	_ZN7rocprim17ROCPRIM_400000_NS6detail17trampoline_kernelINS0_13select_configILj256ELj13ELNS0_17block_load_methodE3ELS4_3ELS4_3ELNS0_20block_scan_algorithmE0ELj4294967295EEENS1_25partition_config_selectorILNS1_17partition_subalgoE4EjNS0_10empty_typeEbEEZZNS1_14partition_implILS8_4ELb0ES6_15HIP_vector_typeIjLj2EENS0_17counting_iteratorIjlEEPS9_SG_NS0_5tupleIJPjSI_NS0_16reverse_iteratorISI_EEEEENSH_IJSG_SG_SG_EEES9_SI_JZNS1_25segmented_radix_sort_implINS0_14default_configELb1EPKiPiPKlPlN2at6native12_GLOBAL__N_18offset_tEEE10hipError_tPvRmT1_PNSt15iterator_traitsIS12_E10value_typeET2_T3_PNS13_IS18_E10value_typeET4_jRbjT5_S1E_jjP12ihipStream_tbEUljE_ZNSN_ISO_Lb1ESQ_SR_ST_SU_SY_EESZ_S10_S11_S12_S16_S17_S18_S1B_S1C_jS1D_jS1E_S1E_jjS1G_bEUljE0_EEESZ_S10_S11_S18_S1C_S1E_T6_T7_T9_mT8_S1G_bDpT10_ENKUlT_T0_E_clISt17integral_constantIbLb0EES1T_IbLb1EEEEDaS1P_S1Q_EUlS1P_E_NS1_11comp_targetILNS1_3genE3ELNS1_11target_archE908ELNS1_3gpuE7ELNS1_3repE0EEENS1_30default_config_static_selectorELNS0_4arch9wavefront6targetE1EEEvS12_,@function
_ZN7rocprim17ROCPRIM_400000_NS6detail17trampoline_kernelINS0_13select_configILj256ELj13ELNS0_17block_load_methodE3ELS4_3ELS4_3ELNS0_20block_scan_algorithmE0ELj4294967295EEENS1_25partition_config_selectorILNS1_17partition_subalgoE4EjNS0_10empty_typeEbEEZZNS1_14partition_implILS8_4ELb0ES6_15HIP_vector_typeIjLj2EENS0_17counting_iteratorIjlEEPS9_SG_NS0_5tupleIJPjSI_NS0_16reverse_iteratorISI_EEEEENSH_IJSG_SG_SG_EEES9_SI_JZNS1_25segmented_radix_sort_implINS0_14default_configELb1EPKiPiPKlPlN2at6native12_GLOBAL__N_18offset_tEEE10hipError_tPvRmT1_PNSt15iterator_traitsIS12_E10value_typeET2_T3_PNS13_IS18_E10value_typeET4_jRbjT5_S1E_jjP12ihipStream_tbEUljE_ZNSN_ISO_Lb1ESQ_SR_ST_SU_SY_EESZ_S10_S11_S12_S16_S17_S18_S1B_S1C_jS1D_jS1E_S1E_jjS1G_bEUljE0_EEESZ_S10_S11_S18_S1C_S1E_T6_T7_T9_mT8_S1G_bDpT10_ENKUlT_T0_E_clISt17integral_constantIbLb0EES1T_IbLb1EEEEDaS1P_S1Q_EUlS1P_E_NS1_11comp_targetILNS1_3genE3ELNS1_11target_archE908ELNS1_3gpuE7ELNS1_3repE0EEENS1_30default_config_static_selectorELNS0_4arch9wavefront6targetE1EEEvS12_: ; @_ZN7rocprim17ROCPRIM_400000_NS6detail17trampoline_kernelINS0_13select_configILj256ELj13ELNS0_17block_load_methodE3ELS4_3ELS4_3ELNS0_20block_scan_algorithmE0ELj4294967295EEENS1_25partition_config_selectorILNS1_17partition_subalgoE4EjNS0_10empty_typeEbEEZZNS1_14partition_implILS8_4ELb0ES6_15HIP_vector_typeIjLj2EENS0_17counting_iteratorIjlEEPS9_SG_NS0_5tupleIJPjSI_NS0_16reverse_iteratorISI_EEEEENSH_IJSG_SG_SG_EEES9_SI_JZNS1_25segmented_radix_sort_implINS0_14default_configELb1EPKiPiPKlPlN2at6native12_GLOBAL__N_18offset_tEEE10hipError_tPvRmT1_PNSt15iterator_traitsIS12_E10value_typeET2_T3_PNS13_IS18_E10value_typeET4_jRbjT5_S1E_jjP12ihipStream_tbEUljE_ZNSN_ISO_Lb1ESQ_SR_ST_SU_SY_EESZ_S10_S11_S12_S16_S17_S18_S1B_S1C_jS1D_jS1E_S1E_jjS1G_bEUljE0_EEESZ_S10_S11_S18_S1C_S1E_T6_T7_T9_mT8_S1G_bDpT10_ENKUlT_T0_E_clISt17integral_constantIbLb0EES1T_IbLb1EEEEDaS1P_S1Q_EUlS1P_E_NS1_11comp_targetILNS1_3genE3ELNS1_11target_archE908ELNS1_3gpuE7ELNS1_3repE0EEENS1_30default_config_static_selectorELNS0_4arch9wavefront6targetE1EEEvS12_
; %bb.0:
	.section	.rodata,"a",@progbits
	.p2align	6, 0x0
	.amdhsa_kernel _ZN7rocprim17ROCPRIM_400000_NS6detail17trampoline_kernelINS0_13select_configILj256ELj13ELNS0_17block_load_methodE3ELS4_3ELS4_3ELNS0_20block_scan_algorithmE0ELj4294967295EEENS1_25partition_config_selectorILNS1_17partition_subalgoE4EjNS0_10empty_typeEbEEZZNS1_14partition_implILS8_4ELb0ES6_15HIP_vector_typeIjLj2EENS0_17counting_iteratorIjlEEPS9_SG_NS0_5tupleIJPjSI_NS0_16reverse_iteratorISI_EEEEENSH_IJSG_SG_SG_EEES9_SI_JZNS1_25segmented_radix_sort_implINS0_14default_configELb1EPKiPiPKlPlN2at6native12_GLOBAL__N_18offset_tEEE10hipError_tPvRmT1_PNSt15iterator_traitsIS12_E10value_typeET2_T3_PNS13_IS18_E10value_typeET4_jRbjT5_S1E_jjP12ihipStream_tbEUljE_ZNSN_ISO_Lb1ESQ_SR_ST_SU_SY_EESZ_S10_S11_S12_S16_S17_S18_S1B_S1C_jS1D_jS1E_S1E_jjS1G_bEUljE0_EEESZ_S10_S11_S18_S1C_S1E_T6_T7_T9_mT8_S1G_bDpT10_ENKUlT_T0_E_clISt17integral_constantIbLb0EES1T_IbLb1EEEEDaS1P_S1Q_EUlS1P_E_NS1_11comp_targetILNS1_3genE3ELNS1_11target_archE908ELNS1_3gpuE7ELNS1_3repE0EEENS1_30default_config_static_selectorELNS0_4arch9wavefront6targetE1EEEvS12_
		.amdhsa_group_segment_fixed_size 0
		.amdhsa_private_segment_fixed_size 0
		.amdhsa_kernarg_size 184
		.amdhsa_user_sgpr_count 6
		.amdhsa_user_sgpr_private_segment_buffer 1
		.amdhsa_user_sgpr_dispatch_ptr 0
		.amdhsa_user_sgpr_queue_ptr 0
		.amdhsa_user_sgpr_kernarg_segment_ptr 1
		.amdhsa_user_sgpr_dispatch_id 0
		.amdhsa_user_sgpr_flat_scratch_init 0
		.amdhsa_user_sgpr_kernarg_preload_length 0
		.amdhsa_user_sgpr_kernarg_preload_offset 0
		.amdhsa_user_sgpr_private_segment_size 0
		.amdhsa_uses_dynamic_stack 0
		.amdhsa_system_sgpr_private_segment_wavefront_offset 0
		.amdhsa_system_sgpr_workgroup_id_x 1
		.amdhsa_system_sgpr_workgroup_id_y 0
		.amdhsa_system_sgpr_workgroup_id_z 0
		.amdhsa_system_sgpr_workgroup_info 0
		.amdhsa_system_vgpr_workitem_id 0
		.amdhsa_next_free_vgpr 1
		.amdhsa_next_free_sgpr 0
		.amdhsa_accum_offset 4
		.amdhsa_reserve_vcc 0
		.amdhsa_reserve_flat_scratch 0
		.amdhsa_float_round_mode_32 0
		.amdhsa_float_round_mode_16_64 0
		.amdhsa_float_denorm_mode_32 3
		.amdhsa_float_denorm_mode_16_64 3
		.amdhsa_dx10_clamp 1
		.amdhsa_ieee_mode 1
		.amdhsa_fp16_overflow 0
		.amdhsa_tg_split 0
		.amdhsa_exception_fp_ieee_invalid_op 0
		.amdhsa_exception_fp_denorm_src 0
		.amdhsa_exception_fp_ieee_div_zero 0
		.amdhsa_exception_fp_ieee_overflow 0
		.amdhsa_exception_fp_ieee_underflow 0
		.amdhsa_exception_fp_ieee_inexact 0
		.amdhsa_exception_int_div_zero 0
	.end_amdhsa_kernel
	.section	.text._ZN7rocprim17ROCPRIM_400000_NS6detail17trampoline_kernelINS0_13select_configILj256ELj13ELNS0_17block_load_methodE3ELS4_3ELS4_3ELNS0_20block_scan_algorithmE0ELj4294967295EEENS1_25partition_config_selectorILNS1_17partition_subalgoE4EjNS0_10empty_typeEbEEZZNS1_14partition_implILS8_4ELb0ES6_15HIP_vector_typeIjLj2EENS0_17counting_iteratorIjlEEPS9_SG_NS0_5tupleIJPjSI_NS0_16reverse_iteratorISI_EEEEENSH_IJSG_SG_SG_EEES9_SI_JZNS1_25segmented_radix_sort_implINS0_14default_configELb1EPKiPiPKlPlN2at6native12_GLOBAL__N_18offset_tEEE10hipError_tPvRmT1_PNSt15iterator_traitsIS12_E10value_typeET2_T3_PNS13_IS18_E10value_typeET4_jRbjT5_S1E_jjP12ihipStream_tbEUljE_ZNSN_ISO_Lb1ESQ_SR_ST_SU_SY_EESZ_S10_S11_S12_S16_S17_S18_S1B_S1C_jS1D_jS1E_S1E_jjS1G_bEUljE0_EEESZ_S10_S11_S18_S1C_S1E_T6_T7_T9_mT8_S1G_bDpT10_ENKUlT_T0_E_clISt17integral_constantIbLb0EES1T_IbLb1EEEEDaS1P_S1Q_EUlS1P_E_NS1_11comp_targetILNS1_3genE3ELNS1_11target_archE908ELNS1_3gpuE7ELNS1_3repE0EEENS1_30default_config_static_selectorELNS0_4arch9wavefront6targetE1EEEvS12_,"axG",@progbits,_ZN7rocprim17ROCPRIM_400000_NS6detail17trampoline_kernelINS0_13select_configILj256ELj13ELNS0_17block_load_methodE3ELS4_3ELS4_3ELNS0_20block_scan_algorithmE0ELj4294967295EEENS1_25partition_config_selectorILNS1_17partition_subalgoE4EjNS0_10empty_typeEbEEZZNS1_14partition_implILS8_4ELb0ES6_15HIP_vector_typeIjLj2EENS0_17counting_iteratorIjlEEPS9_SG_NS0_5tupleIJPjSI_NS0_16reverse_iteratorISI_EEEEENSH_IJSG_SG_SG_EEES9_SI_JZNS1_25segmented_radix_sort_implINS0_14default_configELb1EPKiPiPKlPlN2at6native12_GLOBAL__N_18offset_tEEE10hipError_tPvRmT1_PNSt15iterator_traitsIS12_E10value_typeET2_T3_PNS13_IS18_E10value_typeET4_jRbjT5_S1E_jjP12ihipStream_tbEUljE_ZNSN_ISO_Lb1ESQ_SR_ST_SU_SY_EESZ_S10_S11_S12_S16_S17_S18_S1B_S1C_jS1D_jS1E_S1E_jjS1G_bEUljE0_EEESZ_S10_S11_S18_S1C_S1E_T6_T7_T9_mT8_S1G_bDpT10_ENKUlT_T0_E_clISt17integral_constantIbLb0EES1T_IbLb1EEEEDaS1P_S1Q_EUlS1P_E_NS1_11comp_targetILNS1_3genE3ELNS1_11target_archE908ELNS1_3gpuE7ELNS1_3repE0EEENS1_30default_config_static_selectorELNS0_4arch9wavefront6targetE1EEEvS12_,comdat
.Lfunc_end460:
	.size	_ZN7rocprim17ROCPRIM_400000_NS6detail17trampoline_kernelINS0_13select_configILj256ELj13ELNS0_17block_load_methodE3ELS4_3ELS4_3ELNS0_20block_scan_algorithmE0ELj4294967295EEENS1_25partition_config_selectorILNS1_17partition_subalgoE4EjNS0_10empty_typeEbEEZZNS1_14partition_implILS8_4ELb0ES6_15HIP_vector_typeIjLj2EENS0_17counting_iteratorIjlEEPS9_SG_NS0_5tupleIJPjSI_NS0_16reverse_iteratorISI_EEEEENSH_IJSG_SG_SG_EEES9_SI_JZNS1_25segmented_radix_sort_implINS0_14default_configELb1EPKiPiPKlPlN2at6native12_GLOBAL__N_18offset_tEEE10hipError_tPvRmT1_PNSt15iterator_traitsIS12_E10value_typeET2_T3_PNS13_IS18_E10value_typeET4_jRbjT5_S1E_jjP12ihipStream_tbEUljE_ZNSN_ISO_Lb1ESQ_SR_ST_SU_SY_EESZ_S10_S11_S12_S16_S17_S18_S1B_S1C_jS1D_jS1E_S1E_jjS1G_bEUljE0_EEESZ_S10_S11_S18_S1C_S1E_T6_T7_T9_mT8_S1G_bDpT10_ENKUlT_T0_E_clISt17integral_constantIbLb0EES1T_IbLb1EEEEDaS1P_S1Q_EUlS1P_E_NS1_11comp_targetILNS1_3genE3ELNS1_11target_archE908ELNS1_3gpuE7ELNS1_3repE0EEENS1_30default_config_static_selectorELNS0_4arch9wavefront6targetE1EEEvS12_, .Lfunc_end460-_ZN7rocprim17ROCPRIM_400000_NS6detail17trampoline_kernelINS0_13select_configILj256ELj13ELNS0_17block_load_methodE3ELS4_3ELS4_3ELNS0_20block_scan_algorithmE0ELj4294967295EEENS1_25partition_config_selectorILNS1_17partition_subalgoE4EjNS0_10empty_typeEbEEZZNS1_14partition_implILS8_4ELb0ES6_15HIP_vector_typeIjLj2EENS0_17counting_iteratorIjlEEPS9_SG_NS0_5tupleIJPjSI_NS0_16reverse_iteratorISI_EEEEENSH_IJSG_SG_SG_EEES9_SI_JZNS1_25segmented_radix_sort_implINS0_14default_configELb1EPKiPiPKlPlN2at6native12_GLOBAL__N_18offset_tEEE10hipError_tPvRmT1_PNSt15iterator_traitsIS12_E10value_typeET2_T3_PNS13_IS18_E10value_typeET4_jRbjT5_S1E_jjP12ihipStream_tbEUljE_ZNSN_ISO_Lb1ESQ_SR_ST_SU_SY_EESZ_S10_S11_S12_S16_S17_S18_S1B_S1C_jS1D_jS1E_S1E_jjS1G_bEUljE0_EEESZ_S10_S11_S18_S1C_S1E_T6_T7_T9_mT8_S1G_bDpT10_ENKUlT_T0_E_clISt17integral_constantIbLb0EES1T_IbLb1EEEEDaS1P_S1Q_EUlS1P_E_NS1_11comp_targetILNS1_3genE3ELNS1_11target_archE908ELNS1_3gpuE7ELNS1_3repE0EEENS1_30default_config_static_selectorELNS0_4arch9wavefront6targetE1EEEvS12_
                                        ; -- End function
	.section	.AMDGPU.csdata,"",@progbits
; Kernel info:
; codeLenInByte = 0
; NumSgprs: 4
; NumVgprs: 0
; NumAgprs: 0
; TotalNumVgprs: 0
; ScratchSize: 0
; MemoryBound: 0
; FloatMode: 240
; IeeeMode: 1
; LDSByteSize: 0 bytes/workgroup (compile time only)
; SGPRBlocks: 0
; VGPRBlocks: 0
; NumSGPRsForWavesPerEU: 4
; NumVGPRsForWavesPerEU: 1
; AccumOffset: 4
; Occupancy: 8
; WaveLimiterHint : 0
; COMPUTE_PGM_RSRC2:SCRATCH_EN: 0
; COMPUTE_PGM_RSRC2:USER_SGPR: 6
; COMPUTE_PGM_RSRC2:TRAP_HANDLER: 0
; COMPUTE_PGM_RSRC2:TGID_X_EN: 1
; COMPUTE_PGM_RSRC2:TGID_Y_EN: 0
; COMPUTE_PGM_RSRC2:TGID_Z_EN: 0
; COMPUTE_PGM_RSRC2:TIDIG_COMP_CNT: 0
; COMPUTE_PGM_RSRC3_GFX90A:ACCUM_OFFSET: 0
; COMPUTE_PGM_RSRC3_GFX90A:TG_SPLIT: 0
	.section	.text._ZN7rocprim17ROCPRIM_400000_NS6detail17trampoline_kernelINS0_13select_configILj256ELj13ELNS0_17block_load_methodE3ELS4_3ELS4_3ELNS0_20block_scan_algorithmE0ELj4294967295EEENS1_25partition_config_selectorILNS1_17partition_subalgoE4EjNS0_10empty_typeEbEEZZNS1_14partition_implILS8_4ELb0ES6_15HIP_vector_typeIjLj2EENS0_17counting_iteratorIjlEEPS9_SG_NS0_5tupleIJPjSI_NS0_16reverse_iteratorISI_EEEEENSH_IJSG_SG_SG_EEES9_SI_JZNS1_25segmented_radix_sort_implINS0_14default_configELb1EPKiPiPKlPlN2at6native12_GLOBAL__N_18offset_tEEE10hipError_tPvRmT1_PNSt15iterator_traitsIS12_E10value_typeET2_T3_PNS13_IS18_E10value_typeET4_jRbjT5_S1E_jjP12ihipStream_tbEUljE_ZNSN_ISO_Lb1ESQ_SR_ST_SU_SY_EESZ_S10_S11_S12_S16_S17_S18_S1B_S1C_jS1D_jS1E_S1E_jjS1G_bEUljE0_EEESZ_S10_S11_S18_S1C_S1E_T6_T7_T9_mT8_S1G_bDpT10_ENKUlT_T0_E_clISt17integral_constantIbLb0EES1T_IbLb1EEEEDaS1P_S1Q_EUlS1P_E_NS1_11comp_targetILNS1_3genE2ELNS1_11target_archE906ELNS1_3gpuE6ELNS1_3repE0EEENS1_30default_config_static_selectorELNS0_4arch9wavefront6targetE1EEEvS12_,"axG",@progbits,_ZN7rocprim17ROCPRIM_400000_NS6detail17trampoline_kernelINS0_13select_configILj256ELj13ELNS0_17block_load_methodE3ELS4_3ELS4_3ELNS0_20block_scan_algorithmE0ELj4294967295EEENS1_25partition_config_selectorILNS1_17partition_subalgoE4EjNS0_10empty_typeEbEEZZNS1_14partition_implILS8_4ELb0ES6_15HIP_vector_typeIjLj2EENS0_17counting_iteratorIjlEEPS9_SG_NS0_5tupleIJPjSI_NS0_16reverse_iteratorISI_EEEEENSH_IJSG_SG_SG_EEES9_SI_JZNS1_25segmented_radix_sort_implINS0_14default_configELb1EPKiPiPKlPlN2at6native12_GLOBAL__N_18offset_tEEE10hipError_tPvRmT1_PNSt15iterator_traitsIS12_E10value_typeET2_T3_PNS13_IS18_E10value_typeET4_jRbjT5_S1E_jjP12ihipStream_tbEUljE_ZNSN_ISO_Lb1ESQ_SR_ST_SU_SY_EESZ_S10_S11_S12_S16_S17_S18_S1B_S1C_jS1D_jS1E_S1E_jjS1G_bEUljE0_EEESZ_S10_S11_S18_S1C_S1E_T6_T7_T9_mT8_S1G_bDpT10_ENKUlT_T0_E_clISt17integral_constantIbLb0EES1T_IbLb1EEEEDaS1P_S1Q_EUlS1P_E_NS1_11comp_targetILNS1_3genE2ELNS1_11target_archE906ELNS1_3gpuE6ELNS1_3repE0EEENS1_30default_config_static_selectorELNS0_4arch9wavefront6targetE1EEEvS12_,comdat
	.globl	_ZN7rocprim17ROCPRIM_400000_NS6detail17trampoline_kernelINS0_13select_configILj256ELj13ELNS0_17block_load_methodE3ELS4_3ELS4_3ELNS0_20block_scan_algorithmE0ELj4294967295EEENS1_25partition_config_selectorILNS1_17partition_subalgoE4EjNS0_10empty_typeEbEEZZNS1_14partition_implILS8_4ELb0ES6_15HIP_vector_typeIjLj2EENS0_17counting_iteratorIjlEEPS9_SG_NS0_5tupleIJPjSI_NS0_16reverse_iteratorISI_EEEEENSH_IJSG_SG_SG_EEES9_SI_JZNS1_25segmented_radix_sort_implINS0_14default_configELb1EPKiPiPKlPlN2at6native12_GLOBAL__N_18offset_tEEE10hipError_tPvRmT1_PNSt15iterator_traitsIS12_E10value_typeET2_T3_PNS13_IS18_E10value_typeET4_jRbjT5_S1E_jjP12ihipStream_tbEUljE_ZNSN_ISO_Lb1ESQ_SR_ST_SU_SY_EESZ_S10_S11_S12_S16_S17_S18_S1B_S1C_jS1D_jS1E_S1E_jjS1G_bEUljE0_EEESZ_S10_S11_S18_S1C_S1E_T6_T7_T9_mT8_S1G_bDpT10_ENKUlT_T0_E_clISt17integral_constantIbLb0EES1T_IbLb1EEEEDaS1P_S1Q_EUlS1P_E_NS1_11comp_targetILNS1_3genE2ELNS1_11target_archE906ELNS1_3gpuE6ELNS1_3repE0EEENS1_30default_config_static_selectorELNS0_4arch9wavefront6targetE1EEEvS12_ ; -- Begin function _ZN7rocprim17ROCPRIM_400000_NS6detail17trampoline_kernelINS0_13select_configILj256ELj13ELNS0_17block_load_methodE3ELS4_3ELS4_3ELNS0_20block_scan_algorithmE0ELj4294967295EEENS1_25partition_config_selectorILNS1_17partition_subalgoE4EjNS0_10empty_typeEbEEZZNS1_14partition_implILS8_4ELb0ES6_15HIP_vector_typeIjLj2EENS0_17counting_iteratorIjlEEPS9_SG_NS0_5tupleIJPjSI_NS0_16reverse_iteratorISI_EEEEENSH_IJSG_SG_SG_EEES9_SI_JZNS1_25segmented_radix_sort_implINS0_14default_configELb1EPKiPiPKlPlN2at6native12_GLOBAL__N_18offset_tEEE10hipError_tPvRmT1_PNSt15iterator_traitsIS12_E10value_typeET2_T3_PNS13_IS18_E10value_typeET4_jRbjT5_S1E_jjP12ihipStream_tbEUljE_ZNSN_ISO_Lb1ESQ_SR_ST_SU_SY_EESZ_S10_S11_S12_S16_S17_S18_S1B_S1C_jS1D_jS1E_S1E_jjS1G_bEUljE0_EEESZ_S10_S11_S18_S1C_S1E_T6_T7_T9_mT8_S1G_bDpT10_ENKUlT_T0_E_clISt17integral_constantIbLb0EES1T_IbLb1EEEEDaS1P_S1Q_EUlS1P_E_NS1_11comp_targetILNS1_3genE2ELNS1_11target_archE906ELNS1_3gpuE6ELNS1_3repE0EEENS1_30default_config_static_selectorELNS0_4arch9wavefront6targetE1EEEvS12_
	.p2align	8
	.type	_ZN7rocprim17ROCPRIM_400000_NS6detail17trampoline_kernelINS0_13select_configILj256ELj13ELNS0_17block_load_methodE3ELS4_3ELS4_3ELNS0_20block_scan_algorithmE0ELj4294967295EEENS1_25partition_config_selectorILNS1_17partition_subalgoE4EjNS0_10empty_typeEbEEZZNS1_14partition_implILS8_4ELb0ES6_15HIP_vector_typeIjLj2EENS0_17counting_iteratorIjlEEPS9_SG_NS0_5tupleIJPjSI_NS0_16reverse_iteratorISI_EEEEENSH_IJSG_SG_SG_EEES9_SI_JZNS1_25segmented_radix_sort_implINS0_14default_configELb1EPKiPiPKlPlN2at6native12_GLOBAL__N_18offset_tEEE10hipError_tPvRmT1_PNSt15iterator_traitsIS12_E10value_typeET2_T3_PNS13_IS18_E10value_typeET4_jRbjT5_S1E_jjP12ihipStream_tbEUljE_ZNSN_ISO_Lb1ESQ_SR_ST_SU_SY_EESZ_S10_S11_S12_S16_S17_S18_S1B_S1C_jS1D_jS1E_S1E_jjS1G_bEUljE0_EEESZ_S10_S11_S18_S1C_S1E_T6_T7_T9_mT8_S1G_bDpT10_ENKUlT_T0_E_clISt17integral_constantIbLb0EES1T_IbLb1EEEEDaS1P_S1Q_EUlS1P_E_NS1_11comp_targetILNS1_3genE2ELNS1_11target_archE906ELNS1_3gpuE6ELNS1_3repE0EEENS1_30default_config_static_selectorELNS0_4arch9wavefront6targetE1EEEvS12_,@function
_ZN7rocprim17ROCPRIM_400000_NS6detail17trampoline_kernelINS0_13select_configILj256ELj13ELNS0_17block_load_methodE3ELS4_3ELS4_3ELNS0_20block_scan_algorithmE0ELj4294967295EEENS1_25partition_config_selectorILNS1_17partition_subalgoE4EjNS0_10empty_typeEbEEZZNS1_14partition_implILS8_4ELb0ES6_15HIP_vector_typeIjLj2EENS0_17counting_iteratorIjlEEPS9_SG_NS0_5tupleIJPjSI_NS0_16reverse_iteratorISI_EEEEENSH_IJSG_SG_SG_EEES9_SI_JZNS1_25segmented_radix_sort_implINS0_14default_configELb1EPKiPiPKlPlN2at6native12_GLOBAL__N_18offset_tEEE10hipError_tPvRmT1_PNSt15iterator_traitsIS12_E10value_typeET2_T3_PNS13_IS18_E10value_typeET4_jRbjT5_S1E_jjP12ihipStream_tbEUljE_ZNSN_ISO_Lb1ESQ_SR_ST_SU_SY_EESZ_S10_S11_S12_S16_S17_S18_S1B_S1C_jS1D_jS1E_S1E_jjS1G_bEUljE0_EEESZ_S10_S11_S18_S1C_S1E_T6_T7_T9_mT8_S1G_bDpT10_ENKUlT_T0_E_clISt17integral_constantIbLb0EES1T_IbLb1EEEEDaS1P_S1Q_EUlS1P_E_NS1_11comp_targetILNS1_3genE2ELNS1_11target_archE906ELNS1_3gpuE6ELNS1_3repE0EEENS1_30default_config_static_selectorELNS0_4arch9wavefront6targetE1EEEvS12_: ; @_ZN7rocprim17ROCPRIM_400000_NS6detail17trampoline_kernelINS0_13select_configILj256ELj13ELNS0_17block_load_methodE3ELS4_3ELS4_3ELNS0_20block_scan_algorithmE0ELj4294967295EEENS1_25partition_config_selectorILNS1_17partition_subalgoE4EjNS0_10empty_typeEbEEZZNS1_14partition_implILS8_4ELb0ES6_15HIP_vector_typeIjLj2EENS0_17counting_iteratorIjlEEPS9_SG_NS0_5tupleIJPjSI_NS0_16reverse_iteratorISI_EEEEENSH_IJSG_SG_SG_EEES9_SI_JZNS1_25segmented_radix_sort_implINS0_14default_configELb1EPKiPiPKlPlN2at6native12_GLOBAL__N_18offset_tEEE10hipError_tPvRmT1_PNSt15iterator_traitsIS12_E10value_typeET2_T3_PNS13_IS18_E10value_typeET4_jRbjT5_S1E_jjP12ihipStream_tbEUljE_ZNSN_ISO_Lb1ESQ_SR_ST_SU_SY_EESZ_S10_S11_S12_S16_S17_S18_S1B_S1C_jS1D_jS1E_S1E_jjS1G_bEUljE0_EEESZ_S10_S11_S18_S1C_S1E_T6_T7_T9_mT8_S1G_bDpT10_ENKUlT_T0_E_clISt17integral_constantIbLb0EES1T_IbLb1EEEEDaS1P_S1Q_EUlS1P_E_NS1_11comp_targetILNS1_3genE2ELNS1_11target_archE906ELNS1_3gpuE6ELNS1_3repE0EEENS1_30default_config_static_selectorELNS0_4arch9wavefront6targetE1EEEvS12_
; %bb.0:
	.section	.rodata,"a",@progbits
	.p2align	6, 0x0
	.amdhsa_kernel _ZN7rocprim17ROCPRIM_400000_NS6detail17trampoline_kernelINS0_13select_configILj256ELj13ELNS0_17block_load_methodE3ELS4_3ELS4_3ELNS0_20block_scan_algorithmE0ELj4294967295EEENS1_25partition_config_selectorILNS1_17partition_subalgoE4EjNS0_10empty_typeEbEEZZNS1_14partition_implILS8_4ELb0ES6_15HIP_vector_typeIjLj2EENS0_17counting_iteratorIjlEEPS9_SG_NS0_5tupleIJPjSI_NS0_16reverse_iteratorISI_EEEEENSH_IJSG_SG_SG_EEES9_SI_JZNS1_25segmented_radix_sort_implINS0_14default_configELb1EPKiPiPKlPlN2at6native12_GLOBAL__N_18offset_tEEE10hipError_tPvRmT1_PNSt15iterator_traitsIS12_E10value_typeET2_T3_PNS13_IS18_E10value_typeET4_jRbjT5_S1E_jjP12ihipStream_tbEUljE_ZNSN_ISO_Lb1ESQ_SR_ST_SU_SY_EESZ_S10_S11_S12_S16_S17_S18_S1B_S1C_jS1D_jS1E_S1E_jjS1G_bEUljE0_EEESZ_S10_S11_S18_S1C_S1E_T6_T7_T9_mT8_S1G_bDpT10_ENKUlT_T0_E_clISt17integral_constantIbLb0EES1T_IbLb1EEEEDaS1P_S1Q_EUlS1P_E_NS1_11comp_targetILNS1_3genE2ELNS1_11target_archE906ELNS1_3gpuE6ELNS1_3repE0EEENS1_30default_config_static_selectorELNS0_4arch9wavefront6targetE1EEEvS12_
		.amdhsa_group_segment_fixed_size 0
		.amdhsa_private_segment_fixed_size 0
		.amdhsa_kernarg_size 184
		.amdhsa_user_sgpr_count 6
		.amdhsa_user_sgpr_private_segment_buffer 1
		.amdhsa_user_sgpr_dispatch_ptr 0
		.amdhsa_user_sgpr_queue_ptr 0
		.amdhsa_user_sgpr_kernarg_segment_ptr 1
		.amdhsa_user_sgpr_dispatch_id 0
		.amdhsa_user_sgpr_flat_scratch_init 0
		.amdhsa_user_sgpr_kernarg_preload_length 0
		.amdhsa_user_sgpr_kernarg_preload_offset 0
		.amdhsa_user_sgpr_private_segment_size 0
		.amdhsa_uses_dynamic_stack 0
		.amdhsa_system_sgpr_private_segment_wavefront_offset 0
		.amdhsa_system_sgpr_workgroup_id_x 1
		.amdhsa_system_sgpr_workgroup_id_y 0
		.amdhsa_system_sgpr_workgroup_id_z 0
		.amdhsa_system_sgpr_workgroup_info 0
		.amdhsa_system_vgpr_workitem_id 0
		.amdhsa_next_free_vgpr 1
		.amdhsa_next_free_sgpr 0
		.amdhsa_accum_offset 4
		.amdhsa_reserve_vcc 0
		.amdhsa_reserve_flat_scratch 0
		.amdhsa_float_round_mode_32 0
		.amdhsa_float_round_mode_16_64 0
		.amdhsa_float_denorm_mode_32 3
		.amdhsa_float_denorm_mode_16_64 3
		.amdhsa_dx10_clamp 1
		.amdhsa_ieee_mode 1
		.amdhsa_fp16_overflow 0
		.amdhsa_tg_split 0
		.amdhsa_exception_fp_ieee_invalid_op 0
		.amdhsa_exception_fp_denorm_src 0
		.amdhsa_exception_fp_ieee_div_zero 0
		.amdhsa_exception_fp_ieee_overflow 0
		.amdhsa_exception_fp_ieee_underflow 0
		.amdhsa_exception_fp_ieee_inexact 0
		.amdhsa_exception_int_div_zero 0
	.end_amdhsa_kernel
	.section	.text._ZN7rocprim17ROCPRIM_400000_NS6detail17trampoline_kernelINS0_13select_configILj256ELj13ELNS0_17block_load_methodE3ELS4_3ELS4_3ELNS0_20block_scan_algorithmE0ELj4294967295EEENS1_25partition_config_selectorILNS1_17partition_subalgoE4EjNS0_10empty_typeEbEEZZNS1_14partition_implILS8_4ELb0ES6_15HIP_vector_typeIjLj2EENS0_17counting_iteratorIjlEEPS9_SG_NS0_5tupleIJPjSI_NS0_16reverse_iteratorISI_EEEEENSH_IJSG_SG_SG_EEES9_SI_JZNS1_25segmented_radix_sort_implINS0_14default_configELb1EPKiPiPKlPlN2at6native12_GLOBAL__N_18offset_tEEE10hipError_tPvRmT1_PNSt15iterator_traitsIS12_E10value_typeET2_T3_PNS13_IS18_E10value_typeET4_jRbjT5_S1E_jjP12ihipStream_tbEUljE_ZNSN_ISO_Lb1ESQ_SR_ST_SU_SY_EESZ_S10_S11_S12_S16_S17_S18_S1B_S1C_jS1D_jS1E_S1E_jjS1G_bEUljE0_EEESZ_S10_S11_S18_S1C_S1E_T6_T7_T9_mT8_S1G_bDpT10_ENKUlT_T0_E_clISt17integral_constantIbLb0EES1T_IbLb1EEEEDaS1P_S1Q_EUlS1P_E_NS1_11comp_targetILNS1_3genE2ELNS1_11target_archE906ELNS1_3gpuE6ELNS1_3repE0EEENS1_30default_config_static_selectorELNS0_4arch9wavefront6targetE1EEEvS12_,"axG",@progbits,_ZN7rocprim17ROCPRIM_400000_NS6detail17trampoline_kernelINS0_13select_configILj256ELj13ELNS0_17block_load_methodE3ELS4_3ELS4_3ELNS0_20block_scan_algorithmE0ELj4294967295EEENS1_25partition_config_selectorILNS1_17partition_subalgoE4EjNS0_10empty_typeEbEEZZNS1_14partition_implILS8_4ELb0ES6_15HIP_vector_typeIjLj2EENS0_17counting_iteratorIjlEEPS9_SG_NS0_5tupleIJPjSI_NS0_16reverse_iteratorISI_EEEEENSH_IJSG_SG_SG_EEES9_SI_JZNS1_25segmented_radix_sort_implINS0_14default_configELb1EPKiPiPKlPlN2at6native12_GLOBAL__N_18offset_tEEE10hipError_tPvRmT1_PNSt15iterator_traitsIS12_E10value_typeET2_T3_PNS13_IS18_E10value_typeET4_jRbjT5_S1E_jjP12ihipStream_tbEUljE_ZNSN_ISO_Lb1ESQ_SR_ST_SU_SY_EESZ_S10_S11_S12_S16_S17_S18_S1B_S1C_jS1D_jS1E_S1E_jjS1G_bEUljE0_EEESZ_S10_S11_S18_S1C_S1E_T6_T7_T9_mT8_S1G_bDpT10_ENKUlT_T0_E_clISt17integral_constantIbLb0EES1T_IbLb1EEEEDaS1P_S1Q_EUlS1P_E_NS1_11comp_targetILNS1_3genE2ELNS1_11target_archE906ELNS1_3gpuE6ELNS1_3repE0EEENS1_30default_config_static_selectorELNS0_4arch9wavefront6targetE1EEEvS12_,comdat
.Lfunc_end461:
	.size	_ZN7rocprim17ROCPRIM_400000_NS6detail17trampoline_kernelINS0_13select_configILj256ELj13ELNS0_17block_load_methodE3ELS4_3ELS4_3ELNS0_20block_scan_algorithmE0ELj4294967295EEENS1_25partition_config_selectorILNS1_17partition_subalgoE4EjNS0_10empty_typeEbEEZZNS1_14partition_implILS8_4ELb0ES6_15HIP_vector_typeIjLj2EENS0_17counting_iteratorIjlEEPS9_SG_NS0_5tupleIJPjSI_NS0_16reverse_iteratorISI_EEEEENSH_IJSG_SG_SG_EEES9_SI_JZNS1_25segmented_radix_sort_implINS0_14default_configELb1EPKiPiPKlPlN2at6native12_GLOBAL__N_18offset_tEEE10hipError_tPvRmT1_PNSt15iterator_traitsIS12_E10value_typeET2_T3_PNS13_IS18_E10value_typeET4_jRbjT5_S1E_jjP12ihipStream_tbEUljE_ZNSN_ISO_Lb1ESQ_SR_ST_SU_SY_EESZ_S10_S11_S12_S16_S17_S18_S1B_S1C_jS1D_jS1E_S1E_jjS1G_bEUljE0_EEESZ_S10_S11_S18_S1C_S1E_T6_T7_T9_mT8_S1G_bDpT10_ENKUlT_T0_E_clISt17integral_constantIbLb0EES1T_IbLb1EEEEDaS1P_S1Q_EUlS1P_E_NS1_11comp_targetILNS1_3genE2ELNS1_11target_archE906ELNS1_3gpuE6ELNS1_3repE0EEENS1_30default_config_static_selectorELNS0_4arch9wavefront6targetE1EEEvS12_, .Lfunc_end461-_ZN7rocprim17ROCPRIM_400000_NS6detail17trampoline_kernelINS0_13select_configILj256ELj13ELNS0_17block_load_methodE3ELS4_3ELS4_3ELNS0_20block_scan_algorithmE0ELj4294967295EEENS1_25partition_config_selectorILNS1_17partition_subalgoE4EjNS0_10empty_typeEbEEZZNS1_14partition_implILS8_4ELb0ES6_15HIP_vector_typeIjLj2EENS0_17counting_iteratorIjlEEPS9_SG_NS0_5tupleIJPjSI_NS0_16reverse_iteratorISI_EEEEENSH_IJSG_SG_SG_EEES9_SI_JZNS1_25segmented_radix_sort_implINS0_14default_configELb1EPKiPiPKlPlN2at6native12_GLOBAL__N_18offset_tEEE10hipError_tPvRmT1_PNSt15iterator_traitsIS12_E10value_typeET2_T3_PNS13_IS18_E10value_typeET4_jRbjT5_S1E_jjP12ihipStream_tbEUljE_ZNSN_ISO_Lb1ESQ_SR_ST_SU_SY_EESZ_S10_S11_S12_S16_S17_S18_S1B_S1C_jS1D_jS1E_S1E_jjS1G_bEUljE0_EEESZ_S10_S11_S18_S1C_S1E_T6_T7_T9_mT8_S1G_bDpT10_ENKUlT_T0_E_clISt17integral_constantIbLb0EES1T_IbLb1EEEEDaS1P_S1Q_EUlS1P_E_NS1_11comp_targetILNS1_3genE2ELNS1_11target_archE906ELNS1_3gpuE6ELNS1_3repE0EEENS1_30default_config_static_selectorELNS0_4arch9wavefront6targetE1EEEvS12_
                                        ; -- End function
	.section	.AMDGPU.csdata,"",@progbits
; Kernel info:
; codeLenInByte = 0
; NumSgprs: 4
; NumVgprs: 0
; NumAgprs: 0
; TotalNumVgprs: 0
; ScratchSize: 0
; MemoryBound: 0
; FloatMode: 240
; IeeeMode: 1
; LDSByteSize: 0 bytes/workgroup (compile time only)
; SGPRBlocks: 0
; VGPRBlocks: 0
; NumSGPRsForWavesPerEU: 4
; NumVGPRsForWavesPerEU: 1
; AccumOffset: 4
; Occupancy: 8
; WaveLimiterHint : 0
; COMPUTE_PGM_RSRC2:SCRATCH_EN: 0
; COMPUTE_PGM_RSRC2:USER_SGPR: 6
; COMPUTE_PGM_RSRC2:TRAP_HANDLER: 0
; COMPUTE_PGM_RSRC2:TGID_X_EN: 1
; COMPUTE_PGM_RSRC2:TGID_Y_EN: 0
; COMPUTE_PGM_RSRC2:TGID_Z_EN: 0
; COMPUTE_PGM_RSRC2:TIDIG_COMP_CNT: 0
; COMPUTE_PGM_RSRC3_GFX90A:ACCUM_OFFSET: 0
; COMPUTE_PGM_RSRC3_GFX90A:TG_SPLIT: 0
	.section	.text._ZN7rocprim17ROCPRIM_400000_NS6detail17trampoline_kernelINS0_13select_configILj256ELj13ELNS0_17block_load_methodE3ELS4_3ELS4_3ELNS0_20block_scan_algorithmE0ELj4294967295EEENS1_25partition_config_selectorILNS1_17partition_subalgoE4EjNS0_10empty_typeEbEEZZNS1_14partition_implILS8_4ELb0ES6_15HIP_vector_typeIjLj2EENS0_17counting_iteratorIjlEEPS9_SG_NS0_5tupleIJPjSI_NS0_16reverse_iteratorISI_EEEEENSH_IJSG_SG_SG_EEES9_SI_JZNS1_25segmented_radix_sort_implINS0_14default_configELb1EPKiPiPKlPlN2at6native12_GLOBAL__N_18offset_tEEE10hipError_tPvRmT1_PNSt15iterator_traitsIS12_E10value_typeET2_T3_PNS13_IS18_E10value_typeET4_jRbjT5_S1E_jjP12ihipStream_tbEUljE_ZNSN_ISO_Lb1ESQ_SR_ST_SU_SY_EESZ_S10_S11_S12_S16_S17_S18_S1B_S1C_jS1D_jS1E_S1E_jjS1G_bEUljE0_EEESZ_S10_S11_S18_S1C_S1E_T6_T7_T9_mT8_S1G_bDpT10_ENKUlT_T0_E_clISt17integral_constantIbLb0EES1T_IbLb1EEEEDaS1P_S1Q_EUlS1P_E_NS1_11comp_targetILNS1_3genE10ELNS1_11target_archE1200ELNS1_3gpuE4ELNS1_3repE0EEENS1_30default_config_static_selectorELNS0_4arch9wavefront6targetE1EEEvS12_,"axG",@progbits,_ZN7rocprim17ROCPRIM_400000_NS6detail17trampoline_kernelINS0_13select_configILj256ELj13ELNS0_17block_load_methodE3ELS4_3ELS4_3ELNS0_20block_scan_algorithmE0ELj4294967295EEENS1_25partition_config_selectorILNS1_17partition_subalgoE4EjNS0_10empty_typeEbEEZZNS1_14partition_implILS8_4ELb0ES6_15HIP_vector_typeIjLj2EENS0_17counting_iteratorIjlEEPS9_SG_NS0_5tupleIJPjSI_NS0_16reverse_iteratorISI_EEEEENSH_IJSG_SG_SG_EEES9_SI_JZNS1_25segmented_radix_sort_implINS0_14default_configELb1EPKiPiPKlPlN2at6native12_GLOBAL__N_18offset_tEEE10hipError_tPvRmT1_PNSt15iterator_traitsIS12_E10value_typeET2_T3_PNS13_IS18_E10value_typeET4_jRbjT5_S1E_jjP12ihipStream_tbEUljE_ZNSN_ISO_Lb1ESQ_SR_ST_SU_SY_EESZ_S10_S11_S12_S16_S17_S18_S1B_S1C_jS1D_jS1E_S1E_jjS1G_bEUljE0_EEESZ_S10_S11_S18_S1C_S1E_T6_T7_T9_mT8_S1G_bDpT10_ENKUlT_T0_E_clISt17integral_constantIbLb0EES1T_IbLb1EEEEDaS1P_S1Q_EUlS1P_E_NS1_11comp_targetILNS1_3genE10ELNS1_11target_archE1200ELNS1_3gpuE4ELNS1_3repE0EEENS1_30default_config_static_selectorELNS0_4arch9wavefront6targetE1EEEvS12_,comdat
	.globl	_ZN7rocprim17ROCPRIM_400000_NS6detail17trampoline_kernelINS0_13select_configILj256ELj13ELNS0_17block_load_methodE3ELS4_3ELS4_3ELNS0_20block_scan_algorithmE0ELj4294967295EEENS1_25partition_config_selectorILNS1_17partition_subalgoE4EjNS0_10empty_typeEbEEZZNS1_14partition_implILS8_4ELb0ES6_15HIP_vector_typeIjLj2EENS0_17counting_iteratorIjlEEPS9_SG_NS0_5tupleIJPjSI_NS0_16reverse_iteratorISI_EEEEENSH_IJSG_SG_SG_EEES9_SI_JZNS1_25segmented_radix_sort_implINS0_14default_configELb1EPKiPiPKlPlN2at6native12_GLOBAL__N_18offset_tEEE10hipError_tPvRmT1_PNSt15iterator_traitsIS12_E10value_typeET2_T3_PNS13_IS18_E10value_typeET4_jRbjT5_S1E_jjP12ihipStream_tbEUljE_ZNSN_ISO_Lb1ESQ_SR_ST_SU_SY_EESZ_S10_S11_S12_S16_S17_S18_S1B_S1C_jS1D_jS1E_S1E_jjS1G_bEUljE0_EEESZ_S10_S11_S18_S1C_S1E_T6_T7_T9_mT8_S1G_bDpT10_ENKUlT_T0_E_clISt17integral_constantIbLb0EES1T_IbLb1EEEEDaS1P_S1Q_EUlS1P_E_NS1_11comp_targetILNS1_3genE10ELNS1_11target_archE1200ELNS1_3gpuE4ELNS1_3repE0EEENS1_30default_config_static_selectorELNS0_4arch9wavefront6targetE1EEEvS12_ ; -- Begin function _ZN7rocprim17ROCPRIM_400000_NS6detail17trampoline_kernelINS0_13select_configILj256ELj13ELNS0_17block_load_methodE3ELS4_3ELS4_3ELNS0_20block_scan_algorithmE0ELj4294967295EEENS1_25partition_config_selectorILNS1_17partition_subalgoE4EjNS0_10empty_typeEbEEZZNS1_14partition_implILS8_4ELb0ES6_15HIP_vector_typeIjLj2EENS0_17counting_iteratorIjlEEPS9_SG_NS0_5tupleIJPjSI_NS0_16reverse_iteratorISI_EEEEENSH_IJSG_SG_SG_EEES9_SI_JZNS1_25segmented_radix_sort_implINS0_14default_configELb1EPKiPiPKlPlN2at6native12_GLOBAL__N_18offset_tEEE10hipError_tPvRmT1_PNSt15iterator_traitsIS12_E10value_typeET2_T3_PNS13_IS18_E10value_typeET4_jRbjT5_S1E_jjP12ihipStream_tbEUljE_ZNSN_ISO_Lb1ESQ_SR_ST_SU_SY_EESZ_S10_S11_S12_S16_S17_S18_S1B_S1C_jS1D_jS1E_S1E_jjS1G_bEUljE0_EEESZ_S10_S11_S18_S1C_S1E_T6_T7_T9_mT8_S1G_bDpT10_ENKUlT_T0_E_clISt17integral_constantIbLb0EES1T_IbLb1EEEEDaS1P_S1Q_EUlS1P_E_NS1_11comp_targetILNS1_3genE10ELNS1_11target_archE1200ELNS1_3gpuE4ELNS1_3repE0EEENS1_30default_config_static_selectorELNS0_4arch9wavefront6targetE1EEEvS12_
	.p2align	8
	.type	_ZN7rocprim17ROCPRIM_400000_NS6detail17trampoline_kernelINS0_13select_configILj256ELj13ELNS0_17block_load_methodE3ELS4_3ELS4_3ELNS0_20block_scan_algorithmE0ELj4294967295EEENS1_25partition_config_selectorILNS1_17partition_subalgoE4EjNS0_10empty_typeEbEEZZNS1_14partition_implILS8_4ELb0ES6_15HIP_vector_typeIjLj2EENS0_17counting_iteratorIjlEEPS9_SG_NS0_5tupleIJPjSI_NS0_16reverse_iteratorISI_EEEEENSH_IJSG_SG_SG_EEES9_SI_JZNS1_25segmented_radix_sort_implINS0_14default_configELb1EPKiPiPKlPlN2at6native12_GLOBAL__N_18offset_tEEE10hipError_tPvRmT1_PNSt15iterator_traitsIS12_E10value_typeET2_T3_PNS13_IS18_E10value_typeET4_jRbjT5_S1E_jjP12ihipStream_tbEUljE_ZNSN_ISO_Lb1ESQ_SR_ST_SU_SY_EESZ_S10_S11_S12_S16_S17_S18_S1B_S1C_jS1D_jS1E_S1E_jjS1G_bEUljE0_EEESZ_S10_S11_S18_S1C_S1E_T6_T7_T9_mT8_S1G_bDpT10_ENKUlT_T0_E_clISt17integral_constantIbLb0EES1T_IbLb1EEEEDaS1P_S1Q_EUlS1P_E_NS1_11comp_targetILNS1_3genE10ELNS1_11target_archE1200ELNS1_3gpuE4ELNS1_3repE0EEENS1_30default_config_static_selectorELNS0_4arch9wavefront6targetE1EEEvS12_,@function
_ZN7rocprim17ROCPRIM_400000_NS6detail17trampoline_kernelINS0_13select_configILj256ELj13ELNS0_17block_load_methodE3ELS4_3ELS4_3ELNS0_20block_scan_algorithmE0ELj4294967295EEENS1_25partition_config_selectorILNS1_17partition_subalgoE4EjNS0_10empty_typeEbEEZZNS1_14partition_implILS8_4ELb0ES6_15HIP_vector_typeIjLj2EENS0_17counting_iteratorIjlEEPS9_SG_NS0_5tupleIJPjSI_NS0_16reverse_iteratorISI_EEEEENSH_IJSG_SG_SG_EEES9_SI_JZNS1_25segmented_radix_sort_implINS0_14default_configELb1EPKiPiPKlPlN2at6native12_GLOBAL__N_18offset_tEEE10hipError_tPvRmT1_PNSt15iterator_traitsIS12_E10value_typeET2_T3_PNS13_IS18_E10value_typeET4_jRbjT5_S1E_jjP12ihipStream_tbEUljE_ZNSN_ISO_Lb1ESQ_SR_ST_SU_SY_EESZ_S10_S11_S12_S16_S17_S18_S1B_S1C_jS1D_jS1E_S1E_jjS1G_bEUljE0_EEESZ_S10_S11_S18_S1C_S1E_T6_T7_T9_mT8_S1G_bDpT10_ENKUlT_T0_E_clISt17integral_constantIbLb0EES1T_IbLb1EEEEDaS1P_S1Q_EUlS1P_E_NS1_11comp_targetILNS1_3genE10ELNS1_11target_archE1200ELNS1_3gpuE4ELNS1_3repE0EEENS1_30default_config_static_selectorELNS0_4arch9wavefront6targetE1EEEvS12_: ; @_ZN7rocprim17ROCPRIM_400000_NS6detail17trampoline_kernelINS0_13select_configILj256ELj13ELNS0_17block_load_methodE3ELS4_3ELS4_3ELNS0_20block_scan_algorithmE0ELj4294967295EEENS1_25partition_config_selectorILNS1_17partition_subalgoE4EjNS0_10empty_typeEbEEZZNS1_14partition_implILS8_4ELb0ES6_15HIP_vector_typeIjLj2EENS0_17counting_iteratorIjlEEPS9_SG_NS0_5tupleIJPjSI_NS0_16reverse_iteratorISI_EEEEENSH_IJSG_SG_SG_EEES9_SI_JZNS1_25segmented_radix_sort_implINS0_14default_configELb1EPKiPiPKlPlN2at6native12_GLOBAL__N_18offset_tEEE10hipError_tPvRmT1_PNSt15iterator_traitsIS12_E10value_typeET2_T3_PNS13_IS18_E10value_typeET4_jRbjT5_S1E_jjP12ihipStream_tbEUljE_ZNSN_ISO_Lb1ESQ_SR_ST_SU_SY_EESZ_S10_S11_S12_S16_S17_S18_S1B_S1C_jS1D_jS1E_S1E_jjS1G_bEUljE0_EEESZ_S10_S11_S18_S1C_S1E_T6_T7_T9_mT8_S1G_bDpT10_ENKUlT_T0_E_clISt17integral_constantIbLb0EES1T_IbLb1EEEEDaS1P_S1Q_EUlS1P_E_NS1_11comp_targetILNS1_3genE10ELNS1_11target_archE1200ELNS1_3gpuE4ELNS1_3repE0EEENS1_30default_config_static_selectorELNS0_4arch9wavefront6targetE1EEEvS12_
; %bb.0:
	.section	.rodata,"a",@progbits
	.p2align	6, 0x0
	.amdhsa_kernel _ZN7rocprim17ROCPRIM_400000_NS6detail17trampoline_kernelINS0_13select_configILj256ELj13ELNS0_17block_load_methodE3ELS4_3ELS4_3ELNS0_20block_scan_algorithmE0ELj4294967295EEENS1_25partition_config_selectorILNS1_17partition_subalgoE4EjNS0_10empty_typeEbEEZZNS1_14partition_implILS8_4ELb0ES6_15HIP_vector_typeIjLj2EENS0_17counting_iteratorIjlEEPS9_SG_NS0_5tupleIJPjSI_NS0_16reverse_iteratorISI_EEEEENSH_IJSG_SG_SG_EEES9_SI_JZNS1_25segmented_radix_sort_implINS0_14default_configELb1EPKiPiPKlPlN2at6native12_GLOBAL__N_18offset_tEEE10hipError_tPvRmT1_PNSt15iterator_traitsIS12_E10value_typeET2_T3_PNS13_IS18_E10value_typeET4_jRbjT5_S1E_jjP12ihipStream_tbEUljE_ZNSN_ISO_Lb1ESQ_SR_ST_SU_SY_EESZ_S10_S11_S12_S16_S17_S18_S1B_S1C_jS1D_jS1E_S1E_jjS1G_bEUljE0_EEESZ_S10_S11_S18_S1C_S1E_T6_T7_T9_mT8_S1G_bDpT10_ENKUlT_T0_E_clISt17integral_constantIbLb0EES1T_IbLb1EEEEDaS1P_S1Q_EUlS1P_E_NS1_11comp_targetILNS1_3genE10ELNS1_11target_archE1200ELNS1_3gpuE4ELNS1_3repE0EEENS1_30default_config_static_selectorELNS0_4arch9wavefront6targetE1EEEvS12_
		.amdhsa_group_segment_fixed_size 0
		.amdhsa_private_segment_fixed_size 0
		.amdhsa_kernarg_size 184
		.amdhsa_user_sgpr_count 6
		.amdhsa_user_sgpr_private_segment_buffer 1
		.amdhsa_user_sgpr_dispatch_ptr 0
		.amdhsa_user_sgpr_queue_ptr 0
		.amdhsa_user_sgpr_kernarg_segment_ptr 1
		.amdhsa_user_sgpr_dispatch_id 0
		.amdhsa_user_sgpr_flat_scratch_init 0
		.amdhsa_user_sgpr_kernarg_preload_length 0
		.amdhsa_user_sgpr_kernarg_preload_offset 0
		.amdhsa_user_sgpr_private_segment_size 0
		.amdhsa_uses_dynamic_stack 0
		.amdhsa_system_sgpr_private_segment_wavefront_offset 0
		.amdhsa_system_sgpr_workgroup_id_x 1
		.amdhsa_system_sgpr_workgroup_id_y 0
		.amdhsa_system_sgpr_workgroup_id_z 0
		.amdhsa_system_sgpr_workgroup_info 0
		.amdhsa_system_vgpr_workitem_id 0
		.amdhsa_next_free_vgpr 1
		.amdhsa_next_free_sgpr 0
		.amdhsa_accum_offset 4
		.amdhsa_reserve_vcc 0
		.amdhsa_reserve_flat_scratch 0
		.amdhsa_float_round_mode_32 0
		.amdhsa_float_round_mode_16_64 0
		.amdhsa_float_denorm_mode_32 3
		.amdhsa_float_denorm_mode_16_64 3
		.amdhsa_dx10_clamp 1
		.amdhsa_ieee_mode 1
		.amdhsa_fp16_overflow 0
		.amdhsa_tg_split 0
		.amdhsa_exception_fp_ieee_invalid_op 0
		.amdhsa_exception_fp_denorm_src 0
		.amdhsa_exception_fp_ieee_div_zero 0
		.amdhsa_exception_fp_ieee_overflow 0
		.amdhsa_exception_fp_ieee_underflow 0
		.amdhsa_exception_fp_ieee_inexact 0
		.amdhsa_exception_int_div_zero 0
	.end_amdhsa_kernel
	.section	.text._ZN7rocprim17ROCPRIM_400000_NS6detail17trampoline_kernelINS0_13select_configILj256ELj13ELNS0_17block_load_methodE3ELS4_3ELS4_3ELNS0_20block_scan_algorithmE0ELj4294967295EEENS1_25partition_config_selectorILNS1_17partition_subalgoE4EjNS0_10empty_typeEbEEZZNS1_14partition_implILS8_4ELb0ES6_15HIP_vector_typeIjLj2EENS0_17counting_iteratorIjlEEPS9_SG_NS0_5tupleIJPjSI_NS0_16reverse_iteratorISI_EEEEENSH_IJSG_SG_SG_EEES9_SI_JZNS1_25segmented_radix_sort_implINS0_14default_configELb1EPKiPiPKlPlN2at6native12_GLOBAL__N_18offset_tEEE10hipError_tPvRmT1_PNSt15iterator_traitsIS12_E10value_typeET2_T3_PNS13_IS18_E10value_typeET4_jRbjT5_S1E_jjP12ihipStream_tbEUljE_ZNSN_ISO_Lb1ESQ_SR_ST_SU_SY_EESZ_S10_S11_S12_S16_S17_S18_S1B_S1C_jS1D_jS1E_S1E_jjS1G_bEUljE0_EEESZ_S10_S11_S18_S1C_S1E_T6_T7_T9_mT8_S1G_bDpT10_ENKUlT_T0_E_clISt17integral_constantIbLb0EES1T_IbLb1EEEEDaS1P_S1Q_EUlS1P_E_NS1_11comp_targetILNS1_3genE10ELNS1_11target_archE1200ELNS1_3gpuE4ELNS1_3repE0EEENS1_30default_config_static_selectorELNS0_4arch9wavefront6targetE1EEEvS12_,"axG",@progbits,_ZN7rocprim17ROCPRIM_400000_NS6detail17trampoline_kernelINS0_13select_configILj256ELj13ELNS0_17block_load_methodE3ELS4_3ELS4_3ELNS0_20block_scan_algorithmE0ELj4294967295EEENS1_25partition_config_selectorILNS1_17partition_subalgoE4EjNS0_10empty_typeEbEEZZNS1_14partition_implILS8_4ELb0ES6_15HIP_vector_typeIjLj2EENS0_17counting_iteratorIjlEEPS9_SG_NS0_5tupleIJPjSI_NS0_16reverse_iteratorISI_EEEEENSH_IJSG_SG_SG_EEES9_SI_JZNS1_25segmented_radix_sort_implINS0_14default_configELb1EPKiPiPKlPlN2at6native12_GLOBAL__N_18offset_tEEE10hipError_tPvRmT1_PNSt15iterator_traitsIS12_E10value_typeET2_T3_PNS13_IS18_E10value_typeET4_jRbjT5_S1E_jjP12ihipStream_tbEUljE_ZNSN_ISO_Lb1ESQ_SR_ST_SU_SY_EESZ_S10_S11_S12_S16_S17_S18_S1B_S1C_jS1D_jS1E_S1E_jjS1G_bEUljE0_EEESZ_S10_S11_S18_S1C_S1E_T6_T7_T9_mT8_S1G_bDpT10_ENKUlT_T0_E_clISt17integral_constantIbLb0EES1T_IbLb1EEEEDaS1P_S1Q_EUlS1P_E_NS1_11comp_targetILNS1_3genE10ELNS1_11target_archE1200ELNS1_3gpuE4ELNS1_3repE0EEENS1_30default_config_static_selectorELNS0_4arch9wavefront6targetE1EEEvS12_,comdat
.Lfunc_end462:
	.size	_ZN7rocprim17ROCPRIM_400000_NS6detail17trampoline_kernelINS0_13select_configILj256ELj13ELNS0_17block_load_methodE3ELS4_3ELS4_3ELNS0_20block_scan_algorithmE0ELj4294967295EEENS1_25partition_config_selectorILNS1_17partition_subalgoE4EjNS0_10empty_typeEbEEZZNS1_14partition_implILS8_4ELb0ES6_15HIP_vector_typeIjLj2EENS0_17counting_iteratorIjlEEPS9_SG_NS0_5tupleIJPjSI_NS0_16reverse_iteratorISI_EEEEENSH_IJSG_SG_SG_EEES9_SI_JZNS1_25segmented_radix_sort_implINS0_14default_configELb1EPKiPiPKlPlN2at6native12_GLOBAL__N_18offset_tEEE10hipError_tPvRmT1_PNSt15iterator_traitsIS12_E10value_typeET2_T3_PNS13_IS18_E10value_typeET4_jRbjT5_S1E_jjP12ihipStream_tbEUljE_ZNSN_ISO_Lb1ESQ_SR_ST_SU_SY_EESZ_S10_S11_S12_S16_S17_S18_S1B_S1C_jS1D_jS1E_S1E_jjS1G_bEUljE0_EEESZ_S10_S11_S18_S1C_S1E_T6_T7_T9_mT8_S1G_bDpT10_ENKUlT_T0_E_clISt17integral_constantIbLb0EES1T_IbLb1EEEEDaS1P_S1Q_EUlS1P_E_NS1_11comp_targetILNS1_3genE10ELNS1_11target_archE1200ELNS1_3gpuE4ELNS1_3repE0EEENS1_30default_config_static_selectorELNS0_4arch9wavefront6targetE1EEEvS12_, .Lfunc_end462-_ZN7rocprim17ROCPRIM_400000_NS6detail17trampoline_kernelINS0_13select_configILj256ELj13ELNS0_17block_load_methodE3ELS4_3ELS4_3ELNS0_20block_scan_algorithmE0ELj4294967295EEENS1_25partition_config_selectorILNS1_17partition_subalgoE4EjNS0_10empty_typeEbEEZZNS1_14partition_implILS8_4ELb0ES6_15HIP_vector_typeIjLj2EENS0_17counting_iteratorIjlEEPS9_SG_NS0_5tupleIJPjSI_NS0_16reverse_iteratorISI_EEEEENSH_IJSG_SG_SG_EEES9_SI_JZNS1_25segmented_radix_sort_implINS0_14default_configELb1EPKiPiPKlPlN2at6native12_GLOBAL__N_18offset_tEEE10hipError_tPvRmT1_PNSt15iterator_traitsIS12_E10value_typeET2_T3_PNS13_IS18_E10value_typeET4_jRbjT5_S1E_jjP12ihipStream_tbEUljE_ZNSN_ISO_Lb1ESQ_SR_ST_SU_SY_EESZ_S10_S11_S12_S16_S17_S18_S1B_S1C_jS1D_jS1E_S1E_jjS1G_bEUljE0_EEESZ_S10_S11_S18_S1C_S1E_T6_T7_T9_mT8_S1G_bDpT10_ENKUlT_T0_E_clISt17integral_constantIbLb0EES1T_IbLb1EEEEDaS1P_S1Q_EUlS1P_E_NS1_11comp_targetILNS1_3genE10ELNS1_11target_archE1200ELNS1_3gpuE4ELNS1_3repE0EEENS1_30default_config_static_selectorELNS0_4arch9wavefront6targetE1EEEvS12_
                                        ; -- End function
	.section	.AMDGPU.csdata,"",@progbits
; Kernel info:
; codeLenInByte = 0
; NumSgprs: 4
; NumVgprs: 0
; NumAgprs: 0
; TotalNumVgprs: 0
; ScratchSize: 0
; MemoryBound: 0
; FloatMode: 240
; IeeeMode: 1
; LDSByteSize: 0 bytes/workgroup (compile time only)
; SGPRBlocks: 0
; VGPRBlocks: 0
; NumSGPRsForWavesPerEU: 4
; NumVGPRsForWavesPerEU: 1
; AccumOffset: 4
; Occupancy: 8
; WaveLimiterHint : 0
; COMPUTE_PGM_RSRC2:SCRATCH_EN: 0
; COMPUTE_PGM_RSRC2:USER_SGPR: 6
; COMPUTE_PGM_RSRC2:TRAP_HANDLER: 0
; COMPUTE_PGM_RSRC2:TGID_X_EN: 1
; COMPUTE_PGM_RSRC2:TGID_Y_EN: 0
; COMPUTE_PGM_RSRC2:TGID_Z_EN: 0
; COMPUTE_PGM_RSRC2:TIDIG_COMP_CNT: 0
; COMPUTE_PGM_RSRC3_GFX90A:ACCUM_OFFSET: 0
; COMPUTE_PGM_RSRC3_GFX90A:TG_SPLIT: 0
	.section	.text._ZN7rocprim17ROCPRIM_400000_NS6detail17trampoline_kernelINS0_13select_configILj256ELj13ELNS0_17block_load_methodE3ELS4_3ELS4_3ELNS0_20block_scan_algorithmE0ELj4294967295EEENS1_25partition_config_selectorILNS1_17partition_subalgoE4EjNS0_10empty_typeEbEEZZNS1_14partition_implILS8_4ELb0ES6_15HIP_vector_typeIjLj2EENS0_17counting_iteratorIjlEEPS9_SG_NS0_5tupleIJPjSI_NS0_16reverse_iteratorISI_EEEEENSH_IJSG_SG_SG_EEES9_SI_JZNS1_25segmented_radix_sort_implINS0_14default_configELb1EPKiPiPKlPlN2at6native12_GLOBAL__N_18offset_tEEE10hipError_tPvRmT1_PNSt15iterator_traitsIS12_E10value_typeET2_T3_PNS13_IS18_E10value_typeET4_jRbjT5_S1E_jjP12ihipStream_tbEUljE_ZNSN_ISO_Lb1ESQ_SR_ST_SU_SY_EESZ_S10_S11_S12_S16_S17_S18_S1B_S1C_jS1D_jS1E_S1E_jjS1G_bEUljE0_EEESZ_S10_S11_S18_S1C_S1E_T6_T7_T9_mT8_S1G_bDpT10_ENKUlT_T0_E_clISt17integral_constantIbLb0EES1T_IbLb1EEEEDaS1P_S1Q_EUlS1P_E_NS1_11comp_targetILNS1_3genE9ELNS1_11target_archE1100ELNS1_3gpuE3ELNS1_3repE0EEENS1_30default_config_static_selectorELNS0_4arch9wavefront6targetE1EEEvS12_,"axG",@progbits,_ZN7rocprim17ROCPRIM_400000_NS6detail17trampoline_kernelINS0_13select_configILj256ELj13ELNS0_17block_load_methodE3ELS4_3ELS4_3ELNS0_20block_scan_algorithmE0ELj4294967295EEENS1_25partition_config_selectorILNS1_17partition_subalgoE4EjNS0_10empty_typeEbEEZZNS1_14partition_implILS8_4ELb0ES6_15HIP_vector_typeIjLj2EENS0_17counting_iteratorIjlEEPS9_SG_NS0_5tupleIJPjSI_NS0_16reverse_iteratorISI_EEEEENSH_IJSG_SG_SG_EEES9_SI_JZNS1_25segmented_radix_sort_implINS0_14default_configELb1EPKiPiPKlPlN2at6native12_GLOBAL__N_18offset_tEEE10hipError_tPvRmT1_PNSt15iterator_traitsIS12_E10value_typeET2_T3_PNS13_IS18_E10value_typeET4_jRbjT5_S1E_jjP12ihipStream_tbEUljE_ZNSN_ISO_Lb1ESQ_SR_ST_SU_SY_EESZ_S10_S11_S12_S16_S17_S18_S1B_S1C_jS1D_jS1E_S1E_jjS1G_bEUljE0_EEESZ_S10_S11_S18_S1C_S1E_T6_T7_T9_mT8_S1G_bDpT10_ENKUlT_T0_E_clISt17integral_constantIbLb0EES1T_IbLb1EEEEDaS1P_S1Q_EUlS1P_E_NS1_11comp_targetILNS1_3genE9ELNS1_11target_archE1100ELNS1_3gpuE3ELNS1_3repE0EEENS1_30default_config_static_selectorELNS0_4arch9wavefront6targetE1EEEvS12_,comdat
	.globl	_ZN7rocprim17ROCPRIM_400000_NS6detail17trampoline_kernelINS0_13select_configILj256ELj13ELNS0_17block_load_methodE3ELS4_3ELS4_3ELNS0_20block_scan_algorithmE0ELj4294967295EEENS1_25partition_config_selectorILNS1_17partition_subalgoE4EjNS0_10empty_typeEbEEZZNS1_14partition_implILS8_4ELb0ES6_15HIP_vector_typeIjLj2EENS0_17counting_iteratorIjlEEPS9_SG_NS0_5tupleIJPjSI_NS0_16reverse_iteratorISI_EEEEENSH_IJSG_SG_SG_EEES9_SI_JZNS1_25segmented_radix_sort_implINS0_14default_configELb1EPKiPiPKlPlN2at6native12_GLOBAL__N_18offset_tEEE10hipError_tPvRmT1_PNSt15iterator_traitsIS12_E10value_typeET2_T3_PNS13_IS18_E10value_typeET4_jRbjT5_S1E_jjP12ihipStream_tbEUljE_ZNSN_ISO_Lb1ESQ_SR_ST_SU_SY_EESZ_S10_S11_S12_S16_S17_S18_S1B_S1C_jS1D_jS1E_S1E_jjS1G_bEUljE0_EEESZ_S10_S11_S18_S1C_S1E_T6_T7_T9_mT8_S1G_bDpT10_ENKUlT_T0_E_clISt17integral_constantIbLb0EES1T_IbLb1EEEEDaS1P_S1Q_EUlS1P_E_NS1_11comp_targetILNS1_3genE9ELNS1_11target_archE1100ELNS1_3gpuE3ELNS1_3repE0EEENS1_30default_config_static_selectorELNS0_4arch9wavefront6targetE1EEEvS12_ ; -- Begin function _ZN7rocprim17ROCPRIM_400000_NS6detail17trampoline_kernelINS0_13select_configILj256ELj13ELNS0_17block_load_methodE3ELS4_3ELS4_3ELNS0_20block_scan_algorithmE0ELj4294967295EEENS1_25partition_config_selectorILNS1_17partition_subalgoE4EjNS0_10empty_typeEbEEZZNS1_14partition_implILS8_4ELb0ES6_15HIP_vector_typeIjLj2EENS0_17counting_iteratorIjlEEPS9_SG_NS0_5tupleIJPjSI_NS0_16reverse_iteratorISI_EEEEENSH_IJSG_SG_SG_EEES9_SI_JZNS1_25segmented_radix_sort_implINS0_14default_configELb1EPKiPiPKlPlN2at6native12_GLOBAL__N_18offset_tEEE10hipError_tPvRmT1_PNSt15iterator_traitsIS12_E10value_typeET2_T3_PNS13_IS18_E10value_typeET4_jRbjT5_S1E_jjP12ihipStream_tbEUljE_ZNSN_ISO_Lb1ESQ_SR_ST_SU_SY_EESZ_S10_S11_S12_S16_S17_S18_S1B_S1C_jS1D_jS1E_S1E_jjS1G_bEUljE0_EEESZ_S10_S11_S18_S1C_S1E_T6_T7_T9_mT8_S1G_bDpT10_ENKUlT_T0_E_clISt17integral_constantIbLb0EES1T_IbLb1EEEEDaS1P_S1Q_EUlS1P_E_NS1_11comp_targetILNS1_3genE9ELNS1_11target_archE1100ELNS1_3gpuE3ELNS1_3repE0EEENS1_30default_config_static_selectorELNS0_4arch9wavefront6targetE1EEEvS12_
	.p2align	8
	.type	_ZN7rocprim17ROCPRIM_400000_NS6detail17trampoline_kernelINS0_13select_configILj256ELj13ELNS0_17block_load_methodE3ELS4_3ELS4_3ELNS0_20block_scan_algorithmE0ELj4294967295EEENS1_25partition_config_selectorILNS1_17partition_subalgoE4EjNS0_10empty_typeEbEEZZNS1_14partition_implILS8_4ELb0ES6_15HIP_vector_typeIjLj2EENS0_17counting_iteratorIjlEEPS9_SG_NS0_5tupleIJPjSI_NS0_16reverse_iteratorISI_EEEEENSH_IJSG_SG_SG_EEES9_SI_JZNS1_25segmented_radix_sort_implINS0_14default_configELb1EPKiPiPKlPlN2at6native12_GLOBAL__N_18offset_tEEE10hipError_tPvRmT1_PNSt15iterator_traitsIS12_E10value_typeET2_T3_PNS13_IS18_E10value_typeET4_jRbjT5_S1E_jjP12ihipStream_tbEUljE_ZNSN_ISO_Lb1ESQ_SR_ST_SU_SY_EESZ_S10_S11_S12_S16_S17_S18_S1B_S1C_jS1D_jS1E_S1E_jjS1G_bEUljE0_EEESZ_S10_S11_S18_S1C_S1E_T6_T7_T9_mT8_S1G_bDpT10_ENKUlT_T0_E_clISt17integral_constantIbLb0EES1T_IbLb1EEEEDaS1P_S1Q_EUlS1P_E_NS1_11comp_targetILNS1_3genE9ELNS1_11target_archE1100ELNS1_3gpuE3ELNS1_3repE0EEENS1_30default_config_static_selectorELNS0_4arch9wavefront6targetE1EEEvS12_,@function
_ZN7rocprim17ROCPRIM_400000_NS6detail17trampoline_kernelINS0_13select_configILj256ELj13ELNS0_17block_load_methodE3ELS4_3ELS4_3ELNS0_20block_scan_algorithmE0ELj4294967295EEENS1_25partition_config_selectorILNS1_17partition_subalgoE4EjNS0_10empty_typeEbEEZZNS1_14partition_implILS8_4ELb0ES6_15HIP_vector_typeIjLj2EENS0_17counting_iteratorIjlEEPS9_SG_NS0_5tupleIJPjSI_NS0_16reverse_iteratorISI_EEEEENSH_IJSG_SG_SG_EEES9_SI_JZNS1_25segmented_radix_sort_implINS0_14default_configELb1EPKiPiPKlPlN2at6native12_GLOBAL__N_18offset_tEEE10hipError_tPvRmT1_PNSt15iterator_traitsIS12_E10value_typeET2_T3_PNS13_IS18_E10value_typeET4_jRbjT5_S1E_jjP12ihipStream_tbEUljE_ZNSN_ISO_Lb1ESQ_SR_ST_SU_SY_EESZ_S10_S11_S12_S16_S17_S18_S1B_S1C_jS1D_jS1E_S1E_jjS1G_bEUljE0_EEESZ_S10_S11_S18_S1C_S1E_T6_T7_T9_mT8_S1G_bDpT10_ENKUlT_T0_E_clISt17integral_constantIbLb0EES1T_IbLb1EEEEDaS1P_S1Q_EUlS1P_E_NS1_11comp_targetILNS1_3genE9ELNS1_11target_archE1100ELNS1_3gpuE3ELNS1_3repE0EEENS1_30default_config_static_selectorELNS0_4arch9wavefront6targetE1EEEvS12_: ; @_ZN7rocprim17ROCPRIM_400000_NS6detail17trampoline_kernelINS0_13select_configILj256ELj13ELNS0_17block_load_methodE3ELS4_3ELS4_3ELNS0_20block_scan_algorithmE0ELj4294967295EEENS1_25partition_config_selectorILNS1_17partition_subalgoE4EjNS0_10empty_typeEbEEZZNS1_14partition_implILS8_4ELb0ES6_15HIP_vector_typeIjLj2EENS0_17counting_iteratorIjlEEPS9_SG_NS0_5tupleIJPjSI_NS0_16reverse_iteratorISI_EEEEENSH_IJSG_SG_SG_EEES9_SI_JZNS1_25segmented_radix_sort_implINS0_14default_configELb1EPKiPiPKlPlN2at6native12_GLOBAL__N_18offset_tEEE10hipError_tPvRmT1_PNSt15iterator_traitsIS12_E10value_typeET2_T3_PNS13_IS18_E10value_typeET4_jRbjT5_S1E_jjP12ihipStream_tbEUljE_ZNSN_ISO_Lb1ESQ_SR_ST_SU_SY_EESZ_S10_S11_S12_S16_S17_S18_S1B_S1C_jS1D_jS1E_S1E_jjS1G_bEUljE0_EEESZ_S10_S11_S18_S1C_S1E_T6_T7_T9_mT8_S1G_bDpT10_ENKUlT_T0_E_clISt17integral_constantIbLb0EES1T_IbLb1EEEEDaS1P_S1Q_EUlS1P_E_NS1_11comp_targetILNS1_3genE9ELNS1_11target_archE1100ELNS1_3gpuE3ELNS1_3repE0EEENS1_30default_config_static_selectorELNS0_4arch9wavefront6targetE1EEEvS12_
; %bb.0:
	.section	.rodata,"a",@progbits
	.p2align	6, 0x0
	.amdhsa_kernel _ZN7rocprim17ROCPRIM_400000_NS6detail17trampoline_kernelINS0_13select_configILj256ELj13ELNS0_17block_load_methodE3ELS4_3ELS4_3ELNS0_20block_scan_algorithmE0ELj4294967295EEENS1_25partition_config_selectorILNS1_17partition_subalgoE4EjNS0_10empty_typeEbEEZZNS1_14partition_implILS8_4ELb0ES6_15HIP_vector_typeIjLj2EENS0_17counting_iteratorIjlEEPS9_SG_NS0_5tupleIJPjSI_NS0_16reverse_iteratorISI_EEEEENSH_IJSG_SG_SG_EEES9_SI_JZNS1_25segmented_radix_sort_implINS0_14default_configELb1EPKiPiPKlPlN2at6native12_GLOBAL__N_18offset_tEEE10hipError_tPvRmT1_PNSt15iterator_traitsIS12_E10value_typeET2_T3_PNS13_IS18_E10value_typeET4_jRbjT5_S1E_jjP12ihipStream_tbEUljE_ZNSN_ISO_Lb1ESQ_SR_ST_SU_SY_EESZ_S10_S11_S12_S16_S17_S18_S1B_S1C_jS1D_jS1E_S1E_jjS1G_bEUljE0_EEESZ_S10_S11_S18_S1C_S1E_T6_T7_T9_mT8_S1G_bDpT10_ENKUlT_T0_E_clISt17integral_constantIbLb0EES1T_IbLb1EEEEDaS1P_S1Q_EUlS1P_E_NS1_11comp_targetILNS1_3genE9ELNS1_11target_archE1100ELNS1_3gpuE3ELNS1_3repE0EEENS1_30default_config_static_selectorELNS0_4arch9wavefront6targetE1EEEvS12_
		.amdhsa_group_segment_fixed_size 0
		.amdhsa_private_segment_fixed_size 0
		.amdhsa_kernarg_size 184
		.amdhsa_user_sgpr_count 6
		.amdhsa_user_sgpr_private_segment_buffer 1
		.amdhsa_user_sgpr_dispatch_ptr 0
		.amdhsa_user_sgpr_queue_ptr 0
		.amdhsa_user_sgpr_kernarg_segment_ptr 1
		.amdhsa_user_sgpr_dispatch_id 0
		.amdhsa_user_sgpr_flat_scratch_init 0
		.amdhsa_user_sgpr_kernarg_preload_length 0
		.amdhsa_user_sgpr_kernarg_preload_offset 0
		.amdhsa_user_sgpr_private_segment_size 0
		.amdhsa_uses_dynamic_stack 0
		.amdhsa_system_sgpr_private_segment_wavefront_offset 0
		.amdhsa_system_sgpr_workgroup_id_x 1
		.amdhsa_system_sgpr_workgroup_id_y 0
		.amdhsa_system_sgpr_workgroup_id_z 0
		.amdhsa_system_sgpr_workgroup_info 0
		.amdhsa_system_vgpr_workitem_id 0
		.amdhsa_next_free_vgpr 1
		.amdhsa_next_free_sgpr 0
		.amdhsa_accum_offset 4
		.amdhsa_reserve_vcc 0
		.amdhsa_reserve_flat_scratch 0
		.amdhsa_float_round_mode_32 0
		.amdhsa_float_round_mode_16_64 0
		.amdhsa_float_denorm_mode_32 3
		.amdhsa_float_denorm_mode_16_64 3
		.amdhsa_dx10_clamp 1
		.amdhsa_ieee_mode 1
		.amdhsa_fp16_overflow 0
		.amdhsa_tg_split 0
		.amdhsa_exception_fp_ieee_invalid_op 0
		.amdhsa_exception_fp_denorm_src 0
		.amdhsa_exception_fp_ieee_div_zero 0
		.amdhsa_exception_fp_ieee_overflow 0
		.amdhsa_exception_fp_ieee_underflow 0
		.amdhsa_exception_fp_ieee_inexact 0
		.amdhsa_exception_int_div_zero 0
	.end_amdhsa_kernel
	.section	.text._ZN7rocprim17ROCPRIM_400000_NS6detail17trampoline_kernelINS0_13select_configILj256ELj13ELNS0_17block_load_methodE3ELS4_3ELS4_3ELNS0_20block_scan_algorithmE0ELj4294967295EEENS1_25partition_config_selectorILNS1_17partition_subalgoE4EjNS0_10empty_typeEbEEZZNS1_14partition_implILS8_4ELb0ES6_15HIP_vector_typeIjLj2EENS0_17counting_iteratorIjlEEPS9_SG_NS0_5tupleIJPjSI_NS0_16reverse_iteratorISI_EEEEENSH_IJSG_SG_SG_EEES9_SI_JZNS1_25segmented_radix_sort_implINS0_14default_configELb1EPKiPiPKlPlN2at6native12_GLOBAL__N_18offset_tEEE10hipError_tPvRmT1_PNSt15iterator_traitsIS12_E10value_typeET2_T3_PNS13_IS18_E10value_typeET4_jRbjT5_S1E_jjP12ihipStream_tbEUljE_ZNSN_ISO_Lb1ESQ_SR_ST_SU_SY_EESZ_S10_S11_S12_S16_S17_S18_S1B_S1C_jS1D_jS1E_S1E_jjS1G_bEUljE0_EEESZ_S10_S11_S18_S1C_S1E_T6_T7_T9_mT8_S1G_bDpT10_ENKUlT_T0_E_clISt17integral_constantIbLb0EES1T_IbLb1EEEEDaS1P_S1Q_EUlS1P_E_NS1_11comp_targetILNS1_3genE9ELNS1_11target_archE1100ELNS1_3gpuE3ELNS1_3repE0EEENS1_30default_config_static_selectorELNS0_4arch9wavefront6targetE1EEEvS12_,"axG",@progbits,_ZN7rocprim17ROCPRIM_400000_NS6detail17trampoline_kernelINS0_13select_configILj256ELj13ELNS0_17block_load_methodE3ELS4_3ELS4_3ELNS0_20block_scan_algorithmE0ELj4294967295EEENS1_25partition_config_selectorILNS1_17partition_subalgoE4EjNS0_10empty_typeEbEEZZNS1_14partition_implILS8_4ELb0ES6_15HIP_vector_typeIjLj2EENS0_17counting_iteratorIjlEEPS9_SG_NS0_5tupleIJPjSI_NS0_16reverse_iteratorISI_EEEEENSH_IJSG_SG_SG_EEES9_SI_JZNS1_25segmented_radix_sort_implINS0_14default_configELb1EPKiPiPKlPlN2at6native12_GLOBAL__N_18offset_tEEE10hipError_tPvRmT1_PNSt15iterator_traitsIS12_E10value_typeET2_T3_PNS13_IS18_E10value_typeET4_jRbjT5_S1E_jjP12ihipStream_tbEUljE_ZNSN_ISO_Lb1ESQ_SR_ST_SU_SY_EESZ_S10_S11_S12_S16_S17_S18_S1B_S1C_jS1D_jS1E_S1E_jjS1G_bEUljE0_EEESZ_S10_S11_S18_S1C_S1E_T6_T7_T9_mT8_S1G_bDpT10_ENKUlT_T0_E_clISt17integral_constantIbLb0EES1T_IbLb1EEEEDaS1P_S1Q_EUlS1P_E_NS1_11comp_targetILNS1_3genE9ELNS1_11target_archE1100ELNS1_3gpuE3ELNS1_3repE0EEENS1_30default_config_static_selectorELNS0_4arch9wavefront6targetE1EEEvS12_,comdat
.Lfunc_end463:
	.size	_ZN7rocprim17ROCPRIM_400000_NS6detail17trampoline_kernelINS0_13select_configILj256ELj13ELNS0_17block_load_methodE3ELS4_3ELS4_3ELNS0_20block_scan_algorithmE0ELj4294967295EEENS1_25partition_config_selectorILNS1_17partition_subalgoE4EjNS0_10empty_typeEbEEZZNS1_14partition_implILS8_4ELb0ES6_15HIP_vector_typeIjLj2EENS0_17counting_iteratorIjlEEPS9_SG_NS0_5tupleIJPjSI_NS0_16reverse_iteratorISI_EEEEENSH_IJSG_SG_SG_EEES9_SI_JZNS1_25segmented_radix_sort_implINS0_14default_configELb1EPKiPiPKlPlN2at6native12_GLOBAL__N_18offset_tEEE10hipError_tPvRmT1_PNSt15iterator_traitsIS12_E10value_typeET2_T3_PNS13_IS18_E10value_typeET4_jRbjT5_S1E_jjP12ihipStream_tbEUljE_ZNSN_ISO_Lb1ESQ_SR_ST_SU_SY_EESZ_S10_S11_S12_S16_S17_S18_S1B_S1C_jS1D_jS1E_S1E_jjS1G_bEUljE0_EEESZ_S10_S11_S18_S1C_S1E_T6_T7_T9_mT8_S1G_bDpT10_ENKUlT_T0_E_clISt17integral_constantIbLb0EES1T_IbLb1EEEEDaS1P_S1Q_EUlS1P_E_NS1_11comp_targetILNS1_3genE9ELNS1_11target_archE1100ELNS1_3gpuE3ELNS1_3repE0EEENS1_30default_config_static_selectorELNS0_4arch9wavefront6targetE1EEEvS12_, .Lfunc_end463-_ZN7rocprim17ROCPRIM_400000_NS6detail17trampoline_kernelINS0_13select_configILj256ELj13ELNS0_17block_load_methodE3ELS4_3ELS4_3ELNS0_20block_scan_algorithmE0ELj4294967295EEENS1_25partition_config_selectorILNS1_17partition_subalgoE4EjNS0_10empty_typeEbEEZZNS1_14partition_implILS8_4ELb0ES6_15HIP_vector_typeIjLj2EENS0_17counting_iteratorIjlEEPS9_SG_NS0_5tupleIJPjSI_NS0_16reverse_iteratorISI_EEEEENSH_IJSG_SG_SG_EEES9_SI_JZNS1_25segmented_radix_sort_implINS0_14default_configELb1EPKiPiPKlPlN2at6native12_GLOBAL__N_18offset_tEEE10hipError_tPvRmT1_PNSt15iterator_traitsIS12_E10value_typeET2_T3_PNS13_IS18_E10value_typeET4_jRbjT5_S1E_jjP12ihipStream_tbEUljE_ZNSN_ISO_Lb1ESQ_SR_ST_SU_SY_EESZ_S10_S11_S12_S16_S17_S18_S1B_S1C_jS1D_jS1E_S1E_jjS1G_bEUljE0_EEESZ_S10_S11_S18_S1C_S1E_T6_T7_T9_mT8_S1G_bDpT10_ENKUlT_T0_E_clISt17integral_constantIbLb0EES1T_IbLb1EEEEDaS1P_S1Q_EUlS1P_E_NS1_11comp_targetILNS1_3genE9ELNS1_11target_archE1100ELNS1_3gpuE3ELNS1_3repE0EEENS1_30default_config_static_selectorELNS0_4arch9wavefront6targetE1EEEvS12_
                                        ; -- End function
	.section	.AMDGPU.csdata,"",@progbits
; Kernel info:
; codeLenInByte = 0
; NumSgprs: 4
; NumVgprs: 0
; NumAgprs: 0
; TotalNumVgprs: 0
; ScratchSize: 0
; MemoryBound: 0
; FloatMode: 240
; IeeeMode: 1
; LDSByteSize: 0 bytes/workgroup (compile time only)
; SGPRBlocks: 0
; VGPRBlocks: 0
; NumSGPRsForWavesPerEU: 4
; NumVGPRsForWavesPerEU: 1
; AccumOffset: 4
; Occupancy: 8
; WaveLimiterHint : 0
; COMPUTE_PGM_RSRC2:SCRATCH_EN: 0
; COMPUTE_PGM_RSRC2:USER_SGPR: 6
; COMPUTE_PGM_RSRC2:TRAP_HANDLER: 0
; COMPUTE_PGM_RSRC2:TGID_X_EN: 1
; COMPUTE_PGM_RSRC2:TGID_Y_EN: 0
; COMPUTE_PGM_RSRC2:TGID_Z_EN: 0
; COMPUTE_PGM_RSRC2:TIDIG_COMP_CNT: 0
; COMPUTE_PGM_RSRC3_GFX90A:ACCUM_OFFSET: 0
; COMPUTE_PGM_RSRC3_GFX90A:TG_SPLIT: 0
	.section	.text._ZN7rocprim17ROCPRIM_400000_NS6detail17trampoline_kernelINS0_13select_configILj256ELj13ELNS0_17block_load_methodE3ELS4_3ELS4_3ELNS0_20block_scan_algorithmE0ELj4294967295EEENS1_25partition_config_selectorILNS1_17partition_subalgoE4EjNS0_10empty_typeEbEEZZNS1_14partition_implILS8_4ELb0ES6_15HIP_vector_typeIjLj2EENS0_17counting_iteratorIjlEEPS9_SG_NS0_5tupleIJPjSI_NS0_16reverse_iteratorISI_EEEEENSH_IJSG_SG_SG_EEES9_SI_JZNS1_25segmented_radix_sort_implINS0_14default_configELb1EPKiPiPKlPlN2at6native12_GLOBAL__N_18offset_tEEE10hipError_tPvRmT1_PNSt15iterator_traitsIS12_E10value_typeET2_T3_PNS13_IS18_E10value_typeET4_jRbjT5_S1E_jjP12ihipStream_tbEUljE_ZNSN_ISO_Lb1ESQ_SR_ST_SU_SY_EESZ_S10_S11_S12_S16_S17_S18_S1B_S1C_jS1D_jS1E_S1E_jjS1G_bEUljE0_EEESZ_S10_S11_S18_S1C_S1E_T6_T7_T9_mT8_S1G_bDpT10_ENKUlT_T0_E_clISt17integral_constantIbLb0EES1T_IbLb1EEEEDaS1P_S1Q_EUlS1P_E_NS1_11comp_targetILNS1_3genE8ELNS1_11target_archE1030ELNS1_3gpuE2ELNS1_3repE0EEENS1_30default_config_static_selectorELNS0_4arch9wavefront6targetE1EEEvS12_,"axG",@progbits,_ZN7rocprim17ROCPRIM_400000_NS6detail17trampoline_kernelINS0_13select_configILj256ELj13ELNS0_17block_load_methodE3ELS4_3ELS4_3ELNS0_20block_scan_algorithmE0ELj4294967295EEENS1_25partition_config_selectorILNS1_17partition_subalgoE4EjNS0_10empty_typeEbEEZZNS1_14partition_implILS8_4ELb0ES6_15HIP_vector_typeIjLj2EENS0_17counting_iteratorIjlEEPS9_SG_NS0_5tupleIJPjSI_NS0_16reverse_iteratorISI_EEEEENSH_IJSG_SG_SG_EEES9_SI_JZNS1_25segmented_radix_sort_implINS0_14default_configELb1EPKiPiPKlPlN2at6native12_GLOBAL__N_18offset_tEEE10hipError_tPvRmT1_PNSt15iterator_traitsIS12_E10value_typeET2_T3_PNS13_IS18_E10value_typeET4_jRbjT5_S1E_jjP12ihipStream_tbEUljE_ZNSN_ISO_Lb1ESQ_SR_ST_SU_SY_EESZ_S10_S11_S12_S16_S17_S18_S1B_S1C_jS1D_jS1E_S1E_jjS1G_bEUljE0_EEESZ_S10_S11_S18_S1C_S1E_T6_T7_T9_mT8_S1G_bDpT10_ENKUlT_T0_E_clISt17integral_constantIbLb0EES1T_IbLb1EEEEDaS1P_S1Q_EUlS1P_E_NS1_11comp_targetILNS1_3genE8ELNS1_11target_archE1030ELNS1_3gpuE2ELNS1_3repE0EEENS1_30default_config_static_selectorELNS0_4arch9wavefront6targetE1EEEvS12_,comdat
	.globl	_ZN7rocprim17ROCPRIM_400000_NS6detail17trampoline_kernelINS0_13select_configILj256ELj13ELNS0_17block_load_methodE3ELS4_3ELS4_3ELNS0_20block_scan_algorithmE0ELj4294967295EEENS1_25partition_config_selectorILNS1_17partition_subalgoE4EjNS0_10empty_typeEbEEZZNS1_14partition_implILS8_4ELb0ES6_15HIP_vector_typeIjLj2EENS0_17counting_iteratorIjlEEPS9_SG_NS0_5tupleIJPjSI_NS0_16reverse_iteratorISI_EEEEENSH_IJSG_SG_SG_EEES9_SI_JZNS1_25segmented_radix_sort_implINS0_14default_configELb1EPKiPiPKlPlN2at6native12_GLOBAL__N_18offset_tEEE10hipError_tPvRmT1_PNSt15iterator_traitsIS12_E10value_typeET2_T3_PNS13_IS18_E10value_typeET4_jRbjT5_S1E_jjP12ihipStream_tbEUljE_ZNSN_ISO_Lb1ESQ_SR_ST_SU_SY_EESZ_S10_S11_S12_S16_S17_S18_S1B_S1C_jS1D_jS1E_S1E_jjS1G_bEUljE0_EEESZ_S10_S11_S18_S1C_S1E_T6_T7_T9_mT8_S1G_bDpT10_ENKUlT_T0_E_clISt17integral_constantIbLb0EES1T_IbLb1EEEEDaS1P_S1Q_EUlS1P_E_NS1_11comp_targetILNS1_3genE8ELNS1_11target_archE1030ELNS1_3gpuE2ELNS1_3repE0EEENS1_30default_config_static_selectorELNS0_4arch9wavefront6targetE1EEEvS12_ ; -- Begin function _ZN7rocprim17ROCPRIM_400000_NS6detail17trampoline_kernelINS0_13select_configILj256ELj13ELNS0_17block_load_methodE3ELS4_3ELS4_3ELNS0_20block_scan_algorithmE0ELj4294967295EEENS1_25partition_config_selectorILNS1_17partition_subalgoE4EjNS0_10empty_typeEbEEZZNS1_14partition_implILS8_4ELb0ES6_15HIP_vector_typeIjLj2EENS0_17counting_iteratorIjlEEPS9_SG_NS0_5tupleIJPjSI_NS0_16reverse_iteratorISI_EEEEENSH_IJSG_SG_SG_EEES9_SI_JZNS1_25segmented_radix_sort_implINS0_14default_configELb1EPKiPiPKlPlN2at6native12_GLOBAL__N_18offset_tEEE10hipError_tPvRmT1_PNSt15iterator_traitsIS12_E10value_typeET2_T3_PNS13_IS18_E10value_typeET4_jRbjT5_S1E_jjP12ihipStream_tbEUljE_ZNSN_ISO_Lb1ESQ_SR_ST_SU_SY_EESZ_S10_S11_S12_S16_S17_S18_S1B_S1C_jS1D_jS1E_S1E_jjS1G_bEUljE0_EEESZ_S10_S11_S18_S1C_S1E_T6_T7_T9_mT8_S1G_bDpT10_ENKUlT_T0_E_clISt17integral_constantIbLb0EES1T_IbLb1EEEEDaS1P_S1Q_EUlS1P_E_NS1_11comp_targetILNS1_3genE8ELNS1_11target_archE1030ELNS1_3gpuE2ELNS1_3repE0EEENS1_30default_config_static_selectorELNS0_4arch9wavefront6targetE1EEEvS12_
	.p2align	8
	.type	_ZN7rocprim17ROCPRIM_400000_NS6detail17trampoline_kernelINS0_13select_configILj256ELj13ELNS0_17block_load_methodE3ELS4_3ELS4_3ELNS0_20block_scan_algorithmE0ELj4294967295EEENS1_25partition_config_selectorILNS1_17partition_subalgoE4EjNS0_10empty_typeEbEEZZNS1_14partition_implILS8_4ELb0ES6_15HIP_vector_typeIjLj2EENS0_17counting_iteratorIjlEEPS9_SG_NS0_5tupleIJPjSI_NS0_16reverse_iteratorISI_EEEEENSH_IJSG_SG_SG_EEES9_SI_JZNS1_25segmented_radix_sort_implINS0_14default_configELb1EPKiPiPKlPlN2at6native12_GLOBAL__N_18offset_tEEE10hipError_tPvRmT1_PNSt15iterator_traitsIS12_E10value_typeET2_T3_PNS13_IS18_E10value_typeET4_jRbjT5_S1E_jjP12ihipStream_tbEUljE_ZNSN_ISO_Lb1ESQ_SR_ST_SU_SY_EESZ_S10_S11_S12_S16_S17_S18_S1B_S1C_jS1D_jS1E_S1E_jjS1G_bEUljE0_EEESZ_S10_S11_S18_S1C_S1E_T6_T7_T9_mT8_S1G_bDpT10_ENKUlT_T0_E_clISt17integral_constantIbLb0EES1T_IbLb1EEEEDaS1P_S1Q_EUlS1P_E_NS1_11comp_targetILNS1_3genE8ELNS1_11target_archE1030ELNS1_3gpuE2ELNS1_3repE0EEENS1_30default_config_static_selectorELNS0_4arch9wavefront6targetE1EEEvS12_,@function
_ZN7rocprim17ROCPRIM_400000_NS6detail17trampoline_kernelINS0_13select_configILj256ELj13ELNS0_17block_load_methodE3ELS4_3ELS4_3ELNS0_20block_scan_algorithmE0ELj4294967295EEENS1_25partition_config_selectorILNS1_17partition_subalgoE4EjNS0_10empty_typeEbEEZZNS1_14partition_implILS8_4ELb0ES6_15HIP_vector_typeIjLj2EENS0_17counting_iteratorIjlEEPS9_SG_NS0_5tupleIJPjSI_NS0_16reverse_iteratorISI_EEEEENSH_IJSG_SG_SG_EEES9_SI_JZNS1_25segmented_radix_sort_implINS0_14default_configELb1EPKiPiPKlPlN2at6native12_GLOBAL__N_18offset_tEEE10hipError_tPvRmT1_PNSt15iterator_traitsIS12_E10value_typeET2_T3_PNS13_IS18_E10value_typeET4_jRbjT5_S1E_jjP12ihipStream_tbEUljE_ZNSN_ISO_Lb1ESQ_SR_ST_SU_SY_EESZ_S10_S11_S12_S16_S17_S18_S1B_S1C_jS1D_jS1E_S1E_jjS1G_bEUljE0_EEESZ_S10_S11_S18_S1C_S1E_T6_T7_T9_mT8_S1G_bDpT10_ENKUlT_T0_E_clISt17integral_constantIbLb0EES1T_IbLb1EEEEDaS1P_S1Q_EUlS1P_E_NS1_11comp_targetILNS1_3genE8ELNS1_11target_archE1030ELNS1_3gpuE2ELNS1_3repE0EEENS1_30default_config_static_selectorELNS0_4arch9wavefront6targetE1EEEvS12_: ; @_ZN7rocprim17ROCPRIM_400000_NS6detail17trampoline_kernelINS0_13select_configILj256ELj13ELNS0_17block_load_methodE3ELS4_3ELS4_3ELNS0_20block_scan_algorithmE0ELj4294967295EEENS1_25partition_config_selectorILNS1_17partition_subalgoE4EjNS0_10empty_typeEbEEZZNS1_14partition_implILS8_4ELb0ES6_15HIP_vector_typeIjLj2EENS0_17counting_iteratorIjlEEPS9_SG_NS0_5tupleIJPjSI_NS0_16reverse_iteratorISI_EEEEENSH_IJSG_SG_SG_EEES9_SI_JZNS1_25segmented_radix_sort_implINS0_14default_configELb1EPKiPiPKlPlN2at6native12_GLOBAL__N_18offset_tEEE10hipError_tPvRmT1_PNSt15iterator_traitsIS12_E10value_typeET2_T3_PNS13_IS18_E10value_typeET4_jRbjT5_S1E_jjP12ihipStream_tbEUljE_ZNSN_ISO_Lb1ESQ_SR_ST_SU_SY_EESZ_S10_S11_S12_S16_S17_S18_S1B_S1C_jS1D_jS1E_S1E_jjS1G_bEUljE0_EEESZ_S10_S11_S18_S1C_S1E_T6_T7_T9_mT8_S1G_bDpT10_ENKUlT_T0_E_clISt17integral_constantIbLb0EES1T_IbLb1EEEEDaS1P_S1Q_EUlS1P_E_NS1_11comp_targetILNS1_3genE8ELNS1_11target_archE1030ELNS1_3gpuE2ELNS1_3repE0EEENS1_30default_config_static_selectorELNS0_4arch9wavefront6targetE1EEEvS12_
; %bb.0:
	.section	.rodata,"a",@progbits
	.p2align	6, 0x0
	.amdhsa_kernel _ZN7rocprim17ROCPRIM_400000_NS6detail17trampoline_kernelINS0_13select_configILj256ELj13ELNS0_17block_load_methodE3ELS4_3ELS4_3ELNS0_20block_scan_algorithmE0ELj4294967295EEENS1_25partition_config_selectorILNS1_17partition_subalgoE4EjNS0_10empty_typeEbEEZZNS1_14partition_implILS8_4ELb0ES6_15HIP_vector_typeIjLj2EENS0_17counting_iteratorIjlEEPS9_SG_NS0_5tupleIJPjSI_NS0_16reverse_iteratorISI_EEEEENSH_IJSG_SG_SG_EEES9_SI_JZNS1_25segmented_radix_sort_implINS0_14default_configELb1EPKiPiPKlPlN2at6native12_GLOBAL__N_18offset_tEEE10hipError_tPvRmT1_PNSt15iterator_traitsIS12_E10value_typeET2_T3_PNS13_IS18_E10value_typeET4_jRbjT5_S1E_jjP12ihipStream_tbEUljE_ZNSN_ISO_Lb1ESQ_SR_ST_SU_SY_EESZ_S10_S11_S12_S16_S17_S18_S1B_S1C_jS1D_jS1E_S1E_jjS1G_bEUljE0_EEESZ_S10_S11_S18_S1C_S1E_T6_T7_T9_mT8_S1G_bDpT10_ENKUlT_T0_E_clISt17integral_constantIbLb0EES1T_IbLb1EEEEDaS1P_S1Q_EUlS1P_E_NS1_11comp_targetILNS1_3genE8ELNS1_11target_archE1030ELNS1_3gpuE2ELNS1_3repE0EEENS1_30default_config_static_selectorELNS0_4arch9wavefront6targetE1EEEvS12_
		.amdhsa_group_segment_fixed_size 0
		.amdhsa_private_segment_fixed_size 0
		.amdhsa_kernarg_size 184
		.amdhsa_user_sgpr_count 6
		.amdhsa_user_sgpr_private_segment_buffer 1
		.amdhsa_user_sgpr_dispatch_ptr 0
		.amdhsa_user_sgpr_queue_ptr 0
		.amdhsa_user_sgpr_kernarg_segment_ptr 1
		.amdhsa_user_sgpr_dispatch_id 0
		.amdhsa_user_sgpr_flat_scratch_init 0
		.amdhsa_user_sgpr_kernarg_preload_length 0
		.amdhsa_user_sgpr_kernarg_preload_offset 0
		.amdhsa_user_sgpr_private_segment_size 0
		.amdhsa_uses_dynamic_stack 0
		.amdhsa_system_sgpr_private_segment_wavefront_offset 0
		.amdhsa_system_sgpr_workgroup_id_x 1
		.amdhsa_system_sgpr_workgroup_id_y 0
		.amdhsa_system_sgpr_workgroup_id_z 0
		.amdhsa_system_sgpr_workgroup_info 0
		.amdhsa_system_vgpr_workitem_id 0
		.amdhsa_next_free_vgpr 1
		.amdhsa_next_free_sgpr 0
		.amdhsa_accum_offset 4
		.amdhsa_reserve_vcc 0
		.amdhsa_reserve_flat_scratch 0
		.amdhsa_float_round_mode_32 0
		.amdhsa_float_round_mode_16_64 0
		.amdhsa_float_denorm_mode_32 3
		.amdhsa_float_denorm_mode_16_64 3
		.amdhsa_dx10_clamp 1
		.amdhsa_ieee_mode 1
		.amdhsa_fp16_overflow 0
		.amdhsa_tg_split 0
		.amdhsa_exception_fp_ieee_invalid_op 0
		.amdhsa_exception_fp_denorm_src 0
		.amdhsa_exception_fp_ieee_div_zero 0
		.amdhsa_exception_fp_ieee_overflow 0
		.amdhsa_exception_fp_ieee_underflow 0
		.amdhsa_exception_fp_ieee_inexact 0
		.amdhsa_exception_int_div_zero 0
	.end_amdhsa_kernel
	.section	.text._ZN7rocprim17ROCPRIM_400000_NS6detail17trampoline_kernelINS0_13select_configILj256ELj13ELNS0_17block_load_methodE3ELS4_3ELS4_3ELNS0_20block_scan_algorithmE0ELj4294967295EEENS1_25partition_config_selectorILNS1_17partition_subalgoE4EjNS0_10empty_typeEbEEZZNS1_14partition_implILS8_4ELb0ES6_15HIP_vector_typeIjLj2EENS0_17counting_iteratorIjlEEPS9_SG_NS0_5tupleIJPjSI_NS0_16reverse_iteratorISI_EEEEENSH_IJSG_SG_SG_EEES9_SI_JZNS1_25segmented_radix_sort_implINS0_14default_configELb1EPKiPiPKlPlN2at6native12_GLOBAL__N_18offset_tEEE10hipError_tPvRmT1_PNSt15iterator_traitsIS12_E10value_typeET2_T3_PNS13_IS18_E10value_typeET4_jRbjT5_S1E_jjP12ihipStream_tbEUljE_ZNSN_ISO_Lb1ESQ_SR_ST_SU_SY_EESZ_S10_S11_S12_S16_S17_S18_S1B_S1C_jS1D_jS1E_S1E_jjS1G_bEUljE0_EEESZ_S10_S11_S18_S1C_S1E_T6_T7_T9_mT8_S1G_bDpT10_ENKUlT_T0_E_clISt17integral_constantIbLb0EES1T_IbLb1EEEEDaS1P_S1Q_EUlS1P_E_NS1_11comp_targetILNS1_3genE8ELNS1_11target_archE1030ELNS1_3gpuE2ELNS1_3repE0EEENS1_30default_config_static_selectorELNS0_4arch9wavefront6targetE1EEEvS12_,"axG",@progbits,_ZN7rocprim17ROCPRIM_400000_NS6detail17trampoline_kernelINS0_13select_configILj256ELj13ELNS0_17block_load_methodE3ELS4_3ELS4_3ELNS0_20block_scan_algorithmE0ELj4294967295EEENS1_25partition_config_selectorILNS1_17partition_subalgoE4EjNS0_10empty_typeEbEEZZNS1_14partition_implILS8_4ELb0ES6_15HIP_vector_typeIjLj2EENS0_17counting_iteratorIjlEEPS9_SG_NS0_5tupleIJPjSI_NS0_16reverse_iteratorISI_EEEEENSH_IJSG_SG_SG_EEES9_SI_JZNS1_25segmented_radix_sort_implINS0_14default_configELb1EPKiPiPKlPlN2at6native12_GLOBAL__N_18offset_tEEE10hipError_tPvRmT1_PNSt15iterator_traitsIS12_E10value_typeET2_T3_PNS13_IS18_E10value_typeET4_jRbjT5_S1E_jjP12ihipStream_tbEUljE_ZNSN_ISO_Lb1ESQ_SR_ST_SU_SY_EESZ_S10_S11_S12_S16_S17_S18_S1B_S1C_jS1D_jS1E_S1E_jjS1G_bEUljE0_EEESZ_S10_S11_S18_S1C_S1E_T6_T7_T9_mT8_S1G_bDpT10_ENKUlT_T0_E_clISt17integral_constantIbLb0EES1T_IbLb1EEEEDaS1P_S1Q_EUlS1P_E_NS1_11comp_targetILNS1_3genE8ELNS1_11target_archE1030ELNS1_3gpuE2ELNS1_3repE0EEENS1_30default_config_static_selectorELNS0_4arch9wavefront6targetE1EEEvS12_,comdat
.Lfunc_end464:
	.size	_ZN7rocprim17ROCPRIM_400000_NS6detail17trampoline_kernelINS0_13select_configILj256ELj13ELNS0_17block_load_methodE3ELS4_3ELS4_3ELNS0_20block_scan_algorithmE0ELj4294967295EEENS1_25partition_config_selectorILNS1_17partition_subalgoE4EjNS0_10empty_typeEbEEZZNS1_14partition_implILS8_4ELb0ES6_15HIP_vector_typeIjLj2EENS0_17counting_iteratorIjlEEPS9_SG_NS0_5tupleIJPjSI_NS0_16reverse_iteratorISI_EEEEENSH_IJSG_SG_SG_EEES9_SI_JZNS1_25segmented_radix_sort_implINS0_14default_configELb1EPKiPiPKlPlN2at6native12_GLOBAL__N_18offset_tEEE10hipError_tPvRmT1_PNSt15iterator_traitsIS12_E10value_typeET2_T3_PNS13_IS18_E10value_typeET4_jRbjT5_S1E_jjP12ihipStream_tbEUljE_ZNSN_ISO_Lb1ESQ_SR_ST_SU_SY_EESZ_S10_S11_S12_S16_S17_S18_S1B_S1C_jS1D_jS1E_S1E_jjS1G_bEUljE0_EEESZ_S10_S11_S18_S1C_S1E_T6_T7_T9_mT8_S1G_bDpT10_ENKUlT_T0_E_clISt17integral_constantIbLb0EES1T_IbLb1EEEEDaS1P_S1Q_EUlS1P_E_NS1_11comp_targetILNS1_3genE8ELNS1_11target_archE1030ELNS1_3gpuE2ELNS1_3repE0EEENS1_30default_config_static_selectorELNS0_4arch9wavefront6targetE1EEEvS12_, .Lfunc_end464-_ZN7rocprim17ROCPRIM_400000_NS6detail17trampoline_kernelINS0_13select_configILj256ELj13ELNS0_17block_load_methodE3ELS4_3ELS4_3ELNS0_20block_scan_algorithmE0ELj4294967295EEENS1_25partition_config_selectorILNS1_17partition_subalgoE4EjNS0_10empty_typeEbEEZZNS1_14partition_implILS8_4ELb0ES6_15HIP_vector_typeIjLj2EENS0_17counting_iteratorIjlEEPS9_SG_NS0_5tupleIJPjSI_NS0_16reverse_iteratorISI_EEEEENSH_IJSG_SG_SG_EEES9_SI_JZNS1_25segmented_radix_sort_implINS0_14default_configELb1EPKiPiPKlPlN2at6native12_GLOBAL__N_18offset_tEEE10hipError_tPvRmT1_PNSt15iterator_traitsIS12_E10value_typeET2_T3_PNS13_IS18_E10value_typeET4_jRbjT5_S1E_jjP12ihipStream_tbEUljE_ZNSN_ISO_Lb1ESQ_SR_ST_SU_SY_EESZ_S10_S11_S12_S16_S17_S18_S1B_S1C_jS1D_jS1E_S1E_jjS1G_bEUljE0_EEESZ_S10_S11_S18_S1C_S1E_T6_T7_T9_mT8_S1G_bDpT10_ENKUlT_T0_E_clISt17integral_constantIbLb0EES1T_IbLb1EEEEDaS1P_S1Q_EUlS1P_E_NS1_11comp_targetILNS1_3genE8ELNS1_11target_archE1030ELNS1_3gpuE2ELNS1_3repE0EEENS1_30default_config_static_selectorELNS0_4arch9wavefront6targetE1EEEvS12_
                                        ; -- End function
	.section	.AMDGPU.csdata,"",@progbits
; Kernel info:
; codeLenInByte = 0
; NumSgprs: 4
; NumVgprs: 0
; NumAgprs: 0
; TotalNumVgprs: 0
; ScratchSize: 0
; MemoryBound: 0
; FloatMode: 240
; IeeeMode: 1
; LDSByteSize: 0 bytes/workgroup (compile time only)
; SGPRBlocks: 0
; VGPRBlocks: 0
; NumSGPRsForWavesPerEU: 4
; NumVGPRsForWavesPerEU: 1
; AccumOffset: 4
; Occupancy: 8
; WaveLimiterHint : 0
; COMPUTE_PGM_RSRC2:SCRATCH_EN: 0
; COMPUTE_PGM_RSRC2:USER_SGPR: 6
; COMPUTE_PGM_RSRC2:TRAP_HANDLER: 0
; COMPUTE_PGM_RSRC2:TGID_X_EN: 1
; COMPUTE_PGM_RSRC2:TGID_Y_EN: 0
; COMPUTE_PGM_RSRC2:TGID_Z_EN: 0
; COMPUTE_PGM_RSRC2:TIDIG_COMP_CNT: 0
; COMPUTE_PGM_RSRC3_GFX90A:ACCUM_OFFSET: 0
; COMPUTE_PGM_RSRC3_GFX90A:TG_SPLIT: 0
	.section	.text._ZN7rocprim17ROCPRIM_400000_NS6detail17trampoline_kernelINS0_13select_configILj256ELj13ELNS0_17block_load_methodE3ELS4_3ELS4_3ELNS0_20block_scan_algorithmE0ELj4294967295EEENS1_25partition_config_selectorILNS1_17partition_subalgoE3EjNS0_10empty_typeEbEEZZNS1_14partition_implILS8_3ELb0ES6_jNS0_17counting_iteratorIjlEEPS9_SE_NS0_5tupleIJPjSE_EEENSF_IJSE_SE_EEES9_SG_JZNS1_25segmented_radix_sort_implINS0_14default_configELb1EPKiPiPKlPlN2at6native12_GLOBAL__N_18offset_tEEE10hipError_tPvRmT1_PNSt15iterator_traitsISY_E10value_typeET2_T3_PNSZ_IS14_E10value_typeET4_jRbjT5_S1A_jjP12ihipStream_tbEUljE_EEESV_SW_SX_S14_S18_S1A_T6_T7_T9_mT8_S1C_bDpT10_ENKUlT_T0_E_clISt17integral_constantIbLb0EES1P_EEDaS1K_S1L_EUlS1K_E_NS1_11comp_targetILNS1_3genE0ELNS1_11target_archE4294967295ELNS1_3gpuE0ELNS1_3repE0EEENS1_30default_config_static_selectorELNS0_4arch9wavefront6targetE1EEEvSY_,"axG",@progbits,_ZN7rocprim17ROCPRIM_400000_NS6detail17trampoline_kernelINS0_13select_configILj256ELj13ELNS0_17block_load_methodE3ELS4_3ELS4_3ELNS0_20block_scan_algorithmE0ELj4294967295EEENS1_25partition_config_selectorILNS1_17partition_subalgoE3EjNS0_10empty_typeEbEEZZNS1_14partition_implILS8_3ELb0ES6_jNS0_17counting_iteratorIjlEEPS9_SE_NS0_5tupleIJPjSE_EEENSF_IJSE_SE_EEES9_SG_JZNS1_25segmented_radix_sort_implINS0_14default_configELb1EPKiPiPKlPlN2at6native12_GLOBAL__N_18offset_tEEE10hipError_tPvRmT1_PNSt15iterator_traitsISY_E10value_typeET2_T3_PNSZ_IS14_E10value_typeET4_jRbjT5_S1A_jjP12ihipStream_tbEUljE_EEESV_SW_SX_S14_S18_S1A_T6_T7_T9_mT8_S1C_bDpT10_ENKUlT_T0_E_clISt17integral_constantIbLb0EES1P_EEDaS1K_S1L_EUlS1K_E_NS1_11comp_targetILNS1_3genE0ELNS1_11target_archE4294967295ELNS1_3gpuE0ELNS1_3repE0EEENS1_30default_config_static_selectorELNS0_4arch9wavefront6targetE1EEEvSY_,comdat
	.globl	_ZN7rocprim17ROCPRIM_400000_NS6detail17trampoline_kernelINS0_13select_configILj256ELj13ELNS0_17block_load_methodE3ELS4_3ELS4_3ELNS0_20block_scan_algorithmE0ELj4294967295EEENS1_25partition_config_selectorILNS1_17partition_subalgoE3EjNS0_10empty_typeEbEEZZNS1_14partition_implILS8_3ELb0ES6_jNS0_17counting_iteratorIjlEEPS9_SE_NS0_5tupleIJPjSE_EEENSF_IJSE_SE_EEES9_SG_JZNS1_25segmented_radix_sort_implINS0_14default_configELb1EPKiPiPKlPlN2at6native12_GLOBAL__N_18offset_tEEE10hipError_tPvRmT1_PNSt15iterator_traitsISY_E10value_typeET2_T3_PNSZ_IS14_E10value_typeET4_jRbjT5_S1A_jjP12ihipStream_tbEUljE_EEESV_SW_SX_S14_S18_S1A_T6_T7_T9_mT8_S1C_bDpT10_ENKUlT_T0_E_clISt17integral_constantIbLb0EES1P_EEDaS1K_S1L_EUlS1K_E_NS1_11comp_targetILNS1_3genE0ELNS1_11target_archE4294967295ELNS1_3gpuE0ELNS1_3repE0EEENS1_30default_config_static_selectorELNS0_4arch9wavefront6targetE1EEEvSY_ ; -- Begin function _ZN7rocprim17ROCPRIM_400000_NS6detail17trampoline_kernelINS0_13select_configILj256ELj13ELNS0_17block_load_methodE3ELS4_3ELS4_3ELNS0_20block_scan_algorithmE0ELj4294967295EEENS1_25partition_config_selectorILNS1_17partition_subalgoE3EjNS0_10empty_typeEbEEZZNS1_14partition_implILS8_3ELb0ES6_jNS0_17counting_iteratorIjlEEPS9_SE_NS0_5tupleIJPjSE_EEENSF_IJSE_SE_EEES9_SG_JZNS1_25segmented_radix_sort_implINS0_14default_configELb1EPKiPiPKlPlN2at6native12_GLOBAL__N_18offset_tEEE10hipError_tPvRmT1_PNSt15iterator_traitsISY_E10value_typeET2_T3_PNSZ_IS14_E10value_typeET4_jRbjT5_S1A_jjP12ihipStream_tbEUljE_EEESV_SW_SX_S14_S18_S1A_T6_T7_T9_mT8_S1C_bDpT10_ENKUlT_T0_E_clISt17integral_constantIbLb0EES1P_EEDaS1K_S1L_EUlS1K_E_NS1_11comp_targetILNS1_3genE0ELNS1_11target_archE4294967295ELNS1_3gpuE0ELNS1_3repE0EEENS1_30default_config_static_selectorELNS0_4arch9wavefront6targetE1EEEvSY_
	.p2align	8
	.type	_ZN7rocprim17ROCPRIM_400000_NS6detail17trampoline_kernelINS0_13select_configILj256ELj13ELNS0_17block_load_methodE3ELS4_3ELS4_3ELNS0_20block_scan_algorithmE0ELj4294967295EEENS1_25partition_config_selectorILNS1_17partition_subalgoE3EjNS0_10empty_typeEbEEZZNS1_14partition_implILS8_3ELb0ES6_jNS0_17counting_iteratorIjlEEPS9_SE_NS0_5tupleIJPjSE_EEENSF_IJSE_SE_EEES9_SG_JZNS1_25segmented_radix_sort_implINS0_14default_configELb1EPKiPiPKlPlN2at6native12_GLOBAL__N_18offset_tEEE10hipError_tPvRmT1_PNSt15iterator_traitsISY_E10value_typeET2_T3_PNSZ_IS14_E10value_typeET4_jRbjT5_S1A_jjP12ihipStream_tbEUljE_EEESV_SW_SX_S14_S18_S1A_T6_T7_T9_mT8_S1C_bDpT10_ENKUlT_T0_E_clISt17integral_constantIbLb0EES1P_EEDaS1K_S1L_EUlS1K_E_NS1_11comp_targetILNS1_3genE0ELNS1_11target_archE4294967295ELNS1_3gpuE0ELNS1_3repE0EEENS1_30default_config_static_selectorELNS0_4arch9wavefront6targetE1EEEvSY_,@function
_ZN7rocprim17ROCPRIM_400000_NS6detail17trampoline_kernelINS0_13select_configILj256ELj13ELNS0_17block_load_methodE3ELS4_3ELS4_3ELNS0_20block_scan_algorithmE0ELj4294967295EEENS1_25partition_config_selectorILNS1_17partition_subalgoE3EjNS0_10empty_typeEbEEZZNS1_14partition_implILS8_3ELb0ES6_jNS0_17counting_iteratorIjlEEPS9_SE_NS0_5tupleIJPjSE_EEENSF_IJSE_SE_EEES9_SG_JZNS1_25segmented_radix_sort_implINS0_14default_configELb1EPKiPiPKlPlN2at6native12_GLOBAL__N_18offset_tEEE10hipError_tPvRmT1_PNSt15iterator_traitsISY_E10value_typeET2_T3_PNSZ_IS14_E10value_typeET4_jRbjT5_S1A_jjP12ihipStream_tbEUljE_EEESV_SW_SX_S14_S18_S1A_T6_T7_T9_mT8_S1C_bDpT10_ENKUlT_T0_E_clISt17integral_constantIbLb0EES1P_EEDaS1K_S1L_EUlS1K_E_NS1_11comp_targetILNS1_3genE0ELNS1_11target_archE4294967295ELNS1_3gpuE0ELNS1_3repE0EEENS1_30default_config_static_selectorELNS0_4arch9wavefront6targetE1EEEvSY_: ; @_ZN7rocprim17ROCPRIM_400000_NS6detail17trampoline_kernelINS0_13select_configILj256ELj13ELNS0_17block_load_methodE3ELS4_3ELS4_3ELNS0_20block_scan_algorithmE0ELj4294967295EEENS1_25partition_config_selectorILNS1_17partition_subalgoE3EjNS0_10empty_typeEbEEZZNS1_14partition_implILS8_3ELb0ES6_jNS0_17counting_iteratorIjlEEPS9_SE_NS0_5tupleIJPjSE_EEENSF_IJSE_SE_EEES9_SG_JZNS1_25segmented_radix_sort_implINS0_14default_configELb1EPKiPiPKlPlN2at6native12_GLOBAL__N_18offset_tEEE10hipError_tPvRmT1_PNSt15iterator_traitsISY_E10value_typeET2_T3_PNSZ_IS14_E10value_typeET4_jRbjT5_S1A_jjP12ihipStream_tbEUljE_EEESV_SW_SX_S14_S18_S1A_T6_T7_T9_mT8_S1C_bDpT10_ENKUlT_T0_E_clISt17integral_constantIbLb0EES1P_EEDaS1K_S1L_EUlS1K_E_NS1_11comp_targetILNS1_3genE0ELNS1_11target_archE4294967295ELNS1_3gpuE0ELNS1_3repE0EEENS1_30default_config_static_selectorELNS0_4arch9wavefront6targetE1EEEvSY_
; %bb.0:
	.section	.rodata,"a",@progbits
	.p2align	6, 0x0
	.amdhsa_kernel _ZN7rocprim17ROCPRIM_400000_NS6detail17trampoline_kernelINS0_13select_configILj256ELj13ELNS0_17block_load_methodE3ELS4_3ELS4_3ELNS0_20block_scan_algorithmE0ELj4294967295EEENS1_25partition_config_selectorILNS1_17partition_subalgoE3EjNS0_10empty_typeEbEEZZNS1_14partition_implILS8_3ELb0ES6_jNS0_17counting_iteratorIjlEEPS9_SE_NS0_5tupleIJPjSE_EEENSF_IJSE_SE_EEES9_SG_JZNS1_25segmented_radix_sort_implINS0_14default_configELb1EPKiPiPKlPlN2at6native12_GLOBAL__N_18offset_tEEE10hipError_tPvRmT1_PNSt15iterator_traitsISY_E10value_typeET2_T3_PNSZ_IS14_E10value_typeET4_jRbjT5_S1A_jjP12ihipStream_tbEUljE_EEESV_SW_SX_S14_S18_S1A_T6_T7_T9_mT8_S1C_bDpT10_ENKUlT_T0_E_clISt17integral_constantIbLb0EES1P_EEDaS1K_S1L_EUlS1K_E_NS1_11comp_targetILNS1_3genE0ELNS1_11target_archE4294967295ELNS1_3gpuE0ELNS1_3repE0EEENS1_30default_config_static_selectorELNS0_4arch9wavefront6targetE1EEEvSY_
		.amdhsa_group_segment_fixed_size 0
		.amdhsa_private_segment_fixed_size 0
		.amdhsa_kernarg_size 144
		.amdhsa_user_sgpr_count 6
		.amdhsa_user_sgpr_private_segment_buffer 1
		.amdhsa_user_sgpr_dispatch_ptr 0
		.amdhsa_user_sgpr_queue_ptr 0
		.amdhsa_user_sgpr_kernarg_segment_ptr 1
		.amdhsa_user_sgpr_dispatch_id 0
		.amdhsa_user_sgpr_flat_scratch_init 0
		.amdhsa_user_sgpr_kernarg_preload_length 0
		.amdhsa_user_sgpr_kernarg_preload_offset 0
		.amdhsa_user_sgpr_private_segment_size 0
		.amdhsa_uses_dynamic_stack 0
		.amdhsa_system_sgpr_private_segment_wavefront_offset 0
		.amdhsa_system_sgpr_workgroup_id_x 1
		.amdhsa_system_sgpr_workgroup_id_y 0
		.amdhsa_system_sgpr_workgroup_id_z 0
		.amdhsa_system_sgpr_workgroup_info 0
		.amdhsa_system_vgpr_workitem_id 0
		.amdhsa_next_free_vgpr 1
		.amdhsa_next_free_sgpr 0
		.amdhsa_accum_offset 4
		.amdhsa_reserve_vcc 0
		.amdhsa_reserve_flat_scratch 0
		.amdhsa_float_round_mode_32 0
		.amdhsa_float_round_mode_16_64 0
		.amdhsa_float_denorm_mode_32 3
		.amdhsa_float_denorm_mode_16_64 3
		.amdhsa_dx10_clamp 1
		.amdhsa_ieee_mode 1
		.amdhsa_fp16_overflow 0
		.amdhsa_tg_split 0
		.amdhsa_exception_fp_ieee_invalid_op 0
		.amdhsa_exception_fp_denorm_src 0
		.amdhsa_exception_fp_ieee_div_zero 0
		.amdhsa_exception_fp_ieee_overflow 0
		.amdhsa_exception_fp_ieee_underflow 0
		.amdhsa_exception_fp_ieee_inexact 0
		.amdhsa_exception_int_div_zero 0
	.end_amdhsa_kernel
	.section	.text._ZN7rocprim17ROCPRIM_400000_NS6detail17trampoline_kernelINS0_13select_configILj256ELj13ELNS0_17block_load_methodE3ELS4_3ELS4_3ELNS0_20block_scan_algorithmE0ELj4294967295EEENS1_25partition_config_selectorILNS1_17partition_subalgoE3EjNS0_10empty_typeEbEEZZNS1_14partition_implILS8_3ELb0ES6_jNS0_17counting_iteratorIjlEEPS9_SE_NS0_5tupleIJPjSE_EEENSF_IJSE_SE_EEES9_SG_JZNS1_25segmented_radix_sort_implINS0_14default_configELb1EPKiPiPKlPlN2at6native12_GLOBAL__N_18offset_tEEE10hipError_tPvRmT1_PNSt15iterator_traitsISY_E10value_typeET2_T3_PNSZ_IS14_E10value_typeET4_jRbjT5_S1A_jjP12ihipStream_tbEUljE_EEESV_SW_SX_S14_S18_S1A_T6_T7_T9_mT8_S1C_bDpT10_ENKUlT_T0_E_clISt17integral_constantIbLb0EES1P_EEDaS1K_S1L_EUlS1K_E_NS1_11comp_targetILNS1_3genE0ELNS1_11target_archE4294967295ELNS1_3gpuE0ELNS1_3repE0EEENS1_30default_config_static_selectorELNS0_4arch9wavefront6targetE1EEEvSY_,"axG",@progbits,_ZN7rocprim17ROCPRIM_400000_NS6detail17trampoline_kernelINS0_13select_configILj256ELj13ELNS0_17block_load_methodE3ELS4_3ELS4_3ELNS0_20block_scan_algorithmE0ELj4294967295EEENS1_25partition_config_selectorILNS1_17partition_subalgoE3EjNS0_10empty_typeEbEEZZNS1_14partition_implILS8_3ELb0ES6_jNS0_17counting_iteratorIjlEEPS9_SE_NS0_5tupleIJPjSE_EEENSF_IJSE_SE_EEES9_SG_JZNS1_25segmented_radix_sort_implINS0_14default_configELb1EPKiPiPKlPlN2at6native12_GLOBAL__N_18offset_tEEE10hipError_tPvRmT1_PNSt15iterator_traitsISY_E10value_typeET2_T3_PNSZ_IS14_E10value_typeET4_jRbjT5_S1A_jjP12ihipStream_tbEUljE_EEESV_SW_SX_S14_S18_S1A_T6_T7_T9_mT8_S1C_bDpT10_ENKUlT_T0_E_clISt17integral_constantIbLb0EES1P_EEDaS1K_S1L_EUlS1K_E_NS1_11comp_targetILNS1_3genE0ELNS1_11target_archE4294967295ELNS1_3gpuE0ELNS1_3repE0EEENS1_30default_config_static_selectorELNS0_4arch9wavefront6targetE1EEEvSY_,comdat
.Lfunc_end465:
	.size	_ZN7rocprim17ROCPRIM_400000_NS6detail17trampoline_kernelINS0_13select_configILj256ELj13ELNS0_17block_load_methodE3ELS4_3ELS4_3ELNS0_20block_scan_algorithmE0ELj4294967295EEENS1_25partition_config_selectorILNS1_17partition_subalgoE3EjNS0_10empty_typeEbEEZZNS1_14partition_implILS8_3ELb0ES6_jNS0_17counting_iteratorIjlEEPS9_SE_NS0_5tupleIJPjSE_EEENSF_IJSE_SE_EEES9_SG_JZNS1_25segmented_radix_sort_implINS0_14default_configELb1EPKiPiPKlPlN2at6native12_GLOBAL__N_18offset_tEEE10hipError_tPvRmT1_PNSt15iterator_traitsISY_E10value_typeET2_T3_PNSZ_IS14_E10value_typeET4_jRbjT5_S1A_jjP12ihipStream_tbEUljE_EEESV_SW_SX_S14_S18_S1A_T6_T7_T9_mT8_S1C_bDpT10_ENKUlT_T0_E_clISt17integral_constantIbLb0EES1P_EEDaS1K_S1L_EUlS1K_E_NS1_11comp_targetILNS1_3genE0ELNS1_11target_archE4294967295ELNS1_3gpuE0ELNS1_3repE0EEENS1_30default_config_static_selectorELNS0_4arch9wavefront6targetE1EEEvSY_, .Lfunc_end465-_ZN7rocprim17ROCPRIM_400000_NS6detail17trampoline_kernelINS0_13select_configILj256ELj13ELNS0_17block_load_methodE3ELS4_3ELS4_3ELNS0_20block_scan_algorithmE0ELj4294967295EEENS1_25partition_config_selectorILNS1_17partition_subalgoE3EjNS0_10empty_typeEbEEZZNS1_14partition_implILS8_3ELb0ES6_jNS0_17counting_iteratorIjlEEPS9_SE_NS0_5tupleIJPjSE_EEENSF_IJSE_SE_EEES9_SG_JZNS1_25segmented_radix_sort_implINS0_14default_configELb1EPKiPiPKlPlN2at6native12_GLOBAL__N_18offset_tEEE10hipError_tPvRmT1_PNSt15iterator_traitsISY_E10value_typeET2_T3_PNSZ_IS14_E10value_typeET4_jRbjT5_S1A_jjP12ihipStream_tbEUljE_EEESV_SW_SX_S14_S18_S1A_T6_T7_T9_mT8_S1C_bDpT10_ENKUlT_T0_E_clISt17integral_constantIbLb0EES1P_EEDaS1K_S1L_EUlS1K_E_NS1_11comp_targetILNS1_3genE0ELNS1_11target_archE4294967295ELNS1_3gpuE0ELNS1_3repE0EEENS1_30default_config_static_selectorELNS0_4arch9wavefront6targetE1EEEvSY_
                                        ; -- End function
	.section	.AMDGPU.csdata,"",@progbits
; Kernel info:
; codeLenInByte = 0
; NumSgprs: 4
; NumVgprs: 0
; NumAgprs: 0
; TotalNumVgprs: 0
; ScratchSize: 0
; MemoryBound: 0
; FloatMode: 240
; IeeeMode: 1
; LDSByteSize: 0 bytes/workgroup (compile time only)
; SGPRBlocks: 0
; VGPRBlocks: 0
; NumSGPRsForWavesPerEU: 4
; NumVGPRsForWavesPerEU: 1
; AccumOffset: 4
; Occupancy: 8
; WaveLimiterHint : 0
; COMPUTE_PGM_RSRC2:SCRATCH_EN: 0
; COMPUTE_PGM_RSRC2:USER_SGPR: 6
; COMPUTE_PGM_RSRC2:TRAP_HANDLER: 0
; COMPUTE_PGM_RSRC2:TGID_X_EN: 1
; COMPUTE_PGM_RSRC2:TGID_Y_EN: 0
; COMPUTE_PGM_RSRC2:TGID_Z_EN: 0
; COMPUTE_PGM_RSRC2:TIDIG_COMP_CNT: 0
; COMPUTE_PGM_RSRC3_GFX90A:ACCUM_OFFSET: 0
; COMPUTE_PGM_RSRC3_GFX90A:TG_SPLIT: 0
	.section	.text._ZN7rocprim17ROCPRIM_400000_NS6detail17trampoline_kernelINS0_13select_configILj256ELj13ELNS0_17block_load_methodE3ELS4_3ELS4_3ELNS0_20block_scan_algorithmE0ELj4294967295EEENS1_25partition_config_selectorILNS1_17partition_subalgoE3EjNS0_10empty_typeEbEEZZNS1_14partition_implILS8_3ELb0ES6_jNS0_17counting_iteratorIjlEEPS9_SE_NS0_5tupleIJPjSE_EEENSF_IJSE_SE_EEES9_SG_JZNS1_25segmented_radix_sort_implINS0_14default_configELb1EPKiPiPKlPlN2at6native12_GLOBAL__N_18offset_tEEE10hipError_tPvRmT1_PNSt15iterator_traitsISY_E10value_typeET2_T3_PNSZ_IS14_E10value_typeET4_jRbjT5_S1A_jjP12ihipStream_tbEUljE_EEESV_SW_SX_S14_S18_S1A_T6_T7_T9_mT8_S1C_bDpT10_ENKUlT_T0_E_clISt17integral_constantIbLb0EES1P_EEDaS1K_S1L_EUlS1K_E_NS1_11comp_targetILNS1_3genE5ELNS1_11target_archE942ELNS1_3gpuE9ELNS1_3repE0EEENS1_30default_config_static_selectorELNS0_4arch9wavefront6targetE1EEEvSY_,"axG",@progbits,_ZN7rocprim17ROCPRIM_400000_NS6detail17trampoline_kernelINS0_13select_configILj256ELj13ELNS0_17block_load_methodE3ELS4_3ELS4_3ELNS0_20block_scan_algorithmE0ELj4294967295EEENS1_25partition_config_selectorILNS1_17partition_subalgoE3EjNS0_10empty_typeEbEEZZNS1_14partition_implILS8_3ELb0ES6_jNS0_17counting_iteratorIjlEEPS9_SE_NS0_5tupleIJPjSE_EEENSF_IJSE_SE_EEES9_SG_JZNS1_25segmented_radix_sort_implINS0_14default_configELb1EPKiPiPKlPlN2at6native12_GLOBAL__N_18offset_tEEE10hipError_tPvRmT1_PNSt15iterator_traitsISY_E10value_typeET2_T3_PNSZ_IS14_E10value_typeET4_jRbjT5_S1A_jjP12ihipStream_tbEUljE_EEESV_SW_SX_S14_S18_S1A_T6_T7_T9_mT8_S1C_bDpT10_ENKUlT_T0_E_clISt17integral_constantIbLb0EES1P_EEDaS1K_S1L_EUlS1K_E_NS1_11comp_targetILNS1_3genE5ELNS1_11target_archE942ELNS1_3gpuE9ELNS1_3repE0EEENS1_30default_config_static_selectorELNS0_4arch9wavefront6targetE1EEEvSY_,comdat
	.globl	_ZN7rocprim17ROCPRIM_400000_NS6detail17trampoline_kernelINS0_13select_configILj256ELj13ELNS0_17block_load_methodE3ELS4_3ELS4_3ELNS0_20block_scan_algorithmE0ELj4294967295EEENS1_25partition_config_selectorILNS1_17partition_subalgoE3EjNS0_10empty_typeEbEEZZNS1_14partition_implILS8_3ELb0ES6_jNS0_17counting_iteratorIjlEEPS9_SE_NS0_5tupleIJPjSE_EEENSF_IJSE_SE_EEES9_SG_JZNS1_25segmented_radix_sort_implINS0_14default_configELb1EPKiPiPKlPlN2at6native12_GLOBAL__N_18offset_tEEE10hipError_tPvRmT1_PNSt15iterator_traitsISY_E10value_typeET2_T3_PNSZ_IS14_E10value_typeET4_jRbjT5_S1A_jjP12ihipStream_tbEUljE_EEESV_SW_SX_S14_S18_S1A_T6_T7_T9_mT8_S1C_bDpT10_ENKUlT_T0_E_clISt17integral_constantIbLb0EES1P_EEDaS1K_S1L_EUlS1K_E_NS1_11comp_targetILNS1_3genE5ELNS1_11target_archE942ELNS1_3gpuE9ELNS1_3repE0EEENS1_30default_config_static_selectorELNS0_4arch9wavefront6targetE1EEEvSY_ ; -- Begin function _ZN7rocprim17ROCPRIM_400000_NS6detail17trampoline_kernelINS0_13select_configILj256ELj13ELNS0_17block_load_methodE3ELS4_3ELS4_3ELNS0_20block_scan_algorithmE0ELj4294967295EEENS1_25partition_config_selectorILNS1_17partition_subalgoE3EjNS0_10empty_typeEbEEZZNS1_14partition_implILS8_3ELb0ES6_jNS0_17counting_iteratorIjlEEPS9_SE_NS0_5tupleIJPjSE_EEENSF_IJSE_SE_EEES9_SG_JZNS1_25segmented_radix_sort_implINS0_14default_configELb1EPKiPiPKlPlN2at6native12_GLOBAL__N_18offset_tEEE10hipError_tPvRmT1_PNSt15iterator_traitsISY_E10value_typeET2_T3_PNSZ_IS14_E10value_typeET4_jRbjT5_S1A_jjP12ihipStream_tbEUljE_EEESV_SW_SX_S14_S18_S1A_T6_T7_T9_mT8_S1C_bDpT10_ENKUlT_T0_E_clISt17integral_constantIbLb0EES1P_EEDaS1K_S1L_EUlS1K_E_NS1_11comp_targetILNS1_3genE5ELNS1_11target_archE942ELNS1_3gpuE9ELNS1_3repE0EEENS1_30default_config_static_selectorELNS0_4arch9wavefront6targetE1EEEvSY_
	.p2align	8
	.type	_ZN7rocprim17ROCPRIM_400000_NS6detail17trampoline_kernelINS0_13select_configILj256ELj13ELNS0_17block_load_methodE3ELS4_3ELS4_3ELNS0_20block_scan_algorithmE0ELj4294967295EEENS1_25partition_config_selectorILNS1_17partition_subalgoE3EjNS0_10empty_typeEbEEZZNS1_14partition_implILS8_3ELb0ES6_jNS0_17counting_iteratorIjlEEPS9_SE_NS0_5tupleIJPjSE_EEENSF_IJSE_SE_EEES9_SG_JZNS1_25segmented_radix_sort_implINS0_14default_configELb1EPKiPiPKlPlN2at6native12_GLOBAL__N_18offset_tEEE10hipError_tPvRmT1_PNSt15iterator_traitsISY_E10value_typeET2_T3_PNSZ_IS14_E10value_typeET4_jRbjT5_S1A_jjP12ihipStream_tbEUljE_EEESV_SW_SX_S14_S18_S1A_T6_T7_T9_mT8_S1C_bDpT10_ENKUlT_T0_E_clISt17integral_constantIbLb0EES1P_EEDaS1K_S1L_EUlS1K_E_NS1_11comp_targetILNS1_3genE5ELNS1_11target_archE942ELNS1_3gpuE9ELNS1_3repE0EEENS1_30default_config_static_selectorELNS0_4arch9wavefront6targetE1EEEvSY_,@function
_ZN7rocprim17ROCPRIM_400000_NS6detail17trampoline_kernelINS0_13select_configILj256ELj13ELNS0_17block_load_methodE3ELS4_3ELS4_3ELNS0_20block_scan_algorithmE0ELj4294967295EEENS1_25partition_config_selectorILNS1_17partition_subalgoE3EjNS0_10empty_typeEbEEZZNS1_14partition_implILS8_3ELb0ES6_jNS0_17counting_iteratorIjlEEPS9_SE_NS0_5tupleIJPjSE_EEENSF_IJSE_SE_EEES9_SG_JZNS1_25segmented_radix_sort_implINS0_14default_configELb1EPKiPiPKlPlN2at6native12_GLOBAL__N_18offset_tEEE10hipError_tPvRmT1_PNSt15iterator_traitsISY_E10value_typeET2_T3_PNSZ_IS14_E10value_typeET4_jRbjT5_S1A_jjP12ihipStream_tbEUljE_EEESV_SW_SX_S14_S18_S1A_T6_T7_T9_mT8_S1C_bDpT10_ENKUlT_T0_E_clISt17integral_constantIbLb0EES1P_EEDaS1K_S1L_EUlS1K_E_NS1_11comp_targetILNS1_3genE5ELNS1_11target_archE942ELNS1_3gpuE9ELNS1_3repE0EEENS1_30default_config_static_selectorELNS0_4arch9wavefront6targetE1EEEvSY_: ; @_ZN7rocprim17ROCPRIM_400000_NS6detail17trampoline_kernelINS0_13select_configILj256ELj13ELNS0_17block_load_methodE3ELS4_3ELS4_3ELNS0_20block_scan_algorithmE0ELj4294967295EEENS1_25partition_config_selectorILNS1_17partition_subalgoE3EjNS0_10empty_typeEbEEZZNS1_14partition_implILS8_3ELb0ES6_jNS0_17counting_iteratorIjlEEPS9_SE_NS0_5tupleIJPjSE_EEENSF_IJSE_SE_EEES9_SG_JZNS1_25segmented_radix_sort_implINS0_14default_configELb1EPKiPiPKlPlN2at6native12_GLOBAL__N_18offset_tEEE10hipError_tPvRmT1_PNSt15iterator_traitsISY_E10value_typeET2_T3_PNSZ_IS14_E10value_typeET4_jRbjT5_S1A_jjP12ihipStream_tbEUljE_EEESV_SW_SX_S14_S18_S1A_T6_T7_T9_mT8_S1C_bDpT10_ENKUlT_T0_E_clISt17integral_constantIbLb0EES1P_EEDaS1K_S1L_EUlS1K_E_NS1_11comp_targetILNS1_3genE5ELNS1_11target_archE942ELNS1_3gpuE9ELNS1_3repE0EEENS1_30default_config_static_selectorELNS0_4arch9wavefront6targetE1EEEvSY_
; %bb.0:
	.section	.rodata,"a",@progbits
	.p2align	6, 0x0
	.amdhsa_kernel _ZN7rocprim17ROCPRIM_400000_NS6detail17trampoline_kernelINS0_13select_configILj256ELj13ELNS0_17block_load_methodE3ELS4_3ELS4_3ELNS0_20block_scan_algorithmE0ELj4294967295EEENS1_25partition_config_selectorILNS1_17partition_subalgoE3EjNS0_10empty_typeEbEEZZNS1_14partition_implILS8_3ELb0ES6_jNS0_17counting_iteratorIjlEEPS9_SE_NS0_5tupleIJPjSE_EEENSF_IJSE_SE_EEES9_SG_JZNS1_25segmented_radix_sort_implINS0_14default_configELb1EPKiPiPKlPlN2at6native12_GLOBAL__N_18offset_tEEE10hipError_tPvRmT1_PNSt15iterator_traitsISY_E10value_typeET2_T3_PNSZ_IS14_E10value_typeET4_jRbjT5_S1A_jjP12ihipStream_tbEUljE_EEESV_SW_SX_S14_S18_S1A_T6_T7_T9_mT8_S1C_bDpT10_ENKUlT_T0_E_clISt17integral_constantIbLb0EES1P_EEDaS1K_S1L_EUlS1K_E_NS1_11comp_targetILNS1_3genE5ELNS1_11target_archE942ELNS1_3gpuE9ELNS1_3repE0EEENS1_30default_config_static_selectorELNS0_4arch9wavefront6targetE1EEEvSY_
		.amdhsa_group_segment_fixed_size 0
		.amdhsa_private_segment_fixed_size 0
		.amdhsa_kernarg_size 144
		.amdhsa_user_sgpr_count 6
		.amdhsa_user_sgpr_private_segment_buffer 1
		.amdhsa_user_sgpr_dispatch_ptr 0
		.amdhsa_user_sgpr_queue_ptr 0
		.amdhsa_user_sgpr_kernarg_segment_ptr 1
		.amdhsa_user_sgpr_dispatch_id 0
		.amdhsa_user_sgpr_flat_scratch_init 0
		.amdhsa_user_sgpr_kernarg_preload_length 0
		.amdhsa_user_sgpr_kernarg_preload_offset 0
		.amdhsa_user_sgpr_private_segment_size 0
		.amdhsa_uses_dynamic_stack 0
		.amdhsa_system_sgpr_private_segment_wavefront_offset 0
		.amdhsa_system_sgpr_workgroup_id_x 1
		.amdhsa_system_sgpr_workgroup_id_y 0
		.amdhsa_system_sgpr_workgroup_id_z 0
		.amdhsa_system_sgpr_workgroup_info 0
		.amdhsa_system_vgpr_workitem_id 0
		.amdhsa_next_free_vgpr 1
		.amdhsa_next_free_sgpr 0
		.amdhsa_accum_offset 4
		.amdhsa_reserve_vcc 0
		.amdhsa_reserve_flat_scratch 0
		.amdhsa_float_round_mode_32 0
		.amdhsa_float_round_mode_16_64 0
		.amdhsa_float_denorm_mode_32 3
		.amdhsa_float_denorm_mode_16_64 3
		.amdhsa_dx10_clamp 1
		.amdhsa_ieee_mode 1
		.amdhsa_fp16_overflow 0
		.amdhsa_tg_split 0
		.amdhsa_exception_fp_ieee_invalid_op 0
		.amdhsa_exception_fp_denorm_src 0
		.amdhsa_exception_fp_ieee_div_zero 0
		.amdhsa_exception_fp_ieee_overflow 0
		.amdhsa_exception_fp_ieee_underflow 0
		.amdhsa_exception_fp_ieee_inexact 0
		.amdhsa_exception_int_div_zero 0
	.end_amdhsa_kernel
	.section	.text._ZN7rocprim17ROCPRIM_400000_NS6detail17trampoline_kernelINS0_13select_configILj256ELj13ELNS0_17block_load_methodE3ELS4_3ELS4_3ELNS0_20block_scan_algorithmE0ELj4294967295EEENS1_25partition_config_selectorILNS1_17partition_subalgoE3EjNS0_10empty_typeEbEEZZNS1_14partition_implILS8_3ELb0ES6_jNS0_17counting_iteratorIjlEEPS9_SE_NS0_5tupleIJPjSE_EEENSF_IJSE_SE_EEES9_SG_JZNS1_25segmented_radix_sort_implINS0_14default_configELb1EPKiPiPKlPlN2at6native12_GLOBAL__N_18offset_tEEE10hipError_tPvRmT1_PNSt15iterator_traitsISY_E10value_typeET2_T3_PNSZ_IS14_E10value_typeET4_jRbjT5_S1A_jjP12ihipStream_tbEUljE_EEESV_SW_SX_S14_S18_S1A_T6_T7_T9_mT8_S1C_bDpT10_ENKUlT_T0_E_clISt17integral_constantIbLb0EES1P_EEDaS1K_S1L_EUlS1K_E_NS1_11comp_targetILNS1_3genE5ELNS1_11target_archE942ELNS1_3gpuE9ELNS1_3repE0EEENS1_30default_config_static_selectorELNS0_4arch9wavefront6targetE1EEEvSY_,"axG",@progbits,_ZN7rocprim17ROCPRIM_400000_NS6detail17trampoline_kernelINS0_13select_configILj256ELj13ELNS0_17block_load_methodE3ELS4_3ELS4_3ELNS0_20block_scan_algorithmE0ELj4294967295EEENS1_25partition_config_selectorILNS1_17partition_subalgoE3EjNS0_10empty_typeEbEEZZNS1_14partition_implILS8_3ELb0ES6_jNS0_17counting_iteratorIjlEEPS9_SE_NS0_5tupleIJPjSE_EEENSF_IJSE_SE_EEES9_SG_JZNS1_25segmented_radix_sort_implINS0_14default_configELb1EPKiPiPKlPlN2at6native12_GLOBAL__N_18offset_tEEE10hipError_tPvRmT1_PNSt15iterator_traitsISY_E10value_typeET2_T3_PNSZ_IS14_E10value_typeET4_jRbjT5_S1A_jjP12ihipStream_tbEUljE_EEESV_SW_SX_S14_S18_S1A_T6_T7_T9_mT8_S1C_bDpT10_ENKUlT_T0_E_clISt17integral_constantIbLb0EES1P_EEDaS1K_S1L_EUlS1K_E_NS1_11comp_targetILNS1_3genE5ELNS1_11target_archE942ELNS1_3gpuE9ELNS1_3repE0EEENS1_30default_config_static_selectorELNS0_4arch9wavefront6targetE1EEEvSY_,comdat
.Lfunc_end466:
	.size	_ZN7rocprim17ROCPRIM_400000_NS6detail17trampoline_kernelINS0_13select_configILj256ELj13ELNS0_17block_load_methodE3ELS4_3ELS4_3ELNS0_20block_scan_algorithmE0ELj4294967295EEENS1_25partition_config_selectorILNS1_17partition_subalgoE3EjNS0_10empty_typeEbEEZZNS1_14partition_implILS8_3ELb0ES6_jNS0_17counting_iteratorIjlEEPS9_SE_NS0_5tupleIJPjSE_EEENSF_IJSE_SE_EEES9_SG_JZNS1_25segmented_radix_sort_implINS0_14default_configELb1EPKiPiPKlPlN2at6native12_GLOBAL__N_18offset_tEEE10hipError_tPvRmT1_PNSt15iterator_traitsISY_E10value_typeET2_T3_PNSZ_IS14_E10value_typeET4_jRbjT5_S1A_jjP12ihipStream_tbEUljE_EEESV_SW_SX_S14_S18_S1A_T6_T7_T9_mT8_S1C_bDpT10_ENKUlT_T0_E_clISt17integral_constantIbLb0EES1P_EEDaS1K_S1L_EUlS1K_E_NS1_11comp_targetILNS1_3genE5ELNS1_11target_archE942ELNS1_3gpuE9ELNS1_3repE0EEENS1_30default_config_static_selectorELNS0_4arch9wavefront6targetE1EEEvSY_, .Lfunc_end466-_ZN7rocprim17ROCPRIM_400000_NS6detail17trampoline_kernelINS0_13select_configILj256ELj13ELNS0_17block_load_methodE3ELS4_3ELS4_3ELNS0_20block_scan_algorithmE0ELj4294967295EEENS1_25partition_config_selectorILNS1_17partition_subalgoE3EjNS0_10empty_typeEbEEZZNS1_14partition_implILS8_3ELb0ES6_jNS0_17counting_iteratorIjlEEPS9_SE_NS0_5tupleIJPjSE_EEENSF_IJSE_SE_EEES9_SG_JZNS1_25segmented_radix_sort_implINS0_14default_configELb1EPKiPiPKlPlN2at6native12_GLOBAL__N_18offset_tEEE10hipError_tPvRmT1_PNSt15iterator_traitsISY_E10value_typeET2_T3_PNSZ_IS14_E10value_typeET4_jRbjT5_S1A_jjP12ihipStream_tbEUljE_EEESV_SW_SX_S14_S18_S1A_T6_T7_T9_mT8_S1C_bDpT10_ENKUlT_T0_E_clISt17integral_constantIbLb0EES1P_EEDaS1K_S1L_EUlS1K_E_NS1_11comp_targetILNS1_3genE5ELNS1_11target_archE942ELNS1_3gpuE9ELNS1_3repE0EEENS1_30default_config_static_selectorELNS0_4arch9wavefront6targetE1EEEvSY_
                                        ; -- End function
	.section	.AMDGPU.csdata,"",@progbits
; Kernel info:
; codeLenInByte = 0
; NumSgprs: 4
; NumVgprs: 0
; NumAgprs: 0
; TotalNumVgprs: 0
; ScratchSize: 0
; MemoryBound: 0
; FloatMode: 240
; IeeeMode: 1
; LDSByteSize: 0 bytes/workgroup (compile time only)
; SGPRBlocks: 0
; VGPRBlocks: 0
; NumSGPRsForWavesPerEU: 4
; NumVGPRsForWavesPerEU: 1
; AccumOffset: 4
; Occupancy: 8
; WaveLimiterHint : 0
; COMPUTE_PGM_RSRC2:SCRATCH_EN: 0
; COMPUTE_PGM_RSRC2:USER_SGPR: 6
; COMPUTE_PGM_RSRC2:TRAP_HANDLER: 0
; COMPUTE_PGM_RSRC2:TGID_X_EN: 1
; COMPUTE_PGM_RSRC2:TGID_Y_EN: 0
; COMPUTE_PGM_RSRC2:TGID_Z_EN: 0
; COMPUTE_PGM_RSRC2:TIDIG_COMP_CNT: 0
; COMPUTE_PGM_RSRC3_GFX90A:ACCUM_OFFSET: 0
; COMPUTE_PGM_RSRC3_GFX90A:TG_SPLIT: 0
	.section	.text._ZN7rocprim17ROCPRIM_400000_NS6detail17trampoline_kernelINS0_13select_configILj256ELj13ELNS0_17block_load_methodE3ELS4_3ELS4_3ELNS0_20block_scan_algorithmE0ELj4294967295EEENS1_25partition_config_selectorILNS1_17partition_subalgoE3EjNS0_10empty_typeEbEEZZNS1_14partition_implILS8_3ELb0ES6_jNS0_17counting_iteratorIjlEEPS9_SE_NS0_5tupleIJPjSE_EEENSF_IJSE_SE_EEES9_SG_JZNS1_25segmented_radix_sort_implINS0_14default_configELb1EPKiPiPKlPlN2at6native12_GLOBAL__N_18offset_tEEE10hipError_tPvRmT1_PNSt15iterator_traitsISY_E10value_typeET2_T3_PNSZ_IS14_E10value_typeET4_jRbjT5_S1A_jjP12ihipStream_tbEUljE_EEESV_SW_SX_S14_S18_S1A_T6_T7_T9_mT8_S1C_bDpT10_ENKUlT_T0_E_clISt17integral_constantIbLb0EES1P_EEDaS1K_S1L_EUlS1K_E_NS1_11comp_targetILNS1_3genE4ELNS1_11target_archE910ELNS1_3gpuE8ELNS1_3repE0EEENS1_30default_config_static_selectorELNS0_4arch9wavefront6targetE1EEEvSY_,"axG",@progbits,_ZN7rocprim17ROCPRIM_400000_NS6detail17trampoline_kernelINS0_13select_configILj256ELj13ELNS0_17block_load_methodE3ELS4_3ELS4_3ELNS0_20block_scan_algorithmE0ELj4294967295EEENS1_25partition_config_selectorILNS1_17partition_subalgoE3EjNS0_10empty_typeEbEEZZNS1_14partition_implILS8_3ELb0ES6_jNS0_17counting_iteratorIjlEEPS9_SE_NS0_5tupleIJPjSE_EEENSF_IJSE_SE_EEES9_SG_JZNS1_25segmented_radix_sort_implINS0_14default_configELb1EPKiPiPKlPlN2at6native12_GLOBAL__N_18offset_tEEE10hipError_tPvRmT1_PNSt15iterator_traitsISY_E10value_typeET2_T3_PNSZ_IS14_E10value_typeET4_jRbjT5_S1A_jjP12ihipStream_tbEUljE_EEESV_SW_SX_S14_S18_S1A_T6_T7_T9_mT8_S1C_bDpT10_ENKUlT_T0_E_clISt17integral_constantIbLb0EES1P_EEDaS1K_S1L_EUlS1K_E_NS1_11comp_targetILNS1_3genE4ELNS1_11target_archE910ELNS1_3gpuE8ELNS1_3repE0EEENS1_30default_config_static_selectorELNS0_4arch9wavefront6targetE1EEEvSY_,comdat
	.globl	_ZN7rocprim17ROCPRIM_400000_NS6detail17trampoline_kernelINS0_13select_configILj256ELj13ELNS0_17block_load_methodE3ELS4_3ELS4_3ELNS0_20block_scan_algorithmE0ELj4294967295EEENS1_25partition_config_selectorILNS1_17partition_subalgoE3EjNS0_10empty_typeEbEEZZNS1_14partition_implILS8_3ELb0ES6_jNS0_17counting_iteratorIjlEEPS9_SE_NS0_5tupleIJPjSE_EEENSF_IJSE_SE_EEES9_SG_JZNS1_25segmented_radix_sort_implINS0_14default_configELb1EPKiPiPKlPlN2at6native12_GLOBAL__N_18offset_tEEE10hipError_tPvRmT1_PNSt15iterator_traitsISY_E10value_typeET2_T3_PNSZ_IS14_E10value_typeET4_jRbjT5_S1A_jjP12ihipStream_tbEUljE_EEESV_SW_SX_S14_S18_S1A_T6_T7_T9_mT8_S1C_bDpT10_ENKUlT_T0_E_clISt17integral_constantIbLb0EES1P_EEDaS1K_S1L_EUlS1K_E_NS1_11comp_targetILNS1_3genE4ELNS1_11target_archE910ELNS1_3gpuE8ELNS1_3repE0EEENS1_30default_config_static_selectorELNS0_4arch9wavefront6targetE1EEEvSY_ ; -- Begin function _ZN7rocprim17ROCPRIM_400000_NS6detail17trampoline_kernelINS0_13select_configILj256ELj13ELNS0_17block_load_methodE3ELS4_3ELS4_3ELNS0_20block_scan_algorithmE0ELj4294967295EEENS1_25partition_config_selectorILNS1_17partition_subalgoE3EjNS0_10empty_typeEbEEZZNS1_14partition_implILS8_3ELb0ES6_jNS0_17counting_iteratorIjlEEPS9_SE_NS0_5tupleIJPjSE_EEENSF_IJSE_SE_EEES9_SG_JZNS1_25segmented_radix_sort_implINS0_14default_configELb1EPKiPiPKlPlN2at6native12_GLOBAL__N_18offset_tEEE10hipError_tPvRmT1_PNSt15iterator_traitsISY_E10value_typeET2_T3_PNSZ_IS14_E10value_typeET4_jRbjT5_S1A_jjP12ihipStream_tbEUljE_EEESV_SW_SX_S14_S18_S1A_T6_T7_T9_mT8_S1C_bDpT10_ENKUlT_T0_E_clISt17integral_constantIbLb0EES1P_EEDaS1K_S1L_EUlS1K_E_NS1_11comp_targetILNS1_3genE4ELNS1_11target_archE910ELNS1_3gpuE8ELNS1_3repE0EEENS1_30default_config_static_selectorELNS0_4arch9wavefront6targetE1EEEvSY_
	.p2align	8
	.type	_ZN7rocprim17ROCPRIM_400000_NS6detail17trampoline_kernelINS0_13select_configILj256ELj13ELNS0_17block_load_methodE3ELS4_3ELS4_3ELNS0_20block_scan_algorithmE0ELj4294967295EEENS1_25partition_config_selectorILNS1_17partition_subalgoE3EjNS0_10empty_typeEbEEZZNS1_14partition_implILS8_3ELb0ES6_jNS0_17counting_iteratorIjlEEPS9_SE_NS0_5tupleIJPjSE_EEENSF_IJSE_SE_EEES9_SG_JZNS1_25segmented_radix_sort_implINS0_14default_configELb1EPKiPiPKlPlN2at6native12_GLOBAL__N_18offset_tEEE10hipError_tPvRmT1_PNSt15iterator_traitsISY_E10value_typeET2_T3_PNSZ_IS14_E10value_typeET4_jRbjT5_S1A_jjP12ihipStream_tbEUljE_EEESV_SW_SX_S14_S18_S1A_T6_T7_T9_mT8_S1C_bDpT10_ENKUlT_T0_E_clISt17integral_constantIbLb0EES1P_EEDaS1K_S1L_EUlS1K_E_NS1_11comp_targetILNS1_3genE4ELNS1_11target_archE910ELNS1_3gpuE8ELNS1_3repE0EEENS1_30default_config_static_selectorELNS0_4arch9wavefront6targetE1EEEvSY_,@function
_ZN7rocprim17ROCPRIM_400000_NS6detail17trampoline_kernelINS0_13select_configILj256ELj13ELNS0_17block_load_methodE3ELS4_3ELS4_3ELNS0_20block_scan_algorithmE0ELj4294967295EEENS1_25partition_config_selectorILNS1_17partition_subalgoE3EjNS0_10empty_typeEbEEZZNS1_14partition_implILS8_3ELb0ES6_jNS0_17counting_iteratorIjlEEPS9_SE_NS0_5tupleIJPjSE_EEENSF_IJSE_SE_EEES9_SG_JZNS1_25segmented_radix_sort_implINS0_14default_configELb1EPKiPiPKlPlN2at6native12_GLOBAL__N_18offset_tEEE10hipError_tPvRmT1_PNSt15iterator_traitsISY_E10value_typeET2_T3_PNSZ_IS14_E10value_typeET4_jRbjT5_S1A_jjP12ihipStream_tbEUljE_EEESV_SW_SX_S14_S18_S1A_T6_T7_T9_mT8_S1C_bDpT10_ENKUlT_T0_E_clISt17integral_constantIbLb0EES1P_EEDaS1K_S1L_EUlS1K_E_NS1_11comp_targetILNS1_3genE4ELNS1_11target_archE910ELNS1_3gpuE8ELNS1_3repE0EEENS1_30default_config_static_selectorELNS0_4arch9wavefront6targetE1EEEvSY_: ; @_ZN7rocprim17ROCPRIM_400000_NS6detail17trampoline_kernelINS0_13select_configILj256ELj13ELNS0_17block_load_methodE3ELS4_3ELS4_3ELNS0_20block_scan_algorithmE0ELj4294967295EEENS1_25partition_config_selectorILNS1_17partition_subalgoE3EjNS0_10empty_typeEbEEZZNS1_14partition_implILS8_3ELb0ES6_jNS0_17counting_iteratorIjlEEPS9_SE_NS0_5tupleIJPjSE_EEENSF_IJSE_SE_EEES9_SG_JZNS1_25segmented_radix_sort_implINS0_14default_configELb1EPKiPiPKlPlN2at6native12_GLOBAL__N_18offset_tEEE10hipError_tPvRmT1_PNSt15iterator_traitsISY_E10value_typeET2_T3_PNSZ_IS14_E10value_typeET4_jRbjT5_S1A_jjP12ihipStream_tbEUljE_EEESV_SW_SX_S14_S18_S1A_T6_T7_T9_mT8_S1C_bDpT10_ENKUlT_T0_E_clISt17integral_constantIbLb0EES1P_EEDaS1K_S1L_EUlS1K_E_NS1_11comp_targetILNS1_3genE4ELNS1_11target_archE910ELNS1_3gpuE8ELNS1_3repE0EEENS1_30default_config_static_selectorELNS0_4arch9wavefront6targetE1EEEvSY_
; %bb.0:
	s_load_dwordx2 s[26:27], s[4:5], 0x58
	s_load_dwordx4 s[20:23], s[4:5], 0x48
	s_load_dword s13, s[4:5], 0x8
	s_load_dwordx2 s[28:29], s[4:5], 0x10
	s_load_dword s12, s[4:5], 0x70
	s_load_dword s7, s[4:5], 0x88
	s_load_dwordx4 s[8:11], s[4:5], 0x78
	s_waitcnt lgkmcnt(0)
	s_load_dwordx2 s[30:31], s[22:23], 0x0
	v_pk_mov_b32 v[2:3], s[26:27], s[26:27] op_sel:[0,1]
	s_add_i32 s2, s12, -1
	s_mulk_i32 s12, 0xd00
	s_add_u32 s0, s28, s12
	s_addc_u32 s1, s29, 0
	s_cmp_eq_u32 s6, s2
	s_cselect_b64 s[22:23], -1, 0
	s_cmp_lg_u32 s6, s2
	s_mul_i32 s42, s6, 0xd00
	v_cmp_lt_u64_e32 vcc, s[0:1], v[2:3]
	s_cselect_b64 s[0:1], -1, 0
	s_or_b64 s[2:3], s[0:1], vcc
	s_add_i32 s0, s13, s42
	s_add_i32 s0, s0, s28
	v_add_u32_e32 v2, s0, v0
	s_mov_b64 s[0:1], -1
	s_and_b64 vcc, exec, s[2:3]
	v_lshlrev_b32_e32 v1, 2, v0
	s_cbranch_vccz .LBB467_2
; %bb.1:
	v_add_u32_e32 v3, 0x100, v2
	v_add_u32_e32 v4, 0x200, v2
	;; [unrolled: 1-line block ×12, first 2 shown]
	ds_write2st64_b32 v1, v2, v3 offset1:4
	ds_write2st64_b32 v1, v4, v5 offset0:8 offset1:12
	ds_write2st64_b32 v1, v6, v7 offset0:16 offset1:20
	;; [unrolled: 1-line block ×5, first 2 shown]
	ds_write_b32 v1, v14 offset:12288
	s_waitcnt lgkmcnt(0)
	s_barrier
	s_mov_b64 s[0:1], 0
.LBB467_2:
	s_andn2_b64 vcc, exec, s[0:1]
	s_add_i32 s12, s12, s28
	s_cbranch_vccnz .LBB467_4
; %bb.3:
	v_add_u32_e32 v3, 0x100, v2
	v_add_u32_e32 v4, 0x200, v2
	;; [unrolled: 1-line block ×12, first 2 shown]
	ds_write2st64_b32 v1, v2, v3 offset1:4
	ds_write2st64_b32 v1, v4, v5 offset0:8 offset1:12
	ds_write2st64_b32 v1, v6, v7 offset0:16 offset1:20
	;; [unrolled: 1-line block ×5, first 2 shown]
	ds_write_b32 v1, v14 offset:12288
	s_waitcnt lgkmcnt(0)
	s_barrier
.LBB467_4:
	v_mul_u32_u24_e32 v33, 13, v0
	v_lshlrev_b32_e32 v2, 2, v33
	s_waitcnt lgkmcnt(0)
	ds_read2_b32 v[30:31], v2 offset1:1
	ds_read2_b32 v[28:29], v2 offset0:2 offset1:3
	ds_read2_b32 v[26:27], v2 offset0:4 offset1:5
	;; [unrolled: 1-line block ×5, first 2 shown]
	ds_read_b32 v32, v2 offset:48
	v_cndmask_b32_e64 v2, 0, 1, s[2:3]
	s_sub_i32 s33, s26, s12
	v_cmp_ne_u32_e64 s[0:1], 1, v2
	s_andn2_b64 vcc, exec, s[2:3]
	s_waitcnt lgkmcnt(0)
	s_barrier
	s_cbranch_vccnz .LBB467_6
; %bb.5:
	v_add_u32_e32 v2, s9, v30
	v_add_u32_e32 v3, s11, v30
	v_mul_lo_u32 v2, v2, s8
	v_mul_lo_u32 v3, v3, s10
	v_sub_u32_e32 v2, v2, v3
	v_add_u32_e32 v3, s9, v31
	v_add_u32_e32 v4, s11, v31
	v_mul_lo_u32 v3, v3, s8
	v_mul_lo_u32 v4, v4, s10
	v_sub_u32_e32 v3, v3, v4
	;; [unrolled: 5-line block ×6, first 2 shown]
	v_add_u32_e32 v8, s9, v24
	v_add_u32_e32 v9, s11, v24
	v_mul_lo_u32 v8, v8, s8
	v_mul_lo_u32 v9, v9, s10
	v_cmp_lt_u32_e32 vcc, s7, v2
	v_sub_u32_e32 v8, v8, v9
	v_add_u32_e32 v9, s9, v25
	v_add_u32_e32 v10, s11, v25
	v_cndmask_b32_e64 v2, 0, 1, vcc
	v_cmp_lt_u32_e32 vcc, s7, v3
	v_mul_lo_u32 v9, v9, s8
	v_mul_lo_u32 v10, v10, s10
	v_cndmask_b32_e64 v3, 0, 1, vcc
	v_cmp_lt_u32_e32 vcc, s7, v4
	v_sub_u32_e32 v9, v9, v10
	v_add_u32_e32 v10, s9, v22
	v_add_u32_e32 v11, s11, v22
	v_cndmask_b32_e64 v4, 0, 1, vcc
	v_cmp_lt_u32_e32 vcc, s7, v5
	v_mul_lo_u32 v10, v10, s8
	v_mul_lo_u32 v11, v11, s10
	v_cndmask_b32_e64 v5, 0, 1, vcc
	;; [unrolled: 9-line block ×4, first 2 shown]
	v_cmp_lt_u32_e32 vcc, s7, v10
	v_sub_u32_e32 v12, v12, v13
	v_add_u32_e32 v13, s9, v21
	v_add_u32_e32 v14, s11, v21
	v_lshlrev_b16_e32 v3, 8, v3
	v_cndmask_b32_e64 v10, 0, 1, vcc
	v_cmp_lt_u32_e32 vcc, s7, v11
	v_mul_lo_u32 v13, v13, s8
	v_mul_lo_u32 v14, v14, s10
	v_or_b32_e32 v2, v2, v3
	v_lshlrev_b16_e32 v3, 8, v5
	v_cndmask_b32_e64 v11, 0, 1, vcc
	v_cmp_lt_u32_e32 vcc, s7, v12
	v_sub_u32_e32 v13, v13, v14
	v_or_b32_sdwa v3, v4, v3 dst_sel:WORD_1 dst_unused:UNUSED_PAD src0_sel:DWORD src1_sel:DWORD
	v_cndmask_b32_e64 v12, 0, 1, vcc
	v_cmp_lt_u32_e32 vcc, s7, v13
	v_add_u32_e32 v14, s9, v32
	v_add_u32_e32 v15, s11, v32
	v_or_b32_sdwa v37, v2, v3 dst_sel:DWORD dst_unused:UNUSED_PAD src0_sel:WORD_0 src1_sel:DWORD
	v_lshlrev_b16_e32 v2, 8, v7
	v_lshlrev_b16_e32 v3, 8, v9
	v_cndmask_b32_e64 v13, 0, 1, vcc
	v_mul_lo_u32 v14, v14, s8
	v_mul_lo_u32 v15, v15, s10
	v_or_b32_e32 v2, v6, v2
	v_or_b32_sdwa v3, v8, v3 dst_sel:WORD_1 dst_unused:UNUSED_PAD src0_sel:DWORD src1_sel:DWORD
	v_sub_u32_e32 v14, v14, v15
	v_or_b32_sdwa v36, v2, v3 dst_sel:DWORD dst_unused:UNUSED_PAD src0_sel:WORD_0 src1_sel:DWORD
	v_lshlrev_b16_e32 v2, 8, v11
	v_lshlrev_b16_e32 v3, 8, v13
	v_cmp_lt_u32_e32 vcc, s7, v14
	v_or_b32_e32 v2, v10, v2
	v_or_b32_sdwa v3, v12, v3 dst_sel:WORD_1 dst_unused:UNUSED_PAD src0_sel:DWORD src1_sel:DWORD
	v_cndmask_b32_e64 v34, 0, 1, vcc
	v_or_b32_sdwa v35, v2, v3 dst_sel:DWORD dst_unused:UNUSED_PAD src0_sel:WORD_0 src1_sel:DWORD
	s_mov_b64 s[2:3], 0
	s_branch .LBB467_7
.LBB467_6:
	s_mov_b64 s[2:3], -1
                                        ; implicit-def: $vgpr34
                                        ; implicit-def: $vgpr35
                                        ; implicit-def: $vgpr36
                                        ; implicit-def: $vgpr37
.LBB467_7:
	s_load_dwordx2 s[24:25], s[4:5], 0x28
	s_load_dwordx2 s[34:35], s[4:5], 0x68
	s_andn2_b64 vcc, exec, s[2:3]
	s_addk_i32 s33, 0xd00
	s_cbranch_vccnz .LBB467_35
; %bb.8:
	v_cmp_gt_u32_e32 vcc, s33, v33
	v_mov_b32_e32 v3, 0
	v_mov_b32_e32 v2, 0
	s_and_saveexec_b64 s[2:3], vcc
; %bb.9:
	v_add_u32_e32 v2, s9, v30
	v_add_u32_e32 v4, s11, v30
	v_mul_lo_u32 v2, v2, s8
	v_mul_lo_u32 v4, v4, s10
	v_sub_u32_e32 v2, v2, v4
	v_cmp_lt_u32_e32 vcc, s7, v2
	v_cndmask_b32_e64 v2, 0, 1, vcc
; %bb.10:
	s_or_b64 exec, exec, s[2:3]
	v_add_u32_e32 v4, 1, v33
	v_cmp_gt_u32_e32 vcc, s33, v4
	s_and_saveexec_b64 s[2:3], vcc
; %bb.11:
	v_add_u32_e32 v3, s9, v31
	v_add_u32_e32 v4, s11, v31
	v_mul_lo_u32 v3, v3, s8
	v_mul_lo_u32 v4, v4, s10
	v_sub_u32_e32 v3, v3, v4
	v_cmp_lt_u32_e32 vcc, s7, v3
	v_cndmask_b32_e64 v3, 0, 1, vcc
; %bb.12:
	s_or_b64 exec, exec, s[2:3]
	v_add_u32_e32 v4, 2, v33
	v_cmp_gt_u32_e32 vcc, s33, v4
	v_mov_b32_e32 v5, 0
	v_mov_b32_e32 v4, 0
	s_and_saveexec_b64 s[2:3], vcc
; %bb.13:
	v_add_u32_e32 v4, s9, v28
	v_add_u32_e32 v6, s11, v28
	v_mul_lo_u32 v4, v4, s8
	v_mul_lo_u32 v6, v6, s10
	v_sub_u32_e32 v4, v4, v6
	v_cmp_lt_u32_e32 vcc, s7, v4
	v_cndmask_b32_e64 v4, 0, 1, vcc
; %bb.14:
	s_or_b64 exec, exec, s[2:3]
	v_add_u32_e32 v6, 3, v33
	v_cmp_gt_u32_e32 vcc, s33, v6
	s_and_saveexec_b64 s[2:3], vcc
; %bb.15:
	v_add_u32_e32 v5, s9, v29
	v_add_u32_e32 v6, s11, v29
	v_mul_lo_u32 v5, v5, s8
	v_mul_lo_u32 v6, v6, s10
	v_sub_u32_e32 v5, v5, v6
	v_cmp_lt_u32_e32 vcc, s7, v5
	v_cndmask_b32_e64 v5, 0, 1, vcc
; %bb.16:
	s_or_b64 exec, exec, s[2:3]
	v_add_u32_e32 v6, 4, v33
	;; [unrolled: 28-line block ×6, first 2 shown]
	v_cmp_gt_u32_e32 vcc, s33, v14
	v_mov_b32_e32 v34, 0
	s_and_saveexec_b64 s[2:3], vcc
; %bb.33:
	v_add_u32_e32 v14, s9, v32
	v_add_u32_e32 v15, s11, v32
	v_mul_lo_u32 v14, v14, s8
	v_mul_lo_u32 v15, v15, s10
	v_sub_u32_e32 v14, v14, v15
	v_cmp_lt_u32_e32 vcc, s7, v14
	v_cndmask_b32_e64 v34, 0, 1, vcc
; %bb.34:
	s_or_b64 exec, exec, s[2:3]
	v_lshlrev_b16_e32 v3, 8, v3
	v_or_b32_e32 v2, v2, v3
	v_lshlrev_b16_e32 v3, 8, v5
	v_or_b32_sdwa v3, v4, v3 dst_sel:WORD_1 dst_unused:UNUSED_PAD src0_sel:DWORD src1_sel:DWORD
	v_or_b32_sdwa v37, v2, v3 dst_sel:DWORD dst_unused:UNUSED_PAD src0_sel:WORD_0 src1_sel:DWORD
	v_lshlrev_b16_e32 v2, 8, v7
	v_lshlrev_b16_e32 v3, 8, v9
	v_or_b32_e32 v2, v6, v2
	v_or_b32_sdwa v3, v8, v3 dst_sel:WORD_1 dst_unused:UNUSED_PAD src0_sel:DWORD src1_sel:DWORD
	v_or_b32_sdwa v36, v2, v3 dst_sel:DWORD dst_unused:UNUSED_PAD src0_sel:WORD_0 src1_sel:DWORD
	v_lshlrev_b16_e32 v2, 8, v11
	v_lshlrev_b16_e32 v3, 8, v13
	v_or_b32_e32 v2, v10, v2
	v_or_b32_sdwa v3, v12, v3 dst_sel:WORD_1 dst_unused:UNUSED_PAD src0_sel:DWORD src1_sel:DWORD
	v_or_b32_sdwa v35, v2, v3 dst_sel:DWORD dst_unused:UNUSED_PAD src0_sel:WORD_0 src1_sel:DWORD
.LBB467_35:
	v_and_b32_e32 v41, 0xff, v37
	v_bfe_u32 v42, v37, 8, 8
	v_bfe_u32 v43, v37, 16, 8
	v_lshrrev_b32_e32 v40, 24, v37
	v_and_b32_e32 v44, 0xff, v36
	v_add3_u32 v3, v42, v41, v43
	v_bfe_u32 v45, v36, 8, 8
	v_bfe_u32 v46, v36, 16, 8
	v_add3_u32 v3, v3, v40, v44
	v_lshrrev_b32_e32 v39, 24, v36
	v_and_b32_e32 v47, 0xff, v35
	v_add3_u32 v3, v3, v45, v46
	v_bfe_u32 v48, v35, 8, 8
	v_bfe_u32 v49, v35, 16, 8
	v_add3_u32 v3, v3, v39, v47
	v_lshrrev_b32_e32 v38, 24, v35
	v_and_b32_e32 v2, 0xff, v34
	v_add3_u32 v3, v3, v48, v49
	v_add3_u32 v52, v3, v38, v2
	v_mbcnt_lo_u32_b32 v2, -1, 0
	v_mbcnt_hi_u32_b32 v50, -1, v2
	v_and_b32_e32 v2, 15, v50
	v_cmp_eq_u32_e64 s[14:15], 0, v2
	v_cmp_lt_u32_e64 s[12:13], 1, v2
	v_cmp_lt_u32_e64 s[10:11], 3, v2
	;; [unrolled: 1-line block ×3, first 2 shown]
	v_and_b32_e32 v2, 16, v50
	v_cmp_eq_u32_e64 s[18:19], 0, v2
	v_or_b32_e32 v2, 63, v0
	s_cmp_lg_u32 s6, 0
	v_cmp_lt_u32_e64 s[2:3], 31, v50
	v_lshrrev_b32_e32 v51, 6, v0
	v_cmp_eq_u32_e64 s[4:5], v2, v0
	s_cbranch_scc0 .LBB467_62
; %bb.36:
	v_mov_b32_dpp v2, v52 row_shr:1 row_mask:0xf bank_mask:0xf
	v_cndmask_b32_e64 v2, v2, 0, s[14:15]
	v_add_u32_e32 v2, v2, v52
	s_nop 1
	v_mov_b32_dpp v3, v2 row_shr:2 row_mask:0xf bank_mask:0xf
	v_cndmask_b32_e64 v3, 0, v3, s[12:13]
	v_add_u32_e32 v2, v2, v3
	s_nop 1
	;; [unrolled: 4-line block ×4, first 2 shown]
	v_mov_b32_dpp v3, v2 row_bcast:15 row_mask:0xf bank_mask:0xf
	v_cndmask_b32_e64 v3, v3, 0, s[18:19]
	v_add_u32_e32 v2, v2, v3
	s_nop 1
	v_mov_b32_dpp v3, v2 row_bcast:31 row_mask:0xf bank_mask:0xf
	v_cndmask_b32_e64 v3, 0, v3, s[2:3]
	v_add_u32_e32 v2, v2, v3
	s_and_saveexec_b64 s[16:17], s[4:5]
	s_cbranch_execz .LBB467_38
; %bb.37:
	v_lshlrev_b32_e32 v3, 2, v51
	ds_write_b32 v3, v2
.LBB467_38:
	s_or_b64 exec, exec, s[16:17]
	v_cmp_gt_u32_e32 vcc, 4, v0
	s_waitcnt lgkmcnt(0)
	s_barrier
	s_and_saveexec_b64 s[16:17], vcc
	s_cbranch_execz .LBB467_40
; %bb.39:
	ds_read_b32 v3, v1
	v_and_b32_e32 v4, 3, v50
	v_cmp_ne_u32_e32 vcc, 0, v4
	s_waitcnt lgkmcnt(0)
	v_mov_b32_dpp v5, v3 row_shr:1 row_mask:0xf bank_mask:0xf
	v_cndmask_b32_e32 v5, 0, v5, vcc
	v_add_u32_e32 v3, v5, v3
	v_cmp_lt_u32_e32 vcc, 1, v4
	s_nop 0
	v_mov_b32_dpp v5, v3 row_shr:2 row_mask:0xf bank_mask:0xf
	v_cndmask_b32_e32 v4, 0, v5, vcc
	v_add_u32_e32 v3, v3, v4
	ds_write_b32 v1, v3
.LBB467_40:
	s_or_b64 exec, exec, s[16:17]
	v_cmp_gt_u32_e32 vcc, 64, v0
	v_cmp_lt_u32_e64 s[16:17], 63, v0
	s_waitcnt lgkmcnt(0)
	s_barrier
	s_waitcnt lgkmcnt(0)
                                        ; implicit-def: $vgpr12
	s_and_saveexec_b64 s[36:37], s[16:17]
	s_cbranch_execz .LBB467_42
; %bb.41:
	v_lshl_add_u32 v3, v51, 2, -4
	ds_read_b32 v12, v3
	s_waitcnt lgkmcnt(0)
	v_add_u32_e32 v2, v12, v2
.LBB467_42:
	s_or_b64 exec, exec, s[36:37]
	v_add_u32_e32 v3, -1, v50
	v_and_b32_e32 v4, 64, v50
	v_cmp_lt_i32_e64 s[16:17], v3, v4
	v_cndmask_b32_e64 v3, v3, v50, s[16:17]
	v_lshlrev_b32_e32 v3, 2, v3
	ds_bpermute_b32 v13, v3, v2
	v_cmp_eq_u32_e64 s[16:17], 0, v50
	s_and_saveexec_b64 s[36:37], vcc
	s_cbranch_execz .LBB467_61
; %bb.43:
	v_mov_b32_e32 v9, 0
	ds_read_b32 v2, v9 offset:12
	s_and_saveexec_b64 s[38:39], s[16:17]
	s_cbranch_execz .LBB467_45
; %bb.44:
	s_add_i32 s40, s6, 64
	s_mov_b32 s41, 0
	s_lshl_b64 s[40:41], s[40:41], 3
	s_add_u32 s40, s34, s40
	v_mov_b32_e32 v3, 1
	s_addc_u32 s41, s35, s41
	s_waitcnt lgkmcnt(0)
	global_store_dwordx2 v9, v[2:3], s[40:41]
.LBB467_45:
	s_or_b64 exec, exec, s[38:39]
	v_xad_u32 v4, v50, -1, s6
	v_add_u32_e32 v8, 64, v4
	v_lshlrev_b64 v[6:7], 3, v[8:9]
	v_mov_b32_e32 v3, s35
	v_add_co_u32_e32 v10, vcc, s34, v6
	v_addc_co_u32_e32 v11, vcc, v3, v7, vcc
	global_load_dwordx2 v[6:7], v[10:11], off glc
	s_waitcnt vmcnt(0)
	v_cmp_eq_u16_sdwa s[40:41], v7, v9 src0_sel:BYTE_0 src1_sel:DWORD
	s_and_saveexec_b64 s[38:39], s[40:41]
	s_cbranch_execz .LBB467_49
; %bb.46:
	s_mov_b64 s[40:41], 0
	v_mov_b32_e32 v3, 0
.LBB467_47:                             ; =>This Inner Loop Header: Depth=1
	global_load_dwordx2 v[6:7], v[10:11], off glc
	s_waitcnt vmcnt(0)
	v_cmp_ne_u16_sdwa s[44:45], v7, v3 src0_sel:BYTE_0 src1_sel:DWORD
	s_or_b64 s[40:41], s[44:45], s[40:41]
	s_andn2_b64 exec, exec, s[40:41]
	s_cbranch_execnz .LBB467_47
; %bb.48:
	s_or_b64 exec, exec, s[40:41]
.LBB467_49:
	s_or_b64 exec, exec, s[38:39]
	v_and_b32_e32 v14, 63, v50
	v_mov_b32_e32 v3, 2
	v_cmp_ne_u32_e32 vcc, 63, v14
	v_cmp_eq_u16_sdwa s[38:39], v7, v3 src0_sel:BYTE_0 src1_sel:DWORD
	v_lshlrev_b64 v[8:9], v50, -1
	v_addc_co_u32_e32 v11, vcc, 0, v50, vcc
	v_and_b32_e32 v5, s39, v9
	v_lshlrev_b32_e32 v15, 2, v11
	v_or_b32_e32 v5, 0x80000000, v5
	ds_bpermute_b32 v11, v15, v6
	v_and_b32_e32 v10, s38, v8
	v_ffbl_b32_e32 v5, v5
	v_add_u32_e32 v5, 32, v5
	v_ffbl_b32_e32 v10, v10
	v_min_u32_e32 v5, v10, v5
	v_cmp_lt_u32_e32 vcc, v14, v5
	s_waitcnt lgkmcnt(0)
	v_cndmask_b32_e32 v10, 0, v11, vcc
	v_cmp_gt_u32_e32 vcc, 62, v14
	v_add_u32_e32 v6, v10, v6
	v_cndmask_b32_e64 v10, 0, 1, vcc
	v_lshlrev_b32_e32 v10, 1, v10
	v_add_lshl_u32 v16, v10, v50, 2
	ds_bpermute_b32 v10, v16, v6
	v_add_u32_e32 v17, 2, v14
	v_cmp_le_u32_e32 vcc, v17, v5
	v_add_u32_e32 v19, 4, v14
	v_add_u32_e32 v54, 8, v14
	s_waitcnt lgkmcnt(0)
	v_cndmask_b32_e32 v10, 0, v10, vcc
	v_cmp_gt_u32_e32 vcc, 60, v14
	v_add_u32_e32 v6, v6, v10
	v_cndmask_b32_e64 v10, 0, 1, vcc
	v_lshlrev_b32_e32 v10, 2, v10
	v_add_lshl_u32 v18, v10, v50, 2
	ds_bpermute_b32 v10, v18, v6
	v_cmp_le_u32_e32 vcc, v19, v5
	v_add_u32_e32 v57, 16, v14
	v_add_u32_e32 v59, 32, v14
	s_waitcnt lgkmcnt(0)
	v_cndmask_b32_e32 v10, 0, v10, vcc
	v_cmp_gt_u32_e32 vcc, 56, v14
	v_add_u32_e32 v6, v6, v10
	v_cndmask_b32_e64 v10, 0, 1, vcc
	v_lshlrev_b32_e32 v10, 3, v10
	v_add_lshl_u32 v53, v10, v50, 2
	ds_bpermute_b32 v10, v53, v6
	v_cmp_le_u32_e32 vcc, v54, v5
	s_waitcnt lgkmcnt(0)
	v_cndmask_b32_e32 v10, 0, v10, vcc
	v_cmp_gt_u32_e32 vcc, 48, v14
	v_add_u32_e32 v6, v6, v10
	v_cndmask_b32_e64 v10, 0, 1, vcc
	v_lshlrev_b32_e32 v10, 4, v10
	v_add_lshl_u32 v56, v10, v50, 2
	ds_bpermute_b32 v10, v56, v6
	v_cmp_le_u32_e32 vcc, v57, v5
	;; [unrolled: 9-line block ×3, first 2 shown]
	s_waitcnt lgkmcnt(0)
	v_cndmask_b32_e32 v5, 0, v10, vcc
	v_add_u32_e32 v6, v6, v5
	v_mov_b32_e32 v5, 0
	s_branch .LBB467_51
.LBB467_50:                             ;   in Loop: Header=BB467_51 Depth=1
	s_or_b64 exec, exec, s[38:39]
	v_cmp_eq_u16_sdwa s[38:39], v7, v3 src0_sel:BYTE_0 src1_sel:DWORD
	v_and_b32_e32 v10, s39, v9
	v_or_b32_e32 v10, 0x80000000, v10
	ds_bpermute_b32 v60, v15, v6
	v_and_b32_e32 v11, s38, v8
	v_ffbl_b32_e32 v10, v10
	v_add_u32_e32 v10, 32, v10
	v_ffbl_b32_e32 v11, v11
	v_min_u32_e32 v10, v11, v10
	v_cmp_lt_u32_e32 vcc, v14, v10
	s_waitcnt lgkmcnt(0)
	v_cndmask_b32_e32 v11, 0, v60, vcc
	v_add_u32_e32 v6, v11, v6
	ds_bpermute_b32 v11, v16, v6
	v_cmp_le_u32_e32 vcc, v17, v10
	v_subrev_u32_e32 v4, 64, v4
	s_waitcnt lgkmcnt(0)
	v_cndmask_b32_e32 v11, 0, v11, vcc
	v_add_u32_e32 v6, v6, v11
	ds_bpermute_b32 v11, v18, v6
	v_cmp_le_u32_e32 vcc, v19, v10
	s_waitcnt lgkmcnt(0)
	v_cndmask_b32_e32 v11, 0, v11, vcc
	v_add_u32_e32 v6, v6, v11
	ds_bpermute_b32 v11, v53, v6
	v_cmp_le_u32_e32 vcc, v54, v10
	;; [unrolled: 5-line block ×4, first 2 shown]
	s_waitcnt lgkmcnt(0)
	v_cndmask_b32_e32 v10, 0, v11, vcc
	v_add3_u32 v6, v10, v55, v6
.LBB467_51:                             ; =>This Loop Header: Depth=1
                                        ;     Child Loop BB467_54 Depth 2
	v_cmp_ne_u16_sdwa s[38:39], v7, v3 src0_sel:BYTE_0 src1_sel:DWORD
	v_cndmask_b32_e64 v7, 0, 1, s[38:39]
	;;#ASMSTART
	;;#ASMEND
	v_cmp_ne_u32_e32 vcc, 0, v7
	s_cmp_lg_u64 vcc, exec
	v_mov_b32_e32 v55, v6
	s_cbranch_scc1 .LBB467_56
; %bb.52:                               ;   in Loop: Header=BB467_51 Depth=1
	v_lshlrev_b64 v[6:7], 3, v[4:5]
	v_mov_b32_e32 v11, s35
	v_add_co_u32_e32 v10, vcc, s34, v6
	v_addc_co_u32_e32 v11, vcc, v11, v7, vcc
	global_load_dwordx2 v[6:7], v[10:11], off glc
	s_waitcnt vmcnt(0)
	v_cmp_eq_u16_sdwa s[40:41], v7, v5 src0_sel:BYTE_0 src1_sel:DWORD
	s_and_saveexec_b64 s[38:39], s[40:41]
	s_cbranch_execz .LBB467_50
; %bb.53:                               ;   in Loop: Header=BB467_51 Depth=1
	s_mov_b64 s[40:41], 0
.LBB467_54:                             ;   Parent Loop BB467_51 Depth=1
                                        ; =>  This Inner Loop Header: Depth=2
	global_load_dwordx2 v[6:7], v[10:11], off glc
	s_waitcnt vmcnt(0)
	v_cmp_ne_u16_sdwa s[44:45], v7, v5 src0_sel:BYTE_0 src1_sel:DWORD
	s_or_b64 s[40:41], s[44:45], s[40:41]
	s_andn2_b64 exec, exec, s[40:41]
	s_cbranch_execnz .LBB467_54
; %bb.55:                               ;   in Loop: Header=BB467_51 Depth=1
	s_or_b64 exec, exec, s[40:41]
	s_branch .LBB467_50
.LBB467_56:                             ;   in Loop: Header=BB467_51 Depth=1
                                        ; implicit-def: $vgpr6
                                        ; implicit-def: $vgpr7
	s_cbranch_execz .LBB467_51
; %bb.57:
	s_and_saveexec_b64 s[38:39], s[16:17]
	s_cbranch_execz .LBB467_59
; %bb.58:
	s_add_i32 s6, s6, 64
	s_mov_b32 s7, 0
	s_lshl_b64 s[6:7], s[6:7], 3
	s_add_u32 s6, s34, s6
	v_add_u32_e32 v4, v55, v2
	v_mov_b32_e32 v5, 2
	s_addc_u32 s7, s35, s7
	v_mov_b32_e32 v3, 0
	global_store_dwordx2 v3, v[4:5], s[6:7]
	s_movk_i32 s6, 0x3400
	v_add_u32_e64 v3, s6, 0
	ds_write2_b32 v3, v2, v55 offset1:2
.LBB467_59:
	s_or_b64 exec, exec, s[38:39]
	v_cmp_eq_u32_e32 vcc, 0, v0
	s_and_b64 exec, exec, vcc
	s_cbranch_execz .LBB467_61
; %bb.60:
	v_mov_b32_e32 v2, 0
	ds_write_b32 v2, v55 offset:12
.LBB467_61:
	s_or_b64 exec, exec, s[36:37]
	v_mov_b32_e32 v2, 0
	s_waitcnt lgkmcnt(0)
	s_barrier
	ds_read_b32 v2, v2 offset:12
	v_cndmask_b32_e64 v3, v13, v12, s[16:17]
	v_cmp_ne_u32_e32 vcc, 0, v0
	v_cndmask_b32_e32 v3, 0, v3, vcc
	s_movk_i32 s6, 0x3400
	s_waitcnt lgkmcnt(0)
	v_add_u32_e32 v2, v2, v3
	v_add_u32_e32 v3, v2, v41
	;; [unrolled: 1-line block ×8, first 2 shown]
	v_add_u32_e64 v12, s6, 0
	v_add_u32_e32 v10, v9, v39
	s_barrier
	ds_read2_b32 v[18:19], v12 offset1:2
	v_add_u32_e32 v11, v10, v47
	v_add_u32_e32 v12, v11, v48
	;; [unrolled: 1-line block ×4, first 2 shown]
	s_branch .LBB467_72
.LBB467_62:
                                        ; implicit-def: $vgpr19
                                        ; implicit-def: $vgpr2_vgpr3_vgpr4_vgpr5_vgpr6_vgpr7_vgpr8_vgpr9_vgpr10_vgpr11_vgpr12_vgpr13_vgpr14_vgpr15_vgpr16_vgpr17
	s_cbranch_execz .LBB467_72
; %bb.63:
	s_nop 0
	v_mov_b32_dpp v2, v52 row_shr:1 row_mask:0xf bank_mask:0xf
	v_cndmask_b32_e64 v2, v2, 0, s[14:15]
	v_add_u32_e32 v2, v2, v52
	s_nop 1
	v_mov_b32_dpp v3, v2 row_shr:2 row_mask:0xf bank_mask:0xf
	v_cndmask_b32_e64 v3, 0, v3, s[12:13]
	v_add_u32_e32 v2, v2, v3
	;; [unrolled: 4-line block ×4, first 2 shown]
	s_nop 1
	v_mov_b32_dpp v3, v2 row_bcast:15 row_mask:0xf bank_mask:0xf
	v_cndmask_b32_e64 v3, v3, 0, s[18:19]
	v_add_u32_e32 v2, v2, v3
	s_nop 1
	v_mov_b32_dpp v3, v2 row_bcast:31 row_mask:0xf bank_mask:0xf
	v_cndmask_b32_e64 v3, 0, v3, s[2:3]
	v_add_u32_e32 v2, v2, v3
	s_and_saveexec_b64 s[2:3], s[4:5]
	s_cbranch_execz .LBB467_65
; %bb.64:
	v_lshlrev_b32_e32 v3, 2, v51
	ds_write_b32 v3, v2
.LBB467_65:
	s_or_b64 exec, exec, s[2:3]
	v_cmp_gt_u32_e32 vcc, 4, v0
	s_waitcnt lgkmcnt(0)
	s_barrier
	s_and_saveexec_b64 s[2:3], vcc
	s_cbranch_execz .LBB467_67
; %bb.66:
	ds_read_b32 v3, v1
	v_and_b32_e32 v4, 3, v50
	v_cmp_ne_u32_e32 vcc, 0, v4
	s_waitcnt lgkmcnt(0)
	v_mov_b32_dpp v5, v3 row_shr:1 row_mask:0xf bank_mask:0xf
	v_cndmask_b32_e32 v5, 0, v5, vcc
	v_add_u32_e32 v3, v5, v3
	v_cmp_lt_u32_e32 vcc, 1, v4
	s_nop 0
	v_mov_b32_dpp v5, v3 row_shr:2 row_mask:0xf bank_mask:0xf
	v_cndmask_b32_e32 v4, 0, v5, vcc
	v_add_u32_e32 v3, v3, v4
	ds_write_b32 v1, v3
.LBB467_67:
	s_or_b64 exec, exec, s[2:3]
	v_cmp_lt_u32_e32 vcc, 63, v0
	v_mov_b32_e32 v4, 0
	v_mov_b32_e32 v3, 0
	s_waitcnt lgkmcnt(0)
	s_barrier
	s_and_saveexec_b64 s[2:3], vcc
	s_cbranch_execz .LBB467_69
; %bb.68:
	v_lshl_add_u32 v3, v51, 2, -4
	ds_read_b32 v3, v3
.LBB467_69:
	s_or_b64 exec, exec, s[2:3]
	v_add_u32_e32 v5, -1, v50
	v_and_b32_e32 v6, 64, v50
	v_cmp_lt_i32_e32 vcc, v5, v6
	v_cndmask_b32_e32 v5, v5, v50, vcc
	s_waitcnt lgkmcnt(0)
	v_add_u32_e32 v2, v3, v2
	v_lshlrev_b32_e32 v5, 2, v5
	ds_bpermute_b32 v2, v5, v2
	ds_read_b32 v18, v4 offset:12
	v_cmp_eq_u32_e32 vcc, 0, v0
	s_and_saveexec_b64 s[2:3], vcc
	s_cbranch_execz .LBB467_71
; %bb.70:
	v_mov_b32_e32 v4, 0
	v_mov_b32_e32 v19, 2
	s_waitcnt lgkmcnt(0)
	global_store_dwordx2 v4, v[18:19], s[34:35] offset:512
.LBB467_71:
	s_or_b64 exec, exec, s[2:3]
	v_cmp_eq_u32_e64 s[2:3], 0, v50
	s_waitcnt lgkmcnt(1)
	v_cndmask_b32_e64 v2, v2, v3, s[2:3]
	v_cndmask_b32_e64 v2, v2, 0, vcc
	v_add_u32_e32 v3, v2, v41
	v_add_u32_e32 v4, v3, v42
	;; [unrolled: 1-line block ×11, first 2 shown]
	v_mov_b32_e32 v19, 0
	v_add_u32_e32 v14, v13, v38
	s_waitcnt lgkmcnt(0)
	s_barrier
.LBB467_72:
	s_waitcnt lgkmcnt(0)
	v_add_u32_e32 v33, v18, v33
	v_sub_u32_e32 v2, v2, v19
	v_and_b32_e32 v42, 1, v37
	v_sub_u32_e32 v41, v33, v2
	v_cmp_eq_u32_e32 vcc, 1, v42
	v_cndmask_b32_e32 v2, v41, v2, vcc
	v_lshlrev_b32_e32 v2, 2, v2
	v_lshrrev_b32_e32 v17, 8, v37
	ds_write_b32 v2, v30
	v_sub_u32_e32 v2, v3, v19
	v_sub_u32_e32 v3, v33, v2
	v_and_b32_e32 v17, 1, v17
	v_add_u32_e32 v3, 1, v3
	v_cmp_eq_u32_e32 vcc, 1, v17
	v_cndmask_b32_e32 v2, v3, v2, vcc
	v_lshlrev_b32_e32 v2, 2, v2
	ds_write_b32 v2, v31
	v_sub_u32_e32 v2, v4, v19
	v_mov_b32_e32 v4, 1
	v_sub_u32_e32 v3, v33, v2
	v_and_b32_sdwa v17, v4, v37 dst_sel:DWORD dst_unused:UNUSED_PAD src0_sel:DWORD src1_sel:WORD_1
	v_add_u32_e32 v3, 2, v3
	v_cmp_eq_u32_e32 vcc, 1, v17
	v_cndmask_b32_e32 v2, v3, v2, vcc
	v_lshlrev_b32_e32 v2, 2, v2
	ds_write_b32 v2, v28
	v_sub_u32_e32 v2, v5, v19
	v_sub_u32_e32 v3, v33, v2
	v_and_b32_e32 v5, 1, v40
	v_add_u32_e32 v3, 3, v3
	v_cmp_eq_u32_e32 vcc, 1, v5
	v_cndmask_b32_e32 v2, v3, v2, vcc
	v_lshlrev_b32_e32 v2, 2, v2
	ds_write_b32 v2, v29
	v_sub_u32_e32 v2, v6, v19
	v_sub_u32_e32 v3, v33, v2
	v_and_b32_e32 v5, 1, v36
	v_add_u32_e32 v3, 4, v3
	v_cmp_eq_u32_e32 vcc, 1, v5
	v_cndmask_b32_e32 v2, v3, v2, vcc
	v_lshlrev_b32_e32 v2, 2, v2
	v_lshrrev_b32_e32 v16, 8, v36
	ds_write_b32 v2, v26
	v_sub_u32_e32 v2, v7, v19
	v_sub_u32_e32 v3, v33, v2
	v_and_b32_e32 v5, 1, v16
	v_add_u32_e32 v3, 5, v3
	v_cmp_eq_u32_e32 vcc, 1, v5
	v_cndmask_b32_e32 v2, v3, v2, vcc
	v_lshlrev_b32_e32 v2, 2, v2
	ds_write_b32 v2, v27
	v_sub_u32_e32 v2, v8, v19
	v_sub_u32_e32 v3, v33, v2
	v_and_b32_sdwa v5, v4, v36 dst_sel:DWORD dst_unused:UNUSED_PAD src0_sel:DWORD src1_sel:WORD_1
	v_add_u32_e32 v3, 6, v3
	v_cmp_eq_u32_e32 vcc, 1, v5
	v_cndmask_b32_e32 v2, v3, v2, vcc
	v_lshlrev_b32_e32 v2, 2, v2
	ds_write_b32 v2, v24
	v_sub_u32_e32 v2, v9, v19
	v_sub_u32_e32 v3, v33, v2
	v_and_b32_e32 v5, 1, v39
	v_add_u32_e32 v3, 7, v3
	v_cmp_eq_u32_e32 vcc, 1, v5
	v_cndmask_b32_e32 v2, v3, v2, vcc
	v_lshlrev_b32_e32 v2, 2, v2
	ds_write_b32 v2, v25
	v_sub_u32_e32 v2, v10, v19
	v_sub_u32_e32 v3, v33, v2
	v_and_b32_e32 v5, 1, v35
	v_add_u32_e32 v3, 8, v3
	v_cmp_eq_u32_e32 vcc, 1, v5
	v_cndmask_b32_e32 v2, v3, v2, vcc
	v_lshlrev_b32_e32 v2, 2, v2
	v_lshrrev_b32_e32 v15, 8, v35
	ds_write_b32 v2, v22
	v_sub_u32_e32 v2, v11, v19
	v_sub_u32_e32 v3, v33, v2
	v_and_b32_e32 v5, 1, v15
	v_add_u32_e32 v3, 9, v3
	v_cmp_eq_u32_e32 vcc, 1, v5
	v_cndmask_b32_e32 v2, v3, v2, vcc
	v_lshlrev_b32_e32 v2, 2, v2
	ds_write_b32 v2, v23
	v_sub_u32_e32 v2, v12, v19
	v_sub_u32_e32 v3, v33, v2
	v_and_b32_sdwa v4, v4, v35 dst_sel:DWORD dst_unused:UNUSED_PAD src0_sel:DWORD src1_sel:WORD_1
	v_add_u32_e32 v3, 10, v3
	v_cmp_eq_u32_e32 vcc, 1, v4
	v_cndmask_b32_e32 v2, v3, v2, vcc
	v_lshlrev_b32_e32 v2, 2, v2
	ds_write_b32 v2, v20
	v_sub_u32_e32 v2, v13, v19
	v_sub_u32_e32 v3, v33, v2
	v_and_b32_e32 v4, 1, v38
	v_add_u32_e32 v3, 11, v3
	v_cmp_eq_u32_e32 vcc, 1, v4
	v_cndmask_b32_e32 v2, v3, v2, vcc
	v_lshlrev_b32_e32 v2, 2, v2
	ds_write_b32 v2, v21
	v_sub_u32_e32 v2, v14, v19
	v_sub_u32_e32 v3, v33, v2
	v_and_b32_e32 v4, 1, v34
	v_add_u32_e32 v3, 12, v3
	v_cmp_eq_u32_e32 vcc, 1, v4
	v_cndmask_b32_e32 v2, v3, v2, vcc
	s_add_u32 s2, s28, s42
	v_lshlrev_b32_e32 v2, 2, v2
	s_addc_u32 s3, s29, 0
	ds_write_b32 v2, v32
	s_waitcnt lgkmcnt(0)
	s_barrier
	ds_read2st64_b32 v[12:13], v1 offset1:4
	ds_read2st64_b32 v[10:11], v1 offset0:8 offset1:12
	ds_read2st64_b32 v[8:9], v1 offset0:16 offset1:20
	;; [unrolled: 1-line block ×5, first 2 shown]
	ds_read_b32 v17, v1 offset:12288
	v_mov_b32_e32 v14, s31
	v_add_co_u32_e32 v1, vcc, s30, v19
	s_sub_u32 s2, s26, s2
	v_addc_co_u32_e32 v16, vcc, 0, v14, vcc
	s_subb_u32 s3, s27, s3
	v_mov_b32_e32 v14, s3
	v_add_co_u32_e32 v15, vcc, s2, v18
	v_addc_co_u32_e32 v14, vcc, 0, v14, vcc
	s_and_b64 vcc, exec, s[0:1]
	v_add_co_u32_e64 v19, s[0:1], v15, v1
	v_or_b32_e32 v32, 0x100, v0
	v_or_b32_e32 v31, 0x200, v0
	;; [unrolled: 1-line block ×12, first 2 shown]
	v_addc_co_u32_e64 v21, s[0:1], v14, v16, s[0:1]
	s_cbranch_vccnz .LBB467_126
; %bb.73:
	v_cmp_ge_u32_e32 vcc, v0, v18
                                        ; implicit-def: $vgpr14_vgpr15
	s_and_saveexec_b64 s[0:1], vcc
	s_xor_b64 s[0:1], exec, s[0:1]
; %bb.74:
	v_not_b32_e32 v14, v0
	v_ashrrev_i32_e32 v15, 31, v14
	v_add_co_u32_e32 v14, vcc, v19, v14
	v_addc_co_u32_e32 v15, vcc, v21, v15, vcc
; %bb.75:
	s_andn2_saveexec_b64 s[0:1], s[0:1]
; %bb.76:
	v_add_co_u32_e32 v14, vcc, v1, v0
	v_addc_co_u32_e32 v15, vcc, 0, v16, vcc
; %bb.77:
	s_or_b64 exec, exec, s[0:1]
	v_lshlrev_b64 v[14:15], 2, v[14:15]
	v_mov_b32_e32 v33, s25
	v_add_co_u32_e32 v14, vcc, s24, v14
	v_addc_co_u32_e32 v15, vcc, v33, v15, vcc
	v_cmp_ge_u32_e32 vcc, v32, v18
	s_waitcnt lgkmcnt(6)
	global_store_dword v[14:15], v12, off
                                        ; implicit-def: $vgpr14_vgpr15
	s_and_saveexec_b64 s[0:1], vcc
	s_xor_b64 s[0:1], exec, s[0:1]
; %bb.78:
	v_xor_b32_e32 v14, 0xfffffeff, v0
	v_ashrrev_i32_e32 v15, 31, v14
	v_add_co_u32_e32 v14, vcc, v19, v14
	v_addc_co_u32_e32 v15, vcc, v21, v15, vcc
; %bb.79:
	s_andn2_saveexec_b64 s[0:1], s[0:1]
; %bb.80:
	v_add_co_u32_e32 v14, vcc, v1, v32
	v_addc_co_u32_e32 v15, vcc, 0, v16, vcc
; %bb.81:
	s_or_b64 exec, exec, s[0:1]
	v_lshlrev_b64 v[14:15], 2, v[14:15]
	v_mov_b32_e32 v33, s25
	v_add_co_u32_e32 v14, vcc, s24, v14
	v_addc_co_u32_e32 v15, vcc, v33, v15, vcc
	v_cmp_ge_u32_e32 vcc, v31, v18
	global_store_dword v[14:15], v13, off
                                        ; implicit-def: $vgpr14_vgpr15
	s_and_saveexec_b64 s[0:1], vcc
	s_xor_b64 s[0:1], exec, s[0:1]
; %bb.82:
	v_xor_b32_e32 v14, 0xfffffdff, v0
	v_ashrrev_i32_e32 v15, 31, v14
	v_add_co_u32_e32 v14, vcc, v19, v14
	v_addc_co_u32_e32 v15, vcc, v21, v15, vcc
; %bb.83:
	s_andn2_saveexec_b64 s[0:1], s[0:1]
; %bb.84:
	v_add_co_u32_e32 v14, vcc, v1, v31
	v_addc_co_u32_e32 v15, vcc, 0, v16, vcc
; %bb.85:
	s_or_b64 exec, exec, s[0:1]
	v_lshlrev_b64 v[14:15], 2, v[14:15]
	v_mov_b32_e32 v33, s25
	v_add_co_u32_e32 v14, vcc, s24, v14
	v_addc_co_u32_e32 v15, vcc, v33, v15, vcc
	v_cmp_ge_u32_e32 vcc, v30, v18
	s_waitcnt lgkmcnt(5)
	global_store_dword v[14:15], v10, off
                                        ; implicit-def: $vgpr14_vgpr15
	s_and_saveexec_b64 s[0:1], vcc
	s_xor_b64 s[0:1], exec, s[0:1]
; %bb.86:
	v_xor_b32_e32 v14, 0xfffffcff, v0
	v_ashrrev_i32_e32 v15, 31, v14
	v_add_co_u32_e32 v14, vcc, v19, v14
	v_addc_co_u32_e32 v15, vcc, v21, v15, vcc
; %bb.87:
	s_andn2_saveexec_b64 s[0:1], s[0:1]
; %bb.88:
	v_add_co_u32_e32 v14, vcc, v1, v30
	v_addc_co_u32_e32 v15, vcc, 0, v16, vcc
; %bb.89:
	s_or_b64 exec, exec, s[0:1]
	v_lshlrev_b64 v[14:15], 2, v[14:15]
	v_mov_b32_e32 v33, s25
	v_add_co_u32_e32 v14, vcc, s24, v14
	v_addc_co_u32_e32 v15, vcc, v33, v15, vcc
	v_cmp_ge_u32_e32 vcc, v29, v18
	global_store_dword v[14:15], v11, off
                                        ; implicit-def: $vgpr14_vgpr15
	s_and_saveexec_b64 s[0:1], vcc
	s_xor_b64 s[0:1], exec, s[0:1]
; %bb.90:
	v_xor_b32_e32 v14, 0xfffffbff, v0
	;; [unrolled: 43-line block ×6, first 2 shown]
	v_ashrrev_i32_e32 v15, 31, v14
	v_add_co_u32_e32 v14, vcc, v19, v14
	v_addc_co_u32_e32 v15, vcc, v21, v15, vcc
; %bb.123:
	s_andn2_saveexec_b64 s[0:1], s[0:1]
; %bb.124:
	v_add_co_u32_e32 v14, vcc, v1, v20
	v_addc_co_u32_e32 v15, vcc, 0, v16, vcc
; %bb.125:
	s_or_b64 exec, exec, s[0:1]
	s_mov_b64 s[0:1], -1
	s_branch .LBB467_206
.LBB467_126:
	s_mov_b64 s[0:1], 0
                                        ; implicit-def: $vgpr14_vgpr15
	s_cbranch_execz .LBB467_206
; %bb.127:
	v_cmp_gt_u32_e32 vcc, s33, v0
	s_and_saveexec_b64 s[2:3], vcc
	s_cbranch_execz .LBB467_163
; %bb.128:
	v_cmp_ge_u32_e32 vcc, v0, v18
                                        ; implicit-def: $vgpr14_vgpr15
	s_and_saveexec_b64 s[4:5], vcc
	s_xor_b64 s[4:5], exec, s[4:5]
; %bb.129:
	v_not_b32_e32 v14, v0
	v_ashrrev_i32_e32 v15, 31, v14
	v_add_co_u32_e32 v14, vcc, v19, v14
	v_addc_co_u32_e32 v15, vcc, v21, v15, vcc
; %bb.130:
	s_andn2_saveexec_b64 s[4:5], s[4:5]
; %bb.131:
	v_add_co_u32_e32 v14, vcc, v1, v0
	v_addc_co_u32_e32 v15, vcc, 0, v16, vcc
; %bb.132:
	s_or_b64 exec, exec, s[4:5]
	v_lshlrev_b64 v[14:15], 2, v[14:15]
	v_mov_b32_e32 v33, s25
	v_add_co_u32_e32 v14, vcc, s24, v14
	v_addc_co_u32_e32 v15, vcc, v33, v15, vcc
	s_waitcnt lgkmcnt(6)
	global_store_dword v[14:15], v12, off
	s_or_b64 exec, exec, s[2:3]
	v_cmp_gt_u32_e32 vcc, s33, v32
	s_and_saveexec_b64 s[2:3], vcc
	s_cbranch_execnz .LBB467_164
.LBB467_133:
	s_or_b64 exec, exec, s[2:3]
	v_cmp_gt_u32_e32 vcc, s33, v31
	s_and_saveexec_b64 s[2:3], vcc
	s_cbranch_execz .LBB467_169
.LBB467_134:
	v_cmp_ge_u32_e32 vcc, v31, v18
                                        ; implicit-def: $vgpr12_vgpr13
	s_and_saveexec_b64 s[4:5], vcc
	s_xor_b64 s[4:5], exec, s[4:5]
	s_cbranch_execz .LBB467_136
; %bb.135:
	s_waitcnt lgkmcnt(6)
	v_xor_b32_e32 v12, 0xfffffdff, v0
	v_ashrrev_i32_e32 v13, 31, v12
	v_add_co_u32_e32 v12, vcc, v19, v12
	v_addc_co_u32_e32 v13, vcc, v21, v13, vcc
                                        ; implicit-def: $vgpr31
.LBB467_136:
	s_andn2_saveexec_b64 s[4:5], s[4:5]
	s_cbranch_execz .LBB467_138
; %bb.137:
	s_waitcnt lgkmcnt(6)
	v_add_co_u32_e32 v12, vcc, v1, v31
	v_addc_co_u32_e32 v13, vcc, 0, v16, vcc
.LBB467_138:
	s_or_b64 exec, exec, s[4:5]
	s_waitcnt lgkmcnt(6)
	v_lshlrev_b64 v[12:13], 2, v[12:13]
	v_mov_b32_e32 v14, s25
	v_add_co_u32_e32 v12, vcc, s24, v12
	v_addc_co_u32_e32 v13, vcc, v14, v13, vcc
	s_waitcnt lgkmcnt(5)
	global_store_dword v[12:13], v10, off
	s_or_b64 exec, exec, s[2:3]
	v_cmp_gt_u32_e32 vcc, s33, v30
	s_and_saveexec_b64 s[2:3], vcc
	s_cbranch_execnz .LBB467_170
.LBB467_139:
	s_or_b64 exec, exec, s[2:3]
	v_cmp_gt_u32_e32 vcc, s33, v29
	s_and_saveexec_b64 s[2:3], vcc
	s_cbranch_execz .LBB467_175
.LBB467_140:
	v_cmp_ge_u32_e32 vcc, v29, v18
                                        ; implicit-def: $vgpr10_vgpr11
	s_and_saveexec_b64 s[4:5], vcc
	s_xor_b64 s[4:5], exec, s[4:5]
	s_cbranch_execz .LBB467_142
; %bb.141:
	s_waitcnt lgkmcnt(5)
	v_xor_b32_e32 v10, 0xfffffbff, v0
	v_ashrrev_i32_e32 v11, 31, v10
	v_add_co_u32_e32 v10, vcc, v19, v10
	v_addc_co_u32_e32 v11, vcc, v21, v11, vcc
                                        ; implicit-def: $vgpr29
.LBB467_142:
	s_andn2_saveexec_b64 s[4:5], s[4:5]
	s_cbranch_execz .LBB467_144
; %bb.143:
	s_waitcnt lgkmcnt(5)
	v_add_co_u32_e32 v10, vcc, v1, v29
	v_addc_co_u32_e32 v11, vcc, 0, v16, vcc
.LBB467_144:
	s_or_b64 exec, exec, s[4:5]
	s_waitcnt lgkmcnt(5)
	v_lshlrev_b64 v[10:11], 2, v[10:11]
	v_mov_b32_e32 v12, s25
	v_add_co_u32_e32 v10, vcc, s24, v10
	v_addc_co_u32_e32 v11, vcc, v12, v11, vcc
	s_waitcnt lgkmcnt(4)
	global_store_dword v[10:11], v8, off
	s_or_b64 exec, exec, s[2:3]
	v_cmp_gt_u32_e32 vcc, s33, v28
	s_and_saveexec_b64 s[2:3], vcc
	s_cbranch_execnz .LBB467_176
.LBB467_145:
	s_or_b64 exec, exec, s[2:3]
	v_cmp_gt_u32_e32 vcc, s33, v27
	s_and_saveexec_b64 s[2:3], vcc
	s_cbranch_execz .LBB467_181
.LBB467_146:
	v_cmp_ge_u32_e32 vcc, v27, v18
                                        ; implicit-def: $vgpr8_vgpr9
	s_and_saveexec_b64 s[4:5], vcc
	s_xor_b64 s[4:5], exec, s[4:5]
	s_cbranch_execz .LBB467_148
; %bb.147:
	s_waitcnt lgkmcnt(4)
	v_xor_b32_e32 v8, 0xfffff9ff, v0
	v_ashrrev_i32_e32 v9, 31, v8
	v_add_co_u32_e32 v8, vcc, v19, v8
	v_addc_co_u32_e32 v9, vcc, v21, v9, vcc
                                        ; implicit-def: $vgpr27
.LBB467_148:
	s_andn2_saveexec_b64 s[4:5], s[4:5]
	s_cbranch_execz .LBB467_150
; %bb.149:
	s_waitcnt lgkmcnt(4)
	v_add_co_u32_e32 v8, vcc, v1, v27
	v_addc_co_u32_e32 v9, vcc, 0, v16, vcc
.LBB467_150:
	s_or_b64 exec, exec, s[4:5]
	s_waitcnt lgkmcnt(4)
	v_lshlrev_b64 v[8:9], 2, v[8:9]
	v_mov_b32_e32 v10, s25
	v_add_co_u32_e32 v8, vcc, s24, v8
	v_addc_co_u32_e32 v9, vcc, v10, v9, vcc
	s_waitcnt lgkmcnt(3)
	global_store_dword v[8:9], v6, off
	s_or_b64 exec, exec, s[2:3]
	v_cmp_gt_u32_e32 vcc, s33, v26
	s_and_saveexec_b64 s[2:3], vcc
	s_cbranch_execnz .LBB467_182
.LBB467_151:
	s_or_b64 exec, exec, s[2:3]
	v_cmp_gt_u32_e32 vcc, s33, v25
	s_and_saveexec_b64 s[2:3], vcc
	s_cbranch_execz .LBB467_187
.LBB467_152:
	v_cmp_ge_u32_e32 vcc, v25, v18
                                        ; implicit-def: $vgpr6_vgpr7
	s_and_saveexec_b64 s[4:5], vcc
	s_xor_b64 s[4:5], exec, s[4:5]
	s_cbranch_execz .LBB467_154
; %bb.153:
	s_waitcnt lgkmcnt(3)
	v_xor_b32_e32 v6, 0xfffff7ff, v0
	v_ashrrev_i32_e32 v7, 31, v6
	v_add_co_u32_e32 v6, vcc, v19, v6
	v_addc_co_u32_e32 v7, vcc, v21, v7, vcc
                                        ; implicit-def: $vgpr25
.LBB467_154:
	s_andn2_saveexec_b64 s[4:5], s[4:5]
	s_cbranch_execz .LBB467_156
; %bb.155:
	s_waitcnt lgkmcnt(3)
	v_add_co_u32_e32 v6, vcc, v1, v25
	v_addc_co_u32_e32 v7, vcc, 0, v16, vcc
.LBB467_156:
	s_or_b64 exec, exec, s[4:5]
	s_waitcnt lgkmcnt(3)
	v_lshlrev_b64 v[6:7], 2, v[6:7]
	v_mov_b32_e32 v8, s25
	v_add_co_u32_e32 v6, vcc, s24, v6
	v_addc_co_u32_e32 v7, vcc, v8, v7, vcc
	s_waitcnt lgkmcnt(2)
	global_store_dword v[6:7], v4, off
	s_or_b64 exec, exec, s[2:3]
	v_cmp_gt_u32_e32 vcc, s33, v24
	s_and_saveexec_b64 s[2:3], vcc
	s_cbranch_execnz .LBB467_188
.LBB467_157:
	s_or_b64 exec, exec, s[2:3]
	v_cmp_gt_u32_e32 vcc, s33, v23
	s_and_saveexec_b64 s[2:3], vcc
	s_cbranch_execz .LBB467_193
.LBB467_158:
	v_cmp_ge_u32_e32 vcc, v23, v18
                                        ; implicit-def: $vgpr4_vgpr5
	s_and_saveexec_b64 s[4:5], vcc
	s_xor_b64 s[4:5], exec, s[4:5]
	s_cbranch_execz .LBB467_160
; %bb.159:
	s_waitcnt lgkmcnt(2)
	v_xor_b32_e32 v4, 0xfffff5ff, v0
	v_ashrrev_i32_e32 v5, 31, v4
	v_add_co_u32_e32 v4, vcc, v19, v4
	v_addc_co_u32_e32 v5, vcc, v21, v5, vcc
                                        ; implicit-def: $vgpr23
.LBB467_160:
	s_andn2_saveexec_b64 s[4:5], s[4:5]
	s_cbranch_execz .LBB467_162
; %bb.161:
	s_waitcnt lgkmcnt(2)
	v_add_co_u32_e32 v4, vcc, v1, v23
	v_addc_co_u32_e32 v5, vcc, 0, v16, vcc
.LBB467_162:
	s_or_b64 exec, exec, s[4:5]
	s_waitcnt lgkmcnt(2)
	v_lshlrev_b64 v[4:5], 2, v[4:5]
	v_mov_b32_e32 v6, s25
	v_add_co_u32_e32 v4, vcc, s24, v4
	v_addc_co_u32_e32 v5, vcc, v6, v5, vcc
	s_waitcnt lgkmcnt(1)
	global_store_dword v[4:5], v2, off
	s_or_b64 exec, exec, s[2:3]
	v_cmp_gt_u32_e32 vcc, s33, v22
	s_and_saveexec_b64 s[2:3], vcc
	s_cbranch_execz .LBB467_199
	s_branch .LBB467_194
.LBB467_163:
	s_or_b64 exec, exec, s[2:3]
	v_cmp_gt_u32_e32 vcc, s33, v32
	s_and_saveexec_b64 s[2:3], vcc
	s_cbranch_execz .LBB467_133
.LBB467_164:
	v_cmp_ge_u32_e32 vcc, v32, v18
                                        ; implicit-def: $vgpr14_vgpr15
	s_and_saveexec_b64 s[4:5], vcc
	s_xor_b64 s[4:5], exec, s[4:5]
	s_cbranch_execz .LBB467_166
; %bb.165:
	s_waitcnt lgkmcnt(6)
	v_xor_b32_e32 v12, 0xfffffeff, v0
	v_ashrrev_i32_e32 v15, 31, v12
	v_add_co_u32_e32 v14, vcc, v19, v12
	v_addc_co_u32_e32 v15, vcc, v21, v15, vcc
                                        ; implicit-def: $vgpr32
.LBB467_166:
	s_andn2_saveexec_b64 s[4:5], s[4:5]
; %bb.167:
	v_add_co_u32_e32 v14, vcc, v1, v32
	v_addc_co_u32_e32 v15, vcc, 0, v16, vcc
; %bb.168:
	s_or_b64 exec, exec, s[4:5]
	v_lshlrev_b64 v[14:15], 2, v[14:15]
	s_waitcnt lgkmcnt(6)
	v_mov_b32_e32 v12, s25
	v_add_co_u32_e32 v14, vcc, s24, v14
	v_addc_co_u32_e32 v15, vcc, v12, v15, vcc
	global_store_dword v[14:15], v13, off
	s_or_b64 exec, exec, s[2:3]
	v_cmp_gt_u32_e32 vcc, s33, v31
	s_and_saveexec_b64 s[2:3], vcc
	s_cbranch_execnz .LBB467_134
.LBB467_169:
	s_or_b64 exec, exec, s[2:3]
	v_cmp_gt_u32_e32 vcc, s33, v30
	s_and_saveexec_b64 s[2:3], vcc
	s_cbranch_execz .LBB467_139
.LBB467_170:
	v_cmp_ge_u32_e32 vcc, v30, v18
                                        ; implicit-def: $vgpr12_vgpr13
	s_and_saveexec_b64 s[4:5], vcc
	s_xor_b64 s[4:5], exec, s[4:5]
	s_cbranch_execz .LBB467_172
; %bb.171:
	s_waitcnt lgkmcnt(5)
	v_xor_b32_e32 v10, 0xfffffcff, v0
	v_ashrrev_i32_e32 v13, 31, v10
	v_add_co_u32_e32 v12, vcc, v19, v10
	v_addc_co_u32_e32 v13, vcc, v21, v13, vcc
                                        ; implicit-def: $vgpr30
.LBB467_172:
	s_andn2_saveexec_b64 s[4:5], s[4:5]
	s_cbranch_execz .LBB467_174
; %bb.173:
	s_waitcnt lgkmcnt(6)
	v_add_co_u32_e32 v12, vcc, v1, v30
	v_addc_co_u32_e32 v13, vcc, 0, v16, vcc
.LBB467_174:
	s_or_b64 exec, exec, s[4:5]
	s_waitcnt lgkmcnt(6)
	v_lshlrev_b64 v[12:13], 2, v[12:13]
	s_waitcnt lgkmcnt(5)
	v_mov_b32_e32 v10, s25
	v_add_co_u32_e32 v12, vcc, s24, v12
	v_addc_co_u32_e32 v13, vcc, v10, v13, vcc
	global_store_dword v[12:13], v11, off
	s_or_b64 exec, exec, s[2:3]
	v_cmp_gt_u32_e32 vcc, s33, v29
	s_and_saveexec_b64 s[2:3], vcc
	s_cbranch_execnz .LBB467_140
.LBB467_175:
	s_or_b64 exec, exec, s[2:3]
	v_cmp_gt_u32_e32 vcc, s33, v28
	s_and_saveexec_b64 s[2:3], vcc
	s_cbranch_execz .LBB467_145
.LBB467_176:
	v_cmp_ge_u32_e32 vcc, v28, v18
                                        ; implicit-def: $vgpr10_vgpr11
	s_and_saveexec_b64 s[4:5], vcc
	s_xor_b64 s[4:5], exec, s[4:5]
	s_cbranch_execz .LBB467_178
; %bb.177:
	s_waitcnt lgkmcnt(4)
	v_xor_b32_e32 v8, 0xfffffaff, v0
	v_ashrrev_i32_e32 v11, 31, v8
	v_add_co_u32_e32 v10, vcc, v19, v8
	v_addc_co_u32_e32 v11, vcc, v21, v11, vcc
                                        ; implicit-def: $vgpr28
.LBB467_178:
	s_andn2_saveexec_b64 s[4:5], s[4:5]
	s_cbranch_execz .LBB467_180
; %bb.179:
	s_waitcnt lgkmcnt(5)
	v_add_co_u32_e32 v10, vcc, v1, v28
	v_addc_co_u32_e32 v11, vcc, 0, v16, vcc
.LBB467_180:
	s_or_b64 exec, exec, s[4:5]
	s_waitcnt lgkmcnt(5)
	v_lshlrev_b64 v[10:11], 2, v[10:11]
	s_waitcnt lgkmcnt(4)
	v_mov_b32_e32 v8, s25
	v_add_co_u32_e32 v10, vcc, s24, v10
	v_addc_co_u32_e32 v11, vcc, v8, v11, vcc
	global_store_dword v[10:11], v9, off
	s_or_b64 exec, exec, s[2:3]
	v_cmp_gt_u32_e32 vcc, s33, v27
	s_and_saveexec_b64 s[2:3], vcc
	s_cbranch_execnz .LBB467_146
.LBB467_181:
	s_or_b64 exec, exec, s[2:3]
	v_cmp_gt_u32_e32 vcc, s33, v26
	s_and_saveexec_b64 s[2:3], vcc
	s_cbranch_execz .LBB467_151
.LBB467_182:
	v_cmp_ge_u32_e32 vcc, v26, v18
                                        ; implicit-def: $vgpr8_vgpr9
	s_and_saveexec_b64 s[4:5], vcc
	s_xor_b64 s[4:5], exec, s[4:5]
	s_cbranch_execz .LBB467_184
; %bb.183:
	s_waitcnt lgkmcnt(3)
	v_xor_b32_e32 v6, 0xfffff8ff, v0
	v_ashrrev_i32_e32 v9, 31, v6
	v_add_co_u32_e32 v8, vcc, v19, v6
	v_addc_co_u32_e32 v9, vcc, v21, v9, vcc
                                        ; implicit-def: $vgpr26
.LBB467_184:
	s_andn2_saveexec_b64 s[4:5], s[4:5]
	s_cbranch_execz .LBB467_186
; %bb.185:
	s_waitcnt lgkmcnt(4)
	v_add_co_u32_e32 v8, vcc, v1, v26
	v_addc_co_u32_e32 v9, vcc, 0, v16, vcc
.LBB467_186:
	s_or_b64 exec, exec, s[4:5]
	s_waitcnt lgkmcnt(4)
	v_lshlrev_b64 v[8:9], 2, v[8:9]
	s_waitcnt lgkmcnt(3)
	v_mov_b32_e32 v6, s25
	v_add_co_u32_e32 v8, vcc, s24, v8
	v_addc_co_u32_e32 v9, vcc, v6, v9, vcc
	global_store_dword v[8:9], v7, off
	s_or_b64 exec, exec, s[2:3]
	v_cmp_gt_u32_e32 vcc, s33, v25
	s_and_saveexec_b64 s[2:3], vcc
	s_cbranch_execnz .LBB467_152
.LBB467_187:
	s_or_b64 exec, exec, s[2:3]
	v_cmp_gt_u32_e32 vcc, s33, v24
	s_and_saveexec_b64 s[2:3], vcc
	s_cbranch_execz .LBB467_157
.LBB467_188:
	v_cmp_ge_u32_e32 vcc, v24, v18
                                        ; implicit-def: $vgpr6_vgpr7
	s_and_saveexec_b64 s[4:5], vcc
	s_xor_b64 s[4:5], exec, s[4:5]
	s_cbranch_execz .LBB467_190
; %bb.189:
	s_waitcnt lgkmcnt(2)
	v_xor_b32_e32 v4, 0xfffff6ff, v0
	v_ashrrev_i32_e32 v7, 31, v4
	v_add_co_u32_e32 v6, vcc, v19, v4
	v_addc_co_u32_e32 v7, vcc, v21, v7, vcc
                                        ; implicit-def: $vgpr24
.LBB467_190:
	s_andn2_saveexec_b64 s[4:5], s[4:5]
	s_cbranch_execz .LBB467_192
; %bb.191:
	s_waitcnt lgkmcnt(3)
	v_add_co_u32_e32 v6, vcc, v1, v24
	v_addc_co_u32_e32 v7, vcc, 0, v16, vcc
.LBB467_192:
	s_or_b64 exec, exec, s[4:5]
	s_waitcnt lgkmcnt(3)
	v_lshlrev_b64 v[6:7], 2, v[6:7]
	s_waitcnt lgkmcnt(2)
	v_mov_b32_e32 v4, s25
	v_add_co_u32_e32 v6, vcc, s24, v6
	v_addc_co_u32_e32 v7, vcc, v4, v7, vcc
	global_store_dword v[6:7], v5, off
	s_or_b64 exec, exec, s[2:3]
	v_cmp_gt_u32_e32 vcc, s33, v23
	s_and_saveexec_b64 s[2:3], vcc
	s_cbranch_execnz .LBB467_158
.LBB467_193:
	s_or_b64 exec, exec, s[2:3]
	v_cmp_gt_u32_e32 vcc, s33, v22
	s_and_saveexec_b64 s[2:3], vcc
	s_cbranch_execz .LBB467_199
.LBB467_194:
	v_cmp_ge_u32_e32 vcc, v22, v18
                                        ; implicit-def: $vgpr4_vgpr5
	s_and_saveexec_b64 s[4:5], vcc
	s_xor_b64 s[4:5], exec, s[4:5]
	s_cbranch_execz .LBB467_196
; %bb.195:
	s_waitcnt lgkmcnt(1)
	v_xor_b32_e32 v2, 0xfffff4ff, v0
	v_ashrrev_i32_e32 v5, 31, v2
	v_add_co_u32_e32 v4, vcc, v19, v2
	v_addc_co_u32_e32 v5, vcc, v21, v5, vcc
                                        ; implicit-def: $vgpr22
.LBB467_196:
	s_andn2_saveexec_b64 s[4:5], s[4:5]
	s_cbranch_execz .LBB467_198
; %bb.197:
	s_waitcnt lgkmcnt(2)
	v_add_co_u32_e32 v4, vcc, v1, v22
	v_addc_co_u32_e32 v5, vcc, 0, v16, vcc
.LBB467_198:
	s_or_b64 exec, exec, s[4:5]
	s_waitcnt lgkmcnt(2)
	v_lshlrev_b64 v[4:5], 2, v[4:5]
	s_waitcnt lgkmcnt(1)
	v_mov_b32_e32 v2, s25
	v_add_co_u32_e32 v4, vcc, s24, v4
	v_addc_co_u32_e32 v5, vcc, v2, v5, vcc
	global_store_dword v[4:5], v3, off
.LBB467_199:
	s_or_b64 exec, exec, s[2:3]
	v_cmp_gt_u32_e32 vcc, s33, v20
                                        ; implicit-def: $vgpr14_vgpr15
	s_and_saveexec_b64 s[2:3], vcc
	s_cbranch_execz .LBB467_205
; %bb.200:
	v_cmp_ge_u32_e32 vcc, v20, v18
                                        ; implicit-def: $vgpr14_vgpr15
	s_and_saveexec_b64 s[4:5], vcc
	s_xor_b64 s[4:5], exec, s[4:5]
	s_cbranch_execz .LBB467_202
; %bb.201:
	s_waitcnt lgkmcnt(1)
	v_xor_b32_e32 v2, 0xfffff3ff, v0
	v_ashrrev_i32_e32 v3, 31, v2
	v_add_co_u32_e32 v14, vcc, v19, v2
	v_addc_co_u32_e32 v15, vcc, v21, v3, vcc
                                        ; implicit-def: $vgpr20
.LBB467_202:
	s_andn2_saveexec_b64 s[4:5], s[4:5]
; %bb.203:
	v_add_co_u32_e32 v14, vcc, v1, v20
	v_addc_co_u32_e32 v15, vcc, 0, v16, vcc
; %bb.204:
	s_or_b64 exec, exec, s[4:5]
	s_or_b64 s[0:1], s[0:1], exec
.LBB467_205:
	s_or_b64 exec, exec, s[2:3]
.LBB467_206:
	s_and_saveexec_b64 s[2:3], s[0:1]
	s_cbranch_execz .LBB467_208
; %bb.207:
	s_waitcnt lgkmcnt(1)
	v_lshlrev_b64 v[2:3], 2, v[14:15]
	v_mov_b32_e32 v4, s25
	v_add_co_u32_e32 v2, vcc, s24, v2
	v_addc_co_u32_e32 v3, vcc, v4, v3, vcc
	s_waitcnt lgkmcnt(0)
	global_store_dword v[2:3], v17, off
.LBB467_208:
	s_or_b64 exec, exec, s[2:3]
	v_cmp_eq_u32_e32 vcc, 0, v0
	s_and_b64 s[0:1], vcc, s[22:23]
	s_and_saveexec_b64 s[2:3], s[0:1]
	s_cbranch_execz .LBB467_210
; %bb.209:
	v_add_co_u32_e32 v0, vcc, v1, v18
	s_waitcnt lgkmcnt(1)
	v_mov_b32_e32 v2, 0
	v_addc_co_u32_e32 v1, vcc, 0, v16, vcc
	global_store_dwordx2 v2, v[0:1], s[20:21]
.LBB467_210:
	s_endpgm
	.section	.rodata,"a",@progbits
	.p2align	6, 0x0
	.amdhsa_kernel _ZN7rocprim17ROCPRIM_400000_NS6detail17trampoline_kernelINS0_13select_configILj256ELj13ELNS0_17block_load_methodE3ELS4_3ELS4_3ELNS0_20block_scan_algorithmE0ELj4294967295EEENS1_25partition_config_selectorILNS1_17partition_subalgoE3EjNS0_10empty_typeEbEEZZNS1_14partition_implILS8_3ELb0ES6_jNS0_17counting_iteratorIjlEEPS9_SE_NS0_5tupleIJPjSE_EEENSF_IJSE_SE_EEES9_SG_JZNS1_25segmented_radix_sort_implINS0_14default_configELb1EPKiPiPKlPlN2at6native12_GLOBAL__N_18offset_tEEE10hipError_tPvRmT1_PNSt15iterator_traitsISY_E10value_typeET2_T3_PNSZ_IS14_E10value_typeET4_jRbjT5_S1A_jjP12ihipStream_tbEUljE_EEESV_SW_SX_S14_S18_S1A_T6_T7_T9_mT8_S1C_bDpT10_ENKUlT_T0_E_clISt17integral_constantIbLb0EES1P_EEDaS1K_S1L_EUlS1K_E_NS1_11comp_targetILNS1_3genE4ELNS1_11target_archE910ELNS1_3gpuE8ELNS1_3repE0EEENS1_30default_config_static_selectorELNS0_4arch9wavefront6targetE1EEEvSY_
		.amdhsa_group_segment_fixed_size 13324
		.amdhsa_private_segment_fixed_size 0
		.amdhsa_kernarg_size 144
		.amdhsa_user_sgpr_count 6
		.amdhsa_user_sgpr_private_segment_buffer 1
		.amdhsa_user_sgpr_dispatch_ptr 0
		.amdhsa_user_sgpr_queue_ptr 0
		.amdhsa_user_sgpr_kernarg_segment_ptr 1
		.amdhsa_user_sgpr_dispatch_id 0
		.amdhsa_user_sgpr_flat_scratch_init 0
		.amdhsa_user_sgpr_kernarg_preload_length 0
		.amdhsa_user_sgpr_kernarg_preload_offset 0
		.amdhsa_user_sgpr_private_segment_size 0
		.amdhsa_uses_dynamic_stack 0
		.amdhsa_system_sgpr_private_segment_wavefront_offset 0
		.amdhsa_system_sgpr_workgroup_id_x 1
		.amdhsa_system_sgpr_workgroup_id_y 0
		.amdhsa_system_sgpr_workgroup_id_z 0
		.amdhsa_system_sgpr_workgroup_info 0
		.amdhsa_system_vgpr_workitem_id 0
		.amdhsa_next_free_vgpr 61
		.amdhsa_next_free_sgpr 46
		.amdhsa_accum_offset 64
		.amdhsa_reserve_vcc 1
		.amdhsa_reserve_flat_scratch 0
		.amdhsa_float_round_mode_32 0
		.amdhsa_float_round_mode_16_64 0
		.amdhsa_float_denorm_mode_32 3
		.amdhsa_float_denorm_mode_16_64 3
		.amdhsa_dx10_clamp 1
		.amdhsa_ieee_mode 1
		.amdhsa_fp16_overflow 0
		.amdhsa_tg_split 0
		.amdhsa_exception_fp_ieee_invalid_op 0
		.amdhsa_exception_fp_denorm_src 0
		.amdhsa_exception_fp_ieee_div_zero 0
		.amdhsa_exception_fp_ieee_overflow 0
		.amdhsa_exception_fp_ieee_underflow 0
		.amdhsa_exception_fp_ieee_inexact 0
		.amdhsa_exception_int_div_zero 0
	.end_amdhsa_kernel
	.section	.text._ZN7rocprim17ROCPRIM_400000_NS6detail17trampoline_kernelINS0_13select_configILj256ELj13ELNS0_17block_load_methodE3ELS4_3ELS4_3ELNS0_20block_scan_algorithmE0ELj4294967295EEENS1_25partition_config_selectorILNS1_17partition_subalgoE3EjNS0_10empty_typeEbEEZZNS1_14partition_implILS8_3ELb0ES6_jNS0_17counting_iteratorIjlEEPS9_SE_NS0_5tupleIJPjSE_EEENSF_IJSE_SE_EEES9_SG_JZNS1_25segmented_radix_sort_implINS0_14default_configELb1EPKiPiPKlPlN2at6native12_GLOBAL__N_18offset_tEEE10hipError_tPvRmT1_PNSt15iterator_traitsISY_E10value_typeET2_T3_PNSZ_IS14_E10value_typeET4_jRbjT5_S1A_jjP12ihipStream_tbEUljE_EEESV_SW_SX_S14_S18_S1A_T6_T7_T9_mT8_S1C_bDpT10_ENKUlT_T0_E_clISt17integral_constantIbLb0EES1P_EEDaS1K_S1L_EUlS1K_E_NS1_11comp_targetILNS1_3genE4ELNS1_11target_archE910ELNS1_3gpuE8ELNS1_3repE0EEENS1_30default_config_static_selectorELNS0_4arch9wavefront6targetE1EEEvSY_,"axG",@progbits,_ZN7rocprim17ROCPRIM_400000_NS6detail17trampoline_kernelINS0_13select_configILj256ELj13ELNS0_17block_load_methodE3ELS4_3ELS4_3ELNS0_20block_scan_algorithmE0ELj4294967295EEENS1_25partition_config_selectorILNS1_17partition_subalgoE3EjNS0_10empty_typeEbEEZZNS1_14partition_implILS8_3ELb0ES6_jNS0_17counting_iteratorIjlEEPS9_SE_NS0_5tupleIJPjSE_EEENSF_IJSE_SE_EEES9_SG_JZNS1_25segmented_radix_sort_implINS0_14default_configELb1EPKiPiPKlPlN2at6native12_GLOBAL__N_18offset_tEEE10hipError_tPvRmT1_PNSt15iterator_traitsISY_E10value_typeET2_T3_PNSZ_IS14_E10value_typeET4_jRbjT5_S1A_jjP12ihipStream_tbEUljE_EEESV_SW_SX_S14_S18_S1A_T6_T7_T9_mT8_S1C_bDpT10_ENKUlT_T0_E_clISt17integral_constantIbLb0EES1P_EEDaS1K_S1L_EUlS1K_E_NS1_11comp_targetILNS1_3genE4ELNS1_11target_archE910ELNS1_3gpuE8ELNS1_3repE0EEENS1_30default_config_static_selectorELNS0_4arch9wavefront6targetE1EEEvSY_,comdat
.Lfunc_end467:
	.size	_ZN7rocprim17ROCPRIM_400000_NS6detail17trampoline_kernelINS0_13select_configILj256ELj13ELNS0_17block_load_methodE3ELS4_3ELS4_3ELNS0_20block_scan_algorithmE0ELj4294967295EEENS1_25partition_config_selectorILNS1_17partition_subalgoE3EjNS0_10empty_typeEbEEZZNS1_14partition_implILS8_3ELb0ES6_jNS0_17counting_iteratorIjlEEPS9_SE_NS0_5tupleIJPjSE_EEENSF_IJSE_SE_EEES9_SG_JZNS1_25segmented_radix_sort_implINS0_14default_configELb1EPKiPiPKlPlN2at6native12_GLOBAL__N_18offset_tEEE10hipError_tPvRmT1_PNSt15iterator_traitsISY_E10value_typeET2_T3_PNSZ_IS14_E10value_typeET4_jRbjT5_S1A_jjP12ihipStream_tbEUljE_EEESV_SW_SX_S14_S18_S1A_T6_T7_T9_mT8_S1C_bDpT10_ENKUlT_T0_E_clISt17integral_constantIbLb0EES1P_EEDaS1K_S1L_EUlS1K_E_NS1_11comp_targetILNS1_3genE4ELNS1_11target_archE910ELNS1_3gpuE8ELNS1_3repE0EEENS1_30default_config_static_selectorELNS0_4arch9wavefront6targetE1EEEvSY_, .Lfunc_end467-_ZN7rocprim17ROCPRIM_400000_NS6detail17trampoline_kernelINS0_13select_configILj256ELj13ELNS0_17block_load_methodE3ELS4_3ELS4_3ELNS0_20block_scan_algorithmE0ELj4294967295EEENS1_25partition_config_selectorILNS1_17partition_subalgoE3EjNS0_10empty_typeEbEEZZNS1_14partition_implILS8_3ELb0ES6_jNS0_17counting_iteratorIjlEEPS9_SE_NS0_5tupleIJPjSE_EEENSF_IJSE_SE_EEES9_SG_JZNS1_25segmented_radix_sort_implINS0_14default_configELb1EPKiPiPKlPlN2at6native12_GLOBAL__N_18offset_tEEE10hipError_tPvRmT1_PNSt15iterator_traitsISY_E10value_typeET2_T3_PNSZ_IS14_E10value_typeET4_jRbjT5_S1A_jjP12ihipStream_tbEUljE_EEESV_SW_SX_S14_S18_S1A_T6_T7_T9_mT8_S1C_bDpT10_ENKUlT_T0_E_clISt17integral_constantIbLb0EES1P_EEDaS1K_S1L_EUlS1K_E_NS1_11comp_targetILNS1_3genE4ELNS1_11target_archE910ELNS1_3gpuE8ELNS1_3repE0EEENS1_30default_config_static_selectorELNS0_4arch9wavefront6targetE1EEEvSY_
                                        ; -- End function
	.section	.AMDGPU.csdata,"",@progbits
; Kernel info:
; codeLenInByte = 7676
; NumSgprs: 50
; NumVgprs: 61
; NumAgprs: 0
; TotalNumVgprs: 61
; ScratchSize: 0
; MemoryBound: 0
; FloatMode: 240
; IeeeMode: 1
; LDSByteSize: 13324 bytes/workgroup (compile time only)
; SGPRBlocks: 6
; VGPRBlocks: 7
; NumSGPRsForWavesPerEU: 50
; NumVGPRsForWavesPerEU: 61
; AccumOffset: 64
; Occupancy: 4
; WaveLimiterHint : 0
; COMPUTE_PGM_RSRC2:SCRATCH_EN: 0
; COMPUTE_PGM_RSRC2:USER_SGPR: 6
; COMPUTE_PGM_RSRC2:TRAP_HANDLER: 0
; COMPUTE_PGM_RSRC2:TGID_X_EN: 1
; COMPUTE_PGM_RSRC2:TGID_Y_EN: 0
; COMPUTE_PGM_RSRC2:TGID_Z_EN: 0
; COMPUTE_PGM_RSRC2:TIDIG_COMP_CNT: 0
; COMPUTE_PGM_RSRC3_GFX90A:ACCUM_OFFSET: 15
; COMPUTE_PGM_RSRC3_GFX90A:TG_SPLIT: 0
	.section	.text._ZN7rocprim17ROCPRIM_400000_NS6detail17trampoline_kernelINS0_13select_configILj256ELj13ELNS0_17block_load_methodE3ELS4_3ELS4_3ELNS0_20block_scan_algorithmE0ELj4294967295EEENS1_25partition_config_selectorILNS1_17partition_subalgoE3EjNS0_10empty_typeEbEEZZNS1_14partition_implILS8_3ELb0ES6_jNS0_17counting_iteratorIjlEEPS9_SE_NS0_5tupleIJPjSE_EEENSF_IJSE_SE_EEES9_SG_JZNS1_25segmented_radix_sort_implINS0_14default_configELb1EPKiPiPKlPlN2at6native12_GLOBAL__N_18offset_tEEE10hipError_tPvRmT1_PNSt15iterator_traitsISY_E10value_typeET2_T3_PNSZ_IS14_E10value_typeET4_jRbjT5_S1A_jjP12ihipStream_tbEUljE_EEESV_SW_SX_S14_S18_S1A_T6_T7_T9_mT8_S1C_bDpT10_ENKUlT_T0_E_clISt17integral_constantIbLb0EES1P_EEDaS1K_S1L_EUlS1K_E_NS1_11comp_targetILNS1_3genE3ELNS1_11target_archE908ELNS1_3gpuE7ELNS1_3repE0EEENS1_30default_config_static_selectorELNS0_4arch9wavefront6targetE1EEEvSY_,"axG",@progbits,_ZN7rocprim17ROCPRIM_400000_NS6detail17trampoline_kernelINS0_13select_configILj256ELj13ELNS0_17block_load_methodE3ELS4_3ELS4_3ELNS0_20block_scan_algorithmE0ELj4294967295EEENS1_25partition_config_selectorILNS1_17partition_subalgoE3EjNS0_10empty_typeEbEEZZNS1_14partition_implILS8_3ELb0ES6_jNS0_17counting_iteratorIjlEEPS9_SE_NS0_5tupleIJPjSE_EEENSF_IJSE_SE_EEES9_SG_JZNS1_25segmented_radix_sort_implINS0_14default_configELb1EPKiPiPKlPlN2at6native12_GLOBAL__N_18offset_tEEE10hipError_tPvRmT1_PNSt15iterator_traitsISY_E10value_typeET2_T3_PNSZ_IS14_E10value_typeET4_jRbjT5_S1A_jjP12ihipStream_tbEUljE_EEESV_SW_SX_S14_S18_S1A_T6_T7_T9_mT8_S1C_bDpT10_ENKUlT_T0_E_clISt17integral_constantIbLb0EES1P_EEDaS1K_S1L_EUlS1K_E_NS1_11comp_targetILNS1_3genE3ELNS1_11target_archE908ELNS1_3gpuE7ELNS1_3repE0EEENS1_30default_config_static_selectorELNS0_4arch9wavefront6targetE1EEEvSY_,comdat
	.globl	_ZN7rocprim17ROCPRIM_400000_NS6detail17trampoline_kernelINS0_13select_configILj256ELj13ELNS0_17block_load_methodE3ELS4_3ELS4_3ELNS0_20block_scan_algorithmE0ELj4294967295EEENS1_25partition_config_selectorILNS1_17partition_subalgoE3EjNS0_10empty_typeEbEEZZNS1_14partition_implILS8_3ELb0ES6_jNS0_17counting_iteratorIjlEEPS9_SE_NS0_5tupleIJPjSE_EEENSF_IJSE_SE_EEES9_SG_JZNS1_25segmented_radix_sort_implINS0_14default_configELb1EPKiPiPKlPlN2at6native12_GLOBAL__N_18offset_tEEE10hipError_tPvRmT1_PNSt15iterator_traitsISY_E10value_typeET2_T3_PNSZ_IS14_E10value_typeET4_jRbjT5_S1A_jjP12ihipStream_tbEUljE_EEESV_SW_SX_S14_S18_S1A_T6_T7_T9_mT8_S1C_bDpT10_ENKUlT_T0_E_clISt17integral_constantIbLb0EES1P_EEDaS1K_S1L_EUlS1K_E_NS1_11comp_targetILNS1_3genE3ELNS1_11target_archE908ELNS1_3gpuE7ELNS1_3repE0EEENS1_30default_config_static_selectorELNS0_4arch9wavefront6targetE1EEEvSY_ ; -- Begin function _ZN7rocprim17ROCPRIM_400000_NS6detail17trampoline_kernelINS0_13select_configILj256ELj13ELNS0_17block_load_methodE3ELS4_3ELS4_3ELNS0_20block_scan_algorithmE0ELj4294967295EEENS1_25partition_config_selectorILNS1_17partition_subalgoE3EjNS0_10empty_typeEbEEZZNS1_14partition_implILS8_3ELb0ES6_jNS0_17counting_iteratorIjlEEPS9_SE_NS0_5tupleIJPjSE_EEENSF_IJSE_SE_EEES9_SG_JZNS1_25segmented_radix_sort_implINS0_14default_configELb1EPKiPiPKlPlN2at6native12_GLOBAL__N_18offset_tEEE10hipError_tPvRmT1_PNSt15iterator_traitsISY_E10value_typeET2_T3_PNSZ_IS14_E10value_typeET4_jRbjT5_S1A_jjP12ihipStream_tbEUljE_EEESV_SW_SX_S14_S18_S1A_T6_T7_T9_mT8_S1C_bDpT10_ENKUlT_T0_E_clISt17integral_constantIbLb0EES1P_EEDaS1K_S1L_EUlS1K_E_NS1_11comp_targetILNS1_3genE3ELNS1_11target_archE908ELNS1_3gpuE7ELNS1_3repE0EEENS1_30default_config_static_selectorELNS0_4arch9wavefront6targetE1EEEvSY_
	.p2align	8
	.type	_ZN7rocprim17ROCPRIM_400000_NS6detail17trampoline_kernelINS0_13select_configILj256ELj13ELNS0_17block_load_methodE3ELS4_3ELS4_3ELNS0_20block_scan_algorithmE0ELj4294967295EEENS1_25partition_config_selectorILNS1_17partition_subalgoE3EjNS0_10empty_typeEbEEZZNS1_14partition_implILS8_3ELb0ES6_jNS0_17counting_iteratorIjlEEPS9_SE_NS0_5tupleIJPjSE_EEENSF_IJSE_SE_EEES9_SG_JZNS1_25segmented_radix_sort_implINS0_14default_configELb1EPKiPiPKlPlN2at6native12_GLOBAL__N_18offset_tEEE10hipError_tPvRmT1_PNSt15iterator_traitsISY_E10value_typeET2_T3_PNSZ_IS14_E10value_typeET4_jRbjT5_S1A_jjP12ihipStream_tbEUljE_EEESV_SW_SX_S14_S18_S1A_T6_T7_T9_mT8_S1C_bDpT10_ENKUlT_T0_E_clISt17integral_constantIbLb0EES1P_EEDaS1K_S1L_EUlS1K_E_NS1_11comp_targetILNS1_3genE3ELNS1_11target_archE908ELNS1_3gpuE7ELNS1_3repE0EEENS1_30default_config_static_selectorELNS0_4arch9wavefront6targetE1EEEvSY_,@function
_ZN7rocprim17ROCPRIM_400000_NS6detail17trampoline_kernelINS0_13select_configILj256ELj13ELNS0_17block_load_methodE3ELS4_3ELS4_3ELNS0_20block_scan_algorithmE0ELj4294967295EEENS1_25partition_config_selectorILNS1_17partition_subalgoE3EjNS0_10empty_typeEbEEZZNS1_14partition_implILS8_3ELb0ES6_jNS0_17counting_iteratorIjlEEPS9_SE_NS0_5tupleIJPjSE_EEENSF_IJSE_SE_EEES9_SG_JZNS1_25segmented_radix_sort_implINS0_14default_configELb1EPKiPiPKlPlN2at6native12_GLOBAL__N_18offset_tEEE10hipError_tPvRmT1_PNSt15iterator_traitsISY_E10value_typeET2_T3_PNSZ_IS14_E10value_typeET4_jRbjT5_S1A_jjP12ihipStream_tbEUljE_EEESV_SW_SX_S14_S18_S1A_T6_T7_T9_mT8_S1C_bDpT10_ENKUlT_T0_E_clISt17integral_constantIbLb0EES1P_EEDaS1K_S1L_EUlS1K_E_NS1_11comp_targetILNS1_3genE3ELNS1_11target_archE908ELNS1_3gpuE7ELNS1_3repE0EEENS1_30default_config_static_selectorELNS0_4arch9wavefront6targetE1EEEvSY_: ; @_ZN7rocprim17ROCPRIM_400000_NS6detail17trampoline_kernelINS0_13select_configILj256ELj13ELNS0_17block_load_methodE3ELS4_3ELS4_3ELNS0_20block_scan_algorithmE0ELj4294967295EEENS1_25partition_config_selectorILNS1_17partition_subalgoE3EjNS0_10empty_typeEbEEZZNS1_14partition_implILS8_3ELb0ES6_jNS0_17counting_iteratorIjlEEPS9_SE_NS0_5tupleIJPjSE_EEENSF_IJSE_SE_EEES9_SG_JZNS1_25segmented_radix_sort_implINS0_14default_configELb1EPKiPiPKlPlN2at6native12_GLOBAL__N_18offset_tEEE10hipError_tPvRmT1_PNSt15iterator_traitsISY_E10value_typeET2_T3_PNSZ_IS14_E10value_typeET4_jRbjT5_S1A_jjP12ihipStream_tbEUljE_EEESV_SW_SX_S14_S18_S1A_T6_T7_T9_mT8_S1C_bDpT10_ENKUlT_T0_E_clISt17integral_constantIbLb0EES1P_EEDaS1K_S1L_EUlS1K_E_NS1_11comp_targetILNS1_3genE3ELNS1_11target_archE908ELNS1_3gpuE7ELNS1_3repE0EEENS1_30default_config_static_selectorELNS0_4arch9wavefront6targetE1EEEvSY_
; %bb.0:
	.section	.rodata,"a",@progbits
	.p2align	6, 0x0
	.amdhsa_kernel _ZN7rocprim17ROCPRIM_400000_NS6detail17trampoline_kernelINS0_13select_configILj256ELj13ELNS0_17block_load_methodE3ELS4_3ELS4_3ELNS0_20block_scan_algorithmE0ELj4294967295EEENS1_25partition_config_selectorILNS1_17partition_subalgoE3EjNS0_10empty_typeEbEEZZNS1_14partition_implILS8_3ELb0ES6_jNS0_17counting_iteratorIjlEEPS9_SE_NS0_5tupleIJPjSE_EEENSF_IJSE_SE_EEES9_SG_JZNS1_25segmented_radix_sort_implINS0_14default_configELb1EPKiPiPKlPlN2at6native12_GLOBAL__N_18offset_tEEE10hipError_tPvRmT1_PNSt15iterator_traitsISY_E10value_typeET2_T3_PNSZ_IS14_E10value_typeET4_jRbjT5_S1A_jjP12ihipStream_tbEUljE_EEESV_SW_SX_S14_S18_S1A_T6_T7_T9_mT8_S1C_bDpT10_ENKUlT_T0_E_clISt17integral_constantIbLb0EES1P_EEDaS1K_S1L_EUlS1K_E_NS1_11comp_targetILNS1_3genE3ELNS1_11target_archE908ELNS1_3gpuE7ELNS1_3repE0EEENS1_30default_config_static_selectorELNS0_4arch9wavefront6targetE1EEEvSY_
		.amdhsa_group_segment_fixed_size 0
		.amdhsa_private_segment_fixed_size 0
		.amdhsa_kernarg_size 144
		.amdhsa_user_sgpr_count 6
		.amdhsa_user_sgpr_private_segment_buffer 1
		.amdhsa_user_sgpr_dispatch_ptr 0
		.amdhsa_user_sgpr_queue_ptr 0
		.amdhsa_user_sgpr_kernarg_segment_ptr 1
		.amdhsa_user_sgpr_dispatch_id 0
		.amdhsa_user_sgpr_flat_scratch_init 0
		.amdhsa_user_sgpr_kernarg_preload_length 0
		.amdhsa_user_sgpr_kernarg_preload_offset 0
		.amdhsa_user_sgpr_private_segment_size 0
		.amdhsa_uses_dynamic_stack 0
		.amdhsa_system_sgpr_private_segment_wavefront_offset 0
		.amdhsa_system_sgpr_workgroup_id_x 1
		.amdhsa_system_sgpr_workgroup_id_y 0
		.amdhsa_system_sgpr_workgroup_id_z 0
		.amdhsa_system_sgpr_workgroup_info 0
		.amdhsa_system_vgpr_workitem_id 0
		.amdhsa_next_free_vgpr 1
		.amdhsa_next_free_sgpr 0
		.amdhsa_accum_offset 4
		.amdhsa_reserve_vcc 0
		.amdhsa_reserve_flat_scratch 0
		.amdhsa_float_round_mode_32 0
		.amdhsa_float_round_mode_16_64 0
		.amdhsa_float_denorm_mode_32 3
		.amdhsa_float_denorm_mode_16_64 3
		.amdhsa_dx10_clamp 1
		.amdhsa_ieee_mode 1
		.amdhsa_fp16_overflow 0
		.amdhsa_tg_split 0
		.amdhsa_exception_fp_ieee_invalid_op 0
		.amdhsa_exception_fp_denorm_src 0
		.amdhsa_exception_fp_ieee_div_zero 0
		.amdhsa_exception_fp_ieee_overflow 0
		.amdhsa_exception_fp_ieee_underflow 0
		.amdhsa_exception_fp_ieee_inexact 0
		.amdhsa_exception_int_div_zero 0
	.end_amdhsa_kernel
	.section	.text._ZN7rocprim17ROCPRIM_400000_NS6detail17trampoline_kernelINS0_13select_configILj256ELj13ELNS0_17block_load_methodE3ELS4_3ELS4_3ELNS0_20block_scan_algorithmE0ELj4294967295EEENS1_25partition_config_selectorILNS1_17partition_subalgoE3EjNS0_10empty_typeEbEEZZNS1_14partition_implILS8_3ELb0ES6_jNS0_17counting_iteratorIjlEEPS9_SE_NS0_5tupleIJPjSE_EEENSF_IJSE_SE_EEES9_SG_JZNS1_25segmented_radix_sort_implINS0_14default_configELb1EPKiPiPKlPlN2at6native12_GLOBAL__N_18offset_tEEE10hipError_tPvRmT1_PNSt15iterator_traitsISY_E10value_typeET2_T3_PNSZ_IS14_E10value_typeET4_jRbjT5_S1A_jjP12ihipStream_tbEUljE_EEESV_SW_SX_S14_S18_S1A_T6_T7_T9_mT8_S1C_bDpT10_ENKUlT_T0_E_clISt17integral_constantIbLb0EES1P_EEDaS1K_S1L_EUlS1K_E_NS1_11comp_targetILNS1_3genE3ELNS1_11target_archE908ELNS1_3gpuE7ELNS1_3repE0EEENS1_30default_config_static_selectorELNS0_4arch9wavefront6targetE1EEEvSY_,"axG",@progbits,_ZN7rocprim17ROCPRIM_400000_NS6detail17trampoline_kernelINS0_13select_configILj256ELj13ELNS0_17block_load_methodE3ELS4_3ELS4_3ELNS0_20block_scan_algorithmE0ELj4294967295EEENS1_25partition_config_selectorILNS1_17partition_subalgoE3EjNS0_10empty_typeEbEEZZNS1_14partition_implILS8_3ELb0ES6_jNS0_17counting_iteratorIjlEEPS9_SE_NS0_5tupleIJPjSE_EEENSF_IJSE_SE_EEES9_SG_JZNS1_25segmented_radix_sort_implINS0_14default_configELb1EPKiPiPKlPlN2at6native12_GLOBAL__N_18offset_tEEE10hipError_tPvRmT1_PNSt15iterator_traitsISY_E10value_typeET2_T3_PNSZ_IS14_E10value_typeET4_jRbjT5_S1A_jjP12ihipStream_tbEUljE_EEESV_SW_SX_S14_S18_S1A_T6_T7_T9_mT8_S1C_bDpT10_ENKUlT_T0_E_clISt17integral_constantIbLb0EES1P_EEDaS1K_S1L_EUlS1K_E_NS1_11comp_targetILNS1_3genE3ELNS1_11target_archE908ELNS1_3gpuE7ELNS1_3repE0EEENS1_30default_config_static_selectorELNS0_4arch9wavefront6targetE1EEEvSY_,comdat
.Lfunc_end468:
	.size	_ZN7rocprim17ROCPRIM_400000_NS6detail17trampoline_kernelINS0_13select_configILj256ELj13ELNS0_17block_load_methodE3ELS4_3ELS4_3ELNS0_20block_scan_algorithmE0ELj4294967295EEENS1_25partition_config_selectorILNS1_17partition_subalgoE3EjNS0_10empty_typeEbEEZZNS1_14partition_implILS8_3ELb0ES6_jNS0_17counting_iteratorIjlEEPS9_SE_NS0_5tupleIJPjSE_EEENSF_IJSE_SE_EEES9_SG_JZNS1_25segmented_radix_sort_implINS0_14default_configELb1EPKiPiPKlPlN2at6native12_GLOBAL__N_18offset_tEEE10hipError_tPvRmT1_PNSt15iterator_traitsISY_E10value_typeET2_T3_PNSZ_IS14_E10value_typeET4_jRbjT5_S1A_jjP12ihipStream_tbEUljE_EEESV_SW_SX_S14_S18_S1A_T6_T7_T9_mT8_S1C_bDpT10_ENKUlT_T0_E_clISt17integral_constantIbLb0EES1P_EEDaS1K_S1L_EUlS1K_E_NS1_11comp_targetILNS1_3genE3ELNS1_11target_archE908ELNS1_3gpuE7ELNS1_3repE0EEENS1_30default_config_static_selectorELNS0_4arch9wavefront6targetE1EEEvSY_, .Lfunc_end468-_ZN7rocprim17ROCPRIM_400000_NS6detail17trampoline_kernelINS0_13select_configILj256ELj13ELNS0_17block_load_methodE3ELS4_3ELS4_3ELNS0_20block_scan_algorithmE0ELj4294967295EEENS1_25partition_config_selectorILNS1_17partition_subalgoE3EjNS0_10empty_typeEbEEZZNS1_14partition_implILS8_3ELb0ES6_jNS0_17counting_iteratorIjlEEPS9_SE_NS0_5tupleIJPjSE_EEENSF_IJSE_SE_EEES9_SG_JZNS1_25segmented_radix_sort_implINS0_14default_configELb1EPKiPiPKlPlN2at6native12_GLOBAL__N_18offset_tEEE10hipError_tPvRmT1_PNSt15iterator_traitsISY_E10value_typeET2_T3_PNSZ_IS14_E10value_typeET4_jRbjT5_S1A_jjP12ihipStream_tbEUljE_EEESV_SW_SX_S14_S18_S1A_T6_T7_T9_mT8_S1C_bDpT10_ENKUlT_T0_E_clISt17integral_constantIbLb0EES1P_EEDaS1K_S1L_EUlS1K_E_NS1_11comp_targetILNS1_3genE3ELNS1_11target_archE908ELNS1_3gpuE7ELNS1_3repE0EEENS1_30default_config_static_selectorELNS0_4arch9wavefront6targetE1EEEvSY_
                                        ; -- End function
	.section	.AMDGPU.csdata,"",@progbits
; Kernel info:
; codeLenInByte = 0
; NumSgprs: 4
; NumVgprs: 0
; NumAgprs: 0
; TotalNumVgprs: 0
; ScratchSize: 0
; MemoryBound: 0
; FloatMode: 240
; IeeeMode: 1
; LDSByteSize: 0 bytes/workgroup (compile time only)
; SGPRBlocks: 0
; VGPRBlocks: 0
; NumSGPRsForWavesPerEU: 4
; NumVGPRsForWavesPerEU: 1
; AccumOffset: 4
; Occupancy: 8
; WaveLimiterHint : 0
; COMPUTE_PGM_RSRC2:SCRATCH_EN: 0
; COMPUTE_PGM_RSRC2:USER_SGPR: 6
; COMPUTE_PGM_RSRC2:TRAP_HANDLER: 0
; COMPUTE_PGM_RSRC2:TGID_X_EN: 1
; COMPUTE_PGM_RSRC2:TGID_Y_EN: 0
; COMPUTE_PGM_RSRC2:TGID_Z_EN: 0
; COMPUTE_PGM_RSRC2:TIDIG_COMP_CNT: 0
; COMPUTE_PGM_RSRC3_GFX90A:ACCUM_OFFSET: 0
; COMPUTE_PGM_RSRC3_GFX90A:TG_SPLIT: 0
	.section	.text._ZN7rocprim17ROCPRIM_400000_NS6detail17trampoline_kernelINS0_13select_configILj256ELj13ELNS0_17block_load_methodE3ELS4_3ELS4_3ELNS0_20block_scan_algorithmE0ELj4294967295EEENS1_25partition_config_selectorILNS1_17partition_subalgoE3EjNS0_10empty_typeEbEEZZNS1_14partition_implILS8_3ELb0ES6_jNS0_17counting_iteratorIjlEEPS9_SE_NS0_5tupleIJPjSE_EEENSF_IJSE_SE_EEES9_SG_JZNS1_25segmented_radix_sort_implINS0_14default_configELb1EPKiPiPKlPlN2at6native12_GLOBAL__N_18offset_tEEE10hipError_tPvRmT1_PNSt15iterator_traitsISY_E10value_typeET2_T3_PNSZ_IS14_E10value_typeET4_jRbjT5_S1A_jjP12ihipStream_tbEUljE_EEESV_SW_SX_S14_S18_S1A_T6_T7_T9_mT8_S1C_bDpT10_ENKUlT_T0_E_clISt17integral_constantIbLb0EES1P_EEDaS1K_S1L_EUlS1K_E_NS1_11comp_targetILNS1_3genE2ELNS1_11target_archE906ELNS1_3gpuE6ELNS1_3repE0EEENS1_30default_config_static_selectorELNS0_4arch9wavefront6targetE1EEEvSY_,"axG",@progbits,_ZN7rocprim17ROCPRIM_400000_NS6detail17trampoline_kernelINS0_13select_configILj256ELj13ELNS0_17block_load_methodE3ELS4_3ELS4_3ELNS0_20block_scan_algorithmE0ELj4294967295EEENS1_25partition_config_selectorILNS1_17partition_subalgoE3EjNS0_10empty_typeEbEEZZNS1_14partition_implILS8_3ELb0ES6_jNS0_17counting_iteratorIjlEEPS9_SE_NS0_5tupleIJPjSE_EEENSF_IJSE_SE_EEES9_SG_JZNS1_25segmented_radix_sort_implINS0_14default_configELb1EPKiPiPKlPlN2at6native12_GLOBAL__N_18offset_tEEE10hipError_tPvRmT1_PNSt15iterator_traitsISY_E10value_typeET2_T3_PNSZ_IS14_E10value_typeET4_jRbjT5_S1A_jjP12ihipStream_tbEUljE_EEESV_SW_SX_S14_S18_S1A_T6_T7_T9_mT8_S1C_bDpT10_ENKUlT_T0_E_clISt17integral_constantIbLb0EES1P_EEDaS1K_S1L_EUlS1K_E_NS1_11comp_targetILNS1_3genE2ELNS1_11target_archE906ELNS1_3gpuE6ELNS1_3repE0EEENS1_30default_config_static_selectorELNS0_4arch9wavefront6targetE1EEEvSY_,comdat
	.globl	_ZN7rocprim17ROCPRIM_400000_NS6detail17trampoline_kernelINS0_13select_configILj256ELj13ELNS0_17block_load_methodE3ELS4_3ELS4_3ELNS0_20block_scan_algorithmE0ELj4294967295EEENS1_25partition_config_selectorILNS1_17partition_subalgoE3EjNS0_10empty_typeEbEEZZNS1_14partition_implILS8_3ELb0ES6_jNS0_17counting_iteratorIjlEEPS9_SE_NS0_5tupleIJPjSE_EEENSF_IJSE_SE_EEES9_SG_JZNS1_25segmented_radix_sort_implINS0_14default_configELb1EPKiPiPKlPlN2at6native12_GLOBAL__N_18offset_tEEE10hipError_tPvRmT1_PNSt15iterator_traitsISY_E10value_typeET2_T3_PNSZ_IS14_E10value_typeET4_jRbjT5_S1A_jjP12ihipStream_tbEUljE_EEESV_SW_SX_S14_S18_S1A_T6_T7_T9_mT8_S1C_bDpT10_ENKUlT_T0_E_clISt17integral_constantIbLb0EES1P_EEDaS1K_S1L_EUlS1K_E_NS1_11comp_targetILNS1_3genE2ELNS1_11target_archE906ELNS1_3gpuE6ELNS1_3repE0EEENS1_30default_config_static_selectorELNS0_4arch9wavefront6targetE1EEEvSY_ ; -- Begin function _ZN7rocprim17ROCPRIM_400000_NS6detail17trampoline_kernelINS0_13select_configILj256ELj13ELNS0_17block_load_methodE3ELS4_3ELS4_3ELNS0_20block_scan_algorithmE0ELj4294967295EEENS1_25partition_config_selectorILNS1_17partition_subalgoE3EjNS0_10empty_typeEbEEZZNS1_14partition_implILS8_3ELb0ES6_jNS0_17counting_iteratorIjlEEPS9_SE_NS0_5tupleIJPjSE_EEENSF_IJSE_SE_EEES9_SG_JZNS1_25segmented_radix_sort_implINS0_14default_configELb1EPKiPiPKlPlN2at6native12_GLOBAL__N_18offset_tEEE10hipError_tPvRmT1_PNSt15iterator_traitsISY_E10value_typeET2_T3_PNSZ_IS14_E10value_typeET4_jRbjT5_S1A_jjP12ihipStream_tbEUljE_EEESV_SW_SX_S14_S18_S1A_T6_T7_T9_mT8_S1C_bDpT10_ENKUlT_T0_E_clISt17integral_constantIbLb0EES1P_EEDaS1K_S1L_EUlS1K_E_NS1_11comp_targetILNS1_3genE2ELNS1_11target_archE906ELNS1_3gpuE6ELNS1_3repE0EEENS1_30default_config_static_selectorELNS0_4arch9wavefront6targetE1EEEvSY_
	.p2align	8
	.type	_ZN7rocprim17ROCPRIM_400000_NS6detail17trampoline_kernelINS0_13select_configILj256ELj13ELNS0_17block_load_methodE3ELS4_3ELS4_3ELNS0_20block_scan_algorithmE0ELj4294967295EEENS1_25partition_config_selectorILNS1_17partition_subalgoE3EjNS0_10empty_typeEbEEZZNS1_14partition_implILS8_3ELb0ES6_jNS0_17counting_iteratorIjlEEPS9_SE_NS0_5tupleIJPjSE_EEENSF_IJSE_SE_EEES9_SG_JZNS1_25segmented_radix_sort_implINS0_14default_configELb1EPKiPiPKlPlN2at6native12_GLOBAL__N_18offset_tEEE10hipError_tPvRmT1_PNSt15iterator_traitsISY_E10value_typeET2_T3_PNSZ_IS14_E10value_typeET4_jRbjT5_S1A_jjP12ihipStream_tbEUljE_EEESV_SW_SX_S14_S18_S1A_T6_T7_T9_mT8_S1C_bDpT10_ENKUlT_T0_E_clISt17integral_constantIbLb0EES1P_EEDaS1K_S1L_EUlS1K_E_NS1_11comp_targetILNS1_3genE2ELNS1_11target_archE906ELNS1_3gpuE6ELNS1_3repE0EEENS1_30default_config_static_selectorELNS0_4arch9wavefront6targetE1EEEvSY_,@function
_ZN7rocprim17ROCPRIM_400000_NS6detail17trampoline_kernelINS0_13select_configILj256ELj13ELNS0_17block_load_methodE3ELS4_3ELS4_3ELNS0_20block_scan_algorithmE0ELj4294967295EEENS1_25partition_config_selectorILNS1_17partition_subalgoE3EjNS0_10empty_typeEbEEZZNS1_14partition_implILS8_3ELb0ES6_jNS0_17counting_iteratorIjlEEPS9_SE_NS0_5tupleIJPjSE_EEENSF_IJSE_SE_EEES9_SG_JZNS1_25segmented_radix_sort_implINS0_14default_configELb1EPKiPiPKlPlN2at6native12_GLOBAL__N_18offset_tEEE10hipError_tPvRmT1_PNSt15iterator_traitsISY_E10value_typeET2_T3_PNSZ_IS14_E10value_typeET4_jRbjT5_S1A_jjP12ihipStream_tbEUljE_EEESV_SW_SX_S14_S18_S1A_T6_T7_T9_mT8_S1C_bDpT10_ENKUlT_T0_E_clISt17integral_constantIbLb0EES1P_EEDaS1K_S1L_EUlS1K_E_NS1_11comp_targetILNS1_3genE2ELNS1_11target_archE906ELNS1_3gpuE6ELNS1_3repE0EEENS1_30default_config_static_selectorELNS0_4arch9wavefront6targetE1EEEvSY_: ; @_ZN7rocprim17ROCPRIM_400000_NS6detail17trampoline_kernelINS0_13select_configILj256ELj13ELNS0_17block_load_methodE3ELS4_3ELS4_3ELNS0_20block_scan_algorithmE0ELj4294967295EEENS1_25partition_config_selectorILNS1_17partition_subalgoE3EjNS0_10empty_typeEbEEZZNS1_14partition_implILS8_3ELb0ES6_jNS0_17counting_iteratorIjlEEPS9_SE_NS0_5tupleIJPjSE_EEENSF_IJSE_SE_EEES9_SG_JZNS1_25segmented_radix_sort_implINS0_14default_configELb1EPKiPiPKlPlN2at6native12_GLOBAL__N_18offset_tEEE10hipError_tPvRmT1_PNSt15iterator_traitsISY_E10value_typeET2_T3_PNSZ_IS14_E10value_typeET4_jRbjT5_S1A_jjP12ihipStream_tbEUljE_EEESV_SW_SX_S14_S18_S1A_T6_T7_T9_mT8_S1C_bDpT10_ENKUlT_T0_E_clISt17integral_constantIbLb0EES1P_EEDaS1K_S1L_EUlS1K_E_NS1_11comp_targetILNS1_3genE2ELNS1_11target_archE906ELNS1_3gpuE6ELNS1_3repE0EEENS1_30default_config_static_selectorELNS0_4arch9wavefront6targetE1EEEvSY_
; %bb.0:
	.section	.rodata,"a",@progbits
	.p2align	6, 0x0
	.amdhsa_kernel _ZN7rocprim17ROCPRIM_400000_NS6detail17trampoline_kernelINS0_13select_configILj256ELj13ELNS0_17block_load_methodE3ELS4_3ELS4_3ELNS0_20block_scan_algorithmE0ELj4294967295EEENS1_25partition_config_selectorILNS1_17partition_subalgoE3EjNS0_10empty_typeEbEEZZNS1_14partition_implILS8_3ELb0ES6_jNS0_17counting_iteratorIjlEEPS9_SE_NS0_5tupleIJPjSE_EEENSF_IJSE_SE_EEES9_SG_JZNS1_25segmented_radix_sort_implINS0_14default_configELb1EPKiPiPKlPlN2at6native12_GLOBAL__N_18offset_tEEE10hipError_tPvRmT1_PNSt15iterator_traitsISY_E10value_typeET2_T3_PNSZ_IS14_E10value_typeET4_jRbjT5_S1A_jjP12ihipStream_tbEUljE_EEESV_SW_SX_S14_S18_S1A_T6_T7_T9_mT8_S1C_bDpT10_ENKUlT_T0_E_clISt17integral_constantIbLb0EES1P_EEDaS1K_S1L_EUlS1K_E_NS1_11comp_targetILNS1_3genE2ELNS1_11target_archE906ELNS1_3gpuE6ELNS1_3repE0EEENS1_30default_config_static_selectorELNS0_4arch9wavefront6targetE1EEEvSY_
		.amdhsa_group_segment_fixed_size 0
		.amdhsa_private_segment_fixed_size 0
		.amdhsa_kernarg_size 144
		.amdhsa_user_sgpr_count 6
		.amdhsa_user_sgpr_private_segment_buffer 1
		.amdhsa_user_sgpr_dispatch_ptr 0
		.amdhsa_user_sgpr_queue_ptr 0
		.amdhsa_user_sgpr_kernarg_segment_ptr 1
		.amdhsa_user_sgpr_dispatch_id 0
		.amdhsa_user_sgpr_flat_scratch_init 0
		.amdhsa_user_sgpr_kernarg_preload_length 0
		.amdhsa_user_sgpr_kernarg_preload_offset 0
		.amdhsa_user_sgpr_private_segment_size 0
		.amdhsa_uses_dynamic_stack 0
		.amdhsa_system_sgpr_private_segment_wavefront_offset 0
		.amdhsa_system_sgpr_workgroup_id_x 1
		.amdhsa_system_sgpr_workgroup_id_y 0
		.amdhsa_system_sgpr_workgroup_id_z 0
		.amdhsa_system_sgpr_workgroup_info 0
		.amdhsa_system_vgpr_workitem_id 0
		.amdhsa_next_free_vgpr 1
		.amdhsa_next_free_sgpr 0
		.amdhsa_accum_offset 4
		.amdhsa_reserve_vcc 0
		.amdhsa_reserve_flat_scratch 0
		.amdhsa_float_round_mode_32 0
		.amdhsa_float_round_mode_16_64 0
		.amdhsa_float_denorm_mode_32 3
		.amdhsa_float_denorm_mode_16_64 3
		.amdhsa_dx10_clamp 1
		.amdhsa_ieee_mode 1
		.amdhsa_fp16_overflow 0
		.amdhsa_tg_split 0
		.amdhsa_exception_fp_ieee_invalid_op 0
		.amdhsa_exception_fp_denorm_src 0
		.amdhsa_exception_fp_ieee_div_zero 0
		.amdhsa_exception_fp_ieee_overflow 0
		.amdhsa_exception_fp_ieee_underflow 0
		.amdhsa_exception_fp_ieee_inexact 0
		.amdhsa_exception_int_div_zero 0
	.end_amdhsa_kernel
	.section	.text._ZN7rocprim17ROCPRIM_400000_NS6detail17trampoline_kernelINS0_13select_configILj256ELj13ELNS0_17block_load_methodE3ELS4_3ELS4_3ELNS0_20block_scan_algorithmE0ELj4294967295EEENS1_25partition_config_selectorILNS1_17partition_subalgoE3EjNS0_10empty_typeEbEEZZNS1_14partition_implILS8_3ELb0ES6_jNS0_17counting_iteratorIjlEEPS9_SE_NS0_5tupleIJPjSE_EEENSF_IJSE_SE_EEES9_SG_JZNS1_25segmented_radix_sort_implINS0_14default_configELb1EPKiPiPKlPlN2at6native12_GLOBAL__N_18offset_tEEE10hipError_tPvRmT1_PNSt15iterator_traitsISY_E10value_typeET2_T3_PNSZ_IS14_E10value_typeET4_jRbjT5_S1A_jjP12ihipStream_tbEUljE_EEESV_SW_SX_S14_S18_S1A_T6_T7_T9_mT8_S1C_bDpT10_ENKUlT_T0_E_clISt17integral_constantIbLb0EES1P_EEDaS1K_S1L_EUlS1K_E_NS1_11comp_targetILNS1_3genE2ELNS1_11target_archE906ELNS1_3gpuE6ELNS1_3repE0EEENS1_30default_config_static_selectorELNS0_4arch9wavefront6targetE1EEEvSY_,"axG",@progbits,_ZN7rocprim17ROCPRIM_400000_NS6detail17trampoline_kernelINS0_13select_configILj256ELj13ELNS0_17block_load_methodE3ELS4_3ELS4_3ELNS0_20block_scan_algorithmE0ELj4294967295EEENS1_25partition_config_selectorILNS1_17partition_subalgoE3EjNS0_10empty_typeEbEEZZNS1_14partition_implILS8_3ELb0ES6_jNS0_17counting_iteratorIjlEEPS9_SE_NS0_5tupleIJPjSE_EEENSF_IJSE_SE_EEES9_SG_JZNS1_25segmented_radix_sort_implINS0_14default_configELb1EPKiPiPKlPlN2at6native12_GLOBAL__N_18offset_tEEE10hipError_tPvRmT1_PNSt15iterator_traitsISY_E10value_typeET2_T3_PNSZ_IS14_E10value_typeET4_jRbjT5_S1A_jjP12ihipStream_tbEUljE_EEESV_SW_SX_S14_S18_S1A_T6_T7_T9_mT8_S1C_bDpT10_ENKUlT_T0_E_clISt17integral_constantIbLb0EES1P_EEDaS1K_S1L_EUlS1K_E_NS1_11comp_targetILNS1_3genE2ELNS1_11target_archE906ELNS1_3gpuE6ELNS1_3repE0EEENS1_30default_config_static_selectorELNS0_4arch9wavefront6targetE1EEEvSY_,comdat
.Lfunc_end469:
	.size	_ZN7rocprim17ROCPRIM_400000_NS6detail17trampoline_kernelINS0_13select_configILj256ELj13ELNS0_17block_load_methodE3ELS4_3ELS4_3ELNS0_20block_scan_algorithmE0ELj4294967295EEENS1_25partition_config_selectorILNS1_17partition_subalgoE3EjNS0_10empty_typeEbEEZZNS1_14partition_implILS8_3ELb0ES6_jNS0_17counting_iteratorIjlEEPS9_SE_NS0_5tupleIJPjSE_EEENSF_IJSE_SE_EEES9_SG_JZNS1_25segmented_radix_sort_implINS0_14default_configELb1EPKiPiPKlPlN2at6native12_GLOBAL__N_18offset_tEEE10hipError_tPvRmT1_PNSt15iterator_traitsISY_E10value_typeET2_T3_PNSZ_IS14_E10value_typeET4_jRbjT5_S1A_jjP12ihipStream_tbEUljE_EEESV_SW_SX_S14_S18_S1A_T6_T7_T9_mT8_S1C_bDpT10_ENKUlT_T0_E_clISt17integral_constantIbLb0EES1P_EEDaS1K_S1L_EUlS1K_E_NS1_11comp_targetILNS1_3genE2ELNS1_11target_archE906ELNS1_3gpuE6ELNS1_3repE0EEENS1_30default_config_static_selectorELNS0_4arch9wavefront6targetE1EEEvSY_, .Lfunc_end469-_ZN7rocprim17ROCPRIM_400000_NS6detail17trampoline_kernelINS0_13select_configILj256ELj13ELNS0_17block_load_methodE3ELS4_3ELS4_3ELNS0_20block_scan_algorithmE0ELj4294967295EEENS1_25partition_config_selectorILNS1_17partition_subalgoE3EjNS0_10empty_typeEbEEZZNS1_14partition_implILS8_3ELb0ES6_jNS0_17counting_iteratorIjlEEPS9_SE_NS0_5tupleIJPjSE_EEENSF_IJSE_SE_EEES9_SG_JZNS1_25segmented_radix_sort_implINS0_14default_configELb1EPKiPiPKlPlN2at6native12_GLOBAL__N_18offset_tEEE10hipError_tPvRmT1_PNSt15iterator_traitsISY_E10value_typeET2_T3_PNSZ_IS14_E10value_typeET4_jRbjT5_S1A_jjP12ihipStream_tbEUljE_EEESV_SW_SX_S14_S18_S1A_T6_T7_T9_mT8_S1C_bDpT10_ENKUlT_T0_E_clISt17integral_constantIbLb0EES1P_EEDaS1K_S1L_EUlS1K_E_NS1_11comp_targetILNS1_3genE2ELNS1_11target_archE906ELNS1_3gpuE6ELNS1_3repE0EEENS1_30default_config_static_selectorELNS0_4arch9wavefront6targetE1EEEvSY_
                                        ; -- End function
	.section	.AMDGPU.csdata,"",@progbits
; Kernel info:
; codeLenInByte = 0
; NumSgprs: 4
; NumVgprs: 0
; NumAgprs: 0
; TotalNumVgprs: 0
; ScratchSize: 0
; MemoryBound: 0
; FloatMode: 240
; IeeeMode: 1
; LDSByteSize: 0 bytes/workgroup (compile time only)
; SGPRBlocks: 0
; VGPRBlocks: 0
; NumSGPRsForWavesPerEU: 4
; NumVGPRsForWavesPerEU: 1
; AccumOffset: 4
; Occupancy: 8
; WaveLimiterHint : 0
; COMPUTE_PGM_RSRC2:SCRATCH_EN: 0
; COMPUTE_PGM_RSRC2:USER_SGPR: 6
; COMPUTE_PGM_RSRC2:TRAP_HANDLER: 0
; COMPUTE_PGM_RSRC2:TGID_X_EN: 1
; COMPUTE_PGM_RSRC2:TGID_Y_EN: 0
; COMPUTE_PGM_RSRC2:TGID_Z_EN: 0
; COMPUTE_PGM_RSRC2:TIDIG_COMP_CNT: 0
; COMPUTE_PGM_RSRC3_GFX90A:ACCUM_OFFSET: 0
; COMPUTE_PGM_RSRC3_GFX90A:TG_SPLIT: 0
	.section	.text._ZN7rocprim17ROCPRIM_400000_NS6detail17trampoline_kernelINS0_13select_configILj256ELj13ELNS0_17block_load_methodE3ELS4_3ELS4_3ELNS0_20block_scan_algorithmE0ELj4294967295EEENS1_25partition_config_selectorILNS1_17partition_subalgoE3EjNS0_10empty_typeEbEEZZNS1_14partition_implILS8_3ELb0ES6_jNS0_17counting_iteratorIjlEEPS9_SE_NS0_5tupleIJPjSE_EEENSF_IJSE_SE_EEES9_SG_JZNS1_25segmented_radix_sort_implINS0_14default_configELb1EPKiPiPKlPlN2at6native12_GLOBAL__N_18offset_tEEE10hipError_tPvRmT1_PNSt15iterator_traitsISY_E10value_typeET2_T3_PNSZ_IS14_E10value_typeET4_jRbjT5_S1A_jjP12ihipStream_tbEUljE_EEESV_SW_SX_S14_S18_S1A_T6_T7_T9_mT8_S1C_bDpT10_ENKUlT_T0_E_clISt17integral_constantIbLb0EES1P_EEDaS1K_S1L_EUlS1K_E_NS1_11comp_targetILNS1_3genE10ELNS1_11target_archE1200ELNS1_3gpuE4ELNS1_3repE0EEENS1_30default_config_static_selectorELNS0_4arch9wavefront6targetE1EEEvSY_,"axG",@progbits,_ZN7rocprim17ROCPRIM_400000_NS6detail17trampoline_kernelINS0_13select_configILj256ELj13ELNS0_17block_load_methodE3ELS4_3ELS4_3ELNS0_20block_scan_algorithmE0ELj4294967295EEENS1_25partition_config_selectorILNS1_17partition_subalgoE3EjNS0_10empty_typeEbEEZZNS1_14partition_implILS8_3ELb0ES6_jNS0_17counting_iteratorIjlEEPS9_SE_NS0_5tupleIJPjSE_EEENSF_IJSE_SE_EEES9_SG_JZNS1_25segmented_radix_sort_implINS0_14default_configELb1EPKiPiPKlPlN2at6native12_GLOBAL__N_18offset_tEEE10hipError_tPvRmT1_PNSt15iterator_traitsISY_E10value_typeET2_T3_PNSZ_IS14_E10value_typeET4_jRbjT5_S1A_jjP12ihipStream_tbEUljE_EEESV_SW_SX_S14_S18_S1A_T6_T7_T9_mT8_S1C_bDpT10_ENKUlT_T0_E_clISt17integral_constantIbLb0EES1P_EEDaS1K_S1L_EUlS1K_E_NS1_11comp_targetILNS1_3genE10ELNS1_11target_archE1200ELNS1_3gpuE4ELNS1_3repE0EEENS1_30default_config_static_selectorELNS0_4arch9wavefront6targetE1EEEvSY_,comdat
	.globl	_ZN7rocprim17ROCPRIM_400000_NS6detail17trampoline_kernelINS0_13select_configILj256ELj13ELNS0_17block_load_methodE3ELS4_3ELS4_3ELNS0_20block_scan_algorithmE0ELj4294967295EEENS1_25partition_config_selectorILNS1_17partition_subalgoE3EjNS0_10empty_typeEbEEZZNS1_14partition_implILS8_3ELb0ES6_jNS0_17counting_iteratorIjlEEPS9_SE_NS0_5tupleIJPjSE_EEENSF_IJSE_SE_EEES9_SG_JZNS1_25segmented_radix_sort_implINS0_14default_configELb1EPKiPiPKlPlN2at6native12_GLOBAL__N_18offset_tEEE10hipError_tPvRmT1_PNSt15iterator_traitsISY_E10value_typeET2_T3_PNSZ_IS14_E10value_typeET4_jRbjT5_S1A_jjP12ihipStream_tbEUljE_EEESV_SW_SX_S14_S18_S1A_T6_T7_T9_mT8_S1C_bDpT10_ENKUlT_T0_E_clISt17integral_constantIbLb0EES1P_EEDaS1K_S1L_EUlS1K_E_NS1_11comp_targetILNS1_3genE10ELNS1_11target_archE1200ELNS1_3gpuE4ELNS1_3repE0EEENS1_30default_config_static_selectorELNS0_4arch9wavefront6targetE1EEEvSY_ ; -- Begin function _ZN7rocprim17ROCPRIM_400000_NS6detail17trampoline_kernelINS0_13select_configILj256ELj13ELNS0_17block_load_methodE3ELS4_3ELS4_3ELNS0_20block_scan_algorithmE0ELj4294967295EEENS1_25partition_config_selectorILNS1_17partition_subalgoE3EjNS0_10empty_typeEbEEZZNS1_14partition_implILS8_3ELb0ES6_jNS0_17counting_iteratorIjlEEPS9_SE_NS0_5tupleIJPjSE_EEENSF_IJSE_SE_EEES9_SG_JZNS1_25segmented_radix_sort_implINS0_14default_configELb1EPKiPiPKlPlN2at6native12_GLOBAL__N_18offset_tEEE10hipError_tPvRmT1_PNSt15iterator_traitsISY_E10value_typeET2_T3_PNSZ_IS14_E10value_typeET4_jRbjT5_S1A_jjP12ihipStream_tbEUljE_EEESV_SW_SX_S14_S18_S1A_T6_T7_T9_mT8_S1C_bDpT10_ENKUlT_T0_E_clISt17integral_constantIbLb0EES1P_EEDaS1K_S1L_EUlS1K_E_NS1_11comp_targetILNS1_3genE10ELNS1_11target_archE1200ELNS1_3gpuE4ELNS1_3repE0EEENS1_30default_config_static_selectorELNS0_4arch9wavefront6targetE1EEEvSY_
	.p2align	8
	.type	_ZN7rocprim17ROCPRIM_400000_NS6detail17trampoline_kernelINS0_13select_configILj256ELj13ELNS0_17block_load_methodE3ELS4_3ELS4_3ELNS0_20block_scan_algorithmE0ELj4294967295EEENS1_25partition_config_selectorILNS1_17partition_subalgoE3EjNS0_10empty_typeEbEEZZNS1_14partition_implILS8_3ELb0ES6_jNS0_17counting_iteratorIjlEEPS9_SE_NS0_5tupleIJPjSE_EEENSF_IJSE_SE_EEES9_SG_JZNS1_25segmented_radix_sort_implINS0_14default_configELb1EPKiPiPKlPlN2at6native12_GLOBAL__N_18offset_tEEE10hipError_tPvRmT1_PNSt15iterator_traitsISY_E10value_typeET2_T3_PNSZ_IS14_E10value_typeET4_jRbjT5_S1A_jjP12ihipStream_tbEUljE_EEESV_SW_SX_S14_S18_S1A_T6_T7_T9_mT8_S1C_bDpT10_ENKUlT_T0_E_clISt17integral_constantIbLb0EES1P_EEDaS1K_S1L_EUlS1K_E_NS1_11comp_targetILNS1_3genE10ELNS1_11target_archE1200ELNS1_3gpuE4ELNS1_3repE0EEENS1_30default_config_static_selectorELNS0_4arch9wavefront6targetE1EEEvSY_,@function
_ZN7rocprim17ROCPRIM_400000_NS6detail17trampoline_kernelINS0_13select_configILj256ELj13ELNS0_17block_load_methodE3ELS4_3ELS4_3ELNS0_20block_scan_algorithmE0ELj4294967295EEENS1_25partition_config_selectorILNS1_17partition_subalgoE3EjNS0_10empty_typeEbEEZZNS1_14partition_implILS8_3ELb0ES6_jNS0_17counting_iteratorIjlEEPS9_SE_NS0_5tupleIJPjSE_EEENSF_IJSE_SE_EEES9_SG_JZNS1_25segmented_radix_sort_implINS0_14default_configELb1EPKiPiPKlPlN2at6native12_GLOBAL__N_18offset_tEEE10hipError_tPvRmT1_PNSt15iterator_traitsISY_E10value_typeET2_T3_PNSZ_IS14_E10value_typeET4_jRbjT5_S1A_jjP12ihipStream_tbEUljE_EEESV_SW_SX_S14_S18_S1A_T6_T7_T9_mT8_S1C_bDpT10_ENKUlT_T0_E_clISt17integral_constantIbLb0EES1P_EEDaS1K_S1L_EUlS1K_E_NS1_11comp_targetILNS1_3genE10ELNS1_11target_archE1200ELNS1_3gpuE4ELNS1_3repE0EEENS1_30default_config_static_selectorELNS0_4arch9wavefront6targetE1EEEvSY_: ; @_ZN7rocprim17ROCPRIM_400000_NS6detail17trampoline_kernelINS0_13select_configILj256ELj13ELNS0_17block_load_methodE3ELS4_3ELS4_3ELNS0_20block_scan_algorithmE0ELj4294967295EEENS1_25partition_config_selectorILNS1_17partition_subalgoE3EjNS0_10empty_typeEbEEZZNS1_14partition_implILS8_3ELb0ES6_jNS0_17counting_iteratorIjlEEPS9_SE_NS0_5tupleIJPjSE_EEENSF_IJSE_SE_EEES9_SG_JZNS1_25segmented_radix_sort_implINS0_14default_configELb1EPKiPiPKlPlN2at6native12_GLOBAL__N_18offset_tEEE10hipError_tPvRmT1_PNSt15iterator_traitsISY_E10value_typeET2_T3_PNSZ_IS14_E10value_typeET4_jRbjT5_S1A_jjP12ihipStream_tbEUljE_EEESV_SW_SX_S14_S18_S1A_T6_T7_T9_mT8_S1C_bDpT10_ENKUlT_T0_E_clISt17integral_constantIbLb0EES1P_EEDaS1K_S1L_EUlS1K_E_NS1_11comp_targetILNS1_3genE10ELNS1_11target_archE1200ELNS1_3gpuE4ELNS1_3repE0EEENS1_30default_config_static_selectorELNS0_4arch9wavefront6targetE1EEEvSY_
; %bb.0:
	.section	.rodata,"a",@progbits
	.p2align	6, 0x0
	.amdhsa_kernel _ZN7rocprim17ROCPRIM_400000_NS6detail17trampoline_kernelINS0_13select_configILj256ELj13ELNS0_17block_load_methodE3ELS4_3ELS4_3ELNS0_20block_scan_algorithmE0ELj4294967295EEENS1_25partition_config_selectorILNS1_17partition_subalgoE3EjNS0_10empty_typeEbEEZZNS1_14partition_implILS8_3ELb0ES6_jNS0_17counting_iteratorIjlEEPS9_SE_NS0_5tupleIJPjSE_EEENSF_IJSE_SE_EEES9_SG_JZNS1_25segmented_radix_sort_implINS0_14default_configELb1EPKiPiPKlPlN2at6native12_GLOBAL__N_18offset_tEEE10hipError_tPvRmT1_PNSt15iterator_traitsISY_E10value_typeET2_T3_PNSZ_IS14_E10value_typeET4_jRbjT5_S1A_jjP12ihipStream_tbEUljE_EEESV_SW_SX_S14_S18_S1A_T6_T7_T9_mT8_S1C_bDpT10_ENKUlT_T0_E_clISt17integral_constantIbLb0EES1P_EEDaS1K_S1L_EUlS1K_E_NS1_11comp_targetILNS1_3genE10ELNS1_11target_archE1200ELNS1_3gpuE4ELNS1_3repE0EEENS1_30default_config_static_selectorELNS0_4arch9wavefront6targetE1EEEvSY_
		.amdhsa_group_segment_fixed_size 0
		.amdhsa_private_segment_fixed_size 0
		.amdhsa_kernarg_size 144
		.amdhsa_user_sgpr_count 6
		.amdhsa_user_sgpr_private_segment_buffer 1
		.amdhsa_user_sgpr_dispatch_ptr 0
		.amdhsa_user_sgpr_queue_ptr 0
		.amdhsa_user_sgpr_kernarg_segment_ptr 1
		.amdhsa_user_sgpr_dispatch_id 0
		.amdhsa_user_sgpr_flat_scratch_init 0
		.amdhsa_user_sgpr_kernarg_preload_length 0
		.amdhsa_user_sgpr_kernarg_preload_offset 0
		.amdhsa_user_sgpr_private_segment_size 0
		.amdhsa_uses_dynamic_stack 0
		.amdhsa_system_sgpr_private_segment_wavefront_offset 0
		.amdhsa_system_sgpr_workgroup_id_x 1
		.amdhsa_system_sgpr_workgroup_id_y 0
		.amdhsa_system_sgpr_workgroup_id_z 0
		.amdhsa_system_sgpr_workgroup_info 0
		.amdhsa_system_vgpr_workitem_id 0
		.amdhsa_next_free_vgpr 1
		.amdhsa_next_free_sgpr 0
		.amdhsa_accum_offset 4
		.amdhsa_reserve_vcc 0
		.amdhsa_reserve_flat_scratch 0
		.amdhsa_float_round_mode_32 0
		.amdhsa_float_round_mode_16_64 0
		.amdhsa_float_denorm_mode_32 3
		.amdhsa_float_denorm_mode_16_64 3
		.amdhsa_dx10_clamp 1
		.amdhsa_ieee_mode 1
		.amdhsa_fp16_overflow 0
		.amdhsa_tg_split 0
		.amdhsa_exception_fp_ieee_invalid_op 0
		.amdhsa_exception_fp_denorm_src 0
		.amdhsa_exception_fp_ieee_div_zero 0
		.amdhsa_exception_fp_ieee_overflow 0
		.amdhsa_exception_fp_ieee_underflow 0
		.amdhsa_exception_fp_ieee_inexact 0
		.amdhsa_exception_int_div_zero 0
	.end_amdhsa_kernel
	.section	.text._ZN7rocprim17ROCPRIM_400000_NS6detail17trampoline_kernelINS0_13select_configILj256ELj13ELNS0_17block_load_methodE3ELS4_3ELS4_3ELNS0_20block_scan_algorithmE0ELj4294967295EEENS1_25partition_config_selectorILNS1_17partition_subalgoE3EjNS0_10empty_typeEbEEZZNS1_14partition_implILS8_3ELb0ES6_jNS0_17counting_iteratorIjlEEPS9_SE_NS0_5tupleIJPjSE_EEENSF_IJSE_SE_EEES9_SG_JZNS1_25segmented_radix_sort_implINS0_14default_configELb1EPKiPiPKlPlN2at6native12_GLOBAL__N_18offset_tEEE10hipError_tPvRmT1_PNSt15iterator_traitsISY_E10value_typeET2_T3_PNSZ_IS14_E10value_typeET4_jRbjT5_S1A_jjP12ihipStream_tbEUljE_EEESV_SW_SX_S14_S18_S1A_T6_T7_T9_mT8_S1C_bDpT10_ENKUlT_T0_E_clISt17integral_constantIbLb0EES1P_EEDaS1K_S1L_EUlS1K_E_NS1_11comp_targetILNS1_3genE10ELNS1_11target_archE1200ELNS1_3gpuE4ELNS1_3repE0EEENS1_30default_config_static_selectorELNS0_4arch9wavefront6targetE1EEEvSY_,"axG",@progbits,_ZN7rocprim17ROCPRIM_400000_NS6detail17trampoline_kernelINS0_13select_configILj256ELj13ELNS0_17block_load_methodE3ELS4_3ELS4_3ELNS0_20block_scan_algorithmE0ELj4294967295EEENS1_25partition_config_selectorILNS1_17partition_subalgoE3EjNS0_10empty_typeEbEEZZNS1_14partition_implILS8_3ELb0ES6_jNS0_17counting_iteratorIjlEEPS9_SE_NS0_5tupleIJPjSE_EEENSF_IJSE_SE_EEES9_SG_JZNS1_25segmented_radix_sort_implINS0_14default_configELb1EPKiPiPKlPlN2at6native12_GLOBAL__N_18offset_tEEE10hipError_tPvRmT1_PNSt15iterator_traitsISY_E10value_typeET2_T3_PNSZ_IS14_E10value_typeET4_jRbjT5_S1A_jjP12ihipStream_tbEUljE_EEESV_SW_SX_S14_S18_S1A_T6_T7_T9_mT8_S1C_bDpT10_ENKUlT_T0_E_clISt17integral_constantIbLb0EES1P_EEDaS1K_S1L_EUlS1K_E_NS1_11comp_targetILNS1_3genE10ELNS1_11target_archE1200ELNS1_3gpuE4ELNS1_3repE0EEENS1_30default_config_static_selectorELNS0_4arch9wavefront6targetE1EEEvSY_,comdat
.Lfunc_end470:
	.size	_ZN7rocprim17ROCPRIM_400000_NS6detail17trampoline_kernelINS0_13select_configILj256ELj13ELNS0_17block_load_methodE3ELS4_3ELS4_3ELNS0_20block_scan_algorithmE0ELj4294967295EEENS1_25partition_config_selectorILNS1_17partition_subalgoE3EjNS0_10empty_typeEbEEZZNS1_14partition_implILS8_3ELb0ES6_jNS0_17counting_iteratorIjlEEPS9_SE_NS0_5tupleIJPjSE_EEENSF_IJSE_SE_EEES9_SG_JZNS1_25segmented_radix_sort_implINS0_14default_configELb1EPKiPiPKlPlN2at6native12_GLOBAL__N_18offset_tEEE10hipError_tPvRmT1_PNSt15iterator_traitsISY_E10value_typeET2_T3_PNSZ_IS14_E10value_typeET4_jRbjT5_S1A_jjP12ihipStream_tbEUljE_EEESV_SW_SX_S14_S18_S1A_T6_T7_T9_mT8_S1C_bDpT10_ENKUlT_T0_E_clISt17integral_constantIbLb0EES1P_EEDaS1K_S1L_EUlS1K_E_NS1_11comp_targetILNS1_3genE10ELNS1_11target_archE1200ELNS1_3gpuE4ELNS1_3repE0EEENS1_30default_config_static_selectorELNS0_4arch9wavefront6targetE1EEEvSY_, .Lfunc_end470-_ZN7rocprim17ROCPRIM_400000_NS6detail17trampoline_kernelINS0_13select_configILj256ELj13ELNS0_17block_load_methodE3ELS4_3ELS4_3ELNS0_20block_scan_algorithmE0ELj4294967295EEENS1_25partition_config_selectorILNS1_17partition_subalgoE3EjNS0_10empty_typeEbEEZZNS1_14partition_implILS8_3ELb0ES6_jNS0_17counting_iteratorIjlEEPS9_SE_NS0_5tupleIJPjSE_EEENSF_IJSE_SE_EEES9_SG_JZNS1_25segmented_radix_sort_implINS0_14default_configELb1EPKiPiPKlPlN2at6native12_GLOBAL__N_18offset_tEEE10hipError_tPvRmT1_PNSt15iterator_traitsISY_E10value_typeET2_T3_PNSZ_IS14_E10value_typeET4_jRbjT5_S1A_jjP12ihipStream_tbEUljE_EEESV_SW_SX_S14_S18_S1A_T6_T7_T9_mT8_S1C_bDpT10_ENKUlT_T0_E_clISt17integral_constantIbLb0EES1P_EEDaS1K_S1L_EUlS1K_E_NS1_11comp_targetILNS1_3genE10ELNS1_11target_archE1200ELNS1_3gpuE4ELNS1_3repE0EEENS1_30default_config_static_selectorELNS0_4arch9wavefront6targetE1EEEvSY_
                                        ; -- End function
	.section	.AMDGPU.csdata,"",@progbits
; Kernel info:
; codeLenInByte = 0
; NumSgprs: 4
; NumVgprs: 0
; NumAgprs: 0
; TotalNumVgprs: 0
; ScratchSize: 0
; MemoryBound: 0
; FloatMode: 240
; IeeeMode: 1
; LDSByteSize: 0 bytes/workgroup (compile time only)
; SGPRBlocks: 0
; VGPRBlocks: 0
; NumSGPRsForWavesPerEU: 4
; NumVGPRsForWavesPerEU: 1
; AccumOffset: 4
; Occupancy: 8
; WaveLimiterHint : 0
; COMPUTE_PGM_RSRC2:SCRATCH_EN: 0
; COMPUTE_PGM_RSRC2:USER_SGPR: 6
; COMPUTE_PGM_RSRC2:TRAP_HANDLER: 0
; COMPUTE_PGM_RSRC2:TGID_X_EN: 1
; COMPUTE_PGM_RSRC2:TGID_Y_EN: 0
; COMPUTE_PGM_RSRC2:TGID_Z_EN: 0
; COMPUTE_PGM_RSRC2:TIDIG_COMP_CNT: 0
; COMPUTE_PGM_RSRC3_GFX90A:ACCUM_OFFSET: 0
; COMPUTE_PGM_RSRC3_GFX90A:TG_SPLIT: 0
	.section	.text._ZN7rocprim17ROCPRIM_400000_NS6detail17trampoline_kernelINS0_13select_configILj256ELj13ELNS0_17block_load_methodE3ELS4_3ELS4_3ELNS0_20block_scan_algorithmE0ELj4294967295EEENS1_25partition_config_selectorILNS1_17partition_subalgoE3EjNS0_10empty_typeEbEEZZNS1_14partition_implILS8_3ELb0ES6_jNS0_17counting_iteratorIjlEEPS9_SE_NS0_5tupleIJPjSE_EEENSF_IJSE_SE_EEES9_SG_JZNS1_25segmented_radix_sort_implINS0_14default_configELb1EPKiPiPKlPlN2at6native12_GLOBAL__N_18offset_tEEE10hipError_tPvRmT1_PNSt15iterator_traitsISY_E10value_typeET2_T3_PNSZ_IS14_E10value_typeET4_jRbjT5_S1A_jjP12ihipStream_tbEUljE_EEESV_SW_SX_S14_S18_S1A_T6_T7_T9_mT8_S1C_bDpT10_ENKUlT_T0_E_clISt17integral_constantIbLb0EES1P_EEDaS1K_S1L_EUlS1K_E_NS1_11comp_targetILNS1_3genE9ELNS1_11target_archE1100ELNS1_3gpuE3ELNS1_3repE0EEENS1_30default_config_static_selectorELNS0_4arch9wavefront6targetE1EEEvSY_,"axG",@progbits,_ZN7rocprim17ROCPRIM_400000_NS6detail17trampoline_kernelINS0_13select_configILj256ELj13ELNS0_17block_load_methodE3ELS4_3ELS4_3ELNS0_20block_scan_algorithmE0ELj4294967295EEENS1_25partition_config_selectorILNS1_17partition_subalgoE3EjNS0_10empty_typeEbEEZZNS1_14partition_implILS8_3ELb0ES6_jNS0_17counting_iteratorIjlEEPS9_SE_NS0_5tupleIJPjSE_EEENSF_IJSE_SE_EEES9_SG_JZNS1_25segmented_radix_sort_implINS0_14default_configELb1EPKiPiPKlPlN2at6native12_GLOBAL__N_18offset_tEEE10hipError_tPvRmT1_PNSt15iterator_traitsISY_E10value_typeET2_T3_PNSZ_IS14_E10value_typeET4_jRbjT5_S1A_jjP12ihipStream_tbEUljE_EEESV_SW_SX_S14_S18_S1A_T6_T7_T9_mT8_S1C_bDpT10_ENKUlT_T0_E_clISt17integral_constantIbLb0EES1P_EEDaS1K_S1L_EUlS1K_E_NS1_11comp_targetILNS1_3genE9ELNS1_11target_archE1100ELNS1_3gpuE3ELNS1_3repE0EEENS1_30default_config_static_selectorELNS0_4arch9wavefront6targetE1EEEvSY_,comdat
	.globl	_ZN7rocprim17ROCPRIM_400000_NS6detail17trampoline_kernelINS0_13select_configILj256ELj13ELNS0_17block_load_methodE3ELS4_3ELS4_3ELNS0_20block_scan_algorithmE0ELj4294967295EEENS1_25partition_config_selectorILNS1_17partition_subalgoE3EjNS0_10empty_typeEbEEZZNS1_14partition_implILS8_3ELb0ES6_jNS0_17counting_iteratorIjlEEPS9_SE_NS0_5tupleIJPjSE_EEENSF_IJSE_SE_EEES9_SG_JZNS1_25segmented_radix_sort_implINS0_14default_configELb1EPKiPiPKlPlN2at6native12_GLOBAL__N_18offset_tEEE10hipError_tPvRmT1_PNSt15iterator_traitsISY_E10value_typeET2_T3_PNSZ_IS14_E10value_typeET4_jRbjT5_S1A_jjP12ihipStream_tbEUljE_EEESV_SW_SX_S14_S18_S1A_T6_T7_T9_mT8_S1C_bDpT10_ENKUlT_T0_E_clISt17integral_constantIbLb0EES1P_EEDaS1K_S1L_EUlS1K_E_NS1_11comp_targetILNS1_3genE9ELNS1_11target_archE1100ELNS1_3gpuE3ELNS1_3repE0EEENS1_30default_config_static_selectorELNS0_4arch9wavefront6targetE1EEEvSY_ ; -- Begin function _ZN7rocprim17ROCPRIM_400000_NS6detail17trampoline_kernelINS0_13select_configILj256ELj13ELNS0_17block_load_methodE3ELS4_3ELS4_3ELNS0_20block_scan_algorithmE0ELj4294967295EEENS1_25partition_config_selectorILNS1_17partition_subalgoE3EjNS0_10empty_typeEbEEZZNS1_14partition_implILS8_3ELb0ES6_jNS0_17counting_iteratorIjlEEPS9_SE_NS0_5tupleIJPjSE_EEENSF_IJSE_SE_EEES9_SG_JZNS1_25segmented_radix_sort_implINS0_14default_configELb1EPKiPiPKlPlN2at6native12_GLOBAL__N_18offset_tEEE10hipError_tPvRmT1_PNSt15iterator_traitsISY_E10value_typeET2_T3_PNSZ_IS14_E10value_typeET4_jRbjT5_S1A_jjP12ihipStream_tbEUljE_EEESV_SW_SX_S14_S18_S1A_T6_T7_T9_mT8_S1C_bDpT10_ENKUlT_T0_E_clISt17integral_constantIbLb0EES1P_EEDaS1K_S1L_EUlS1K_E_NS1_11comp_targetILNS1_3genE9ELNS1_11target_archE1100ELNS1_3gpuE3ELNS1_3repE0EEENS1_30default_config_static_selectorELNS0_4arch9wavefront6targetE1EEEvSY_
	.p2align	8
	.type	_ZN7rocprim17ROCPRIM_400000_NS6detail17trampoline_kernelINS0_13select_configILj256ELj13ELNS0_17block_load_methodE3ELS4_3ELS4_3ELNS0_20block_scan_algorithmE0ELj4294967295EEENS1_25partition_config_selectorILNS1_17partition_subalgoE3EjNS0_10empty_typeEbEEZZNS1_14partition_implILS8_3ELb0ES6_jNS0_17counting_iteratorIjlEEPS9_SE_NS0_5tupleIJPjSE_EEENSF_IJSE_SE_EEES9_SG_JZNS1_25segmented_radix_sort_implINS0_14default_configELb1EPKiPiPKlPlN2at6native12_GLOBAL__N_18offset_tEEE10hipError_tPvRmT1_PNSt15iterator_traitsISY_E10value_typeET2_T3_PNSZ_IS14_E10value_typeET4_jRbjT5_S1A_jjP12ihipStream_tbEUljE_EEESV_SW_SX_S14_S18_S1A_T6_T7_T9_mT8_S1C_bDpT10_ENKUlT_T0_E_clISt17integral_constantIbLb0EES1P_EEDaS1K_S1L_EUlS1K_E_NS1_11comp_targetILNS1_3genE9ELNS1_11target_archE1100ELNS1_3gpuE3ELNS1_3repE0EEENS1_30default_config_static_selectorELNS0_4arch9wavefront6targetE1EEEvSY_,@function
_ZN7rocprim17ROCPRIM_400000_NS6detail17trampoline_kernelINS0_13select_configILj256ELj13ELNS0_17block_load_methodE3ELS4_3ELS4_3ELNS0_20block_scan_algorithmE0ELj4294967295EEENS1_25partition_config_selectorILNS1_17partition_subalgoE3EjNS0_10empty_typeEbEEZZNS1_14partition_implILS8_3ELb0ES6_jNS0_17counting_iteratorIjlEEPS9_SE_NS0_5tupleIJPjSE_EEENSF_IJSE_SE_EEES9_SG_JZNS1_25segmented_radix_sort_implINS0_14default_configELb1EPKiPiPKlPlN2at6native12_GLOBAL__N_18offset_tEEE10hipError_tPvRmT1_PNSt15iterator_traitsISY_E10value_typeET2_T3_PNSZ_IS14_E10value_typeET4_jRbjT5_S1A_jjP12ihipStream_tbEUljE_EEESV_SW_SX_S14_S18_S1A_T6_T7_T9_mT8_S1C_bDpT10_ENKUlT_T0_E_clISt17integral_constantIbLb0EES1P_EEDaS1K_S1L_EUlS1K_E_NS1_11comp_targetILNS1_3genE9ELNS1_11target_archE1100ELNS1_3gpuE3ELNS1_3repE0EEENS1_30default_config_static_selectorELNS0_4arch9wavefront6targetE1EEEvSY_: ; @_ZN7rocprim17ROCPRIM_400000_NS6detail17trampoline_kernelINS0_13select_configILj256ELj13ELNS0_17block_load_methodE3ELS4_3ELS4_3ELNS0_20block_scan_algorithmE0ELj4294967295EEENS1_25partition_config_selectorILNS1_17partition_subalgoE3EjNS0_10empty_typeEbEEZZNS1_14partition_implILS8_3ELb0ES6_jNS0_17counting_iteratorIjlEEPS9_SE_NS0_5tupleIJPjSE_EEENSF_IJSE_SE_EEES9_SG_JZNS1_25segmented_radix_sort_implINS0_14default_configELb1EPKiPiPKlPlN2at6native12_GLOBAL__N_18offset_tEEE10hipError_tPvRmT1_PNSt15iterator_traitsISY_E10value_typeET2_T3_PNSZ_IS14_E10value_typeET4_jRbjT5_S1A_jjP12ihipStream_tbEUljE_EEESV_SW_SX_S14_S18_S1A_T6_T7_T9_mT8_S1C_bDpT10_ENKUlT_T0_E_clISt17integral_constantIbLb0EES1P_EEDaS1K_S1L_EUlS1K_E_NS1_11comp_targetILNS1_3genE9ELNS1_11target_archE1100ELNS1_3gpuE3ELNS1_3repE0EEENS1_30default_config_static_selectorELNS0_4arch9wavefront6targetE1EEEvSY_
; %bb.0:
	.section	.rodata,"a",@progbits
	.p2align	6, 0x0
	.amdhsa_kernel _ZN7rocprim17ROCPRIM_400000_NS6detail17trampoline_kernelINS0_13select_configILj256ELj13ELNS0_17block_load_methodE3ELS4_3ELS4_3ELNS0_20block_scan_algorithmE0ELj4294967295EEENS1_25partition_config_selectorILNS1_17partition_subalgoE3EjNS0_10empty_typeEbEEZZNS1_14partition_implILS8_3ELb0ES6_jNS0_17counting_iteratorIjlEEPS9_SE_NS0_5tupleIJPjSE_EEENSF_IJSE_SE_EEES9_SG_JZNS1_25segmented_radix_sort_implINS0_14default_configELb1EPKiPiPKlPlN2at6native12_GLOBAL__N_18offset_tEEE10hipError_tPvRmT1_PNSt15iterator_traitsISY_E10value_typeET2_T3_PNSZ_IS14_E10value_typeET4_jRbjT5_S1A_jjP12ihipStream_tbEUljE_EEESV_SW_SX_S14_S18_S1A_T6_T7_T9_mT8_S1C_bDpT10_ENKUlT_T0_E_clISt17integral_constantIbLb0EES1P_EEDaS1K_S1L_EUlS1K_E_NS1_11comp_targetILNS1_3genE9ELNS1_11target_archE1100ELNS1_3gpuE3ELNS1_3repE0EEENS1_30default_config_static_selectorELNS0_4arch9wavefront6targetE1EEEvSY_
		.amdhsa_group_segment_fixed_size 0
		.amdhsa_private_segment_fixed_size 0
		.amdhsa_kernarg_size 144
		.amdhsa_user_sgpr_count 6
		.amdhsa_user_sgpr_private_segment_buffer 1
		.amdhsa_user_sgpr_dispatch_ptr 0
		.amdhsa_user_sgpr_queue_ptr 0
		.amdhsa_user_sgpr_kernarg_segment_ptr 1
		.amdhsa_user_sgpr_dispatch_id 0
		.amdhsa_user_sgpr_flat_scratch_init 0
		.amdhsa_user_sgpr_kernarg_preload_length 0
		.amdhsa_user_sgpr_kernarg_preload_offset 0
		.amdhsa_user_sgpr_private_segment_size 0
		.amdhsa_uses_dynamic_stack 0
		.amdhsa_system_sgpr_private_segment_wavefront_offset 0
		.amdhsa_system_sgpr_workgroup_id_x 1
		.amdhsa_system_sgpr_workgroup_id_y 0
		.amdhsa_system_sgpr_workgroup_id_z 0
		.amdhsa_system_sgpr_workgroup_info 0
		.amdhsa_system_vgpr_workitem_id 0
		.amdhsa_next_free_vgpr 1
		.amdhsa_next_free_sgpr 0
		.amdhsa_accum_offset 4
		.amdhsa_reserve_vcc 0
		.amdhsa_reserve_flat_scratch 0
		.amdhsa_float_round_mode_32 0
		.amdhsa_float_round_mode_16_64 0
		.amdhsa_float_denorm_mode_32 3
		.amdhsa_float_denorm_mode_16_64 3
		.amdhsa_dx10_clamp 1
		.amdhsa_ieee_mode 1
		.amdhsa_fp16_overflow 0
		.amdhsa_tg_split 0
		.amdhsa_exception_fp_ieee_invalid_op 0
		.amdhsa_exception_fp_denorm_src 0
		.amdhsa_exception_fp_ieee_div_zero 0
		.amdhsa_exception_fp_ieee_overflow 0
		.amdhsa_exception_fp_ieee_underflow 0
		.amdhsa_exception_fp_ieee_inexact 0
		.amdhsa_exception_int_div_zero 0
	.end_amdhsa_kernel
	.section	.text._ZN7rocprim17ROCPRIM_400000_NS6detail17trampoline_kernelINS0_13select_configILj256ELj13ELNS0_17block_load_methodE3ELS4_3ELS4_3ELNS0_20block_scan_algorithmE0ELj4294967295EEENS1_25partition_config_selectorILNS1_17partition_subalgoE3EjNS0_10empty_typeEbEEZZNS1_14partition_implILS8_3ELb0ES6_jNS0_17counting_iteratorIjlEEPS9_SE_NS0_5tupleIJPjSE_EEENSF_IJSE_SE_EEES9_SG_JZNS1_25segmented_radix_sort_implINS0_14default_configELb1EPKiPiPKlPlN2at6native12_GLOBAL__N_18offset_tEEE10hipError_tPvRmT1_PNSt15iterator_traitsISY_E10value_typeET2_T3_PNSZ_IS14_E10value_typeET4_jRbjT5_S1A_jjP12ihipStream_tbEUljE_EEESV_SW_SX_S14_S18_S1A_T6_T7_T9_mT8_S1C_bDpT10_ENKUlT_T0_E_clISt17integral_constantIbLb0EES1P_EEDaS1K_S1L_EUlS1K_E_NS1_11comp_targetILNS1_3genE9ELNS1_11target_archE1100ELNS1_3gpuE3ELNS1_3repE0EEENS1_30default_config_static_selectorELNS0_4arch9wavefront6targetE1EEEvSY_,"axG",@progbits,_ZN7rocprim17ROCPRIM_400000_NS6detail17trampoline_kernelINS0_13select_configILj256ELj13ELNS0_17block_load_methodE3ELS4_3ELS4_3ELNS0_20block_scan_algorithmE0ELj4294967295EEENS1_25partition_config_selectorILNS1_17partition_subalgoE3EjNS0_10empty_typeEbEEZZNS1_14partition_implILS8_3ELb0ES6_jNS0_17counting_iteratorIjlEEPS9_SE_NS0_5tupleIJPjSE_EEENSF_IJSE_SE_EEES9_SG_JZNS1_25segmented_radix_sort_implINS0_14default_configELb1EPKiPiPKlPlN2at6native12_GLOBAL__N_18offset_tEEE10hipError_tPvRmT1_PNSt15iterator_traitsISY_E10value_typeET2_T3_PNSZ_IS14_E10value_typeET4_jRbjT5_S1A_jjP12ihipStream_tbEUljE_EEESV_SW_SX_S14_S18_S1A_T6_T7_T9_mT8_S1C_bDpT10_ENKUlT_T0_E_clISt17integral_constantIbLb0EES1P_EEDaS1K_S1L_EUlS1K_E_NS1_11comp_targetILNS1_3genE9ELNS1_11target_archE1100ELNS1_3gpuE3ELNS1_3repE0EEENS1_30default_config_static_selectorELNS0_4arch9wavefront6targetE1EEEvSY_,comdat
.Lfunc_end471:
	.size	_ZN7rocprim17ROCPRIM_400000_NS6detail17trampoline_kernelINS0_13select_configILj256ELj13ELNS0_17block_load_methodE3ELS4_3ELS4_3ELNS0_20block_scan_algorithmE0ELj4294967295EEENS1_25partition_config_selectorILNS1_17partition_subalgoE3EjNS0_10empty_typeEbEEZZNS1_14partition_implILS8_3ELb0ES6_jNS0_17counting_iteratorIjlEEPS9_SE_NS0_5tupleIJPjSE_EEENSF_IJSE_SE_EEES9_SG_JZNS1_25segmented_radix_sort_implINS0_14default_configELb1EPKiPiPKlPlN2at6native12_GLOBAL__N_18offset_tEEE10hipError_tPvRmT1_PNSt15iterator_traitsISY_E10value_typeET2_T3_PNSZ_IS14_E10value_typeET4_jRbjT5_S1A_jjP12ihipStream_tbEUljE_EEESV_SW_SX_S14_S18_S1A_T6_T7_T9_mT8_S1C_bDpT10_ENKUlT_T0_E_clISt17integral_constantIbLb0EES1P_EEDaS1K_S1L_EUlS1K_E_NS1_11comp_targetILNS1_3genE9ELNS1_11target_archE1100ELNS1_3gpuE3ELNS1_3repE0EEENS1_30default_config_static_selectorELNS0_4arch9wavefront6targetE1EEEvSY_, .Lfunc_end471-_ZN7rocprim17ROCPRIM_400000_NS6detail17trampoline_kernelINS0_13select_configILj256ELj13ELNS0_17block_load_methodE3ELS4_3ELS4_3ELNS0_20block_scan_algorithmE0ELj4294967295EEENS1_25partition_config_selectorILNS1_17partition_subalgoE3EjNS0_10empty_typeEbEEZZNS1_14partition_implILS8_3ELb0ES6_jNS0_17counting_iteratorIjlEEPS9_SE_NS0_5tupleIJPjSE_EEENSF_IJSE_SE_EEES9_SG_JZNS1_25segmented_radix_sort_implINS0_14default_configELb1EPKiPiPKlPlN2at6native12_GLOBAL__N_18offset_tEEE10hipError_tPvRmT1_PNSt15iterator_traitsISY_E10value_typeET2_T3_PNSZ_IS14_E10value_typeET4_jRbjT5_S1A_jjP12ihipStream_tbEUljE_EEESV_SW_SX_S14_S18_S1A_T6_T7_T9_mT8_S1C_bDpT10_ENKUlT_T0_E_clISt17integral_constantIbLb0EES1P_EEDaS1K_S1L_EUlS1K_E_NS1_11comp_targetILNS1_3genE9ELNS1_11target_archE1100ELNS1_3gpuE3ELNS1_3repE0EEENS1_30default_config_static_selectorELNS0_4arch9wavefront6targetE1EEEvSY_
                                        ; -- End function
	.section	.AMDGPU.csdata,"",@progbits
; Kernel info:
; codeLenInByte = 0
; NumSgprs: 4
; NumVgprs: 0
; NumAgprs: 0
; TotalNumVgprs: 0
; ScratchSize: 0
; MemoryBound: 0
; FloatMode: 240
; IeeeMode: 1
; LDSByteSize: 0 bytes/workgroup (compile time only)
; SGPRBlocks: 0
; VGPRBlocks: 0
; NumSGPRsForWavesPerEU: 4
; NumVGPRsForWavesPerEU: 1
; AccumOffset: 4
; Occupancy: 8
; WaveLimiterHint : 0
; COMPUTE_PGM_RSRC2:SCRATCH_EN: 0
; COMPUTE_PGM_RSRC2:USER_SGPR: 6
; COMPUTE_PGM_RSRC2:TRAP_HANDLER: 0
; COMPUTE_PGM_RSRC2:TGID_X_EN: 1
; COMPUTE_PGM_RSRC2:TGID_Y_EN: 0
; COMPUTE_PGM_RSRC2:TGID_Z_EN: 0
; COMPUTE_PGM_RSRC2:TIDIG_COMP_CNT: 0
; COMPUTE_PGM_RSRC3_GFX90A:ACCUM_OFFSET: 0
; COMPUTE_PGM_RSRC3_GFX90A:TG_SPLIT: 0
	.section	.text._ZN7rocprim17ROCPRIM_400000_NS6detail17trampoline_kernelINS0_13select_configILj256ELj13ELNS0_17block_load_methodE3ELS4_3ELS4_3ELNS0_20block_scan_algorithmE0ELj4294967295EEENS1_25partition_config_selectorILNS1_17partition_subalgoE3EjNS0_10empty_typeEbEEZZNS1_14partition_implILS8_3ELb0ES6_jNS0_17counting_iteratorIjlEEPS9_SE_NS0_5tupleIJPjSE_EEENSF_IJSE_SE_EEES9_SG_JZNS1_25segmented_radix_sort_implINS0_14default_configELb1EPKiPiPKlPlN2at6native12_GLOBAL__N_18offset_tEEE10hipError_tPvRmT1_PNSt15iterator_traitsISY_E10value_typeET2_T3_PNSZ_IS14_E10value_typeET4_jRbjT5_S1A_jjP12ihipStream_tbEUljE_EEESV_SW_SX_S14_S18_S1A_T6_T7_T9_mT8_S1C_bDpT10_ENKUlT_T0_E_clISt17integral_constantIbLb0EES1P_EEDaS1K_S1L_EUlS1K_E_NS1_11comp_targetILNS1_3genE8ELNS1_11target_archE1030ELNS1_3gpuE2ELNS1_3repE0EEENS1_30default_config_static_selectorELNS0_4arch9wavefront6targetE1EEEvSY_,"axG",@progbits,_ZN7rocprim17ROCPRIM_400000_NS6detail17trampoline_kernelINS0_13select_configILj256ELj13ELNS0_17block_load_methodE3ELS4_3ELS4_3ELNS0_20block_scan_algorithmE0ELj4294967295EEENS1_25partition_config_selectorILNS1_17partition_subalgoE3EjNS0_10empty_typeEbEEZZNS1_14partition_implILS8_3ELb0ES6_jNS0_17counting_iteratorIjlEEPS9_SE_NS0_5tupleIJPjSE_EEENSF_IJSE_SE_EEES9_SG_JZNS1_25segmented_radix_sort_implINS0_14default_configELb1EPKiPiPKlPlN2at6native12_GLOBAL__N_18offset_tEEE10hipError_tPvRmT1_PNSt15iterator_traitsISY_E10value_typeET2_T3_PNSZ_IS14_E10value_typeET4_jRbjT5_S1A_jjP12ihipStream_tbEUljE_EEESV_SW_SX_S14_S18_S1A_T6_T7_T9_mT8_S1C_bDpT10_ENKUlT_T0_E_clISt17integral_constantIbLb0EES1P_EEDaS1K_S1L_EUlS1K_E_NS1_11comp_targetILNS1_3genE8ELNS1_11target_archE1030ELNS1_3gpuE2ELNS1_3repE0EEENS1_30default_config_static_selectorELNS0_4arch9wavefront6targetE1EEEvSY_,comdat
	.globl	_ZN7rocprim17ROCPRIM_400000_NS6detail17trampoline_kernelINS0_13select_configILj256ELj13ELNS0_17block_load_methodE3ELS4_3ELS4_3ELNS0_20block_scan_algorithmE0ELj4294967295EEENS1_25partition_config_selectorILNS1_17partition_subalgoE3EjNS0_10empty_typeEbEEZZNS1_14partition_implILS8_3ELb0ES6_jNS0_17counting_iteratorIjlEEPS9_SE_NS0_5tupleIJPjSE_EEENSF_IJSE_SE_EEES9_SG_JZNS1_25segmented_radix_sort_implINS0_14default_configELb1EPKiPiPKlPlN2at6native12_GLOBAL__N_18offset_tEEE10hipError_tPvRmT1_PNSt15iterator_traitsISY_E10value_typeET2_T3_PNSZ_IS14_E10value_typeET4_jRbjT5_S1A_jjP12ihipStream_tbEUljE_EEESV_SW_SX_S14_S18_S1A_T6_T7_T9_mT8_S1C_bDpT10_ENKUlT_T0_E_clISt17integral_constantIbLb0EES1P_EEDaS1K_S1L_EUlS1K_E_NS1_11comp_targetILNS1_3genE8ELNS1_11target_archE1030ELNS1_3gpuE2ELNS1_3repE0EEENS1_30default_config_static_selectorELNS0_4arch9wavefront6targetE1EEEvSY_ ; -- Begin function _ZN7rocprim17ROCPRIM_400000_NS6detail17trampoline_kernelINS0_13select_configILj256ELj13ELNS0_17block_load_methodE3ELS4_3ELS4_3ELNS0_20block_scan_algorithmE0ELj4294967295EEENS1_25partition_config_selectorILNS1_17partition_subalgoE3EjNS0_10empty_typeEbEEZZNS1_14partition_implILS8_3ELb0ES6_jNS0_17counting_iteratorIjlEEPS9_SE_NS0_5tupleIJPjSE_EEENSF_IJSE_SE_EEES9_SG_JZNS1_25segmented_radix_sort_implINS0_14default_configELb1EPKiPiPKlPlN2at6native12_GLOBAL__N_18offset_tEEE10hipError_tPvRmT1_PNSt15iterator_traitsISY_E10value_typeET2_T3_PNSZ_IS14_E10value_typeET4_jRbjT5_S1A_jjP12ihipStream_tbEUljE_EEESV_SW_SX_S14_S18_S1A_T6_T7_T9_mT8_S1C_bDpT10_ENKUlT_T0_E_clISt17integral_constantIbLb0EES1P_EEDaS1K_S1L_EUlS1K_E_NS1_11comp_targetILNS1_3genE8ELNS1_11target_archE1030ELNS1_3gpuE2ELNS1_3repE0EEENS1_30default_config_static_selectorELNS0_4arch9wavefront6targetE1EEEvSY_
	.p2align	8
	.type	_ZN7rocprim17ROCPRIM_400000_NS6detail17trampoline_kernelINS0_13select_configILj256ELj13ELNS0_17block_load_methodE3ELS4_3ELS4_3ELNS0_20block_scan_algorithmE0ELj4294967295EEENS1_25partition_config_selectorILNS1_17partition_subalgoE3EjNS0_10empty_typeEbEEZZNS1_14partition_implILS8_3ELb0ES6_jNS0_17counting_iteratorIjlEEPS9_SE_NS0_5tupleIJPjSE_EEENSF_IJSE_SE_EEES9_SG_JZNS1_25segmented_radix_sort_implINS0_14default_configELb1EPKiPiPKlPlN2at6native12_GLOBAL__N_18offset_tEEE10hipError_tPvRmT1_PNSt15iterator_traitsISY_E10value_typeET2_T3_PNSZ_IS14_E10value_typeET4_jRbjT5_S1A_jjP12ihipStream_tbEUljE_EEESV_SW_SX_S14_S18_S1A_T6_T7_T9_mT8_S1C_bDpT10_ENKUlT_T0_E_clISt17integral_constantIbLb0EES1P_EEDaS1K_S1L_EUlS1K_E_NS1_11comp_targetILNS1_3genE8ELNS1_11target_archE1030ELNS1_3gpuE2ELNS1_3repE0EEENS1_30default_config_static_selectorELNS0_4arch9wavefront6targetE1EEEvSY_,@function
_ZN7rocprim17ROCPRIM_400000_NS6detail17trampoline_kernelINS0_13select_configILj256ELj13ELNS0_17block_load_methodE3ELS4_3ELS4_3ELNS0_20block_scan_algorithmE0ELj4294967295EEENS1_25partition_config_selectorILNS1_17partition_subalgoE3EjNS0_10empty_typeEbEEZZNS1_14partition_implILS8_3ELb0ES6_jNS0_17counting_iteratorIjlEEPS9_SE_NS0_5tupleIJPjSE_EEENSF_IJSE_SE_EEES9_SG_JZNS1_25segmented_radix_sort_implINS0_14default_configELb1EPKiPiPKlPlN2at6native12_GLOBAL__N_18offset_tEEE10hipError_tPvRmT1_PNSt15iterator_traitsISY_E10value_typeET2_T3_PNSZ_IS14_E10value_typeET4_jRbjT5_S1A_jjP12ihipStream_tbEUljE_EEESV_SW_SX_S14_S18_S1A_T6_T7_T9_mT8_S1C_bDpT10_ENKUlT_T0_E_clISt17integral_constantIbLb0EES1P_EEDaS1K_S1L_EUlS1K_E_NS1_11comp_targetILNS1_3genE8ELNS1_11target_archE1030ELNS1_3gpuE2ELNS1_3repE0EEENS1_30default_config_static_selectorELNS0_4arch9wavefront6targetE1EEEvSY_: ; @_ZN7rocprim17ROCPRIM_400000_NS6detail17trampoline_kernelINS0_13select_configILj256ELj13ELNS0_17block_load_methodE3ELS4_3ELS4_3ELNS0_20block_scan_algorithmE0ELj4294967295EEENS1_25partition_config_selectorILNS1_17partition_subalgoE3EjNS0_10empty_typeEbEEZZNS1_14partition_implILS8_3ELb0ES6_jNS0_17counting_iteratorIjlEEPS9_SE_NS0_5tupleIJPjSE_EEENSF_IJSE_SE_EEES9_SG_JZNS1_25segmented_radix_sort_implINS0_14default_configELb1EPKiPiPKlPlN2at6native12_GLOBAL__N_18offset_tEEE10hipError_tPvRmT1_PNSt15iterator_traitsISY_E10value_typeET2_T3_PNSZ_IS14_E10value_typeET4_jRbjT5_S1A_jjP12ihipStream_tbEUljE_EEESV_SW_SX_S14_S18_S1A_T6_T7_T9_mT8_S1C_bDpT10_ENKUlT_T0_E_clISt17integral_constantIbLb0EES1P_EEDaS1K_S1L_EUlS1K_E_NS1_11comp_targetILNS1_3genE8ELNS1_11target_archE1030ELNS1_3gpuE2ELNS1_3repE0EEENS1_30default_config_static_selectorELNS0_4arch9wavefront6targetE1EEEvSY_
; %bb.0:
	.section	.rodata,"a",@progbits
	.p2align	6, 0x0
	.amdhsa_kernel _ZN7rocprim17ROCPRIM_400000_NS6detail17trampoline_kernelINS0_13select_configILj256ELj13ELNS0_17block_load_methodE3ELS4_3ELS4_3ELNS0_20block_scan_algorithmE0ELj4294967295EEENS1_25partition_config_selectorILNS1_17partition_subalgoE3EjNS0_10empty_typeEbEEZZNS1_14partition_implILS8_3ELb0ES6_jNS0_17counting_iteratorIjlEEPS9_SE_NS0_5tupleIJPjSE_EEENSF_IJSE_SE_EEES9_SG_JZNS1_25segmented_radix_sort_implINS0_14default_configELb1EPKiPiPKlPlN2at6native12_GLOBAL__N_18offset_tEEE10hipError_tPvRmT1_PNSt15iterator_traitsISY_E10value_typeET2_T3_PNSZ_IS14_E10value_typeET4_jRbjT5_S1A_jjP12ihipStream_tbEUljE_EEESV_SW_SX_S14_S18_S1A_T6_T7_T9_mT8_S1C_bDpT10_ENKUlT_T0_E_clISt17integral_constantIbLb0EES1P_EEDaS1K_S1L_EUlS1K_E_NS1_11comp_targetILNS1_3genE8ELNS1_11target_archE1030ELNS1_3gpuE2ELNS1_3repE0EEENS1_30default_config_static_selectorELNS0_4arch9wavefront6targetE1EEEvSY_
		.amdhsa_group_segment_fixed_size 0
		.amdhsa_private_segment_fixed_size 0
		.amdhsa_kernarg_size 144
		.amdhsa_user_sgpr_count 6
		.amdhsa_user_sgpr_private_segment_buffer 1
		.amdhsa_user_sgpr_dispatch_ptr 0
		.amdhsa_user_sgpr_queue_ptr 0
		.amdhsa_user_sgpr_kernarg_segment_ptr 1
		.amdhsa_user_sgpr_dispatch_id 0
		.amdhsa_user_sgpr_flat_scratch_init 0
		.amdhsa_user_sgpr_kernarg_preload_length 0
		.amdhsa_user_sgpr_kernarg_preload_offset 0
		.amdhsa_user_sgpr_private_segment_size 0
		.amdhsa_uses_dynamic_stack 0
		.amdhsa_system_sgpr_private_segment_wavefront_offset 0
		.amdhsa_system_sgpr_workgroup_id_x 1
		.amdhsa_system_sgpr_workgroup_id_y 0
		.amdhsa_system_sgpr_workgroup_id_z 0
		.amdhsa_system_sgpr_workgroup_info 0
		.amdhsa_system_vgpr_workitem_id 0
		.amdhsa_next_free_vgpr 1
		.amdhsa_next_free_sgpr 0
		.amdhsa_accum_offset 4
		.amdhsa_reserve_vcc 0
		.amdhsa_reserve_flat_scratch 0
		.amdhsa_float_round_mode_32 0
		.amdhsa_float_round_mode_16_64 0
		.amdhsa_float_denorm_mode_32 3
		.amdhsa_float_denorm_mode_16_64 3
		.amdhsa_dx10_clamp 1
		.amdhsa_ieee_mode 1
		.amdhsa_fp16_overflow 0
		.amdhsa_tg_split 0
		.amdhsa_exception_fp_ieee_invalid_op 0
		.amdhsa_exception_fp_denorm_src 0
		.amdhsa_exception_fp_ieee_div_zero 0
		.amdhsa_exception_fp_ieee_overflow 0
		.amdhsa_exception_fp_ieee_underflow 0
		.amdhsa_exception_fp_ieee_inexact 0
		.amdhsa_exception_int_div_zero 0
	.end_amdhsa_kernel
	.section	.text._ZN7rocprim17ROCPRIM_400000_NS6detail17trampoline_kernelINS0_13select_configILj256ELj13ELNS0_17block_load_methodE3ELS4_3ELS4_3ELNS0_20block_scan_algorithmE0ELj4294967295EEENS1_25partition_config_selectorILNS1_17partition_subalgoE3EjNS0_10empty_typeEbEEZZNS1_14partition_implILS8_3ELb0ES6_jNS0_17counting_iteratorIjlEEPS9_SE_NS0_5tupleIJPjSE_EEENSF_IJSE_SE_EEES9_SG_JZNS1_25segmented_radix_sort_implINS0_14default_configELb1EPKiPiPKlPlN2at6native12_GLOBAL__N_18offset_tEEE10hipError_tPvRmT1_PNSt15iterator_traitsISY_E10value_typeET2_T3_PNSZ_IS14_E10value_typeET4_jRbjT5_S1A_jjP12ihipStream_tbEUljE_EEESV_SW_SX_S14_S18_S1A_T6_T7_T9_mT8_S1C_bDpT10_ENKUlT_T0_E_clISt17integral_constantIbLb0EES1P_EEDaS1K_S1L_EUlS1K_E_NS1_11comp_targetILNS1_3genE8ELNS1_11target_archE1030ELNS1_3gpuE2ELNS1_3repE0EEENS1_30default_config_static_selectorELNS0_4arch9wavefront6targetE1EEEvSY_,"axG",@progbits,_ZN7rocprim17ROCPRIM_400000_NS6detail17trampoline_kernelINS0_13select_configILj256ELj13ELNS0_17block_load_methodE3ELS4_3ELS4_3ELNS0_20block_scan_algorithmE0ELj4294967295EEENS1_25partition_config_selectorILNS1_17partition_subalgoE3EjNS0_10empty_typeEbEEZZNS1_14partition_implILS8_3ELb0ES6_jNS0_17counting_iteratorIjlEEPS9_SE_NS0_5tupleIJPjSE_EEENSF_IJSE_SE_EEES9_SG_JZNS1_25segmented_radix_sort_implINS0_14default_configELb1EPKiPiPKlPlN2at6native12_GLOBAL__N_18offset_tEEE10hipError_tPvRmT1_PNSt15iterator_traitsISY_E10value_typeET2_T3_PNSZ_IS14_E10value_typeET4_jRbjT5_S1A_jjP12ihipStream_tbEUljE_EEESV_SW_SX_S14_S18_S1A_T6_T7_T9_mT8_S1C_bDpT10_ENKUlT_T0_E_clISt17integral_constantIbLb0EES1P_EEDaS1K_S1L_EUlS1K_E_NS1_11comp_targetILNS1_3genE8ELNS1_11target_archE1030ELNS1_3gpuE2ELNS1_3repE0EEENS1_30default_config_static_selectorELNS0_4arch9wavefront6targetE1EEEvSY_,comdat
.Lfunc_end472:
	.size	_ZN7rocprim17ROCPRIM_400000_NS6detail17trampoline_kernelINS0_13select_configILj256ELj13ELNS0_17block_load_methodE3ELS4_3ELS4_3ELNS0_20block_scan_algorithmE0ELj4294967295EEENS1_25partition_config_selectorILNS1_17partition_subalgoE3EjNS0_10empty_typeEbEEZZNS1_14partition_implILS8_3ELb0ES6_jNS0_17counting_iteratorIjlEEPS9_SE_NS0_5tupleIJPjSE_EEENSF_IJSE_SE_EEES9_SG_JZNS1_25segmented_radix_sort_implINS0_14default_configELb1EPKiPiPKlPlN2at6native12_GLOBAL__N_18offset_tEEE10hipError_tPvRmT1_PNSt15iterator_traitsISY_E10value_typeET2_T3_PNSZ_IS14_E10value_typeET4_jRbjT5_S1A_jjP12ihipStream_tbEUljE_EEESV_SW_SX_S14_S18_S1A_T6_T7_T9_mT8_S1C_bDpT10_ENKUlT_T0_E_clISt17integral_constantIbLb0EES1P_EEDaS1K_S1L_EUlS1K_E_NS1_11comp_targetILNS1_3genE8ELNS1_11target_archE1030ELNS1_3gpuE2ELNS1_3repE0EEENS1_30default_config_static_selectorELNS0_4arch9wavefront6targetE1EEEvSY_, .Lfunc_end472-_ZN7rocprim17ROCPRIM_400000_NS6detail17trampoline_kernelINS0_13select_configILj256ELj13ELNS0_17block_load_methodE3ELS4_3ELS4_3ELNS0_20block_scan_algorithmE0ELj4294967295EEENS1_25partition_config_selectorILNS1_17partition_subalgoE3EjNS0_10empty_typeEbEEZZNS1_14partition_implILS8_3ELb0ES6_jNS0_17counting_iteratorIjlEEPS9_SE_NS0_5tupleIJPjSE_EEENSF_IJSE_SE_EEES9_SG_JZNS1_25segmented_radix_sort_implINS0_14default_configELb1EPKiPiPKlPlN2at6native12_GLOBAL__N_18offset_tEEE10hipError_tPvRmT1_PNSt15iterator_traitsISY_E10value_typeET2_T3_PNSZ_IS14_E10value_typeET4_jRbjT5_S1A_jjP12ihipStream_tbEUljE_EEESV_SW_SX_S14_S18_S1A_T6_T7_T9_mT8_S1C_bDpT10_ENKUlT_T0_E_clISt17integral_constantIbLb0EES1P_EEDaS1K_S1L_EUlS1K_E_NS1_11comp_targetILNS1_3genE8ELNS1_11target_archE1030ELNS1_3gpuE2ELNS1_3repE0EEENS1_30default_config_static_selectorELNS0_4arch9wavefront6targetE1EEEvSY_
                                        ; -- End function
	.section	.AMDGPU.csdata,"",@progbits
; Kernel info:
; codeLenInByte = 0
; NumSgprs: 4
; NumVgprs: 0
; NumAgprs: 0
; TotalNumVgprs: 0
; ScratchSize: 0
; MemoryBound: 0
; FloatMode: 240
; IeeeMode: 1
; LDSByteSize: 0 bytes/workgroup (compile time only)
; SGPRBlocks: 0
; VGPRBlocks: 0
; NumSGPRsForWavesPerEU: 4
; NumVGPRsForWavesPerEU: 1
; AccumOffset: 4
; Occupancy: 8
; WaveLimiterHint : 0
; COMPUTE_PGM_RSRC2:SCRATCH_EN: 0
; COMPUTE_PGM_RSRC2:USER_SGPR: 6
; COMPUTE_PGM_RSRC2:TRAP_HANDLER: 0
; COMPUTE_PGM_RSRC2:TGID_X_EN: 1
; COMPUTE_PGM_RSRC2:TGID_Y_EN: 0
; COMPUTE_PGM_RSRC2:TGID_Z_EN: 0
; COMPUTE_PGM_RSRC2:TIDIG_COMP_CNT: 0
; COMPUTE_PGM_RSRC3_GFX90A:ACCUM_OFFSET: 0
; COMPUTE_PGM_RSRC3_GFX90A:TG_SPLIT: 0
	.section	.text._ZN7rocprim17ROCPRIM_400000_NS6detail17trampoline_kernelINS0_13select_configILj256ELj13ELNS0_17block_load_methodE3ELS4_3ELS4_3ELNS0_20block_scan_algorithmE0ELj4294967295EEENS1_25partition_config_selectorILNS1_17partition_subalgoE3EjNS0_10empty_typeEbEEZZNS1_14partition_implILS8_3ELb0ES6_jNS0_17counting_iteratorIjlEEPS9_SE_NS0_5tupleIJPjSE_EEENSF_IJSE_SE_EEES9_SG_JZNS1_25segmented_radix_sort_implINS0_14default_configELb1EPKiPiPKlPlN2at6native12_GLOBAL__N_18offset_tEEE10hipError_tPvRmT1_PNSt15iterator_traitsISY_E10value_typeET2_T3_PNSZ_IS14_E10value_typeET4_jRbjT5_S1A_jjP12ihipStream_tbEUljE_EEESV_SW_SX_S14_S18_S1A_T6_T7_T9_mT8_S1C_bDpT10_ENKUlT_T0_E_clISt17integral_constantIbLb1EES1P_EEDaS1K_S1L_EUlS1K_E_NS1_11comp_targetILNS1_3genE0ELNS1_11target_archE4294967295ELNS1_3gpuE0ELNS1_3repE0EEENS1_30default_config_static_selectorELNS0_4arch9wavefront6targetE1EEEvSY_,"axG",@progbits,_ZN7rocprim17ROCPRIM_400000_NS6detail17trampoline_kernelINS0_13select_configILj256ELj13ELNS0_17block_load_methodE3ELS4_3ELS4_3ELNS0_20block_scan_algorithmE0ELj4294967295EEENS1_25partition_config_selectorILNS1_17partition_subalgoE3EjNS0_10empty_typeEbEEZZNS1_14partition_implILS8_3ELb0ES6_jNS0_17counting_iteratorIjlEEPS9_SE_NS0_5tupleIJPjSE_EEENSF_IJSE_SE_EEES9_SG_JZNS1_25segmented_radix_sort_implINS0_14default_configELb1EPKiPiPKlPlN2at6native12_GLOBAL__N_18offset_tEEE10hipError_tPvRmT1_PNSt15iterator_traitsISY_E10value_typeET2_T3_PNSZ_IS14_E10value_typeET4_jRbjT5_S1A_jjP12ihipStream_tbEUljE_EEESV_SW_SX_S14_S18_S1A_T6_T7_T9_mT8_S1C_bDpT10_ENKUlT_T0_E_clISt17integral_constantIbLb1EES1P_EEDaS1K_S1L_EUlS1K_E_NS1_11comp_targetILNS1_3genE0ELNS1_11target_archE4294967295ELNS1_3gpuE0ELNS1_3repE0EEENS1_30default_config_static_selectorELNS0_4arch9wavefront6targetE1EEEvSY_,comdat
	.globl	_ZN7rocprim17ROCPRIM_400000_NS6detail17trampoline_kernelINS0_13select_configILj256ELj13ELNS0_17block_load_methodE3ELS4_3ELS4_3ELNS0_20block_scan_algorithmE0ELj4294967295EEENS1_25partition_config_selectorILNS1_17partition_subalgoE3EjNS0_10empty_typeEbEEZZNS1_14partition_implILS8_3ELb0ES6_jNS0_17counting_iteratorIjlEEPS9_SE_NS0_5tupleIJPjSE_EEENSF_IJSE_SE_EEES9_SG_JZNS1_25segmented_radix_sort_implINS0_14default_configELb1EPKiPiPKlPlN2at6native12_GLOBAL__N_18offset_tEEE10hipError_tPvRmT1_PNSt15iterator_traitsISY_E10value_typeET2_T3_PNSZ_IS14_E10value_typeET4_jRbjT5_S1A_jjP12ihipStream_tbEUljE_EEESV_SW_SX_S14_S18_S1A_T6_T7_T9_mT8_S1C_bDpT10_ENKUlT_T0_E_clISt17integral_constantIbLb1EES1P_EEDaS1K_S1L_EUlS1K_E_NS1_11comp_targetILNS1_3genE0ELNS1_11target_archE4294967295ELNS1_3gpuE0ELNS1_3repE0EEENS1_30default_config_static_selectorELNS0_4arch9wavefront6targetE1EEEvSY_ ; -- Begin function _ZN7rocprim17ROCPRIM_400000_NS6detail17trampoline_kernelINS0_13select_configILj256ELj13ELNS0_17block_load_methodE3ELS4_3ELS4_3ELNS0_20block_scan_algorithmE0ELj4294967295EEENS1_25partition_config_selectorILNS1_17partition_subalgoE3EjNS0_10empty_typeEbEEZZNS1_14partition_implILS8_3ELb0ES6_jNS0_17counting_iteratorIjlEEPS9_SE_NS0_5tupleIJPjSE_EEENSF_IJSE_SE_EEES9_SG_JZNS1_25segmented_radix_sort_implINS0_14default_configELb1EPKiPiPKlPlN2at6native12_GLOBAL__N_18offset_tEEE10hipError_tPvRmT1_PNSt15iterator_traitsISY_E10value_typeET2_T3_PNSZ_IS14_E10value_typeET4_jRbjT5_S1A_jjP12ihipStream_tbEUljE_EEESV_SW_SX_S14_S18_S1A_T6_T7_T9_mT8_S1C_bDpT10_ENKUlT_T0_E_clISt17integral_constantIbLb1EES1P_EEDaS1K_S1L_EUlS1K_E_NS1_11comp_targetILNS1_3genE0ELNS1_11target_archE4294967295ELNS1_3gpuE0ELNS1_3repE0EEENS1_30default_config_static_selectorELNS0_4arch9wavefront6targetE1EEEvSY_
	.p2align	8
	.type	_ZN7rocprim17ROCPRIM_400000_NS6detail17trampoline_kernelINS0_13select_configILj256ELj13ELNS0_17block_load_methodE3ELS4_3ELS4_3ELNS0_20block_scan_algorithmE0ELj4294967295EEENS1_25partition_config_selectorILNS1_17partition_subalgoE3EjNS0_10empty_typeEbEEZZNS1_14partition_implILS8_3ELb0ES6_jNS0_17counting_iteratorIjlEEPS9_SE_NS0_5tupleIJPjSE_EEENSF_IJSE_SE_EEES9_SG_JZNS1_25segmented_radix_sort_implINS0_14default_configELb1EPKiPiPKlPlN2at6native12_GLOBAL__N_18offset_tEEE10hipError_tPvRmT1_PNSt15iterator_traitsISY_E10value_typeET2_T3_PNSZ_IS14_E10value_typeET4_jRbjT5_S1A_jjP12ihipStream_tbEUljE_EEESV_SW_SX_S14_S18_S1A_T6_T7_T9_mT8_S1C_bDpT10_ENKUlT_T0_E_clISt17integral_constantIbLb1EES1P_EEDaS1K_S1L_EUlS1K_E_NS1_11comp_targetILNS1_3genE0ELNS1_11target_archE4294967295ELNS1_3gpuE0ELNS1_3repE0EEENS1_30default_config_static_selectorELNS0_4arch9wavefront6targetE1EEEvSY_,@function
_ZN7rocprim17ROCPRIM_400000_NS6detail17trampoline_kernelINS0_13select_configILj256ELj13ELNS0_17block_load_methodE3ELS4_3ELS4_3ELNS0_20block_scan_algorithmE0ELj4294967295EEENS1_25partition_config_selectorILNS1_17partition_subalgoE3EjNS0_10empty_typeEbEEZZNS1_14partition_implILS8_3ELb0ES6_jNS0_17counting_iteratorIjlEEPS9_SE_NS0_5tupleIJPjSE_EEENSF_IJSE_SE_EEES9_SG_JZNS1_25segmented_radix_sort_implINS0_14default_configELb1EPKiPiPKlPlN2at6native12_GLOBAL__N_18offset_tEEE10hipError_tPvRmT1_PNSt15iterator_traitsISY_E10value_typeET2_T3_PNSZ_IS14_E10value_typeET4_jRbjT5_S1A_jjP12ihipStream_tbEUljE_EEESV_SW_SX_S14_S18_S1A_T6_T7_T9_mT8_S1C_bDpT10_ENKUlT_T0_E_clISt17integral_constantIbLb1EES1P_EEDaS1K_S1L_EUlS1K_E_NS1_11comp_targetILNS1_3genE0ELNS1_11target_archE4294967295ELNS1_3gpuE0ELNS1_3repE0EEENS1_30default_config_static_selectorELNS0_4arch9wavefront6targetE1EEEvSY_: ; @_ZN7rocprim17ROCPRIM_400000_NS6detail17trampoline_kernelINS0_13select_configILj256ELj13ELNS0_17block_load_methodE3ELS4_3ELS4_3ELNS0_20block_scan_algorithmE0ELj4294967295EEENS1_25partition_config_selectorILNS1_17partition_subalgoE3EjNS0_10empty_typeEbEEZZNS1_14partition_implILS8_3ELb0ES6_jNS0_17counting_iteratorIjlEEPS9_SE_NS0_5tupleIJPjSE_EEENSF_IJSE_SE_EEES9_SG_JZNS1_25segmented_radix_sort_implINS0_14default_configELb1EPKiPiPKlPlN2at6native12_GLOBAL__N_18offset_tEEE10hipError_tPvRmT1_PNSt15iterator_traitsISY_E10value_typeET2_T3_PNSZ_IS14_E10value_typeET4_jRbjT5_S1A_jjP12ihipStream_tbEUljE_EEESV_SW_SX_S14_S18_S1A_T6_T7_T9_mT8_S1C_bDpT10_ENKUlT_T0_E_clISt17integral_constantIbLb1EES1P_EEDaS1K_S1L_EUlS1K_E_NS1_11comp_targetILNS1_3genE0ELNS1_11target_archE4294967295ELNS1_3gpuE0ELNS1_3repE0EEENS1_30default_config_static_selectorELNS0_4arch9wavefront6targetE1EEEvSY_
; %bb.0:
	.section	.rodata,"a",@progbits
	.p2align	6, 0x0
	.amdhsa_kernel _ZN7rocprim17ROCPRIM_400000_NS6detail17trampoline_kernelINS0_13select_configILj256ELj13ELNS0_17block_load_methodE3ELS4_3ELS4_3ELNS0_20block_scan_algorithmE0ELj4294967295EEENS1_25partition_config_selectorILNS1_17partition_subalgoE3EjNS0_10empty_typeEbEEZZNS1_14partition_implILS8_3ELb0ES6_jNS0_17counting_iteratorIjlEEPS9_SE_NS0_5tupleIJPjSE_EEENSF_IJSE_SE_EEES9_SG_JZNS1_25segmented_radix_sort_implINS0_14default_configELb1EPKiPiPKlPlN2at6native12_GLOBAL__N_18offset_tEEE10hipError_tPvRmT1_PNSt15iterator_traitsISY_E10value_typeET2_T3_PNSZ_IS14_E10value_typeET4_jRbjT5_S1A_jjP12ihipStream_tbEUljE_EEESV_SW_SX_S14_S18_S1A_T6_T7_T9_mT8_S1C_bDpT10_ENKUlT_T0_E_clISt17integral_constantIbLb1EES1P_EEDaS1K_S1L_EUlS1K_E_NS1_11comp_targetILNS1_3genE0ELNS1_11target_archE4294967295ELNS1_3gpuE0ELNS1_3repE0EEENS1_30default_config_static_selectorELNS0_4arch9wavefront6targetE1EEEvSY_
		.amdhsa_group_segment_fixed_size 0
		.amdhsa_private_segment_fixed_size 0
		.amdhsa_kernarg_size 152
		.amdhsa_user_sgpr_count 6
		.amdhsa_user_sgpr_private_segment_buffer 1
		.amdhsa_user_sgpr_dispatch_ptr 0
		.amdhsa_user_sgpr_queue_ptr 0
		.amdhsa_user_sgpr_kernarg_segment_ptr 1
		.amdhsa_user_sgpr_dispatch_id 0
		.amdhsa_user_sgpr_flat_scratch_init 0
		.amdhsa_user_sgpr_kernarg_preload_length 0
		.amdhsa_user_sgpr_kernarg_preload_offset 0
		.amdhsa_user_sgpr_private_segment_size 0
		.amdhsa_uses_dynamic_stack 0
		.amdhsa_system_sgpr_private_segment_wavefront_offset 0
		.amdhsa_system_sgpr_workgroup_id_x 1
		.amdhsa_system_sgpr_workgroup_id_y 0
		.amdhsa_system_sgpr_workgroup_id_z 0
		.amdhsa_system_sgpr_workgroup_info 0
		.amdhsa_system_vgpr_workitem_id 0
		.amdhsa_next_free_vgpr 1
		.amdhsa_next_free_sgpr 0
		.amdhsa_accum_offset 4
		.amdhsa_reserve_vcc 0
		.amdhsa_reserve_flat_scratch 0
		.amdhsa_float_round_mode_32 0
		.amdhsa_float_round_mode_16_64 0
		.amdhsa_float_denorm_mode_32 3
		.amdhsa_float_denorm_mode_16_64 3
		.amdhsa_dx10_clamp 1
		.amdhsa_ieee_mode 1
		.amdhsa_fp16_overflow 0
		.amdhsa_tg_split 0
		.amdhsa_exception_fp_ieee_invalid_op 0
		.amdhsa_exception_fp_denorm_src 0
		.amdhsa_exception_fp_ieee_div_zero 0
		.amdhsa_exception_fp_ieee_overflow 0
		.amdhsa_exception_fp_ieee_underflow 0
		.amdhsa_exception_fp_ieee_inexact 0
		.amdhsa_exception_int_div_zero 0
	.end_amdhsa_kernel
	.section	.text._ZN7rocprim17ROCPRIM_400000_NS6detail17trampoline_kernelINS0_13select_configILj256ELj13ELNS0_17block_load_methodE3ELS4_3ELS4_3ELNS0_20block_scan_algorithmE0ELj4294967295EEENS1_25partition_config_selectorILNS1_17partition_subalgoE3EjNS0_10empty_typeEbEEZZNS1_14partition_implILS8_3ELb0ES6_jNS0_17counting_iteratorIjlEEPS9_SE_NS0_5tupleIJPjSE_EEENSF_IJSE_SE_EEES9_SG_JZNS1_25segmented_radix_sort_implINS0_14default_configELb1EPKiPiPKlPlN2at6native12_GLOBAL__N_18offset_tEEE10hipError_tPvRmT1_PNSt15iterator_traitsISY_E10value_typeET2_T3_PNSZ_IS14_E10value_typeET4_jRbjT5_S1A_jjP12ihipStream_tbEUljE_EEESV_SW_SX_S14_S18_S1A_T6_T7_T9_mT8_S1C_bDpT10_ENKUlT_T0_E_clISt17integral_constantIbLb1EES1P_EEDaS1K_S1L_EUlS1K_E_NS1_11comp_targetILNS1_3genE0ELNS1_11target_archE4294967295ELNS1_3gpuE0ELNS1_3repE0EEENS1_30default_config_static_selectorELNS0_4arch9wavefront6targetE1EEEvSY_,"axG",@progbits,_ZN7rocprim17ROCPRIM_400000_NS6detail17trampoline_kernelINS0_13select_configILj256ELj13ELNS0_17block_load_methodE3ELS4_3ELS4_3ELNS0_20block_scan_algorithmE0ELj4294967295EEENS1_25partition_config_selectorILNS1_17partition_subalgoE3EjNS0_10empty_typeEbEEZZNS1_14partition_implILS8_3ELb0ES6_jNS0_17counting_iteratorIjlEEPS9_SE_NS0_5tupleIJPjSE_EEENSF_IJSE_SE_EEES9_SG_JZNS1_25segmented_radix_sort_implINS0_14default_configELb1EPKiPiPKlPlN2at6native12_GLOBAL__N_18offset_tEEE10hipError_tPvRmT1_PNSt15iterator_traitsISY_E10value_typeET2_T3_PNSZ_IS14_E10value_typeET4_jRbjT5_S1A_jjP12ihipStream_tbEUljE_EEESV_SW_SX_S14_S18_S1A_T6_T7_T9_mT8_S1C_bDpT10_ENKUlT_T0_E_clISt17integral_constantIbLb1EES1P_EEDaS1K_S1L_EUlS1K_E_NS1_11comp_targetILNS1_3genE0ELNS1_11target_archE4294967295ELNS1_3gpuE0ELNS1_3repE0EEENS1_30default_config_static_selectorELNS0_4arch9wavefront6targetE1EEEvSY_,comdat
.Lfunc_end473:
	.size	_ZN7rocprim17ROCPRIM_400000_NS6detail17trampoline_kernelINS0_13select_configILj256ELj13ELNS0_17block_load_methodE3ELS4_3ELS4_3ELNS0_20block_scan_algorithmE0ELj4294967295EEENS1_25partition_config_selectorILNS1_17partition_subalgoE3EjNS0_10empty_typeEbEEZZNS1_14partition_implILS8_3ELb0ES6_jNS0_17counting_iteratorIjlEEPS9_SE_NS0_5tupleIJPjSE_EEENSF_IJSE_SE_EEES9_SG_JZNS1_25segmented_radix_sort_implINS0_14default_configELb1EPKiPiPKlPlN2at6native12_GLOBAL__N_18offset_tEEE10hipError_tPvRmT1_PNSt15iterator_traitsISY_E10value_typeET2_T3_PNSZ_IS14_E10value_typeET4_jRbjT5_S1A_jjP12ihipStream_tbEUljE_EEESV_SW_SX_S14_S18_S1A_T6_T7_T9_mT8_S1C_bDpT10_ENKUlT_T0_E_clISt17integral_constantIbLb1EES1P_EEDaS1K_S1L_EUlS1K_E_NS1_11comp_targetILNS1_3genE0ELNS1_11target_archE4294967295ELNS1_3gpuE0ELNS1_3repE0EEENS1_30default_config_static_selectorELNS0_4arch9wavefront6targetE1EEEvSY_, .Lfunc_end473-_ZN7rocprim17ROCPRIM_400000_NS6detail17trampoline_kernelINS0_13select_configILj256ELj13ELNS0_17block_load_methodE3ELS4_3ELS4_3ELNS0_20block_scan_algorithmE0ELj4294967295EEENS1_25partition_config_selectorILNS1_17partition_subalgoE3EjNS0_10empty_typeEbEEZZNS1_14partition_implILS8_3ELb0ES6_jNS0_17counting_iteratorIjlEEPS9_SE_NS0_5tupleIJPjSE_EEENSF_IJSE_SE_EEES9_SG_JZNS1_25segmented_radix_sort_implINS0_14default_configELb1EPKiPiPKlPlN2at6native12_GLOBAL__N_18offset_tEEE10hipError_tPvRmT1_PNSt15iterator_traitsISY_E10value_typeET2_T3_PNSZ_IS14_E10value_typeET4_jRbjT5_S1A_jjP12ihipStream_tbEUljE_EEESV_SW_SX_S14_S18_S1A_T6_T7_T9_mT8_S1C_bDpT10_ENKUlT_T0_E_clISt17integral_constantIbLb1EES1P_EEDaS1K_S1L_EUlS1K_E_NS1_11comp_targetILNS1_3genE0ELNS1_11target_archE4294967295ELNS1_3gpuE0ELNS1_3repE0EEENS1_30default_config_static_selectorELNS0_4arch9wavefront6targetE1EEEvSY_
                                        ; -- End function
	.section	.AMDGPU.csdata,"",@progbits
; Kernel info:
; codeLenInByte = 0
; NumSgprs: 4
; NumVgprs: 0
; NumAgprs: 0
; TotalNumVgprs: 0
; ScratchSize: 0
; MemoryBound: 0
; FloatMode: 240
; IeeeMode: 1
; LDSByteSize: 0 bytes/workgroup (compile time only)
; SGPRBlocks: 0
; VGPRBlocks: 0
; NumSGPRsForWavesPerEU: 4
; NumVGPRsForWavesPerEU: 1
; AccumOffset: 4
; Occupancy: 8
; WaveLimiterHint : 0
; COMPUTE_PGM_RSRC2:SCRATCH_EN: 0
; COMPUTE_PGM_RSRC2:USER_SGPR: 6
; COMPUTE_PGM_RSRC2:TRAP_HANDLER: 0
; COMPUTE_PGM_RSRC2:TGID_X_EN: 1
; COMPUTE_PGM_RSRC2:TGID_Y_EN: 0
; COMPUTE_PGM_RSRC2:TGID_Z_EN: 0
; COMPUTE_PGM_RSRC2:TIDIG_COMP_CNT: 0
; COMPUTE_PGM_RSRC3_GFX90A:ACCUM_OFFSET: 0
; COMPUTE_PGM_RSRC3_GFX90A:TG_SPLIT: 0
	.section	.text._ZN7rocprim17ROCPRIM_400000_NS6detail17trampoline_kernelINS0_13select_configILj256ELj13ELNS0_17block_load_methodE3ELS4_3ELS4_3ELNS0_20block_scan_algorithmE0ELj4294967295EEENS1_25partition_config_selectorILNS1_17partition_subalgoE3EjNS0_10empty_typeEbEEZZNS1_14partition_implILS8_3ELb0ES6_jNS0_17counting_iteratorIjlEEPS9_SE_NS0_5tupleIJPjSE_EEENSF_IJSE_SE_EEES9_SG_JZNS1_25segmented_radix_sort_implINS0_14default_configELb1EPKiPiPKlPlN2at6native12_GLOBAL__N_18offset_tEEE10hipError_tPvRmT1_PNSt15iterator_traitsISY_E10value_typeET2_T3_PNSZ_IS14_E10value_typeET4_jRbjT5_S1A_jjP12ihipStream_tbEUljE_EEESV_SW_SX_S14_S18_S1A_T6_T7_T9_mT8_S1C_bDpT10_ENKUlT_T0_E_clISt17integral_constantIbLb1EES1P_EEDaS1K_S1L_EUlS1K_E_NS1_11comp_targetILNS1_3genE5ELNS1_11target_archE942ELNS1_3gpuE9ELNS1_3repE0EEENS1_30default_config_static_selectorELNS0_4arch9wavefront6targetE1EEEvSY_,"axG",@progbits,_ZN7rocprim17ROCPRIM_400000_NS6detail17trampoline_kernelINS0_13select_configILj256ELj13ELNS0_17block_load_methodE3ELS4_3ELS4_3ELNS0_20block_scan_algorithmE0ELj4294967295EEENS1_25partition_config_selectorILNS1_17partition_subalgoE3EjNS0_10empty_typeEbEEZZNS1_14partition_implILS8_3ELb0ES6_jNS0_17counting_iteratorIjlEEPS9_SE_NS0_5tupleIJPjSE_EEENSF_IJSE_SE_EEES9_SG_JZNS1_25segmented_radix_sort_implINS0_14default_configELb1EPKiPiPKlPlN2at6native12_GLOBAL__N_18offset_tEEE10hipError_tPvRmT1_PNSt15iterator_traitsISY_E10value_typeET2_T3_PNSZ_IS14_E10value_typeET4_jRbjT5_S1A_jjP12ihipStream_tbEUljE_EEESV_SW_SX_S14_S18_S1A_T6_T7_T9_mT8_S1C_bDpT10_ENKUlT_T0_E_clISt17integral_constantIbLb1EES1P_EEDaS1K_S1L_EUlS1K_E_NS1_11comp_targetILNS1_3genE5ELNS1_11target_archE942ELNS1_3gpuE9ELNS1_3repE0EEENS1_30default_config_static_selectorELNS0_4arch9wavefront6targetE1EEEvSY_,comdat
	.globl	_ZN7rocprim17ROCPRIM_400000_NS6detail17trampoline_kernelINS0_13select_configILj256ELj13ELNS0_17block_load_methodE3ELS4_3ELS4_3ELNS0_20block_scan_algorithmE0ELj4294967295EEENS1_25partition_config_selectorILNS1_17partition_subalgoE3EjNS0_10empty_typeEbEEZZNS1_14partition_implILS8_3ELb0ES6_jNS0_17counting_iteratorIjlEEPS9_SE_NS0_5tupleIJPjSE_EEENSF_IJSE_SE_EEES9_SG_JZNS1_25segmented_radix_sort_implINS0_14default_configELb1EPKiPiPKlPlN2at6native12_GLOBAL__N_18offset_tEEE10hipError_tPvRmT1_PNSt15iterator_traitsISY_E10value_typeET2_T3_PNSZ_IS14_E10value_typeET4_jRbjT5_S1A_jjP12ihipStream_tbEUljE_EEESV_SW_SX_S14_S18_S1A_T6_T7_T9_mT8_S1C_bDpT10_ENKUlT_T0_E_clISt17integral_constantIbLb1EES1P_EEDaS1K_S1L_EUlS1K_E_NS1_11comp_targetILNS1_3genE5ELNS1_11target_archE942ELNS1_3gpuE9ELNS1_3repE0EEENS1_30default_config_static_selectorELNS0_4arch9wavefront6targetE1EEEvSY_ ; -- Begin function _ZN7rocprim17ROCPRIM_400000_NS6detail17trampoline_kernelINS0_13select_configILj256ELj13ELNS0_17block_load_methodE3ELS4_3ELS4_3ELNS0_20block_scan_algorithmE0ELj4294967295EEENS1_25partition_config_selectorILNS1_17partition_subalgoE3EjNS0_10empty_typeEbEEZZNS1_14partition_implILS8_3ELb0ES6_jNS0_17counting_iteratorIjlEEPS9_SE_NS0_5tupleIJPjSE_EEENSF_IJSE_SE_EEES9_SG_JZNS1_25segmented_radix_sort_implINS0_14default_configELb1EPKiPiPKlPlN2at6native12_GLOBAL__N_18offset_tEEE10hipError_tPvRmT1_PNSt15iterator_traitsISY_E10value_typeET2_T3_PNSZ_IS14_E10value_typeET4_jRbjT5_S1A_jjP12ihipStream_tbEUljE_EEESV_SW_SX_S14_S18_S1A_T6_T7_T9_mT8_S1C_bDpT10_ENKUlT_T0_E_clISt17integral_constantIbLb1EES1P_EEDaS1K_S1L_EUlS1K_E_NS1_11comp_targetILNS1_3genE5ELNS1_11target_archE942ELNS1_3gpuE9ELNS1_3repE0EEENS1_30default_config_static_selectorELNS0_4arch9wavefront6targetE1EEEvSY_
	.p2align	8
	.type	_ZN7rocprim17ROCPRIM_400000_NS6detail17trampoline_kernelINS0_13select_configILj256ELj13ELNS0_17block_load_methodE3ELS4_3ELS4_3ELNS0_20block_scan_algorithmE0ELj4294967295EEENS1_25partition_config_selectorILNS1_17partition_subalgoE3EjNS0_10empty_typeEbEEZZNS1_14partition_implILS8_3ELb0ES6_jNS0_17counting_iteratorIjlEEPS9_SE_NS0_5tupleIJPjSE_EEENSF_IJSE_SE_EEES9_SG_JZNS1_25segmented_radix_sort_implINS0_14default_configELb1EPKiPiPKlPlN2at6native12_GLOBAL__N_18offset_tEEE10hipError_tPvRmT1_PNSt15iterator_traitsISY_E10value_typeET2_T3_PNSZ_IS14_E10value_typeET4_jRbjT5_S1A_jjP12ihipStream_tbEUljE_EEESV_SW_SX_S14_S18_S1A_T6_T7_T9_mT8_S1C_bDpT10_ENKUlT_T0_E_clISt17integral_constantIbLb1EES1P_EEDaS1K_S1L_EUlS1K_E_NS1_11comp_targetILNS1_3genE5ELNS1_11target_archE942ELNS1_3gpuE9ELNS1_3repE0EEENS1_30default_config_static_selectorELNS0_4arch9wavefront6targetE1EEEvSY_,@function
_ZN7rocprim17ROCPRIM_400000_NS6detail17trampoline_kernelINS0_13select_configILj256ELj13ELNS0_17block_load_methodE3ELS4_3ELS4_3ELNS0_20block_scan_algorithmE0ELj4294967295EEENS1_25partition_config_selectorILNS1_17partition_subalgoE3EjNS0_10empty_typeEbEEZZNS1_14partition_implILS8_3ELb0ES6_jNS0_17counting_iteratorIjlEEPS9_SE_NS0_5tupleIJPjSE_EEENSF_IJSE_SE_EEES9_SG_JZNS1_25segmented_radix_sort_implINS0_14default_configELb1EPKiPiPKlPlN2at6native12_GLOBAL__N_18offset_tEEE10hipError_tPvRmT1_PNSt15iterator_traitsISY_E10value_typeET2_T3_PNSZ_IS14_E10value_typeET4_jRbjT5_S1A_jjP12ihipStream_tbEUljE_EEESV_SW_SX_S14_S18_S1A_T6_T7_T9_mT8_S1C_bDpT10_ENKUlT_T0_E_clISt17integral_constantIbLb1EES1P_EEDaS1K_S1L_EUlS1K_E_NS1_11comp_targetILNS1_3genE5ELNS1_11target_archE942ELNS1_3gpuE9ELNS1_3repE0EEENS1_30default_config_static_selectorELNS0_4arch9wavefront6targetE1EEEvSY_: ; @_ZN7rocprim17ROCPRIM_400000_NS6detail17trampoline_kernelINS0_13select_configILj256ELj13ELNS0_17block_load_methodE3ELS4_3ELS4_3ELNS0_20block_scan_algorithmE0ELj4294967295EEENS1_25partition_config_selectorILNS1_17partition_subalgoE3EjNS0_10empty_typeEbEEZZNS1_14partition_implILS8_3ELb0ES6_jNS0_17counting_iteratorIjlEEPS9_SE_NS0_5tupleIJPjSE_EEENSF_IJSE_SE_EEES9_SG_JZNS1_25segmented_radix_sort_implINS0_14default_configELb1EPKiPiPKlPlN2at6native12_GLOBAL__N_18offset_tEEE10hipError_tPvRmT1_PNSt15iterator_traitsISY_E10value_typeET2_T3_PNSZ_IS14_E10value_typeET4_jRbjT5_S1A_jjP12ihipStream_tbEUljE_EEESV_SW_SX_S14_S18_S1A_T6_T7_T9_mT8_S1C_bDpT10_ENKUlT_T0_E_clISt17integral_constantIbLb1EES1P_EEDaS1K_S1L_EUlS1K_E_NS1_11comp_targetILNS1_3genE5ELNS1_11target_archE942ELNS1_3gpuE9ELNS1_3repE0EEENS1_30default_config_static_selectorELNS0_4arch9wavefront6targetE1EEEvSY_
; %bb.0:
	.section	.rodata,"a",@progbits
	.p2align	6, 0x0
	.amdhsa_kernel _ZN7rocprim17ROCPRIM_400000_NS6detail17trampoline_kernelINS0_13select_configILj256ELj13ELNS0_17block_load_methodE3ELS4_3ELS4_3ELNS0_20block_scan_algorithmE0ELj4294967295EEENS1_25partition_config_selectorILNS1_17partition_subalgoE3EjNS0_10empty_typeEbEEZZNS1_14partition_implILS8_3ELb0ES6_jNS0_17counting_iteratorIjlEEPS9_SE_NS0_5tupleIJPjSE_EEENSF_IJSE_SE_EEES9_SG_JZNS1_25segmented_radix_sort_implINS0_14default_configELb1EPKiPiPKlPlN2at6native12_GLOBAL__N_18offset_tEEE10hipError_tPvRmT1_PNSt15iterator_traitsISY_E10value_typeET2_T3_PNSZ_IS14_E10value_typeET4_jRbjT5_S1A_jjP12ihipStream_tbEUljE_EEESV_SW_SX_S14_S18_S1A_T6_T7_T9_mT8_S1C_bDpT10_ENKUlT_T0_E_clISt17integral_constantIbLb1EES1P_EEDaS1K_S1L_EUlS1K_E_NS1_11comp_targetILNS1_3genE5ELNS1_11target_archE942ELNS1_3gpuE9ELNS1_3repE0EEENS1_30default_config_static_selectorELNS0_4arch9wavefront6targetE1EEEvSY_
		.amdhsa_group_segment_fixed_size 0
		.amdhsa_private_segment_fixed_size 0
		.amdhsa_kernarg_size 152
		.amdhsa_user_sgpr_count 6
		.amdhsa_user_sgpr_private_segment_buffer 1
		.amdhsa_user_sgpr_dispatch_ptr 0
		.amdhsa_user_sgpr_queue_ptr 0
		.amdhsa_user_sgpr_kernarg_segment_ptr 1
		.amdhsa_user_sgpr_dispatch_id 0
		.amdhsa_user_sgpr_flat_scratch_init 0
		.amdhsa_user_sgpr_kernarg_preload_length 0
		.amdhsa_user_sgpr_kernarg_preload_offset 0
		.amdhsa_user_sgpr_private_segment_size 0
		.amdhsa_uses_dynamic_stack 0
		.amdhsa_system_sgpr_private_segment_wavefront_offset 0
		.amdhsa_system_sgpr_workgroup_id_x 1
		.amdhsa_system_sgpr_workgroup_id_y 0
		.amdhsa_system_sgpr_workgroup_id_z 0
		.amdhsa_system_sgpr_workgroup_info 0
		.amdhsa_system_vgpr_workitem_id 0
		.amdhsa_next_free_vgpr 1
		.amdhsa_next_free_sgpr 0
		.amdhsa_accum_offset 4
		.amdhsa_reserve_vcc 0
		.amdhsa_reserve_flat_scratch 0
		.amdhsa_float_round_mode_32 0
		.amdhsa_float_round_mode_16_64 0
		.amdhsa_float_denorm_mode_32 3
		.amdhsa_float_denorm_mode_16_64 3
		.amdhsa_dx10_clamp 1
		.amdhsa_ieee_mode 1
		.amdhsa_fp16_overflow 0
		.amdhsa_tg_split 0
		.amdhsa_exception_fp_ieee_invalid_op 0
		.amdhsa_exception_fp_denorm_src 0
		.amdhsa_exception_fp_ieee_div_zero 0
		.amdhsa_exception_fp_ieee_overflow 0
		.amdhsa_exception_fp_ieee_underflow 0
		.amdhsa_exception_fp_ieee_inexact 0
		.amdhsa_exception_int_div_zero 0
	.end_amdhsa_kernel
	.section	.text._ZN7rocprim17ROCPRIM_400000_NS6detail17trampoline_kernelINS0_13select_configILj256ELj13ELNS0_17block_load_methodE3ELS4_3ELS4_3ELNS0_20block_scan_algorithmE0ELj4294967295EEENS1_25partition_config_selectorILNS1_17partition_subalgoE3EjNS0_10empty_typeEbEEZZNS1_14partition_implILS8_3ELb0ES6_jNS0_17counting_iteratorIjlEEPS9_SE_NS0_5tupleIJPjSE_EEENSF_IJSE_SE_EEES9_SG_JZNS1_25segmented_radix_sort_implINS0_14default_configELb1EPKiPiPKlPlN2at6native12_GLOBAL__N_18offset_tEEE10hipError_tPvRmT1_PNSt15iterator_traitsISY_E10value_typeET2_T3_PNSZ_IS14_E10value_typeET4_jRbjT5_S1A_jjP12ihipStream_tbEUljE_EEESV_SW_SX_S14_S18_S1A_T6_T7_T9_mT8_S1C_bDpT10_ENKUlT_T0_E_clISt17integral_constantIbLb1EES1P_EEDaS1K_S1L_EUlS1K_E_NS1_11comp_targetILNS1_3genE5ELNS1_11target_archE942ELNS1_3gpuE9ELNS1_3repE0EEENS1_30default_config_static_selectorELNS0_4arch9wavefront6targetE1EEEvSY_,"axG",@progbits,_ZN7rocprim17ROCPRIM_400000_NS6detail17trampoline_kernelINS0_13select_configILj256ELj13ELNS0_17block_load_methodE3ELS4_3ELS4_3ELNS0_20block_scan_algorithmE0ELj4294967295EEENS1_25partition_config_selectorILNS1_17partition_subalgoE3EjNS0_10empty_typeEbEEZZNS1_14partition_implILS8_3ELb0ES6_jNS0_17counting_iteratorIjlEEPS9_SE_NS0_5tupleIJPjSE_EEENSF_IJSE_SE_EEES9_SG_JZNS1_25segmented_radix_sort_implINS0_14default_configELb1EPKiPiPKlPlN2at6native12_GLOBAL__N_18offset_tEEE10hipError_tPvRmT1_PNSt15iterator_traitsISY_E10value_typeET2_T3_PNSZ_IS14_E10value_typeET4_jRbjT5_S1A_jjP12ihipStream_tbEUljE_EEESV_SW_SX_S14_S18_S1A_T6_T7_T9_mT8_S1C_bDpT10_ENKUlT_T0_E_clISt17integral_constantIbLb1EES1P_EEDaS1K_S1L_EUlS1K_E_NS1_11comp_targetILNS1_3genE5ELNS1_11target_archE942ELNS1_3gpuE9ELNS1_3repE0EEENS1_30default_config_static_selectorELNS0_4arch9wavefront6targetE1EEEvSY_,comdat
.Lfunc_end474:
	.size	_ZN7rocprim17ROCPRIM_400000_NS6detail17trampoline_kernelINS0_13select_configILj256ELj13ELNS0_17block_load_methodE3ELS4_3ELS4_3ELNS0_20block_scan_algorithmE0ELj4294967295EEENS1_25partition_config_selectorILNS1_17partition_subalgoE3EjNS0_10empty_typeEbEEZZNS1_14partition_implILS8_3ELb0ES6_jNS0_17counting_iteratorIjlEEPS9_SE_NS0_5tupleIJPjSE_EEENSF_IJSE_SE_EEES9_SG_JZNS1_25segmented_radix_sort_implINS0_14default_configELb1EPKiPiPKlPlN2at6native12_GLOBAL__N_18offset_tEEE10hipError_tPvRmT1_PNSt15iterator_traitsISY_E10value_typeET2_T3_PNSZ_IS14_E10value_typeET4_jRbjT5_S1A_jjP12ihipStream_tbEUljE_EEESV_SW_SX_S14_S18_S1A_T6_T7_T9_mT8_S1C_bDpT10_ENKUlT_T0_E_clISt17integral_constantIbLb1EES1P_EEDaS1K_S1L_EUlS1K_E_NS1_11comp_targetILNS1_3genE5ELNS1_11target_archE942ELNS1_3gpuE9ELNS1_3repE0EEENS1_30default_config_static_selectorELNS0_4arch9wavefront6targetE1EEEvSY_, .Lfunc_end474-_ZN7rocprim17ROCPRIM_400000_NS6detail17trampoline_kernelINS0_13select_configILj256ELj13ELNS0_17block_load_methodE3ELS4_3ELS4_3ELNS0_20block_scan_algorithmE0ELj4294967295EEENS1_25partition_config_selectorILNS1_17partition_subalgoE3EjNS0_10empty_typeEbEEZZNS1_14partition_implILS8_3ELb0ES6_jNS0_17counting_iteratorIjlEEPS9_SE_NS0_5tupleIJPjSE_EEENSF_IJSE_SE_EEES9_SG_JZNS1_25segmented_radix_sort_implINS0_14default_configELb1EPKiPiPKlPlN2at6native12_GLOBAL__N_18offset_tEEE10hipError_tPvRmT1_PNSt15iterator_traitsISY_E10value_typeET2_T3_PNSZ_IS14_E10value_typeET4_jRbjT5_S1A_jjP12ihipStream_tbEUljE_EEESV_SW_SX_S14_S18_S1A_T6_T7_T9_mT8_S1C_bDpT10_ENKUlT_T0_E_clISt17integral_constantIbLb1EES1P_EEDaS1K_S1L_EUlS1K_E_NS1_11comp_targetILNS1_3genE5ELNS1_11target_archE942ELNS1_3gpuE9ELNS1_3repE0EEENS1_30default_config_static_selectorELNS0_4arch9wavefront6targetE1EEEvSY_
                                        ; -- End function
	.section	.AMDGPU.csdata,"",@progbits
; Kernel info:
; codeLenInByte = 0
; NumSgprs: 4
; NumVgprs: 0
; NumAgprs: 0
; TotalNumVgprs: 0
; ScratchSize: 0
; MemoryBound: 0
; FloatMode: 240
; IeeeMode: 1
; LDSByteSize: 0 bytes/workgroup (compile time only)
; SGPRBlocks: 0
; VGPRBlocks: 0
; NumSGPRsForWavesPerEU: 4
; NumVGPRsForWavesPerEU: 1
; AccumOffset: 4
; Occupancy: 8
; WaveLimiterHint : 0
; COMPUTE_PGM_RSRC2:SCRATCH_EN: 0
; COMPUTE_PGM_RSRC2:USER_SGPR: 6
; COMPUTE_PGM_RSRC2:TRAP_HANDLER: 0
; COMPUTE_PGM_RSRC2:TGID_X_EN: 1
; COMPUTE_PGM_RSRC2:TGID_Y_EN: 0
; COMPUTE_PGM_RSRC2:TGID_Z_EN: 0
; COMPUTE_PGM_RSRC2:TIDIG_COMP_CNT: 0
; COMPUTE_PGM_RSRC3_GFX90A:ACCUM_OFFSET: 0
; COMPUTE_PGM_RSRC3_GFX90A:TG_SPLIT: 0
	.section	.text._ZN7rocprim17ROCPRIM_400000_NS6detail17trampoline_kernelINS0_13select_configILj256ELj13ELNS0_17block_load_methodE3ELS4_3ELS4_3ELNS0_20block_scan_algorithmE0ELj4294967295EEENS1_25partition_config_selectorILNS1_17partition_subalgoE3EjNS0_10empty_typeEbEEZZNS1_14partition_implILS8_3ELb0ES6_jNS0_17counting_iteratorIjlEEPS9_SE_NS0_5tupleIJPjSE_EEENSF_IJSE_SE_EEES9_SG_JZNS1_25segmented_radix_sort_implINS0_14default_configELb1EPKiPiPKlPlN2at6native12_GLOBAL__N_18offset_tEEE10hipError_tPvRmT1_PNSt15iterator_traitsISY_E10value_typeET2_T3_PNSZ_IS14_E10value_typeET4_jRbjT5_S1A_jjP12ihipStream_tbEUljE_EEESV_SW_SX_S14_S18_S1A_T6_T7_T9_mT8_S1C_bDpT10_ENKUlT_T0_E_clISt17integral_constantIbLb1EES1P_EEDaS1K_S1L_EUlS1K_E_NS1_11comp_targetILNS1_3genE4ELNS1_11target_archE910ELNS1_3gpuE8ELNS1_3repE0EEENS1_30default_config_static_selectorELNS0_4arch9wavefront6targetE1EEEvSY_,"axG",@progbits,_ZN7rocprim17ROCPRIM_400000_NS6detail17trampoline_kernelINS0_13select_configILj256ELj13ELNS0_17block_load_methodE3ELS4_3ELS4_3ELNS0_20block_scan_algorithmE0ELj4294967295EEENS1_25partition_config_selectorILNS1_17partition_subalgoE3EjNS0_10empty_typeEbEEZZNS1_14partition_implILS8_3ELb0ES6_jNS0_17counting_iteratorIjlEEPS9_SE_NS0_5tupleIJPjSE_EEENSF_IJSE_SE_EEES9_SG_JZNS1_25segmented_radix_sort_implINS0_14default_configELb1EPKiPiPKlPlN2at6native12_GLOBAL__N_18offset_tEEE10hipError_tPvRmT1_PNSt15iterator_traitsISY_E10value_typeET2_T3_PNSZ_IS14_E10value_typeET4_jRbjT5_S1A_jjP12ihipStream_tbEUljE_EEESV_SW_SX_S14_S18_S1A_T6_T7_T9_mT8_S1C_bDpT10_ENKUlT_T0_E_clISt17integral_constantIbLb1EES1P_EEDaS1K_S1L_EUlS1K_E_NS1_11comp_targetILNS1_3genE4ELNS1_11target_archE910ELNS1_3gpuE8ELNS1_3repE0EEENS1_30default_config_static_selectorELNS0_4arch9wavefront6targetE1EEEvSY_,comdat
	.globl	_ZN7rocprim17ROCPRIM_400000_NS6detail17trampoline_kernelINS0_13select_configILj256ELj13ELNS0_17block_load_methodE3ELS4_3ELS4_3ELNS0_20block_scan_algorithmE0ELj4294967295EEENS1_25partition_config_selectorILNS1_17partition_subalgoE3EjNS0_10empty_typeEbEEZZNS1_14partition_implILS8_3ELb0ES6_jNS0_17counting_iteratorIjlEEPS9_SE_NS0_5tupleIJPjSE_EEENSF_IJSE_SE_EEES9_SG_JZNS1_25segmented_radix_sort_implINS0_14default_configELb1EPKiPiPKlPlN2at6native12_GLOBAL__N_18offset_tEEE10hipError_tPvRmT1_PNSt15iterator_traitsISY_E10value_typeET2_T3_PNSZ_IS14_E10value_typeET4_jRbjT5_S1A_jjP12ihipStream_tbEUljE_EEESV_SW_SX_S14_S18_S1A_T6_T7_T9_mT8_S1C_bDpT10_ENKUlT_T0_E_clISt17integral_constantIbLb1EES1P_EEDaS1K_S1L_EUlS1K_E_NS1_11comp_targetILNS1_3genE4ELNS1_11target_archE910ELNS1_3gpuE8ELNS1_3repE0EEENS1_30default_config_static_selectorELNS0_4arch9wavefront6targetE1EEEvSY_ ; -- Begin function _ZN7rocprim17ROCPRIM_400000_NS6detail17trampoline_kernelINS0_13select_configILj256ELj13ELNS0_17block_load_methodE3ELS4_3ELS4_3ELNS0_20block_scan_algorithmE0ELj4294967295EEENS1_25partition_config_selectorILNS1_17partition_subalgoE3EjNS0_10empty_typeEbEEZZNS1_14partition_implILS8_3ELb0ES6_jNS0_17counting_iteratorIjlEEPS9_SE_NS0_5tupleIJPjSE_EEENSF_IJSE_SE_EEES9_SG_JZNS1_25segmented_radix_sort_implINS0_14default_configELb1EPKiPiPKlPlN2at6native12_GLOBAL__N_18offset_tEEE10hipError_tPvRmT1_PNSt15iterator_traitsISY_E10value_typeET2_T3_PNSZ_IS14_E10value_typeET4_jRbjT5_S1A_jjP12ihipStream_tbEUljE_EEESV_SW_SX_S14_S18_S1A_T6_T7_T9_mT8_S1C_bDpT10_ENKUlT_T0_E_clISt17integral_constantIbLb1EES1P_EEDaS1K_S1L_EUlS1K_E_NS1_11comp_targetILNS1_3genE4ELNS1_11target_archE910ELNS1_3gpuE8ELNS1_3repE0EEENS1_30default_config_static_selectorELNS0_4arch9wavefront6targetE1EEEvSY_
	.p2align	8
	.type	_ZN7rocprim17ROCPRIM_400000_NS6detail17trampoline_kernelINS0_13select_configILj256ELj13ELNS0_17block_load_methodE3ELS4_3ELS4_3ELNS0_20block_scan_algorithmE0ELj4294967295EEENS1_25partition_config_selectorILNS1_17partition_subalgoE3EjNS0_10empty_typeEbEEZZNS1_14partition_implILS8_3ELb0ES6_jNS0_17counting_iteratorIjlEEPS9_SE_NS0_5tupleIJPjSE_EEENSF_IJSE_SE_EEES9_SG_JZNS1_25segmented_radix_sort_implINS0_14default_configELb1EPKiPiPKlPlN2at6native12_GLOBAL__N_18offset_tEEE10hipError_tPvRmT1_PNSt15iterator_traitsISY_E10value_typeET2_T3_PNSZ_IS14_E10value_typeET4_jRbjT5_S1A_jjP12ihipStream_tbEUljE_EEESV_SW_SX_S14_S18_S1A_T6_T7_T9_mT8_S1C_bDpT10_ENKUlT_T0_E_clISt17integral_constantIbLb1EES1P_EEDaS1K_S1L_EUlS1K_E_NS1_11comp_targetILNS1_3genE4ELNS1_11target_archE910ELNS1_3gpuE8ELNS1_3repE0EEENS1_30default_config_static_selectorELNS0_4arch9wavefront6targetE1EEEvSY_,@function
_ZN7rocprim17ROCPRIM_400000_NS6detail17trampoline_kernelINS0_13select_configILj256ELj13ELNS0_17block_load_methodE3ELS4_3ELS4_3ELNS0_20block_scan_algorithmE0ELj4294967295EEENS1_25partition_config_selectorILNS1_17partition_subalgoE3EjNS0_10empty_typeEbEEZZNS1_14partition_implILS8_3ELb0ES6_jNS0_17counting_iteratorIjlEEPS9_SE_NS0_5tupleIJPjSE_EEENSF_IJSE_SE_EEES9_SG_JZNS1_25segmented_radix_sort_implINS0_14default_configELb1EPKiPiPKlPlN2at6native12_GLOBAL__N_18offset_tEEE10hipError_tPvRmT1_PNSt15iterator_traitsISY_E10value_typeET2_T3_PNSZ_IS14_E10value_typeET4_jRbjT5_S1A_jjP12ihipStream_tbEUljE_EEESV_SW_SX_S14_S18_S1A_T6_T7_T9_mT8_S1C_bDpT10_ENKUlT_T0_E_clISt17integral_constantIbLb1EES1P_EEDaS1K_S1L_EUlS1K_E_NS1_11comp_targetILNS1_3genE4ELNS1_11target_archE910ELNS1_3gpuE8ELNS1_3repE0EEENS1_30default_config_static_selectorELNS0_4arch9wavefront6targetE1EEEvSY_: ; @_ZN7rocprim17ROCPRIM_400000_NS6detail17trampoline_kernelINS0_13select_configILj256ELj13ELNS0_17block_load_methodE3ELS4_3ELS4_3ELNS0_20block_scan_algorithmE0ELj4294967295EEENS1_25partition_config_selectorILNS1_17partition_subalgoE3EjNS0_10empty_typeEbEEZZNS1_14partition_implILS8_3ELb0ES6_jNS0_17counting_iteratorIjlEEPS9_SE_NS0_5tupleIJPjSE_EEENSF_IJSE_SE_EEES9_SG_JZNS1_25segmented_radix_sort_implINS0_14default_configELb1EPKiPiPKlPlN2at6native12_GLOBAL__N_18offset_tEEE10hipError_tPvRmT1_PNSt15iterator_traitsISY_E10value_typeET2_T3_PNSZ_IS14_E10value_typeET4_jRbjT5_S1A_jjP12ihipStream_tbEUljE_EEESV_SW_SX_S14_S18_S1A_T6_T7_T9_mT8_S1C_bDpT10_ENKUlT_T0_E_clISt17integral_constantIbLb1EES1P_EEDaS1K_S1L_EUlS1K_E_NS1_11comp_targetILNS1_3genE4ELNS1_11target_archE910ELNS1_3gpuE8ELNS1_3repE0EEENS1_30default_config_static_selectorELNS0_4arch9wavefront6targetE1EEEvSY_
; %bb.0:
	s_load_dwordx2 s[28:29], s[4:5], 0x10
	s_load_dwordx2 s[24:25], s[4:5], 0x28
	;; [unrolled: 1-line block ×3, first 2 shown]
	s_load_dwordx4 s[20:23], s[4:5], 0x48
	s_load_dword s14, s[4:5], 0x90
	s_load_dwordx2 s[30:31], s[4:5], 0x68
	s_load_dwordx4 s[8:11], s[4:5], 0x80
	v_cmp_eq_u32_e64 s[0:1], 0, v0
	s_and_saveexec_b64 s[2:3], s[0:1]
	s_cbranch_execz .LBB475_4
; %bb.1:
	s_mov_b64 s[12:13], exec
	v_mbcnt_lo_u32_b32 v1, s12, 0
	v_mbcnt_hi_u32_b32 v1, s13, v1
	v_cmp_eq_u32_e32 vcc, 0, v1
                                        ; implicit-def: $vgpr2
	s_and_saveexec_b64 s[6:7], vcc
	s_cbranch_execz .LBB475_3
; %bb.2:
	s_load_dwordx2 s[16:17], s[4:5], 0x78
	s_bcnt1_i32_b64 s12, s[12:13]
	v_mov_b32_e32 v2, 0
	v_mov_b32_e32 v3, s12
	s_waitcnt lgkmcnt(0)
	global_atomic_add v2, v2, v3, s[16:17] glc
.LBB475_3:
	s_or_b64 exec, exec, s[6:7]
	s_waitcnt vmcnt(0)
	v_readfirstlane_b32 s6, v2
	v_add_u32_e32 v1, s6, v1
	v_mov_b32_e32 v2, 0
	ds_write_b32 v2, v1
.LBB475_4:
	s_or_b64 exec, exec, s[2:3]
	v_mov_b32_e32 v1, 0
	s_load_dword s2, s[4:5], 0x8
	s_load_dword s6, s[4:5], 0x70
	s_waitcnt lgkmcnt(0)
	s_barrier
	ds_read_b32 v2, v1
	s_waitcnt lgkmcnt(0)
	s_barrier
	global_load_dwordx2 v[20:21], v1, s[22:23]
	s_add_i32 s7, s2, s28
	s_movk_i32 s2, 0xd00
	s_add_i32 s4, s6, -1
	s_mulk_i32 s6, 0xd00
	v_mul_lo_u32 v1, v2, s2
	s_add_u32 s2, s28, s6
	v_readfirstlane_b32 s40, v2
	s_addc_u32 s3, s29, 0
	s_cmp_eq_u32 s40, s4
	v_pk_mov_b32 v[2:3], s[26:27], s[26:27] op_sel:[0,1]
	s_cselect_b64 s[22:23], -1, 0
	s_cmp_lg_u32 s40, s4
	v_cmp_lt_u64_e32 vcc, s[2:3], v[2:3]
	s_cselect_b64 s[2:3], -1, 0
	s_or_b64 s[4:5], vcc, s[2:3]
	v_add_u32_e32 v2, s7, v1
	s_mov_b64 s[2:3], -1
	s_and_b64 vcc, exec, s[4:5]
	v_add_u32_e32 v2, v2, v0
	v_lshlrev_b32_e32 v34, 2, v0
	s_cbranch_vccz .LBB475_6
; %bb.5:
	v_add_u32_e32 v3, 0x100, v2
	v_add_u32_e32 v4, 0x200, v2
	;; [unrolled: 1-line block ×12, first 2 shown]
	ds_write2st64_b32 v34, v2, v3 offset1:4
	ds_write2st64_b32 v34, v4, v5 offset0:8 offset1:12
	ds_write2st64_b32 v34, v6, v7 offset0:16 offset1:20
	;; [unrolled: 1-line block ×5, first 2 shown]
	ds_write_b32 v34, v14 offset:12288
	s_waitcnt lgkmcnt(0)
	s_barrier
	s_mov_b64 s[2:3], 0
.LBB475_6:
	s_andn2_b64 vcc, exec, s[2:3]
	s_add_i32 s6, s6, s28
	s_cbranch_vccnz .LBB475_8
; %bb.7:
	v_add_u32_e32 v3, 0x100, v2
	v_add_u32_e32 v4, 0x200, v2
	;; [unrolled: 1-line block ×12, first 2 shown]
	ds_write2st64_b32 v34, v2, v3 offset1:4
	ds_write2st64_b32 v34, v4, v5 offset0:8 offset1:12
	ds_write2st64_b32 v34, v6, v7 offset0:16 offset1:20
	;; [unrolled: 1-line block ×5, first 2 shown]
	ds_write_b32 v34, v14 offset:12288
	s_waitcnt lgkmcnt(0)
	s_barrier
.LBB475_8:
	v_mul_u32_u24_e32 v36, 13, v0
	v_lshlrev_b32_e32 v2, 2, v36
	ds_read2_b32 v[32:33], v2 offset1:1
	ds_read2_b32 v[30:31], v2 offset0:2 offset1:3
	ds_read2_b32 v[28:29], v2 offset0:4 offset1:5
	;; [unrolled: 1-line block ×5, first 2 shown]
	ds_read_b32 v35, v2 offset:48
	v_cndmask_b32_e64 v2, 0, 1, s[4:5]
	s_sub_i32 s33, s26, s6
	v_cmp_ne_u32_e64 s[2:3], 1, v2
	s_andn2_b64 vcc, exec, s[4:5]
	s_waitcnt lgkmcnt(0)
	s_barrier
	s_cbranch_vccnz .LBB475_10
; %bb.9:
	v_add_u32_e32 v2, s9, v32
	v_add_u32_e32 v3, s11, v32
	v_mul_lo_u32 v2, v2, s8
	v_mul_lo_u32 v3, v3, s10
	v_sub_u32_e32 v2, v2, v3
	v_add_u32_e32 v3, s9, v33
	v_add_u32_e32 v4, s11, v33
	v_mul_lo_u32 v3, v3, s8
	v_mul_lo_u32 v4, v4, s10
	v_sub_u32_e32 v3, v3, v4
	;; [unrolled: 5-line block ×6, first 2 shown]
	v_add_u32_e32 v8, s9, v26
	v_add_u32_e32 v9, s11, v26
	v_mul_lo_u32 v8, v8, s8
	v_mul_lo_u32 v9, v9, s10
	v_cmp_lt_u32_e32 vcc, s14, v2
	v_sub_u32_e32 v8, v8, v9
	v_add_u32_e32 v9, s9, v27
	v_add_u32_e32 v10, s11, v27
	v_cndmask_b32_e64 v2, 0, 1, vcc
	v_cmp_lt_u32_e32 vcc, s14, v3
	v_mul_lo_u32 v9, v9, s8
	v_mul_lo_u32 v10, v10, s10
	v_cndmask_b32_e64 v3, 0, 1, vcc
	v_cmp_lt_u32_e32 vcc, s14, v4
	v_sub_u32_e32 v9, v9, v10
	v_add_u32_e32 v10, s9, v24
	v_add_u32_e32 v11, s11, v24
	v_cndmask_b32_e64 v4, 0, 1, vcc
	v_cmp_lt_u32_e32 vcc, s14, v5
	v_mul_lo_u32 v10, v10, s8
	v_mul_lo_u32 v11, v11, s10
	v_cndmask_b32_e64 v5, 0, 1, vcc
	;; [unrolled: 9-line block ×4, first 2 shown]
	v_cmp_lt_u32_e32 vcc, s14, v10
	v_sub_u32_e32 v12, v12, v13
	v_add_u32_e32 v13, s9, v23
	v_add_u32_e32 v14, s11, v23
	v_lshlrev_b16_e32 v3, 8, v3
	v_cndmask_b32_e64 v10, 0, 1, vcc
	v_cmp_lt_u32_e32 vcc, s14, v11
	v_mul_lo_u32 v13, v13, s8
	v_mul_lo_u32 v14, v14, s10
	v_or_b32_e32 v2, v2, v3
	v_lshlrev_b16_e32 v3, 8, v5
	v_cndmask_b32_e64 v11, 0, 1, vcc
	v_cmp_lt_u32_e32 vcc, s14, v12
	v_sub_u32_e32 v13, v13, v14
	v_or_b32_sdwa v3, v4, v3 dst_sel:WORD_1 dst_unused:UNUSED_PAD src0_sel:DWORD src1_sel:DWORD
	v_cndmask_b32_e64 v12, 0, 1, vcc
	v_cmp_lt_u32_e32 vcc, s14, v13
	v_add_u32_e32 v14, s9, v35
	v_add_u32_e32 v15, s11, v35
	v_or_b32_sdwa v40, v2, v3 dst_sel:DWORD dst_unused:UNUSED_PAD src0_sel:WORD_0 src1_sel:DWORD
	v_lshlrev_b16_e32 v2, 8, v7
	v_lshlrev_b16_e32 v3, 8, v9
	v_cndmask_b32_e64 v13, 0, 1, vcc
	v_mul_lo_u32 v14, v14, s8
	v_mul_lo_u32 v15, v15, s10
	v_or_b32_e32 v2, v6, v2
	v_or_b32_sdwa v3, v8, v3 dst_sel:WORD_1 dst_unused:UNUSED_PAD src0_sel:DWORD src1_sel:DWORD
	v_sub_u32_e32 v14, v14, v15
	v_or_b32_sdwa v39, v2, v3 dst_sel:DWORD dst_unused:UNUSED_PAD src0_sel:WORD_0 src1_sel:DWORD
	v_lshlrev_b16_e32 v2, 8, v11
	v_lshlrev_b16_e32 v3, 8, v13
	v_cmp_lt_u32_e32 vcc, s14, v14
	v_or_b32_e32 v2, v10, v2
	v_or_b32_sdwa v3, v12, v3 dst_sel:WORD_1 dst_unused:UNUSED_PAD src0_sel:DWORD src1_sel:DWORD
	v_cndmask_b32_e64 v37, 0, 1, vcc
	v_or_b32_sdwa v38, v2, v3 dst_sel:DWORD dst_unused:UNUSED_PAD src0_sel:WORD_0 src1_sel:DWORD
	s_addk_i32 s33, 0xd00
	s_cbranch_execz .LBB475_11
	s_branch .LBB475_38
.LBB475_10:
                                        ; implicit-def: $vgpr37
                                        ; implicit-def: $vgpr38
                                        ; implicit-def: $vgpr39
                                        ; implicit-def: $vgpr40
	s_addk_i32 s33, 0xd00
.LBB475_11:
	v_cmp_gt_u32_e32 vcc, s33, v36
	v_mov_b32_e32 v3, 0
	v_mov_b32_e32 v2, 0
	s_and_saveexec_b64 s[4:5], vcc
; %bb.12:
	v_add_u32_e32 v2, s9, v32
	v_add_u32_e32 v4, s11, v32
	v_mul_lo_u32 v2, v2, s8
	v_mul_lo_u32 v4, v4, s10
	v_sub_u32_e32 v2, v2, v4
	v_cmp_lt_u32_e32 vcc, s14, v2
	v_cndmask_b32_e64 v2, 0, 1, vcc
; %bb.13:
	s_or_b64 exec, exec, s[4:5]
	v_add_u32_e32 v4, 1, v36
	v_cmp_gt_u32_e32 vcc, s33, v4
	s_and_saveexec_b64 s[4:5], vcc
; %bb.14:
	v_add_u32_e32 v3, s9, v33
	v_add_u32_e32 v4, s11, v33
	v_mul_lo_u32 v3, v3, s8
	v_mul_lo_u32 v4, v4, s10
	v_sub_u32_e32 v3, v3, v4
	v_cmp_lt_u32_e32 vcc, s14, v3
	v_cndmask_b32_e64 v3, 0, 1, vcc
; %bb.15:
	s_or_b64 exec, exec, s[4:5]
	v_add_u32_e32 v4, 2, v36
	v_cmp_gt_u32_e32 vcc, s33, v4
	v_mov_b32_e32 v5, 0
	v_mov_b32_e32 v4, 0
	s_and_saveexec_b64 s[4:5], vcc
; %bb.16:
	v_add_u32_e32 v4, s9, v30
	v_add_u32_e32 v6, s11, v30
	v_mul_lo_u32 v4, v4, s8
	v_mul_lo_u32 v6, v6, s10
	v_sub_u32_e32 v4, v4, v6
	v_cmp_lt_u32_e32 vcc, s14, v4
	v_cndmask_b32_e64 v4, 0, 1, vcc
; %bb.17:
	s_or_b64 exec, exec, s[4:5]
	v_add_u32_e32 v6, 3, v36
	v_cmp_gt_u32_e32 vcc, s33, v6
	s_and_saveexec_b64 s[4:5], vcc
; %bb.18:
	v_add_u32_e32 v5, s9, v31
	v_add_u32_e32 v6, s11, v31
	v_mul_lo_u32 v5, v5, s8
	v_mul_lo_u32 v6, v6, s10
	v_sub_u32_e32 v5, v5, v6
	v_cmp_lt_u32_e32 vcc, s14, v5
	v_cndmask_b32_e64 v5, 0, 1, vcc
; %bb.19:
	s_or_b64 exec, exec, s[4:5]
	v_add_u32_e32 v6, 4, v36
	;; [unrolled: 28-line block ×6, first 2 shown]
	v_cmp_gt_u32_e32 vcc, s33, v14
	v_mov_b32_e32 v37, 0
	s_and_saveexec_b64 s[4:5], vcc
; %bb.36:
	v_add_u32_e32 v14, s9, v35
	v_add_u32_e32 v15, s11, v35
	v_mul_lo_u32 v14, v14, s8
	v_mul_lo_u32 v15, v15, s10
	v_sub_u32_e32 v14, v14, v15
	v_cmp_lt_u32_e32 vcc, s14, v14
	v_cndmask_b32_e64 v37, 0, 1, vcc
; %bb.37:
	s_or_b64 exec, exec, s[4:5]
	v_lshlrev_b16_e32 v3, 8, v3
	v_or_b32_e32 v2, v2, v3
	v_lshlrev_b16_e32 v3, 8, v5
	v_or_b32_sdwa v3, v4, v3 dst_sel:WORD_1 dst_unused:UNUSED_PAD src0_sel:DWORD src1_sel:DWORD
	v_or_b32_sdwa v40, v2, v3 dst_sel:DWORD dst_unused:UNUSED_PAD src0_sel:WORD_0 src1_sel:DWORD
	v_lshlrev_b16_e32 v2, 8, v7
	v_lshlrev_b16_e32 v3, 8, v9
	v_or_b32_e32 v2, v6, v2
	v_or_b32_sdwa v3, v8, v3 dst_sel:WORD_1 dst_unused:UNUSED_PAD src0_sel:DWORD src1_sel:DWORD
	v_or_b32_sdwa v39, v2, v3 dst_sel:DWORD dst_unused:UNUSED_PAD src0_sel:WORD_0 src1_sel:DWORD
	v_lshlrev_b16_e32 v2, 8, v11
	v_lshlrev_b16_e32 v3, 8, v13
	v_or_b32_e32 v2, v10, v2
	v_or_b32_sdwa v3, v12, v3 dst_sel:WORD_1 dst_unused:UNUSED_PAD src0_sel:DWORD src1_sel:DWORD
	v_or_b32_sdwa v38, v2, v3 dst_sel:DWORD dst_unused:UNUSED_PAD src0_sel:WORD_0 src1_sel:DWORD
.LBB475_38:
	v_and_b32_e32 v44, 0xff, v40
	v_bfe_u32 v45, v40, 8, 8
	v_bfe_u32 v46, v40, 16, 8
	v_lshrrev_b32_e32 v43, 24, v40
	v_and_b32_e32 v47, 0xff, v39
	v_add3_u32 v3, v45, v44, v46
	v_bfe_u32 v48, v39, 8, 8
	v_bfe_u32 v49, v39, 16, 8
	v_add3_u32 v3, v3, v43, v47
	v_lshrrev_b32_e32 v42, 24, v39
	v_and_b32_e32 v50, 0xff, v38
	v_add3_u32 v3, v3, v48, v49
	v_bfe_u32 v51, v38, 8, 8
	v_bfe_u32 v52, v38, 16, 8
	v_add3_u32 v3, v3, v42, v50
	v_lshrrev_b32_e32 v41, 24, v38
	v_and_b32_e32 v2, 0xff, v37
	v_add3_u32 v3, v3, v51, v52
	v_add3_u32 v55, v3, v41, v2
	v_mbcnt_lo_u32_b32 v2, -1, 0
	v_mbcnt_hi_u32_b32 v53, -1, v2
	v_and_b32_e32 v2, 15, v53
	v_cmp_eq_u32_e64 s[16:17], 0, v2
	v_cmp_lt_u32_e64 s[14:15], 1, v2
	v_cmp_lt_u32_e64 s[12:13], 3, v2
	;; [unrolled: 1-line block ×3, first 2 shown]
	v_and_b32_e32 v2, 16, v53
	v_cmp_eq_u32_e64 s[8:9], 0, v2
	v_or_b32_e32 v2, 63, v0
	s_cmp_lg_u32 s40, 0
	v_cmp_lt_u32_e64 s[4:5], 31, v53
	v_lshrrev_b32_e32 v54, 6, v0
	v_cmp_eq_u32_e64 s[6:7], v2, v0
	s_cbranch_scc0 .LBB475_69
; %bb.39:
	v_mov_b32_dpp v2, v55 row_shr:1 row_mask:0xf bank_mask:0xf
	v_cndmask_b32_e64 v2, v2, 0, s[16:17]
	v_add_u32_e32 v2, v2, v55
	s_nop 1
	v_mov_b32_dpp v3, v2 row_shr:2 row_mask:0xf bank_mask:0xf
	v_cndmask_b32_e64 v3, 0, v3, s[14:15]
	v_add_u32_e32 v2, v2, v3
	s_nop 1
	;; [unrolled: 4-line block ×4, first 2 shown]
	v_mov_b32_dpp v3, v2 row_bcast:15 row_mask:0xf bank_mask:0xf
	v_cndmask_b32_e64 v3, v3, 0, s[8:9]
	v_add_u32_e32 v2, v2, v3
	s_nop 1
	v_mov_b32_dpp v3, v2 row_bcast:31 row_mask:0xf bank_mask:0xf
	v_cndmask_b32_e64 v3, 0, v3, s[4:5]
	v_add_u32_e32 v2, v2, v3
	s_and_saveexec_b64 s[18:19], s[6:7]
	s_cbranch_execz .LBB475_41
; %bb.40:
	v_lshlrev_b32_e32 v3, 2, v54
	ds_write_b32 v3, v2
.LBB475_41:
	s_or_b64 exec, exec, s[18:19]
	v_cmp_gt_u32_e32 vcc, 4, v0
	s_waitcnt lgkmcnt(0)
	s_barrier
	s_and_saveexec_b64 s[18:19], vcc
	s_cbranch_execz .LBB475_43
; %bb.42:
	ds_read_b32 v3, v34
	v_and_b32_e32 v4, 3, v53
	v_cmp_ne_u32_e32 vcc, 0, v4
	s_waitcnt lgkmcnt(0)
	v_mov_b32_dpp v5, v3 row_shr:1 row_mask:0xf bank_mask:0xf
	v_cndmask_b32_e32 v5, 0, v5, vcc
	v_add_u32_e32 v3, v5, v3
	v_cmp_lt_u32_e32 vcc, 1, v4
	s_nop 0
	v_mov_b32_dpp v5, v3 row_shr:2 row_mask:0xf bank_mask:0xf
	v_cndmask_b32_e32 v4, 0, v5, vcc
	v_add_u32_e32 v3, v3, v4
	ds_write_b32 v34, v3
.LBB475_43:
	s_or_b64 exec, exec, s[18:19]
	v_cmp_gt_u32_e32 vcc, 64, v0
	v_cmp_lt_u32_e64 s[18:19], 63, v0
	s_waitcnt lgkmcnt(0)
	s_barrier
	s_waitcnt lgkmcnt(0)
                                        ; implicit-def: $vgpr12
	s_and_saveexec_b64 s[34:35], s[18:19]
	s_cbranch_execz .LBB475_45
; %bb.44:
	v_lshl_add_u32 v3, v54, 2, -4
	ds_read_b32 v12, v3
	s_waitcnt lgkmcnt(0)
	v_add_u32_e32 v2, v12, v2
.LBB475_45:
	s_or_b64 exec, exec, s[34:35]
	v_add_u32_e32 v3, -1, v53
	v_and_b32_e32 v4, 64, v53
	v_cmp_lt_i32_e64 s[18:19], v3, v4
	v_cndmask_b32_e64 v3, v3, v53, s[18:19]
	v_lshlrev_b32_e32 v3, 2, v3
	ds_bpermute_b32 v13, v3, v2
	v_cmp_eq_u32_e64 s[18:19], 0, v53
	s_and_saveexec_b64 s[34:35], vcc
	s_cbranch_execz .LBB475_68
; %bb.46:
	v_mov_b32_e32 v11, 0
	ds_read_b32 v2, v11 offset:12
	s_and_saveexec_b64 s[36:37], s[18:19]
	s_cbranch_execz .LBB475_48
; %bb.47:
	s_add_i32 s38, s40, 64
	s_mov_b32 s39, 0
	s_lshl_b64 s[38:39], s[38:39], 3
	s_add_u32 s38, s30, s38
	v_mov_b32_e32 v3, 1
	s_addc_u32 s39, s31, s39
	s_waitcnt lgkmcnt(0)
	global_store_dwordx2 v11, v[2:3], s[38:39]
.LBB475_48:
	s_or_b64 exec, exec, s[36:37]
	v_xad_u32 v4, v53, -1, s40
	v_add_u32_e32 v10, 64, v4
	v_lshlrev_b64 v[6:7], 3, v[10:11]
	v_mov_b32_e32 v3, s31
	v_add_co_u32_e32 v6, vcc, s30, v6
	v_addc_co_u32_e32 v7, vcc, v3, v7, vcc
	global_load_dwordx2 v[8:9], v[6:7], off glc
	s_waitcnt vmcnt(0)
	v_cmp_eq_u16_sdwa s[38:39], v9, v11 src0_sel:BYTE_0 src1_sel:DWORD
	s_and_saveexec_b64 s[36:37], s[38:39]
	s_cbranch_execz .LBB475_54
; %bb.49:
	s_mov_b32 s41, 1
	s_mov_b64 s[38:39], 0
	v_mov_b32_e32 v3, 0
.LBB475_50:                             ; =>This Loop Header: Depth=1
                                        ;     Child Loop BB475_51 Depth 2
	s_max_u32 s42, s41, 1
.LBB475_51:                             ;   Parent Loop BB475_50 Depth=1
                                        ; =>  This Inner Loop Header: Depth=2
	s_add_i32 s42, s42, -1
	s_cmp_eq_u32 s42, 0
	s_sleep 1
	s_cbranch_scc0 .LBB475_51
; %bb.52:                               ;   in Loop: Header=BB475_50 Depth=1
	global_load_dwordx2 v[8:9], v[6:7], off glc
	s_cmp_lt_u32 s41, 32
	s_cselect_b64 s[42:43], -1, 0
	s_cmp_lg_u64 s[42:43], 0
	s_addc_u32 s41, s41, 0
	s_waitcnt vmcnt(0)
	v_cmp_ne_u16_sdwa s[42:43], v9, v3 src0_sel:BYTE_0 src1_sel:DWORD
	s_or_b64 s[38:39], s[42:43], s[38:39]
	s_andn2_b64 exec, exec, s[38:39]
	s_cbranch_execnz .LBB475_50
; %bb.53:
	s_or_b64 exec, exec, s[38:39]
.LBB475_54:
	s_or_b64 exec, exec, s[36:37]
	v_and_b32_e32 v14, 63, v53
	v_mov_b32_e32 v3, 2
	v_cmp_ne_u32_e32 vcc, 63, v14
	v_cmp_eq_u16_sdwa s[36:37], v9, v3 src0_sel:BYTE_0 src1_sel:DWORD
	v_lshlrev_b64 v[6:7], v53, -1
	v_addc_co_u32_e32 v11, vcc, 0, v53, vcc
	v_and_b32_e32 v5, s37, v7
	v_lshlrev_b32_e32 v15, 2, v11
	v_or_b32_e32 v5, 0x80000000, v5
	ds_bpermute_b32 v11, v15, v8
	v_and_b32_e32 v10, s36, v6
	v_ffbl_b32_e32 v5, v5
	v_add_u32_e32 v5, 32, v5
	v_ffbl_b32_e32 v10, v10
	v_min_u32_e32 v5, v10, v5
	v_cmp_lt_u32_e32 vcc, v14, v5
	s_waitcnt lgkmcnt(0)
	v_cndmask_b32_e32 v10, 0, v11, vcc
	v_cmp_gt_u32_e32 vcc, 62, v14
	v_add_u32_e32 v8, v10, v8
	v_cndmask_b32_e64 v10, 0, 1, vcc
	v_lshlrev_b32_e32 v10, 1, v10
	v_add_lshl_u32 v16, v10, v53, 2
	ds_bpermute_b32 v10, v16, v8
	v_add_u32_e32 v17, 2, v14
	v_cmp_le_u32_e32 vcc, v17, v5
	v_add_u32_e32 v19, 4, v14
	v_add_u32_e32 v57, 8, v14
	s_waitcnt lgkmcnt(0)
	v_cndmask_b32_e32 v10, 0, v10, vcc
	v_cmp_gt_u32_e32 vcc, 60, v14
	v_add_u32_e32 v8, v8, v10
	v_cndmask_b32_e64 v10, 0, 1, vcc
	v_lshlrev_b32_e32 v10, 2, v10
	v_add_lshl_u32 v18, v10, v53, 2
	ds_bpermute_b32 v10, v18, v8
	v_cmp_le_u32_e32 vcc, v19, v5
	v_add_u32_e32 v60, 16, v14
	v_add_u32_e32 v62, 32, v14
	s_waitcnt lgkmcnt(0)
	v_cndmask_b32_e32 v10, 0, v10, vcc
	v_cmp_gt_u32_e32 vcc, 56, v14
	v_add_u32_e32 v8, v8, v10
	v_cndmask_b32_e64 v10, 0, 1, vcc
	v_lshlrev_b32_e32 v10, 3, v10
	v_add_lshl_u32 v56, v10, v53, 2
	ds_bpermute_b32 v10, v56, v8
	v_cmp_le_u32_e32 vcc, v57, v5
	s_waitcnt lgkmcnt(0)
	v_cndmask_b32_e32 v10, 0, v10, vcc
	v_cmp_gt_u32_e32 vcc, 48, v14
	v_add_u32_e32 v8, v8, v10
	v_cndmask_b32_e64 v10, 0, 1, vcc
	v_lshlrev_b32_e32 v10, 4, v10
	v_add_lshl_u32 v59, v10, v53, 2
	ds_bpermute_b32 v10, v59, v8
	v_cmp_le_u32_e32 vcc, v60, v5
	;; [unrolled: 9-line block ×3, first 2 shown]
	s_waitcnt lgkmcnt(0)
	v_cndmask_b32_e32 v5, 0, v10, vcc
	v_add_u32_e32 v8, v8, v5
	v_mov_b32_e32 v5, 0
	s_branch .LBB475_56
.LBB475_55:                             ;   in Loop: Header=BB475_56 Depth=1
	s_or_b64 exec, exec, s[36:37]
	v_cmp_eq_u16_sdwa s[36:37], v9, v3 src0_sel:BYTE_0 src1_sel:DWORD
	v_and_b32_e32 v10, s37, v7
	v_or_b32_e32 v10, 0x80000000, v10
	ds_bpermute_b32 v63, v15, v8
	v_and_b32_e32 v11, s36, v6
	v_ffbl_b32_e32 v10, v10
	v_add_u32_e32 v10, 32, v10
	v_ffbl_b32_e32 v11, v11
	v_min_u32_e32 v10, v11, v10
	v_cmp_lt_u32_e32 vcc, v14, v10
	s_waitcnt lgkmcnt(0)
	v_cndmask_b32_e32 v11, 0, v63, vcc
	v_add_u32_e32 v8, v11, v8
	ds_bpermute_b32 v11, v16, v8
	v_cmp_le_u32_e32 vcc, v17, v10
	v_subrev_u32_e32 v4, 64, v4
	s_waitcnt lgkmcnt(0)
	v_cndmask_b32_e32 v11, 0, v11, vcc
	v_add_u32_e32 v8, v8, v11
	ds_bpermute_b32 v11, v18, v8
	v_cmp_le_u32_e32 vcc, v19, v10
	s_waitcnt lgkmcnt(0)
	v_cndmask_b32_e32 v11, 0, v11, vcc
	v_add_u32_e32 v8, v8, v11
	ds_bpermute_b32 v11, v56, v8
	v_cmp_le_u32_e32 vcc, v57, v10
	;; [unrolled: 5-line block ×4, first 2 shown]
	s_waitcnt lgkmcnt(0)
	v_cndmask_b32_e32 v10, 0, v11, vcc
	v_add3_u32 v8, v10, v58, v8
.LBB475_56:                             ; =>This Loop Header: Depth=1
                                        ;     Child Loop BB475_59 Depth 2
                                        ;       Child Loop BB475_60 Depth 3
	v_cmp_ne_u16_sdwa s[36:37], v9, v3 src0_sel:BYTE_0 src1_sel:DWORD
	v_cndmask_b32_e64 v9, 0, 1, s[36:37]
	;;#ASMSTART
	;;#ASMEND
	v_cmp_ne_u32_e32 vcc, 0, v9
	s_cmp_lg_u64 vcc, exec
	v_mov_b32_e32 v58, v8
	s_cbranch_scc1 .LBB475_63
; %bb.57:                               ;   in Loop: Header=BB475_56 Depth=1
	v_lshlrev_b64 v[8:9], 3, v[4:5]
	v_mov_b32_e32 v11, s31
	v_add_co_u32_e32 v10, vcc, s30, v8
	v_addc_co_u32_e32 v11, vcc, v11, v9, vcc
	global_load_dwordx2 v[8:9], v[10:11], off glc
	s_waitcnt vmcnt(0)
	v_cmp_eq_u16_sdwa s[38:39], v9, v5 src0_sel:BYTE_0 src1_sel:DWORD
	s_and_saveexec_b64 s[36:37], s[38:39]
	s_cbranch_execz .LBB475_55
; %bb.58:                               ;   in Loop: Header=BB475_56 Depth=1
	s_mov_b32 s41, 1
	s_mov_b64 s[38:39], 0
.LBB475_59:                             ;   Parent Loop BB475_56 Depth=1
                                        ; =>  This Loop Header: Depth=2
                                        ;       Child Loop BB475_60 Depth 3
	s_max_u32 s42, s41, 1
.LBB475_60:                             ;   Parent Loop BB475_56 Depth=1
                                        ;     Parent Loop BB475_59 Depth=2
                                        ; =>    This Inner Loop Header: Depth=3
	s_add_i32 s42, s42, -1
	s_cmp_eq_u32 s42, 0
	s_sleep 1
	s_cbranch_scc0 .LBB475_60
; %bb.61:                               ;   in Loop: Header=BB475_59 Depth=2
	global_load_dwordx2 v[8:9], v[10:11], off glc
	s_cmp_lt_u32 s41, 32
	s_cselect_b64 s[42:43], -1, 0
	s_cmp_lg_u64 s[42:43], 0
	s_addc_u32 s41, s41, 0
	s_waitcnt vmcnt(0)
	v_cmp_ne_u16_sdwa s[42:43], v9, v5 src0_sel:BYTE_0 src1_sel:DWORD
	s_or_b64 s[38:39], s[42:43], s[38:39]
	s_andn2_b64 exec, exec, s[38:39]
	s_cbranch_execnz .LBB475_59
; %bb.62:                               ;   in Loop: Header=BB475_56 Depth=1
	s_or_b64 exec, exec, s[38:39]
	s_branch .LBB475_55
.LBB475_63:                             ;   in Loop: Header=BB475_56 Depth=1
                                        ; implicit-def: $vgpr8
                                        ; implicit-def: $vgpr9
	s_cbranch_execz .LBB475_56
; %bb.64:
	s_and_saveexec_b64 s[36:37], s[18:19]
	s_cbranch_execz .LBB475_66
; %bb.65:
	s_add_i32 s38, s40, 64
	s_mov_b32 s39, 0
	s_lshl_b64 s[38:39], s[38:39], 3
	s_add_u32 s38, s30, s38
	v_add_u32_e32 v4, v58, v2
	v_mov_b32_e32 v5, 2
	s_addc_u32 s39, s31, s39
	v_mov_b32_e32 v3, 0
	global_store_dwordx2 v3, v[4:5], s[38:39]
	s_movk_i32 s38, 0x3400
	v_add_u32_e64 v3, s38, 0
	ds_write2_b32 v3, v2, v58 offset1:2
.LBB475_66:
	s_or_b64 exec, exec, s[36:37]
	s_and_b64 exec, exec, s[0:1]
	s_cbranch_execz .LBB475_68
; %bb.67:
	v_mov_b32_e32 v2, 0
	ds_write_b32 v2, v58 offset:12
.LBB475_68:
	s_or_b64 exec, exec, s[34:35]
	v_mov_b32_e32 v2, 0
	s_waitcnt lgkmcnt(0)
	s_barrier
	ds_read_b32 v2, v2 offset:12
	v_cndmask_b32_e64 v3, v13, v12, s[18:19]
	v_cndmask_b32_e64 v3, v3, 0, s[0:1]
	s_movk_i32 s18, 0x3400
	v_add_u32_e64 v12, s18, 0
	s_waitcnt lgkmcnt(0)
	v_add_u32_e32 v2, v2, v3
	v_add_u32_e32 v3, v2, v44
	v_add_u32_e32 v4, v3, v45
	v_add_u32_e32 v5, v4, v46
	v_add_u32_e32 v6, v5, v43
	v_add_u32_e32 v7, v6, v47
	v_add_u32_e32 v8, v7, v48
	v_add_u32_e32 v9, v8, v49
	v_add_u32_e32 v10, v9, v42
	s_barrier
	ds_read2_b32 v[18:19], v12 offset1:2
	v_add_u32_e32 v11, v10, v50
	v_add_u32_e32 v12, v11, v51
	;; [unrolled: 1-line block ×4, first 2 shown]
	s_branch .LBB475_79
.LBB475_69:
                                        ; implicit-def: $vgpr19
                                        ; implicit-def: $vgpr2_vgpr3_vgpr4_vgpr5_vgpr6_vgpr7_vgpr8_vgpr9_vgpr10_vgpr11_vgpr12_vgpr13_vgpr14_vgpr15_vgpr16_vgpr17
	s_cbranch_execz .LBB475_79
; %bb.70:
	s_nop 0
	v_mov_b32_dpp v2, v55 row_shr:1 row_mask:0xf bank_mask:0xf
	v_cndmask_b32_e64 v2, v2, 0, s[16:17]
	v_add_u32_e32 v2, v2, v55
	s_nop 1
	v_mov_b32_dpp v3, v2 row_shr:2 row_mask:0xf bank_mask:0xf
	v_cndmask_b32_e64 v3, 0, v3, s[14:15]
	v_add_u32_e32 v2, v2, v3
	;; [unrolled: 4-line block ×4, first 2 shown]
	s_nop 1
	v_mov_b32_dpp v3, v2 row_bcast:15 row_mask:0xf bank_mask:0xf
	v_cndmask_b32_e64 v3, v3, 0, s[8:9]
	v_add_u32_e32 v2, v2, v3
	s_nop 1
	v_mov_b32_dpp v3, v2 row_bcast:31 row_mask:0xf bank_mask:0xf
	v_cndmask_b32_e64 v3, 0, v3, s[4:5]
	v_add_u32_e32 v2, v2, v3
	s_and_saveexec_b64 s[4:5], s[6:7]
	s_cbranch_execz .LBB475_72
; %bb.71:
	v_lshlrev_b32_e32 v3, 2, v54
	ds_write_b32 v3, v2
.LBB475_72:
	s_or_b64 exec, exec, s[4:5]
	v_cmp_gt_u32_e32 vcc, 4, v0
	s_waitcnt lgkmcnt(0)
	s_barrier
	s_and_saveexec_b64 s[4:5], vcc
	s_cbranch_execz .LBB475_74
; %bb.73:
	ds_read_b32 v3, v34
	v_and_b32_e32 v4, 3, v53
	v_cmp_ne_u32_e32 vcc, 0, v4
	s_waitcnt lgkmcnt(0)
	v_mov_b32_dpp v5, v3 row_shr:1 row_mask:0xf bank_mask:0xf
	v_cndmask_b32_e32 v5, 0, v5, vcc
	v_add_u32_e32 v3, v5, v3
	v_cmp_lt_u32_e32 vcc, 1, v4
	s_nop 0
	v_mov_b32_dpp v5, v3 row_shr:2 row_mask:0xf bank_mask:0xf
	v_cndmask_b32_e32 v4, 0, v5, vcc
	v_add_u32_e32 v3, v3, v4
	ds_write_b32 v34, v3
.LBB475_74:
	s_or_b64 exec, exec, s[4:5]
	v_cmp_lt_u32_e32 vcc, 63, v0
	v_mov_b32_e32 v4, 0
	v_mov_b32_e32 v3, 0
	s_waitcnt lgkmcnt(0)
	s_barrier
	s_and_saveexec_b64 s[4:5], vcc
	s_cbranch_execz .LBB475_76
; %bb.75:
	v_lshl_add_u32 v3, v54, 2, -4
	ds_read_b32 v3, v3
.LBB475_76:
	s_or_b64 exec, exec, s[4:5]
	v_add_u32_e32 v5, -1, v53
	v_and_b32_e32 v6, 64, v53
	v_cmp_lt_i32_e32 vcc, v5, v6
	v_cndmask_b32_e32 v5, v5, v53, vcc
	s_waitcnt lgkmcnt(0)
	v_add_u32_e32 v2, v3, v2
	v_lshlrev_b32_e32 v5, 2, v5
	ds_bpermute_b32 v2, v5, v2
	ds_read_b32 v18, v4 offset:12
	s_and_saveexec_b64 s[4:5], s[0:1]
	s_cbranch_execz .LBB475_78
; %bb.77:
	v_mov_b32_e32 v4, 0
	v_mov_b32_e32 v19, 2
	s_waitcnt lgkmcnt(0)
	global_store_dwordx2 v4, v[18:19], s[30:31] offset:512
.LBB475_78:
	s_or_b64 exec, exec, s[4:5]
	v_cmp_eq_u32_e32 vcc, 0, v53
	s_waitcnt lgkmcnt(1)
	v_cndmask_b32_e32 v2, v2, v3, vcc
	v_cndmask_b32_e64 v2, v2, 0, s[0:1]
	v_add_u32_e32 v3, v2, v44
	v_add_u32_e32 v4, v3, v45
	;; [unrolled: 1-line block ×11, first 2 shown]
	v_mov_b32_e32 v19, 0
	v_add_u32_e32 v14, v13, v41
	s_waitcnt lgkmcnt(0)
	s_barrier
.LBB475_79:
	s_waitcnt lgkmcnt(0)
	v_add_u32_e32 v36, v18, v36
	v_sub_u32_e32 v2, v2, v19
	v_and_b32_e32 v45, 1, v40
	v_sub_u32_e32 v44, v36, v2
	v_cmp_eq_u32_e32 vcc, 1, v45
	v_cndmask_b32_e32 v2, v44, v2, vcc
	v_lshlrev_b32_e32 v2, 2, v2
	v_lshrrev_b32_e32 v17, 8, v40
	ds_write_b32 v2, v32
	v_sub_u32_e32 v2, v3, v19
	v_sub_u32_e32 v3, v36, v2
	v_and_b32_e32 v17, 1, v17
	v_add_u32_e32 v3, 1, v3
	v_cmp_eq_u32_e32 vcc, 1, v17
	v_cndmask_b32_e32 v2, v3, v2, vcc
	v_lshlrev_b32_e32 v2, 2, v2
	ds_write_b32 v2, v33
	v_sub_u32_e32 v2, v4, v19
	v_mov_b32_e32 v4, 1
	v_sub_u32_e32 v3, v36, v2
	v_and_b32_sdwa v17, v4, v40 dst_sel:DWORD dst_unused:UNUSED_PAD src0_sel:DWORD src1_sel:WORD_1
	v_add_u32_e32 v3, 2, v3
	v_cmp_eq_u32_e32 vcc, 1, v17
	v_cndmask_b32_e32 v2, v3, v2, vcc
	v_lshlrev_b32_e32 v2, 2, v2
	ds_write_b32 v2, v30
	v_sub_u32_e32 v2, v5, v19
	v_sub_u32_e32 v3, v36, v2
	v_and_b32_e32 v5, 1, v43
	v_add_u32_e32 v3, 3, v3
	v_cmp_eq_u32_e32 vcc, 1, v5
	v_cndmask_b32_e32 v2, v3, v2, vcc
	v_lshlrev_b32_e32 v2, 2, v2
	ds_write_b32 v2, v31
	v_sub_u32_e32 v2, v6, v19
	v_sub_u32_e32 v3, v36, v2
	v_and_b32_e32 v5, 1, v39
	v_add_u32_e32 v3, 4, v3
	v_cmp_eq_u32_e32 vcc, 1, v5
	v_cndmask_b32_e32 v2, v3, v2, vcc
	v_lshlrev_b32_e32 v2, 2, v2
	v_lshrrev_b32_e32 v16, 8, v39
	ds_write_b32 v2, v28
	v_sub_u32_e32 v2, v7, v19
	v_sub_u32_e32 v3, v36, v2
	v_and_b32_e32 v5, 1, v16
	v_add_u32_e32 v3, 5, v3
	v_cmp_eq_u32_e32 vcc, 1, v5
	v_cndmask_b32_e32 v2, v3, v2, vcc
	v_lshlrev_b32_e32 v2, 2, v2
	ds_write_b32 v2, v29
	v_sub_u32_e32 v2, v8, v19
	v_sub_u32_e32 v3, v36, v2
	v_and_b32_sdwa v5, v4, v39 dst_sel:DWORD dst_unused:UNUSED_PAD src0_sel:DWORD src1_sel:WORD_1
	v_add_u32_e32 v3, 6, v3
	v_cmp_eq_u32_e32 vcc, 1, v5
	v_cndmask_b32_e32 v2, v3, v2, vcc
	v_lshlrev_b32_e32 v2, 2, v2
	ds_write_b32 v2, v26
	v_sub_u32_e32 v2, v9, v19
	v_sub_u32_e32 v3, v36, v2
	v_and_b32_e32 v5, 1, v42
	v_add_u32_e32 v3, 7, v3
	v_cmp_eq_u32_e32 vcc, 1, v5
	v_cndmask_b32_e32 v2, v3, v2, vcc
	v_lshlrev_b32_e32 v2, 2, v2
	ds_write_b32 v2, v27
	v_sub_u32_e32 v2, v10, v19
	v_sub_u32_e32 v3, v36, v2
	v_and_b32_e32 v5, 1, v38
	v_add_u32_e32 v3, 8, v3
	v_cmp_eq_u32_e32 vcc, 1, v5
	v_cndmask_b32_e32 v2, v3, v2, vcc
	v_lshlrev_b32_e32 v2, 2, v2
	v_lshrrev_b32_e32 v15, 8, v38
	ds_write_b32 v2, v24
	v_sub_u32_e32 v2, v11, v19
	v_sub_u32_e32 v3, v36, v2
	v_and_b32_e32 v5, 1, v15
	v_add_u32_e32 v3, 9, v3
	v_cmp_eq_u32_e32 vcc, 1, v5
	v_cndmask_b32_e32 v2, v3, v2, vcc
	v_lshlrev_b32_e32 v2, 2, v2
	ds_write_b32 v2, v25
	v_sub_u32_e32 v2, v12, v19
	v_sub_u32_e32 v3, v36, v2
	v_and_b32_sdwa v4, v4, v38 dst_sel:DWORD dst_unused:UNUSED_PAD src0_sel:DWORD src1_sel:WORD_1
	v_add_u32_e32 v3, 10, v3
	v_cmp_eq_u32_e32 vcc, 1, v4
	v_cndmask_b32_e32 v2, v3, v2, vcc
	v_lshlrev_b32_e32 v2, 2, v2
	ds_write_b32 v2, v22
	v_sub_u32_e32 v2, v13, v19
	v_sub_u32_e32 v3, v36, v2
	v_and_b32_e32 v4, 1, v41
	v_add_u32_e32 v3, 11, v3
	v_cmp_eq_u32_e32 vcc, 1, v4
	v_cndmask_b32_e32 v2, v3, v2, vcc
	v_lshlrev_b32_e32 v2, 2, v2
	ds_write_b32 v2, v23
	v_sub_u32_e32 v2, v14, v19
	v_sub_u32_e32 v3, v36, v2
	v_and_b32_e32 v4, 1, v37
	v_add_u32_e32 v3, 12, v3
	v_cmp_eq_u32_e32 vcc, 1, v4
	v_cndmask_b32_e32 v2, v3, v2, vcc
	s_waitcnt vmcnt(0)
	v_add_co_u32_e32 v16, vcc, v20, v19
	v_addc_co_u32_e32 v17, vcc, 0, v21, vcc
	v_mov_b32_e32 v14, s29
	v_add_co_u32_e32 v1, vcc, s28, v1
	v_addc_co_u32_e32 v14, vcc, 0, v14, vcc
	v_lshlrev_b32_e32 v2, 2, v2
	v_mov_b32_e32 v15, s27
	v_sub_co_u32_e32 v1, vcc, s26, v1
	ds_write_b32 v2, v35
	s_waitcnt lgkmcnt(0)
	s_barrier
	ds_read2st64_b32 v[12:13], v34 offset1:4
	ds_read2st64_b32 v[10:11], v34 offset0:8 offset1:12
	ds_read2st64_b32 v[8:9], v34 offset0:16 offset1:20
	;; [unrolled: 1-line block ×5, first 2 shown]
	ds_read_b32 v22, v34 offset:12288
	v_subb_co_u32_e32 v14, vcc, v15, v14, vcc
	v_add_co_u32_e32 v1, vcc, v1, v18
	v_addc_co_u32_e32 v14, vcc, 0, v14, vcc
	s_and_b64 vcc, exec, s[2:3]
	v_add_co_u32_e64 v1, s[2:3], v1, v16
	v_or_b32_e32 v35, 0x100, v0
	v_or_b32_e32 v33, 0x200, v0
	;; [unrolled: 1-line block ×12, first 2 shown]
	v_addc_co_u32_e64 v19, s[2:3], v14, v17, s[2:3]
	s_cbranch_vccnz .LBB475_136
; %bb.80:
	v_cmp_ge_u32_e32 vcc, v0, v18
                                        ; implicit-def: $vgpr14_vgpr15
	s_and_saveexec_b64 s[2:3], vcc
	s_xor_b64 s[2:3], exec, s[2:3]
; %bb.81:
	v_not_b32_e32 v14, v0
	v_ashrrev_i32_e32 v15, 31, v14
	v_add_co_u32_e32 v14, vcc, v1, v14
	v_addc_co_u32_e32 v15, vcc, v19, v15, vcc
; %bb.82:
	s_andn2_saveexec_b64 s[2:3], s[2:3]
; %bb.83:
	v_add_co_u32_e32 v14, vcc, v16, v0
	v_addc_co_u32_e32 v15, vcc, 0, v17, vcc
; %bb.84:
	s_or_b64 exec, exec, s[2:3]
	v_lshlrev_b64 v[14:15], 2, v[14:15]
	v_mov_b32_e32 v20, s25
	v_add_co_u32_e32 v14, vcc, s24, v14
	v_addc_co_u32_e32 v15, vcc, v20, v15, vcc
	v_cmp_ge_u32_e32 vcc, v35, v18
	s_waitcnt lgkmcnt(6)
	global_store_dword v[14:15], v12, off
                                        ; implicit-def: $vgpr14_vgpr15
	s_and_saveexec_b64 s[2:3], vcc
	s_xor_b64 s[2:3], exec, s[2:3]
; %bb.85:
	v_xor_b32_e32 v14, 0xfffffeff, v0
	v_ashrrev_i32_e32 v15, 31, v14
	v_add_co_u32_e32 v14, vcc, v1, v14
	v_addc_co_u32_e32 v15, vcc, v19, v15, vcc
; %bb.86:
	s_andn2_saveexec_b64 s[2:3], s[2:3]
; %bb.87:
	v_add_co_u32_e32 v14, vcc, v16, v35
	v_addc_co_u32_e32 v15, vcc, 0, v17, vcc
; %bb.88:
	s_or_b64 exec, exec, s[2:3]
	v_lshlrev_b64 v[14:15], 2, v[14:15]
	v_mov_b32_e32 v20, s25
	v_add_co_u32_e32 v14, vcc, s24, v14
	v_addc_co_u32_e32 v15, vcc, v20, v15, vcc
	v_cmp_ge_u32_e32 vcc, v33, v18
	global_store_dword v[14:15], v13, off
                                        ; implicit-def: $vgpr14_vgpr15
	s_and_saveexec_b64 s[2:3], vcc
	s_xor_b64 s[2:3], exec, s[2:3]
; %bb.89:
	v_xor_b32_e32 v14, 0xfffffdff, v0
	v_ashrrev_i32_e32 v15, 31, v14
	v_add_co_u32_e32 v14, vcc, v1, v14
	v_addc_co_u32_e32 v15, vcc, v19, v15, vcc
; %bb.90:
	s_andn2_saveexec_b64 s[2:3], s[2:3]
; %bb.91:
	v_add_co_u32_e32 v14, vcc, v16, v33
	v_addc_co_u32_e32 v15, vcc, 0, v17, vcc
; %bb.92:
	s_or_b64 exec, exec, s[2:3]
	v_lshlrev_b64 v[14:15], 2, v[14:15]
	v_mov_b32_e32 v20, s25
	v_add_co_u32_e32 v14, vcc, s24, v14
	v_addc_co_u32_e32 v15, vcc, v20, v15, vcc
	v_cmp_ge_u32_e32 vcc, v32, v18
	s_waitcnt lgkmcnt(5)
	global_store_dword v[14:15], v10, off
                                        ; implicit-def: $vgpr14_vgpr15
	s_and_saveexec_b64 s[2:3], vcc
	s_xor_b64 s[2:3], exec, s[2:3]
; %bb.93:
	v_xor_b32_e32 v14, 0xfffffcff, v0
	v_ashrrev_i32_e32 v15, 31, v14
	v_add_co_u32_e32 v14, vcc, v1, v14
	v_addc_co_u32_e32 v15, vcc, v19, v15, vcc
; %bb.94:
	s_andn2_saveexec_b64 s[2:3], s[2:3]
; %bb.95:
	v_add_co_u32_e32 v14, vcc, v16, v32
	v_addc_co_u32_e32 v15, vcc, 0, v17, vcc
; %bb.96:
	s_or_b64 exec, exec, s[2:3]
	v_lshlrev_b64 v[14:15], 2, v[14:15]
	v_mov_b32_e32 v20, s25
	v_add_co_u32_e32 v14, vcc, s24, v14
	v_addc_co_u32_e32 v15, vcc, v20, v15, vcc
	v_cmp_ge_u32_e32 vcc, v31, v18
	global_store_dword v[14:15], v11, off
                                        ; implicit-def: $vgpr14_vgpr15
	s_and_saveexec_b64 s[2:3], vcc
	s_xor_b64 s[2:3], exec, s[2:3]
; %bb.97:
	v_xor_b32_e32 v14, 0xfffffbff, v0
	v_ashrrev_i32_e32 v15, 31, v14
	v_add_co_u32_e32 v14, vcc, v1, v14
	v_addc_co_u32_e32 v15, vcc, v19, v15, vcc
; %bb.98:
	s_andn2_saveexec_b64 s[2:3], s[2:3]
; %bb.99:
	v_add_co_u32_e32 v14, vcc, v16, v31
	v_addc_co_u32_e32 v15, vcc, 0, v17, vcc
; %bb.100:
	s_or_b64 exec, exec, s[2:3]
	v_lshlrev_b64 v[14:15], 2, v[14:15]
	v_mov_b32_e32 v20, s25
	v_add_co_u32_e32 v14, vcc, s24, v14
	v_addc_co_u32_e32 v15, vcc, v20, v15, vcc
	v_cmp_ge_u32_e32 vcc, v30, v18
	s_waitcnt lgkmcnt(4)
	global_store_dword v[14:15], v8, off
                                        ; implicit-def: $vgpr14_vgpr15
	s_and_saveexec_b64 s[2:3], vcc
	s_xor_b64 s[2:3], exec, s[2:3]
; %bb.101:
	v_xor_b32_e32 v14, 0xfffffaff, v0
	v_ashrrev_i32_e32 v15, 31, v14
	v_add_co_u32_e32 v14, vcc, v1, v14
	v_addc_co_u32_e32 v15, vcc, v19, v15, vcc
; %bb.102:
	s_andn2_saveexec_b64 s[2:3], s[2:3]
; %bb.103:
	v_add_co_u32_e32 v14, vcc, v16, v30
	v_addc_co_u32_e32 v15, vcc, 0, v17, vcc
; %bb.104:
	s_or_b64 exec, exec, s[2:3]
	v_lshlrev_b64 v[14:15], 2, v[14:15]
	v_mov_b32_e32 v20, s25
	v_add_co_u32_e32 v14, vcc, s24, v14
	v_addc_co_u32_e32 v15, vcc, v20, v15, vcc
	v_cmp_ge_u32_e32 vcc, v29, v18
	global_store_dword v[14:15], v9, off
                                        ; implicit-def: $vgpr14_vgpr15
	s_and_saveexec_b64 s[2:3], vcc
	s_xor_b64 s[2:3], exec, s[2:3]
; %bb.105:
	v_xor_b32_e32 v14, 0xfffff9ff, v0
	v_ashrrev_i32_e32 v15, 31, v14
	v_add_co_u32_e32 v14, vcc, v1, v14
	v_addc_co_u32_e32 v15, vcc, v19, v15, vcc
; %bb.106:
	s_andn2_saveexec_b64 s[2:3], s[2:3]
; %bb.107:
	v_add_co_u32_e32 v14, vcc, v16, v29
	v_addc_co_u32_e32 v15, vcc, 0, v17, vcc
; %bb.108:
	s_or_b64 exec, exec, s[2:3]
	v_lshlrev_b64 v[14:15], 2, v[14:15]
	v_mov_b32_e32 v20, s25
	v_add_co_u32_e32 v14, vcc, s24, v14
	v_addc_co_u32_e32 v15, vcc, v20, v15, vcc
	v_cmp_ge_u32_e32 vcc, v28, v18
	s_waitcnt lgkmcnt(3)
	global_store_dword v[14:15], v6, off
                                        ; implicit-def: $vgpr14_vgpr15
	s_and_saveexec_b64 s[2:3], vcc
	s_xor_b64 s[2:3], exec, s[2:3]
; %bb.109:
	v_xor_b32_e32 v14, 0xfffff8ff, v0
	v_ashrrev_i32_e32 v15, 31, v14
	v_add_co_u32_e32 v14, vcc, v1, v14
	v_addc_co_u32_e32 v15, vcc, v19, v15, vcc
; %bb.110:
	s_andn2_saveexec_b64 s[2:3], s[2:3]
; %bb.111:
	v_add_co_u32_e32 v14, vcc, v16, v28
	v_addc_co_u32_e32 v15, vcc, 0, v17, vcc
; %bb.112:
	s_or_b64 exec, exec, s[2:3]
	v_lshlrev_b64 v[14:15], 2, v[14:15]
	v_mov_b32_e32 v20, s25
	v_add_co_u32_e32 v14, vcc, s24, v14
	v_addc_co_u32_e32 v15, vcc, v20, v15, vcc
	v_cmp_ge_u32_e32 vcc, v27, v18
	global_store_dword v[14:15], v7, off
                                        ; implicit-def: $vgpr14_vgpr15
	s_and_saveexec_b64 s[2:3], vcc
	s_xor_b64 s[2:3], exec, s[2:3]
; %bb.113:
	v_xor_b32_e32 v14, 0xfffff7ff, v0
	v_ashrrev_i32_e32 v15, 31, v14
	v_add_co_u32_e32 v14, vcc, v1, v14
	v_addc_co_u32_e32 v15, vcc, v19, v15, vcc
; %bb.114:
	s_andn2_saveexec_b64 s[2:3], s[2:3]
; %bb.115:
	v_add_co_u32_e32 v14, vcc, v16, v27
	v_addc_co_u32_e32 v15, vcc, 0, v17, vcc
; %bb.116:
	s_or_b64 exec, exec, s[2:3]
	v_lshlrev_b64 v[14:15], 2, v[14:15]
	v_mov_b32_e32 v20, s25
	v_add_co_u32_e32 v14, vcc, s24, v14
	v_addc_co_u32_e32 v15, vcc, v20, v15, vcc
	v_cmp_ge_u32_e32 vcc, v26, v18
	s_waitcnt lgkmcnt(2)
	global_store_dword v[14:15], v4, off
                                        ; implicit-def: $vgpr14_vgpr15
	s_and_saveexec_b64 s[2:3], vcc
	s_xor_b64 s[2:3], exec, s[2:3]
; %bb.117:
	v_xor_b32_e32 v14, 0xfffff6ff, v0
	v_ashrrev_i32_e32 v15, 31, v14
	v_add_co_u32_e32 v14, vcc, v1, v14
	v_addc_co_u32_e32 v15, vcc, v19, v15, vcc
; %bb.118:
	s_andn2_saveexec_b64 s[2:3], s[2:3]
; %bb.119:
	v_add_co_u32_e32 v14, vcc, v16, v26
	v_addc_co_u32_e32 v15, vcc, 0, v17, vcc
; %bb.120:
	s_or_b64 exec, exec, s[2:3]
	v_lshlrev_b64 v[14:15], 2, v[14:15]
	v_mov_b32_e32 v20, s25
	v_add_co_u32_e32 v14, vcc, s24, v14
	v_addc_co_u32_e32 v15, vcc, v20, v15, vcc
	v_cmp_ge_u32_e32 vcc, v25, v18
	global_store_dword v[14:15], v5, off
                                        ; implicit-def: $vgpr14_vgpr15
	s_and_saveexec_b64 s[2:3], vcc
	s_xor_b64 s[2:3], exec, s[2:3]
; %bb.121:
	v_xor_b32_e32 v14, 0xfffff5ff, v0
	v_ashrrev_i32_e32 v15, 31, v14
	v_add_co_u32_e32 v14, vcc, v1, v14
	v_addc_co_u32_e32 v15, vcc, v19, v15, vcc
; %bb.122:
	s_andn2_saveexec_b64 s[2:3], s[2:3]
; %bb.123:
	v_add_co_u32_e32 v14, vcc, v16, v25
	v_addc_co_u32_e32 v15, vcc, 0, v17, vcc
; %bb.124:
	s_or_b64 exec, exec, s[2:3]
	v_lshlrev_b64 v[14:15], 2, v[14:15]
	v_mov_b32_e32 v20, s25
	v_add_co_u32_e32 v14, vcc, s24, v14
	v_addc_co_u32_e32 v15, vcc, v20, v15, vcc
	v_cmp_ge_u32_e32 vcc, v24, v18
	s_waitcnt lgkmcnt(1)
	global_store_dword v[14:15], v2, off
                                        ; implicit-def: $vgpr14_vgpr15
	s_and_saveexec_b64 s[2:3], vcc
	s_xor_b64 s[2:3], exec, s[2:3]
; %bb.125:
	v_xor_b32_e32 v14, 0xfffff4ff, v0
	v_ashrrev_i32_e32 v15, 31, v14
	v_add_co_u32_e32 v14, vcc, v1, v14
	v_addc_co_u32_e32 v15, vcc, v19, v15, vcc
; %bb.126:
	s_andn2_saveexec_b64 s[2:3], s[2:3]
; %bb.127:
	v_add_co_u32_e32 v14, vcc, v16, v24
	v_addc_co_u32_e32 v15, vcc, 0, v17, vcc
; %bb.128:
	s_or_b64 exec, exec, s[2:3]
	v_lshlrev_b64 v[14:15], 2, v[14:15]
	v_mov_b32_e32 v20, s25
	v_add_co_u32_e32 v14, vcc, s24, v14
	v_addc_co_u32_e32 v15, vcc, v20, v15, vcc
	v_cmp_ge_u32_e32 vcc, v23, v18
	global_store_dword v[14:15], v3, off
                                        ; implicit-def: $vgpr14_vgpr15
	s_and_saveexec_b64 s[2:3], vcc
	s_xor_b64 s[2:3], exec, s[2:3]
; %bb.129:
	v_xor_b32_e32 v14, 0xfffff3ff, v0
	v_ashrrev_i32_e32 v15, 31, v14
	v_add_co_u32_e32 v14, vcc, v1, v14
	v_addc_co_u32_e32 v15, vcc, v19, v15, vcc
; %bb.130:
	s_andn2_saveexec_b64 s[2:3], s[2:3]
; %bb.131:
	v_add_co_u32_e32 v14, vcc, v16, v23
	v_addc_co_u32_e32 v15, vcc, 0, v17, vcc
; %bb.132:
	s_or_b64 exec, exec, s[2:3]
	s_mov_b64 s[2:3], -1
.LBB475_133:
	s_and_saveexec_b64 s[4:5], s[2:3]
	s_cbranch_execz .LBB475_216
.LBB475_134:
	v_lshlrev_b64 v[0:1], 2, v[14:15]
	s_waitcnt lgkmcnt(1)
	v_mov_b32_e32 v2, s25
	v_add_co_u32_e32 v0, vcc, s24, v0
	v_addc_co_u32_e32 v1, vcc, v2, v1, vcc
	s_waitcnt lgkmcnt(0)
	global_store_dword v[0:1], v22, off
	s_or_b64 exec, exec, s[4:5]
	s_and_b64 s[0:1], s[0:1], s[22:23]
	s_and_saveexec_b64 s[2:3], s[0:1]
	s_cbranch_execnz .LBB475_217
.LBB475_135:
	s_endpgm
.LBB475_136:
	s_mov_b64 s[2:3], 0
                                        ; implicit-def: $vgpr14_vgpr15
	s_cbranch_execz .LBB475_133
; %bb.137:
	v_cmp_gt_u32_e32 vcc, s33, v0
	s_and_saveexec_b64 s[4:5], vcc
	s_cbranch_execz .LBB475_173
; %bb.138:
	v_cmp_ge_u32_e32 vcc, v0, v18
                                        ; implicit-def: $vgpr14_vgpr15
	s_and_saveexec_b64 s[6:7], vcc
	s_xor_b64 s[6:7], exec, s[6:7]
; %bb.139:
	v_not_b32_e32 v14, v0
	v_ashrrev_i32_e32 v15, 31, v14
	v_add_co_u32_e32 v14, vcc, v1, v14
	v_addc_co_u32_e32 v15, vcc, v19, v15, vcc
; %bb.140:
	s_andn2_saveexec_b64 s[6:7], s[6:7]
; %bb.141:
	v_add_co_u32_e32 v14, vcc, v16, v0
	v_addc_co_u32_e32 v15, vcc, 0, v17, vcc
; %bb.142:
	s_or_b64 exec, exec, s[6:7]
	v_lshlrev_b64 v[14:15], 2, v[14:15]
	v_mov_b32_e32 v20, s25
	v_add_co_u32_e32 v14, vcc, s24, v14
	v_addc_co_u32_e32 v15, vcc, v20, v15, vcc
	s_waitcnt lgkmcnt(6)
	global_store_dword v[14:15], v12, off
	s_or_b64 exec, exec, s[4:5]
	v_cmp_gt_u32_e32 vcc, s33, v35
	s_and_saveexec_b64 s[4:5], vcc
	s_cbranch_execnz .LBB475_174
.LBB475_143:
	s_or_b64 exec, exec, s[4:5]
	v_cmp_gt_u32_e32 vcc, s33, v33
	s_and_saveexec_b64 s[4:5], vcc
	s_cbranch_execz .LBB475_179
.LBB475_144:
	v_cmp_ge_u32_e32 vcc, v33, v18
                                        ; implicit-def: $vgpr12_vgpr13
	s_and_saveexec_b64 s[6:7], vcc
	s_xor_b64 s[6:7], exec, s[6:7]
	s_cbranch_execz .LBB475_146
; %bb.145:
	s_waitcnt lgkmcnt(6)
	v_xor_b32_e32 v12, 0xfffffdff, v0
	v_ashrrev_i32_e32 v13, 31, v12
	v_add_co_u32_e32 v12, vcc, v1, v12
	v_addc_co_u32_e32 v13, vcc, v19, v13, vcc
                                        ; implicit-def: $vgpr33
.LBB475_146:
	s_andn2_saveexec_b64 s[6:7], s[6:7]
	s_cbranch_execz .LBB475_148
; %bb.147:
	s_waitcnt lgkmcnt(6)
	v_add_co_u32_e32 v12, vcc, v16, v33
	v_addc_co_u32_e32 v13, vcc, 0, v17, vcc
.LBB475_148:
	s_or_b64 exec, exec, s[6:7]
	s_waitcnt lgkmcnt(6)
	v_lshlrev_b64 v[12:13], 2, v[12:13]
	v_mov_b32_e32 v14, s25
	v_add_co_u32_e32 v12, vcc, s24, v12
	v_addc_co_u32_e32 v13, vcc, v14, v13, vcc
	s_waitcnt lgkmcnt(5)
	global_store_dword v[12:13], v10, off
	s_or_b64 exec, exec, s[4:5]
	v_cmp_gt_u32_e32 vcc, s33, v32
	s_and_saveexec_b64 s[4:5], vcc
	s_cbranch_execnz .LBB475_180
.LBB475_149:
	s_or_b64 exec, exec, s[4:5]
	v_cmp_gt_u32_e32 vcc, s33, v31
	s_and_saveexec_b64 s[4:5], vcc
	s_cbranch_execz .LBB475_185
.LBB475_150:
	v_cmp_ge_u32_e32 vcc, v31, v18
                                        ; implicit-def: $vgpr10_vgpr11
	s_and_saveexec_b64 s[6:7], vcc
	s_xor_b64 s[6:7], exec, s[6:7]
	s_cbranch_execz .LBB475_152
; %bb.151:
	s_waitcnt lgkmcnt(5)
	v_xor_b32_e32 v10, 0xfffffbff, v0
	v_ashrrev_i32_e32 v11, 31, v10
	v_add_co_u32_e32 v10, vcc, v1, v10
	v_addc_co_u32_e32 v11, vcc, v19, v11, vcc
                                        ; implicit-def: $vgpr31
.LBB475_152:
	s_andn2_saveexec_b64 s[6:7], s[6:7]
	s_cbranch_execz .LBB475_154
; %bb.153:
	s_waitcnt lgkmcnt(5)
	v_add_co_u32_e32 v10, vcc, v16, v31
	v_addc_co_u32_e32 v11, vcc, 0, v17, vcc
.LBB475_154:
	s_or_b64 exec, exec, s[6:7]
	s_waitcnt lgkmcnt(5)
	v_lshlrev_b64 v[10:11], 2, v[10:11]
	v_mov_b32_e32 v12, s25
	v_add_co_u32_e32 v10, vcc, s24, v10
	v_addc_co_u32_e32 v11, vcc, v12, v11, vcc
	s_waitcnt lgkmcnt(4)
	global_store_dword v[10:11], v8, off
	s_or_b64 exec, exec, s[4:5]
	v_cmp_gt_u32_e32 vcc, s33, v30
	s_and_saveexec_b64 s[4:5], vcc
	s_cbranch_execnz .LBB475_186
.LBB475_155:
	s_or_b64 exec, exec, s[4:5]
	v_cmp_gt_u32_e32 vcc, s33, v29
	s_and_saveexec_b64 s[4:5], vcc
	s_cbranch_execz .LBB475_191
.LBB475_156:
	v_cmp_ge_u32_e32 vcc, v29, v18
                                        ; implicit-def: $vgpr8_vgpr9
	s_and_saveexec_b64 s[6:7], vcc
	s_xor_b64 s[6:7], exec, s[6:7]
	s_cbranch_execz .LBB475_158
; %bb.157:
	s_waitcnt lgkmcnt(4)
	v_xor_b32_e32 v8, 0xfffff9ff, v0
	v_ashrrev_i32_e32 v9, 31, v8
	v_add_co_u32_e32 v8, vcc, v1, v8
	v_addc_co_u32_e32 v9, vcc, v19, v9, vcc
                                        ; implicit-def: $vgpr29
.LBB475_158:
	s_andn2_saveexec_b64 s[6:7], s[6:7]
	s_cbranch_execz .LBB475_160
; %bb.159:
	s_waitcnt lgkmcnt(4)
	v_add_co_u32_e32 v8, vcc, v16, v29
	v_addc_co_u32_e32 v9, vcc, 0, v17, vcc
.LBB475_160:
	s_or_b64 exec, exec, s[6:7]
	s_waitcnt lgkmcnt(4)
	v_lshlrev_b64 v[8:9], 2, v[8:9]
	v_mov_b32_e32 v10, s25
	v_add_co_u32_e32 v8, vcc, s24, v8
	v_addc_co_u32_e32 v9, vcc, v10, v9, vcc
	s_waitcnt lgkmcnt(3)
	global_store_dword v[8:9], v6, off
	s_or_b64 exec, exec, s[4:5]
	v_cmp_gt_u32_e32 vcc, s33, v28
	s_and_saveexec_b64 s[4:5], vcc
	s_cbranch_execnz .LBB475_192
.LBB475_161:
	s_or_b64 exec, exec, s[4:5]
	v_cmp_gt_u32_e32 vcc, s33, v27
	s_and_saveexec_b64 s[4:5], vcc
	s_cbranch_execz .LBB475_197
.LBB475_162:
	v_cmp_ge_u32_e32 vcc, v27, v18
                                        ; implicit-def: $vgpr6_vgpr7
	s_and_saveexec_b64 s[6:7], vcc
	s_xor_b64 s[6:7], exec, s[6:7]
	s_cbranch_execz .LBB475_164
; %bb.163:
	s_waitcnt lgkmcnt(3)
	v_xor_b32_e32 v6, 0xfffff7ff, v0
	v_ashrrev_i32_e32 v7, 31, v6
	v_add_co_u32_e32 v6, vcc, v1, v6
	v_addc_co_u32_e32 v7, vcc, v19, v7, vcc
                                        ; implicit-def: $vgpr27
.LBB475_164:
	s_andn2_saveexec_b64 s[6:7], s[6:7]
	s_cbranch_execz .LBB475_166
; %bb.165:
	s_waitcnt lgkmcnt(3)
	v_add_co_u32_e32 v6, vcc, v16, v27
	v_addc_co_u32_e32 v7, vcc, 0, v17, vcc
.LBB475_166:
	s_or_b64 exec, exec, s[6:7]
	s_waitcnt lgkmcnt(3)
	v_lshlrev_b64 v[6:7], 2, v[6:7]
	v_mov_b32_e32 v8, s25
	v_add_co_u32_e32 v6, vcc, s24, v6
	v_addc_co_u32_e32 v7, vcc, v8, v7, vcc
	s_waitcnt lgkmcnt(2)
	global_store_dword v[6:7], v4, off
	s_or_b64 exec, exec, s[4:5]
	v_cmp_gt_u32_e32 vcc, s33, v26
	s_and_saveexec_b64 s[4:5], vcc
	s_cbranch_execnz .LBB475_198
.LBB475_167:
	s_or_b64 exec, exec, s[4:5]
	v_cmp_gt_u32_e32 vcc, s33, v25
	s_and_saveexec_b64 s[4:5], vcc
	s_cbranch_execz .LBB475_203
.LBB475_168:
	v_cmp_ge_u32_e32 vcc, v25, v18
                                        ; implicit-def: $vgpr4_vgpr5
	s_and_saveexec_b64 s[6:7], vcc
	s_xor_b64 s[6:7], exec, s[6:7]
	s_cbranch_execz .LBB475_170
; %bb.169:
	s_waitcnt lgkmcnt(2)
	v_xor_b32_e32 v4, 0xfffff5ff, v0
	v_ashrrev_i32_e32 v5, 31, v4
	v_add_co_u32_e32 v4, vcc, v1, v4
	v_addc_co_u32_e32 v5, vcc, v19, v5, vcc
                                        ; implicit-def: $vgpr25
.LBB475_170:
	s_andn2_saveexec_b64 s[6:7], s[6:7]
	s_cbranch_execz .LBB475_172
; %bb.171:
	s_waitcnt lgkmcnt(2)
	v_add_co_u32_e32 v4, vcc, v16, v25
	v_addc_co_u32_e32 v5, vcc, 0, v17, vcc
.LBB475_172:
	s_or_b64 exec, exec, s[6:7]
	s_waitcnt lgkmcnt(2)
	v_lshlrev_b64 v[4:5], 2, v[4:5]
	v_mov_b32_e32 v6, s25
	v_add_co_u32_e32 v4, vcc, s24, v4
	v_addc_co_u32_e32 v5, vcc, v6, v5, vcc
	s_waitcnt lgkmcnt(1)
	global_store_dword v[4:5], v2, off
	s_or_b64 exec, exec, s[4:5]
	v_cmp_gt_u32_e32 vcc, s33, v24
	s_and_saveexec_b64 s[4:5], vcc
	s_cbranch_execz .LBB475_209
	s_branch .LBB475_204
.LBB475_173:
	s_or_b64 exec, exec, s[4:5]
	v_cmp_gt_u32_e32 vcc, s33, v35
	s_and_saveexec_b64 s[4:5], vcc
	s_cbranch_execz .LBB475_143
.LBB475_174:
	v_cmp_ge_u32_e32 vcc, v35, v18
                                        ; implicit-def: $vgpr14_vgpr15
	s_and_saveexec_b64 s[6:7], vcc
	s_xor_b64 s[6:7], exec, s[6:7]
	s_cbranch_execz .LBB475_176
; %bb.175:
	s_waitcnt lgkmcnt(6)
	v_xor_b32_e32 v12, 0xfffffeff, v0
	v_ashrrev_i32_e32 v15, 31, v12
	v_add_co_u32_e32 v14, vcc, v1, v12
	v_addc_co_u32_e32 v15, vcc, v19, v15, vcc
                                        ; implicit-def: $vgpr35
.LBB475_176:
	s_andn2_saveexec_b64 s[6:7], s[6:7]
; %bb.177:
	v_add_co_u32_e32 v14, vcc, v16, v35
	v_addc_co_u32_e32 v15, vcc, 0, v17, vcc
; %bb.178:
	s_or_b64 exec, exec, s[6:7]
	v_lshlrev_b64 v[14:15], 2, v[14:15]
	s_waitcnt lgkmcnt(6)
	v_mov_b32_e32 v12, s25
	v_add_co_u32_e32 v14, vcc, s24, v14
	v_addc_co_u32_e32 v15, vcc, v12, v15, vcc
	global_store_dword v[14:15], v13, off
	s_or_b64 exec, exec, s[4:5]
	v_cmp_gt_u32_e32 vcc, s33, v33
	s_and_saveexec_b64 s[4:5], vcc
	s_cbranch_execnz .LBB475_144
.LBB475_179:
	s_or_b64 exec, exec, s[4:5]
	v_cmp_gt_u32_e32 vcc, s33, v32
	s_and_saveexec_b64 s[4:5], vcc
	s_cbranch_execz .LBB475_149
.LBB475_180:
	v_cmp_ge_u32_e32 vcc, v32, v18
                                        ; implicit-def: $vgpr12_vgpr13
	s_and_saveexec_b64 s[6:7], vcc
	s_xor_b64 s[6:7], exec, s[6:7]
	s_cbranch_execz .LBB475_182
; %bb.181:
	s_waitcnt lgkmcnt(5)
	v_xor_b32_e32 v10, 0xfffffcff, v0
	v_ashrrev_i32_e32 v13, 31, v10
	v_add_co_u32_e32 v12, vcc, v1, v10
	v_addc_co_u32_e32 v13, vcc, v19, v13, vcc
                                        ; implicit-def: $vgpr32
.LBB475_182:
	s_andn2_saveexec_b64 s[6:7], s[6:7]
	s_cbranch_execz .LBB475_184
; %bb.183:
	s_waitcnt lgkmcnt(6)
	v_add_co_u32_e32 v12, vcc, v16, v32
	v_addc_co_u32_e32 v13, vcc, 0, v17, vcc
.LBB475_184:
	s_or_b64 exec, exec, s[6:7]
	s_waitcnt lgkmcnt(6)
	v_lshlrev_b64 v[12:13], 2, v[12:13]
	s_waitcnt lgkmcnt(5)
	v_mov_b32_e32 v10, s25
	v_add_co_u32_e32 v12, vcc, s24, v12
	v_addc_co_u32_e32 v13, vcc, v10, v13, vcc
	global_store_dword v[12:13], v11, off
	s_or_b64 exec, exec, s[4:5]
	v_cmp_gt_u32_e32 vcc, s33, v31
	s_and_saveexec_b64 s[4:5], vcc
	s_cbranch_execnz .LBB475_150
.LBB475_185:
	s_or_b64 exec, exec, s[4:5]
	v_cmp_gt_u32_e32 vcc, s33, v30
	s_and_saveexec_b64 s[4:5], vcc
	s_cbranch_execz .LBB475_155
.LBB475_186:
	v_cmp_ge_u32_e32 vcc, v30, v18
                                        ; implicit-def: $vgpr10_vgpr11
	s_and_saveexec_b64 s[6:7], vcc
	s_xor_b64 s[6:7], exec, s[6:7]
	s_cbranch_execz .LBB475_188
; %bb.187:
	s_waitcnt lgkmcnt(4)
	v_xor_b32_e32 v8, 0xfffffaff, v0
	v_ashrrev_i32_e32 v11, 31, v8
	v_add_co_u32_e32 v10, vcc, v1, v8
	v_addc_co_u32_e32 v11, vcc, v19, v11, vcc
                                        ; implicit-def: $vgpr30
.LBB475_188:
	s_andn2_saveexec_b64 s[6:7], s[6:7]
	s_cbranch_execz .LBB475_190
; %bb.189:
	s_waitcnt lgkmcnt(5)
	v_add_co_u32_e32 v10, vcc, v16, v30
	v_addc_co_u32_e32 v11, vcc, 0, v17, vcc
.LBB475_190:
	s_or_b64 exec, exec, s[6:7]
	s_waitcnt lgkmcnt(5)
	v_lshlrev_b64 v[10:11], 2, v[10:11]
	s_waitcnt lgkmcnt(4)
	v_mov_b32_e32 v8, s25
	v_add_co_u32_e32 v10, vcc, s24, v10
	v_addc_co_u32_e32 v11, vcc, v8, v11, vcc
	global_store_dword v[10:11], v9, off
	s_or_b64 exec, exec, s[4:5]
	v_cmp_gt_u32_e32 vcc, s33, v29
	s_and_saveexec_b64 s[4:5], vcc
	s_cbranch_execnz .LBB475_156
.LBB475_191:
	s_or_b64 exec, exec, s[4:5]
	v_cmp_gt_u32_e32 vcc, s33, v28
	s_and_saveexec_b64 s[4:5], vcc
	s_cbranch_execz .LBB475_161
.LBB475_192:
	v_cmp_ge_u32_e32 vcc, v28, v18
                                        ; implicit-def: $vgpr8_vgpr9
	s_and_saveexec_b64 s[6:7], vcc
	s_xor_b64 s[6:7], exec, s[6:7]
	s_cbranch_execz .LBB475_194
; %bb.193:
	s_waitcnt lgkmcnt(3)
	v_xor_b32_e32 v6, 0xfffff8ff, v0
	v_ashrrev_i32_e32 v9, 31, v6
	v_add_co_u32_e32 v8, vcc, v1, v6
	v_addc_co_u32_e32 v9, vcc, v19, v9, vcc
                                        ; implicit-def: $vgpr28
.LBB475_194:
	s_andn2_saveexec_b64 s[6:7], s[6:7]
	s_cbranch_execz .LBB475_196
; %bb.195:
	s_waitcnt lgkmcnt(4)
	v_add_co_u32_e32 v8, vcc, v16, v28
	v_addc_co_u32_e32 v9, vcc, 0, v17, vcc
.LBB475_196:
	s_or_b64 exec, exec, s[6:7]
	s_waitcnt lgkmcnt(4)
	v_lshlrev_b64 v[8:9], 2, v[8:9]
	s_waitcnt lgkmcnt(3)
	v_mov_b32_e32 v6, s25
	v_add_co_u32_e32 v8, vcc, s24, v8
	v_addc_co_u32_e32 v9, vcc, v6, v9, vcc
	global_store_dword v[8:9], v7, off
	s_or_b64 exec, exec, s[4:5]
	v_cmp_gt_u32_e32 vcc, s33, v27
	s_and_saveexec_b64 s[4:5], vcc
	s_cbranch_execnz .LBB475_162
.LBB475_197:
	s_or_b64 exec, exec, s[4:5]
	v_cmp_gt_u32_e32 vcc, s33, v26
	s_and_saveexec_b64 s[4:5], vcc
	s_cbranch_execz .LBB475_167
.LBB475_198:
	v_cmp_ge_u32_e32 vcc, v26, v18
                                        ; implicit-def: $vgpr6_vgpr7
	s_and_saveexec_b64 s[6:7], vcc
	s_xor_b64 s[6:7], exec, s[6:7]
	s_cbranch_execz .LBB475_200
; %bb.199:
	s_waitcnt lgkmcnt(2)
	v_xor_b32_e32 v4, 0xfffff6ff, v0
	v_ashrrev_i32_e32 v7, 31, v4
	v_add_co_u32_e32 v6, vcc, v1, v4
	v_addc_co_u32_e32 v7, vcc, v19, v7, vcc
                                        ; implicit-def: $vgpr26
.LBB475_200:
	s_andn2_saveexec_b64 s[6:7], s[6:7]
	s_cbranch_execz .LBB475_202
; %bb.201:
	s_waitcnt lgkmcnt(3)
	v_add_co_u32_e32 v6, vcc, v16, v26
	v_addc_co_u32_e32 v7, vcc, 0, v17, vcc
.LBB475_202:
	s_or_b64 exec, exec, s[6:7]
	s_waitcnt lgkmcnt(3)
	v_lshlrev_b64 v[6:7], 2, v[6:7]
	s_waitcnt lgkmcnt(2)
	v_mov_b32_e32 v4, s25
	v_add_co_u32_e32 v6, vcc, s24, v6
	v_addc_co_u32_e32 v7, vcc, v4, v7, vcc
	global_store_dword v[6:7], v5, off
	s_or_b64 exec, exec, s[4:5]
	v_cmp_gt_u32_e32 vcc, s33, v25
	s_and_saveexec_b64 s[4:5], vcc
	s_cbranch_execnz .LBB475_168
.LBB475_203:
	s_or_b64 exec, exec, s[4:5]
	v_cmp_gt_u32_e32 vcc, s33, v24
	s_and_saveexec_b64 s[4:5], vcc
	s_cbranch_execz .LBB475_209
.LBB475_204:
	v_cmp_ge_u32_e32 vcc, v24, v18
                                        ; implicit-def: $vgpr4_vgpr5
	s_and_saveexec_b64 s[6:7], vcc
	s_xor_b64 s[6:7], exec, s[6:7]
	s_cbranch_execz .LBB475_206
; %bb.205:
	s_waitcnt lgkmcnt(1)
	v_xor_b32_e32 v2, 0xfffff4ff, v0
	v_ashrrev_i32_e32 v5, 31, v2
	v_add_co_u32_e32 v4, vcc, v1, v2
	v_addc_co_u32_e32 v5, vcc, v19, v5, vcc
                                        ; implicit-def: $vgpr24
.LBB475_206:
	s_andn2_saveexec_b64 s[6:7], s[6:7]
	s_cbranch_execz .LBB475_208
; %bb.207:
	s_waitcnt lgkmcnt(2)
	v_add_co_u32_e32 v4, vcc, v16, v24
	v_addc_co_u32_e32 v5, vcc, 0, v17, vcc
.LBB475_208:
	s_or_b64 exec, exec, s[6:7]
	s_waitcnt lgkmcnt(2)
	v_lshlrev_b64 v[4:5], 2, v[4:5]
	s_waitcnt lgkmcnt(1)
	v_mov_b32_e32 v2, s25
	v_add_co_u32_e32 v4, vcc, s24, v4
	v_addc_co_u32_e32 v5, vcc, v2, v5, vcc
	global_store_dword v[4:5], v3, off
.LBB475_209:
	s_or_b64 exec, exec, s[4:5]
	v_cmp_gt_u32_e32 vcc, s33, v23
                                        ; implicit-def: $vgpr14_vgpr15
	s_and_saveexec_b64 s[4:5], vcc
	s_cbranch_execz .LBB475_215
; %bb.210:
	v_cmp_ge_u32_e32 vcc, v23, v18
                                        ; implicit-def: $vgpr14_vgpr15
	s_and_saveexec_b64 s[6:7], vcc
	s_xor_b64 s[6:7], exec, s[6:7]
	s_cbranch_execz .LBB475_212
; %bb.211:
	v_xor_b32_e32 v0, 0xfffff3ff, v0
	s_waitcnt lgkmcnt(1)
	v_ashrrev_i32_e32 v2, 31, v0
	v_add_co_u32_e32 v14, vcc, v1, v0
	v_addc_co_u32_e32 v15, vcc, v19, v2, vcc
                                        ; implicit-def: $vgpr23
.LBB475_212:
	s_andn2_saveexec_b64 s[6:7], s[6:7]
; %bb.213:
	v_add_co_u32_e32 v14, vcc, v16, v23
	v_addc_co_u32_e32 v15, vcc, 0, v17, vcc
; %bb.214:
	s_or_b64 exec, exec, s[6:7]
	s_or_b64 s[2:3], s[2:3], exec
.LBB475_215:
	s_or_b64 exec, exec, s[4:5]
	s_and_saveexec_b64 s[4:5], s[2:3]
	s_cbranch_execnz .LBB475_134
.LBB475_216:
	s_or_b64 exec, exec, s[4:5]
	s_and_b64 s[0:1], s[0:1], s[22:23]
	s_and_saveexec_b64 s[2:3], s[0:1]
	s_cbranch_execz .LBB475_135
.LBB475_217:
	v_add_co_u32_e32 v0, vcc, v16, v18
	s_waitcnt lgkmcnt(1)
	v_mov_b32_e32 v2, 0
	v_addc_co_u32_e32 v1, vcc, 0, v17, vcc
	global_store_dwordx2 v2, v[0:1], s[20:21]
	s_endpgm
	.section	.rodata,"a",@progbits
	.p2align	6, 0x0
	.amdhsa_kernel _ZN7rocprim17ROCPRIM_400000_NS6detail17trampoline_kernelINS0_13select_configILj256ELj13ELNS0_17block_load_methodE3ELS4_3ELS4_3ELNS0_20block_scan_algorithmE0ELj4294967295EEENS1_25partition_config_selectorILNS1_17partition_subalgoE3EjNS0_10empty_typeEbEEZZNS1_14partition_implILS8_3ELb0ES6_jNS0_17counting_iteratorIjlEEPS9_SE_NS0_5tupleIJPjSE_EEENSF_IJSE_SE_EEES9_SG_JZNS1_25segmented_radix_sort_implINS0_14default_configELb1EPKiPiPKlPlN2at6native12_GLOBAL__N_18offset_tEEE10hipError_tPvRmT1_PNSt15iterator_traitsISY_E10value_typeET2_T3_PNSZ_IS14_E10value_typeET4_jRbjT5_S1A_jjP12ihipStream_tbEUljE_EEESV_SW_SX_S14_S18_S1A_T6_T7_T9_mT8_S1C_bDpT10_ENKUlT_T0_E_clISt17integral_constantIbLb1EES1P_EEDaS1K_S1L_EUlS1K_E_NS1_11comp_targetILNS1_3genE4ELNS1_11target_archE910ELNS1_3gpuE8ELNS1_3repE0EEENS1_30default_config_static_selectorELNS0_4arch9wavefront6targetE1EEEvSY_
		.amdhsa_group_segment_fixed_size 13324
		.amdhsa_private_segment_fixed_size 0
		.amdhsa_kernarg_size 152
		.amdhsa_user_sgpr_count 6
		.amdhsa_user_sgpr_private_segment_buffer 1
		.amdhsa_user_sgpr_dispatch_ptr 0
		.amdhsa_user_sgpr_queue_ptr 0
		.amdhsa_user_sgpr_kernarg_segment_ptr 1
		.amdhsa_user_sgpr_dispatch_id 0
		.amdhsa_user_sgpr_flat_scratch_init 0
		.amdhsa_user_sgpr_kernarg_preload_length 0
		.amdhsa_user_sgpr_kernarg_preload_offset 0
		.amdhsa_user_sgpr_private_segment_size 0
		.amdhsa_uses_dynamic_stack 0
		.amdhsa_system_sgpr_private_segment_wavefront_offset 0
		.amdhsa_system_sgpr_workgroup_id_x 1
		.amdhsa_system_sgpr_workgroup_id_y 0
		.amdhsa_system_sgpr_workgroup_id_z 0
		.amdhsa_system_sgpr_workgroup_info 0
		.amdhsa_system_vgpr_workitem_id 0
		.amdhsa_next_free_vgpr 64
		.amdhsa_next_free_sgpr 44
		.amdhsa_accum_offset 64
		.amdhsa_reserve_vcc 1
		.amdhsa_reserve_flat_scratch 0
		.amdhsa_float_round_mode_32 0
		.amdhsa_float_round_mode_16_64 0
		.amdhsa_float_denorm_mode_32 3
		.amdhsa_float_denorm_mode_16_64 3
		.amdhsa_dx10_clamp 1
		.amdhsa_ieee_mode 1
		.amdhsa_fp16_overflow 0
		.amdhsa_tg_split 0
		.amdhsa_exception_fp_ieee_invalid_op 0
		.amdhsa_exception_fp_denorm_src 0
		.amdhsa_exception_fp_ieee_div_zero 0
		.amdhsa_exception_fp_ieee_overflow 0
		.amdhsa_exception_fp_ieee_underflow 0
		.amdhsa_exception_fp_ieee_inexact 0
		.amdhsa_exception_int_div_zero 0
	.end_amdhsa_kernel
	.section	.text._ZN7rocprim17ROCPRIM_400000_NS6detail17trampoline_kernelINS0_13select_configILj256ELj13ELNS0_17block_load_methodE3ELS4_3ELS4_3ELNS0_20block_scan_algorithmE0ELj4294967295EEENS1_25partition_config_selectorILNS1_17partition_subalgoE3EjNS0_10empty_typeEbEEZZNS1_14partition_implILS8_3ELb0ES6_jNS0_17counting_iteratorIjlEEPS9_SE_NS0_5tupleIJPjSE_EEENSF_IJSE_SE_EEES9_SG_JZNS1_25segmented_radix_sort_implINS0_14default_configELb1EPKiPiPKlPlN2at6native12_GLOBAL__N_18offset_tEEE10hipError_tPvRmT1_PNSt15iterator_traitsISY_E10value_typeET2_T3_PNSZ_IS14_E10value_typeET4_jRbjT5_S1A_jjP12ihipStream_tbEUljE_EEESV_SW_SX_S14_S18_S1A_T6_T7_T9_mT8_S1C_bDpT10_ENKUlT_T0_E_clISt17integral_constantIbLb1EES1P_EEDaS1K_S1L_EUlS1K_E_NS1_11comp_targetILNS1_3genE4ELNS1_11target_archE910ELNS1_3gpuE8ELNS1_3repE0EEENS1_30default_config_static_selectorELNS0_4arch9wavefront6targetE1EEEvSY_,"axG",@progbits,_ZN7rocprim17ROCPRIM_400000_NS6detail17trampoline_kernelINS0_13select_configILj256ELj13ELNS0_17block_load_methodE3ELS4_3ELS4_3ELNS0_20block_scan_algorithmE0ELj4294967295EEENS1_25partition_config_selectorILNS1_17partition_subalgoE3EjNS0_10empty_typeEbEEZZNS1_14partition_implILS8_3ELb0ES6_jNS0_17counting_iteratorIjlEEPS9_SE_NS0_5tupleIJPjSE_EEENSF_IJSE_SE_EEES9_SG_JZNS1_25segmented_radix_sort_implINS0_14default_configELb1EPKiPiPKlPlN2at6native12_GLOBAL__N_18offset_tEEE10hipError_tPvRmT1_PNSt15iterator_traitsISY_E10value_typeET2_T3_PNSZ_IS14_E10value_typeET4_jRbjT5_S1A_jjP12ihipStream_tbEUljE_EEESV_SW_SX_S14_S18_S1A_T6_T7_T9_mT8_S1C_bDpT10_ENKUlT_T0_E_clISt17integral_constantIbLb1EES1P_EEDaS1K_S1L_EUlS1K_E_NS1_11comp_targetILNS1_3genE4ELNS1_11target_archE910ELNS1_3gpuE8ELNS1_3repE0EEENS1_30default_config_static_selectorELNS0_4arch9wavefront6targetE1EEEvSY_,comdat
.Lfunc_end475:
	.size	_ZN7rocprim17ROCPRIM_400000_NS6detail17trampoline_kernelINS0_13select_configILj256ELj13ELNS0_17block_load_methodE3ELS4_3ELS4_3ELNS0_20block_scan_algorithmE0ELj4294967295EEENS1_25partition_config_selectorILNS1_17partition_subalgoE3EjNS0_10empty_typeEbEEZZNS1_14partition_implILS8_3ELb0ES6_jNS0_17counting_iteratorIjlEEPS9_SE_NS0_5tupleIJPjSE_EEENSF_IJSE_SE_EEES9_SG_JZNS1_25segmented_radix_sort_implINS0_14default_configELb1EPKiPiPKlPlN2at6native12_GLOBAL__N_18offset_tEEE10hipError_tPvRmT1_PNSt15iterator_traitsISY_E10value_typeET2_T3_PNSZ_IS14_E10value_typeET4_jRbjT5_S1A_jjP12ihipStream_tbEUljE_EEESV_SW_SX_S14_S18_S1A_T6_T7_T9_mT8_S1C_bDpT10_ENKUlT_T0_E_clISt17integral_constantIbLb1EES1P_EEDaS1K_S1L_EUlS1K_E_NS1_11comp_targetILNS1_3genE4ELNS1_11target_archE910ELNS1_3gpuE8ELNS1_3repE0EEENS1_30default_config_static_selectorELNS0_4arch9wavefront6targetE1EEEvSY_, .Lfunc_end475-_ZN7rocprim17ROCPRIM_400000_NS6detail17trampoline_kernelINS0_13select_configILj256ELj13ELNS0_17block_load_methodE3ELS4_3ELS4_3ELNS0_20block_scan_algorithmE0ELj4294967295EEENS1_25partition_config_selectorILNS1_17partition_subalgoE3EjNS0_10empty_typeEbEEZZNS1_14partition_implILS8_3ELb0ES6_jNS0_17counting_iteratorIjlEEPS9_SE_NS0_5tupleIJPjSE_EEENSF_IJSE_SE_EEES9_SG_JZNS1_25segmented_radix_sort_implINS0_14default_configELb1EPKiPiPKlPlN2at6native12_GLOBAL__N_18offset_tEEE10hipError_tPvRmT1_PNSt15iterator_traitsISY_E10value_typeET2_T3_PNSZ_IS14_E10value_typeET4_jRbjT5_S1A_jjP12ihipStream_tbEUljE_EEESV_SW_SX_S14_S18_S1A_T6_T7_T9_mT8_S1C_bDpT10_ENKUlT_T0_E_clISt17integral_constantIbLb1EES1P_EEDaS1K_S1L_EUlS1K_E_NS1_11comp_targetILNS1_3genE4ELNS1_11target_archE910ELNS1_3gpuE8ELNS1_3repE0EEENS1_30default_config_static_selectorELNS0_4arch9wavefront6targetE1EEEvSY_
                                        ; -- End function
	.section	.AMDGPU.csdata,"",@progbits
; Kernel info:
; codeLenInByte = 7896
; NumSgprs: 48
; NumVgprs: 64
; NumAgprs: 0
; TotalNumVgprs: 64
; ScratchSize: 0
; MemoryBound: 0
; FloatMode: 240
; IeeeMode: 1
; LDSByteSize: 13324 bytes/workgroup (compile time only)
; SGPRBlocks: 5
; VGPRBlocks: 7
; NumSGPRsForWavesPerEU: 48
; NumVGPRsForWavesPerEU: 64
; AccumOffset: 64
; Occupancy: 4
; WaveLimiterHint : 0
; COMPUTE_PGM_RSRC2:SCRATCH_EN: 0
; COMPUTE_PGM_RSRC2:USER_SGPR: 6
; COMPUTE_PGM_RSRC2:TRAP_HANDLER: 0
; COMPUTE_PGM_RSRC2:TGID_X_EN: 1
; COMPUTE_PGM_RSRC2:TGID_Y_EN: 0
; COMPUTE_PGM_RSRC2:TGID_Z_EN: 0
; COMPUTE_PGM_RSRC2:TIDIG_COMP_CNT: 0
; COMPUTE_PGM_RSRC3_GFX90A:ACCUM_OFFSET: 15
; COMPUTE_PGM_RSRC3_GFX90A:TG_SPLIT: 0
	.section	.text._ZN7rocprim17ROCPRIM_400000_NS6detail17trampoline_kernelINS0_13select_configILj256ELj13ELNS0_17block_load_methodE3ELS4_3ELS4_3ELNS0_20block_scan_algorithmE0ELj4294967295EEENS1_25partition_config_selectorILNS1_17partition_subalgoE3EjNS0_10empty_typeEbEEZZNS1_14partition_implILS8_3ELb0ES6_jNS0_17counting_iteratorIjlEEPS9_SE_NS0_5tupleIJPjSE_EEENSF_IJSE_SE_EEES9_SG_JZNS1_25segmented_radix_sort_implINS0_14default_configELb1EPKiPiPKlPlN2at6native12_GLOBAL__N_18offset_tEEE10hipError_tPvRmT1_PNSt15iterator_traitsISY_E10value_typeET2_T3_PNSZ_IS14_E10value_typeET4_jRbjT5_S1A_jjP12ihipStream_tbEUljE_EEESV_SW_SX_S14_S18_S1A_T6_T7_T9_mT8_S1C_bDpT10_ENKUlT_T0_E_clISt17integral_constantIbLb1EES1P_EEDaS1K_S1L_EUlS1K_E_NS1_11comp_targetILNS1_3genE3ELNS1_11target_archE908ELNS1_3gpuE7ELNS1_3repE0EEENS1_30default_config_static_selectorELNS0_4arch9wavefront6targetE1EEEvSY_,"axG",@progbits,_ZN7rocprim17ROCPRIM_400000_NS6detail17trampoline_kernelINS0_13select_configILj256ELj13ELNS0_17block_load_methodE3ELS4_3ELS4_3ELNS0_20block_scan_algorithmE0ELj4294967295EEENS1_25partition_config_selectorILNS1_17partition_subalgoE3EjNS0_10empty_typeEbEEZZNS1_14partition_implILS8_3ELb0ES6_jNS0_17counting_iteratorIjlEEPS9_SE_NS0_5tupleIJPjSE_EEENSF_IJSE_SE_EEES9_SG_JZNS1_25segmented_radix_sort_implINS0_14default_configELb1EPKiPiPKlPlN2at6native12_GLOBAL__N_18offset_tEEE10hipError_tPvRmT1_PNSt15iterator_traitsISY_E10value_typeET2_T3_PNSZ_IS14_E10value_typeET4_jRbjT5_S1A_jjP12ihipStream_tbEUljE_EEESV_SW_SX_S14_S18_S1A_T6_T7_T9_mT8_S1C_bDpT10_ENKUlT_T0_E_clISt17integral_constantIbLb1EES1P_EEDaS1K_S1L_EUlS1K_E_NS1_11comp_targetILNS1_3genE3ELNS1_11target_archE908ELNS1_3gpuE7ELNS1_3repE0EEENS1_30default_config_static_selectorELNS0_4arch9wavefront6targetE1EEEvSY_,comdat
	.globl	_ZN7rocprim17ROCPRIM_400000_NS6detail17trampoline_kernelINS0_13select_configILj256ELj13ELNS0_17block_load_methodE3ELS4_3ELS4_3ELNS0_20block_scan_algorithmE0ELj4294967295EEENS1_25partition_config_selectorILNS1_17partition_subalgoE3EjNS0_10empty_typeEbEEZZNS1_14partition_implILS8_3ELb0ES6_jNS0_17counting_iteratorIjlEEPS9_SE_NS0_5tupleIJPjSE_EEENSF_IJSE_SE_EEES9_SG_JZNS1_25segmented_radix_sort_implINS0_14default_configELb1EPKiPiPKlPlN2at6native12_GLOBAL__N_18offset_tEEE10hipError_tPvRmT1_PNSt15iterator_traitsISY_E10value_typeET2_T3_PNSZ_IS14_E10value_typeET4_jRbjT5_S1A_jjP12ihipStream_tbEUljE_EEESV_SW_SX_S14_S18_S1A_T6_T7_T9_mT8_S1C_bDpT10_ENKUlT_T0_E_clISt17integral_constantIbLb1EES1P_EEDaS1K_S1L_EUlS1K_E_NS1_11comp_targetILNS1_3genE3ELNS1_11target_archE908ELNS1_3gpuE7ELNS1_3repE0EEENS1_30default_config_static_selectorELNS0_4arch9wavefront6targetE1EEEvSY_ ; -- Begin function _ZN7rocprim17ROCPRIM_400000_NS6detail17trampoline_kernelINS0_13select_configILj256ELj13ELNS0_17block_load_methodE3ELS4_3ELS4_3ELNS0_20block_scan_algorithmE0ELj4294967295EEENS1_25partition_config_selectorILNS1_17partition_subalgoE3EjNS0_10empty_typeEbEEZZNS1_14partition_implILS8_3ELb0ES6_jNS0_17counting_iteratorIjlEEPS9_SE_NS0_5tupleIJPjSE_EEENSF_IJSE_SE_EEES9_SG_JZNS1_25segmented_radix_sort_implINS0_14default_configELb1EPKiPiPKlPlN2at6native12_GLOBAL__N_18offset_tEEE10hipError_tPvRmT1_PNSt15iterator_traitsISY_E10value_typeET2_T3_PNSZ_IS14_E10value_typeET4_jRbjT5_S1A_jjP12ihipStream_tbEUljE_EEESV_SW_SX_S14_S18_S1A_T6_T7_T9_mT8_S1C_bDpT10_ENKUlT_T0_E_clISt17integral_constantIbLb1EES1P_EEDaS1K_S1L_EUlS1K_E_NS1_11comp_targetILNS1_3genE3ELNS1_11target_archE908ELNS1_3gpuE7ELNS1_3repE0EEENS1_30default_config_static_selectorELNS0_4arch9wavefront6targetE1EEEvSY_
	.p2align	8
	.type	_ZN7rocprim17ROCPRIM_400000_NS6detail17trampoline_kernelINS0_13select_configILj256ELj13ELNS0_17block_load_methodE3ELS4_3ELS4_3ELNS0_20block_scan_algorithmE0ELj4294967295EEENS1_25partition_config_selectorILNS1_17partition_subalgoE3EjNS0_10empty_typeEbEEZZNS1_14partition_implILS8_3ELb0ES6_jNS0_17counting_iteratorIjlEEPS9_SE_NS0_5tupleIJPjSE_EEENSF_IJSE_SE_EEES9_SG_JZNS1_25segmented_radix_sort_implINS0_14default_configELb1EPKiPiPKlPlN2at6native12_GLOBAL__N_18offset_tEEE10hipError_tPvRmT1_PNSt15iterator_traitsISY_E10value_typeET2_T3_PNSZ_IS14_E10value_typeET4_jRbjT5_S1A_jjP12ihipStream_tbEUljE_EEESV_SW_SX_S14_S18_S1A_T6_T7_T9_mT8_S1C_bDpT10_ENKUlT_T0_E_clISt17integral_constantIbLb1EES1P_EEDaS1K_S1L_EUlS1K_E_NS1_11comp_targetILNS1_3genE3ELNS1_11target_archE908ELNS1_3gpuE7ELNS1_3repE0EEENS1_30default_config_static_selectorELNS0_4arch9wavefront6targetE1EEEvSY_,@function
_ZN7rocprim17ROCPRIM_400000_NS6detail17trampoline_kernelINS0_13select_configILj256ELj13ELNS0_17block_load_methodE3ELS4_3ELS4_3ELNS0_20block_scan_algorithmE0ELj4294967295EEENS1_25partition_config_selectorILNS1_17partition_subalgoE3EjNS0_10empty_typeEbEEZZNS1_14partition_implILS8_3ELb0ES6_jNS0_17counting_iteratorIjlEEPS9_SE_NS0_5tupleIJPjSE_EEENSF_IJSE_SE_EEES9_SG_JZNS1_25segmented_radix_sort_implINS0_14default_configELb1EPKiPiPKlPlN2at6native12_GLOBAL__N_18offset_tEEE10hipError_tPvRmT1_PNSt15iterator_traitsISY_E10value_typeET2_T3_PNSZ_IS14_E10value_typeET4_jRbjT5_S1A_jjP12ihipStream_tbEUljE_EEESV_SW_SX_S14_S18_S1A_T6_T7_T9_mT8_S1C_bDpT10_ENKUlT_T0_E_clISt17integral_constantIbLb1EES1P_EEDaS1K_S1L_EUlS1K_E_NS1_11comp_targetILNS1_3genE3ELNS1_11target_archE908ELNS1_3gpuE7ELNS1_3repE0EEENS1_30default_config_static_selectorELNS0_4arch9wavefront6targetE1EEEvSY_: ; @_ZN7rocprim17ROCPRIM_400000_NS6detail17trampoline_kernelINS0_13select_configILj256ELj13ELNS0_17block_load_methodE3ELS4_3ELS4_3ELNS0_20block_scan_algorithmE0ELj4294967295EEENS1_25partition_config_selectorILNS1_17partition_subalgoE3EjNS0_10empty_typeEbEEZZNS1_14partition_implILS8_3ELb0ES6_jNS0_17counting_iteratorIjlEEPS9_SE_NS0_5tupleIJPjSE_EEENSF_IJSE_SE_EEES9_SG_JZNS1_25segmented_radix_sort_implINS0_14default_configELb1EPKiPiPKlPlN2at6native12_GLOBAL__N_18offset_tEEE10hipError_tPvRmT1_PNSt15iterator_traitsISY_E10value_typeET2_T3_PNSZ_IS14_E10value_typeET4_jRbjT5_S1A_jjP12ihipStream_tbEUljE_EEESV_SW_SX_S14_S18_S1A_T6_T7_T9_mT8_S1C_bDpT10_ENKUlT_T0_E_clISt17integral_constantIbLb1EES1P_EEDaS1K_S1L_EUlS1K_E_NS1_11comp_targetILNS1_3genE3ELNS1_11target_archE908ELNS1_3gpuE7ELNS1_3repE0EEENS1_30default_config_static_selectorELNS0_4arch9wavefront6targetE1EEEvSY_
; %bb.0:
	.section	.rodata,"a",@progbits
	.p2align	6, 0x0
	.amdhsa_kernel _ZN7rocprim17ROCPRIM_400000_NS6detail17trampoline_kernelINS0_13select_configILj256ELj13ELNS0_17block_load_methodE3ELS4_3ELS4_3ELNS0_20block_scan_algorithmE0ELj4294967295EEENS1_25partition_config_selectorILNS1_17partition_subalgoE3EjNS0_10empty_typeEbEEZZNS1_14partition_implILS8_3ELb0ES6_jNS0_17counting_iteratorIjlEEPS9_SE_NS0_5tupleIJPjSE_EEENSF_IJSE_SE_EEES9_SG_JZNS1_25segmented_radix_sort_implINS0_14default_configELb1EPKiPiPKlPlN2at6native12_GLOBAL__N_18offset_tEEE10hipError_tPvRmT1_PNSt15iterator_traitsISY_E10value_typeET2_T3_PNSZ_IS14_E10value_typeET4_jRbjT5_S1A_jjP12ihipStream_tbEUljE_EEESV_SW_SX_S14_S18_S1A_T6_T7_T9_mT8_S1C_bDpT10_ENKUlT_T0_E_clISt17integral_constantIbLb1EES1P_EEDaS1K_S1L_EUlS1K_E_NS1_11comp_targetILNS1_3genE3ELNS1_11target_archE908ELNS1_3gpuE7ELNS1_3repE0EEENS1_30default_config_static_selectorELNS0_4arch9wavefront6targetE1EEEvSY_
		.amdhsa_group_segment_fixed_size 0
		.amdhsa_private_segment_fixed_size 0
		.amdhsa_kernarg_size 152
		.amdhsa_user_sgpr_count 6
		.amdhsa_user_sgpr_private_segment_buffer 1
		.amdhsa_user_sgpr_dispatch_ptr 0
		.amdhsa_user_sgpr_queue_ptr 0
		.amdhsa_user_sgpr_kernarg_segment_ptr 1
		.amdhsa_user_sgpr_dispatch_id 0
		.amdhsa_user_sgpr_flat_scratch_init 0
		.amdhsa_user_sgpr_kernarg_preload_length 0
		.amdhsa_user_sgpr_kernarg_preload_offset 0
		.amdhsa_user_sgpr_private_segment_size 0
		.amdhsa_uses_dynamic_stack 0
		.amdhsa_system_sgpr_private_segment_wavefront_offset 0
		.amdhsa_system_sgpr_workgroup_id_x 1
		.amdhsa_system_sgpr_workgroup_id_y 0
		.amdhsa_system_sgpr_workgroup_id_z 0
		.amdhsa_system_sgpr_workgroup_info 0
		.amdhsa_system_vgpr_workitem_id 0
		.amdhsa_next_free_vgpr 1
		.amdhsa_next_free_sgpr 0
		.amdhsa_accum_offset 4
		.amdhsa_reserve_vcc 0
		.amdhsa_reserve_flat_scratch 0
		.amdhsa_float_round_mode_32 0
		.amdhsa_float_round_mode_16_64 0
		.amdhsa_float_denorm_mode_32 3
		.amdhsa_float_denorm_mode_16_64 3
		.amdhsa_dx10_clamp 1
		.amdhsa_ieee_mode 1
		.amdhsa_fp16_overflow 0
		.amdhsa_tg_split 0
		.amdhsa_exception_fp_ieee_invalid_op 0
		.amdhsa_exception_fp_denorm_src 0
		.amdhsa_exception_fp_ieee_div_zero 0
		.amdhsa_exception_fp_ieee_overflow 0
		.amdhsa_exception_fp_ieee_underflow 0
		.amdhsa_exception_fp_ieee_inexact 0
		.amdhsa_exception_int_div_zero 0
	.end_amdhsa_kernel
	.section	.text._ZN7rocprim17ROCPRIM_400000_NS6detail17trampoline_kernelINS0_13select_configILj256ELj13ELNS0_17block_load_methodE3ELS4_3ELS4_3ELNS0_20block_scan_algorithmE0ELj4294967295EEENS1_25partition_config_selectorILNS1_17partition_subalgoE3EjNS0_10empty_typeEbEEZZNS1_14partition_implILS8_3ELb0ES6_jNS0_17counting_iteratorIjlEEPS9_SE_NS0_5tupleIJPjSE_EEENSF_IJSE_SE_EEES9_SG_JZNS1_25segmented_radix_sort_implINS0_14default_configELb1EPKiPiPKlPlN2at6native12_GLOBAL__N_18offset_tEEE10hipError_tPvRmT1_PNSt15iterator_traitsISY_E10value_typeET2_T3_PNSZ_IS14_E10value_typeET4_jRbjT5_S1A_jjP12ihipStream_tbEUljE_EEESV_SW_SX_S14_S18_S1A_T6_T7_T9_mT8_S1C_bDpT10_ENKUlT_T0_E_clISt17integral_constantIbLb1EES1P_EEDaS1K_S1L_EUlS1K_E_NS1_11comp_targetILNS1_3genE3ELNS1_11target_archE908ELNS1_3gpuE7ELNS1_3repE0EEENS1_30default_config_static_selectorELNS0_4arch9wavefront6targetE1EEEvSY_,"axG",@progbits,_ZN7rocprim17ROCPRIM_400000_NS6detail17trampoline_kernelINS0_13select_configILj256ELj13ELNS0_17block_load_methodE3ELS4_3ELS4_3ELNS0_20block_scan_algorithmE0ELj4294967295EEENS1_25partition_config_selectorILNS1_17partition_subalgoE3EjNS0_10empty_typeEbEEZZNS1_14partition_implILS8_3ELb0ES6_jNS0_17counting_iteratorIjlEEPS9_SE_NS0_5tupleIJPjSE_EEENSF_IJSE_SE_EEES9_SG_JZNS1_25segmented_radix_sort_implINS0_14default_configELb1EPKiPiPKlPlN2at6native12_GLOBAL__N_18offset_tEEE10hipError_tPvRmT1_PNSt15iterator_traitsISY_E10value_typeET2_T3_PNSZ_IS14_E10value_typeET4_jRbjT5_S1A_jjP12ihipStream_tbEUljE_EEESV_SW_SX_S14_S18_S1A_T6_T7_T9_mT8_S1C_bDpT10_ENKUlT_T0_E_clISt17integral_constantIbLb1EES1P_EEDaS1K_S1L_EUlS1K_E_NS1_11comp_targetILNS1_3genE3ELNS1_11target_archE908ELNS1_3gpuE7ELNS1_3repE0EEENS1_30default_config_static_selectorELNS0_4arch9wavefront6targetE1EEEvSY_,comdat
.Lfunc_end476:
	.size	_ZN7rocprim17ROCPRIM_400000_NS6detail17trampoline_kernelINS0_13select_configILj256ELj13ELNS0_17block_load_methodE3ELS4_3ELS4_3ELNS0_20block_scan_algorithmE0ELj4294967295EEENS1_25partition_config_selectorILNS1_17partition_subalgoE3EjNS0_10empty_typeEbEEZZNS1_14partition_implILS8_3ELb0ES6_jNS0_17counting_iteratorIjlEEPS9_SE_NS0_5tupleIJPjSE_EEENSF_IJSE_SE_EEES9_SG_JZNS1_25segmented_radix_sort_implINS0_14default_configELb1EPKiPiPKlPlN2at6native12_GLOBAL__N_18offset_tEEE10hipError_tPvRmT1_PNSt15iterator_traitsISY_E10value_typeET2_T3_PNSZ_IS14_E10value_typeET4_jRbjT5_S1A_jjP12ihipStream_tbEUljE_EEESV_SW_SX_S14_S18_S1A_T6_T7_T9_mT8_S1C_bDpT10_ENKUlT_T0_E_clISt17integral_constantIbLb1EES1P_EEDaS1K_S1L_EUlS1K_E_NS1_11comp_targetILNS1_3genE3ELNS1_11target_archE908ELNS1_3gpuE7ELNS1_3repE0EEENS1_30default_config_static_selectorELNS0_4arch9wavefront6targetE1EEEvSY_, .Lfunc_end476-_ZN7rocprim17ROCPRIM_400000_NS6detail17trampoline_kernelINS0_13select_configILj256ELj13ELNS0_17block_load_methodE3ELS4_3ELS4_3ELNS0_20block_scan_algorithmE0ELj4294967295EEENS1_25partition_config_selectorILNS1_17partition_subalgoE3EjNS0_10empty_typeEbEEZZNS1_14partition_implILS8_3ELb0ES6_jNS0_17counting_iteratorIjlEEPS9_SE_NS0_5tupleIJPjSE_EEENSF_IJSE_SE_EEES9_SG_JZNS1_25segmented_radix_sort_implINS0_14default_configELb1EPKiPiPKlPlN2at6native12_GLOBAL__N_18offset_tEEE10hipError_tPvRmT1_PNSt15iterator_traitsISY_E10value_typeET2_T3_PNSZ_IS14_E10value_typeET4_jRbjT5_S1A_jjP12ihipStream_tbEUljE_EEESV_SW_SX_S14_S18_S1A_T6_T7_T9_mT8_S1C_bDpT10_ENKUlT_T0_E_clISt17integral_constantIbLb1EES1P_EEDaS1K_S1L_EUlS1K_E_NS1_11comp_targetILNS1_3genE3ELNS1_11target_archE908ELNS1_3gpuE7ELNS1_3repE0EEENS1_30default_config_static_selectorELNS0_4arch9wavefront6targetE1EEEvSY_
                                        ; -- End function
	.section	.AMDGPU.csdata,"",@progbits
; Kernel info:
; codeLenInByte = 0
; NumSgprs: 4
; NumVgprs: 0
; NumAgprs: 0
; TotalNumVgprs: 0
; ScratchSize: 0
; MemoryBound: 0
; FloatMode: 240
; IeeeMode: 1
; LDSByteSize: 0 bytes/workgroup (compile time only)
; SGPRBlocks: 0
; VGPRBlocks: 0
; NumSGPRsForWavesPerEU: 4
; NumVGPRsForWavesPerEU: 1
; AccumOffset: 4
; Occupancy: 8
; WaveLimiterHint : 0
; COMPUTE_PGM_RSRC2:SCRATCH_EN: 0
; COMPUTE_PGM_RSRC2:USER_SGPR: 6
; COMPUTE_PGM_RSRC2:TRAP_HANDLER: 0
; COMPUTE_PGM_RSRC2:TGID_X_EN: 1
; COMPUTE_PGM_RSRC2:TGID_Y_EN: 0
; COMPUTE_PGM_RSRC2:TGID_Z_EN: 0
; COMPUTE_PGM_RSRC2:TIDIG_COMP_CNT: 0
; COMPUTE_PGM_RSRC3_GFX90A:ACCUM_OFFSET: 0
; COMPUTE_PGM_RSRC3_GFX90A:TG_SPLIT: 0
	.section	.text._ZN7rocprim17ROCPRIM_400000_NS6detail17trampoline_kernelINS0_13select_configILj256ELj13ELNS0_17block_load_methodE3ELS4_3ELS4_3ELNS0_20block_scan_algorithmE0ELj4294967295EEENS1_25partition_config_selectorILNS1_17partition_subalgoE3EjNS0_10empty_typeEbEEZZNS1_14partition_implILS8_3ELb0ES6_jNS0_17counting_iteratorIjlEEPS9_SE_NS0_5tupleIJPjSE_EEENSF_IJSE_SE_EEES9_SG_JZNS1_25segmented_radix_sort_implINS0_14default_configELb1EPKiPiPKlPlN2at6native12_GLOBAL__N_18offset_tEEE10hipError_tPvRmT1_PNSt15iterator_traitsISY_E10value_typeET2_T3_PNSZ_IS14_E10value_typeET4_jRbjT5_S1A_jjP12ihipStream_tbEUljE_EEESV_SW_SX_S14_S18_S1A_T6_T7_T9_mT8_S1C_bDpT10_ENKUlT_T0_E_clISt17integral_constantIbLb1EES1P_EEDaS1K_S1L_EUlS1K_E_NS1_11comp_targetILNS1_3genE2ELNS1_11target_archE906ELNS1_3gpuE6ELNS1_3repE0EEENS1_30default_config_static_selectorELNS0_4arch9wavefront6targetE1EEEvSY_,"axG",@progbits,_ZN7rocprim17ROCPRIM_400000_NS6detail17trampoline_kernelINS0_13select_configILj256ELj13ELNS0_17block_load_methodE3ELS4_3ELS4_3ELNS0_20block_scan_algorithmE0ELj4294967295EEENS1_25partition_config_selectorILNS1_17partition_subalgoE3EjNS0_10empty_typeEbEEZZNS1_14partition_implILS8_3ELb0ES6_jNS0_17counting_iteratorIjlEEPS9_SE_NS0_5tupleIJPjSE_EEENSF_IJSE_SE_EEES9_SG_JZNS1_25segmented_radix_sort_implINS0_14default_configELb1EPKiPiPKlPlN2at6native12_GLOBAL__N_18offset_tEEE10hipError_tPvRmT1_PNSt15iterator_traitsISY_E10value_typeET2_T3_PNSZ_IS14_E10value_typeET4_jRbjT5_S1A_jjP12ihipStream_tbEUljE_EEESV_SW_SX_S14_S18_S1A_T6_T7_T9_mT8_S1C_bDpT10_ENKUlT_T0_E_clISt17integral_constantIbLb1EES1P_EEDaS1K_S1L_EUlS1K_E_NS1_11comp_targetILNS1_3genE2ELNS1_11target_archE906ELNS1_3gpuE6ELNS1_3repE0EEENS1_30default_config_static_selectorELNS0_4arch9wavefront6targetE1EEEvSY_,comdat
	.globl	_ZN7rocprim17ROCPRIM_400000_NS6detail17trampoline_kernelINS0_13select_configILj256ELj13ELNS0_17block_load_methodE3ELS4_3ELS4_3ELNS0_20block_scan_algorithmE0ELj4294967295EEENS1_25partition_config_selectorILNS1_17partition_subalgoE3EjNS0_10empty_typeEbEEZZNS1_14partition_implILS8_3ELb0ES6_jNS0_17counting_iteratorIjlEEPS9_SE_NS0_5tupleIJPjSE_EEENSF_IJSE_SE_EEES9_SG_JZNS1_25segmented_radix_sort_implINS0_14default_configELb1EPKiPiPKlPlN2at6native12_GLOBAL__N_18offset_tEEE10hipError_tPvRmT1_PNSt15iterator_traitsISY_E10value_typeET2_T3_PNSZ_IS14_E10value_typeET4_jRbjT5_S1A_jjP12ihipStream_tbEUljE_EEESV_SW_SX_S14_S18_S1A_T6_T7_T9_mT8_S1C_bDpT10_ENKUlT_T0_E_clISt17integral_constantIbLb1EES1P_EEDaS1K_S1L_EUlS1K_E_NS1_11comp_targetILNS1_3genE2ELNS1_11target_archE906ELNS1_3gpuE6ELNS1_3repE0EEENS1_30default_config_static_selectorELNS0_4arch9wavefront6targetE1EEEvSY_ ; -- Begin function _ZN7rocprim17ROCPRIM_400000_NS6detail17trampoline_kernelINS0_13select_configILj256ELj13ELNS0_17block_load_methodE3ELS4_3ELS4_3ELNS0_20block_scan_algorithmE0ELj4294967295EEENS1_25partition_config_selectorILNS1_17partition_subalgoE3EjNS0_10empty_typeEbEEZZNS1_14partition_implILS8_3ELb0ES6_jNS0_17counting_iteratorIjlEEPS9_SE_NS0_5tupleIJPjSE_EEENSF_IJSE_SE_EEES9_SG_JZNS1_25segmented_radix_sort_implINS0_14default_configELb1EPKiPiPKlPlN2at6native12_GLOBAL__N_18offset_tEEE10hipError_tPvRmT1_PNSt15iterator_traitsISY_E10value_typeET2_T3_PNSZ_IS14_E10value_typeET4_jRbjT5_S1A_jjP12ihipStream_tbEUljE_EEESV_SW_SX_S14_S18_S1A_T6_T7_T9_mT8_S1C_bDpT10_ENKUlT_T0_E_clISt17integral_constantIbLb1EES1P_EEDaS1K_S1L_EUlS1K_E_NS1_11comp_targetILNS1_3genE2ELNS1_11target_archE906ELNS1_3gpuE6ELNS1_3repE0EEENS1_30default_config_static_selectorELNS0_4arch9wavefront6targetE1EEEvSY_
	.p2align	8
	.type	_ZN7rocprim17ROCPRIM_400000_NS6detail17trampoline_kernelINS0_13select_configILj256ELj13ELNS0_17block_load_methodE3ELS4_3ELS4_3ELNS0_20block_scan_algorithmE0ELj4294967295EEENS1_25partition_config_selectorILNS1_17partition_subalgoE3EjNS0_10empty_typeEbEEZZNS1_14partition_implILS8_3ELb0ES6_jNS0_17counting_iteratorIjlEEPS9_SE_NS0_5tupleIJPjSE_EEENSF_IJSE_SE_EEES9_SG_JZNS1_25segmented_radix_sort_implINS0_14default_configELb1EPKiPiPKlPlN2at6native12_GLOBAL__N_18offset_tEEE10hipError_tPvRmT1_PNSt15iterator_traitsISY_E10value_typeET2_T3_PNSZ_IS14_E10value_typeET4_jRbjT5_S1A_jjP12ihipStream_tbEUljE_EEESV_SW_SX_S14_S18_S1A_T6_T7_T9_mT8_S1C_bDpT10_ENKUlT_T0_E_clISt17integral_constantIbLb1EES1P_EEDaS1K_S1L_EUlS1K_E_NS1_11comp_targetILNS1_3genE2ELNS1_11target_archE906ELNS1_3gpuE6ELNS1_3repE0EEENS1_30default_config_static_selectorELNS0_4arch9wavefront6targetE1EEEvSY_,@function
_ZN7rocprim17ROCPRIM_400000_NS6detail17trampoline_kernelINS0_13select_configILj256ELj13ELNS0_17block_load_methodE3ELS4_3ELS4_3ELNS0_20block_scan_algorithmE0ELj4294967295EEENS1_25partition_config_selectorILNS1_17partition_subalgoE3EjNS0_10empty_typeEbEEZZNS1_14partition_implILS8_3ELb0ES6_jNS0_17counting_iteratorIjlEEPS9_SE_NS0_5tupleIJPjSE_EEENSF_IJSE_SE_EEES9_SG_JZNS1_25segmented_radix_sort_implINS0_14default_configELb1EPKiPiPKlPlN2at6native12_GLOBAL__N_18offset_tEEE10hipError_tPvRmT1_PNSt15iterator_traitsISY_E10value_typeET2_T3_PNSZ_IS14_E10value_typeET4_jRbjT5_S1A_jjP12ihipStream_tbEUljE_EEESV_SW_SX_S14_S18_S1A_T6_T7_T9_mT8_S1C_bDpT10_ENKUlT_T0_E_clISt17integral_constantIbLb1EES1P_EEDaS1K_S1L_EUlS1K_E_NS1_11comp_targetILNS1_3genE2ELNS1_11target_archE906ELNS1_3gpuE6ELNS1_3repE0EEENS1_30default_config_static_selectorELNS0_4arch9wavefront6targetE1EEEvSY_: ; @_ZN7rocprim17ROCPRIM_400000_NS6detail17trampoline_kernelINS0_13select_configILj256ELj13ELNS0_17block_load_methodE3ELS4_3ELS4_3ELNS0_20block_scan_algorithmE0ELj4294967295EEENS1_25partition_config_selectorILNS1_17partition_subalgoE3EjNS0_10empty_typeEbEEZZNS1_14partition_implILS8_3ELb0ES6_jNS0_17counting_iteratorIjlEEPS9_SE_NS0_5tupleIJPjSE_EEENSF_IJSE_SE_EEES9_SG_JZNS1_25segmented_radix_sort_implINS0_14default_configELb1EPKiPiPKlPlN2at6native12_GLOBAL__N_18offset_tEEE10hipError_tPvRmT1_PNSt15iterator_traitsISY_E10value_typeET2_T3_PNSZ_IS14_E10value_typeET4_jRbjT5_S1A_jjP12ihipStream_tbEUljE_EEESV_SW_SX_S14_S18_S1A_T6_T7_T9_mT8_S1C_bDpT10_ENKUlT_T0_E_clISt17integral_constantIbLb1EES1P_EEDaS1K_S1L_EUlS1K_E_NS1_11comp_targetILNS1_3genE2ELNS1_11target_archE906ELNS1_3gpuE6ELNS1_3repE0EEENS1_30default_config_static_selectorELNS0_4arch9wavefront6targetE1EEEvSY_
; %bb.0:
	.section	.rodata,"a",@progbits
	.p2align	6, 0x0
	.amdhsa_kernel _ZN7rocprim17ROCPRIM_400000_NS6detail17trampoline_kernelINS0_13select_configILj256ELj13ELNS0_17block_load_methodE3ELS4_3ELS4_3ELNS0_20block_scan_algorithmE0ELj4294967295EEENS1_25partition_config_selectorILNS1_17partition_subalgoE3EjNS0_10empty_typeEbEEZZNS1_14partition_implILS8_3ELb0ES6_jNS0_17counting_iteratorIjlEEPS9_SE_NS0_5tupleIJPjSE_EEENSF_IJSE_SE_EEES9_SG_JZNS1_25segmented_radix_sort_implINS0_14default_configELb1EPKiPiPKlPlN2at6native12_GLOBAL__N_18offset_tEEE10hipError_tPvRmT1_PNSt15iterator_traitsISY_E10value_typeET2_T3_PNSZ_IS14_E10value_typeET4_jRbjT5_S1A_jjP12ihipStream_tbEUljE_EEESV_SW_SX_S14_S18_S1A_T6_T7_T9_mT8_S1C_bDpT10_ENKUlT_T0_E_clISt17integral_constantIbLb1EES1P_EEDaS1K_S1L_EUlS1K_E_NS1_11comp_targetILNS1_3genE2ELNS1_11target_archE906ELNS1_3gpuE6ELNS1_3repE0EEENS1_30default_config_static_selectorELNS0_4arch9wavefront6targetE1EEEvSY_
		.amdhsa_group_segment_fixed_size 0
		.amdhsa_private_segment_fixed_size 0
		.amdhsa_kernarg_size 152
		.amdhsa_user_sgpr_count 6
		.amdhsa_user_sgpr_private_segment_buffer 1
		.amdhsa_user_sgpr_dispatch_ptr 0
		.amdhsa_user_sgpr_queue_ptr 0
		.amdhsa_user_sgpr_kernarg_segment_ptr 1
		.amdhsa_user_sgpr_dispatch_id 0
		.amdhsa_user_sgpr_flat_scratch_init 0
		.amdhsa_user_sgpr_kernarg_preload_length 0
		.amdhsa_user_sgpr_kernarg_preload_offset 0
		.amdhsa_user_sgpr_private_segment_size 0
		.amdhsa_uses_dynamic_stack 0
		.amdhsa_system_sgpr_private_segment_wavefront_offset 0
		.amdhsa_system_sgpr_workgroup_id_x 1
		.amdhsa_system_sgpr_workgroup_id_y 0
		.amdhsa_system_sgpr_workgroup_id_z 0
		.amdhsa_system_sgpr_workgroup_info 0
		.amdhsa_system_vgpr_workitem_id 0
		.amdhsa_next_free_vgpr 1
		.amdhsa_next_free_sgpr 0
		.amdhsa_accum_offset 4
		.amdhsa_reserve_vcc 0
		.amdhsa_reserve_flat_scratch 0
		.amdhsa_float_round_mode_32 0
		.amdhsa_float_round_mode_16_64 0
		.amdhsa_float_denorm_mode_32 3
		.amdhsa_float_denorm_mode_16_64 3
		.amdhsa_dx10_clamp 1
		.amdhsa_ieee_mode 1
		.amdhsa_fp16_overflow 0
		.amdhsa_tg_split 0
		.amdhsa_exception_fp_ieee_invalid_op 0
		.amdhsa_exception_fp_denorm_src 0
		.amdhsa_exception_fp_ieee_div_zero 0
		.amdhsa_exception_fp_ieee_overflow 0
		.amdhsa_exception_fp_ieee_underflow 0
		.amdhsa_exception_fp_ieee_inexact 0
		.amdhsa_exception_int_div_zero 0
	.end_amdhsa_kernel
	.section	.text._ZN7rocprim17ROCPRIM_400000_NS6detail17trampoline_kernelINS0_13select_configILj256ELj13ELNS0_17block_load_methodE3ELS4_3ELS4_3ELNS0_20block_scan_algorithmE0ELj4294967295EEENS1_25partition_config_selectorILNS1_17partition_subalgoE3EjNS0_10empty_typeEbEEZZNS1_14partition_implILS8_3ELb0ES6_jNS0_17counting_iteratorIjlEEPS9_SE_NS0_5tupleIJPjSE_EEENSF_IJSE_SE_EEES9_SG_JZNS1_25segmented_radix_sort_implINS0_14default_configELb1EPKiPiPKlPlN2at6native12_GLOBAL__N_18offset_tEEE10hipError_tPvRmT1_PNSt15iterator_traitsISY_E10value_typeET2_T3_PNSZ_IS14_E10value_typeET4_jRbjT5_S1A_jjP12ihipStream_tbEUljE_EEESV_SW_SX_S14_S18_S1A_T6_T7_T9_mT8_S1C_bDpT10_ENKUlT_T0_E_clISt17integral_constantIbLb1EES1P_EEDaS1K_S1L_EUlS1K_E_NS1_11comp_targetILNS1_3genE2ELNS1_11target_archE906ELNS1_3gpuE6ELNS1_3repE0EEENS1_30default_config_static_selectorELNS0_4arch9wavefront6targetE1EEEvSY_,"axG",@progbits,_ZN7rocprim17ROCPRIM_400000_NS6detail17trampoline_kernelINS0_13select_configILj256ELj13ELNS0_17block_load_methodE3ELS4_3ELS4_3ELNS0_20block_scan_algorithmE0ELj4294967295EEENS1_25partition_config_selectorILNS1_17partition_subalgoE3EjNS0_10empty_typeEbEEZZNS1_14partition_implILS8_3ELb0ES6_jNS0_17counting_iteratorIjlEEPS9_SE_NS0_5tupleIJPjSE_EEENSF_IJSE_SE_EEES9_SG_JZNS1_25segmented_radix_sort_implINS0_14default_configELb1EPKiPiPKlPlN2at6native12_GLOBAL__N_18offset_tEEE10hipError_tPvRmT1_PNSt15iterator_traitsISY_E10value_typeET2_T3_PNSZ_IS14_E10value_typeET4_jRbjT5_S1A_jjP12ihipStream_tbEUljE_EEESV_SW_SX_S14_S18_S1A_T6_T7_T9_mT8_S1C_bDpT10_ENKUlT_T0_E_clISt17integral_constantIbLb1EES1P_EEDaS1K_S1L_EUlS1K_E_NS1_11comp_targetILNS1_3genE2ELNS1_11target_archE906ELNS1_3gpuE6ELNS1_3repE0EEENS1_30default_config_static_selectorELNS0_4arch9wavefront6targetE1EEEvSY_,comdat
.Lfunc_end477:
	.size	_ZN7rocprim17ROCPRIM_400000_NS6detail17trampoline_kernelINS0_13select_configILj256ELj13ELNS0_17block_load_methodE3ELS4_3ELS4_3ELNS0_20block_scan_algorithmE0ELj4294967295EEENS1_25partition_config_selectorILNS1_17partition_subalgoE3EjNS0_10empty_typeEbEEZZNS1_14partition_implILS8_3ELb0ES6_jNS0_17counting_iteratorIjlEEPS9_SE_NS0_5tupleIJPjSE_EEENSF_IJSE_SE_EEES9_SG_JZNS1_25segmented_radix_sort_implINS0_14default_configELb1EPKiPiPKlPlN2at6native12_GLOBAL__N_18offset_tEEE10hipError_tPvRmT1_PNSt15iterator_traitsISY_E10value_typeET2_T3_PNSZ_IS14_E10value_typeET4_jRbjT5_S1A_jjP12ihipStream_tbEUljE_EEESV_SW_SX_S14_S18_S1A_T6_T7_T9_mT8_S1C_bDpT10_ENKUlT_T0_E_clISt17integral_constantIbLb1EES1P_EEDaS1K_S1L_EUlS1K_E_NS1_11comp_targetILNS1_3genE2ELNS1_11target_archE906ELNS1_3gpuE6ELNS1_3repE0EEENS1_30default_config_static_selectorELNS0_4arch9wavefront6targetE1EEEvSY_, .Lfunc_end477-_ZN7rocprim17ROCPRIM_400000_NS6detail17trampoline_kernelINS0_13select_configILj256ELj13ELNS0_17block_load_methodE3ELS4_3ELS4_3ELNS0_20block_scan_algorithmE0ELj4294967295EEENS1_25partition_config_selectorILNS1_17partition_subalgoE3EjNS0_10empty_typeEbEEZZNS1_14partition_implILS8_3ELb0ES6_jNS0_17counting_iteratorIjlEEPS9_SE_NS0_5tupleIJPjSE_EEENSF_IJSE_SE_EEES9_SG_JZNS1_25segmented_radix_sort_implINS0_14default_configELb1EPKiPiPKlPlN2at6native12_GLOBAL__N_18offset_tEEE10hipError_tPvRmT1_PNSt15iterator_traitsISY_E10value_typeET2_T3_PNSZ_IS14_E10value_typeET4_jRbjT5_S1A_jjP12ihipStream_tbEUljE_EEESV_SW_SX_S14_S18_S1A_T6_T7_T9_mT8_S1C_bDpT10_ENKUlT_T0_E_clISt17integral_constantIbLb1EES1P_EEDaS1K_S1L_EUlS1K_E_NS1_11comp_targetILNS1_3genE2ELNS1_11target_archE906ELNS1_3gpuE6ELNS1_3repE0EEENS1_30default_config_static_selectorELNS0_4arch9wavefront6targetE1EEEvSY_
                                        ; -- End function
	.section	.AMDGPU.csdata,"",@progbits
; Kernel info:
; codeLenInByte = 0
; NumSgprs: 4
; NumVgprs: 0
; NumAgprs: 0
; TotalNumVgprs: 0
; ScratchSize: 0
; MemoryBound: 0
; FloatMode: 240
; IeeeMode: 1
; LDSByteSize: 0 bytes/workgroup (compile time only)
; SGPRBlocks: 0
; VGPRBlocks: 0
; NumSGPRsForWavesPerEU: 4
; NumVGPRsForWavesPerEU: 1
; AccumOffset: 4
; Occupancy: 8
; WaveLimiterHint : 0
; COMPUTE_PGM_RSRC2:SCRATCH_EN: 0
; COMPUTE_PGM_RSRC2:USER_SGPR: 6
; COMPUTE_PGM_RSRC2:TRAP_HANDLER: 0
; COMPUTE_PGM_RSRC2:TGID_X_EN: 1
; COMPUTE_PGM_RSRC2:TGID_Y_EN: 0
; COMPUTE_PGM_RSRC2:TGID_Z_EN: 0
; COMPUTE_PGM_RSRC2:TIDIG_COMP_CNT: 0
; COMPUTE_PGM_RSRC3_GFX90A:ACCUM_OFFSET: 0
; COMPUTE_PGM_RSRC3_GFX90A:TG_SPLIT: 0
	.section	.text._ZN7rocprim17ROCPRIM_400000_NS6detail17trampoline_kernelINS0_13select_configILj256ELj13ELNS0_17block_load_methodE3ELS4_3ELS4_3ELNS0_20block_scan_algorithmE0ELj4294967295EEENS1_25partition_config_selectorILNS1_17partition_subalgoE3EjNS0_10empty_typeEbEEZZNS1_14partition_implILS8_3ELb0ES6_jNS0_17counting_iteratorIjlEEPS9_SE_NS0_5tupleIJPjSE_EEENSF_IJSE_SE_EEES9_SG_JZNS1_25segmented_radix_sort_implINS0_14default_configELb1EPKiPiPKlPlN2at6native12_GLOBAL__N_18offset_tEEE10hipError_tPvRmT1_PNSt15iterator_traitsISY_E10value_typeET2_T3_PNSZ_IS14_E10value_typeET4_jRbjT5_S1A_jjP12ihipStream_tbEUljE_EEESV_SW_SX_S14_S18_S1A_T6_T7_T9_mT8_S1C_bDpT10_ENKUlT_T0_E_clISt17integral_constantIbLb1EES1P_EEDaS1K_S1L_EUlS1K_E_NS1_11comp_targetILNS1_3genE10ELNS1_11target_archE1200ELNS1_3gpuE4ELNS1_3repE0EEENS1_30default_config_static_selectorELNS0_4arch9wavefront6targetE1EEEvSY_,"axG",@progbits,_ZN7rocprim17ROCPRIM_400000_NS6detail17trampoline_kernelINS0_13select_configILj256ELj13ELNS0_17block_load_methodE3ELS4_3ELS4_3ELNS0_20block_scan_algorithmE0ELj4294967295EEENS1_25partition_config_selectorILNS1_17partition_subalgoE3EjNS0_10empty_typeEbEEZZNS1_14partition_implILS8_3ELb0ES6_jNS0_17counting_iteratorIjlEEPS9_SE_NS0_5tupleIJPjSE_EEENSF_IJSE_SE_EEES9_SG_JZNS1_25segmented_radix_sort_implINS0_14default_configELb1EPKiPiPKlPlN2at6native12_GLOBAL__N_18offset_tEEE10hipError_tPvRmT1_PNSt15iterator_traitsISY_E10value_typeET2_T3_PNSZ_IS14_E10value_typeET4_jRbjT5_S1A_jjP12ihipStream_tbEUljE_EEESV_SW_SX_S14_S18_S1A_T6_T7_T9_mT8_S1C_bDpT10_ENKUlT_T0_E_clISt17integral_constantIbLb1EES1P_EEDaS1K_S1L_EUlS1K_E_NS1_11comp_targetILNS1_3genE10ELNS1_11target_archE1200ELNS1_3gpuE4ELNS1_3repE0EEENS1_30default_config_static_selectorELNS0_4arch9wavefront6targetE1EEEvSY_,comdat
	.globl	_ZN7rocprim17ROCPRIM_400000_NS6detail17trampoline_kernelINS0_13select_configILj256ELj13ELNS0_17block_load_methodE3ELS4_3ELS4_3ELNS0_20block_scan_algorithmE0ELj4294967295EEENS1_25partition_config_selectorILNS1_17partition_subalgoE3EjNS0_10empty_typeEbEEZZNS1_14partition_implILS8_3ELb0ES6_jNS0_17counting_iteratorIjlEEPS9_SE_NS0_5tupleIJPjSE_EEENSF_IJSE_SE_EEES9_SG_JZNS1_25segmented_radix_sort_implINS0_14default_configELb1EPKiPiPKlPlN2at6native12_GLOBAL__N_18offset_tEEE10hipError_tPvRmT1_PNSt15iterator_traitsISY_E10value_typeET2_T3_PNSZ_IS14_E10value_typeET4_jRbjT5_S1A_jjP12ihipStream_tbEUljE_EEESV_SW_SX_S14_S18_S1A_T6_T7_T9_mT8_S1C_bDpT10_ENKUlT_T0_E_clISt17integral_constantIbLb1EES1P_EEDaS1K_S1L_EUlS1K_E_NS1_11comp_targetILNS1_3genE10ELNS1_11target_archE1200ELNS1_3gpuE4ELNS1_3repE0EEENS1_30default_config_static_selectorELNS0_4arch9wavefront6targetE1EEEvSY_ ; -- Begin function _ZN7rocprim17ROCPRIM_400000_NS6detail17trampoline_kernelINS0_13select_configILj256ELj13ELNS0_17block_load_methodE3ELS4_3ELS4_3ELNS0_20block_scan_algorithmE0ELj4294967295EEENS1_25partition_config_selectorILNS1_17partition_subalgoE3EjNS0_10empty_typeEbEEZZNS1_14partition_implILS8_3ELb0ES6_jNS0_17counting_iteratorIjlEEPS9_SE_NS0_5tupleIJPjSE_EEENSF_IJSE_SE_EEES9_SG_JZNS1_25segmented_radix_sort_implINS0_14default_configELb1EPKiPiPKlPlN2at6native12_GLOBAL__N_18offset_tEEE10hipError_tPvRmT1_PNSt15iterator_traitsISY_E10value_typeET2_T3_PNSZ_IS14_E10value_typeET4_jRbjT5_S1A_jjP12ihipStream_tbEUljE_EEESV_SW_SX_S14_S18_S1A_T6_T7_T9_mT8_S1C_bDpT10_ENKUlT_T0_E_clISt17integral_constantIbLb1EES1P_EEDaS1K_S1L_EUlS1K_E_NS1_11comp_targetILNS1_3genE10ELNS1_11target_archE1200ELNS1_3gpuE4ELNS1_3repE0EEENS1_30default_config_static_selectorELNS0_4arch9wavefront6targetE1EEEvSY_
	.p2align	8
	.type	_ZN7rocprim17ROCPRIM_400000_NS6detail17trampoline_kernelINS0_13select_configILj256ELj13ELNS0_17block_load_methodE3ELS4_3ELS4_3ELNS0_20block_scan_algorithmE0ELj4294967295EEENS1_25partition_config_selectorILNS1_17partition_subalgoE3EjNS0_10empty_typeEbEEZZNS1_14partition_implILS8_3ELb0ES6_jNS0_17counting_iteratorIjlEEPS9_SE_NS0_5tupleIJPjSE_EEENSF_IJSE_SE_EEES9_SG_JZNS1_25segmented_radix_sort_implINS0_14default_configELb1EPKiPiPKlPlN2at6native12_GLOBAL__N_18offset_tEEE10hipError_tPvRmT1_PNSt15iterator_traitsISY_E10value_typeET2_T3_PNSZ_IS14_E10value_typeET4_jRbjT5_S1A_jjP12ihipStream_tbEUljE_EEESV_SW_SX_S14_S18_S1A_T6_T7_T9_mT8_S1C_bDpT10_ENKUlT_T0_E_clISt17integral_constantIbLb1EES1P_EEDaS1K_S1L_EUlS1K_E_NS1_11comp_targetILNS1_3genE10ELNS1_11target_archE1200ELNS1_3gpuE4ELNS1_3repE0EEENS1_30default_config_static_selectorELNS0_4arch9wavefront6targetE1EEEvSY_,@function
_ZN7rocprim17ROCPRIM_400000_NS6detail17trampoline_kernelINS0_13select_configILj256ELj13ELNS0_17block_load_methodE3ELS4_3ELS4_3ELNS0_20block_scan_algorithmE0ELj4294967295EEENS1_25partition_config_selectorILNS1_17partition_subalgoE3EjNS0_10empty_typeEbEEZZNS1_14partition_implILS8_3ELb0ES6_jNS0_17counting_iteratorIjlEEPS9_SE_NS0_5tupleIJPjSE_EEENSF_IJSE_SE_EEES9_SG_JZNS1_25segmented_radix_sort_implINS0_14default_configELb1EPKiPiPKlPlN2at6native12_GLOBAL__N_18offset_tEEE10hipError_tPvRmT1_PNSt15iterator_traitsISY_E10value_typeET2_T3_PNSZ_IS14_E10value_typeET4_jRbjT5_S1A_jjP12ihipStream_tbEUljE_EEESV_SW_SX_S14_S18_S1A_T6_T7_T9_mT8_S1C_bDpT10_ENKUlT_T0_E_clISt17integral_constantIbLb1EES1P_EEDaS1K_S1L_EUlS1K_E_NS1_11comp_targetILNS1_3genE10ELNS1_11target_archE1200ELNS1_3gpuE4ELNS1_3repE0EEENS1_30default_config_static_selectorELNS0_4arch9wavefront6targetE1EEEvSY_: ; @_ZN7rocprim17ROCPRIM_400000_NS6detail17trampoline_kernelINS0_13select_configILj256ELj13ELNS0_17block_load_methodE3ELS4_3ELS4_3ELNS0_20block_scan_algorithmE0ELj4294967295EEENS1_25partition_config_selectorILNS1_17partition_subalgoE3EjNS0_10empty_typeEbEEZZNS1_14partition_implILS8_3ELb0ES6_jNS0_17counting_iteratorIjlEEPS9_SE_NS0_5tupleIJPjSE_EEENSF_IJSE_SE_EEES9_SG_JZNS1_25segmented_radix_sort_implINS0_14default_configELb1EPKiPiPKlPlN2at6native12_GLOBAL__N_18offset_tEEE10hipError_tPvRmT1_PNSt15iterator_traitsISY_E10value_typeET2_T3_PNSZ_IS14_E10value_typeET4_jRbjT5_S1A_jjP12ihipStream_tbEUljE_EEESV_SW_SX_S14_S18_S1A_T6_T7_T9_mT8_S1C_bDpT10_ENKUlT_T0_E_clISt17integral_constantIbLb1EES1P_EEDaS1K_S1L_EUlS1K_E_NS1_11comp_targetILNS1_3genE10ELNS1_11target_archE1200ELNS1_3gpuE4ELNS1_3repE0EEENS1_30default_config_static_selectorELNS0_4arch9wavefront6targetE1EEEvSY_
; %bb.0:
	.section	.rodata,"a",@progbits
	.p2align	6, 0x0
	.amdhsa_kernel _ZN7rocprim17ROCPRIM_400000_NS6detail17trampoline_kernelINS0_13select_configILj256ELj13ELNS0_17block_load_methodE3ELS4_3ELS4_3ELNS0_20block_scan_algorithmE0ELj4294967295EEENS1_25partition_config_selectorILNS1_17partition_subalgoE3EjNS0_10empty_typeEbEEZZNS1_14partition_implILS8_3ELb0ES6_jNS0_17counting_iteratorIjlEEPS9_SE_NS0_5tupleIJPjSE_EEENSF_IJSE_SE_EEES9_SG_JZNS1_25segmented_radix_sort_implINS0_14default_configELb1EPKiPiPKlPlN2at6native12_GLOBAL__N_18offset_tEEE10hipError_tPvRmT1_PNSt15iterator_traitsISY_E10value_typeET2_T3_PNSZ_IS14_E10value_typeET4_jRbjT5_S1A_jjP12ihipStream_tbEUljE_EEESV_SW_SX_S14_S18_S1A_T6_T7_T9_mT8_S1C_bDpT10_ENKUlT_T0_E_clISt17integral_constantIbLb1EES1P_EEDaS1K_S1L_EUlS1K_E_NS1_11comp_targetILNS1_3genE10ELNS1_11target_archE1200ELNS1_3gpuE4ELNS1_3repE0EEENS1_30default_config_static_selectorELNS0_4arch9wavefront6targetE1EEEvSY_
		.amdhsa_group_segment_fixed_size 0
		.amdhsa_private_segment_fixed_size 0
		.amdhsa_kernarg_size 152
		.amdhsa_user_sgpr_count 6
		.amdhsa_user_sgpr_private_segment_buffer 1
		.amdhsa_user_sgpr_dispatch_ptr 0
		.amdhsa_user_sgpr_queue_ptr 0
		.amdhsa_user_sgpr_kernarg_segment_ptr 1
		.amdhsa_user_sgpr_dispatch_id 0
		.amdhsa_user_sgpr_flat_scratch_init 0
		.amdhsa_user_sgpr_kernarg_preload_length 0
		.amdhsa_user_sgpr_kernarg_preload_offset 0
		.amdhsa_user_sgpr_private_segment_size 0
		.amdhsa_uses_dynamic_stack 0
		.amdhsa_system_sgpr_private_segment_wavefront_offset 0
		.amdhsa_system_sgpr_workgroup_id_x 1
		.amdhsa_system_sgpr_workgroup_id_y 0
		.amdhsa_system_sgpr_workgroup_id_z 0
		.amdhsa_system_sgpr_workgroup_info 0
		.amdhsa_system_vgpr_workitem_id 0
		.amdhsa_next_free_vgpr 1
		.amdhsa_next_free_sgpr 0
		.amdhsa_accum_offset 4
		.amdhsa_reserve_vcc 0
		.amdhsa_reserve_flat_scratch 0
		.amdhsa_float_round_mode_32 0
		.amdhsa_float_round_mode_16_64 0
		.amdhsa_float_denorm_mode_32 3
		.amdhsa_float_denorm_mode_16_64 3
		.amdhsa_dx10_clamp 1
		.amdhsa_ieee_mode 1
		.amdhsa_fp16_overflow 0
		.amdhsa_tg_split 0
		.amdhsa_exception_fp_ieee_invalid_op 0
		.amdhsa_exception_fp_denorm_src 0
		.amdhsa_exception_fp_ieee_div_zero 0
		.amdhsa_exception_fp_ieee_overflow 0
		.amdhsa_exception_fp_ieee_underflow 0
		.amdhsa_exception_fp_ieee_inexact 0
		.amdhsa_exception_int_div_zero 0
	.end_amdhsa_kernel
	.section	.text._ZN7rocprim17ROCPRIM_400000_NS6detail17trampoline_kernelINS0_13select_configILj256ELj13ELNS0_17block_load_methodE3ELS4_3ELS4_3ELNS0_20block_scan_algorithmE0ELj4294967295EEENS1_25partition_config_selectorILNS1_17partition_subalgoE3EjNS0_10empty_typeEbEEZZNS1_14partition_implILS8_3ELb0ES6_jNS0_17counting_iteratorIjlEEPS9_SE_NS0_5tupleIJPjSE_EEENSF_IJSE_SE_EEES9_SG_JZNS1_25segmented_radix_sort_implINS0_14default_configELb1EPKiPiPKlPlN2at6native12_GLOBAL__N_18offset_tEEE10hipError_tPvRmT1_PNSt15iterator_traitsISY_E10value_typeET2_T3_PNSZ_IS14_E10value_typeET4_jRbjT5_S1A_jjP12ihipStream_tbEUljE_EEESV_SW_SX_S14_S18_S1A_T6_T7_T9_mT8_S1C_bDpT10_ENKUlT_T0_E_clISt17integral_constantIbLb1EES1P_EEDaS1K_S1L_EUlS1K_E_NS1_11comp_targetILNS1_3genE10ELNS1_11target_archE1200ELNS1_3gpuE4ELNS1_3repE0EEENS1_30default_config_static_selectorELNS0_4arch9wavefront6targetE1EEEvSY_,"axG",@progbits,_ZN7rocprim17ROCPRIM_400000_NS6detail17trampoline_kernelINS0_13select_configILj256ELj13ELNS0_17block_load_methodE3ELS4_3ELS4_3ELNS0_20block_scan_algorithmE0ELj4294967295EEENS1_25partition_config_selectorILNS1_17partition_subalgoE3EjNS0_10empty_typeEbEEZZNS1_14partition_implILS8_3ELb0ES6_jNS0_17counting_iteratorIjlEEPS9_SE_NS0_5tupleIJPjSE_EEENSF_IJSE_SE_EEES9_SG_JZNS1_25segmented_radix_sort_implINS0_14default_configELb1EPKiPiPKlPlN2at6native12_GLOBAL__N_18offset_tEEE10hipError_tPvRmT1_PNSt15iterator_traitsISY_E10value_typeET2_T3_PNSZ_IS14_E10value_typeET4_jRbjT5_S1A_jjP12ihipStream_tbEUljE_EEESV_SW_SX_S14_S18_S1A_T6_T7_T9_mT8_S1C_bDpT10_ENKUlT_T0_E_clISt17integral_constantIbLb1EES1P_EEDaS1K_S1L_EUlS1K_E_NS1_11comp_targetILNS1_3genE10ELNS1_11target_archE1200ELNS1_3gpuE4ELNS1_3repE0EEENS1_30default_config_static_selectorELNS0_4arch9wavefront6targetE1EEEvSY_,comdat
.Lfunc_end478:
	.size	_ZN7rocprim17ROCPRIM_400000_NS6detail17trampoline_kernelINS0_13select_configILj256ELj13ELNS0_17block_load_methodE3ELS4_3ELS4_3ELNS0_20block_scan_algorithmE0ELj4294967295EEENS1_25partition_config_selectorILNS1_17partition_subalgoE3EjNS0_10empty_typeEbEEZZNS1_14partition_implILS8_3ELb0ES6_jNS0_17counting_iteratorIjlEEPS9_SE_NS0_5tupleIJPjSE_EEENSF_IJSE_SE_EEES9_SG_JZNS1_25segmented_radix_sort_implINS0_14default_configELb1EPKiPiPKlPlN2at6native12_GLOBAL__N_18offset_tEEE10hipError_tPvRmT1_PNSt15iterator_traitsISY_E10value_typeET2_T3_PNSZ_IS14_E10value_typeET4_jRbjT5_S1A_jjP12ihipStream_tbEUljE_EEESV_SW_SX_S14_S18_S1A_T6_T7_T9_mT8_S1C_bDpT10_ENKUlT_T0_E_clISt17integral_constantIbLb1EES1P_EEDaS1K_S1L_EUlS1K_E_NS1_11comp_targetILNS1_3genE10ELNS1_11target_archE1200ELNS1_3gpuE4ELNS1_3repE0EEENS1_30default_config_static_selectorELNS0_4arch9wavefront6targetE1EEEvSY_, .Lfunc_end478-_ZN7rocprim17ROCPRIM_400000_NS6detail17trampoline_kernelINS0_13select_configILj256ELj13ELNS0_17block_load_methodE3ELS4_3ELS4_3ELNS0_20block_scan_algorithmE0ELj4294967295EEENS1_25partition_config_selectorILNS1_17partition_subalgoE3EjNS0_10empty_typeEbEEZZNS1_14partition_implILS8_3ELb0ES6_jNS0_17counting_iteratorIjlEEPS9_SE_NS0_5tupleIJPjSE_EEENSF_IJSE_SE_EEES9_SG_JZNS1_25segmented_radix_sort_implINS0_14default_configELb1EPKiPiPKlPlN2at6native12_GLOBAL__N_18offset_tEEE10hipError_tPvRmT1_PNSt15iterator_traitsISY_E10value_typeET2_T3_PNSZ_IS14_E10value_typeET4_jRbjT5_S1A_jjP12ihipStream_tbEUljE_EEESV_SW_SX_S14_S18_S1A_T6_T7_T9_mT8_S1C_bDpT10_ENKUlT_T0_E_clISt17integral_constantIbLb1EES1P_EEDaS1K_S1L_EUlS1K_E_NS1_11comp_targetILNS1_3genE10ELNS1_11target_archE1200ELNS1_3gpuE4ELNS1_3repE0EEENS1_30default_config_static_selectorELNS0_4arch9wavefront6targetE1EEEvSY_
                                        ; -- End function
	.section	.AMDGPU.csdata,"",@progbits
; Kernel info:
; codeLenInByte = 0
; NumSgprs: 4
; NumVgprs: 0
; NumAgprs: 0
; TotalNumVgprs: 0
; ScratchSize: 0
; MemoryBound: 0
; FloatMode: 240
; IeeeMode: 1
; LDSByteSize: 0 bytes/workgroup (compile time only)
; SGPRBlocks: 0
; VGPRBlocks: 0
; NumSGPRsForWavesPerEU: 4
; NumVGPRsForWavesPerEU: 1
; AccumOffset: 4
; Occupancy: 8
; WaveLimiterHint : 0
; COMPUTE_PGM_RSRC2:SCRATCH_EN: 0
; COMPUTE_PGM_RSRC2:USER_SGPR: 6
; COMPUTE_PGM_RSRC2:TRAP_HANDLER: 0
; COMPUTE_PGM_RSRC2:TGID_X_EN: 1
; COMPUTE_PGM_RSRC2:TGID_Y_EN: 0
; COMPUTE_PGM_RSRC2:TGID_Z_EN: 0
; COMPUTE_PGM_RSRC2:TIDIG_COMP_CNT: 0
; COMPUTE_PGM_RSRC3_GFX90A:ACCUM_OFFSET: 0
; COMPUTE_PGM_RSRC3_GFX90A:TG_SPLIT: 0
	.section	.text._ZN7rocprim17ROCPRIM_400000_NS6detail17trampoline_kernelINS0_13select_configILj256ELj13ELNS0_17block_load_methodE3ELS4_3ELS4_3ELNS0_20block_scan_algorithmE0ELj4294967295EEENS1_25partition_config_selectorILNS1_17partition_subalgoE3EjNS0_10empty_typeEbEEZZNS1_14partition_implILS8_3ELb0ES6_jNS0_17counting_iteratorIjlEEPS9_SE_NS0_5tupleIJPjSE_EEENSF_IJSE_SE_EEES9_SG_JZNS1_25segmented_radix_sort_implINS0_14default_configELb1EPKiPiPKlPlN2at6native12_GLOBAL__N_18offset_tEEE10hipError_tPvRmT1_PNSt15iterator_traitsISY_E10value_typeET2_T3_PNSZ_IS14_E10value_typeET4_jRbjT5_S1A_jjP12ihipStream_tbEUljE_EEESV_SW_SX_S14_S18_S1A_T6_T7_T9_mT8_S1C_bDpT10_ENKUlT_T0_E_clISt17integral_constantIbLb1EES1P_EEDaS1K_S1L_EUlS1K_E_NS1_11comp_targetILNS1_3genE9ELNS1_11target_archE1100ELNS1_3gpuE3ELNS1_3repE0EEENS1_30default_config_static_selectorELNS0_4arch9wavefront6targetE1EEEvSY_,"axG",@progbits,_ZN7rocprim17ROCPRIM_400000_NS6detail17trampoline_kernelINS0_13select_configILj256ELj13ELNS0_17block_load_methodE3ELS4_3ELS4_3ELNS0_20block_scan_algorithmE0ELj4294967295EEENS1_25partition_config_selectorILNS1_17partition_subalgoE3EjNS0_10empty_typeEbEEZZNS1_14partition_implILS8_3ELb0ES6_jNS0_17counting_iteratorIjlEEPS9_SE_NS0_5tupleIJPjSE_EEENSF_IJSE_SE_EEES9_SG_JZNS1_25segmented_radix_sort_implINS0_14default_configELb1EPKiPiPKlPlN2at6native12_GLOBAL__N_18offset_tEEE10hipError_tPvRmT1_PNSt15iterator_traitsISY_E10value_typeET2_T3_PNSZ_IS14_E10value_typeET4_jRbjT5_S1A_jjP12ihipStream_tbEUljE_EEESV_SW_SX_S14_S18_S1A_T6_T7_T9_mT8_S1C_bDpT10_ENKUlT_T0_E_clISt17integral_constantIbLb1EES1P_EEDaS1K_S1L_EUlS1K_E_NS1_11comp_targetILNS1_3genE9ELNS1_11target_archE1100ELNS1_3gpuE3ELNS1_3repE0EEENS1_30default_config_static_selectorELNS0_4arch9wavefront6targetE1EEEvSY_,comdat
	.globl	_ZN7rocprim17ROCPRIM_400000_NS6detail17trampoline_kernelINS0_13select_configILj256ELj13ELNS0_17block_load_methodE3ELS4_3ELS4_3ELNS0_20block_scan_algorithmE0ELj4294967295EEENS1_25partition_config_selectorILNS1_17partition_subalgoE3EjNS0_10empty_typeEbEEZZNS1_14partition_implILS8_3ELb0ES6_jNS0_17counting_iteratorIjlEEPS9_SE_NS0_5tupleIJPjSE_EEENSF_IJSE_SE_EEES9_SG_JZNS1_25segmented_radix_sort_implINS0_14default_configELb1EPKiPiPKlPlN2at6native12_GLOBAL__N_18offset_tEEE10hipError_tPvRmT1_PNSt15iterator_traitsISY_E10value_typeET2_T3_PNSZ_IS14_E10value_typeET4_jRbjT5_S1A_jjP12ihipStream_tbEUljE_EEESV_SW_SX_S14_S18_S1A_T6_T7_T9_mT8_S1C_bDpT10_ENKUlT_T0_E_clISt17integral_constantIbLb1EES1P_EEDaS1K_S1L_EUlS1K_E_NS1_11comp_targetILNS1_3genE9ELNS1_11target_archE1100ELNS1_3gpuE3ELNS1_3repE0EEENS1_30default_config_static_selectorELNS0_4arch9wavefront6targetE1EEEvSY_ ; -- Begin function _ZN7rocprim17ROCPRIM_400000_NS6detail17trampoline_kernelINS0_13select_configILj256ELj13ELNS0_17block_load_methodE3ELS4_3ELS4_3ELNS0_20block_scan_algorithmE0ELj4294967295EEENS1_25partition_config_selectorILNS1_17partition_subalgoE3EjNS0_10empty_typeEbEEZZNS1_14partition_implILS8_3ELb0ES6_jNS0_17counting_iteratorIjlEEPS9_SE_NS0_5tupleIJPjSE_EEENSF_IJSE_SE_EEES9_SG_JZNS1_25segmented_radix_sort_implINS0_14default_configELb1EPKiPiPKlPlN2at6native12_GLOBAL__N_18offset_tEEE10hipError_tPvRmT1_PNSt15iterator_traitsISY_E10value_typeET2_T3_PNSZ_IS14_E10value_typeET4_jRbjT5_S1A_jjP12ihipStream_tbEUljE_EEESV_SW_SX_S14_S18_S1A_T6_T7_T9_mT8_S1C_bDpT10_ENKUlT_T0_E_clISt17integral_constantIbLb1EES1P_EEDaS1K_S1L_EUlS1K_E_NS1_11comp_targetILNS1_3genE9ELNS1_11target_archE1100ELNS1_3gpuE3ELNS1_3repE0EEENS1_30default_config_static_selectorELNS0_4arch9wavefront6targetE1EEEvSY_
	.p2align	8
	.type	_ZN7rocprim17ROCPRIM_400000_NS6detail17trampoline_kernelINS0_13select_configILj256ELj13ELNS0_17block_load_methodE3ELS4_3ELS4_3ELNS0_20block_scan_algorithmE0ELj4294967295EEENS1_25partition_config_selectorILNS1_17partition_subalgoE3EjNS0_10empty_typeEbEEZZNS1_14partition_implILS8_3ELb0ES6_jNS0_17counting_iteratorIjlEEPS9_SE_NS0_5tupleIJPjSE_EEENSF_IJSE_SE_EEES9_SG_JZNS1_25segmented_radix_sort_implINS0_14default_configELb1EPKiPiPKlPlN2at6native12_GLOBAL__N_18offset_tEEE10hipError_tPvRmT1_PNSt15iterator_traitsISY_E10value_typeET2_T3_PNSZ_IS14_E10value_typeET4_jRbjT5_S1A_jjP12ihipStream_tbEUljE_EEESV_SW_SX_S14_S18_S1A_T6_T7_T9_mT8_S1C_bDpT10_ENKUlT_T0_E_clISt17integral_constantIbLb1EES1P_EEDaS1K_S1L_EUlS1K_E_NS1_11comp_targetILNS1_3genE9ELNS1_11target_archE1100ELNS1_3gpuE3ELNS1_3repE0EEENS1_30default_config_static_selectorELNS0_4arch9wavefront6targetE1EEEvSY_,@function
_ZN7rocprim17ROCPRIM_400000_NS6detail17trampoline_kernelINS0_13select_configILj256ELj13ELNS0_17block_load_methodE3ELS4_3ELS4_3ELNS0_20block_scan_algorithmE0ELj4294967295EEENS1_25partition_config_selectorILNS1_17partition_subalgoE3EjNS0_10empty_typeEbEEZZNS1_14partition_implILS8_3ELb0ES6_jNS0_17counting_iteratorIjlEEPS9_SE_NS0_5tupleIJPjSE_EEENSF_IJSE_SE_EEES9_SG_JZNS1_25segmented_radix_sort_implINS0_14default_configELb1EPKiPiPKlPlN2at6native12_GLOBAL__N_18offset_tEEE10hipError_tPvRmT1_PNSt15iterator_traitsISY_E10value_typeET2_T3_PNSZ_IS14_E10value_typeET4_jRbjT5_S1A_jjP12ihipStream_tbEUljE_EEESV_SW_SX_S14_S18_S1A_T6_T7_T9_mT8_S1C_bDpT10_ENKUlT_T0_E_clISt17integral_constantIbLb1EES1P_EEDaS1K_S1L_EUlS1K_E_NS1_11comp_targetILNS1_3genE9ELNS1_11target_archE1100ELNS1_3gpuE3ELNS1_3repE0EEENS1_30default_config_static_selectorELNS0_4arch9wavefront6targetE1EEEvSY_: ; @_ZN7rocprim17ROCPRIM_400000_NS6detail17trampoline_kernelINS0_13select_configILj256ELj13ELNS0_17block_load_methodE3ELS4_3ELS4_3ELNS0_20block_scan_algorithmE0ELj4294967295EEENS1_25partition_config_selectorILNS1_17partition_subalgoE3EjNS0_10empty_typeEbEEZZNS1_14partition_implILS8_3ELb0ES6_jNS0_17counting_iteratorIjlEEPS9_SE_NS0_5tupleIJPjSE_EEENSF_IJSE_SE_EEES9_SG_JZNS1_25segmented_radix_sort_implINS0_14default_configELb1EPKiPiPKlPlN2at6native12_GLOBAL__N_18offset_tEEE10hipError_tPvRmT1_PNSt15iterator_traitsISY_E10value_typeET2_T3_PNSZ_IS14_E10value_typeET4_jRbjT5_S1A_jjP12ihipStream_tbEUljE_EEESV_SW_SX_S14_S18_S1A_T6_T7_T9_mT8_S1C_bDpT10_ENKUlT_T0_E_clISt17integral_constantIbLb1EES1P_EEDaS1K_S1L_EUlS1K_E_NS1_11comp_targetILNS1_3genE9ELNS1_11target_archE1100ELNS1_3gpuE3ELNS1_3repE0EEENS1_30default_config_static_selectorELNS0_4arch9wavefront6targetE1EEEvSY_
; %bb.0:
	.section	.rodata,"a",@progbits
	.p2align	6, 0x0
	.amdhsa_kernel _ZN7rocprim17ROCPRIM_400000_NS6detail17trampoline_kernelINS0_13select_configILj256ELj13ELNS0_17block_load_methodE3ELS4_3ELS4_3ELNS0_20block_scan_algorithmE0ELj4294967295EEENS1_25partition_config_selectorILNS1_17partition_subalgoE3EjNS0_10empty_typeEbEEZZNS1_14partition_implILS8_3ELb0ES6_jNS0_17counting_iteratorIjlEEPS9_SE_NS0_5tupleIJPjSE_EEENSF_IJSE_SE_EEES9_SG_JZNS1_25segmented_radix_sort_implINS0_14default_configELb1EPKiPiPKlPlN2at6native12_GLOBAL__N_18offset_tEEE10hipError_tPvRmT1_PNSt15iterator_traitsISY_E10value_typeET2_T3_PNSZ_IS14_E10value_typeET4_jRbjT5_S1A_jjP12ihipStream_tbEUljE_EEESV_SW_SX_S14_S18_S1A_T6_T7_T9_mT8_S1C_bDpT10_ENKUlT_T0_E_clISt17integral_constantIbLb1EES1P_EEDaS1K_S1L_EUlS1K_E_NS1_11comp_targetILNS1_3genE9ELNS1_11target_archE1100ELNS1_3gpuE3ELNS1_3repE0EEENS1_30default_config_static_selectorELNS0_4arch9wavefront6targetE1EEEvSY_
		.amdhsa_group_segment_fixed_size 0
		.amdhsa_private_segment_fixed_size 0
		.amdhsa_kernarg_size 152
		.amdhsa_user_sgpr_count 6
		.amdhsa_user_sgpr_private_segment_buffer 1
		.amdhsa_user_sgpr_dispatch_ptr 0
		.amdhsa_user_sgpr_queue_ptr 0
		.amdhsa_user_sgpr_kernarg_segment_ptr 1
		.amdhsa_user_sgpr_dispatch_id 0
		.amdhsa_user_sgpr_flat_scratch_init 0
		.amdhsa_user_sgpr_kernarg_preload_length 0
		.amdhsa_user_sgpr_kernarg_preload_offset 0
		.amdhsa_user_sgpr_private_segment_size 0
		.amdhsa_uses_dynamic_stack 0
		.amdhsa_system_sgpr_private_segment_wavefront_offset 0
		.amdhsa_system_sgpr_workgroup_id_x 1
		.amdhsa_system_sgpr_workgroup_id_y 0
		.amdhsa_system_sgpr_workgroup_id_z 0
		.amdhsa_system_sgpr_workgroup_info 0
		.amdhsa_system_vgpr_workitem_id 0
		.amdhsa_next_free_vgpr 1
		.amdhsa_next_free_sgpr 0
		.amdhsa_accum_offset 4
		.amdhsa_reserve_vcc 0
		.amdhsa_reserve_flat_scratch 0
		.amdhsa_float_round_mode_32 0
		.amdhsa_float_round_mode_16_64 0
		.amdhsa_float_denorm_mode_32 3
		.amdhsa_float_denorm_mode_16_64 3
		.amdhsa_dx10_clamp 1
		.amdhsa_ieee_mode 1
		.amdhsa_fp16_overflow 0
		.amdhsa_tg_split 0
		.amdhsa_exception_fp_ieee_invalid_op 0
		.amdhsa_exception_fp_denorm_src 0
		.amdhsa_exception_fp_ieee_div_zero 0
		.amdhsa_exception_fp_ieee_overflow 0
		.amdhsa_exception_fp_ieee_underflow 0
		.amdhsa_exception_fp_ieee_inexact 0
		.amdhsa_exception_int_div_zero 0
	.end_amdhsa_kernel
	.section	.text._ZN7rocprim17ROCPRIM_400000_NS6detail17trampoline_kernelINS0_13select_configILj256ELj13ELNS0_17block_load_methodE3ELS4_3ELS4_3ELNS0_20block_scan_algorithmE0ELj4294967295EEENS1_25partition_config_selectorILNS1_17partition_subalgoE3EjNS0_10empty_typeEbEEZZNS1_14partition_implILS8_3ELb0ES6_jNS0_17counting_iteratorIjlEEPS9_SE_NS0_5tupleIJPjSE_EEENSF_IJSE_SE_EEES9_SG_JZNS1_25segmented_radix_sort_implINS0_14default_configELb1EPKiPiPKlPlN2at6native12_GLOBAL__N_18offset_tEEE10hipError_tPvRmT1_PNSt15iterator_traitsISY_E10value_typeET2_T3_PNSZ_IS14_E10value_typeET4_jRbjT5_S1A_jjP12ihipStream_tbEUljE_EEESV_SW_SX_S14_S18_S1A_T6_T7_T9_mT8_S1C_bDpT10_ENKUlT_T0_E_clISt17integral_constantIbLb1EES1P_EEDaS1K_S1L_EUlS1K_E_NS1_11comp_targetILNS1_3genE9ELNS1_11target_archE1100ELNS1_3gpuE3ELNS1_3repE0EEENS1_30default_config_static_selectorELNS0_4arch9wavefront6targetE1EEEvSY_,"axG",@progbits,_ZN7rocprim17ROCPRIM_400000_NS6detail17trampoline_kernelINS0_13select_configILj256ELj13ELNS0_17block_load_methodE3ELS4_3ELS4_3ELNS0_20block_scan_algorithmE0ELj4294967295EEENS1_25partition_config_selectorILNS1_17partition_subalgoE3EjNS0_10empty_typeEbEEZZNS1_14partition_implILS8_3ELb0ES6_jNS0_17counting_iteratorIjlEEPS9_SE_NS0_5tupleIJPjSE_EEENSF_IJSE_SE_EEES9_SG_JZNS1_25segmented_radix_sort_implINS0_14default_configELb1EPKiPiPKlPlN2at6native12_GLOBAL__N_18offset_tEEE10hipError_tPvRmT1_PNSt15iterator_traitsISY_E10value_typeET2_T3_PNSZ_IS14_E10value_typeET4_jRbjT5_S1A_jjP12ihipStream_tbEUljE_EEESV_SW_SX_S14_S18_S1A_T6_T7_T9_mT8_S1C_bDpT10_ENKUlT_T0_E_clISt17integral_constantIbLb1EES1P_EEDaS1K_S1L_EUlS1K_E_NS1_11comp_targetILNS1_3genE9ELNS1_11target_archE1100ELNS1_3gpuE3ELNS1_3repE0EEENS1_30default_config_static_selectorELNS0_4arch9wavefront6targetE1EEEvSY_,comdat
.Lfunc_end479:
	.size	_ZN7rocprim17ROCPRIM_400000_NS6detail17trampoline_kernelINS0_13select_configILj256ELj13ELNS0_17block_load_methodE3ELS4_3ELS4_3ELNS0_20block_scan_algorithmE0ELj4294967295EEENS1_25partition_config_selectorILNS1_17partition_subalgoE3EjNS0_10empty_typeEbEEZZNS1_14partition_implILS8_3ELb0ES6_jNS0_17counting_iteratorIjlEEPS9_SE_NS0_5tupleIJPjSE_EEENSF_IJSE_SE_EEES9_SG_JZNS1_25segmented_radix_sort_implINS0_14default_configELb1EPKiPiPKlPlN2at6native12_GLOBAL__N_18offset_tEEE10hipError_tPvRmT1_PNSt15iterator_traitsISY_E10value_typeET2_T3_PNSZ_IS14_E10value_typeET4_jRbjT5_S1A_jjP12ihipStream_tbEUljE_EEESV_SW_SX_S14_S18_S1A_T6_T7_T9_mT8_S1C_bDpT10_ENKUlT_T0_E_clISt17integral_constantIbLb1EES1P_EEDaS1K_S1L_EUlS1K_E_NS1_11comp_targetILNS1_3genE9ELNS1_11target_archE1100ELNS1_3gpuE3ELNS1_3repE0EEENS1_30default_config_static_selectorELNS0_4arch9wavefront6targetE1EEEvSY_, .Lfunc_end479-_ZN7rocprim17ROCPRIM_400000_NS6detail17trampoline_kernelINS0_13select_configILj256ELj13ELNS0_17block_load_methodE3ELS4_3ELS4_3ELNS0_20block_scan_algorithmE0ELj4294967295EEENS1_25partition_config_selectorILNS1_17partition_subalgoE3EjNS0_10empty_typeEbEEZZNS1_14partition_implILS8_3ELb0ES6_jNS0_17counting_iteratorIjlEEPS9_SE_NS0_5tupleIJPjSE_EEENSF_IJSE_SE_EEES9_SG_JZNS1_25segmented_radix_sort_implINS0_14default_configELb1EPKiPiPKlPlN2at6native12_GLOBAL__N_18offset_tEEE10hipError_tPvRmT1_PNSt15iterator_traitsISY_E10value_typeET2_T3_PNSZ_IS14_E10value_typeET4_jRbjT5_S1A_jjP12ihipStream_tbEUljE_EEESV_SW_SX_S14_S18_S1A_T6_T7_T9_mT8_S1C_bDpT10_ENKUlT_T0_E_clISt17integral_constantIbLb1EES1P_EEDaS1K_S1L_EUlS1K_E_NS1_11comp_targetILNS1_3genE9ELNS1_11target_archE1100ELNS1_3gpuE3ELNS1_3repE0EEENS1_30default_config_static_selectorELNS0_4arch9wavefront6targetE1EEEvSY_
                                        ; -- End function
	.section	.AMDGPU.csdata,"",@progbits
; Kernel info:
; codeLenInByte = 0
; NumSgprs: 4
; NumVgprs: 0
; NumAgprs: 0
; TotalNumVgprs: 0
; ScratchSize: 0
; MemoryBound: 0
; FloatMode: 240
; IeeeMode: 1
; LDSByteSize: 0 bytes/workgroup (compile time only)
; SGPRBlocks: 0
; VGPRBlocks: 0
; NumSGPRsForWavesPerEU: 4
; NumVGPRsForWavesPerEU: 1
; AccumOffset: 4
; Occupancy: 8
; WaveLimiterHint : 0
; COMPUTE_PGM_RSRC2:SCRATCH_EN: 0
; COMPUTE_PGM_RSRC2:USER_SGPR: 6
; COMPUTE_PGM_RSRC2:TRAP_HANDLER: 0
; COMPUTE_PGM_RSRC2:TGID_X_EN: 1
; COMPUTE_PGM_RSRC2:TGID_Y_EN: 0
; COMPUTE_PGM_RSRC2:TGID_Z_EN: 0
; COMPUTE_PGM_RSRC2:TIDIG_COMP_CNT: 0
; COMPUTE_PGM_RSRC3_GFX90A:ACCUM_OFFSET: 0
; COMPUTE_PGM_RSRC3_GFX90A:TG_SPLIT: 0
	.section	.text._ZN7rocprim17ROCPRIM_400000_NS6detail17trampoline_kernelINS0_13select_configILj256ELj13ELNS0_17block_load_methodE3ELS4_3ELS4_3ELNS0_20block_scan_algorithmE0ELj4294967295EEENS1_25partition_config_selectorILNS1_17partition_subalgoE3EjNS0_10empty_typeEbEEZZNS1_14partition_implILS8_3ELb0ES6_jNS0_17counting_iteratorIjlEEPS9_SE_NS0_5tupleIJPjSE_EEENSF_IJSE_SE_EEES9_SG_JZNS1_25segmented_radix_sort_implINS0_14default_configELb1EPKiPiPKlPlN2at6native12_GLOBAL__N_18offset_tEEE10hipError_tPvRmT1_PNSt15iterator_traitsISY_E10value_typeET2_T3_PNSZ_IS14_E10value_typeET4_jRbjT5_S1A_jjP12ihipStream_tbEUljE_EEESV_SW_SX_S14_S18_S1A_T6_T7_T9_mT8_S1C_bDpT10_ENKUlT_T0_E_clISt17integral_constantIbLb1EES1P_EEDaS1K_S1L_EUlS1K_E_NS1_11comp_targetILNS1_3genE8ELNS1_11target_archE1030ELNS1_3gpuE2ELNS1_3repE0EEENS1_30default_config_static_selectorELNS0_4arch9wavefront6targetE1EEEvSY_,"axG",@progbits,_ZN7rocprim17ROCPRIM_400000_NS6detail17trampoline_kernelINS0_13select_configILj256ELj13ELNS0_17block_load_methodE3ELS4_3ELS4_3ELNS0_20block_scan_algorithmE0ELj4294967295EEENS1_25partition_config_selectorILNS1_17partition_subalgoE3EjNS0_10empty_typeEbEEZZNS1_14partition_implILS8_3ELb0ES6_jNS0_17counting_iteratorIjlEEPS9_SE_NS0_5tupleIJPjSE_EEENSF_IJSE_SE_EEES9_SG_JZNS1_25segmented_radix_sort_implINS0_14default_configELb1EPKiPiPKlPlN2at6native12_GLOBAL__N_18offset_tEEE10hipError_tPvRmT1_PNSt15iterator_traitsISY_E10value_typeET2_T3_PNSZ_IS14_E10value_typeET4_jRbjT5_S1A_jjP12ihipStream_tbEUljE_EEESV_SW_SX_S14_S18_S1A_T6_T7_T9_mT8_S1C_bDpT10_ENKUlT_T0_E_clISt17integral_constantIbLb1EES1P_EEDaS1K_S1L_EUlS1K_E_NS1_11comp_targetILNS1_3genE8ELNS1_11target_archE1030ELNS1_3gpuE2ELNS1_3repE0EEENS1_30default_config_static_selectorELNS0_4arch9wavefront6targetE1EEEvSY_,comdat
	.globl	_ZN7rocprim17ROCPRIM_400000_NS6detail17trampoline_kernelINS0_13select_configILj256ELj13ELNS0_17block_load_methodE3ELS4_3ELS4_3ELNS0_20block_scan_algorithmE0ELj4294967295EEENS1_25partition_config_selectorILNS1_17partition_subalgoE3EjNS0_10empty_typeEbEEZZNS1_14partition_implILS8_3ELb0ES6_jNS0_17counting_iteratorIjlEEPS9_SE_NS0_5tupleIJPjSE_EEENSF_IJSE_SE_EEES9_SG_JZNS1_25segmented_radix_sort_implINS0_14default_configELb1EPKiPiPKlPlN2at6native12_GLOBAL__N_18offset_tEEE10hipError_tPvRmT1_PNSt15iterator_traitsISY_E10value_typeET2_T3_PNSZ_IS14_E10value_typeET4_jRbjT5_S1A_jjP12ihipStream_tbEUljE_EEESV_SW_SX_S14_S18_S1A_T6_T7_T9_mT8_S1C_bDpT10_ENKUlT_T0_E_clISt17integral_constantIbLb1EES1P_EEDaS1K_S1L_EUlS1K_E_NS1_11comp_targetILNS1_3genE8ELNS1_11target_archE1030ELNS1_3gpuE2ELNS1_3repE0EEENS1_30default_config_static_selectorELNS0_4arch9wavefront6targetE1EEEvSY_ ; -- Begin function _ZN7rocprim17ROCPRIM_400000_NS6detail17trampoline_kernelINS0_13select_configILj256ELj13ELNS0_17block_load_methodE3ELS4_3ELS4_3ELNS0_20block_scan_algorithmE0ELj4294967295EEENS1_25partition_config_selectorILNS1_17partition_subalgoE3EjNS0_10empty_typeEbEEZZNS1_14partition_implILS8_3ELb0ES6_jNS0_17counting_iteratorIjlEEPS9_SE_NS0_5tupleIJPjSE_EEENSF_IJSE_SE_EEES9_SG_JZNS1_25segmented_radix_sort_implINS0_14default_configELb1EPKiPiPKlPlN2at6native12_GLOBAL__N_18offset_tEEE10hipError_tPvRmT1_PNSt15iterator_traitsISY_E10value_typeET2_T3_PNSZ_IS14_E10value_typeET4_jRbjT5_S1A_jjP12ihipStream_tbEUljE_EEESV_SW_SX_S14_S18_S1A_T6_T7_T9_mT8_S1C_bDpT10_ENKUlT_T0_E_clISt17integral_constantIbLb1EES1P_EEDaS1K_S1L_EUlS1K_E_NS1_11comp_targetILNS1_3genE8ELNS1_11target_archE1030ELNS1_3gpuE2ELNS1_3repE0EEENS1_30default_config_static_selectorELNS0_4arch9wavefront6targetE1EEEvSY_
	.p2align	8
	.type	_ZN7rocprim17ROCPRIM_400000_NS6detail17trampoline_kernelINS0_13select_configILj256ELj13ELNS0_17block_load_methodE3ELS4_3ELS4_3ELNS0_20block_scan_algorithmE0ELj4294967295EEENS1_25partition_config_selectorILNS1_17partition_subalgoE3EjNS0_10empty_typeEbEEZZNS1_14partition_implILS8_3ELb0ES6_jNS0_17counting_iteratorIjlEEPS9_SE_NS0_5tupleIJPjSE_EEENSF_IJSE_SE_EEES9_SG_JZNS1_25segmented_radix_sort_implINS0_14default_configELb1EPKiPiPKlPlN2at6native12_GLOBAL__N_18offset_tEEE10hipError_tPvRmT1_PNSt15iterator_traitsISY_E10value_typeET2_T3_PNSZ_IS14_E10value_typeET4_jRbjT5_S1A_jjP12ihipStream_tbEUljE_EEESV_SW_SX_S14_S18_S1A_T6_T7_T9_mT8_S1C_bDpT10_ENKUlT_T0_E_clISt17integral_constantIbLb1EES1P_EEDaS1K_S1L_EUlS1K_E_NS1_11comp_targetILNS1_3genE8ELNS1_11target_archE1030ELNS1_3gpuE2ELNS1_3repE0EEENS1_30default_config_static_selectorELNS0_4arch9wavefront6targetE1EEEvSY_,@function
_ZN7rocprim17ROCPRIM_400000_NS6detail17trampoline_kernelINS0_13select_configILj256ELj13ELNS0_17block_load_methodE3ELS4_3ELS4_3ELNS0_20block_scan_algorithmE0ELj4294967295EEENS1_25partition_config_selectorILNS1_17partition_subalgoE3EjNS0_10empty_typeEbEEZZNS1_14partition_implILS8_3ELb0ES6_jNS0_17counting_iteratorIjlEEPS9_SE_NS0_5tupleIJPjSE_EEENSF_IJSE_SE_EEES9_SG_JZNS1_25segmented_radix_sort_implINS0_14default_configELb1EPKiPiPKlPlN2at6native12_GLOBAL__N_18offset_tEEE10hipError_tPvRmT1_PNSt15iterator_traitsISY_E10value_typeET2_T3_PNSZ_IS14_E10value_typeET4_jRbjT5_S1A_jjP12ihipStream_tbEUljE_EEESV_SW_SX_S14_S18_S1A_T6_T7_T9_mT8_S1C_bDpT10_ENKUlT_T0_E_clISt17integral_constantIbLb1EES1P_EEDaS1K_S1L_EUlS1K_E_NS1_11comp_targetILNS1_3genE8ELNS1_11target_archE1030ELNS1_3gpuE2ELNS1_3repE0EEENS1_30default_config_static_selectorELNS0_4arch9wavefront6targetE1EEEvSY_: ; @_ZN7rocprim17ROCPRIM_400000_NS6detail17trampoline_kernelINS0_13select_configILj256ELj13ELNS0_17block_load_methodE3ELS4_3ELS4_3ELNS0_20block_scan_algorithmE0ELj4294967295EEENS1_25partition_config_selectorILNS1_17partition_subalgoE3EjNS0_10empty_typeEbEEZZNS1_14partition_implILS8_3ELb0ES6_jNS0_17counting_iteratorIjlEEPS9_SE_NS0_5tupleIJPjSE_EEENSF_IJSE_SE_EEES9_SG_JZNS1_25segmented_radix_sort_implINS0_14default_configELb1EPKiPiPKlPlN2at6native12_GLOBAL__N_18offset_tEEE10hipError_tPvRmT1_PNSt15iterator_traitsISY_E10value_typeET2_T3_PNSZ_IS14_E10value_typeET4_jRbjT5_S1A_jjP12ihipStream_tbEUljE_EEESV_SW_SX_S14_S18_S1A_T6_T7_T9_mT8_S1C_bDpT10_ENKUlT_T0_E_clISt17integral_constantIbLb1EES1P_EEDaS1K_S1L_EUlS1K_E_NS1_11comp_targetILNS1_3genE8ELNS1_11target_archE1030ELNS1_3gpuE2ELNS1_3repE0EEENS1_30default_config_static_selectorELNS0_4arch9wavefront6targetE1EEEvSY_
; %bb.0:
	.section	.rodata,"a",@progbits
	.p2align	6, 0x0
	.amdhsa_kernel _ZN7rocprim17ROCPRIM_400000_NS6detail17trampoline_kernelINS0_13select_configILj256ELj13ELNS0_17block_load_methodE3ELS4_3ELS4_3ELNS0_20block_scan_algorithmE0ELj4294967295EEENS1_25partition_config_selectorILNS1_17partition_subalgoE3EjNS0_10empty_typeEbEEZZNS1_14partition_implILS8_3ELb0ES6_jNS0_17counting_iteratorIjlEEPS9_SE_NS0_5tupleIJPjSE_EEENSF_IJSE_SE_EEES9_SG_JZNS1_25segmented_radix_sort_implINS0_14default_configELb1EPKiPiPKlPlN2at6native12_GLOBAL__N_18offset_tEEE10hipError_tPvRmT1_PNSt15iterator_traitsISY_E10value_typeET2_T3_PNSZ_IS14_E10value_typeET4_jRbjT5_S1A_jjP12ihipStream_tbEUljE_EEESV_SW_SX_S14_S18_S1A_T6_T7_T9_mT8_S1C_bDpT10_ENKUlT_T0_E_clISt17integral_constantIbLb1EES1P_EEDaS1K_S1L_EUlS1K_E_NS1_11comp_targetILNS1_3genE8ELNS1_11target_archE1030ELNS1_3gpuE2ELNS1_3repE0EEENS1_30default_config_static_selectorELNS0_4arch9wavefront6targetE1EEEvSY_
		.amdhsa_group_segment_fixed_size 0
		.amdhsa_private_segment_fixed_size 0
		.amdhsa_kernarg_size 152
		.amdhsa_user_sgpr_count 6
		.amdhsa_user_sgpr_private_segment_buffer 1
		.amdhsa_user_sgpr_dispatch_ptr 0
		.amdhsa_user_sgpr_queue_ptr 0
		.amdhsa_user_sgpr_kernarg_segment_ptr 1
		.amdhsa_user_sgpr_dispatch_id 0
		.amdhsa_user_sgpr_flat_scratch_init 0
		.amdhsa_user_sgpr_kernarg_preload_length 0
		.amdhsa_user_sgpr_kernarg_preload_offset 0
		.amdhsa_user_sgpr_private_segment_size 0
		.amdhsa_uses_dynamic_stack 0
		.amdhsa_system_sgpr_private_segment_wavefront_offset 0
		.amdhsa_system_sgpr_workgroup_id_x 1
		.amdhsa_system_sgpr_workgroup_id_y 0
		.amdhsa_system_sgpr_workgroup_id_z 0
		.amdhsa_system_sgpr_workgroup_info 0
		.amdhsa_system_vgpr_workitem_id 0
		.amdhsa_next_free_vgpr 1
		.amdhsa_next_free_sgpr 0
		.amdhsa_accum_offset 4
		.amdhsa_reserve_vcc 0
		.amdhsa_reserve_flat_scratch 0
		.amdhsa_float_round_mode_32 0
		.amdhsa_float_round_mode_16_64 0
		.amdhsa_float_denorm_mode_32 3
		.amdhsa_float_denorm_mode_16_64 3
		.amdhsa_dx10_clamp 1
		.amdhsa_ieee_mode 1
		.amdhsa_fp16_overflow 0
		.amdhsa_tg_split 0
		.amdhsa_exception_fp_ieee_invalid_op 0
		.amdhsa_exception_fp_denorm_src 0
		.amdhsa_exception_fp_ieee_div_zero 0
		.amdhsa_exception_fp_ieee_overflow 0
		.amdhsa_exception_fp_ieee_underflow 0
		.amdhsa_exception_fp_ieee_inexact 0
		.amdhsa_exception_int_div_zero 0
	.end_amdhsa_kernel
	.section	.text._ZN7rocprim17ROCPRIM_400000_NS6detail17trampoline_kernelINS0_13select_configILj256ELj13ELNS0_17block_load_methodE3ELS4_3ELS4_3ELNS0_20block_scan_algorithmE0ELj4294967295EEENS1_25partition_config_selectorILNS1_17partition_subalgoE3EjNS0_10empty_typeEbEEZZNS1_14partition_implILS8_3ELb0ES6_jNS0_17counting_iteratorIjlEEPS9_SE_NS0_5tupleIJPjSE_EEENSF_IJSE_SE_EEES9_SG_JZNS1_25segmented_radix_sort_implINS0_14default_configELb1EPKiPiPKlPlN2at6native12_GLOBAL__N_18offset_tEEE10hipError_tPvRmT1_PNSt15iterator_traitsISY_E10value_typeET2_T3_PNSZ_IS14_E10value_typeET4_jRbjT5_S1A_jjP12ihipStream_tbEUljE_EEESV_SW_SX_S14_S18_S1A_T6_T7_T9_mT8_S1C_bDpT10_ENKUlT_T0_E_clISt17integral_constantIbLb1EES1P_EEDaS1K_S1L_EUlS1K_E_NS1_11comp_targetILNS1_3genE8ELNS1_11target_archE1030ELNS1_3gpuE2ELNS1_3repE0EEENS1_30default_config_static_selectorELNS0_4arch9wavefront6targetE1EEEvSY_,"axG",@progbits,_ZN7rocprim17ROCPRIM_400000_NS6detail17trampoline_kernelINS0_13select_configILj256ELj13ELNS0_17block_load_methodE3ELS4_3ELS4_3ELNS0_20block_scan_algorithmE0ELj4294967295EEENS1_25partition_config_selectorILNS1_17partition_subalgoE3EjNS0_10empty_typeEbEEZZNS1_14partition_implILS8_3ELb0ES6_jNS0_17counting_iteratorIjlEEPS9_SE_NS0_5tupleIJPjSE_EEENSF_IJSE_SE_EEES9_SG_JZNS1_25segmented_radix_sort_implINS0_14default_configELb1EPKiPiPKlPlN2at6native12_GLOBAL__N_18offset_tEEE10hipError_tPvRmT1_PNSt15iterator_traitsISY_E10value_typeET2_T3_PNSZ_IS14_E10value_typeET4_jRbjT5_S1A_jjP12ihipStream_tbEUljE_EEESV_SW_SX_S14_S18_S1A_T6_T7_T9_mT8_S1C_bDpT10_ENKUlT_T0_E_clISt17integral_constantIbLb1EES1P_EEDaS1K_S1L_EUlS1K_E_NS1_11comp_targetILNS1_3genE8ELNS1_11target_archE1030ELNS1_3gpuE2ELNS1_3repE0EEENS1_30default_config_static_selectorELNS0_4arch9wavefront6targetE1EEEvSY_,comdat
.Lfunc_end480:
	.size	_ZN7rocprim17ROCPRIM_400000_NS6detail17trampoline_kernelINS0_13select_configILj256ELj13ELNS0_17block_load_methodE3ELS4_3ELS4_3ELNS0_20block_scan_algorithmE0ELj4294967295EEENS1_25partition_config_selectorILNS1_17partition_subalgoE3EjNS0_10empty_typeEbEEZZNS1_14partition_implILS8_3ELb0ES6_jNS0_17counting_iteratorIjlEEPS9_SE_NS0_5tupleIJPjSE_EEENSF_IJSE_SE_EEES9_SG_JZNS1_25segmented_radix_sort_implINS0_14default_configELb1EPKiPiPKlPlN2at6native12_GLOBAL__N_18offset_tEEE10hipError_tPvRmT1_PNSt15iterator_traitsISY_E10value_typeET2_T3_PNSZ_IS14_E10value_typeET4_jRbjT5_S1A_jjP12ihipStream_tbEUljE_EEESV_SW_SX_S14_S18_S1A_T6_T7_T9_mT8_S1C_bDpT10_ENKUlT_T0_E_clISt17integral_constantIbLb1EES1P_EEDaS1K_S1L_EUlS1K_E_NS1_11comp_targetILNS1_3genE8ELNS1_11target_archE1030ELNS1_3gpuE2ELNS1_3repE0EEENS1_30default_config_static_selectorELNS0_4arch9wavefront6targetE1EEEvSY_, .Lfunc_end480-_ZN7rocprim17ROCPRIM_400000_NS6detail17trampoline_kernelINS0_13select_configILj256ELj13ELNS0_17block_load_methodE3ELS4_3ELS4_3ELNS0_20block_scan_algorithmE0ELj4294967295EEENS1_25partition_config_selectorILNS1_17partition_subalgoE3EjNS0_10empty_typeEbEEZZNS1_14partition_implILS8_3ELb0ES6_jNS0_17counting_iteratorIjlEEPS9_SE_NS0_5tupleIJPjSE_EEENSF_IJSE_SE_EEES9_SG_JZNS1_25segmented_radix_sort_implINS0_14default_configELb1EPKiPiPKlPlN2at6native12_GLOBAL__N_18offset_tEEE10hipError_tPvRmT1_PNSt15iterator_traitsISY_E10value_typeET2_T3_PNSZ_IS14_E10value_typeET4_jRbjT5_S1A_jjP12ihipStream_tbEUljE_EEESV_SW_SX_S14_S18_S1A_T6_T7_T9_mT8_S1C_bDpT10_ENKUlT_T0_E_clISt17integral_constantIbLb1EES1P_EEDaS1K_S1L_EUlS1K_E_NS1_11comp_targetILNS1_3genE8ELNS1_11target_archE1030ELNS1_3gpuE2ELNS1_3repE0EEENS1_30default_config_static_selectorELNS0_4arch9wavefront6targetE1EEEvSY_
                                        ; -- End function
	.section	.AMDGPU.csdata,"",@progbits
; Kernel info:
; codeLenInByte = 0
; NumSgprs: 4
; NumVgprs: 0
; NumAgprs: 0
; TotalNumVgprs: 0
; ScratchSize: 0
; MemoryBound: 0
; FloatMode: 240
; IeeeMode: 1
; LDSByteSize: 0 bytes/workgroup (compile time only)
; SGPRBlocks: 0
; VGPRBlocks: 0
; NumSGPRsForWavesPerEU: 4
; NumVGPRsForWavesPerEU: 1
; AccumOffset: 4
; Occupancy: 8
; WaveLimiterHint : 0
; COMPUTE_PGM_RSRC2:SCRATCH_EN: 0
; COMPUTE_PGM_RSRC2:USER_SGPR: 6
; COMPUTE_PGM_RSRC2:TRAP_HANDLER: 0
; COMPUTE_PGM_RSRC2:TGID_X_EN: 1
; COMPUTE_PGM_RSRC2:TGID_Y_EN: 0
; COMPUTE_PGM_RSRC2:TGID_Z_EN: 0
; COMPUTE_PGM_RSRC2:TIDIG_COMP_CNT: 0
; COMPUTE_PGM_RSRC3_GFX90A:ACCUM_OFFSET: 0
; COMPUTE_PGM_RSRC3_GFX90A:TG_SPLIT: 0
	.section	.text._ZN7rocprim17ROCPRIM_400000_NS6detail17trampoline_kernelINS0_13select_configILj256ELj13ELNS0_17block_load_methodE3ELS4_3ELS4_3ELNS0_20block_scan_algorithmE0ELj4294967295EEENS1_25partition_config_selectorILNS1_17partition_subalgoE3EjNS0_10empty_typeEbEEZZNS1_14partition_implILS8_3ELb0ES6_jNS0_17counting_iteratorIjlEEPS9_SE_NS0_5tupleIJPjSE_EEENSF_IJSE_SE_EEES9_SG_JZNS1_25segmented_radix_sort_implINS0_14default_configELb1EPKiPiPKlPlN2at6native12_GLOBAL__N_18offset_tEEE10hipError_tPvRmT1_PNSt15iterator_traitsISY_E10value_typeET2_T3_PNSZ_IS14_E10value_typeET4_jRbjT5_S1A_jjP12ihipStream_tbEUljE_EEESV_SW_SX_S14_S18_S1A_T6_T7_T9_mT8_S1C_bDpT10_ENKUlT_T0_E_clISt17integral_constantIbLb1EES1O_IbLb0EEEEDaS1K_S1L_EUlS1K_E_NS1_11comp_targetILNS1_3genE0ELNS1_11target_archE4294967295ELNS1_3gpuE0ELNS1_3repE0EEENS1_30default_config_static_selectorELNS0_4arch9wavefront6targetE1EEEvSY_,"axG",@progbits,_ZN7rocprim17ROCPRIM_400000_NS6detail17trampoline_kernelINS0_13select_configILj256ELj13ELNS0_17block_load_methodE3ELS4_3ELS4_3ELNS0_20block_scan_algorithmE0ELj4294967295EEENS1_25partition_config_selectorILNS1_17partition_subalgoE3EjNS0_10empty_typeEbEEZZNS1_14partition_implILS8_3ELb0ES6_jNS0_17counting_iteratorIjlEEPS9_SE_NS0_5tupleIJPjSE_EEENSF_IJSE_SE_EEES9_SG_JZNS1_25segmented_radix_sort_implINS0_14default_configELb1EPKiPiPKlPlN2at6native12_GLOBAL__N_18offset_tEEE10hipError_tPvRmT1_PNSt15iterator_traitsISY_E10value_typeET2_T3_PNSZ_IS14_E10value_typeET4_jRbjT5_S1A_jjP12ihipStream_tbEUljE_EEESV_SW_SX_S14_S18_S1A_T6_T7_T9_mT8_S1C_bDpT10_ENKUlT_T0_E_clISt17integral_constantIbLb1EES1O_IbLb0EEEEDaS1K_S1L_EUlS1K_E_NS1_11comp_targetILNS1_3genE0ELNS1_11target_archE4294967295ELNS1_3gpuE0ELNS1_3repE0EEENS1_30default_config_static_selectorELNS0_4arch9wavefront6targetE1EEEvSY_,comdat
	.globl	_ZN7rocprim17ROCPRIM_400000_NS6detail17trampoline_kernelINS0_13select_configILj256ELj13ELNS0_17block_load_methodE3ELS4_3ELS4_3ELNS0_20block_scan_algorithmE0ELj4294967295EEENS1_25partition_config_selectorILNS1_17partition_subalgoE3EjNS0_10empty_typeEbEEZZNS1_14partition_implILS8_3ELb0ES6_jNS0_17counting_iteratorIjlEEPS9_SE_NS0_5tupleIJPjSE_EEENSF_IJSE_SE_EEES9_SG_JZNS1_25segmented_radix_sort_implINS0_14default_configELb1EPKiPiPKlPlN2at6native12_GLOBAL__N_18offset_tEEE10hipError_tPvRmT1_PNSt15iterator_traitsISY_E10value_typeET2_T3_PNSZ_IS14_E10value_typeET4_jRbjT5_S1A_jjP12ihipStream_tbEUljE_EEESV_SW_SX_S14_S18_S1A_T6_T7_T9_mT8_S1C_bDpT10_ENKUlT_T0_E_clISt17integral_constantIbLb1EES1O_IbLb0EEEEDaS1K_S1L_EUlS1K_E_NS1_11comp_targetILNS1_3genE0ELNS1_11target_archE4294967295ELNS1_3gpuE0ELNS1_3repE0EEENS1_30default_config_static_selectorELNS0_4arch9wavefront6targetE1EEEvSY_ ; -- Begin function _ZN7rocprim17ROCPRIM_400000_NS6detail17trampoline_kernelINS0_13select_configILj256ELj13ELNS0_17block_load_methodE3ELS4_3ELS4_3ELNS0_20block_scan_algorithmE0ELj4294967295EEENS1_25partition_config_selectorILNS1_17partition_subalgoE3EjNS0_10empty_typeEbEEZZNS1_14partition_implILS8_3ELb0ES6_jNS0_17counting_iteratorIjlEEPS9_SE_NS0_5tupleIJPjSE_EEENSF_IJSE_SE_EEES9_SG_JZNS1_25segmented_radix_sort_implINS0_14default_configELb1EPKiPiPKlPlN2at6native12_GLOBAL__N_18offset_tEEE10hipError_tPvRmT1_PNSt15iterator_traitsISY_E10value_typeET2_T3_PNSZ_IS14_E10value_typeET4_jRbjT5_S1A_jjP12ihipStream_tbEUljE_EEESV_SW_SX_S14_S18_S1A_T6_T7_T9_mT8_S1C_bDpT10_ENKUlT_T0_E_clISt17integral_constantIbLb1EES1O_IbLb0EEEEDaS1K_S1L_EUlS1K_E_NS1_11comp_targetILNS1_3genE0ELNS1_11target_archE4294967295ELNS1_3gpuE0ELNS1_3repE0EEENS1_30default_config_static_selectorELNS0_4arch9wavefront6targetE1EEEvSY_
	.p2align	8
	.type	_ZN7rocprim17ROCPRIM_400000_NS6detail17trampoline_kernelINS0_13select_configILj256ELj13ELNS0_17block_load_methodE3ELS4_3ELS4_3ELNS0_20block_scan_algorithmE0ELj4294967295EEENS1_25partition_config_selectorILNS1_17partition_subalgoE3EjNS0_10empty_typeEbEEZZNS1_14partition_implILS8_3ELb0ES6_jNS0_17counting_iteratorIjlEEPS9_SE_NS0_5tupleIJPjSE_EEENSF_IJSE_SE_EEES9_SG_JZNS1_25segmented_radix_sort_implINS0_14default_configELb1EPKiPiPKlPlN2at6native12_GLOBAL__N_18offset_tEEE10hipError_tPvRmT1_PNSt15iterator_traitsISY_E10value_typeET2_T3_PNSZ_IS14_E10value_typeET4_jRbjT5_S1A_jjP12ihipStream_tbEUljE_EEESV_SW_SX_S14_S18_S1A_T6_T7_T9_mT8_S1C_bDpT10_ENKUlT_T0_E_clISt17integral_constantIbLb1EES1O_IbLb0EEEEDaS1K_S1L_EUlS1K_E_NS1_11comp_targetILNS1_3genE0ELNS1_11target_archE4294967295ELNS1_3gpuE0ELNS1_3repE0EEENS1_30default_config_static_selectorELNS0_4arch9wavefront6targetE1EEEvSY_,@function
_ZN7rocprim17ROCPRIM_400000_NS6detail17trampoline_kernelINS0_13select_configILj256ELj13ELNS0_17block_load_methodE3ELS4_3ELS4_3ELNS0_20block_scan_algorithmE0ELj4294967295EEENS1_25partition_config_selectorILNS1_17partition_subalgoE3EjNS0_10empty_typeEbEEZZNS1_14partition_implILS8_3ELb0ES6_jNS0_17counting_iteratorIjlEEPS9_SE_NS0_5tupleIJPjSE_EEENSF_IJSE_SE_EEES9_SG_JZNS1_25segmented_radix_sort_implINS0_14default_configELb1EPKiPiPKlPlN2at6native12_GLOBAL__N_18offset_tEEE10hipError_tPvRmT1_PNSt15iterator_traitsISY_E10value_typeET2_T3_PNSZ_IS14_E10value_typeET4_jRbjT5_S1A_jjP12ihipStream_tbEUljE_EEESV_SW_SX_S14_S18_S1A_T6_T7_T9_mT8_S1C_bDpT10_ENKUlT_T0_E_clISt17integral_constantIbLb1EES1O_IbLb0EEEEDaS1K_S1L_EUlS1K_E_NS1_11comp_targetILNS1_3genE0ELNS1_11target_archE4294967295ELNS1_3gpuE0ELNS1_3repE0EEENS1_30default_config_static_selectorELNS0_4arch9wavefront6targetE1EEEvSY_: ; @_ZN7rocprim17ROCPRIM_400000_NS6detail17trampoline_kernelINS0_13select_configILj256ELj13ELNS0_17block_load_methodE3ELS4_3ELS4_3ELNS0_20block_scan_algorithmE0ELj4294967295EEENS1_25partition_config_selectorILNS1_17partition_subalgoE3EjNS0_10empty_typeEbEEZZNS1_14partition_implILS8_3ELb0ES6_jNS0_17counting_iteratorIjlEEPS9_SE_NS0_5tupleIJPjSE_EEENSF_IJSE_SE_EEES9_SG_JZNS1_25segmented_radix_sort_implINS0_14default_configELb1EPKiPiPKlPlN2at6native12_GLOBAL__N_18offset_tEEE10hipError_tPvRmT1_PNSt15iterator_traitsISY_E10value_typeET2_T3_PNSZ_IS14_E10value_typeET4_jRbjT5_S1A_jjP12ihipStream_tbEUljE_EEESV_SW_SX_S14_S18_S1A_T6_T7_T9_mT8_S1C_bDpT10_ENKUlT_T0_E_clISt17integral_constantIbLb1EES1O_IbLb0EEEEDaS1K_S1L_EUlS1K_E_NS1_11comp_targetILNS1_3genE0ELNS1_11target_archE4294967295ELNS1_3gpuE0ELNS1_3repE0EEENS1_30default_config_static_selectorELNS0_4arch9wavefront6targetE1EEEvSY_
; %bb.0:
	.section	.rodata,"a",@progbits
	.p2align	6, 0x0
	.amdhsa_kernel _ZN7rocprim17ROCPRIM_400000_NS6detail17trampoline_kernelINS0_13select_configILj256ELj13ELNS0_17block_load_methodE3ELS4_3ELS4_3ELNS0_20block_scan_algorithmE0ELj4294967295EEENS1_25partition_config_selectorILNS1_17partition_subalgoE3EjNS0_10empty_typeEbEEZZNS1_14partition_implILS8_3ELb0ES6_jNS0_17counting_iteratorIjlEEPS9_SE_NS0_5tupleIJPjSE_EEENSF_IJSE_SE_EEES9_SG_JZNS1_25segmented_radix_sort_implINS0_14default_configELb1EPKiPiPKlPlN2at6native12_GLOBAL__N_18offset_tEEE10hipError_tPvRmT1_PNSt15iterator_traitsISY_E10value_typeET2_T3_PNSZ_IS14_E10value_typeET4_jRbjT5_S1A_jjP12ihipStream_tbEUljE_EEESV_SW_SX_S14_S18_S1A_T6_T7_T9_mT8_S1C_bDpT10_ENKUlT_T0_E_clISt17integral_constantIbLb1EES1O_IbLb0EEEEDaS1K_S1L_EUlS1K_E_NS1_11comp_targetILNS1_3genE0ELNS1_11target_archE4294967295ELNS1_3gpuE0ELNS1_3repE0EEENS1_30default_config_static_selectorELNS0_4arch9wavefront6targetE1EEEvSY_
		.amdhsa_group_segment_fixed_size 0
		.amdhsa_private_segment_fixed_size 0
		.amdhsa_kernarg_size 144
		.amdhsa_user_sgpr_count 6
		.amdhsa_user_sgpr_private_segment_buffer 1
		.amdhsa_user_sgpr_dispatch_ptr 0
		.amdhsa_user_sgpr_queue_ptr 0
		.amdhsa_user_sgpr_kernarg_segment_ptr 1
		.amdhsa_user_sgpr_dispatch_id 0
		.amdhsa_user_sgpr_flat_scratch_init 0
		.amdhsa_user_sgpr_kernarg_preload_length 0
		.amdhsa_user_sgpr_kernarg_preload_offset 0
		.amdhsa_user_sgpr_private_segment_size 0
		.amdhsa_uses_dynamic_stack 0
		.amdhsa_system_sgpr_private_segment_wavefront_offset 0
		.amdhsa_system_sgpr_workgroup_id_x 1
		.amdhsa_system_sgpr_workgroup_id_y 0
		.amdhsa_system_sgpr_workgroup_id_z 0
		.amdhsa_system_sgpr_workgroup_info 0
		.amdhsa_system_vgpr_workitem_id 0
		.amdhsa_next_free_vgpr 1
		.amdhsa_next_free_sgpr 0
		.amdhsa_accum_offset 4
		.amdhsa_reserve_vcc 0
		.amdhsa_reserve_flat_scratch 0
		.amdhsa_float_round_mode_32 0
		.amdhsa_float_round_mode_16_64 0
		.amdhsa_float_denorm_mode_32 3
		.amdhsa_float_denorm_mode_16_64 3
		.amdhsa_dx10_clamp 1
		.amdhsa_ieee_mode 1
		.amdhsa_fp16_overflow 0
		.amdhsa_tg_split 0
		.amdhsa_exception_fp_ieee_invalid_op 0
		.amdhsa_exception_fp_denorm_src 0
		.amdhsa_exception_fp_ieee_div_zero 0
		.amdhsa_exception_fp_ieee_overflow 0
		.amdhsa_exception_fp_ieee_underflow 0
		.amdhsa_exception_fp_ieee_inexact 0
		.amdhsa_exception_int_div_zero 0
	.end_amdhsa_kernel
	.section	.text._ZN7rocprim17ROCPRIM_400000_NS6detail17trampoline_kernelINS0_13select_configILj256ELj13ELNS0_17block_load_methodE3ELS4_3ELS4_3ELNS0_20block_scan_algorithmE0ELj4294967295EEENS1_25partition_config_selectorILNS1_17partition_subalgoE3EjNS0_10empty_typeEbEEZZNS1_14partition_implILS8_3ELb0ES6_jNS0_17counting_iteratorIjlEEPS9_SE_NS0_5tupleIJPjSE_EEENSF_IJSE_SE_EEES9_SG_JZNS1_25segmented_radix_sort_implINS0_14default_configELb1EPKiPiPKlPlN2at6native12_GLOBAL__N_18offset_tEEE10hipError_tPvRmT1_PNSt15iterator_traitsISY_E10value_typeET2_T3_PNSZ_IS14_E10value_typeET4_jRbjT5_S1A_jjP12ihipStream_tbEUljE_EEESV_SW_SX_S14_S18_S1A_T6_T7_T9_mT8_S1C_bDpT10_ENKUlT_T0_E_clISt17integral_constantIbLb1EES1O_IbLb0EEEEDaS1K_S1L_EUlS1K_E_NS1_11comp_targetILNS1_3genE0ELNS1_11target_archE4294967295ELNS1_3gpuE0ELNS1_3repE0EEENS1_30default_config_static_selectorELNS0_4arch9wavefront6targetE1EEEvSY_,"axG",@progbits,_ZN7rocprim17ROCPRIM_400000_NS6detail17trampoline_kernelINS0_13select_configILj256ELj13ELNS0_17block_load_methodE3ELS4_3ELS4_3ELNS0_20block_scan_algorithmE0ELj4294967295EEENS1_25partition_config_selectorILNS1_17partition_subalgoE3EjNS0_10empty_typeEbEEZZNS1_14partition_implILS8_3ELb0ES6_jNS0_17counting_iteratorIjlEEPS9_SE_NS0_5tupleIJPjSE_EEENSF_IJSE_SE_EEES9_SG_JZNS1_25segmented_radix_sort_implINS0_14default_configELb1EPKiPiPKlPlN2at6native12_GLOBAL__N_18offset_tEEE10hipError_tPvRmT1_PNSt15iterator_traitsISY_E10value_typeET2_T3_PNSZ_IS14_E10value_typeET4_jRbjT5_S1A_jjP12ihipStream_tbEUljE_EEESV_SW_SX_S14_S18_S1A_T6_T7_T9_mT8_S1C_bDpT10_ENKUlT_T0_E_clISt17integral_constantIbLb1EES1O_IbLb0EEEEDaS1K_S1L_EUlS1K_E_NS1_11comp_targetILNS1_3genE0ELNS1_11target_archE4294967295ELNS1_3gpuE0ELNS1_3repE0EEENS1_30default_config_static_selectorELNS0_4arch9wavefront6targetE1EEEvSY_,comdat
.Lfunc_end481:
	.size	_ZN7rocprim17ROCPRIM_400000_NS6detail17trampoline_kernelINS0_13select_configILj256ELj13ELNS0_17block_load_methodE3ELS4_3ELS4_3ELNS0_20block_scan_algorithmE0ELj4294967295EEENS1_25partition_config_selectorILNS1_17partition_subalgoE3EjNS0_10empty_typeEbEEZZNS1_14partition_implILS8_3ELb0ES6_jNS0_17counting_iteratorIjlEEPS9_SE_NS0_5tupleIJPjSE_EEENSF_IJSE_SE_EEES9_SG_JZNS1_25segmented_radix_sort_implINS0_14default_configELb1EPKiPiPKlPlN2at6native12_GLOBAL__N_18offset_tEEE10hipError_tPvRmT1_PNSt15iterator_traitsISY_E10value_typeET2_T3_PNSZ_IS14_E10value_typeET4_jRbjT5_S1A_jjP12ihipStream_tbEUljE_EEESV_SW_SX_S14_S18_S1A_T6_T7_T9_mT8_S1C_bDpT10_ENKUlT_T0_E_clISt17integral_constantIbLb1EES1O_IbLb0EEEEDaS1K_S1L_EUlS1K_E_NS1_11comp_targetILNS1_3genE0ELNS1_11target_archE4294967295ELNS1_3gpuE0ELNS1_3repE0EEENS1_30default_config_static_selectorELNS0_4arch9wavefront6targetE1EEEvSY_, .Lfunc_end481-_ZN7rocprim17ROCPRIM_400000_NS6detail17trampoline_kernelINS0_13select_configILj256ELj13ELNS0_17block_load_methodE3ELS4_3ELS4_3ELNS0_20block_scan_algorithmE0ELj4294967295EEENS1_25partition_config_selectorILNS1_17partition_subalgoE3EjNS0_10empty_typeEbEEZZNS1_14partition_implILS8_3ELb0ES6_jNS0_17counting_iteratorIjlEEPS9_SE_NS0_5tupleIJPjSE_EEENSF_IJSE_SE_EEES9_SG_JZNS1_25segmented_radix_sort_implINS0_14default_configELb1EPKiPiPKlPlN2at6native12_GLOBAL__N_18offset_tEEE10hipError_tPvRmT1_PNSt15iterator_traitsISY_E10value_typeET2_T3_PNSZ_IS14_E10value_typeET4_jRbjT5_S1A_jjP12ihipStream_tbEUljE_EEESV_SW_SX_S14_S18_S1A_T6_T7_T9_mT8_S1C_bDpT10_ENKUlT_T0_E_clISt17integral_constantIbLb1EES1O_IbLb0EEEEDaS1K_S1L_EUlS1K_E_NS1_11comp_targetILNS1_3genE0ELNS1_11target_archE4294967295ELNS1_3gpuE0ELNS1_3repE0EEENS1_30default_config_static_selectorELNS0_4arch9wavefront6targetE1EEEvSY_
                                        ; -- End function
	.section	.AMDGPU.csdata,"",@progbits
; Kernel info:
; codeLenInByte = 0
; NumSgprs: 4
; NumVgprs: 0
; NumAgprs: 0
; TotalNumVgprs: 0
; ScratchSize: 0
; MemoryBound: 0
; FloatMode: 240
; IeeeMode: 1
; LDSByteSize: 0 bytes/workgroup (compile time only)
; SGPRBlocks: 0
; VGPRBlocks: 0
; NumSGPRsForWavesPerEU: 4
; NumVGPRsForWavesPerEU: 1
; AccumOffset: 4
; Occupancy: 8
; WaveLimiterHint : 0
; COMPUTE_PGM_RSRC2:SCRATCH_EN: 0
; COMPUTE_PGM_RSRC2:USER_SGPR: 6
; COMPUTE_PGM_RSRC2:TRAP_HANDLER: 0
; COMPUTE_PGM_RSRC2:TGID_X_EN: 1
; COMPUTE_PGM_RSRC2:TGID_Y_EN: 0
; COMPUTE_PGM_RSRC2:TGID_Z_EN: 0
; COMPUTE_PGM_RSRC2:TIDIG_COMP_CNT: 0
; COMPUTE_PGM_RSRC3_GFX90A:ACCUM_OFFSET: 0
; COMPUTE_PGM_RSRC3_GFX90A:TG_SPLIT: 0
	.section	.text._ZN7rocprim17ROCPRIM_400000_NS6detail17trampoline_kernelINS0_13select_configILj256ELj13ELNS0_17block_load_methodE3ELS4_3ELS4_3ELNS0_20block_scan_algorithmE0ELj4294967295EEENS1_25partition_config_selectorILNS1_17partition_subalgoE3EjNS0_10empty_typeEbEEZZNS1_14partition_implILS8_3ELb0ES6_jNS0_17counting_iteratorIjlEEPS9_SE_NS0_5tupleIJPjSE_EEENSF_IJSE_SE_EEES9_SG_JZNS1_25segmented_radix_sort_implINS0_14default_configELb1EPKiPiPKlPlN2at6native12_GLOBAL__N_18offset_tEEE10hipError_tPvRmT1_PNSt15iterator_traitsISY_E10value_typeET2_T3_PNSZ_IS14_E10value_typeET4_jRbjT5_S1A_jjP12ihipStream_tbEUljE_EEESV_SW_SX_S14_S18_S1A_T6_T7_T9_mT8_S1C_bDpT10_ENKUlT_T0_E_clISt17integral_constantIbLb1EES1O_IbLb0EEEEDaS1K_S1L_EUlS1K_E_NS1_11comp_targetILNS1_3genE5ELNS1_11target_archE942ELNS1_3gpuE9ELNS1_3repE0EEENS1_30default_config_static_selectorELNS0_4arch9wavefront6targetE1EEEvSY_,"axG",@progbits,_ZN7rocprim17ROCPRIM_400000_NS6detail17trampoline_kernelINS0_13select_configILj256ELj13ELNS0_17block_load_methodE3ELS4_3ELS4_3ELNS0_20block_scan_algorithmE0ELj4294967295EEENS1_25partition_config_selectorILNS1_17partition_subalgoE3EjNS0_10empty_typeEbEEZZNS1_14partition_implILS8_3ELb0ES6_jNS0_17counting_iteratorIjlEEPS9_SE_NS0_5tupleIJPjSE_EEENSF_IJSE_SE_EEES9_SG_JZNS1_25segmented_radix_sort_implINS0_14default_configELb1EPKiPiPKlPlN2at6native12_GLOBAL__N_18offset_tEEE10hipError_tPvRmT1_PNSt15iterator_traitsISY_E10value_typeET2_T3_PNSZ_IS14_E10value_typeET4_jRbjT5_S1A_jjP12ihipStream_tbEUljE_EEESV_SW_SX_S14_S18_S1A_T6_T7_T9_mT8_S1C_bDpT10_ENKUlT_T0_E_clISt17integral_constantIbLb1EES1O_IbLb0EEEEDaS1K_S1L_EUlS1K_E_NS1_11comp_targetILNS1_3genE5ELNS1_11target_archE942ELNS1_3gpuE9ELNS1_3repE0EEENS1_30default_config_static_selectorELNS0_4arch9wavefront6targetE1EEEvSY_,comdat
	.globl	_ZN7rocprim17ROCPRIM_400000_NS6detail17trampoline_kernelINS0_13select_configILj256ELj13ELNS0_17block_load_methodE3ELS4_3ELS4_3ELNS0_20block_scan_algorithmE0ELj4294967295EEENS1_25partition_config_selectorILNS1_17partition_subalgoE3EjNS0_10empty_typeEbEEZZNS1_14partition_implILS8_3ELb0ES6_jNS0_17counting_iteratorIjlEEPS9_SE_NS0_5tupleIJPjSE_EEENSF_IJSE_SE_EEES9_SG_JZNS1_25segmented_radix_sort_implINS0_14default_configELb1EPKiPiPKlPlN2at6native12_GLOBAL__N_18offset_tEEE10hipError_tPvRmT1_PNSt15iterator_traitsISY_E10value_typeET2_T3_PNSZ_IS14_E10value_typeET4_jRbjT5_S1A_jjP12ihipStream_tbEUljE_EEESV_SW_SX_S14_S18_S1A_T6_T7_T9_mT8_S1C_bDpT10_ENKUlT_T0_E_clISt17integral_constantIbLb1EES1O_IbLb0EEEEDaS1K_S1L_EUlS1K_E_NS1_11comp_targetILNS1_3genE5ELNS1_11target_archE942ELNS1_3gpuE9ELNS1_3repE0EEENS1_30default_config_static_selectorELNS0_4arch9wavefront6targetE1EEEvSY_ ; -- Begin function _ZN7rocprim17ROCPRIM_400000_NS6detail17trampoline_kernelINS0_13select_configILj256ELj13ELNS0_17block_load_methodE3ELS4_3ELS4_3ELNS0_20block_scan_algorithmE0ELj4294967295EEENS1_25partition_config_selectorILNS1_17partition_subalgoE3EjNS0_10empty_typeEbEEZZNS1_14partition_implILS8_3ELb0ES6_jNS0_17counting_iteratorIjlEEPS9_SE_NS0_5tupleIJPjSE_EEENSF_IJSE_SE_EEES9_SG_JZNS1_25segmented_radix_sort_implINS0_14default_configELb1EPKiPiPKlPlN2at6native12_GLOBAL__N_18offset_tEEE10hipError_tPvRmT1_PNSt15iterator_traitsISY_E10value_typeET2_T3_PNSZ_IS14_E10value_typeET4_jRbjT5_S1A_jjP12ihipStream_tbEUljE_EEESV_SW_SX_S14_S18_S1A_T6_T7_T9_mT8_S1C_bDpT10_ENKUlT_T0_E_clISt17integral_constantIbLb1EES1O_IbLb0EEEEDaS1K_S1L_EUlS1K_E_NS1_11comp_targetILNS1_3genE5ELNS1_11target_archE942ELNS1_3gpuE9ELNS1_3repE0EEENS1_30default_config_static_selectorELNS0_4arch9wavefront6targetE1EEEvSY_
	.p2align	8
	.type	_ZN7rocprim17ROCPRIM_400000_NS6detail17trampoline_kernelINS0_13select_configILj256ELj13ELNS0_17block_load_methodE3ELS4_3ELS4_3ELNS0_20block_scan_algorithmE0ELj4294967295EEENS1_25partition_config_selectorILNS1_17partition_subalgoE3EjNS0_10empty_typeEbEEZZNS1_14partition_implILS8_3ELb0ES6_jNS0_17counting_iteratorIjlEEPS9_SE_NS0_5tupleIJPjSE_EEENSF_IJSE_SE_EEES9_SG_JZNS1_25segmented_radix_sort_implINS0_14default_configELb1EPKiPiPKlPlN2at6native12_GLOBAL__N_18offset_tEEE10hipError_tPvRmT1_PNSt15iterator_traitsISY_E10value_typeET2_T3_PNSZ_IS14_E10value_typeET4_jRbjT5_S1A_jjP12ihipStream_tbEUljE_EEESV_SW_SX_S14_S18_S1A_T6_T7_T9_mT8_S1C_bDpT10_ENKUlT_T0_E_clISt17integral_constantIbLb1EES1O_IbLb0EEEEDaS1K_S1L_EUlS1K_E_NS1_11comp_targetILNS1_3genE5ELNS1_11target_archE942ELNS1_3gpuE9ELNS1_3repE0EEENS1_30default_config_static_selectorELNS0_4arch9wavefront6targetE1EEEvSY_,@function
_ZN7rocprim17ROCPRIM_400000_NS6detail17trampoline_kernelINS0_13select_configILj256ELj13ELNS0_17block_load_methodE3ELS4_3ELS4_3ELNS0_20block_scan_algorithmE0ELj4294967295EEENS1_25partition_config_selectorILNS1_17partition_subalgoE3EjNS0_10empty_typeEbEEZZNS1_14partition_implILS8_3ELb0ES6_jNS0_17counting_iteratorIjlEEPS9_SE_NS0_5tupleIJPjSE_EEENSF_IJSE_SE_EEES9_SG_JZNS1_25segmented_radix_sort_implINS0_14default_configELb1EPKiPiPKlPlN2at6native12_GLOBAL__N_18offset_tEEE10hipError_tPvRmT1_PNSt15iterator_traitsISY_E10value_typeET2_T3_PNSZ_IS14_E10value_typeET4_jRbjT5_S1A_jjP12ihipStream_tbEUljE_EEESV_SW_SX_S14_S18_S1A_T6_T7_T9_mT8_S1C_bDpT10_ENKUlT_T0_E_clISt17integral_constantIbLb1EES1O_IbLb0EEEEDaS1K_S1L_EUlS1K_E_NS1_11comp_targetILNS1_3genE5ELNS1_11target_archE942ELNS1_3gpuE9ELNS1_3repE0EEENS1_30default_config_static_selectorELNS0_4arch9wavefront6targetE1EEEvSY_: ; @_ZN7rocprim17ROCPRIM_400000_NS6detail17trampoline_kernelINS0_13select_configILj256ELj13ELNS0_17block_load_methodE3ELS4_3ELS4_3ELNS0_20block_scan_algorithmE0ELj4294967295EEENS1_25partition_config_selectorILNS1_17partition_subalgoE3EjNS0_10empty_typeEbEEZZNS1_14partition_implILS8_3ELb0ES6_jNS0_17counting_iteratorIjlEEPS9_SE_NS0_5tupleIJPjSE_EEENSF_IJSE_SE_EEES9_SG_JZNS1_25segmented_radix_sort_implINS0_14default_configELb1EPKiPiPKlPlN2at6native12_GLOBAL__N_18offset_tEEE10hipError_tPvRmT1_PNSt15iterator_traitsISY_E10value_typeET2_T3_PNSZ_IS14_E10value_typeET4_jRbjT5_S1A_jjP12ihipStream_tbEUljE_EEESV_SW_SX_S14_S18_S1A_T6_T7_T9_mT8_S1C_bDpT10_ENKUlT_T0_E_clISt17integral_constantIbLb1EES1O_IbLb0EEEEDaS1K_S1L_EUlS1K_E_NS1_11comp_targetILNS1_3genE5ELNS1_11target_archE942ELNS1_3gpuE9ELNS1_3repE0EEENS1_30default_config_static_selectorELNS0_4arch9wavefront6targetE1EEEvSY_
; %bb.0:
	.section	.rodata,"a",@progbits
	.p2align	6, 0x0
	.amdhsa_kernel _ZN7rocprim17ROCPRIM_400000_NS6detail17trampoline_kernelINS0_13select_configILj256ELj13ELNS0_17block_load_methodE3ELS4_3ELS4_3ELNS0_20block_scan_algorithmE0ELj4294967295EEENS1_25partition_config_selectorILNS1_17partition_subalgoE3EjNS0_10empty_typeEbEEZZNS1_14partition_implILS8_3ELb0ES6_jNS0_17counting_iteratorIjlEEPS9_SE_NS0_5tupleIJPjSE_EEENSF_IJSE_SE_EEES9_SG_JZNS1_25segmented_radix_sort_implINS0_14default_configELb1EPKiPiPKlPlN2at6native12_GLOBAL__N_18offset_tEEE10hipError_tPvRmT1_PNSt15iterator_traitsISY_E10value_typeET2_T3_PNSZ_IS14_E10value_typeET4_jRbjT5_S1A_jjP12ihipStream_tbEUljE_EEESV_SW_SX_S14_S18_S1A_T6_T7_T9_mT8_S1C_bDpT10_ENKUlT_T0_E_clISt17integral_constantIbLb1EES1O_IbLb0EEEEDaS1K_S1L_EUlS1K_E_NS1_11comp_targetILNS1_3genE5ELNS1_11target_archE942ELNS1_3gpuE9ELNS1_3repE0EEENS1_30default_config_static_selectorELNS0_4arch9wavefront6targetE1EEEvSY_
		.amdhsa_group_segment_fixed_size 0
		.amdhsa_private_segment_fixed_size 0
		.amdhsa_kernarg_size 144
		.amdhsa_user_sgpr_count 6
		.amdhsa_user_sgpr_private_segment_buffer 1
		.amdhsa_user_sgpr_dispatch_ptr 0
		.amdhsa_user_sgpr_queue_ptr 0
		.amdhsa_user_sgpr_kernarg_segment_ptr 1
		.amdhsa_user_sgpr_dispatch_id 0
		.amdhsa_user_sgpr_flat_scratch_init 0
		.amdhsa_user_sgpr_kernarg_preload_length 0
		.amdhsa_user_sgpr_kernarg_preload_offset 0
		.amdhsa_user_sgpr_private_segment_size 0
		.amdhsa_uses_dynamic_stack 0
		.amdhsa_system_sgpr_private_segment_wavefront_offset 0
		.amdhsa_system_sgpr_workgroup_id_x 1
		.amdhsa_system_sgpr_workgroup_id_y 0
		.amdhsa_system_sgpr_workgroup_id_z 0
		.amdhsa_system_sgpr_workgroup_info 0
		.amdhsa_system_vgpr_workitem_id 0
		.amdhsa_next_free_vgpr 1
		.amdhsa_next_free_sgpr 0
		.amdhsa_accum_offset 4
		.amdhsa_reserve_vcc 0
		.amdhsa_reserve_flat_scratch 0
		.amdhsa_float_round_mode_32 0
		.amdhsa_float_round_mode_16_64 0
		.amdhsa_float_denorm_mode_32 3
		.amdhsa_float_denorm_mode_16_64 3
		.amdhsa_dx10_clamp 1
		.amdhsa_ieee_mode 1
		.amdhsa_fp16_overflow 0
		.amdhsa_tg_split 0
		.amdhsa_exception_fp_ieee_invalid_op 0
		.amdhsa_exception_fp_denorm_src 0
		.amdhsa_exception_fp_ieee_div_zero 0
		.amdhsa_exception_fp_ieee_overflow 0
		.amdhsa_exception_fp_ieee_underflow 0
		.amdhsa_exception_fp_ieee_inexact 0
		.amdhsa_exception_int_div_zero 0
	.end_amdhsa_kernel
	.section	.text._ZN7rocprim17ROCPRIM_400000_NS6detail17trampoline_kernelINS0_13select_configILj256ELj13ELNS0_17block_load_methodE3ELS4_3ELS4_3ELNS0_20block_scan_algorithmE0ELj4294967295EEENS1_25partition_config_selectorILNS1_17partition_subalgoE3EjNS0_10empty_typeEbEEZZNS1_14partition_implILS8_3ELb0ES6_jNS0_17counting_iteratorIjlEEPS9_SE_NS0_5tupleIJPjSE_EEENSF_IJSE_SE_EEES9_SG_JZNS1_25segmented_radix_sort_implINS0_14default_configELb1EPKiPiPKlPlN2at6native12_GLOBAL__N_18offset_tEEE10hipError_tPvRmT1_PNSt15iterator_traitsISY_E10value_typeET2_T3_PNSZ_IS14_E10value_typeET4_jRbjT5_S1A_jjP12ihipStream_tbEUljE_EEESV_SW_SX_S14_S18_S1A_T6_T7_T9_mT8_S1C_bDpT10_ENKUlT_T0_E_clISt17integral_constantIbLb1EES1O_IbLb0EEEEDaS1K_S1L_EUlS1K_E_NS1_11comp_targetILNS1_3genE5ELNS1_11target_archE942ELNS1_3gpuE9ELNS1_3repE0EEENS1_30default_config_static_selectorELNS0_4arch9wavefront6targetE1EEEvSY_,"axG",@progbits,_ZN7rocprim17ROCPRIM_400000_NS6detail17trampoline_kernelINS0_13select_configILj256ELj13ELNS0_17block_load_methodE3ELS4_3ELS4_3ELNS0_20block_scan_algorithmE0ELj4294967295EEENS1_25partition_config_selectorILNS1_17partition_subalgoE3EjNS0_10empty_typeEbEEZZNS1_14partition_implILS8_3ELb0ES6_jNS0_17counting_iteratorIjlEEPS9_SE_NS0_5tupleIJPjSE_EEENSF_IJSE_SE_EEES9_SG_JZNS1_25segmented_radix_sort_implINS0_14default_configELb1EPKiPiPKlPlN2at6native12_GLOBAL__N_18offset_tEEE10hipError_tPvRmT1_PNSt15iterator_traitsISY_E10value_typeET2_T3_PNSZ_IS14_E10value_typeET4_jRbjT5_S1A_jjP12ihipStream_tbEUljE_EEESV_SW_SX_S14_S18_S1A_T6_T7_T9_mT8_S1C_bDpT10_ENKUlT_T0_E_clISt17integral_constantIbLb1EES1O_IbLb0EEEEDaS1K_S1L_EUlS1K_E_NS1_11comp_targetILNS1_3genE5ELNS1_11target_archE942ELNS1_3gpuE9ELNS1_3repE0EEENS1_30default_config_static_selectorELNS0_4arch9wavefront6targetE1EEEvSY_,comdat
.Lfunc_end482:
	.size	_ZN7rocprim17ROCPRIM_400000_NS6detail17trampoline_kernelINS0_13select_configILj256ELj13ELNS0_17block_load_methodE3ELS4_3ELS4_3ELNS0_20block_scan_algorithmE0ELj4294967295EEENS1_25partition_config_selectorILNS1_17partition_subalgoE3EjNS0_10empty_typeEbEEZZNS1_14partition_implILS8_3ELb0ES6_jNS0_17counting_iteratorIjlEEPS9_SE_NS0_5tupleIJPjSE_EEENSF_IJSE_SE_EEES9_SG_JZNS1_25segmented_radix_sort_implINS0_14default_configELb1EPKiPiPKlPlN2at6native12_GLOBAL__N_18offset_tEEE10hipError_tPvRmT1_PNSt15iterator_traitsISY_E10value_typeET2_T3_PNSZ_IS14_E10value_typeET4_jRbjT5_S1A_jjP12ihipStream_tbEUljE_EEESV_SW_SX_S14_S18_S1A_T6_T7_T9_mT8_S1C_bDpT10_ENKUlT_T0_E_clISt17integral_constantIbLb1EES1O_IbLb0EEEEDaS1K_S1L_EUlS1K_E_NS1_11comp_targetILNS1_3genE5ELNS1_11target_archE942ELNS1_3gpuE9ELNS1_3repE0EEENS1_30default_config_static_selectorELNS0_4arch9wavefront6targetE1EEEvSY_, .Lfunc_end482-_ZN7rocprim17ROCPRIM_400000_NS6detail17trampoline_kernelINS0_13select_configILj256ELj13ELNS0_17block_load_methodE3ELS4_3ELS4_3ELNS0_20block_scan_algorithmE0ELj4294967295EEENS1_25partition_config_selectorILNS1_17partition_subalgoE3EjNS0_10empty_typeEbEEZZNS1_14partition_implILS8_3ELb0ES6_jNS0_17counting_iteratorIjlEEPS9_SE_NS0_5tupleIJPjSE_EEENSF_IJSE_SE_EEES9_SG_JZNS1_25segmented_radix_sort_implINS0_14default_configELb1EPKiPiPKlPlN2at6native12_GLOBAL__N_18offset_tEEE10hipError_tPvRmT1_PNSt15iterator_traitsISY_E10value_typeET2_T3_PNSZ_IS14_E10value_typeET4_jRbjT5_S1A_jjP12ihipStream_tbEUljE_EEESV_SW_SX_S14_S18_S1A_T6_T7_T9_mT8_S1C_bDpT10_ENKUlT_T0_E_clISt17integral_constantIbLb1EES1O_IbLb0EEEEDaS1K_S1L_EUlS1K_E_NS1_11comp_targetILNS1_3genE5ELNS1_11target_archE942ELNS1_3gpuE9ELNS1_3repE0EEENS1_30default_config_static_selectorELNS0_4arch9wavefront6targetE1EEEvSY_
                                        ; -- End function
	.section	.AMDGPU.csdata,"",@progbits
; Kernel info:
; codeLenInByte = 0
; NumSgprs: 4
; NumVgprs: 0
; NumAgprs: 0
; TotalNumVgprs: 0
; ScratchSize: 0
; MemoryBound: 0
; FloatMode: 240
; IeeeMode: 1
; LDSByteSize: 0 bytes/workgroup (compile time only)
; SGPRBlocks: 0
; VGPRBlocks: 0
; NumSGPRsForWavesPerEU: 4
; NumVGPRsForWavesPerEU: 1
; AccumOffset: 4
; Occupancy: 8
; WaveLimiterHint : 0
; COMPUTE_PGM_RSRC2:SCRATCH_EN: 0
; COMPUTE_PGM_RSRC2:USER_SGPR: 6
; COMPUTE_PGM_RSRC2:TRAP_HANDLER: 0
; COMPUTE_PGM_RSRC2:TGID_X_EN: 1
; COMPUTE_PGM_RSRC2:TGID_Y_EN: 0
; COMPUTE_PGM_RSRC2:TGID_Z_EN: 0
; COMPUTE_PGM_RSRC2:TIDIG_COMP_CNT: 0
; COMPUTE_PGM_RSRC3_GFX90A:ACCUM_OFFSET: 0
; COMPUTE_PGM_RSRC3_GFX90A:TG_SPLIT: 0
	.section	.text._ZN7rocprim17ROCPRIM_400000_NS6detail17trampoline_kernelINS0_13select_configILj256ELj13ELNS0_17block_load_methodE3ELS4_3ELS4_3ELNS0_20block_scan_algorithmE0ELj4294967295EEENS1_25partition_config_selectorILNS1_17partition_subalgoE3EjNS0_10empty_typeEbEEZZNS1_14partition_implILS8_3ELb0ES6_jNS0_17counting_iteratorIjlEEPS9_SE_NS0_5tupleIJPjSE_EEENSF_IJSE_SE_EEES9_SG_JZNS1_25segmented_radix_sort_implINS0_14default_configELb1EPKiPiPKlPlN2at6native12_GLOBAL__N_18offset_tEEE10hipError_tPvRmT1_PNSt15iterator_traitsISY_E10value_typeET2_T3_PNSZ_IS14_E10value_typeET4_jRbjT5_S1A_jjP12ihipStream_tbEUljE_EEESV_SW_SX_S14_S18_S1A_T6_T7_T9_mT8_S1C_bDpT10_ENKUlT_T0_E_clISt17integral_constantIbLb1EES1O_IbLb0EEEEDaS1K_S1L_EUlS1K_E_NS1_11comp_targetILNS1_3genE4ELNS1_11target_archE910ELNS1_3gpuE8ELNS1_3repE0EEENS1_30default_config_static_selectorELNS0_4arch9wavefront6targetE1EEEvSY_,"axG",@progbits,_ZN7rocprim17ROCPRIM_400000_NS6detail17trampoline_kernelINS0_13select_configILj256ELj13ELNS0_17block_load_methodE3ELS4_3ELS4_3ELNS0_20block_scan_algorithmE0ELj4294967295EEENS1_25partition_config_selectorILNS1_17partition_subalgoE3EjNS0_10empty_typeEbEEZZNS1_14partition_implILS8_3ELb0ES6_jNS0_17counting_iteratorIjlEEPS9_SE_NS0_5tupleIJPjSE_EEENSF_IJSE_SE_EEES9_SG_JZNS1_25segmented_radix_sort_implINS0_14default_configELb1EPKiPiPKlPlN2at6native12_GLOBAL__N_18offset_tEEE10hipError_tPvRmT1_PNSt15iterator_traitsISY_E10value_typeET2_T3_PNSZ_IS14_E10value_typeET4_jRbjT5_S1A_jjP12ihipStream_tbEUljE_EEESV_SW_SX_S14_S18_S1A_T6_T7_T9_mT8_S1C_bDpT10_ENKUlT_T0_E_clISt17integral_constantIbLb1EES1O_IbLb0EEEEDaS1K_S1L_EUlS1K_E_NS1_11comp_targetILNS1_3genE4ELNS1_11target_archE910ELNS1_3gpuE8ELNS1_3repE0EEENS1_30default_config_static_selectorELNS0_4arch9wavefront6targetE1EEEvSY_,comdat
	.globl	_ZN7rocprim17ROCPRIM_400000_NS6detail17trampoline_kernelINS0_13select_configILj256ELj13ELNS0_17block_load_methodE3ELS4_3ELS4_3ELNS0_20block_scan_algorithmE0ELj4294967295EEENS1_25partition_config_selectorILNS1_17partition_subalgoE3EjNS0_10empty_typeEbEEZZNS1_14partition_implILS8_3ELb0ES6_jNS0_17counting_iteratorIjlEEPS9_SE_NS0_5tupleIJPjSE_EEENSF_IJSE_SE_EEES9_SG_JZNS1_25segmented_radix_sort_implINS0_14default_configELb1EPKiPiPKlPlN2at6native12_GLOBAL__N_18offset_tEEE10hipError_tPvRmT1_PNSt15iterator_traitsISY_E10value_typeET2_T3_PNSZ_IS14_E10value_typeET4_jRbjT5_S1A_jjP12ihipStream_tbEUljE_EEESV_SW_SX_S14_S18_S1A_T6_T7_T9_mT8_S1C_bDpT10_ENKUlT_T0_E_clISt17integral_constantIbLb1EES1O_IbLb0EEEEDaS1K_S1L_EUlS1K_E_NS1_11comp_targetILNS1_3genE4ELNS1_11target_archE910ELNS1_3gpuE8ELNS1_3repE0EEENS1_30default_config_static_selectorELNS0_4arch9wavefront6targetE1EEEvSY_ ; -- Begin function _ZN7rocprim17ROCPRIM_400000_NS6detail17trampoline_kernelINS0_13select_configILj256ELj13ELNS0_17block_load_methodE3ELS4_3ELS4_3ELNS0_20block_scan_algorithmE0ELj4294967295EEENS1_25partition_config_selectorILNS1_17partition_subalgoE3EjNS0_10empty_typeEbEEZZNS1_14partition_implILS8_3ELb0ES6_jNS0_17counting_iteratorIjlEEPS9_SE_NS0_5tupleIJPjSE_EEENSF_IJSE_SE_EEES9_SG_JZNS1_25segmented_radix_sort_implINS0_14default_configELb1EPKiPiPKlPlN2at6native12_GLOBAL__N_18offset_tEEE10hipError_tPvRmT1_PNSt15iterator_traitsISY_E10value_typeET2_T3_PNSZ_IS14_E10value_typeET4_jRbjT5_S1A_jjP12ihipStream_tbEUljE_EEESV_SW_SX_S14_S18_S1A_T6_T7_T9_mT8_S1C_bDpT10_ENKUlT_T0_E_clISt17integral_constantIbLb1EES1O_IbLb0EEEEDaS1K_S1L_EUlS1K_E_NS1_11comp_targetILNS1_3genE4ELNS1_11target_archE910ELNS1_3gpuE8ELNS1_3repE0EEENS1_30default_config_static_selectorELNS0_4arch9wavefront6targetE1EEEvSY_
	.p2align	8
	.type	_ZN7rocprim17ROCPRIM_400000_NS6detail17trampoline_kernelINS0_13select_configILj256ELj13ELNS0_17block_load_methodE3ELS4_3ELS4_3ELNS0_20block_scan_algorithmE0ELj4294967295EEENS1_25partition_config_selectorILNS1_17partition_subalgoE3EjNS0_10empty_typeEbEEZZNS1_14partition_implILS8_3ELb0ES6_jNS0_17counting_iteratorIjlEEPS9_SE_NS0_5tupleIJPjSE_EEENSF_IJSE_SE_EEES9_SG_JZNS1_25segmented_radix_sort_implINS0_14default_configELb1EPKiPiPKlPlN2at6native12_GLOBAL__N_18offset_tEEE10hipError_tPvRmT1_PNSt15iterator_traitsISY_E10value_typeET2_T3_PNSZ_IS14_E10value_typeET4_jRbjT5_S1A_jjP12ihipStream_tbEUljE_EEESV_SW_SX_S14_S18_S1A_T6_T7_T9_mT8_S1C_bDpT10_ENKUlT_T0_E_clISt17integral_constantIbLb1EES1O_IbLb0EEEEDaS1K_S1L_EUlS1K_E_NS1_11comp_targetILNS1_3genE4ELNS1_11target_archE910ELNS1_3gpuE8ELNS1_3repE0EEENS1_30default_config_static_selectorELNS0_4arch9wavefront6targetE1EEEvSY_,@function
_ZN7rocprim17ROCPRIM_400000_NS6detail17trampoline_kernelINS0_13select_configILj256ELj13ELNS0_17block_load_methodE3ELS4_3ELS4_3ELNS0_20block_scan_algorithmE0ELj4294967295EEENS1_25partition_config_selectorILNS1_17partition_subalgoE3EjNS0_10empty_typeEbEEZZNS1_14partition_implILS8_3ELb0ES6_jNS0_17counting_iteratorIjlEEPS9_SE_NS0_5tupleIJPjSE_EEENSF_IJSE_SE_EEES9_SG_JZNS1_25segmented_radix_sort_implINS0_14default_configELb1EPKiPiPKlPlN2at6native12_GLOBAL__N_18offset_tEEE10hipError_tPvRmT1_PNSt15iterator_traitsISY_E10value_typeET2_T3_PNSZ_IS14_E10value_typeET4_jRbjT5_S1A_jjP12ihipStream_tbEUljE_EEESV_SW_SX_S14_S18_S1A_T6_T7_T9_mT8_S1C_bDpT10_ENKUlT_T0_E_clISt17integral_constantIbLb1EES1O_IbLb0EEEEDaS1K_S1L_EUlS1K_E_NS1_11comp_targetILNS1_3genE4ELNS1_11target_archE910ELNS1_3gpuE8ELNS1_3repE0EEENS1_30default_config_static_selectorELNS0_4arch9wavefront6targetE1EEEvSY_: ; @_ZN7rocprim17ROCPRIM_400000_NS6detail17trampoline_kernelINS0_13select_configILj256ELj13ELNS0_17block_load_methodE3ELS4_3ELS4_3ELNS0_20block_scan_algorithmE0ELj4294967295EEENS1_25partition_config_selectorILNS1_17partition_subalgoE3EjNS0_10empty_typeEbEEZZNS1_14partition_implILS8_3ELb0ES6_jNS0_17counting_iteratorIjlEEPS9_SE_NS0_5tupleIJPjSE_EEENSF_IJSE_SE_EEES9_SG_JZNS1_25segmented_radix_sort_implINS0_14default_configELb1EPKiPiPKlPlN2at6native12_GLOBAL__N_18offset_tEEE10hipError_tPvRmT1_PNSt15iterator_traitsISY_E10value_typeET2_T3_PNSZ_IS14_E10value_typeET4_jRbjT5_S1A_jjP12ihipStream_tbEUljE_EEESV_SW_SX_S14_S18_S1A_T6_T7_T9_mT8_S1C_bDpT10_ENKUlT_T0_E_clISt17integral_constantIbLb1EES1O_IbLb0EEEEDaS1K_S1L_EUlS1K_E_NS1_11comp_targetILNS1_3genE4ELNS1_11target_archE910ELNS1_3gpuE8ELNS1_3repE0EEENS1_30default_config_static_selectorELNS0_4arch9wavefront6targetE1EEEvSY_
; %bb.0:
	s_load_dwordx2 s[26:27], s[4:5], 0x58
	s_load_dwordx4 s[20:23], s[4:5], 0x48
	s_load_dword s13, s[4:5], 0x8
	s_load_dwordx2 s[28:29], s[4:5], 0x10
	s_load_dword s12, s[4:5], 0x70
	s_load_dword s7, s[4:5], 0x88
	s_load_dwordx4 s[8:11], s[4:5], 0x78
	s_waitcnt lgkmcnt(0)
	s_load_dwordx2 s[30:31], s[22:23], 0x0
	v_pk_mov_b32 v[2:3], s[26:27], s[26:27] op_sel:[0,1]
	s_add_i32 s2, s12, -1
	s_mulk_i32 s12, 0xd00
	s_add_u32 s0, s28, s12
	s_addc_u32 s1, s29, 0
	s_cmp_eq_u32 s6, s2
	s_cselect_b64 s[22:23], -1, 0
	s_cmp_lg_u32 s6, s2
	s_mul_i32 s42, s6, 0xd00
	v_cmp_lt_u64_e32 vcc, s[0:1], v[2:3]
	s_cselect_b64 s[0:1], -1, 0
	s_or_b64 s[2:3], s[0:1], vcc
	s_add_i32 s0, s13, s42
	s_add_i32 s0, s0, s28
	v_add_u32_e32 v2, s0, v0
	s_mov_b64 s[0:1], -1
	s_and_b64 vcc, exec, s[2:3]
	v_lshlrev_b32_e32 v1, 2, v0
	s_cbranch_vccz .LBB483_2
; %bb.1:
	v_add_u32_e32 v3, 0x100, v2
	v_add_u32_e32 v4, 0x200, v2
	;; [unrolled: 1-line block ×12, first 2 shown]
	ds_write2st64_b32 v1, v2, v3 offset1:4
	ds_write2st64_b32 v1, v4, v5 offset0:8 offset1:12
	ds_write2st64_b32 v1, v6, v7 offset0:16 offset1:20
	;; [unrolled: 1-line block ×5, first 2 shown]
	ds_write_b32 v1, v14 offset:12288
	s_waitcnt lgkmcnt(0)
	s_barrier
	s_mov_b64 s[0:1], 0
.LBB483_2:
	s_andn2_b64 vcc, exec, s[0:1]
	s_add_i32 s12, s12, s28
	s_cbranch_vccnz .LBB483_4
; %bb.3:
	v_add_u32_e32 v3, 0x100, v2
	v_add_u32_e32 v4, 0x200, v2
	;; [unrolled: 1-line block ×12, first 2 shown]
	ds_write2st64_b32 v1, v2, v3 offset1:4
	ds_write2st64_b32 v1, v4, v5 offset0:8 offset1:12
	ds_write2st64_b32 v1, v6, v7 offset0:16 offset1:20
	ds_write2st64_b32 v1, v8, v9 offset0:24 offset1:28
	ds_write2st64_b32 v1, v10, v11 offset0:32 offset1:36
	ds_write2st64_b32 v1, v12, v13 offset0:40 offset1:44
	ds_write_b32 v1, v14 offset:12288
	s_waitcnt lgkmcnt(0)
	s_barrier
.LBB483_4:
	v_mul_u32_u24_e32 v33, 13, v0
	v_lshlrev_b32_e32 v2, 2, v33
	s_waitcnt lgkmcnt(0)
	ds_read2_b32 v[30:31], v2 offset1:1
	ds_read2_b32 v[28:29], v2 offset0:2 offset1:3
	ds_read2_b32 v[26:27], v2 offset0:4 offset1:5
	;; [unrolled: 1-line block ×5, first 2 shown]
	ds_read_b32 v32, v2 offset:48
	v_cndmask_b32_e64 v2, 0, 1, s[2:3]
	s_sub_i32 s33, s26, s12
	v_cmp_ne_u32_e64 s[0:1], 1, v2
	s_andn2_b64 vcc, exec, s[2:3]
	s_waitcnt lgkmcnt(0)
	s_barrier
	s_cbranch_vccnz .LBB483_6
; %bb.5:
	v_add_u32_e32 v2, s9, v30
	v_add_u32_e32 v3, s11, v30
	v_mul_lo_u32 v2, v2, s8
	v_mul_lo_u32 v3, v3, s10
	v_sub_u32_e32 v2, v2, v3
	v_add_u32_e32 v3, s9, v31
	v_add_u32_e32 v4, s11, v31
	v_mul_lo_u32 v3, v3, s8
	v_mul_lo_u32 v4, v4, s10
	v_sub_u32_e32 v3, v3, v4
	;; [unrolled: 5-line block ×6, first 2 shown]
	v_add_u32_e32 v8, s9, v24
	v_add_u32_e32 v9, s11, v24
	v_mul_lo_u32 v8, v8, s8
	v_mul_lo_u32 v9, v9, s10
	v_cmp_lt_u32_e32 vcc, s7, v2
	v_sub_u32_e32 v8, v8, v9
	v_add_u32_e32 v9, s9, v25
	v_add_u32_e32 v10, s11, v25
	v_cndmask_b32_e64 v2, 0, 1, vcc
	v_cmp_lt_u32_e32 vcc, s7, v3
	v_mul_lo_u32 v9, v9, s8
	v_mul_lo_u32 v10, v10, s10
	v_cndmask_b32_e64 v3, 0, 1, vcc
	v_cmp_lt_u32_e32 vcc, s7, v4
	v_sub_u32_e32 v9, v9, v10
	v_add_u32_e32 v10, s9, v22
	v_add_u32_e32 v11, s11, v22
	v_cndmask_b32_e64 v4, 0, 1, vcc
	v_cmp_lt_u32_e32 vcc, s7, v5
	v_mul_lo_u32 v10, v10, s8
	v_mul_lo_u32 v11, v11, s10
	v_cndmask_b32_e64 v5, 0, 1, vcc
	;; [unrolled: 9-line block ×4, first 2 shown]
	v_cmp_lt_u32_e32 vcc, s7, v10
	v_sub_u32_e32 v12, v12, v13
	v_add_u32_e32 v13, s9, v21
	v_add_u32_e32 v14, s11, v21
	v_lshlrev_b16_e32 v3, 8, v3
	v_cndmask_b32_e64 v10, 0, 1, vcc
	v_cmp_lt_u32_e32 vcc, s7, v11
	v_mul_lo_u32 v13, v13, s8
	v_mul_lo_u32 v14, v14, s10
	v_or_b32_e32 v2, v2, v3
	v_lshlrev_b16_e32 v3, 8, v5
	v_cndmask_b32_e64 v11, 0, 1, vcc
	v_cmp_lt_u32_e32 vcc, s7, v12
	v_sub_u32_e32 v13, v13, v14
	v_or_b32_sdwa v3, v4, v3 dst_sel:WORD_1 dst_unused:UNUSED_PAD src0_sel:DWORD src1_sel:DWORD
	v_cndmask_b32_e64 v12, 0, 1, vcc
	v_cmp_lt_u32_e32 vcc, s7, v13
	v_add_u32_e32 v14, s9, v32
	v_add_u32_e32 v15, s11, v32
	v_or_b32_sdwa v37, v2, v3 dst_sel:DWORD dst_unused:UNUSED_PAD src0_sel:WORD_0 src1_sel:DWORD
	v_lshlrev_b16_e32 v2, 8, v7
	v_lshlrev_b16_e32 v3, 8, v9
	v_cndmask_b32_e64 v13, 0, 1, vcc
	v_mul_lo_u32 v14, v14, s8
	v_mul_lo_u32 v15, v15, s10
	v_or_b32_e32 v2, v6, v2
	v_or_b32_sdwa v3, v8, v3 dst_sel:WORD_1 dst_unused:UNUSED_PAD src0_sel:DWORD src1_sel:DWORD
	v_sub_u32_e32 v14, v14, v15
	v_or_b32_sdwa v36, v2, v3 dst_sel:DWORD dst_unused:UNUSED_PAD src0_sel:WORD_0 src1_sel:DWORD
	v_lshlrev_b16_e32 v2, 8, v11
	v_lshlrev_b16_e32 v3, 8, v13
	v_cmp_lt_u32_e32 vcc, s7, v14
	v_or_b32_e32 v2, v10, v2
	v_or_b32_sdwa v3, v12, v3 dst_sel:WORD_1 dst_unused:UNUSED_PAD src0_sel:DWORD src1_sel:DWORD
	v_cndmask_b32_e64 v34, 0, 1, vcc
	v_or_b32_sdwa v35, v2, v3 dst_sel:DWORD dst_unused:UNUSED_PAD src0_sel:WORD_0 src1_sel:DWORD
	s_mov_b64 s[2:3], 0
	s_branch .LBB483_7
.LBB483_6:
	s_mov_b64 s[2:3], -1
                                        ; implicit-def: $vgpr34
                                        ; implicit-def: $vgpr35
                                        ; implicit-def: $vgpr36
                                        ; implicit-def: $vgpr37
.LBB483_7:
	s_load_dwordx2 s[24:25], s[4:5], 0x28
	s_load_dwordx2 s[34:35], s[4:5], 0x68
	s_andn2_b64 vcc, exec, s[2:3]
	s_addk_i32 s33, 0xd00
	s_cbranch_vccnz .LBB483_35
; %bb.8:
	v_cmp_gt_u32_e32 vcc, s33, v33
	v_mov_b32_e32 v3, 0
	v_mov_b32_e32 v2, 0
	s_and_saveexec_b64 s[2:3], vcc
; %bb.9:
	v_add_u32_e32 v2, s9, v30
	v_add_u32_e32 v4, s11, v30
	v_mul_lo_u32 v2, v2, s8
	v_mul_lo_u32 v4, v4, s10
	v_sub_u32_e32 v2, v2, v4
	v_cmp_lt_u32_e32 vcc, s7, v2
	v_cndmask_b32_e64 v2, 0, 1, vcc
; %bb.10:
	s_or_b64 exec, exec, s[2:3]
	v_add_u32_e32 v4, 1, v33
	v_cmp_gt_u32_e32 vcc, s33, v4
	s_and_saveexec_b64 s[2:3], vcc
; %bb.11:
	v_add_u32_e32 v3, s9, v31
	v_add_u32_e32 v4, s11, v31
	v_mul_lo_u32 v3, v3, s8
	v_mul_lo_u32 v4, v4, s10
	v_sub_u32_e32 v3, v3, v4
	v_cmp_lt_u32_e32 vcc, s7, v3
	v_cndmask_b32_e64 v3, 0, 1, vcc
; %bb.12:
	s_or_b64 exec, exec, s[2:3]
	v_add_u32_e32 v4, 2, v33
	v_cmp_gt_u32_e32 vcc, s33, v4
	v_mov_b32_e32 v5, 0
	v_mov_b32_e32 v4, 0
	s_and_saveexec_b64 s[2:3], vcc
; %bb.13:
	v_add_u32_e32 v4, s9, v28
	v_add_u32_e32 v6, s11, v28
	v_mul_lo_u32 v4, v4, s8
	v_mul_lo_u32 v6, v6, s10
	v_sub_u32_e32 v4, v4, v6
	v_cmp_lt_u32_e32 vcc, s7, v4
	v_cndmask_b32_e64 v4, 0, 1, vcc
; %bb.14:
	s_or_b64 exec, exec, s[2:3]
	v_add_u32_e32 v6, 3, v33
	v_cmp_gt_u32_e32 vcc, s33, v6
	s_and_saveexec_b64 s[2:3], vcc
; %bb.15:
	v_add_u32_e32 v5, s9, v29
	v_add_u32_e32 v6, s11, v29
	v_mul_lo_u32 v5, v5, s8
	v_mul_lo_u32 v6, v6, s10
	v_sub_u32_e32 v5, v5, v6
	v_cmp_lt_u32_e32 vcc, s7, v5
	v_cndmask_b32_e64 v5, 0, 1, vcc
; %bb.16:
	s_or_b64 exec, exec, s[2:3]
	v_add_u32_e32 v6, 4, v33
	;; [unrolled: 28-line block ×6, first 2 shown]
	v_cmp_gt_u32_e32 vcc, s33, v14
	v_mov_b32_e32 v34, 0
	s_and_saveexec_b64 s[2:3], vcc
; %bb.33:
	v_add_u32_e32 v14, s9, v32
	v_add_u32_e32 v15, s11, v32
	v_mul_lo_u32 v14, v14, s8
	v_mul_lo_u32 v15, v15, s10
	v_sub_u32_e32 v14, v14, v15
	v_cmp_lt_u32_e32 vcc, s7, v14
	v_cndmask_b32_e64 v34, 0, 1, vcc
; %bb.34:
	s_or_b64 exec, exec, s[2:3]
	v_lshlrev_b16_e32 v3, 8, v3
	v_or_b32_e32 v2, v2, v3
	v_lshlrev_b16_e32 v3, 8, v5
	v_or_b32_sdwa v3, v4, v3 dst_sel:WORD_1 dst_unused:UNUSED_PAD src0_sel:DWORD src1_sel:DWORD
	v_or_b32_sdwa v37, v2, v3 dst_sel:DWORD dst_unused:UNUSED_PAD src0_sel:WORD_0 src1_sel:DWORD
	v_lshlrev_b16_e32 v2, 8, v7
	v_lshlrev_b16_e32 v3, 8, v9
	v_or_b32_e32 v2, v6, v2
	v_or_b32_sdwa v3, v8, v3 dst_sel:WORD_1 dst_unused:UNUSED_PAD src0_sel:DWORD src1_sel:DWORD
	v_or_b32_sdwa v36, v2, v3 dst_sel:DWORD dst_unused:UNUSED_PAD src0_sel:WORD_0 src1_sel:DWORD
	v_lshlrev_b16_e32 v2, 8, v11
	v_lshlrev_b16_e32 v3, 8, v13
	v_or_b32_e32 v2, v10, v2
	v_or_b32_sdwa v3, v12, v3 dst_sel:WORD_1 dst_unused:UNUSED_PAD src0_sel:DWORD src1_sel:DWORD
	v_or_b32_sdwa v35, v2, v3 dst_sel:DWORD dst_unused:UNUSED_PAD src0_sel:WORD_0 src1_sel:DWORD
.LBB483_35:
	v_and_b32_e32 v41, 0xff, v37
	v_bfe_u32 v42, v37, 8, 8
	v_bfe_u32 v43, v37, 16, 8
	v_lshrrev_b32_e32 v40, 24, v37
	v_and_b32_e32 v44, 0xff, v36
	v_add3_u32 v3, v42, v41, v43
	v_bfe_u32 v45, v36, 8, 8
	v_bfe_u32 v46, v36, 16, 8
	v_add3_u32 v3, v3, v40, v44
	v_lshrrev_b32_e32 v39, 24, v36
	v_and_b32_e32 v47, 0xff, v35
	v_add3_u32 v3, v3, v45, v46
	v_bfe_u32 v48, v35, 8, 8
	v_bfe_u32 v49, v35, 16, 8
	v_add3_u32 v3, v3, v39, v47
	v_lshrrev_b32_e32 v38, 24, v35
	v_and_b32_e32 v2, 0xff, v34
	v_add3_u32 v3, v3, v48, v49
	v_add3_u32 v52, v3, v38, v2
	v_mbcnt_lo_u32_b32 v2, -1, 0
	v_mbcnt_hi_u32_b32 v50, -1, v2
	v_and_b32_e32 v2, 15, v50
	v_cmp_eq_u32_e64 s[14:15], 0, v2
	v_cmp_lt_u32_e64 s[12:13], 1, v2
	v_cmp_lt_u32_e64 s[10:11], 3, v2
	;; [unrolled: 1-line block ×3, first 2 shown]
	v_and_b32_e32 v2, 16, v50
	v_cmp_eq_u32_e64 s[18:19], 0, v2
	v_or_b32_e32 v2, 63, v0
	s_cmp_lg_u32 s6, 0
	v_cmp_lt_u32_e64 s[2:3], 31, v50
	v_lshrrev_b32_e32 v51, 6, v0
	v_cmp_eq_u32_e64 s[4:5], v2, v0
	s_cbranch_scc0 .LBB483_66
; %bb.36:
	v_mov_b32_dpp v2, v52 row_shr:1 row_mask:0xf bank_mask:0xf
	v_cndmask_b32_e64 v2, v2, 0, s[14:15]
	v_add_u32_e32 v2, v2, v52
	s_nop 1
	v_mov_b32_dpp v3, v2 row_shr:2 row_mask:0xf bank_mask:0xf
	v_cndmask_b32_e64 v3, 0, v3, s[12:13]
	v_add_u32_e32 v2, v2, v3
	s_nop 1
	;; [unrolled: 4-line block ×4, first 2 shown]
	v_mov_b32_dpp v3, v2 row_bcast:15 row_mask:0xf bank_mask:0xf
	v_cndmask_b32_e64 v3, v3, 0, s[18:19]
	v_add_u32_e32 v2, v2, v3
	s_nop 1
	v_mov_b32_dpp v3, v2 row_bcast:31 row_mask:0xf bank_mask:0xf
	v_cndmask_b32_e64 v3, 0, v3, s[2:3]
	v_add_u32_e32 v2, v2, v3
	s_and_saveexec_b64 s[16:17], s[4:5]
	s_cbranch_execz .LBB483_38
; %bb.37:
	v_lshlrev_b32_e32 v3, 2, v51
	ds_write_b32 v3, v2
.LBB483_38:
	s_or_b64 exec, exec, s[16:17]
	v_cmp_gt_u32_e32 vcc, 4, v0
	s_waitcnt lgkmcnt(0)
	s_barrier
	s_and_saveexec_b64 s[16:17], vcc
	s_cbranch_execz .LBB483_40
; %bb.39:
	ds_read_b32 v3, v1
	v_and_b32_e32 v4, 3, v50
	v_cmp_ne_u32_e32 vcc, 0, v4
	s_waitcnt lgkmcnt(0)
	v_mov_b32_dpp v5, v3 row_shr:1 row_mask:0xf bank_mask:0xf
	v_cndmask_b32_e32 v5, 0, v5, vcc
	v_add_u32_e32 v3, v5, v3
	v_cmp_lt_u32_e32 vcc, 1, v4
	s_nop 0
	v_mov_b32_dpp v5, v3 row_shr:2 row_mask:0xf bank_mask:0xf
	v_cndmask_b32_e32 v4, 0, v5, vcc
	v_add_u32_e32 v3, v3, v4
	ds_write_b32 v1, v3
.LBB483_40:
	s_or_b64 exec, exec, s[16:17]
	v_cmp_gt_u32_e32 vcc, 64, v0
	v_cmp_lt_u32_e64 s[16:17], 63, v0
	s_waitcnt lgkmcnt(0)
	s_barrier
	s_waitcnt lgkmcnt(0)
                                        ; implicit-def: $vgpr12
	s_and_saveexec_b64 s[36:37], s[16:17]
	s_cbranch_execz .LBB483_42
; %bb.41:
	v_lshl_add_u32 v3, v51, 2, -4
	ds_read_b32 v12, v3
	s_waitcnt lgkmcnt(0)
	v_add_u32_e32 v2, v12, v2
.LBB483_42:
	s_or_b64 exec, exec, s[36:37]
	v_add_u32_e32 v3, -1, v50
	v_and_b32_e32 v4, 64, v50
	v_cmp_lt_i32_e64 s[16:17], v3, v4
	v_cndmask_b32_e64 v3, v3, v50, s[16:17]
	v_lshlrev_b32_e32 v3, 2, v3
	ds_bpermute_b32 v13, v3, v2
	v_cmp_eq_u32_e64 s[16:17], 0, v50
	s_and_saveexec_b64 s[36:37], vcc
	s_cbranch_execz .LBB483_65
; %bb.43:
	v_mov_b32_e32 v11, 0
	ds_read_b32 v2, v11 offset:12
	s_and_saveexec_b64 s[38:39], s[16:17]
	s_cbranch_execz .LBB483_45
; %bb.44:
	s_add_i32 s40, s6, 64
	s_mov_b32 s41, 0
	s_lshl_b64 s[40:41], s[40:41], 3
	s_add_u32 s40, s34, s40
	v_mov_b32_e32 v3, 1
	s_addc_u32 s41, s35, s41
	s_waitcnt lgkmcnt(0)
	global_store_dwordx2 v11, v[2:3], s[40:41]
.LBB483_45:
	s_or_b64 exec, exec, s[38:39]
	v_xad_u32 v4, v50, -1, s6
	v_add_u32_e32 v10, 64, v4
	v_lshlrev_b64 v[6:7], 3, v[10:11]
	v_mov_b32_e32 v3, s35
	v_add_co_u32_e32 v6, vcc, s34, v6
	v_addc_co_u32_e32 v7, vcc, v3, v7, vcc
	global_load_dwordx2 v[8:9], v[6:7], off glc
	s_waitcnt vmcnt(0)
	v_cmp_eq_u16_sdwa s[40:41], v9, v11 src0_sel:BYTE_0 src1_sel:DWORD
	s_and_saveexec_b64 s[38:39], s[40:41]
	s_cbranch_execz .LBB483_51
; %bb.46:
	s_mov_b32 s7, 1
	s_mov_b64 s[40:41], 0
	v_mov_b32_e32 v3, 0
.LBB483_47:                             ; =>This Loop Header: Depth=1
                                        ;     Child Loop BB483_48 Depth 2
	s_max_u32 s43, s7, 1
.LBB483_48:                             ;   Parent Loop BB483_47 Depth=1
                                        ; =>  This Inner Loop Header: Depth=2
	s_add_i32 s43, s43, -1
	s_cmp_eq_u32 s43, 0
	s_sleep 1
	s_cbranch_scc0 .LBB483_48
; %bb.49:                               ;   in Loop: Header=BB483_47 Depth=1
	global_load_dwordx2 v[8:9], v[6:7], off glc
	s_cmp_lt_u32 s7, 32
	s_cselect_b64 s[44:45], -1, 0
	s_cmp_lg_u64 s[44:45], 0
	s_addc_u32 s7, s7, 0
	s_waitcnt vmcnt(0)
	v_cmp_ne_u16_sdwa s[44:45], v9, v3 src0_sel:BYTE_0 src1_sel:DWORD
	s_or_b64 s[40:41], s[44:45], s[40:41]
	s_andn2_b64 exec, exec, s[40:41]
	s_cbranch_execnz .LBB483_47
; %bb.50:
	s_or_b64 exec, exec, s[40:41]
.LBB483_51:
	s_or_b64 exec, exec, s[38:39]
	v_and_b32_e32 v14, 63, v50
	v_mov_b32_e32 v3, 2
	v_cmp_ne_u32_e32 vcc, 63, v14
	v_cmp_eq_u16_sdwa s[38:39], v9, v3 src0_sel:BYTE_0 src1_sel:DWORD
	v_lshlrev_b64 v[6:7], v50, -1
	v_addc_co_u32_e32 v11, vcc, 0, v50, vcc
	v_and_b32_e32 v5, s39, v7
	v_lshlrev_b32_e32 v15, 2, v11
	v_or_b32_e32 v5, 0x80000000, v5
	ds_bpermute_b32 v11, v15, v8
	v_and_b32_e32 v10, s38, v6
	v_ffbl_b32_e32 v5, v5
	v_add_u32_e32 v5, 32, v5
	v_ffbl_b32_e32 v10, v10
	v_min_u32_e32 v5, v10, v5
	v_cmp_lt_u32_e32 vcc, v14, v5
	s_waitcnt lgkmcnt(0)
	v_cndmask_b32_e32 v10, 0, v11, vcc
	v_cmp_gt_u32_e32 vcc, 62, v14
	v_add_u32_e32 v8, v10, v8
	v_cndmask_b32_e64 v10, 0, 1, vcc
	v_lshlrev_b32_e32 v10, 1, v10
	v_add_lshl_u32 v16, v10, v50, 2
	ds_bpermute_b32 v10, v16, v8
	v_add_u32_e32 v17, 2, v14
	v_cmp_le_u32_e32 vcc, v17, v5
	v_add_u32_e32 v19, 4, v14
	v_add_u32_e32 v54, 8, v14
	s_waitcnt lgkmcnt(0)
	v_cndmask_b32_e32 v10, 0, v10, vcc
	v_cmp_gt_u32_e32 vcc, 60, v14
	v_add_u32_e32 v8, v8, v10
	v_cndmask_b32_e64 v10, 0, 1, vcc
	v_lshlrev_b32_e32 v10, 2, v10
	v_add_lshl_u32 v18, v10, v50, 2
	ds_bpermute_b32 v10, v18, v8
	v_cmp_le_u32_e32 vcc, v19, v5
	v_add_u32_e32 v57, 16, v14
	v_add_u32_e32 v59, 32, v14
	s_waitcnt lgkmcnt(0)
	v_cndmask_b32_e32 v10, 0, v10, vcc
	v_cmp_gt_u32_e32 vcc, 56, v14
	v_add_u32_e32 v8, v8, v10
	v_cndmask_b32_e64 v10, 0, 1, vcc
	v_lshlrev_b32_e32 v10, 3, v10
	v_add_lshl_u32 v53, v10, v50, 2
	ds_bpermute_b32 v10, v53, v8
	v_cmp_le_u32_e32 vcc, v54, v5
	s_waitcnt lgkmcnt(0)
	v_cndmask_b32_e32 v10, 0, v10, vcc
	v_cmp_gt_u32_e32 vcc, 48, v14
	v_add_u32_e32 v8, v8, v10
	v_cndmask_b32_e64 v10, 0, 1, vcc
	v_lshlrev_b32_e32 v10, 4, v10
	v_add_lshl_u32 v56, v10, v50, 2
	ds_bpermute_b32 v10, v56, v8
	v_cmp_le_u32_e32 vcc, v57, v5
	;; [unrolled: 9-line block ×3, first 2 shown]
	s_waitcnt lgkmcnt(0)
	v_cndmask_b32_e32 v5, 0, v10, vcc
	v_add_u32_e32 v8, v8, v5
	v_mov_b32_e32 v5, 0
	s_branch .LBB483_53
.LBB483_52:                             ;   in Loop: Header=BB483_53 Depth=1
	s_or_b64 exec, exec, s[38:39]
	v_cmp_eq_u16_sdwa s[38:39], v9, v3 src0_sel:BYTE_0 src1_sel:DWORD
	v_and_b32_e32 v10, s39, v7
	v_or_b32_e32 v10, 0x80000000, v10
	ds_bpermute_b32 v60, v15, v8
	v_and_b32_e32 v11, s38, v6
	v_ffbl_b32_e32 v10, v10
	v_add_u32_e32 v10, 32, v10
	v_ffbl_b32_e32 v11, v11
	v_min_u32_e32 v10, v11, v10
	v_cmp_lt_u32_e32 vcc, v14, v10
	s_waitcnt lgkmcnt(0)
	v_cndmask_b32_e32 v11, 0, v60, vcc
	v_add_u32_e32 v8, v11, v8
	ds_bpermute_b32 v11, v16, v8
	v_cmp_le_u32_e32 vcc, v17, v10
	v_subrev_u32_e32 v4, 64, v4
	s_waitcnt lgkmcnt(0)
	v_cndmask_b32_e32 v11, 0, v11, vcc
	v_add_u32_e32 v8, v8, v11
	ds_bpermute_b32 v11, v18, v8
	v_cmp_le_u32_e32 vcc, v19, v10
	s_waitcnt lgkmcnt(0)
	v_cndmask_b32_e32 v11, 0, v11, vcc
	v_add_u32_e32 v8, v8, v11
	ds_bpermute_b32 v11, v53, v8
	v_cmp_le_u32_e32 vcc, v54, v10
	s_waitcnt lgkmcnt(0)
	v_cndmask_b32_e32 v11, 0, v11, vcc
	v_add_u32_e32 v8, v8, v11
	ds_bpermute_b32 v11, v56, v8
	v_cmp_le_u32_e32 vcc, v57, v10
	s_waitcnt lgkmcnt(0)
	v_cndmask_b32_e32 v11, 0, v11, vcc
	v_add_u32_e32 v8, v8, v11
	ds_bpermute_b32 v11, v58, v8
	v_cmp_le_u32_e32 vcc, v59, v10
	s_waitcnt lgkmcnt(0)
	v_cndmask_b32_e32 v10, 0, v11, vcc
	v_add3_u32 v8, v10, v55, v8
.LBB483_53:                             ; =>This Loop Header: Depth=1
                                        ;     Child Loop BB483_56 Depth 2
                                        ;       Child Loop BB483_57 Depth 3
	v_cmp_ne_u16_sdwa s[38:39], v9, v3 src0_sel:BYTE_0 src1_sel:DWORD
	v_cndmask_b32_e64 v9, 0, 1, s[38:39]
	;;#ASMSTART
	;;#ASMEND
	v_cmp_ne_u32_e32 vcc, 0, v9
	s_cmp_lg_u64 vcc, exec
	v_mov_b32_e32 v55, v8
	s_cbranch_scc1 .LBB483_60
; %bb.54:                               ;   in Loop: Header=BB483_53 Depth=1
	v_lshlrev_b64 v[8:9], 3, v[4:5]
	v_mov_b32_e32 v11, s35
	v_add_co_u32_e32 v10, vcc, s34, v8
	v_addc_co_u32_e32 v11, vcc, v11, v9, vcc
	global_load_dwordx2 v[8:9], v[10:11], off glc
	s_waitcnt vmcnt(0)
	v_cmp_eq_u16_sdwa s[40:41], v9, v5 src0_sel:BYTE_0 src1_sel:DWORD
	s_and_saveexec_b64 s[38:39], s[40:41]
	s_cbranch_execz .LBB483_52
; %bb.55:                               ;   in Loop: Header=BB483_53 Depth=1
	s_mov_b32 s7, 1
	s_mov_b64 s[40:41], 0
.LBB483_56:                             ;   Parent Loop BB483_53 Depth=1
                                        ; =>  This Loop Header: Depth=2
                                        ;       Child Loop BB483_57 Depth 3
	s_max_u32 s43, s7, 1
.LBB483_57:                             ;   Parent Loop BB483_53 Depth=1
                                        ;     Parent Loop BB483_56 Depth=2
                                        ; =>    This Inner Loop Header: Depth=3
	s_add_i32 s43, s43, -1
	s_cmp_eq_u32 s43, 0
	s_sleep 1
	s_cbranch_scc0 .LBB483_57
; %bb.58:                               ;   in Loop: Header=BB483_56 Depth=2
	global_load_dwordx2 v[8:9], v[10:11], off glc
	s_cmp_lt_u32 s7, 32
	s_cselect_b64 s[44:45], -1, 0
	s_cmp_lg_u64 s[44:45], 0
	s_addc_u32 s7, s7, 0
	s_waitcnt vmcnt(0)
	v_cmp_ne_u16_sdwa s[44:45], v9, v5 src0_sel:BYTE_0 src1_sel:DWORD
	s_or_b64 s[40:41], s[44:45], s[40:41]
	s_andn2_b64 exec, exec, s[40:41]
	s_cbranch_execnz .LBB483_56
; %bb.59:                               ;   in Loop: Header=BB483_53 Depth=1
	s_or_b64 exec, exec, s[40:41]
	s_branch .LBB483_52
.LBB483_60:                             ;   in Loop: Header=BB483_53 Depth=1
                                        ; implicit-def: $vgpr8
                                        ; implicit-def: $vgpr9
	s_cbranch_execz .LBB483_53
; %bb.61:
	s_and_saveexec_b64 s[38:39], s[16:17]
	s_cbranch_execz .LBB483_63
; %bb.62:
	s_add_i32 s6, s6, 64
	s_mov_b32 s7, 0
	s_lshl_b64 s[6:7], s[6:7], 3
	s_add_u32 s6, s34, s6
	v_add_u32_e32 v4, v55, v2
	v_mov_b32_e32 v5, 2
	s_addc_u32 s7, s35, s7
	v_mov_b32_e32 v3, 0
	global_store_dwordx2 v3, v[4:5], s[6:7]
	s_movk_i32 s6, 0x3400
	v_add_u32_e64 v3, s6, 0
	ds_write2_b32 v3, v2, v55 offset1:2
.LBB483_63:
	s_or_b64 exec, exec, s[38:39]
	v_cmp_eq_u32_e32 vcc, 0, v0
	s_and_b64 exec, exec, vcc
	s_cbranch_execz .LBB483_65
; %bb.64:
	v_mov_b32_e32 v2, 0
	ds_write_b32 v2, v55 offset:12
.LBB483_65:
	s_or_b64 exec, exec, s[36:37]
	v_mov_b32_e32 v2, 0
	s_waitcnt lgkmcnt(0)
	s_barrier
	ds_read_b32 v2, v2 offset:12
	v_cndmask_b32_e64 v3, v13, v12, s[16:17]
	v_cmp_ne_u32_e32 vcc, 0, v0
	v_cndmask_b32_e32 v3, 0, v3, vcc
	s_movk_i32 s6, 0x3400
	s_waitcnt lgkmcnt(0)
	v_add_u32_e32 v2, v2, v3
	v_add_u32_e32 v3, v2, v41
	;; [unrolled: 1-line block ×8, first 2 shown]
	v_add_u32_e64 v12, s6, 0
	v_add_u32_e32 v10, v9, v39
	s_barrier
	ds_read2_b32 v[18:19], v12 offset1:2
	v_add_u32_e32 v11, v10, v47
	v_add_u32_e32 v12, v11, v48
	;; [unrolled: 1-line block ×4, first 2 shown]
	s_branch .LBB483_76
.LBB483_66:
                                        ; implicit-def: $vgpr19
                                        ; implicit-def: $vgpr2_vgpr3_vgpr4_vgpr5_vgpr6_vgpr7_vgpr8_vgpr9_vgpr10_vgpr11_vgpr12_vgpr13_vgpr14_vgpr15_vgpr16_vgpr17
	s_cbranch_execz .LBB483_76
; %bb.67:
	s_nop 0
	v_mov_b32_dpp v2, v52 row_shr:1 row_mask:0xf bank_mask:0xf
	v_cndmask_b32_e64 v2, v2, 0, s[14:15]
	v_add_u32_e32 v2, v2, v52
	s_nop 1
	v_mov_b32_dpp v3, v2 row_shr:2 row_mask:0xf bank_mask:0xf
	v_cndmask_b32_e64 v3, 0, v3, s[12:13]
	v_add_u32_e32 v2, v2, v3
	;; [unrolled: 4-line block ×4, first 2 shown]
	s_nop 1
	v_mov_b32_dpp v3, v2 row_bcast:15 row_mask:0xf bank_mask:0xf
	v_cndmask_b32_e64 v3, v3, 0, s[18:19]
	v_add_u32_e32 v2, v2, v3
	s_nop 1
	v_mov_b32_dpp v3, v2 row_bcast:31 row_mask:0xf bank_mask:0xf
	v_cndmask_b32_e64 v3, 0, v3, s[2:3]
	v_add_u32_e32 v2, v2, v3
	s_and_saveexec_b64 s[2:3], s[4:5]
	s_cbranch_execz .LBB483_69
; %bb.68:
	v_lshlrev_b32_e32 v3, 2, v51
	ds_write_b32 v3, v2
.LBB483_69:
	s_or_b64 exec, exec, s[2:3]
	v_cmp_gt_u32_e32 vcc, 4, v0
	s_waitcnt lgkmcnt(0)
	s_barrier
	s_and_saveexec_b64 s[2:3], vcc
	s_cbranch_execz .LBB483_71
; %bb.70:
	ds_read_b32 v3, v1
	v_and_b32_e32 v4, 3, v50
	v_cmp_ne_u32_e32 vcc, 0, v4
	s_waitcnt lgkmcnt(0)
	v_mov_b32_dpp v5, v3 row_shr:1 row_mask:0xf bank_mask:0xf
	v_cndmask_b32_e32 v5, 0, v5, vcc
	v_add_u32_e32 v3, v5, v3
	v_cmp_lt_u32_e32 vcc, 1, v4
	s_nop 0
	v_mov_b32_dpp v5, v3 row_shr:2 row_mask:0xf bank_mask:0xf
	v_cndmask_b32_e32 v4, 0, v5, vcc
	v_add_u32_e32 v3, v3, v4
	ds_write_b32 v1, v3
.LBB483_71:
	s_or_b64 exec, exec, s[2:3]
	v_cmp_lt_u32_e32 vcc, 63, v0
	v_mov_b32_e32 v4, 0
	v_mov_b32_e32 v3, 0
	s_waitcnt lgkmcnt(0)
	s_barrier
	s_and_saveexec_b64 s[2:3], vcc
	s_cbranch_execz .LBB483_73
; %bb.72:
	v_lshl_add_u32 v3, v51, 2, -4
	ds_read_b32 v3, v3
.LBB483_73:
	s_or_b64 exec, exec, s[2:3]
	v_add_u32_e32 v5, -1, v50
	v_and_b32_e32 v6, 64, v50
	v_cmp_lt_i32_e32 vcc, v5, v6
	v_cndmask_b32_e32 v5, v5, v50, vcc
	s_waitcnt lgkmcnt(0)
	v_add_u32_e32 v2, v3, v2
	v_lshlrev_b32_e32 v5, 2, v5
	ds_bpermute_b32 v2, v5, v2
	ds_read_b32 v18, v4 offset:12
	v_cmp_eq_u32_e32 vcc, 0, v0
	s_and_saveexec_b64 s[2:3], vcc
	s_cbranch_execz .LBB483_75
; %bb.74:
	v_mov_b32_e32 v4, 0
	v_mov_b32_e32 v19, 2
	s_waitcnt lgkmcnt(0)
	global_store_dwordx2 v4, v[18:19], s[34:35] offset:512
.LBB483_75:
	s_or_b64 exec, exec, s[2:3]
	v_cmp_eq_u32_e64 s[2:3], 0, v50
	s_waitcnt lgkmcnt(1)
	v_cndmask_b32_e64 v2, v2, v3, s[2:3]
	v_cndmask_b32_e64 v2, v2, 0, vcc
	v_add_u32_e32 v3, v2, v41
	v_add_u32_e32 v4, v3, v42
	;; [unrolled: 1-line block ×11, first 2 shown]
	v_mov_b32_e32 v19, 0
	v_add_u32_e32 v14, v13, v38
	s_waitcnt lgkmcnt(0)
	s_barrier
.LBB483_76:
	s_waitcnt lgkmcnt(0)
	v_add_u32_e32 v33, v18, v33
	v_sub_u32_e32 v2, v2, v19
	v_and_b32_e32 v42, 1, v37
	v_sub_u32_e32 v41, v33, v2
	v_cmp_eq_u32_e32 vcc, 1, v42
	v_cndmask_b32_e32 v2, v41, v2, vcc
	v_lshlrev_b32_e32 v2, 2, v2
	v_lshrrev_b32_e32 v17, 8, v37
	ds_write_b32 v2, v30
	v_sub_u32_e32 v2, v3, v19
	v_sub_u32_e32 v3, v33, v2
	v_and_b32_e32 v17, 1, v17
	v_add_u32_e32 v3, 1, v3
	v_cmp_eq_u32_e32 vcc, 1, v17
	v_cndmask_b32_e32 v2, v3, v2, vcc
	v_lshlrev_b32_e32 v2, 2, v2
	ds_write_b32 v2, v31
	v_sub_u32_e32 v2, v4, v19
	v_mov_b32_e32 v4, 1
	v_sub_u32_e32 v3, v33, v2
	v_and_b32_sdwa v17, v4, v37 dst_sel:DWORD dst_unused:UNUSED_PAD src0_sel:DWORD src1_sel:WORD_1
	v_add_u32_e32 v3, 2, v3
	v_cmp_eq_u32_e32 vcc, 1, v17
	v_cndmask_b32_e32 v2, v3, v2, vcc
	v_lshlrev_b32_e32 v2, 2, v2
	ds_write_b32 v2, v28
	v_sub_u32_e32 v2, v5, v19
	v_sub_u32_e32 v3, v33, v2
	v_and_b32_e32 v5, 1, v40
	v_add_u32_e32 v3, 3, v3
	v_cmp_eq_u32_e32 vcc, 1, v5
	v_cndmask_b32_e32 v2, v3, v2, vcc
	v_lshlrev_b32_e32 v2, 2, v2
	ds_write_b32 v2, v29
	v_sub_u32_e32 v2, v6, v19
	v_sub_u32_e32 v3, v33, v2
	v_and_b32_e32 v5, 1, v36
	v_add_u32_e32 v3, 4, v3
	v_cmp_eq_u32_e32 vcc, 1, v5
	v_cndmask_b32_e32 v2, v3, v2, vcc
	v_lshlrev_b32_e32 v2, 2, v2
	v_lshrrev_b32_e32 v16, 8, v36
	ds_write_b32 v2, v26
	v_sub_u32_e32 v2, v7, v19
	v_sub_u32_e32 v3, v33, v2
	v_and_b32_e32 v5, 1, v16
	v_add_u32_e32 v3, 5, v3
	v_cmp_eq_u32_e32 vcc, 1, v5
	v_cndmask_b32_e32 v2, v3, v2, vcc
	v_lshlrev_b32_e32 v2, 2, v2
	ds_write_b32 v2, v27
	v_sub_u32_e32 v2, v8, v19
	v_sub_u32_e32 v3, v33, v2
	v_and_b32_sdwa v5, v4, v36 dst_sel:DWORD dst_unused:UNUSED_PAD src0_sel:DWORD src1_sel:WORD_1
	v_add_u32_e32 v3, 6, v3
	v_cmp_eq_u32_e32 vcc, 1, v5
	v_cndmask_b32_e32 v2, v3, v2, vcc
	v_lshlrev_b32_e32 v2, 2, v2
	ds_write_b32 v2, v24
	v_sub_u32_e32 v2, v9, v19
	v_sub_u32_e32 v3, v33, v2
	v_and_b32_e32 v5, 1, v39
	v_add_u32_e32 v3, 7, v3
	v_cmp_eq_u32_e32 vcc, 1, v5
	v_cndmask_b32_e32 v2, v3, v2, vcc
	v_lshlrev_b32_e32 v2, 2, v2
	ds_write_b32 v2, v25
	v_sub_u32_e32 v2, v10, v19
	v_sub_u32_e32 v3, v33, v2
	v_and_b32_e32 v5, 1, v35
	v_add_u32_e32 v3, 8, v3
	v_cmp_eq_u32_e32 vcc, 1, v5
	v_cndmask_b32_e32 v2, v3, v2, vcc
	v_lshlrev_b32_e32 v2, 2, v2
	v_lshrrev_b32_e32 v15, 8, v35
	ds_write_b32 v2, v22
	v_sub_u32_e32 v2, v11, v19
	v_sub_u32_e32 v3, v33, v2
	v_and_b32_e32 v5, 1, v15
	v_add_u32_e32 v3, 9, v3
	v_cmp_eq_u32_e32 vcc, 1, v5
	v_cndmask_b32_e32 v2, v3, v2, vcc
	v_lshlrev_b32_e32 v2, 2, v2
	ds_write_b32 v2, v23
	v_sub_u32_e32 v2, v12, v19
	v_sub_u32_e32 v3, v33, v2
	v_and_b32_sdwa v4, v4, v35 dst_sel:DWORD dst_unused:UNUSED_PAD src0_sel:DWORD src1_sel:WORD_1
	v_add_u32_e32 v3, 10, v3
	v_cmp_eq_u32_e32 vcc, 1, v4
	v_cndmask_b32_e32 v2, v3, v2, vcc
	v_lshlrev_b32_e32 v2, 2, v2
	ds_write_b32 v2, v20
	v_sub_u32_e32 v2, v13, v19
	v_sub_u32_e32 v3, v33, v2
	v_and_b32_e32 v4, 1, v38
	v_add_u32_e32 v3, 11, v3
	v_cmp_eq_u32_e32 vcc, 1, v4
	v_cndmask_b32_e32 v2, v3, v2, vcc
	v_lshlrev_b32_e32 v2, 2, v2
	ds_write_b32 v2, v21
	v_sub_u32_e32 v2, v14, v19
	v_sub_u32_e32 v3, v33, v2
	v_and_b32_e32 v4, 1, v34
	v_add_u32_e32 v3, 12, v3
	v_cmp_eq_u32_e32 vcc, 1, v4
	v_cndmask_b32_e32 v2, v3, v2, vcc
	s_add_u32 s2, s28, s42
	v_lshlrev_b32_e32 v2, 2, v2
	s_addc_u32 s3, s29, 0
	ds_write_b32 v2, v32
	s_waitcnt lgkmcnt(0)
	s_barrier
	ds_read2st64_b32 v[12:13], v1 offset1:4
	ds_read2st64_b32 v[10:11], v1 offset0:8 offset1:12
	ds_read2st64_b32 v[8:9], v1 offset0:16 offset1:20
	ds_read2st64_b32 v[6:7], v1 offset0:24 offset1:28
	ds_read2st64_b32 v[4:5], v1 offset0:32 offset1:36
	ds_read2st64_b32 v[2:3], v1 offset0:40 offset1:44
	ds_read_b32 v17, v1 offset:12288
	v_mov_b32_e32 v14, s31
	v_add_co_u32_e32 v1, vcc, s30, v19
	s_sub_u32 s2, s26, s2
	v_addc_co_u32_e32 v16, vcc, 0, v14, vcc
	s_subb_u32 s3, s27, s3
	v_mov_b32_e32 v14, s3
	v_add_co_u32_e32 v15, vcc, s2, v18
	v_addc_co_u32_e32 v14, vcc, 0, v14, vcc
	s_and_b64 vcc, exec, s[0:1]
	v_add_co_u32_e64 v19, s[0:1], v15, v1
	v_or_b32_e32 v32, 0x100, v0
	v_or_b32_e32 v31, 0x200, v0
	;; [unrolled: 1-line block ×12, first 2 shown]
	v_addc_co_u32_e64 v21, s[0:1], v14, v16, s[0:1]
	s_cbranch_vccnz .LBB483_130
; %bb.77:
	v_cmp_ge_u32_e32 vcc, v0, v18
                                        ; implicit-def: $vgpr14_vgpr15
	s_and_saveexec_b64 s[0:1], vcc
	s_xor_b64 s[0:1], exec, s[0:1]
; %bb.78:
	v_not_b32_e32 v14, v0
	v_ashrrev_i32_e32 v15, 31, v14
	v_add_co_u32_e32 v14, vcc, v19, v14
	v_addc_co_u32_e32 v15, vcc, v21, v15, vcc
; %bb.79:
	s_andn2_saveexec_b64 s[0:1], s[0:1]
; %bb.80:
	v_add_co_u32_e32 v14, vcc, v1, v0
	v_addc_co_u32_e32 v15, vcc, 0, v16, vcc
; %bb.81:
	s_or_b64 exec, exec, s[0:1]
	v_lshlrev_b64 v[14:15], 2, v[14:15]
	v_mov_b32_e32 v33, s25
	v_add_co_u32_e32 v14, vcc, s24, v14
	v_addc_co_u32_e32 v15, vcc, v33, v15, vcc
	v_cmp_ge_u32_e32 vcc, v32, v18
	s_waitcnt lgkmcnt(6)
	global_store_dword v[14:15], v12, off
                                        ; implicit-def: $vgpr14_vgpr15
	s_and_saveexec_b64 s[0:1], vcc
	s_xor_b64 s[0:1], exec, s[0:1]
; %bb.82:
	v_xor_b32_e32 v14, 0xfffffeff, v0
	v_ashrrev_i32_e32 v15, 31, v14
	v_add_co_u32_e32 v14, vcc, v19, v14
	v_addc_co_u32_e32 v15, vcc, v21, v15, vcc
; %bb.83:
	s_andn2_saveexec_b64 s[0:1], s[0:1]
; %bb.84:
	v_add_co_u32_e32 v14, vcc, v1, v32
	v_addc_co_u32_e32 v15, vcc, 0, v16, vcc
; %bb.85:
	s_or_b64 exec, exec, s[0:1]
	v_lshlrev_b64 v[14:15], 2, v[14:15]
	v_mov_b32_e32 v33, s25
	v_add_co_u32_e32 v14, vcc, s24, v14
	v_addc_co_u32_e32 v15, vcc, v33, v15, vcc
	v_cmp_ge_u32_e32 vcc, v31, v18
	global_store_dword v[14:15], v13, off
                                        ; implicit-def: $vgpr14_vgpr15
	s_and_saveexec_b64 s[0:1], vcc
	s_xor_b64 s[0:1], exec, s[0:1]
; %bb.86:
	v_xor_b32_e32 v14, 0xfffffdff, v0
	v_ashrrev_i32_e32 v15, 31, v14
	v_add_co_u32_e32 v14, vcc, v19, v14
	v_addc_co_u32_e32 v15, vcc, v21, v15, vcc
; %bb.87:
	s_andn2_saveexec_b64 s[0:1], s[0:1]
; %bb.88:
	v_add_co_u32_e32 v14, vcc, v1, v31
	v_addc_co_u32_e32 v15, vcc, 0, v16, vcc
; %bb.89:
	s_or_b64 exec, exec, s[0:1]
	v_lshlrev_b64 v[14:15], 2, v[14:15]
	v_mov_b32_e32 v33, s25
	v_add_co_u32_e32 v14, vcc, s24, v14
	v_addc_co_u32_e32 v15, vcc, v33, v15, vcc
	v_cmp_ge_u32_e32 vcc, v30, v18
	s_waitcnt lgkmcnt(5)
	global_store_dword v[14:15], v10, off
                                        ; implicit-def: $vgpr14_vgpr15
	s_and_saveexec_b64 s[0:1], vcc
	s_xor_b64 s[0:1], exec, s[0:1]
; %bb.90:
	v_xor_b32_e32 v14, 0xfffffcff, v0
	v_ashrrev_i32_e32 v15, 31, v14
	v_add_co_u32_e32 v14, vcc, v19, v14
	v_addc_co_u32_e32 v15, vcc, v21, v15, vcc
; %bb.91:
	s_andn2_saveexec_b64 s[0:1], s[0:1]
; %bb.92:
	v_add_co_u32_e32 v14, vcc, v1, v30
	v_addc_co_u32_e32 v15, vcc, 0, v16, vcc
; %bb.93:
	s_or_b64 exec, exec, s[0:1]
	v_lshlrev_b64 v[14:15], 2, v[14:15]
	v_mov_b32_e32 v33, s25
	v_add_co_u32_e32 v14, vcc, s24, v14
	v_addc_co_u32_e32 v15, vcc, v33, v15, vcc
	v_cmp_ge_u32_e32 vcc, v29, v18
	global_store_dword v[14:15], v11, off
                                        ; implicit-def: $vgpr14_vgpr15
	s_and_saveexec_b64 s[0:1], vcc
	s_xor_b64 s[0:1], exec, s[0:1]
; %bb.94:
	v_xor_b32_e32 v14, 0xfffffbff, v0
	;; [unrolled: 43-line block ×6, first 2 shown]
	v_ashrrev_i32_e32 v15, 31, v14
	v_add_co_u32_e32 v14, vcc, v19, v14
	v_addc_co_u32_e32 v15, vcc, v21, v15, vcc
; %bb.127:
	s_andn2_saveexec_b64 s[0:1], s[0:1]
; %bb.128:
	v_add_co_u32_e32 v14, vcc, v1, v20
	v_addc_co_u32_e32 v15, vcc, 0, v16, vcc
; %bb.129:
	s_or_b64 exec, exec, s[0:1]
	s_mov_b64 s[0:1], -1
	s_branch .LBB483_210
.LBB483_130:
	s_mov_b64 s[0:1], 0
                                        ; implicit-def: $vgpr14_vgpr15
	s_cbranch_execz .LBB483_210
; %bb.131:
	v_cmp_gt_u32_e32 vcc, s33, v0
	s_and_saveexec_b64 s[2:3], vcc
	s_cbranch_execz .LBB483_167
; %bb.132:
	v_cmp_ge_u32_e32 vcc, v0, v18
                                        ; implicit-def: $vgpr14_vgpr15
	s_and_saveexec_b64 s[4:5], vcc
	s_xor_b64 s[4:5], exec, s[4:5]
; %bb.133:
	v_not_b32_e32 v14, v0
	v_ashrrev_i32_e32 v15, 31, v14
	v_add_co_u32_e32 v14, vcc, v19, v14
	v_addc_co_u32_e32 v15, vcc, v21, v15, vcc
; %bb.134:
	s_andn2_saveexec_b64 s[4:5], s[4:5]
; %bb.135:
	v_add_co_u32_e32 v14, vcc, v1, v0
	v_addc_co_u32_e32 v15, vcc, 0, v16, vcc
; %bb.136:
	s_or_b64 exec, exec, s[4:5]
	v_lshlrev_b64 v[14:15], 2, v[14:15]
	v_mov_b32_e32 v33, s25
	v_add_co_u32_e32 v14, vcc, s24, v14
	v_addc_co_u32_e32 v15, vcc, v33, v15, vcc
	s_waitcnt lgkmcnt(6)
	global_store_dword v[14:15], v12, off
	s_or_b64 exec, exec, s[2:3]
	v_cmp_gt_u32_e32 vcc, s33, v32
	s_and_saveexec_b64 s[2:3], vcc
	s_cbranch_execnz .LBB483_168
.LBB483_137:
	s_or_b64 exec, exec, s[2:3]
	v_cmp_gt_u32_e32 vcc, s33, v31
	s_and_saveexec_b64 s[2:3], vcc
	s_cbranch_execz .LBB483_173
.LBB483_138:
	v_cmp_ge_u32_e32 vcc, v31, v18
                                        ; implicit-def: $vgpr12_vgpr13
	s_and_saveexec_b64 s[4:5], vcc
	s_xor_b64 s[4:5], exec, s[4:5]
	s_cbranch_execz .LBB483_140
; %bb.139:
	s_waitcnt lgkmcnt(6)
	v_xor_b32_e32 v12, 0xfffffdff, v0
	v_ashrrev_i32_e32 v13, 31, v12
	v_add_co_u32_e32 v12, vcc, v19, v12
	v_addc_co_u32_e32 v13, vcc, v21, v13, vcc
                                        ; implicit-def: $vgpr31
.LBB483_140:
	s_andn2_saveexec_b64 s[4:5], s[4:5]
	s_cbranch_execz .LBB483_142
; %bb.141:
	s_waitcnt lgkmcnt(6)
	v_add_co_u32_e32 v12, vcc, v1, v31
	v_addc_co_u32_e32 v13, vcc, 0, v16, vcc
.LBB483_142:
	s_or_b64 exec, exec, s[4:5]
	s_waitcnt lgkmcnt(6)
	v_lshlrev_b64 v[12:13], 2, v[12:13]
	v_mov_b32_e32 v14, s25
	v_add_co_u32_e32 v12, vcc, s24, v12
	v_addc_co_u32_e32 v13, vcc, v14, v13, vcc
	s_waitcnt lgkmcnt(5)
	global_store_dword v[12:13], v10, off
	s_or_b64 exec, exec, s[2:3]
	v_cmp_gt_u32_e32 vcc, s33, v30
	s_and_saveexec_b64 s[2:3], vcc
	s_cbranch_execnz .LBB483_174
.LBB483_143:
	s_or_b64 exec, exec, s[2:3]
	v_cmp_gt_u32_e32 vcc, s33, v29
	s_and_saveexec_b64 s[2:3], vcc
	s_cbranch_execz .LBB483_179
.LBB483_144:
	v_cmp_ge_u32_e32 vcc, v29, v18
                                        ; implicit-def: $vgpr10_vgpr11
	s_and_saveexec_b64 s[4:5], vcc
	s_xor_b64 s[4:5], exec, s[4:5]
	s_cbranch_execz .LBB483_146
; %bb.145:
	s_waitcnt lgkmcnt(5)
	v_xor_b32_e32 v10, 0xfffffbff, v0
	v_ashrrev_i32_e32 v11, 31, v10
	v_add_co_u32_e32 v10, vcc, v19, v10
	v_addc_co_u32_e32 v11, vcc, v21, v11, vcc
                                        ; implicit-def: $vgpr29
.LBB483_146:
	s_andn2_saveexec_b64 s[4:5], s[4:5]
	s_cbranch_execz .LBB483_148
; %bb.147:
	s_waitcnt lgkmcnt(5)
	v_add_co_u32_e32 v10, vcc, v1, v29
	v_addc_co_u32_e32 v11, vcc, 0, v16, vcc
.LBB483_148:
	s_or_b64 exec, exec, s[4:5]
	s_waitcnt lgkmcnt(5)
	v_lshlrev_b64 v[10:11], 2, v[10:11]
	v_mov_b32_e32 v12, s25
	v_add_co_u32_e32 v10, vcc, s24, v10
	v_addc_co_u32_e32 v11, vcc, v12, v11, vcc
	s_waitcnt lgkmcnt(4)
	global_store_dword v[10:11], v8, off
	s_or_b64 exec, exec, s[2:3]
	v_cmp_gt_u32_e32 vcc, s33, v28
	s_and_saveexec_b64 s[2:3], vcc
	s_cbranch_execnz .LBB483_180
.LBB483_149:
	s_or_b64 exec, exec, s[2:3]
	v_cmp_gt_u32_e32 vcc, s33, v27
	s_and_saveexec_b64 s[2:3], vcc
	s_cbranch_execz .LBB483_185
.LBB483_150:
	v_cmp_ge_u32_e32 vcc, v27, v18
                                        ; implicit-def: $vgpr8_vgpr9
	s_and_saveexec_b64 s[4:5], vcc
	s_xor_b64 s[4:5], exec, s[4:5]
	s_cbranch_execz .LBB483_152
; %bb.151:
	s_waitcnt lgkmcnt(4)
	v_xor_b32_e32 v8, 0xfffff9ff, v0
	v_ashrrev_i32_e32 v9, 31, v8
	v_add_co_u32_e32 v8, vcc, v19, v8
	v_addc_co_u32_e32 v9, vcc, v21, v9, vcc
                                        ; implicit-def: $vgpr27
.LBB483_152:
	s_andn2_saveexec_b64 s[4:5], s[4:5]
	s_cbranch_execz .LBB483_154
; %bb.153:
	s_waitcnt lgkmcnt(4)
	v_add_co_u32_e32 v8, vcc, v1, v27
	v_addc_co_u32_e32 v9, vcc, 0, v16, vcc
.LBB483_154:
	s_or_b64 exec, exec, s[4:5]
	s_waitcnt lgkmcnt(4)
	v_lshlrev_b64 v[8:9], 2, v[8:9]
	v_mov_b32_e32 v10, s25
	v_add_co_u32_e32 v8, vcc, s24, v8
	v_addc_co_u32_e32 v9, vcc, v10, v9, vcc
	s_waitcnt lgkmcnt(3)
	global_store_dword v[8:9], v6, off
	s_or_b64 exec, exec, s[2:3]
	v_cmp_gt_u32_e32 vcc, s33, v26
	s_and_saveexec_b64 s[2:3], vcc
	s_cbranch_execnz .LBB483_186
.LBB483_155:
	s_or_b64 exec, exec, s[2:3]
	v_cmp_gt_u32_e32 vcc, s33, v25
	s_and_saveexec_b64 s[2:3], vcc
	s_cbranch_execz .LBB483_191
.LBB483_156:
	v_cmp_ge_u32_e32 vcc, v25, v18
                                        ; implicit-def: $vgpr6_vgpr7
	s_and_saveexec_b64 s[4:5], vcc
	s_xor_b64 s[4:5], exec, s[4:5]
	s_cbranch_execz .LBB483_158
; %bb.157:
	s_waitcnt lgkmcnt(3)
	v_xor_b32_e32 v6, 0xfffff7ff, v0
	v_ashrrev_i32_e32 v7, 31, v6
	v_add_co_u32_e32 v6, vcc, v19, v6
	v_addc_co_u32_e32 v7, vcc, v21, v7, vcc
                                        ; implicit-def: $vgpr25
.LBB483_158:
	s_andn2_saveexec_b64 s[4:5], s[4:5]
	s_cbranch_execz .LBB483_160
; %bb.159:
	s_waitcnt lgkmcnt(3)
	v_add_co_u32_e32 v6, vcc, v1, v25
	v_addc_co_u32_e32 v7, vcc, 0, v16, vcc
.LBB483_160:
	s_or_b64 exec, exec, s[4:5]
	s_waitcnt lgkmcnt(3)
	v_lshlrev_b64 v[6:7], 2, v[6:7]
	v_mov_b32_e32 v8, s25
	v_add_co_u32_e32 v6, vcc, s24, v6
	v_addc_co_u32_e32 v7, vcc, v8, v7, vcc
	s_waitcnt lgkmcnt(2)
	global_store_dword v[6:7], v4, off
	s_or_b64 exec, exec, s[2:3]
	v_cmp_gt_u32_e32 vcc, s33, v24
	s_and_saveexec_b64 s[2:3], vcc
	s_cbranch_execnz .LBB483_192
.LBB483_161:
	s_or_b64 exec, exec, s[2:3]
	v_cmp_gt_u32_e32 vcc, s33, v23
	s_and_saveexec_b64 s[2:3], vcc
	s_cbranch_execz .LBB483_197
.LBB483_162:
	v_cmp_ge_u32_e32 vcc, v23, v18
                                        ; implicit-def: $vgpr4_vgpr5
	s_and_saveexec_b64 s[4:5], vcc
	s_xor_b64 s[4:5], exec, s[4:5]
	s_cbranch_execz .LBB483_164
; %bb.163:
	s_waitcnt lgkmcnt(2)
	v_xor_b32_e32 v4, 0xfffff5ff, v0
	v_ashrrev_i32_e32 v5, 31, v4
	v_add_co_u32_e32 v4, vcc, v19, v4
	v_addc_co_u32_e32 v5, vcc, v21, v5, vcc
                                        ; implicit-def: $vgpr23
.LBB483_164:
	s_andn2_saveexec_b64 s[4:5], s[4:5]
	s_cbranch_execz .LBB483_166
; %bb.165:
	s_waitcnt lgkmcnt(2)
	v_add_co_u32_e32 v4, vcc, v1, v23
	v_addc_co_u32_e32 v5, vcc, 0, v16, vcc
.LBB483_166:
	s_or_b64 exec, exec, s[4:5]
	s_waitcnt lgkmcnt(2)
	v_lshlrev_b64 v[4:5], 2, v[4:5]
	v_mov_b32_e32 v6, s25
	v_add_co_u32_e32 v4, vcc, s24, v4
	v_addc_co_u32_e32 v5, vcc, v6, v5, vcc
	s_waitcnt lgkmcnt(1)
	global_store_dword v[4:5], v2, off
	s_or_b64 exec, exec, s[2:3]
	v_cmp_gt_u32_e32 vcc, s33, v22
	s_and_saveexec_b64 s[2:3], vcc
	s_cbranch_execz .LBB483_203
	s_branch .LBB483_198
.LBB483_167:
	s_or_b64 exec, exec, s[2:3]
	v_cmp_gt_u32_e32 vcc, s33, v32
	s_and_saveexec_b64 s[2:3], vcc
	s_cbranch_execz .LBB483_137
.LBB483_168:
	v_cmp_ge_u32_e32 vcc, v32, v18
                                        ; implicit-def: $vgpr14_vgpr15
	s_and_saveexec_b64 s[4:5], vcc
	s_xor_b64 s[4:5], exec, s[4:5]
	s_cbranch_execz .LBB483_170
; %bb.169:
	s_waitcnt lgkmcnt(6)
	v_xor_b32_e32 v12, 0xfffffeff, v0
	v_ashrrev_i32_e32 v15, 31, v12
	v_add_co_u32_e32 v14, vcc, v19, v12
	v_addc_co_u32_e32 v15, vcc, v21, v15, vcc
                                        ; implicit-def: $vgpr32
.LBB483_170:
	s_andn2_saveexec_b64 s[4:5], s[4:5]
; %bb.171:
	v_add_co_u32_e32 v14, vcc, v1, v32
	v_addc_co_u32_e32 v15, vcc, 0, v16, vcc
; %bb.172:
	s_or_b64 exec, exec, s[4:5]
	v_lshlrev_b64 v[14:15], 2, v[14:15]
	s_waitcnt lgkmcnt(6)
	v_mov_b32_e32 v12, s25
	v_add_co_u32_e32 v14, vcc, s24, v14
	v_addc_co_u32_e32 v15, vcc, v12, v15, vcc
	global_store_dword v[14:15], v13, off
	s_or_b64 exec, exec, s[2:3]
	v_cmp_gt_u32_e32 vcc, s33, v31
	s_and_saveexec_b64 s[2:3], vcc
	s_cbranch_execnz .LBB483_138
.LBB483_173:
	s_or_b64 exec, exec, s[2:3]
	v_cmp_gt_u32_e32 vcc, s33, v30
	s_and_saveexec_b64 s[2:3], vcc
	s_cbranch_execz .LBB483_143
.LBB483_174:
	v_cmp_ge_u32_e32 vcc, v30, v18
                                        ; implicit-def: $vgpr12_vgpr13
	s_and_saveexec_b64 s[4:5], vcc
	s_xor_b64 s[4:5], exec, s[4:5]
	s_cbranch_execz .LBB483_176
; %bb.175:
	s_waitcnt lgkmcnt(5)
	v_xor_b32_e32 v10, 0xfffffcff, v0
	v_ashrrev_i32_e32 v13, 31, v10
	v_add_co_u32_e32 v12, vcc, v19, v10
	v_addc_co_u32_e32 v13, vcc, v21, v13, vcc
                                        ; implicit-def: $vgpr30
.LBB483_176:
	s_andn2_saveexec_b64 s[4:5], s[4:5]
	s_cbranch_execz .LBB483_178
; %bb.177:
	s_waitcnt lgkmcnt(6)
	v_add_co_u32_e32 v12, vcc, v1, v30
	v_addc_co_u32_e32 v13, vcc, 0, v16, vcc
.LBB483_178:
	s_or_b64 exec, exec, s[4:5]
	s_waitcnt lgkmcnt(6)
	v_lshlrev_b64 v[12:13], 2, v[12:13]
	s_waitcnt lgkmcnt(5)
	v_mov_b32_e32 v10, s25
	v_add_co_u32_e32 v12, vcc, s24, v12
	v_addc_co_u32_e32 v13, vcc, v10, v13, vcc
	global_store_dword v[12:13], v11, off
	s_or_b64 exec, exec, s[2:3]
	v_cmp_gt_u32_e32 vcc, s33, v29
	s_and_saveexec_b64 s[2:3], vcc
	s_cbranch_execnz .LBB483_144
.LBB483_179:
	s_or_b64 exec, exec, s[2:3]
	v_cmp_gt_u32_e32 vcc, s33, v28
	s_and_saveexec_b64 s[2:3], vcc
	s_cbranch_execz .LBB483_149
.LBB483_180:
	v_cmp_ge_u32_e32 vcc, v28, v18
                                        ; implicit-def: $vgpr10_vgpr11
	s_and_saveexec_b64 s[4:5], vcc
	s_xor_b64 s[4:5], exec, s[4:5]
	s_cbranch_execz .LBB483_182
; %bb.181:
	s_waitcnt lgkmcnt(4)
	v_xor_b32_e32 v8, 0xfffffaff, v0
	v_ashrrev_i32_e32 v11, 31, v8
	v_add_co_u32_e32 v10, vcc, v19, v8
	v_addc_co_u32_e32 v11, vcc, v21, v11, vcc
                                        ; implicit-def: $vgpr28
.LBB483_182:
	s_andn2_saveexec_b64 s[4:5], s[4:5]
	s_cbranch_execz .LBB483_184
; %bb.183:
	s_waitcnt lgkmcnt(5)
	v_add_co_u32_e32 v10, vcc, v1, v28
	v_addc_co_u32_e32 v11, vcc, 0, v16, vcc
.LBB483_184:
	s_or_b64 exec, exec, s[4:5]
	s_waitcnt lgkmcnt(5)
	v_lshlrev_b64 v[10:11], 2, v[10:11]
	s_waitcnt lgkmcnt(4)
	v_mov_b32_e32 v8, s25
	v_add_co_u32_e32 v10, vcc, s24, v10
	v_addc_co_u32_e32 v11, vcc, v8, v11, vcc
	global_store_dword v[10:11], v9, off
	s_or_b64 exec, exec, s[2:3]
	v_cmp_gt_u32_e32 vcc, s33, v27
	s_and_saveexec_b64 s[2:3], vcc
	s_cbranch_execnz .LBB483_150
.LBB483_185:
	s_or_b64 exec, exec, s[2:3]
	v_cmp_gt_u32_e32 vcc, s33, v26
	s_and_saveexec_b64 s[2:3], vcc
	s_cbranch_execz .LBB483_155
.LBB483_186:
	v_cmp_ge_u32_e32 vcc, v26, v18
                                        ; implicit-def: $vgpr8_vgpr9
	s_and_saveexec_b64 s[4:5], vcc
	s_xor_b64 s[4:5], exec, s[4:5]
	s_cbranch_execz .LBB483_188
; %bb.187:
	s_waitcnt lgkmcnt(3)
	v_xor_b32_e32 v6, 0xfffff8ff, v0
	v_ashrrev_i32_e32 v9, 31, v6
	v_add_co_u32_e32 v8, vcc, v19, v6
	v_addc_co_u32_e32 v9, vcc, v21, v9, vcc
                                        ; implicit-def: $vgpr26
.LBB483_188:
	s_andn2_saveexec_b64 s[4:5], s[4:5]
	s_cbranch_execz .LBB483_190
; %bb.189:
	s_waitcnt lgkmcnt(4)
	v_add_co_u32_e32 v8, vcc, v1, v26
	v_addc_co_u32_e32 v9, vcc, 0, v16, vcc
.LBB483_190:
	s_or_b64 exec, exec, s[4:5]
	s_waitcnt lgkmcnt(4)
	v_lshlrev_b64 v[8:9], 2, v[8:9]
	s_waitcnt lgkmcnt(3)
	v_mov_b32_e32 v6, s25
	v_add_co_u32_e32 v8, vcc, s24, v8
	v_addc_co_u32_e32 v9, vcc, v6, v9, vcc
	global_store_dword v[8:9], v7, off
	s_or_b64 exec, exec, s[2:3]
	v_cmp_gt_u32_e32 vcc, s33, v25
	s_and_saveexec_b64 s[2:3], vcc
	s_cbranch_execnz .LBB483_156
.LBB483_191:
	s_or_b64 exec, exec, s[2:3]
	v_cmp_gt_u32_e32 vcc, s33, v24
	s_and_saveexec_b64 s[2:3], vcc
	s_cbranch_execz .LBB483_161
.LBB483_192:
	v_cmp_ge_u32_e32 vcc, v24, v18
                                        ; implicit-def: $vgpr6_vgpr7
	s_and_saveexec_b64 s[4:5], vcc
	s_xor_b64 s[4:5], exec, s[4:5]
	s_cbranch_execz .LBB483_194
; %bb.193:
	s_waitcnt lgkmcnt(2)
	v_xor_b32_e32 v4, 0xfffff6ff, v0
	v_ashrrev_i32_e32 v7, 31, v4
	v_add_co_u32_e32 v6, vcc, v19, v4
	v_addc_co_u32_e32 v7, vcc, v21, v7, vcc
                                        ; implicit-def: $vgpr24
.LBB483_194:
	s_andn2_saveexec_b64 s[4:5], s[4:5]
	s_cbranch_execz .LBB483_196
; %bb.195:
	s_waitcnt lgkmcnt(3)
	v_add_co_u32_e32 v6, vcc, v1, v24
	v_addc_co_u32_e32 v7, vcc, 0, v16, vcc
.LBB483_196:
	s_or_b64 exec, exec, s[4:5]
	s_waitcnt lgkmcnt(3)
	v_lshlrev_b64 v[6:7], 2, v[6:7]
	s_waitcnt lgkmcnt(2)
	v_mov_b32_e32 v4, s25
	v_add_co_u32_e32 v6, vcc, s24, v6
	v_addc_co_u32_e32 v7, vcc, v4, v7, vcc
	global_store_dword v[6:7], v5, off
	s_or_b64 exec, exec, s[2:3]
	v_cmp_gt_u32_e32 vcc, s33, v23
	s_and_saveexec_b64 s[2:3], vcc
	s_cbranch_execnz .LBB483_162
.LBB483_197:
	s_or_b64 exec, exec, s[2:3]
	v_cmp_gt_u32_e32 vcc, s33, v22
	s_and_saveexec_b64 s[2:3], vcc
	s_cbranch_execz .LBB483_203
.LBB483_198:
	v_cmp_ge_u32_e32 vcc, v22, v18
                                        ; implicit-def: $vgpr4_vgpr5
	s_and_saveexec_b64 s[4:5], vcc
	s_xor_b64 s[4:5], exec, s[4:5]
	s_cbranch_execz .LBB483_200
; %bb.199:
	s_waitcnt lgkmcnt(1)
	v_xor_b32_e32 v2, 0xfffff4ff, v0
	v_ashrrev_i32_e32 v5, 31, v2
	v_add_co_u32_e32 v4, vcc, v19, v2
	v_addc_co_u32_e32 v5, vcc, v21, v5, vcc
                                        ; implicit-def: $vgpr22
.LBB483_200:
	s_andn2_saveexec_b64 s[4:5], s[4:5]
	s_cbranch_execz .LBB483_202
; %bb.201:
	s_waitcnt lgkmcnt(2)
	v_add_co_u32_e32 v4, vcc, v1, v22
	v_addc_co_u32_e32 v5, vcc, 0, v16, vcc
.LBB483_202:
	s_or_b64 exec, exec, s[4:5]
	s_waitcnt lgkmcnt(2)
	v_lshlrev_b64 v[4:5], 2, v[4:5]
	s_waitcnt lgkmcnt(1)
	v_mov_b32_e32 v2, s25
	v_add_co_u32_e32 v4, vcc, s24, v4
	v_addc_co_u32_e32 v5, vcc, v2, v5, vcc
	global_store_dword v[4:5], v3, off
.LBB483_203:
	s_or_b64 exec, exec, s[2:3]
	v_cmp_gt_u32_e32 vcc, s33, v20
                                        ; implicit-def: $vgpr14_vgpr15
	s_and_saveexec_b64 s[2:3], vcc
	s_cbranch_execz .LBB483_209
; %bb.204:
	v_cmp_ge_u32_e32 vcc, v20, v18
                                        ; implicit-def: $vgpr14_vgpr15
	s_and_saveexec_b64 s[4:5], vcc
	s_xor_b64 s[4:5], exec, s[4:5]
	s_cbranch_execz .LBB483_206
; %bb.205:
	s_waitcnt lgkmcnt(1)
	v_xor_b32_e32 v2, 0xfffff3ff, v0
	v_ashrrev_i32_e32 v3, 31, v2
	v_add_co_u32_e32 v14, vcc, v19, v2
	v_addc_co_u32_e32 v15, vcc, v21, v3, vcc
                                        ; implicit-def: $vgpr20
.LBB483_206:
	s_andn2_saveexec_b64 s[4:5], s[4:5]
; %bb.207:
	v_add_co_u32_e32 v14, vcc, v1, v20
	v_addc_co_u32_e32 v15, vcc, 0, v16, vcc
; %bb.208:
	s_or_b64 exec, exec, s[4:5]
	s_or_b64 s[0:1], s[0:1], exec
.LBB483_209:
	s_or_b64 exec, exec, s[2:3]
.LBB483_210:
	s_and_saveexec_b64 s[2:3], s[0:1]
	s_cbranch_execz .LBB483_212
; %bb.211:
	s_waitcnt lgkmcnt(1)
	v_lshlrev_b64 v[2:3], 2, v[14:15]
	v_mov_b32_e32 v4, s25
	v_add_co_u32_e32 v2, vcc, s24, v2
	v_addc_co_u32_e32 v3, vcc, v4, v3, vcc
	s_waitcnt lgkmcnt(0)
	global_store_dword v[2:3], v17, off
.LBB483_212:
	s_or_b64 exec, exec, s[2:3]
	v_cmp_eq_u32_e32 vcc, 0, v0
	s_and_b64 s[0:1], vcc, s[22:23]
	s_and_saveexec_b64 s[2:3], s[0:1]
	s_cbranch_execz .LBB483_214
; %bb.213:
	v_add_co_u32_e32 v0, vcc, v1, v18
	s_waitcnt lgkmcnt(1)
	v_mov_b32_e32 v2, 0
	v_addc_co_u32_e32 v1, vcc, 0, v16, vcc
	global_store_dwordx2 v2, v[0:1], s[20:21]
.LBB483_214:
	s_endpgm
	.section	.rodata,"a",@progbits
	.p2align	6, 0x0
	.amdhsa_kernel _ZN7rocprim17ROCPRIM_400000_NS6detail17trampoline_kernelINS0_13select_configILj256ELj13ELNS0_17block_load_methodE3ELS4_3ELS4_3ELNS0_20block_scan_algorithmE0ELj4294967295EEENS1_25partition_config_selectorILNS1_17partition_subalgoE3EjNS0_10empty_typeEbEEZZNS1_14partition_implILS8_3ELb0ES6_jNS0_17counting_iteratorIjlEEPS9_SE_NS0_5tupleIJPjSE_EEENSF_IJSE_SE_EEES9_SG_JZNS1_25segmented_radix_sort_implINS0_14default_configELb1EPKiPiPKlPlN2at6native12_GLOBAL__N_18offset_tEEE10hipError_tPvRmT1_PNSt15iterator_traitsISY_E10value_typeET2_T3_PNSZ_IS14_E10value_typeET4_jRbjT5_S1A_jjP12ihipStream_tbEUljE_EEESV_SW_SX_S14_S18_S1A_T6_T7_T9_mT8_S1C_bDpT10_ENKUlT_T0_E_clISt17integral_constantIbLb1EES1O_IbLb0EEEEDaS1K_S1L_EUlS1K_E_NS1_11comp_targetILNS1_3genE4ELNS1_11target_archE910ELNS1_3gpuE8ELNS1_3repE0EEENS1_30default_config_static_selectorELNS0_4arch9wavefront6targetE1EEEvSY_
		.amdhsa_group_segment_fixed_size 13324
		.amdhsa_private_segment_fixed_size 0
		.amdhsa_kernarg_size 144
		.amdhsa_user_sgpr_count 6
		.amdhsa_user_sgpr_private_segment_buffer 1
		.amdhsa_user_sgpr_dispatch_ptr 0
		.amdhsa_user_sgpr_queue_ptr 0
		.amdhsa_user_sgpr_kernarg_segment_ptr 1
		.amdhsa_user_sgpr_dispatch_id 0
		.amdhsa_user_sgpr_flat_scratch_init 0
		.amdhsa_user_sgpr_kernarg_preload_length 0
		.amdhsa_user_sgpr_kernarg_preload_offset 0
		.amdhsa_user_sgpr_private_segment_size 0
		.amdhsa_uses_dynamic_stack 0
		.amdhsa_system_sgpr_private_segment_wavefront_offset 0
		.amdhsa_system_sgpr_workgroup_id_x 1
		.amdhsa_system_sgpr_workgroup_id_y 0
		.amdhsa_system_sgpr_workgroup_id_z 0
		.amdhsa_system_sgpr_workgroup_info 0
		.amdhsa_system_vgpr_workitem_id 0
		.amdhsa_next_free_vgpr 61
		.amdhsa_next_free_sgpr 46
		.amdhsa_accum_offset 64
		.amdhsa_reserve_vcc 1
		.amdhsa_reserve_flat_scratch 0
		.amdhsa_float_round_mode_32 0
		.amdhsa_float_round_mode_16_64 0
		.amdhsa_float_denorm_mode_32 3
		.amdhsa_float_denorm_mode_16_64 3
		.amdhsa_dx10_clamp 1
		.amdhsa_ieee_mode 1
		.amdhsa_fp16_overflow 0
		.amdhsa_tg_split 0
		.amdhsa_exception_fp_ieee_invalid_op 0
		.amdhsa_exception_fp_denorm_src 0
		.amdhsa_exception_fp_ieee_div_zero 0
		.amdhsa_exception_fp_ieee_overflow 0
		.amdhsa_exception_fp_ieee_underflow 0
		.amdhsa_exception_fp_ieee_inexact 0
		.amdhsa_exception_int_div_zero 0
	.end_amdhsa_kernel
	.section	.text._ZN7rocprim17ROCPRIM_400000_NS6detail17trampoline_kernelINS0_13select_configILj256ELj13ELNS0_17block_load_methodE3ELS4_3ELS4_3ELNS0_20block_scan_algorithmE0ELj4294967295EEENS1_25partition_config_selectorILNS1_17partition_subalgoE3EjNS0_10empty_typeEbEEZZNS1_14partition_implILS8_3ELb0ES6_jNS0_17counting_iteratorIjlEEPS9_SE_NS0_5tupleIJPjSE_EEENSF_IJSE_SE_EEES9_SG_JZNS1_25segmented_radix_sort_implINS0_14default_configELb1EPKiPiPKlPlN2at6native12_GLOBAL__N_18offset_tEEE10hipError_tPvRmT1_PNSt15iterator_traitsISY_E10value_typeET2_T3_PNSZ_IS14_E10value_typeET4_jRbjT5_S1A_jjP12ihipStream_tbEUljE_EEESV_SW_SX_S14_S18_S1A_T6_T7_T9_mT8_S1C_bDpT10_ENKUlT_T0_E_clISt17integral_constantIbLb1EES1O_IbLb0EEEEDaS1K_S1L_EUlS1K_E_NS1_11comp_targetILNS1_3genE4ELNS1_11target_archE910ELNS1_3gpuE8ELNS1_3repE0EEENS1_30default_config_static_selectorELNS0_4arch9wavefront6targetE1EEEvSY_,"axG",@progbits,_ZN7rocprim17ROCPRIM_400000_NS6detail17trampoline_kernelINS0_13select_configILj256ELj13ELNS0_17block_load_methodE3ELS4_3ELS4_3ELNS0_20block_scan_algorithmE0ELj4294967295EEENS1_25partition_config_selectorILNS1_17partition_subalgoE3EjNS0_10empty_typeEbEEZZNS1_14partition_implILS8_3ELb0ES6_jNS0_17counting_iteratorIjlEEPS9_SE_NS0_5tupleIJPjSE_EEENSF_IJSE_SE_EEES9_SG_JZNS1_25segmented_radix_sort_implINS0_14default_configELb1EPKiPiPKlPlN2at6native12_GLOBAL__N_18offset_tEEE10hipError_tPvRmT1_PNSt15iterator_traitsISY_E10value_typeET2_T3_PNSZ_IS14_E10value_typeET4_jRbjT5_S1A_jjP12ihipStream_tbEUljE_EEESV_SW_SX_S14_S18_S1A_T6_T7_T9_mT8_S1C_bDpT10_ENKUlT_T0_E_clISt17integral_constantIbLb1EES1O_IbLb0EEEEDaS1K_S1L_EUlS1K_E_NS1_11comp_targetILNS1_3genE4ELNS1_11target_archE910ELNS1_3gpuE8ELNS1_3repE0EEENS1_30default_config_static_selectorELNS0_4arch9wavefront6targetE1EEEvSY_,comdat
.Lfunc_end483:
	.size	_ZN7rocprim17ROCPRIM_400000_NS6detail17trampoline_kernelINS0_13select_configILj256ELj13ELNS0_17block_load_methodE3ELS4_3ELS4_3ELNS0_20block_scan_algorithmE0ELj4294967295EEENS1_25partition_config_selectorILNS1_17partition_subalgoE3EjNS0_10empty_typeEbEEZZNS1_14partition_implILS8_3ELb0ES6_jNS0_17counting_iteratorIjlEEPS9_SE_NS0_5tupleIJPjSE_EEENSF_IJSE_SE_EEES9_SG_JZNS1_25segmented_radix_sort_implINS0_14default_configELb1EPKiPiPKlPlN2at6native12_GLOBAL__N_18offset_tEEE10hipError_tPvRmT1_PNSt15iterator_traitsISY_E10value_typeET2_T3_PNSZ_IS14_E10value_typeET4_jRbjT5_S1A_jjP12ihipStream_tbEUljE_EEESV_SW_SX_S14_S18_S1A_T6_T7_T9_mT8_S1C_bDpT10_ENKUlT_T0_E_clISt17integral_constantIbLb1EES1O_IbLb0EEEEDaS1K_S1L_EUlS1K_E_NS1_11comp_targetILNS1_3genE4ELNS1_11target_archE910ELNS1_3gpuE8ELNS1_3repE0EEENS1_30default_config_static_selectorELNS0_4arch9wavefront6targetE1EEEvSY_, .Lfunc_end483-_ZN7rocprim17ROCPRIM_400000_NS6detail17trampoline_kernelINS0_13select_configILj256ELj13ELNS0_17block_load_methodE3ELS4_3ELS4_3ELNS0_20block_scan_algorithmE0ELj4294967295EEENS1_25partition_config_selectorILNS1_17partition_subalgoE3EjNS0_10empty_typeEbEEZZNS1_14partition_implILS8_3ELb0ES6_jNS0_17counting_iteratorIjlEEPS9_SE_NS0_5tupleIJPjSE_EEENSF_IJSE_SE_EEES9_SG_JZNS1_25segmented_radix_sort_implINS0_14default_configELb1EPKiPiPKlPlN2at6native12_GLOBAL__N_18offset_tEEE10hipError_tPvRmT1_PNSt15iterator_traitsISY_E10value_typeET2_T3_PNSZ_IS14_E10value_typeET4_jRbjT5_S1A_jjP12ihipStream_tbEUljE_EEESV_SW_SX_S14_S18_S1A_T6_T7_T9_mT8_S1C_bDpT10_ENKUlT_T0_E_clISt17integral_constantIbLb1EES1O_IbLb0EEEEDaS1K_S1L_EUlS1K_E_NS1_11comp_targetILNS1_3genE4ELNS1_11target_archE910ELNS1_3gpuE8ELNS1_3repE0EEENS1_30default_config_static_selectorELNS0_4arch9wavefront6targetE1EEEvSY_
                                        ; -- End function
	.section	.AMDGPU.csdata,"",@progbits
; Kernel info:
; codeLenInByte = 7756
; NumSgprs: 50
; NumVgprs: 61
; NumAgprs: 0
; TotalNumVgprs: 61
; ScratchSize: 0
; MemoryBound: 0
; FloatMode: 240
; IeeeMode: 1
; LDSByteSize: 13324 bytes/workgroup (compile time only)
; SGPRBlocks: 6
; VGPRBlocks: 7
; NumSGPRsForWavesPerEU: 50
; NumVGPRsForWavesPerEU: 61
; AccumOffset: 64
; Occupancy: 4
; WaveLimiterHint : 0
; COMPUTE_PGM_RSRC2:SCRATCH_EN: 0
; COMPUTE_PGM_RSRC2:USER_SGPR: 6
; COMPUTE_PGM_RSRC2:TRAP_HANDLER: 0
; COMPUTE_PGM_RSRC2:TGID_X_EN: 1
; COMPUTE_PGM_RSRC2:TGID_Y_EN: 0
; COMPUTE_PGM_RSRC2:TGID_Z_EN: 0
; COMPUTE_PGM_RSRC2:TIDIG_COMP_CNT: 0
; COMPUTE_PGM_RSRC3_GFX90A:ACCUM_OFFSET: 15
; COMPUTE_PGM_RSRC3_GFX90A:TG_SPLIT: 0
	.section	.text._ZN7rocprim17ROCPRIM_400000_NS6detail17trampoline_kernelINS0_13select_configILj256ELj13ELNS0_17block_load_methodE3ELS4_3ELS4_3ELNS0_20block_scan_algorithmE0ELj4294967295EEENS1_25partition_config_selectorILNS1_17partition_subalgoE3EjNS0_10empty_typeEbEEZZNS1_14partition_implILS8_3ELb0ES6_jNS0_17counting_iteratorIjlEEPS9_SE_NS0_5tupleIJPjSE_EEENSF_IJSE_SE_EEES9_SG_JZNS1_25segmented_radix_sort_implINS0_14default_configELb1EPKiPiPKlPlN2at6native12_GLOBAL__N_18offset_tEEE10hipError_tPvRmT1_PNSt15iterator_traitsISY_E10value_typeET2_T3_PNSZ_IS14_E10value_typeET4_jRbjT5_S1A_jjP12ihipStream_tbEUljE_EEESV_SW_SX_S14_S18_S1A_T6_T7_T9_mT8_S1C_bDpT10_ENKUlT_T0_E_clISt17integral_constantIbLb1EES1O_IbLb0EEEEDaS1K_S1L_EUlS1K_E_NS1_11comp_targetILNS1_3genE3ELNS1_11target_archE908ELNS1_3gpuE7ELNS1_3repE0EEENS1_30default_config_static_selectorELNS0_4arch9wavefront6targetE1EEEvSY_,"axG",@progbits,_ZN7rocprim17ROCPRIM_400000_NS6detail17trampoline_kernelINS0_13select_configILj256ELj13ELNS0_17block_load_methodE3ELS4_3ELS4_3ELNS0_20block_scan_algorithmE0ELj4294967295EEENS1_25partition_config_selectorILNS1_17partition_subalgoE3EjNS0_10empty_typeEbEEZZNS1_14partition_implILS8_3ELb0ES6_jNS0_17counting_iteratorIjlEEPS9_SE_NS0_5tupleIJPjSE_EEENSF_IJSE_SE_EEES9_SG_JZNS1_25segmented_radix_sort_implINS0_14default_configELb1EPKiPiPKlPlN2at6native12_GLOBAL__N_18offset_tEEE10hipError_tPvRmT1_PNSt15iterator_traitsISY_E10value_typeET2_T3_PNSZ_IS14_E10value_typeET4_jRbjT5_S1A_jjP12ihipStream_tbEUljE_EEESV_SW_SX_S14_S18_S1A_T6_T7_T9_mT8_S1C_bDpT10_ENKUlT_T0_E_clISt17integral_constantIbLb1EES1O_IbLb0EEEEDaS1K_S1L_EUlS1K_E_NS1_11comp_targetILNS1_3genE3ELNS1_11target_archE908ELNS1_3gpuE7ELNS1_3repE0EEENS1_30default_config_static_selectorELNS0_4arch9wavefront6targetE1EEEvSY_,comdat
	.globl	_ZN7rocprim17ROCPRIM_400000_NS6detail17trampoline_kernelINS0_13select_configILj256ELj13ELNS0_17block_load_methodE3ELS4_3ELS4_3ELNS0_20block_scan_algorithmE0ELj4294967295EEENS1_25partition_config_selectorILNS1_17partition_subalgoE3EjNS0_10empty_typeEbEEZZNS1_14partition_implILS8_3ELb0ES6_jNS0_17counting_iteratorIjlEEPS9_SE_NS0_5tupleIJPjSE_EEENSF_IJSE_SE_EEES9_SG_JZNS1_25segmented_radix_sort_implINS0_14default_configELb1EPKiPiPKlPlN2at6native12_GLOBAL__N_18offset_tEEE10hipError_tPvRmT1_PNSt15iterator_traitsISY_E10value_typeET2_T3_PNSZ_IS14_E10value_typeET4_jRbjT5_S1A_jjP12ihipStream_tbEUljE_EEESV_SW_SX_S14_S18_S1A_T6_T7_T9_mT8_S1C_bDpT10_ENKUlT_T0_E_clISt17integral_constantIbLb1EES1O_IbLb0EEEEDaS1K_S1L_EUlS1K_E_NS1_11comp_targetILNS1_3genE3ELNS1_11target_archE908ELNS1_3gpuE7ELNS1_3repE0EEENS1_30default_config_static_selectorELNS0_4arch9wavefront6targetE1EEEvSY_ ; -- Begin function _ZN7rocprim17ROCPRIM_400000_NS6detail17trampoline_kernelINS0_13select_configILj256ELj13ELNS0_17block_load_methodE3ELS4_3ELS4_3ELNS0_20block_scan_algorithmE0ELj4294967295EEENS1_25partition_config_selectorILNS1_17partition_subalgoE3EjNS0_10empty_typeEbEEZZNS1_14partition_implILS8_3ELb0ES6_jNS0_17counting_iteratorIjlEEPS9_SE_NS0_5tupleIJPjSE_EEENSF_IJSE_SE_EEES9_SG_JZNS1_25segmented_radix_sort_implINS0_14default_configELb1EPKiPiPKlPlN2at6native12_GLOBAL__N_18offset_tEEE10hipError_tPvRmT1_PNSt15iterator_traitsISY_E10value_typeET2_T3_PNSZ_IS14_E10value_typeET4_jRbjT5_S1A_jjP12ihipStream_tbEUljE_EEESV_SW_SX_S14_S18_S1A_T6_T7_T9_mT8_S1C_bDpT10_ENKUlT_T0_E_clISt17integral_constantIbLb1EES1O_IbLb0EEEEDaS1K_S1L_EUlS1K_E_NS1_11comp_targetILNS1_3genE3ELNS1_11target_archE908ELNS1_3gpuE7ELNS1_3repE0EEENS1_30default_config_static_selectorELNS0_4arch9wavefront6targetE1EEEvSY_
	.p2align	8
	.type	_ZN7rocprim17ROCPRIM_400000_NS6detail17trampoline_kernelINS0_13select_configILj256ELj13ELNS0_17block_load_methodE3ELS4_3ELS4_3ELNS0_20block_scan_algorithmE0ELj4294967295EEENS1_25partition_config_selectorILNS1_17partition_subalgoE3EjNS0_10empty_typeEbEEZZNS1_14partition_implILS8_3ELb0ES6_jNS0_17counting_iteratorIjlEEPS9_SE_NS0_5tupleIJPjSE_EEENSF_IJSE_SE_EEES9_SG_JZNS1_25segmented_radix_sort_implINS0_14default_configELb1EPKiPiPKlPlN2at6native12_GLOBAL__N_18offset_tEEE10hipError_tPvRmT1_PNSt15iterator_traitsISY_E10value_typeET2_T3_PNSZ_IS14_E10value_typeET4_jRbjT5_S1A_jjP12ihipStream_tbEUljE_EEESV_SW_SX_S14_S18_S1A_T6_T7_T9_mT8_S1C_bDpT10_ENKUlT_T0_E_clISt17integral_constantIbLb1EES1O_IbLb0EEEEDaS1K_S1L_EUlS1K_E_NS1_11comp_targetILNS1_3genE3ELNS1_11target_archE908ELNS1_3gpuE7ELNS1_3repE0EEENS1_30default_config_static_selectorELNS0_4arch9wavefront6targetE1EEEvSY_,@function
_ZN7rocprim17ROCPRIM_400000_NS6detail17trampoline_kernelINS0_13select_configILj256ELj13ELNS0_17block_load_methodE3ELS4_3ELS4_3ELNS0_20block_scan_algorithmE0ELj4294967295EEENS1_25partition_config_selectorILNS1_17partition_subalgoE3EjNS0_10empty_typeEbEEZZNS1_14partition_implILS8_3ELb0ES6_jNS0_17counting_iteratorIjlEEPS9_SE_NS0_5tupleIJPjSE_EEENSF_IJSE_SE_EEES9_SG_JZNS1_25segmented_radix_sort_implINS0_14default_configELb1EPKiPiPKlPlN2at6native12_GLOBAL__N_18offset_tEEE10hipError_tPvRmT1_PNSt15iterator_traitsISY_E10value_typeET2_T3_PNSZ_IS14_E10value_typeET4_jRbjT5_S1A_jjP12ihipStream_tbEUljE_EEESV_SW_SX_S14_S18_S1A_T6_T7_T9_mT8_S1C_bDpT10_ENKUlT_T0_E_clISt17integral_constantIbLb1EES1O_IbLb0EEEEDaS1K_S1L_EUlS1K_E_NS1_11comp_targetILNS1_3genE3ELNS1_11target_archE908ELNS1_3gpuE7ELNS1_3repE0EEENS1_30default_config_static_selectorELNS0_4arch9wavefront6targetE1EEEvSY_: ; @_ZN7rocprim17ROCPRIM_400000_NS6detail17trampoline_kernelINS0_13select_configILj256ELj13ELNS0_17block_load_methodE3ELS4_3ELS4_3ELNS0_20block_scan_algorithmE0ELj4294967295EEENS1_25partition_config_selectorILNS1_17partition_subalgoE3EjNS0_10empty_typeEbEEZZNS1_14partition_implILS8_3ELb0ES6_jNS0_17counting_iteratorIjlEEPS9_SE_NS0_5tupleIJPjSE_EEENSF_IJSE_SE_EEES9_SG_JZNS1_25segmented_radix_sort_implINS0_14default_configELb1EPKiPiPKlPlN2at6native12_GLOBAL__N_18offset_tEEE10hipError_tPvRmT1_PNSt15iterator_traitsISY_E10value_typeET2_T3_PNSZ_IS14_E10value_typeET4_jRbjT5_S1A_jjP12ihipStream_tbEUljE_EEESV_SW_SX_S14_S18_S1A_T6_T7_T9_mT8_S1C_bDpT10_ENKUlT_T0_E_clISt17integral_constantIbLb1EES1O_IbLb0EEEEDaS1K_S1L_EUlS1K_E_NS1_11comp_targetILNS1_3genE3ELNS1_11target_archE908ELNS1_3gpuE7ELNS1_3repE0EEENS1_30default_config_static_selectorELNS0_4arch9wavefront6targetE1EEEvSY_
; %bb.0:
	.section	.rodata,"a",@progbits
	.p2align	6, 0x0
	.amdhsa_kernel _ZN7rocprim17ROCPRIM_400000_NS6detail17trampoline_kernelINS0_13select_configILj256ELj13ELNS0_17block_load_methodE3ELS4_3ELS4_3ELNS0_20block_scan_algorithmE0ELj4294967295EEENS1_25partition_config_selectorILNS1_17partition_subalgoE3EjNS0_10empty_typeEbEEZZNS1_14partition_implILS8_3ELb0ES6_jNS0_17counting_iteratorIjlEEPS9_SE_NS0_5tupleIJPjSE_EEENSF_IJSE_SE_EEES9_SG_JZNS1_25segmented_radix_sort_implINS0_14default_configELb1EPKiPiPKlPlN2at6native12_GLOBAL__N_18offset_tEEE10hipError_tPvRmT1_PNSt15iterator_traitsISY_E10value_typeET2_T3_PNSZ_IS14_E10value_typeET4_jRbjT5_S1A_jjP12ihipStream_tbEUljE_EEESV_SW_SX_S14_S18_S1A_T6_T7_T9_mT8_S1C_bDpT10_ENKUlT_T0_E_clISt17integral_constantIbLb1EES1O_IbLb0EEEEDaS1K_S1L_EUlS1K_E_NS1_11comp_targetILNS1_3genE3ELNS1_11target_archE908ELNS1_3gpuE7ELNS1_3repE0EEENS1_30default_config_static_selectorELNS0_4arch9wavefront6targetE1EEEvSY_
		.amdhsa_group_segment_fixed_size 0
		.amdhsa_private_segment_fixed_size 0
		.amdhsa_kernarg_size 144
		.amdhsa_user_sgpr_count 6
		.amdhsa_user_sgpr_private_segment_buffer 1
		.amdhsa_user_sgpr_dispatch_ptr 0
		.amdhsa_user_sgpr_queue_ptr 0
		.amdhsa_user_sgpr_kernarg_segment_ptr 1
		.amdhsa_user_sgpr_dispatch_id 0
		.amdhsa_user_sgpr_flat_scratch_init 0
		.amdhsa_user_sgpr_kernarg_preload_length 0
		.amdhsa_user_sgpr_kernarg_preload_offset 0
		.amdhsa_user_sgpr_private_segment_size 0
		.amdhsa_uses_dynamic_stack 0
		.amdhsa_system_sgpr_private_segment_wavefront_offset 0
		.amdhsa_system_sgpr_workgroup_id_x 1
		.amdhsa_system_sgpr_workgroup_id_y 0
		.amdhsa_system_sgpr_workgroup_id_z 0
		.amdhsa_system_sgpr_workgroup_info 0
		.amdhsa_system_vgpr_workitem_id 0
		.amdhsa_next_free_vgpr 1
		.amdhsa_next_free_sgpr 0
		.amdhsa_accum_offset 4
		.amdhsa_reserve_vcc 0
		.amdhsa_reserve_flat_scratch 0
		.amdhsa_float_round_mode_32 0
		.amdhsa_float_round_mode_16_64 0
		.amdhsa_float_denorm_mode_32 3
		.amdhsa_float_denorm_mode_16_64 3
		.amdhsa_dx10_clamp 1
		.amdhsa_ieee_mode 1
		.amdhsa_fp16_overflow 0
		.amdhsa_tg_split 0
		.amdhsa_exception_fp_ieee_invalid_op 0
		.amdhsa_exception_fp_denorm_src 0
		.amdhsa_exception_fp_ieee_div_zero 0
		.amdhsa_exception_fp_ieee_overflow 0
		.amdhsa_exception_fp_ieee_underflow 0
		.amdhsa_exception_fp_ieee_inexact 0
		.amdhsa_exception_int_div_zero 0
	.end_amdhsa_kernel
	.section	.text._ZN7rocprim17ROCPRIM_400000_NS6detail17trampoline_kernelINS0_13select_configILj256ELj13ELNS0_17block_load_methodE3ELS4_3ELS4_3ELNS0_20block_scan_algorithmE0ELj4294967295EEENS1_25partition_config_selectorILNS1_17partition_subalgoE3EjNS0_10empty_typeEbEEZZNS1_14partition_implILS8_3ELb0ES6_jNS0_17counting_iteratorIjlEEPS9_SE_NS0_5tupleIJPjSE_EEENSF_IJSE_SE_EEES9_SG_JZNS1_25segmented_radix_sort_implINS0_14default_configELb1EPKiPiPKlPlN2at6native12_GLOBAL__N_18offset_tEEE10hipError_tPvRmT1_PNSt15iterator_traitsISY_E10value_typeET2_T3_PNSZ_IS14_E10value_typeET4_jRbjT5_S1A_jjP12ihipStream_tbEUljE_EEESV_SW_SX_S14_S18_S1A_T6_T7_T9_mT8_S1C_bDpT10_ENKUlT_T0_E_clISt17integral_constantIbLb1EES1O_IbLb0EEEEDaS1K_S1L_EUlS1K_E_NS1_11comp_targetILNS1_3genE3ELNS1_11target_archE908ELNS1_3gpuE7ELNS1_3repE0EEENS1_30default_config_static_selectorELNS0_4arch9wavefront6targetE1EEEvSY_,"axG",@progbits,_ZN7rocprim17ROCPRIM_400000_NS6detail17trampoline_kernelINS0_13select_configILj256ELj13ELNS0_17block_load_methodE3ELS4_3ELS4_3ELNS0_20block_scan_algorithmE0ELj4294967295EEENS1_25partition_config_selectorILNS1_17partition_subalgoE3EjNS0_10empty_typeEbEEZZNS1_14partition_implILS8_3ELb0ES6_jNS0_17counting_iteratorIjlEEPS9_SE_NS0_5tupleIJPjSE_EEENSF_IJSE_SE_EEES9_SG_JZNS1_25segmented_radix_sort_implINS0_14default_configELb1EPKiPiPKlPlN2at6native12_GLOBAL__N_18offset_tEEE10hipError_tPvRmT1_PNSt15iterator_traitsISY_E10value_typeET2_T3_PNSZ_IS14_E10value_typeET4_jRbjT5_S1A_jjP12ihipStream_tbEUljE_EEESV_SW_SX_S14_S18_S1A_T6_T7_T9_mT8_S1C_bDpT10_ENKUlT_T0_E_clISt17integral_constantIbLb1EES1O_IbLb0EEEEDaS1K_S1L_EUlS1K_E_NS1_11comp_targetILNS1_3genE3ELNS1_11target_archE908ELNS1_3gpuE7ELNS1_3repE0EEENS1_30default_config_static_selectorELNS0_4arch9wavefront6targetE1EEEvSY_,comdat
.Lfunc_end484:
	.size	_ZN7rocprim17ROCPRIM_400000_NS6detail17trampoline_kernelINS0_13select_configILj256ELj13ELNS0_17block_load_methodE3ELS4_3ELS4_3ELNS0_20block_scan_algorithmE0ELj4294967295EEENS1_25partition_config_selectorILNS1_17partition_subalgoE3EjNS0_10empty_typeEbEEZZNS1_14partition_implILS8_3ELb0ES6_jNS0_17counting_iteratorIjlEEPS9_SE_NS0_5tupleIJPjSE_EEENSF_IJSE_SE_EEES9_SG_JZNS1_25segmented_radix_sort_implINS0_14default_configELb1EPKiPiPKlPlN2at6native12_GLOBAL__N_18offset_tEEE10hipError_tPvRmT1_PNSt15iterator_traitsISY_E10value_typeET2_T3_PNSZ_IS14_E10value_typeET4_jRbjT5_S1A_jjP12ihipStream_tbEUljE_EEESV_SW_SX_S14_S18_S1A_T6_T7_T9_mT8_S1C_bDpT10_ENKUlT_T0_E_clISt17integral_constantIbLb1EES1O_IbLb0EEEEDaS1K_S1L_EUlS1K_E_NS1_11comp_targetILNS1_3genE3ELNS1_11target_archE908ELNS1_3gpuE7ELNS1_3repE0EEENS1_30default_config_static_selectorELNS0_4arch9wavefront6targetE1EEEvSY_, .Lfunc_end484-_ZN7rocprim17ROCPRIM_400000_NS6detail17trampoline_kernelINS0_13select_configILj256ELj13ELNS0_17block_load_methodE3ELS4_3ELS4_3ELNS0_20block_scan_algorithmE0ELj4294967295EEENS1_25partition_config_selectorILNS1_17partition_subalgoE3EjNS0_10empty_typeEbEEZZNS1_14partition_implILS8_3ELb0ES6_jNS0_17counting_iteratorIjlEEPS9_SE_NS0_5tupleIJPjSE_EEENSF_IJSE_SE_EEES9_SG_JZNS1_25segmented_radix_sort_implINS0_14default_configELb1EPKiPiPKlPlN2at6native12_GLOBAL__N_18offset_tEEE10hipError_tPvRmT1_PNSt15iterator_traitsISY_E10value_typeET2_T3_PNSZ_IS14_E10value_typeET4_jRbjT5_S1A_jjP12ihipStream_tbEUljE_EEESV_SW_SX_S14_S18_S1A_T6_T7_T9_mT8_S1C_bDpT10_ENKUlT_T0_E_clISt17integral_constantIbLb1EES1O_IbLb0EEEEDaS1K_S1L_EUlS1K_E_NS1_11comp_targetILNS1_3genE3ELNS1_11target_archE908ELNS1_3gpuE7ELNS1_3repE0EEENS1_30default_config_static_selectorELNS0_4arch9wavefront6targetE1EEEvSY_
                                        ; -- End function
	.section	.AMDGPU.csdata,"",@progbits
; Kernel info:
; codeLenInByte = 0
; NumSgprs: 4
; NumVgprs: 0
; NumAgprs: 0
; TotalNumVgprs: 0
; ScratchSize: 0
; MemoryBound: 0
; FloatMode: 240
; IeeeMode: 1
; LDSByteSize: 0 bytes/workgroup (compile time only)
; SGPRBlocks: 0
; VGPRBlocks: 0
; NumSGPRsForWavesPerEU: 4
; NumVGPRsForWavesPerEU: 1
; AccumOffset: 4
; Occupancy: 8
; WaveLimiterHint : 0
; COMPUTE_PGM_RSRC2:SCRATCH_EN: 0
; COMPUTE_PGM_RSRC2:USER_SGPR: 6
; COMPUTE_PGM_RSRC2:TRAP_HANDLER: 0
; COMPUTE_PGM_RSRC2:TGID_X_EN: 1
; COMPUTE_PGM_RSRC2:TGID_Y_EN: 0
; COMPUTE_PGM_RSRC2:TGID_Z_EN: 0
; COMPUTE_PGM_RSRC2:TIDIG_COMP_CNT: 0
; COMPUTE_PGM_RSRC3_GFX90A:ACCUM_OFFSET: 0
; COMPUTE_PGM_RSRC3_GFX90A:TG_SPLIT: 0
	.section	.text._ZN7rocprim17ROCPRIM_400000_NS6detail17trampoline_kernelINS0_13select_configILj256ELj13ELNS0_17block_load_methodE3ELS4_3ELS4_3ELNS0_20block_scan_algorithmE0ELj4294967295EEENS1_25partition_config_selectorILNS1_17partition_subalgoE3EjNS0_10empty_typeEbEEZZNS1_14partition_implILS8_3ELb0ES6_jNS0_17counting_iteratorIjlEEPS9_SE_NS0_5tupleIJPjSE_EEENSF_IJSE_SE_EEES9_SG_JZNS1_25segmented_radix_sort_implINS0_14default_configELb1EPKiPiPKlPlN2at6native12_GLOBAL__N_18offset_tEEE10hipError_tPvRmT1_PNSt15iterator_traitsISY_E10value_typeET2_T3_PNSZ_IS14_E10value_typeET4_jRbjT5_S1A_jjP12ihipStream_tbEUljE_EEESV_SW_SX_S14_S18_S1A_T6_T7_T9_mT8_S1C_bDpT10_ENKUlT_T0_E_clISt17integral_constantIbLb1EES1O_IbLb0EEEEDaS1K_S1L_EUlS1K_E_NS1_11comp_targetILNS1_3genE2ELNS1_11target_archE906ELNS1_3gpuE6ELNS1_3repE0EEENS1_30default_config_static_selectorELNS0_4arch9wavefront6targetE1EEEvSY_,"axG",@progbits,_ZN7rocprim17ROCPRIM_400000_NS6detail17trampoline_kernelINS0_13select_configILj256ELj13ELNS0_17block_load_methodE3ELS4_3ELS4_3ELNS0_20block_scan_algorithmE0ELj4294967295EEENS1_25partition_config_selectorILNS1_17partition_subalgoE3EjNS0_10empty_typeEbEEZZNS1_14partition_implILS8_3ELb0ES6_jNS0_17counting_iteratorIjlEEPS9_SE_NS0_5tupleIJPjSE_EEENSF_IJSE_SE_EEES9_SG_JZNS1_25segmented_radix_sort_implINS0_14default_configELb1EPKiPiPKlPlN2at6native12_GLOBAL__N_18offset_tEEE10hipError_tPvRmT1_PNSt15iterator_traitsISY_E10value_typeET2_T3_PNSZ_IS14_E10value_typeET4_jRbjT5_S1A_jjP12ihipStream_tbEUljE_EEESV_SW_SX_S14_S18_S1A_T6_T7_T9_mT8_S1C_bDpT10_ENKUlT_T0_E_clISt17integral_constantIbLb1EES1O_IbLb0EEEEDaS1K_S1L_EUlS1K_E_NS1_11comp_targetILNS1_3genE2ELNS1_11target_archE906ELNS1_3gpuE6ELNS1_3repE0EEENS1_30default_config_static_selectorELNS0_4arch9wavefront6targetE1EEEvSY_,comdat
	.globl	_ZN7rocprim17ROCPRIM_400000_NS6detail17trampoline_kernelINS0_13select_configILj256ELj13ELNS0_17block_load_methodE3ELS4_3ELS4_3ELNS0_20block_scan_algorithmE0ELj4294967295EEENS1_25partition_config_selectorILNS1_17partition_subalgoE3EjNS0_10empty_typeEbEEZZNS1_14partition_implILS8_3ELb0ES6_jNS0_17counting_iteratorIjlEEPS9_SE_NS0_5tupleIJPjSE_EEENSF_IJSE_SE_EEES9_SG_JZNS1_25segmented_radix_sort_implINS0_14default_configELb1EPKiPiPKlPlN2at6native12_GLOBAL__N_18offset_tEEE10hipError_tPvRmT1_PNSt15iterator_traitsISY_E10value_typeET2_T3_PNSZ_IS14_E10value_typeET4_jRbjT5_S1A_jjP12ihipStream_tbEUljE_EEESV_SW_SX_S14_S18_S1A_T6_T7_T9_mT8_S1C_bDpT10_ENKUlT_T0_E_clISt17integral_constantIbLb1EES1O_IbLb0EEEEDaS1K_S1L_EUlS1K_E_NS1_11comp_targetILNS1_3genE2ELNS1_11target_archE906ELNS1_3gpuE6ELNS1_3repE0EEENS1_30default_config_static_selectorELNS0_4arch9wavefront6targetE1EEEvSY_ ; -- Begin function _ZN7rocprim17ROCPRIM_400000_NS6detail17trampoline_kernelINS0_13select_configILj256ELj13ELNS0_17block_load_methodE3ELS4_3ELS4_3ELNS0_20block_scan_algorithmE0ELj4294967295EEENS1_25partition_config_selectorILNS1_17partition_subalgoE3EjNS0_10empty_typeEbEEZZNS1_14partition_implILS8_3ELb0ES6_jNS0_17counting_iteratorIjlEEPS9_SE_NS0_5tupleIJPjSE_EEENSF_IJSE_SE_EEES9_SG_JZNS1_25segmented_radix_sort_implINS0_14default_configELb1EPKiPiPKlPlN2at6native12_GLOBAL__N_18offset_tEEE10hipError_tPvRmT1_PNSt15iterator_traitsISY_E10value_typeET2_T3_PNSZ_IS14_E10value_typeET4_jRbjT5_S1A_jjP12ihipStream_tbEUljE_EEESV_SW_SX_S14_S18_S1A_T6_T7_T9_mT8_S1C_bDpT10_ENKUlT_T0_E_clISt17integral_constantIbLb1EES1O_IbLb0EEEEDaS1K_S1L_EUlS1K_E_NS1_11comp_targetILNS1_3genE2ELNS1_11target_archE906ELNS1_3gpuE6ELNS1_3repE0EEENS1_30default_config_static_selectorELNS0_4arch9wavefront6targetE1EEEvSY_
	.p2align	8
	.type	_ZN7rocprim17ROCPRIM_400000_NS6detail17trampoline_kernelINS0_13select_configILj256ELj13ELNS0_17block_load_methodE3ELS4_3ELS4_3ELNS0_20block_scan_algorithmE0ELj4294967295EEENS1_25partition_config_selectorILNS1_17partition_subalgoE3EjNS0_10empty_typeEbEEZZNS1_14partition_implILS8_3ELb0ES6_jNS0_17counting_iteratorIjlEEPS9_SE_NS0_5tupleIJPjSE_EEENSF_IJSE_SE_EEES9_SG_JZNS1_25segmented_radix_sort_implINS0_14default_configELb1EPKiPiPKlPlN2at6native12_GLOBAL__N_18offset_tEEE10hipError_tPvRmT1_PNSt15iterator_traitsISY_E10value_typeET2_T3_PNSZ_IS14_E10value_typeET4_jRbjT5_S1A_jjP12ihipStream_tbEUljE_EEESV_SW_SX_S14_S18_S1A_T6_T7_T9_mT8_S1C_bDpT10_ENKUlT_T0_E_clISt17integral_constantIbLb1EES1O_IbLb0EEEEDaS1K_S1L_EUlS1K_E_NS1_11comp_targetILNS1_3genE2ELNS1_11target_archE906ELNS1_3gpuE6ELNS1_3repE0EEENS1_30default_config_static_selectorELNS0_4arch9wavefront6targetE1EEEvSY_,@function
_ZN7rocprim17ROCPRIM_400000_NS6detail17trampoline_kernelINS0_13select_configILj256ELj13ELNS0_17block_load_methodE3ELS4_3ELS4_3ELNS0_20block_scan_algorithmE0ELj4294967295EEENS1_25partition_config_selectorILNS1_17partition_subalgoE3EjNS0_10empty_typeEbEEZZNS1_14partition_implILS8_3ELb0ES6_jNS0_17counting_iteratorIjlEEPS9_SE_NS0_5tupleIJPjSE_EEENSF_IJSE_SE_EEES9_SG_JZNS1_25segmented_radix_sort_implINS0_14default_configELb1EPKiPiPKlPlN2at6native12_GLOBAL__N_18offset_tEEE10hipError_tPvRmT1_PNSt15iterator_traitsISY_E10value_typeET2_T3_PNSZ_IS14_E10value_typeET4_jRbjT5_S1A_jjP12ihipStream_tbEUljE_EEESV_SW_SX_S14_S18_S1A_T6_T7_T9_mT8_S1C_bDpT10_ENKUlT_T0_E_clISt17integral_constantIbLb1EES1O_IbLb0EEEEDaS1K_S1L_EUlS1K_E_NS1_11comp_targetILNS1_3genE2ELNS1_11target_archE906ELNS1_3gpuE6ELNS1_3repE0EEENS1_30default_config_static_selectorELNS0_4arch9wavefront6targetE1EEEvSY_: ; @_ZN7rocprim17ROCPRIM_400000_NS6detail17trampoline_kernelINS0_13select_configILj256ELj13ELNS0_17block_load_methodE3ELS4_3ELS4_3ELNS0_20block_scan_algorithmE0ELj4294967295EEENS1_25partition_config_selectorILNS1_17partition_subalgoE3EjNS0_10empty_typeEbEEZZNS1_14partition_implILS8_3ELb0ES6_jNS0_17counting_iteratorIjlEEPS9_SE_NS0_5tupleIJPjSE_EEENSF_IJSE_SE_EEES9_SG_JZNS1_25segmented_radix_sort_implINS0_14default_configELb1EPKiPiPKlPlN2at6native12_GLOBAL__N_18offset_tEEE10hipError_tPvRmT1_PNSt15iterator_traitsISY_E10value_typeET2_T3_PNSZ_IS14_E10value_typeET4_jRbjT5_S1A_jjP12ihipStream_tbEUljE_EEESV_SW_SX_S14_S18_S1A_T6_T7_T9_mT8_S1C_bDpT10_ENKUlT_T0_E_clISt17integral_constantIbLb1EES1O_IbLb0EEEEDaS1K_S1L_EUlS1K_E_NS1_11comp_targetILNS1_3genE2ELNS1_11target_archE906ELNS1_3gpuE6ELNS1_3repE0EEENS1_30default_config_static_selectorELNS0_4arch9wavefront6targetE1EEEvSY_
; %bb.0:
	.section	.rodata,"a",@progbits
	.p2align	6, 0x0
	.amdhsa_kernel _ZN7rocprim17ROCPRIM_400000_NS6detail17trampoline_kernelINS0_13select_configILj256ELj13ELNS0_17block_load_methodE3ELS4_3ELS4_3ELNS0_20block_scan_algorithmE0ELj4294967295EEENS1_25partition_config_selectorILNS1_17partition_subalgoE3EjNS0_10empty_typeEbEEZZNS1_14partition_implILS8_3ELb0ES6_jNS0_17counting_iteratorIjlEEPS9_SE_NS0_5tupleIJPjSE_EEENSF_IJSE_SE_EEES9_SG_JZNS1_25segmented_radix_sort_implINS0_14default_configELb1EPKiPiPKlPlN2at6native12_GLOBAL__N_18offset_tEEE10hipError_tPvRmT1_PNSt15iterator_traitsISY_E10value_typeET2_T3_PNSZ_IS14_E10value_typeET4_jRbjT5_S1A_jjP12ihipStream_tbEUljE_EEESV_SW_SX_S14_S18_S1A_T6_T7_T9_mT8_S1C_bDpT10_ENKUlT_T0_E_clISt17integral_constantIbLb1EES1O_IbLb0EEEEDaS1K_S1L_EUlS1K_E_NS1_11comp_targetILNS1_3genE2ELNS1_11target_archE906ELNS1_3gpuE6ELNS1_3repE0EEENS1_30default_config_static_selectorELNS0_4arch9wavefront6targetE1EEEvSY_
		.amdhsa_group_segment_fixed_size 0
		.amdhsa_private_segment_fixed_size 0
		.amdhsa_kernarg_size 144
		.amdhsa_user_sgpr_count 6
		.amdhsa_user_sgpr_private_segment_buffer 1
		.amdhsa_user_sgpr_dispatch_ptr 0
		.amdhsa_user_sgpr_queue_ptr 0
		.amdhsa_user_sgpr_kernarg_segment_ptr 1
		.amdhsa_user_sgpr_dispatch_id 0
		.amdhsa_user_sgpr_flat_scratch_init 0
		.amdhsa_user_sgpr_kernarg_preload_length 0
		.amdhsa_user_sgpr_kernarg_preload_offset 0
		.amdhsa_user_sgpr_private_segment_size 0
		.amdhsa_uses_dynamic_stack 0
		.amdhsa_system_sgpr_private_segment_wavefront_offset 0
		.amdhsa_system_sgpr_workgroup_id_x 1
		.amdhsa_system_sgpr_workgroup_id_y 0
		.amdhsa_system_sgpr_workgroup_id_z 0
		.amdhsa_system_sgpr_workgroup_info 0
		.amdhsa_system_vgpr_workitem_id 0
		.amdhsa_next_free_vgpr 1
		.amdhsa_next_free_sgpr 0
		.amdhsa_accum_offset 4
		.amdhsa_reserve_vcc 0
		.amdhsa_reserve_flat_scratch 0
		.amdhsa_float_round_mode_32 0
		.amdhsa_float_round_mode_16_64 0
		.amdhsa_float_denorm_mode_32 3
		.amdhsa_float_denorm_mode_16_64 3
		.amdhsa_dx10_clamp 1
		.amdhsa_ieee_mode 1
		.amdhsa_fp16_overflow 0
		.amdhsa_tg_split 0
		.amdhsa_exception_fp_ieee_invalid_op 0
		.amdhsa_exception_fp_denorm_src 0
		.amdhsa_exception_fp_ieee_div_zero 0
		.amdhsa_exception_fp_ieee_overflow 0
		.amdhsa_exception_fp_ieee_underflow 0
		.amdhsa_exception_fp_ieee_inexact 0
		.amdhsa_exception_int_div_zero 0
	.end_amdhsa_kernel
	.section	.text._ZN7rocprim17ROCPRIM_400000_NS6detail17trampoline_kernelINS0_13select_configILj256ELj13ELNS0_17block_load_methodE3ELS4_3ELS4_3ELNS0_20block_scan_algorithmE0ELj4294967295EEENS1_25partition_config_selectorILNS1_17partition_subalgoE3EjNS0_10empty_typeEbEEZZNS1_14partition_implILS8_3ELb0ES6_jNS0_17counting_iteratorIjlEEPS9_SE_NS0_5tupleIJPjSE_EEENSF_IJSE_SE_EEES9_SG_JZNS1_25segmented_radix_sort_implINS0_14default_configELb1EPKiPiPKlPlN2at6native12_GLOBAL__N_18offset_tEEE10hipError_tPvRmT1_PNSt15iterator_traitsISY_E10value_typeET2_T3_PNSZ_IS14_E10value_typeET4_jRbjT5_S1A_jjP12ihipStream_tbEUljE_EEESV_SW_SX_S14_S18_S1A_T6_T7_T9_mT8_S1C_bDpT10_ENKUlT_T0_E_clISt17integral_constantIbLb1EES1O_IbLb0EEEEDaS1K_S1L_EUlS1K_E_NS1_11comp_targetILNS1_3genE2ELNS1_11target_archE906ELNS1_3gpuE6ELNS1_3repE0EEENS1_30default_config_static_selectorELNS0_4arch9wavefront6targetE1EEEvSY_,"axG",@progbits,_ZN7rocprim17ROCPRIM_400000_NS6detail17trampoline_kernelINS0_13select_configILj256ELj13ELNS0_17block_load_methodE3ELS4_3ELS4_3ELNS0_20block_scan_algorithmE0ELj4294967295EEENS1_25partition_config_selectorILNS1_17partition_subalgoE3EjNS0_10empty_typeEbEEZZNS1_14partition_implILS8_3ELb0ES6_jNS0_17counting_iteratorIjlEEPS9_SE_NS0_5tupleIJPjSE_EEENSF_IJSE_SE_EEES9_SG_JZNS1_25segmented_radix_sort_implINS0_14default_configELb1EPKiPiPKlPlN2at6native12_GLOBAL__N_18offset_tEEE10hipError_tPvRmT1_PNSt15iterator_traitsISY_E10value_typeET2_T3_PNSZ_IS14_E10value_typeET4_jRbjT5_S1A_jjP12ihipStream_tbEUljE_EEESV_SW_SX_S14_S18_S1A_T6_T7_T9_mT8_S1C_bDpT10_ENKUlT_T0_E_clISt17integral_constantIbLb1EES1O_IbLb0EEEEDaS1K_S1L_EUlS1K_E_NS1_11comp_targetILNS1_3genE2ELNS1_11target_archE906ELNS1_3gpuE6ELNS1_3repE0EEENS1_30default_config_static_selectorELNS0_4arch9wavefront6targetE1EEEvSY_,comdat
.Lfunc_end485:
	.size	_ZN7rocprim17ROCPRIM_400000_NS6detail17trampoline_kernelINS0_13select_configILj256ELj13ELNS0_17block_load_methodE3ELS4_3ELS4_3ELNS0_20block_scan_algorithmE0ELj4294967295EEENS1_25partition_config_selectorILNS1_17partition_subalgoE3EjNS0_10empty_typeEbEEZZNS1_14partition_implILS8_3ELb0ES6_jNS0_17counting_iteratorIjlEEPS9_SE_NS0_5tupleIJPjSE_EEENSF_IJSE_SE_EEES9_SG_JZNS1_25segmented_radix_sort_implINS0_14default_configELb1EPKiPiPKlPlN2at6native12_GLOBAL__N_18offset_tEEE10hipError_tPvRmT1_PNSt15iterator_traitsISY_E10value_typeET2_T3_PNSZ_IS14_E10value_typeET4_jRbjT5_S1A_jjP12ihipStream_tbEUljE_EEESV_SW_SX_S14_S18_S1A_T6_T7_T9_mT8_S1C_bDpT10_ENKUlT_T0_E_clISt17integral_constantIbLb1EES1O_IbLb0EEEEDaS1K_S1L_EUlS1K_E_NS1_11comp_targetILNS1_3genE2ELNS1_11target_archE906ELNS1_3gpuE6ELNS1_3repE0EEENS1_30default_config_static_selectorELNS0_4arch9wavefront6targetE1EEEvSY_, .Lfunc_end485-_ZN7rocprim17ROCPRIM_400000_NS6detail17trampoline_kernelINS0_13select_configILj256ELj13ELNS0_17block_load_methodE3ELS4_3ELS4_3ELNS0_20block_scan_algorithmE0ELj4294967295EEENS1_25partition_config_selectorILNS1_17partition_subalgoE3EjNS0_10empty_typeEbEEZZNS1_14partition_implILS8_3ELb0ES6_jNS0_17counting_iteratorIjlEEPS9_SE_NS0_5tupleIJPjSE_EEENSF_IJSE_SE_EEES9_SG_JZNS1_25segmented_radix_sort_implINS0_14default_configELb1EPKiPiPKlPlN2at6native12_GLOBAL__N_18offset_tEEE10hipError_tPvRmT1_PNSt15iterator_traitsISY_E10value_typeET2_T3_PNSZ_IS14_E10value_typeET4_jRbjT5_S1A_jjP12ihipStream_tbEUljE_EEESV_SW_SX_S14_S18_S1A_T6_T7_T9_mT8_S1C_bDpT10_ENKUlT_T0_E_clISt17integral_constantIbLb1EES1O_IbLb0EEEEDaS1K_S1L_EUlS1K_E_NS1_11comp_targetILNS1_3genE2ELNS1_11target_archE906ELNS1_3gpuE6ELNS1_3repE0EEENS1_30default_config_static_selectorELNS0_4arch9wavefront6targetE1EEEvSY_
                                        ; -- End function
	.section	.AMDGPU.csdata,"",@progbits
; Kernel info:
; codeLenInByte = 0
; NumSgprs: 4
; NumVgprs: 0
; NumAgprs: 0
; TotalNumVgprs: 0
; ScratchSize: 0
; MemoryBound: 0
; FloatMode: 240
; IeeeMode: 1
; LDSByteSize: 0 bytes/workgroup (compile time only)
; SGPRBlocks: 0
; VGPRBlocks: 0
; NumSGPRsForWavesPerEU: 4
; NumVGPRsForWavesPerEU: 1
; AccumOffset: 4
; Occupancy: 8
; WaveLimiterHint : 0
; COMPUTE_PGM_RSRC2:SCRATCH_EN: 0
; COMPUTE_PGM_RSRC2:USER_SGPR: 6
; COMPUTE_PGM_RSRC2:TRAP_HANDLER: 0
; COMPUTE_PGM_RSRC2:TGID_X_EN: 1
; COMPUTE_PGM_RSRC2:TGID_Y_EN: 0
; COMPUTE_PGM_RSRC2:TGID_Z_EN: 0
; COMPUTE_PGM_RSRC2:TIDIG_COMP_CNT: 0
; COMPUTE_PGM_RSRC3_GFX90A:ACCUM_OFFSET: 0
; COMPUTE_PGM_RSRC3_GFX90A:TG_SPLIT: 0
	.section	.text._ZN7rocprim17ROCPRIM_400000_NS6detail17trampoline_kernelINS0_13select_configILj256ELj13ELNS0_17block_load_methodE3ELS4_3ELS4_3ELNS0_20block_scan_algorithmE0ELj4294967295EEENS1_25partition_config_selectorILNS1_17partition_subalgoE3EjNS0_10empty_typeEbEEZZNS1_14partition_implILS8_3ELb0ES6_jNS0_17counting_iteratorIjlEEPS9_SE_NS0_5tupleIJPjSE_EEENSF_IJSE_SE_EEES9_SG_JZNS1_25segmented_radix_sort_implINS0_14default_configELb1EPKiPiPKlPlN2at6native12_GLOBAL__N_18offset_tEEE10hipError_tPvRmT1_PNSt15iterator_traitsISY_E10value_typeET2_T3_PNSZ_IS14_E10value_typeET4_jRbjT5_S1A_jjP12ihipStream_tbEUljE_EEESV_SW_SX_S14_S18_S1A_T6_T7_T9_mT8_S1C_bDpT10_ENKUlT_T0_E_clISt17integral_constantIbLb1EES1O_IbLb0EEEEDaS1K_S1L_EUlS1K_E_NS1_11comp_targetILNS1_3genE10ELNS1_11target_archE1200ELNS1_3gpuE4ELNS1_3repE0EEENS1_30default_config_static_selectorELNS0_4arch9wavefront6targetE1EEEvSY_,"axG",@progbits,_ZN7rocprim17ROCPRIM_400000_NS6detail17trampoline_kernelINS0_13select_configILj256ELj13ELNS0_17block_load_methodE3ELS4_3ELS4_3ELNS0_20block_scan_algorithmE0ELj4294967295EEENS1_25partition_config_selectorILNS1_17partition_subalgoE3EjNS0_10empty_typeEbEEZZNS1_14partition_implILS8_3ELb0ES6_jNS0_17counting_iteratorIjlEEPS9_SE_NS0_5tupleIJPjSE_EEENSF_IJSE_SE_EEES9_SG_JZNS1_25segmented_radix_sort_implINS0_14default_configELb1EPKiPiPKlPlN2at6native12_GLOBAL__N_18offset_tEEE10hipError_tPvRmT1_PNSt15iterator_traitsISY_E10value_typeET2_T3_PNSZ_IS14_E10value_typeET4_jRbjT5_S1A_jjP12ihipStream_tbEUljE_EEESV_SW_SX_S14_S18_S1A_T6_T7_T9_mT8_S1C_bDpT10_ENKUlT_T0_E_clISt17integral_constantIbLb1EES1O_IbLb0EEEEDaS1K_S1L_EUlS1K_E_NS1_11comp_targetILNS1_3genE10ELNS1_11target_archE1200ELNS1_3gpuE4ELNS1_3repE0EEENS1_30default_config_static_selectorELNS0_4arch9wavefront6targetE1EEEvSY_,comdat
	.globl	_ZN7rocprim17ROCPRIM_400000_NS6detail17trampoline_kernelINS0_13select_configILj256ELj13ELNS0_17block_load_methodE3ELS4_3ELS4_3ELNS0_20block_scan_algorithmE0ELj4294967295EEENS1_25partition_config_selectorILNS1_17partition_subalgoE3EjNS0_10empty_typeEbEEZZNS1_14partition_implILS8_3ELb0ES6_jNS0_17counting_iteratorIjlEEPS9_SE_NS0_5tupleIJPjSE_EEENSF_IJSE_SE_EEES9_SG_JZNS1_25segmented_radix_sort_implINS0_14default_configELb1EPKiPiPKlPlN2at6native12_GLOBAL__N_18offset_tEEE10hipError_tPvRmT1_PNSt15iterator_traitsISY_E10value_typeET2_T3_PNSZ_IS14_E10value_typeET4_jRbjT5_S1A_jjP12ihipStream_tbEUljE_EEESV_SW_SX_S14_S18_S1A_T6_T7_T9_mT8_S1C_bDpT10_ENKUlT_T0_E_clISt17integral_constantIbLb1EES1O_IbLb0EEEEDaS1K_S1L_EUlS1K_E_NS1_11comp_targetILNS1_3genE10ELNS1_11target_archE1200ELNS1_3gpuE4ELNS1_3repE0EEENS1_30default_config_static_selectorELNS0_4arch9wavefront6targetE1EEEvSY_ ; -- Begin function _ZN7rocprim17ROCPRIM_400000_NS6detail17trampoline_kernelINS0_13select_configILj256ELj13ELNS0_17block_load_methodE3ELS4_3ELS4_3ELNS0_20block_scan_algorithmE0ELj4294967295EEENS1_25partition_config_selectorILNS1_17partition_subalgoE3EjNS0_10empty_typeEbEEZZNS1_14partition_implILS8_3ELb0ES6_jNS0_17counting_iteratorIjlEEPS9_SE_NS0_5tupleIJPjSE_EEENSF_IJSE_SE_EEES9_SG_JZNS1_25segmented_radix_sort_implINS0_14default_configELb1EPKiPiPKlPlN2at6native12_GLOBAL__N_18offset_tEEE10hipError_tPvRmT1_PNSt15iterator_traitsISY_E10value_typeET2_T3_PNSZ_IS14_E10value_typeET4_jRbjT5_S1A_jjP12ihipStream_tbEUljE_EEESV_SW_SX_S14_S18_S1A_T6_T7_T9_mT8_S1C_bDpT10_ENKUlT_T0_E_clISt17integral_constantIbLb1EES1O_IbLb0EEEEDaS1K_S1L_EUlS1K_E_NS1_11comp_targetILNS1_3genE10ELNS1_11target_archE1200ELNS1_3gpuE4ELNS1_3repE0EEENS1_30default_config_static_selectorELNS0_4arch9wavefront6targetE1EEEvSY_
	.p2align	8
	.type	_ZN7rocprim17ROCPRIM_400000_NS6detail17trampoline_kernelINS0_13select_configILj256ELj13ELNS0_17block_load_methodE3ELS4_3ELS4_3ELNS0_20block_scan_algorithmE0ELj4294967295EEENS1_25partition_config_selectorILNS1_17partition_subalgoE3EjNS0_10empty_typeEbEEZZNS1_14partition_implILS8_3ELb0ES6_jNS0_17counting_iteratorIjlEEPS9_SE_NS0_5tupleIJPjSE_EEENSF_IJSE_SE_EEES9_SG_JZNS1_25segmented_radix_sort_implINS0_14default_configELb1EPKiPiPKlPlN2at6native12_GLOBAL__N_18offset_tEEE10hipError_tPvRmT1_PNSt15iterator_traitsISY_E10value_typeET2_T3_PNSZ_IS14_E10value_typeET4_jRbjT5_S1A_jjP12ihipStream_tbEUljE_EEESV_SW_SX_S14_S18_S1A_T6_T7_T9_mT8_S1C_bDpT10_ENKUlT_T0_E_clISt17integral_constantIbLb1EES1O_IbLb0EEEEDaS1K_S1L_EUlS1K_E_NS1_11comp_targetILNS1_3genE10ELNS1_11target_archE1200ELNS1_3gpuE4ELNS1_3repE0EEENS1_30default_config_static_selectorELNS0_4arch9wavefront6targetE1EEEvSY_,@function
_ZN7rocprim17ROCPRIM_400000_NS6detail17trampoline_kernelINS0_13select_configILj256ELj13ELNS0_17block_load_methodE3ELS4_3ELS4_3ELNS0_20block_scan_algorithmE0ELj4294967295EEENS1_25partition_config_selectorILNS1_17partition_subalgoE3EjNS0_10empty_typeEbEEZZNS1_14partition_implILS8_3ELb0ES6_jNS0_17counting_iteratorIjlEEPS9_SE_NS0_5tupleIJPjSE_EEENSF_IJSE_SE_EEES9_SG_JZNS1_25segmented_radix_sort_implINS0_14default_configELb1EPKiPiPKlPlN2at6native12_GLOBAL__N_18offset_tEEE10hipError_tPvRmT1_PNSt15iterator_traitsISY_E10value_typeET2_T3_PNSZ_IS14_E10value_typeET4_jRbjT5_S1A_jjP12ihipStream_tbEUljE_EEESV_SW_SX_S14_S18_S1A_T6_T7_T9_mT8_S1C_bDpT10_ENKUlT_T0_E_clISt17integral_constantIbLb1EES1O_IbLb0EEEEDaS1K_S1L_EUlS1K_E_NS1_11comp_targetILNS1_3genE10ELNS1_11target_archE1200ELNS1_3gpuE4ELNS1_3repE0EEENS1_30default_config_static_selectorELNS0_4arch9wavefront6targetE1EEEvSY_: ; @_ZN7rocprim17ROCPRIM_400000_NS6detail17trampoline_kernelINS0_13select_configILj256ELj13ELNS0_17block_load_methodE3ELS4_3ELS4_3ELNS0_20block_scan_algorithmE0ELj4294967295EEENS1_25partition_config_selectorILNS1_17partition_subalgoE3EjNS0_10empty_typeEbEEZZNS1_14partition_implILS8_3ELb0ES6_jNS0_17counting_iteratorIjlEEPS9_SE_NS0_5tupleIJPjSE_EEENSF_IJSE_SE_EEES9_SG_JZNS1_25segmented_radix_sort_implINS0_14default_configELb1EPKiPiPKlPlN2at6native12_GLOBAL__N_18offset_tEEE10hipError_tPvRmT1_PNSt15iterator_traitsISY_E10value_typeET2_T3_PNSZ_IS14_E10value_typeET4_jRbjT5_S1A_jjP12ihipStream_tbEUljE_EEESV_SW_SX_S14_S18_S1A_T6_T7_T9_mT8_S1C_bDpT10_ENKUlT_T0_E_clISt17integral_constantIbLb1EES1O_IbLb0EEEEDaS1K_S1L_EUlS1K_E_NS1_11comp_targetILNS1_3genE10ELNS1_11target_archE1200ELNS1_3gpuE4ELNS1_3repE0EEENS1_30default_config_static_selectorELNS0_4arch9wavefront6targetE1EEEvSY_
; %bb.0:
	.section	.rodata,"a",@progbits
	.p2align	6, 0x0
	.amdhsa_kernel _ZN7rocprim17ROCPRIM_400000_NS6detail17trampoline_kernelINS0_13select_configILj256ELj13ELNS0_17block_load_methodE3ELS4_3ELS4_3ELNS0_20block_scan_algorithmE0ELj4294967295EEENS1_25partition_config_selectorILNS1_17partition_subalgoE3EjNS0_10empty_typeEbEEZZNS1_14partition_implILS8_3ELb0ES6_jNS0_17counting_iteratorIjlEEPS9_SE_NS0_5tupleIJPjSE_EEENSF_IJSE_SE_EEES9_SG_JZNS1_25segmented_radix_sort_implINS0_14default_configELb1EPKiPiPKlPlN2at6native12_GLOBAL__N_18offset_tEEE10hipError_tPvRmT1_PNSt15iterator_traitsISY_E10value_typeET2_T3_PNSZ_IS14_E10value_typeET4_jRbjT5_S1A_jjP12ihipStream_tbEUljE_EEESV_SW_SX_S14_S18_S1A_T6_T7_T9_mT8_S1C_bDpT10_ENKUlT_T0_E_clISt17integral_constantIbLb1EES1O_IbLb0EEEEDaS1K_S1L_EUlS1K_E_NS1_11comp_targetILNS1_3genE10ELNS1_11target_archE1200ELNS1_3gpuE4ELNS1_3repE0EEENS1_30default_config_static_selectorELNS0_4arch9wavefront6targetE1EEEvSY_
		.amdhsa_group_segment_fixed_size 0
		.amdhsa_private_segment_fixed_size 0
		.amdhsa_kernarg_size 144
		.amdhsa_user_sgpr_count 6
		.amdhsa_user_sgpr_private_segment_buffer 1
		.amdhsa_user_sgpr_dispatch_ptr 0
		.amdhsa_user_sgpr_queue_ptr 0
		.amdhsa_user_sgpr_kernarg_segment_ptr 1
		.amdhsa_user_sgpr_dispatch_id 0
		.amdhsa_user_sgpr_flat_scratch_init 0
		.amdhsa_user_sgpr_kernarg_preload_length 0
		.amdhsa_user_sgpr_kernarg_preload_offset 0
		.amdhsa_user_sgpr_private_segment_size 0
		.amdhsa_uses_dynamic_stack 0
		.amdhsa_system_sgpr_private_segment_wavefront_offset 0
		.amdhsa_system_sgpr_workgroup_id_x 1
		.amdhsa_system_sgpr_workgroup_id_y 0
		.amdhsa_system_sgpr_workgroup_id_z 0
		.amdhsa_system_sgpr_workgroup_info 0
		.amdhsa_system_vgpr_workitem_id 0
		.amdhsa_next_free_vgpr 1
		.amdhsa_next_free_sgpr 0
		.amdhsa_accum_offset 4
		.amdhsa_reserve_vcc 0
		.amdhsa_reserve_flat_scratch 0
		.amdhsa_float_round_mode_32 0
		.amdhsa_float_round_mode_16_64 0
		.amdhsa_float_denorm_mode_32 3
		.amdhsa_float_denorm_mode_16_64 3
		.amdhsa_dx10_clamp 1
		.amdhsa_ieee_mode 1
		.amdhsa_fp16_overflow 0
		.amdhsa_tg_split 0
		.amdhsa_exception_fp_ieee_invalid_op 0
		.amdhsa_exception_fp_denorm_src 0
		.amdhsa_exception_fp_ieee_div_zero 0
		.amdhsa_exception_fp_ieee_overflow 0
		.amdhsa_exception_fp_ieee_underflow 0
		.amdhsa_exception_fp_ieee_inexact 0
		.amdhsa_exception_int_div_zero 0
	.end_amdhsa_kernel
	.section	.text._ZN7rocprim17ROCPRIM_400000_NS6detail17trampoline_kernelINS0_13select_configILj256ELj13ELNS0_17block_load_methodE3ELS4_3ELS4_3ELNS0_20block_scan_algorithmE0ELj4294967295EEENS1_25partition_config_selectorILNS1_17partition_subalgoE3EjNS0_10empty_typeEbEEZZNS1_14partition_implILS8_3ELb0ES6_jNS0_17counting_iteratorIjlEEPS9_SE_NS0_5tupleIJPjSE_EEENSF_IJSE_SE_EEES9_SG_JZNS1_25segmented_radix_sort_implINS0_14default_configELb1EPKiPiPKlPlN2at6native12_GLOBAL__N_18offset_tEEE10hipError_tPvRmT1_PNSt15iterator_traitsISY_E10value_typeET2_T3_PNSZ_IS14_E10value_typeET4_jRbjT5_S1A_jjP12ihipStream_tbEUljE_EEESV_SW_SX_S14_S18_S1A_T6_T7_T9_mT8_S1C_bDpT10_ENKUlT_T0_E_clISt17integral_constantIbLb1EES1O_IbLb0EEEEDaS1K_S1L_EUlS1K_E_NS1_11comp_targetILNS1_3genE10ELNS1_11target_archE1200ELNS1_3gpuE4ELNS1_3repE0EEENS1_30default_config_static_selectorELNS0_4arch9wavefront6targetE1EEEvSY_,"axG",@progbits,_ZN7rocprim17ROCPRIM_400000_NS6detail17trampoline_kernelINS0_13select_configILj256ELj13ELNS0_17block_load_methodE3ELS4_3ELS4_3ELNS0_20block_scan_algorithmE0ELj4294967295EEENS1_25partition_config_selectorILNS1_17partition_subalgoE3EjNS0_10empty_typeEbEEZZNS1_14partition_implILS8_3ELb0ES6_jNS0_17counting_iteratorIjlEEPS9_SE_NS0_5tupleIJPjSE_EEENSF_IJSE_SE_EEES9_SG_JZNS1_25segmented_radix_sort_implINS0_14default_configELb1EPKiPiPKlPlN2at6native12_GLOBAL__N_18offset_tEEE10hipError_tPvRmT1_PNSt15iterator_traitsISY_E10value_typeET2_T3_PNSZ_IS14_E10value_typeET4_jRbjT5_S1A_jjP12ihipStream_tbEUljE_EEESV_SW_SX_S14_S18_S1A_T6_T7_T9_mT8_S1C_bDpT10_ENKUlT_T0_E_clISt17integral_constantIbLb1EES1O_IbLb0EEEEDaS1K_S1L_EUlS1K_E_NS1_11comp_targetILNS1_3genE10ELNS1_11target_archE1200ELNS1_3gpuE4ELNS1_3repE0EEENS1_30default_config_static_selectorELNS0_4arch9wavefront6targetE1EEEvSY_,comdat
.Lfunc_end486:
	.size	_ZN7rocprim17ROCPRIM_400000_NS6detail17trampoline_kernelINS0_13select_configILj256ELj13ELNS0_17block_load_methodE3ELS4_3ELS4_3ELNS0_20block_scan_algorithmE0ELj4294967295EEENS1_25partition_config_selectorILNS1_17partition_subalgoE3EjNS0_10empty_typeEbEEZZNS1_14partition_implILS8_3ELb0ES6_jNS0_17counting_iteratorIjlEEPS9_SE_NS0_5tupleIJPjSE_EEENSF_IJSE_SE_EEES9_SG_JZNS1_25segmented_radix_sort_implINS0_14default_configELb1EPKiPiPKlPlN2at6native12_GLOBAL__N_18offset_tEEE10hipError_tPvRmT1_PNSt15iterator_traitsISY_E10value_typeET2_T3_PNSZ_IS14_E10value_typeET4_jRbjT5_S1A_jjP12ihipStream_tbEUljE_EEESV_SW_SX_S14_S18_S1A_T6_T7_T9_mT8_S1C_bDpT10_ENKUlT_T0_E_clISt17integral_constantIbLb1EES1O_IbLb0EEEEDaS1K_S1L_EUlS1K_E_NS1_11comp_targetILNS1_3genE10ELNS1_11target_archE1200ELNS1_3gpuE4ELNS1_3repE0EEENS1_30default_config_static_selectorELNS0_4arch9wavefront6targetE1EEEvSY_, .Lfunc_end486-_ZN7rocprim17ROCPRIM_400000_NS6detail17trampoline_kernelINS0_13select_configILj256ELj13ELNS0_17block_load_methodE3ELS4_3ELS4_3ELNS0_20block_scan_algorithmE0ELj4294967295EEENS1_25partition_config_selectorILNS1_17partition_subalgoE3EjNS0_10empty_typeEbEEZZNS1_14partition_implILS8_3ELb0ES6_jNS0_17counting_iteratorIjlEEPS9_SE_NS0_5tupleIJPjSE_EEENSF_IJSE_SE_EEES9_SG_JZNS1_25segmented_radix_sort_implINS0_14default_configELb1EPKiPiPKlPlN2at6native12_GLOBAL__N_18offset_tEEE10hipError_tPvRmT1_PNSt15iterator_traitsISY_E10value_typeET2_T3_PNSZ_IS14_E10value_typeET4_jRbjT5_S1A_jjP12ihipStream_tbEUljE_EEESV_SW_SX_S14_S18_S1A_T6_T7_T9_mT8_S1C_bDpT10_ENKUlT_T0_E_clISt17integral_constantIbLb1EES1O_IbLb0EEEEDaS1K_S1L_EUlS1K_E_NS1_11comp_targetILNS1_3genE10ELNS1_11target_archE1200ELNS1_3gpuE4ELNS1_3repE0EEENS1_30default_config_static_selectorELNS0_4arch9wavefront6targetE1EEEvSY_
                                        ; -- End function
	.section	.AMDGPU.csdata,"",@progbits
; Kernel info:
; codeLenInByte = 0
; NumSgprs: 4
; NumVgprs: 0
; NumAgprs: 0
; TotalNumVgprs: 0
; ScratchSize: 0
; MemoryBound: 0
; FloatMode: 240
; IeeeMode: 1
; LDSByteSize: 0 bytes/workgroup (compile time only)
; SGPRBlocks: 0
; VGPRBlocks: 0
; NumSGPRsForWavesPerEU: 4
; NumVGPRsForWavesPerEU: 1
; AccumOffset: 4
; Occupancy: 8
; WaveLimiterHint : 0
; COMPUTE_PGM_RSRC2:SCRATCH_EN: 0
; COMPUTE_PGM_RSRC2:USER_SGPR: 6
; COMPUTE_PGM_RSRC2:TRAP_HANDLER: 0
; COMPUTE_PGM_RSRC2:TGID_X_EN: 1
; COMPUTE_PGM_RSRC2:TGID_Y_EN: 0
; COMPUTE_PGM_RSRC2:TGID_Z_EN: 0
; COMPUTE_PGM_RSRC2:TIDIG_COMP_CNT: 0
; COMPUTE_PGM_RSRC3_GFX90A:ACCUM_OFFSET: 0
; COMPUTE_PGM_RSRC3_GFX90A:TG_SPLIT: 0
	.section	.text._ZN7rocprim17ROCPRIM_400000_NS6detail17trampoline_kernelINS0_13select_configILj256ELj13ELNS0_17block_load_methodE3ELS4_3ELS4_3ELNS0_20block_scan_algorithmE0ELj4294967295EEENS1_25partition_config_selectorILNS1_17partition_subalgoE3EjNS0_10empty_typeEbEEZZNS1_14partition_implILS8_3ELb0ES6_jNS0_17counting_iteratorIjlEEPS9_SE_NS0_5tupleIJPjSE_EEENSF_IJSE_SE_EEES9_SG_JZNS1_25segmented_radix_sort_implINS0_14default_configELb1EPKiPiPKlPlN2at6native12_GLOBAL__N_18offset_tEEE10hipError_tPvRmT1_PNSt15iterator_traitsISY_E10value_typeET2_T3_PNSZ_IS14_E10value_typeET4_jRbjT5_S1A_jjP12ihipStream_tbEUljE_EEESV_SW_SX_S14_S18_S1A_T6_T7_T9_mT8_S1C_bDpT10_ENKUlT_T0_E_clISt17integral_constantIbLb1EES1O_IbLb0EEEEDaS1K_S1L_EUlS1K_E_NS1_11comp_targetILNS1_3genE9ELNS1_11target_archE1100ELNS1_3gpuE3ELNS1_3repE0EEENS1_30default_config_static_selectorELNS0_4arch9wavefront6targetE1EEEvSY_,"axG",@progbits,_ZN7rocprim17ROCPRIM_400000_NS6detail17trampoline_kernelINS0_13select_configILj256ELj13ELNS0_17block_load_methodE3ELS4_3ELS4_3ELNS0_20block_scan_algorithmE0ELj4294967295EEENS1_25partition_config_selectorILNS1_17partition_subalgoE3EjNS0_10empty_typeEbEEZZNS1_14partition_implILS8_3ELb0ES6_jNS0_17counting_iteratorIjlEEPS9_SE_NS0_5tupleIJPjSE_EEENSF_IJSE_SE_EEES9_SG_JZNS1_25segmented_radix_sort_implINS0_14default_configELb1EPKiPiPKlPlN2at6native12_GLOBAL__N_18offset_tEEE10hipError_tPvRmT1_PNSt15iterator_traitsISY_E10value_typeET2_T3_PNSZ_IS14_E10value_typeET4_jRbjT5_S1A_jjP12ihipStream_tbEUljE_EEESV_SW_SX_S14_S18_S1A_T6_T7_T9_mT8_S1C_bDpT10_ENKUlT_T0_E_clISt17integral_constantIbLb1EES1O_IbLb0EEEEDaS1K_S1L_EUlS1K_E_NS1_11comp_targetILNS1_3genE9ELNS1_11target_archE1100ELNS1_3gpuE3ELNS1_3repE0EEENS1_30default_config_static_selectorELNS0_4arch9wavefront6targetE1EEEvSY_,comdat
	.globl	_ZN7rocprim17ROCPRIM_400000_NS6detail17trampoline_kernelINS0_13select_configILj256ELj13ELNS0_17block_load_methodE3ELS4_3ELS4_3ELNS0_20block_scan_algorithmE0ELj4294967295EEENS1_25partition_config_selectorILNS1_17partition_subalgoE3EjNS0_10empty_typeEbEEZZNS1_14partition_implILS8_3ELb0ES6_jNS0_17counting_iteratorIjlEEPS9_SE_NS0_5tupleIJPjSE_EEENSF_IJSE_SE_EEES9_SG_JZNS1_25segmented_radix_sort_implINS0_14default_configELb1EPKiPiPKlPlN2at6native12_GLOBAL__N_18offset_tEEE10hipError_tPvRmT1_PNSt15iterator_traitsISY_E10value_typeET2_T3_PNSZ_IS14_E10value_typeET4_jRbjT5_S1A_jjP12ihipStream_tbEUljE_EEESV_SW_SX_S14_S18_S1A_T6_T7_T9_mT8_S1C_bDpT10_ENKUlT_T0_E_clISt17integral_constantIbLb1EES1O_IbLb0EEEEDaS1K_S1L_EUlS1K_E_NS1_11comp_targetILNS1_3genE9ELNS1_11target_archE1100ELNS1_3gpuE3ELNS1_3repE0EEENS1_30default_config_static_selectorELNS0_4arch9wavefront6targetE1EEEvSY_ ; -- Begin function _ZN7rocprim17ROCPRIM_400000_NS6detail17trampoline_kernelINS0_13select_configILj256ELj13ELNS0_17block_load_methodE3ELS4_3ELS4_3ELNS0_20block_scan_algorithmE0ELj4294967295EEENS1_25partition_config_selectorILNS1_17partition_subalgoE3EjNS0_10empty_typeEbEEZZNS1_14partition_implILS8_3ELb0ES6_jNS0_17counting_iteratorIjlEEPS9_SE_NS0_5tupleIJPjSE_EEENSF_IJSE_SE_EEES9_SG_JZNS1_25segmented_radix_sort_implINS0_14default_configELb1EPKiPiPKlPlN2at6native12_GLOBAL__N_18offset_tEEE10hipError_tPvRmT1_PNSt15iterator_traitsISY_E10value_typeET2_T3_PNSZ_IS14_E10value_typeET4_jRbjT5_S1A_jjP12ihipStream_tbEUljE_EEESV_SW_SX_S14_S18_S1A_T6_T7_T9_mT8_S1C_bDpT10_ENKUlT_T0_E_clISt17integral_constantIbLb1EES1O_IbLb0EEEEDaS1K_S1L_EUlS1K_E_NS1_11comp_targetILNS1_3genE9ELNS1_11target_archE1100ELNS1_3gpuE3ELNS1_3repE0EEENS1_30default_config_static_selectorELNS0_4arch9wavefront6targetE1EEEvSY_
	.p2align	8
	.type	_ZN7rocprim17ROCPRIM_400000_NS6detail17trampoline_kernelINS0_13select_configILj256ELj13ELNS0_17block_load_methodE3ELS4_3ELS4_3ELNS0_20block_scan_algorithmE0ELj4294967295EEENS1_25partition_config_selectorILNS1_17partition_subalgoE3EjNS0_10empty_typeEbEEZZNS1_14partition_implILS8_3ELb0ES6_jNS0_17counting_iteratorIjlEEPS9_SE_NS0_5tupleIJPjSE_EEENSF_IJSE_SE_EEES9_SG_JZNS1_25segmented_radix_sort_implINS0_14default_configELb1EPKiPiPKlPlN2at6native12_GLOBAL__N_18offset_tEEE10hipError_tPvRmT1_PNSt15iterator_traitsISY_E10value_typeET2_T3_PNSZ_IS14_E10value_typeET4_jRbjT5_S1A_jjP12ihipStream_tbEUljE_EEESV_SW_SX_S14_S18_S1A_T6_T7_T9_mT8_S1C_bDpT10_ENKUlT_T0_E_clISt17integral_constantIbLb1EES1O_IbLb0EEEEDaS1K_S1L_EUlS1K_E_NS1_11comp_targetILNS1_3genE9ELNS1_11target_archE1100ELNS1_3gpuE3ELNS1_3repE0EEENS1_30default_config_static_selectorELNS0_4arch9wavefront6targetE1EEEvSY_,@function
_ZN7rocprim17ROCPRIM_400000_NS6detail17trampoline_kernelINS0_13select_configILj256ELj13ELNS0_17block_load_methodE3ELS4_3ELS4_3ELNS0_20block_scan_algorithmE0ELj4294967295EEENS1_25partition_config_selectorILNS1_17partition_subalgoE3EjNS0_10empty_typeEbEEZZNS1_14partition_implILS8_3ELb0ES6_jNS0_17counting_iteratorIjlEEPS9_SE_NS0_5tupleIJPjSE_EEENSF_IJSE_SE_EEES9_SG_JZNS1_25segmented_radix_sort_implINS0_14default_configELb1EPKiPiPKlPlN2at6native12_GLOBAL__N_18offset_tEEE10hipError_tPvRmT1_PNSt15iterator_traitsISY_E10value_typeET2_T3_PNSZ_IS14_E10value_typeET4_jRbjT5_S1A_jjP12ihipStream_tbEUljE_EEESV_SW_SX_S14_S18_S1A_T6_T7_T9_mT8_S1C_bDpT10_ENKUlT_T0_E_clISt17integral_constantIbLb1EES1O_IbLb0EEEEDaS1K_S1L_EUlS1K_E_NS1_11comp_targetILNS1_3genE9ELNS1_11target_archE1100ELNS1_3gpuE3ELNS1_3repE0EEENS1_30default_config_static_selectorELNS0_4arch9wavefront6targetE1EEEvSY_: ; @_ZN7rocprim17ROCPRIM_400000_NS6detail17trampoline_kernelINS0_13select_configILj256ELj13ELNS0_17block_load_methodE3ELS4_3ELS4_3ELNS0_20block_scan_algorithmE0ELj4294967295EEENS1_25partition_config_selectorILNS1_17partition_subalgoE3EjNS0_10empty_typeEbEEZZNS1_14partition_implILS8_3ELb0ES6_jNS0_17counting_iteratorIjlEEPS9_SE_NS0_5tupleIJPjSE_EEENSF_IJSE_SE_EEES9_SG_JZNS1_25segmented_radix_sort_implINS0_14default_configELb1EPKiPiPKlPlN2at6native12_GLOBAL__N_18offset_tEEE10hipError_tPvRmT1_PNSt15iterator_traitsISY_E10value_typeET2_T3_PNSZ_IS14_E10value_typeET4_jRbjT5_S1A_jjP12ihipStream_tbEUljE_EEESV_SW_SX_S14_S18_S1A_T6_T7_T9_mT8_S1C_bDpT10_ENKUlT_T0_E_clISt17integral_constantIbLb1EES1O_IbLb0EEEEDaS1K_S1L_EUlS1K_E_NS1_11comp_targetILNS1_3genE9ELNS1_11target_archE1100ELNS1_3gpuE3ELNS1_3repE0EEENS1_30default_config_static_selectorELNS0_4arch9wavefront6targetE1EEEvSY_
; %bb.0:
	.section	.rodata,"a",@progbits
	.p2align	6, 0x0
	.amdhsa_kernel _ZN7rocprim17ROCPRIM_400000_NS6detail17trampoline_kernelINS0_13select_configILj256ELj13ELNS0_17block_load_methodE3ELS4_3ELS4_3ELNS0_20block_scan_algorithmE0ELj4294967295EEENS1_25partition_config_selectorILNS1_17partition_subalgoE3EjNS0_10empty_typeEbEEZZNS1_14partition_implILS8_3ELb0ES6_jNS0_17counting_iteratorIjlEEPS9_SE_NS0_5tupleIJPjSE_EEENSF_IJSE_SE_EEES9_SG_JZNS1_25segmented_radix_sort_implINS0_14default_configELb1EPKiPiPKlPlN2at6native12_GLOBAL__N_18offset_tEEE10hipError_tPvRmT1_PNSt15iterator_traitsISY_E10value_typeET2_T3_PNSZ_IS14_E10value_typeET4_jRbjT5_S1A_jjP12ihipStream_tbEUljE_EEESV_SW_SX_S14_S18_S1A_T6_T7_T9_mT8_S1C_bDpT10_ENKUlT_T0_E_clISt17integral_constantIbLb1EES1O_IbLb0EEEEDaS1K_S1L_EUlS1K_E_NS1_11comp_targetILNS1_3genE9ELNS1_11target_archE1100ELNS1_3gpuE3ELNS1_3repE0EEENS1_30default_config_static_selectorELNS0_4arch9wavefront6targetE1EEEvSY_
		.amdhsa_group_segment_fixed_size 0
		.amdhsa_private_segment_fixed_size 0
		.amdhsa_kernarg_size 144
		.amdhsa_user_sgpr_count 6
		.amdhsa_user_sgpr_private_segment_buffer 1
		.amdhsa_user_sgpr_dispatch_ptr 0
		.amdhsa_user_sgpr_queue_ptr 0
		.amdhsa_user_sgpr_kernarg_segment_ptr 1
		.amdhsa_user_sgpr_dispatch_id 0
		.amdhsa_user_sgpr_flat_scratch_init 0
		.amdhsa_user_sgpr_kernarg_preload_length 0
		.amdhsa_user_sgpr_kernarg_preload_offset 0
		.amdhsa_user_sgpr_private_segment_size 0
		.amdhsa_uses_dynamic_stack 0
		.amdhsa_system_sgpr_private_segment_wavefront_offset 0
		.amdhsa_system_sgpr_workgroup_id_x 1
		.amdhsa_system_sgpr_workgroup_id_y 0
		.amdhsa_system_sgpr_workgroup_id_z 0
		.amdhsa_system_sgpr_workgroup_info 0
		.amdhsa_system_vgpr_workitem_id 0
		.amdhsa_next_free_vgpr 1
		.amdhsa_next_free_sgpr 0
		.amdhsa_accum_offset 4
		.amdhsa_reserve_vcc 0
		.amdhsa_reserve_flat_scratch 0
		.amdhsa_float_round_mode_32 0
		.amdhsa_float_round_mode_16_64 0
		.amdhsa_float_denorm_mode_32 3
		.amdhsa_float_denorm_mode_16_64 3
		.amdhsa_dx10_clamp 1
		.amdhsa_ieee_mode 1
		.amdhsa_fp16_overflow 0
		.amdhsa_tg_split 0
		.amdhsa_exception_fp_ieee_invalid_op 0
		.amdhsa_exception_fp_denorm_src 0
		.amdhsa_exception_fp_ieee_div_zero 0
		.amdhsa_exception_fp_ieee_overflow 0
		.amdhsa_exception_fp_ieee_underflow 0
		.amdhsa_exception_fp_ieee_inexact 0
		.amdhsa_exception_int_div_zero 0
	.end_amdhsa_kernel
	.section	.text._ZN7rocprim17ROCPRIM_400000_NS6detail17trampoline_kernelINS0_13select_configILj256ELj13ELNS0_17block_load_methodE3ELS4_3ELS4_3ELNS0_20block_scan_algorithmE0ELj4294967295EEENS1_25partition_config_selectorILNS1_17partition_subalgoE3EjNS0_10empty_typeEbEEZZNS1_14partition_implILS8_3ELb0ES6_jNS0_17counting_iteratorIjlEEPS9_SE_NS0_5tupleIJPjSE_EEENSF_IJSE_SE_EEES9_SG_JZNS1_25segmented_radix_sort_implINS0_14default_configELb1EPKiPiPKlPlN2at6native12_GLOBAL__N_18offset_tEEE10hipError_tPvRmT1_PNSt15iterator_traitsISY_E10value_typeET2_T3_PNSZ_IS14_E10value_typeET4_jRbjT5_S1A_jjP12ihipStream_tbEUljE_EEESV_SW_SX_S14_S18_S1A_T6_T7_T9_mT8_S1C_bDpT10_ENKUlT_T0_E_clISt17integral_constantIbLb1EES1O_IbLb0EEEEDaS1K_S1L_EUlS1K_E_NS1_11comp_targetILNS1_3genE9ELNS1_11target_archE1100ELNS1_3gpuE3ELNS1_3repE0EEENS1_30default_config_static_selectorELNS0_4arch9wavefront6targetE1EEEvSY_,"axG",@progbits,_ZN7rocprim17ROCPRIM_400000_NS6detail17trampoline_kernelINS0_13select_configILj256ELj13ELNS0_17block_load_methodE3ELS4_3ELS4_3ELNS0_20block_scan_algorithmE0ELj4294967295EEENS1_25partition_config_selectorILNS1_17partition_subalgoE3EjNS0_10empty_typeEbEEZZNS1_14partition_implILS8_3ELb0ES6_jNS0_17counting_iteratorIjlEEPS9_SE_NS0_5tupleIJPjSE_EEENSF_IJSE_SE_EEES9_SG_JZNS1_25segmented_radix_sort_implINS0_14default_configELb1EPKiPiPKlPlN2at6native12_GLOBAL__N_18offset_tEEE10hipError_tPvRmT1_PNSt15iterator_traitsISY_E10value_typeET2_T3_PNSZ_IS14_E10value_typeET4_jRbjT5_S1A_jjP12ihipStream_tbEUljE_EEESV_SW_SX_S14_S18_S1A_T6_T7_T9_mT8_S1C_bDpT10_ENKUlT_T0_E_clISt17integral_constantIbLb1EES1O_IbLb0EEEEDaS1K_S1L_EUlS1K_E_NS1_11comp_targetILNS1_3genE9ELNS1_11target_archE1100ELNS1_3gpuE3ELNS1_3repE0EEENS1_30default_config_static_selectorELNS0_4arch9wavefront6targetE1EEEvSY_,comdat
.Lfunc_end487:
	.size	_ZN7rocprim17ROCPRIM_400000_NS6detail17trampoline_kernelINS0_13select_configILj256ELj13ELNS0_17block_load_methodE3ELS4_3ELS4_3ELNS0_20block_scan_algorithmE0ELj4294967295EEENS1_25partition_config_selectorILNS1_17partition_subalgoE3EjNS0_10empty_typeEbEEZZNS1_14partition_implILS8_3ELb0ES6_jNS0_17counting_iteratorIjlEEPS9_SE_NS0_5tupleIJPjSE_EEENSF_IJSE_SE_EEES9_SG_JZNS1_25segmented_radix_sort_implINS0_14default_configELb1EPKiPiPKlPlN2at6native12_GLOBAL__N_18offset_tEEE10hipError_tPvRmT1_PNSt15iterator_traitsISY_E10value_typeET2_T3_PNSZ_IS14_E10value_typeET4_jRbjT5_S1A_jjP12ihipStream_tbEUljE_EEESV_SW_SX_S14_S18_S1A_T6_T7_T9_mT8_S1C_bDpT10_ENKUlT_T0_E_clISt17integral_constantIbLb1EES1O_IbLb0EEEEDaS1K_S1L_EUlS1K_E_NS1_11comp_targetILNS1_3genE9ELNS1_11target_archE1100ELNS1_3gpuE3ELNS1_3repE0EEENS1_30default_config_static_selectorELNS0_4arch9wavefront6targetE1EEEvSY_, .Lfunc_end487-_ZN7rocprim17ROCPRIM_400000_NS6detail17trampoline_kernelINS0_13select_configILj256ELj13ELNS0_17block_load_methodE3ELS4_3ELS4_3ELNS0_20block_scan_algorithmE0ELj4294967295EEENS1_25partition_config_selectorILNS1_17partition_subalgoE3EjNS0_10empty_typeEbEEZZNS1_14partition_implILS8_3ELb0ES6_jNS0_17counting_iteratorIjlEEPS9_SE_NS0_5tupleIJPjSE_EEENSF_IJSE_SE_EEES9_SG_JZNS1_25segmented_radix_sort_implINS0_14default_configELb1EPKiPiPKlPlN2at6native12_GLOBAL__N_18offset_tEEE10hipError_tPvRmT1_PNSt15iterator_traitsISY_E10value_typeET2_T3_PNSZ_IS14_E10value_typeET4_jRbjT5_S1A_jjP12ihipStream_tbEUljE_EEESV_SW_SX_S14_S18_S1A_T6_T7_T9_mT8_S1C_bDpT10_ENKUlT_T0_E_clISt17integral_constantIbLb1EES1O_IbLb0EEEEDaS1K_S1L_EUlS1K_E_NS1_11comp_targetILNS1_3genE9ELNS1_11target_archE1100ELNS1_3gpuE3ELNS1_3repE0EEENS1_30default_config_static_selectorELNS0_4arch9wavefront6targetE1EEEvSY_
                                        ; -- End function
	.section	.AMDGPU.csdata,"",@progbits
; Kernel info:
; codeLenInByte = 0
; NumSgprs: 4
; NumVgprs: 0
; NumAgprs: 0
; TotalNumVgprs: 0
; ScratchSize: 0
; MemoryBound: 0
; FloatMode: 240
; IeeeMode: 1
; LDSByteSize: 0 bytes/workgroup (compile time only)
; SGPRBlocks: 0
; VGPRBlocks: 0
; NumSGPRsForWavesPerEU: 4
; NumVGPRsForWavesPerEU: 1
; AccumOffset: 4
; Occupancy: 8
; WaveLimiterHint : 0
; COMPUTE_PGM_RSRC2:SCRATCH_EN: 0
; COMPUTE_PGM_RSRC2:USER_SGPR: 6
; COMPUTE_PGM_RSRC2:TRAP_HANDLER: 0
; COMPUTE_PGM_RSRC2:TGID_X_EN: 1
; COMPUTE_PGM_RSRC2:TGID_Y_EN: 0
; COMPUTE_PGM_RSRC2:TGID_Z_EN: 0
; COMPUTE_PGM_RSRC2:TIDIG_COMP_CNT: 0
; COMPUTE_PGM_RSRC3_GFX90A:ACCUM_OFFSET: 0
; COMPUTE_PGM_RSRC3_GFX90A:TG_SPLIT: 0
	.section	.text._ZN7rocprim17ROCPRIM_400000_NS6detail17trampoline_kernelINS0_13select_configILj256ELj13ELNS0_17block_load_methodE3ELS4_3ELS4_3ELNS0_20block_scan_algorithmE0ELj4294967295EEENS1_25partition_config_selectorILNS1_17partition_subalgoE3EjNS0_10empty_typeEbEEZZNS1_14partition_implILS8_3ELb0ES6_jNS0_17counting_iteratorIjlEEPS9_SE_NS0_5tupleIJPjSE_EEENSF_IJSE_SE_EEES9_SG_JZNS1_25segmented_radix_sort_implINS0_14default_configELb1EPKiPiPKlPlN2at6native12_GLOBAL__N_18offset_tEEE10hipError_tPvRmT1_PNSt15iterator_traitsISY_E10value_typeET2_T3_PNSZ_IS14_E10value_typeET4_jRbjT5_S1A_jjP12ihipStream_tbEUljE_EEESV_SW_SX_S14_S18_S1A_T6_T7_T9_mT8_S1C_bDpT10_ENKUlT_T0_E_clISt17integral_constantIbLb1EES1O_IbLb0EEEEDaS1K_S1L_EUlS1K_E_NS1_11comp_targetILNS1_3genE8ELNS1_11target_archE1030ELNS1_3gpuE2ELNS1_3repE0EEENS1_30default_config_static_selectorELNS0_4arch9wavefront6targetE1EEEvSY_,"axG",@progbits,_ZN7rocprim17ROCPRIM_400000_NS6detail17trampoline_kernelINS0_13select_configILj256ELj13ELNS0_17block_load_methodE3ELS4_3ELS4_3ELNS0_20block_scan_algorithmE0ELj4294967295EEENS1_25partition_config_selectorILNS1_17partition_subalgoE3EjNS0_10empty_typeEbEEZZNS1_14partition_implILS8_3ELb0ES6_jNS0_17counting_iteratorIjlEEPS9_SE_NS0_5tupleIJPjSE_EEENSF_IJSE_SE_EEES9_SG_JZNS1_25segmented_radix_sort_implINS0_14default_configELb1EPKiPiPKlPlN2at6native12_GLOBAL__N_18offset_tEEE10hipError_tPvRmT1_PNSt15iterator_traitsISY_E10value_typeET2_T3_PNSZ_IS14_E10value_typeET4_jRbjT5_S1A_jjP12ihipStream_tbEUljE_EEESV_SW_SX_S14_S18_S1A_T6_T7_T9_mT8_S1C_bDpT10_ENKUlT_T0_E_clISt17integral_constantIbLb1EES1O_IbLb0EEEEDaS1K_S1L_EUlS1K_E_NS1_11comp_targetILNS1_3genE8ELNS1_11target_archE1030ELNS1_3gpuE2ELNS1_3repE0EEENS1_30default_config_static_selectorELNS0_4arch9wavefront6targetE1EEEvSY_,comdat
	.globl	_ZN7rocprim17ROCPRIM_400000_NS6detail17trampoline_kernelINS0_13select_configILj256ELj13ELNS0_17block_load_methodE3ELS4_3ELS4_3ELNS0_20block_scan_algorithmE0ELj4294967295EEENS1_25partition_config_selectorILNS1_17partition_subalgoE3EjNS0_10empty_typeEbEEZZNS1_14partition_implILS8_3ELb0ES6_jNS0_17counting_iteratorIjlEEPS9_SE_NS0_5tupleIJPjSE_EEENSF_IJSE_SE_EEES9_SG_JZNS1_25segmented_radix_sort_implINS0_14default_configELb1EPKiPiPKlPlN2at6native12_GLOBAL__N_18offset_tEEE10hipError_tPvRmT1_PNSt15iterator_traitsISY_E10value_typeET2_T3_PNSZ_IS14_E10value_typeET4_jRbjT5_S1A_jjP12ihipStream_tbEUljE_EEESV_SW_SX_S14_S18_S1A_T6_T7_T9_mT8_S1C_bDpT10_ENKUlT_T0_E_clISt17integral_constantIbLb1EES1O_IbLb0EEEEDaS1K_S1L_EUlS1K_E_NS1_11comp_targetILNS1_3genE8ELNS1_11target_archE1030ELNS1_3gpuE2ELNS1_3repE0EEENS1_30default_config_static_selectorELNS0_4arch9wavefront6targetE1EEEvSY_ ; -- Begin function _ZN7rocprim17ROCPRIM_400000_NS6detail17trampoline_kernelINS0_13select_configILj256ELj13ELNS0_17block_load_methodE3ELS4_3ELS4_3ELNS0_20block_scan_algorithmE0ELj4294967295EEENS1_25partition_config_selectorILNS1_17partition_subalgoE3EjNS0_10empty_typeEbEEZZNS1_14partition_implILS8_3ELb0ES6_jNS0_17counting_iteratorIjlEEPS9_SE_NS0_5tupleIJPjSE_EEENSF_IJSE_SE_EEES9_SG_JZNS1_25segmented_radix_sort_implINS0_14default_configELb1EPKiPiPKlPlN2at6native12_GLOBAL__N_18offset_tEEE10hipError_tPvRmT1_PNSt15iterator_traitsISY_E10value_typeET2_T3_PNSZ_IS14_E10value_typeET4_jRbjT5_S1A_jjP12ihipStream_tbEUljE_EEESV_SW_SX_S14_S18_S1A_T6_T7_T9_mT8_S1C_bDpT10_ENKUlT_T0_E_clISt17integral_constantIbLb1EES1O_IbLb0EEEEDaS1K_S1L_EUlS1K_E_NS1_11comp_targetILNS1_3genE8ELNS1_11target_archE1030ELNS1_3gpuE2ELNS1_3repE0EEENS1_30default_config_static_selectorELNS0_4arch9wavefront6targetE1EEEvSY_
	.p2align	8
	.type	_ZN7rocprim17ROCPRIM_400000_NS6detail17trampoline_kernelINS0_13select_configILj256ELj13ELNS0_17block_load_methodE3ELS4_3ELS4_3ELNS0_20block_scan_algorithmE0ELj4294967295EEENS1_25partition_config_selectorILNS1_17partition_subalgoE3EjNS0_10empty_typeEbEEZZNS1_14partition_implILS8_3ELb0ES6_jNS0_17counting_iteratorIjlEEPS9_SE_NS0_5tupleIJPjSE_EEENSF_IJSE_SE_EEES9_SG_JZNS1_25segmented_radix_sort_implINS0_14default_configELb1EPKiPiPKlPlN2at6native12_GLOBAL__N_18offset_tEEE10hipError_tPvRmT1_PNSt15iterator_traitsISY_E10value_typeET2_T3_PNSZ_IS14_E10value_typeET4_jRbjT5_S1A_jjP12ihipStream_tbEUljE_EEESV_SW_SX_S14_S18_S1A_T6_T7_T9_mT8_S1C_bDpT10_ENKUlT_T0_E_clISt17integral_constantIbLb1EES1O_IbLb0EEEEDaS1K_S1L_EUlS1K_E_NS1_11comp_targetILNS1_3genE8ELNS1_11target_archE1030ELNS1_3gpuE2ELNS1_3repE0EEENS1_30default_config_static_selectorELNS0_4arch9wavefront6targetE1EEEvSY_,@function
_ZN7rocprim17ROCPRIM_400000_NS6detail17trampoline_kernelINS0_13select_configILj256ELj13ELNS0_17block_load_methodE3ELS4_3ELS4_3ELNS0_20block_scan_algorithmE0ELj4294967295EEENS1_25partition_config_selectorILNS1_17partition_subalgoE3EjNS0_10empty_typeEbEEZZNS1_14partition_implILS8_3ELb0ES6_jNS0_17counting_iteratorIjlEEPS9_SE_NS0_5tupleIJPjSE_EEENSF_IJSE_SE_EEES9_SG_JZNS1_25segmented_radix_sort_implINS0_14default_configELb1EPKiPiPKlPlN2at6native12_GLOBAL__N_18offset_tEEE10hipError_tPvRmT1_PNSt15iterator_traitsISY_E10value_typeET2_T3_PNSZ_IS14_E10value_typeET4_jRbjT5_S1A_jjP12ihipStream_tbEUljE_EEESV_SW_SX_S14_S18_S1A_T6_T7_T9_mT8_S1C_bDpT10_ENKUlT_T0_E_clISt17integral_constantIbLb1EES1O_IbLb0EEEEDaS1K_S1L_EUlS1K_E_NS1_11comp_targetILNS1_3genE8ELNS1_11target_archE1030ELNS1_3gpuE2ELNS1_3repE0EEENS1_30default_config_static_selectorELNS0_4arch9wavefront6targetE1EEEvSY_: ; @_ZN7rocprim17ROCPRIM_400000_NS6detail17trampoline_kernelINS0_13select_configILj256ELj13ELNS0_17block_load_methodE3ELS4_3ELS4_3ELNS0_20block_scan_algorithmE0ELj4294967295EEENS1_25partition_config_selectorILNS1_17partition_subalgoE3EjNS0_10empty_typeEbEEZZNS1_14partition_implILS8_3ELb0ES6_jNS0_17counting_iteratorIjlEEPS9_SE_NS0_5tupleIJPjSE_EEENSF_IJSE_SE_EEES9_SG_JZNS1_25segmented_radix_sort_implINS0_14default_configELb1EPKiPiPKlPlN2at6native12_GLOBAL__N_18offset_tEEE10hipError_tPvRmT1_PNSt15iterator_traitsISY_E10value_typeET2_T3_PNSZ_IS14_E10value_typeET4_jRbjT5_S1A_jjP12ihipStream_tbEUljE_EEESV_SW_SX_S14_S18_S1A_T6_T7_T9_mT8_S1C_bDpT10_ENKUlT_T0_E_clISt17integral_constantIbLb1EES1O_IbLb0EEEEDaS1K_S1L_EUlS1K_E_NS1_11comp_targetILNS1_3genE8ELNS1_11target_archE1030ELNS1_3gpuE2ELNS1_3repE0EEENS1_30default_config_static_selectorELNS0_4arch9wavefront6targetE1EEEvSY_
; %bb.0:
	.section	.rodata,"a",@progbits
	.p2align	6, 0x0
	.amdhsa_kernel _ZN7rocprim17ROCPRIM_400000_NS6detail17trampoline_kernelINS0_13select_configILj256ELj13ELNS0_17block_load_methodE3ELS4_3ELS4_3ELNS0_20block_scan_algorithmE0ELj4294967295EEENS1_25partition_config_selectorILNS1_17partition_subalgoE3EjNS0_10empty_typeEbEEZZNS1_14partition_implILS8_3ELb0ES6_jNS0_17counting_iteratorIjlEEPS9_SE_NS0_5tupleIJPjSE_EEENSF_IJSE_SE_EEES9_SG_JZNS1_25segmented_radix_sort_implINS0_14default_configELb1EPKiPiPKlPlN2at6native12_GLOBAL__N_18offset_tEEE10hipError_tPvRmT1_PNSt15iterator_traitsISY_E10value_typeET2_T3_PNSZ_IS14_E10value_typeET4_jRbjT5_S1A_jjP12ihipStream_tbEUljE_EEESV_SW_SX_S14_S18_S1A_T6_T7_T9_mT8_S1C_bDpT10_ENKUlT_T0_E_clISt17integral_constantIbLb1EES1O_IbLb0EEEEDaS1K_S1L_EUlS1K_E_NS1_11comp_targetILNS1_3genE8ELNS1_11target_archE1030ELNS1_3gpuE2ELNS1_3repE0EEENS1_30default_config_static_selectorELNS0_4arch9wavefront6targetE1EEEvSY_
		.amdhsa_group_segment_fixed_size 0
		.amdhsa_private_segment_fixed_size 0
		.amdhsa_kernarg_size 144
		.amdhsa_user_sgpr_count 6
		.amdhsa_user_sgpr_private_segment_buffer 1
		.amdhsa_user_sgpr_dispatch_ptr 0
		.amdhsa_user_sgpr_queue_ptr 0
		.amdhsa_user_sgpr_kernarg_segment_ptr 1
		.amdhsa_user_sgpr_dispatch_id 0
		.amdhsa_user_sgpr_flat_scratch_init 0
		.amdhsa_user_sgpr_kernarg_preload_length 0
		.amdhsa_user_sgpr_kernarg_preload_offset 0
		.amdhsa_user_sgpr_private_segment_size 0
		.amdhsa_uses_dynamic_stack 0
		.amdhsa_system_sgpr_private_segment_wavefront_offset 0
		.amdhsa_system_sgpr_workgroup_id_x 1
		.amdhsa_system_sgpr_workgroup_id_y 0
		.amdhsa_system_sgpr_workgroup_id_z 0
		.amdhsa_system_sgpr_workgroup_info 0
		.amdhsa_system_vgpr_workitem_id 0
		.amdhsa_next_free_vgpr 1
		.amdhsa_next_free_sgpr 0
		.amdhsa_accum_offset 4
		.amdhsa_reserve_vcc 0
		.amdhsa_reserve_flat_scratch 0
		.amdhsa_float_round_mode_32 0
		.amdhsa_float_round_mode_16_64 0
		.amdhsa_float_denorm_mode_32 3
		.amdhsa_float_denorm_mode_16_64 3
		.amdhsa_dx10_clamp 1
		.amdhsa_ieee_mode 1
		.amdhsa_fp16_overflow 0
		.amdhsa_tg_split 0
		.amdhsa_exception_fp_ieee_invalid_op 0
		.amdhsa_exception_fp_denorm_src 0
		.amdhsa_exception_fp_ieee_div_zero 0
		.amdhsa_exception_fp_ieee_overflow 0
		.amdhsa_exception_fp_ieee_underflow 0
		.amdhsa_exception_fp_ieee_inexact 0
		.amdhsa_exception_int_div_zero 0
	.end_amdhsa_kernel
	.section	.text._ZN7rocprim17ROCPRIM_400000_NS6detail17trampoline_kernelINS0_13select_configILj256ELj13ELNS0_17block_load_methodE3ELS4_3ELS4_3ELNS0_20block_scan_algorithmE0ELj4294967295EEENS1_25partition_config_selectorILNS1_17partition_subalgoE3EjNS0_10empty_typeEbEEZZNS1_14partition_implILS8_3ELb0ES6_jNS0_17counting_iteratorIjlEEPS9_SE_NS0_5tupleIJPjSE_EEENSF_IJSE_SE_EEES9_SG_JZNS1_25segmented_radix_sort_implINS0_14default_configELb1EPKiPiPKlPlN2at6native12_GLOBAL__N_18offset_tEEE10hipError_tPvRmT1_PNSt15iterator_traitsISY_E10value_typeET2_T3_PNSZ_IS14_E10value_typeET4_jRbjT5_S1A_jjP12ihipStream_tbEUljE_EEESV_SW_SX_S14_S18_S1A_T6_T7_T9_mT8_S1C_bDpT10_ENKUlT_T0_E_clISt17integral_constantIbLb1EES1O_IbLb0EEEEDaS1K_S1L_EUlS1K_E_NS1_11comp_targetILNS1_3genE8ELNS1_11target_archE1030ELNS1_3gpuE2ELNS1_3repE0EEENS1_30default_config_static_selectorELNS0_4arch9wavefront6targetE1EEEvSY_,"axG",@progbits,_ZN7rocprim17ROCPRIM_400000_NS6detail17trampoline_kernelINS0_13select_configILj256ELj13ELNS0_17block_load_methodE3ELS4_3ELS4_3ELNS0_20block_scan_algorithmE0ELj4294967295EEENS1_25partition_config_selectorILNS1_17partition_subalgoE3EjNS0_10empty_typeEbEEZZNS1_14partition_implILS8_3ELb0ES6_jNS0_17counting_iteratorIjlEEPS9_SE_NS0_5tupleIJPjSE_EEENSF_IJSE_SE_EEES9_SG_JZNS1_25segmented_radix_sort_implINS0_14default_configELb1EPKiPiPKlPlN2at6native12_GLOBAL__N_18offset_tEEE10hipError_tPvRmT1_PNSt15iterator_traitsISY_E10value_typeET2_T3_PNSZ_IS14_E10value_typeET4_jRbjT5_S1A_jjP12ihipStream_tbEUljE_EEESV_SW_SX_S14_S18_S1A_T6_T7_T9_mT8_S1C_bDpT10_ENKUlT_T0_E_clISt17integral_constantIbLb1EES1O_IbLb0EEEEDaS1K_S1L_EUlS1K_E_NS1_11comp_targetILNS1_3genE8ELNS1_11target_archE1030ELNS1_3gpuE2ELNS1_3repE0EEENS1_30default_config_static_selectorELNS0_4arch9wavefront6targetE1EEEvSY_,comdat
.Lfunc_end488:
	.size	_ZN7rocprim17ROCPRIM_400000_NS6detail17trampoline_kernelINS0_13select_configILj256ELj13ELNS0_17block_load_methodE3ELS4_3ELS4_3ELNS0_20block_scan_algorithmE0ELj4294967295EEENS1_25partition_config_selectorILNS1_17partition_subalgoE3EjNS0_10empty_typeEbEEZZNS1_14partition_implILS8_3ELb0ES6_jNS0_17counting_iteratorIjlEEPS9_SE_NS0_5tupleIJPjSE_EEENSF_IJSE_SE_EEES9_SG_JZNS1_25segmented_radix_sort_implINS0_14default_configELb1EPKiPiPKlPlN2at6native12_GLOBAL__N_18offset_tEEE10hipError_tPvRmT1_PNSt15iterator_traitsISY_E10value_typeET2_T3_PNSZ_IS14_E10value_typeET4_jRbjT5_S1A_jjP12ihipStream_tbEUljE_EEESV_SW_SX_S14_S18_S1A_T6_T7_T9_mT8_S1C_bDpT10_ENKUlT_T0_E_clISt17integral_constantIbLb1EES1O_IbLb0EEEEDaS1K_S1L_EUlS1K_E_NS1_11comp_targetILNS1_3genE8ELNS1_11target_archE1030ELNS1_3gpuE2ELNS1_3repE0EEENS1_30default_config_static_selectorELNS0_4arch9wavefront6targetE1EEEvSY_, .Lfunc_end488-_ZN7rocprim17ROCPRIM_400000_NS6detail17trampoline_kernelINS0_13select_configILj256ELj13ELNS0_17block_load_methodE3ELS4_3ELS4_3ELNS0_20block_scan_algorithmE0ELj4294967295EEENS1_25partition_config_selectorILNS1_17partition_subalgoE3EjNS0_10empty_typeEbEEZZNS1_14partition_implILS8_3ELb0ES6_jNS0_17counting_iteratorIjlEEPS9_SE_NS0_5tupleIJPjSE_EEENSF_IJSE_SE_EEES9_SG_JZNS1_25segmented_radix_sort_implINS0_14default_configELb1EPKiPiPKlPlN2at6native12_GLOBAL__N_18offset_tEEE10hipError_tPvRmT1_PNSt15iterator_traitsISY_E10value_typeET2_T3_PNSZ_IS14_E10value_typeET4_jRbjT5_S1A_jjP12ihipStream_tbEUljE_EEESV_SW_SX_S14_S18_S1A_T6_T7_T9_mT8_S1C_bDpT10_ENKUlT_T0_E_clISt17integral_constantIbLb1EES1O_IbLb0EEEEDaS1K_S1L_EUlS1K_E_NS1_11comp_targetILNS1_3genE8ELNS1_11target_archE1030ELNS1_3gpuE2ELNS1_3repE0EEENS1_30default_config_static_selectorELNS0_4arch9wavefront6targetE1EEEvSY_
                                        ; -- End function
	.section	.AMDGPU.csdata,"",@progbits
; Kernel info:
; codeLenInByte = 0
; NumSgprs: 4
; NumVgprs: 0
; NumAgprs: 0
; TotalNumVgprs: 0
; ScratchSize: 0
; MemoryBound: 0
; FloatMode: 240
; IeeeMode: 1
; LDSByteSize: 0 bytes/workgroup (compile time only)
; SGPRBlocks: 0
; VGPRBlocks: 0
; NumSGPRsForWavesPerEU: 4
; NumVGPRsForWavesPerEU: 1
; AccumOffset: 4
; Occupancy: 8
; WaveLimiterHint : 0
; COMPUTE_PGM_RSRC2:SCRATCH_EN: 0
; COMPUTE_PGM_RSRC2:USER_SGPR: 6
; COMPUTE_PGM_RSRC2:TRAP_HANDLER: 0
; COMPUTE_PGM_RSRC2:TGID_X_EN: 1
; COMPUTE_PGM_RSRC2:TGID_Y_EN: 0
; COMPUTE_PGM_RSRC2:TGID_Z_EN: 0
; COMPUTE_PGM_RSRC2:TIDIG_COMP_CNT: 0
; COMPUTE_PGM_RSRC3_GFX90A:ACCUM_OFFSET: 0
; COMPUTE_PGM_RSRC3_GFX90A:TG_SPLIT: 0
	.section	.text._ZN7rocprim17ROCPRIM_400000_NS6detail17trampoline_kernelINS0_13select_configILj256ELj13ELNS0_17block_load_methodE3ELS4_3ELS4_3ELNS0_20block_scan_algorithmE0ELj4294967295EEENS1_25partition_config_selectorILNS1_17partition_subalgoE3EjNS0_10empty_typeEbEEZZNS1_14partition_implILS8_3ELb0ES6_jNS0_17counting_iteratorIjlEEPS9_SE_NS0_5tupleIJPjSE_EEENSF_IJSE_SE_EEES9_SG_JZNS1_25segmented_radix_sort_implINS0_14default_configELb1EPKiPiPKlPlN2at6native12_GLOBAL__N_18offset_tEEE10hipError_tPvRmT1_PNSt15iterator_traitsISY_E10value_typeET2_T3_PNSZ_IS14_E10value_typeET4_jRbjT5_S1A_jjP12ihipStream_tbEUljE_EEESV_SW_SX_S14_S18_S1A_T6_T7_T9_mT8_S1C_bDpT10_ENKUlT_T0_E_clISt17integral_constantIbLb0EES1O_IbLb1EEEEDaS1K_S1L_EUlS1K_E_NS1_11comp_targetILNS1_3genE0ELNS1_11target_archE4294967295ELNS1_3gpuE0ELNS1_3repE0EEENS1_30default_config_static_selectorELNS0_4arch9wavefront6targetE1EEEvSY_,"axG",@progbits,_ZN7rocprim17ROCPRIM_400000_NS6detail17trampoline_kernelINS0_13select_configILj256ELj13ELNS0_17block_load_methodE3ELS4_3ELS4_3ELNS0_20block_scan_algorithmE0ELj4294967295EEENS1_25partition_config_selectorILNS1_17partition_subalgoE3EjNS0_10empty_typeEbEEZZNS1_14partition_implILS8_3ELb0ES6_jNS0_17counting_iteratorIjlEEPS9_SE_NS0_5tupleIJPjSE_EEENSF_IJSE_SE_EEES9_SG_JZNS1_25segmented_radix_sort_implINS0_14default_configELb1EPKiPiPKlPlN2at6native12_GLOBAL__N_18offset_tEEE10hipError_tPvRmT1_PNSt15iterator_traitsISY_E10value_typeET2_T3_PNSZ_IS14_E10value_typeET4_jRbjT5_S1A_jjP12ihipStream_tbEUljE_EEESV_SW_SX_S14_S18_S1A_T6_T7_T9_mT8_S1C_bDpT10_ENKUlT_T0_E_clISt17integral_constantIbLb0EES1O_IbLb1EEEEDaS1K_S1L_EUlS1K_E_NS1_11comp_targetILNS1_3genE0ELNS1_11target_archE4294967295ELNS1_3gpuE0ELNS1_3repE0EEENS1_30default_config_static_selectorELNS0_4arch9wavefront6targetE1EEEvSY_,comdat
	.globl	_ZN7rocprim17ROCPRIM_400000_NS6detail17trampoline_kernelINS0_13select_configILj256ELj13ELNS0_17block_load_methodE3ELS4_3ELS4_3ELNS0_20block_scan_algorithmE0ELj4294967295EEENS1_25partition_config_selectorILNS1_17partition_subalgoE3EjNS0_10empty_typeEbEEZZNS1_14partition_implILS8_3ELb0ES6_jNS0_17counting_iteratorIjlEEPS9_SE_NS0_5tupleIJPjSE_EEENSF_IJSE_SE_EEES9_SG_JZNS1_25segmented_radix_sort_implINS0_14default_configELb1EPKiPiPKlPlN2at6native12_GLOBAL__N_18offset_tEEE10hipError_tPvRmT1_PNSt15iterator_traitsISY_E10value_typeET2_T3_PNSZ_IS14_E10value_typeET4_jRbjT5_S1A_jjP12ihipStream_tbEUljE_EEESV_SW_SX_S14_S18_S1A_T6_T7_T9_mT8_S1C_bDpT10_ENKUlT_T0_E_clISt17integral_constantIbLb0EES1O_IbLb1EEEEDaS1K_S1L_EUlS1K_E_NS1_11comp_targetILNS1_3genE0ELNS1_11target_archE4294967295ELNS1_3gpuE0ELNS1_3repE0EEENS1_30default_config_static_selectorELNS0_4arch9wavefront6targetE1EEEvSY_ ; -- Begin function _ZN7rocprim17ROCPRIM_400000_NS6detail17trampoline_kernelINS0_13select_configILj256ELj13ELNS0_17block_load_methodE3ELS4_3ELS4_3ELNS0_20block_scan_algorithmE0ELj4294967295EEENS1_25partition_config_selectorILNS1_17partition_subalgoE3EjNS0_10empty_typeEbEEZZNS1_14partition_implILS8_3ELb0ES6_jNS0_17counting_iteratorIjlEEPS9_SE_NS0_5tupleIJPjSE_EEENSF_IJSE_SE_EEES9_SG_JZNS1_25segmented_radix_sort_implINS0_14default_configELb1EPKiPiPKlPlN2at6native12_GLOBAL__N_18offset_tEEE10hipError_tPvRmT1_PNSt15iterator_traitsISY_E10value_typeET2_T3_PNSZ_IS14_E10value_typeET4_jRbjT5_S1A_jjP12ihipStream_tbEUljE_EEESV_SW_SX_S14_S18_S1A_T6_T7_T9_mT8_S1C_bDpT10_ENKUlT_T0_E_clISt17integral_constantIbLb0EES1O_IbLb1EEEEDaS1K_S1L_EUlS1K_E_NS1_11comp_targetILNS1_3genE0ELNS1_11target_archE4294967295ELNS1_3gpuE0ELNS1_3repE0EEENS1_30default_config_static_selectorELNS0_4arch9wavefront6targetE1EEEvSY_
	.p2align	8
	.type	_ZN7rocprim17ROCPRIM_400000_NS6detail17trampoline_kernelINS0_13select_configILj256ELj13ELNS0_17block_load_methodE3ELS4_3ELS4_3ELNS0_20block_scan_algorithmE0ELj4294967295EEENS1_25partition_config_selectorILNS1_17partition_subalgoE3EjNS0_10empty_typeEbEEZZNS1_14partition_implILS8_3ELb0ES6_jNS0_17counting_iteratorIjlEEPS9_SE_NS0_5tupleIJPjSE_EEENSF_IJSE_SE_EEES9_SG_JZNS1_25segmented_radix_sort_implINS0_14default_configELb1EPKiPiPKlPlN2at6native12_GLOBAL__N_18offset_tEEE10hipError_tPvRmT1_PNSt15iterator_traitsISY_E10value_typeET2_T3_PNSZ_IS14_E10value_typeET4_jRbjT5_S1A_jjP12ihipStream_tbEUljE_EEESV_SW_SX_S14_S18_S1A_T6_T7_T9_mT8_S1C_bDpT10_ENKUlT_T0_E_clISt17integral_constantIbLb0EES1O_IbLb1EEEEDaS1K_S1L_EUlS1K_E_NS1_11comp_targetILNS1_3genE0ELNS1_11target_archE4294967295ELNS1_3gpuE0ELNS1_3repE0EEENS1_30default_config_static_selectorELNS0_4arch9wavefront6targetE1EEEvSY_,@function
_ZN7rocprim17ROCPRIM_400000_NS6detail17trampoline_kernelINS0_13select_configILj256ELj13ELNS0_17block_load_methodE3ELS4_3ELS4_3ELNS0_20block_scan_algorithmE0ELj4294967295EEENS1_25partition_config_selectorILNS1_17partition_subalgoE3EjNS0_10empty_typeEbEEZZNS1_14partition_implILS8_3ELb0ES6_jNS0_17counting_iteratorIjlEEPS9_SE_NS0_5tupleIJPjSE_EEENSF_IJSE_SE_EEES9_SG_JZNS1_25segmented_radix_sort_implINS0_14default_configELb1EPKiPiPKlPlN2at6native12_GLOBAL__N_18offset_tEEE10hipError_tPvRmT1_PNSt15iterator_traitsISY_E10value_typeET2_T3_PNSZ_IS14_E10value_typeET4_jRbjT5_S1A_jjP12ihipStream_tbEUljE_EEESV_SW_SX_S14_S18_S1A_T6_T7_T9_mT8_S1C_bDpT10_ENKUlT_T0_E_clISt17integral_constantIbLb0EES1O_IbLb1EEEEDaS1K_S1L_EUlS1K_E_NS1_11comp_targetILNS1_3genE0ELNS1_11target_archE4294967295ELNS1_3gpuE0ELNS1_3repE0EEENS1_30default_config_static_selectorELNS0_4arch9wavefront6targetE1EEEvSY_: ; @_ZN7rocprim17ROCPRIM_400000_NS6detail17trampoline_kernelINS0_13select_configILj256ELj13ELNS0_17block_load_methodE3ELS4_3ELS4_3ELNS0_20block_scan_algorithmE0ELj4294967295EEENS1_25partition_config_selectorILNS1_17partition_subalgoE3EjNS0_10empty_typeEbEEZZNS1_14partition_implILS8_3ELb0ES6_jNS0_17counting_iteratorIjlEEPS9_SE_NS0_5tupleIJPjSE_EEENSF_IJSE_SE_EEES9_SG_JZNS1_25segmented_radix_sort_implINS0_14default_configELb1EPKiPiPKlPlN2at6native12_GLOBAL__N_18offset_tEEE10hipError_tPvRmT1_PNSt15iterator_traitsISY_E10value_typeET2_T3_PNSZ_IS14_E10value_typeET4_jRbjT5_S1A_jjP12ihipStream_tbEUljE_EEESV_SW_SX_S14_S18_S1A_T6_T7_T9_mT8_S1C_bDpT10_ENKUlT_T0_E_clISt17integral_constantIbLb0EES1O_IbLb1EEEEDaS1K_S1L_EUlS1K_E_NS1_11comp_targetILNS1_3genE0ELNS1_11target_archE4294967295ELNS1_3gpuE0ELNS1_3repE0EEENS1_30default_config_static_selectorELNS0_4arch9wavefront6targetE1EEEvSY_
; %bb.0:
	.section	.rodata,"a",@progbits
	.p2align	6, 0x0
	.amdhsa_kernel _ZN7rocprim17ROCPRIM_400000_NS6detail17trampoline_kernelINS0_13select_configILj256ELj13ELNS0_17block_load_methodE3ELS4_3ELS4_3ELNS0_20block_scan_algorithmE0ELj4294967295EEENS1_25partition_config_selectorILNS1_17partition_subalgoE3EjNS0_10empty_typeEbEEZZNS1_14partition_implILS8_3ELb0ES6_jNS0_17counting_iteratorIjlEEPS9_SE_NS0_5tupleIJPjSE_EEENSF_IJSE_SE_EEES9_SG_JZNS1_25segmented_radix_sort_implINS0_14default_configELb1EPKiPiPKlPlN2at6native12_GLOBAL__N_18offset_tEEE10hipError_tPvRmT1_PNSt15iterator_traitsISY_E10value_typeET2_T3_PNSZ_IS14_E10value_typeET4_jRbjT5_S1A_jjP12ihipStream_tbEUljE_EEESV_SW_SX_S14_S18_S1A_T6_T7_T9_mT8_S1C_bDpT10_ENKUlT_T0_E_clISt17integral_constantIbLb0EES1O_IbLb1EEEEDaS1K_S1L_EUlS1K_E_NS1_11comp_targetILNS1_3genE0ELNS1_11target_archE4294967295ELNS1_3gpuE0ELNS1_3repE0EEENS1_30default_config_static_selectorELNS0_4arch9wavefront6targetE1EEEvSY_
		.amdhsa_group_segment_fixed_size 0
		.amdhsa_private_segment_fixed_size 0
		.amdhsa_kernarg_size 152
		.amdhsa_user_sgpr_count 6
		.amdhsa_user_sgpr_private_segment_buffer 1
		.amdhsa_user_sgpr_dispatch_ptr 0
		.amdhsa_user_sgpr_queue_ptr 0
		.amdhsa_user_sgpr_kernarg_segment_ptr 1
		.amdhsa_user_sgpr_dispatch_id 0
		.amdhsa_user_sgpr_flat_scratch_init 0
		.amdhsa_user_sgpr_kernarg_preload_length 0
		.amdhsa_user_sgpr_kernarg_preload_offset 0
		.amdhsa_user_sgpr_private_segment_size 0
		.amdhsa_uses_dynamic_stack 0
		.amdhsa_system_sgpr_private_segment_wavefront_offset 0
		.amdhsa_system_sgpr_workgroup_id_x 1
		.amdhsa_system_sgpr_workgroup_id_y 0
		.amdhsa_system_sgpr_workgroup_id_z 0
		.amdhsa_system_sgpr_workgroup_info 0
		.amdhsa_system_vgpr_workitem_id 0
		.amdhsa_next_free_vgpr 1
		.amdhsa_next_free_sgpr 0
		.amdhsa_accum_offset 4
		.amdhsa_reserve_vcc 0
		.amdhsa_reserve_flat_scratch 0
		.amdhsa_float_round_mode_32 0
		.amdhsa_float_round_mode_16_64 0
		.amdhsa_float_denorm_mode_32 3
		.amdhsa_float_denorm_mode_16_64 3
		.amdhsa_dx10_clamp 1
		.amdhsa_ieee_mode 1
		.amdhsa_fp16_overflow 0
		.amdhsa_tg_split 0
		.amdhsa_exception_fp_ieee_invalid_op 0
		.amdhsa_exception_fp_denorm_src 0
		.amdhsa_exception_fp_ieee_div_zero 0
		.amdhsa_exception_fp_ieee_overflow 0
		.amdhsa_exception_fp_ieee_underflow 0
		.amdhsa_exception_fp_ieee_inexact 0
		.amdhsa_exception_int_div_zero 0
	.end_amdhsa_kernel
	.section	.text._ZN7rocprim17ROCPRIM_400000_NS6detail17trampoline_kernelINS0_13select_configILj256ELj13ELNS0_17block_load_methodE3ELS4_3ELS4_3ELNS0_20block_scan_algorithmE0ELj4294967295EEENS1_25partition_config_selectorILNS1_17partition_subalgoE3EjNS0_10empty_typeEbEEZZNS1_14partition_implILS8_3ELb0ES6_jNS0_17counting_iteratorIjlEEPS9_SE_NS0_5tupleIJPjSE_EEENSF_IJSE_SE_EEES9_SG_JZNS1_25segmented_radix_sort_implINS0_14default_configELb1EPKiPiPKlPlN2at6native12_GLOBAL__N_18offset_tEEE10hipError_tPvRmT1_PNSt15iterator_traitsISY_E10value_typeET2_T3_PNSZ_IS14_E10value_typeET4_jRbjT5_S1A_jjP12ihipStream_tbEUljE_EEESV_SW_SX_S14_S18_S1A_T6_T7_T9_mT8_S1C_bDpT10_ENKUlT_T0_E_clISt17integral_constantIbLb0EES1O_IbLb1EEEEDaS1K_S1L_EUlS1K_E_NS1_11comp_targetILNS1_3genE0ELNS1_11target_archE4294967295ELNS1_3gpuE0ELNS1_3repE0EEENS1_30default_config_static_selectorELNS0_4arch9wavefront6targetE1EEEvSY_,"axG",@progbits,_ZN7rocprim17ROCPRIM_400000_NS6detail17trampoline_kernelINS0_13select_configILj256ELj13ELNS0_17block_load_methodE3ELS4_3ELS4_3ELNS0_20block_scan_algorithmE0ELj4294967295EEENS1_25partition_config_selectorILNS1_17partition_subalgoE3EjNS0_10empty_typeEbEEZZNS1_14partition_implILS8_3ELb0ES6_jNS0_17counting_iteratorIjlEEPS9_SE_NS0_5tupleIJPjSE_EEENSF_IJSE_SE_EEES9_SG_JZNS1_25segmented_radix_sort_implINS0_14default_configELb1EPKiPiPKlPlN2at6native12_GLOBAL__N_18offset_tEEE10hipError_tPvRmT1_PNSt15iterator_traitsISY_E10value_typeET2_T3_PNSZ_IS14_E10value_typeET4_jRbjT5_S1A_jjP12ihipStream_tbEUljE_EEESV_SW_SX_S14_S18_S1A_T6_T7_T9_mT8_S1C_bDpT10_ENKUlT_T0_E_clISt17integral_constantIbLb0EES1O_IbLb1EEEEDaS1K_S1L_EUlS1K_E_NS1_11comp_targetILNS1_3genE0ELNS1_11target_archE4294967295ELNS1_3gpuE0ELNS1_3repE0EEENS1_30default_config_static_selectorELNS0_4arch9wavefront6targetE1EEEvSY_,comdat
.Lfunc_end489:
	.size	_ZN7rocprim17ROCPRIM_400000_NS6detail17trampoline_kernelINS0_13select_configILj256ELj13ELNS0_17block_load_methodE3ELS4_3ELS4_3ELNS0_20block_scan_algorithmE0ELj4294967295EEENS1_25partition_config_selectorILNS1_17partition_subalgoE3EjNS0_10empty_typeEbEEZZNS1_14partition_implILS8_3ELb0ES6_jNS0_17counting_iteratorIjlEEPS9_SE_NS0_5tupleIJPjSE_EEENSF_IJSE_SE_EEES9_SG_JZNS1_25segmented_radix_sort_implINS0_14default_configELb1EPKiPiPKlPlN2at6native12_GLOBAL__N_18offset_tEEE10hipError_tPvRmT1_PNSt15iterator_traitsISY_E10value_typeET2_T3_PNSZ_IS14_E10value_typeET4_jRbjT5_S1A_jjP12ihipStream_tbEUljE_EEESV_SW_SX_S14_S18_S1A_T6_T7_T9_mT8_S1C_bDpT10_ENKUlT_T0_E_clISt17integral_constantIbLb0EES1O_IbLb1EEEEDaS1K_S1L_EUlS1K_E_NS1_11comp_targetILNS1_3genE0ELNS1_11target_archE4294967295ELNS1_3gpuE0ELNS1_3repE0EEENS1_30default_config_static_selectorELNS0_4arch9wavefront6targetE1EEEvSY_, .Lfunc_end489-_ZN7rocprim17ROCPRIM_400000_NS6detail17trampoline_kernelINS0_13select_configILj256ELj13ELNS0_17block_load_methodE3ELS4_3ELS4_3ELNS0_20block_scan_algorithmE0ELj4294967295EEENS1_25partition_config_selectorILNS1_17partition_subalgoE3EjNS0_10empty_typeEbEEZZNS1_14partition_implILS8_3ELb0ES6_jNS0_17counting_iteratorIjlEEPS9_SE_NS0_5tupleIJPjSE_EEENSF_IJSE_SE_EEES9_SG_JZNS1_25segmented_radix_sort_implINS0_14default_configELb1EPKiPiPKlPlN2at6native12_GLOBAL__N_18offset_tEEE10hipError_tPvRmT1_PNSt15iterator_traitsISY_E10value_typeET2_T3_PNSZ_IS14_E10value_typeET4_jRbjT5_S1A_jjP12ihipStream_tbEUljE_EEESV_SW_SX_S14_S18_S1A_T6_T7_T9_mT8_S1C_bDpT10_ENKUlT_T0_E_clISt17integral_constantIbLb0EES1O_IbLb1EEEEDaS1K_S1L_EUlS1K_E_NS1_11comp_targetILNS1_3genE0ELNS1_11target_archE4294967295ELNS1_3gpuE0ELNS1_3repE0EEENS1_30default_config_static_selectorELNS0_4arch9wavefront6targetE1EEEvSY_
                                        ; -- End function
	.section	.AMDGPU.csdata,"",@progbits
; Kernel info:
; codeLenInByte = 0
; NumSgprs: 4
; NumVgprs: 0
; NumAgprs: 0
; TotalNumVgprs: 0
; ScratchSize: 0
; MemoryBound: 0
; FloatMode: 240
; IeeeMode: 1
; LDSByteSize: 0 bytes/workgroup (compile time only)
; SGPRBlocks: 0
; VGPRBlocks: 0
; NumSGPRsForWavesPerEU: 4
; NumVGPRsForWavesPerEU: 1
; AccumOffset: 4
; Occupancy: 8
; WaveLimiterHint : 0
; COMPUTE_PGM_RSRC2:SCRATCH_EN: 0
; COMPUTE_PGM_RSRC2:USER_SGPR: 6
; COMPUTE_PGM_RSRC2:TRAP_HANDLER: 0
; COMPUTE_PGM_RSRC2:TGID_X_EN: 1
; COMPUTE_PGM_RSRC2:TGID_Y_EN: 0
; COMPUTE_PGM_RSRC2:TGID_Z_EN: 0
; COMPUTE_PGM_RSRC2:TIDIG_COMP_CNT: 0
; COMPUTE_PGM_RSRC3_GFX90A:ACCUM_OFFSET: 0
; COMPUTE_PGM_RSRC3_GFX90A:TG_SPLIT: 0
	.section	.text._ZN7rocprim17ROCPRIM_400000_NS6detail17trampoline_kernelINS0_13select_configILj256ELj13ELNS0_17block_load_methodE3ELS4_3ELS4_3ELNS0_20block_scan_algorithmE0ELj4294967295EEENS1_25partition_config_selectorILNS1_17partition_subalgoE3EjNS0_10empty_typeEbEEZZNS1_14partition_implILS8_3ELb0ES6_jNS0_17counting_iteratorIjlEEPS9_SE_NS0_5tupleIJPjSE_EEENSF_IJSE_SE_EEES9_SG_JZNS1_25segmented_radix_sort_implINS0_14default_configELb1EPKiPiPKlPlN2at6native12_GLOBAL__N_18offset_tEEE10hipError_tPvRmT1_PNSt15iterator_traitsISY_E10value_typeET2_T3_PNSZ_IS14_E10value_typeET4_jRbjT5_S1A_jjP12ihipStream_tbEUljE_EEESV_SW_SX_S14_S18_S1A_T6_T7_T9_mT8_S1C_bDpT10_ENKUlT_T0_E_clISt17integral_constantIbLb0EES1O_IbLb1EEEEDaS1K_S1L_EUlS1K_E_NS1_11comp_targetILNS1_3genE5ELNS1_11target_archE942ELNS1_3gpuE9ELNS1_3repE0EEENS1_30default_config_static_selectorELNS0_4arch9wavefront6targetE1EEEvSY_,"axG",@progbits,_ZN7rocprim17ROCPRIM_400000_NS6detail17trampoline_kernelINS0_13select_configILj256ELj13ELNS0_17block_load_methodE3ELS4_3ELS4_3ELNS0_20block_scan_algorithmE0ELj4294967295EEENS1_25partition_config_selectorILNS1_17partition_subalgoE3EjNS0_10empty_typeEbEEZZNS1_14partition_implILS8_3ELb0ES6_jNS0_17counting_iteratorIjlEEPS9_SE_NS0_5tupleIJPjSE_EEENSF_IJSE_SE_EEES9_SG_JZNS1_25segmented_radix_sort_implINS0_14default_configELb1EPKiPiPKlPlN2at6native12_GLOBAL__N_18offset_tEEE10hipError_tPvRmT1_PNSt15iterator_traitsISY_E10value_typeET2_T3_PNSZ_IS14_E10value_typeET4_jRbjT5_S1A_jjP12ihipStream_tbEUljE_EEESV_SW_SX_S14_S18_S1A_T6_T7_T9_mT8_S1C_bDpT10_ENKUlT_T0_E_clISt17integral_constantIbLb0EES1O_IbLb1EEEEDaS1K_S1L_EUlS1K_E_NS1_11comp_targetILNS1_3genE5ELNS1_11target_archE942ELNS1_3gpuE9ELNS1_3repE0EEENS1_30default_config_static_selectorELNS0_4arch9wavefront6targetE1EEEvSY_,comdat
	.globl	_ZN7rocprim17ROCPRIM_400000_NS6detail17trampoline_kernelINS0_13select_configILj256ELj13ELNS0_17block_load_methodE3ELS4_3ELS4_3ELNS0_20block_scan_algorithmE0ELj4294967295EEENS1_25partition_config_selectorILNS1_17partition_subalgoE3EjNS0_10empty_typeEbEEZZNS1_14partition_implILS8_3ELb0ES6_jNS0_17counting_iteratorIjlEEPS9_SE_NS0_5tupleIJPjSE_EEENSF_IJSE_SE_EEES9_SG_JZNS1_25segmented_radix_sort_implINS0_14default_configELb1EPKiPiPKlPlN2at6native12_GLOBAL__N_18offset_tEEE10hipError_tPvRmT1_PNSt15iterator_traitsISY_E10value_typeET2_T3_PNSZ_IS14_E10value_typeET4_jRbjT5_S1A_jjP12ihipStream_tbEUljE_EEESV_SW_SX_S14_S18_S1A_T6_T7_T9_mT8_S1C_bDpT10_ENKUlT_T0_E_clISt17integral_constantIbLb0EES1O_IbLb1EEEEDaS1K_S1L_EUlS1K_E_NS1_11comp_targetILNS1_3genE5ELNS1_11target_archE942ELNS1_3gpuE9ELNS1_3repE0EEENS1_30default_config_static_selectorELNS0_4arch9wavefront6targetE1EEEvSY_ ; -- Begin function _ZN7rocprim17ROCPRIM_400000_NS6detail17trampoline_kernelINS0_13select_configILj256ELj13ELNS0_17block_load_methodE3ELS4_3ELS4_3ELNS0_20block_scan_algorithmE0ELj4294967295EEENS1_25partition_config_selectorILNS1_17partition_subalgoE3EjNS0_10empty_typeEbEEZZNS1_14partition_implILS8_3ELb0ES6_jNS0_17counting_iteratorIjlEEPS9_SE_NS0_5tupleIJPjSE_EEENSF_IJSE_SE_EEES9_SG_JZNS1_25segmented_radix_sort_implINS0_14default_configELb1EPKiPiPKlPlN2at6native12_GLOBAL__N_18offset_tEEE10hipError_tPvRmT1_PNSt15iterator_traitsISY_E10value_typeET2_T3_PNSZ_IS14_E10value_typeET4_jRbjT5_S1A_jjP12ihipStream_tbEUljE_EEESV_SW_SX_S14_S18_S1A_T6_T7_T9_mT8_S1C_bDpT10_ENKUlT_T0_E_clISt17integral_constantIbLb0EES1O_IbLb1EEEEDaS1K_S1L_EUlS1K_E_NS1_11comp_targetILNS1_3genE5ELNS1_11target_archE942ELNS1_3gpuE9ELNS1_3repE0EEENS1_30default_config_static_selectorELNS0_4arch9wavefront6targetE1EEEvSY_
	.p2align	8
	.type	_ZN7rocprim17ROCPRIM_400000_NS6detail17trampoline_kernelINS0_13select_configILj256ELj13ELNS0_17block_load_methodE3ELS4_3ELS4_3ELNS0_20block_scan_algorithmE0ELj4294967295EEENS1_25partition_config_selectorILNS1_17partition_subalgoE3EjNS0_10empty_typeEbEEZZNS1_14partition_implILS8_3ELb0ES6_jNS0_17counting_iteratorIjlEEPS9_SE_NS0_5tupleIJPjSE_EEENSF_IJSE_SE_EEES9_SG_JZNS1_25segmented_radix_sort_implINS0_14default_configELb1EPKiPiPKlPlN2at6native12_GLOBAL__N_18offset_tEEE10hipError_tPvRmT1_PNSt15iterator_traitsISY_E10value_typeET2_T3_PNSZ_IS14_E10value_typeET4_jRbjT5_S1A_jjP12ihipStream_tbEUljE_EEESV_SW_SX_S14_S18_S1A_T6_T7_T9_mT8_S1C_bDpT10_ENKUlT_T0_E_clISt17integral_constantIbLb0EES1O_IbLb1EEEEDaS1K_S1L_EUlS1K_E_NS1_11comp_targetILNS1_3genE5ELNS1_11target_archE942ELNS1_3gpuE9ELNS1_3repE0EEENS1_30default_config_static_selectorELNS0_4arch9wavefront6targetE1EEEvSY_,@function
_ZN7rocprim17ROCPRIM_400000_NS6detail17trampoline_kernelINS0_13select_configILj256ELj13ELNS0_17block_load_methodE3ELS4_3ELS4_3ELNS0_20block_scan_algorithmE0ELj4294967295EEENS1_25partition_config_selectorILNS1_17partition_subalgoE3EjNS0_10empty_typeEbEEZZNS1_14partition_implILS8_3ELb0ES6_jNS0_17counting_iteratorIjlEEPS9_SE_NS0_5tupleIJPjSE_EEENSF_IJSE_SE_EEES9_SG_JZNS1_25segmented_radix_sort_implINS0_14default_configELb1EPKiPiPKlPlN2at6native12_GLOBAL__N_18offset_tEEE10hipError_tPvRmT1_PNSt15iterator_traitsISY_E10value_typeET2_T3_PNSZ_IS14_E10value_typeET4_jRbjT5_S1A_jjP12ihipStream_tbEUljE_EEESV_SW_SX_S14_S18_S1A_T6_T7_T9_mT8_S1C_bDpT10_ENKUlT_T0_E_clISt17integral_constantIbLb0EES1O_IbLb1EEEEDaS1K_S1L_EUlS1K_E_NS1_11comp_targetILNS1_3genE5ELNS1_11target_archE942ELNS1_3gpuE9ELNS1_3repE0EEENS1_30default_config_static_selectorELNS0_4arch9wavefront6targetE1EEEvSY_: ; @_ZN7rocprim17ROCPRIM_400000_NS6detail17trampoline_kernelINS0_13select_configILj256ELj13ELNS0_17block_load_methodE3ELS4_3ELS4_3ELNS0_20block_scan_algorithmE0ELj4294967295EEENS1_25partition_config_selectorILNS1_17partition_subalgoE3EjNS0_10empty_typeEbEEZZNS1_14partition_implILS8_3ELb0ES6_jNS0_17counting_iteratorIjlEEPS9_SE_NS0_5tupleIJPjSE_EEENSF_IJSE_SE_EEES9_SG_JZNS1_25segmented_radix_sort_implINS0_14default_configELb1EPKiPiPKlPlN2at6native12_GLOBAL__N_18offset_tEEE10hipError_tPvRmT1_PNSt15iterator_traitsISY_E10value_typeET2_T3_PNSZ_IS14_E10value_typeET4_jRbjT5_S1A_jjP12ihipStream_tbEUljE_EEESV_SW_SX_S14_S18_S1A_T6_T7_T9_mT8_S1C_bDpT10_ENKUlT_T0_E_clISt17integral_constantIbLb0EES1O_IbLb1EEEEDaS1K_S1L_EUlS1K_E_NS1_11comp_targetILNS1_3genE5ELNS1_11target_archE942ELNS1_3gpuE9ELNS1_3repE0EEENS1_30default_config_static_selectorELNS0_4arch9wavefront6targetE1EEEvSY_
; %bb.0:
	.section	.rodata,"a",@progbits
	.p2align	6, 0x0
	.amdhsa_kernel _ZN7rocprim17ROCPRIM_400000_NS6detail17trampoline_kernelINS0_13select_configILj256ELj13ELNS0_17block_load_methodE3ELS4_3ELS4_3ELNS0_20block_scan_algorithmE0ELj4294967295EEENS1_25partition_config_selectorILNS1_17partition_subalgoE3EjNS0_10empty_typeEbEEZZNS1_14partition_implILS8_3ELb0ES6_jNS0_17counting_iteratorIjlEEPS9_SE_NS0_5tupleIJPjSE_EEENSF_IJSE_SE_EEES9_SG_JZNS1_25segmented_radix_sort_implINS0_14default_configELb1EPKiPiPKlPlN2at6native12_GLOBAL__N_18offset_tEEE10hipError_tPvRmT1_PNSt15iterator_traitsISY_E10value_typeET2_T3_PNSZ_IS14_E10value_typeET4_jRbjT5_S1A_jjP12ihipStream_tbEUljE_EEESV_SW_SX_S14_S18_S1A_T6_T7_T9_mT8_S1C_bDpT10_ENKUlT_T0_E_clISt17integral_constantIbLb0EES1O_IbLb1EEEEDaS1K_S1L_EUlS1K_E_NS1_11comp_targetILNS1_3genE5ELNS1_11target_archE942ELNS1_3gpuE9ELNS1_3repE0EEENS1_30default_config_static_selectorELNS0_4arch9wavefront6targetE1EEEvSY_
		.amdhsa_group_segment_fixed_size 0
		.amdhsa_private_segment_fixed_size 0
		.amdhsa_kernarg_size 152
		.amdhsa_user_sgpr_count 6
		.amdhsa_user_sgpr_private_segment_buffer 1
		.amdhsa_user_sgpr_dispatch_ptr 0
		.amdhsa_user_sgpr_queue_ptr 0
		.amdhsa_user_sgpr_kernarg_segment_ptr 1
		.amdhsa_user_sgpr_dispatch_id 0
		.amdhsa_user_sgpr_flat_scratch_init 0
		.amdhsa_user_sgpr_kernarg_preload_length 0
		.amdhsa_user_sgpr_kernarg_preload_offset 0
		.amdhsa_user_sgpr_private_segment_size 0
		.amdhsa_uses_dynamic_stack 0
		.amdhsa_system_sgpr_private_segment_wavefront_offset 0
		.amdhsa_system_sgpr_workgroup_id_x 1
		.amdhsa_system_sgpr_workgroup_id_y 0
		.amdhsa_system_sgpr_workgroup_id_z 0
		.amdhsa_system_sgpr_workgroup_info 0
		.amdhsa_system_vgpr_workitem_id 0
		.amdhsa_next_free_vgpr 1
		.amdhsa_next_free_sgpr 0
		.amdhsa_accum_offset 4
		.amdhsa_reserve_vcc 0
		.amdhsa_reserve_flat_scratch 0
		.amdhsa_float_round_mode_32 0
		.amdhsa_float_round_mode_16_64 0
		.amdhsa_float_denorm_mode_32 3
		.amdhsa_float_denorm_mode_16_64 3
		.amdhsa_dx10_clamp 1
		.amdhsa_ieee_mode 1
		.amdhsa_fp16_overflow 0
		.amdhsa_tg_split 0
		.amdhsa_exception_fp_ieee_invalid_op 0
		.amdhsa_exception_fp_denorm_src 0
		.amdhsa_exception_fp_ieee_div_zero 0
		.amdhsa_exception_fp_ieee_overflow 0
		.amdhsa_exception_fp_ieee_underflow 0
		.amdhsa_exception_fp_ieee_inexact 0
		.amdhsa_exception_int_div_zero 0
	.end_amdhsa_kernel
	.section	.text._ZN7rocprim17ROCPRIM_400000_NS6detail17trampoline_kernelINS0_13select_configILj256ELj13ELNS0_17block_load_methodE3ELS4_3ELS4_3ELNS0_20block_scan_algorithmE0ELj4294967295EEENS1_25partition_config_selectorILNS1_17partition_subalgoE3EjNS0_10empty_typeEbEEZZNS1_14partition_implILS8_3ELb0ES6_jNS0_17counting_iteratorIjlEEPS9_SE_NS0_5tupleIJPjSE_EEENSF_IJSE_SE_EEES9_SG_JZNS1_25segmented_radix_sort_implINS0_14default_configELb1EPKiPiPKlPlN2at6native12_GLOBAL__N_18offset_tEEE10hipError_tPvRmT1_PNSt15iterator_traitsISY_E10value_typeET2_T3_PNSZ_IS14_E10value_typeET4_jRbjT5_S1A_jjP12ihipStream_tbEUljE_EEESV_SW_SX_S14_S18_S1A_T6_T7_T9_mT8_S1C_bDpT10_ENKUlT_T0_E_clISt17integral_constantIbLb0EES1O_IbLb1EEEEDaS1K_S1L_EUlS1K_E_NS1_11comp_targetILNS1_3genE5ELNS1_11target_archE942ELNS1_3gpuE9ELNS1_3repE0EEENS1_30default_config_static_selectorELNS0_4arch9wavefront6targetE1EEEvSY_,"axG",@progbits,_ZN7rocprim17ROCPRIM_400000_NS6detail17trampoline_kernelINS0_13select_configILj256ELj13ELNS0_17block_load_methodE3ELS4_3ELS4_3ELNS0_20block_scan_algorithmE0ELj4294967295EEENS1_25partition_config_selectorILNS1_17partition_subalgoE3EjNS0_10empty_typeEbEEZZNS1_14partition_implILS8_3ELb0ES6_jNS0_17counting_iteratorIjlEEPS9_SE_NS0_5tupleIJPjSE_EEENSF_IJSE_SE_EEES9_SG_JZNS1_25segmented_radix_sort_implINS0_14default_configELb1EPKiPiPKlPlN2at6native12_GLOBAL__N_18offset_tEEE10hipError_tPvRmT1_PNSt15iterator_traitsISY_E10value_typeET2_T3_PNSZ_IS14_E10value_typeET4_jRbjT5_S1A_jjP12ihipStream_tbEUljE_EEESV_SW_SX_S14_S18_S1A_T6_T7_T9_mT8_S1C_bDpT10_ENKUlT_T0_E_clISt17integral_constantIbLb0EES1O_IbLb1EEEEDaS1K_S1L_EUlS1K_E_NS1_11comp_targetILNS1_3genE5ELNS1_11target_archE942ELNS1_3gpuE9ELNS1_3repE0EEENS1_30default_config_static_selectorELNS0_4arch9wavefront6targetE1EEEvSY_,comdat
.Lfunc_end490:
	.size	_ZN7rocprim17ROCPRIM_400000_NS6detail17trampoline_kernelINS0_13select_configILj256ELj13ELNS0_17block_load_methodE3ELS4_3ELS4_3ELNS0_20block_scan_algorithmE0ELj4294967295EEENS1_25partition_config_selectorILNS1_17partition_subalgoE3EjNS0_10empty_typeEbEEZZNS1_14partition_implILS8_3ELb0ES6_jNS0_17counting_iteratorIjlEEPS9_SE_NS0_5tupleIJPjSE_EEENSF_IJSE_SE_EEES9_SG_JZNS1_25segmented_radix_sort_implINS0_14default_configELb1EPKiPiPKlPlN2at6native12_GLOBAL__N_18offset_tEEE10hipError_tPvRmT1_PNSt15iterator_traitsISY_E10value_typeET2_T3_PNSZ_IS14_E10value_typeET4_jRbjT5_S1A_jjP12ihipStream_tbEUljE_EEESV_SW_SX_S14_S18_S1A_T6_T7_T9_mT8_S1C_bDpT10_ENKUlT_T0_E_clISt17integral_constantIbLb0EES1O_IbLb1EEEEDaS1K_S1L_EUlS1K_E_NS1_11comp_targetILNS1_3genE5ELNS1_11target_archE942ELNS1_3gpuE9ELNS1_3repE0EEENS1_30default_config_static_selectorELNS0_4arch9wavefront6targetE1EEEvSY_, .Lfunc_end490-_ZN7rocprim17ROCPRIM_400000_NS6detail17trampoline_kernelINS0_13select_configILj256ELj13ELNS0_17block_load_methodE3ELS4_3ELS4_3ELNS0_20block_scan_algorithmE0ELj4294967295EEENS1_25partition_config_selectorILNS1_17partition_subalgoE3EjNS0_10empty_typeEbEEZZNS1_14partition_implILS8_3ELb0ES6_jNS0_17counting_iteratorIjlEEPS9_SE_NS0_5tupleIJPjSE_EEENSF_IJSE_SE_EEES9_SG_JZNS1_25segmented_radix_sort_implINS0_14default_configELb1EPKiPiPKlPlN2at6native12_GLOBAL__N_18offset_tEEE10hipError_tPvRmT1_PNSt15iterator_traitsISY_E10value_typeET2_T3_PNSZ_IS14_E10value_typeET4_jRbjT5_S1A_jjP12ihipStream_tbEUljE_EEESV_SW_SX_S14_S18_S1A_T6_T7_T9_mT8_S1C_bDpT10_ENKUlT_T0_E_clISt17integral_constantIbLb0EES1O_IbLb1EEEEDaS1K_S1L_EUlS1K_E_NS1_11comp_targetILNS1_3genE5ELNS1_11target_archE942ELNS1_3gpuE9ELNS1_3repE0EEENS1_30default_config_static_selectorELNS0_4arch9wavefront6targetE1EEEvSY_
                                        ; -- End function
	.section	.AMDGPU.csdata,"",@progbits
; Kernel info:
; codeLenInByte = 0
; NumSgprs: 4
; NumVgprs: 0
; NumAgprs: 0
; TotalNumVgprs: 0
; ScratchSize: 0
; MemoryBound: 0
; FloatMode: 240
; IeeeMode: 1
; LDSByteSize: 0 bytes/workgroup (compile time only)
; SGPRBlocks: 0
; VGPRBlocks: 0
; NumSGPRsForWavesPerEU: 4
; NumVGPRsForWavesPerEU: 1
; AccumOffset: 4
; Occupancy: 8
; WaveLimiterHint : 0
; COMPUTE_PGM_RSRC2:SCRATCH_EN: 0
; COMPUTE_PGM_RSRC2:USER_SGPR: 6
; COMPUTE_PGM_RSRC2:TRAP_HANDLER: 0
; COMPUTE_PGM_RSRC2:TGID_X_EN: 1
; COMPUTE_PGM_RSRC2:TGID_Y_EN: 0
; COMPUTE_PGM_RSRC2:TGID_Z_EN: 0
; COMPUTE_PGM_RSRC2:TIDIG_COMP_CNT: 0
; COMPUTE_PGM_RSRC3_GFX90A:ACCUM_OFFSET: 0
; COMPUTE_PGM_RSRC3_GFX90A:TG_SPLIT: 0
	.section	.text._ZN7rocprim17ROCPRIM_400000_NS6detail17trampoline_kernelINS0_13select_configILj256ELj13ELNS0_17block_load_methodE3ELS4_3ELS4_3ELNS0_20block_scan_algorithmE0ELj4294967295EEENS1_25partition_config_selectorILNS1_17partition_subalgoE3EjNS0_10empty_typeEbEEZZNS1_14partition_implILS8_3ELb0ES6_jNS0_17counting_iteratorIjlEEPS9_SE_NS0_5tupleIJPjSE_EEENSF_IJSE_SE_EEES9_SG_JZNS1_25segmented_radix_sort_implINS0_14default_configELb1EPKiPiPKlPlN2at6native12_GLOBAL__N_18offset_tEEE10hipError_tPvRmT1_PNSt15iterator_traitsISY_E10value_typeET2_T3_PNSZ_IS14_E10value_typeET4_jRbjT5_S1A_jjP12ihipStream_tbEUljE_EEESV_SW_SX_S14_S18_S1A_T6_T7_T9_mT8_S1C_bDpT10_ENKUlT_T0_E_clISt17integral_constantIbLb0EES1O_IbLb1EEEEDaS1K_S1L_EUlS1K_E_NS1_11comp_targetILNS1_3genE4ELNS1_11target_archE910ELNS1_3gpuE8ELNS1_3repE0EEENS1_30default_config_static_selectorELNS0_4arch9wavefront6targetE1EEEvSY_,"axG",@progbits,_ZN7rocprim17ROCPRIM_400000_NS6detail17trampoline_kernelINS0_13select_configILj256ELj13ELNS0_17block_load_methodE3ELS4_3ELS4_3ELNS0_20block_scan_algorithmE0ELj4294967295EEENS1_25partition_config_selectorILNS1_17partition_subalgoE3EjNS0_10empty_typeEbEEZZNS1_14partition_implILS8_3ELb0ES6_jNS0_17counting_iteratorIjlEEPS9_SE_NS0_5tupleIJPjSE_EEENSF_IJSE_SE_EEES9_SG_JZNS1_25segmented_radix_sort_implINS0_14default_configELb1EPKiPiPKlPlN2at6native12_GLOBAL__N_18offset_tEEE10hipError_tPvRmT1_PNSt15iterator_traitsISY_E10value_typeET2_T3_PNSZ_IS14_E10value_typeET4_jRbjT5_S1A_jjP12ihipStream_tbEUljE_EEESV_SW_SX_S14_S18_S1A_T6_T7_T9_mT8_S1C_bDpT10_ENKUlT_T0_E_clISt17integral_constantIbLb0EES1O_IbLb1EEEEDaS1K_S1L_EUlS1K_E_NS1_11comp_targetILNS1_3genE4ELNS1_11target_archE910ELNS1_3gpuE8ELNS1_3repE0EEENS1_30default_config_static_selectorELNS0_4arch9wavefront6targetE1EEEvSY_,comdat
	.globl	_ZN7rocprim17ROCPRIM_400000_NS6detail17trampoline_kernelINS0_13select_configILj256ELj13ELNS0_17block_load_methodE3ELS4_3ELS4_3ELNS0_20block_scan_algorithmE0ELj4294967295EEENS1_25partition_config_selectorILNS1_17partition_subalgoE3EjNS0_10empty_typeEbEEZZNS1_14partition_implILS8_3ELb0ES6_jNS0_17counting_iteratorIjlEEPS9_SE_NS0_5tupleIJPjSE_EEENSF_IJSE_SE_EEES9_SG_JZNS1_25segmented_radix_sort_implINS0_14default_configELb1EPKiPiPKlPlN2at6native12_GLOBAL__N_18offset_tEEE10hipError_tPvRmT1_PNSt15iterator_traitsISY_E10value_typeET2_T3_PNSZ_IS14_E10value_typeET4_jRbjT5_S1A_jjP12ihipStream_tbEUljE_EEESV_SW_SX_S14_S18_S1A_T6_T7_T9_mT8_S1C_bDpT10_ENKUlT_T0_E_clISt17integral_constantIbLb0EES1O_IbLb1EEEEDaS1K_S1L_EUlS1K_E_NS1_11comp_targetILNS1_3genE4ELNS1_11target_archE910ELNS1_3gpuE8ELNS1_3repE0EEENS1_30default_config_static_selectorELNS0_4arch9wavefront6targetE1EEEvSY_ ; -- Begin function _ZN7rocprim17ROCPRIM_400000_NS6detail17trampoline_kernelINS0_13select_configILj256ELj13ELNS0_17block_load_methodE3ELS4_3ELS4_3ELNS0_20block_scan_algorithmE0ELj4294967295EEENS1_25partition_config_selectorILNS1_17partition_subalgoE3EjNS0_10empty_typeEbEEZZNS1_14partition_implILS8_3ELb0ES6_jNS0_17counting_iteratorIjlEEPS9_SE_NS0_5tupleIJPjSE_EEENSF_IJSE_SE_EEES9_SG_JZNS1_25segmented_radix_sort_implINS0_14default_configELb1EPKiPiPKlPlN2at6native12_GLOBAL__N_18offset_tEEE10hipError_tPvRmT1_PNSt15iterator_traitsISY_E10value_typeET2_T3_PNSZ_IS14_E10value_typeET4_jRbjT5_S1A_jjP12ihipStream_tbEUljE_EEESV_SW_SX_S14_S18_S1A_T6_T7_T9_mT8_S1C_bDpT10_ENKUlT_T0_E_clISt17integral_constantIbLb0EES1O_IbLb1EEEEDaS1K_S1L_EUlS1K_E_NS1_11comp_targetILNS1_3genE4ELNS1_11target_archE910ELNS1_3gpuE8ELNS1_3repE0EEENS1_30default_config_static_selectorELNS0_4arch9wavefront6targetE1EEEvSY_
	.p2align	8
	.type	_ZN7rocprim17ROCPRIM_400000_NS6detail17trampoline_kernelINS0_13select_configILj256ELj13ELNS0_17block_load_methodE3ELS4_3ELS4_3ELNS0_20block_scan_algorithmE0ELj4294967295EEENS1_25partition_config_selectorILNS1_17partition_subalgoE3EjNS0_10empty_typeEbEEZZNS1_14partition_implILS8_3ELb0ES6_jNS0_17counting_iteratorIjlEEPS9_SE_NS0_5tupleIJPjSE_EEENSF_IJSE_SE_EEES9_SG_JZNS1_25segmented_radix_sort_implINS0_14default_configELb1EPKiPiPKlPlN2at6native12_GLOBAL__N_18offset_tEEE10hipError_tPvRmT1_PNSt15iterator_traitsISY_E10value_typeET2_T3_PNSZ_IS14_E10value_typeET4_jRbjT5_S1A_jjP12ihipStream_tbEUljE_EEESV_SW_SX_S14_S18_S1A_T6_T7_T9_mT8_S1C_bDpT10_ENKUlT_T0_E_clISt17integral_constantIbLb0EES1O_IbLb1EEEEDaS1K_S1L_EUlS1K_E_NS1_11comp_targetILNS1_3genE4ELNS1_11target_archE910ELNS1_3gpuE8ELNS1_3repE0EEENS1_30default_config_static_selectorELNS0_4arch9wavefront6targetE1EEEvSY_,@function
_ZN7rocprim17ROCPRIM_400000_NS6detail17trampoline_kernelINS0_13select_configILj256ELj13ELNS0_17block_load_methodE3ELS4_3ELS4_3ELNS0_20block_scan_algorithmE0ELj4294967295EEENS1_25partition_config_selectorILNS1_17partition_subalgoE3EjNS0_10empty_typeEbEEZZNS1_14partition_implILS8_3ELb0ES6_jNS0_17counting_iteratorIjlEEPS9_SE_NS0_5tupleIJPjSE_EEENSF_IJSE_SE_EEES9_SG_JZNS1_25segmented_radix_sort_implINS0_14default_configELb1EPKiPiPKlPlN2at6native12_GLOBAL__N_18offset_tEEE10hipError_tPvRmT1_PNSt15iterator_traitsISY_E10value_typeET2_T3_PNSZ_IS14_E10value_typeET4_jRbjT5_S1A_jjP12ihipStream_tbEUljE_EEESV_SW_SX_S14_S18_S1A_T6_T7_T9_mT8_S1C_bDpT10_ENKUlT_T0_E_clISt17integral_constantIbLb0EES1O_IbLb1EEEEDaS1K_S1L_EUlS1K_E_NS1_11comp_targetILNS1_3genE4ELNS1_11target_archE910ELNS1_3gpuE8ELNS1_3repE0EEENS1_30default_config_static_selectorELNS0_4arch9wavefront6targetE1EEEvSY_: ; @_ZN7rocprim17ROCPRIM_400000_NS6detail17trampoline_kernelINS0_13select_configILj256ELj13ELNS0_17block_load_methodE3ELS4_3ELS4_3ELNS0_20block_scan_algorithmE0ELj4294967295EEENS1_25partition_config_selectorILNS1_17partition_subalgoE3EjNS0_10empty_typeEbEEZZNS1_14partition_implILS8_3ELb0ES6_jNS0_17counting_iteratorIjlEEPS9_SE_NS0_5tupleIJPjSE_EEENSF_IJSE_SE_EEES9_SG_JZNS1_25segmented_radix_sort_implINS0_14default_configELb1EPKiPiPKlPlN2at6native12_GLOBAL__N_18offset_tEEE10hipError_tPvRmT1_PNSt15iterator_traitsISY_E10value_typeET2_T3_PNSZ_IS14_E10value_typeET4_jRbjT5_S1A_jjP12ihipStream_tbEUljE_EEESV_SW_SX_S14_S18_S1A_T6_T7_T9_mT8_S1C_bDpT10_ENKUlT_T0_E_clISt17integral_constantIbLb0EES1O_IbLb1EEEEDaS1K_S1L_EUlS1K_E_NS1_11comp_targetILNS1_3genE4ELNS1_11target_archE910ELNS1_3gpuE8ELNS1_3repE0EEENS1_30default_config_static_selectorELNS0_4arch9wavefront6targetE1EEEvSY_
; %bb.0:
	s_load_dwordx2 s[28:29], s[4:5], 0x10
	s_load_dwordx2 s[24:25], s[4:5], 0x28
	;; [unrolled: 1-line block ×3, first 2 shown]
	s_load_dwordx4 s[20:23], s[4:5], 0x48
	s_load_dword s14, s[4:5], 0x90
	s_load_dwordx2 s[30:31], s[4:5], 0x68
	s_load_dwordx4 s[8:11], s[4:5], 0x80
	v_cmp_eq_u32_e64 s[0:1], 0, v0
	s_and_saveexec_b64 s[2:3], s[0:1]
	s_cbranch_execz .LBB491_4
; %bb.1:
	s_mov_b64 s[12:13], exec
	v_mbcnt_lo_u32_b32 v1, s12, 0
	v_mbcnt_hi_u32_b32 v1, s13, v1
	v_cmp_eq_u32_e32 vcc, 0, v1
                                        ; implicit-def: $vgpr2
	s_and_saveexec_b64 s[6:7], vcc
	s_cbranch_execz .LBB491_3
; %bb.2:
	s_load_dwordx2 s[16:17], s[4:5], 0x78
	s_bcnt1_i32_b64 s12, s[12:13]
	v_mov_b32_e32 v2, 0
	v_mov_b32_e32 v3, s12
	s_waitcnt lgkmcnt(0)
	global_atomic_add v2, v2, v3, s[16:17] glc
.LBB491_3:
	s_or_b64 exec, exec, s[6:7]
	s_waitcnt vmcnt(0)
	v_readfirstlane_b32 s6, v2
	v_add_u32_e32 v1, s6, v1
	v_mov_b32_e32 v2, 0
	ds_write_b32 v2, v1
.LBB491_4:
	s_or_b64 exec, exec, s[2:3]
	v_mov_b32_e32 v1, 0
	s_load_dword s2, s[4:5], 0x8
	s_load_dword s6, s[4:5], 0x70
	s_waitcnt lgkmcnt(0)
	s_barrier
	ds_read_b32 v2, v1
	s_waitcnt lgkmcnt(0)
	s_barrier
	global_load_dwordx2 v[20:21], v1, s[22:23]
	s_add_i32 s7, s2, s28
	s_movk_i32 s2, 0xd00
	s_add_i32 s4, s6, -1
	s_mulk_i32 s6, 0xd00
	v_mul_lo_u32 v34, v2, s2
	s_add_u32 s2, s28, s6
	v_readfirstlane_b32 s40, v2
	s_addc_u32 s3, s29, 0
	s_cmp_eq_u32 s40, s4
	v_pk_mov_b32 v[2:3], s[26:27], s[26:27] op_sel:[0,1]
	s_cselect_b64 s[22:23], -1, 0
	s_cmp_lg_u32 s40, s4
	v_cmp_lt_u64_e32 vcc, s[2:3], v[2:3]
	s_cselect_b64 s[2:3], -1, 0
	s_or_b64 s[4:5], vcc, s[2:3]
	v_add_u32_e32 v1, s7, v34
	s_mov_b64 s[2:3], -1
	s_and_b64 vcc, exec, s[4:5]
	v_add_u32_e32 v2, v1, v0
	v_lshlrev_b32_e32 v1, 2, v0
	s_cbranch_vccz .LBB491_6
; %bb.5:
	v_add_u32_e32 v3, 0x100, v2
	v_add_u32_e32 v4, 0x200, v2
	;; [unrolled: 1-line block ×12, first 2 shown]
	ds_write2st64_b32 v1, v2, v3 offset1:4
	ds_write2st64_b32 v1, v4, v5 offset0:8 offset1:12
	ds_write2st64_b32 v1, v6, v7 offset0:16 offset1:20
	;; [unrolled: 1-line block ×5, first 2 shown]
	ds_write_b32 v1, v14 offset:12288
	s_waitcnt lgkmcnt(0)
	s_barrier
	s_mov_b64 s[2:3], 0
.LBB491_6:
	s_andn2_b64 vcc, exec, s[2:3]
	s_add_i32 s6, s6, s28
	s_cbranch_vccnz .LBB491_8
; %bb.7:
	v_add_u32_e32 v3, 0x100, v2
	v_add_u32_e32 v4, 0x200, v2
	;; [unrolled: 1-line block ×12, first 2 shown]
	ds_write2st64_b32 v1, v2, v3 offset1:4
	ds_write2st64_b32 v1, v4, v5 offset0:8 offset1:12
	ds_write2st64_b32 v1, v6, v7 offset0:16 offset1:20
	;; [unrolled: 1-line block ×5, first 2 shown]
	ds_write_b32 v1, v14 offset:12288
	s_waitcnt lgkmcnt(0)
	s_barrier
.LBB491_8:
	v_mul_u32_u24_e32 v36, 13, v0
	v_lshlrev_b32_e32 v2, 2, v36
	ds_read2_b32 v[32:33], v2 offset1:1
	ds_read2_b32 v[30:31], v2 offset0:2 offset1:3
	ds_read2_b32 v[28:29], v2 offset0:4 offset1:5
	;; [unrolled: 1-line block ×5, first 2 shown]
	ds_read_b32 v35, v2 offset:48
	v_cndmask_b32_e64 v2, 0, 1, s[4:5]
	s_sub_i32 s33, s26, s6
	v_cmp_ne_u32_e64 s[2:3], 1, v2
	s_andn2_b64 vcc, exec, s[4:5]
	s_waitcnt lgkmcnt(0)
	s_barrier
	s_cbranch_vccnz .LBB491_10
; %bb.9:
	v_add_u32_e32 v2, s9, v32
	v_add_u32_e32 v3, s11, v32
	v_mul_lo_u32 v2, v2, s8
	v_mul_lo_u32 v3, v3, s10
	v_sub_u32_e32 v2, v2, v3
	v_add_u32_e32 v3, s9, v33
	v_add_u32_e32 v4, s11, v33
	v_mul_lo_u32 v3, v3, s8
	v_mul_lo_u32 v4, v4, s10
	v_sub_u32_e32 v3, v3, v4
	;; [unrolled: 5-line block ×6, first 2 shown]
	v_add_u32_e32 v8, s9, v26
	v_add_u32_e32 v9, s11, v26
	v_mul_lo_u32 v8, v8, s8
	v_mul_lo_u32 v9, v9, s10
	v_cmp_lt_u32_e32 vcc, s14, v2
	v_sub_u32_e32 v8, v8, v9
	v_add_u32_e32 v9, s9, v27
	v_add_u32_e32 v10, s11, v27
	v_cndmask_b32_e64 v2, 0, 1, vcc
	v_cmp_lt_u32_e32 vcc, s14, v3
	v_mul_lo_u32 v9, v9, s8
	v_mul_lo_u32 v10, v10, s10
	v_cndmask_b32_e64 v3, 0, 1, vcc
	v_cmp_lt_u32_e32 vcc, s14, v4
	v_sub_u32_e32 v9, v9, v10
	v_add_u32_e32 v10, s9, v24
	v_add_u32_e32 v11, s11, v24
	v_cndmask_b32_e64 v4, 0, 1, vcc
	v_cmp_lt_u32_e32 vcc, s14, v5
	v_mul_lo_u32 v10, v10, s8
	v_mul_lo_u32 v11, v11, s10
	v_cndmask_b32_e64 v5, 0, 1, vcc
	;; [unrolled: 9-line block ×4, first 2 shown]
	v_cmp_lt_u32_e32 vcc, s14, v10
	v_sub_u32_e32 v12, v12, v13
	v_add_u32_e32 v13, s9, v23
	v_add_u32_e32 v14, s11, v23
	v_lshlrev_b16_e32 v3, 8, v3
	v_cndmask_b32_e64 v10, 0, 1, vcc
	v_cmp_lt_u32_e32 vcc, s14, v11
	v_mul_lo_u32 v13, v13, s8
	v_mul_lo_u32 v14, v14, s10
	v_or_b32_e32 v2, v2, v3
	v_lshlrev_b16_e32 v3, 8, v5
	v_cndmask_b32_e64 v11, 0, 1, vcc
	v_cmp_lt_u32_e32 vcc, s14, v12
	v_sub_u32_e32 v13, v13, v14
	v_or_b32_sdwa v3, v4, v3 dst_sel:WORD_1 dst_unused:UNUSED_PAD src0_sel:DWORD src1_sel:DWORD
	v_cndmask_b32_e64 v12, 0, 1, vcc
	v_cmp_lt_u32_e32 vcc, s14, v13
	v_add_u32_e32 v14, s9, v35
	v_add_u32_e32 v15, s11, v35
	v_or_b32_sdwa v40, v2, v3 dst_sel:DWORD dst_unused:UNUSED_PAD src0_sel:WORD_0 src1_sel:DWORD
	v_lshlrev_b16_e32 v2, 8, v7
	v_lshlrev_b16_e32 v3, 8, v9
	v_cndmask_b32_e64 v13, 0, 1, vcc
	v_mul_lo_u32 v14, v14, s8
	v_mul_lo_u32 v15, v15, s10
	v_or_b32_e32 v2, v6, v2
	v_or_b32_sdwa v3, v8, v3 dst_sel:WORD_1 dst_unused:UNUSED_PAD src0_sel:DWORD src1_sel:DWORD
	v_sub_u32_e32 v14, v14, v15
	v_or_b32_sdwa v39, v2, v3 dst_sel:DWORD dst_unused:UNUSED_PAD src0_sel:WORD_0 src1_sel:DWORD
	v_lshlrev_b16_e32 v2, 8, v11
	v_lshlrev_b16_e32 v3, 8, v13
	v_cmp_lt_u32_e32 vcc, s14, v14
	v_or_b32_e32 v2, v10, v2
	v_or_b32_sdwa v3, v12, v3 dst_sel:WORD_1 dst_unused:UNUSED_PAD src0_sel:DWORD src1_sel:DWORD
	v_cndmask_b32_e64 v37, 0, 1, vcc
	v_or_b32_sdwa v38, v2, v3 dst_sel:DWORD dst_unused:UNUSED_PAD src0_sel:WORD_0 src1_sel:DWORD
	s_addk_i32 s33, 0xd00
	s_cbranch_execz .LBB491_11
	s_branch .LBB491_38
.LBB491_10:
                                        ; implicit-def: $vgpr37
                                        ; implicit-def: $vgpr38
                                        ; implicit-def: $vgpr39
                                        ; implicit-def: $vgpr40
	s_addk_i32 s33, 0xd00
.LBB491_11:
	v_cmp_gt_u32_e32 vcc, s33, v36
	v_mov_b32_e32 v3, 0
	v_mov_b32_e32 v2, 0
	s_and_saveexec_b64 s[4:5], vcc
; %bb.12:
	v_add_u32_e32 v2, s9, v32
	v_add_u32_e32 v4, s11, v32
	v_mul_lo_u32 v2, v2, s8
	v_mul_lo_u32 v4, v4, s10
	v_sub_u32_e32 v2, v2, v4
	v_cmp_lt_u32_e32 vcc, s14, v2
	v_cndmask_b32_e64 v2, 0, 1, vcc
; %bb.13:
	s_or_b64 exec, exec, s[4:5]
	v_add_u32_e32 v4, 1, v36
	v_cmp_gt_u32_e32 vcc, s33, v4
	s_and_saveexec_b64 s[4:5], vcc
; %bb.14:
	v_add_u32_e32 v3, s9, v33
	v_add_u32_e32 v4, s11, v33
	v_mul_lo_u32 v3, v3, s8
	v_mul_lo_u32 v4, v4, s10
	v_sub_u32_e32 v3, v3, v4
	v_cmp_lt_u32_e32 vcc, s14, v3
	v_cndmask_b32_e64 v3, 0, 1, vcc
; %bb.15:
	s_or_b64 exec, exec, s[4:5]
	v_add_u32_e32 v4, 2, v36
	v_cmp_gt_u32_e32 vcc, s33, v4
	v_mov_b32_e32 v5, 0
	v_mov_b32_e32 v4, 0
	s_and_saveexec_b64 s[4:5], vcc
; %bb.16:
	v_add_u32_e32 v4, s9, v30
	v_add_u32_e32 v6, s11, v30
	v_mul_lo_u32 v4, v4, s8
	v_mul_lo_u32 v6, v6, s10
	v_sub_u32_e32 v4, v4, v6
	v_cmp_lt_u32_e32 vcc, s14, v4
	v_cndmask_b32_e64 v4, 0, 1, vcc
; %bb.17:
	s_or_b64 exec, exec, s[4:5]
	v_add_u32_e32 v6, 3, v36
	v_cmp_gt_u32_e32 vcc, s33, v6
	s_and_saveexec_b64 s[4:5], vcc
; %bb.18:
	v_add_u32_e32 v5, s9, v31
	v_add_u32_e32 v6, s11, v31
	v_mul_lo_u32 v5, v5, s8
	v_mul_lo_u32 v6, v6, s10
	v_sub_u32_e32 v5, v5, v6
	v_cmp_lt_u32_e32 vcc, s14, v5
	v_cndmask_b32_e64 v5, 0, 1, vcc
; %bb.19:
	s_or_b64 exec, exec, s[4:5]
	v_add_u32_e32 v6, 4, v36
	;; [unrolled: 28-line block ×6, first 2 shown]
	v_cmp_gt_u32_e32 vcc, s33, v14
	v_mov_b32_e32 v37, 0
	s_and_saveexec_b64 s[4:5], vcc
; %bb.36:
	v_add_u32_e32 v14, s9, v35
	v_add_u32_e32 v15, s11, v35
	v_mul_lo_u32 v14, v14, s8
	v_mul_lo_u32 v15, v15, s10
	v_sub_u32_e32 v14, v14, v15
	v_cmp_lt_u32_e32 vcc, s14, v14
	v_cndmask_b32_e64 v37, 0, 1, vcc
; %bb.37:
	s_or_b64 exec, exec, s[4:5]
	v_lshlrev_b16_e32 v3, 8, v3
	v_or_b32_e32 v2, v2, v3
	v_lshlrev_b16_e32 v3, 8, v5
	v_or_b32_sdwa v3, v4, v3 dst_sel:WORD_1 dst_unused:UNUSED_PAD src0_sel:DWORD src1_sel:DWORD
	v_or_b32_sdwa v40, v2, v3 dst_sel:DWORD dst_unused:UNUSED_PAD src0_sel:WORD_0 src1_sel:DWORD
	v_lshlrev_b16_e32 v2, 8, v7
	v_lshlrev_b16_e32 v3, 8, v9
	v_or_b32_e32 v2, v6, v2
	v_or_b32_sdwa v3, v8, v3 dst_sel:WORD_1 dst_unused:UNUSED_PAD src0_sel:DWORD src1_sel:DWORD
	v_or_b32_sdwa v39, v2, v3 dst_sel:DWORD dst_unused:UNUSED_PAD src0_sel:WORD_0 src1_sel:DWORD
	v_lshlrev_b16_e32 v2, 8, v11
	v_lshlrev_b16_e32 v3, 8, v13
	v_or_b32_e32 v2, v10, v2
	v_or_b32_sdwa v3, v12, v3 dst_sel:WORD_1 dst_unused:UNUSED_PAD src0_sel:DWORD src1_sel:DWORD
	v_or_b32_sdwa v38, v2, v3 dst_sel:DWORD dst_unused:UNUSED_PAD src0_sel:WORD_0 src1_sel:DWORD
.LBB491_38:
	v_and_b32_e32 v44, 0xff, v40
	v_bfe_u32 v45, v40, 8, 8
	v_bfe_u32 v46, v40, 16, 8
	v_lshrrev_b32_e32 v43, 24, v40
	v_and_b32_e32 v47, 0xff, v39
	v_add3_u32 v3, v45, v44, v46
	v_bfe_u32 v48, v39, 8, 8
	v_bfe_u32 v49, v39, 16, 8
	v_add3_u32 v3, v3, v43, v47
	v_lshrrev_b32_e32 v42, 24, v39
	v_and_b32_e32 v50, 0xff, v38
	v_add3_u32 v3, v3, v48, v49
	v_bfe_u32 v51, v38, 8, 8
	v_bfe_u32 v52, v38, 16, 8
	v_add3_u32 v3, v3, v42, v50
	v_lshrrev_b32_e32 v41, 24, v38
	v_and_b32_e32 v2, 0xff, v37
	v_add3_u32 v3, v3, v51, v52
	v_add3_u32 v55, v3, v41, v2
	v_mbcnt_lo_u32_b32 v2, -1, 0
	v_mbcnt_hi_u32_b32 v53, -1, v2
	v_and_b32_e32 v2, 15, v53
	v_cmp_eq_u32_e64 s[16:17], 0, v2
	v_cmp_lt_u32_e64 s[14:15], 1, v2
	v_cmp_lt_u32_e64 s[12:13], 3, v2
	;; [unrolled: 1-line block ×3, first 2 shown]
	v_and_b32_e32 v2, 16, v53
	v_cmp_eq_u32_e64 s[8:9], 0, v2
	v_or_b32_e32 v2, 63, v0
	s_cmp_lg_u32 s40, 0
	v_cmp_lt_u32_e64 s[4:5], 31, v53
	v_lshrrev_b32_e32 v54, 6, v0
	v_cmp_eq_u32_e64 s[6:7], v2, v0
	s_cbranch_scc0 .LBB491_65
; %bb.39:
	v_mov_b32_dpp v2, v55 row_shr:1 row_mask:0xf bank_mask:0xf
	v_cndmask_b32_e64 v2, v2, 0, s[16:17]
	v_add_u32_e32 v2, v2, v55
	s_nop 1
	v_mov_b32_dpp v3, v2 row_shr:2 row_mask:0xf bank_mask:0xf
	v_cndmask_b32_e64 v3, 0, v3, s[14:15]
	v_add_u32_e32 v2, v2, v3
	s_nop 1
	;; [unrolled: 4-line block ×4, first 2 shown]
	v_mov_b32_dpp v3, v2 row_bcast:15 row_mask:0xf bank_mask:0xf
	v_cndmask_b32_e64 v3, v3, 0, s[8:9]
	v_add_u32_e32 v2, v2, v3
	s_nop 1
	v_mov_b32_dpp v3, v2 row_bcast:31 row_mask:0xf bank_mask:0xf
	v_cndmask_b32_e64 v3, 0, v3, s[4:5]
	v_add_u32_e32 v2, v2, v3
	s_and_saveexec_b64 s[18:19], s[6:7]
	s_cbranch_execz .LBB491_41
; %bb.40:
	v_lshlrev_b32_e32 v3, 2, v54
	ds_write_b32 v3, v2
.LBB491_41:
	s_or_b64 exec, exec, s[18:19]
	v_cmp_gt_u32_e32 vcc, 4, v0
	s_waitcnt lgkmcnt(0)
	s_barrier
	s_and_saveexec_b64 s[18:19], vcc
	s_cbranch_execz .LBB491_43
; %bb.42:
	ds_read_b32 v3, v1
	v_and_b32_e32 v4, 3, v53
	v_cmp_ne_u32_e32 vcc, 0, v4
	s_waitcnt lgkmcnt(0)
	v_mov_b32_dpp v5, v3 row_shr:1 row_mask:0xf bank_mask:0xf
	v_cndmask_b32_e32 v5, 0, v5, vcc
	v_add_u32_e32 v3, v5, v3
	v_cmp_lt_u32_e32 vcc, 1, v4
	s_nop 0
	v_mov_b32_dpp v5, v3 row_shr:2 row_mask:0xf bank_mask:0xf
	v_cndmask_b32_e32 v4, 0, v5, vcc
	v_add_u32_e32 v3, v3, v4
	ds_write_b32 v1, v3
.LBB491_43:
	s_or_b64 exec, exec, s[18:19]
	v_cmp_gt_u32_e32 vcc, 64, v0
	v_cmp_lt_u32_e64 s[18:19], 63, v0
	s_waitcnt lgkmcnt(0)
	s_barrier
	s_waitcnt lgkmcnt(0)
                                        ; implicit-def: $vgpr12
	s_and_saveexec_b64 s[34:35], s[18:19]
	s_cbranch_execz .LBB491_45
; %bb.44:
	v_lshl_add_u32 v3, v54, 2, -4
	ds_read_b32 v12, v3
	s_waitcnt lgkmcnt(0)
	v_add_u32_e32 v2, v12, v2
.LBB491_45:
	s_or_b64 exec, exec, s[34:35]
	v_add_u32_e32 v3, -1, v53
	v_and_b32_e32 v4, 64, v53
	v_cmp_lt_i32_e64 s[18:19], v3, v4
	v_cndmask_b32_e64 v3, v3, v53, s[18:19]
	v_lshlrev_b32_e32 v3, 2, v3
	ds_bpermute_b32 v13, v3, v2
	v_cmp_eq_u32_e64 s[18:19], 0, v53
	s_and_saveexec_b64 s[34:35], vcc
	s_cbranch_execz .LBB491_64
; %bb.46:
	v_mov_b32_e32 v9, 0
	ds_read_b32 v2, v9 offset:12
	s_and_saveexec_b64 s[36:37], s[18:19]
	s_cbranch_execz .LBB491_48
; %bb.47:
	s_add_i32 s38, s40, 64
	s_mov_b32 s39, 0
	s_lshl_b64 s[38:39], s[38:39], 3
	s_add_u32 s38, s30, s38
	v_mov_b32_e32 v3, 1
	s_addc_u32 s39, s31, s39
	s_waitcnt lgkmcnt(0)
	global_store_dwordx2 v9, v[2:3], s[38:39]
.LBB491_48:
	s_or_b64 exec, exec, s[36:37]
	v_xad_u32 v4, v53, -1, s40
	v_add_u32_e32 v8, 64, v4
	v_lshlrev_b64 v[6:7], 3, v[8:9]
	v_mov_b32_e32 v3, s31
	v_add_co_u32_e32 v10, vcc, s30, v6
	v_addc_co_u32_e32 v11, vcc, v3, v7, vcc
	global_load_dwordx2 v[6:7], v[10:11], off glc
	s_waitcnt vmcnt(0)
	v_cmp_eq_u16_sdwa s[38:39], v7, v9 src0_sel:BYTE_0 src1_sel:DWORD
	s_and_saveexec_b64 s[36:37], s[38:39]
	s_cbranch_execz .LBB491_52
; %bb.49:
	s_mov_b64 s[38:39], 0
	v_mov_b32_e32 v3, 0
.LBB491_50:                             ; =>This Inner Loop Header: Depth=1
	global_load_dwordx2 v[6:7], v[10:11], off glc
	s_waitcnt vmcnt(0)
	v_cmp_ne_u16_sdwa s[42:43], v7, v3 src0_sel:BYTE_0 src1_sel:DWORD
	s_or_b64 s[38:39], s[42:43], s[38:39]
	s_andn2_b64 exec, exec, s[38:39]
	s_cbranch_execnz .LBB491_50
; %bb.51:
	s_or_b64 exec, exec, s[38:39]
.LBB491_52:
	s_or_b64 exec, exec, s[36:37]
	v_and_b32_e32 v14, 63, v53
	v_mov_b32_e32 v3, 2
	v_cmp_ne_u32_e32 vcc, 63, v14
	v_cmp_eq_u16_sdwa s[36:37], v7, v3 src0_sel:BYTE_0 src1_sel:DWORD
	v_lshlrev_b64 v[8:9], v53, -1
	v_addc_co_u32_e32 v11, vcc, 0, v53, vcc
	v_and_b32_e32 v5, s37, v9
	v_lshlrev_b32_e32 v15, 2, v11
	v_or_b32_e32 v5, 0x80000000, v5
	ds_bpermute_b32 v11, v15, v6
	v_and_b32_e32 v10, s36, v8
	v_ffbl_b32_e32 v5, v5
	v_add_u32_e32 v5, 32, v5
	v_ffbl_b32_e32 v10, v10
	v_min_u32_e32 v5, v10, v5
	v_cmp_lt_u32_e32 vcc, v14, v5
	s_waitcnt lgkmcnt(0)
	v_cndmask_b32_e32 v10, 0, v11, vcc
	v_cmp_gt_u32_e32 vcc, 62, v14
	v_add_u32_e32 v6, v10, v6
	v_cndmask_b32_e64 v10, 0, 1, vcc
	v_lshlrev_b32_e32 v10, 1, v10
	v_add_lshl_u32 v16, v10, v53, 2
	ds_bpermute_b32 v10, v16, v6
	v_add_u32_e32 v17, 2, v14
	v_cmp_le_u32_e32 vcc, v17, v5
	v_add_u32_e32 v19, 4, v14
	v_add_u32_e32 v57, 8, v14
	s_waitcnt lgkmcnt(0)
	v_cndmask_b32_e32 v10, 0, v10, vcc
	v_cmp_gt_u32_e32 vcc, 60, v14
	v_add_u32_e32 v6, v6, v10
	v_cndmask_b32_e64 v10, 0, 1, vcc
	v_lshlrev_b32_e32 v10, 2, v10
	v_add_lshl_u32 v18, v10, v53, 2
	ds_bpermute_b32 v10, v18, v6
	v_cmp_le_u32_e32 vcc, v19, v5
	v_add_u32_e32 v60, 16, v14
	v_add_u32_e32 v62, 32, v14
	s_waitcnt lgkmcnt(0)
	v_cndmask_b32_e32 v10, 0, v10, vcc
	v_cmp_gt_u32_e32 vcc, 56, v14
	v_add_u32_e32 v6, v6, v10
	v_cndmask_b32_e64 v10, 0, 1, vcc
	v_lshlrev_b32_e32 v10, 3, v10
	v_add_lshl_u32 v56, v10, v53, 2
	ds_bpermute_b32 v10, v56, v6
	v_cmp_le_u32_e32 vcc, v57, v5
	s_waitcnt lgkmcnt(0)
	v_cndmask_b32_e32 v10, 0, v10, vcc
	v_cmp_gt_u32_e32 vcc, 48, v14
	v_add_u32_e32 v6, v6, v10
	v_cndmask_b32_e64 v10, 0, 1, vcc
	v_lshlrev_b32_e32 v10, 4, v10
	v_add_lshl_u32 v59, v10, v53, 2
	ds_bpermute_b32 v10, v59, v6
	v_cmp_le_u32_e32 vcc, v60, v5
	;; [unrolled: 9-line block ×3, first 2 shown]
	s_waitcnt lgkmcnt(0)
	v_cndmask_b32_e32 v5, 0, v10, vcc
	v_add_u32_e32 v6, v6, v5
	v_mov_b32_e32 v5, 0
	s_branch .LBB491_54
.LBB491_53:                             ;   in Loop: Header=BB491_54 Depth=1
	s_or_b64 exec, exec, s[36:37]
	v_cmp_eq_u16_sdwa s[36:37], v7, v3 src0_sel:BYTE_0 src1_sel:DWORD
	v_and_b32_e32 v10, s37, v9
	v_or_b32_e32 v10, 0x80000000, v10
	ds_bpermute_b32 v63, v15, v6
	v_and_b32_e32 v11, s36, v8
	v_ffbl_b32_e32 v10, v10
	v_add_u32_e32 v10, 32, v10
	v_ffbl_b32_e32 v11, v11
	v_min_u32_e32 v10, v11, v10
	v_cmp_lt_u32_e32 vcc, v14, v10
	s_waitcnt lgkmcnt(0)
	v_cndmask_b32_e32 v11, 0, v63, vcc
	v_add_u32_e32 v6, v11, v6
	ds_bpermute_b32 v11, v16, v6
	v_cmp_le_u32_e32 vcc, v17, v10
	v_subrev_u32_e32 v4, 64, v4
	s_waitcnt lgkmcnt(0)
	v_cndmask_b32_e32 v11, 0, v11, vcc
	v_add_u32_e32 v6, v6, v11
	ds_bpermute_b32 v11, v18, v6
	v_cmp_le_u32_e32 vcc, v19, v10
	s_waitcnt lgkmcnt(0)
	v_cndmask_b32_e32 v11, 0, v11, vcc
	v_add_u32_e32 v6, v6, v11
	ds_bpermute_b32 v11, v56, v6
	v_cmp_le_u32_e32 vcc, v57, v10
	;; [unrolled: 5-line block ×4, first 2 shown]
	s_waitcnt lgkmcnt(0)
	v_cndmask_b32_e32 v10, 0, v11, vcc
	v_add3_u32 v6, v10, v58, v6
.LBB491_54:                             ; =>This Loop Header: Depth=1
                                        ;     Child Loop BB491_57 Depth 2
	v_cmp_ne_u16_sdwa s[36:37], v7, v3 src0_sel:BYTE_0 src1_sel:DWORD
	v_cndmask_b32_e64 v7, 0, 1, s[36:37]
	;;#ASMSTART
	;;#ASMEND
	v_cmp_ne_u32_e32 vcc, 0, v7
	s_cmp_lg_u64 vcc, exec
	v_mov_b32_e32 v58, v6
	s_cbranch_scc1 .LBB491_59
; %bb.55:                               ;   in Loop: Header=BB491_54 Depth=1
	v_lshlrev_b64 v[6:7], 3, v[4:5]
	v_mov_b32_e32 v11, s31
	v_add_co_u32_e32 v10, vcc, s30, v6
	v_addc_co_u32_e32 v11, vcc, v11, v7, vcc
	global_load_dwordx2 v[6:7], v[10:11], off glc
	s_waitcnt vmcnt(0)
	v_cmp_eq_u16_sdwa s[38:39], v7, v5 src0_sel:BYTE_0 src1_sel:DWORD
	s_and_saveexec_b64 s[36:37], s[38:39]
	s_cbranch_execz .LBB491_53
; %bb.56:                               ;   in Loop: Header=BB491_54 Depth=1
	s_mov_b64 s[38:39], 0
.LBB491_57:                             ;   Parent Loop BB491_54 Depth=1
                                        ; =>  This Inner Loop Header: Depth=2
	global_load_dwordx2 v[6:7], v[10:11], off glc
	s_waitcnt vmcnt(0)
	v_cmp_ne_u16_sdwa s[42:43], v7, v5 src0_sel:BYTE_0 src1_sel:DWORD
	s_or_b64 s[38:39], s[42:43], s[38:39]
	s_andn2_b64 exec, exec, s[38:39]
	s_cbranch_execnz .LBB491_57
; %bb.58:                               ;   in Loop: Header=BB491_54 Depth=1
	s_or_b64 exec, exec, s[38:39]
	s_branch .LBB491_53
.LBB491_59:                             ;   in Loop: Header=BB491_54 Depth=1
                                        ; implicit-def: $vgpr6
                                        ; implicit-def: $vgpr7
	s_cbranch_execz .LBB491_54
; %bb.60:
	s_and_saveexec_b64 s[36:37], s[18:19]
	s_cbranch_execz .LBB491_62
; %bb.61:
	s_add_i32 s38, s40, 64
	s_mov_b32 s39, 0
	s_lshl_b64 s[38:39], s[38:39], 3
	s_add_u32 s38, s30, s38
	v_add_u32_e32 v4, v58, v2
	v_mov_b32_e32 v5, 2
	s_addc_u32 s39, s31, s39
	v_mov_b32_e32 v3, 0
	global_store_dwordx2 v3, v[4:5], s[38:39]
	s_movk_i32 s38, 0x3400
	v_add_u32_e64 v3, s38, 0
	ds_write2_b32 v3, v2, v58 offset1:2
.LBB491_62:
	s_or_b64 exec, exec, s[36:37]
	s_and_b64 exec, exec, s[0:1]
	s_cbranch_execz .LBB491_64
; %bb.63:
	v_mov_b32_e32 v2, 0
	ds_write_b32 v2, v58 offset:12
.LBB491_64:
	s_or_b64 exec, exec, s[34:35]
	v_mov_b32_e32 v2, 0
	s_waitcnt lgkmcnt(0)
	s_barrier
	ds_read_b32 v2, v2 offset:12
	v_cndmask_b32_e64 v3, v13, v12, s[18:19]
	v_cndmask_b32_e64 v3, v3, 0, s[0:1]
	s_movk_i32 s18, 0x3400
	v_add_u32_e64 v12, s18, 0
	s_waitcnt lgkmcnt(0)
	v_add_u32_e32 v2, v2, v3
	v_add_u32_e32 v3, v2, v44
	;; [unrolled: 1-line block ×9, first 2 shown]
	s_barrier
	ds_read2_b32 v[18:19], v12 offset1:2
	v_add_u32_e32 v11, v10, v50
	v_add_u32_e32 v12, v11, v51
	;; [unrolled: 1-line block ×4, first 2 shown]
	s_branch .LBB491_75
.LBB491_65:
                                        ; implicit-def: $vgpr19
                                        ; implicit-def: $vgpr2_vgpr3_vgpr4_vgpr5_vgpr6_vgpr7_vgpr8_vgpr9_vgpr10_vgpr11_vgpr12_vgpr13_vgpr14_vgpr15_vgpr16_vgpr17
	s_cbranch_execz .LBB491_75
; %bb.66:
	s_nop 0
	v_mov_b32_dpp v2, v55 row_shr:1 row_mask:0xf bank_mask:0xf
	v_cndmask_b32_e64 v2, v2, 0, s[16:17]
	v_add_u32_e32 v2, v2, v55
	s_nop 1
	v_mov_b32_dpp v3, v2 row_shr:2 row_mask:0xf bank_mask:0xf
	v_cndmask_b32_e64 v3, 0, v3, s[14:15]
	v_add_u32_e32 v2, v2, v3
	;; [unrolled: 4-line block ×4, first 2 shown]
	s_nop 1
	v_mov_b32_dpp v3, v2 row_bcast:15 row_mask:0xf bank_mask:0xf
	v_cndmask_b32_e64 v3, v3, 0, s[8:9]
	v_add_u32_e32 v2, v2, v3
	s_nop 1
	v_mov_b32_dpp v3, v2 row_bcast:31 row_mask:0xf bank_mask:0xf
	v_cndmask_b32_e64 v3, 0, v3, s[4:5]
	v_add_u32_e32 v2, v2, v3
	s_and_saveexec_b64 s[4:5], s[6:7]
	s_cbranch_execz .LBB491_68
; %bb.67:
	v_lshlrev_b32_e32 v3, 2, v54
	ds_write_b32 v3, v2
.LBB491_68:
	s_or_b64 exec, exec, s[4:5]
	v_cmp_gt_u32_e32 vcc, 4, v0
	s_waitcnt lgkmcnt(0)
	s_barrier
	s_and_saveexec_b64 s[4:5], vcc
	s_cbranch_execz .LBB491_70
; %bb.69:
	ds_read_b32 v3, v1
	v_and_b32_e32 v4, 3, v53
	v_cmp_ne_u32_e32 vcc, 0, v4
	s_waitcnt lgkmcnt(0)
	v_mov_b32_dpp v5, v3 row_shr:1 row_mask:0xf bank_mask:0xf
	v_cndmask_b32_e32 v5, 0, v5, vcc
	v_add_u32_e32 v3, v5, v3
	v_cmp_lt_u32_e32 vcc, 1, v4
	s_nop 0
	v_mov_b32_dpp v5, v3 row_shr:2 row_mask:0xf bank_mask:0xf
	v_cndmask_b32_e32 v4, 0, v5, vcc
	v_add_u32_e32 v3, v3, v4
	ds_write_b32 v1, v3
.LBB491_70:
	s_or_b64 exec, exec, s[4:5]
	v_cmp_lt_u32_e32 vcc, 63, v0
	v_mov_b32_e32 v4, 0
	v_mov_b32_e32 v3, 0
	s_waitcnt lgkmcnt(0)
	s_barrier
	s_and_saveexec_b64 s[4:5], vcc
	s_cbranch_execz .LBB491_72
; %bb.71:
	v_lshl_add_u32 v3, v54, 2, -4
	ds_read_b32 v3, v3
.LBB491_72:
	s_or_b64 exec, exec, s[4:5]
	v_add_u32_e32 v5, -1, v53
	v_and_b32_e32 v6, 64, v53
	v_cmp_lt_i32_e32 vcc, v5, v6
	v_cndmask_b32_e32 v5, v5, v53, vcc
	s_waitcnt lgkmcnt(0)
	v_add_u32_e32 v2, v3, v2
	v_lshlrev_b32_e32 v5, 2, v5
	ds_bpermute_b32 v2, v5, v2
	ds_read_b32 v18, v4 offset:12
	s_and_saveexec_b64 s[4:5], s[0:1]
	s_cbranch_execz .LBB491_74
; %bb.73:
	v_mov_b32_e32 v4, 0
	v_mov_b32_e32 v19, 2
	s_waitcnt lgkmcnt(0)
	global_store_dwordx2 v4, v[18:19], s[30:31] offset:512
.LBB491_74:
	s_or_b64 exec, exec, s[4:5]
	v_cmp_eq_u32_e32 vcc, 0, v53
	s_waitcnt lgkmcnt(1)
	v_cndmask_b32_e32 v2, v2, v3, vcc
	v_cndmask_b32_e64 v2, v2, 0, s[0:1]
	v_add_u32_e32 v3, v2, v44
	v_add_u32_e32 v4, v3, v45
	;; [unrolled: 1-line block ×11, first 2 shown]
	v_mov_b32_e32 v19, 0
	v_add_u32_e32 v14, v13, v41
	s_waitcnt lgkmcnt(0)
	s_barrier
.LBB491_75:
	s_waitcnt lgkmcnt(0)
	v_add_u32_e32 v36, v18, v36
	v_sub_u32_e32 v2, v2, v19
	v_and_b32_e32 v45, 1, v40
	v_sub_u32_e32 v44, v36, v2
	v_cmp_eq_u32_e32 vcc, 1, v45
	v_cndmask_b32_e32 v2, v44, v2, vcc
	v_lshlrev_b32_e32 v2, 2, v2
	v_lshrrev_b32_e32 v17, 8, v40
	ds_write_b32 v2, v32
	v_sub_u32_e32 v2, v3, v19
	v_sub_u32_e32 v3, v36, v2
	v_and_b32_e32 v17, 1, v17
	v_add_u32_e32 v3, 1, v3
	v_cmp_eq_u32_e32 vcc, 1, v17
	v_cndmask_b32_e32 v2, v3, v2, vcc
	v_lshlrev_b32_e32 v2, 2, v2
	ds_write_b32 v2, v33
	v_sub_u32_e32 v2, v4, v19
	v_mov_b32_e32 v4, 1
	v_sub_u32_e32 v3, v36, v2
	v_and_b32_sdwa v17, v4, v40 dst_sel:DWORD dst_unused:UNUSED_PAD src0_sel:DWORD src1_sel:WORD_1
	v_add_u32_e32 v3, 2, v3
	v_cmp_eq_u32_e32 vcc, 1, v17
	v_cndmask_b32_e32 v2, v3, v2, vcc
	v_lshlrev_b32_e32 v2, 2, v2
	ds_write_b32 v2, v30
	v_sub_u32_e32 v2, v5, v19
	v_sub_u32_e32 v3, v36, v2
	v_and_b32_e32 v5, 1, v43
	v_add_u32_e32 v3, 3, v3
	v_cmp_eq_u32_e32 vcc, 1, v5
	v_cndmask_b32_e32 v2, v3, v2, vcc
	v_lshlrev_b32_e32 v2, 2, v2
	ds_write_b32 v2, v31
	v_sub_u32_e32 v2, v6, v19
	v_sub_u32_e32 v3, v36, v2
	v_and_b32_e32 v5, 1, v39
	v_add_u32_e32 v3, 4, v3
	v_cmp_eq_u32_e32 vcc, 1, v5
	v_cndmask_b32_e32 v2, v3, v2, vcc
	v_lshlrev_b32_e32 v2, 2, v2
	v_lshrrev_b32_e32 v16, 8, v39
	ds_write_b32 v2, v28
	v_sub_u32_e32 v2, v7, v19
	v_sub_u32_e32 v3, v36, v2
	v_and_b32_e32 v5, 1, v16
	v_add_u32_e32 v3, 5, v3
	v_cmp_eq_u32_e32 vcc, 1, v5
	v_cndmask_b32_e32 v2, v3, v2, vcc
	v_lshlrev_b32_e32 v2, 2, v2
	ds_write_b32 v2, v29
	v_sub_u32_e32 v2, v8, v19
	v_sub_u32_e32 v3, v36, v2
	v_and_b32_sdwa v5, v4, v39 dst_sel:DWORD dst_unused:UNUSED_PAD src0_sel:DWORD src1_sel:WORD_1
	v_add_u32_e32 v3, 6, v3
	v_cmp_eq_u32_e32 vcc, 1, v5
	v_cndmask_b32_e32 v2, v3, v2, vcc
	v_lshlrev_b32_e32 v2, 2, v2
	ds_write_b32 v2, v26
	v_sub_u32_e32 v2, v9, v19
	v_sub_u32_e32 v3, v36, v2
	v_and_b32_e32 v5, 1, v42
	v_add_u32_e32 v3, 7, v3
	v_cmp_eq_u32_e32 vcc, 1, v5
	v_cndmask_b32_e32 v2, v3, v2, vcc
	v_lshlrev_b32_e32 v2, 2, v2
	ds_write_b32 v2, v27
	v_sub_u32_e32 v2, v10, v19
	v_sub_u32_e32 v3, v36, v2
	v_and_b32_e32 v5, 1, v38
	v_add_u32_e32 v3, 8, v3
	v_cmp_eq_u32_e32 vcc, 1, v5
	v_cndmask_b32_e32 v2, v3, v2, vcc
	v_lshlrev_b32_e32 v2, 2, v2
	v_lshrrev_b32_e32 v15, 8, v38
	ds_write_b32 v2, v24
	v_sub_u32_e32 v2, v11, v19
	v_sub_u32_e32 v3, v36, v2
	v_and_b32_e32 v5, 1, v15
	v_add_u32_e32 v3, 9, v3
	v_cmp_eq_u32_e32 vcc, 1, v5
	v_cndmask_b32_e32 v2, v3, v2, vcc
	v_lshlrev_b32_e32 v2, 2, v2
	ds_write_b32 v2, v25
	v_sub_u32_e32 v2, v12, v19
	v_sub_u32_e32 v3, v36, v2
	v_and_b32_sdwa v4, v4, v38 dst_sel:DWORD dst_unused:UNUSED_PAD src0_sel:DWORD src1_sel:WORD_1
	v_add_u32_e32 v3, 10, v3
	v_cmp_eq_u32_e32 vcc, 1, v4
	v_cndmask_b32_e32 v2, v3, v2, vcc
	v_lshlrev_b32_e32 v2, 2, v2
	ds_write_b32 v2, v22
	v_sub_u32_e32 v2, v13, v19
	v_sub_u32_e32 v3, v36, v2
	v_and_b32_e32 v4, 1, v41
	v_add_u32_e32 v3, 11, v3
	v_cmp_eq_u32_e32 vcc, 1, v4
	v_cndmask_b32_e32 v2, v3, v2, vcc
	v_lshlrev_b32_e32 v2, 2, v2
	ds_write_b32 v2, v23
	v_sub_u32_e32 v2, v14, v19
	v_sub_u32_e32 v3, v36, v2
	v_and_b32_e32 v4, 1, v37
	v_add_u32_e32 v3, 12, v3
	v_cmp_eq_u32_e32 vcc, 1, v4
	v_cndmask_b32_e32 v2, v3, v2, vcc
	v_lshlrev_b32_e32 v2, 2, v2
	ds_write_b32 v2, v35
	s_waitcnt lgkmcnt(0)
	s_barrier
	ds_read2st64_b32 v[12:13], v1 offset1:4
	ds_read2st64_b32 v[10:11], v1 offset0:8 offset1:12
	ds_read2st64_b32 v[8:9], v1 offset0:16 offset1:20
	;; [unrolled: 1-line block ×5, first 2 shown]
	ds_read_b32 v17, v1 offset:12288
	s_waitcnt vmcnt(0)
	v_add_co_u32_e32 v1, vcc, v20, v19
	v_addc_co_u32_e32 v16, vcc, 0, v21, vcc
	v_mov_b32_e32 v14, s29
	v_add_co_u32_e32 v15, vcc, s28, v34
	v_addc_co_u32_e32 v14, vcc, 0, v14, vcc
	v_mov_b32_e32 v19, s27
	v_sub_co_u32_e32 v15, vcc, s26, v15
	v_subb_co_u32_e32 v14, vcc, v19, v14, vcc
	v_add_co_u32_e32 v15, vcc, v15, v18
	v_addc_co_u32_e32 v14, vcc, 0, v14, vcc
	s_and_b64 vcc, exec, s[2:3]
	v_add_co_u32_e64 v19, s[2:3], v15, v1
	v_or_b32_e32 v33, 0x100, v0
	v_or_b32_e32 v32, 0x200, v0
	;; [unrolled: 1-line block ×12, first 2 shown]
	v_addc_co_u32_e64 v20, s[2:3], v14, v16, s[2:3]
	s_cbranch_vccnz .LBB491_132
; %bb.76:
	v_cmp_ge_u32_e32 vcc, v0, v18
                                        ; implicit-def: $vgpr14_vgpr15
	s_and_saveexec_b64 s[2:3], vcc
	s_xor_b64 s[2:3], exec, s[2:3]
; %bb.77:
	v_not_b32_e32 v14, v0
	v_ashrrev_i32_e32 v15, 31, v14
	v_add_co_u32_e32 v14, vcc, v19, v14
	v_addc_co_u32_e32 v15, vcc, v20, v15, vcc
; %bb.78:
	s_andn2_saveexec_b64 s[2:3], s[2:3]
; %bb.79:
	v_add_co_u32_e32 v14, vcc, v1, v0
	v_addc_co_u32_e32 v15, vcc, 0, v16, vcc
; %bb.80:
	s_or_b64 exec, exec, s[2:3]
	v_lshlrev_b64 v[14:15], 2, v[14:15]
	v_mov_b32_e32 v21, s25
	v_add_co_u32_e32 v14, vcc, s24, v14
	v_addc_co_u32_e32 v15, vcc, v21, v15, vcc
	v_cmp_ge_u32_e32 vcc, v33, v18
	s_waitcnt lgkmcnt(6)
	global_store_dword v[14:15], v12, off
                                        ; implicit-def: $vgpr14_vgpr15
	s_and_saveexec_b64 s[2:3], vcc
	s_xor_b64 s[2:3], exec, s[2:3]
; %bb.81:
	v_xor_b32_e32 v14, 0xfffffeff, v0
	v_ashrrev_i32_e32 v15, 31, v14
	v_add_co_u32_e32 v14, vcc, v19, v14
	v_addc_co_u32_e32 v15, vcc, v20, v15, vcc
; %bb.82:
	s_andn2_saveexec_b64 s[2:3], s[2:3]
; %bb.83:
	v_add_co_u32_e32 v14, vcc, v1, v33
	v_addc_co_u32_e32 v15, vcc, 0, v16, vcc
; %bb.84:
	s_or_b64 exec, exec, s[2:3]
	v_lshlrev_b64 v[14:15], 2, v[14:15]
	v_mov_b32_e32 v21, s25
	v_add_co_u32_e32 v14, vcc, s24, v14
	v_addc_co_u32_e32 v15, vcc, v21, v15, vcc
	v_cmp_ge_u32_e32 vcc, v32, v18
	global_store_dword v[14:15], v13, off
                                        ; implicit-def: $vgpr14_vgpr15
	s_and_saveexec_b64 s[2:3], vcc
	s_xor_b64 s[2:3], exec, s[2:3]
; %bb.85:
	v_xor_b32_e32 v14, 0xfffffdff, v0
	v_ashrrev_i32_e32 v15, 31, v14
	v_add_co_u32_e32 v14, vcc, v19, v14
	v_addc_co_u32_e32 v15, vcc, v20, v15, vcc
; %bb.86:
	s_andn2_saveexec_b64 s[2:3], s[2:3]
; %bb.87:
	v_add_co_u32_e32 v14, vcc, v1, v32
	v_addc_co_u32_e32 v15, vcc, 0, v16, vcc
; %bb.88:
	s_or_b64 exec, exec, s[2:3]
	v_lshlrev_b64 v[14:15], 2, v[14:15]
	v_mov_b32_e32 v21, s25
	v_add_co_u32_e32 v14, vcc, s24, v14
	v_addc_co_u32_e32 v15, vcc, v21, v15, vcc
	v_cmp_ge_u32_e32 vcc, v31, v18
	s_waitcnt lgkmcnt(5)
	global_store_dword v[14:15], v10, off
                                        ; implicit-def: $vgpr14_vgpr15
	s_and_saveexec_b64 s[2:3], vcc
	s_xor_b64 s[2:3], exec, s[2:3]
; %bb.89:
	v_xor_b32_e32 v14, 0xfffffcff, v0
	v_ashrrev_i32_e32 v15, 31, v14
	v_add_co_u32_e32 v14, vcc, v19, v14
	v_addc_co_u32_e32 v15, vcc, v20, v15, vcc
; %bb.90:
	s_andn2_saveexec_b64 s[2:3], s[2:3]
; %bb.91:
	v_add_co_u32_e32 v14, vcc, v1, v31
	v_addc_co_u32_e32 v15, vcc, 0, v16, vcc
; %bb.92:
	s_or_b64 exec, exec, s[2:3]
	v_lshlrev_b64 v[14:15], 2, v[14:15]
	v_mov_b32_e32 v21, s25
	v_add_co_u32_e32 v14, vcc, s24, v14
	v_addc_co_u32_e32 v15, vcc, v21, v15, vcc
	v_cmp_ge_u32_e32 vcc, v30, v18
	global_store_dword v[14:15], v11, off
                                        ; implicit-def: $vgpr14_vgpr15
	s_and_saveexec_b64 s[2:3], vcc
	s_xor_b64 s[2:3], exec, s[2:3]
; %bb.93:
	v_xor_b32_e32 v14, 0xfffffbff, v0
	;; [unrolled: 43-line block ×6, first 2 shown]
	v_ashrrev_i32_e32 v15, 31, v14
	v_add_co_u32_e32 v14, vcc, v19, v14
	v_addc_co_u32_e32 v15, vcc, v20, v15, vcc
; %bb.126:
	s_andn2_saveexec_b64 s[2:3], s[2:3]
; %bb.127:
	v_add_co_u32_e32 v14, vcc, v1, v22
	v_addc_co_u32_e32 v15, vcc, 0, v16, vcc
; %bb.128:
	s_or_b64 exec, exec, s[2:3]
	s_mov_b64 s[2:3], -1
.LBB491_129:
	s_and_saveexec_b64 s[4:5], s[2:3]
	s_cbranch_execz .LBB491_212
.LBB491_130:
	s_waitcnt lgkmcnt(1)
	v_lshlrev_b64 v[2:3], 2, v[14:15]
	v_mov_b32_e32 v0, s25
	v_add_co_u32_e32 v2, vcc, s24, v2
	v_addc_co_u32_e32 v3, vcc, v0, v3, vcc
	s_waitcnt lgkmcnt(0)
	global_store_dword v[2:3], v17, off
	s_or_b64 exec, exec, s[4:5]
	s_and_b64 s[0:1], s[0:1], s[22:23]
	s_and_saveexec_b64 s[2:3], s[0:1]
	s_cbranch_execnz .LBB491_213
.LBB491_131:
	s_endpgm
.LBB491_132:
	s_mov_b64 s[2:3], 0
                                        ; implicit-def: $vgpr14_vgpr15
	s_cbranch_execz .LBB491_129
; %bb.133:
	v_cmp_gt_u32_e32 vcc, s33, v0
	s_and_saveexec_b64 s[4:5], vcc
	s_cbranch_execz .LBB491_169
; %bb.134:
	v_cmp_ge_u32_e32 vcc, v0, v18
                                        ; implicit-def: $vgpr14_vgpr15
	s_and_saveexec_b64 s[6:7], vcc
	s_xor_b64 s[6:7], exec, s[6:7]
; %bb.135:
	v_not_b32_e32 v14, v0
	v_ashrrev_i32_e32 v15, 31, v14
	v_add_co_u32_e32 v14, vcc, v19, v14
	v_addc_co_u32_e32 v15, vcc, v20, v15, vcc
; %bb.136:
	s_andn2_saveexec_b64 s[6:7], s[6:7]
; %bb.137:
	v_add_co_u32_e32 v14, vcc, v1, v0
	v_addc_co_u32_e32 v15, vcc, 0, v16, vcc
; %bb.138:
	s_or_b64 exec, exec, s[6:7]
	v_lshlrev_b64 v[14:15], 2, v[14:15]
	v_mov_b32_e32 v21, s25
	v_add_co_u32_e32 v14, vcc, s24, v14
	v_addc_co_u32_e32 v15, vcc, v21, v15, vcc
	s_waitcnt lgkmcnt(6)
	global_store_dword v[14:15], v12, off
	s_or_b64 exec, exec, s[4:5]
	v_cmp_gt_u32_e32 vcc, s33, v33
	s_and_saveexec_b64 s[4:5], vcc
	s_cbranch_execnz .LBB491_170
.LBB491_139:
	s_or_b64 exec, exec, s[4:5]
	v_cmp_gt_u32_e32 vcc, s33, v32
	s_and_saveexec_b64 s[4:5], vcc
	s_cbranch_execz .LBB491_175
.LBB491_140:
	v_cmp_ge_u32_e32 vcc, v32, v18
                                        ; implicit-def: $vgpr12_vgpr13
	s_and_saveexec_b64 s[6:7], vcc
	s_xor_b64 s[6:7], exec, s[6:7]
	s_cbranch_execz .LBB491_142
; %bb.141:
	s_waitcnt lgkmcnt(6)
	v_xor_b32_e32 v12, 0xfffffdff, v0
	v_ashrrev_i32_e32 v13, 31, v12
	v_add_co_u32_e32 v12, vcc, v19, v12
	v_addc_co_u32_e32 v13, vcc, v20, v13, vcc
                                        ; implicit-def: $vgpr32
.LBB491_142:
	s_andn2_saveexec_b64 s[6:7], s[6:7]
	s_cbranch_execz .LBB491_144
; %bb.143:
	s_waitcnt lgkmcnt(6)
	v_add_co_u32_e32 v12, vcc, v1, v32
	v_addc_co_u32_e32 v13, vcc, 0, v16, vcc
.LBB491_144:
	s_or_b64 exec, exec, s[6:7]
	s_waitcnt lgkmcnt(6)
	v_lshlrev_b64 v[12:13], 2, v[12:13]
	v_mov_b32_e32 v14, s25
	v_add_co_u32_e32 v12, vcc, s24, v12
	v_addc_co_u32_e32 v13, vcc, v14, v13, vcc
	s_waitcnt lgkmcnt(5)
	global_store_dword v[12:13], v10, off
	s_or_b64 exec, exec, s[4:5]
	v_cmp_gt_u32_e32 vcc, s33, v31
	s_and_saveexec_b64 s[4:5], vcc
	s_cbranch_execnz .LBB491_176
.LBB491_145:
	s_or_b64 exec, exec, s[4:5]
	v_cmp_gt_u32_e32 vcc, s33, v30
	s_and_saveexec_b64 s[4:5], vcc
	s_cbranch_execz .LBB491_181
.LBB491_146:
	v_cmp_ge_u32_e32 vcc, v30, v18
                                        ; implicit-def: $vgpr10_vgpr11
	s_and_saveexec_b64 s[6:7], vcc
	s_xor_b64 s[6:7], exec, s[6:7]
	s_cbranch_execz .LBB491_148
; %bb.147:
	s_waitcnt lgkmcnt(5)
	v_xor_b32_e32 v10, 0xfffffbff, v0
	v_ashrrev_i32_e32 v11, 31, v10
	v_add_co_u32_e32 v10, vcc, v19, v10
	v_addc_co_u32_e32 v11, vcc, v20, v11, vcc
                                        ; implicit-def: $vgpr30
.LBB491_148:
	s_andn2_saveexec_b64 s[6:7], s[6:7]
	s_cbranch_execz .LBB491_150
; %bb.149:
	s_waitcnt lgkmcnt(5)
	v_add_co_u32_e32 v10, vcc, v1, v30
	v_addc_co_u32_e32 v11, vcc, 0, v16, vcc
.LBB491_150:
	s_or_b64 exec, exec, s[6:7]
	s_waitcnt lgkmcnt(5)
	v_lshlrev_b64 v[10:11], 2, v[10:11]
	v_mov_b32_e32 v12, s25
	v_add_co_u32_e32 v10, vcc, s24, v10
	v_addc_co_u32_e32 v11, vcc, v12, v11, vcc
	s_waitcnt lgkmcnt(4)
	global_store_dword v[10:11], v8, off
	s_or_b64 exec, exec, s[4:5]
	v_cmp_gt_u32_e32 vcc, s33, v29
	s_and_saveexec_b64 s[4:5], vcc
	s_cbranch_execnz .LBB491_182
.LBB491_151:
	s_or_b64 exec, exec, s[4:5]
	v_cmp_gt_u32_e32 vcc, s33, v28
	s_and_saveexec_b64 s[4:5], vcc
	s_cbranch_execz .LBB491_187
.LBB491_152:
	v_cmp_ge_u32_e32 vcc, v28, v18
                                        ; implicit-def: $vgpr8_vgpr9
	s_and_saveexec_b64 s[6:7], vcc
	s_xor_b64 s[6:7], exec, s[6:7]
	s_cbranch_execz .LBB491_154
; %bb.153:
	s_waitcnt lgkmcnt(4)
	v_xor_b32_e32 v8, 0xfffff9ff, v0
	v_ashrrev_i32_e32 v9, 31, v8
	v_add_co_u32_e32 v8, vcc, v19, v8
	v_addc_co_u32_e32 v9, vcc, v20, v9, vcc
                                        ; implicit-def: $vgpr28
.LBB491_154:
	s_andn2_saveexec_b64 s[6:7], s[6:7]
	s_cbranch_execz .LBB491_156
; %bb.155:
	s_waitcnt lgkmcnt(4)
	v_add_co_u32_e32 v8, vcc, v1, v28
	v_addc_co_u32_e32 v9, vcc, 0, v16, vcc
.LBB491_156:
	s_or_b64 exec, exec, s[6:7]
	s_waitcnt lgkmcnt(4)
	v_lshlrev_b64 v[8:9], 2, v[8:9]
	v_mov_b32_e32 v10, s25
	v_add_co_u32_e32 v8, vcc, s24, v8
	v_addc_co_u32_e32 v9, vcc, v10, v9, vcc
	s_waitcnt lgkmcnt(3)
	global_store_dword v[8:9], v6, off
	s_or_b64 exec, exec, s[4:5]
	v_cmp_gt_u32_e32 vcc, s33, v27
	s_and_saveexec_b64 s[4:5], vcc
	s_cbranch_execnz .LBB491_188
.LBB491_157:
	s_or_b64 exec, exec, s[4:5]
	v_cmp_gt_u32_e32 vcc, s33, v26
	s_and_saveexec_b64 s[4:5], vcc
	s_cbranch_execz .LBB491_193
.LBB491_158:
	v_cmp_ge_u32_e32 vcc, v26, v18
                                        ; implicit-def: $vgpr6_vgpr7
	s_and_saveexec_b64 s[6:7], vcc
	s_xor_b64 s[6:7], exec, s[6:7]
	s_cbranch_execz .LBB491_160
; %bb.159:
	s_waitcnt lgkmcnt(3)
	v_xor_b32_e32 v6, 0xfffff7ff, v0
	v_ashrrev_i32_e32 v7, 31, v6
	v_add_co_u32_e32 v6, vcc, v19, v6
	v_addc_co_u32_e32 v7, vcc, v20, v7, vcc
                                        ; implicit-def: $vgpr26
.LBB491_160:
	s_andn2_saveexec_b64 s[6:7], s[6:7]
	s_cbranch_execz .LBB491_162
; %bb.161:
	s_waitcnt lgkmcnt(3)
	v_add_co_u32_e32 v6, vcc, v1, v26
	v_addc_co_u32_e32 v7, vcc, 0, v16, vcc
.LBB491_162:
	s_or_b64 exec, exec, s[6:7]
	s_waitcnt lgkmcnt(3)
	v_lshlrev_b64 v[6:7], 2, v[6:7]
	v_mov_b32_e32 v8, s25
	v_add_co_u32_e32 v6, vcc, s24, v6
	v_addc_co_u32_e32 v7, vcc, v8, v7, vcc
	s_waitcnt lgkmcnt(2)
	global_store_dword v[6:7], v4, off
	s_or_b64 exec, exec, s[4:5]
	v_cmp_gt_u32_e32 vcc, s33, v25
	s_and_saveexec_b64 s[4:5], vcc
	s_cbranch_execnz .LBB491_194
.LBB491_163:
	s_or_b64 exec, exec, s[4:5]
	v_cmp_gt_u32_e32 vcc, s33, v24
	s_and_saveexec_b64 s[4:5], vcc
	s_cbranch_execz .LBB491_199
.LBB491_164:
	v_cmp_ge_u32_e32 vcc, v24, v18
                                        ; implicit-def: $vgpr4_vgpr5
	s_and_saveexec_b64 s[6:7], vcc
	s_xor_b64 s[6:7], exec, s[6:7]
	s_cbranch_execz .LBB491_166
; %bb.165:
	s_waitcnt lgkmcnt(2)
	v_xor_b32_e32 v4, 0xfffff5ff, v0
	v_ashrrev_i32_e32 v5, 31, v4
	v_add_co_u32_e32 v4, vcc, v19, v4
	v_addc_co_u32_e32 v5, vcc, v20, v5, vcc
                                        ; implicit-def: $vgpr24
.LBB491_166:
	s_andn2_saveexec_b64 s[6:7], s[6:7]
	s_cbranch_execz .LBB491_168
; %bb.167:
	s_waitcnt lgkmcnt(2)
	v_add_co_u32_e32 v4, vcc, v1, v24
	v_addc_co_u32_e32 v5, vcc, 0, v16, vcc
.LBB491_168:
	s_or_b64 exec, exec, s[6:7]
	s_waitcnt lgkmcnt(2)
	v_lshlrev_b64 v[4:5], 2, v[4:5]
	v_mov_b32_e32 v6, s25
	v_add_co_u32_e32 v4, vcc, s24, v4
	v_addc_co_u32_e32 v5, vcc, v6, v5, vcc
	s_waitcnt lgkmcnt(1)
	global_store_dword v[4:5], v2, off
	s_or_b64 exec, exec, s[4:5]
	v_cmp_gt_u32_e32 vcc, s33, v23
	s_and_saveexec_b64 s[4:5], vcc
	s_cbranch_execz .LBB491_205
	s_branch .LBB491_200
.LBB491_169:
	s_or_b64 exec, exec, s[4:5]
	v_cmp_gt_u32_e32 vcc, s33, v33
	s_and_saveexec_b64 s[4:5], vcc
	s_cbranch_execz .LBB491_139
.LBB491_170:
	v_cmp_ge_u32_e32 vcc, v33, v18
                                        ; implicit-def: $vgpr14_vgpr15
	s_and_saveexec_b64 s[6:7], vcc
	s_xor_b64 s[6:7], exec, s[6:7]
	s_cbranch_execz .LBB491_172
; %bb.171:
	s_waitcnt lgkmcnt(6)
	v_xor_b32_e32 v12, 0xfffffeff, v0
	v_ashrrev_i32_e32 v15, 31, v12
	v_add_co_u32_e32 v14, vcc, v19, v12
	v_addc_co_u32_e32 v15, vcc, v20, v15, vcc
                                        ; implicit-def: $vgpr33
.LBB491_172:
	s_andn2_saveexec_b64 s[6:7], s[6:7]
; %bb.173:
	v_add_co_u32_e32 v14, vcc, v1, v33
	v_addc_co_u32_e32 v15, vcc, 0, v16, vcc
; %bb.174:
	s_or_b64 exec, exec, s[6:7]
	v_lshlrev_b64 v[14:15], 2, v[14:15]
	s_waitcnt lgkmcnt(6)
	v_mov_b32_e32 v12, s25
	v_add_co_u32_e32 v14, vcc, s24, v14
	v_addc_co_u32_e32 v15, vcc, v12, v15, vcc
	global_store_dword v[14:15], v13, off
	s_or_b64 exec, exec, s[4:5]
	v_cmp_gt_u32_e32 vcc, s33, v32
	s_and_saveexec_b64 s[4:5], vcc
	s_cbranch_execnz .LBB491_140
.LBB491_175:
	s_or_b64 exec, exec, s[4:5]
	v_cmp_gt_u32_e32 vcc, s33, v31
	s_and_saveexec_b64 s[4:5], vcc
	s_cbranch_execz .LBB491_145
.LBB491_176:
	v_cmp_ge_u32_e32 vcc, v31, v18
                                        ; implicit-def: $vgpr12_vgpr13
	s_and_saveexec_b64 s[6:7], vcc
	s_xor_b64 s[6:7], exec, s[6:7]
	s_cbranch_execz .LBB491_178
; %bb.177:
	s_waitcnt lgkmcnt(5)
	v_xor_b32_e32 v10, 0xfffffcff, v0
	v_ashrrev_i32_e32 v13, 31, v10
	v_add_co_u32_e32 v12, vcc, v19, v10
	v_addc_co_u32_e32 v13, vcc, v20, v13, vcc
                                        ; implicit-def: $vgpr31
.LBB491_178:
	s_andn2_saveexec_b64 s[6:7], s[6:7]
	s_cbranch_execz .LBB491_180
; %bb.179:
	s_waitcnt lgkmcnt(6)
	v_add_co_u32_e32 v12, vcc, v1, v31
	v_addc_co_u32_e32 v13, vcc, 0, v16, vcc
.LBB491_180:
	s_or_b64 exec, exec, s[6:7]
	s_waitcnt lgkmcnt(6)
	v_lshlrev_b64 v[12:13], 2, v[12:13]
	s_waitcnt lgkmcnt(5)
	v_mov_b32_e32 v10, s25
	v_add_co_u32_e32 v12, vcc, s24, v12
	v_addc_co_u32_e32 v13, vcc, v10, v13, vcc
	global_store_dword v[12:13], v11, off
	s_or_b64 exec, exec, s[4:5]
	v_cmp_gt_u32_e32 vcc, s33, v30
	s_and_saveexec_b64 s[4:5], vcc
	s_cbranch_execnz .LBB491_146
.LBB491_181:
	s_or_b64 exec, exec, s[4:5]
	v_cmp_gt_u32_e32 vcc, s33, v29
	s_and_saveexec_b64 s[4:5], vcc
	s_cbranch_execz .LBB491_151
.LBB491_182:
	v_cmp_ge_u32_e32 vcc, v29, v18
                                        ; implicit-def: $vgpr10_vgpr11
	s_and_saveexec_b64 s[6:7], vcc
	s_xor_b64 s[6:7], exec, s[6:7]
	s_cbranch_execz .LBB491_184
; %bb.183:
	s_waitcnt lgkmcnt(4)
	v_xor_b32_e32 v8, 0xfffffaff, v0
	v_ashrrev_i32_e32 v11, 31, v8
	v_add_co_u32_e32 v10, vcc, v19, v8
	v_addc_co_u32_e32 v11, vcc, v20, v11, vcc
                                        ; implicit-def: $vgpr29
.LBB491_184:
	s_andn2_saveexec_b64 s[6:7], s[6:7]
	s_cbranch_execz .LBB491_186
; %bb.185:
	s_waitcnt lgkmcnt(5)
	v_add_co_u32_e32 v10, vcc, v1, v29
	v_addc_co_u32_e32 v11, vcc, 0, v16, vcc
.LBB491_186:
	s_or_b64 exec, exec, s[6:7]
	s_waitcnt lgkmcnt(5)
	v_lshlrev_b64 v[10:11], 2, v[10:11]
	s_waitcnt lgkmcnt(4)
	v_mov_b32_e32 v8, s25
	v_add_co_u32_e32 v10, vcc, s24, v10
	v_addc_co_u32_e32 v11, vcc, v8, v11, vcc
	global_store_dword v[10:11], v9, off
	s_or_b64 exec, exec, s[4:5]
	v_cmp_gt_u32_e32 vcc, s33, v28
	s_and_saveexec_b64 s[4:5], vcc
	s_cbranch_execnz .LBB491_152
.LBB491_187:
	s_or_b64 exec, exec, s[4:5]
	v_cmp_gt_u32_e32 vcc, s33, v27
	s_and_saveexec_b64 s[4:5], vcc
	s_cbranch_execz .LBB491_157
.LBB491_188:
	v_cmp_ge_u32_e32 vcc, v27, v18
                                        ; implicit-def: $vgpr8_vgpr9
	s_and_saveexec_b64 s[6:7], vcc
	s_xor_b64 s[6:7], exec, s[6:7]
	s_cbranch_execz .LBB491_190
; %bb.189:
	s_waitcnt lgkmcnt(3)
	v_xor_b32_e32 v6, 0xfffff8ff, v0
	v_ashrrev_i32_e32 v9, 31, v6
	v_add_co_u32_e32 v8, vcc, v19, v6
	v_addc_co_u32_e32 v9, vcc, v20, v9, vcc
                                        ; implicit-def: $vgpr27
.LBB491_190:
	s_andn2_saveexec_b64 s[6:7], s[6:7]
	s_cbranch_execz .LBB491_192
; %bb.191:
	s_waitcnt lgkmcnt(4)
	v_add_co_u32_e32 v8, vcc, v1, v27
	v_addc_co_u32_e32 v9, vcc, 0, v16, vcc
.LBB491_192:
	s_or_b64 exec, exec, s[6:7]
	s_waitcnt lgkmcnt(4)
	v_lshlrev_b64 v[8:9], 2, v[8:9]
	s_waitcnt lgkmcnt(3)
	v_mov_b32_e32 v6, s25
	v_add_co_u32_e32 v8, vcc, s24, v8
	v_addc_co_u32_e32 v9, vcc, v6, v9, vcc
	global_store_dword v[8:9], v7, off
	s_or_b64 exec, exec, s[4:5]
	v_cmp_gt_u32_e32 vcc, s33, v26
	s_and_saveexec_b64 s[4:5], vcc
	s_cbranch_execnz .LBB491_158
.LBB491_193:
	s_or_b64 exec, exec, s[4:5]
	v_cmp_gt_u32_e32 vcc, s33, v25
	s_and_saveexec_b64 s[4:5], vcc
	s_cbranch_execz .LBB491_163
.LBB491_194:
	v_cmp_ge_u32_e32 vcc, v25, v18
                                        ; implicit-def: $vgpr6_vgpr7
	s_and_saveexec_b64 s[6:7], vcc
	s_xor_b64 s[6:7], exec, s[6:7]
	s_cbranch_execz .LBB491_196
; %bb.195:
	s_waitcnt lgkmcnt(2)
	v_xor_b32_e32 v4, 0xfffff6ff, v0
	v_ashrrev_i32_e32 v7, 31, v4
	v_add_co_u32_e32 v6, vcc, v19, v4
	v_addc_co_u32_e32 v7, vcc, v20, v7, vcc
                                        ; implicit-def: $vgpr25
.LBB491_196:
	s_andn2_saveexec_b64 s[6:7], s[6:7]
	s_cbranch_execz .LBB491_198
; %bb.197:
	s_waitcnt lgkmcnt(3)
	v_add_co_u32_e32 v6, vcc, v1, v25
	v_addc_co_u32_e32 v7, vcc, 0, v16, vcc
.LBB491_198:
	s_or_b64 exec, exec, s[6:7]
	s_waitcnt lgkmcnt(3)
	v_lshlrev_b64 v[6:7], 2, v[6:7]
	s_waitcnt lgkmcnt(2)
	v_mov_b32_e32 v4, s25
	v_add_co_u32_e32 v6, vcc, s24, v6
	v_addc_co_u32_e32 v7, vcc, v4, v7, vcc
	global_store_dword v[6:7], v5, off
	s_or_b64 exec, exec, s[4:5]
	v_cmp_gt_u32_e32 vcc, s33, v24
	s_and_saveexec_b64 s[4:5], vcc
	s_cbranch_execnz .LBB491_164
.LBB491_199:
	s_or_b64 exec, exec, s[4:5]
	v_cmp_gt_u32_e32 vcc, s33, v23
	s_and_saveexec_b64 s[4:5], vcc
	s_cbranch_execz .LBB491_205
.LBB491_200:
	v_cmp_ge_u32_e32 vcc, v23, v18
                                        ; implicit-def: $vgpr4_vgpr5
	s_and_saveexec_b64 s[6:7], vcc
	s_xor_b64 s[6:7], exec, s[6:7]
	s_cbranch_execz .LBB491_202
; %bb.201:
	s_waitcnt lgkmcnt(1)
	v_xor_b32_e32 v2, 0xfffff4ff, v0
	v_ashrrev_i32_e32 v5, 31, v2
	v_add_co_u32_e32 v4, vcc, v19, v2
	v_addc_co_u32_e32 v5, vcc, v20, v5, vcc
                                        ; implicit-def: $vgpr23
.LBB491_202:
	s_andn2_saveexec_b64 s[6:7], s[6:7]
	s_cbranch_execz .LBB491_204
; %bb.203:
	s_waitcnt lgkmcnt(2)
	v_add_co_u32_e32 v4, vcc, v1, v23
	v_addc_co_u32_e32 v5, vcc, 0, v16, vcc
.LBB491_204:
	s_or_b64 exec, exec, s[6:7]
	s_waitcnt lgkmcnt(2)
	v_lshlrev_b64 v[4:5], 2, v[4:5]
	s_waitcnt lgkmcnt(1)
	v_mov_b32_e32 v2, s25
	v_add_co_u32_e32 v4, vcc, s24, v4
	v_addc_co_u32_e32 v5, vcc, v2, v5, vcc
	global_store_dword v[4:5], v3, off
.LBB491_205:
	s_or_b64 exec, exec, s[4:5]
	v_cmp_gt_u32_e32 vcc, s33, v22
                                        ; implicit-def: $vgpr14_vgpr15
	s_and_saveexec_b64 s[4:5], vcc
	s_cbranch_execz .LBB491_211
; %bb.206:
	v_cmp_ge_u32_e32 vcc, v22, v18
                                        ; implicit-def: $vgpr14_vgpr15
	s_and_saveexec_b64 s[6:7], vcc
	s_xor_b64 s[6:7], exec, s[6:7]
	s_cbranch_execz .LBB491_208
; %bb.207:
	v_xor_b32_e32 v0, 0xfffff3ff, v0
	s_waitcnt lgkmcnt(1)
	v_ashrrev_i32_e32 v2, 31, v0
	v_add_co_u32_e32 v14, vcc, v19, v0
	v_addc_co_u32_e32 v15, vcc, v20, v2, vcc
                                        ; implicit-def: $vgpr22
.LBB491_208:
	s_andn2_saveexec_b64 s[6:7], s[6:7]
; %bb.209:
	v_add_co_u32_e32 v14, vcc, v1, v22
	v_addc_co_u32_e32 v15, vcc, 0, v16, vcc
; %bb.210:
	s_or_b64 exec, exec, s[6:7]
	s_or_b64 s[2:3], s[2:3], exec
.LBB491_211:
	s_or_b64 exec, exec, s[4:5]
	s_and_saveexec_b64 s[4:5], s[2:3]
	s_cbranch_execnz .LBB491_130
.LBB491_212:
	s_or_b64 exec, exec, s[4:5]
	s_and_b64 s[0:1], s[0:1], s[22:23]
	s_and_saveexec_b64 s[2:3], s[0:1]
	s_cbranch_execz .LBB491_131
.LBB491_213:
	v_add_co_u32_e32 v0, vcc, v1, v18
	s_waitcnt lgkmcnt(1)
	v_mov_b32_e32 v2, 0
	v_addc_co_u32_e32 v1, vcc, 0, v16, vcc
	global_store_dwordx2 v2, v[0:1], s[20:21]
	s_endpgm
	.section	.rodata,"a",@progbits
	.p2align	6, 0x0
	.amdhsa_kernel _ZN7rocprim17ROCPRIM_400000_NS6detail17trampoline_kernelINS0_13select_configILj256ELj13ELNS0_17block_load_methodE3ELS4_3ELS4_3ELNS0_20block_scan_algorithmE0ELj4294967295EEENS1_25partition_config_selectorILNS1_17partition_subalgoE3EjNS0_10empty_typeEbEEZZNS1_14partition_implILS8_3ELb0ES6_jNS0_17counting_iteratorIjlEEPS9_SE_NS0_5tupleIJPjSE_EEENSF_IJSE_SE_EEES9_SG_JZNS1_25segmented_radix_sort_implINS0_14default_configELb1EPKiPiPKlPlN2at6native12_GLOBAL__N_18offset_tEEE10hipError_tPvRmT1_PNSt15iterator_traitsISY_E10value_typeET2_T3_PNSZ_IS14_E10value_typeET4_jRbjT5_S1A_jjP12ihipStream_tbEUljE_EEESV_SW_SX_S14_S18_S1A_T6_T7_T9_mT8_S1C_bDpT10_ENKUlT_T0_E_clISt17integral_constantIbLb0EES1O_IbLb1EEEEDaS1K_S1L_EUlS1K_E_NS1_11comp_targetILNS1_3genE4ELNS1_11target_archE910ELNS1_3gpuE8ELNS1_3repE0EEENS1_30default_config_static_selectorELNS0_4arch9wavefront6targetE1EEEvSY_
		.amdhsa_group_segment_fixed_size 13324
		.amdhsa_private_segment_fixed_size 0
		.amdhsa_kernarg_size 152
		.amdhsa_user_sgpr_count 6
		.amdhsa_user_sgpr_private_segment_buffer 1
		.amdhsa_user_sgpr_dispatch_ptr 0
		.amdhsa_user_sgpr_queue_ptr 0
		.amdhsa_user_sgpr_kernarg_segment_ptr 1
		.amdhsa_user_sgpr_dispatch_id 0
		.amdhsa_user_sgpr_flat_scratch_init 0
		.amdhsa_user_sgpr_kernarg_preload_length 0
		.amdhsa_user_sgpr_kernarg_preload_offset 0
		.amdhsa_user_sgpr_private_segment_size 0
		.amdhsa_uses_dynamic_stack 0
		.amdhsa_system_sgpr_private_segment_wavefront_offset 0
		.amdhsa_system_sgpr_workgroup_id_x 1
		.amdhsa_system_sgpr_workgroup_id_y 0
		.amdhsa_system_sgpr_workgroup_id_z 0
		.amdhsa_system_sgpr_workgroup_info 0
		.amdhsa_system_vgpr_workitem_id 0
		.amdhsa_next_free_vgpr 64
		.amdhsa_next_free_sgpr 44
		.amdhsa_accum_offset 64
		.amdhsa_reserve_vcc 1
		.amdhsa_reserve_flat_scratch 0
		.amdhsa_float_round_mode_32 0
		.amdhsa_float_round_mode_16_64 0
		.amdhsa_float_denorm_mode_32 3
		.amdhsa_float_denorm_mode_16_64 3
		.amdhsa_dx10_clamp 1
		.amdhsa_ieee_mode 1
		.amdhsa_fp16_overflow 0
		.amdhsa_tg_split 0
		.amdhsa_exception_fp_ieee_invalid_op 0
		.amdhsa_exception_fp_denorm_src 0
		.amdhsa_exception_fp_ieee_div_zero 0
		.amdhsa_exception_fp_ieee_overflow 0
		.amdhsa_exception_fp_ieee_underflow 0
		.amdhsa_exception_fp_ieee_inexact 0
		.amdhsa_exception_int_div_zero 0
	.end_amdhsa_kernel
	.section	.text._ZN7rocprim17ROCPRIM_400000_NS6detail17trampoline_kernelINS0_13select_configILj256ELj13ELNS0_17block_load_methodE3ELS4_3ELS4_3ELNS0_20block_scan_algorithmE0ELj4294967295EEENS1_25partition_config_selectorILNS1_17partition_subalgoE3EjNS0_10empty_typeEbEEZZNS1_14partition_implILS8_3ELb0ES6_jNS0_17counting_iteratorIjlEEPS9_SE_NS0_5tupleIJPjSE_EEENSF_IJSE_SE_EEES9_SG_JZNS1_25segmented_radix_sort_implINS0_14default_configELb1EPKiPiPKlPlN2at6native12_GLOBAL__N_18offset_tEEE10hipError_tPvRmT1_PNSt15iterator_traitsISY_E10value_typeET2_T3_PNSZ_IS14_E10value_typeET4_jRbjT5_S1A_jjP12ihipStream_tbEUljE_EEESV_SW_SX_S14_S18_S1A_T6_T7_T9_mT8_S1C_bDpT10_ENKUlT_T0_E_clISt17integral_constantIbLb0EES1O_IbLb1EEEEDaS1K_S1L_EUlS1K_E_NS1_11comp_targetILNS1_3genE4ELNS1_11target_archE910ELNS1_3gpuE8ELNS1_3repE0EEENS1_30default_config_static_selectorELNS0_4arch9wavefront6targetE1EEEvSY_,"axG",@progbits,_ZN7rocprim17ROCPRIM_400000_NS6detail17trampoline_kernelINS0_13select_configILj256ELj13ELNS0_17block_load_methodE3ELS4_3ELS4_3ELNS0_20block_scan_algorithmE0ELj4294967295EEENS1_25partition_config_selectorILNS1_17partition_subalgoE3EjNS0_10empty_typeEbEEZZNS1_14partition_implILS8_3ELb0ES6_jNS0_17counting_iteratorIjlEEPS9_SE_NS0_5tupleIJPjSE_EEENSF_IJSE_SE_EEES9_SG_JZNS1_25segmented_radix_sort_implINS0_14default_configELb1EPKiPiPKlPlN2at6native12_GLOBAL__N_18offset_tEEE10hipError_tPvRmT1_PNSt15iterator_traitsISY_E10value_typeET2_T3_PNSZ_IS14_E10value_typeET4_jRbjT5_S1A_jjP12ihipStream_tbEUljE_EEESV_SW_SX_S14_S18_S1A_T6_T7_T9_mT8_S1C_bDpT10_ENKUlT_T0_E_clISt17integral_constantIbLb0EES1O_IbLb1EEEEDaS1K_S1L_EUlS1K_E_NS1_11comp_targetILNS1_3genE4ELNS1_11target_archE910ELNS1_3gpuE8ELNS1_3repE0EEENS1_30default_config_static_selectorELNS0_4arch9wavefront6targetE1EEEvSY_,comdat
.Lfunc_end491:
	.size	_ZN7rocprim17ROCPRIM_400000_NS6detail17trampoline_kernelINS0_13select_configILj256ELj13ELNS0_17block_load_methodE3ELS4_3ELS4_3ELNS0_20block_scan_algorithmE0ELj4294967295EEENS1_25partition_config_selectorILNS1_17partition_subalgoE3EjNS0_10empty_typeEbEEZZNS1_14partition_implILS8_3ELb0ES6_jNS0_17counting_iteratorIjlEEPS9_SE_NS0_5tupleIJPjSE_EEENSF_IJSE_SE_EEES9_SG_JZNS1_25segmented_radix_sort_implINS0_14default_configELb1EPKiPiPKlPlN2at6native12_GLOBAL__N_18offset_tEEE10hipError_tPvRmT1_PNSt15iterator_traitsISY_E10value_typeET2_T3_PNSZ_IS14_E10value_typeET4_jRbjT5_S1A_jjP12ihipStream_tbEUljE_EEESV_SW_SX_S14_S18_S1A_T6_T7_T9_mT8_S1C_bDpT10_ENKUlT_T0_E_clISt17integral_constantIbLb0EES1O_IbLb1EEEEDaS1K_S1L_EUlS1K_E_NS1_11comp_targetILNS1_3genE4ELNS1_11target_archE910ELNS1_3gpuE8ELNS1_3repE0EEENS1_30default_config_static_selectorELNS0_4arch9wavefront6targetE1EEEvSY_, .Lfunc_end491-_ZN7rocprim17ROCPRIM_400000_NS6detail17trampoline_kernelINS0_13select_configILj256ELj13ELNS0_17block_load_methodE3ELS4_3ELS4_3ELNS0_20block_scan_algorithmE0ELj4294967295EEENS1_25partition_config_selectorILNS1_17partition_subalgoE3EjNS0_10empty_typeEbEEZZNS1_14partition_implILS8_3ELb0ES6_jNS0_17counting_iteratorIjlEEPS9_SE_NS0_5tupleIJPjSE_EEENSF_IJSE_SE_EEES9_SG_JZNS1_25segmented_radix_sort_implINS0_14default_configELb1EPKiPiPKlPlN2at6native12_GLOBAL__N_18offset_tEEE10hipError_tPvRmT1_PNSt15iterator_traitsISY_E10value_typeET2_T3_PNSZ_IS14_E10value_typeET4_jRbjT5_S1A_jjP12ihipStream_tbEUljE_EEESV_SW_SX_S14_S18_S1A_T6_T7_T9_mT8_S1C_bDpT10_ENKUlT_T0_E_clISt17integral_constantIbLb0EES1O_IbLb1EEEEDaS1K_S1L_EUlS1K_E_NS1_11comp_targetILNS1_3genE4ELNS1_11target_archE910ELNS1_3gpuE8ELNS1_3repE0EEENS1_30default_config_static_selectorELNS0_4arch9wavefront6targetE1EEEvSY_
                                        ; -- End function
	.section	.AMDGPU.csdata,"",@progbits
; Kernel info:
; codeLenInByte = 7816
; NumSgprs: 48
; NumVgprs: 64
; NumAgprs: 0
; TotalNumVgprs: 64
; ScratchSize: 0
; MemoryBound: 0
; FloatMode: 240
; IeeeMode: 1
; LDSByteSize: 13324 bytes/workgroup (compile time only)
; SGPRBlocks: 5
; VGPRBlocks: 7
; NumSGPRsForWavesPerEU: 48
; NumVGPRsForWavesPerEU: 64
; AccumOffset: 64
; Occupancy: 4
; WaveLimiterHint : 0
; COMPUTE_PGM_RSRC2:SCRATCH_EN: 0
; COMPUTE_PGM_RSRC2:USER_SGPR: 6
; COMPUTE_PGM_RSRC2:TRAP_HANDLER: 0
; COMPUTE_PGM_RSRC2:TGID_X_EN: 1
; COMPUTE_PGM_RSRC2:TGID_Y_EN: 0
; COMPUTE_PGM_RSRC2:TGID_Z_EN: 0
; COMPUTE_PGM_RSRC2:TIDIG_COMP_CNT: 0
; COMPUTE_PGM_RSRC3_GFX90A:ACCUM_OFFSET: 15
; COMPUTE_PGM_RSRC3_GFX90A:TG_SPLIT: 0
	.section	.text._ZN7rocprim17ROCPRIM_400000_NS6detail17trampoline_kernelINS0_13select_configILj256ELj13ELNS0_17block_load_methodE3ELS4_3ELS4_3ELNS0_20block_scan_algorithmE0ELj4294967295EEENS1_25partition_config_selectorILNS1_17partition_subalgoE3EjNS0_10empty_typeEbEEZZNS1_14partition_implILS8_3ELb0ES6_jNS0_17counting_iteratorIjlEEPS9_SE_NS0_5tupleIJPjSE_EEENSF_IJSE_SE_EEES9_SG_JZNS1_25segmented_radix_sort_implINS0_14default_configELb1EPKiPiPKlPlN2at6native12_GLOBAL__N_18offset_tEEE10hipError_tPvRmT1_PNSt15iterator_traitsISY_E10value_typeET2_T3_PNSZ_IS14_E10value_typeET4_jRbjT5_S1A_jjP12ihipStream_tbEUljE_EEESV_SW_SX_S14_S18_S1A_T6_T7_T9_mT8_S1C_bDpT10_ENKUlT_T0_E_clISt17integral_constantIbLb0EES1O_IbLb1EEEEDaS1K_S1L_EUlS1K_E_NS1_11comp_targetILNS1_3genE3ELNS1_11target_archE908ELNS1_3gpuE7ELNS1_3repE0EEENS1_30default_config_static_selectorELNS0_4arch9wavefront6targetE1EEEvSY_,"axG",@progbits,_ZN7rocprim17ROCPRIM_400000_NS6detail17trampoline_kernelINS0_13select_configILj256ELj13ELNS0_17block_load_methodE3ELS4_3ELS4_3ELNS0_20block_scan_algorithmE0ELj4294967295EEENS1_25partition_config_selectorILNS1_17partition_subalgoE3EjNS0_10empty_typeEbEEZZNS1_14partition_implILS8_3ELb0ES6_jNS0_17counting_iteratorIjlEEPS9_SE_NS0_5tupleIJPjSE_EEENSF_IJSE_SE_EEES9_SG_JZNS1_25segmented_radix_sort_implINS0_14default_configELb1EPKiPiPKlPlN2at6native12_GLOBAL__N_18offset_tEEE10hipError_tPvRmT1_PNSt15iterator_traitsISY_E10value_typeET2_T3_PNSZ_IS14_E10value_typeET4_jRbjT5_S1A_jjP12ihipStream_tbEUljE_EEESV_SW_SX_S14_S18_S1A_T6_T7_T9_mT8_S1C_bDpT10_ENKUlT_T0_E_clISt17integral_constantIbLb0EES1O_IbLb1EEEEDaS1K_S1L_EUlS1K_E_NS1_11comp_targetILNS1_3genE3ELNS1_11target_archE908ELNS1_3gpuE7ELNS1_3repE0EEENS1_30default_config_static_selectorELNS0_4arch9wavefront6targetE1EEEvSY_,comdat
	.globl	_ZN7rocprim17ROCPRIM_400000_NS6detail17trampoline_kernelINS0_13select_configILj256ELj13ELNS0_17block_load_methodE3ELS4_3ELS4_3ELNS0_20block_scan_algorithmE0ELj4294967295EEENS1_25partition_config_selectorILNS1_17partition_subalgoE3EjNS0_10empty_typeEbEEZZNS1_14partition_implILS8_3ELb0ES6_jNS0_17counting_iteratorIjlEEPS9_SE_NS0_5tupleIJPjSE_EEENSF_IJSE_SE_EEES9_SG_JZNS1_25segmented_radix_sort_implINS0_14default_configELb1EPKiPiPKlPlN2at6native12_GLOBAL__N_18offset_tEEE10hipError_tPvRmT1_PNSt15iterator_traitsISY_E10value_typeET2_T3_PNSZ_IS14_E10value_typeET4_jRbjT5_S1A_jjP12ihipStream_tbEUljE_EEESV_SW_SX_S14_S18_S1A_T6_T7_T9_mT8_S1C_bDpT10_ENKUlT_T0_E_clISt17integral_constantIbLb0EES1O_IbLb1EEEEDaS1K_S1L_EUlS1K_E_NS1_11comp_targetILNS1_3genE3ELNS1_11target_archE908ELNS1_3gpuE7ELNS1_3repE0EEENS1_30default_config_static_selectorELNS0_4arch9wavefront6targetE1EEEvSY_ ; -- Begin function _ZN7rocprim17ROCPRIM_400000_NS6detail17trampoline_kernelINS0_13select_configILj256ELj13ELNS0_17block_load_methodE3ELS4_3ELS4_3ELNS0_20block_scan_algorithmE0ELj4294967295EEENS1_25partition_config_selectorILNS1_17partition_subalgoE3EjNS0_10empty_typeEbEEZZNS1_14partition_implILS8_3ELb0ES6_jNS0_17counting_iteratorIjlEEPS9_SE_NS0_5tupleIJPjSE_EEENSF_IJSE_SE_EEES9_SG_JZNS1_25segmented_radix_sort_implINS0_14default_configELb1EPKiPiPKlPlN2at6native12_GLOBAL__N_18offset_tEEE10hipError_tPvRmT1_PNSt15iterator_traitsISY_E10value_typeET2_T3_PNSZ_IS14_E10value_typeET4_jRbjT5_S1A_jjP12ihipStream_tbEUljE_EEESV_SW_SX_S14_S18_S1A_T6_T7_T9_mT8_S1C_bDpT10_ENKUlT_T0_E_clISt17integral_constantIbLb0EES1O_IbLb1EEEEDaS1K_S1L_EUlS1K_E_NS1_11comp_targetILNS1_3genE3ELNS1_11target_archE908ELNS1_3gpuE7ELNS1_3repE0EEENS1_30default_config_static_selectorELNS0_4arch9wavefront6targetE1EEEvSY_
	.p2align	8
	.type	_ZN7rocprim17ROCPRIM_400000_NS6detail17trampoline_kernelINS0_13select_configILj256ELj13ELNS0_17block_load_methodE3ELS4_3ELS4_3ELNS0_20block_scan_algorithmE0ELj4294967295EEENS1_25partition_config_selectorILNS1_17partition_subalgoE3EjNS0_10empty_typeEbEEZZNS1_14partition_implILS8_3ELb0ES6_jNS0_17counting_iteratorIjlEEPS9_SE_NS0_5tupleIJPjSE_EEENSF_IJSE_SE_EEES9_SG_JZNS1_25segmented_radix_sort_implINS0_14default_configELb1EPKiPiPKlPlN2at6native12_GLOBAL__N_18offset_tEEE10hipError_tPvRmT1_PNSt15iterator_traitsISY_E10value_typeET2_T3_PNSZ_IS14_E10value_typeET4_jRbjT5_S1A_jjP12ihipStream_tbEUljE_EEESV_SW_SX_S14_S18_S1A_T6_T7_T9_mT8_S1C_bDpT10_ENKUlT_T0_E_clISt17integral_constantIbLb0EES1O_IbLb1EEEEDaS1K_S1L_EUlS1K_E_NS1_11comp_targetILNS1_3genE3ELNS1_11target_archE908ELNS1_3gpuE7ELNS1_3repE0EEENS1_30default_config_static_selectorELNS0_4arch9wavefront6targetE1EEEvSY_,@function
_ZN7rocprim17ROCPRIM_400000_NS6detail17trampoline_kernelINS0_13select_configILj256ELj13ELNS0_17block_load_methodE3ELS4_3ELS4_3ELNS0_20block_scan_algorithmE0ELj4294967295EEENS1_25partition_config_selectorILNS1_17partition_subalgoE3EjNS0_10empty_typeEbEEZZNS1_14partition_implILS8_3ELb0ES6_jNS0_17counting_iteratorIjlEEPS9_SE_NS0_5tupleIJPjSE_EEENSF_IJSE_SE_EEES9_SG_JZNS1_25segmented_radix_sort_implINS0_14default_configELb1EPKiPiPKlPlN2at6native12_GLOBAL__N_18offset_tEEE10hipError_tPvRmT1_PNSt15iterator_traitsISY_E10value_typeET2_T3_PNSZ_IS14_E10value_typeET4_jRbjT5_S1A_jjP12ihipStream_tbEUljE_EEESV_SW_SX_S14_S18_S1A_T6_T7_T9_mT8_S1C_bDpT10_ENKUlT_T0_E_clISt17integral_constantIbLb0EES1O_IbLb1EEEEDaS1K_S1L_EUlS1K_E_NS1_11comp_targetILNS1_3genE3ELNS1_11target_archE908ELNS1_3gpuE7ELNS1_3repE0EEENS1_30default_config_static_selectorELNS0_4arch9wavefront6targetE1EEEvSY_: ; @_ZN7rocprim17ROCPRIM_400000_NS6detail17trampoline_kernelINS0_13select_configILj256ELj13ELNS0_17block_load_methodE3ELS4_3ELS4_3ELNS0_20block_scan_algorithmE0ELj4294967295EEENS1_25partition_config_selectorILNS1_17partition_subalgoE3EjNS0_10empty_typeEbEEZZNS1_14partition_implILS8_3ELb0ES6_jNS0_17counting_iteratorIjlEEPS9_SE_NS0_5tupleIJPjSE_EEENSF_IJSE_SE_EEES9_SG_JZNS1_25segmented_radix_sort_implINS0_14default_configELb1EPKiPiPKlPlN2at6native12_GLOBAL__N_18offset_tEEE10hipError_tPvRmT1_PNSt15iterator_traitsISY_E10value_typeET2_T3_PNSZ_IS14_E10value_typeET4_jRbjT5_S1A_jjP12ihipStream_tbEUljE_EEESV_SW_SX_S14_S18_S1A_T6_T7_T9_mT8_S1C_bDpT10_ENKUlT_T0_E_clISt17integral_constantIbLb0EES1O_IbLb1EEEEDaS1K_S1L_EUlS1K_E_NS1_11comp_targetILNS1_3genE3ELNS1_11target_archE908ELNS1_3gpuE7ELNS1_3repE0EEENS1_30default_config_static_selectorELNS0_4arch9wavefront6targetE1EEEvSY_
; %bb.0:
	.section	.rodata,"a",@progbits
	.p2align	6, 0x0
	.amdhsa_kernel _ZN7rocprim17ROCPRIM_400000_NS6detail17trampoline_kernelINS0_13select_configILj256ELj13ELNS0_17block_load_methodE3ELS4_3ELS4_3ELNS0_20block_scan_algorithmE0ELj4294967295EEENS1_25partition_config_selectorILNS1_17partition_subalgoE3EjNS0_10empty_typeEbEEZZNS1_14partition_implILS8_3ELb0ES6_jNS0_17counting_iteratorIjlEEPS9_SE_NS0_5tupleIJPjSE_EEENSF_IJSE_SE_EEES9_SG_JZNS1_25segmented_radix_sort_implINS0_14default_configELb1EPKiPiPKlPlN2at6native12_GLOBAL__N_18offset_tEEE10hipError_tPvRmT1_PNSt15iterator_traitsISY_E10value_typeET2_T3_PNSZ_IS14_E10value_typeET4_jRbjT5_S1A_jjP12ihipStream_tbEUljE_EEESV_SW_SX_S14_S18_S1A_T6_T7_T9_mT8_S1C_bDpT10_ENKUlT_T0_E_clISt17integral_constantIbLb0EES1O_IbLb1EEEEDaS1K_S1L_EUlS1K_E_NS1_11comp_targetILNS1_3genE3ELNS1_11target_archE908ELNS1_3gpuE7ELNS1_3repE0EEENS1_30default_config_static_selectorELNS0_4arch9wavefront6targetE1EEEvSY_
		.amdhsa_group_segment_fixed_size 0
		.amdhsa_private_segment_fixed_size 0
		.amdhsa_kernarg_size 152
		.amdhsa_user_sgpr_count 6
		.amdhsa_user_sgpr_private_segment_buffer 1
		.amdhsa_user_sgpr_dispatch_ptr 0
		.amdhsa_user_sgpr_queue_ptr 0
		.amdhsa_user_sgpr_kernarg_segment_ptr 1
		.amdhsa_user_sgpr_dispatch_id 0
		.amdhsa_user_sgpr_flat_scratch_init 0
		.amdhsa_user_sgpr_kernarg_preload_length 0
		.amdhsa_user_sgpr_kernarg_preload_offset 0
		.amdhsa_user_sgpr_private_segment_size 0
		.amdhsa_uses_dynamic_stack 0
		.amdhsa_system_sgpr_private_segment_wavefront_offset 0
		.amdhsa_system_sgpr_workgroup_id_x 1
		.amdhsa_system_sgpr_workgroup_id_y 0
		.amdhsa_system_sgpr_workgroup_id_z 0
		.amdhsa_system_sgpr_workgroup_info 0
		.amdhsa_system_vgpr_workitem_id 0
		.amdhsa_next_free_vgpr 1
		.amdhsa_next_free_sgpr 0
		.amdhsa_accum_offset 4
		.amdhsa_reserve_vcc 0
		.amdhsa_reserve_flat_scratch 0
		.amdhsa_float_round_mode_32 0
		.amdhsa_float_round_mode_16_64 0
		.amdhsa_float_denorm_mode_32 3
		.amdhsa_float_denorm_mode_16_64 3
		.amdhsa_dx10_clamp 1
		.amdhsa_ieee_mode 1
		.amdhsa_fp16_overflow 0
		.amdhsa_tg_split 0
		.amdhsa_exception_fp_ieee_invalid_op 0
		.amdhsa_exception_fp_denorm_src 0
		.amdhsa_exception_fp_ieee_div_zero 0
		.amdhsa_exception_fp_ieee_overflow 0
		.amdhsa_exception_fp_ieee_underflow 0
		.amdhsa_exception_fp_ieee_inexact 0
		.amdhsa_exception_int_div_zero 0
	.end_amdhsa_kernel
	.section	.text._ZN7rocprim17ROCPRIM_400000_NS6detail17trampoline_kernelINS0_13select_configILj256ELj13ELNS0_17block_load_methodE3ELS4_3ELS4_3ELNS0_20block_scan_algorithmE0ELj4294967295EEENS1_25partition_config_selectorILNS1_17partition_subalgoE3EjNS0_10empty_typeEbEEZZNS1_14partition_implILS8_3ELb0ES6_jNS0_17counting_iteratorIjlEEPS9_SE_NS0_5tupleIJPjSE_EEENSF_IJSE_SE_EEES9_SG_JZNS1_25segmented_radix_sort_implINS0_14default_configELb1EPKiPiPKlPlN2at6native12_GLOBAL__N_18offset_tEEE10hipError_tPvRmT1_PNSt15iterator_traitsISY_E10value_typeET2_T3_PNSZ_IS14_E10value_typeET4_jRbjT5_S1A_jjP12ihipStream_tbEUljE_EEESV_SW_SX_S14_S18_S1A_T6_T7_T9_mT8_S1C_bDpT10_ENKUlT_T0_E_clISt17integral_constantIbLb0EES1O_IbLb1EEEEDaS1K_S1L_EUlS1K_E_NS1_11comp_targetILNS1_3genE3ELNS1_11target_archE908ELNS1_3gpuE7ELNS1_3repE0EEENS1_30default_config_static_selectorELNS0_4arch9wavefront6targetE1EEEvSY_,"axG",@progbits,_ZN7rocprim17ROCPRIM_400000_NS6detail17trampoline_kernelINS0_13select_configILj256ELj13ELNS0_17block_load_methodE3ELS4_3ELS4_3ELNS0_20block_scan_algorithmE0ELj4294967295EEENS1_25partition_config_selectorILNS1_17partition_subalgoE3EjNS0_10empty_typeEbEEZZNS1_14partition_implILS8_3ELb0ES6_jNS0_17counting_iteratorIjlEEPS9_SE_NS0_5tupleIJPjSE_EEENSF_IJSE_SE_EEES9_SG_JZNS1_25segmented_radix_sort_implINS0_14default_configELb1EPKiPiPKlPlN2at6native12_GLOBAL__N_18offset_tEEE10hipError_tPvRmT1_PNSt15iterator_traitsISY_E10value_typeET2_T3_PNSZ_IS14_E10value_typeET4_jRbjT5_S1A_jjP12ihipStream_tbEUljE_EEESV_SW_SX_S14_S18_S1A_T6_T7_T9_mT8_S1C_bDpT10_ENKUlT_T0_E_clISt17integral_constantIbLb0EES1O_IbLb1EEEEDaS1K_S1L_EUlS1K_E_NS1_11comp_targetILNS1_3genE3ELNS1_11target_archE908ELNS1_3gpuE7ELNS1_3repE0EEENS1_30default_config_static_selectorELNS0_4arch9wavefront6targetE1EEEvSY_,comdat
.Lfunc_end492:
	.size	_ZN7rocprim17ROCPRIM_400000_NS6detail17trampoline_kernelINS0_13select_configILj256ELj13ELNS0_17block_load_methodE3ELS4_3ELS4_3ELNS0_20block_scan_algorithmE0ELj4294967295EEENS1_25partition_config_selectorILNS1_17partition_subalgoE3EjNS0_10empty_typeEbEEZZNS1_14partition_implILS8_3ELb0ES6_jNS0_17counting_iteratorIjlEEPS9_SE_NS0_5tupleIJPjSE_EEENSF_IJSE_SE_EEES9_SG_JZNS1_25segmented_radix_sort_implINS0_14default_configELb1EPKiPiPKlPlN2at6native12_GLOBAL__N_18offset_tEEE10hipError_tPvRmT1_PNSt15iterator_traitsISY_E10value_typeET2_T3_PNSZ_IS14_E10value_typeET4_jRbjT5_S1A_jjP12ihipStream_tbEUljE_EEESV_SW_SX_S14_S18_S1A_T6_T7_T9_mT8_S1C_bDpT10_ENKUlT_T0_E_clISt17integral_constantIbLb0EES1O_IbLb1EEEEDaS1K_S1L_EUlS1K_E_NS1_11comp_targetILNS1_3genE3ELNS1_11target_archE908ELNS1_3gpuE7ELNS1_3repE0EEENS1_30default_config_static_selectorELNS0_4arch9wavefront6targetE1EEEvSY_, .Lfunc_end492-_ZN7rocprim17ROCPRIM_400000_NS6detail17trampoline_kernelINS0_13select_configILj256ELj13ELNS0_17block_load_methodE3ELS4_3ELS4_3ELNS0_20block_scan_algorithmE0ELj4294967295EEENS1_25partition_config_selectorILNS1_17partition_subalgoE3EjNS0_10empty_typeEbEEZZNS1_14partition_implILS8_3ELb0ES6_jNS0_17counting_iteratorIjlEEPS9_SE_NS0_5tupleIJPjSE_EEENSF_IJSE_SE_EEES9_SG_JZNS1_25segmented_radix_sort_implINS0_14default_configELb1EPKiPiPKlPlN2at6native12_GLOBAL__N_18offset_tEEE10hipError_tPvRmT1_PNSt15iterator_traitsISY_E10value_typeET2_T3_PNSZ_IS14_E10value_typeET4_jRbjT5_S1A_jjP12ihipStream_tbEUljE_EEESV_SW_SX_S14_S18_S1A_T6_T7_T9_mT8_S1C_bDpT10_ENKUlT_T0_E_clISt17integral_constantIbLb0EES1O_IbLb1EEEEDaS1K_S1L_EUlS1K_E_NS1_11comp_targetILNS1_3genE3ELNS1_11target_archE908ELNS1_3gpuE7ELNS1_3repE0EEENS1_30default_config_static_selectorELNS0_4arch9wavefront6targetE1EEEvSY_
                                        ; -- End function
	.section	.AMDGPU.csdata,"",@progbits
; Kernel info:
; codeLenInByte = 0
; NumSgprs: 4
; NumVgprs: 0
; NumAgprs: 0
; TotalNumVgprs: 0
; ScratchSize: 0
; MemoryBound: 0
; FloatMode: 240
; IeeeMode: 1
; LDSByteSize: 0 bytes/workgroup (compile time only)
; SGPRBlocks: 0
; VGPRBlocks: 0
; NumSGPRsForWavesPerEU: 4
; NumVGPRsForWavesPerEU: 1
; AccumOffset: 4
; Occupancy: 8
; WaveLimiterHint : 0
; COMPUTE_PGM_RSRC2:SCRATCH_EN: 0
; COMPUTE_PGM_RSRC2:USER_SGPR: 6
; COMPUTE_PGM_RSRC2:TRAP_HANDLER: 0
; COMPUTE_PGM_RSRC2:TGID_X_EN: 1
; COMPUTE_PGM_RSRC2:TGID_Y_EN: 0
; COMPUTE_PGM_RSRC2:TGID_Z_EN: 0
; COMPUTE_PGM_RSRC2:TIDIG_COMP_CNT: 0
; COMPUTE_PGM_RSRC3_GFX90A:ACCUM_OFFSET: 0
; COMPUTE_PGM_RSRC3_GFX90A:TG_SPLIT: 0
	.section	.text._ZN7rocprim17ROCPRIM_400000_NS6detail17trampoline_kernelINS0_13select_configILj256ELj13ELNS0_17block_load_methodE3ELS4_3ELS4_3ELNS0_20block_scan_algorithmE0ELj4294967295EEENS1_25partition_config_selectorILNS1_17partition_subalgoE3EjNS0_10empty_typeEbEEZZNS1_14partition_implILS8_3ELb0ES6_jNS0_17counting_iteratorIjlEEPS9_SE_NS0_5tupleIJPjSE_EEENSF_IJSE_SE_EEES9_SG_JZNS1_25segmented_radix_sort_implINS0_14default_configELb1EPKiPiPKlPlN2at6native12_GLOBAL__N_18offset_tEEE10hipError_tPvRmT1_PNSt15iterator_traitsISY_E10value_typeET2_T3_PNSZ_IS14_E10value_typeET4_jRbjT5_S1A_jjP12ihipStream_tbEUljE_EEESV_SW_SX_S14_S18_S1A_T6_T7_T9_mT8_S1C_bDpT10_ENKUlT_T0_E_clISt17integral_constantIbLb0EES1O_IbLb1EEEEDaS1K_S1L_EUlS1K_E_NS1_11comp_targetILNS1_3genE2ELNS1_11target_archE906ELNS1_3gpuE6ELNS1_3repE0EEENS1_30default_config_static_selectorELNS0_4arch9wavefront6targetE1EEEvSY_,"axG",@progbits,_ZN7rocprim17ROCPRIM_400000_NS6detail17trampoline_kernelINS0_13select_configILj256ELj13ELNS0_17block_load_methodE3ELS4_3ELS4_3ELNS0_20block_scan_algorithmE0ELj4294967295EEENS1_25partition_config_selectorILNS1_17partition_subalgoE3EjNS0_10empty_typeEbEEZZNS1_14partition_implILS8_3ELb0ES6_jNS0_17counting_iteratorIjlEEPS9_SE_NS0_5tupleIJPjSE_EEENSF_IJSE_SE_EEES9_SG_JZNS1_25segmented_radix_sort_implINS0_14default_configELb1EPKiPiPKlPlN2at6native12_GLOBAL__N_18offset_tEEE10hipError_tPvRmT1_PNSt15iterator_traitsISY_E10value_typeET2_T3_PNSZ_IS14_E10value_typeET4_jRbjT5_S1A_jjP12ihipStream_tbEUljE_EEESV_SW_SX_S14_S18_S1A_T6_T7_T9_mT8_S1C_bDpT10_ENKUlT_T0_E_clISt17integral_constantIbLb0EES1O_IbLb1EEEEDaS1K_S1L_EUlS1K_E_NS1_11comp_targetILNS1_3genE2ELNS1_11target_archE906ELNS1_3gpuE6ELNS1_3repE0EEENS1_30default_config_static_selectorELNS0_4arch9wavefront6targetE1EEEvSY_,comdat
	.globl	_ZN7rocprim17ROCPRIM_400000_NS6detail17trampoline_kernelINS0_13select_configILj256ELj13ELNS0_17block_load_methodE3ELS4_3ELS4_3ELNS0_20block_scan_algorithmE0ELj4294967295EEENS1_25partition_config_selectorILNS1_17partition_subalgoE3EjNS0_10empty_typeEbEEZZNS1_14partition_implILS8_3ELb0ES6_jNS0_17counting_iteratorIjlEEPS9_SE_NS0_5tupleIJPjSE_EEENSF_IJSE_SE_EEES9_SG_JZNS1_25segmented_radix_sort_implINS0_14default_configELb1EPKiPiPKlPlN2at6native12_GLOBAL__N_18offset_tEEE10hipError_tPvRmT1_PNSt15iterator_traitsISY_E10value_typeET2_T3_PNSZ_IS14_E10value_typeET4_jRbjT5_S1A_jjP12ihipStream_tbEUljE_EEESV_SW_SX_S14_S18_S1A_T6_T7_T9_mT8_S1C_bDpT10_ENKUlT_T0_E_clISt17integral_constantIbLb0EES1O_IbLb1EEEEDaS1K_S1L_EUlS1K_E_NS1_11comp_targetILNS1_3genE2ELNS1_11target_archE906ELNS1_3gpuE6ELNS1_3repE0EEENS1_30default_config_static_selectorELNS0_4arch9wavefront6targetE1EEEvSY_ ; -- Begin function _ZN7rocprim17ROCPRIM_400000_NS6detail17trampoline_kernelINS0_13select_configILj256ELj13ELNS0_17block_load_methodE3ELS4_3ELS4_3ELNS0_20block_scan_algorithmE0ELj4294967295EEENS1_25partition_config_selectorILNS1_17partition_subalgoE3EjNS0_10empty_typeEbEEZZNS1_14partition_implILS8_3ELb0ES6_jNS0_17counting_iteratorIjlEEPS9_SE_NS0_5tupleIJPjSE_EEENSF_IJSE_SE_EEES9_SG_JZNS1_25segmented_radix_sort_implINS0_14default_configELb1EPKiPiPKlPlN2at6native12_GLOBAL__N_18offset_tEEE10hipError_tPvRmT1_PNSt15iterator_traitsISY_E10value_typeET2_T3_PNSZ_IS14_E10value_typeET4_jRbjT5_S1A_jjP12ihipStream_tbEUljE_EEESV_SW_SX_S14_S18_S1A_T6_T7_T9_mT8_S1C_bDpT10_ENKUlT_T0_E_clISt17integral_constantIbLb0EES1O_IbLb1EEEEDaS1K_S1L_EUlS1K_E_NS1_11comp_targetILNS1_3genE2ELNS1_11target_archE906ELNS1_3gpuE6ELNS1_3repE0EEENS1_30default_config_static_selectorELNS0_4arch9wavefront6targetE1EEEvSY_
	.p2align	8
	.type	_ZN7rocprim17ROCPRIM_400000_NS6detail17trampoline_kernelINS0_13select_configILj256ELj13ELNS0_17block_load_methodE3ELS4_3ELS4_3ELNS0_20block_scan_algorithmE0ELj4294967295EEENS1_25partition_config_selectorILNS1_17partition_subalgoE3EjNS0_10empty_typeEbEEZZNS1_14partition_implILS8_3ELb0ES6_jNS0_17counting_iteratorIjlEEPS9_SE_NS0_5tupleIJPjSE_EEENSF_IJSE_SE_EEES9_SG_JZNS1_25segmented_radix_sort_implINS0_14default_configELb1EPKiPiPKlPlN2at6native12_GLOBAL__N_18offset_tEEE10hipError_tPvRmT1_PNSt15iterator_traitsISY_E10value_typeET2_T3_PNSZ_IS14_E10value_typeET4_jRbjT5_S1A_jjP12ihipStream_tbEUljE_EEESV_SW_SX_S14_S18_S1A_T6_T7_T9_mT8_S1C_bDpT10_ENKUlT_T0_E_clISt17integral_constantIbLb0EES1O_IbLb1EEEEDaS1K_S1L_EUlS1K_E_NS1_11comp_targetILNS1_3genE2ELNS1_11target_archE906ELNS1_3gpuE6ELNS1_3repE0EEENS1_30default_config_static_selectorELNS0_4arch9wavefront6targetE1EEEvSY_,@function
_ZN7rocprim17ROCPRIM_400000_NS6detail17trampoline_kernelINS0_13select_configILj256ELj13ELNS0_17block_load_methodE3ELS4_3ELS4_3ELNS0_20block_scan_algorithmE0ELj4294967295EEENS1_25partition_config_selectorILNS1_17partition_subalgoE3EjNS0_10empty_typeEbEEZZNS1_14partition_implILS8_3ELb0ES6_jNS0_17counting_iteratorIjlEEPS9_SE_NS0_5tupleIJPjSE_EEENSF_IJSE_SE_EEES9_SG_JZNS1_25segmented_radix_sort_implINS0_14default_configELb1EPKiPiPKlPlN2at6native12_GLOBAL__N_18offset_tEEE10hipError_tPvRmT1_PNSt15iterator_traitsISY_E10value_typeET2_T3_PNSZ_IS14_E10value_typeET4_jRbjT5_S1A_jjP12ihipStream_tbEUljE_EEESV_SW_SX_S14_S18_S1A_T6_T7_T9_mT8_S1C_bDpT10_ENKUlT_T0_E_clISt17integral_constantIbLb0EES1O_IbLb1EEEEDaS1K_S1L_EUlS1K_E_NS1_11comp_targetILNS1_3genE2ELNS1_11target_archE906ELNS1_3gpuE6ELNS1_3repE0EEENS1_30default_config_static_selectorELNS0_4arch9wavefront6targetE1EEEvSY_: ; @_ZN7rocprim17ROCPRIM_400000_NS6detail17trampoline_kernelINS0_13select_configILj256ELj13ELNS0_17block_load_methodE3ELS4_3ELS4_3ELNS0_20block_scan_algorithmE0ELj4294967295EEENS1_25partition_config_selectorILNS1_17partition_subalgoE3EjNS0_10empty_typeEbEEZZNS1_14partition_implILS8_3ELb0ES6_jNS0_17counting_iteratorIjlEEPS9_SE_NS0_5tupleIJPjSE_EEENSF_IJSE_SE_EEES9_SG_JZNS1_25segmented_radix_sort_implINS0_14default_configELb1EPKiPiPKlPlN2at6native12_GLOBAL__N_18offset_tEEE10hipError_tPvRmT1_PNSt15iterator_traitsISY_E10value_typeET2_T3_PNSZ_IS14_E10value_typeET4_jRbjT5_S1A_jjP12ihipStream_tbEUljE_EEESV_SW_SX_S14_S18_S1A_T6_T7_T9_mT8_S1C_bDpT10_ENKUlT_T0_E_clISt17integral_constantIbLb0EES1O_IbLb1EEEEDaS1K_S1L_EUlS1K_E_NS1_11comp_targetILNS1_3genE2ELNS1_11target_archE906ELNS1_3gpuE6ELNS1_3repE0EEENS1_30default_config_static_selectorELNS0_4arch9wavefront6targetE1EEEvSY_
; %bb.0:
	.section	.rodata,"a",@progbits
	.p2align	6, 0x0
	.amdhsa_kernel _ZN7rocprim17ROCPRIM_400000_NS6detail17trampoline_kernelINS0_13select_configILj256ELj13ELNS0_17block_load_methodE3ELS4_3ELS4_3ELNS0_20block_scan_algorithmE0ELj4294967295EEENS1_25partition_config_selectorILNS1_17partition_subalgoE3EjNS0_10empty_typeEbEEZZNS1_14partition_implILS8_3ELb0ES6_jNS0_17counting_iteratorIjlEEPS9_SE_NS0_5tupleIJPjSE_EEENSF_IJSE_SE_EEES9_SG_JZNS1_25segmented_radix_sort_implINS0_14default_configELb1EPKiPiPKlPlN2at6native12_GLOBAL__N_18offset_tEEE10hipError_tPvRmT1_PNSt15iterator_traitsISY_E10value_typeET2_T3_PNSZ_IS14_E10value_typeET4_jRbjT5_S1A_jjP12ihipStream_tbEUljE_EEESV_SW_SX_S14_S18_S1A_T6_T7_T9_mT8_S1C_bDpT10_ENKUlT_T0_E_clISt17integral_constantIbLb0EES1O_IbLb1EEEEDaS1K_S1L_EUlS1K_E_NS1_11comp_targetILNS1_3genE2ELNS1_11target_archE906ELNS1_3gpuE6ELNS1_3repE0EEENS1_30default_config_static_selectorELNS0_4arch9wavefront6targetE1EEEvSY_
		.amdhsa_group_segment_fixed_size 0
		.amdhsa_private_segment_fixed_size 0
		.amdhsa_kernarg_size 152
		.amdhsa_user_sgpr_count 6
		.amdhsa_user_sgpr_private_segment_buffer 1
		.amdhsa_user_sgpr_dispatch_ptr 0
		.amdhsa_user_sgpr_queue_ptr 0
		.amdhsa_user_sgpr_kernarg_segment_ptr 1
		.amdhsa_user_sgpr_dispatch_id 0
		.amdhsa_user_sgpr_flat_scratch_init 0
		.amdhsa_user_sgpr_kernarg_preload_length 0
		.amdhsa_user_sgpr_kernarg_preload_offset 0
		.amdhsa_user_sgpr_private_segment_size 0
		.amdhsa_uses_dynamic_stack 0
		.amdhsa_system_sgpr_private_segment_wavefront_offset 0
		.amdhsa_system_sgpr_workgroup_id_x 1
		.amdhsa_system_sgpr_workgroup_id_y 0
		.amdhsa_system_sgpr_workgroup_id_z 0
		.amdhsa_system_sgpr_workgroup_info 0
		.amdhsa_system_vgpr_workitem_id 0
		.amdhsa_next_free_vgpr 1
		.amdhsa_next_free_sgpr 0
		.amdhsa_accum_offset 4
		.amdhsa_reserve_vcc 0
		.amdhsa_reserve_flat_scratch 0
		.amdhsa_float_round_mode_32 0
		.amdhsa_float_round_mode_16_64 0
		.amdhsa_float_denorm_mode_32 3
		.amdhsa_float_denorm_mode_16_64 3
		.amdhsa_dx10_clamp 1
		.amdhsa_ieee_mode 1
		.amdhsa_fp16_overflow 0
		.amdhsa_tg_split 0
		.amdhsa_exception_fp_ieee_invalid_op 0
		.amdhsa_exception_fp_denorm_src 0
		.amdhsa_exception_fp_ieee_div_zero 0
		.amdhsa_exception_fp_ieee_overflow 0
		.amdhsa_exception_fp_ieee_underflow 0
		.amdhsa_exception_fp_ieee_inexact 0
		.amdhsa_exception_int_div_zero 0
	.end_amdhsa_kernel
	.section	.text._ZN7rocprim17ROCPRIM_400000_NS6detail17trampoline_kernelINS0_13select_configILj256ELj13ELNS0_17block_load_methodE3ELS4_3ELS4_3ELNS0_20block_scan_algorithmE0ELj4294967295EEENS1_25partition_config_selectorILNS1_17partition_subalgoE3EjNS0_10empty_typeEbEEZZNS1_14partition_implILS8_3ELb0ES6_jNS0_17counting_iteratorIjlEEPS9_SE_NS0_5tupleIJPjSE_EEENSF_IJSE_SE_EEES9_SG_JZNS1_25segmented_radix_sort_implINS0_14default_configELb1EPKiPiPKlPlN2at6native12_GLOBAL__N_18offset_tEEE10hipError_tPvRmT1_PNSt15iterator_traitsISY_E10value_typeET2_T3_PNSZ_IS14_E10value_typeET4_jRbjT5_S1A_jjP12ihipStream_tbEUljE_EEESV_SW_SX_S14_S18_S1A_T6_T7_T9_mT8_S1C_bDpT10_ENKUlT_T0_E_clISt17integral_constantIbLb0EES1O_IbLb1EEEEDaS1K_S1L_EUlS1K_E_NS1_11comp_targetILNS1_3genE2ELNS1_11target_archE906ELNS1_3gpuE6ELNS1_3repE0EEENS1_30default_config_static_selectorELNS0_4arch9wavefront6targetE1EEEvSY_,"axG",@progbits,_ZN7rocprim17ROCPRIM_400000_NS6detail17trampoline_kernelINS0_13select_configILj256ELj13ELNS0_17block_load_methodE3ELS4_3ELS4_3ELNS0_20block_scan_algorithmE0ELj4294967295EEENS1_25partition_config_selectorILNS1_17partition_subalgoE3EjNS0_10empty_typeEbEEZZNS1_14partition_implILS8_3ELb0ES6_jNS0_17counting_iteratorIjlEEPS9_SE_NS0_5tupleIJPjSE_EEENSF_IJSE_SE_EEES9_SG_JZNS1_25segmented_radix_sort_implINS0_14default_configELb1EPKiPiPKlPlN2at6native12_GLOBAL__N_18offset_tEEE10hipError_tPvRmT1_PNSt15iterator_traitsISY_E10value_typeET2_T3_PNSZ_IS14_E10value_typeET4_jRbjT5_S1A_jjP12ihipStream_tbEUljE_EEESV_SW_SX_S14_S18_S1A_T6_T7_T9_mT8_S1C_bDpT10_ENKUlT_T0_E_clISt17integral_constantIbLb0EES1O_IbLb1EEEEDaS1K_S1L_EUlS1K_E_NS1_11comp_targetILNS1_3genE2ELNS1_11target_archE906ELNS1_3gpuE6ELNS1_3repE0EEENS1_30default_config_static_selectorELNS0_4arch9wavefront6targetE1EEEvSY_,comdat
.Lfunc_end493:
	.size	_ZN7rocprim17ROCPRIM_400000_NS6detail17trampoline_kernelINS0_13select_configILj256ELj13ELNS0_17block_load_methodE3ELS4_3ELS4_3ELNS0_20block_scan_algorithmE0ELj4294967295EEENS1_25partition_config_selectorILNS1_17partition_subalgoE3EjNS0_10empty_typeEbEEZZNS1_14partition_implILS8_3ELb0ES6_jNS0_17counting_iteratorIjlEEPS9_SE_NS0_5tupleIJPjSE_EEENSF_IJSE_SE_EEES9_SG_JZNS1_25segmented_radix_sort_implINS0_14default_configELb1EPKiPiPKlPlN2at6native12_GLOBAL__N_18offset_tEEE10hipError_tPvRmT1_PNSt15iterator_traitsISY_E10value_typeET2_T3_PNSZ_IS14_E10value_typeET4_jRbjT5_S1A_jjP12ihipStream_tbEUljE_EEESV_SW_SX_S14_S18_S1A_T6_T7_T9_mT8_S1C_bDpT10_ENKUlT_T0_E_clISt17integral_constantIbLb0EES1O_IbLb1EEEEDaS1K_S1L_EUlS1K_E_NS1_11comp_targetILNS1_3genE2ELNS1_11target_archE906ELNS1_3gpuE6ELNS1_3repE0EEENS1_30default_config_static_selectorELNS0_4arch9wavefront6targetE1EEEvSY_, .Lfunc_end493-_ZN7rocprim17ROCPRIM_400000_NS6detail17trampoline_kernelINS0_13select_configILj256ELj13ELNS0_17block_load_methodE3ELS4_3ELS4_3ELNS0_20block_scan_algorithmE0ELj4294967295EEENS1_25partition_config_selectorILNS1_17partition_subalgoE3EjNS0_10empty_typeEbEEZZNS1_14partition_implILS8_3ELb0ES6_jNS0_17counting_iteratorIjlEEPS9_SE_NS0_5tupleIJPjSE_EEENSF_IJSE_SE_EEES9_SG_JZNS1_25segmented_radix_sort_implINS0_14default_configELb1EPKiPiPKlPlN2at6native12_GLOBAL__N_18offset_tEEE10hipError_tPvRmT1_PNSt15iterator_traitsISY_E10value_typeET2_T3_PNSZ_IS14_E10value_typeET4_jRbjT5_S1A_jjP12ihipStream_tbEUljE_EEESV_SW_SX_S14_S18_S1A_T6_T7_T9_mT8_S1C_bDpT10_ENKUlT_T0_E_clISt17integral_constantIbLb0EES1O_IbLb1EEEEDaS1K_S1L_EUlS1K_E_NS1_11comp_targetILNS1_3genE2ELNS1_11target_archE906ELNS1_3gpuE6ELNS1_3repE0EEENS1_30default_config_static_selectorELNS0_4arch9wavefront6targetE1EEEvSY_
                                        ; -- End function
	.section	.AMDGPU.csdata,"",@progbits
; Kernel info:
; codeLenInByte = 0
; NumSgprs: 4
; NumVgprs: 0
; NumAgprs: 0
; TotalNumVgprs: 0
; ScratchSize: 0
; MemoryBound: 0
; FloatMode: 240
; IeeeMode: 1
; LDSByteSize: 0 bytes/workgroup (compile time only)
; SGPRBlocks: 0
; VGPRBlocks: 0
; NumSGPRsForWavesPerEU: 4
; NumVGPRsForWavesPerEU: 1
; AccumOffset: 4
; Occupancy: 8
; WaveLimiterHint : 0
; COMPUTE_PGM_RSRC2:SCRATCH_EN: 0
; COMPUTE_PGM_RSRC2:USER_SGPR: 6
; COMPUTE_PGM_RSRC2:TRAP_HANDLER: 0
; COMPUTE_PGM_RSRC2:TGID_X_EN: 1
; COMPUTE_PGM_RSRC2:TGID_Y_EN: 0
; COMPUTE_PGM_RSRC2:TGID_Z_EN: 0
; COMPUTE_PGM_RSRC2:TIDIG_COMP_CNT: 0
; COMPUTE_PGM_RSRC3_GFX90A:ACCUM_OFFSET: 0
; COMPUTE_PGM_RSRC3_GFX90A:TG_SPLIT: 0
	.section	.text._ZN7rocprim17ROCPRIM_400000_NS6detail17trampoline_kernelINS0_13select_configILj256ELj13ELNS0_17block_load_methodE3ELS4_3ELS4_3ELNS0_20block_scan_algorithmE0ELj4294967295EEENS1_25partition_config_selectorILNS1_17partition_subalgoE3EjNS0_10empty_typeEbEEZZNS1_14partition_implILS8_3ELb0ES6_jNS0_17counting_iteratorIjlEEPS9_SE_NS0_5tupleIJPjSE_EEENSF_IJSE_SE_EEES9_SG_JZNS1_25segmented_radix_sort_implINS0_14default_configELb1EPKiPiPKlPlN2at6native12_GLOBAL__N_18offset_tEEE10hipError_tPvRmT1_PNSt15iterator_traitsISY_E10value_typeET2_T3_PNSZ_IS14_E10value_typeET4_jRbjT5_S1A_jjP12ihipStream_tbEUljE_EEESV_SW_SX_S14_S18_S1A_T6_T7_T9_mT8_S1C_bDpT10_ENKUlT_T0_E_clISt17integral_constantIbLb0EES1O_IbLb1EEEEDaS1K_S1L_EUlS1K_E_NS1_11comp_targetILNS1_3genE10ELNS1_11target_archE1200ELNS1_3gpuE4ELNS1_3repE0EEENS1_30default_config_static_selectorELNS0_4arch9wavefront6targetE1EEEvSY_,"axG",@progbits,_ZN7rocprim17ROCPRIM_400000_NS6detail17trampoline_kernelINS0_13select_configILj256ELj13ELNS0_17block_load_methodE3ELS4_3ELS4_3ELNS0_20block_scan_algorithmE0ELj4294967295EEENS1_25partition_config_selectorILNS1_17partition_subalgoE3EjNS0_10empty_typeEbEEZZNS1_14partition_implILS8_3ELb0ES6_jNS0_17counting_iteratorIjlEEPS9_SE_NS0_5tupleIJPjSE_EEENSF_IJSE_SE_EEES9_SG_JZNS1_25segmented_radix_sort_implINS0_14default_configELb1EPKiPiPKlPlN2at6native12_GLOBAL__N_18offset_tEEE10hipError_tPvRmT1_PNSt15iterator_traitsISY_E10value_typeET2_T3_PNSZ_IS14_E10value_typeET4_jRbjT5_S1A_jjP12ihipStream_tbEUljE_EEESV_SW_SX_S14_S18_S1A_T6_T7_T9_mT8_S1C_bDpT10_ENKUlT_T0_E_clISt17integral_constantIbLb0EES1O_IbLb1EEEEDaS1K_S1L_EUlS1K_E_NS1_11comp_targetILNS1_3genE10ELNS1_11target_archE1200ELNS1_3gpuE4ELNS1_3repE0EEENS1_30default_config_static_selectorELNS0_4arch9wavefront6targetE1EEEvSY_,comdat
	.globl	_ZN7rocprim17ROCPRIM_400000_NS6detail17trampoline_kernelINS0_13select_configILj256ELj13ELNS0_17block_load_methodE3ELS4_3ELS4_3ELNS0_20block_scan_algorithmE0ELj4294967295EEENS1_25partition_config_selectorILNS1_17partition_subalgoE3EjNS0_10empty_typeEbEEZZNS1_14partition_implILS8_3ELb0ES6_jNS0_17counting_iteratorIjlEEPS9_SE_NS0_5tupleIJPjSE_EEENSF_IJSE_SE_EEES9_SG_JZNS1_25segmented_radix_sort_implINS0_14default_configELb1EPKiPiPKlPlN2at6native12_GLOBAL__N_18offset_tEEE10hipError_tPvRmT1_PNSt15iterator_traitsISY_E10value_typeET2_T3_PNSZ_IS14_E10value_typeET4_jRbjT5_S1A_jjP12ihipStream_tbEUljE_EEESV_SW_SX_S14_S18_S1A_T6_T7_T9_mT8_S1C_bDpT10_ENKUlT_T0_E_clISt17integral_constantIbLb0EES1O_IbLb1EEEEDaS1K_S1L_EUlS1K_E_NS1_11comp_targetILNS1_3genE10ELNS1_11target_archE1200ELNS1_3gpuE4ELNS1_3repE0EEENS1_30default_config_static_selectorELNS0_4arch9wavefront6targetE1EEEvSY_ ; -- Begin function _ZN7rocprim17ROCPRIM_400000_NS6detail17trampoline_kernelINS0_13select_configILj256ELj13ELNS0_17block_load_methodE3ELS4_3ELS4_3ELNS0_20block_scan_algorithmE0ELj4294967295EEENS1_25partition_config_selectorILNS1_17partition_subalgoE3EjNS0_10empty_typeEbEEZZNS1_14partition_implILS8_3ELb0ES6_jNS0_17counting_iteratorIjlEEPS9_SE_NS0_5tupleIJPjSE_EEENSF_IJSE_SE_EEES9_SG_JZNS1_25segmented_radix_sort_implINS0_14default_configELb1EPKiPiPKlPlN2at6native12_GLOBAL__N_18offset_tEEE10hipError_tPvRmT1_PNSt15iterator_traitsISY_E10value_typeET2_T3_PNSZ_IS14_E10value_typeET4_jRbjT5_S1A_jjP12ihipStream_tbEUljE_EEESV_SW_SX_S14_S18_S1A_T6_T7_T9_mT8_S1C_bDpT10_ENKUlT_T0_E_clISt17integral_constantIbLb0EES1O_IbLb1EEEEDaS1K_S1L_EUlS1K_E_NS1_11comp_targetILNS1_3genE10ELNS1_11target_archE1200ELNS1_3gpuE4ELNS1_3repE0EEENS1_30default_config_static_selectorELNS0_4arch9wavefront6targetE1EEEvSY_
	.p2align	8
	.type	_ZN7rocprim17ROCPRIM_400000_NS6detail17trampoline_kernelINS0_13select_configILj256ELj13ELNS0_17block_load_methodE3ELS4_3ELS4_3ELNS0_20block_scan_algorithmE0ELj4294967295EEENS1_25partition_config_selectorILNS1_17partition_subalgoE3EjNS0_10empty_typeEbEEZZNS1_14partition_implILS8_3ELb0ES6_jNS0_17counting_iteratorIjlEEPS9_SE_NS0_5tupleIJPjSE_EEENSF_IJSE_SE_EEES9_SG_JZNS1_25segmented_radix_sort_implINS0_14default_configELb1EPKiPiPKlPlN2at6native12_GLOBAL__N_18offset_tEEE10hipError_tPvRmT1_PNSt15iterator_traitsISY_E10value_typeET2_T3_PNSZ_IS14_E10value_typeET4_jRbjT5_S1A_jjP12ihipStream_tbEUljE_EEESV_SW_SX_S14_S18_S1A_T6_T7_T9_mT8_S1C_bDpT10_ENKUlT_T0_E_clISt17integral_constantIbLb0EES1O_IbLb1EEEEDaS1K_S1L_EUlS1K_E_NS1_11comp_targetILNS1_3genE10ELNS1_11target_archE1200ELNS1_3gpuE4ELNS1_3repE0EEENS1_30default_config_static_selectorELNS0_4arch9wavefront6targetE1EEEvSY_,@function
_ZN7rocprim17ROCPRIM_400000_NS6detail17trampoline_kernelINS0_13select_configILj256ELj13ELNS0_17block_load_methodE3ELS4_3ELS4_3ELNS0_20block_scan_algorithmE0ELj4294967295EEENS1_25partition_config_selectorILNS1_17partition_subalgoE3EjNS0_10empty_typeEbEEZZNS1_14partition_implILS8_3ELb0ES6_jNS0_17counting_iteratorIjlEEPS9_SE_NS0_5tupleIJPjSE_EEENSF_IJSE_SE_EEES9_SG_JZNS1_25segmented_radix_sort_implINS0_14default_configELb1EPKiPiPKlPlN2at6native12_GLOBAL__N_18offset_tEEE10hipError_tPvRmT1_PNSt15iterator_traitsISY_E10value_typeET2_T3_PNSZ_IS14_E10value_typeET4_jRbjT5_S1A_jjP12ihipStream_tbEUljE_EEESV_SW_SX_S14_S18_S1A_T6_T7_T9_mT8_S1C_bDpT10_ENKUlT_T0_E_clISt17integral_constantIbLb0EES1O_IbLb1EEEEDaS1K_S1L_EUlS1K_E_NS1_11comp_targetILNS1_3genE10ELNS1_11target_archE1200ELNS1_3gpuE4ELNS1_3repE0EEENS1_30default_config_static_selectorELNS0_4arch9wavefront6targetE1EEEvSY_: ; @_ZN7rocprim17ROCPRIM_400000_NS6detail17trampoline_kernelINS0_13select_configILj256ELj13ELNS0_17block_load_methodE3ELS4_3ELS4_3ELNS0_20block_scan_algorithmE0ELj4294967295EEENS1_25partition_config_selectorILNS1_17partition_subalgoE3EjNS0_10empty_typeEbEEZZNS1_14partition_implILS8_3ELb0ES6_jNS0_17counting_iteratorIjlEEPS9_SE_NS0_5tupleIJPjSE_EEENSF_IJSE_SE_EEES9_SG_JZNS1_25segmented_radix_sort_implINS0_14default_configELb1EPKiPiPKlPlN2at6native12_GLOBAL__N_18offset_tEEE10hipError_tPvRmT1_PNSt15iterator_traitsISY_E10value_typeET2_T3_PNSZ_IS14_E10value_typeET4_jRbjT5_S1A_jjP12ihipStream_tbEUljE_EEESV_SW_SX_S14_S18_S1A_T6_T7_T9_mT8_S1C_bDpT10_ENKUlT_T0_E_clISt17integral_constantIbLb0EES1O_IbLb1EEEEDaS1K_S1L_EUlS1K_E_NS1_11comp_targetILNS1_3genE10ELNS1_11target_archE1200ELNS1_3gpuE4ELNS1_3repE0EEENS1_30default_config_static_selectorELNS0_4arch9wavefront6targetE1EEEvSY_
; %bb.0:
	.section	.rodata,"a",@progbits
	.p2align	6, 0x0
	.amdhsa_kernel _ZN7rocprim17ROCPRIM_400000_NS6detail17trampoline_kernelINS0_13select_configILj256ELj13ELNS0_17block_load_methodE3ELS4_3ELS4_3ELNS0_20block_scan_algorithmE0ELj4294967295EEENS1_25partition_config_selectorILNS1_17partition_subalgoE3EjNS0_10empty_typeEbEEZZNS1_14partition_implILS8_3ELb0ES6_jNS0_17counting_iteratorIjlEEPS9_SE_NS0_5tupleIJPjSE_EEENSF_IJSE_SE_EEES9_SG_JZNS1_25segmented_radix_sort_implINS0_14default_configELb1EPKiPiPKlPlN2at6native12_GLOBAL__N_18offset_tEEE10hipError_tPvRmT1_PNSt15iterator_traitsISY_E10value_typeET2_T3_PNSZ_IS14_E10value_typeET4_jRbjT5_S1A_jjP12ihipStream_tbEUljE_EEESV_SW_SX_S14_S18_S1A_T6_T7_T9_mT8_S1C_bDpT10_ENKUlT_T0_E_clISt17integral_constantIbLb0EES1O_IbLb1EEEEDaS1K_S1L_EUlS1K_E_NS1_11comp_targetILNS1_3genE10ELNS1_11target_archE1200ELNS1_3gpuE4ELNS1_3repE0EEENS1_30default_config_static_selectorELNS0_4arch9wavefront6targetE1EEEvSY_
		.amdhsa_group_segment_fixed_size 0
		.amdhsa_private_segment_fixed_size 0
		.amdhsa_kernarg_size 152
		.amdhsa_user_sgpr_count 6
		.amdhsa_user_sgpr_private_segment_buffer 1
		.amdhsa_user_sgpr_dispatch_ptr 0
		.amdhsa_user_sgpr_queue_ptr 0
		.amdhsa_user_sgpr_kernarg_segment_ptr 1
		.amdhsa_user_sgpr_dispatch_id 0
		.amdhsa_user_sgpr_flat_scratch_init 0
		.amdhsa_user_sgpr_kernarg_preload_length 0
		.amdhsa_user_sgpr_kernarg_preload_offset 0
		.amdhsa_user_sgpr_private_segment_size 0
		.amdhsa_uses_dynamic_stack 0
		.amdhsa_system_sgpr_private_segment_wavefront_offset 0
		.amdhsa_system_sgpr_workgroup_id_x 1
		.amdhsa_system_sgpr_workgroup_id_y 0
		.amdhsa_system_sgpr_workgroup_id_z 0
		.amdhsa_system_sgpr_workgroup_info 0
		.amdhsa_system_vgpr_workitem_id 0
		.amdhsa_next_free_vgpr 1
		.amdhsa_next_free_sgpr 0
		.amdhsa_accum_offset 4
		.amdhsa_reserve_vcc 0
		.amdhsa_reserve_flat_scratch 0
		.amdhsa_float_round_mode_32 0
		.amdhsa_float_round_mode_16_64 0
		.amdhsa_float_denorm_mode_32 3
		.amdhsa_float_denorm_mode_16_64 3
		.amdhsa_dx10_clamp 1
		.amdhsa_ieee_mode 1
		.amdhsa_fp16_overflow 0
		.amdhsa_tg_split 0
		.amdhsa_exception_fp_ieee_invalid_op 0
		.amdhsa_exception_fp_denorm_src 0
		.amdhsa_exception_fp_ieee_div_zero 0
		.amdhsa_exception_fp_ieee_overflow 0
		.amdhsa_exception_fp_ieee_underflow 0
		.amdhsa_exception_fp_ieee_inexact 0
		.amdhsa_exception_int_div_zero 0
	.end_amdhsa_kernel
	.section	.text._ZN7rocprim17ROCPRIM_400000_NS6detail17trampoline_kernelINS0_13select_configILj256ELj13ELNS0_17block_load_methodE3ELS4_3ELS4_3ELNS0_20block_scan_algorithmE0ELj4294967295EEENS1_25partition_config_selectorILNS1_17partition_subalgoE3EjNS0_10empty_typeEbEEZZNS1_14partition_implILS8_3ELb0ES6_jNS0_17counting_iteratorIjlEEPS9_SE_NS0_5tupleIJPjSE_EEENSF_IJSE_SE_EEES9_SG_JZNS1_25segmented_radix_sort_implINS0_14default_configELb1EPKiPiPKlPlN2at6native12_GLOBAL__N_18offset_tEEE10hipError_tPvRmT1_PNSt15iterator_traitsISY_E10value_typeET2_T3_PNSZ_IS14_E10value_typeET4_jRbjT5_S1A_jjP12ihipStream_tbEUljE_EEESV_SW_SX_S14_S18_S1A_T6_T7_T9_mT8_S1C_bDpT10_ENKUlT_T0_E_clISt17integral_constantIbLb0EES1O_IbLb1EEEEDaS1K_S1L_EUlS1K_E_NS1_11comp_targetILNS1_3genE10ELNS1_11target_archE1200ELNS1_3gpuE4ELNS1_3repE0EEENS1_30default_config_static_selectorELNS0_4arch9wavefront6targetE1EEEvSY_,"axG",@progbits,_ZN7rocprim17ROCPRIM_400000_NS6detail17trampoline_kernelINS0_13select_configILj256ELj13ELNS0_17block_load_methodE3ELS4_3ELS4_3ELNS0_20block_scan_algorithmE0ELj4294967295EEENS1_25partition_config_selectorILNS1_17partition_subalgoE3EjNS0_10empty_typeEbEEZZNS1_14partition_implILS8_3ELb0ES6_jNS0_17counting_iteratorIjlEEPS9_SE_NS0_5tupleIJPjSE_EEENSF_IJSE_SE_EEES9_SG_JZNS1_25segmented_radix_sort_implINS0_14default_configELb1EPKiPiPKlPlN2at6native12_GLOBAL__N_18offset_tEEE10hipError_tPvRmT1_PNSt15iterator_traitsISY_E10value_typeET2_T3_PNSZ_IS14_E10value_typeET4_jRbjT5_S1A_jjP12ihipStream_tbEUljE_EEESV_SW_SX_S14_S18_S1A_T6_T7_T9_mT8_S1C_bDpT10_ENKUlT_T0_E_clISt17integral_constantIbLb0EES1O_IbLb1EEEEDaS1K_S1L_EUlS1K_E_NS1_11comp_targetILNS1_3genE10ELNS1_11target_archE1200ELNS1_3gpuE4ELNS1_3repE0EEENS1_30default_config_static_selectorELNS0_4arch9wavefront6targetE1EEEvSY_,comdat
.Lfunc_end494:
	.size	_ZN7rocprim17ROCPRIM_400000_NS6detail17trampoline_kernelINS0_13select_configILj256ELj13ELNS0_17block_load_methodE3ELS4_3ELS4_3ELNS0_20block_scan_algorithmE0ELj4294967295EEENS1_25partition_config_selectorILNS1_17partition_subalgoE3EjNS0_10empty_typeEbEEZZNS1_14partition_implILS8_3ELb0ES6_jNS0_17counting_iteratorIjlEEPS9_SE_NS0_5tupleIJPjSE_EEENSF_IJSE_SE_EEES9_SG_JZNS1_25segmented_radix_sort_implINS0_14default_configELb1EPKiPiPKlPlN2at6native12_GLOBAL__N_18offset_tEEE10hipError_tPvRmT1_PNSt15iterator_traitsISY_E10value_typeET2_T3_PNSZ_IS14_E10value_typeET4_jRbjT5_S1A_jjP12ihipStream_tbEUljE_EEESV_SW_SX_S14_S18_S1A_T6_T7_T9_mT8_S1C_bDpT10_ENKUlT_T0_E_clISt17integral_constantIbLb0EES1O_IbLb1EEEEDaS1K_S1L_EUlS1K_E_NS1_11comp_targetILNS1_3genE10ELNS1_11target_archE1200ELNS1_3gpuE4ELNS1_3repE0EEENS1_30default_config_static_selectorELNS0_4arch9wavefront6targetE1EEEvSY_, .Lfunc_end494-_ZN7rocprim17ROCPRIM_400000_NS6detail17trampoline_kernelINS0_13select_configILj256ELj13ELNS0_17block_load_methodE3ELS4_3ELS4_3ELNS0_20block_scan_algorithmE0ELj4294967295EEENS1_25partition_config_selectorILNS1_17partition_subalgoE3EjNS0_10empty_typeEbEEZZNS1_14partition_implILS8_3ELb0ES6_jNS0_17counting_iteratorIjlEEPS9_SE_NS0_5tupleIJPjSE_EEENSF_IJSE_SE_EEES9_SG_JZNS1_25segmented_radix_sort_implINS0_14default_configELb1EPKiPiPKlPlN2at6native12_GLOBAL__N_18offset_tEEE10hipError_tPvRmT1_PNSt15iterator_traitsISY_E10value_typeET2_T3_PNSZ_IS14_E10value_typeET4_jRbjT5_S1A_jjP12ihipStream_tbEUljE_EEESV_SW_SX_S14_S18_S1A_T6_T7_T9_mT8_S1C_bDpT10_ENKUlT_T0_E_clISt17integral_constantIbLb0EES1O_IbLb1EEEEDaS1K_S1L_EUlS1K_E_NS1_11comp_targetILNS1_3genE10ELNS1_11target_archE1200ELNS1_3gpuE4ELNS1_3repE0EEENS1_30default_config_static_selectorELNS0_4arch9wavefront6targetE1EEEvSY_
                                        ; -- End function
	.section	.AMDGPU.csdata,"",@progbits
; Kernel info:
; codeLenInByte = 0
; NumSgprs: 4
; NumVgprs: 0
; NumAgprs: 0
; TotalNumVgprs: 0
; ScratchSize: 0
; MemoryBound: 0
; FloatMode: 240
; IeeeMode: 1
; LDSByteSize: 0 bytes/workgroup (compile time only)
; SGPRBlocks: 0
; VGPRBlocks: 0
; NumSGPRsForWavesPerEU: 4
; NumVGPRsForWavesPerEU: 1
; AccumOffset: 4
; Occupancy: 8
; WaveLimiterHint : 0
; COMPUTE_PGM_RSRC2:SCRATCH_EN: 0
; COMPUTE_PGM_RSRC2:USER_SGPR: 6
; COMPUTE_PGM_RSRC2:TRAP_HANDLER: 0
; COMPUTE_PGM_RSRC2:TGID_X_EN: 1
; COMPUTE_PGM_RSRC2:TGID_Y_EN: 0
; COMPUTE_PGM_RSRC2:TGID_Z_EN: 0
; COMPUTE_PGM_RSRC2:TIDIG_COMP_CNT: 0
; COMPUTE_PGM_RSRC3_GFX90A:ACCUM_OFFSET: 0
; COMPUTE_PGM_RSRC3_GFX90A:TG_SPLIT: 0
	.section	.text._ZN7rocprim17ROCPRIM_400000_NS6detail17trampoline_kernelINS0_13select_configILj256ELj13ELNS0_17block_load_methodE3ELS4_3ELS4_3ELNS0_20block_scan_algorithmE0ELj4294967295EEENS1_25partition_config_selectorILNS1_17partition_subalgoE3EjNS0_10empty_typeEbEEZZNS1_14partition_implILS8_3ELb0ES6_jNS0_17counting_iteratorIjlEEPS9_SE_NS0_5tupleIJPjSE_EEENSF_IJSE_SE_EEES9_SG_JZNS1_25segmented_radix_sort_implINS0_14default_configELb1EPKiPiPKlPlN2at6native12_GLOBAL__N_18offset_tEEE10hipError_tPvRmT1_PNSt15iterator_traitsISY_E10value_typeET2_T3_PNSZ_IS14_E10value_typeET4_jRbjT5_S1A_jjP12ihipStream_tbEUljE_EEESV_SW_SX_S14_S18_S1A_T6_T7_T9_mT8_S1C_bDpT10_ENKUlT_T0_E_clISt17integral_constantIbLb0EES1O_IbLb1EEEEDaS1K_S1L_EUlS1K_E_NS1_11comp_targetILNS1_3genE9ELNS1_11target_archE1100ELNS1_3gpuE3ELNS1_3repE0EEENS1_30default_config_static_selectorELNS0_4arch9wavefront6targetE1EEEvSY_,"axG",@progbits,_ZN7rocprim17ROCPRIM_400000_NS6detail17trampoline_kernelINS0_13select_configILj256ELj13ELNS0_17block_load_methodE3ELS4_3ELS4_3ELNS0_20block_scan_algorithmE0ELj4294967295EEENS1_25partition_config_selectorILNS1_17partition_subalgoE3EjNS0_10empty_typeEbEEZZNS1_14partition_implILS8_3ELb0ES6_jNS0_17counting_iteratorIjlEEPS9_SE_NS0_5tupleIJPjSE_EEENSF_IJSE_SE_EEES9_SG_JZNS1_25segmented_radix_sort_implINS0_14default_configELb1EPKiPiPKlPlN2at6native12_GLOBAL__N_18offset_tEEE10hipError_tPvRmT1_PNSt15iterator_traitsISY_E10value_typeET2_T3_PNSZ_IS14_E10value_typeET4_jRbjT5_S1A_jjP12ihipStream_tbEUljE_EEESV_SW_SX_S14_S18_S1A_T6_T7_T9_mT8_S1C_bDpT10_ENKUlT_T0_E_clISt17integral_constantIbLb0EES1O_IbLb1EEEEDaS1K_S1L_EUlS1K_E_NS1_11comp_targetILNS1_3genE9ELNS1_11target_archE1100ELNS1_3gpuE3ELNS1_3repE0EEENS1_30default_config_static_selectorELNS0_4arch9wavefront6targetE1EEEvSY_,comdat
	.globl	_ZN7rocprim17ROCPRIM_400000_NS6detail17trampoline_kernelINS0_13select_configILj256ELj13ELNS0_17block_load_methodE3ELS4_3ELS4_3ELNS0_20block_scan_algorithmE0ELj4294967295EEENS1_25partition_config_selectorILNS1_17partition_subalgoE3EjNS0_10empty_typeEbEEZZNS1_14partition_implILS8_3ELb0ES6_jNS0_17counting_iteratorIjlEEPS9_SE_NS0_5tupleIJPjSE_EEENSF_IJSE_SE_EEES9_SG_JZNS1_25segmented_radix_sort_implINS0_14default_configELb1EPKiPiPKlPlN2at6native12_GLOBAL__N_18offset_tEEE10hipError_tPvRmT1_PNSt15iterator_traitsISY_E10value_typeET2_T3_PNSZ_IS14_E10value_typeET4_jRbjT5_S1A_jjP12ihipStream_tbEUljE_EEESV_SW_SX_S14_S18_S1A_T6_T7_T9_mT8_S1C_bDpT10_ENKUlT_T0_E_clISt17integral_constantIbLb0EES1O_IbLb1EEEEDaS1K_S1L_EUlS1K_E_NS1_11comp_targetILNS1_3genE9ELNS1_11target_archE1100ELNS1_3gpuE3ELNS1_3repE0EEENS1_30default_config_static_selectorELNS0_4arch9wavefront6targetE1EEEvSY_ ; -- Begin function _ZN7rocprim17ROCPRIM_400000_NS6detail17trampoline_kernelINS0_13select_configILj256ELj13ELNS0_17block_load_methodE3ELS4_3ELS4_3ELNS0_20block_scan_algorithmE0ELj4294967295EEENS1_25partition_config_selectorILNS1_17partition_subalgoE3EjNS0_10empty_typeEbEEZZNS1_14partition_implILS8_3ELb0ES6_jNS0_17counting_iteratorIjlEEPS9_SE_NS0_5tupleIJPjSE_EEENSF_IJSE_SE_EEES9_SG_JZNS1_25segmented_radix_sort_implINS0_14default_configELb1EPKiPiPKlPlN2at6native12_GLOBAL__N_18offset_tEEE10hipError_tPvRmT1_PNSt15iterator_traitsISY_E10value_typeET2_T3_PNSZ_IS14_E10value_typeET4_jRbjT5_S1A_jjP12ihipStream_tbEUljE_EEESV_SW_SX_S14_S18_S1A_T6_T7_T9_mT8_S1C_bDpT10_ENKUlT_T0_E_clISt17integral_constantIbLb0EES1O_IbLb1EEEEDaS1K_S1L_EUlS1K_E_NS1_11comp_targetILNS1_3genE9ELNS1_11target_archE1100ELNS1_3gpuE3ELNS1_3repE0EEENS1_30default_config_static_selectorELNS0_4arch9wavefront6targetE1EEEvSY_
	.p2align	8
	.type	_ZN7rocprim17ROCPRIM_400000_NS6detail17trampoline_kernelINS0_13select_configILj256ELj13ELNS0_17block_load_methodE3ELS4_3ELS4_3ELNS0_20block_scan_algorithmE0ELj4294967295EEENS1_25partition_config_selectorILNS1_17partition_subalgoE3EjNS0_10empty_typeEbEEZZNS1_14partition_implILS8_3ELb0ES6_jNS0_17counting_iteratorIjlEEPS9_SE_NS0_5tupleIJPjSE_EEENSF_IJSE_SE_EEES9_SG_JZNS1_25segmented_radix_sort_implINS0_14default_configELb1EPKiPiPKlPlN2at6native12_GLOBAL__N_18offset_tEEE10hipError_tPvRmT1_PNSt15iterator_traitsISY_E10value_typeET2_T3_PNSZ_IS14_E10value_typeET4_jRbjT5_S1A_jjP12ihipStream_tbEUljE_EEESV_SW_SX_S14_S18_S1A_T6_T7_T9_mT8_S1C_bDpT10_ENKUlT_T0_E_clISt17integral_constantIbLb0EES1O_IbLb1EEEEDaS1K_S1L_EUlS1K_E_NS1_11comp_targetILNS1_3genE9ELNS1_11target_archE1100ELNS1_3gpuE3ELNS1_3repE0EEENS1_30default_config_static_selectorELNS0_4arch9wavefront6targetE1EEEvSY_,@function
_ZN7rocprim17ROCPRIM_400000_NS6detail17trampoline_kernelINS0_13select_configILj256ELj13ELNS0_17block_load_methodE3ELS4_3ELS4_3ELNS0_20block_scan_algorithmE0ELj4294967295EEENS1_25partition_config_selectorILNS1_17partition_subalgoE3EjNS0_10empty_typeEbEEZZNS1_14partition_implILS8_3ELb0ES6_jNS0_17counting_iteratorIjlEEPS9_SE_NS0_5tupleIJPjSE_EEENSF_IJSE_SE_EEES9_SG_JZNS1_25segmented_radix_sort_implINS0_14default_configELb1EPKiPiPKlPlN2at6native12_GLOBAL__N_18offset_tEEE10hipError_tPvRmT1_PNSt15iterator_traitsISY_E10value_typeET2_T3_PNSZ_IS14_E10value_typeET4_jRbjT5_S1A_jjP12ihipStream_tbEUljE_EEESV_SW_SX_S14_S18_S1A_T6_T7_T9_mT8_S1C_bDpT10_ENKUlT_T0_E_clISt17integral_constantIbLb0EES1O_IbLb1EEEEDaS1K_S1L_EUlS1K_E_NS1_11comp_targetILNS1_3genE9ELNS1_11target_archE1100ELNS1_3gpuE3ELNS1_3repE0EEENS1_30default_config_static_selectorELNS0_4arch9wavefront6targetE1EEEvSY_: ; @_ZN7rocprim17ROCPRIM_400000_NS6detail17trampoline_kernelINS0_13select_configILj256ELj13ELNS0_17block_load_methodE3ELS4_3ELS4_3ELNS0_20block_scan_algorithmE0ELj4294967295EEENS1_25partition_config_selectorILNS1_17partition_subalgoE3EjNS0_10empty_typeEbEEZZNS1_14partition_implILS8_3ELb0ES6_jNS0_17counting_iteratorIjlEEPS9_SE_NS0_5tupleIJPjSE_EEENSF_IJSE_SE_EEES9_SG_JZNS1_25segmented_radix_sort_implINS0_14default_configELb1EPKiPiPKlPlN2at6native12_GLOBAL__N_18offset_tEEE10hipError_tPvRmT1_PNSt15iterator_traitsISY_E10value_typeET2_T3_PNSZ_IS14_E10value_typeET4_jRbjT5_S1A_jjP12ihipStream_tbEUljE_EEESV_SW_SX_S14_S18_S1A_T6_T7_T9_mT8_S1C_bDpT10_ENKUlT_T0_E_clISt17integral_constantIbLb0EES1O_IbLb1EEEEDaS1K_S1L_EUlS1K_E_NS1_11comp_targetILNS1_3genE9ELNS1_11target_archE1100ELNS1_3gpuE3ELNS1_3repE0EEENS1_30default_config_static_selectorELNS0_4arch9wavefront6targetE1EEEvSY_
; %bb.0:
	.section	.rodata,"a",@progbits
	.p2align	6, 0x0
	.amdhsa_kernel _ZN7rocprim17ROCPRIM_400000_NS6detail17trampoline_kernelINS0_13select_configILj256ELj13ELNS0_17block_load_methodE3ELS4_3ELS4_3ELNS0_20block_scan_algorithmE0ELj4294967295EEENS1_25partition_config_selectorILNS1_17partition_subalgoE3EjNS0_10empty_typeEbEEZZNS1_14partition_implILS8_3ELb0ES6_jNS0_17counting_iteratorIjlEEPS9_SE_NS0_5tupleIJPjSE_EEENSF_IJSE_SE_EEES9_SG_JZNS1_25segmented_radix_sort_implINS0_14default_configELb1EPKiPiPKlPlN2at6native12_GLOBAL__N_18offset_tEEE10hipError_tPvRmT1_PNSt15iterator_traitsISY_E10value_typeET2_T3_PNSZ_IS14_E10value_typeET4_jRbjT5_S1A_jjP12ihipStream_tbEUljE_EEESV_SW_SX_S14_S18_S1A_T6_T7_T9_mT8_S1C_bDpT10_ENKUlT_T0_E_clISt17integral_constantIbLb0EES1O_IbLb1EEEEDaS1K_S1L_EUlS1K_E_NS1_11comp_targetILNS1_3genE9ELNS1_11target_archE1100ELNS1_3gpuE3ELNS1_3repE0EEENS1_30default_config_static_selectorELNS0_4arch9wavefront6targetE1EEEvSY_
		.amdhsa_group_segment_fixed_size 0
		.amdhsa_private_segment_fixed_size 0
		.amdhsa_kernarg_size 152
		.amdhsa_user_sgpr_count 6
		.amdhsa_user_sgpr_private_segment_buffer 1
		.amdhsa_user_sgpr_dispatch_ptr 0
		.amdhsa_user_sgpr_queue_ptr 0
		.amdhsa_user_sgpr_kernarg_segment_ptr 1
		.amdhsa_user_sgpr_dispatch_id 0
		.amdhsa_user_sgpr_flat_scratch_init 0
		.amdhsa_user_sgpr_kernarg_preload_length 0
		.amdhsa_user_sgpr_kernarg_preload_offset 0
		.amdhsa_user_sgpr_private_segment_size 0
		.amdhsa_uses_dynamic_stack 0
		.amdhsa_system_sgpr_private_segment_wavefront_offset 0
		.amdhsa_system_sgpr_workgroup_id_x 1
		.amdhsa_system_sgpr_workgroup_id_y 0
		.amdhsa_system_sgpr_workgroup_id_z 0
		.amdhsa_system_sgpr_workgroup_info 0
		.amdhsa_system_vgpr_workitem_id 0
		.amdhsa_next_free_vgpr 1
		.amdhsa_next_free_sgpr 0
		.amdhsa_accum_offset 4
		.amdhsa_reserve_vcc 0
		.amdhsa_reserve_flat_scratch 0
		.amdhsa_float_round_mode_32 0
		.amdhsa_float_round_mode_16_64 0
		.amdhsa_float_denorm_mode_32 3
		.amdhsa_float_denorm_mode_16_64 3
		.amdhsa_dx10_clamp 1
		.amdhsa_ieee_mode 1
		.amdhsa_fp16_overflow 0
		.amdhsa_tg_split 0
		.amdhsa_exception_fp_ieee_invalid_op 0
		.amdhsa_exception_fp_denorm_src 0
		.amdhsa_exception_fp_ieee_div_zero 0
		.amdhsa_exception_fp_ieee_overflow 0
		.amdhsa_exception_fp_ieee_underflow 0
		.amdhsa_exception_fp_ieee_inexact 0
		.amdhsa_exception_int_div_zero 0
	.end_amdhsa_kernel
	.section	.text._ZN7rocprim17ROCPRIM_400000_NS6detail17trampoline_kernelINS0_13select_configILj256ELj13ELNS0_17block_load_methodE3ELS4_3ELS4_3ELNS0_20block_scan_algorithmE0ELj4294967295EEENS1_25partition_config_selectorILNS1_17partition_subalgoE3EjNS0_10empty_typeEbEEZZNS1_14partition_implILS8_3ELb0ES6_jNS0_17counting_iteratorIjlEEPS9_SE_NS0_5tupleIJPjSE_EEENSF_IJSE_SE_EEES9_SG_JZNS1_25segmented_radix_sort_implINS0_14default_configELb1EPKiPiPKlPlN2at6native12_GLOBAL__N_18offset_tEEE10hipError_tPvRmT1_PNSt15iterator_traitsISY_E10value_typeET2_T3_PNSZ_IS14_E10value_typeET4_jRbjT5_S1A_jjP12ihipStream_tbEUljE_EEESV_SW_SX_S14_S18_S1A_T6_T7_T9_mT8_S1C_bDpT10_ENKUlT_T0_E_clISt17integral_constantIbLb0EES1O_IbLb1EEEEDaS1K_S1L_EUlS1K_E_NS1_11comp_targetILNS1_3genE9ELNS1_11target_archE1100ELNS1_3gpuE3ELNS1_3repE0EEENS1_30default_config_static_selectorELNS0_4arch9wavefront6targetE1EEEvSY_,"axG",@progbits,_ZN7rocprim17ROCPRIM_400000_NS6detail17trampoline_kernelINS0_13select_configILj256ELj13ELNS0_17block_load_methodE3ELS4_3ELS4_3ELNS0_20block_scan_algorithmE0ELj4294967295EEENS1_25partition_config_selectorILNS1_17partition_subalgoE3EjNS0_10empty_typeEbEEZZNS1_14partition_implILS8_3ELb0ES6_jNS0_17counting_iteratorIjlEEPS9_SE_NS0_5tupleIJPjSE_EEENSF_IJSE_SE_EEES9_SG_JZNS1_25segmented_radix_sort_implINS0_14default_configELb1EPKiPiPKlPlN2at6native12_GLOBAL__N_18offset_tEEE10hipError_tPvRmT1_PNSt15iterator_traitsISY_E10value_typeET2_T3_PNSZ_IS14_E10value_typeET4_jRbjT5_S1A_jjP12ihipStream_tbEUljE_EEESV_SW_SX_S14_S18_S1A_T6_T7_T9_mT8_S1C_bDpT10_ENKUlT_T0_E_clISt17integral_constantIbLb0EES1O_IbLb1EEEEDaS1K_S1L_EUlS1K_E_NS1_11comp_targetILNS1_3genE9ELNS1_11target_archE1100ELNS1_3gpuE3ELNS1_3repE0EEENS1_30default_config_static_selectorELNS0_4arch9wavefront6targetE1EEEvSY_,comdat
.Lfunc_end495:
	.size	_ZN7rocprim17ROCPRIM_400000_NS6detail17trampoline_kernelINS0_13select_configILj256ELj13ELNS0_17block_load_methodE3ELS4_3ELS4_3ELNS0_20block_scan_algorithmE0ELj4294967295EEENS1_25partition_config_selectorILNS1_17partition_subalgoE3EjNS0_10empty_typeEbEEZZNS1_14partition_implILS8_3ELb0ES6_jNS0_17counting_iteratorIjlEEPS9_SE_NS0_5tupleIJPjSE_EEENSF_IJSE_SE_EEES9_SG_JZNS1_25segmented_radix_sort_implINS0_14default_configELb1EPKiPiPKlPlN2at6native12_GLOBAL__N_18offset_tEEE10hipError_tPvRmT1_PNSt15iterator_traitsISY_E10value_typeET2_T3_PNSZ_IS14_E10value_typeET4_jRbjT5_S1A_jjP12ihipStream_tbEUljE_EEESV_SW_SX_S14_S18_S1A_T6_T7_T9_mT8_S1C_bDpT10_ENKUlT_T0_E_clISt17integral_constantIbLb0EES1O_IbLb1EEEEDaS1K_S1L_EUlS1K_E_NS1_11comp_targetILNS1_3genE9ELNS1_11target_archE1100ELNS1_3gpuE3ELNS1_3repE0EEENS1_30default_config_static_selectorELNS0_4arch9wavefront6targetE1EEEvSY_, .Lfunc_end495-_ZN7rocprim17ROCPRIM_400000_NS6detail17trampoline_kernelINS0_13select_configILj256ELj13ELNS0_17block_load_methodE3ELS4_3ELS4_3ELNS0_20block_scan_algorithmE0ELj4294967295EEENS1_25partition_config_selectorILNS1_17partition_subalgoE3EjNS0_10empty_typeEbEEZZNS1_14partition_implILS8_3ELb0ES6_jNS0_17counting_iteratorIjlEEPS9_SE_NS0_5tupleIJPjSE_EEENSF_IJSE_SE_EEES9_SG_JZNS1_25segmented_radix_sort_implINS0_14default_configELb1EPKiPiPKlPlN2at6native12_GLOBAL__N_18offset_tEEE10hipError_tPvRmT1_PNSt15iterator_traitsISY_E10value_typeET2_T3_PNSZ_IS14_E10value_typeET4_jRbjT5_S1A_jjP12ihipStream_tbEUljE_EEESV_SW_SX_S14_S18_S1A_T6_T7_T9_mT8_S1C_bDpT10_ENKUlT_T0_E_clISt17integral_constantIbLb0EES1O_IbLb1EEEEDaS1K_S1L_EUlS1K_E_NS1_11comp_targetILNS1_3genE9ELNS1_11target_archE1100ELNS1_3gpuE3ELNS1_3repE0EEENS1_30default_config_static_selectorELNS0_4arch9wavefront6targetE1EEEvSY_
                                        ; -- End function
	.section	.AMDGPU.csdata,"",@progbits
; Kernel info:
; codeLenInByte = 0
; NumSgprs: 4
; NumVgprs: 0
; NumAgprs: 0
; TotalNumVgprs: 0
; ScratchSize: 0
; MemoryBound: 0
; FloatMode: 240
; IeeeMode: 1
; LDSByteSize: 0 bytes/workgroup (compile time only)
; SGPRBlocks: 0
; VGPRBlocks: 0
; NumSGPRsForWavesPerEU: 4
; NumVGPRsForWavesPerEU: 1
; AccumOffset: 4
; Occupancy: 8
; WaveLimiterHint : 0
; COMPUTE_PGM_RSRC2:SCRATCH_EN: 0
; COMPUTE_PGM_RSRC2:USER_SGPR: 6
; COMPUTE_PGM_RSRC2:TRAP_HANDLER: 0
; COMPUTE_PGM_RSRC2:TGID_X_EN: 1
; COMPUTE_PGM_RSRC2:TGID_Y_EN: 0
; COMPUTE_PGM_RSRC2:TGID_Z_EN: 0
; COMPUTE_PGM_RSRC2:TIDIG_COMP_CNT: 0
; COMPUTE_PGM_RSRC3_GFX90A:ACCUM_OFFSET: 0
; COMPUTE_PGM_RSRC3_GFX90A:TG_SPLIT: 0
	.section	.text._ZN7rocprim17ROCPRIM_400000_NS6detail17trampoline_kernelINS0_13select_configILj256ELj13ELNS0_17block_load_methodE3ELS4_3ELS4_3ELNS0_20block_scan_algorithmE0ELj4294967295EEENS1_25partition_config_selectorILNS1_17partition_subalgoE3EjNS0_10empty_typeEbEEZZNS1_14partition_implILS8_3ELb0ES6_jNS0_17counting_iteratorIjlEEPS9_SE_NS0_5tupleIJPjSE_EEENSF_IJSE_SE_EEES9_SG_JZNS1_25segmented_radix_sort_implINS0_14default_configELb1EPKiPiPKlPlN2at6native12_GLOBAL__N_18offset_tEEE10hipError_tPvRmT1_PNSt15iterator_traitsISY_E10value_typeET2_T3_PNSZ_IS14_E10value_typeET4_jRbjT5_S1A_jjP12ihipStream_tbEUljE_EEESV_SW_SX_S14_S18_S1A_T6_T7_T9_mT8_S1C_bDpT10_ENKUlT_T0_E_clISt17integral_constantIbLb0EES1O_IbLb1EEEEDaS1K_S1L_EUlS1K_E_NS1_11comp_targetILNS1_3genE8ELNS1_11target_archE1030ELNS1_3gpuE2ELNS1_3repE0EEENS1_30default_config_static_selectorELNS0_4arch9wavefront6targetE1EEEvSY_,"axG",@progbits,_ZN7rocprim17ROCPRIM_400000_NS6detail17trampoline_kernelINS0_13select_configILj256ELj13ELNS0_17block_load_methodE3ELS4_3ELS4_3ELNS0_20block_scan_algorithmE0ELj4294967295EEENS1_25partition_config_selectorILNS1_17partition_subalgoE3EjNS0_10empty_typeEbEEZZNS1_14partition_implILS8_3ELb0ES6_jNS0_17counting_iteratorIjlEEPS9_SE_NS0_5tupleIJPjSE_EEENSF_IJSE_SE_EEES9_SG_JZNS1_25segmented_radix_sort_implINS0_14default_configELb1EPKiPiPKlPlN2at6native12_GLOBAL__N_18offset_tEEE10hipError_tPvRmT1_PNSt15iterator_traitsISY_E10value_typeET2_T3_PNSZ_IS14_E10value_typeET4_jRbjT5_S1A_jjP12ihipStream_tbEUljE_EEESV_SW_SX_S14_S18_S1A_T6_T7_T9_mT8_S1C_bDpT10_ENKUlT_T0_E_clISt17integral_constantIbLb0EES1O_IbLb1EEEEDaS1K_S1L_EUlS1K_E_NS1_11comp_targetILNS1_3genE8ELNS1_11target_archE1030ELNS1_3gpuE2ELNS1_3repE0EEENS1_30default_config_static_selectorELNS0_4arch9wavefront6targetE1EEEvSY_,comdat
	.globl	_ZN7rocprim17ROCPRIM_400000_NS6detail17trampoline_kernelINS0_13select_configILj256ELj13ELNS0_17block_load_methodE3ELS4_3ELS4_3ELNS0_20block_scan_algorithmE0ELj4294967295EEENS1_25partition_config_selectorILNS1_17partition_subalgoE3EjNS0_10empty_typeEbEEZZNS1_14partition_implILS8_3ELb0ES6_jNS0_17counting_iteratorIjlEEPS9_SE_NS0_5tupleIJPjSE_EEENSF_IJSE_SE_EEES9_SG_JZNS1_25segmented_radix_sort_implINS0_14default_configELb1EPKiPiPKlPlN2at6native12_GLOBAL__N_18offset_tEEE10hipError_tPvRmT1_PNSt15iterator_traitsISY_E10value_typeET2_T3_PNSZ_IS14_E10value_typeET4_jRbjT5_S1A_jjP12ihipStream_tbEUljE_EEESV_SW_SX_S14_S18_S1A_T6_T7_T9_mT8_S1C_bDpT10_ENKUlT_T0_E_clISt17integral_constantIbLb0EES1O_IbLb1EEEEDaS1K_S1L_EUlS1K_E_NS1_11comp_targetILNS1_3genE8ELNS1_11target_archE1030ELNS1_3gpuE2ELNS1_3repE0EEENS1_30default_config_static_selectorELNS0_4arch9wavefront6targetE1EEEvSY_ ; -- Begin function _ZN7rocprim17ROCPRIM_400000_NS6detail17trampoline_kernelINS0_13select_configILj256ELj13ELNS0_17block_load_methodE3ELS4_3ELS4_3ELNS0_20block_scan_algorithmE0ELj4294967295EEENS1_25partition_config_selectorILNS1_17partition_subalgoE3EjNS0_10empty_typeEbEEZZNS1_14partition_implILS8_3ELb0ES6_jNS0_17counting_iteratorIjlEEPS9_SE_NS0_5tupleIJPjSE_EEENSF_IJSE_SE_EEES9_SG_JZNS1_25segmented_radix_sort_implINS0_14default_configELb1EPKiPiPKlPlN2at6native12_GLOBAL__N_18offset_tEEE10hipError_tPvRmT1_PNSt15iterator_traitsISY_E10value_typeET2_T3_PNSZ_IS14_E10value_typeET4_jRbjT5_S1A_jjP12ihipStream_tbEUljE_EEESV_SW_SX_S14_S18_S1A_T6_T7_T9_mT8_S1C_bDpT10_ENKUlT_T0_E_clISt17integral_constantIbLb0EES1O_IbLb1EEEEDaS1K_S1L_EUlS1K_E_NS1_11comp_targetILNS1_3genE8ELNS1_11target_archE1030ELNS1_3gpuE2ELNS1_3repE0EEENS1_30default_config_static_selectorELNS0_4arch9wavefront6targetE1EEEvSY_
	.p2align	8
	.type	_ZN7rocprim17ROCPRIM_400000_NS6detail17trampoline_kernelINS0_13select_configILj256ELj13ELNS0_17block_load_methodE3ELS4_3ELS4_3ELNS0_20block_scan_algorithmE0ELj4294967295EEENS1_25partition_config_selectorILNS1_17partition_subalgoE3EjNS0_10empty_typeEbEEZZNS1_14partition_implILS8_3ELb0ES6_jNS0_17counting_iteratorIjlEEPS9_SE_NS0_5tupleIJPjSE_EEENSF_IJSE_SE_EEES9_SG_JZNS1_25segmented_radix_sort_implINS0_14default_configELb1EPKiPiPKlPlN2at6native12_GLOBAL__N_18offset_tEEE10hipError_tPvRmT1_PNSt15iterator_traitsISY_E10value_typeET2_T3_PNSZ_IS14_E10value_typeET4_jRbjT5_S1A_jjP12ihipStream_tbEUljE_EEESV_SW_SX_S14_S18_S1A_T6_T7_T9_mT8_S1C_bDpT10_ENKUlT_T0_E_clISt17integral_constantIbLb0EES1O_IbLb1EEEEDaS1K_S1L_EUlS1K_E_NS1_11comp_targetILNS1_3genE8ELNS1_11target_archE1030ELNS1_3gpuE2ELNS1_3repE0EEENS1_30default_config_static_selectorELNS0_4arch9wavefront6targetE1EEEvSY_,@function
_ZN7rocprim17ROCPRIM_400000_NS6detail17trampoline_kernelINS0_13select_configILj256ELj13ELNS0_17block_load_methodE3ELS4_3ELS4_3ELNS0_20block_scan_algorithmE0ELj4294967295EEENS1_25partition_config_selectorILNS1_17partition_subalgoE3EjNS0_10empty_typeEbEEZZNS1_14partition_implILS8_3ELb0ES6_jNS0_17counting_iteratorIjlEEPS9_SE_NS0_5tupleIJPjSE_EEENSF_IJSE_SE_EEES9_SG_JZNS1_25segmented_radix_sort_implINS0_14default_configELb1EPKiPiPKlPlN2at6native12_GLOBAL__N_18offset_tEEE10hipError_tPvRmT1_PNSt15iterator_traitsISY_E10value_typeET2_T3_PNSZ_IS14_E10value_typeET4_jRbjT5_S1A_jjP12ihipStream_tbEUljE_EEESV_SW_SX_S14_S18_S1A_T6_T7_T9_mT8_S1C_bDpT10_ENKUlT_T0_E_clISt17integral_constantIbLb0EES1O_IbLb1EEEEDaS1K_S1L_EUlS1K_E_NS1_11comp_targetILNS1_3genE8ELNS1_11target_archE1030ELNS1_3gpuE2ELNS1_3repE0EEENS1_30default_config_static_selectorELNS0_4arch9wavefront6targetE1EEEvSY_: ; @_ZN7rocprim17ROCPRIM_400000_NS6detail17trampoline_kernelINS0_13select_configILj256ELj13ELNS0_17block_load_methodE3ELS4_3ELS4_3ELNS0_20block_scan_algorithmE0ELj4294967295EEENS1_25partition_config_selectorILNS1_17partition_subalgoE3EjNS0_10empty_typeEbEEZZNS1_14partition_implILS8_3ELb0ES6_jNS0_17counting_iteratorIjlEEPS9_SE_NS0_5tupleIJPjSE_EEENSF_IJSE_SE_EEES9_SG_JZNS1_25segmented_radix_sort_implINS0_14default_configELb1EPKiPiPKlPlN2at6native12_GLOBAL__N_18offset_tEEE10hipError_tPvRmT1_PNSt15iterator_traitsISY_E10value_typeET2_T3_PNSZ_IS14_E10value_typeET4_jRbjT5_S1A_jjP12ihipStream_tbEUljE_EEESV_SW_SX_S14_S18_S1A_T6_T7_T9_mT8_S1C_bDpT10_ENKUlT_T0_E_clISt17integral_constantIbLb0EES1O_IbLb1EEEEDaS1K_S1L_EUlS1K_E_NS1_11comp_targetILNS1_3genE8ELNS1_11target_archE1030ELNS1_3gpuE2ELNS1_3repE0EEENS1_30default_config_static_selectorELNS0_4arch9wavefront6targetE1EEEvSY_
; %bb.0:
	.section	.rodata,"a",@progbits
	.p2align	6, 0x0
	.amdhsa_kernel _ZN7rocprim17ROCPRIM_400000_NS6detail17trampoline_kernelINS0_13select_configILj256ELj13ELNS0_17block_load_methodE3ELS4_3ELS4_3ELNS0_20block_scan_algorithmE0ELj4294967295EEENS1_25partition_config_selectorILNS1_17partition_subalgoE3EjNS0_10empty_typeEbEEZZNS1_14partition_implILS8_3ELb0ES6_jNS0_17counting_iteratorIjlEEPS9_SE_NS0_5tupleIJPjSE_EEENSF_IJSE_SE_EEES9_SG_JZNS1_25segmented_radix_sort_implINS0_14default_configELb1EPKiPiPKlPlN2at6native12_GLOBAL__N_18offset_tEEE10hipError_tPvRmT1_PNSt15iterator_traitsISY_E10value_typeET2_T3_PNSZ_IS14_E10value_typeET4_jRbjT5_S1A_jjP12ihipStream_tbEUljE_EEESV_SW_SX_S14_S18_S1A_T6_T7_T9_mT8_S1C_bDpT10_ENKUlT_T0_E_clISt17integral_constantIbLb0EES1O_IbLb1EEEEDaS1K_S1L_EUlS1K_E_NS1_11comp_targetILNS1_3genE8ELNS1_11target_archE1030ELNS1_3gpuE2ELNS1_3repE0EEENS1_30default_config_static_selectorELNS0_4arch9wavefront6targetE1EEEvSY_
		.amdhsa_group_segment_fixed_size 0
		.amdhsa_private_segment_fixed_size 0
		.amdhsa_kernarg_size 152
		.amdhsa_user_sgpr_count 6
		.amdhsa_user_sgpr_private_segment_buffer 1
		.amdhsa_user_sgpr_dispatch_ptr 0
		.amdhsa_user_sgpr_queue_ptr 0
		.amdhsa_user_sgpr_kernarg_segment_ptr 1
		.amdhsa_user_sgpr_dispatch_id 0
		.amdhsa_user_sgpr_flat_scratch_init 0
		.amdhsa_user_sgpr_kernarg_preload_length 0
		.amdhsa_user_sgpr_kernarg_preload_offset 0
		.amdhsa_user_sgpr_private_segment_size 0
		.amdhsa_uses_dynamic_stack 0
		.amdhsa_system_sgpr_private_segment_wavefront_offset 0
		.amdhsa_system_sgpr_workgroup_id_x 1
		.amdhsa_system_sgpr_workgroup_id_y 0
		.amdhsa_system_sgpr_workgroup_id_z 0
		.amdhsa_system_sgpr_workgroup_info 0
		.amdhsa_system_vgpr_workitem_id 0
		.amdhsa_next_free_vgpr 1
		.amdhsa_next_free_sgpr 0
		.amdhsa_accum_offset 4
		.amdhsa_reserve_vcc 0
		.amdhsa_reserve_flat_scratch 0
		.amdhsa_float_round_mode_32 0
		.amdhsa_float_round_mode_16_64 0
		.amdhsa_float_denorm_mode_32 3
		.amdhsa_float_denorm_mode_16_64 3
		.amdhsa_dx10_clamp 1
		.amdhsa_ieee_mode 1
		.amdhsa_fp16_overflow 0
		.amdhsa_tg_split 0
		.amdhsa_exception_fp_ieee_invalid_op 0
		.amdhsa_exception_fp_denorm_src 0
		.amdhsa_exception_fp_ieee_div_zero 0
		.amdhsa_exception_fp_ieee_overflow 0
		.amdhsa_exception_fp_ieee_underflow 0
		.amdhsa_exception_fp_ieee_inexact 0
		.amdhsa_exception_int_div_zero 0
	.end_amdhsa_kernel
	.section	.text._ZN7rocprim17ROCPRIM_400000_NS6detail17trampoline_kernelINS0_13select_configILj256ELj13ELNS0_17block_load_methodE3ELS4_3ELS4_3ELNS0_20block_scan_algorithmE0ELj4294967295EEENS1_25partition_config_selectorILNS1_17partition_subalgoE3EjNS0_10empty_typeEbEEZZNS1_14partition_implILS8_3ELb0ES6_jNS0_17counting_iteratorIjlEEPS9_SE_NS0_5tupleIJPjSE_EEENSF_IJSE_SE_EEES9_SG_JZNS1_25segmented_radix_sort_implINS0_14default_configELb1EPKiPiPKlPlN2at6native12_GLOBAL__N_18offset_tEEE10hipError_tPvRmT1_PNSt15iterator_traitsISY_E10value_typeET2_T3_PNSZ_IS14_E10value_typeET4_jRbjT5_S1A_jjP12ihipStream_tbEUljE_EEESV_SW_SX_S14_S18_S1A_T6_T7_T9_mT8_S1C_bDpT10_ENKUlT_T0_E_clISt17integral_constantIbLb0EES1O_IbLb1EEEEDaS1K_S1L_EUlS1K_E_NS1_11comp_targetILNS1_3genE8ELNS1_11target_archE1030ELNS1_3gpuE2ELNS1_3repE0EEENS1_30default_config_static_selectorELNS0_4arch9wavefront6targetE1EEEvSY_,"axG",@progbits,_ZN7rocprim17ROCPRIM_400000_NS6detail17trampoline_kernelINS0_13select_configILj256ELj13ELNS0_17block_load_methodE3ELS4_3ELS4_3ELNS0_20block_scan_algorithmE0ELj4294967295EEENS1_25partition_config_selectorILNS1_17partition_subalgoE3EjNS0_10empty_typeEbEEZZNS1_14partition_implILS8_3ELb0ES6_jNS0_17counting_iteratorIjlEEPS9_SE_NS0_5tupleIJPjSE_EEENSF_IJSE_SE_EEES9_SG_JZNS1_25segmented_radix_sort_implINS0_14default_configELb1EPKiPiPKlPlN2at6native12_GLOBAL__N_18offset_tEEE10hipError_tPvRmT1_PNSt15iterator_traitsISY_E10value_typeET2_T3_PNSZ_IS14_E10value_typeET4_jRbjT5_S1A_jjP12ihipStream_tbEUljE_EEESV_SW_SX_S14_S18_S1A_T6_T7_T9_mT8_S1C_bDpT10_ENKUlT_T0_E_clISt17integral_constantIbLb0EES1O_IbLb1EEEEDaS1K_S1L_EUlS1K_E_NS1_11comp_targetILNS1_3genE8ELNS1_11target_archE1030ELNS1_3gpuE2ELNS1_3repE0EEENS1_30default_config_static_selectorELNS0_4arch9wavefront6targetE1EEEvSY_,comdat
.Lfunc_end496:
	.size	_ZN7rocprim17ROCPRIM_400000_NS6detail17trampoline_kernelINS0_13select_configILj256ELj13ELNS0_17block_load_methodE3ELS4_3ELS4_3ELNS0_20block_scan_algorithmE0ELj4294967295EEENS1_25partition_config_selectorILNS1_17partition_subalgoE3EjNS0_10empty_typeEbEEZZNS1_14partition_implILS8_3ELb0ES6_jNS0_17counting_iteratorIjlEEPS9_SE_NS0_5tupleIJPjSE_EEENSF_IJSE_SE_EEES9_SG_JZNS1_25segmented_radix_sort_implINS0_14default_configELb1EPKiPiPKlPlN2at6native12_GLOBAL__N_18offset_tEEE10hipError_tPvRmT1_PNSt15iterator_traitsISY_E10value_typeET2_T3_PNSZ_IS14_E10value_typeET4_jRbjT5_S1A_jjP12ihipStream_tbEUljE_EEESV_SW_SX_S14_S18_S1A_T6_T7_T9_mT8_S1C_bDpT10_ENKUlT_T0_E_clISt17integral_constantIbLb0EES1O_IbLb1EEEEDaS1K_S1L_EUlS1K_E_NS1_11comp_targetILNS1_3genE8ELNS1_11target_archE1030ELNS1_3gpuE2ELNS1_3repE0EEENS1_30default_config_static_selectorELNS0_4arch9wavefront6targetE1EEEvSY_, .Lfunc_end496-_ZN7rocprim17ROCPRIM_400000_NS6detail17trampoline_kernelINS0_13select_configILj256ELj13ELNS0_17block_load_methodE3ELS4_3ELS4_3ELNS0_20block_scan_algorithmE0ELj4294967295EEENS1_25partition_config_selectorILNS1_17partition_subalgoE3EjNS0_10empty_typeEbEEZZNS1_14partition_implILS8_3ELb0ES6_jNS0_17counting_iteratorIjlEEPS9_SE_NS0_5tupleIJPjSE_EEENSF_IJSE_SE_EEES9_SG_JZNS1_25segmented_radix_sort_implINS0_14default_configELb1EPKiPiPKlPlN2at6native12_GLOBAL__N_18offset_tEEE10hipError_tPvRmT1_PNSt15iterator_traitsISY_E10value_typeET2_T3_PNSZ_IS14_E10value_typeET4_jRbjT5_S1A_jjP12ihipStream_tbEUljE_EEESV_SW_SX_S14_S18_S1A_T6_T7_T9_mT8_S1C_bDpT10_ENKUlT_T0_E_clISt17integral_constantIbLb0EES1O_IbLb1EEEEDaS1K_S1L_EUlS1K_E_NS1_11comp_targetILNS1_3genE8ELNS1_11target_archE1030ELNS1_3gpuE2ELNS1_3repE0EEENS1_30default_config_static_selectorELNS0_4arch9wavefront6targetE1EEEvSY_
                                        ; -- End function
	.section	.AMDGPU.csdata,"",@progbits
; Kernel info:
; codeLenInByte = 0
; NumSgprs: 4
; NumVgprs: 0
; NumAgprs: 0
; TotalNumVgprs: 0
; ScratchSize: 0
; MemoryBound: 0
; FloatMode: 240
; IeeeMode: 1
; LDSByteSize: 0 bytes/workgroup (compile time only)
; SGPRBlocks: 0
; VGPRBlocks: 0
; NumSGPRsForWavesPerEU: 4
; NumVGPRsForWavesPerEU: 1
; AccumOffset: 4
; Occupancy: 8
; WaveLimiterHint : 0
; COMPUTE_PGM_RSRC2:SCRATCH_EN: 0
; COMPUTE_PGM_RSRC2:USER_SGPR: 6
; COMPUTE_PGM_RSRC2:TRAP_HANDLER: 0
; COMPUTE_PGM_RSRC2:TGID_X_EN: 1
; COMPUTE_PGM_RSRC2:TGID_Y_EN: 0
; COMPUTE_PGM_RSRC2:TGID_Z_EN: 0
; COMPUTE_PGM_RSRC2:TIDIG_COMP_CNT: 0
; COMPUTE_PGM_RSRC3_GFX90A:ACCUM_OFFSET: 0
; COMPUTE_PGM_RSRC3_GFX90A:TG_SPLIT: 0
	.section	.text._ZN7rocprim17ROCPRIM_400000_NS6detail17trampoline_kernelINS0_14default_configENS1_36segmented_radix_sort_config_selectorIilEEZNS1_25segmented_radix_sort_implIS3_Lb1EPKiPiPKlPlN2at6native12_GLOBAL__N_18offset_tEEE10hipError_tPvRmT1_PNSt15iterator_traitsISK_E10value_typeET2_T3_PNSL_ISQ_E10value_typeET4_jRbjT5_SW_jjP12ihipStream_tbEUlT_E_NS1_11comp_targetILNS1_3genE0ELNS1_11target_archE4294967295ELNS1_3gpuE0ELNS1_3repE0EEENS1_30default_config_static_selectorELNS0_4arch9wavefront6targetE1EEEvSK_,"axG",@progbits,_ZN7rocprim17ROCPRIM_400000_NS6detail17trampoline_kernelINS0_14default_configENS1_36segmented_radix_sort_config_selectorIilEEZNS1_25segmented_radix_sort_implIS3_Lb1EPKiPiPKlPlN2at6native12_GLOBAL__N_18offset_tEEE10hipError_tPvRmT1_PNSt15iterator_traitsISK_E10value_typeET2_T3_PNSL_ISQ_E10value_typeET4_jRbjT5_SW_jjP12ihipStream_tbEUlT_E_NS1_11comp_targetILNS1_3genE0ELNS1_11target_archE4294967295ELNS1_3gpuE0ELNS1_3repE0EEENS1_30default_config_static_selectorELNS0_4arch9wavefront6targetE1EEEvSK_,comdat
	.globl	_ZN7rocprim17ROCPRIM_400000_NS6detail17trampoline_kernelINS0_14default_configENS1_36segmented_radix_sort_config_selectorIilEEZNS1_25segmented_radix_sort_implIS3_Lb1EPKiPiPKlPlN2at6native12_GLOBAL__N_18offset_tEEE10hipError_tPvRmT1_PNSt15iterator_traitsISK_E10value_typeET2_T3_PNSL_ISQ_E10value_typeET4_jRbjT5_SW_jjP12ihipStream_tbEUlT_E_NS1_11comp_targetILNS1_3genE0ELNS1_11target_archE4294967295ELNS1_3gpuE0ELNS1_3repE0EEENS1_30default_config_static_selectorELNS0_4arch9wavefront6targetE1EEEvSK_ ; -- Begin function _ZN7rocprim17ROCPRIM_400000_NS6detail17trampoline_kernelINS0_14default_configENS1_36segmented_radix_sort_config_selectorIilEEZNS1_25segmented_radix_sort_implIS3_Lb1EPKiPiPKlPlN2at6native12_GLOBAL__N_18offset_tEEE10hipError_tPvRmT1_PNSt15iterator_traitsISK_E10value_typeET2_T3_PNSL_ISQ_E10value_typeET4_jRbjT5_SW_jjP12ihipStream_tbEUlT_E_NS1_11comp_targetILNS1_3genE0ELNS1_11target_archE4294967295ELNS1_3gpuE0ELNS1_3repE0EEENS1_30default_config_static_selectorELNS0_4arch9wavefront6targetE1EEEvSK_
	.p2align	8
	.type	_ZN7rocprim17ROCPRIM_400000_NS6detail17trampoline_kernelINS0_14default_configENS1_36segmented_radix_sort_config_selectorIilEEZNS1_25segmented_radix_sort_implIS3_Lb1EPKiPiPKlPlN2at6native12_GLOBAL__N_18offset_tEEE10hipError_tPvRmT1_PNSt15iterator_traitsISK_E10value_typeET2_T3_PNSL_ISQ_E10value_typeET4_jRbjT5_SW_jjP12ihipStream_tbEUlT_E_NS1_11comp_targetILNS1_3genE0ELNS1_11target_archE4294967295ELNS1_3gpuE0ELNS1_3repE0EEENS1_30default_config_static_selectorELNS0_4arch9wavefront6targetE1EEEvSK_,@function
_ZN7rocprim17ROCPRIM_400000_NS6detail17trampoline_kernelINS0_14default_configENS1_36segmented_radix_sort_config_selectorIilEEZNS1_25segmented_radix_sort_implIS3_Lb1EPKiPiPKlPlN2at6native12_GLOBAL__N_18offset_tEEE10hipError_tPvRmT1_PNSt15iterator_traitsISK_E10value_typeET2_T3_PNSL_ISQ_E10value_typeET4_jRbjT5_SW_jjP12ihipStream_tbEUlT_E_NS1_11comp_targetILNS1_3genE0ELNS1_11target_archE4294967295ELNS1_3gpuE0ELNS1_3repE0EEENS1_30default_config_static_selectorELNS0_4arch9wavefront6targetE1EEEvSK_: ; @_ZN7rocprim17ROCPRIM_400000_NS6detail17trampoline_kernelINS0_14default_configENS1_36segmented_radix_sort_config_selectorIilEEZNS1_25segmented_radix_sort_implIS3_Lb1EPKiPiPKlPlN2at6native12_GLOBAL__N_18offset_tEEE10hipError_tPvRmT1_PNSt15iterator_traitsISK_E10value_typeET2_T3_PNSL_ISQ_E10value_typeET4_jRbjT5_SW_jjP12ihipStream_tbEUlT_E_NS1_11comp_targetILNS1_3genE0ELNS1_11target_archE4294967295ELNS1_3gpuE0ELNS1_3repE0EEENS1_30default_config_static_selectorELNS0_4arch9wavefront6targetE1EEEvSK_
; %bb.0:
	.section	.rodata,"a",@progbits
	.p2align	6, 0x0
	.amdhsa_kernel _ZN7rocprim17ROCPRIM_400000_NS6detail17trampoline_kernelINS0_14default_configENS1_36segmented_radix_sort_config_selectorIilEEZNS1_25segmented_radix_sort_implIS3_Lb1EPKiPiPKlPlN2at6native12_GLOBAL__N_18offset_tEEE10hipError_tPvRmT1_PNSt15iterator_traitsISK_E10value_typeET2_T3_PNSL_ISQ_E10value_typeET4_jRbjT5_SW_jjP12ihipStream_tbEUlT_E_NS1_11comp_targetILNS1_3genE0ELNS1_11target_archE4294967295ELNS1_3gpuE0ELNS1_3repE0EEENS1_30default_config_static_selectorELNS0_4arch9wavefront6targetE1EEEvSK_
		.amdhsa_group_segment_fixed_size 0
		.amdhsa_private_segment_fixed_size 0
		.amdhsa_kernarg_size 96
		.amdhsa_user_sgpr_count 6
		.amdhsa_user_sgpr_private_segment_buffer 1
		.amdhsa_user_sgpr_dispatch_ptr 0
		.amdhsa_user_sgpr_queue_ptr 0
		.amdhsa_user_sgpr_kernarg_segment_ptr 1
		.amdhsa_user_sgpr_dispatch_id 0
		.amdhsa_user_sgpr_flat_scratch_init 0
		.amdhsa_user_sgpr_kernarg_preload_length 0
		.amdhsa_user_sgpr_kernarg_preload_offset 0
		.amdhsa_user_sgpr_private_segment_size 0
		.amdhsa_uses_dynamic_stack 0
		.amdhsa_system_sgpr_private_segment_wavefront_offset 0
		.amdhsa_system_sgpr_workgroup_id_x 1
		.amdhsa_system_sgpr_workgroup_id_y 0
		.amdhsa_system_sgpr_workgroup_id_z 0
		.amdhsa_system_sgpr_workgroup_info 0
		.amdhsa_system_vgpr_workitem_id 0
		.amdhsa_next_free_vgpr 1
		.amdhsa_next_free_sgpr 0
		.amdhsa_accum_offset 4
		.amdhsa_reserve_vcc 0
		.amdhsa_reserve_flat_scratch 0
		.amdhsa_float_round_mode_32 0
		.amdhsa_float_round_mode_16_64 0
		.amdhsa_float_denorm_mode_32 3
		.amdhsa_float_denorm_mode_16_64 3
		.amdhsa_dx10_clamp 1
		.amdhsa_ieee_mode 1
		.amdhsa_fp16_overflow 0
		.amdhsa_tg_split 0
		.amdhsa_exception_fp_ieee_invalid_op 0
		.amdhsa_exception_fp_denorm_src 0
		.amdhsa_exception_fp_ieee_div_zero 0
		.amdhsa_exception_fp_ieee_overflow 0
		.amdhsa_exception_fp_ieee_underflow 0
		.amdhsa_exception_fp_ieee_inexact 0
		.amdhsa_exception_int_div_zero 0
	.end_amdhsa_kernel
	.section	.text._ZN7rocprim17ROCPRIM_400000_NS6detail17trampoline_kernelINS0_14default_configENS1_36segmented_radix_sort_config_selectorIilEEZNS1_25segmented_radix_sort_implIS3_Lb1EPKiPiPKlPlN2at6native12_GLOBAL__N_18offset_tEEE10hipError_tPvRmT1_PNSt15iterator_traitsISK_E10value_typeET2_T3_PNSL_ISQ_E10value_typeET4_jRbjT5_SW_jjP12ihipStream_tbEUlT_E_NS1_11comp_targetILNS1_3genE0ELNS1_11target_archE4294967295ELNS1_3gpuE0ELNS1_3repE0EEENS1_30default_config_static_selectorELNS0_4arch9wavefront6targetE1EEEvSK_,"axG",@progbits,_ZN7rocprim17ROCPRIM_400000_NS6detail17trampoline_kernelINS0_14default_configENS1_36segmented_radix_sort_config_selectorIilEEZNS1_25segmented_radix_sort_implIS3_Lb1EPKiPiPKlPlN2at6native12_GLOBAL__N_18offset_tEEE10hipError_tPvRmT1_PNSt15iterator_traitsISK_E10value_typeET2_T3_PNSL_ISQ_E10value_typeET4_jRbjT5_SW_jjP12ihipStream_tbEUlT_E_NS1_11comp_targetILNS1_3genE0ELNS1_11target_archE4294967295ELNS1_3gpuE0ELNS1_3repE0EEENS1_30default_config_static_selectorELNS0_4arch9wavefront6targetE1EEEvSK_,comdat
.Lfunc_end497:
	.size	_ZN7rocprim17ROCPRIM_400000_NS6detail17trampoline_kernelINS0_14default_configENS1_36segmented_radix_sort_config_selectorIilEEZNS1_25segmented_radix_sort_implIS3_Lb1EPKiPiPKlPlN2at6native12_GLOBAL__N_18offset_tEEE10hipError_tPvRmT1_PNSt15iterator_traitsISK_E10value_typeET2_T3_PNSL_ISQ_E10value_typeET4_jRbjT5_SW_jjP12ihipStream_tbEUlT_E_NS1_11comp_targetILNS1_3genE0ELNS1_11target_archE4294967295ELNS1_3gpuE0ELNS1_3repE0EEENS1_30default_config_static_selectorELNS0_4arch9wavefront6targetE1EEEvSK_, .Lfunc_end497-_ZN7rocprim17ROCPRIM_400000_NS6detail17trampoline_kernelINS0_14default_configENS1_36segmented_radix_sort_config_selectorIilEEZNS1_25segmented_radix_sort_implIS3_Lb1EPKiPiPKlPlN2at6native12_GLOBAL__N_18offset_tEEE10hipError_tPvRmT1_PNSt15iterator_traitsISK_E10value_typeET2_T3_PNSL_ISQ_E10value_typeET4_jRbjT5_SW_jjP12ihipStream_tbEUlT_E_NS1_11comp_targetILNS1_3genE0ELNS1_11target_archE4294967295ELNS1_3gpuE0ELNS1_3repE0EEENS1_30default_config_static_selectorELNS0_4arch9wavefront6targetE1EEEvSK_
                                        ; -- End function
	.section	.AMDGPU.csdata,"",@progbits
; Kernel info:
; codeLenInByte = 0
; NumSgprs: 4
; NumVgprs: 0
; NumAgprs: 0
; TotalNumVgprs: 0
; ScratchSize: 0
; MemoryBound: 0
; FloatMode: 240
; IeeeMode: 1
; LDSByteSize: 0 bytes/workgroup (compile time only)
; SGPRBlocks: 0
; VGPRBlocks: 0
; NumSGPRsForWavesPerEU: 4
; NumVGPRsForWavesPerEU: 1
; AccumOffset: 4
; Occupancy: 8
; WaveLimiterHint : 0
; COMPUTE_PGM_RSRC2:SCRATCH_EN: 0
; COMPUTE_PGM_RSRC2:USER_SGPR: 6
; COMPUTE_PGM_RSRC2:TRAP_HANDLER: 0
; COMPUTE_PGM_RSRC2:TGID_X_EN: 1
; COMPUTE_PGM_RSRC2:TGID_Y_EN: 0
; COMPUTE_PGM_RSRC2:TGID_Z_EN: 0
; COMPUTE_PGM_RSRC2:TIDIG_COMP_CNT: 0
; COMPUTE_PGM_RSRC3_GFX90A:ACCUM_OFFSET: 0
; COMPUTE_PGM_RSRC3_GFX90A:TG_SPLIT: 0
	.section	.text._ZN7rocprim17ROCPRIM_400000_NS6detail17trampoline_kernelINS0_14default_configENS1_36segmented_radix_sort_config_selectorIilEEZNS1_25segmented_radix_sort_implIS3_Lb1EPKiPiPKlPlN2at6native12_GLOBAL__N_18offset_tEEE10hipError_tPvRmT1_PNSt15iterator_traitsISK_E10value_typeET2_T3_PNSL_ISQ_E10value_typeET4_jRbjT5_SW_jjP12ihipStream_tbEUlT_E_NS1_11comp_targetILNS1_3genE5ELNS1_11target_archE942ELNS1_3gpuE9ELNS1_3repE0EEENS1_30default_config_static_selectorELNS0_4arch9wavefront6targetE1EEEvSK_,"axG",@progbits,_ZN7rocprim17ROCPRIM_400000_NS6detail17trampoline_kernelINS0_14default_configENS1_36segmented_radix_sort_config_selectorIilEEZNS1_25segmented_radix_sort_implIS3_Lb1EPKiPiPKlPlN2at6native12_GLOBAL__N_18offset_tEEE10hipError_tPvRmT1_PNSt15iterator_traitsISK_E10value_typeET2_T3_PNSL_ISQ_E10value_typeET4_jRbjT5_SW_jjP12ihipStream_tbEUlT_E_NS1_11comp_targetILNS1_3genE5ELNS1_11target_archE942ELNS1_3gpuE9ELNS1_3repE0EEENS1_30default_config_static_selectorELNS0_4arch9wavefront6targetE1EEEvSK_,comdat
	.globl	_ZN7rocprim17ROCPRIM_400000_NS6detail17trampoline_kernelINS0_14default_configENS1_36segmented_radix_sort_config_selectorIilEEZNS1_25segmented_radix_sort_implIS3_Lb1EPKiPiPKlPlN2at6native12_GLOBAL__N_18offset_tEEE10hipError_tPvRmT1_PNSt15iterator_traitsISK_E10value_typeET2_T3_PNSL_ISQ_E10value_typeET4_jRbjT5_SW_jjP12ihipStream_tbEUlT_E_NS1_11comp_targetILNS1_3genE5ELNS1_11target_archE942ELNS1_3gpuE9ELNS1_3repE0EEENS1_30default_config_static_selectorELNS0_4arch9wavefront6targetE1EEEvSK_ ; -- Begin function _ZN7rocprim17ROCPRIM_400000_NS6detail17trampoline_kernelINS0_14default_configENS1_36segmented_radix_sort_config_selectorIilEEZNS1_25segmented_radix_sort_implIS3_Lb1EPKiPiPKlPlN2at6native12_GLOBAL__N_18offset_tEEE10hipError_tPvRmT1_PNSt15iterator_traitsISK_E10value_typeET2_T3_PNSL_ISQ_E10value_typeET4_jRbjT5_SW_jjP12ihipStream_tbEUlT_E_NS1_11comp_targetILNS1_3genE5ELNS1_11target_archE942ELNS1_3gpuE9ELNS1_3repE0EEENS1_30default_config_static_selectorELNS0_4arch9wavefront6targetE1EEEvSK_
	.p2align	8
	.type	_ZN7rocprim17ROCPRIM_400000_NS6detail17trampoline_kernelINS0_14default_configENS1_36segmented_radix_sort_config_selectorIilEEZNS1_25segmented_radix_sort_implIS3_Lb1EPKiPiPKlPlN2at6native12_GLOBAL__N_18offset_tEEE10hipError_tPvRmT1_PNSt15iterator_traitsISK_E10value_typeET2_T3_PNSL_ISQ_E10value_typeET4_jRbjT5_SW_jjP12ihipStream_tbEUlT_E_NS1_11comp_targetILNS1_3genE5ELNS1_11target_archE942ELNS1_3gpuE9ELNS1_3repE0EEENS1_30default_config_static_selectorELNS0_4arch9wavefront6targetE1EEEvSK_,@function
_ZN7rocprim17ROCPRIM_400000_NS6detail17trampoline_kernelINS0_14default_configENS1_36segmented_radix_sort_config_selectorIilEEZNS1_25segmented_radix_sort_implIS3_Lb1EPKiPiPKlPlN2at6native12_GLOBAL__N_18offset_tEEE10hipError_tPvRmT1_PNSt15iterator_traitsISK_E10value_typeET2_T3_PNSL_ISQ_E10value_typeET4_jRbjT5_SW_jjP12ihipStream_tbEUlT_E_NS1_11comp_targetILNS1_3genE5ELNS1_11target_archE942ELNS1_3gpuE9ELNS1_3repE0EEENS1_30default_config_static_selectorELNS0_4arch9wavefront6targetE1EEEvSK_: ; @_ZN7rocprim17ROCPRIM_400000_NS6detail17trampoline_kernelINS0_14default_configENS1_36segmented_radix_sort_config_selectorIilEEZNS1_25segmented_radix_sort_implIS3_Lb1EPKiPiPKlPlN2at6native12_GLOBAL__N_18offset_tEEE10hipError_tPvRmT1_PNSt15iterator_traitsISK_E10value_typeET2_T3_PNSL_ISQ_E10value_typeET4_jRbjT5_SW_jjP12ihipStream_tbEUlT_E_NS1_11comp_targetILNS1_3genE5ELNS1_11target_archE942ELNS1_3gpuE9ELNS1_3repE0EEENS1_30default_config_static_selectorELNS0_4arch9wavefront6targetE1EEEvSK_
; %bb.0:
	.section	.rodata,"a",@progbits
	.p2align	6, 0x0
	.amdhsa_kernel _ZN7rocprim17ROCPRIM_400000_NS6detail17trampoline_kernelINS0_14default_configENS1_36segmented_radix_sort_config_selectorIilEEZNS1_25segmented_radix_sort_implIS3_Lb1EPKiPiPKlPlN2at6native12_GLOBAL__N_18offset_tEEE10hipError_tPvRmT1_PNSt15iterator_traitsISK_E10value_typeET2_T3_PNSL_ISQ_E10value_typeET4_jRbjT5_SW_jjP12ihipStream_tbEUlT_E_NS1_11comp_targetILNS1_3genE5ELNS1_11target_archE942ELNS1_3gpuE9ELNS1_3repE0EEENS1_30default_config_static_selectorELNS0_4arch9wavefront6targetE1EEEvSK_
		.amdhsa_group_segment_fixed_size 0
		.amdhsa_private_segment_fixed_size 0
		.amdhsa_kernarg_size 96
		.amdhsa_user_sgpr_count 6
		.amdhsa_user_sgpr_private_segment_buffer 1
		.amdhsa_user_sgpr_dispatch_ptr 0
		.amdhsa_user_sgpr_queue_ptr 0
		.amdhsa_user_sgpr_kernarg_segment_ptr 1
		.amdhsa_user_sgpr_dispatch_id 0
		.amdhsa_user_sgpr_flat_scratch_init 0
		.amdhsa_user_sgpr_kernarg_preload_length 0
		.amdhsa_user_sgpr_kernarg_preload_offset 0
		.amdhsa_user_sgpr_private_segment_size 0
		.amdhsa_uses_dynamic_stack 0
		.amdhsa_system_sgpr_private_segment_wavefront_offset 0
		.amdhsa_system_sgpr_workgroup_id_x 1
		.amdhsa_system_sgpr_workgroup_id_y 0
		.amdhsa_system_sgpr_workgroup_id_z 0
		.amdhsa_system_sgpr_workgroup_info 0
		.amdhsa_system_vgpr_workitem_id 0
		.amdhsa_next_free_vgpr 1
		.amdhsa_next_free_sgpr 0
		.amdhsa_accum_offset 4
		.amdhsa_reserve_vcc 0
		.amdhsa_reserve_flat_scratch 0
		.amdhsa_float_round_mode_32 0
		.amdhsa_float_round_mode_16_64 0
		.amdhsa_float_denorm_mode_32 3
		.amdhsa_float_denorm_mode_16_64 3
		.amdhsa_dx10_clamp 1
		.amdhsa_ieee_mode 1
		.amdhsa_fp16_overflow 0
		.amdhsa_tg_split 0
		.amdhsa_exception_fp_ieee_invalid_op 0
		.amdhsa_exception_fp_denorm_src 0
		.amdhsa_exception_fp_ieee_div_zero 0
		.amdhsa_exception_fp_ieee_overflow 0
		.amdhsa_exception_fp_ieee_underflow 0
		.amdhsa_exception_fp_ieee_inexact 0
		.amdhsa_exception_int_div_zero 0
	.end_amdhsa_kernel
	.section	.text._ZN7rocprim17ROCPRIM_400000_NS6detail17trampoline_kernelINS0_14default_configENS1_36segmented_radix_sort_config_selectorIilEEZNS1_25segmented_radix_sort_implIS3_Lb1EPKiPiPKlPlN2at6native12_GLOBAL__N_18offset_tEEE10hipError_tPvRmT1_PNSt15iterator_traitsISK_E10value_typeET2_T3_PNSL_ISQ_E10value_typeET4_jRbjT5_SW_jjP12ihipStream_tbEUlT_E_NS1_11comp_targetILNS1_3genE5ELNS1_11target_archE942ELNS1_3gpuE9ELNS1_3repE0EEENS1_30default_config_static_selectorELNS0_4arch9wavefront6targetE1EEEvSK_,"axG",@progbits,_ZN7rocprim17ROCPRIM_400000_NS6detail17trampoline_kernelINS0_14default_configENS1_36segmented_radix_sort_config_selectorIilEEZNS1_25segmented_radix_sort_implIS3_Lb1EPKiPiPKlPlN2at6native12_GLOBAL__N_18offset_tEEE10hipError_tPvRmT1_PNSt15iterator_traitsISK_E10value_typeET2_T3_PNSL_ISQ_E10value_typeET4_jRbjT5_SW_jjP12ihipStream_tbEUlT_E_NS1_11comp_targetILNS1_3genE5ELNS1_11target_archE942ELNS1_3gpuE9ELNS1_3repE0EEENS1_30default_config_static_selectorELNS0_4arch9wavefront6targetE1EEEvSK_,comdat
.Lfunc_end498:
	.size	_ZN7rocprim17ROCPRIM_400000_NS6detail17trampoline_kernelINS0_14default_configENS1_36segmented_radix_sort_config_selectorIilEEZNS1_25segmented_radix_sort_implIS3_Lb1EPKiPiPKlPlN2at6native12_GLOBAL__N_18offset_tEEE10hipError_tPvRmT1_PNSt15iterator_traitsISK_E10value_typeET2_T3_PNSL_ISQ_E10value_typeET4_jRbjT5_SW_jjP12ihipStream_tbEUlT_E_NS1_11comp_targetILNS1_3genE5ELNS1_11target_archE942ELNS1_3gpuE9ELNS1_3repE0EEENS1_30default_config_static_selectorELNS0_4arch9wavefront6targetE1EEEvSK_, .Lfunc_end498-_ZN7rocprim17ROCPRIM_400000_NS6detail17trampoline_kernelINS0_14default_configENS1_36segmented_radix_sort_config_selectorIilEEZNS1_25segmented_radix_sort_implIS3_Lb1EPKiPiPKlPlN2at6native12_GLOBAL__N_18offset_tEEE10hipError_tPvRmT1_PNSt15iterator_traitsISK_E10value_typeET2_T3_PNSL_ISQ_E10value_typeET4_jRbjT5_SW_jjP12ihipStream_tbEUlT_E_NS1_11comp_targetILNS1_3genE5ELNS1_11target_archE942ELNS1_3gpuE9ELNS1_3repE0EEENS1_30default_config_static_selectorELNS0_4arch9wavefront6targetE1EEEvSK_
                                        ; -- End function
	.section	.AMDGPU.csdata,"",@progbits
; Kernel info:
; codeLenInByte = 0
; NumSgprs: 4
; NumVgprs: 0
; NumAgprs: 0
; TotalNumVgprs: 0
; ScratchSize: 0
; MemoryBound: 0
; FloatMode: 240
; IeeeMode: 1
; LDSByteSize: 0 bytes/workgroup (compile time only)
; SGPRBlocks: 0
; VGPRBlocks: 0
; NumSGPRsForWavesPerEU: 4
; NumVGPRsForWavesPerEU: 1
; AccumOffset: 4
; Occupancy: 8
; WaveLimiterHint : 0
; COMPUTE_PGM_RSRC2:SCRATCH_EN: 0
; COMPUTE_PGM_RSRC2:USER_SGPR: 6
; COMPUTE_PGM_RSRC2:TRAP_HANDLER: 0
; COMPUTE_PGM_RSRC2:TGID_X_EN: 1
; COMPUTE_PGM_RSRC2:TGID_Y_EN: 0
; COMPUTE_PGM_RSRC2:TGID_Z_EN: 0
; COMPUTE_PGM_RSRC2:TIDIG_COMP_CNT: 0
; COMPUTE_PGM_RSRC3_GFX90A:ACCUM_OFFSET: 0
; COMPUTE_PGM_RSRC3_GFX90A:TG_SPLIT: 0
	.text
	.p2align	2                               ; -- Begin function _ZN7rocprim17ROCPRIM_400000_NS6detail40segmented_radix_sort_single_block_helperIilLj256ELj16ELb1EE4sortIPKiPiPKlPlEEbT_T0_T1_T2_jjjjRNS3_12storage_typeE
	.type	_ZN7rocprim17ROCPRIM_400000_NS6detail40segmented_radix_sort_single_block_helperIilLj256ELj16ELb1EE4sortIPKiPiPKlPlEEbT_T0_T1_T2_jjjjRNS3_12storage_typeE,@function
_ZN7rocprim17ROCPRIM_400000_NS6detail40segmented_radix_sort_single_block_helperIilLj256ELj16ELb1EE4sortIPKiPiPKlPlEEbT_T0_T1_T2_jjjjRNS3_12storage_typeE: ; @_ZN7rocprim17ROCPRIM_400000_NS6detail40segmented_radix_sort_single_block_helperIilLj256ELj16ELb1EE4sortIPKiPiPKlPlEEbT_T0_T1_T2_jjjjRNS3_12storage_typeE
; %bb.0:
	s_waitcnt vmcnt(0) expcnt(0) lgkmcnt(0)
	s_or_saveexec_b64 s[4:5], -1
	buffer_store_dword v220, off, s[0:3], s32 offset:256 ; 4-byte Folded Spill
	s_mov_b64 exec, s[4:5]
	v_accvgpr_write_b32 a4, v40             ;  Reload Reuse
	v_accvgpr_write_b32 a5, v41             ;  Reload Reuse
	v_accvgpr_write_b32 a6, v42             ;  Reload Reuse
	v_accvgpr_write_b32 a7, v43             ;  Reload Reuse
	v_accvgpr_write_b32 a8, v44             ;  Reload Reuse
	v_accvgpr_write_b32 a9, v45             ;  Reload Reuse
	v_accvgpr_write_b32 a10, v46            ;  Reload Reuse
	v_accvgpr_write_b32 a11, v47            ;  Reload Reuse
	v_accvgpr_write_b32 a12, v56            ;  Reload Reuse
	v_accvgpr_write_b32 a13, v57            ;  Reload Reuse
	v_accvgpr_write_b32 a14, v58            ;  Reload Reuse
	v_accvgpr_write_b32 a15, v59            ;  Reload Reuse
	v_accvgpr_write_b32 a16, v60            ;  Reload Reuse
	v_accvgpr_write_b32 a17, v61            ;  Reload Reuse
	v_accvgpr_write_b32 a18, v62            ;  Reload Reuse
	v_accvgpr_write_b32 a19, v63            ;  Reload Reuse
	v_accvgpr_write_b32 a20, v72            ;  Reload Reuse
	v_accvgpr_write_b32 a21, v73            ;  Reload Reuse
	v_accvgpr_write_b32 a22, v74            ;  Reload Reuse
	v_accvgpr_write_b32 a23, v75            ;  Reload Reuse
	v_accvgpr_write_b32 a24, v76            ;  Reload Reuse
	v_accvgpr_write_b32 a25, v77            ;  Reload Reuse
	v_accvgpr_write_b32 a26, v78            ;  Reload Reuse
	v_accvgpr_write_b32 a27, v79            ;  Reload Reuse
	v_accvgpr_write_b32 a28, v88            ;  Reload Reuse
	v_accvgpr_write_b32 a29, v89            ;  Reload Reuse
	v_accvgpr_write_b32 a30, v90            ;  Reload Reuse
	v_accvgpr_write_b32 a31, v91            ;  Reload Reuse
	buffer_store_dword v92, off, s[0:3], s32 offset:252 ; 4-byte Folded Spill
	buffer_store_dword v93, off, s[0:3], s32 offset:248 ; 4-byte Folded Spill
	;; [unrolled: 1-line block ×63, first 2 shown]
	buffer_store_dword v219, off, s[0:3], s32 ; 4-byte Folded Spill
	v_writelane_b32 v220, s34, 0
	v_writelane_b32 v220, s35, 1
	;; [unrolled: 1-line block ×16, first 2 shown]
	v_sub_u32_e32 v152, v9, v8
	s_movk_i32 s4, 0x1001
	v_cmp_gt_u32_e32 vcc, s4, v152
	s_and_saveexec_b64 s[42:43], vcc
	s_cbranch_execz .LBB499_372
; %bb.1:
	s_movk_i32 s4, 0x800
	v_cmp_lt_u32_e32 vcc, s4, v152
	v_bfe_u32 v14, v31, 10, 10
	v_bfe_u32 v16, v31, 20, 10
	v_mbcnt_lo_u32_b32 v15, -1, 0
	s_and_saveexec_b64 s[4:5], vcc
	s_xor_b64 s[44:45], exec, s[4:5]
	s_cbranch_execz .LBB499_143
; %bb.2:
	s_load_dwordx2 s[4:5], s[8:9], 0x0
	v_mov_b32_e32 v9, 0
	v_mbcnt_hi_u32_b32 v18, -1, v15
	v_lshlrev_b64 v[22:23], 2, v[8:9]
	v_and_b32_e32 v19, 63, v18
	s_waitcnt lgkmcnt(0)
	s_cmp_lt_u32 s12, s4
	s_cselect_b32 s6, 12, 18
	s_cmp_lt_u32 s13, s5
	s_cselect_b32 s4, 14, 20
	s_add_u32 s4, s8, s4
	s_addc_u32 s5, s9, 0
	s_add_u32 s6, s8, s6
	global_load_ushort v17, v9, s[4:5]
	s_addc_u32 s7, s9, 0
	global_load_ushort v24, v9, s[6:7]
	v_add_co_u32_e32 v0, vcc, v0, v22
	v_addc_co_u32_e32 v1, vcc, v1, v23, vcc
	v_lshlrev_b32_e32 v25, 2, v19
	v_and_b32_e32 v20, 0x3ff, v31
	v_bfrev_b32_e32 v21, 1
	v_add_co_u32_e32 v25, vcc, v0, v25
	v_addc_co_u32_e32 v26, vcc, 0, v1, vcc
	v_mov_b32_e32 v15, v9
	s_waitcnt vmcnt(1)
	v_mad_u32_u24 v0, v16, v17, v14
	s_waitcnt vmcnt(0)
	v_mad_u64_u32 v[0:1], s[4:5], v0, v24, v[20:21]
	v_lshlrev_b32_e32 v1, 4, v0
	v_and_b32_e32 v14, 0xfffffc00, v1
	v_lshlrev_b64 v[16:17], 2, v[14:15]
	v_add_co_u32_e32 v16, vcc, v25, v16
	v_or_b32_e32 v38, v14, v19
	v_addc_co_u32_e32 v17, vcc, v26, v17, vcc
	v_cmp_lt_u32_e32 vcc, v38, v152
	v_bfrev_b32_e32 v1, 1
	s_and_saveexec_b64 s[4:5], vcc
	s_cbranch_execz .LBB499_4
; %bb.3:
	flat_load_dword v1, v[16:17]
.LBB499_4:
	s_or_b64 exec, exec, s[4:5]
	v_or_b32_e32 v24, 64, v38
	v_cmp_lt_u32_e64 s[10:11], v24, v152
	s_and_saveexec_b64 s[4:5], s[10:11]
	s_cbranch_execz .LBB499_6
; %bb.5:
	flat_load_dword v21, v[16:17] offset:256
.LBB499_6:
	s_or_b64 exec, exec, s[4:5]
	v_or_b32_e32 v24, 0x80, v38
	v_cmp_lt_u32_e64 s[14:15], v24, v152
	v_bfrev_b32_e32 v24, 1
	v_bfrev_b32_e32 v25, 1
	s_and_saveexec_b64 s[4:5], s[14:15]
	s_cbranch_execz .LBB499_8
; %bb.7:
	flat_load_dword v25, v[16:17] offset:512
.LBB499_8:
	s_or_b64 exec, exec, s[4:5]
	v_or_b32_e32 v26, 0xc0, v38
	v_cmp_lt_u32_e64 s[18:19], v26, v152
	s_and_saveexec_b64 s[4:5], s[18:19]
	s_cbranch_execz .LBB499_10
; %bb.9:
	flat_load_dword v24, v[16:17] offset:768
.LBB499_10:
	s_or_b64 exec, exec, s[4:5]
	v_or_b32_e32 v26, 0x100, v38
	v_cmp_lt_u32_e64 s[20:21], v26, v152
	v_bfrev_b32_e32 v26, 1
	v_bfrev_b32_e32 v27, 1
	s_and_saveexec_b64 s[4:5], s[20:21]
	s_cbranch_execz .LBB499_12
; %bb.11:
	flat_load_dword v27, v[16:17] offset:1024
.LBB499_12:
	;; [unrolled: 18-line block ×7, first 2 shown]
	s_or_b64 exec, exec, s[4:5]
	v_or_b32_e32 v38, 0x3c0, v38
	v_cmp_lt_u32_e64 s[4:5], v38, v152
	s_and_saveexec_b64 s[40:41], s[4:5]
	s_cbranch_execz .LBB499_34
; %bb.33:
	flat_load_dword v36, v[16:17] offset:3840
.LBB499_34:
	s_or_b64 exec, exec, s[40:41]
	v_lshlrev_b64 v[8:9], 3, v[8:9]
	v_add_co_u32_e64 v4, s[40:41], v4, v8
	v_addc_co_u32_e64 v5, s[40:41], v5, v9, s[40:41]
	v_lshlrev_b32_e32 v16, 3, v19
	v_add_co_u32_e64 v16, s[40:41], v4, v16
	v_addc_co_u32_e64 v17, s[40:41], 0, v5, s[40:41]
	v_lshlrev_b64 v[4:5], 3, v[14:15]
	v_add_co_u32_e64 v4, s[40:41], v16, v4
	v_addc_co_u32_e64 v5, s[40:41], v17, v5, s[40:41]
                                        ; implicit-def: $vgpr16_vgpr17
	s_and_saveexec_b64 s[40:41], vcc
	s_cbranch_execnz .LBB499_196
; %bb.35:
	s_or_b64 exec, exec, s[40:41]
                                        ; implicit-def: $vgpr130_vgpr131
	s_and_saveexec_b64 vcc, s[10:11]
	s_cbranch_execnz .LBB499_197
.LBB499_36:
	s_or_b64 exec, exec, vcc
                                        ; implicit-def: $vgpr146_vgpr147
	s_and_saveexec_b64 s[10:11], s[14:15]
	s_cbranch_execnz .LBB499_198
.LBB499_37:
	s_or_b64 exec, exec, s[10:11]
                                        ; implicit-def: $vgpr192_vgpr193
	s_and_saveexec_b64 s[10:11], s[18:19]
	s_cbranch_execnz .LBB499_199
.LBB499_38:
	s_or_b64 exec, exec, s[10:11]
                                        ; implicit-def: $vgpr196_vgpr197
	s_and_saveexec_b64 s[10:11], s[20:21]
	s_cbranch_execnz .LBB499_200
.LBB499_39:
	s_or_b64 exec, exec, s[10:11]
                                        ; implicit-def: $vgpr198_vgpr199
	s_and_saveexec_b64 s[10:11], s[24:25]
	s_cbranch_execnz .LBB499_201
.LBB499_40:
	s_or_b64 exec, exec, s[10:11]
                                        ; implicit-def: $vgpr208_vgpr209
	s_and_saveexec_b64 s[10:11], s[28:29]
	s_cbranch_execnz .LBB499_202
.LBB499_41:
	s_or_b64 exec, exec, s[10:11]
                                        ; implicit-def: $vgpr210_vgpr211
	s_and_saveexec_b64 s[10:11], s[34:35]
	s_cbranch_execnz .LBB499_203
.LBB499_42:
	s_or_b64 exec, exec, s[10:11]
                                        ; implicit-def: $vgpr212_vgpr213
	s_and_saveexec_b64 s[10:11], s[36:37]
	s_cbranch_execnz .LBB499_204
.LBB499_43:
	s_or_b64 exec, exec, s[10:11]
                                        ; implicit-def: $vgpr214_vgpr215
	s_and_saveexec_b64 s[10:11], s[30:31]
	s_cbranch_execnz .LBB499_205
.LBB499_44:
	s_or_b64 exec, exec, s[10:11]
                                        ; implicit-def: $vgpr224_vgpr225
	s_and_saveexec_b64 s[10:11], s[26:27]
	s_cbranch_execnz .LBB499_206
.LBB499_45:
	s_or_b64 exec, exec, s[10:11]
                                        ; implicit-def: $vgpr226_vgpr227
	s_and_saveexec_b64 s[10:11], s[22:23]
	s_cbranch_execnz .LBB499_207
.LBB499_46:
	s_or_b64 exec, exec, s[10:11]
                                        ; implicit-def: $vgpr228_vgpr229
	s_and_saveexec_b64 s[10:11], s[16:17]
	s_cbranch_execnz .LBB499_208
.LBB499_47:
	s_or_b64 exec, exec, s[10:11]
                                        ; implicit-def: $vgpr246_vgpr247
	s_and_saveexec_b64 s[10:11], s[38:39]
	s_cbranch_execnz .LBB499_209
.LBB499_48:
	s_or_b64 exec, exec, s[10:11]
                                        ; implicit-def: $agpr0_agpr1
	s_and_saveexec_b64 s[10:11], s[6:7]
	s_cbranch_execnz .LBB499_210
.LBB499_49:
	s_or_b64 exec, exec, s[10:11]
                                        ; implicit-def: $agpr2_agpr3
	s_and_saveexec_b64 s[6:7], s[4:5]
	s_cbranch_execz .LBB499_51
.LBB499_50:
	v_add_co_u32_e32 v4, vcc, 0x1000, v4
	v_addc_co_u32_e32 v5, vcc, 0, v5, vcc
	flat_load_dwordx2 a[2:3], v[4:5] offset:3584
.LBB499_51:
	s_or_b64 exec, exec, s[6:7]
	s_waitcnt vmcnt(0) lgkmcnt(0)
	v_xor_b32_e32 v188, 0x7fffffff, v1
	v_add_co_u32_e32 v1, vcc, 16, v12
	v_xor_b32_e32 v189, 0x7fffffff, v21
	v_xor_b32_e32 v201, 0x7fffffff, v26
	v_addc_co_u32_e32 v21, vcc, 0, v13, vcc
	v_lshlrev_b32_e32 v26, 4, v20
	v_add_co_u32_e32 v48, vcc, v12, v26
	s_getpc_b64 s[4:5]
	s_add_u32 s4, s4, _ZN7rocprim17ROCPRIM_400000_NS16block_radix_sortIiLj256ELj16ElLj1ELj1ELj8ELNS0_26block_radix_rank_algorithmE2ELNS0_18block_padding_hintE2ELNS0_4arch9wavefront6targetE1EE19radix_bits_per_passE@rel32@lo+4
	s_addc_u32 s5, s5, _ZN7rocprim17ROCPRIM_400000_NS16block_radix_sortIiLj256ELj16ElLj1ELj1ELj8ELNS0_26block_radix_rank_algorithmE2ELNS0_18block_padding_hintE2ELNS0_4arch9wavefront6targetE1EE19radix_bits_per_passE@rel32@hi+12
	v_addc_co_u32_e32 v49, vcc, 0, v13, vcc
	v_and_b32_e32 v5, 15, v18
	s_load_dword s46, s[4:5], 0x0
	v_cmp_eq_u32_e32 vcc, 0, v5
	v_cmp_lt_u32_e64 s[4:5], 1, v5
	v_cmp_lt_u32_e64 s[6:7], 3, v5
	;; [unrolled: 1-line block ×3, first 2 shown]
	v_and_b32_e32 v5, 16, v18
	v_cmp_eq_u32_e64 s[34:35], 0, v5
	v_and_b32_e32 v5, 0x3c0, v20
	v_min_u32_e32 v5, 0xc0, v5
	v_or_b32_e32 v5, 63, v5
	v_xor_b32_e32 v191, 0x7fffffff, v24
	v_cmp_eq_u32_e64 s[16:17], v5, v20
	v_add_u32_e32 v5, -1, v18
	v_and_b32_e32 v24, 64, v18
	v_cmp_lt_i32_e64 s[22:23], v5, v24
	v_lshrrev_b32_e32 v14, 6, v20
	v_cndmask_b32_e64 v5, v5, v18, s[22:23]
	v_mov_b32_e32 v15, 0
	v_lshlrev_b32_e32 v154, 2, v5
	v_lshlrev_b32_e32 v5, 2, v14
	v_add_u32_e32 v14, -1, v14
	v_xor_b32_e32 v190, 0x7fffffff, v25
	v_lshlrev_b64 v[24:25], 2, v[14:15]
	v_add_co_u32_e64 v70, s[26:27], v12, v5
	v_add_co_u32_e64 v84, s[30:31], v12, v24
	v_lshlrev_b32_e32 v4, 2, v20
	v_addc_co_u32_e64 v71, s[26:27], 0, v13, s[26:27]
	v_addc_co_u32_e64 v85, s[30:31], v13, v25, s[30:31]
	v_add_co_u32_e64 v4, s[26:27], v12, v4
	s_movk_i32 s30, 0x3c00
	v_cmp_lt_u32_e64 s[14:15], 31, v18
	v_cmp_eq_u32_e64 s[22:23], 0, v18
	v_addc_co_u32_e64 v5, s[26:27], 0, v13, s[26:27]
	v_and_b32_e32 v18, 3, v18
	v_and_or_b32 v14, v26, s30, v19
	v_cmp_eq_u32_e64 s[26:27], 0, v18
	v_cmp_lt_u32_e64 s[28:29], 1, v18
	v_lshlrev_b32_e32 v18, 2, v14
	v_add_co_u32_e64 v86, s[30:31], v12, v18
	v_addc_co_u32_e64 v87, s[30:31], 0, v13, s[30:31]
	v_lshlrev_b32_e32 v14, 3, v14
	v_add_co_u32_e64 v96, s[30:31], v86, v18
	v_addc_co_u32_e64 v97, s[30:31], 0, v87, s[30:31]
	v_or_b32_e32 v18, 0x1000, v14
	v_add_co_u32_e64 v98, s[30:31], v12, v18
	v_addc_co_u32_e64 v99, s[30:31], 0, v13, s[30:31]
	v_or_b32_e32 v18, 0x1200, v14
	;; [unrolled: 3-line block ×8, first 2 shown]
	v_add_co_u32_e64 v128, s[30:31], v12, v14
	v_xor_b32_e32 v200, 0x7fffffff, v27
	v_xor_b32_e32 v202, 0x7fffffff, v29
	;; [unrolled: 1-line block ×11, first 2 shown]
	v_lshrrev_b32_e32 v153, 6, v0
	v_cmp_gt_u32_e64 s[18:19], 4, v20
	v_cmp_lt_u32_e64 s[20:21], 63, v20
	v_cmp_eq_u32_e64 s[24:25], 0, v20
	v_addc_co_u32_e64 v129, s[30:31], 0, v13, s[30:31]
	v_sub_u32_e32 v155, v11, v10
	s_mov_b64 s[38:39], 0
	s_waitcnt lgkmcnt(0)
	s_barrier
	s_branch .LBB499_53
.LBB499_52:                             ;   in Loop: Header=BB499_53 Depth=1
	s_or_b64 exec, exec, s[36:37]
	s_and_b64 s[30:31], exec, s[40:41]
	s_or_b64 s[38:39], s[30:31], s[38:39]
	s_andn2_b64 exec, exec, s[38:39]
	s_cbranch_execz .LBB499_93
.LBB499_53:                             ; =>This Inner Loop Header: Depth=1
	s_waitcnt vmcnt(0)
	v_pk_mov_b32 v[82:83], v[16:17], v[16:17] op_sel:[0,1]
	v_min_u32_e32 v18, s46, v155
	v_mov_b32_e32 v14, v15
	v_mov_b32_e32 v16, v15
	;; [unrolled: 1-line block ×4, first 2 shown]
	flat_store_dwordx4 v[48:49], v[14:17] offset:16
	v_pk_mov_b32 v[80:81], v[130:131], v[130:131] op_sel:[0,1]
	v_lshlrev_b32_e64 v14, v18, -1
	v_not_b32_e32 v18, v14
	v_lshrrev_b32_e32 v14, v10, v187
	v_and_b32_e32 v19, v14, v18
	v_lshl_add_u32 v14, v19, 2, v153
	v_lshlrev_b64 v[16:17], 2, v[14:15]
	v_add_co_u32_e64 v130, s[30:31], v1, v16
	v_addc_co_u32_e64 v131, s[30:31], v21, v17, s[30:31]
	v_and_b32_e32 v14, 1, v19
	v_add_co_u32_e64 v16, s[30:31], -1, v14
	v_addc_co_u32_e64 v17, s[30:31], 0, -1, s[30:31]
	v_cmp_ne_u32_e64 s[30:31], 0, v14
	v_xor_b32_e32 v16, s30, v16
	v_xor_b32_e32 v14, s31, v17
	v_and_b32_e32 v132, exec_lo, v16
	v_lshlrev_b32_e32 v17, 30, v19
	v_mov_b32_e32 v16, v15
	v_cmp_gt_i64_e64 s[30:31], 0, v[16:17]
	v_not_b32_e32 v16, v17
	v_ashrrev_i32_e32 v16, 31, v16
	v_and_b32_e32 v14, exec_hi, v14
	v_xor_b32_e32 v17, s31, v16
	v_xor_b32_e32 v16, s30, v16
	v_and_b32_e32 v14, v14, v17
	v_and_b32_e32 v132, v132, v16
	v_lshlrev_b32_e32 v17, 29, v19
	v_mov_b32_e32 v16, v15
	v_cmp_gt_i64_e64 s[30:31], 0, v[16:17]
	v_not_b32_e32 v16, v17
	v_ashrrev_i32_e32 v16, 31, v16
	v_xor_b32_e32 v17, s31, v16
	v_xor_b32_e32 v16, s30, v16
	v_and_b32_e32 v14, v14, v17
	v_and_b32_e32 v132, v132, v16
	v_lshlrev_b32_e32 v17, 28, v19
	v_mov_b32_e32 v16, v15
	v_cmp_gt_i64_e64 s[30:31], 0, v[16:17]
	v_not_b32_e32 v16, v17
	v_ashrrev_i32_e32 v16, 31, v16
	;; [unrolled: 9-line block ×6, first 2 shown]
	v_xor_b32_e32 v17, s31, v16
	v_xor_b32_e32 v16, s30, v16
	v_and_b32_e32 v16, v132, v16
	v_and_b32_e32 v17, v14, v17
	v_mbcnt_lo_u32_b32 v14, v16, 0
	v_mbcnt_hi_u32_b32 v194, v17, v14
	v_accvgpr_read_b32 v27, a1
	v_accvgpr_read_b32 v25, a3
	v_cmp_eq_u32_e64 s[30:31], 0, v194
	v_cmp_ne_u64_e64 s[36:37], 0, v[16:17]
	v_pk_mov_b32 v[68:69], v[146:147], v[146:147] op_sel:[0,1]
	v_pk_mov_b32 v[66:67], v[192:193], v[192:193] op_sel:[0,1]
	;; [unrolled: 1-line block ×12, first 2 shown]
	v_accvgpr_read_b32 v26, a0
	v_accvgpr_read_b32 v24, a2
	v_mov_b32_e32 v186, v189
	v_mov_b32_e32 v185, v190
	;; [unrolled: 1-line block ×15, first 2 shown]
	s_and_b64 s[36:37], s[36:37], s[30:31]
	s_waitcnt lgkmcnt(0)
	s_barrier
	s_waitcnt lgkmcnt(0)
	; wave barrier
	s_and_saveexec_b64 s[30:31], s[36:37]
	s_cbranch_execz .LBB499_55
; %bb.54:                               ;   in Loop: Header=BB499_53 Depth=1
	v_bcnt_u32_b32 v14, v16, 0
	v_bcnt_u32_b32 v14, v17, v14
	flat_store_dword v[130:131], v14
.LBB499_55:                             ;   in Loop: Header=BB499_53 Depth=1
	s_or_b64 exec, exec, s[30:31]
	v_lshrrev_b32_e32 v14, v10, v186
	v_and_b32_e32 v19, v14, v18
	v_lshl_add_u32 v14, v19, 2, v153
	v_lshlrev_b64 v[16:17], 2, v[14:15]
	v_add_co_u32_e64 v132, s[30:31], v1, v16
	v_addc_co_u32_e64 v133, s[30:31], v21, v17, s[30:31]
	; wave barrier
	flat_load_dword v195, v[132:133]
	v_and_b32_e32 v14, 1, v19
	v_add_co_u32_e64 v16, s[30:31], -1, v14
	v_addc_co_u32_e64 v17, s[30:31], 0, -1, s[30:31]
	v_cmp_ne_u32_e64 s[30:31], 0, v14
	v_xor_b32_e32 v16, s30, v16
	v_xor_b32_e32 v14, s31, v17
	v_and_b32_e32 v134, exec_lo, v16
	v_lshlrev_b32_e32 v17, 30, v19
	v_mov_b32_e32 v16, v15
	v_cmp_gt_i64_e64 s[30:31], 0, v[16:17]
	v_not_b32_e32 v16, v17
	v_ashrrev_i32_e32 v16, 31, v16
	v_and_b32_e32 v14, exec_hi, v14
	v_xor_b32_e32 v17, s31, v16
	v_xor_b32_e32 v16, s30, v16
	v_and_b32_e32 v14, v14, v17
	v_and_b32_e32 v134, v134, v16
	v_lshlrev_b32_e32 v17, 29, v19
	v_mov_b32_e32 v16, v15
	v_cmp_gt_i64_e64 s[30:31], 0, v[16:17]
	v_not_b32_e32 v16, v17
	v_ashrrev_i32_e32 v16, 31, v16
	v_xor_b32_e32 v17, s31, v16
	v_xor_b32_e32 v16, s30, v16
	v_and_b32_e32 v14, v14, v17
	v_and_b32_e32 v134, v134, v16
	v_lshlrev_b32_e32 v17, 28, v19
	v_mov_b32_e32 v16, v15
	v_cmp_gt_i64_e64 s[30:31], 0, v[16:17]
	v_not_b32_e32 v16, v17
	v_ashrrev_i32_e32 v16, 31, v16
	;; [unrolled: 9-line block ×6, first 2 shown]
	v_xor_b32_e32 v17, s31, v16
	v_xor_b32_e32 v16, s30, v16
	v_and_b32_e32 v16, v134, v16
	v_and_b32_e32 v17, v14, v17
	v_mbcnt_lo_u32_b32 v14, v16, 0
	v_mbcnt_hi_u32_b32 v196, v17, v14
	v_cmp_eq_u32_e64 s[30:31], 0, v196
	v_cmp_ne_u64_e64 s[36:37], 0, v[16:17]
	s_and_b64 s[36:37], s[36:37], s[30:31]
	; wave barrier
	s_and_saveexec_b64 s[30:31], s[36:37]
	s_cbranch_execz .LBB499_57
; %bb.56:                               ;   in Loop: Header=BB499_53 Depth=1
	v_bcnt_u32_b32 v14, v16, 0
	v_bcnt_u32_b32 v14, v17, v14
	s_waitcnt vmcnt(0) lgkmcnt(0)
	v_add_u32_e32 v14, v195, v14
	flat_store_dword v[132:133], v14
.LBB499_57:                             ;   in Loop: Header=BB499_53 Depth=1
	s_or_b64 exec, exec, s[30:31]
	v_lshrrev_b32_e32 v14, v10, v185
	v_and_b32_e32 v19, v14, v18
	v_lshl_add_u32 v14, v19, 2, v153
	v_lshlrev_b64 v[16:17], 2, v[14:15]
	v_add_co_u32_e64 v134, s[30:31], v1, v16
	v_addc_co_u32_e64 v135, s[30:31], v21, v17, s[30:31]
	; wave barrier
	flat_load_dword v197, v[134:135]
	v_and_b32_e32 v14, 1, v19
	v_add_co_u32_e64 v16, s[30:31], -1, v14
	v_addc_co_u32_e64 v17, s[30:31], 0, -1, s[30:31]
	v_cmp_ne_u32_e64 s[30:31], 0, v14
	v_xor_b32_e32 v16, s30, v16
	v_xor_b32_e32 v14, s31, v17
	v_and_b32_e32 v144, exec_lo, v16
	v_lshlrev_b32_e32 v17, 30, v19
	v_mov_b32_e32 v16, v15
	v_cmp_gt_i64_e64 s[30:31], 0, v[16:17]
	v_not_b32_e32 v16, v17
	v_ashrrev_i32_e32 v16, 31, v16
	v_and_b32_e32 v14, exec_hi, v14
	v_xor_b32_e32 v17, s31, v16
	v_xor_b32_e32 v16, s30, v16
	v_and_b32_e32 v14, v14, v17
	v_and_b32_e32 v144, v144, v16
	v_lshlrev_b32_e32 v17, 29, v19
	v_mov_b32_e32 v16, v15
	v_cmp_gt_i64_e64 s[30:31], 0, v[16:17]
	v_not_b32_e32 v16, v17
	v_ashrrev_i32_e32 v16, 31, v16
	v_xor_b32_e32 v17, s31, v16
	v_xor_b32_e32 v16, s30, v16
	v_and_b32_e32 v14, v14, v17
	v_and_b32_e32 v144, v144, v16
	v_lshlrev_b32_e32 v17, 28, v19
	v_mov_b32_e32 v16, v15
	v_cmp_gt_i64_e64 s[30:31], 0, v[16:17]
	v_not_b32_e32 v16, v17
	v_ashrrev_i32_e32 v16, 31, v16
	;; [unrolled: 9-line block ×6, first 2 shown]
	v_xor_b32_e32 v17, s31, v16
	v_xor_b32_e32 v16, s30, v16
	v_and_b32_e32 v16, v144, v16
	v_and_b32_e32 v17, v14, v17
	v_mbcnt_lo_u32_b32 v14, v16, 0
	v_mbcnt_hi_u32_b32 v198, v17, v14
	v_cmp_eq_u32_e64 s[30:31], 0, v198
	v_cmp_ne_u64_e64 s[36:37], 0, v[16:17]
	s_and_b64 s[36:37], s[36:37], s[30:31]
	; wave barrier
	s_and_saveexec_b64 s[30:31], s[36:37]
	s_cbranch_execz .LBB499_59
; %bb.58:                               ;   in Loop: Header=BB499_53 Depth=1
	v_bcnt_u32_b32 v14, v16, 0
	v_bcnt_u32_b32 v14, v17, v14
	s_waitcnt vmcnt(0) lgkmcnt(0)
	v_add_u32_e32 v14, v197, v14
	flat_store_dword v[134:135], v14
.LBB499_59:                             ;   in Loop: Header=BB499_53 Depth=1
	s_or_b64 exec, exec, s[30:31]
	v_lshrrev_b32_e32 v14, v10, v184
	v_and_b32_e32 v19, v14, v18
	v_lshl_add_u32 v14, v19, 2, v153
	v_lshlrev_b64 v[16:17], 2, v[14:15]
	v_add_co_u32_e64 v144, s[30:31], v1, v16
	v_addc_co_u32_e64 v145, s[30:31], v21, v17, s[30:31]
	; wave barrier
	flat_load_dword v199, v[144:145]
	v_and_b32_e32 v14, 1, v19
	v_add_co_u32_e64 v16, s[30:31], -1, v14
	v_addc_co_u32_e64 v17, s[30:31], 0, -1, s[30:31]
	v_cmp_ne_u32_e64 s[30:31], 0, v14
	v_xor_b32_e32 v16, s30, v16
	v_xor_b32_e32 v14, s31, v17
	v_and_b32_e32 v146, exec_lo, v16
	v_lshlrev_b32_e32 v17, 30, v19
	v_mov_b32_e32 v16, v15
	v_cmp_gt_i64_e64 s[30:31], 0, v[16:17]
	v_not_b32_e32 v16, v17
	v_ashrrev_i32_e32 v16, 31, v16
	v_and_b32_e32 v14, exec_hi, v14
	v_xor_b32_e32 v17, s31, v16
	v_xor_b32_e32 v16, s30, v16
	v_and_b32_e32 v14, v14, v17
	v_and_b32_e32 v146, v146, v16
	v_lshlrev_b32_e32 v17, 29, v19
	v_mov_b32_e32 v16, v15
	v_cmp_gt_i64_e64 s[30:31], 0, v[16:17]
	v_not_b32_e32 v16, v17
	v_ashrrev_i32_e32 v16, 31, v16
	v_xor_b32_e32 v17, s31, v16
	v_xor_b32_e32 v16, s30, v16
	v_and_b32_e32 v14, v14, v17
	v_and_b32_e32 v146, v146, v16
	v_lshlrev_b32_e32 v17, 28, v19
	v_mov_b32_e32 v16, v15
	v_cmp_gt_i64_e64 s[30:31], 0, v[16:17]
	v_not_b32_e32 v16, v17
	v_ashrrev_i32_e32 v16, 31, v16
	;; [unrolled: 9-line block ×6, first 2 shown]
	v_xor_b32_e32 v17, s31, v16
	v_xor_b32_e32 v16, s30, v16
	v_and_b32_e32 v16, v146, v16
	v_and_b32_e32 v17, v14, v17
	v_mbcnt_lo_u32_b32 v14, v16, 0
	v_mbcnt_hi_u32_b32 v208, v17, v14
	v_cmp_eq_u32_e64 s[30:31], 0, v208
	v_cmp_ne_u64_e64 s[36:37], 0, v[16:17]
	s_and_b64 s[36:37], s[36:37], s[30:31]
	; wave barrier
	s_and_saveexec_b64 s[30:31], s[36:37]
	s_cbranch_execz .LBB499_61
; %bb.60:                               ;   in Loop: Header=BB499_53 Depth=1
	v_bcnt_u32_b32 v14, v16, 0
	v_bcnt_u32_b32 v14, v17, v14
	s_waitcnt vmcnt(0) lgkmcnt(0)
	v_add_u32_e32 v14, v199, v14
	flat_store_dword v[144:145], v14
.LBB499_61:                             ;   in Loop: Header=BB499_53 Depth=1
	s_or_b64 exec, exec, s[30:31]
	v_lshrrev_b32_e32 v14, v10, v175
	v_and_b32_e32 v19, v14, v18
	v_lshl_add_u32 v14, v19, 2, v153
	v_lshlrev_b64 v[16:17], 2, v[14:15]
	v_add_co_u32_e64 v146, s[30:31], v1, v16
	v_addc_co_u32_e64 v147, s[30:31], v21, v17, s[30:31]
	; wave barrier
	flat_load_dword v209, v[146:147]
	v_and_b32_e32 v14, 1, v19
	v_add_co_u32_e64 v16, s[30:31], -1, v14
	v_addc_co_u32_e64 v17, s[30:31], 0, -1, s[30:31]
	v_cmp_ne_u32_e64 s[30:31], 0, v14
	v_xor_b32_e32 v16, s30, v16
	v_xor_b32_e32 v14, s31, v17
	v_and_b32_e32 v148, exec_lo, v16
	v_lshlrev_b32_e32 v17, 30, v19
	v_mov_b32_e32 v16, v15
	v_cmp_gt_i64_e64 s[30:31], 0, v[16:17]
	v_not_b32_e32 v16, v17
	v_ashrrev_i32_e32 v16, 31, v16
	v_and_b32_e32 v14, exec_hi, v14
	v_xor_b32_e32 v17, s31, v16
	v_xor_b32_e32 v16, s30, v16
	v_and_b32_e32 v14, v14, v17
	v_and_b32_e32 v148, v148, v16
	v_lshlrev_b32_e32 v17, 29, v19
	v_mov_b32_e32 v16, v15
	v_cmp_gt_i64_e64 s[30:31], 0, v[16:17]
	v_not_b32_e32 v16, v17
	v_ashrrev_i32_e32 v16, 31, v16
	v_xor_b32_e32 v17, s31, v16
	v_xor_b32_e32 v16, s30, v16
	v_and_b32_e32 v14, v14, v17
	v_and_b32_e32 v148, v148, v16
	v_lshlrev_b32_e32 v17, 28, v19
	v_mov_b32_e32 v16, v15
	v_cmp_gt_i64_e64 s[30:31], 0, v[16:17]
	v_not_b32_e32 v16, v17
	v_ashrrev_i32_e32 v16, 31, v16
	;; [unrolled: 9-line block ×6, first 2 shown]
	v_xor_b32_e32 v17, s31, v16
	v_xor_b32_e32 v16, s30, v16
	v_and_b32_e32 v16, v148, v16
	v_and_b32_e32 v17, v14, v17
	v_mbcnt_lo_u32_b32 v14, v16, 0
	v_mbcnt_hi_u32_b32 v210, v17, v14
	v_cmp_eq_u32_e64 s[30:31], 0, v210
	v_cmp_ne_u64_e64 s[36:37], 0, v[16:17]
	s_and_b64 s[36:37], s[36:37], s[30:31]
	; wave barrier
	s_and_saveexec_b64 s[30:31], s[36:37]
	s_cbranch_execz .LBB499_63
; %bb.62:                               ;   in Loop: Header=BB499_53 Depth=1
	v_bcnt_u32_b32 v14, v16, 0
	v_bcnt_u32_b32 v14, v17, v14
	s_waitcnt vmcnt(0) lgkmcnt(0)
	v_add_u32_e32 v14, v209, v14
	flat_store_dword v[146:147], v14
.LBB499_63:                             ;   in Loop: Header=BB499_53 Depth=1
	s_or_b64 exec, exec, s[30:31]
	v_lshrrev_b32_e32 v14, v10, v174
	v_and_b32_e32 v19, v14, v18
	v_lshl_add_u32 v14, v19, 2, v153
	v_lshlrev_b64 v[16:17], 2, v[14:15]
	v_add_co_u32_e64 v148, s[30:31], v1, v16
	v_addc_co_u32_e64 v149, s[30:31], v21, v17, s[30:31]
	; wave barrier
	flat_load_dword v211, v[148:149]
	v_and_b32_e32 v14, 1, v19
	v_add_co_u32_e64 v16, s[30:31], -1, v14
	v_addc_co_u32_e64 v17, s[30:31], 0, -1, s[30:31]
	v_cmp_ne_u32_e64 s[30:31], 0, v14
	v_xor_b32_e32 v16, s30, v16
	v_xor_b32_e32 v14, s31, v17
	v_and_b32_e32 v150, exec_lo, v16
	v_lshlrev_b32_e32 v17, 30, v19
	v_mov_b32_e32 v16, v15
	v_cmp_gt_i64_e64 s[30:31], 0, v[16:17]
	v_not_b32_e32 v16, v17
	v_ashrrev_i32_e32 v16, 31, v16
	v_and_b32_e32 v14, exec_hi, v14
	v_xor_b32_e32 v17, s31, v16
	v_xor_b32_e32 v16, s30, v16
	v_and_b32_e32 v14, v14, v17
	v_and_b32_e32 v150, v150, v16
	v_lshlrev_b32_e32 v17, 29, v19
	v_mov_b32_e32 v16, v15
	v_cmp_gt_i64_e64 s[30:31], 0, v[16:17]
	v_not_b32_e32 v16, v17
	v_ashrrev_i32_e32 v16, 31, v16
	v_xor_b32_e32 v17, s31, v16
	v_xor_b32_e32 v16, s30, v16
	v_and_b32_e32 v14, v14, v17
	v_and_b32_e32 v150, v150, v16
	v_lshlrev_b32_e32 v17, 28, v19
	v_mov_b32_e32 v16, v15
	v_cmp_gt_i64_e64 s[30:31], 0, v[16:17]
	v_not_b32_e32 v16, v17
	v_ashrrev_i32_e32 v16, 31, v16
	;; [unrolled: 9-line block ×6, first 2 shown]
	v_xor_b32_e32 v17, s31, v16
	v_xor_b32_e32 v16, s30, v16
	v_and_b32_e32 v16, v150, v16
	v_and_b32_e32 v17, v14, v17
	v_mbcnt_lo_u32_b32 v14, v16, 0
	v_mbcnt_hi_u32_b32 v212, v17, v14
	v_cmp_eq_u32_e64 s[30:31], 0, v212
	v_cmp_ne_u64_e64 s[36:37], 0, v[16:17]
	s_and_b64 s[36:37], s[36:37], s[30:31]
	; wave barrier
	s_and_saveexec_b64 s[30:31], s[36:37]
	s_cbranch_execz .LBB499_65
; %bb.64:                               ;   in Loop: Header=BB499_53 Depth=1
	v_bcnt_u32_b32 v14, v16, 0
	v_bcnt_u32_b32 v14, v17, v14
	s_waitcnt vmcnt(0) lgkmcnt(0)
	v_add_u32_e32 v14, v211, v14
	flat_store_dword v[148:149], v14
.LBB499_65:                             ;   in Loop: Header=BB499_53 Depth=1
	s_or_b64 exec, exec, s[30:31]
	v_lshrrev_b32_e32 v14, v10, v173
	v_and_b32_e32 v19, v14, v18
	v_lshl_add_u32 v14, v19, 2, v153
	v_lshlrev_b64 v[16:17], 2, v[14:15]
	v_add_co_u32_e64 v150, s[30:31], v1, v16
	v_addc_co_u32_e64 v151, s[30:31], v21, v17, s[30:31]
	; wave barrier
	flat_load_dword v213, v[150:151]
	v_and_b32_e32 v14, 1, v19
	v_add_co_u32_e64 v16, s[30:31], -1, v14
	v_addc_co_u32_e64 v17, s[30:31], 0, -1, s[30:31]
	v_cmp_ne_u32_e64 s[30:31], 0, v14
	v_xor_b32_e32 v16, s30, v16
	v_xor_b32_e32 v14, s31, v17
	v_and_b32_e32 v160, exec_lo, v16
	v_lshlrev_b32_e32 v17, 30, v19
	v_mov_b32_e32 v16, v15
	v_cmp_gt_i64_e64 s[30:31], 0, v[16:17]
	v_not_b32_e32 v16, v17
	v_ashrrev_i32_e32 v16, 31, v16
	v_and_b32_e32 v14, exec_hi, v14
	v_xor_b32_e32 v17, s31, v16
	v_xor_b32_e32 v16, s30, v16
	v_and_b32_e32 v14, v14, v17
	v_and_b32_e32 v160, v160, v16
	v_lshlrev_b32_e32 v17, 29, v19
	v_mov_b32_e32 v16, v15
	v_cmp_gt_i64_e64 s[30:31], 0, v[16:17]
	v_not_b32_e32 v16, v17
	v_ashrrev_i32_e32 v16, 31, v16
	v_xor_b32_e32 v17, s31, v16
	v_xor_b32_e32 v16, s30, v16
	v_and_b32_e32 v14, v14, v17
	v_and_b32_e32 v160, v160, v16
	v_lshlrev_b32_e32 v17, 28, v19
	v_mov_b32_e32 v16, v15
	v_cmp_gt_i64_e64 s[30:31], 0, v[16:17]
	v_not_b32_e32 v16, v17
	v_ashrrev_i32_e32 v16, 31, v16
	;; [unrolled: 9-line block ×6, first 2 shown]
	v_xor_b32_e32 v17, s31, v16
	v_xor_b32_e32 v16, s30, v16
	v_and_b32_e32 v16, v160, v16
	v_and_b32_e32 v17, v14, v17
	v_mbcnt_lo_u32_b32 v14, v16, 0
	v_mbcnt_hi_u32_b32 v214, v17, v14
	v_cmp_eq_u32_e64 s[30:31], 0, v214
	v_cmp_ne_u64_e64 s[36:37], 0, v[16:17]
	s_and_b64 s[36:37], s[36:37], s[30:31]
	; wave barrier
	s_and_saveexec_b64 s[30:31], s[36:37]
	s_cbranch_execz .LBB499_67
; %bb.66:                               ;   in Loop: Header=BB499_53 Depth=1
	v_bcnt_u32_b32 v14, v16, 0
	v_bcnt_u32_b32 v14, v17, v14
	s_waitcnt vmcnt(0) lgkmcnt(0)
	v_add_u32_e32 v14, v213, v14
	flat_store_dword v[150:151], v14
.LBB499_67:                             ;   in Loop: Header=BB499_53 Depth=1
	s_or_b64 exec, exec, s[30:31]
	v_lshrrev_b32_e32 v14, v10, v172
	v_and_b32_e32 v19, v14, v18
	v_lshl_add_u32 v14, v19, 2, v153
	v_lshlrev_b64 v[16:17], 2, v[14:15]
	v_add_co_u32_e64 v160, s[30:31], v1, v16
	v_addc_co_u32_e64 v161, s[30:31], v21, v17, s[30:31]
	; wave barrier
	flat_load_dword v215, v[160:161]
	v_and_b32_e32 v14, 1, v19
	v_add_co_u32_e64 v16, s[30:31], -1, v14
	v_addc_co_u32_e64 v17, s[30:31], 0, -1, s[30:31]
	v_cmp_ne_u32_e64 s[30:31], 0, v14
	v_xor_b32_e32 v16, s30, v16
	v_xor_b32_e32 v14, s31, v17
	v_and_b32_e32 v162, exec_lo, v16
	v_lshlrev_b32_e32 v17, 30, v19
	v_mov_b32_e32 v16, v15
	v_cmp_gt_i64_e64 s[30:31], 0, v[16:17]
	v_not_b32_e32 v16, v17
	v_ashrrev_i32_e32 v16, 31, v16
	v_and_b32_e32 v14, exec_hi, v14
	v_xor_b32_e32 v17, s31, v16
	v_xor_b32_e32 v16, s30, v16
	v_and_b32_e32 v14, v14, v17
	v_and_b32_e32 v162, v162, v16
	v_lshlrev_b32_e32 v17, 29, v19
	v_mov_b32_e32 v16, v15
	v_cmp_gt_i64_e64 s[30:31], 0, v[16:17]
	v_not_b32_e32 v16, v17
	v_ashrrev_i32_e32 v16, 31, v16
	v_xor_b32_e32 v17, s31, v16
	v_xor_b32_e32 v16, s30, v16
	v_and_b32_e32 v14, v14, v17
	v_and_b32_e32 v162, v162, v16
	v_lshlrev_b32_e32 v17, 28, v19
	v_mov_b32_e32 v16, v15
	v_cmp_gt_i64_e64 s[30:31], 0, v[16:17]
	v_not_b32_e32 v16, v17
	v_ashrrev_i32_e32 v16, 31, v16
	;; [unrolled: 9-line block ×6, first 2 shown]
	v_xor_b32_e32 v17, s31, v16
	v_xor_b32_e32 v16, s30, v16
	v_and_b32_e32 v16, v162, v16
	v_and_b32_e32 v17, v14, v17
	v_mbcnt_lo_u32_b32 v14, v16, 0
	v_mbcnt_hi_u32_b32 v224, v17, v14
	v_cmp_eq_u32_e64 s[30:31], 0, v224
	v_cmp_ne_u64_e64 s[36:37], 0, v[16:17]
	s_and_b64 s[36:37], s[36:37], s[30:31]
	; wave barrier
	s_and_saveexec_b64 s[30:31], s[36:37]
	s_cbranch_execz .LBB499_69
; %bb.68:                               ;   in Loop: Header=BB499_53 Depth=1
	v_bcnt_u32_b32 v14, v16, 0
	v_bcnt_u32_b32 v14, v17, v14
	s_waitcnt vmcnt(0) lgkmcnt(0)
	v_add_u32_e32 v14, v215, v14
	flat_store_dword v[160:161], v14
.LBB499_69:                             ;   in Loop: Header=BB499_53 Depth=1
	s_or_b64 exec, exec, s[30:31]
	v_lshrrev_b32_e32 v14, v10, v171
	v_and_b32_e32 v19, v14, v18
	v_lshl_add_u32 v14, v19, 2, v153
	v_lshlrev_b64 v[16:17], 2, v[14:15]
	v_add_co_u32_e64 v162, s[30:31], v1, v16
	v_addc_co_u32_e64 v163, s[30:31], v21, v17, s[30:31]
	; wave barrier
	flat_load_dword v225, v[162:163]
	v_and_b32_e32 v14, 1, v19
	v_add_co_u32_e64 v16, s[30:31], -1, v14
	v_addc_co_u32_e64 v17, s[30:31], 0, -1, s[30:31]
	v_cmp_ne_u32_e64 s[30:31], 0, v14
	v_xor_b32_e32 v16, s30, v16
	v_xor_b32_e32 v14, s31, v17
	v_and_b32_e32 v164, exec_lo, v16
	v_lshlrev_b32_e32 v17, 30, v19
	v_mov_b32_e32 v16, v15
	v_cmp_gt_i64_e64 s[30:31], 0, v[16:17]
	v_not_b32_e32 v16, v17
	v_ashrrev_i32_e32 v16, 31, v16
	v_and_b32_e32 v14, exec_hi, v14
	v_xor_b32_e32 v17, s31, v16
	v_xor_b32_e32 v16, s30, v16
	v_and_b32_e32 v14, v14, v17
	v_and_b32_e32 v164, v164, v16
	v_lshlrev_b32_e32 v17, 29, v19
	v_mov_b32_e32 v16, v15
	v_cmp_gt_i64_e64 s[30:31], 0, v[16:17]
	v_not_b32_e32 v16, v17
	v_ashrrev_i32_e32 v16, 31, v16
	v_xor_b32_e32 v17, s31, v16
	v_xor_b32_e32 v16, s30, v16
	v_and_b32_e32 v14, v14, v17
	v_and_b32_e32 v164, v164, v16
	v_lshlrev_b32_e32 v17, 28, v19
	v_mov_b32_e32 v16, v15
	v_cmp_gt_i64_e64 s[30:31], 0, v[16:17]
	v_not_b32_e32 v16, v17
	v_ashrrev_i32_e32 v16, 31, v16
	;; [unrolled: 9-line block ×6, first 2 shown]
	v_xor_b32_e32 v17, s31, v16
	v_xor_b32_e32 v16, s30, v16
	v_and_b32_e32 v16, v164, v16
	v_and_b32_e32 v17, v14, v17
	v_mbcnt_lo_u32_b32 v14, v16, 0
	v_mbcnt_hi_u32_b32 v226, v17, v14
	v_cmp_eq_u32_e64 s[30:31], 0, v226
	v_cmp_ne_u64_e64 s[36:37], 0, v[16:17]
	s_and_b64 s[36:37], s[36:37], s[30:31]
	; wave barrier
	s_and_saveexec_b64 s[30:31], s[36:37]
	s_cbranch_execz .LBB499_71
; %bb.70:                               ;   in Loop: Header=BB499_53 Depth=1
	v_bcnt_u32_b32 v14, v16, 0
	v_bcnt_u32_b32 v14, v17, v14
	s_waitcnt vmcnt(0) lgkmcnt(0)
	v_add_u32_e32 v14, v225, v14
	flat_store_dword v[162:163], v14
.LBB499_71:                             ;   in Loop: Header=BB499_53 Depth=1
	s_or_b64 exec, exec, s[30:31]
	v_lshrrev_b32_e32 v14, v10, v170
	v_and_b32_e32 v19, v14, v18
	v_lshl_add_u32 v14, v19, 2, v153
	v_lshlrev_b64 v[16:17], 2, v[14:15]
	v_add_co_u32_e64 v164, s[30:31], v1, v16
	v_addc_co_u32_e64 v165, s[30:31], v21, v17, s[30:31]
	; wave barrier
	flat_load_dword v227, v[164:165]
	v_and_b32_e32 v14, 1, v19
	v_add_co_u32_e64 v16, s[30:31], -1, v14
	v_addc_co_u32_e64 v17, s[30:31], 0, -1, s[30:31]
	v_cmp_ne_u32_e64 s[30:31], 0, v14
	v_xor_b32_e32 v16, s30, v16
	v_xor_b32_e32 v14, s31, v17
	v_and_b32_e32 v166, exec_lo, v16
	v_lshlrev_b32_e32 v17, 30, v19
	v_mov_b32_e32 v16, v15
	v_cmp_gt_i64_e64 s[30:31], 0, v[16:17]
	v_not_b32_e32 v16, v17
	v_ashrrev_i32_e32 v16, 31, v16
	v_and_b32_e32 v14, exec_hi, v14
	v_xor_b32_e32 v17, s31, v16
	v_xor_b32_e32 v16, s30, v16
	v_and_b32_e32 v14, v14, v17
	v_and_b32_e32 v166, v166, v16
	v_lshlrev_b32_e32 v17, 29, v19
	v_mov_b32_e32 v16, v15
	v_cmp_gt_i64_e64 s[30:31], 0, v[16:17]
	v_not_b32_e32 v16, v17
	v_ashrrev_i32_e32 v16, 31, v16
	v_xor_b32_e32 v17, s31, v16
	v_xor_b32_e32 v16, s30, v16
	v_and_b32_e32 v14, v14, v17
	v_and_b32_e32 v166, v166, v16
	v_lshlrev_b32_e32 v17, 28, v19
	v_mov_b32_e32 v16, v15
	v_cmp_gt_i64_e64 s[30:31], 0, v[16:17]
	v_not_b32_e32 v16, v17
	v_ashrrev_i32_e32 v16, 31, v16
	;; [unrolled: 9-line block ×6, first 2 shown]
	v_xor_b32_e32 v17, s31, v16
	v_xor_b32_e32 v16, s30, v16
	v_and_b32_e32 v16, v166, v16
	v_and_b32_e32 v17, v14, v17
	v_mbcnt_lo_u32_b32 v14, v16, 0
	v_mbcnt_hi_u32_b32 v228, v17, v14
	v_cmp_eq_u32_e64 s[30:31], 0, v228
	v_cmp_ne_u64_e64 s[36:37], 0, v[16:17]
	s_and_b64 s[36:37], s[36:37], s[30:31]
	; wave barrier
	s_and_saveexec_b64 s[30:31], s[36:37]
	s_cbranch_execz .LBB499_73
; %bb.72:                               ;   in Loop: Header=BB499_53 Depth=1
	v_bcnt_u32_b32 v14, v16, 0
	v_bcnt_u32_b32 v14, v17, v14
	s_waitcnt vmcnt(0) lgkmcnt(0)
	v_add_u32_e32 v14, v227, v14
	flat_store_dword v[164:165], v14
.LBB499_73:                             ;   in Loop: Header=BB499_53 Depth=1
	s_or_b64 exec, exec, s[30:31]
	v_lshrrev_b32_e32 v14, v10, v169
	v_and_b32_e32 v19, v14, v18
	v_lshl_add_u32 v14, v19, 2, v153
	v_lshlrev_b64 v[16:17], 2, v[14:15]
	v_add_co_u32_e64 v166, s[30:31], v1, v16
	v_addc_co_u32_e64 v167, s[30:31], v21, v17, s[30:31]
	; wave barrier
	flat_load_dword v229, v[166:167]
	v_and_b32_e32 v14, 1, v19
	v_add_co_u32_e64 v16, s[30:31], -1, v14
	v_addc_co_u32_e64 v17, s[30:31], 0, -1, s[30:31]
	v_cmp_ne_u32_e64 s[30:31], 0, v14
	v_xor_b32_e32 v16, s30, v16
	v_xor_b32_e32 v14, s31, v17
	v_and_b32_e32 v176, exec_lo, v16
	v_lshlrev_b32_e32 v17, 30, v19
	v_mov_b32_e32 v16, v15
	v_cmp_gt_i64_e64 s[30:31], 0, v[16:17]
	v_not_b32_e32 v16, v17
	v_ashrrev_i32_e32 v16, 31, v16
	v_and_b32_e32 v14, exec_hi, v14
	v_xor_b32_e32 v17, s31, v16
	v_xor_b32_e32 v16, s30, v16
	v_and_b32_e32 v14, v14, v17
	v_and_b32_e32 v176, v176, v16
	v_lshlrev_b32_e32 v17, 29, v19
	v_mov_b32_e32 v16, v15
	v_cmp_gt_i64_e64 s[30:31], 0, v[16:17]
	v_not_b32_e32 v16, v17
	v_ashrrev_i32_e32 v16, 31, v16
	v_xor_b32_e32 v17, s31, v16
	v_xor_b32_e32 v16, s30, v16
	v_and_b32_e32 v14, v14, v17
	v_and_b32_e32 v176, v176, v16
	v_lshlrev_b32_e32 v17, 28, v19
	v_mov_b32_e32 v16, v15
	v_cmp_gt_i64_e64 s[30:31], 0, v[16:17]
	v_not_b32_e32 v16, v17
	v_ashrrev_i32_e32 v16, 31, v16
	;; [unrolled: 9-line block ×6, first 2 shown]
	v_xor_b32_e32 v17, s31, v16
	v_xor_b32_e32 v16, s30, v16
	v_and_b32_e32 v16, v176, v16
	v_and_b32_e32 v17, v14, v17
	v_mbcnt_lo_u32_b32 v14, v16, 0
	v_mbcnt_hi_u32_b32 v230, v17, v14
	v_cmp_eq_u32_e64 s[30:31], 0, v230
	v_cmp_ne_u64_e64 s[36:37], 0, v[16:17]
	s_and_b64 s[36:37], s[36:37], s[30:31]
	; wave barrier
	s_and_saveexec_b64 s[30:31], s[36:37]
	s_cbranch_execz .LBB499_75
; %bb.74:                               ;   in Loop: Header=BB499_53 Depth=1
	v_bcnt_u32_b32 v14, v16, 0
	v_bcnt_u32_b32 v14, v17, v14
	s_waitcnt vmcnt(0) lgkmcnt(0)
	v_add_u32_e32 v14, v229, v14
	flat_store_dword v[166:167], v14
.LBB499_75:                             ;   in Loop: Header=BB499_53 Depth=1
	s_or_b64 exec, exec, s[30:31]
	v_lshrrev_b32_e32 v14, v10, v168
	v_and_b32_e32 v19, v14, v18
	v_lshl_add_u32 v14, v19, 2, v153
	v_lshlrev_b64 v[16:17], 2, v[14:15]
	v_add_co_u32_e64 v176, s[30:31], v1, v16
	v_addc_co_u32_e64 v177, s[30:31], v21, v17, s[30:31]
	; wave barrier
	flat_load_dword v231, v[176:177]
	v_and_b32_e32 v14, 1, v19
	v_add_co_u32_e64 v16, s[30:31], -1, v14
	v_addc_co_u32_e64 v17, s[30:31], 0, -1, s[30:31]
	v_cmp_ne_u32_e64 s[30:31], 0, v14
	v_xor_b32_e32 v16, s30, v16
	v_xor_b32_e32 v14, s31, v17
	v_and_b32_e32 v178, exec_lo, v16
	v_lshlrev_b32_e32 v17, 30, v19
	v_mov_b32_e32 v16, v15
	v_cmp_gt_i64_e64 s[30:31], 0, v[16:17]
	v_not_b32_e32 v16, v17
	v_ashrrev_i32_e32 v16, 31, v16
	v_and_b32_e32 v14, exec_hi, v14
	v_xor_b32_e32 v17, s31, v16
	v_xor_b32_e32 v16, s30, v16
	v_and_b32_e32 v14, v14, v17
	v_and_b32_e32 v178, v178, v16
	v_lshlrev_b32_e32 v17, 29, v19
	v_mov_b32_e32 v16, v15
	v_cmp_gt_i64_e64 s[30:31], 0, v[16:17]
	v_not_b32_e32 v16, v17
	v_ashrrev_i32_e32 v16, 31, v16
	v_xor_b32_e32 v17, s31, v16
	v_xor_b32_e32 v16, s30, v16
	v_and_b32_e32 v14, v14, v17
	v_and_b32_e32 v178, v178, v16
	v_lshlrev_b32_e32 v17, 28, v19
	v_mov_b32_e32 v16, v15
	v_cmp_gt_i64_e64 s[30:31], 0, v[16:17]
	v_not_b32_e32 v16, v17
	v_ashrrev_i32_e32 v16, 31, v16
	;; [unrolled: 9-line block ×6, first 2 shown]
	v_xor_b32_e32 v17, s31, v16
	v_xor_b32_e32 v16, s30, v16
	v_and_b32_e32 v16, v178, v16
	v_and_b32_e32 v17, v14, v17
	v_mbcnt_lo_u32_b32 v14, v16, 0
	v_mbcnt_hi_u32_b32 v240, v17, v14
	v_cmp_eq_u32_e64 s[30:31], 0, v240
	v_cmp_ne_u64_e64 s[36:37], 0, v[16:17]
	s_and_b64 s[36:37], s[36:37], s[30:31]
	; wave barrier
	s_and_saveexec_b64 s[30:31], s[36:37]
	s_cbranch_execz .LBB499_77
; %bb.76:                               ;   in Loop: Header=BB499_53 Depth=1
	v_bcnt_u32_b32 v14, v16, 0
	v_bcnt_u32_b32 v14, v17, v14
	s_waitcnt vmcnt(0) lgkmcnt(0)
	v_add_u32_e32 v14, v231, v14
	flat_store_dword v[176:177], v14
.LBB499_77:                             ;   in Loop: Header=BB499_53 Depth=1
	s_or_b64 exec, exec, s[30:31]
	v_lshrrev_b32_e32 v14, v10, v159
	v_and_b32_e32 v19, v14, v18
	v_lshl_add_u32 v14, v19, 2, v153
	v_lshlrev_b64 v[16:17], 2, v[14:15]
	v_add_co_u32_e64 v178, s[30:31], v1, v16
	v_addc_co_u32_e64 v179, s[30:31], v21, v17, s[30:31]
	; wave barrier
	flat_load_dword v241, v[178:179]
	v_and_b32_e32 v14, 1, v19
	v_add_co_u32_e64 v16, s[30:31], -1, v14
	v_addc_co_u32_e64 v17, s[30:31], 0, -1, s[30:31]
	v_cmp_ne_u32_e64 s[30:31], 0, v14
	v_xor_b32_e32 v16, s30, v16
	v_xor_b32_e32 v14, s31, v17
	v_and_b32_e32 v180, exec_lo, v16
	v_lshlrev_b32_e32 v17, 30, v19
	v_mov_b32_e32 v16, v15
	v_cmp_gt_i64_e64 s[30:31], 0, v[16:17]
	v_not_b32_e32 v16, v17
	v_ashrrev_i32_e32 v16, 31, v16
	v_and_b32_e32 v14, exec_hi, v14
	v_xor_b32_e32 v17, s31, v16
	v_xor_b32_e32 v16, s30, v16
	v_and_b32_e32 v14, v14, v17
	v_and_b32_e32 v180, v180, v16
	v_lshlrev_b32_e32 v17, 29, v19
	v_mov_b32_e32 v16, v15
	v_cmp_gt_i64_e64 s[30:31], 0, v[16:17]
	v_not_b32_e32 v16, v17
	v_ashrrev_i32_e32 v16, 31, v16
	v_xor_b32_e32 v17, s31, v16
	v_xor_b32_e32 v16, s30, v16
	v_and_b32_e32 v14, v14, v17
	v_and_b32_e32 v180, v180, v16
	v_lshlrev_b32_e32 v17, 28, v19
	v_mov_b32_e32 v16, v15
	v_cmp_gt_i64_e64 s[30:31], 0, v[16:17]
	v_not_b32_e32 v16, v17
	v_ashrrev_i32_e32 v16, 31, v16
	;; [unrolled: 9-line block ×6, first 2 shown]
	v_xor_b32_e32 v17, s31, v16
	v_xor_b32_e32 v16, s30, v16
	v_and_b32_e32 v16, v180, v16
	v_and_b32_e32 v17, v14, v17
	v_mbcnt_lo_u32_b32 v14, v16, 0
	v_mbcnt_hi_u32_b32 v242, v17, v14
	v_cmp_eq_u32_e64 s[30:31], 0, v242
	v_cmp_ne_u64_e64 s[36:37], 0, v[16:17]
	s_and_b64 s[36:37], s[36:37], s[30:31]
	; wave barrier
	s_and_saveexec_b64 s[30:31], s[36:37]
	s_cbranch_execz .LBB499_79
; %bb.78:                               ;   in Loop: Header=BB499_53 Depth=1
	v_bcnt_u32_b32 v14, v16, 0
	v_bcnt_u32_b32 v14, v17, v14
	s_waitcnt vmcnt(0) lgkmcnt(0)
	v_add_u32_e32 v14, v241, v14
	flat_store_dword v[178:179], v14
.LBB499_79:                             ;   in Loop: Header=BB499_53 Depth=1
	s_or_b64 exec, exec, s[30:31]
	v_lshrrev_b32_e32 v14, v10, v158
	v_and_b32_e32 v19, v14, v18
	v_lshl_add_u32 v14, v19, 2, v153
	v_lshlrev_b64 v[16:17], 2, v[14:15]
	v_add_co_u32_e64 v180, s[30:31], v1, v16
	v_addc_co_u32_e64 v181, s[30:31], v21, v17, s[30:31]
	; wave barrier
	flat_load_dword v243, v[180:181]
	v_and_b32_e32 v14, 1, v19
	v_add_co_u32_e64 v16, s[30:31], -1, v14
	v_addc_co_u32_e64 v17, s[30:31], 0, -1, s[30:31]
	v_cmp_ne_u32_e64 s[30:31], 0, v14
	v_xor_b32_e32 v16, s30, v16
	v_xor_b32_e32 v14, s31, v17
	v_and_b32_e32 v182, exec_lo, v16
	v_lshlrev_b32_e32 v17, 30, v19
	v_mov_b32_e32 v16, v15
	v_cmp_gt_i64_e64 s[30:31], 0, v[16:17]
	v_not_b32_e32 v16, v17
	v_ashrrev_i32_e32 v16, 31, v16
	v_and_b32_e32 v14, exec_hi, v14
	v_xor_b32_e32 v17, s31, v16
	v_xor_b32_e32 v16, s30, v16
	v_and_b32_e32 v14, v14, v17
	v_and_b32_e32 v182, v182, v16
	v_lshlrev_b32_e32 v17, 29, v19
	v_mov_b32_e32 v16, v15
	v_cmp_gt_i64_e64 s[30:31], 0, v[16:17]
	v_not_b32_e32 v16, v17
	v_ashrrev_i32_e32 v16, 31, v16
	v_xor_b32_e32 v17, s31, v16
	v_xor_b32_e32 v16, s30, v16
	v_and_b32_e32 v14, v14, v17
	v_and_b32_e32 v182, v182, v16
	v_lshlrev_b32_e32 v17, 28, v19
	v_mov_b32_e32 v16, v15
	v_cmp_gt_i64_e64 s[30:31], 0, v[16:17]
	v_not_b32_e32 v16, v17
	v_ashrrev_i32_e32 v16, 31, v16
	;; [unrolled: 9-line block ×6, first 2 shown]
	v_xor_b32_e32 v17, s31, v16
	v_xor_b32_e32 v16, s30, v16
	v_and_b32_e32 v16, v182, v16
	v_and_b32_e32 v17, v14, v17
	v_mbcnt_lo_u32_b32 v14, v16, 0
	v_mbcnt_hi_u32_b32 v244, v17, v14
	v_cmp_eq_u32_e64 s[30:31], 0, v244
	v_cmp_ne_u64_e64 s[36:37], 0, v[16:17]
	s_and_b64 s[36:37], s[36:37], s[30:31]
	; wave barrier
	s_and_saveexec_b64 s[30:31], s[36:37]
	s_cbranch_execz .LBB499_81
; %bb.80:                               ;   in Loop: Header=BB499_53 Depth=1
	v_bcnt_u32_b32 v14, v16, 0
	v_bcnt_u32_b32 v14, v17, v14
	s_waitcnt vmcnt(0) lgkmcnt(0)
	v_add_u32_e32 v14, v243, v14
	flat_store_dword v[180:181], v14
.LBB499_81:                             ;   in Loop: Header=BB499_53 Depth=1
	s_or_b64 exec, exec, s[30:31]
	v_lshrrev_b32_e32 v14, v10, v157
	v_and_b32_e32 v19, v14, v18
	v_lshl_add_u32 v14, v19, 2, v153
	v_lshlrev_b64 v[16:17], 2, v[14:15]
	v_add_co_u32_e64 v182, s[30:31], v1, v16
	v_addc_co_u32_e64 v183, s[30:31], v21, v17, s[30:31]
	; wave barrier
	flat_load_dword v245, v[182:183]
	v_and_b32_e32 v14, 1, v19
	v_add_co_u32_e64 v16, s[30:31], -1, v14
	v_addc_co_u32_e64 v17, s[30:31], 0, -1, s[30:31]
	v_cmp_ne_u32_e64 s[30:31], 0, v14
	v_xor_b32_e32 v16, s30, v16
	v_xor_b32_e32 v14, s31, v17
	v_and_b32_e32 v192, exec_lo, v16
	v_lshlrev_b32_e32 v17, 30, v19
	v_mov_b32_e32 v16, v15
	v_cmp_gt_i64_e64 s[30:31], 0, v[16:17]
	v_not_b32_e32 v16, v17
	v_ashrrev_i32_e32 v16, 31, v16
	v_and_b32_e32 v14, exec_hi, v14
	v_xor_b32_e32 v17, s31, v16
	v_xor_b32_e32 v16, s30, v16
	v_and_b32_e32 v14, v14, v17
	v_and_b32_e32 v192, v192, v16
	v_lshlrev_b32_e32 v17, 29, v19
	v_mov_b32_e32 v16, v15
	v_cmp_gt_i64_e64 s[30:31], 0, v[16:17]
	v_not_b32_e32 v16, v17
	v_ashrrev_i32_e32 v16, 31, v16
	v_xor_b32_e32 v17, s31, v16
	v_xor_b32_e32 v16, s30, v16
	v_and_b32_e32 v14, v14, v17
	v_and_b32_e32 v192, v192, v16
	v_lshlrev_b32_e32 v17, 28, v19
	v_mov_b32_e32 v16, v15
	v_cmp_gt_i64_e64 s[30:31], 0, v[16:17]
	v_not_b32_e32 v16, v17
	v_ashrrev_i32_e32 v16, 31, v16
	;; [unrolled: 9-line block ×6, first 2 shown]
	v_xor_b32_e32 v17, s31, v16
	v_xor_b32_e32 v16, s30, v16
	v_and_b32_e32 v16, v192, v16
	v_and_b32_e32 v17, v14, v17
	v_mbcnt_lo_u32_b32 v14, v16, 0
	v_mbcnt_hi_u32_b32 v246, v17, v14
	v_cmp_eq_u32_e64 s[30:31], 0, v246
	v_cmp_ne_u64_e64 s[36:37], 0, v[16:17]
	s_and_b64 s[36:37], s[36:37], s[30:31]
	; wave barrier
	s_and_saveexec_b64 s[30:31], s[36:37]
	s_cbranch_execz .LBB499_83
; %bb.82:                               ;   in Loop: Header=BB499_53 Depth=1
	v_bcnt_u32_b32 v14, v16, 0
	v_bcnt_u32_b32 v14, v17, v14
	s_waitcnt vmcnt(0) lgkmcnt(0)
	v_add_u32_e32 v14, v245, v14
	flat_store_dword v[182:183], v14
.LBB499_83:                             ;   in Loop: Header=BB499_53 Depth=1
	s_or_b64 exec, exec, s[30:31]
	v_lshrrev_b32_e32 v14, v10, v156
	v_and_b32_e32 v18, v14, v18
	v_lshl_add_u32 v14, v18, 2, v153
	v_lshlrev_b64 v[16:17], 2, v[14:15]
	v_add_co_u32_e64 v192, s[30:31], v1, v16
	v_addc_co_u32_e64 v193, s[30:31], v21, v17, s[30:31]
	; wave barrier
	flat_load_dword v247, v[192:193]
	v_and_b32_e32 v14, 1, v18
	v_add_co_u32_e64 v16, s[30:31], -1, v14
	v_addc_co_u32_e64 v17, s[30:31], 0, -1, s[30:31]
	v_cmp_ne_u32_e64 s[30:31], 0, v14
	v_xor_b32_e32 v16, s30, v16
	v_xor_b32_e32 v14, s31, v17
	v_and_b32_e32 v19, exec_lo, v16
	v_lshlrev_b32_e32 v17, 30, v18
	v_mov_b32_e32 v16, v15
	v_cmp_gt_i64_e64 s[30:31], 0, v[16:17]
	v_not_b32_e32 v16, v17
	v_ashrrev_i32_e32 v16, 31, v16
	v_and_b32_e32 v14, exec_hi, v14
	v_xor_b32_e32 v17, s31, v16
	v_xor_b32_e32 v16, s30, v16
	v_and_b32_e32 v14, v14, v17
	v_and_b32_e32 v19, v19, v16
	v_lshlrev_b32_e32 v17, 29, v18
	v_mov_b32_e32 v16, v15
	v_cmp_gt_i64_e64 s[30:31], 0, v[16:17]
	v_not_b32_e32 v16, v17
	v_ashrrev_i32_e32 v16, 31, v16
	v_xor_b32_e32 v17, s31, v16
	v_xor_b32_e32 v16, s30, v16
	v_and_b32_e32 v14, v14, v17
	v_and_b32_e32 v19, v19, v16
	v_lshlrev_b32_e32 v17, 28, v18
	v_mov_b32_e32 v16, v15
	v_cmp_gt_i64_e64 s[30:31], 0, v[16:17]
	v_not_b32_e32 v16, v17
	v_ashrrev_i32_e32 v16, 31, v16
	;; [unrolled: 9-line block ×6, first 2 shown]
	v_xor_b32_e32 v17, s31, v16
	v_xor_b32_e32 v16, s30, v16
	v_and_b32_e32 v16, v19, v16
	v_and_b32_e32 v17, v14, v17
	v_mbcnt_lo_u32_b32 v14, v16, 0
	v_mbcnt_hi_u32_b32 v40, v17, v14
	v_cmp_eq_u32_e64 s[30:31], 0, v40
	v_cmp_ne_u64_e64 s[36:37], 0, v[16:17]
	s_and_b64 s[36:37], s[36:37], s[30:31]
	; wave barrier
	s_and_saveexec_b64 s[30:31], s[36:37]
	s_cbranch_execz .LBB499_85
; %bb.84:                               ;   in Loop: Header=BB499_53 Depth=1
	v_bcnt_u32_b32 v14, v16, 0
	v_bcnt_u32_b32 v14, v17, v14
	s_waitcnt vmcnt(0) lgkmcnt(0)
	v_add_u32_e32 v14, v247, v14
	flat_store_dword v[192:193], v14
.LBB499_85:                             ;   in Loop: Header=BB499_53 Depth=1
	s_or_b64 exec, exec, s[30:31]
	; wave barrier
	s_waitcnt lgkmcnt(0)
	s_barrier
	flat_load_dwordx4 v[16:19], v[48:49] offset:16
	s_waitcnt vmcnt(0) lgkmcnt(0)
	v_add_u32_e32 v14, v17, v16
	v_add3_u32 v14, v14, v18, v19
	s_nop 1
	v_mov_b32_dpp v19, v14 row_shr:1 row_mask:0xf bank_mask:0xf
	v_cndmask_b32_e64 v19, v19, 0, vcc
	v_add_u32_e32 v14, v19, v14
	s_nop 1
	v_mov_b32_dpp v19, v14 row_shr:2 row_mask:0xf bank_mask:0xf
	v_cndmask_b32_e64 v19, 0, v19, s[4:5]
	v_add_u32_e32 v14, v14, v19
	s_nop 1
	v_mov_b32_dpp v19, v14 row_shr:4 row_mask:0xf bank_mask:0xf
	v_cndmask_b32_e64 v19, 0, v19, s[6:7]
	;; [unrolled: 4-line block ×3, first 2 shown]
	v_add_u32_e32 v14, v14, v19
	s_nop 1
	v_mov_b32_dpp v19, v14 row_bcast:15 row_mask:0xf bank_mask:0xf
	v_cndmask_b32_e64 v19, v19, 0, s[34:35]
	v_add_u32_e32 v14, v14, v19
	s_nop 1
	v_mov_b32_dpp v19, v14 row_bcast:31 row_mask:0xf bank_mask:0xf
	v_cndmask_b32_e64 v19, 0, v19, s[14:15]
	v_add_u32_e32 v14, v14, v19
	s_and_saveexec_b64 s[30:31], s[16:17]
	s_cbranch_execz .LBB499_87
; %bb.86:                               ;   in Loop: Header=BB499_53 Depth=1
	flat_store_dword v[70:71], v14
.LBB499_87:                             ;   in Loop: Header=BB499_53 Depth=1
	s_or_b64 exec, exec, s[30:31]
	s_waitcnt lgkmcnt(0)
	s_barrier
	s_and_saveexec_b64 s[30:31], s[18:19]
	s_cbranch_execz .LBB499_89
; %bb.88:                               ;   in Loop: Header=BB499_53 Depth=1
	flat_load_dword v19, v[4:5]
	s_waitcnt vmcnt(0) lgkmcnt(0)
	s_nop 0
	v_mov_b32_dpp v41, v19 row_shr:1 row_mask:0xf bank_mask:0xf
	v_cndmask_b32_e64 v41, v41, 0, s[26:27]
	v_add_u32_e32 v19, v41, v19
	s_nop 1
	v_mov_b32_dpp v41, v19 row_shr:2 row_mask:0xf bank_mask:0xf
	v_cndmask_b32_e64 v41, 0, v41, s[28:29]
	v_add_u32_e32 v19, v19, v41
	flat_store_dword v[4:5], v19
.LBB499_89:                             ;   in Loop: Header=BB499_53 Depth=1
	s_or_b64 exec, exec, s[30:31]
	v_mov_b32_e32 v19, 0
	s_waitcnt lgkmcnt(0)
	s_barrier
	s_and_saveexec_b64 s[30:31], s[20:21]
	s_cbranch_execz .LBB499_91
; %bb.90:                               ;   in Loop: Header=BB499_53 Depth=1
	flat_load_dword v19, v[84:85]
.LBB499_91:                             ;   in Loop: Header=BB499_53 Depth=1
	s_or_b64 exec, exec, s[30:31]
	s_waitcnt vmcnt(0) lgkmcnt(0)
	v_add_u32_e32 v14, v19, v14
	ds_bpermute_b32 v14, v154, v14
	v_add_u32_e32 v10, 8, v10
	v_cmp_lt_u32_e64 s[30:31], v10, v11
	s_mov_b64 s[40:41], -1
                                        ; implicit-def: $agpr0_agpr1
                                        ; implicit-def: $agpr2_agpr3
                                        ; implicit-def: $vgpr188
                                        ; implicit-def: $vgpr189
                                        ; implicit-def: $vgpr190
                                        ; implicit-def: $vgpr191
                                        ; implicit-def: $vgpr200
                                        ; implicit-def: $vgpr201
                                        ; implicit-def: $vgpr202
                                        ; implicit-def: $vgpr203
                                        ; implicit-def: $vgpr204
                                        ; implicit-def: $vgpr205
                                        ; implicit-def: $vgpr206
                                        ; implicit-def: $vgpr207
                                        ; implicit-def: $vgpr216
                                        ; implicit-def: $vgpr217
                                        ; implicit-def: $vgpr218
                                        ; implicit-def: $vgpr219
	s_waitcnt lgkmcnt(0)
	v_cndmask_b32_e64 v14, v14, v19, s[22:23]
	v_cndmask_b32_e64 v42, v14, 0, s[24:25]
	v_add_u32_e32 v43, v42, v16
	v_add_u32_e32 v44, v43, v17
	;; [unrolled: 1-line block ×3, first 2 shown]
	flat_store_dwordx4 v[48:49], v[42:45] offset:16
	s_waitcnt lgkmcnt(0)
	s_barrier
	flat_load_dword v14, v[130:131]
	flat_load_dword v16, v[132:133]
	;; [unrolled: 1-line block ×5, first 2 shown]
	s_nop 0
	flat_load_dword v130, v[148:149]
	flat_load_dword v131, v[150:151]
	;; [unrolled: 1-line block ×10, first 2 shown]
	s_nop 0
	flat_load_dword v163, v[192:193]
	v_mov_b32_e32 v149, v15
	v_mov_b32_e32 v151, v15
	;; [unrolled: 1-line block ×9, first 2 shown]
	s_waitcnt lgkmcnt(0)
                                        ; implicit-def: $vgpr192_vgpr193
	s_waitcnt vmcnt(0) lgkmcnt(0)
	v_add_u32_e32 v14, v14, v194
	v_lshlrev_b64 v[142:143], 2, v[14:15]
	v_add3_u32 v148, v196, v195, v16
	v_lshlrev_b64 v[136:137], 2, v[148:149]
	v_add3_u32 v150, v198, v197, v17
	;; [unrolled: 2-line block ×4, first 2 shown]
	v_add3_u32 v194, v228, v227, v134
	v_add3_u32 v182, v230, v229, v135
	v_add_co_u32_e64 v230, s[36:37], v12, v142
	v_add3_u32 v162, v240, v231, v144
	v_addc_co_u32_e64 v231, s[36:37], v13, v143, s[36:37]
	v_add_co_u32_e64 v240, s[36:37], v12, v136
	v_add3_u32 v144, v242, v241, v145
	v_addc_co_u32_e64 v241, s[36:37], v13, v137, s[36:37]
	;; [unrolled: 3-line block ×3, first 2 shown]
	v_add_co_u32_e64 v244, s[36:37], v12, v108
	v_add3_u32 v178, v224, v215, v132
	v_add3_u32 v132, v246, v245, v147
	v_lshlrev_b64 v[94:95], 2, v[164:165]
	v_addc_co_u32_e64 v245, s[36:37], v13, v109, s[36:37]
	v_add3_u32 v166, v212, v211, v130
	v_add3_u32 v18, v40, v247, v163
	v_add_co_u32_e64 v40, s[36:37], v12, v94
	v_lshlrev_b64 v[92:93], 2, v[166:167]
	v_addc_co_u32_e64 v41, s[36:37], v13, v95, s[36:37]
	v_add3_u32 v176, v214, v213, v131
	v_add_co_u32_e64 v42, s[36:37], v12, v92
	v_lshlrev_b64 v[90:91], 2, v[176:177]
	v_addc_co_u32_e64 v43, s[36:37], v13, v93, s[36:37]
	v_add_co_u32_e64 v44, s[36:37], v12, v90
	v_lshlrev_b64 v[88:89], 2, v[178:179]
	v_addc_co_u32_e64 v45, s[36:37], v13, v91, s[36:37]
	v_add3_u32 v180, v226, v225, v133
	v_add_co_u32_e64 v46, s[36:37], v12, v88
	v_addc_co_u32_e64 v47, s[36:37], v13, v89, s[36:37]
	v_lshlrev_b64 v[104:105], 2, v[180:181]
	v_add_co_u32_e64 v56, s[36:37], v12, v104
	v_mov_b32_e32 v195, v15
	v_addc_co_u32_e64 v57, s[36:37], v13, v105, s[36:37]
	v_lshlrev_b64 v[106:107], 2, v[194:195]
	v_add_co_u32_e64 v58, s[36:37], v12, v106
	v_addc_co_u32_e64 v59, s[36:37], v13, v107, s[36:37]
	v_lshlrev_b64 v[110:111], 2, v[182:183]
	v_add_co_u32_e64 v60, s[36:37], v12, v110
	v_mov_b32_e32 v163, v15
	v_addc_co_u32_e64 v61, s[36:37], v13, v111, s[36:37]
	v_lshlrev_b64 v[120:121], 2, v[162:163]
	v_add_co_u32_e64 v62, s[36:37], v12, v120
	v_mov_b32_e32 v145, v15
	;; [unrolled: 4-line block ×5, first 2 shown]
	v_addc_co_u32_e64 v77, s[36:37], v13, v139, s[36:37]
	v_lshlrev_b64 v[140:141], 2, v[18:19]
	v_add_co_u32_e64 v78, s[36:37], v12, v140
	v_addc_co_u32_e64 v79, s[36:37], v13, v141, s[36:37]
                                        ; implicit-def: $vgpr16_vgpr17
                                        ; implicit-def: $vgpr130_vgpr131
                                        ; implicit-def: $vgpr146_vgpr147
                                        ; implicit-def: $vgpr196_vgpr197
                                        ; implicit-def: $vgpr198_vgpr199
                                        ; implicit-def: $vgpr208_vgpr209
                                        ; implicit-def: $vgpr210_vgpr211
                                        ; implicit-def: $vgpr212_vgpr213
                                        ; implicit-def: $vgpr214_vgpr215
                                        ; implicit-def: $vgpr224_vgpr225
                                        ; implicit-def: $vgpr226_vgpr227
                                        ; implicit-def: $vgpr228_vgpr229
                                        ; implicit-def: $vgpr246_vgpr247
	s_and_saveexec_b64 s[36:37], s[30:31]
	s_cbranch_execz .LBB499_52
; %bb.92:                               ;   in Loop: Header=BB499_53 Depth=1
	v_add_co_u32_e64 v16, s[30:31], v230, v142
	v_addc_co_u32_e64 v17, s[30:31], v231, v143, s[30:31]
	s_barrier
	flat_store_dword v[230:231], v187
	flat_store_dword v[240:241], v186
	;; [unrolled: 1-line block ×16, first 2 shown]
	s_waitcnt lgkmcnt(0)
	s_barrier
	flat_load_dword v188, v[86:87]
	flat_load_dword v189, v[86:87] offset:256
	flat_load_dword v190, v[86:87] offset:512
	;; [unrolled: 1-line block ×15, first 2 shown]
	s_waitcnt lgkmcnt(0)
	s_barrier
	flat_store_dwordx2 v[16:17], v[82:83]
	v_add_co_u32_e64 v16, s[30:31], v240, v136
	v_addc_co_u32_e64 v17, s[30:31], v241, v137, s[30:31]
	flat_store_dwordx2 v[16:17], v[80:81]
	v_add_co_u32_e64 v16, s[30:31], v242, v122
	v_addc_co_u32_e64 v17, s[30:31], v243, v123, s[30:31]
	;; [unrolled: 3-line block ×15, first 2 shown]
	flat_store_dwordx2 v[16:17], v[24:25]
	s_waitcnt lgkmcnt(0)
	s_barrier
	flat_load_dwordx2 v[16:17], v[96:97]
	flat_load_dwordx2 v[130:131], v[96:97] offset:512
	flat_load_dwordx2 v[146:147], v[96:97] offset:1024
	;; [unrolled: 1-line block ×7, first 2 shown]
	flat_load_dwordx2 v[212:213], v[98:99]
	flat_load_dwordx2 v[214:215], v[100:101]
	;; [unrolled: 1-line block ×8, first 2 shown]
	v_add_u32_e32 v155, -8, v155
	s_xor_b64 s[40:41], exec, -1
	s_waitcnt lgkmcnt(0)
	s_barrier
	s_branch .LBB499_52
.LBB499_93:
	s_or_b64 exec, exec, s[38:39]
	v_or_b32_e32 v1, 0x400, v20
	v_lshlrev_b32_e32 v10, 2, v1
	v_add_co_u32_e32 v10, vcc, v12, v10
	v_addc_co_u32_e32 v11, vcc, 0, v13, vcc
	s_movk_i32 s4, 0x1000
	s_waitcnt vmcnt(0)
	v_add_co_u32_e32 v16, vcc, s4, v4
	v_or_b32_e32 v113, 0x800, v20
	s_barrier
	flat_store_dword v[230:231], v187
	flat_store_dword v[240:241], v186
	;; [unrolled: 1-line block ×16, first 2 shown]
	s_waitcnt lgkmcnt(0)
	s_barrier
	v_addc_co_u32_e32 v17, vcc, 0, v5, vcc
	flat_load_dword v112, v[4:5]
	flat_load_dword v103, v[4:5] offset:1024
	flat_load_dword v102, v[4:5] offset:2048
	;; [unrolled: 1-line block ×3, first 2 shown]
	flat_load_dword v100, v[10:11]
	flat_load_dword v99, v[16:17] offset:1024
	flat_load_dword v97, v[16:17] offset:2048
	;; [unrolled: 1-line block ×3, first 2 shown]
	v_lshlrev_b32_e32 v10, 2, v113
	v_add_co_u32_e32 v10, vcc, v12, v10
	v_addc_co_u32_e32 v11, vcc, 0, v13, vcc
	s_movk_i32 s5, 0x2000
	v_add_co_u32_e32 v16, vcc, s5, v4
	v_or_b32_e32 v116, 0xc00, v20
	v_addc_co_u32_e32 v17, vcc, 0, v5, vcc
	v_lshlrev_b32_e32 v21, 2, v116
	v_add_co_u32_e32 v48, vcc, v12, v21
	v_addc_co_u32_e32 v49, vcc, 0, v13, vcc
	s_movk_i32 s6, 0x3000
	v_add_co_u32_e32 v114, vcc, s6, v4
	v_addc_co_u32_e32 v115, vcc, 0, v5, vcc
	s_movk_i32 s7, 0x3c00
	v_add_co_u32_e32 v117, vcc, s7, v4
	v_addc_co_u32_e32 v118, vcc, 0, v5, vcc
	v_lshlrev_b64 v[4:5], 3, v[14:15]
	v_add_co_u32_e32 v4, vcc, v12, v4
	v_addc_co_u32_e32 v5, vcc, v13, v5, vcc
	flat_load_dword v98, v[10:11]
	flat_load_dword v96, v[16:17] offset:1024
	flat_load_dword v86, v[16:17] offset:2048
	;; [unrolled: 1-line block ×3, first 2 shown]
	flat_load_dword v84, v[48:49]
	flat_load_dword v71, v[114:115] offset:1024
	flat_load_dword v70, v[114:115] offset:2048
	;; [unrolled: 1-line block ×3, first 2 shown]
	s_waitcnt lgkmcnt(0)
	s_barrier
	flat_store_dwordx2 v[4:5], v[82:83]
	v_lshlrev_b64 v[4:5], 3, v[148:149]
	v_add_co_u32_e32 v4, vcc, v12, v4
	v_addc_co_u32_e32 v5, vcc, v13, v5, vcc
	flat_store_dwordx2 v[4:5], v[80:81]
	v_lshlrev_b64 v[4:5], 3, v[150:151]
	v_add_co_u32_e32 v4, vcc, v12, v4
	v_addc_co_u32_e32 v5, vcc, v13, v5, vcc
	;; [unrolled: 4-line block ×15, first 2 shown]
	flat_store_dwordx2 v[4:5], v[24:25]
	v_lshlrev_b32_e32 v4, 3, v20
	v_add_co_u32_e32 v4, vcc, v12, v4
	v_addc_co_u32_e32 v5, vcc, 0, v13, vcc
	v_add_co_u32_e32 v10, vcc, s4, v4
	v_addc_co_u32_e32 v11, vcc, 0, v5, vcc
	v_lshlrev_b32_e32 v1, 3, v1
	s_waitcnt lgkmcnt(0)
	s_barrier
	flat_load_dwordx2 v[50:51], v[4:5]
	flat_load_dwordx2 v[48:49], v[4:5] offset:2048
	flat_load_dwordx2 v[38:39], v[10:11]
	flat_load_dwordx2 v[34:35], v[10:11] offset:2048
	v_add_co_u32_e32 v10, vcc, v12, v1
	v_addc_co_u32_e32 v11, vcc, 0, v13, vcc
	v_add_co_u32_e32 v14, vcc, s5, v4
	v_addc_co_u32_e32 v15, vcc, 0, v5, vcc
	;; [unrolled: 2-line block ×3, first 2 shown]
	v_lshlrev_b32_e32 v1, 3, v113
	flat_load_dwordx2 v[36:37], v[10:11]
	flat_load_dwordx2 v[32:33], v[14:15] offset:2048
	flat_load_dwordx2 v[30:31], v[16:17]
	flat_load_dwordx2 v[26:27], v[16:17] offset:2048
	v_add_co_u32_e32 v10, vcc, v12, v1
	v_addc_co_u32_e32 v11, vcc, 0, v13, vcc
	s_movk_i32 s4, 0x4000
	v_add_co_u32_e32 v16, vcc, s4, v4
	v_addc_co_u32_e32 v17, vcc, 0, v5, vcc
	s_movk_i32 s4, 0x5000
	v_add_co_u32_e32 v52, vcc, s4, v4
	v_addc_co_u32_e32 v53, vcc, 0, v5, vcc
	v_lshlrev_b32_e32 v1, 3, v116
	flat_load_dwordx2 v[28:29], v[10:11]
	flat_load_dwordx2 v[24:25], v[16:17] offset:2048
	flat_load_dwordx2 v[18:19], v[52:53]
	flat_load_dwordx2 v[14:15], v[52:53] offset:2048
	v_add_co_u32_e32 v52, vcc, v12, v1
	v_addc_co_u32_e32 v53, vcc, 0, v13, vcc
	s_movk_i32 s4, 0x6000
	v_add_co_u32_e32 v54, vcc, s4, v4
	v_addc_co_u32_e32 v55, vcc, 0, v5, vcc
	s_movk_i32 s4, 0x7000
	v_add_co_u32_e32 v64, vcc, s4, v4
	v_mov_b32_e32 v1, 0x3c00
	v_addc_co_u32_e32 v65, vcc, 0, v5, vcc
	v_lshl_add_u32 v1, v20, 2, v1
	v_add_co_u32_e32 v66, vcc, v117, v1
	v_addc_co_u32_e32 v67, vcc, 0, v118, vcc
	flat_load_dwordx2 v[16:17], v[52:53]
	flat_load_dwordx2 v[12:13], v[54:55] offset:2048
	flat_load_dwordx2 v[10:11], v[64:65]
	flat_load_dwordx2 v[4:5], v[66:67]
	v_mov_b32_e32 v1, 0
	v_add_co_u32_e32 v20, vcc, v2, v22
	v_addc_co_u32_e32 v22, vcc, v3, v23, vcc
	v_lshlrev_b64 v[2:3], 2, v[0:1]
	v_add_co_u32_e32 v2, vcc, v20, v2
	v_addc_co_u32_e32 v3, vcc, v22, v3, vcc
	v_cmp_lt_u32_e64 s[4:5], v0, v152
	s_waitcnt lgkmcnt(0)
	s_barrier
	s_and_saveexec_b64 s[6:7], s[4:5]
	s_cbranch_execz .LBB499_95
; %bb.94:
	s_waitcnt vmcnt(0)
	v_xor_b32_e32 v20, 0x7fffffff, v112
	flat_store_dword v[2:3], v20
.LBB499_95:
	s_or_b64 exec, exec, s[6:7]
	v_add_u32_e32 v20, 0x100, v0
	v_cmp_lt_u32_e64 s[10:11], v20, v152
	s_and_saveexec_b64 s[6:7], s[10:11]
	s_cbranch_execz .LBB499_97
; %bb.96:
	s_waitcnt vmcnt(0)
	v_xor_b32_e32 v20, 0x7fffffff, v103
	flat_store_dword v[2:3], v20 offset:1024
.LBB499_97:
	s_or_b64 exec, exec, s[6:7]
	v_add_u32_e32 v20, 0x200, v0
	v_cmp_lt_u32_e64 s[16:17], v20, v152
	s_and_saveexec_b64 s[6:7], s[16:17]
	s_cbranch_execz .LBB499_99
; %bb.98:
	s_waitcnt vmcnt(0)
	v_xor_b32_e32 v20, 0x7fffffff, v102
	flat_store_dword v[2:3], v20 offset:2048
.LBB499_99:
	s_or_b64 exec, exec, s[6:7]
	v_add_u32_e32 v20, 0x300, v0
	v_cmp_lt_u32_e64 s[40:41], v20, v152
	s_and_saveexec_b64 s[6:7], s[40:41]
	s_cbranch_execz .LBB499_101
; %bb.100:
	s_waitcnt vmcnt(0)
	v_xor_b32_e32 v20, 0x7fffffff, v101
	flat_store_dword v[2:3], v20 offset:3072
.LBB499_101:
	s_or_b64 exec, exec, s[6:7]
	v_add_u32_e32 v20, 0x400, v0
	v_cmp_lt_u32_e64 s[6:7], v20, v152
	s_and_saveexec_b64 s[14:15], s[6:7]
	s_cbranch_execz .LBB499_103
; %bb.102:
	v_add_co_u32_e32 v22, vcc, 0x1000, v2
	s_waitcnt vmcnt(0)
	v_xor_b32_e32 v20, 0x7fffffff, v100
	v_addc_co_u32_e32 v23, vcc, 0, v3, vcc
	flat_store_dword v[22:23], v20
.LBB499_103:
	s_or_b64 exec, exec, s[14:15]
	v_add_u32_e32 v20, 0x500, v0
	v_cmp_lt_u32_e64 s[14:15], v20, v152
	s_and_saveexec_b64 s[18:19], s[14:15]
	s_cbranch_execz .LBB499_105
; %bb.104:
	v_add_co_u32_e32 v22, vcc, 0x1000, v2
	s_waitcnt vmcnt(0)
	v_xor_b32_e32 v20, 0x7fffffff, v99
	v_addc_co_u32_e32 v23, vcc, 0, v3, vcc
	flat_store_dword v[22:23], v20 offset:1024
.LBB499_105:
	s_or_b64 exec, exec, s[18:19]
	v_add_u32_e32 v20, 0x600, v0
	v_cmp_lt_u32_e64 s[18:19], v20, v152
	s_and_saveexec_b64 s[20:21], s[18:19]
	s_cbranch_execz .LBB499_107
; %bb.106:
	v_add_co_u32_e32 v22, vcc, 0x1000, v2
	s_waitcnt vmcnt(0)
	v_xor_b32_e32 v20, 0x7fffffff, v97
	v_addc_co_u32_e32 v23, vcc, 0, v3, vcc
	flat_store_dword v[22:23], v20 offset:2048
.LBB499_107:
	s_or_b64 exec, exec, s[20:21]
	v_add_u32_e32 v20, 0x700, v0
	v_cmp_lt_u32_e64 s[20:21], v20, v152
	s_and_saveexec_b64 s[22:23], s[20:21]
	s_cbranch_execz .LBB499_109
; %bb.108:
	v_add_co_u32_e32 v22, vcc, 0x1000, v2
	s_waitcnt vmcnt(0)
	v_xor_b32_e32 v20, 0x7fffffff, v87
	v_addc_co_u32_e32 v23, vcc, 0, v3, vcc
	flat_store_dword v[22:23], v20 offset:3072
.LBB499_109:
	s_or_b64 exec, exec, s[22:23]
	v_add_u32_e32 v20, 0x800, v0
	v_cmp_lt_u32_e64 s[22:23], v20, v152
	s_and_saveexec_b64 s[24:25], s[22:23]
	s_cbranch_execz .LBB499_111
; %bb.110:
	v_add_co_u32_e32 v22, vcc, 0x2000, v2
	s_waitcnt vmcnt(0)
	v_xor_b32_e32 v20, 0x7fffffff, v98
	v_addc_co_u32_e32 v23, vcc, 0, v3, vcc
	flat_store_dword v[22:23], v20
.LBB499_111:
	s_or_b64 exec, exec, s[24:25]
	v_add_u32_e32 v20, 0x900, v0
	v_cmp_lt_u32_e64 s[24:25], v20, v152
	s_and_saveexec_b64 s[26:27], s[24:25]
	s_cbranch_execz .LBB499_113
; %bb.112:
	v_add_co_u32_e32 v22, vcc, 0x2000, v2
	s_waitcnt vmcnt(0)
	v_xor_b32_e32 v20, 0x7fffffff, v96
	v_addc_co_u32_e32 v23, vcc, 0, v3, vcc
	flat_store_dword v[22:23], v20 offset:1024
.LBB499_113:
	s_or_b64 exec, exec, s[26:27]
	v_add_u32_e32 v20, 0xa00, v0
	v_cmp_lt_u32_e64 s[26:27], v20, v152
	s_and_saveexec_b64 s[28:29], s[26:27]
	s_cbranch_execz .LBB499_115
; %bb.114:
	v_add_co_u32_e32 v22, vcc, 0x2000, v2
	s_waitcnt vmcnt(0)
	v_xor_b32_e32 v20, 0x7fffffff, v86
	v_addc_co_u32_e32 v23, vcc, 0, v3, vcc
	flat_store_dword v[22:23], v20 offset:2048
.LBB499_115:
	s_or_b64 exec, exec, s[28:29]
	v_add_u32_e32 v20, 0xb00, v0
	v_cmp_lt_u32_e64 s[28:29], v20, v152
	s_and_saveexec_b64 s[30:31], s[28:29]
	s_cbranch_execz .LBB499_117
; %bb.116:
	v_add_co_u32_e32 v22, vcc, 0x2000, v2
	s_waitcnt vmcnt(0)
	v_xor_b32_e32 v20, 0x7fffffff, v85
	v_addc_co_u32_e32 v23, vcc, 0, v3, vcc
	flat_store_dword v[22:23], v20 offset:3072
.LBB499_117:
	;; [unrolled: 48-line block ×3, first 2 shown]
	s_or_b64 exec, exec, s[46:47]
	v_add_co_u32_e32 v2, vcc, v6, v8
	v_addc_co_u32_e32 v3, vcc, v7, v9, vcc
	v_lshlrev_b64 v[0:1], 3, v[0:1]
	v_add_co_u32_e32 v0, vcc, v2, v0
	v_addc_co_u32_e32 v1, vcc, v3, v1, vcc
	s_and_saveexec_b64 vcc, s[4:5]
	s_cbranch_execnz .LBB499_211
; %bb.126:
	s_or_b64 exec, exec, vcc
	s_and_saveexec_b64 s[4:5], s[10:11]
	s_cbranch_execnz .LBB499_212
.LBB499_127:
	s_or_b64 exec, exec, s[4:5]
	s_and_saveexec_b64 s[4:5], s[16:17]
	s_cbranch_execnz .LBB499_213
.LBB499_128:
	s_or_b64 exec, exec, s[4:5]
	s_and_saveexec_b64 s[4:5], s[40:41]
	s_cbranch_execnz .LBB499_214
.LBB499_129:
	s_or_b64 exec, exec, s[4:5]
	s_and_saveexec_b64 s[4:5], s[6:7]
	s_cbranch_execnz .LBB499_215
.LBB499_130:
	s_or_b64 exec, exec, s[4:5]
	s_and_saveexec_b64 s[4:5], s[14:15]
	s_cbranch_execnz .LBB499_216
.LBB499_131:
	s_or_b64 exec, exec, s[4:5]
	s_and_saveexec_b64 s[4:5], s[18:19]
	s_cbranch_execnz .LBB499_217
.LBB499_132:
	s_or_b64 exec, exec, s[4:5]
	s_and_saveexec_b64 s[4:5], s[20:21]
	s_cbranch_execnz .LBB499_218
.LBB499_133:
	s_or_b64 exec, exec, s[4:5]
	s_and_saveexec_b64 s[4:5], s[22:23]
	s_cbranch_execnz .LBB499_219
.LBB499_134:
	s_or_b64 exec, exec, s[4:5]
	s_and_saveexec_b64 s[4:5], s[24:25]
	s_cbranch_execnz .LBB499_220
.LBB499_135:
	s_or_b64 exec, exec, s[4:5]
	s_and_saveexec_b64 s[4:5], s[26:27]
	s_cbranch_execnz .LBB499_221
.LBB499_136:
	s_or_b64 exec, exec, s[4:5]
	s_and_saveexec_b64 s[4:5], s[28:29]
	s_cbranch_execnz .LBB499_222
.LBB499_137:
	s_or_b64 exec, exec, s[4:5]
	s_and_saveexec_b64 s[4:5], s[30:31]
	s_cbranch_execnz .LBB499_223
.LBB499_138:
	s_or_b64 exec, exec, s[4:5]
	s_and_saveexec_b64 s[4:5], s[34:35]
	s_cbranch_execnz .LBB499_224
.LBB499_139:
	s_or_b64 exec, exec, s[4:5]
	s_and_saveexec_b64 s[4:5], s[36:37]
	s_cbranch_execnz .LBB499_225
.LBB499_140:
	s_or_b64 exec, exec, s[4:5]
	s_and_saveexec_b64 s[4:5], s[38:39]
	s_cbranch_execz .LBB499_142
.LBB499_141:
	v_add_co_u32_e32 v0, vcc, 0x7000, v0
	v_addc_co_u32_e32 v1, vcc, 0, v1, vcc
	s_waitcnt vmcnt(0)
	flat_store_dwordx2 v[0:1], v[4:5] offset:2048
.LBB499_142:
	s_or_b64 exec, exec, s[4:5]
                                        ; implicit-def: $vgpr152
                                        ; implicit-def: $vgpr0
                                        ; implicit-def: $vgpr1
                                        ; implicit-def: $vgpr2
                                        ; implicit-def: $vgpr3
                                        ; implicit-def: $vgpr4
                                        ; implicit-def: $vgpr5
                                        ; implicit-def: $vgpr6
                                        ; implicit-def: $vgpr7
                                        ; implicit-def: $vgpr8
                                        ; implicit-def: $vgpr10
                                        ; implicit-def: $vgpr11
                                        ; implicit-def: $vgpr12
                                        ; implicit-def: $vgpr13
                                        ; implicit-def: $vgpr31
                                        ; implicit-def: $vgpr14
                                        ; implicit-def: $vgpr16
                                        ; implicit-def: $vgpr15
.LBB499_143:
	s_andn2_saveexec_b64 s[4:5], s[44:45]
	s_cbranch_execz .LBB499_372
; %bb.144:
	s_movk_i32 s4, 0x400
	v_cmp_lt_u32_e32 vcc, s4, v152
	s_and_saveexec_b64 s[4:5], vcc
	s_xor_b64 s[38:39], exec, s[4:5]
	s_cbranch_execz .LBB499_252
; %bb.145:
	s_load_dwordx2 s[4:5], s[8:9], 0x0
	v_mov_b32_e32 v9, 0
	s_waitcnt vmcnt(0)
	v_mbcnt_hi_u32_b32 v30, -1, v15
	v_lshlrev_b64 v[22:23], 2, v[8:9]
	v_and_b32_e32 v24, 0x3ff, v31
	s_waitcnt lgkmcnt(0)
	s_cmp_lt_u32 s12, s4
	s_cselect_b32 s6, 12, 18
	s_cmp_lt_u32 s13, s5
	s_cselect_b32 s4, 14, 20
	s_add_u32 s4, s8, s4
	s_addc_u32 s5, s9, 0
	s_add_u32 s6, s8, s6
	global_load_ushort v17, v9, s[4:5]
	s_addc_u32 s7, s9, 0
	global_load_ushort v18, v9, s[6:7]
	v_and_b32_e32 v31, 63, v30
	v_add_co_u32_e32 v0, vcc, v0, v22
	v_addc_co_u32_e32 v1, vcc, v1, v23, vcc
	v_lshlrev_b32_e32 v15, 2, v31
	v_add_co_u32_e32 v19, vcc, v0, v15
	v_addc_co_u32_e32 v20, vcc, 0, v1, vcc
	v_mov_b32_e32 v27, v9
	s_brev_b32 s16, 1
	s_mov_b32 s17, s16
	s_mov_b32 s18, s16
	s_mov_b32 s19, s16
	s_mov_b32 s20, s16
	s_mov_b32 s21, s16
	s_mov_b32 s22, s16
	s_mov_b32 s23, s16
	s_waitcnt vmcnt(1)
	v_mad_u32_u24 v0, v16, v17, v14
	s_waitcnt vmcnt(0)
	v_mad_u64_u32 v[0:1], s[4:5], v0, v18, v[24:25]
	v_lshlrev_b32_e32 v1, 3, v0
	v_and_b32_e32 v26, 0xfffffe00, v1
	v_lshlrev_b64 v[14:15], 2, v[26:27]
	v_add_co_u32_e32 v28, vcc, v19, v14
	v_or_b32_e32 v1, v26, v31
	v_addc_co_u32_e32 v29, vcc, v20, v15, vcc
	v_pk_mov_b32 v[14:15], s[16:17], s[16:17] op_sel:[0,1]
	v_cmp_lt_u32_e32 vcc, v1, v152
	v_pk_mov_b32 v[16:17], s[18:19], s[18:19] op_sel:[0,1]
	v_pk_mov_b32 v[18:19], s[20:21], s[20:21] op_sel:[0,1]
	;; [unrolled: 1-line block ×3, first 2 shown]
	s_and_saveexec_b64 s[4:5], vcc
	s_cbranch_execz .LBB499_147
; %bb.146:
	flat_load_dword v14, v[28:29]
	v_bfrev_b32_e32 v15, 1
	v_mov_b32_e32 v16, v15
	v_mov_b32_e32 v17, v15
	;; [unrolled: 1-line block ×6, first 2 shown]
.LBB499_147:
	s_or_b64 exec, exec, s[4:5]
	v_or_b32_e32 v25, 64, v1
	v_cmp_lt_u32_e64 s[4:5], v25, v152
	s_and_saveexec_b64 s[6:7], s[4:5]
	s_cbranch_execz .LBB499_149
; %bb.148:
	flat_load_dword v15, v[28:29] offset:256
.LBB499_149:
	s_or_b64 exec, exec, s[6:7]
	v_or_b32_e32 v25, 0x80, v1
	v_cmp_lt_u32_e64 s[6:7], v25, v152
	s_and_saveexec_b64 s[10:11], s[6:7]
	s_cbranch_execz .LBB499_151
; %bb.150:
	flat_load_dword v16, v[28:29] offset:512
.LBB499_151:
	;; [unrolled: 8-line block ×7, first 2 shown]
	s_or_b64 exec, exec, s[22:23]
	v_lshlrev_b64 v[8:9], 3, v[8:9]
	v_add_co_u32_e64 v1, s[22:23], v4, v8
	v_addc_co_u32_e64 v4, s[22:23], v5, v9, s[22:23]
	v_lshlrev_b32_e32 v5, 3, v31
	v_add_co_u32_e64 v1, s[22:23], v1, v5
	v_addc_co_u32_e64 v25, s[22:23], 0, v4, s[22:23]
	v_lshlrev_b64 v[4:5], 3, v[26:27]
	v_add_co_u32_e64 v4, s[22:23], v1, v4
	v_addc_co_u32_e64 v5, s[22:23], v25, v5, s[22:23]
                                        ; implicit-def: $vgpr66_vgpr67
	s_and_saveexec_b64 s[22:23], vcc
	s_cbranch_execnz .LBB499_285
; %bb.162:
	s_or_b64 exec, exec, s[22:23]
                                        ; implicit-def: $vgpr68_vgpr69
	s_and_saveexec_b64 s[22:23], s[4:5]
	s_cbranch_execnz .LBB499_286
.LBB499_163:
	s_or_b64 exec, exec, s[22:23]
                                        ; implicit-def: $vgpr80_vgpr81
	s_and_saveexec_b64 s[4:5], s[6:7]
	s_cbranch_execnz .LBB499_287
.LBB499_164:
	s_or_b64 exec, exec, s[4:5]
                                        ; implicit-def: $vgpr114_vgpr115
	s_and_saveexec_b64 s[4:5], s[10:11]
	s_cbranch_execnz .LBB499_288
.LBB499_165:
	s_or_b64 exec, exec, s[4:5]
                                        ; implicit-def: $vgpr134_vgpr135
	s_and_saveexec_b64 s[4:5], s[20:21]
	s_cbranch_execnz .LBB499_289
.LBB499_166:
	s_or_b64 exec, exec, s[4:5]
                                        ; implicit-def: $vgpr144_vgpr145
	s_and_saveexec_b64 s[4:5], s[14:15]
	s_cbranch_execnz .LBB499_290
.LBB499_167:
	s_or_b64 exec, exec, s[4:5]
                                        ; implicit-def: $vgpr146_vgpr147
	s_and_saveexec_b64 s[4:5], s[16:17]
	s_cbranch_execnz .LBB499_291
.LBB499_168:
	s_or_b64 exec, exec, s[4:5]
                                        ; implicit-def: $vgpr148_vgpr149
	s_and_saveexec_b64 s[4:5], s[18:19]
	s_cbranch_execz .LBB499_170
.LBB499_169:
	flat_load_dwordx2 v[148:149], v[4:5] offset:3584
.LBB499_170:
	s_or_b64 exec, exec, s[4:5]
	v_add_co_u32_e32 v25, vcc, 16, v12
	v_addc_co_u32_e32 v150, vcc, 0, v13, vcc
	v_lshlrev_b32_e32 v4, 4, v24
	s_waitcnt vmcnt(0) lgkmcnt(0)
	v_xor_b32_e32 v183, 0x7fffffff, v20
	v_add_co_u32_e32 v20, vcc, v12, v4
	v_xor_b32_e32 v192, 0x7fffffff, v21
	s_getpc_b64 s[4:5]
	s_add_u32 s4, s4, _ZN7rocprim17ROCPRIM_400000_NS16block_radix_sortIiLj256ELj8ElLj1ELj1ELj8ELNS0_26block_radix_rank_algorithmE2ELNS0_18block_padding_hintE2ELNS0_4arch9wavefront6targetE1EE19radix_bits_per_passE@rel32@lo+4
	s_addc_u32 s5, s5, _ZN7rocprim17ROCPRIM_400000_NS16block_radix_sortIiLj256ELj8ElLj1ELj1ELj8ELNS0_26block_radix_rank_algorithmE2ELNS0_18block_padding_hintE2ELNS0_4arch9wavefront6targetE1EE19radix_bits_per_passE@rel32@hi+12
	v_addc_co_u32_e32 v21, vcc, 0, v13, vcc
	v_and_b32_e32 v4, 15, v30
	s_load_dword s46, s[4:5], 0x0
	v_cmp_eq_u32_e32 vcc, 0, v4
	v_cmp_lt_u32_e64 s[4:5], 1, v4
	v_cmp_lt_u32_e64 s[6:7], 3, v4
	;; [unrolled: 1-line block ×3, first 2 shown]
	v_and_b32_e32 v4, 16, v30
	v_cmp_eq_u32_e64 s[30:31], 0, v4
	v_and_b32_e32 v4, 0x3c0, v24
	v_min_u32_e32 v4, 0xc0, v4
	v_or_b32_e32 v4, 63, v4
	v_cmp_eq_u32_e64 s[16:17], v4, v24
	v_add_u32_e32 v4, -1, v30
	v_and_b32_e32 v5, 64, v30
	v_cmp_lt_i32_e64 s[22:23], v4, v5
	v_xor_b32_e32 v179, 0x7fffffff, v16
	v_lshrrev_b32_e32 v16, 6, v24
	v_cndmask_b32_e64 v4, v4, v30, s[22:23]
	v_lshlrev_b32_e32 v160, 2, v4
	v_lshlrev_b32_e32 v4, 2, v16
	v_add_co_u32_e64 v48, s[26:27], v12, v4
	v_lshlrev_b32_e32 v1, 2, v24
	v_addc_co_u32_e64 v49, s[26:27], 0, v13, s[26:27]
	v_add_co_u32_e64 v4, s[26:27], v12, v1
	v_xor_b32_e32 v178, 0x7fffffff, v14
	v_xor_b32_e32 v180, 0x7fffffff, v17
	v_mov_b32_e32 v14, 0
	v_addc_co_u32_e64 v5, s[26:27], 0, v13, s[26:27]
	v_and_b32_e32 v17, 3, v30
	v_cmp_eq_u32_e64 s[26:27], 0, v17
	v_cmp_lt_u32_e64 s[28:29], 1, v17
	v_add_u32_e32 v16, -1, v16
	v_mov_b32_e32 v17, v14
	v_lshlrev_b64 v[16:17], 2, v[16:17]
	v_add_co_u32_e64 v52, s[34:35], v12, v16
	v_addc_co_u32_e64 v53, s[34:35], v13, v17, s[34:35]
	v_lshlrev_b32_e32 v16, 3, v24
	s_movk_i32 s34, 0x1e00
	v_and_or_b32 v16, v16, s34, v31
	v_lshlrev_b32_e32 v16, 2, v16
	v_add_co_u32_e64 v54, s[34:35], v12, v16
	v_addc_co_u32_e64 v55, s[34:35], 0, v13, s[34:35]
	v_add_co_u32_e64 v64, s[34:35], v54, v16
	v_xor_b32_e32 v15, 0x7fffffff, v15
	v_xor_b32_e32 v181, 0x7fffffff, v18
	;; [unrolled: 1-line block ×3, first 2 shown]
	v_lshrrev_b32_e32 v151, 6, v0
	v_cmp_lt_u32_e64 s[14:15], 31, v30
	v_cmp_gt_u32_e64 s[18:19], 4, v24
	v_cmp_lt_u32_e64 s[20:21], 63, v24
	v_cmp_eq_u32_e64 s[22:23], 0, v30
	v_cmp_eq_u32_e64 s[24:25], 0, v24
	v_addc_co_u32_e64 v65, s[34:35], 0, v55, s[34:35]
	v_sub_u32_e32 v161, v11, v10
	s_mov_b64 s[40:41], 0
	s_waitcnt lgkmcnt(0)
	s_barrier
	s_branch .LBB499_172
.LBB499_171:                            ;   in Loop: Header=BB499_172 Depth=1
	s_or_b64 exec, exec, s[36:37]
	s_and_b64 s[34:35], exec, s[44:45]
	s_or_b64 s[40:41], s[34:35], s[40:41]
	s_andn2_b64 exec, exec, s[40:41]
	s_cbranch_execz .LBB499_226
.LBB499_172:                            ; =>This Inner Loop Header: Depth=1
	s_waitcnt vmcnt(0)
	v_mov_b32_e32 v176, v15
	v_min_u32_e32 v18, s46, v161
	v_mov_b32_e32 v15, v14
	v_mov_b32_e32 v16, v14
	v_mov_b32_e32 v17, v14
	v_mov_b32_e32 v177, v178
	flat_store_dwordx4 v[20:21], v[14:17] offset:16
	v_pk_mov_b32 v[50:51], v[66:67], v[66:67] op_sel:[0,1]
	v_lshlrev_b32_e64 v15, v18, -1
	v_not_b32_e32 v18, v15
	v_lshrrev_b32_e32 v15, v10, v177
	v_and_b32_e32 v19, v15, v18
	v_lshl_add_u32 v16, v19, 2, v151
	v_lshlrev_b64 v[16:17], 2, v[16:17]
	v_add_co_u32_e64 v66, s[34:35], v25, v16
	v_addc_co_u32_e64 v67, s[34:35], v150, v17, s[34:35]
	v_and_b32_e32 v15, 1, v19
	v_add_co_u32_e64 v16, s[34:35], -1, v15
	v_addc_co_u32_e64 v17, s[34:35], 0, -1, s[34:35]
	v_cmp_ne_u32_e64 s[34:35], 0, v15
	v_xor_b32_e32 v15, s35, v17
	v_and_b32_e32 v17, exec_hi, v15
	v_lshlrev_b32_e32 v15, 30, v19
	v_xor_b32_e32 v16, s34, v16
	v_cmp_gt_i64_e64 s[34:35], 0, v[14:15]
	v_not_b32_e32 v15, v15
	v_ashrrev_i32_e32 v15, 31, v15
	v_pk_mov_b32 v[38:39], v[68:69], v[68:69] op_sel:[0,1]
	v_and_b32_e32 v16, exec_lo, v16
	v_xor_b32_e32 v68, s35, v15
	v_xor_b32_e32 v15, s34, v15
	v_and_b32_e32 v16, v16, v15
	v_lshlrev_b32_e32 v15, 29, v19
	v_cmp_gt_i64_e64 s[34:35], 0, v[14:15]
	v_not_b32_e32 v15, v15
	v_ashrrev_i32_e32 v15, 31, v15
	v_and_b32_e32 v17, v17, v68
	v_xor_b32_e32 v68, s35, v15
	v_xor_b32_e32 v15, s34, v15
	v_and_b32_e32 v16, v16, v15
	v_lshlrev_b32_e32 v15, 28, v19
	v_cmp_gt_i64_e64 s[34:35], 0, v[14:15]
	v_not_b32_e32 v15, v15
	v_ashrrev_i32_e32 v15, 31, v15
	v_and_b32_e32 v17, v17, v68
	;; [unrolled: 8-line block ×5, first 2 shown]
	v_xor_b32_e32 v68, s35, v15
	v_xor_b32_e32 v15, s34, v15
	v_and_b32_e32 v16, v16, v15
	v_lshlrev_b32_e32 v15, 24, v19
	v_cmp_gt_i64_e64 s[34:35], 0, v[14:15]
	v_not_b32_e32 v15, v15
	v_ashrrev_i32_e32 v15, 31, v15
	v_xor_b32_e32 v19, s35, v15
	v_xor_b32_e32 v15, s34, v15
	v_and_b32_e32 v17, v17, v68
	v_and_b32_e32 v16, v16, v15
	;; [unrolled: 1-line block ×3, first 2 shown]
	v_mbcnt_lo_u32_b32 v15, v16, 0
	v_mbcnt_hi_u32_b32 v98, v17, v15
	v_cmp_eq_u32_e64 s[34:35], 0, v98
	v_cmp_ne_u64_e64 s[36:37], 0, v[16:17]
	v_mov_b32_e32 v162, v192
	v_mov_b32_e32 v163, v183
	;; [unrolled: 1-line block ×6, first 2 shown]
	v_pk_mov_b32 v[36:37], v[80:81], v[80:81] op_sel:[0,1]
	v_pk_mov_b32 v[34:35], v[114:115], v[114:115] op_sel:[0,1]
	;; [unrolled: 1-line block ×6, first 2 shown]
	s_and_b64 s[36:37], s[36:37], s[34:35]
	s_waitcnt lgkmcnt(0)
	s_barrier
	s_waitcnt lgkmcnt(0)
	; wave barrier
	s_and_saveexec_b64 s[34:35], s[36:37]
	s_cbranch_execz .LBB499_174
; %bb.173:                              ;   in Loop: Header=BB499_172 Depth=1
	v_bcnt_u32_b32 v15, v16, 0
	v_bcnt_u32_b32 v15, v17, v15
	flat_store_dword v[66:67], v15
.LBB499_174:                            ;   in Loop: Header=BB499_172 Depth=1
	s_or_b64 exec, exec, s[34:35]
	v_lshrrev_b32_e32 v15, v10, v176
	v_and_b32_e32 v19, v15, v18
	v_lshl_add_u32 v16, v19, 2, v151
	v_mov_b32_e32 v17, v14
	v_lshlrev_b64 v[16:17], 2, v[16:17]
	v_add_co_u32_e64 v68, s[34:35], v25, v16
	v_addc_co_u32_e64 v69, s[34:35], v150, v17, s[34:35]
	; wave barrier
	flat_load_dword v99, v[68:69]
	v_and_b32_e32 v15, 1, v19
	v_add_co_u32_e64 v16, s[34:35], -1, v15
	v_addc_co_u32_e64 v17, s[34:35], 0, -1, s[34:35]
	v_cmp_ne_u32_e64 s[34:35], 0, v15
	v_xor_b32_e32 v15, s35, v17
	v_and_b32_e32 v17, exec_hi, v15
	v_lshlrev_b32_e32 v15, 30, v19
	v_xor_b32_e32 v16, s34, v16
	v_cmp_gt_i64_e64 s[34:35], 0, v[14:15]
	v_not_b32_e32 v15, v15
	v_ashrrev_i32_e32 v15, 31, v15
	v_and_b32_e32 v16, exec_lo, v16
	v_xor_b32_e32 v70, s35, v15
	v_xor_b32_e32 v15, s34, v15
	v_and_b32_e32 v16, v16, v15
	v_lshlrev_b32_e32 v15, 29, v19
	v_cmp_gt_i64_e64 s[34:35], 0, v[14:15]
	v_not_b32_e32 v15, v15
	v_ashrrev_i32_e32 v15, 31, v15
	v_and_b32_e32 v17, v17, v70
	v_xor_b32_e32 v70, s35, v15
	v_xor_b32_e32 v15, s34, v15
	v_and_b32_e32 v16, v16, v15
	v_lshlrev_b32_e32 v15, 28, v19
	v_cmp_gt_i64_e64 s[34:35], 0, v[14:15]
	v_not_b32_e32 v15, v15
	v_ashrrev_i32_e32 v15, 31, v15
	v_and_b32_e32 v17, v17, v70
	;; [unrolled: 8-line block ×5, first 2 shown]
	v_xor_b32_e32 v70, s35, v15
	v_xor_b32_e32 v15, s34, v15
	v_and_b32_e32 v16, v16, v15
	v_lshlrev_b32_e32 v15, 24, v19
	v_cmp_gt_i64_e64 s[34:35], 0, v[14:15]
	v_not_b32_e32 v15, v15
	v_ashrrev_i32_e32 v15, 31, v15
	v_xor_b32_e32 v19, s35, v15
	v_xor_b32_e32 v15, s34, v15
	v_and_b32_e32 v17, v17, v70
	v_and_b32_e32 v16, v16, v15
	;; [unrolled: 1-line block ×3, first 2 shown]
	v_mbcnt_lo_u32_b32 v15, v16, 0
	v_mbcnt_hi_u32_b32 v100, v17, v15
	v_cmp_eq_u32_e64 s[34:35], 0, v100
	v_cmp_ne_u64_e64 s[36:37], 0, v[16:17]
	s_and_b64 s[36:37], s[36:37], s[34:35]
	; wave barrier
	s_and_saveexec_b64 s[34:35], s[36:37]
	s_cbranch_execz .LBB499_176
; %bb.175:                              ;   in Loop: Header=BB499_172 Depth=1
	v_bcnt_u32_b32 v15, v16, 0
	v_bcnt_u32_b32 v15, v17, v15
	s_waitcnt vmcnt(0) lgkmcnt(0)
	v_add_u32_e32 v15, v99, v15
	flat_store_dword v[68:69], v15
.LBB499_176:                            ;   in Loop: Header=BB499_172 Depth=1
	s_or_b64 exec, exec, s[34:35]
	v_lshrrev_b32_e32 v15, v10, v167
	v_and_b32_e32 v19, v15, v18
	v_lshl_add_u32 v16, v19, 2, v151
	v_mov_b32_e32 v17, v14
	v_lshlrev_b64 v[16:17], 2, v[16:17]
	v_add_co_u32_e64 v70, s[34:35], v25, v16
	v_addc_co_u32_e64 v71, s[34:35], v150, v17, s[34:35]
	; wave barrier
	flat_load_dword v101, v[70:71]
	v_and_b32_e32 v15, 1, v19
	v_add_co_u32_e64 v16, s[34:35], -1, v15
	v_addc_co_u32_e64 v17, s[34:35], 0, -1, s[34:35]
	v_cmp_ne_u32_e64 s[34:35], 0, v15
	v_xor_b32_e32 v15, s35, v17
	v_and_b32_e32 v17, exec_hi, v15
	v_lshlrev_b32_e32 v15, 30, v19
	v_xor_b32_e32 v16, s34, v16
	v_cmp_gt_i64_e64 s[34:35], 0, v[14:15]
	v_not_b32_e32 v15, v15
	v_ashrrev_i32_e32 v15, 31, v15
	v_and_b32_e32 v16, exec_lo, v16
	v_xor_b32_e32 v80, s35, v15
	v_xor_b32_e32 v15, s34, v15
	v_and_b32_e32 v16, v16, v15
	v_lshlrev_b32_e32 v15, 29, v19
	v_cmp_gt_i64_e64 s[34:35], 0, v[14:15]
	v_not_b32_e32 v15, v15
	v_ashrrev_i32_e32 v15, 31, v15
	v_and_b32_e32 v17, v17, v80
	v_xor_b32_e32 v80, s35, v15
	v_xor_b32_e32 v15, s34, v15
	v_and_b32_e32 v16, v16, v15
	v_lshlrev_b32_e32 v15, 28, v19
	v_cmp_gt_i64_e64 s[34:35], 0, v[14:15]
	v_not_b32_e32 v15, v15
	v_ashrrev_i32_e32 v15, 31, v15
	v_and_b32_e32 v17, v17, v80
	;; [unrolled: 8-line block ×5, first 2 shown]
	v_xor_b32_e32 v80, s35, v15
	v_xor_b32_e32 v15, s34, v15
	v_and_b32_e32 v16, v16, v15
	v_lshlrev_b32_e32 v15, 24, v19
	v_cmp_gt_i64_e64 s[34:35], 0, v[14:15]
	v_not_b32_e32 v15, v15
	v_ashrrev_i32_e32 v15, 31, v15
	v_xor_b32_e32 v19, s35, v15
	v_xor_b32_e32 v15, s34, v15
	v_and_b32_e32 v17, v17, v80
	v_and_b32_e32 v16, v16, v15
	;; [unrolled: 1-line block ×3, first 2 shown]
	v_mbcnt_lo_u32_b32 v15, v16, 0
	v_mbcnt_hi_u32_b32 v102, v17, v15
	v_cmp_eq_u32_e64 s[34:35], 0, v102
	v_cmp_ne_u64_e64 s[36:37], 0, v[16:17]
	s_and_b64 s[36:37], s[36:37], s[34:35]
	; wave barrier
	s_and_saveexec_b64 s[34:35], s[36:37]
	s_cbranch_execz .LBB499_178
; %bb.177:                              ;   in Loop: Header=BB499_172 Depth=1
	v_bcnt_u32_b32 v15, v16, 0
	v_bcnt_u32_b32 v15, v17, v15
	s_waitcnt vmcnt(0) lgkmcnt(0)
	v_add_u32_e32 v15, v101, v15
	flat_store_dword v[70:71], v15
.LBB499_178:                            ;   in Loop: Header=BB499_172 Depth=1
	s_or_b64 exec, exec, s[34:35]
	v_lshrrev_b32_e32 v15, v10, v166
	v_and_b32_e32 v19, v15, v18
	v_lshl_add_u32 v16, v19, 2, v151
	v_mov_b32_e32 v17, v14
	v_lshlrev_b64 v[16:17], 2, v[16:17]
	v_add_co_u32_e64 v80, s[34:35], v25, v16
	v_addc_co_u32_e64 v81, s[34:35], v150, v17, s[34:35]
	; wave barrier
	flat_load_dword v103, v[80:81]
	v_and_b32_e32 v15, 1, v19
	v_add_co_u32_e64 v16, s[34:35], -1, v15
	v_addc_co_u32_e64 v17, s[34:35], 0, -1, s[34:35]
	v_cmp_ne_u32_e64 s[34:35], 0, v15
	v_xor_b32_e32 v15, s35, v17
	v_and_b32_e32 v17, exec_hi, v15
	v_lshlrev_b32_e32 v15, 30, v19
	v_xor_b32_e32 v16, s34, v16
	v_cmp_gt_i64_e64 s[34:35], 0, v[14:15]
	v_not_b32_e32 v15, v15
	v_ashrrev_i32_e32 v15, 31, v15
	v_and_b32_e32 v16, exec_lo, v16
	v_xor_b32_e32 v82, s35, v15
	v_xor_b32_e32 v15, s34, v15
	v_and_b32_e32 v16, v16, v15
	v_lshlrev_b32_e32 v15, 29, v19
	v_cmp_gt_i64_e64 s[34:35], 0, v[14:15]
	v_not_b32_e32 v15, v15
	v_ashrrev_i32_e32 v15, 31, v15
	v_and_b32_e32 v17, v17, v82
	v_xor_b32_e32 v82, s35, v15
	v_xor_b32_e32 v15, s34, v15
	v_and_b32_e32 v16, v16, v15
	v_lshlrev_b32_e32 v15, 28, v19
	v_cmp_gt_i64_e64 s[34:35], 0, v[14:15]
	v_not_b32_e32 v15, v15
	v_ashrrev_i32_e32 v15, 31, v15
	v_and_b32_e32 v17, v17, v82
	;; [unrolled: 8-line block ×5, first 2 shown]
	v_xor_b32_e32 v82, s35, v15
	v_xor_b32_e32 v15, s34, v15
	v_and_b32_e32 v16, v16, v15
	v_lshlrev_b32_e32 v15, 24, v19
	v_cmp_gt_i64_e64 s[34:35], 0, v[14:15]
	v_not_b32_e32 v15, v15
	v_ashrrev_i32_e32 v15, 31, v15
	v_xor_b32_e32 v19, s35, v15
	v_xor_b32_e32 v15, s34, v15
	v_and_b32_e32 v17, v17, v82
	v_and_b32_e32 v16, v16, v15
	v_and_b32_e32 v17, v17, v19
	v_mbcnt_lo_u32_b32 v15, v16, 0
	v_mbcnt_hi_u32_b32 v112, v17, v15
	v_cmp_eq_u32_e64 s[34:35], 0, v112
	v_cmp_ne_u64_e64 s[36:37], 0, v[16:17]
	s_and_b64 s[36:37], s[36:37], s[34:35]
	; wave barrier
	s_and_saveexec_b64 s[34:35], s[36:37]
	s_cbranch_execz .LBB499_180
; %bb.179:                              ;   in Loop: Header=BB499_172 Depth=1
	v_bcnt_u32_b32 v15, v16, 0
	v_bcnt_u32_b32 v15, v17, v15
	s_waitcnt vmcnt(0) lgkmcnt(0)
	v_add_u32_e32 v15, v103, v15
	flat_store_dword v[80:81], v15
.LBB499_180:                            ;   in Loop: Header=BB499_172 Depth=1
	s_or_b64 exec, exec, s[34:35]
	v_lshrrev_b32_e32 v15, v10, v165
	v_and_b32_e32 v19, v15, v18
	v_lshl_add_u32 v16, v19, 2, v151
	v_mov_b32_e32 v17, v14
	v_lshlrev_b64 v[16:17], 2, v[16:17]
	v_add_co_u32_e64 v82, s[34:35], v25, v16
	v_addc_co_u32_e64 v83, s[34:35], v150, v17, s[34:35]
	; wave barrier
	flat_load_dword v113, v[82:83]
	v_and_b32_e32 v15, 1, v19
	v_add_co_u32_e64 v16, s[34:35], -1, v15
	v_addc_co_u32_e64 v17, s[34:35], 0, -1, s[34:35]
	v_cmp_ne_u32_e64 s[34:35], 0, v15
	v_xor_b32_e32 v15, s35, v17
	v_and_b32_e32 v17, exec_hi, v15
	v_lshlrev_b32_e32 v15, 30, v19
	v_xor_b32_e32 v16, s34, v16
	v_cmp_gt_i64_e64 s[34:35], 0, v[14:15]
	v_not_b32_e32 v15, v15
	v_ashrrev_i32_e32 v15, 31, v15
	v_and_b32_e32 v16, exec_lo, v16
	v_xor_b32_e32 v84, s35, v15
	v_xor_b32_e32 v15, s34, v15
	v_and_b32_e32 v16, v16, v15
	v_lshlrev_b32_e32 v15, 29, v19
	v_cmp_gt_i64_e64 s[34:35], 0, v[14:15]
	v_not_b32_e32 v15, v15
	v_ashrrev_i32_e32 v15, 31, v15
	v_and_b32_e32 v17, v17, v84
	v_xor_b32_e32 v84, s35, v15
	v_xor_b32_e32 v15, s34, v15
	v_and_b32_e32 v16, v16, v15
	v_lshlrev_b32_e32 v15, 28, v19
	v_cmp_gt_i64_e64 s[34:35], 0, v[14:15]
	v_not_b32_e32 v15, v15
	v_ashrrev_i32_e32 v15, 31, v15
	v_and_b32_e32 v17, v17, v84
	;; [unrolled: 8-line block ×5, first 2 shown]
	v_xor_b32_e32 v84, s35, v15
	v_xor_b32_e32 v15, s34, v15
	v_and_b32_e32 v16, v16, v15
	v_lshlrev_b32_e32 v15, 24, v19
	v_cmp_gt_i64_e64 s[34:35], 0, v[14:15]
	v_not_b32_e32 v15, v15
	v_ashrrev_i32_e32 v15, 31, v15
	v_xor_b32_e32 v19, s35, v15
	v_xor_b32_e32 v15, s34, v15
	v_and_b32_e32 v17, v17, v84
	v_and_b32_e32 v16, v16, v15
	;; [unrolled: 1-line block ×3, first 2 shown]
	v_mbcnt_lo_u32_b32 v15, v16, 0
	v_mbcnt_hi_u32_b32 v114, v17, v15
	v_cmp_eq_u32_e64 s[34:35], 0, v114
	v_cmp_ne_u64_e64 s[36:37], 0, v[16:17]
	s_and_b64 s[36:37], s[36:37], s[34:35]
	; wave barrier
	s_and_saveexec_b64 s[34:35], s[36:37]
	s_cbranch_execz .LBB499_182
; %bb.181:                              ;   in Loop: Header=BB499_172 Depth=1
	v_bcnt_u32_b32 v15, v16, 0
	v_bcnt_u32_b32 v15, v17, v15
	s_waitcnt vmcnt(0) lgkmcnt(0)
	v_add_u32_e32 v15, v113, v15
	flat_store_dword v[82:83], v15
.LBB499_182:                            ;   in Loop: Header=BB499_172 Depth=1
	s_or_b64 exec, exec, s[34:35]
	v_lshrrev_b32_e32 v15, v10, v164
	v_and_b32_e32 v19, v15, v18
	v_lshl_add_u32 v16, v19, 2, v151
	v_mov_b32_e32 v17, v14
	v_lshlrev_b64 v[16:17], 2, v[16:17]
	v_add_co_u32_e64 v84, s[34:35], v25, v16
	v_addc_co_u32_e64 v85, s[34:35], v150, v17, s[34:35]
	; wave barrier
	flat_load_dword v115, v[84:85]
	v_and_b32_e32 v15, 1, v19
	v_add_co_u32_e64 v16, s[34:35], -1, v15
	v_addc_co_u32_e64 v17, s[34:35], 0, -1, s[34:35]
	v_cmp_ne_u32_e64 s[34:35], 0, v15
	v_xor_b32_e32 v15, s35, v17
	v_and_b32_e32 v17, exec_hi, v15
	v_lshlrev_b32_e32 v15, 30, v19
	v_xor_b32_e32 v16, s34, v16
	v_cmp_gt_i64_e64 s[34:35], 0, v[14:15]
	v_not_b32_e32 v15, v15
	v_ashrrev_i32_e32 v15, 31, v15
	v_and_b32_e32 v16, exec_lo, v16
	v_xor_b32_e32 v86, s35, v15
	v_xor_b32_e32 v15, s34, v15
	v_and_b32_e32 v16, v16, v15
	v_lshlrev_b32_e32 v15, 29, v19
	v_cmp_gt_i64_e64 s[34:35], 0, v[14:15]
	v_not_b32_e32 v15, v15
	v_ashrrev_i32_e32 v15, 31, v15
	v_and_b32_e32 v17, v17, v86
	v_xor_b32_e32 v86, s35, v15
	v_xor_b32_e32 v15, s34, v15
	v_and_b32_e32 v16, v16, v15
	v_lshlrev_b32_e32 v15, 28, v19
	v_cmp_gt_i64_e64 s[34:35], 0, v[14:15]
	v_not_b32_e32 v15, v15
	v_ashrrev_i32_e32 v15, 31, v15
	v_and_b32_e32 v17, v17, v86
	;; [unrolled: 8-line block ×5, first 2 shown]
	v_xor_b32_e32 v86, s35, v15
	v_xor_b32_e32 v15, s34, v15
	v_and_b32_e32 v16, v16, v15
	v_lshlrev_b32_e32 v15, 24, v19
	v_cmp_gt_i64_e64 s[34:35], 0, v[14:15]
	v_not_b32_e32 v15, v15
	v_ashrrev_i32_e32 v15, 31, v15
	v_xor_b32_e32 v19, s35, v15
	v_xor_b32_e32 v15, s34, v15
	v_and_b32_e32 v17, v17, v86
	v_and_b32_e32 v16, v16, v15
	;; [unrolled: 1-line block ×3, first 2 shown]
	v_mbcnt_lo_u32_b32 v15, v16, 0
	v_mbcnt_hi_u32_b32 v116, v17, v15
	v_cmp_eq_u32_e64 s[34:35], 0, v116
	v_cmp_ne_u64_e64 s[36:37], 0, v[16:17]
	s_and_b64 s[36:37], s[36:37], s[34:35]
	; wave barrier
	s_and_saveexec_b64 s[34:35], s[36:37]
	s_cbranch_execz .LBB499_184
; %bb.183:                              ;   in Loop: Header=BB499_172 Depth=1
	v_bcnt_u32_b32 v15, v16, 0
	v_bcnt_u32_b32 v15, v17, v15
	s_waitcnt vmcnt(0) lgkmcnt(0)
	v_add_u32_e32 v15, v115, v15
	flat_store_dword v[84:85], v15
.LBB499_184:                            ;   in Loop: Header=BB499_172 Depth=1
	s_or_b64 exec, exec, s[34:35]
	v_lshrrev_b32_e32 v15, v10, v163
	v_and_b32_e32 v19, v15, v18
	v_lshl_add_u32 v16, v19, 2, v151
	v_mov_b32_e32 v17, v14
	v_lshlrev_b64 v[16:17], 2, v[16:17]
	v_add_co_u32_e64 v86, s[34:35], v25, v16
	v_addc_co_u32_e64 v87, s[34:35], v150, v17, s[34:35]
	; wave barrier
	flat_load_dword v117, v[86:87]
	v_and_b32_e32 v15, 1, v19
	v_add_co_u32_e64 v16, s[34:35], -1, v15
	v_addc_co_u32_e64 v17, s[34:35], 0, -1, s[34:35]
	v_cmp_ne_u32_e64 s[34:35], 0, v15
	v_xor_b32_e32 v15, s35, v17
	v_and_b32_e32 v17, exec_hi, v15
	v_lshlrev_b32_e32 v15, 30, v19
	v_xor_b32_e32 v16, s34, v16
	v_cmp_gt_i64_e64 s[34:35], 0, v[14:15]
	v_not_b32_e32 v15, v15
	v_ashrrev_i32_e32 v15, 31, v15
	v_and_b32_e32 v16, exec_lo, v16
	v_xor_b32_e32 v96, s35, v15
	v_xor_b32_e32 v15, s34, v15
	v_and_b32_e32 v16, v16, v15
	v_lshlrev_b32_e32 v15, 29, v19
	v_cmp_gt_i64_e64 s[34:35], 0, v[14:15]
	v_not_b32_e32 v15, v15
	v_ashrrev_i32_e32 v15, 31, v15
	v_and_b32_e32 v17, v17, v96
	v_xor_b32_e32 v96, s35, v15
	v_xor_b32_e32 v15, s34, v15
	v_and_b32_e32 v16, v16, v15
	v_lshlrev_b32_e32 v15, 28, v19
	v_cmp_gt_i64_e64 s[34:35], 0, v[14:15]
	v_not_b32_e32 v15, v15
	v_ashrrev_i32_e32 v15, 31, v15
	v_and_b32_e32 v17, v17, v96
	;; [unrolled: 8-line block ×5, first 2 shown]
	v_xor_b32_e32 v96, s35, v15
	v_xor_b32_e32 v15, s34, v15
	v_and_b32_e32 v16, v16, v15
	v_lshlrev_b32_e32 v15, 24, v19
	v_cmp_gt_i64_e64 s[34:35], 0, v[14:15]
	v_not_b32_e32 v15, v15
	v_ashrrev_i32_e32 v15, 31, v15
	v_xor_b32_e32 v19, s35, v15
	v_xor_b32_e32 v15, s34, v15
	v_and_b32_e32 v17, v17, v96
	v_and_b32_e32 v16, v16, v15
	;; [unrolled: 1-line block ×3, first 2 shown]
	v_mbcnt_lo_u32_b32 v15, v16, 0
	v_mbcnt_hi_u32_b32 v118, v17, v15
	v_cmp_eq_u32_e64 s[34:35], 0, v118
	v_cmp_ne_u64_e64 s[36:37], 0, v[16:17]
	s_and_b64 s[36:37], s[36:37], s[34:35]
	; wave barrier
	s_and_saveexec_b64 s[34:35], s[36:37]
	s_cbranch_execz .LBB499_186
; %bb.185:                              ;   in Loop: Header=BB499_172 Depth=1
	v_bcnt_u32_b32 v15, v16, 0
	v_bcnt_u32_b32 v15, v17, v15
	s_waitcnt vmcnt(0) lgkmcnt(0)
	v_add_u32_e32 v15, v117, v15
	flat_store_dword v[86:87], v15
.LBB499_186:                            ;   in Loop: Header=BB499_172 Depth=1
	s_or_b64 exec, exec, s[34:35]
	v_lshrrev_b32_e32 v15, v10, v162
	v_and_b32_e32 v18, v15, v18
	v_lshl_add_u32 v16, v18, 2, v151
	v_mov_b32_e32 v17, v14
	v_lshlrev_b64 v[16:17], 2, v[16:17]
	v_add_co_u32_e64 v96, s[34:35], v25, v16
	v_addc_co_u32_e64 v97, s[34:35], v150, v17, s[34:35]
	; wave barrier
	flat_load_dword v119, v[96:97]
	v_and_b32_e32 v15, 1, v18
	v_add_co_u32_e64 v16, s[34:35], -1, v15
	v_addc_co_u32_e64 v17, s[34:35], 0, -1, s[34:35]
	v_cmp_ne_u32_e64 s[34:35], 0, v15
	v_xor_b32_e32 v15, s35, v17
	v_and_b32_e32 v17, exec_hi, v15
	v_lshlrev_b32_e32 v15, 30, v18
	v_xor_b32_e32 v16, s34, v16
	v_cmp_gt_i64_e64 s[34:35], 0, v[14:15]
	v_not_b32_e32 v15, v15
	v_ashrrev_i32_e32 v15, 31, v15
	v_and_b32_e32 v16, exec_lo, v16
	v_xor_b32_e32 v19, s35, v15
	v_xor_b32_e32 v15, s34, v15
	v_and_b32_e32 v16, v16, v15
	v_lshlrev_b32_e32 v15, 29, v18
	v_cmp_gt_i64_e64 s[34:35], 0, v[14:15]
	v_not_b32_e32 v15, v15
	v_ashrrev_i32_e32 v15, 31, v15
	v_and_b32_e32 v17, v17, v19
	v_xor_b32_e32 v19, s35, v15
	v_xor_b32_e32 v15, s34, v15
	v_and_b32_e32 v16, v16, v15
	v_lshlrev_b32_e32 v15, 28, v18
	v_cmp_gt_i64_e64 s[34:35], 0, v[14:15]
	v_not_b32_e32 v15, v15
	v_ashrrev_i32_e32 v15, 31, v15
	v_and_b32_e32 v17, v17, v19
	;; [unrolled: 8-line block ×5, first 2 shown]
	v_xor_b32_e32 v19, s35, v15
	v_xor_b32_e32 v15, s34, v15
	v_and_b32_e32 v16, v16, v15
	v_lshlrev_b32_e32 v15, 24, v18
	v_cmp_gt_i64_e64 s[34:35], 0, v[14:15]
	v_not_b32_e32 v15, v15
	v_ashrrev_i32_e32 v15, 31, v15
	v_xor_b32_e32 v18, s35, v15
	v_xor_b32_e32 v15, s34, v15
	v_and_b32_e32 v17, v17, v19
	v_and_b32_e32 v16, v16, v15
	;; [unrolled: 1-line block ×3, first 2 shown]
	v_mbcnt_lo_u32_b32 v15, v16, 0
	v_mbcnt_hi_u32_b32 v15, v17, v15
	v_cmp_eq_u32_e64 s[34:35], 0, v15
	v_cmp_ne_u64_e64 s[36:37], 0, v[16:17]
	s_and_b64 s[36:37], s[36:37], s[34:35]
	; wave barrier
	s_and_saveexec_b64 s[34:35], s[36:37]
	s_cbranch_execz .LBB499_188
; %bb.187:                              ;   in Loop: Header=BB499_172 Depth=1
	v_bcnt_u32_b32 v16, v16, 0
	v_bcnt_u32_b32 v16, v17, v16
	s_waitcnt vmcnt(0) lgkmcnt(0)
	v_add_u32_e32 v16, v119, v16
	flat_store_dword v[96:97], v16
.LBB499_188:                            ;   in Loop: Header=BB499_172 Depth=1
	s_or_b64 exec, exec, s[34:35]
	; wave barrier
	s_waitcnt lgkmcnt(0)
	s_barrier
	flat_load_dwordx4 v[16:19], v[20:21] offset:16
	s_waitcnt vmcnt(0) lgkmcnt(0)
	v_add_u32_e32 v128, v17, v16
	v_add3_u32 v19, v128, v18, v19
	s_nop 1
	v_mov_b32_dpp v128, v19 row_shr:1 row_mask:0xf bank_mask:0xf
	v_cndmask_b32_e64 v128, v128, 0, vcc
	v_add_u32_e32 v19, v128, v19
	s_nop 1
	v_mov_b32_dpp v128, v19 row_shr:2 row_mask:0xf bank_mask:0xf
	v_cndmask_b32_e64 v128, 0, v128, s[4:5]
	v_add_u32_e32 v19, v19, v128
	s_nop 1
	v_mov_b32_dpp v128, v19 row_shr:4 row_mask:0xf bank_mask:0xf
	v_cndmask_b32_e64 v128, 0, v128, s[6:7]
	;; [unrolled: 4-line block ×3, first 2 shown]
	v_add_u32_e32 v19, v19, v128
	s_nop 1
	v_mov_b32_dpp v128, v19 row_bcast:15 row_mask:0xf bank_mask:0xf
	v_cndmask_b32_e64 v128, v128, 0, s[30:31]
	v_add_u32_e32 v19, v19, v128
	s_nop 1
	v_mov_b32_dpp v128, v19 row_bcast:31 row_mask:0xf bank_mask:0xf
	v_cndmask_b32_e64 v128, 0, v128, s[14:15]
	v_add_u32_e32 v19, v19, v128
	s_and_saveexec_b64 s[34:35], s[16:17]
	s_cbranch_execz .LBB499_190
; %bb.189:                              ;   in Loop: Header=BB499_172 Depth=1
	flat_store_dword v[48:49], v19
.LBB499_190:                            ;   in Loop: Header=BB499_172 Depth=1
	s_or_b64 exec, exec, s[34:35]
	s_waitcnt lgkmcnt(0)
	s_barrier
	s_and_saveexec_b64 s[34:35], s[18:19]
	s_cbranch_execz .LBB499_192
; %bb.191:                              ;   in Loop: Header=BB499_172 Depth=1
	flat_load_dword v128, v[4:5]
	s_waitcnt vmcnt(0) lgkmcnt(0)
	s_nop 0
	v_mov_b32_dpp v129, v128 row_shr:1 row_mask:0xf bank_mask:0xf
	v_cndmask_b32_e64 v129, v129, 0, s[26:27]
	v_add_u32_e32 v128, v129, v128
	s_nop 1
	v_mov_b32_dpp v129, v128 row_shr:2 row_mask:0xf bank_mask:0xf
	v_cndmask_b32_e64 v129, 0, v129, s[28:29]
	v_add_u32_e32 v128, v128, v129
	flat_store_dword v[4:5], v128
.LBB499_192:                            ;   in Loop: Header=BB499_172 Depth=1
	s_or_b64 exec, exec, s[34:35]
	v_mov_b32_e32 v128, 0
	s_waitcnt lgkmcnt(0)
	s_barrier
	s_and_saveexec_b64 s[34:35], s[20:21]
	s_cbranch_execz .LBB499_194
; %bb.193:                              ;   in Loop: Header=BB499_172 Depth=1
	flat_load_dword v128, v[52:53]
.LBB499_194:                            ;   in Loop: Header=BB499_172 Depth=1
	s_or_b64 exec, exec, s[34:35]
	s_waitcnt vmcnt(0) lgkmcnt(0)
	v_add_u32_e32 v19, v128, v19
	ds_bpermute_b32 v19, v160, v19
	v_add_u32_e32 v10, 8, v10
	v_cmp_lt_u32_e64 s[34:35], v10, v11
	s_mov_b64 s[44:45], -1
                                        ; implicit-def: $vgpr192
                                        ; implicit-def: $vgpr183
                                        ; implicit-def: $vgpr182
                                        ; implicit-def: $vgpr181
                                        ; implicit-def: $vgpr180
                                        ; implicit-def: $vgpr179
                                        ; implicit-def: $vgpr178
                                        ; implicit-def: $vgpr134_vgpr135
                                        ; implicit-def: $vgpr144_vgpr145
                                        ; implicit-def: $vgpr146_vgpr147
                                        ; implicit-def: $vgpr148_vgpr149
	s_waitcnt lgkmcnt(0)
	v_cndmask_b32_e64 v19, v19, v128, s[22:23]
	v_cndmask_b32_e64 v128, v19, 0, s[24:25]
	v_add_u32_e32 v129, v128, v16
	v_add_u32_e32 v130, v129, v17
	v_add_u32_e32 v131, v130, v18
	flat_store_dwordx4 v[20:21], v[128:131] offset:16
	s_waitcnt lgkmcnt(0)
	s_barrier
	flat_load_dword v16, v[66:67]
	flat_load_dword v18, v[68:69]
	flat_load_dword v128, v[70:71]
	flat_load_dword v129, v[80:81]
	flat_load_dword v130, v[82:83]
	flat_load_dword v131, v[84:85]
	flat_load_dword v132, v[86:87]
	flat_load_dword v133, v[96:97]
	v_mov_b32_e32 v17, v14
	v_mov_b32_e32 v19, v14
	;; [unrolled: 1-line block ×8, first 2 shown]
	s_waitcnt vmcnt(0) lgkmcnt(0)
	v_add_u32_e32 v16, v16, v98
	v_add3_u32 v18, v100, v99, v18
	v_add3_u32 v66, v102, v101, v128
	;; [unrolled: 1-line block ×4, first 2 shown]
	v_lshlrev_b64 v[112:113], 2, v[18:19]
	v_add3_u32 v84, v118, v117, v132
	v_add3_u32 v96, v15, v119, v133
	v_lshlrev_b64 v[118:119], 2, v[16:17]
	v_add_co_u32_e64 v132, s[36:37], v12, v118
	v_addc_co_u32_e64 v133, s[36:37], v13, v119, s[36:37]
	v_add_co_u32_e64 v130, s[36:37], v12, v112
	v_add3_u32 v80, v116, v115, v131
	v_lshlrev_b64 v[98:99], 2, v[66:67]
	v_addc_co_u32_e64 v131, s[36:37], v13, v113, s[36:37]
	v_add_co_u32_e64 v128, s[36:37], v12, v98
	v_lshlrev_b64 v[86:87], 2, v[68:69]
	v_addc_co_u32_e64 v129, s[36:37], v13, v99, s[36:37]
	v_add_co_u32_e64 v116, s[36:37], v12, v86
	v_lshlrev_b64 v[82:83], 2, v[70:71]
	v_addc_co_u32_e64 v117, s[36:37], v13, v87, s[36:37]
	v_add_co_u32_e64 v102, s[36:37], v12, v82
	v_lshlrev_b64 v[70:71], 2, v[80:81]
	v_addc_co_u32_e64 v103, s[36:37], v13, v83, s[36:37]
	v_add_co_u32_e64 v100, s[36:37], v12, v70
	v_lshlrev_b64 v[18:19], 2, v[84:85]
	v_addc_co_u32_e64 v101, s[36:37], v13, v71, s[36:37]
	v_lshlrev_b64 v[16:17], 2, v[96:97]
	v_add_co_u32_e64 v96, s[36:37], v12, v18
	v_addc_co_u32_e64 v97, s[36:37], v13, v19, s[36:37]
	v_add_co_u32_e64 v84, s[36:37], v12, v16
	v_addc_co_u32_e64 v85, s[36:37], v13, v17, s[36:37]
                                        ; implicit-def: $vgpr15
                                        ; implicit-def: $vgpr66_vgpr67
                                        ; implicit-def: $vgpr68_vgpr69
                                        ; implicit-def: $vgpr80_vgpr81
                                        ; implicit-def: $vgpr114_vgpr115
	s_and_saveexec_b64 s[36:37], s[34:35]
	s_cbranch_execz .LBB499_171
; %bb.195:                              ;   in Loop: Header=BB499_172 Depth=1
	v_add_co_u32_e64 v66, s[34:35], v132, v118
	v_addc_co_u32_e64 v67, s[34:35], v133, v119, s[34:35]
	s_barrier
	flat_store_dword v[132:133], v177
	flat_store_dword v[130:131], v176
	;; [unrolled: 1-line block ×8, first 2 shown]
	s_waitcnt lgkmcnt(0)
	s_barrier
	flat_load_dword v178, v[54:55]
	flat_load_dword v15, v[54:55] offset:256
	flat_load_dword v179, v[54:55] offset:512
	;; [unrolled: 1-line block ×7, first 2 shown]
	s_waitcnt lgkmcnt(0)
	s_barrier
	flat_store_dwordx2 v[66:67], v[50:51]
	v_add_co_u32_e64 v66, s[34:35], v130, v112
	v_addc_co_u32_e64 v67, s[34:35], v131, v113, s[34:35]
	flat_store_dwordx2 v[66:67], v[38:39]
	v_add_co_u32_e64 v66, s[34:35], v128, v98
	v_addc_co_u32_e64 v67, s[34:35], v129, v99, s[34:35]
	;; [unrolled: 3-line block ×7, first 2 shown]
	flat_store_dwordx2 v[66:67], v[26:27]
	s_waitcnt lgkmcnt(0)
	s_barrier
	flat_load_dwordx2 v[66:67], v[64:65]
	flat_load_dwordx2 v[68:69], v[64:65] offset:512
	flat_load_dwordx2 v[80:81], v[64:65] offset:1024
	;; [unrolled: 1-line block ×7, first 2 shown]
	v_add_u32_e32 v161, -8, v161
	s_xor_b64 s[44:45], exec, -1
	s_waitcnt lgkmcnt(0)
	s_barrier
	s_branch .LBB499_171
.LBB499_196:
	flat_load_dwordx2 v[16:17], v[4:5]
	s_or_b64 exec, exec, s[40:41]
                                        ; implicit-def: $vgpr130_vgpr131
	s_and_saveexec_b64 vcc, s[10:11]
	s_cbranch_execz .LBB499_36
.LBB499_197:
	flat_load_dwordx2 v[130:131], v[4:5] offset:512
	s_or_b64 exec, exec, vcc
                                        ; implicit-def: $vgpr146_vgpr147
	s_and_saveexec_b64 s[10:11], s[14:15]
	s_cbranch_execz .LBB499_37
.LBB499_198:
	flat_load_dwordx2 v[146:147], v[4:5] offset:1024
	s_or_b64 exec, exec, s[10:11]
                                        ; implicit-def: $vgpr192_vgpr193
	s_and_saveexec_b64 s[10:11], s[18:19]
	s_cbranch_execz .LBB499_38
.LBB499_199:
	flat_load_dwordx2 v[192:193], v[4:5] offset:1536
	s_or_b64 exec, exec, s[10:11]
                                        ; implicit-def: $vgpr196_vgpr197
	s_and_saveexec_b64 s[10:11], s[20:21]
	s_cbranch_execz .LBB499_39
.LBB499_200:
	flat_load_dwordx2 v[196:197], v[4:5] offset:2048
	s_or_b64 exec, exec, s[10:11]
                                        ; implicit-def: $vgpr198_vgpr199
	s_and_saveexec_b64 s[10:11], s[24:25]
	s_cbranch_execz .LBB499_40
.LBB499_201:
	flat_load_dwordx2 v[198:199], v[4:5] offset:2560
	s_or_b64 exec, exec, s[10:11]
                                        ; implicit-def: $vgpr208_vgpr209
	s_and_saveexec_b64 s[10:11], s[28:29]
	s_cbranch_execz .LBB499_41
.LBB499_202:
	flat_load_dwordx2 v[208:209], v[4:5] offset:3072
	s_or_b64 exec, exec, s[10:11]
                                        ; implicit-def: $vgpr210_vgpr211
	s_and_saveexec_b64 s[10:11], s[34:35]
	s_cbranch_execz .LBB499_42
.LBB499_203:
	flat_load_dwordx2 v[210:211], v[4:5] offset:3584
	s_or_b64 exec, exec, s[10:11]
                                        ; implicit-def: $vgpr212_vgpr213
	s_and_saveexec_b64 s[10:11], s[36:37]
	s_cbranch_execz .LBB499_43
.LBB499_204:
	v_add_co_u32_e32 v14, vcc, 0x1000, v4
	v_addc_co_u32_e32 v15, vcc, 0, v5, vcc
	flat_load_dwordx2 v[212:213], v[14:15]
	s_or_b64 exec, exec, s[10:11]
                                        ; implicit-def: $vgpr214_vgpr215
	s_and_saveexec_b64 s[10:11], s[30:31]
	s_cbranch_execz .LBB499_44
.LBB499_205:
	v_add_co_u32_e32 v14, vcc, 0x1000, v4
	v_addc_co_u32_e32 v15, vcc, 0, v5, vcc
	flat_load_dwordx2 v[214:215], v[14:15] offset:512
	s_or_b64 exec, exec, s[10:11]
                                        ; implicit-def: $vgpr224_vgpr225
	s_and_saveexec_b64 s[10:11], s[26:27]
	s_cbranch_execz .LBB499_45
.LBB499_206:
	v_add_co_u32_e32 v14, vcc, 0x1000, v4
	v_addc_co_u32_e32 v15, vcc, 0, v5, vcc
	flat_load_dwordx2 v[224:225], v[14:15] offset:1024
	s_or_b64 exec, exec, s[10:11]
                                        ; implicit-def: $vgpr226_vgpr227
	s_and_saveexec_b64 s[10:11], s[22:23]
	s_cbranch_execz .LBB499_46
.LBB499_207:
	v_add_co_u32_e32 v14, vcc, 0x1000, v4
	v_addc_co_u32_e32 v15, vcc, 0, v5, vcc
	flat_load_dwordx2 v[226:227], v[14:15] offset:1536
	s_or_b64 exec, exec, s[10:11]
                                        ; implicit-def: $vgpr228_vgpr229
	s_and_saveexec_b64 s[10:11], s[16:17]
	s_cbranch_execz .LBB499_47
.LBB499_208:
	v_add_co_u32_e32 v14, vcc, 0x1000, v4
	v_addc_co_u32_e32 v15, vcc, 0, v5, vcc
	flat_load_dwordx2 v[228:229], v[14:15] offset:2048
	s_or_b64 exec, exec, s[10:11]
                                        ; implicit-def: $vgpr246_vgpr247
	s_and_saveexec_b64 s[10:11], s[38:39]
	s_cbranch_execz .LBB499_48
.LBB499_209:
	v_add_co_u32_e32 v14, vcc, 0x1000, v4
	v_addc_co_u32_e32 v15, vcc, 0, v5, vcc
	flat_load_dwordx2 v[246:247], v[14:15] offset:2560
	s_or_b64 exec, exec, s[10:11]
                                        ; implicit-def: $agpr0_agpr1
	s_and_saveexec_b64 s[10:11], s[6:7]
	s_cbranch_execz .LBB499_49
.LBB499_210:
	v_add_co_u32_e32 v14, vcc, 0x1000, v4
	v_addc_co_u32_e32 v15, vcc, 0, v5, vcc
	flat_load_dwordx2 a[0:1], v[14:15] offset:3072
	s_or_b64 exec, exec, s[10:11]
                                        ; implicit-def: $agpr2_agpr3
	s_and_saveexec_b64 s[6:7], s[4:5]
	s_cbranch_execnz .LBB499_50
	s_branch .LBB499_51
.LBB499_211:
	s_waitcnt vmcnt(0)
	flat_store_dwordx2 v[0:1], v[50:51]
	s_or_b64 exec, exec, vcc
	s_and_saveexec_b64 s[4:5], s[10:11]
	s_cbranch_execz .LBB499_127
.LBB499_212:
	s_waitcnt vmcnt(0)
	flat_store_dwordx2 v[0:1], v[48:49] offset:2048
	s_or_b64 exec, exec, s[4:5]
	s_and_saveexec_b64 s[4:5], s[16:17]
	s_cbranch_execz .LBB499_128
.LBB499_213:
	v_add_co_u32_e32 v2, vcc, 0x1000, v0
	v_addc_co_u32_e32 v3, vcc, 0, v1, vcc
	s_waitcnt vmcnt(0)
	flat_store_dwordx2 v[2:3], v[38:39]
	s_or_b64 exec, exec, s[4:5]
	s_and_saveexec_b64 s[4:5], s[40:41]
	s_cbranch_execz .LBB499_129
.LBB499_214:
	v_add_co_u32_e32 v2, vcc, 0x1000, v0
	v_addc_co_u32_e32 v3, vcc, 0, v1, vcc
	s_waitcnt vmcnt(0)
	flat_store_dwordx2 v[2:3], v[34:35] offset:2048
	s_or_b64 exec, exec, s[4:5]
	s_and_saveexec_b64 s[4:5], s[6:7]
	s_cbranch_execz .LBB499_130
.LBB499_215:
	v_add_co_u32_e32 v2, vcc, 0x2000, v0
	v_addc_co_u32_e32 v3, vcc, 0, v1, vcc
	s_waitcnt vmcnt(0)
	flat_store_dwordx2 v[2:3], v[36:37]
	s_or_b64 exec, exec, s[4:5]
	s_and_saveexec_b64 s[4:5], s[14:15]
	s_cbranch_execz .LBB499_131
.LBB499_216:
	v_add_co_u32_e32 v2, vcc, 0x2000, v0
	v_addc_co_u32_e32 v3, vcc, 0, v1, vcc
	s_waitcnt vmcnt(0)
	flat_store_dwordx2 v[2:3], v[32:33] offset:2048
	s_or_b64 exec, exec, s[4:5]
	s_and_saveexec_b64 s[4:5], s[18:19]
	s_cbranch_execz .LBB499_132
.LBB499_217:
	v_add_co_u32_e32 v2, vcc, 0x3000, v0
	v_addc_co_u32_e32 v3, vcc, 0, v1, vcc
	s_waitcnt vmcnt(0)
	flat_store_dwordx2 v[2:3], v[30:31]
	s_or_b64 exec, exec, s[4:5]
	s_and_saveexec_b64 s[4:5], s[20:21]
	s_cbranch_execz .LBB499_133
.LBB499_218:
	v_add_co_u32_e32 v2, vcc, 0x3000, v0
	v_addc_co_u32_e32 v3, vcc, 0, v1, vcc
	s_waitcnt vmcnt(0)
	flat_store_dwordx2 v[2:3], v[26:27] offset:2048
	s_or_b64 exec, exec, s[4:5]
	s_and_saveexec_b64 s[4:5], s[22:23]
	s_cbranch_execz .LBB499_134
.LBB499_219:
	v_add_co_u32_e32 v2, vcc, 0x4000, v0
	v_addc_co_u32_e32 v3, vcc, 0, v1, vcc
	s_waitcnt vmcnt(0)
	flat_store_dwordx2 v[2:3], v[28:29]
	s_or_b64 exec, exec, s[4:5]
	s_and_saveexec_b64 s[4:5], s[24:25]
	s_cbranch_execz .LBB499_135
.LBB499_220:
	v_add_co_u32_e32 v2, vcc, 0x4000, v0
	v_addc_co_u32_e32 v3, vcc, 0, v1, vcc
	s_waitcnt vmcnt(0)
	flat_store_dwordx2 v[2:3], v[24:25] offset:2048
	s_or_b64 exec, exec, s[4:5]
	s_and_saveexec_b64 s[4:5], s[26:27]
	s_cbranch_execz .LBB499_136
.LBB499_221:
	v_add_co_u32_e32 v2, vcc, 0x5000, v0
	v_addc_co_u32_e32 v3, vcc, 0, v1, vcc
	s_waitcnt vmcnt(0)
	flat_store_dwordx2 v[2:3], v[18:19]
	s_or_b64 exec, exec, s[4:5]
	s_and_saveexec_b64 s[4:5], s[28:29]
	s_cbranch_execz .LBB499_137
.LBB499_222:
	v_add_co_u32_e32 v2, vcc, 0x5000, v0
	v_addc_co_u32_e32 v3, vcc, 0, v1, vcc
	s_waitcnt vmcnt(0)
	flat_store_dwordx2 v[2:3], v[14:15] offset:2048
	s_or_b64 exec, exec, s[4:5]
	s_and_saveexec_b64 s[4:5], s[30:31]
	s_cbranch_execz .LBB499_138
.LBB499_223:
	v_add_co_u32_e32 v2, vcc, 0x6000, v0
	v_addc_co_u32_e32 v3, vcc, 0, v1, vcc
	s_waitcnt vmcnt(0)
	flat_store_dwordx2 v[2:3], v[16:17]
	s_or_b64 exec, exec, s[4:5]
	s_and_saveexec_b64 s[4:5], s[34:35]
	s_cbranch_execz .LBB499_139
.LBB499_224:
	v_add_co_u32_e32 v2, vcc, 0x6000, v0
	v_addc_co_u32_e32 v3, vcc, 0, v1, vcc
	s_waitcnt vmcnt(0)
	flat_store_dwordx2 v[2:3], v[12:13] offset:2048
	s_or_b64 exec, exec, s[4:5]
	s_and_saveexec_b64 s[4:5], s[36:37]
	s_cbranch_execz .LBB499_140
.LBB499_225:
	v_add_co_u32_e32 v2, vcc, 0x7000, v0
	v_addc_co_u32_e32 v3, vcc, 0, v1, vcc
	s_waitcnt vmcnt(0)
	flat_store_dwordx2 v[2:3], v[10:11]
	s_or_b64 exec, exec, s[4:5]
	s_and_saveexec_b64 s[4:5], s[38:39]
	s_cbranch_execnz .LBB499_141
	s_branch .LBB499_142
.LBB499_226:
	s_or_b64 exec, exec, s[40:41]
	s_waitcnt vmcnt(0)
	v_or_b32_e32 v66, 0x1000, v1
	v_add_co_u32_e32 v10, vcc, v12, v66
	v_addc_co_u32_e32 v11, vcc, 0, v13, vcc
	s_movk_i32 s5, 0x1400
	v_add_co_u32_e32 v67, vcc, s5, v4
	s_movk_i32 s4, 0x1000
	v_addc_co_u32_e32 v68, vcc, 0, v5, vcc
	v_add_co_u32_e32 v14, vcc, s4, v4
	v_addc_co_u32_e32 v15, vcc, 0, v5, vcc
	s_movk_i32 s5, 0x1800
	v_add_co_u32_e32 v69, vcc, s5, v4
	v_addc_co_u32_e32 v80, vcc, 0, v5, vcc
	s_movk_i32 s5, 0x1c00
	v_add_co_u32_e32 v81, vcc, s5, v4
	v_addc_co_u32_e32 v114, vcc, 0, v5, vcc
	s_barrier
	flat_store_dword v[132:133], v177
	flat_store_dword v[130:131], v176
	;; [unrolled: 1-line block ×8, first 2 shown]
	s_waitcnt lgkmcnt(0)
	s_barrier
	flat_load_dword v65, v[4:5]
	flat_load_dword v64, v[4:5] offset:1024
	flat_load_dword v55, v[4:5] offset:2048
	;; [unrolled: 1-line block ×3, first 2 shown]
	flat_load_dword v53, v[10:11]
	flat_load_dword v52, v[14:15] offset:1024
	flat_load_dword v49, v[14:15] offset:2048
	;; [unrolled: 1-line block ×3, first 2 shown]
	v_add_co_u32_e32 v4, vcc, v132, v118
	v_addc_co_u32_e32 v5, vcc, v133, v119, vcc
	s_waitcnt lgkmcnt(0)
	s_barrier
	flat_store_dwordx2 v[4:5], v[50:51]
	v_add_co_u32_e32 v4, vcc, v130, v112
	v_addc_co_u32_e32 v5, vcc, v131, v113, vcc
	flat_store_dwordx2 v[4:5], v[38:39]
	v_add_co_u32_e32 v4, vcc, v128, v98
	v_addc_co_u32_e32 v5, vcc, v129, v99, vcc
	;; [unrolled: 3-line block ×7, first 2 shown]
	flat_store_dwordx2 v[4:5], v[26:27]
	v_lshlrev_b32_e32 v4, 3, v24
	v_add_co_u32_e32 v4, vcc, v12, v4
	v_addc_co_u32_e32 v5, vcc, 0, v13, vcc
	v_add_co_u32_e32 v12, vcc, s4, v4
	v_addc_co_u32_e32 v13, vcc, 0, v5, vcc
	v_add_co_u32_e32 v26, vcc, v10, v66
	s_waitcnt lgkmcnt(0)
	s_barrier
	flat_load_dwordx2 v[24:25], v[4:5]
	flat_load_dwordx2 v[20:21], v[4:5] offset:2048
	flat_load_dwordx2 v[18:19], v[12:13]
	flat_load_dwordx2 v[14:15], v[12:13] offset:2048
	v_addc_co_u32_e32 v27, vcc, 0, v11, vcc
	v_add_u32_e32 v4, 0x1400, v1
	v_add_co_u32_e32 v28, vcc, v67, v4
	v_addc_co_u32_e32 v29, vcc, 0, v68, vcc
	v_add_u32_e32 v4, 0x1800, v1
	v_add_co_u32_e32 v30, vcc, v69, v4
	;; [unrolled: 3-line block ×3, first 2 shown]
	v_addc_co_u32_e32 v33, vcc, 0, v114, vcc
	flat_load_dwordx2 v[16:17], v[26:27]
	flat_load_dwordx2 v[12:13], v[28:29]
	;; [unrolled: 1-line block ×4, first 2 shown]
	v_mov_b32_e32 v1, 0
	v_add_co_u32_e32 v22, vcc, v2, v22
	v_addc_co_u32_e32 v23, vcc, v3, v23, vcc
	v_lshlrev_b64 v[2:3], 2, v[0:1]
	v_add_co_u32_e32 v2, vcc, v22, v2
	v_addc_co_u32_e32 v3, vcc, v23, v3, vcc
	v_cmp_lt_u32_e64 s[4:5], v0, v152
	s_waitcnt lgkmcnt(0)
	s_barrier
	s_and_saveexec_b64 s[6:7], s[4:5]
	s_cbranch_execz .LBB499_228
; %bb.227:
	s_waitcnt vmcnt(0)
	v_xor_b32_e32 v22, 0x7fffffff, v65
	flat_store_dword v[2:3], v22
.LBB499_228:
	s_or_b64 exec, exec, s[6:7]
	v_add_u32_e32 v22, 0x100, v0
	v_cmp_lt_u32_e64 s[10:11], v22, v152
	s_and_saveexec_b64 s[6:7], s[10:11]
	s_cbranch_execz .LBB499_230
; %bb.229:
	s_waitcnt vmcnt(0)
	v_xor_b32_e32 v22, 0x7fffffff, v64
	flat_store_dword v[2:3], v22 offset:1024
.LBB499_230:
	s_or_b64 exec, exec, s[6:7]
	v_add_u32_e32 v22, 0x200, v0
	v_cmp_lt_u32_e64 s[16:17], v22, v152
	s_and_saveexec_b64 s[6:7], s[16:17]
	s_cbranch_execz .LBB499_232
; %bb.231:
	s_waitcnt vmcnt(0)
	v_xor_b32_e32 v22, 0x7fffffff, v55
	flat_store_dword v[2:3], v22 offset:2048
.LBB499_232:
	;; [unrolled: 10-line block ×3, first 2 shown]
	s_or_b64 exec, exec, s[6:7]
	v_add_u32_e32 v22, 0x400, v0
	v_cmp_lt_u32_e64 s[6:7], v22, v152
	s_and_saveexec_b64 s[14:15], s[6:7]
	s_cbranch_execz .LBB499_236
; %bb.235:
	v_add_co_u32_e32 v22, vcc, 0x1000, v2
	s_waitcnt vmcnt(0)
	v_xor_b32_e32 v26, 0x7fffffff, v53
	v_addc_co_u32_e32 v23, vcc, 0, v3, vcc
	flat_store_dword v[22:23], v26
.LBB499_236:
	s_or_b64 exec, exec, s[14:15]
	v_add_u32_e32 v22, 0x500, v0
	v_cmp_lt_u32_e64 s[14:15], v22, v152
	s_and_saveexec_b64 s[18:19], s[14:15]
	s_cbranch_execz .LBB499_238
; %bb.237:
	v_add_co_u32_e32 v22, vcc, 0x1000, v2
	s_waitcnt vmcnt(0)
	v_xor_b32_e32 v26, 0x7fffffff, v52
	v_addc_co_u32_e32 v23, vcc, 0, v3, vcc
	flat_store_dword v[22:23], v26 offset:1024
.LBB499_238:
	s_or_b64 exec, exec, s[18:19]
	v_add_u32_e32 v22, 0x600, v0
	v_cmp_lt_u32_e64 s[18:19], v22, v152
	s_and_saveexec_b64 s[20:21], s[18:19]
	s_cbranch_execz .LBB499_240
; %bb.239:
	v_add_co_u32_e32 v22, vcc, 0x1000, v2
	s_waitcnt vmcnt(0)
	v_xor_b32_e32 v26, 0x7fffffff, v49
	v_addc_co_u32_e32 v23, vcc, 0, v3, vcc
	flat_store_dword v[22:23], v26 offset:2048
.LBB499_240:
	;; [unrolled: 12-line block ×3, first 2 shown]
	s_or_b64 exec, exec, s[24:25]
	v_add_co_u32_e32 v2, vcc, v6, v8
	v_addc_co_u32_e32 v3, vcc, v7, v9, vcc
	v_lshlrev_b64 v[0:1], 3, v[0:1]
	v_add_co_u32_e32 v0, vcc, v2, v0
	v_addc_co_u32_e32 v1, vcc, v3, v1, vcc
	s_and_saveexec_b64 s[24:25], s[4:5]
	s_cbranch_execnz .LBB499_292
; %bb.243:
	s_or_b64 exec, exec, s[24:25]
	s_and_saveexec_b64 s[4:5], s[10:11]
	s_cbranch_execnz .LBB499_293
.LBB499_244:
	s_or_b64 exec, exec, s[4:5]
	s_and_saveexec_b64 s[4:5], s[16:17]
	s_cbranch_execnz .LBB499_294
.LBB499_245:
	s_or_b64 exec, exec, s[4:5]
	s_and_saveexec_b64 s[4:5], s[22:23]
	s_cbranch_execnz .LBB499_295
.LBB499_246:
	s_or_b64 exec, exec, s[4:5]
	s_and_saveexec_b64 s[4:5], s[6:7]
	s_cbranch_execnz .LBB499_296
.LBB499_247:
	s_or_b64 exec, exec, s[4:5]
	s_and_saveexec_b64 s[4:5], s[14:15]
	s_cbranch_execnz .LBB499_297
.LBB499_248:
	s_or_b64 exec, exec, s[4:5]
	s_and_saveexec_b64 s[4:5], s[18:19]
	s_cbranch_execnz .LBB499_298
.LBB499_249:
	s_or_b64 exec, exec, s[4:5]
	s_and_saveexec_b64 s[4:5], s[20:21]
	s_cbranch_execz .LBB499_251
.LBB499_250:
	v_add_co_u32_e32 v0, vcc, 0x3000, v0
	v_addc_co_u32_e32 v1, vcc, 0, v1, vcc
	s_waitcnt vmcnt(0)
	flat_store_dwordx2 v[0:1], v[4:5] offset:2048
.LBB499_251:
	s_or_b64 exec, exec, s[4:5]
                                        ; implicit-def: $vgpr152
                                        ; implicit-def: $vgpr0
                                        ; implicit-def: $vgpr1
                                        ; implicit-def: $vgpr2
                                        ; implicit-def: $vgpr3
                                        ; implicit-def: $vgpr4
                                        ; implicit-def: $vgpr5
                                        ; implicit-def: $vgpr6
                                        ; implicit-def: $vgpr7
                                        ; implicit-def: $vgpr8
                                        ; implicit-def: $vgpr10
                                        ; implicit-def: $vgpr11
                                        ; implicit-def: $vgpr12
                                        ; implicit-def: $vgpr13
                                        ; implicit-def: $vgpr31
                                        ; implicit-def: $vgpr14
                                        ; implicit-def: $vgpr16
                                        ; implicit-def: $vgpr15
.LBB499_252:
	s_andn2_saveexec_b64 s[4:5], s[38:39]
	s_cbranch_execz .LBB499_372
; %bb.253:
	s_movk_i32 s4, 0x200
	v_cmp_lt_u32_e32 vcc, s4, v152
	s_and_saveexec_b64 s[4:5], vcc
	s_xor_b64 s[38:39], exec, s[4:5]
	s_cbranch_execz .LBB499_313
; %bb.254:
	s_load_dwordx2 s[4:5], s[8:9], 0x0
	v_mov_b32_e32 v9, 0
	s_waitcnt vmcnt(0)
	v_mbcnt_hi_u32_b32 v32, -1, v15
	v_lshlrev_b64 v[24:25], 2, v[8:9]
	v_and_b32_e32 v34, 63, v32
	s_waitcnt lgkmcnt(0)
	s_cmp_lt_u32 s12, s4
	s_cselect_b32 s6, 12, 18
	s_cmp_lt_u32 s13, s5
	s_cselect_b32 s4, 14, 20
	s_add_u32 s4, s8, s4
	s_addc_u32 s5, s9, 0
	s_add_u32 s6, s8, s6
	global_load_ushort v17, v9, s[4:5]
	s_addc_u32 s7, s9, 0
	global_load_ushort v18, v9, s[6:7]
	v_add_co_u32_e32 v0, vcc, v0, v24
	v_addc_co_u32_e32 v1, vcc, v1, v25, vcc
	v_lshlrev_b32_e32 v15, 2, v34
	v_and_b32_e32 v22, 0x3ff, v31
	v_add_co_u32_e32 v20, vcc, v0, v15
	v_addc_co_u32_e32 v21, vcc, 0, v1, vcc
	v_mov_b32_e32 v19, v9
	s_brev_b32 s4, 1
	s_mov_b32 s6, s4
	s_mov_b32 s7, s4
	;; [unrolled: 1-line block ×3, first 2 shown]
	s_waitcnt vmcnt(1)
	v_mad_u32_u24 v0, v16, v17, v14
	s_waitcnt vmcnt(0)
	v_mad_u64_u32 v[0:1], s[10:11], v0, v18, v[22:23]
	v_lshlrev_b32_e32 v1, 2, v0
	v_and_b32_e32 v18, 0xffffff00, v1
	v_lshlrev_b64 v[14:15], 2, v[18:19]
	v_add_co_u32_e32 v20, vcc, v20, v14
	v_or_b32_e32 v1, v18, v34
	v_addc_co_u32_e32 v21, vcc, v21, v15, vcc
	v_pk_mov_b32 v[16:17], s[6:7], s[6:7] op_sel:[0,1]
	v_cmp_lt_u32_e32 vcc, v1, v152
	v_pk_mov_b32 v[14:15], s[4:5], s[4:5] op_sel:[0,1]
	s_and_saveexec_b64 s[4:5], vcc
	s_cbranch_execz .LBB499_256
; %bb.255:
	flat_load_dword v14, v[20:21]
	v_bfrev_b32_e32 v15, 1
	v_mov_b32_e32 v16, v15
	v_mov_b32_e32 v17, v15
.LBB499_256:
	s_or_b64 exec, exec, s[4:5]
	v_or_b32_e32 v23, 64, v1
	v_cmp_lt_u32_e64 s[4:5], v23, v152
	s_and_saveexec_b64 s[6:7], s[4:5]
	s_cbranch_execz .LBB499_258
; %bb.257:
	flat_load_dword v15, v[20:21] offset:256
.LBB499_258:
	s_or_b64 exec, exec, s[6:7]
	v_or_b32_e32 v23, 0x80, v1
	v_cmp_lt_u32_e64 s[6:7], v23, v152
	s_and_saveexec_b64 s[10:11], s[6:7]
	s_cbranch_execz .LBB499_260
; %bb.259:
	flat_load_dword v16, v[20:21] offset:512
.LBB499_260:
	;; [unrolled: 8-line block ×3, first 2 shown]
	s_or_b64 exec, exec, s[14:15]
	v_lshlrev_b64 v[8:9], 3, v[8:9]
	v_add_co_u32_e64 v1, s[14:15], v4, v8
	v_addc_co_u32_e64 v4, s[14:15], v5, v9, s[14:15]
	v_lshlrev_b32_e32 v5, 3, v34
	v_add_co_u32_e64 v1, s[14:15], v1, v5
	v_addc_co_u32_e64 v20, s[14:15], 0, v4, s[14:15]
	v_lshlrev_b64 v[4:5], 3, v[18:19]
	v_add_co_u32_e64 v4, s[14:15], v1, v4
	v_addc_co_u32_e64 v5, s[14:15], v20, v5, s[14:15]
                                        ; implicit-def: $vgpr18_vgpr19
	s_and_saveexec_b64 s[14:15], vcc
	s_cbranch_execnz .LBB499_337
; %bb.263:
	s_or_b64 exec, exec, s[14:15]
                                        ; implicit-def: $vgpr20_vgpr21
	s_and_saveexec_b64 s[14:15], s[4:5]
	s_cbranch_execnz .LBB499_338
.LBB499_264:
	s_or_b64 exec, exec, s[14:15]
                                        ; implicit-def: $vgpr54_vgpr55
	s_and_saveexec_b64 s[4:5], s[6:7]
	s_cbranch_execnz .LBB499_339
.LBB499_265:
	s_or_b64 exec, exec, s[4:5]
                                        ; implicit-def: $vgpr64_vgpr65
	s_and_saveexec_b64 s[4:5], s[10:11]
	s_cbranch_execz .LBB499_267
.LBB499_266:
	flat_load_dwordx2 v[64:65], v[4:5] offset:1536
.LBB499_267:
	s_or_b64 exec, exec, s[4:5]
	s_waitcnt vmcnt(0) lgkmcnt(0)
	v_xor_b32_e32 v113, 0x7fffffff, v14
	v_add_co_u32_e32 v1, vcc, 16, v12
	v_and_b32_e32 v14, 0x3c0, v22
	v_addc_co_u32_e32 v23, vcc, 0, v13, vcc
	v_lshlrev_b32_e32 v4, 4, v22
	v_min_u32_e32 v14, 0xc0, v14
	v_add_co_u32_e32 v26, vcc, v12, v4
	v_or_b32_e32 v14, 63, v14
	v_xor_b32_e32 v114, 0x7fffffff, v15
	s_getpc_b64 s[4:5]
	s_add_u32 s4, s4, _ZN7rocprim17ROCPRIM_400000_NS16block_radix_sortIiLj256ELj4ElLj1ELj1ELj8ELNS0_26block_radix_rank_algorithmE2ELNS0_18block_padding_hintE2ELNS0_4arch9wavefront6targetE1EE19radix_bits_per_passE@rel32@lo+4
	s_addc_u32 s5, s5, _ZN7rocprim17ROCPRIM_400000_NS16block_radix_sortIiLj256ELj4ElLj1ELj1ELj8ELNS0_26block_radix_rank_algorithmE2ELNS0_18block_padding_hintE2ELNS0_4arch9wavefront6targetE1EE19radix_bits_per_passE@rel32@hi+12
	v_addc_co_u32_e32 v27, vcc, 0, v13, vcc
	v_and_b32_e32 v4, 15, v32
	v_cmp_eq_u32_e64 s[16:17], v14, v22
	v_add_u32_e32 v14, -1, v32
	v_and_b32_e32 v15, 64, v32
	s_load_dword s46, s[4:5], 0x0
	v_cmp_eq_u32_e32 vcc, 0, v4
	v_cmp_lt_u32_e64 s[4:5], 1, v4
	v_cmp_lt_u32_e64 s[6:7], 3, v4
	;; [unrolled: 1-line block ×3, first 2 shown]
	v_and_b32_e32 v4, 16, v32
	v_cmp_lt_i32_e64 s[22:23], v14, v15
	v_cmp_eq_u32_e64 s[30:31], 0, v4
	v_lshrrev_b32_e32 v4, 6, v22
	v_cndmask_b32_e64 v14, v14, v32, s[22:23]
	v_lshlrev_b32_e32 v99, 2, v14
	v_lshlrev_b32_e32 v14, 2, v4
	v_add_co_u32_e64 v30, s[26:27], v12, v14
	v_xor_b32_e32 v115, 0x7fffffff, v16
	v_lshlrev_b32_e32 v16, 2, v22
	v_addc_co_u32_e64 v31, s[26:27], 0, v13, s[26:27]
	v_add_co_u32_e64 v28, s[26:27], v12, v16
	v_mov_b32_e32 v5, 0
	v_addc_co_u32_e64 v29, s[26:27], 0, v13, s[26:27]
	v_and_b32_e32 v14, 3, v32
	v_add_u32_e32 v4, -1, v4
	v_cmp_eq_u32_e64 s[26:27], 0, v14
	v_cmp_lt_u32_e64 s[28:29], 1, v14
	v_lshlrev_b64 v[14:15], 2, v[4:5]
	v_cmp_lt_u32_e64 s[14:15], 31, v32
	v_cmp_eq_u32_e64 s[22:23], 0, v32
	v_add_co_u32_e64 v32, s[34:35], v12, v14
	v_addc_co_u32_e64 v33, s[34:35], v13, v15, s[34:35]
	s_movk_i32 s34, 0xf00
	v_and_or_b32 v4, v16, s34, v34
	v_lshlrev_b32_e32 v4, 2, v4
	v_add_co_u32_e64 v38, s[34:35], v12, v4
	v_addc_co_u32_e64 v39, s[34:35], 0, v13, s[34:35]
	v_add_co_u32_e64 v50, s[34:35], v38, v4
	v_xor_b32_e32 v116, 0x7fffffff, v17
	v_lshrrev_b32_e32 v98, 6, v0
	v_cmp_gt_u32_e64 s[18:19], 4, v22
	v_cmp_lt_u32_e64 s[20:21], 63, v22
	v_cmp_eq_u32_e64 s[24:25], 0, v22
	v_addc_co_u32_e64 v51, s[34:35], 0, v39, s[34:35]
	v_sub_u32_e32 v100, v11, v10
	s_mov_b64 s[40:41], 0
	v_mov_b32_e32 v14, v5
	v_mov_b32_e32 v15, v5
	;; [unrolled: 1-line block ×4, first 2 shown]
	s_waitcnt lgkmcnt(0)
	s_barrier
	s_branch .LBB499_269
.LBB499_268:                            ;   in Loop: Header=BB499_269 Depth=1
	s_or_b64 exec, exec, s[36:37]
	s_and_b64 s[34:35], exec, s[44:45]
	s_or_b64 s[40:41], s[34:35], s[40:41]
	s_andn2_b64 exec, exec, s[40:41]
	s_cbranch_execz .LBB499_299
.LBB499_269:                            ; =>This Inner Loop Header: Depth=1
	v_min_u32_e32 v4, s46, v100
	s_waitcnt vmcnt(0)
	v_mov_b32_e32 v112, v113
	v_lshlrev_b32_e64 v4, v4, -1
	v_pk_mov_b32 v[48:49], v[20:21], v[20:21] op_sel:[0,1]
	v_not_b32_e32 v20, v4
	v_lshrrev_b32_e32 v4, v10, v112
	v_and_b32_e32 v21, v4, v20
	v_lshl_add_u32 v4, v21, 2, v98
	v_pk_mov_b32 v[52:53], v[18:19], v[18:19] op_sel:[0,1]
	v_lshlrev_b64 v[18:19], 2, v[4:5]
	v_pk_mov_b32 v[36:37], v[54:55], v[54:55] op_sel:[0,1]
	v_add_co_u32_e64 v54, s[34:35], v1, v18
	v_addc_co_u32_e64 v55, s[34:35], v23, v19, s[34:35]
	v_and_b32_e32 v4, 1, v21
	v_add_co_u32_e64 v18, s[34:35], -1, v4
	v_addc_co_u32_e64 v19, s[34:35], 0, -1, s[34:35]
	v_cmp_ne_u32_e64 s[34:35], 0, v4
	v_xor_b32_e32 v18, s34, v18
	v_pk_mov_b32 v[34:35], v[64:65], v[64:65] op_sel:[0,1]
	v_xor_b32_e32 v4, s35, v19
	v_and_b32_e32 v64, exec_lo, v18
	v_lshlrev_b32_e32 v19, 30, v21
	v_mov_b32_e32 v18, v5
	v_cmp_gt_i64_e64 s[34:35], 0, v[18:19]
	v_not_b32_e32 v18, v19
	v_ashrrev_i32_e32 v18, 31, v18
	v_and_b32_e32 v4, exec_hi, v4
	v_xor_b32_e32 v19, s35, v18
	v_xor_b32_e32 v18, s34, v18
	v_and_b32_e32 v4, v4, v19
	v_and_b32_e32 v64, v64, v18
	v_lshlrev_b32_e32 v19, 29, v21
	v_mov_b32_e32 v18, v5
	v_cmp_gt_i64_e64 s[34:35], 0, v[18:19]
	v_not_b32_e32 v18, v19
	v_ashrrev_i32_e32 v18, 31, v18
	v_xor_b32_e32 v19, s35, v18
	v_xor_b32_e32 v18, s34, v18
	v_and_b32_e32 v4, v4, v19
	v_and_b32_e32 v64, v64, v18
	v_lshlrev_b32_e32 v19, 28, v21
	v_mov_b32_e32 v18, v5
	v_cmp_gt_i64_e64 s[34:35], 0, v[18:19]
	v_not_b32_e32 v18, v19
	v_ashrrev_i32_e32 v18, 31, v18
	v_xor_b32_e32 v19, s35, v18
	v_xor_b32_e32 v18, s34, v18
	v_and_b32_e32 v4, v4, v19
	v_and_b32_e32 v64, v64, v18
	v_lshlrev_b32_e32 v19, 27, v21
	v_mov_b32_e32 v18, v5
	v_cmp_gt_i64_e64 s[34:35], 0, v[18:19]
	v_not_b32_e32 v18, v19
	v_ashrrev_i32_e32 v18, 31, v18
	v_xor_b32_e32 v19, s35, v18
	v_xor_b32_e32 v18, s34, v18
	v_and_b32_e32 v4, v4, v19
	v_and_b32_e32 v64, v64, v18
	v_lshlrev_b32_e32 v19, 26, v21
	v_mov_b32_e32 v18, v5
	v_cmp_gt_i64_e64 s[34:35], 0, v[18:19]
	v_not_b32_e32 v18, v19
	v_ashrrev_i32_e32 v18, 31, v18
	v_xor_b32_e32 v19, s35, v18
	v_xor_b32_e32 v18, s34, v18
	v_and_b32_e32 v4, v4, v19
	v_and_b32_e32 v64, v64, v18
	v_lshlrev_b32_e32 v19, 25, v21
	v_mov_b32_e32 v18, v5
	v_cmp_gt_i64_e64 s[34:35], 0, v[18:19]
	v_not_b32_e32 v18, v19
	v_ashrrev_i32_e32 v18, 31, v18
	v_xor_b32_e32 v19, s35, v18
	v_xor_b32_e32 v18, s34, v18
	v_and_b32_e32 v4, v4, v19
	v_and_b32_e32 v64, v64, v18
	v_lshlrev_b32_e32 v19, 24, v21
	v_mov_b32_e32 v18, v5
	v_cmp_gt_i64_e64 s[34:35], 0, v[18:19]
	v_not_b32_e32 v18, v19
	v_ashrrev_i32_e32 v18, 31, v18
	v_xor_b32_e32 v19, s35, v18
	v_xor_b32_e32 v18, s34, v18
	v_and_b32_e32 v18, v64, v18
	v_and_b32_e32 v19, v4, v19
	v_mbcnt_lo_u32_b32 v4, v18, 0
	v_mbcnt_hi_u32_b32 v70, v19, v4
	v_cmp_eq_u32_e64 s[34:35], 0, v70
	v_cmp_ne_u64_e64 s[36:37], 0, v[18:19]
	v_mov_b32_e32 v101, v116
	v_mov_b32_e32 v102, v115
	;; [unrolled: 1-line block ×3, first 2 shown]
	s_and_b64 s[36:37], s[36:37], s[34:35]
	flat_store_dwordx4 v[26:27], v[14:17] offset:16
	s_waitcnt lgkmcnt(0)
	s_barrier
	s_waitcnt lgkmcnt(0)
	; wave barrier
	s_and_saveexec_b64 s[34:35], s[36:37]
	s_cbranch_execz .LBB499_271
; %bb.270:                              ;   in Loop: Header=BB499_269 Depth=1
	v_bcnt_u32_b32 v4, v18, 0
	v_bcnt_u32_b32 v4, v19, v4
	flat_store_dword v[54:55], v4
.LBB499_271:                            ;   in Loop: Header=BB499_269 Depth=1
	s_or_b64 exec, exec, s[34:35]
	v_lshrrev_b32_e32 v4, v10, v103
	v_and_b32_e32 v21, v4, v20
	v_lshl_add_u32 v4, v21, 2, v98
	v_lshlrev_b64 v[18:19], 2, v[4:5]
	v_add_co_u32_e64 v64, s[34:35], v1, v18
	v_addc_co_u32_e64 v65, s[34:35], v23, v19, s[34:35]
	; wave barrier
	flat_load_dword v71, v[64:65]
	v_and_b32_e32 v4, 1, v21
	v_add_co_u32_e64 v18, s[34:35], -1, v4
	v_addc_co_u32_e64 v19, s[34:35], 0, -1, s[34:35]
	v_cmp_ne_u32_e64 s[34:35], 0, v4
	v_xor_b32_e32 v18, s34, v18
	v_xor_b32_e32 v4, s35, v19
	v_and_b32_e32 v66, exec_lo, v18
	v_lshlrev_b32_e32 v19, 30, v21
	v_mov_b32_e32 v18, v5
	v_cmp_gt_i64_e64 s[34:35], 0, v[18:19]
	v_not_b32_e32 v18, v19
	v_ashrrev_i32_e32 v18, 31, v18
	v_and_b32_e32 v4, exec_hi, v4
	v_xor_b32_e32 v19, s35, v18
	v_xor_b32_e32 v18, s34, v18
	v_and_b32_e32 v4, v4, v19
	v_and_b32_e32 v66, v66, v18
	v_lshlrev_b32_e32 v19, 29, v21
	v_mov_b32_e32 v18, v5
	v_cmp_gt_i64_e64 s[34:35], 0, v[18:19]
	v_not_b32_e32 v18, v19
	v_ashrrev_i32_e32 v18, 31, v18
	v_xor_b32_e32 v19, s35, v18
	v_xor_b32_e32 v18, s34, v18
	v_and_b32_e32 v4, v4, v19
	v_and_b32_e32 v66, v66, v18
	v_lshlrev_b32_e32 v19, 28, v21
	v_mov_b32_e32 v18, v5
	v_cmp_gt_i64_e64 s[34:35], 0, v[18:19]
	v_not_b32_e32 v18, v19
	v_ashrrev_i32_e32 v18, 31, v18
	;; [unrolled: 9-line block ×6, first 2 shown]
	v_xor_b32_e32 v19, s35, v18
	v_xor_b32_e32 v18, s34, v18
	v_and_b32_e32 v18, v66, v18
	v_and_b32_e32 v19, v4, v19
	v_mbcnt_lo_u32_b32 v4, v18, 0
	v_mbcnt_hi_u32_b32 v80, v19, v4
	v_cmp_eq_u32_e64 s[34:35], 0, v80
	v_cmp_ne_u64_e64 s[36:37], 0, v[18:19]
	s_and_b64 s[36:37], s[36:37], s[34:35]
	; wave barrier
	s_and_saveexec_b64 s[34:35], s[36:37]
	s_cbranch_execz .LBB499_273
; %bb.272:                              ;   in Loop: Header=BB499_269 Depth=1
	v_bcnt_u32_b32 v4, v18, 0
	v_bcnt_u32_b32 v4, v19, v4
	s_waitcnt vmcnt(0) lgkmcnt(0)
	v_add_u32_e32 v4, v71, v4
	flat_store_dword v[64:65], v4
.LBB499_273:                            ;   in Loop: Header=BB499_269 Depth=1
	s_or_b64 exec, exec, s[34:35]
	v_lshrrev_b32_e32 v4, v10, v102
	v_and_b32_e32 v21, v4, v20
	v_lshl_add_u32 v4, v21, 2, v98
	v_lshlrev_b64 v[18:19], 2, v[4:5]
	v_add_co_u32_e64 v66, s[34:35], v1, v18
	v_addc_co_u32_e64 v67, s[34:35], v23, v19, s[34:35]
	; wave barrier
	flat_load_dword v81, v[66:67]
	v_and_b32_e32 v4, 1, v21
	v_add_co_u32_e64 v18, s[34:35], -1, v4
	v_addc_co_u32_e64 v19, s[34:35], 0, -1, s[34:35]
	v_cmp_ne_u32_e64 s[34:35], 0, v4
	v_xor_b32_e32 v18, s34, v18
	v_xor_b32_e32 v4, s35, v19
	v_and_b32_e32 v68, exec_lo, v18
	v_lshlrev_b32_e32 v19, 30, v21
	v_mov_b32_e32 v18, v5
	v_cmp_gt_i64_e64 s[34:35], 0, v[18:19]
	v_not_b32_e32 v18, v19
	v_ashrrev_i32_e32 v18, 31, v18
	v_and_b32_e32 v4, exec_hi, v4
	v_xor_b32_e32 v19, s35, v18
	v_xor_b32_e32 v18, s34, v18
	v_and_b32_e32 v4, v4, v19
	v_and_b32_e32 v68, v68, v18
	v_lshlrev_b32_e32 v19, 29, v21
	v_mov_b32_e32 v18, v5
	v_cmp_gt_i64_e64 s[34:35], 0, v[18:19]
	v_not_b32_e32 v18, v19
	v_ashrrev_i32_e32 v18, 31, v18
	v_xor_b32_e32 v19, s35, v18
	v_xor_b32_e32 v18, s34, v18
	v_and_b32_e32 v4, v4, v19
	v_and_b32_e32 v68, v68, v18
	v_lshlrev_b32_e32 v19, 28, v21
	v_mov_b32_e32 v18, v5
	v_cmp_gt_i64_e64 s[34:35], 0, v[18:19]
	v_not_b32_e32 v18, v19
	v_ashrrev_i32_e32 v18, 31, v18
	;; [unrolled: 9-line block ×6, first 2 shown]
	v_xor_b32_e32 v19, s35, v18
	v_xor_b32_e32 v18, s34, v18
	v_and_b32_e32 v18, v68, v18
	v_and_b32_e32 v19, v4, v19
	v_mbcnt_lo_u32_b32 v4, v18, 0
	v_mbcnt_hi_u32_b32 v82, v19, v4
	v_cmp_eq_u32_e64 s[34:35], 0, v82
	v_cmp_ne_u64_e64 s[36:37], 0, v[18:19]
	s_and_b64 s[36:37], s[36:37], s[34:35]
	; wave barrier
	s_and_saveexec_b64 s[34:35], s[36:37]
	s_cbranch_execz .LBB499_275
; %bb.274:                              ;   in Loop: Header=BB499_269 Depth=1
	v_bcnt_u32_b32 v4, v18, 0
	v_bcnt_u32_b32 v4, v19, v4
	s_waitcnt vmcnt(0) lgkmcnt(0)
	v_add_u32_e32 v4, v81, v4
	flat_store_dword v[66:67], v4
.LBB499_275:                            ;   in Loop: Header=BB499_269 Depth=1
	s_or_b64 exec, exec, s[34:35]
	v_lshrrev_b32_e32 v4, v10, v101
	v_and_b32_e32 v20, v4, v20
	v_lshl_add_u32 v4, v20, 2, v98
	v_lshlrev_b64 v[18:19], 2, v[4:5]
	v_add_co_u32_e64 v68, s[34:35], v1, v18
	v_addc_co_u32_e64 v69, s[34:35], v23, v19, s[34:35]
	; wave barrier
	flat_load_dword v83, v[68:69]
	v_and_b32_e32 v4, 1, v20
	v_add_co_u32_e64 v18, s[34:35], -1, v4
	v_addc_co_u32_e64 v19, s[34:35], 0, -1, s[34:35]
	v_cmp_ne_u32_e64 s[34:35], 0, v4
	v_xor_b32_e32 v18, s34, v18
	v_xor_b32_e32 v4, s35, v19
	v_and_b32_e32 v21, exec_lo, v18
	v_lshlrev_b32_e32 v19, 30, v20
	v_mov_b32_e32 v18, v5
	v_cmp_gt_i64_e64 s[34:35], 0, v[18:19]
	v_not_b32_e32 v18, v19
	v_ashrrev_i32_e32 v18, 31, v18
	v_and_b32_e32 v4, exec_hi, v4
	v_xor_b32_e32 v19, s35, v18
	v_xor_b32_e32 v18, s34, v18
	v_and_b32_e32 v4, v4, v19
	v_and_b32_e32 v21, v21, v18
	v_lshlrev_b32_e32 v19, 29, v20
	v_mov_b32_e32 v18, v5
	v_cmp_gt_i64_e64 s[34:35], 0, v[18:19]
	v_not_b32_e32 v18, v19
	v_ashrrev_i32_e32 v18, 31, v18
	v_xor_b32_e32 v19, s35, v18
	v_xor_b32_e32 v18, s34, v18
	v_and_b32_e32 v4, v4, v19
	v_and_b32_e32 v21, v21, v18
	v_lshlrev_b32_e32 v19, 28, v20
	v_mov_b32_e32 v18, v5
	v_cmp_gt_i64_e64 s[34:35], 0, v[18:19]
	v_not_b32_e32 v18, v19
	v_ashrrev_i32_e32 v18, 31, v18
	;; [unrolled: 9-line block ×6, first 2 shown]
	v_xor_b32_e32 v19, s35, v18
	v_xor_b32_e32 v18, s34, v18
	v_and_b32_e32 v18, v21, v18
	v_and_b32_e32 v19, v4, v19
	v_mbcnt_lo_u32_b32 v4, v18, 0
	v_mbcnt_hi_u32_b32 v84, v19, v4
	v_cmp_eq_u32_e64 s[34:35], 0, v84
	v_cmp_ne_u64_e64 s[36:37], 0, v[18:19]
	s_and_b64 s[36:37], s[36:37], s[34:35]
	; wave barrier
	s_and_saveexec_b64 s[34:35], s[36:37]
	s_cbranch_execz .LBB499_277
; %bb.276:                              ;   in Loop: Header=BB499_269 Depth=1
	v_bcnt_u32_b32 v4, v18, 0
	v_bcnt_u32_b32 v4, v19, v4
	s_waitcnt vmcnt(0) lgkmcnt(0)
	v_add_u32_e32 v4, v83, v4
	flat_store_dword v[68:69], v4
.LBB499_277:                            ;   in Loop: Header=BB499_269 Depth=1
	s_or_b64 exec, exec, s[34:35]
	; wave barrier
	s_waitcnt lgkmcnt(0)
	s_barrier
	flat_load_dwordx4 v[18:21], v[26:27] offset:16
	s_waitcnt vmcnt(0) lgkmcnt(0)
	v_add_u32_e32 v4, v19, v18
	v_add3_u32 v4, v4, v20, v21
	s_nop 1
	v_mov_b32_dpp v21, v4 row_shr:1 row_mask:0xf bank_mask:0xf
	v_cndmask_b32_e64 v21, v21, 0, vcc
	v_add_u32_e32 v4, v21, v4
	s_nop 1
	v_mov_b32_dpp v21, v4 row_shr:2 row_mask:0xf bank_mask:0xf
	v_cndmask_b32_e64 v21, 0, v21, s[4:5]
	v_add_u32_e32 v4, v4, v21
	s_nop 1
	v_mov_b32_dpp v21, v4 row_shr:4 row_mask:0xf bank_mask:0xf
	v_cndmask_b32_e64 v21, 0, v21, s[6:7]
	;; [unrolled: 4-line block ×3, first 2 shown]
	v_add_u32_e32 v4, v4, v21
	s_nop 1
	v_mov_b32_dpp v21, v4 row_bcast:15 row_mask:0xf bank_mask:0xf
	v_cndmask_b32_e64 v21, v21, 0, s[30:31]
	v_add_u32_e32 v4, v4, v21
	s_nop 1
	v_mov_b32_dpp v21, v4 row_bcast:31 row_mask:0xf bank_mask:0xf
	v_cndmask_b32_e64 v21, 0, v21, s[14:15]
	v_add_u32_e32 v4, v4, v21
	s_and_saveexec_b64 s[34:35], s[16:17]
	s_cbranch_execz .LBB499_279
; %bb.278:                              ;   in Loop: Header=BB499_269 Depth=1
	flat_store_dword v[30:31], v4
.LBB499_279:                            ;   in Loop: Header=BB499_269 Depth=1
	s_or_b64 exec, exec, s[34:35]
	s_waitcnt lgkmcnt(0)
	s_barrier
	s_and_saveexec_b64 s[34:35], s[18:19]
	s_cbranch_execz .LBB499_281
; %bb.280:                              ;   in Loop: Header=BB499_269 Depth=1
	flat_load_dword v21, v[28:29]
	s_waitcnt vmcnt(0) lgkmcnt(0)
	s_nop 0
	v_mov_b32_dpp v85, v21 row_shr:1 row_mask:0xf bank_mask:0xf
	v_cndmask_b32_e64 v85, v85, 0, s[26:27]
	v_add_u32_e32 v21, v85, v21
	s_nop 1
	v_mov_b32_dpp v85, v21 row_shr:2 row_mask:0xf bank_mask:0xf
	v_cndmask_b32_e64 v85, 0, v85, s[28:29]
	v_add_u32_e32 v21, v21, v85
	flat_store_dword v[28:29], v21
.LBB499_281:                            ;   in Loop: Header=BB499_269 Depth=1
	s_or_b64 exec, exec, s[34:35]
	v_mov_b32_e32 v21, 0
	s_waitcnt lgkmcnt(0)
	s_barrier
	s_and_saveexec_b64 s[34:35], s[20:21]
	s_cbranch_execz .LBB499_283
; %bb.282:                              ;   in Loop: Header=BB499_269 Depth=1
	flat_load_dword v21, v[32:33]
.LBB499_283:                            ;   in Loop: Header=BB499_269 Depth=1
	s_or_b64 exec, exec, s[34:35]
	s_waitcnt vmcnt(0) lgkmcnt(0)
	v_add_u32_e32 v4, v21, v4
	ds_bpermute_b32 v4, v99, v4
	v_add_u32_e32 v10, 8, v10
	v_cmp_lt_u32_e64 s[34:35], v10, v11
	s_mov_b64 s[44:45], -1
                                        ; implicit-def: $vgpr113
	s_waitcnt lgkmcnt(0)
	v_cndmask_b32_e64 v4, v4, v21, s[22:23]
	v_cndmask_b32_e64 v114, v4, 0, s[24:25]
	v_add_u32_e32 v115, v114, v18
	v_add_u32_e32 v116, v115, v19
	;; [unrolled: 1-line block ×3, first 2 shown]
	flat_store_dwordx4 v[26:27], v[114:117] offset:16
	s_waitcnt lgkmcnt(0)
	s_barrier
	flat_load_dword v4, v[54:55]
	flat_load_dword v18, v[64:65]
	;; [unrolled: 1-line block ×4, first 2 shown]
	v_mov_b32_e32 v19, v5
	v_mov_b32_e32 v21, v5
	;; [unrolled: 1-line block ×3, first 2 shown]
	s_waitcnt lgkmcnt(0)
                                        ; implicit-def: $vgpr116
                                        ; implicit-def: $vgpr115
                                        ; implicit-def: $vgpr114
                                        ; implicit-def: $vgpr64_vgpr65
	s_waitcnt vmcnt(0) lgkmcnt(0)
	v_add_u32_e32 v4, v4, v70
	v_add3_u32 v18, v80, v71, v18
	v_add3_u32 v20, v82, v81, v20
	;; [unrolled: 1-line block ×3, first 2 shown]
	v_lshlrev_b64 v[84:85], 2, v[4:5]
	v_add_co_u32_e64 v96, s[36:37], v12, v84
	v_lshlrev_b64 v[80:81], 2, v[18:19]
	v_addc_co_u32_e64 v97, s[36:37], v13, v85, s[36:37]
	v_add_co_u32_e64 v86, s[36:37], v12, v80
	v_lshlrev_b64 v[68:69], 2, v[20:21]
	v_addc_co_u32_e64 v87, s[36:37], v13, v81, s[36:37]
	;; [unrolled: 3-line block ×3, first 2 shown]
	v_add_co_u32_e64 v70, s[36:37], v12, v66
	v_addc_co_u32_e64 v71, s[36:37], v13, v67, s[36:37]
                                        ; implicit-def: $vgpr18_vgpr19
                                        ; implicit-def: $vgpr20_vgpr21
                                        ; implicit-def: $vgpr54_vgpr55
	s_and_saveexec_b64 s[36:37], s[34:35]
	s_cbranch_execz .LBB499_268
; %bb.284:                              ;   in Loop: Header=BB499_269 Depth=1
	v_add_co_u32_e64 v18, s[34:35], v96, v84
	v_addc_co_u32_e64 v19, s[34:35], v97, v85, s[34:35]
	s_barrier
	flat_store_dword v[96:97], v112
	flat_store_dword v[86:87], v103
	;; [unrolled: 1-line block ×4, first 2 shown]
	s_waitcnt lgkmcnt(0)
	s_barrier
	flat_load_dword v113, v[38:39]
	flat_load_dword v114, v[38:39] offset:256
	flat_load_dword v115, v[38:39] offset:512
	flat_load_dword v116, v[38:39] offset:768
	s_waitcnt lgkmcnt(0)
	s_barrier
	flat_store_dwordx2 v[18:19], v[52:53]
	v_add_co_u32_e64 v18, s[34:35], v86, v80
	v_addc_co_u32_e64 v19, s[34:35], v87, v81, s[34:35]
	flat_store_dwordx2 v[18:19], v[48:49]
	v_add_co_u32_e64 v18, s[34:35], v82, v68
	v_addc_co_u32_e64 v19, s[34:35], v83, v69, s[34:35]
	;; [unrolled: 3-line block ×3, first 2 shown]
	flat_store_dwordx2 v[18:19], v[34:35]
	s_waitcnt lgkmcnt(0)
	s_barrier
	flat_load_dwordx2 v[18:19], v[50:51]
	flat_load_dwordx2 v[20:21], v[50:51] offset:512
	flat_load_dwordx2 v[54:55], v[50:51] offset:1024
	;; [unrolled: 1-line block ×3, first 2 shown]
	v_add_u32_e32 v100, -8, v100
	s_xor_b64 s[44:45], exec, -1
	s_waitcnt lgkmcnt(0)
	s_barrier
	s_branch .LBB499_268
.LBB499_285:
	flat_load_dwordx2 v[66:67], v[4:5]
	s_or_b64 exec, exec, s[22:23]
                                        ; implicit-def: $vgpr68_vgpr69
	s_and_saveexec_b64 s[22:23], s[4:5]
	s_cbranch_execz .LBB499_163
.LBB499_286:
	flat_load_dwordx2 v[68:69], v[4:5] offset:512
	s_or_b64 exec, exec, s[22:23]
                                        ; implicit-def: $vgpr80_vgpr81
	s_and_saveexec_b64 s[4:5], s[6:7]
	s_cbranch_execz .LBB499_164
.LBB499_287:
	flat_load_dwordx2 v[80:81], v[4:5] offset:1024
	s_or_b64 exec, exec, s[4:5]
                                        ; implicit-def: $vgpr114_vgpr115
	s_and_saveexec_b64 s[4:5], s[10:11]
	s_cbranch_execz .LBB499_165
.LBB499_288:
	flat_load_dwordx2 v[114:115], v[4:5] offset:1536
	s_or_b64 exec, exec, s[4:5]
                                        ; implicit-def: $vgpr134_vgpr135
	s_and_saveexec_b64 s[4:5], s[20:21]
	s_cbranch_execz .LBB499_166
.LBB499_289:
	flat_load_dwordx2 v[134:135], v[4:5] offset:2048
	s_or_b64 exec, exec, s[4:5]
                                        ; implicit-def: $vgpr144_vgpr145
	s_and_saveexec_b64 s[4:5], s[14:15]
	s_cbranch_execz .LBB499_167
.LBB499_290:
	flat_load_dwordx2 v[144:145], v[4:5] offset:2560
	s_or_b64 exec, exec, s[4:5]
                                        ; implicit-def: $vgpr146_vgpr147
	s_and_saveexec_b64 s[4:5], s[16:17]
	s_cbranch_execz .LBB499_168
.LBB499_291:
	flat_load_dwordx2 v[146:147], v[4:5] offset:3072
	s_or_b64 exec, exec, s[4:5]
                                        ; implicit-def: $vgpr148_vgpr149
	s_and_saveexec_b64 s[4:5], s[18:19]
	s_cbranch_execnz .LBB499_169
	s_branch .LBB499_170
.LBB499_292:
	s_waitcnt vmcnt(0)
	flat_store_dwordx2 v[0:1], v[24:25]
	s_or_b64 exec, exec, s[24:25]
	s_and_saveexec_b64 s[4:5], s[10:11]
	s_cbranch_execz .LBB499_244
.LBB499_293:
	s_waitcnt vmcnt(0)
	flat_store_dwordx2 v[0:1], v[20:21] offset:2048
	s_or_b64 exec, exec, s[4:5]
	s_and_saveexec_b64 s[4:5], s[16:17]
	s_cbranch_execz .LBB499_245
.LBB499_294:
	v_add_co_u32_e32 v2, vcc, 0x1000, v0
	v_addc_co_u32_e32 v3, vcc, 0, v1, vcc
	s_waitcnt vmcnt(0)
	flat_store_dwordx2 v[2:3], v[18:19]
	s_or_b64 exec, exec, s[4:5]
	s_and_saveexec_b64 s[4:5], s[22:23]
	s_cbranch_execz .LBB499_246
.LBB499_295:
	v_add_co_u32_e32 v2, vcc, 0x1000, v0
	v_addc_co_u32_e32 v3, vcc, 0, v1, vcc
	s_waitcnt vmcnt(0)
	flat_store_dwordx2 v[2:3], v[14:15] offset:2048
	s_or_b64 exec, exec, s[4:5]
	s_and_saveexec_b64 s[4:5], s[6:7]
	s_cbranch_execz .LBB499_247
.LBB499_296:
	v_add_co_u32_e32 v2, vcc, 0x2000, v0
	v_addc_co_u32_e32 v3, vcc, 0, v1, vcc
	s_waitcnt vmcnt(0)
	flat_store_dwordx2 v[2:3], v[16:17]
	s_or_b64 exec, exec, s[4:5]
	s_and_saveexec_b64 s[4:5], s[14:15]
	s_cbranch_execz .LBB499_248
.LBB499_297:
	v_add_co_u32_e32 v2, vcc, 0x2000, v0
	v_addc_co_u32_e32 v3, vcc, 0, v1, vcc
	s_waitcnt vmcnt(0)
	flat_store_dwordx2 v[2:3], v[12:13] offset:2048
	s_or_b64 exec, exec, s[4:5]
	s_and_saveexec_b64 s[4:5], s[18:19]
	s_cbranch_execz .LBB499_249
.LBB499_298:
	v_add_co_u32_e32 v2, vcc, 0x3000, v0
	v_addc_co_u32_e32 v3, vcc, 0, v1, vcc
	s_waitcnt vmcnt(0)
	flat_store_dwordx2 v[2:3], v[10:11]
	s_or_b64 exec, exec, s[4:5]
	s_and_saveexec_b64 s[4:5], s[20:21]
	s_cbranch_execnz .LBB499_250
	s_branch .LBB499_251
.LBB499_299:
	s_or_b64 exec, exec, s[40:41]
	v_add_co_u32_e32 v4, vcc, v96, v84
	v_addc_co_u32_e32 v5, vcc, v97, v85, vcc
	s_barrier
	flat_store_dword v[96:97], v112
	flat_store_dword v[86:87], v103
	;; [unrolled: 1-line block ×4, first 2 shown]
	s_waitcnt lgkmcnt(0)
	s_barrier
	s_waitcnt vmcnt(0)
	flat_load_dword v19, v[28:29]
	flat_load_dword v18, v[28:29] offset:1024
	flat_load_dword v17, v[28:29] offset:2048
	;; [unrolled: 1-line block ×3, first 2 shown]
	s_waitcnt lgkmcnt(0)
	s_barrier
	flat_store_dwordx2 v[4:5], v[52:53]
	v_add_co_u32_e32 v4, vcc, v86, v80
	v_addc_co_u32_e32 v5, vcc, v87, v81, vcc
	flat_store_dwordx2 v[4:5], v[48:49]
	v_add_co_u32_e32 v4, vcc, v82, v68
	v_addc_co_u32_e32 v5, vcc, v83, v69, vcc
	;; [unrolled: 3-line block ×3, first 2 shown]
	v_lshlrev_b32_e32 v1, 3, v22
	v_add_co_u32_e32 v20, vcc, v12, v1
	v_addc_co_u32_e32 v21, vcc, 0, v13, vcc
	s_movk_i32 s4, 0x1000
	v_add_co_u32_e32 v22, vcc, s4, v20
	flat_store_dwordx2 v[4:5], v[34:35]
	s_waitcnt lgkmcnt(0)
	s_barrier
	v_addc_co_u32_e32 v23, vcc, 0, v21, vcc
	flat_load_dwordx2 v[14:15], v[20:21]
	flat_load_dwordx2 v[12:13], v[20:21] offset:2048
	flat_load_dwordx2 v[10:11], v[22:23]
	flat_load_dwordx2 v[4:5], v[22:23] offset:2048
	v_mov_b32_e32 v1, 0
	v_add_co_u32_e32 v20, vcc, v2, v24
	v_addc_co_u32_e32 v21, vcc, v3, v25, vcc
	v_lshlrev_b64 v[2:3], 2, v[0:1]
	v_add_co_u32_e32 v2, vcc, v20, v2
	v_addc_co_u32_e32 v3, vcc, v21, v3, vcc
	v_cmp_lt_u32_e32 vcc, v0, v152
	s_waitcnt lgkmcnt(0)
	s_barrier
	s_and_saveexec_b64 s[4:5], vcc
	s_cbranch_execz .LBB499_301
; %bb.300:
	s_waitcnt vmcnt(0)
	v_xor_b32_e32 v19, 0x7fffffff, v19
	flat_store_dword v[2:3], v19
.LBB499_301:
	s_or_b64 exec, exec, s[4:5]
	s_waitcnt vmcnt(0)
	v_add_u32_e32 v19, 0x100, v0
	v_cmp_lt_u32_e64 s[4:5], v19, v152
	s_and_saveexec_b64 s[6:7], s[4:5]
	s_cbranch_execz .LBB499_303
; %bb.302:
	v_xor_b32_e32 v18, 0x7fffffff, v18
	flat_store_dword v[2:3], v18 offset:1024
.LBB499_303:
	s_or_b64 exec, exec, s[6:7]
	v_add_u32_e32 v18, 0x200, v0
	v_cmp_lt_u32_e64 s[10:11], v18, v152
	s_and_saveexec_b64 s[6:7], s[10:11]
	s_cbranch_execz .LBB499_305
; %bb.304:
	v_xor_b32_e32 v17, 0x7fffffff, v17
	flat_store_dword v[2:3], v17 offset:2048
.LBB499_305:
	s_or_b64 exec, exec, s[6:7]
	;; [unrolled: 9-line block ×3, first 2 shown]
	v_add_co_u32_e64 v2, s[14:15], v6, v8
	v_addc_co_u32_e64 v3, s[14:15], v7, v9, s[14:15]
	v_lshlrev_b64 v[0:1], 3, v[0:1]
	v_add_co_u32_e64 v0, s[14:15], v2, v0
	v_addc_co_u32_e64 v1, s[14:15], v3, v1, s[14:15]
	s_and_saveexec_b64 s[14:15], vcc
	s_cbranch_execnz .LBB499_340
; %bb.308:
	s_or_b64 exec, exec, s[14:15]
	s_and_saveexec_b64 s[14:15], s[4:5]
	s_cbranch_execnz .LBB499_341
.LBB499_309:
	s_or_b64 exec, exec, s[14:15]
	s_and_saveexec_b64 s[4:5], s[10:11]
	s_cbranch_execnz .LBB499_342
.LBB499_310:
	s_or_b64 exec, exec, s[4:5]
	s_and_saveexec_b64 s[4:5], s[6:7]
	s_cbranch_execz .LBB499_312
.LBB499_311:
	v_add_co_u32_e32 v0, vcc, 0x1000, v0
	v_addc_co_u32_e32 v1, vcc, 0, v1, vcc
	flat_store_dwordx2 v[0:1], v[4:5] offset:2048
.LBB499_312:
	s_or_b64 exec, exec, s[4:5]
                                        ; implicit-def: $vgpr152
                                        ; implicit-def: $vgpr0
                                        ; implicit-def: $vgpr1
                                        ; implicit-def: $vgpr2
                                        ; implicit-def: $vgpr3
                                        ; implicit-def: $vgpr4
                                        ; implicit-def: $vgpr5
                                        ; implicit-def: $vgpr6
                                        ; implicit-def: $vgpr7
                                        ; implicit-def: $vgpr8
                                        ; implicit-def: $vgpr10
                                        ; implicit-def: $vgpr11
                                        ; implicit-def: $vgpr12
                                        ; implicit-def: $vgpr13
                                        ; implicit-def: $vgpr31
                                        ; implicit-def: $vgpr14
                                        ; implicit-def: $vgpr16
                                        ; implicit-def: $vgpr15
.LBB499_313:
	s_andn2_saveexec_b64 s[4:5], s[38:39]
	s_cbranch_execz .LBB499_372
; %bb.314:
	s_load_dwordx2 s[4:5], s[8:9], 0x0
	v_mov_b32_e32 v9, 0
	s_waitcnt vmcnt(0)
	v_and_b32_e32 v26, 0x3ff, v31
	v_lshlrev_b64 v[24:25], 2, v[8:9]
	s_waitcnt lgkmcnt(0)
	s_cmp_lt_u32 s12, s4
	s_cselect_b32 s6, 12, 18
	s_cmp_lt_u32 s13, s5
	s_cselect_b32 s4, 14, 20
	s_add_u32 s4, s8, s4
	s_addc_u32 s5, s9, 0
	s_add_u32 s6, s8, s6
	global_load_ushort v17, v9, s[4:5]
	s_addc_u32 s7, s9, 0
	global_load_ushort v18, v9, s[6:7]
	s_movk_i32 s4, 0x100
	v_cmp_lt_u32_e32 vcc, s4, v152
	s_waitcnt vmcnt(1)
	v_mad_u32_u24 v14, v16, v17, v14
	s_waitcnt vmcnt(0)
	v_mad_u64_u32 v[22:23], s[4:5], v14, v18, v[26:27]
	s_and_saveexec_b64 s[4:5], vcc
	s_xor_b64 s[34:35], exec, s[4:5]
	s_cbranch_execz .LBB499_352
; %bb.315:
	v_mbcnt_hi_u32_b32 v32, -1, v15
	v_add_co_u32_e32 v0, vcc, v0, v24
	v_and_b32_e32 v34, 63, v32
	v_lshlrev_b32_e32 v14, 1, v22
	v_addc_co_u32_e32 v1, vcc, v1, v25, vcc
	v_and_b32_e32 v16, 0xffffff80, v14
	v_lshlrev_b32_e32 v14, 2, v34
	v_add_co_u32_e32 v14, vcc, v0, v14
	v_mov_b32_e32 v17, v9
	v_addc_co_u32_e32 v15, vcc, 0, v1, vcc
	v_lshlrev_b64 v[0:1], 2, v[16:17]
	v_add_co_u32_e32 v0, vcc, v14, v0
	s_brev_b32 s4, 1
	v_addc_co_u32_e32 v1, vcc, v15, v1, vcc
	v_or_b32_e32 v18, v34, v16
	s_mov_b32 s5, s4
	v_cmp_lt_u32_e32 vcc, v18, v152
	v_pk_mov_b32 v[14:15], s[4:5], s[4:5] op_sel:[0,1]
	s_and_saveexec_b64 s[4:5], vcc
	s_cbranch_execz .LBB499_317
; %bb.316:
	flat_load_dword v14, v[0:1]
	v_bfrev_b32_e32 v15, 1
.LBB499_317:
	s_or_b64 exec, exec, s[4:5]
	v_or_b32_e32 v18, 64, v18
	v_cmp_lt_u32_e64 s[4:5], v18, v152
	s_and_saveexec_b64 s[6:7], s[4:5]
	s_cbranch_execz .LBB499_319
; %bb.318:
	flat_load_dword v15, v[0:1] offset:256
.LBB499_319:
	s_or_b64 exec, exec, s[6:7]
	v_lshlrev_b64 v[0:1], 3, v[8:9]
	v_add_co_u32_e64 v4, s[6:7], v4, v0
	v_addc_co_u32_e64 v5, s[6:7], v5, v1, s[6:7]
	v_lshlrev_b32_e32 v8, 3, v34
	v_add_co_u32_e64 v8, s[6:7], v4, v8
	v_addc_co_u32_e64 v9, s[6:7], 0, v5, s[6:7]
	v_lshlrev_b64 v[4:5], 3, v[16:17]
	v_add_co_u32_e64 v4, s[6:7], v8, v4
	v_addc_co_u32_e64 v5, s[6:7], v9, v5, s[6:7]
                                        ; implicit-def: $vgpr18_vgpr19
	s_and_saveexec_b64 s[6:7], vcc
	s_cbranch_execz .LBB499_321
; %bb.320:
	flat_load_dwordx2 v[18:19], v[4:5]
.LBB499_321:
	s_or_b64 exec, exec, s[6:7]
                                        ; implicit-def: $vgpr20_vgpr21
	s_and_saveexec_b64 s[6:7], s[4:5]
	s_cbranch_execz .LBB499_323
; %bb.322:
	flat_load_dwordx2 v[20:21], v[4:5] offset:512
.LBB499_323:
	s_or_b64 exec, exec, s[6:7]
	s_waitcnt vmcnt(0) lgkmcnt(0)
	v_xor_b32_e32 v80, 0x7fffffff, v15
	v_add_co_u32_e32 v23, vcc, 16, v12
	v_and_b32_e32 v15, 0x3c0, v26
	v_addc_co_u32_e32 v27, vcc, 0, v13, vcc
	v_lshlrev_b32_e32 v8, 4, v26
	v_min_u32_e32 v15, 0xc0, v15
	v_add_co_u32_e32 v8, vcc, v12, v8
	v_or_b32_e32 v15, 63, v15
	v_xor_b32_e32 v71, 0x7fffffff, v14
	s_getpc_b64 s[4:5]
	s_add_u32 s4, s4, _ZN7rocprim17ROCPRIM_400000_NS16block_radix_sortIiLj256ELj2ElLj1ELj1ELj8ELNS0_26block_radix_rank_algorithmE2ELNS0_18block_padding_hintE2ELNS0_4arch9wavefront6targetE1EE19radix_bits_per_passE@rel32@lo+4
	s_addc_u32 s5, s5, _ZN7rocprim17ROCPRIM_400000_NS16block_radix_sortIiLj256ELj2ElLj1ELj1ELj8ELNS0_26block_radix_rank_algorithmE2ELNS0_18block_padding_hintE2ELNS0_4arch9wavefront6targetE1EE19radix_bits_per_passE@rel32@hi+12
	v_addc_co_u32_e32 v9, vcc, 0, v13, vcc
	v_and_b32_e32 v14, 15, v32
	v_cmp_eq_u32_e64 s[14:15], v15, v26
	v_add_u32_e32 v15, -1, v32
	v_and_b32_e32 v16, 64, v32
	s_load_dword s40, s[4:5], 0x0
	v_cmp_eq_u32_e32 vcc, 0, v14
	v_cmp_lt_u32_e64 s[4:5], 1, v14
	v_cmp_lt_u32_e64 s[6:7], 3, v14
	;; [unrolled: 1-line block ×3, first 2 shown]
	v_and_b32_e32 v14, 16, v32
	v_cmp_lt_i32_e64 s[20:21], v15, v16
	v_cmp_eq_u32_e64 s[10:11], 0, v14
	v_lshrrev_b32_e32 v14, 6, v26
	v_cndmask_b32_e64 v15, v15, v32, s[20:21]
	v_lshlrev_b32_e32 v67, 2, v15
	v_lshlrev_b32_e32 v15, 2, v14
	v_add_co_u32_e64 v30, s[24:25], v12, v15
	v_lshlrev_b32_e32 v4, 2, v26
	v_addc_co_u32_e64 v31, s[24:25], 0, v13, s[24:25]
	v_add_co_u32_e64 v28, s[24:25], v12, v4
	v_addc_co_u32_e64 v29, s[24:25], 0, v13, s[24:25]
	v_and_b32_e32 v4, 3, v32
	v_mov_b32_e32 v5, 0
	v_cmp_eq_u32_e64 s[24:25], 0, v4
	v_cmp_lt_u32_e64 s[26:27], 1, v4
	v_add_u32_e32 v4, -1, v14
	v_lshlrev_b64 v[14:15], 2, v[4:5]
	v_cmp_lt_u32_e64 s[12:13], 31, v32
	v_cmp_eq_u32_e64 s[20:21], 0, v32
	v_add_co_u32_e64 v32, s[28:29], v12, v14
	v_addc_co_u32_e64 v33, s[28:29], v13, v15, s[28:29]
	v_lshlrev_b32_e32 v4, 1, v26
	s_movk_i32 s28, 0x780
	v_and_or_b32 v4, v4, s28, v34
	v_lshlrev_b32_e32 v4, 2, v4
	v_add_co_u32_e64 v36, s[28:29], v12, v4
	v_addc_co_u32_e64 v37, s[28:29], 0, v13, s[28:29]
	v_add_co_u32_e64 v38, s[28:29], v36, v4
	v_lshrrev_b32_e32 v66, 6, v22
	v_cmp_gt_u32_e64 s[16:17], 4, v26
	v_cmp_lt_u32_e64 s[18:19], 63, v26
	v_cmp_eq_u32_e64 s[22:23], 0, v26
	v_addc_co_u32_e64 v39, s[28:29], 0, v37, s[28:29]
	v_sub_u32_e32 v68, v11, v10
	s_mov_b64 s[36:37], 0
	v_mov_b32_e32 v14, v5
	v_mov_b32_e32 v15, v5
	;; [unrolled: 1-line block ×4, first 2 shown]
	s_waitcnt lgkmcnt(0)
	s_barrier
	s_branch .LBB499_325
.LBB499_324:                            ;   in Loop: Header=BB499_325 Depth=1
	s_or_b64 exec, exec, s[30:31]
	s_and_b64 s[28:29], exec, s[38:39]
	s_or_b64 s[36:37], s[28:29], s[36:37]
	s_andn2_b64 exec, exec, s[36:37]
	s_cbranch_execz .LBB499_343
.LBB499_325:                            ; =>This Inner Loop Header: Depth=1
	v_min_u32_e32 v4, s40, v68
	s_waitcnt vmcnt(0)
	v_mov_b32_e32 v70, v71
	v_lshlrev_b32_e64 v4, v4, -1
	v_pk_mov_b32 v[34:35], v[20:21], v[20:21] op_sel:[0,1]
	v_not_b32_e32 v20, v4
	v_lshrrev_b32_e32 v4, v10, v70
	v_and_b32_e32 v21, v4, v20
	v_lshl_add_u32 v4, v21, 2, v66
	v_pk_mov_b32 v[48:49], v[18:19], v[18:19] op_sel:[0,1]
	v_lshlrev_b64 v[18:19], 2, v[4:5]
	v_add_co_u32_e64 v50, s[28:29], v23, v18
	v_addc_co_u32_e64 v51, s[28:29], v27, v19, s[28:29]
	v_and_b32_e32 v4, 1, v21
	v_add_co_u32_e64 v18, s[28:29], -1, v4
	v_addc_co_u32_e64 v19, s[28:29], 0, -1, s[28:29]
	v_cmp_ne_u32_e64 s[28:29], 0, v4
	v_xor_b32_e32 v18, s28, v18
	v_xor_b32_e32 v4, s29, v19
	v_and_b32_e32 v52, exec_lo, v18
	v_lshlrev_b32_e32 v19, 30, v21
	v_mov_b32_e32 v18, v5
	v_cmp_gt_i64_e64 s[28:29], 0, v[18:19]
	v_not_b32_e32 v18, v19
	v_ashrrev_i32_e32 v18, 31, v18
	v_and_b32_e32 v4, exec_hi, v4
	v_xor_b32_e32 v19, s29, v18
	v_xor_b32_e32 v18, s28, v18
	v_and_b32_e32 v4, v4, v19
	v_and_b32_e32 v52, v52, v18
	v_lshlrev_b32_e32 v19, 29, v21
	v_mov_b32_e32 v18, v5
	v_cmp_gt_i64_e64 s[28:29], 0, v[18:19]
	v_not_b32_e32 v18, v19
	v_ashrrev_i32_e32 v18, 31, v18
	v_xor_b32_e32 v19, s29, v18
	v_xor_b32_e32 v18, s28, v18
	v_and_b32_e32 v4, v4, v19
	v_and_b32_e32 v52, v52, v18
	v_lshlrev_b32_e32 v19, 28, v21
	v_mov_b32_e32 v18, v5
	v_cmp_gt_i64_e64 s[28:29], 0, v[18:19]
	v_not_b32_e32 v18, v19
	v_ashrrev_i32_e32 v18, 31, v18
	;; [unrolled: 9-line block ×6, first 2 shown]
	v_xor_b32_e32 v19, s29, v18
	v_xor_b32_e32 v18, s28, v18
	v_and_b32_e32 v18, v52, v18
	v_and_b32_e32 v19, v4, v19
	v_mbcnt_lo_u32_b32 v4, v18, 0
	v_mbcnt_hi_u32_b32 v54, v19, v4
	v_cmp_eq_u32_e64 s[28:29], 0, v54
	v_cmp_ne_u64_e64 s[30:31], 0, v[18:19]
	v_mov_b32_e32 v69, v80
	s_and_b64 s[30:31], s[30:31], s[28:29]
	flat_store_dwordx4 v[8:9], v[14:17] offset:16
	s_waitcnt lgkmcnt(0)
	s_barrier
	s_waitcnt lgkmcnt(0)
	; wave barrier
	s_and_saveexec_b64 s[28:29], s[30:31]
	s_cbranch_execz .LBB499_327
; %bb.326:                              ;   in Loop: Header=BB499_325 Depth=1
	v_bcnt_u32_b32 v4, v18, 0
	v_bcnt_u32_b32 v4, v19, v4
	flat_store_dword v[50:51], v4
.LBB499_327:                            ;   in Loop: Header=BB499_325 Depth=1
	s_or_b64 exec, exec, s[28:29]
	v_lshrrev_b32_e32 v4, v10, v69
	v_and_b32_e32 v20, v4, v20
	v_lshl_add_u32 v4, v20, 2, v66
	v_lshlrev_b64 v[18:19], 2, v[4:5]
	v_add_co_u32_e64 v52, s[28:29], v23, v18
	v_addc_co_u32_e64 v53, s[28:29], v27, v19, s[28:29]
	; wave barrier
	flat_load_dword v55, v[52:53]
	v_and_b32_e32 v4, 1, v20
	v_add_co_u32_e64 v18, s[28:29], -1, v4
	v_addc_co_u32_e64 v19, s[28:29], 0, -1, s[28:29]
	v_cmp_ne_u32_e64 s[28:29], 0, v4
	v_xor_b32_e32 v18, s28, v18
	v_xor_b32_e32 v4, s29, v19
	v_and_b32_e32 v21, exec_lo, v18
	v_lshlrev_b32_e32 v19, 30, v20
	v_mov_b32_e32 v18, v5
	v_cmp_gt_i64_e64 s[28:29], 0, v[18:19]
	v_not_b32_e32 v18, v19
	v_ashrrev_i32_e32 v18, 31, v18
	v_and_b32_e32 v4, exec_hi, v4
	v_xor_b32_e32 v19, s29, v18
	v_xor_b32_e32 v18, s28, v18
	v_and_b32_e32 v4, v4, v19
	v_and_b32_e32 v21, v21, v18
	v_lshlrev_b32_e32 v19, 29, v20
	v_mov_b32_e32 v18, v5
	v_cmp_gt_i64_e64 s[28:29], 0, v[18:19]
	v_not_b32_e32 v18, v19
	v_ashrrev_i32_e32 v18, 31, v18
	v_xor_b32_e32 v19, s29, v18
	v_xor_b32_e32 v18, s28, v18
	v_and_b32_e32 v4, v4, v19
	v_and_b32_e32 v21, v21, v18
	v_lshlrev_b32_e32 v19, 28, v20
	v_mov_b32_e32 v18, v5
	v_cmp_gt_i64_e64 s[28:29], 0, v[18:19]
	v_not_b32_e32 v18, v19
	v_ashrrev_i32_e32 v18, 31, v18
	;; [unrolled: 9-line block ×6, first 2 shown]
	v_xor_b32_e32 v19, s29, v18
	v_xor_b32_e32 v18, s28, v18
	v_and_b32_e32 v18, v21, v18
	v_and_b32_e32 v19, v4, v19
	v_mbcnt_lo_u32_b32 v4, v18, 0
	v_mbcnt_hi_u32_b32 v64, v19, v4
	v_cmp_eq_u32_e64 s[28:29], 0, v64
	v_cmp_ne_u64_e64 s[30:31], 0, v[18:19]
	s_and_b64 s[30:31], s[30:31], s[28:29]
	; wave barrier
	s_and_saveexec_b64 s[28:29], s[30:31]
	s_cbranch_execz .LBB499_329
; %bb.328:                              ;   in Loop: Header=BB499_325 Depth=1
	v_bcnt_u32_b32 v4, v18, 0
	v_bcnt_u32_b32 v4, v19, v4
	s_waitcnt vmcnt(0) lgkmcnt(0)
	v_add_u32_e32 v4, v55, v4
	flat_store_dword v[52:53], v4
.LBB499_329:                            ;   in Loop: Header=BB499_325 Depth=1
	s_or_b64 exec, exec, s[28:29]
	; wave barrier
	s_waitcnt lgkmcnt(0)
	s_barrier
	flat_load_dwordx4 v[18:21], v[8:9] offset:16
	s_waitcnt vmcnt(0) lgkmcnt(0)
	v_add_u32_e32 v4, v19, v18
	v_add3_u32 v4, v4, v20, v21
	s_nop 1
	v_mov_b32_dpp v21, v4 row_shr:1 row_mask:0xf bank_mask:0xf
	v_cndmask_b32_e64 v21, v21, 0, vcc
	v_add_u32_e32 v4, v21, v4
	s_nop 1
	v_mov_b32_dpp v21, v4 row_shr:2 row_mask:0xf bank_mask:0xf
	v_cndmask_b32_e64 v21, 0, v21, s[4:5]
	v_add_u32_e32 v4, v4, v21
	s_nop 1
	v_mov_b32_dpp v21, v4 row_shr:4 row_mask:0xf bank_mask:0xf
	v_cndmask_b32_e64 v21, 0, v21, s[6:7]
	;; [unrolled: 4-line block ×3, first 2 shown]
	v_add_u32_e32 v4, v4, v21
	s_nop 1
	v_mov_b32_dpp v21, v4 row_bcast:15 row_mask:0xf bank_mask:0xf
	v_cndmask_b32_e64 v21, v21, 0, s[10:11]
	v_add_u32_e32 v4, v4, v21
	s_nop 1
	v_mov_b32_dpp v21, v4 row_bcast:31 row_mask:0xf bank_mask:0xf
	v_cndmask_b32_e64 v21, 0, v21, s[12:13]
	v_add_u32_e32 v4, v4, v21
	s_and_saveexec_b64 s[28:29], s[14:15]
	s_cbranch_execz .LBB499_331
; %bb.330:                              ;   in Loop: Header=BB499_325 Depth=1
	flat_store_dword v[30:31], v4
.LBB499_331:                            ;   in Loop: Header=BB499_325 Depth=1
	s_or_b64 exec, exec, s[28:29]
	s_waitcnt lgkmcnt(0)
	s_barrier
	s_and_saveexec_b64 s[28:29], s[16:17]
	s_cbranch_execz .LBB499_333
; %bb.332:                              ;   in Loop: Header=BB499_325 Depth=1
	flat_load_dword v21, v[28:29]
	s_waitcnt vmcnt(0) lgkmcnt(0)
	s_nop 0
	v_mov_b32_dpp v65, v21 row_shr:1 row_mask:0xf bank_mask:0xf
	v_cndmask_b32_e64 v65, v65, 0, s[24:25]
	v_add_u32_e32 v21, v65, v21
	s_nop 1
	v_mov_b32_dpp v65, v21 row_shr:2 row_mask:0xf bank_mask:0xf
	v_cndmask_b32_e64 v65, 0, v65, s[26:27]
	v_add_u32_e32 v21, v21, v65
	flat_store_dword v[28:29], v21
.LBB499_333:                            ;   in Loop: Header=BB499_325 Depth=1
	s_or_b64 exec, exec, s[28:29]
	v_mov_b32_e32 v21, 0
	s_waitcnt lgkmcnt(0)
	s_barrier
	s_and_saveexec_b64 s[28:29], s[18:19]
	s_cbranch_execz .LBB499_335
; %bb.334:                              ;   in Loop: Header=BB499_325 Depth=1
	flat_load_dword v21, v[32:33]
.LBB499_335:                            ;   in Loop: Header=BB499_325 Depth=1
	s_or_b64 exec, exec, s[28:29]
	s_waitcnt vmcnt(0) lgkmcnt(0)
	v_add_u32_e32 v4, v21, v4
	ds_bpermute_b32 v4, v67, v4
	v_add_u32_e32 v10, 8, v10
	v_cmp_lt_u32_e64 s[28:29], v10, v11
	s_mov_b64 s[38:39], -1
                                        ; implicit-def: $vgpr71
	s_waitcnt lgkmcnt(0)
	v_cndmask_b32_e64 v4, v4, v21, s[20:21]
	v_cndmask_b32_e64 v80, v4, 0, s[22:23]
	v_add_u32_e32 v81, v80, v18
	v_add_u32_e32 v82, v81, v19
	;; [unrolled: 1-line block ×3, first 2 shown]
	flat_store_dwordx4 v[8:9], v[80:83] offset:16
	s_waitcnt lgkmcnt(0)
	s_barrier
	flat_load_dword v4, v[50:51]
	flat_load_dword v18, v[52:53]
	v_mov_b32_e32 v19, v5
	s_waitcnt lgkmcnt(0)
                                        ; implicit-def: $vgpr80
                                        ; implicit-def: $vgpr20_vgpr21
	s_waitcnt vmcnt(0) lgkmcnt(0)
	v_add_u32_e32 v4, v4, v54
	v_add3_u32 v18, v64, v55, v18
	v_lshlrev_b64 v[54:55], 2, v[4:5]
	v_add_co_u32_e64 v64, s[30:31], v12, v54
	v_lshlrev_b64 v[50:51], 2, v[18:19]
	v_addc_co_u32_e64 v65, s[30:31], v13, v55, s[30:31]
	v_add_co_u32_e64 v52, s[30:31], v12, v50
	v_addc_co_u32_e64 v53, s[30:31], v13, v51, s[30:31]
                                        ; implicit-def: $vgpr18_vgpr19
	s_and_saveexec_b64 s[30:31], s[28:29]
	s_cbranch_execz .LBB499_324
; %bb.336:                              ;   in Loop: Header=BB499_325 Depth=1
	v_add_co_u32_e64 v18, s[28:29], v64, v54
	v_addc_co_u32_e64 v19, s[28:29], v65, v55, s[28:29]
	s_barrier
	flat_store_dword v[64:65], v70
	flat_store_dword v[52:53], v69
	s_waitcnt lgkmcnt(0)
	s_barrier
	flat_load_dword v71, v[36:37]
	flat_load_dword v80, v[36:37] offset:256
	s_waitcnt lgkmcnt(0)
	s_barrier
	flat_store_dwordx2 v[18:19], v[48:49]
	v_add_co_u32_e64 v18, s[28:29], v52, v50
	v_addc_co_u32_e64 v19, s[28:29], v53, v51, s[28:29]
	flat_store_dwordx2 v[18:19], v[34:35]
	s_waitcnt lgkmcnt(0)
	s_barrier
	flat_load_dwordx2 v[18:19], v[38:39]
	flat_load_dwordx2 v[20:21], v[38:39] offset:512
	v_add_u32_e32 v68, -8, v68
	s_xor_b64 s[38:39], exec, -1
	s_waitcnt lgkmcnt(0)
	s_barrier
	s_branch .LBB499_324
.LBB499_337:
	flat_load_dwordx2 v[18:19], v[4:5]
	s_or_b64 exec, exec, s[14:15]
                                        ; implicit-def: $vgpr20_vgpr21
	s_and_saveexec_b64 s[14:15], s[4:5]
	s_cbranch_execz .LBB499_264
.LBB499_338:
	flat_load_dwordx2 v[20:21], v[4:5] offset:512
	s_or_b64 exec, exec, s[14:15]
                                        ; implicit-def: $vgpr54_vgpr55
	s_and_saveexec_b64 s[4:5], s[6:7]
	s_cbranch_execz .LBB499_265
.LBB499_339:
	flat_load_dwordx2 v[54:55], v[4:5] offset:1024
	s_or_b64 exec, exec, s[4:5]
                                        ; implicit-def: $vgpr64_vgpr65
	s_and_saveexec_b64 s[4:5], s[10:11]
	s_cbranch_execnz .LBB499_266
	s_branch .LBB499_267
.LBB499_340:
	flat_store_dwordx2 v[0:1], v[14:15]
	s_or_b64 exec, exec, s[14:15]
	s_and_saveexec_b64 s[14:15], s[4:5]
	s_cbranch_execz .LBB499_309
.LBB499_341:
	flat_store_dwordx2 v[0:1], v[12:13] offset:2048
	s_or_b64 exec, exec, s[14:15]
	s_and_saveexec_b64 s[4:5], s[10:11]
	s_cbranch_execz .LBB499_310
.LBB499_342:
	v_add_co_u32_e32 v2, vcc, 0x1000, v0
	v_addc_co_u32_e32 v3, vcc, 0, v1, vcc
	flat_store_dwordx2 v[2:3], v[10:11]
	s_or_b64 exec, exec, s[4:5]
	s_and_saveexec_b64 s[4:5], s[6:7]
	s_cbranch_execnz .LBB499_311
	s_branch .LBB499_312
.LBB499_343:
	s_or_b64 exec, exec, s[36:37]
	v_add_co_u32_e32 v4, vcc, v64, v54
	v_addc_co_u32_e32 v5, vcc, v65, v55, vcc
	s_barrier
	flat_store_dword v[64:65], v70
	flat_store_dword v[52:53], v69
	s_waitcnt lgkmcnt(0)
	s_barrier
	flat_load_dword v11, v[28:29]
	flat_load_dword v10, v[28:29] offset:1024
	s_waitcnt lgkmcnt(0)
	s_barrier
	flat_store_dwordx2 v[4:5], v[48:49]
	v_add_co_u32_e32 v4, vcc, v52, v50
	v_addc_co_u32_e32 v5, vcc, v53, v51, vcc
	flat_store_dwordx2 v[4:5], v[34:35]
	v_lshlrev_b32_e32 v4, 3, v26
	v_add_co_u32_e32 v12, vcc, v12, v4
	v_addc_co_u32_e32 v13, vcc, 0, v13, vcc
	s_waitcnt lgkmcnt(0)
	s_barrier
	flat_load_dwordx2 v[8:9], v[12:13]
	flat_load_dwordx2 v[4:5], v[12:13] offset:2048
	v_mov_b32_e32 v23, 0
	v_add_co_u32_e32 v12, vcc, v2, v24
	v_addc_co_u32_e32 v13, vcc, v3, v25, vcc
	v_lshlrev_b64 v[2:3], 2, v[22:23]
	v_add_co_u32_e32 v2, vcc, v12, v2
	v_addc_co_u32_e32 v3, vcc, v13, v3, vcc
	v_cmp_lt_u32_e32 vcc, v22, v152
	s_waitcnt lgkmcnt(0)
	s_barrier
	s_and_saveexec_b64 s[4:5], vcc
	s_cbranch_execz .LBB499_345
; %bb.344:
	s_waitcnt vmcnt(0)
	v_xor_b32_e32 v11, 0x7fffffff, v11
	flat_store_dword v[2:3], v11
.LBB499_345:
	s_or_b64 exec, exec, s[4:5]
	s_waitcnt vmcnt(0)
	v_add_u32_e32 v11, 0x100, v22
	v_cmp_lt_u32_e64 s[4:5], v11, v152
	s_and_saveexec_b64 s[6:7], s[4:5]
	s_cbranch_execz .LBB499_347
; %bb.346:
	v_xor_b32_e32 v10, 0x7fffffff, v10
	flat_store_dword v[2:3], v10 offset:1024
.LBB499_347:
	s_or_b64 exec, exec, s[6:7]
	v_add_co_u32_e64 v2, s[6:7], v6, v0
	v_addc_co_u32_e64 v3, s[6:7], v7, v1, s[6:7]
	v_lshlrev_b64 v[0:1], 3, v[22:23]
	v_add_co_u32_e64 v0, s[6:7], v2, v0
	v_addc_co_u32_e64 v1, s[6:7], v3, v1, s[6:7]
	s_and_saveexec_b64 s[6:7], vcc
	s_cbranch_execz .LBB499_349
; %bb.348:
	flat_store_dwordx2 v[0:1], v[8:9]
.LBB499_349:
	s_or_b64 exec, exec, s[6:7]
	s_and_saveexec_b64 s[6:7], s[4:5]
	s_cbranch_execz .LBB499_351
; %bb.350:
	flat_store_dwordx2 v[0:1], v[4:5] offset:2048
.LBB499_351:
	s_or_b64 exec, exec, s[6:7]
                                        ; implicit-def: $vgpr26
                                        ; implicit-def: $vgpr22_vgpr23
                                        ; implicit-def: $vgpr8_vgpr9
                                        ; implicit-def: $vgpr24_vgpr25
                                        ; implicit-def: $vgpr152
                                        ; implicit-def: $vgpr0
                                        ; implicit-def: $vgpr1
                                        ; implicit-def: $vgpr2
                                        ; implicit-def: $vgpr3
                                        ; implicit-def: $vgpr4
                                        ; implicit-def: $vgpr5
                                        ; implicit-def: $vgpr6
                                        ; implicit-def: $vgpr7
                                        ; implicit-def: $vgpr10
                                        ; implicit-def: $vgpr11
                                        ; implicit-def: $vgpr12
                                        ; implicit-def: $vgpr13
                                        ; implicit-def: $vgpr15
.LBB499_352:
	s_andn2_saveexec_b64 s[4:5], s[34:35]
	s_cbranch_execz .LBB499_372
; %bb.353:
	v_mbcnt_hi_u32_b32 v17, -1, v15
	v_bfi_b32 v15, 63, v17, v22
	v_and_b32_e32 v16, 63, v17
	v_and_b32_e32 v14, 0xffffffc0, v22
	v_cmp_lt_u32_e32 vcc, v15, v152
	v_mov_b32_e32 v54, -1
	s_and_saveexec_b64 s[6:7], vcc
	s_cbranch_execz .LBB499_355
; %bb.354:
	v_add_co_u32_e64 v0, s[4:5], v0, v24
	v_addc_co_u32_e64 v1, s[4:5], v1, v25, s[4:5]
	v_lshlrev_b32_e32 v18, 2, v16
	v_mov_b32_e32 v15, 0
	v_add_co_u32_e64 v18, s[4:5], v0, v18
	v_addc_co_u32_e64 v19, s[4:5], 0, v1, s[4:5]
	v_lshlrev_b64 v[0:1], 2, v[14:15]
	v_add_co_u32_e64 v0, s[4:5], v18, v0
	v_addc_co_u32_e64 v1, s[4:5], v19, v1, s[4:5]
	flat_load_dword v0, v[0:1]
	s_waitcnt vmcnt(0) lgkmcnt(0)
	v_xor_b32_e32 v54, 0x7fffffff, v0
.LBB499_355:
	s_or_b64 exec, exec, s[6:7]
	v_lshlrev_b64 v[0:1], 3, v[8:9]
                                        ; implicit-def: $vgpr18_vgpr19
	s_and_saveexec_b64 s[4:5], vcc
	s_cbranch_execz .LBB499_357
; %bb.356:
	v_add_co_u32_e32 v4, vcc, v4, v0
	v_addc_co_u32_e32 v5, vcc, v5, v1, vcc
	v_lshlrev_b32_e32 v8, 3, v16
	v_mov_b32_e32 v15, 0
	v_add_co_u32_e32 v8, vcc, v4, v8
	v_addc_co_u32_e32 v9, vcc, 0, v5, vcc
	v_lshlrev_b64 v[4:5], 3, v[14:15]
	v_add_co_u32_e32 v4, vcc, v8, v4
	v_addc_co_u32_e32 v5, vcc, v9, v5, vcc
	flat_load_dwordx2 v[18:19], v[4:5]
.LBB499_357:
	s_or_b64 exec, exec, s[4:5]
	v_add_co_u32_e32 v23, vcc, 16, v12
	v_and_b32_e32 v20, 0x3c0, v26
	v_addc_co_u32_e32 v27, vcc, 0, v13, vcc
	v_lshlrev_b32_e32 v8, 4, v26
	v_min_u32_e32 v15, 0xc0, v20
	v_add_co_u32_e32 v8, vcc, v12, v8
	v_or_b32_e32 v15, 63, v15
	s_getpc_b64 s[4:5]
	s_add_u32 s4, s4, _ZN7rocprim17ROCPRIM_400000_NS16block_radix_sortIiLj256ELj1ElLj1ELj1ELj8ELNS0_26block_radix_rank_algorithmE2ELNS0_18block_padding_hintE2ELNS0_4arch9wavefront6targetE1EE19radix_bits_per_passE@rel32@lo+4
	s_addc_u32 s5, s5, _ZN7rocprim17ROCPRIM_400000_NS16block_radix_sortIiLj256ELj1ElLj1ELj1ELj8ELNS0_26block_radix_rank_algorithmE2ELNS0_18block_padding_hintE2ELNS0_4arch9wavefront6targetE1EE19radix_bits_per_passE@rel32@hi+12
	v_addc_co_u32_e32 v9, vcc, 0, v13, vcc
	v_and_b32_e32 v14, 15, v17
	v_cmp_eq_u32_e64 s[14:15], v15, v26
	v_add_u32_e32 v15, -1, v17
	v_and_b32_e32 v21, 64, v17
	s_load_dword s38, s[4:5], 0x0
	v_cmp_eq_u32_e32 vcc, 0, v14
	v_cmp_lt_u32_e64 s[4:5], 1, v14
	v_cmp_lt_u32_e64 s[6:7], 3, v14
	;; [unrolled: 1-line block ×3, first 2 shown]
	v_and_b32_e32 v14, 16, v17
	v_cmp_lt_i32_e64 s[20:21], v15, v21
	v_cmp_eq_u32_e64 s[10:11], 0, v14
	v_lshrrev_b32_e32 v14, 6, v26
	v_cndmask_b32_e64 v15, v15, v17, s[20:21]
	v_lshlrev_b32_e32 v51, 2, v15
	v_lshlrev_b32_e32 v15, 2, v14
	v_add_co_u32_e64 v30, s[24:25], v12, v15
	v_lshlrev_b32_e32 v4, 2, v26
	v_addc_co_u32_e64 v31, s[24:25], 0, v13, s[24:25]
	v_add_co_u32_e64 v28, s[24:25], v12, v4
	v_addc_co_u32_e64 v29, s[24:25], 0, v13, s[24:25]
	v_and_b32_e32 v4, 3, v17
	v_mov_b32_e32 v5, 0
	v_cmp_eq_u32_e64 s[24:25], 0, v4
	v_cmp_lt_u32_e64 s[26:27], 1, v4
	v_add_u32_e32 v4, -1, v14
	v_lshlrev_b64 v[14:15], 2, v[4:5]
	v_add_co_u32_e64 v32, s[28:29], v12, v14
	v_or_b32_e32 v4, v16, v20
	v_addc_co_u32_e64 v33, s[28:29], v13, v15, s[28:29]
	v_lshlrev_b32_e32 v4, 2, v4
	v_add_co_u32_e64 v34, s[28:29], v12, v4
	v_addc_co_u32_e64 v35, s[28:29], 0, v13, s[28:29]
	v_add_co_u32_e64 v36, s[28:29], v34, v4
	v_lshrrev_b32_e32 v50, 6, v22
	v_cmp_lt_u32_e64 s[12:13], 31, v17
	v_cmp_gt_u32_e64 s[16:17], 4, v26
	v_cmp_lt_u32_e64 s[18:19], 63, v26
	v_cmp_eq_u32_e64 s[20:21], 0, v17
	v_cmp_eq_u32_e64 s[22:23], 0, v26
	v_addc_co_u32_e64 v37, s[28:29], 0, v35, s[28:29]
	v_sub_u32_e32 v52, v11, v10
	s_mov_b64 s[34:35], 0
	v_mov_b32_e32 v14, v5
	v_mov_b32_e32 v15, v5
	;; [unrolled: 1-line block ×4, first 2 shown]
	s_waitcnt lgkmcnt(0)
	s_barrier
	s_branch .LBB499_359
.LBB499_358:                            ;   in Loop: Header=BB499_359 Depth=1
	s_or_b64 exec, exec, s[30:31]
	s_and_b64 s[28:29], exec, s[36:37]
	s_or_b64 s[34:35], s[28:29], s[34:35]
	s_andn2_b64 exec, exec, s[34:35]
	s_cbranch_execz .LBB499_369
.LBB499_359:                            ; =>This Inner Loop Header: Depth=1
	s_waitcnt vmcnt(0)
	v_mov_b32_e32 v53, v54
	s_waitcnt vmcnt(0)
	v_pk_mov_b32 v[38:39], v[18:19], v[18:19] op_sel:[0,1]
	v_min_u32_e32 v4, s38, v52
	v_lshrrev_b32_e32 v18, v10, v53
	v_bfe_u32 v20, v18, 0, v4
	v_lshl_add_u32 v4, v20, 2, v50
	v_lshlrev_b64 v[18:19], 2, v[4:5]
	v_add_co_u32_e64 v48, s[28:29], v23, v18
	v_addc_co_u32_e64 v49, s[28:29], v27, v19, s[28:29]
	v_and_b32_e32 v4, 1, v20
	v_add_co_u32_e64 v18, s[28:29], -1, v4
	v_addc_co_u32_e64 v19, s[28:29], 0, -1, s[28:29]
	v_cmp_ne_u32_e64 s[28:29], 0, v4
	v_xor_b32_e32 v18, s28, v18
	v_xor_b32_e32 v4, s29, v19
	v_and_b32_e32 v21, exec_lo, v18
	v_lshlrev_b32_e32 v19, 30, v20
	v_mov_b32_e32 v18, v5
	v_cmp_gt_i64_e64 s[28:29], 0, v[18:19]
	v_not_b32_e32 v18, v19
	v_ashrrev_i32_e32 v18, 31, v18
	v_and_b32_e32 v4, exec_hi, v4
	v_xor_b32_e32 v19, s29, v18
	v_xor_b32_e32 v18, s28, v18
	v_and_b32_e32 v4, v4, v19
	v_and_b32_e32 v21, v21, v18
	v_lshlrev_b32_e32 v19, 29, v20
	v_mov_b32_e32 v18, v5
	v_cmp_gt_i64_e64 s[28:29], 0, v[18:19]
	v_not_b32_e32 v18, v19
	v_ashrrev_i32_e32 v18, 31, v18
	v_xor_b32_e32 v19, s29, v18
	v_xor_b32_e32 v18, s28, v18
	v_and_b32_e32 v4, v4, v19
	v_and_b32_e32 v21, v21, v18
	v_lshlrev_b32_e32 v19, 28, v20
	v_mov_b32_e32 v18, v5
	v_cmp_gt_i64_e64 s[28:29], 0, v[18:19]
	v_not_b32_e32 v18, v19
	v_ashrrev_i32_e32 v18, 31, v18
	;; [unrolled: 9-line block ×6, first 2 shown]
	v_xor_b32_e32 v19, s29, v18
	v_xor_b32_e32 v18, s28, v18
	v_and_b32_e32 v18, v21, v18
	v_and_b32_e32 v19, v4, v19
	v_mbcnt_lo_u32_b32 v4, v18, 0
	v_mbcnt_hi_u32_b32 v4, v19, v4
	v_cmp_eq_u32_e64 s[28:29], 0, v4
	v_cmp_ne_u64_e64 s[30:31], 0, v[18:19]
	s_and_b64 s[30:31], s[30:31], s[28:29]
	flat_store_dwordx4 v[8:9], v[14:17] offset:16
	s_waitcnt lgkmcnt(0)
	s_barrier
	s_waitcnt lgkmcnt(0)
	; wave barrier
	s_and_saveexec_b64 s[28:29], s[30:31]
	s_cbranch_execz .LBB499_361
; %bb.360:                              ;   in Loop: Header=BB499_359 Depth=1
	v_bcnt_u32_b32 v18, v18, 0
	v_bcnt_u32_b32 v18, v19, v18
	flat_store_dword v[48:49], v18
.LBB499_361:                            ;   in Loop: Header=BB499_359 Depth=1
	s_or_b64 exec, exec, s[28:29]
	; wave barrier
	s_waitcnt lgkmcnt(0)
	s_barrier
	flat_load_dwordx4 v[18:21], v[8:9] offset:16
	s_waitcnt vmcnt(0) lgkmcnt(0)
	v_add_u32_e32 v54, v19, v18
	v_add3_u32 v21, v54, v20, v21
	s_nop 1
	v_mov_b32_dpp v54, v21 row_shr:1 row_mask:0xf bank_mask:0xf
	v_cndmask_b32_e64 v54, v54, 0, vcc
	v_add_u32_e32 v21, v54, v21
	s_nop 1
	v_mov_b32_dpp v54, v21 row_shr:2 row_mask:0xf bank_mask:0xf
	v_cndmask_b32_e64 v54, 0, v54, s[4:5]
	v_add_u32_e32 v21, v21, v54
	s_nop 1
	v_mov_b32_dpp v54, v21 row_shr:4 row_mask:0xf bank_mask:0xf
	v_cndmask_b32_e64 v54, 0, v54, s[6:7]
	;; [unrolled: 4-line block ×3, first 2 shown]
	v_add_u32_e32 v21, v21, v54
	s_nop 1
	v_mov_b32_dpp v54, v21 row_bcast:15 row_mask:0xf bank_mask:0xf
	v_cndmask_b32_e64 v54, v54, 0, s[10:11]
	v_add_u32_e32 v21, v21, v54
	s_nop 1
	v_mov_b32_dpp v54, v21 row_bcast:31 row_mask:0xf bank_mask:0xf
	v_cndmask_b32_e64 v54, 0, v54, s[12:13]
	v_add_u32_e32 v21, v21, v54
	s_and_saveexec_b64 s[28:29], s[14:15]
	s_cbranch_execz .LBB499_363
; %bb.362:                              ;   in Loop: Header=BB499_359 Depth=1
	flat_store_dword v[30:31], v21
.LBB499_363:                            ;   in Loop: Header=BB499_359 Depth=1
	s_or_b64 exec, exec, s[28:29]
	s_waitcnt lgkmcnt(0)
	s_barrier
	s_and_saveexec_b64 s[28:29], s[16:17]
	s_cbranch_execz .LBB499_365
; %bb.364:                              ;   in Loop: Header=BB499_359 Depth=1
	flat_load_dword v54, v[28:29]
	s_waitcnt vmcnt(0) lgkmcnt(0)
	s_nop 0
	v_mov_b32_dpp v55, v54 row_shr:1 row_mask:0xf bank_mask:0xf
	v_cndmask_b32_e64 v55, v55, 0, s[24:25]
	v_add_u32_e32 v54, v55, v54
	s_nop 1
	v_mov_b32_dpp v55, v54 row_shr:2 row_mask:0xf bank_mask:0xf
	v_cndmask_b32_e64 v55, 0, v55, s[26:27]
	v_add_u32_e32 v54, v54, v55
	flat_store_dword v[28:29], v54
.LBB499_365:                            ;   in Loop: Header=BB499_359 Depth=1
	s_or_b64 exec, exec, s[28:29]
	v_mov_b32_e32 v54, 0
	s_waitcnt lgkmcnt(0)
	s_barrier
	s_and_saveexec_b64 s[28:29], s[18:19]
	s_cbranch_execz .LBB499_367
; %bb.366:                              ;   in Loop: Header=BB499_359 Depth=1
	flat_load_dword v54, v[32:33]
.LBB499_367:                            ;   in Loop: Header=BB499_359 Depth=1
	s_or_b64 exec, exec, s[28:29]
	s_waitcnt vmcnt(0) lgkmcnt(0)
	v_add_u32_e32 v21, v54, v21
	ds_bpermute_b32 v21, v51, v21
	v_add_u32_e32 v10, 8, v10
	v_cmp_lt_u32_e64 s[28:29], v10, v11
	s_mov_b64 s[36:37], -1
	s_waitcnt lgkmcnt(0)
	v_cndmask_b32_e64 v21, v21, v54, s[20:21]
	v_cndmask_b32_e64 v64, v21, 0, s[22:23]
	v_add_u32_e32 v65, v64, v18
	v_add_u32_e32 v66, v65, v19
	;; [unrolled: 1-line block ×3, first 2 shown]
	flat_store_dwordx4 v[8:9], v[64:67] offset:16
	s_waitcnt lgkmcnt(0)
	s_barrier
	flat_load_dword v18, v[48:49]
	s_waitcnt lgkmcnt(0)
                                        ; implicit-def: $vgpr54
	s_waitcnt vmcnt(0) lgkmcnt(0)
	v_add_u32_e32 v4, v18, v4
	v_lshlrev_b64 v[18:19], 2, v[4:5]
	v_add_co_u32_e64 v48, s[30:31], v12, v18
	v_addc_co_u32_e64 v49, s[30:31], v13, v19, s[30:31]
	v_add_co_u32_e64 v20, s[30:31], v48, v18
	v_addc_co_u32_e64 v21, s[30:31], v49, v19, s[30:31]
                                        ; implicit-def: $vgpr18_vgpr19
	s_and_saveexec_b64 s[30:31], s[28:29]
	s_cbranch_execz .LBB499_358
; %bb.368:                              ;   in Loop: Header=BB499_359 Depth=1
	s_barrier
	flat_store_dword v[48:49], v53
	s_waitcnt lgkmcnt(0)
	s_barrier
	flat_load_dword v54, v[34:35]
	s_waitcnt lgkmcnt(0)
	s_barrier
	flat_store_dwordx2 v[20:21], v[38:39]
	s_waitcnt lgkmcnt(0)
	s_barrier
	flat_load_dwordx2 v[18:19], v[36:37]
	v_add_u32_e32 v52, -8, v52
	s_xor_b64 s[36:37], exec, -1
	s_waitcnt lgkmcnt(0)
	s_barrier
	s_branch .LBB499_358
.LBB499_369:
	s_or_b64 exec, exec, s[34:35]
	v_lshlrev_b32_e32 v4, 3, v26
	v_add_co_u32_e32 v4, vcc, v12, v4
	v_addc_co_u32_e32 v5, vcc, 0, v13, vcc
	s_barrier
	flat_store_dword v[48:49], v53
	s_waitcnt lgkmcnt(0)
	s_barrier
	flat_load_dword v8, v[28:29]
	s_waitcnt lgkmcnt(0)
	s_barrier
	flat_store_dwordx2 v[20:21], v[38:39]
	s_waitcnt lgkmcnt(0)
	s_barrier
	flat_load_dwordx2 v[4:5], v[4:5]
	v_mov_b32_e32 v23, 0
	v_cmp_lt_u32_e32 vcc, v22, v152
	s_waitcnt lgkmcnt(0)
	s_barrier
	s_and_saveexec_b64 s[4:5], vcc
	s_cbranch_execz .LBB499_371
; %bb.370:
	v_add_co_u32_e32 v9, vcc, v2, v24
	v_addc_co_u32_e32 v10, vcc, v3, v25, vcc
	v_lshlrev_b64 v[2:3], 2, v[22:23]
	v_add_co_u32_e32 v2, vcc, v9, v2
	v_addc_co_u32_e32 v3, vcc, v10, v3, vcc
	v_add_co_u32_e32 v6, vcc, v6, v0
	v_addc_co_u32_e32 v7, vcc, v7, v1, vcc
	v_lshlrev_b64 v[0:1], 3, v[22:23]
	s_waitcnt vmcnt(0)
	v_xor_b32_e32 v8, 0x7fffffff, v8
	v_add_co_u32_e32 v0, vcc, v6, v0
	v_addc_co_u32_e32 v1, vcc, v7, v1, vcc
	flat_store_dword v[2:3], v8
	flat_store_dwordx2 v[0:1], v[4:5]
.LBB499_371:
	s_or_b64 exec, exec, s[4:5]
.LBB499_372:
	s_or_b64 exec, exec, s[42:43]
	buffer_load_dword v219, off, s[0:3], s32 ; 4-byte Folded Reload
	buffer_load_dword v218, off, s[0:3], s32 offset:4 ; 4-byte Folded Reload
	buffer_load_dword v217, off, s[0:3], s32 offset:8 ; 4-byte Folded Reload
	;; [unrolled: 1-line block ×63, first 2 shown]
	v_readlane_b32 s30, v220, 14
	v_readlane_b32 s31, v220, 15
	;; [unrolled: 1-line block ×16, first 2 shown]
	v_accvgpr_read_b32 v91, a31             ;  Reload Reuse
	v_accvgpr_read_b32 v90, a30             ;  Reload Reuse
	;; [unrolled: 1-line block ×22, first 2 shown]
	v_accvgpr_read_b32 v45, a9              ;  Reload Reuse
	v_accvgpr_read_b32 v44, a8              ;  Reload Reuse
	;; [unrolled: 1-line block ×6, first 2 shown]
	s_or_saveexec_b64 s[4:5], -1
	buffer_load_dword v220, off, s[0:3], s32 offset:256 ; 4-byte Folded Reload
	s_mov_b64 exec, s[4:5]
	s_waitcnt vmcnt(0) lgkmcnt(0)
	s_setpc_b64 s[30:31]
.Lfunc_end499:
	.size	_ZN7rocprim17ROCPRIM_400000_NS6detail40segmented_radix_sort_single_block_helperIilLj256ELj16ELb1EE4sortIPKiPiPKlPlEEbT_T0_T1_T2_jjjjRNS3_12storage_typeE, .Lfunc_end499-_ZN7rocprim17ROCPRIM_400000_NS6detail40segmented_radix_sort_single_block_helperIilLj256ELj16ELb1EE4sortIPKiPiPKlPlEEbT_T0_T1_T2_jjjjRNS3_12storage_typeE
                                        ; -- End function
	.section	.AMDGPU.csdata,"",@progbits
; Function info:
; codeLenInByte = 32400
; NumSgprs: 52
; NumVgprs: 248
; NumAgprs: 32
; TotalNumVgprs: 280
; ScratchSize: 264
; MemoryBound: 1
	.section	.text._ZN7rocprim17ROCPRIM_400000_NS6detail17trampoline_kernelINS0_14default_configENS1_36segmented_radix_sort_config_selectorIilEEZNS1_25segmented_radix_sort_implIS3_Lb1EPKiPiPKlPlN2at6native12_GLOBAL__N_18offset_tEEE10hipError_tPvRmT1_PNSt15iterator_traitsISK_E10value_typeET2_T3_PNSL_ISQ_E10value_typeET4_jRbjT5_SW_jjP12ihipStream_tbEUlT_E_NS1_11comp_targetILNS1_3genE4ELNS1_11target_archE910ELNS1_3gpuE8ELNS1_3repE0EEENS1_30default_config_static_selectorELNS0_4arch9wavefront6targetE1EEEvSK_,"axG",@progbits,_ZN7rocprim17ROCPRIM_400000_NS6detail17trampoline_kernelINS0_14default_configENS1_36segmented_radix_sort_config_selectorIilEEZNS1_25segmented_radix_sort_implIS3_Lb1EPKiPiPKlPlN2at6native12_GLOBAL__N_18offset_tEEE10hipError_tPvRmT1_PNSt15iterator_traitsISK_E10value_typeET2_T3_PNSL_ISQ_E10value_typeET4_jRbjT5_SW_jjP12ihipStream_tbEUlT_E_NS1_11comp_targetILNS1_3genE4ELNS1_11target_archE910ELNS1_3gpuE8ELNS1_3repE0EEENS1_30default_config_static_selectorELNS0_4arch9wavefront6targetE1EEEvSK_,comdat
	.globl	_ZN7rocprim17ROCPRIM_400000_NS6detail17trampoline_kernelINS0_14default_configENS1_36segmented_radix_sort_config_selectorIilEEZNS1_25segmented_radix_sort_implIS3_Lb1EPKiPiPKlPlN2at6native12_GLOBAL__N_18offset_tEEE10hipError_tPvRmT1_PNSt15iterator_traitsISK_E10value_typeET2_T3_PNSL_ISQ_E10value_typeET4_jRbjT5_SW_jjP12ihipStream_tbEUlT_E_NS1_11comp_targetILNS1_3genE4ELNS1_11target_archE910ELNS1_3gpuE8ELNS1_3repE0EEENS1_30default_config_static_selectorELNS0_4arch9wavefront6targetE1EEEvSK_ ; -- Begin function _ZN7rocprim17ROCPRIM_400000_NS6detail17trampoline_kernelINS0_14default_configENS1_36segmented_radix_sort_config_selectorIilEEZNS1_25segmented_radix_sort_implIS3_Lb1EPKiPiPKlPlN2at6native12_GLOBAL__N_18offset_tEEE10hipError_tPvRmT1_PNSt15iterator_traitsISK_E10value_typeET2_T3_PNSL_ISQ_E10value_typeET4_jRbjT5_SW_jjP12ihipStream_tbEUlT_E_NS1_11comp_targetILNS1_3genE4ELNS1_11target_archE910ELNS1_3gpuE8ELNS1_3repE0EEENS1_30default_config_static_selectorELNS0_4arch9wavefront6targetE1EEEvSK_
	.p2align	8
	.type	_ZN7rocprim17ROCPRIM_400000_NS6detail17trampoline_kernelINS0_14default_configENS1_36segmented_radix_sort_config_selectorIilEEZNS1_25segmented_radix_sort_implIS3_Lb1EPKiPiPKlPlN2at6native12_GLOBAL__N_18offset_tEEE10hipError_tPvRmT1_PNSt15iterator_traitsISK_E10value_typeET2_T3_PNSL_ISQ_E10value_typeET4_jRbjT5_SW_jjP12ihipStream_tbEUlT_E_NS1_11comp_targetILNS1_3genE4ELNS1_11target_archE910ELNS1_3gpuE8ELNS1_3repE0EEENS1_30default_config_static_selectorELNS0_4arch9wavefront6targetE1EEEvSK_,@function
_ZN7rocprim17ROCPRIM_400000_NS6detail17trampoline_kernelINS0_14default_configENS1_36segmented_radix_sort_config_selectorIilEEZNS1_25segmented_radix_sort_implIS3_Lb1EPKiPiPKlPlN2at6native12_GLOBAL__N_18offset_tEEE10hipError_tPvRmT1_PNSt15iterator_traitsISK_E10value_typeET2_T3_PNSL_ISQ_E10value_typeET4_jRbjT5_SW_jjP12ihipStream_tbEUlT_E_NS1_11comp_targetILNS1_3genE4ELNS1_11target_archE910ELNS1_3gpuE8ELNS1_3repE0EEENS1_30default_config_static_selectorELNS0_4arch9wavefront6targetE1EEEvSK_: ; @_ZN7rocprim17ROCPRIM_400000_NS6detail17trampoline_kernelINS0_14default_configENS1_36segmented_radix_sort_config_selectorIilEEZNS1_25segmented_radix_sort_implIS3_Lb1EPKiPiPKlPlN2at6native12_GLOBAL__N_18offset_tEEE10hipError_tPvRmT1_PNSt15iterator_traitsISK_E10value_typeET2_T3_PNSL_ISQ_E10value_typeET4_jRbjT5_SW_jjP12ihipStream_tbEUlT_E_NS1_11comp_targetILNS1_3genE4ELNS1_11target_archE910ELNS1_3gpuE8ELNS1_3repE0EEENS1_30default_config_static_selectorELNS0_4arch9wavefront6targetE1EEEvSK_
; %bb.0:
	s_add_u32 flat_scratch_lo, s6, s10
	s_addc_u32 flat_scratch_hi, s7, 0
	s_mov_b32 s33, s9
	s_mov_b64 s[48:49], s[4:5]
	s_mov_b32 s68, s8
	s_load_dwordx2 s[8:9], s[4:5], 0x38
	s_nop 0
	s_load_dwordx4 s[4:7], s[4:5], 0x40
	s_add_u32 s0, s0, s10
	s_mov_b32 s11, 0
	s_mov_b32 s10, s68
	s_addc_u32 s1, s1, 0
	s_lshl_b64 s[10:11], s[10:11], 2
	s_waitcnt lgkmcnt(0)
	s_add_u32 s8, s8, s10
	s_addc_u32 s9, s9, s11
	s_load_dword s8, s[8:9], 0x0
	s_mov_b32 s32, 0
	s_waitcnt lgkmcnt(0)
	s_add_i32 s69, s8, s5
	s_add_i32 s92, s8, s7
	s_mul_i32 s69, s69, s4
	s_mul_i32 s92, s92, s6
	s_cmp_le_u32 s92, s69
	s_cbranch_scc1 .LBB500_1190
; %bb.1:
	s_load_dword s4, s[48:49], 0x30
	s_load_dwordx4 s[80:83], s[48:49], 0x20
	s_load_dwordx4 s[84:87], s[48:49], 0x50
	s_load_dwordx8 s[72:79], s[48:49], 0x0
	s_waitcnt lgkmcnt(0)
	s_bitcmp1_b32 s4, 0
	s_cselect_b64 s[70:71], -1, 0
	s_sub_i32 s87, s92, s69
	s_cmpk_lt_u32 s87, 0x1001
	s_mov_b64 s[4:5], -1
	s_cbranch_scc0 .LBB500_7
; %bb.2:
	s_and_b32 s4, s84, 1
	v_cndmask_b32_e64 v1, 0, 1, s[70:71]
	v_cmp_ne_u32_e32 vcc, s4, v1
	s_mov_b64 s[4:5], -1
	s_cbranch_vccnz .LBB500_4
; %bb.3:
	s_add_u32 s8, s48, 0x60
	s_mov_b64 s[4:5], src_shared_base
	s_addc_u32 s9, s49, 0
	s_mov_b32 s12, s68
	s_mov_b32 s13, s33
	v_mov_b32_e32 v31, v0
	v_mov_b32_e32 v40, v0
	;; [unrolled: 1-line block ×16, first 2 shown]
	s_getpc_b64 s[6:7]
	s_add_u32 s6, s6, _ZN7rocprim17ROCPRIM_400000_NS6detail40segmented_radix_sort_single_block_helperIilLj256ELj16ELb1EE4sortIPKiPiPKlPlEEbT_T0_T1_T2_jjjjRNS3_12storage_typeE@rel32@lo+4
	s_addc_u32 s7, s7, _ZN7rocprim17ROCPRIM_400000_NS6detail40segmented_radix_sort_single_block_helperIilLj256ELj16ELb1EE4sortIPKiPiPKlPlEEbT_T0_T1_T2_jjjjRNS3_12storage_typeE@rel32@hi+12
	s_swappc_b64 s[30:31], s[6:7]
	v_mov_b32_e32 v0, v40
	s_mov_b64 s[4:5], 0
.LBB500_4:
	s_andn2_b64 vcc, exec, s[4:5]
	s_cbranch_vccnz .LBB500_6
; %bb.5:
	s_add_u32 s8, s48, 0x60
	s_mov_b64 s[4:5], src_shared_base
	s_addc_u32 s9, s49, 0
	s_mov_b32 s12, s68
	s_mov_b32 s13, s33
	v_mov_b32_e32 v31, v0
	v_mov_b32_e32 v40, v0
	;; [unrolled: 1-line block ×16, first 2 shown]
	s_getpc_b64 s[6:7]
	s_add_u32 s6, s6, _ZN7rocprim17ROCPRIM_400000_NS6detail40segmented_radix_sort_single_block_helperIilLj256ELj16ELb1EE4sortIPKiPiPKlPlEEbT_T0_T1_T2_jjjjRNS3_12storage_typeE@rel32@lo+4
	s_addc_u32 s7, s7, _ZN7rocprim17ROCPRIM_400000_NS6detail40segmented_radix_sort_single_block_helperIilLj256ELj16ELb1EE4sortIPKiPiPKlPlEEbT_T0_T1_T2_jjjjRNS3_12storage_typeE@rel32@hi+12
	s_swappc_b64 s[30:31], s[6:7]
	v_mov_b32_e32 v0, v40
.LBB500_6:
	s_mov_b64 s[4:5], 0
.LBB500_7:
	s_andn2_b64 vcc, exec, s[4:5]
	s_cbranch_vccnz .LBB500_1190
; %bb.8:
	s_cmp_ge_u32 s85, s86
	s_cbranch_scc1 .LBB500_1190
; %bb.9:
	v_and_b32_e32 v2, 0x3ff, v0
	v_lshlrev_b32_e32 v3, 2, v2
	v_mov_b32_e32 v5, s77
	v_add_co_u32_e32 v13, vcc, s76, v3
	v_addc_co_u32_e32 v15, vcc, 0, v5, vcc
	v_or_b32_e32 v5, 63, v2
	v_cmp_eq_u32_e64 s[6:7], v5, v2
	v_lshrrev_b32_e32 v5, 4, v2
	v_and_b32_e32 v19, 12, v5
	v_lshlrev_b32_e32 v5, 4, v2
	v_and_b32_e32 v30, 0xc00, v5
	v_bfe_u32 v27, v0, 20, 10
	v_bfe_u32 v29, v0, 10, 10
	v_mul_u32_u24_e32 v0, 5, v2
	v_mov_b32_e32 v65, 0x410
	v_lshl_add_u32 v66, v0, 2, v65
	v_lshlrev_b32_e32 v0, 3, v30
	v_sub_u32_e32 v67, 0, v5
	v_mov_b32_e32 v5, s83
	v_add_co_u32_e32 v68, vcc, s82, v0
	v_addc_co_u32_e32 v69, vcc, 0, v5, vcc
	v_lshlrev_b32_e32 v5, 2, v30
	v_mov_b32_e32 v31, s77
	v_add_co_u32_e32 v70, vcc, s76, v5
	v_addc_co_u32_e32 v71, vcc, 0, v31, vcc
	v_mov_b32_e32 v31, s75
	v_add_co_u32_e32 v74, vcc, s74, v3
	v_addc_co_u32_e32 v75, vcc, 0, v31, vcc
	;; [unrolled: 3-line block ×7, first 2 shown]
	v_mbcnt_lo_u32_b32 v0, -1, 0
	v_mbcnt_hi_u32_b32 v101, -1, v0
	v_mad_u32_u24 v17, v2, 12, v3
	v_and_b32_e32 v0, 63, v101
	s_movk_i32 s4, 0x100
	v_and_b32_e32 v1, 3, v2
	v_or_b32_e32 v6, 0x400, v2
	v_or_b32_e32 v8, 0x500, v2
	;; [unrolled: 1-line block ×12, first 2 shown]
	s_add_u32 s90, s48, 0x60
	v_add_u32_e32 v64, v17, v3
	s_movk_i32 s14, 0xff
	v_or_b32_e32 v109, v0, v30
	s_mov_b32 s89, 0
	v_mov_b32_e32 v4, 0
	v_or_b32_e32 v7, 0x100, v2
	v_or_b32_e32 v9, 0x200, v2
	v_or_b32_e32 v11, 0x300, v2
	v_cmp_gt_u32_e64 s[4:5], s4, v2
	v_or_b32_e32 v21, 0x8400, v19
	v_cmp_gt_u32_e64 s[8:9], 4, v2
	v_add_u32_e32 v23, 0x8400, v3
	v_cmp_lt_u32_e64 s[10:11], 63, v2
	v_add_u32_e32 v25, 0x83fc, v19
	s_addc_u32 s91, s49, 0
	v_cmp_eq_u32_e64 s[12:13], 0, v2
	v_cmp_ne_u32_e64 s[14:15], s14, v2
	v_add_u32_e32 v72, 0x400, v3
	v_lshlrev_b32_e32 v73, 3, v2
	s_movk_i32 s84, 0x2000
	v_lshlrev_b32_e32 v86, 2, v1
	v_mov_b32_e32 v87, 1
	v_lshlrev_b32_e32 v88, 2, v2
	v_lshlrev_b32_e32 v89, 2, v6
	;; [unrolled: 1-line block ×13, first 2 shown]
	v_and_b32_e32 v102, 15, v101
	v_bfe_i32 v103, v101, 4, 1
	v_and_b32_e32 v104, 16, v101
	v_and_b32_e32 v105, 3, v101
	v_add_u32_e32 v106, -1, v101
	v_and_b32_e32 v107, 64, v101
	v_lshlrev_b32_e32 v108, 3, v0
	v_or_b32_e32 v110, 64, v109
	v_or_b32_e32 v111, 0x80, v109
	;; [unrolled: 1-line block ×15, first 2 shown]
	v_lshlrev_b32_e32 v125, 2, v0
	v_add_u32_e32 v126, 0x410, v64
	s_mov_b32 s93, s85
	s_branch .LBB500_12
.LBB500_10:                             ;   in Loop: Header=BB500_12 Depth=1
	s_waitcnt lgkmcnt(0)
	s_barrier
.LBB500_11:                             ;   in Loop: Header=BB500_12 Depth=1
	s_add_i32 s93, s93, 8
	s_cmp_ge_u32 s93, s86
	s_cbranch_scc1 .LBB500_1190
.LBB500_12:                             ; =>This Loop Header: Depth=1
                                        ;     Child Loop BB500_16 Depth 2
                                        ;     Child Loop BB500_98 Depth 2
	;; [unrolled: 1-line block ×8, first 2 shown]
	s_sub_i32 s16, s86, s93
	s_min_u32 s16, s16, 8
	s_lshl_b32 s16, -1, s16
	s_xor_b64 s[70:71], s[70:71], -1
	s_not_b32 s94, s16
	s_cmp_lg_u32 s93, s85
	s_mov_b64 s[16:17], -1
	ds_write2st64_b32 v3, v4, v4 offset1:4
	ds_write2st64_b32 v3, v4, v4 offset0:8 offset1:12
	s_waitcnt lgkmcnt(0)
	s_cbranch_scc0 .LBB500_602
; %bb.13:                               ;   in Loop: Header=BB500_12 Depth=1
	s_and_b64 vcc, exec, s[70:71]
	s_cbranch_vccz .LBB500_307
; %bb.14:                               ;   in Loop: Header=BB500_12 Depth=1
	s_mov_b32 s22, s87
	s_mov_b32 s88, s69
	s_barrier
	s_waitcnt lgkmcnt(0)
                                        ; implicit-def: $vgpr44
                                        ; implicit-def: $vgpr5
                                        ; implicit-def: $vgpr30
                                        ; implicit-def: $vgpr31
                                        ; implicit-def: $vgpr32
                                        ; implicit-def: $vgpr33
                                        ; implicit-def: $vgpr34
                                        ; implicit-def: $vgpr35
                                        ; implicit-def: $vgpr36
                                        ; implicit-def: $vgpr37
                                        ; implicit-def: $vgpr38
                                        ; implicit-def: $vgpr39
                                        ; implicit-def: $vgpr40
                                        ; implicit-def: $vgpr41
                                        ; implicit-def: $vgpr42
                                        ; implicit-def: $vgpr43
	s_branch .LBB500_16
.LBB500_15:                             ;   in Loop: Header=BB500_16 Depth=2
	s_or_b64 exec, exec, s[16:17]
	s_addk_i32 s22, 0xf000
	s_cmp_ge_u32 s23, s92
	s_mov_b32 s88, s23
	s_cbranch_scc1 .LBB500_86
.LBB500_16:                             ;   Parent Loop BB500_12 Depth=1
                                        ; =>  This Inner Loop Header: Depth=2
	s_add_i32 s23, s88, 0x1000
	s_cmp_gt_u32 s23, s92
	s_cbranch_scc1 .LBB500_19
; %bb.17:                               ;   in Loop: Header=BB500_16 Depth=2
	s_lshl_b64 s[16:17], s[88:89], 2
	v_mov_b32_e32 v1, s17
	v_add_co_u32_e32 v0, vcc, s16, v13
	v_addc_co_u32_e32 v1, vcc, v15, v1, vcc
	s_waitcnt vmcnt(6)
	v_add_co_u32_e32 v54, vcc, 0x1000, v0
	s_waitcnt vmcnt(5)
	v_addc_co_u32_e32 v55, vcc, 0, v1, vcc
	v_add_co_u32_e32 v62, vcc, s84, v0
	v_addc_co_u32_e32 v63, vcc, 0, v1, vcc
	global_load_dword v46, v[0:1], off
	global_load_dword v47, v[0:1], off offset:1024
	global_load_dword v48, v[0:1], off offset:2048
	;; [unrolled: 1-line block ×3, first 2 shown]
	global_load_dword v50, v[54:55], off
	global_load_dword v51, v[54:55], off offset:1024
	global_load_dword v52, v[54:55], off offset:2048
	;; [unrolled: 1-line block ×3, first 2 shown]
	v_add_co_u32_e32 v128, vcc, 0x3000, v0
	v_addc_co_u32_e32 v129, vcc, 0, v1, vcc
	global_load_dword v54, v[62:63], off
	global_load_dword v55, v[62:63], off offset:1024
	global_load_dword v56, v[62:63], off offset:2048
	;; [unrolled: 1-line block ×3, first 2 shown]
	global_load_dword v58, v[128:129], off
	global_load_dword v59, v[128:129], off offset:1024
	global_load_dword v60, v[128:129], off offset:2048
	v_add_co_u32_e32 v0, vcc, 0x3c00, v0
	s_movk_i32 s24, 0x1000
	v_addc_co_u32_e32 v1, vcc, 0, v1, vcc
	s_mov_b64 s[16:17], -1
	s_cbranch_execz .LBB500_20
; %bb.18:                               ;   in Loop: Header=BB500_16 Depth=2
                                        ; implicit-def: $vgpr43
                                        ; implicit-def: $vgpr42
                                        ; implicit-def: $vgpr41
                                        ; implicit-def: $vgpr40
                                        ; implicit-def: $vgpr39
                                        ; implicit-def: $vgpr38
                                        ; implicit-def: $vgpr37
                                        ; implicit-def: $vgpr36
                                        ; implicit-def: $vgpr35
                                        ; implicit-def: $vgpr34
                                        ; implicit-def: $vgpr33
                                        ; implicit-def: $vgpr32
                                        ; implicit-def: $vgpr31
                                        ; implicit-def: $vgpr30
                                        ; implicit-def: $vgpr5
                                        ; implicit-def: $vgpr44
	v_mov_b32_e32 v45, s22
	s_and_saveexec_b64 s[18:19], s[16:17]
	s_cbranch_execnz .LBB500_39
	s_branch .LBB500_40
.LBB500_19:                             ;   in Loop: Header=BB500_16 Depth=2
	s_mov_b64 s[16:17], 0
                                        ; implicit-def: $sgpr24
                                        ; implicit-def: $vgpr46
                                        ; implicit-def: $vgpr47
                                        ; implicit-def: $vgpr48
                                        ; implicit-def: $vgpr49
                                        ; implicit-def: $vgpr50
                                        ; implicit-def: $vgpr51
                                        ; implicit-def: $vgpr52
                                        ; implicit-def: $vgpr53
                                        ; implicit-def: $vgpr54
                                        ; implicit-def: $vgpr55
                                        ; implicit-def: $vgpr56
                                        ; implicit-def: $vgpr57
                                        ; implicit-def: $vgpr58
                                        ; implicit-def: $vgpr59
                                        ; implicit-def: $vgpr60
                                        ; implicit-def: $vgpr0_vgpr1
.LBB500_20:                             ;   in Loop: Header=BB500_16 Depth=2
	s_lshl_b64 s[18:19], s[88:89], 2
	s_add_u32 s18, s76, s18
	s_addc_u32 s19, s77, s19
	v_cmp_gt_u32_e32 vcc, s22, v2
	s_and_saveexec_b64 s[20:21], vcc
	s_cbranch_execz .LBB500_72
; %bb.21:                               ;   in Loop: Header=BB500_16 Depth=2
	global_load_dword v43, v88, s[18:19]
	s_or_b64 exec, exec, s[20:21]
	v_cmp_gt_u32_e32 vcc, s22, v7
	s_and_saveexec_b64 s[20:21], vcc
	s_cbranch_execnz .LBB500_73
.LBB500_22:                             ;   in Loop: Header=BB500_16 Depth=2
	s_or_b64 exec, exec, s[20:21]
	v_cmp_gt_u32_e32 vcc, s22, v9
	s_and_saveexec_b64 s[20:21], vcc
	s_cbranch_execz .LBB500_74
.LBB500_23:                             ;   in Loop: Header=BB500_16 Depth=2
	global_load_dword v41, v88, s[18:19] offset:2048
	s_or_b64 exec, exec, s[20:21]
	v_cmp_gt_u32_e32 vcc, s22, v11
	s_and_saveexec_b64 s[20:21], vcc
	s_cbranch_execnz .LBB500_75
.LBB500_24:                             ;   in Loop: Header=BB500_16 Depth=2
	s_or_b64 exec, exec, s[20:21]
	v_cmp_gt_u32_e32 vcc, s22, v6
	s_and_saveexec_b64 s[20:21], vcc
	s_cbranch_execz .LBB500_76
.LBB500_25:                             ;   in Loop: Header=BB500_16 Depth=2
	global_load_dword v39, v89, s[18:19]
	s_or_b64 exec, exec, s[20:21]
	v_cmp_gt_u32_e32 vcc, s22, v8
	s_and_saveexec_b64 s[20:21], vcc
	s_cbranch_execnz .LBB500_77
.LBB500_26:                             ;   in Loop: Header=BB500_16 Depth=2
	s_or_b64 exec, exec, s[20:21]
	v_cmp_gt_u32_e32 vcc, s22, v10
	s_and_saveexec_b64 s[20:21], vcc
	s_cbranch_execz .LBB500_78
.LBB500_27:                             ;   in Loop: Header=BB500_16 Depth=2
	global_load_dword v37, v91, s[18:19]
	s_or_b64 exec, exec, s[20:21]
	v_cmp_gt_u32_e32 vcc, s22, v12
	s_and_saveexec_b64 s[20:21], vcc
	s_cbranch_execnz .LBB500_79
.LBB500_28:                             ;   in Loop: Header=BB500_16 Depth=2
	s_or_b64 exec, exec, s[20:21]
	v_cmp_gt_u32_e32 vcc, s22, v14
	s_and_saveexec_b64 s[20:21], vcc
	s_cbranch_execz .LBB500_80
.LBB500_29:                             ;   in Loop: Header=BB500_16 Depth=2
	global_load_dword v35, v93, s[18:19]
	s_or_b64 exec, exec, s[20:21]
	v_cmp_gt_u32_e32 vcc, s22, v16
	s_and_saveexec_b64 s[20:21], vcc
	s_cbranch_execnz .LBB500_81
.LBB500_30:                             ;   in Loop: Header=BB500_16 Depth=2
	s_or_b64 exec, exec, s[20:21]
	v_cmp_gt_u32_e32 vcc, s22, v18
	s_and_saveexec_b64 s[20:21], vcc
	s_cbranch_execz .LBB500_82
.LBB500_31:                             ;   in Loop: Header=BB500_16 Depth=2
	global_load_dword v33, v95, s[18:19]
	s_or_b64 exec, exec, s[20:21]
	v_cmp_gt_u32_e32 vcc, s22, v20
	s_and_saveexec_b64 s[20:21], vcc
	s_cbranch_execnz .LBB500_83
.LBB500_32:                             ;   in Loop: Header=BB500_16 Depth=2
	s_or_b64 exec, exec, s[20:21]
	v_cmp_gt_u32_e32 vcc, s22, v22
	s_and_saveexec_b64 s[20:21], vcc
	s_cbranch_execz .LBB500_84
.LBB500_33:                             ;   in Loop: Header=BB500_16 Depth=2
	global_load_dword v31, v97, s[18:19]
	s_or_b64 exec, exec, s[20:21]
	v_cmp_gt_u32_e32 vcc, s22, v24
	s_and_saveexec_b64 s[20:21], vcc
	s_cbranch_execnz .LBB500_85
.LBB500_34:                             ;   in Loop: Header=BB500_16 Depth=2
	s_or_b64 exec, exec, s[20:21]
	v_cmp_gt_u32_e32 vcc, s22, v26
	s_and_saveexec_b64 s[20:21], vcc
	s_cbranch_execz .LBB500_36
.LBB500_35:                             ;   in Loop: Header=BB500_16 Depth=2
	global_load_dword v5, v99, s[18:19]
.LBB500_36:                             ;   in Loop: Header=BB500_16 Depth=2
	s_or_b64 exec, exec, s[20:21]
	v_cmp_gt_u32_e32 vcc, s22, v28
                                        ; implicit-def: $sgpr24
                                        ; implicit-def: $vgpr0_vgpr1
	s_and_saveexec_b64 s[20:21], vcc
; %bb.37:                               ;   in Loop: Header=BB500_16 Depth=2
	v_mov_b32_e32 v1, s19
	v_add_co_u32_e32 v0, vcc, s18, v100
	s_sub_i32 s24, s92, s88
	v_addc_co_u32_e32 v1, vcc, 0, v1, vcc
	s_or_b64 s[16:17], s[16:17], exec
                                        ; implicit-def: $vgpr44
; %bb.38:                               ;   in Loop: Header=BB500_16 Depth=2
	s_or_b64 exec, exec, s[20:21]
	s_waitcnt vmcnt(0)
	v_mov_b32_e32 v46, v43
	v_mov_b32_e32 v47, v42
	;; [unrolled: 1-line block ×16, first 2 shown]
	s_and_saveexec_b64 s[18:19], s[16:17]
	s_cbranch_execz .LBB500_40
.LBB500_39:                             ;   in Loop: Header=BB500_16 Depth=2
	global_load_dword v44, v[0:1], off
	v_mov_b32_e32 v45, s24
	s_waitcnt vmcnt(1)
	v_mov_b32_e32 v5, v60
	v_mov_b32_e32 v30, v59
	;; [unrolled: 1-line block ×15, first 2 shown]
.LBB500_40:                             ;   in Loop: Header=BB500_16 Depth=2
	s_or_b64 exec, exec, s[18:19]
	v_cmp_lt_u32_e32 vcc, v2, v45
	s_and_saveexec_b64 s[16:17], vcc
	s_cbranch_execz .LBB500_56
; %bb.41:                               ;   in Loop: Header=BB500_16 Depth=2
	v_xor_b32_e32 v0, 0x7fffffff, v43
	v_lshrrev_b32_e32 v0, s93, v0
	v_and_b32_e32 v0, s94, v0
	v_lshl_or_b32 v0, v0, 4, v86
	ds_add_u32 v0, v87
	s_or_b64 exec, exec, s[16:17]
	v_cmp_lt_u32_e32 vcc, v7, v45
	s_and_saveexec_b64 s[16:17], vcc
	s_cbranch_execnz .LBB500_57
.LBB500_42:                             ;   in Loop: Header=BB500_16 Depth=2
	s_or_b64 exec, exec, s[16:17]
	v_cmp_lt_u32_e32 vcc, v9, v45
	s_and_saveexec_b64 s[16:17], vcc
	s_cbranch_execz .LBB500_58
.LBB500_43:                             ;   in Loop: Header=BB500_16 Depth=2
	v_xor_b32_e32 v0, 0x7fffffff, v41
	v_lshrrev_b32_e32 v0, s93, v0
	v_and_b32_e32 v0, s94, v0
	v_lshl_or_b32 v0, v0, 4, v86
	ds_add_u32 v0, v87
	s_or_b64 exec, exec, s[16:17]
	v_cmp_lt_u32_e32 vcc, v11, v45
	s_and_saveexec_b64 s[16:17], vcc
	s_cbranch_execnz .LBB500_59
.LBB500_44:                             ;   in Loop: Header=BB500_16 Depth=2
	s_or_b64 exec, exec, s[16:17]
	v_cmp_lt_u32_e32 vcc, v6, v45
	s_and_saveexec_b64 s[16:17], vcc
	s_cbranch_execz .LBB500_60
.LBB500_45:                             ;   in Loop: Header=BB500_16 Depth=2
	v_xor_b32_e32 v0, 0x7fffffff, v39
	v_lshrrev_b32_e32 v0, s93, v0
	v_and_b32_e32 v0, s94, v0
	v_lshl_or_b32 v0, v0, 4, v86
	ds_add_u32 v0, v87
	s_or_b64 exec, exec, s[16:17]
	v_cmp_lt_u32_e32 vcc, v8, v45
	s_and_saveexec_b64 s[16:17], vcc
	s_cbranch_execnz .LBB500_61
.LBB500_46:                             ;   in Loop: Header=BB500_16 Depth=2
	s_or_b64 exec, exec, s[16:17]
	v_cmp_lt_u32_e32 vcc, v10, v45
	s_and_saveexec_b64 s[16:17], vcc
	s_cbranch_execz .LBB500_62
.LBB500_47:                             ;   in Loop: Header=BB500_16 Depth=2
	v_xor_b32_e32 v0, 0x7fffffff, v37
	v_lshrrev_b32_e32 v0, s93, v0
	v_and_b32_e32 v0, s94, v0
	v_lshl_or_b32 v0, v0, 4, v86
	ds_add_u32 v0, v87
	s_or_b64 exec, exec, s[16:17]
	v_cmp_lt_u32_e32 vcc, v12, v45
	s_and_saveexec_b64 s[16:17], vcc
	s_cbranch_execnz .LBB500_63
.LBB500_48:                             ;   in Loop: Header=BB500_16 Depth=2
	s_or_b64 exec, exec, s[16:17]
	v_cmp_lt_u32_e32 vcc, v14, v45
	s_and_saveexec_b64 s[16:17], vcc
	s_cbranch_execz .LBB500_64
.LBB500_49:                             ;   in Loop: Header=BB500_16 Depth=2
	v_xor_b32_e32 v0, 0x7fffffff, v35
	v_lshrrev_b32_e32 v0, s93, v0
	v_and_b32_e32 v0, s94, v0
	v_lshl_or_b32 v0, v0, 4, v86
	ds_add_u32 v0, v87
	s_or_b64 exec, exec, s[16:17]
	v_cmp_lt_u32_e32 vcc, v16, v45
	s_and_saveexec_b64 s[16:17], vcc
	s_cbranch_execnz .LBB500_65
.LBB500_50:                             ;   in Loop: Header=BB500_16 Depth=2
	s_or_b64 exec, exec, s[16:17]
	v_cmp_lt_u32_e32 vcc, v18, v45
	s_and_saveexec_b64 s[16:17], vcc
	s_cbranch_execz .LBB500_66
.LBB500_51:                             ;   in Loop: Header=BB500_16 Depth=2
	v_xor_b32_e32 v0, 0x7fffffff, v33
	v_lshrrev_b32_e32 v0, s93, v0
	v_and_b32_e32 v0, s94, v0
	v_lshl_or_b32 v0, v0, 4, v86
	ds_add_u32 v0, v87
	s_or_b64 exec, exec, s[16:17]
	v_cmp_lt_u32_e32 vcc, v20, v45
	s_and_saveexec_b64 s[16:17], vcc
	s_cbranch_execnz .LBB500_67
.LBB500_52:                             ;   in Loop: Header=BB500_16 Depth=2
	s_or_b64 exec, exec, s[16:17]
	v_cmp_lt_u32_e32 vcc, v22, v45
	s_and_saveexec_b64 s[16:17], vcc
	s_cbranch_execz .LBB500_68
.LBB500_53:                             ;   in Loop: Header=BB500_16 Depth=2
	v_xor_b32_e32 v0, 0x7fffffff, v31
	v_lshrrev_b32_e32 v0, s93, v0
	v_and_b32_e32 v0, s94, v0
	v_lshl_or_b32 v0, v0, 4, v86
	ds_add_u32 v0, v87
	s_or_b64 exec, exec, s[16:17]
	v_cmp_lt_u32_e32 vcc, v24, v45
	s_and_saveexec_b64 s[16:17], vcc
	s_cbranch_execnz .LBB500_69
.LBB500_54:                             ;   in Loop: Header=BB500_16 Depth=2
	s_or_b64 exec, exec, s[16:17]
	v_cmp_lt_u32_e32 vcc, v26, v45
	s_and_saveexec_b64 s[16:17], vcc
	s_cbranch_execz .LBB500_70
.LBB500_55:                             ;   in Loop: Header=BB500_16 Depth=2
	v_xor_b32_e32 v0, 0x7fffffff, v5
	v_lshrrev_b32_e32 v0, s93, v0
	v_and_b32_e32 v0, s94, v0
	v_lshl_or_b32 v0, v0, 4, v86
	ds_add_u32 v0, v87
	s_or_b64 exec, exec, s[16:17]
	v_cmp_lt_u32_e32 vcc, v28, v45
	s_and_saveexec_b64 s[16:17], vcc
	s_cbranch_execz .LBB500_15
	s_branch .LBB500_71
.LBB500_56:                             ;   in Loop: Header=BB500_16 Depth=2
	s_or_b64 exec, exec, s[16:17]
	v_cmp_lt_u32_e32 vcc, v7, v45
	s_and_saveexec_b64 s[16:17], vcc
	s_cbranch_execz .LBB500_42
.LBB500_57:                             ;   in Loop: Header=BB500_16 Depth=2
	v_xor_b32_e32 v0, 0x7fffffff, v42
	v_lshrrev_b32_e32 v0, s93, v0
	v_and_b32_e32 v0, s94, v0
	v_lshl_or_b32 v0, v0, 4, v86
	ds_add_u32 v0, v87
	s_or_b64 exec, exec, s[16:17]
	v_cmp_lt_u32_e32 vcc, v9, v45
	s_and_saveexec_b64 s[16:17], vcc
	s_cbranch_execnz .LBB500_43
.LBB500_58:                             ;   in Loop: Header=BB500_16 Depth=2
	s_or_b64 exec, exec, s[16:17]
	v_cmp_lt_u32_e32 vcc, v11, v45
	s_and_saveexec_b64 s[16:17], vcc
	s_cbranch_execz .LBB500_44
.LBB500_59:                             ;   in Loop: Header=BB500_16 Depth=2
	v_xor_b32_e32 v0, 0x7fffffff, v40
	v_lshrrev_b32_e32 v0, s93, v0
	v_and_b32_e32 v0, s94, v0
	v_lshl_or_b32 v0, v0, 4, v86
	ds_add_u32 v0, v87
	s_or_b64 exec, exec, s[16:17]
	v_cmp_lt_u32_e32 vcc, v6, v45
	s_and_saveexec_b64 s[16:17], vcc
	s_cbranch_execnz .LBB500_45
.LBB500_60:                             ;   in Loop: Header=BB500_16 Depth=2
	s_or_b64 exec, exec, s[16:17]
	v_cmp_lt_u32_e32 vcc, v8, v45
	s_and_saveexec_b64 s[16:17], vcc
	s_cbranch_execz .LBB500_46
.LBB500_61:                             ;   in Loop: Header=BB500_16 Depth=2
	v_xor_b32_e32 v0, 0x7fffffff, v38
	v_lshrrev_b32_e32 v0, s93, v0
	v_and_b32_e32 v0, s94, v0
	v_lshl_or_b32 v0, v0, 4, v86
	ds_add_u32 v0, v87
	s_or_b64 exec, exec, s[16:17]
	v_cmp_lt_u32_e32 vcc, v10, v45
	s_and_saveexec_b64 s[16:17], vcc
	s_cbranch_execnz .LBB500_47
.LBB500_62:                             ;   in Loop: Header=BB500_16 Depth=2
	s_or_b64 exec, exec, s[16:17]
	v_cmp_lt_u32_e32 vcc, v12, v45
	s_and_saveexec_b64 s[16:17], vcc
	s_cbranch_execz .LBB500_48
.LBB500_63:                             ;   in Loop: Header=BB500_16 Depth=2
	v_xor_b32_e32 v0, 0x7fffffff, v36
	v_lshrrev_b32_e32 v0, s93, v0
	v_and_b32_e32 v0, s94, v0
	v_lshl_or_b32 v0, v0, 4, v86
	ds_add_u32 v0, v87
	s_or_b64 exec, exec, s[16:17]
	v_cmp_lt_u32_e32 vcc, v14, v45
	s_and_saveexec_b64 s[16:17], vcc
	s_cbranch_execnz .LBB500_49
.LBB500_64:                             ;   in Loop: Header=BB500_16 Depth=2
	s_or_b64 exec, exec, s[16:17]
	v_cmp_lt_u32_e32 vcc, v16, v45
	s_and_saveexec_b64 s[16:17], vcc
	s_cbranch_execz .LBB500_50
.LBB500_65:                             ;   in Loop: Header=BB500_16 Depth=2
	v_xor_b32_e32 v0, 0x7fffffff, v34
	v_lshrrev_b32_e32 v0, s93, v0
	v_and_b32_e32 v0, s94, v0
	v_lshl_or_b32 v0, v0, 4, v86
	ds_add_u32 v0, v87
	s_or_b64 exec, exec, s[16:17]
	v_cmp_lt_u32_e32 vcc, v18, v45
	s_and_saveexec_b64 s[16:17], vcc
	s_cbranch_execnz .LBB500_51
.LBB500_66:                             ;   in Loop: Header=BB500_16 Depth=2
	s_or_b64 exec, exec, s[16:17]
	v_cmp_lt_u32_e32 vcc, v20, v45
	s_and_saveexec_b64 s[16:17], vcc
	s_cbranch_execz .LBB500_52
.LBB500_67:                             ;   in Loop: Header=BB500_16 Depth=2
	v_xor_b32_e32 v0, 0x7fffffff, v32
	v_lshrrev_b32_e32 v0, s93, v0
	v_and_b32_e32 v0, s94, v0
	v_lshl_or_b32 v0, v0, 4, v86
	ds_add_u32 v0, v87
	s_or_b64 exec, exec, s[16:17]
	v_cmp_lt_u32_e32 vcc, v22, v45
	s_and_saveexec_b64 s[16:17], vcc
	s_cbranch_execnz .LBB500_53
.LBB500_68:                             ;   in Loop: Header=BB500_16 Depth=2
	s_or_b64 exec, exec, s[16:17]
	v_cmp_lt_u32_e32 vcc, v24, v45
	s_and_saveexec_b64 s[16:17], vcc
	s_cbranch_execz .LBB500_54
.LBB500_69:                             ;   in Loop: Header=BB500_16 Depth=2
	v_xor_b32_e32 v0, 0x7fffffff, v30
	v_lshrrev_b32_e32 v0, s93, v0
	v_and_b32_e32 v0, s94, v0
	v_lshl_or_b32 v0, v0, 4, v86
	ds_add_u32 v0, v87
	s_or_b64 exec, exec, s[16:17]
	v_cmp_lt_u32_e32 vcc, v26, v45
	s_and_saveexec_b64 s[16:17], vcc
	s_cbranch_execnz .LBB500_55
.LBB500_70:                             ;   in Loop: Header=BB500_16 Depth=2
	s_or_b64 exec, exec, s[16:17]
	v_cmp_lt_u32_e32 vcc, v28, v45
	s_and_saveexec_b64 s[16:17], vcc
	s_cbranch_execz .LBB500_15
.LBB500_71:                             ;   in Loop: Header=BB500_16 Depth=2
	s_waitcnt vmcnt(0)
	v_xor_b32_e32 v0, 0x7fffffff, v44
	v_lshrrev_b32_e32 v0, s93, v0
	v_and_b32_e32 v0, s94, v0
	v_lshl_or_b32 v0, v0, 4, v86
	ds_add_u32 v0, v87
	s_branch .LBB500_15
.LBB500_72:                             ;   in Loop: Header=BB500_16 Depth=2
	s_or_b64 exec, exec, s[20:21]
	v_cmp_gt_u32_e32 vcc, s22, v7
	s_and_saveexec_b64 s[20:21], vcc
	s_cbranch_execz .LBB500_22
.LBB500_73:                             ;   in Loop: Header=BB500_16 Depth=2
	global_load_dword v42, v88, s[18:19] offset:1024
	s_or_b64 exec, exec, s[20:21]
	v_cmp_gt_u32_e32 vcc, s22, v9
	s_and_saveexec_b64 s[20:21], vcc
	s_cbranch_execnz .LBB500_23
.LBB500_74:                             ;   in Loop: Header=BB500_16 Depth=2
	s_or_b64 exec, exec, s[20:21]
	v_cmp_gt_u32_e32 vcc, s22, v11
	s_and_saveexec_b64 s[20:21], vcc
	s_cbranch_execz .LBB500_24
.LBB500_75:                             ;   in Loop: Header=BB500_16 Depth=2
	global_load_dword v40, v88, s[18:19] offset:3072
	s_or_b64 exec, exec, s[20:21]
	v_cmp_gt_u32_e32 vcc, s22, v6
	s_and_saveexec_b64 s[20:21], vcc
	s_cbranch_execnz .LBB500_25
.LBB500_76:                             ;   in Loop: Header=BB500_16 Depth=2
	s_or_b64 exec, exec, s[20:21]
	v_cmp_gt_u32_e32 vcc, s22, v8
	s_and_saveexec_b64 s[20:21], vcc
	s_cbranch_execz .LBB500_26
.LBB500_77:                             ;   in Loop: Header=BB500_16 Depth=2
	global_load_dword v38, v90, s[18:19]
	s_or_b64 exec, exec, s[20:21]
	v_cmp_gt_u32_e32 vcc, s22, v10
	s_and_saveexec_b64 s[20:21], vcc
	s_cbranch_execnz .LBB500_27
.LBB500_78:                             ;   in Loop: Header=BB500_16 Depth=2
	s_or_b64 exec, exec, s[20:21]
	v_cmp_gt_u32_e32 vcc, s22, v12
	s_and_saveexec_b64 s[20:21], vcc
	s_cbranch_execz .LBB500_28
.LBB500_79:                             ;   in Loop: Header=BB500_16 Depth=2
	global_load_dword v36, v92, s[18:19]
	s_or_b64 exec, exec, s[20:21]
	v_cmp_gt_u32_e32 vcc, s22, v14
	s_and_saveexec_b64 s[20:21], vcc
	s_cbranch_execnz .LBB500_29
.LBB500_80:                             ;   in Loop: Header=BB500_16 Depth=2
	s_or_b64 exec, exec, s[20:21]
	v_cmp_gt_u32_e32 vcc, s22, v16
	s_and_saveexec_b64 s[20:21], vcc
	s_cbranch_execz .LBB500_30
.LBB500_81:                             ;   in Loop: Header=BB500_16 Depth=2
	global_load_dword v34, v94, s[18:19]
	s_or_b64 exec, exec, s[20:21]
	v_cmp_gt_u32_e32 vcc, s22, v18
	s_and_saveexec_b64 s[20:21], vcc
	s_cbranch_execnz .LBB500_31
.LBB500_82:                             ;   in Loop: Header=BB500_16 Depth=2
	s_or_b64 exec, exec, s[20:21]
	v_cmp_gt_u32_e32 vcc, s22, v20
	s_and_saveexec_b64 s[20:21], vcc
	s_cbranch_execz .LBB500_32
.LBB500_83:                             ;   in Loop: Header=BB500_16 Depth=2
	global_load_dword v32, v96, s[18:19]
	s_or_b64 exec, exec, s[20:21]
	v_cmp_gt_u32_e32 vcc, s22, v22
	s_and_saveexec_b64 s[20:21], vcc
	s_cbranch_execnz .LBB500_33
.LBB500_84:                             ;   in Loop: Header=BB500_16 Depth=2
	s_or_b64 exec, exec, s[20:21]
	v_cmp_gt_u32_e32 vcc, s22, v24
	s_and_saveexec_b64 s[20:21], vcc
	s_cbranch_execz .LBB500_34
.LBB500_85:                             ;   in Loop: Header=BB500_16 Depth=2
	global_load_dword v30, v98, s[18:19]
	s_or_b64 exec, exec, s[20:21]
	v_cmp_gt_u32_e32 vcc, s22, v26
	s_and_saveexec_b64 s[20:21], vcc
	s_cbranch_execz .LBB500_36
	s_branch .LBB500_35
.LBB500_86:                             ;   in Loop: Header=BB500_12 Depth=1
	v_mov_b32_e32 v0, 0
	s_waitcnt lgkmcnt(0)
	s_barrier
	s_and_saveexec_b64 s[16:17], s[4:5]
	s_cbranch_execz .LBB500_88
; %bb.87:                               ;   in Loop: Header=BB500_12 Depth=1
	ds_read2_b64 v[30:33], v17 offset1:1
	s_waitcnt lgkmcnt(0)
	v_add_u32_e32 v0, v31, v30
	v_add3_u32 v0, v0, v32, v33
.LBB500_88:                             ;   in Loop: Header=BB500_12 Depth=1
	s_or_b64 exec, exec, s[16:17]
	s_nop 0
	v_mov_b32_dpp v1, v0 row_shr:1 row_mask:0xf bank_mask:0xf
	v_cmp_eq_u32_e64 s[16:17], 0, v102
	v_cndmask_b32_e64 v1, v1, 0, s[16:17]
	v_add_u32_e32 v0, v1, v0
	v_cmp_lt_u32_e64 s[18:19], 1, v102
	v_cmp_lt_u32_e64 s[20:21], 3, v102
	v_mov_b32_dpp v1, v0 row_shr:2 row_mask:0xf bank_mask:0xf
	v_cndmask_b32_e64 v1, 0, v1, s[18:19]
	v_add_u32_e32 v0, v0, v1
	v_cmp_lt_u32_e64 s[22:23], 7, v102
	v_cmp_lt_u32_e64 s[26:27], 31, v101
	v_mov_b32_dpp v1, v0 row_shr:4 row_mask:0xf bank_mask:0xf
	v_cndmask_b32_e64 v1, 0, v1, s[20:21]
	v_add_u32_e32 v0, v0, v1
	v_cmp_eq_u32_e64 s[24:25], 0, v104
	s_nop 0
	v_mov_b32_dpp v1, v0 row_shr:8 row_mask:0xf bank_mask:0xf
	v_cndmask_b32_e64 v1, 0, v1, s[22:23]
	v_add_u32_e32 v0, v0, v1
	s_nop 1
	v_mov_b32_dpp v1, v0 row_bcast:15 row_mask:0xf bank_mask:0xf
	v_and_b32_e32 v1, v103, v1
	v_add_u32_e32 v0, v0, v1
	s_nop 1
	v_mov_b32_dpp v1, v0 row_bcast:31 row_mask:0xf bank_mask:0xf
	v_cndmask_b32_e64 v1, 0, v1, s[26:27]
	v_add_u32_e32 v0, v0, v1
	s_and_saveexec_b64 s[28:29], s[6:7]
	s_cbranch_execz .LBB500_90
; %bb.89:                               ;   in Loop: Header=BB500_12 Depth=1
	ds_write_b32 v21, v0
.LBB500_90:                             ;   in Loop: Header=BB500_12 Depth=1
	s_or_b64 exec, exec, s[28:29]
	s_waitcnt lgkmcnt(0)
	s_barrier
	s_and_saveexec_b64 s[28:29], s[8:9]
	s_cbranch_execz .LBB500_92
; %bb.91:                               ;   in Loop: Header=BB500_12 Depth=1
	ds_read_b32 v1, v23
	v_cmp_ne_u32_e32 vcc, 0, v105
	s_waitcnt lgkmcnt(0)
	v_mov_b32_dpp v5, v1 row_shr:1 row_mask:0xf bank_mask:0xf
	v_cndmask_b32_e32 v5, 0, v5, vcc
	v_add_u32_e32 v1, v5, v1
	v_cmp_lt_u32_e32 vcc, 1, v105
	s_nop 0
	v_mov_b32_dpp v5, v1 row_shr:2 row_mask:0xf bank_mask:0xf
	v_cndmask_b32_e32 v5, 0, v5, vcc
	v_add_u32_e32 v1, v1, v5
	ds_write_b32 v23, v1
.LBB500_92:                             ;   in Loop: Header=BB500_12 Depth=1
	s_or_b64 exec, exec, s[28:29]
	v_mov_b32_e32 v1, 0
	s_waitcnt lgkmcnt(0)
	s_barrier
	s_and_saveexec_b64 s[28:29], s[10:11]
	s_cbranch_execz .LBB500_94
; %bb.93:                               ;   in Loop: Header=BB500_12 Depth=1
	ds_read_b32 v1, v25
.LBB500_94:                             ;   in Loop: Header=BB500_12 Depth=1
	s_or_b64 exec, exec, s[28:29]
	v_cmp_lt_i32_e32 vcc, v106, v107
	v_cndmask_b32_e32 v5, v106, v101, vcc
	s_waitcnt lgkmcnt(0)
	v_add_u32_e32 v0, v1, v0
	v_lshlrev_b32_e32 v127, 2, v5
	ds_bpermute_b32 v0, v127, v0
	v_cmp_eq_u32_e64 s[28:29], 0, v101
	s_waitcnt lgkmcnt(0)
	s_barrier
	s_and_saveexec_b64 s[30:31], s[4:5]
	s_cbranch_execz .LBB500_96
; %bb.95:                               ;   in Loop: Header=BB500_12 Depth=1
	v_cndmask_b32_e64 v0, v0, v1, s[28:29]
	v_add_u32_e32 v0, s69, v0
	ds_write_b32 v3, v0
.LBB500_96:                             ;   in Loop: Header=BB500_12 Depth=1
	s_or_b64 exec, exec, s[30:31]
	s_load_dword s30, s[90:91], 0x4
	s_load_dword s36, s[90:91], 0xc
	v_add_co_u32_e32 v128, vcc, v68, v108
	v_addc_co_u32_e32 v129, vcc, 0, v69, vcc
	s_waitcnt lgkmcnt(0)
	s_cmp_lt_u32 s33, s30
	s_cselect_b32 s30, 14, 20
	s_add_u32 s30, s90, s30
	s_addc_u32 s31, s91, 0
	global_load_ushort v5, v4, s[30:31]
	v_add_co_u32_e32 v130, vcc, v70, v125
	v_addc_co_u32_e32 v131, vcc, 0, v71, vcc
	s_and_b32 s36, s36, 0xffff
	v_add_co_u32_e32 v145, vcc, 0xf00, v130
	v_cmp_eq_u32_e64 s[30:31], 0, v105
	v_cmp_lt_u32_e64 s[34:35], 1, v105
	s_mov_b32 s95, s87
	v_addc_co_u32_e32 v148, vcc, 0, v131, vcc
	s_mov_b32 s88, s69
                                        ; implicit-def: $vgpr0_vgpr1
                                        ; implicit-def: $vgpr30_vgpr31
                                        ; implicit-def: $vgpr32_vgpr33
                                        ; implicit-def: $vgpr36_vgpr37
                                        ; implicit-def: $vgpr40_vgpr41
                                        ; implicit-def: $vgpr44_vgpr45
                                        ; implicit-def: $vgpr48_vgpr49
                                        ; implicit-def: $vgpr52_vgpr53
                                        ; implicit-def: $vgpr34_vgpr35
                                        ; implicit-def: $vgpr38_vgpr39
                                        ; implicit-def: $vgpr42_vgpr43
                                        ; implicit-def: $vgpr46_vgpr47
                                        ; implicit-def: $vgpr50_vgpr51
                                        ; implicit-def: $vgpr54_vgpr55
                                        ; implicit-def: $vgpr56_vgpr57
                                        ; implicit-def: $vgpr58_vgpr59
                                        ; implicit-def: $vgpr132
                                        ; implicit-def: $vgpr133
                                        ; implicit-def: $vgpr134
                                        ; implicit-def: $vgpr135
                                        ; implicit-def: $vgpr136
                                        ; implicit-def: $vgpr137
                                        ; implicit-def: $vgpr138
                                        ; implicit-def: $vgpr139
                                        ; implicit-def: $vgpr140
                                        ; implicit-def: $vgpr141
                                        ; implicit-def: $vgpr142
                                        ; implicit-def: $vgpr143
                                        ; implicit-def: $vgpr144
                                        ; implicit-def: $vgpr146
                                        ; implicit-def: $vgpr147
                                        ; implicit-def: $vgpr149
	s_waitcnt vmcnt(0)
	v_mad_u32_u24 v5, v27, v5, v29
	v_mad_u64_u32 v[60:61], s[36:37], v5, s36, v[2:3]
	v_lshrrev_b32_e32 v150, 6, v60
	s_branch .LBB500_98
.LBB500_97:                             ;   in Loop: Header=BB500_98 Depth=2
	s_or_b64 exec, exec, s[36:37]
	s_addk_i32 s95, 0xf000
	s_cmp_lt_u32 s96, s92
	s_mov_b32 s88, s96
	s_cbranch_scc0 .LBB500_306
.LBB500_98:                             ;   Parent Loop BB500_12 Depth=1
                                        ; =>  This Inner Loop Header: Depth=2
	s_add_i32 s96, s88, 0x1000
	s_cmp_gt_u32 s96, s92
	s_cbranch_scc1 .LBB500_101
; %bb.99:                               ;   in Loop: Header=BB500_98 Depth=2
	s_lshl_b64 s[36:37], s[88:89], 2
	v_mov_b32_e32 v5, s37
	v_add_co_u32_e32 v60, vcc, s36, v130
	v_addc_co_u32_e32 v61, vcc, v131, v5, vcc
	global_load_dword v5, v[60:61], off
	global_load_dword v154, v[60:61], off offset:256
	global_load_dword v159, v[60:61], off offset:512
	;; [unrolled: 1-line block ×14, first 2 shown]
	s_mov_b64 s[36:37], -1
	s_movk_i32 s40, 0x1000
	s_cbranch_execz .LBB500_102
; %bb.100:                              ;   in Loop: Header=BB500_98 Depth=2
                                        ; implicit-def: $sgpr38
	v_mov_b32_e32 v63, s38
	v_mov_b32_e32 v151, s95
	s_and_saveexec_b64 s[38:39], s[36:37]
	s_cbranch_execnz .LBB500_133
	s_branch .LBB500_134
.LBB500_101:                            ;   in Loop: Header=BB500_98 Depth=2
	s_mov_b64 s[36:37], 0
                                        ; implicit-def: $sgpr40
                                        ; implicit-def: $vgpr5
                                        ; implicit-def: $vgpr154
                                        ; implicit-def: $vgpr159
                                        ; implicit-def: $vgpr164
                                        ; implicit-def: $vgpr169
                                        ; implicit-def: $vgpr174
                                        ; implicit-def: $vgpr179
                                        ; implicit-def: $vgpr184
                                        ; implicit-def: $vgpr182
                                        ; implicit-def: $vgpr177
                                        ; implicit-def: $vgpr173
                                        ; implicit-def: $vgpr168
                                        ; implicit-def: $vgpr163
                                        ; implicit-def: $vgpr158
                                        ; implicit-def: $vgpr62
.LBB500_102:                            ;   in Loop: Header=BB500_98 Depth=2
	s_lshl_b64 s[36:37], s[88:89], 2
	s_waitcnt vmcnt(14)
	v_mov_b32_e32 v5, s37
	v_add_co_u32_e32 v60, vcc, s36, v130
	v_addc_co_u32_e32 v61, vcc, v131, v5, vcc
	v_cmp_gt_u32_e32 vcc, s95, v109
	s_waitcnt vmcnt(13)
	v_bfrev_b32_e32 v154, 1
	v_bfrev_b32_e32 v5, 1
	s_and_saveexec_b64 s[36:37], vcc
	s_cbranch_execz .LBB500_104
; %bb.103:                              ;   in Loop: Header=BB500_98 Depth=2
	global_load_dword v5, v[60:61], off
.LBB500_104:                            ;   in Loop: Header=BB500_98 Depth=2
	s_or_b64 exec, exec, s[36:37]
	v_cmp_gt_u32_e32 vcc, s95, v110
	s_and_saveexec_b64 s[36:37], vcc
	s_cbranch_execz .LBB500_106
; %bb.105:                              ;   in Loop: Header=BB500_98 Depth=2
	global_load_dword v154, v[60:61], off offset:256
.LBB500_106:                            ;   in Loop: Header=BB500_98 Depth=2
	s_or_b64 exec, exec, s[36:37]
	v_cmp_gt_u32_e32 vcc, s95, v111
	s_waitcnt vmcnt(11)
	v_bfrev_b32_e32 v164, 1
	v_bfrev_b32_e32 v159, 1
	s_and_saveexec_b64 s[36:37], vcc
	s_cbranch_execz .LBB500_108
; %bb.107:                              ;   in Loop: Header=BB500_98 Depth=2
	global_load_dword v159, v[60:61], off offset:512
.LBB500_108:                            ;   in Loop: Header=BB500_98 Depth=2
	s_or_b64 exec, exec, s[36:37]
	v_cmp_gt_u32_e32 vcc, s95, v112
	s_and_saveexec_b64 s[36:37], vcc
	s_cbranch_execz .LBB500_110
; %bb.109:                              ;   in Loop: Header=BB500_98 Depth=2
	global_load_dword v164, v[60:61], off offset:768
.LBB500_110:                            ;   in Loop: Header=BB500_98 Depth=2
	s_or_b64 exec, exec, s[36:37]
	v_cmp_gt_u32_e32 vcc, s95, v113
	s_waitcnt vmcnt(9)
	v_bfrev_b32_e32 v174, 1
	v_bfrev_b32_e32 v169, 1
	s_and_saveexec_b64 s[36:37], vcc
	s_cbranch_execz .LBB500_112
; %bb.111:                              ;   in Loop: Header=BB500_98 Depth=2
	global_load_dword v169, v[60:61], off offset:1024
.LBB500_112:                            ;   in Loop: Header=BB500_98 Depth=2
	;; [unrolled: 17-line block ×6, first 2 shown]
	s_or_b64 exec, exec, s[36:37]
	v_cmp_gt_u32_e32 vcc, s95, v122
	s_and_saveexec_b64 s[36:37], vcc
	s_cbranch_execz .LBB500_130
; %bb.129:                              ;   in Loop: Header=BB500_98 Depth=2
	global_load_dword v158, v[60:61], off offset:3328
.LBB500_130:                            ;   in Loop: Header=BB500_98 Depth=2
	s_or_b64 exec, exec, s[36:37]
	v_cmp_gt_u32_e32 vcc, s95, v123
	s_waitcnt vmcnt(0)
	v_bfrev_b32_e32 v62, 1
	s_and_saveexec_b64 s[36:37], vcc
	s_cbranch_execz .LBB500_132
; %bb.131:                              ;   in Loop: Header=BB500_98 Depth=2
	global_load_dword v62, v[60:61], off offset:3584
.LBB500_132:                            ;   in Loop: Header=BB500_98 Depth=2
	s_or_b64 exec, exec, s[36:37]
	s_sub_i32 s40, s92, s88
	v_cmp_gt_u32_e64 s[36:37], s95, v124
	s_brev_b32 s38, 1
	v_mov_b32_e32 v63, s38
	v_mov_b32_e32 v151, s95
	s_and_saveexec_b64 s[38:39], s[36:37]
	s_cbranch_execz .LBB500_134
.LBB500_133:                            ;   in Loop: Header=BB500_98 Depth=2
	s_lshl_b64 s[36:37], s[88:89], 2
	v_mov_b32_e32 v61, s37
	v_add_co_u32_e32 v60, vcc, s36, v145
	v_addc_co_u32_e32 v61, vcc, v148, v61, vcc
	global_load_dword v63, v[60:61], off
	v_mov_b32_e32 v151, s40
.LBB500_134:                            ;   in Loop: Header=BB500_98 Depth=2
	s_or_b64 exec, exec, s[38:39]
	s_waitcnt vmcnt(14)
	v_xor_b32_e32 v152, 0x7fffffff, v5
	v_lshrrev_b32_e32 v5, s93, v152
	v_and_b32_e32 v60, s94, v5
	v_mad_u32_u24 v5, v60, 5, v150
	v_lshl_add_u32 v153, v5, 2, v65
	v_and_b32_e32 v5, 1, v60
	v_add_co_u32_e32 v61, vcc, -1, v5
	v_addc_co_u32_e64 v155, s[36:37], 0, -1, vcc
	v_cmp_ne_u32_e32 vcc, 0, v5
	v_xor_b32_e32 v5, vcc_hi, v155
	v_and_b32_e32 v155, exec_hi, v5
	v_lshlrev_b32_e32 v5, 30, v60
	v_xor_b32_e32 v61, vcc_lo, v61
	v_cmp_gt_i64_e32 vcc, 0, v[4:5]
	v_not_b32_e32 v5, v5
	v_ashrrev_i32_e32 v5, 31, v5
	v_and_b32_e32 v61, exec_lo, v61
	v_xor_b32_e32 v156, vcc_hi, v5
	v_xor_b32_e32 v5, vcc_lo, v5
	v_and_b32_e32 v61, v61, v5
	v_lshlrev_b32_e32 v5, 29, v60
	v_cmp_gt_i64_e32 vcc, 0, v[4:5]
	v_not_b32_e32 v5, v5
	v_ashrrev_i32_e32 v5, 31, v5
	v_and_b32_e32 v155, v155, v156
	v_xor_b32_e32 v156, vcc_hi, v5
	v_xor_b32_e32 v5, vcc_lo, v5
	v_and_b32_e32 v61, v61, v5
	v_lshlrev_b32_e32 v5, 28, v60
	v_cmp_gt_i64_e32 vcc, 0, v[4:5]
	v_not_b32_e32 v5, v5
	v_ashrrev_i32_e32 v5, 31, v5
	v_and_b32_e32 v155, v155, v156
	;; [unrolled: 8-line block ×5, first 2 shown]
	v_xor_b32_e32 v156, vcc_hi, v5
	v_xor_b32_e32 v5, vcc_lo, v5
	v_and_b32_e32 v155, v155, v156
	v_and_b32_e32 v156, v61, v5
	v_lshlrev_b32_e32 v5, 24, v60
	v_cmp_gt_i64_e32 vcc, 0, v[4:5]
	v_not_b32_e32 v5, v5
	v_ashrrev_i32_e32 v5, 31, v5
	v_xor_b32_e32 v60, vcc_hi, v5
	v_xor_b32_e32 v5, vcc_lo, v5
	v_and_b32_e32 v61, v155, v60
	v_and_b32_e32 v60, v156, v5
	v_mbcnt_lo_u32_b32 v5, v60, 0
	v_mbcnt_hi_u32_b32 v155, v61, v5
	v_cmp_eq_u32_e32 vcc, 0, v155
	v_cmp_ne_u64_e64 s[36:37], 0, v[60:61]
	s_and_b64 s[38:39], s[36:37], vcc
	ds_write2_b32 v126, v4, v4 offset1:1
	ds_write2_b32 v66, v4, v4 offset0:2 offset1:3
	ds_write_b32 v66, v4 offset:16
	s_waitcnt lgkmcnt(0)
	s_barrier
	s_waitcnt lgkmcnt(0)
	; wave barrier
	s_and_saveexec_b64 s[36:37], s[38:39]
	s_cbranch_execz .LBB500_136
; %bb.135:                              ;   in Loop: Header=BB500_98 Depth=2
	v_bcnt_u32_b32 v5, v60, 0
	v_bcnt_u32_b32 v5, v61, v5
	ds_write_b32 v153, v5
.LBB500_136:                            ;   in Loop: Header=BB500_98 Depth=2
	s_or_b64 exec, exec, s[36:37]
	s_waitcnt vmcnt(13)
	v_xor_b32_e32 v154, 0x7fffffff, v154
	v_lshrrev_b32_e32 v5, s93, v154
	v_and_b32_e32 v60, s94, v5
	v_mul_u32_u24_e32 v5, 5, v60
	v_add_lshl_u32 v5, v5, v150, 2
	; wave barrier
	v_add_u32_e32 v157, 0x410, v5
	ds_read_b32 v156, v5 offset:1040
	v_and_b32_e32 v5, 1, v60
	v_add_co_u32_e32 v61, vcc, -1, v5
	v_addc_co_u32_e64 v160, s[36:37], 0, -1, vcc
	v_cmp_ne_u32_e32 vcc, 0, v5
	v_xor_b32_e32 v5, vcc_hi, v160
	v_and_b32_e32 v160, exec_hi, v5
	v_lshlrev_b32_e32 v5, 30, v60
	v_xor_b32_e32 v61, vcc_lo, v61
	v_cmp_gt_i64_e32 vcc, 0, v[4:5]
	v_not_b32_e32 v5, v5
	v_ashrrev_i32_e32 v5, 31, v5
	v_and_b32_e32 v61, exec_lo, v61
	v_xor_b32_e32 v161, vcc_hi, v5
	v_xor_b32_e32 v5, vcc_lo, v5
	v_and_b32_e32 v61, v61, v5
	v_lshlrev_b32_e32 v5, 29, v60
	v_cmp_gt_i64_e32 vcc, 0, v[4:5]
	v_not_b32_e32 v5, v5
	v_ashrrev_i32_e32 v5, 31, v5
	v_and_b32_e32 v160, v160, v161
	v_xor_b32_e32 v161, vcc_hi, v5
	v_xor_b32_e32 v5, vcc_lo, v5
	v_and_b32_e32 v61, v61, v5
	v_lshlrev_b32_e32 v5, 28, v60
	v_cmp_gt_i64_e32 vcc, 0, v[4:5]
	v_not_b32_e32 v5, v5
	v_ashrrev_i32_e32 v5, 31, v5
	v_and_b32_e32 v160, v160, v161
	;; [unrolled: 8-line block ×5, first 2 shown]
	v_xor_b32_e32 v161, vcc_hi, v5
	v_xor_b32_e32 v5, vcc_lo, v5
	v_and_b32_e32 v160, v160, v161
	v_and_b32_e32 v161, v61, v5
	v_lshlrev_b32_e32 v5, 24, v60
	v_cmp_gt_i64_e32 vcc, 0, v[4:5]
	v_not_b32_e32 v5, v5
	v_ashrrev_i32_e32 v5, 31, v5
	v_xor_b32_e32 v60, vcc_hi, v5
	v_xor_b32_e32 v5, vcc_lo, v5
	v_and_b32_e32 v61, v160, v60
	v_and_b32_e32 v60, v161, v5
	v_mbcnt_lo_u32_b32 v5, v60, 0
	v_mbcnt_hi_u32_b32 v160, v61, v5
	v_cmp_eq_u32_e32 vcc, 0, v160
	v_cmp_ne_u64_e64 s[36:37], 0, v[60:61]
	s_and_b64 s[38:39], s[36:37], vcc
	; wave barrier
	s_and_saveexec_b64 s[36:37], s[38:39]
	s_cbranch_execz .LBB500_138
; %bb.137:                              ;   in Loop: Header=BB500_98 Depth=2
	v_bcnt_u32_b32 v5, v60, 0
	v_bcnt_u32_b32 v5, v61, v5
	s_waitcnt lgkmcnt(0)
	v_add_u32_e32 v5, v156, v5
	ds_write_b32 v157, v5
.LBB500_138:                            ;   in Loop: Header=BB500_98 Depth=2
	s_or_b64 exec, exec, s[36:37]
	s_waitcnt vmcnt(12)
	v_xor_b32_e32 v159, 0x7fffffff, v159
	v_lshrrev_b32_e32 v5, s93, v159
	v_and_b32_e32 v60, s94, v5
	v_mul_u32_u24_e32 v5, 5, v60
	v_add_lshl_u32 v5, v5, v150, 2
	; wave barrier
	v_add_u32_e32 v162, 0x410, v5
	ds_read_b32 v161, v5 offset:1040
	v_and_b32_e32 v5, 1, v60
	v_add_co_u32_e32 v61, vcc, -1, v5
	v_addc_co_u32_e64 v165, s[36:37], 0, -1, vcc
	v_cmp_ne_u32_e32 vcc, 0, v5
	v_xor_b32_e32 v5, vcc_hi, v165
	v_and_b32_e32 v165, exec_hi, v5
	v_lshlrev_b32_e32 v5, 30, v60
	v_xor_b32_e32 v61, vcc_lo, v61
	v_cmp_gt_i64_e32 vcc, 0, v[4:5]
	v_not_b32_e32 v5, v5
	v_ashrrev_i32_e32 v5, 31, v5
	v_and_b32_e32 v61, exec_lo, v61
	v_xor_b32_e32 v166, vcc_hi, v5
	v_xor_b32_e32 v5, vcc_lo, v5
	v_and_b32_e32 v61, v61, v5
	v_lshlrev_b32_e32 v5, 29, v60
	v_cmp_gt_i64_e32 vcc, 0, v[4:5]
	v_not_b32_e32 v5, v5
	v_ashrrev_i32_e32 v5, 31, v5
	v_and_b32_e32 v165, v165, v166
	v_xor_b32_e32 v166, vcc_hi, v5
	v_xor_b32_e32 v5, vcc_lo, v5
	v_and_b32_e32 v61, v61, v5
	v_lshlrev_b32_e32 v5, 28, v60
	v_cmp_gt_i64_e32 vcc, 0, v[4:5]
	v_not_b32_e32 v5, v5
	v_ashrrev_i32_e32 v5, 31, v5
	v_and_b32_e32 v165, v165, v166
	;; [unrolled: 8-line block ×5, first 2 shown]
	v_xor_b32_e32 v166, vcc_hi, v5
	v_xor_b32_e32 v5, vcc_lo, v5
	v_and_b32_e32 v165, v165, v166
	v_and_b32_e32 v166, v61, v5
	v_lshlrev_b32_e32 v5, 24, v60
	v_cmp_gt_i64_e32 vcc, 0, v[4:5]
	v_not_b32_e32 v5, v5
	v_ashrrev_i32_e32 v5, 31, v5
	v_xor_b32_e32 v60, vcc_hi, v5
	v_xor_b32_e32 v5, vcc_lo, v5
	v_and_b32_e32 v61, v165, v60
	v_and_b32_e32 v60, v166, v5
	v_mbcnt_lo_u32_b32 v5, v60, 0
	v_mbcnt_hi_u32_b32 v165, v61, v5
	v_cmp_eq_u32_e32 vcc, 0, v165
	v_cmp_ne_u64_e64 s[36:37], 0, v[60:61]
	s_and_b64 s[38:39], s[36:37], vcc
	; wave barrier
	s_and_saveexec_b64 s[36:37], s[38:39]
	s_cbranch_execz .LBB500_140
; %bb.139:                              ;   in Loop: Header=BB500_98 Depth=2
	v_bcnt_u32_b32 v5, v60, 0
	v_bcnt_u32_b32 v5, v61, v5
	s_waitcnt lgkmcnt(0)
	v_add_u32_e32 v5, v161, v5
	ds_write_b32 v162, v5
.LBB500_140:                            ;   in Loop: Header=BB500_98 Depth=2
	s_or_b64 exec, exec, s[36:37]
	s_waitcnt vmcnt(11)
	v_xor_b32_e32 v164, 0x7fffffff, v164
	v_lshrrev_b32_e32 v5, s93, v164
	v_and_b32_e32 v60, s94, v5
	v_mul_u32_u24_e32 v5, 5, v60
	v_add_lshl_u32 v5, v5, v150, 2
	; wave barrier
	v_add_u32_e32 v167, 0x410, v5
	ds_read_b32 v166, v5 offset:1040
	v_and_b32_e32 v5, 1, v60
	v_add_co_u32_e32 v61, vcc, -1, v5
	v_addc_co_u32_e64 v170, s[36:37], 0, -1, vcc
	v_cmp_ne_u32_e32 vcc, 0, v5
	v_xor_b32_e32 v5, vcc_hi, v170
	v_and_b32_e32 v170, exec_hi, v5
	v_lshlrev_b32_e32 v5, 30, v60
	v_xor_b32_e32 v61, vcc_lo, v61
	v_cmp_gt_i64_e32 vcc, 0, v[4:5]
	v_not_b32_e32 v5, v5
	v_ashrrev_i32_e32 v5, 31, v5
	v_and_b32_e32 v61, exec_lo, v61
	v_xor_b32_e32 v171, vcc_hi, v5
	v_xor_b32_e32 v5, vcc_lo, v5
	v_and_b32_e32 v61, v61, v5
	v_lshlrev_b32_e32 v5, 29, v60
	v_cmp_gt_i64_e32 vcc, 0, v[4:5]
	v_not_b32_e32 v5, v5
	v_ashrrev_i32_e32 v5, 31, v5
	v_and_b32_e32 v170, v170, v171
	v_xor_b32_e32 v171, vcc_hi, v5
	v_xor_b32_e32 v5, vcc_lo, v5
	v_and_b32_e32 v61, v61, v5
	v_lshlrev_b32_e32 v5, 28, v60
	v_cmp_gt_i64_e32 vcc, 0, v[4:5]
	v_not_b32_e32 v5, v5
	v_ashrrev_i32_e32 v5, 31, v5
	v_and_b32_e32 v170, v170, v171
	;; [unrolled: 8-line block ×5, first 2 shown]
	v_xor_b32_e32 v171, vcc_hi, v5
	v_xor_b32_e32 v5, vcc_lo, v5
	v_and_b32_e32 v170, v170, v171
	v_and_b32_e32 v171, v61, v5
	v_lshlrev_b32_e32 v5, 24, v60
	v_cmp_gt_i64_e32 vcc, 0, v[4:5]
	v_not_b32_e32 v5, v5
	v_ashrrev_i32_e32 v5, 31, v5
	v_xor_b32_e32 v60, vcc_hi, v5
	v_xor_b32_e32 v5, vcc_lo, v5
	v_and_b32_e32 v61, v170, v60
	v_and_b32_e32 v60, v171, v5
	v_mbcnt_lo_u32_b32 v5, v60, 0
	v_mbcnt_hi_u32_b32 v170, v61, v5
	v_cmp_eq_u32_e32 vcc, 0, v170
	v_cmp_ne_u64_e64 s[36:37], 0, v[60:61]
	s_and_b64 s[38:39], s[36:37], vcc
	; wave barrier
	s_and_saveexec_b64 s[36:37], s[38:39]
	s_cbranch_execz .LBB500_142
; %bb.141:                              ;   in Loop: Header=BB500_98 Depth=2
	v_bcnt_u32_b32 v5, v60, 0
	v_bcnt_u32_b32 v5, v61, v5
	s_waitcnt lgkmcnt(0)
	v_add_u32_e32 v5, v166, v5
	ds_write_b32 v167, v5
.LBB500_142:                            ;   in Loop: Header=BB500_98 Depth=2
	s_or_b64 exec, exec, s[36:37]
	s_waitcnt vmcnt(10)
	v_xor_b32_e32 v169, 0x7fffffff, v169
	v_lshrrev_b32_e32 v5, s93, v169
	v_and_b32_e32 v60, s94, v5
	v_mul_u32_u24_e32 v5, 5, v60
	v_add_lshl_u32 v5, v5, v150, 2
	; wave barrier
	v_add_u32_e32 v172, 0x410, v5
	ds_read_b32 v171, v5 offset:1040
	v_and_b32_e32 v5, 1, v60
	v_add_co_u32_e32 v61, vcc, -1, v5
	v_addc_co_u32_e64 v175, s[36:37], 0, -1, vcc
	v_cmp_ne_u32_e32 vcc, 0, v5
	v_xor_b32_e32 v5, vcc_hi, v175
	v_and_b32_e32 v175, exec_hi, v5
	v_lshlrev_b32_e32 v5, 30, v60
	v_xor_b32_e32 v61, vcc_lo, v61
	v_cmp_gt_i64_e32 vcc, 0, v[4:5]
	v_not_b32_e32 v5, v5
	v_ashrrev_i32_e32 v5, 31, v5
	v_and_b32_e32 v61, exec_lo, v61
	v_xor_b32_e32 v176, vcc_hi, v5
	v_xor_b32_e32 v5, vcc_lo, v5
	v_and_b32_e32 v61, v61, v5
	v_lshlrev_b32_e32 v5, 29, v60
	v_cmp_gt_i64_e32 vcc, 0, v[4:5]
	v_not_b32_e32 v5, v5
	v_ashrrev_i32_e32 v5, 31, v5
	v_and_b32_e32 v175, v175, v176
	v_xor_b32_e32 v176, vcc_hi, v5
	v_xor_b32_e32 v5, vcc_lo, v5
	v_and_b32_e32 v61, v61, v5
	v_lshlrev_b32_e32 v5, 28, v60
	v_cmp_gt_i64_e32 vcc, 0, v[4:5]
	v_not_b32_e32 v5, v5
	v_ashrrev_i32_e32 v5, 31, v5
	v_and_b32_e32 v175, v175, v176
	;; [unrolled: 8-line block ×5, first 2 shown]
	v_xor_b32_e32 v176, vcc_hi, v5
	v_xor_b32_e32 v5, vcc_lo, v5
	v_and_b32_e32 v175, v175, v176
	v_and_b32_e32 v176, v61, v5
	v_lshlrev_b32_e32 v5, 24, v60
	v_cmp_gt_i64_e32 vcc, 0, v[4:5]
	v_not_b32_e32 v5, v5
	v_ashrrev_i32_e32 v5, 31, v5
	v_xor_b32_e32 v60, vcc_hi, v5
	v_xor_b32_e32 v5, vcc_lo, v5
	v_and_b32_e32 v61, v175, v60
	v_and_b32_e32 v60, v176, v5
	v_mbcnt_lo_u32_b32 v5, v60, 0
	v_mbcnt_hi_u32_b32 v175, v61, v5
	v_cmp_eq_u32_e32 vcc, 0, v175
	v_cmp_ne_u64_e64 s[36:37], 0, v[60:61]
	s_and_b64 s[38:39], s[36:37], vcc
	; wave barrier
	s_and_saveexec_b64 s[36:37], s[38:39]
	s_cbranch_execz .LBB500_144
; %bb.143:                              ;   in Loop: Header=BB500_98 Depth=2
	v_bcnt_u32_b32 v5, v60, 0
	v_bcnt_u32_b32 v5, v61, v5
	s_waitcnt lgkmcnt(0)
	v_add_u32_e32 v5, v171, v5
	ds_write_b32 v172, v5
.LBB500_144:                            ;   in Loop: Header=BB500_98 Depth=2
	s_or_b64 exec, exec, s[36:37]
	s_waitcnt vmcnt(9)
	v_xor_b32_e32 v174, 0x7fffffff, v174
	v_lshrrev_b32_e32 v5, s93, v174
	v_and_b32_e32 v60, s94, v5
	v_mul_u32_u24_e32 v5, 5, v60
	v_add_lshl_u32 v5, v5, v150, 2
	; wave barrier
	v_add_u32_e32 v178, 0x410, v5
	ds_read_b32 v176, v5 offset:1040
	v_and_b32_e32 v5, 1, v60
	v_add_co_u32_e32 v61, vcc, -1, v5
	v_addc_co_u32_e64 v180, s[36:37], 0, -1, vcc
	v_cmp_ne_u32_e32 vcc, 0, v5
	v_xor_b32_e32 v5, vcc_hi, v180
	v_and_b32_e32 v180, exec_hi, v5
	v_lshlrev_b32_e32 v5, 30, v60
	v_xor_b32_e32 v61, vcc_lo, v61
	v_cmp_gt_i64_e32 vcc, 0, v[4:5]
	v_not_b32_e32 v5, v5
	v_ashrrev_i32_e32 v5, 31, v5
	v_and_b32_e32 v61, exec_lo, v61
	v_xor_b32_e32 v181, vcc_hi, v5
	v_xor_b32_e32 v5, vcc_lo, v5
	v_and_b32_e32 v61, v61, v5
	v_lshlrev_b32_e32 v5, 29, v60
	v_cmp_gt_i64_e32 vcc, 0, v[4:5]
	v_not_b32_e32 v5, v5
	v_ashrrev_i32_e32 v5, 31, v5
	v_and_b32_e32 v180, v180, v181
	v_xor_b32_e32 v181, vcc_hi, v5
	v_xor_b32_e32 v5, vcc_lo, v5
	v_and_b32_e32 v61, v61, v5
	v_lshlrev_b32_e32 v5, 28, v60
	v_cmp_gt_i64_e32 vcc, 0, v[4:5]
	v_not_b32_e32 v5, v5
	v_ashrrev_i32_e32 v5, 31, v5
	v_and_b32_e32 v180, v180, v181
	;; [unrolled: 8-line block ×5, first 2 shown]
	v_xor_b32_e32 v181, vcc_hi, v5
	v_xor_b32_e32 v5, vcc_lo, v5
	v_and_b32_e32 v180, v180, v181
	v_and_b32_e32 v181, v61, v5
	v_lshlrev_b32_e32 v5, 24, v60
	v_cmp_gt_i64_e32 vcc, 0, v[4:5]
	v_not_b32_e32 v5, v5
	v_ashrrev_i32_e32 v5, 31, v5
	v_xor_b32_e32 v60, vcc_hi, v5
	v_xor_b32_e32 v5, vcc_lo, v5
	v_and_b32_e32 v61, v180, v60
	v_and_b32_e32 v60, v181, v5
	v_mbcnt_lo_u32_b32 v5, v60, 0
	v_mbcnt_hi_u32_b32 v180, v61, v5
	v_cmp_eq_u32_e32 vcc, 0, v180
	v_cmp_ne_u64_e64 s[36:37], 0, v[60:61]
	s_and_b64 s[38:39], s[36:37], vcc
	; wave barrier
	s_and_saveexec_b64 s[36:37], s[38:39]
	s_cbranch_execz .LBB500_146
; %bb.145:                              ;   in Loop: Header=BB500_98 Depth=2
	v_bcnt_u32_b32 v5, v60, 0
	v_bcnt_u32_b32 v5, v61, v5
	s_waitcnt lgkmcnt(0)
	v_add_u32_e32 v5, v176, v5
	ds_write_b32 v178, v5
.LBB500_146:                            ;   in Loop: Header=BB500_98 Depth=2
	s_or_b64 exec, exec, s[36:37]
	s_waitcnt vmcnt(8)
	v_xor_b32_e32 v179, 0x7fffffff, v179
	v_lshrrev_b32_e32 v5, s93, v179
	v_and_b32_e32 v60, s94, v5
	v_mul_u32_u24_e32 v5, 5, v60
	v_add_lshl_u32 v5, v5, v150, 2
	; wave barrier
	v_add_u32_e32 v183, 0x410, v5
	ds_read_b32 v181, v5 offset:1040
	v_and_b32_e32 v5, 1, v60
	v_add_co_u32_e32 v61, vcc, -1, v5
	v_addc_co_u32_e64 v185, s[36:37], 0, -1, vcc
	v_cmp_ne_u32_e32 vcc, 0, v5
	v_xor_b32_e32 v5, vcc_hi, v185
	v_and_b32_e32 v185, exec_hi, v5
	v_lshlrev_b32_e32 v5, 30, v60
	v_xor_b32_e32 v61, vcc_lo, v61
	v_cmp_gt_i64_e32 vcc, 0, v[4:5]
	v_not_b32_e32 v5, v5
	v_ashrrev_i32_e32 v5, 31, v5
	v_and_b32_e32 v61, exec_lo, v61
	v_xor_b32_e32 v186, vcc_hi, v5
	v_xor_b32_e32 v5, vcc_lo, v5
	v_and_b32_e32 v61, v61, v5
	v_lshlrev_b32_e32 v5, 29, v60
	v_cmp_gt_i64_e32 vcc, 0, v[4:5]
	v_not_b32_e32 v5, v5
	v_ashrrev_i32_e32 v5, 31, v5
	v_and_b32_e32 v185, v185, v186
	v_xor_b32_e32 v186, vcc_hi, v5
	v_xor_b32_e32 v5, vcc_lo, v5
	v_and_b32_e32 v61, v61, v5
	v_lshlrev_b32_e32 v5, 28, v60
	v_cmp_gt_i64_e32 vcc, 0, v[4:5]
	v_not_b32_e32 v5, v5
	v_ashrrev_i32_e32 v5, 31, v5
	v_and_b32_e32 v185, v185, v186
	;; [unrolled: 8-line block ×5, first 2 shown]
	v_xor_b32_e32 v186, vcc_hi, v5
	v_xor_b32_e32 v5, vcc_lo, v5
	v_and_b32_e32 v185, v185, v186
	v_and_b32_e32 v186, v61, v5
	v_lshlrev_b32_e32 v5, 24, v60
	v_cmp_gt_i64_e32 vcc, 0, v[4:5]
	v_not_b32_e32 v5, v5
	v_ashrrev_i32_e32 v5, 31, v5
	v_xor_b32_e32 v60, vcc_hi, v5
	v_xor_b32_e32 v5, vcc_lo, v5
	v_and_b32_e32 v61, v185, v60
	v_and_b32_e32 v60, v186, v5
	v_mbcnt_lo_u32_b32 v5, v60, 0
	v_mbcnt_hi_u32_b32 v185, v61, v5
	v_cmp_eq_u32_e32 vcc, 0, v185
	v_cmp_ne_u64_e64 s[36:37], 0, v[60:61]
	s_and_b64 s[38:39], s[36:37], vcc
	; wave barrier
	s_and_saveexec_b64 s[36:37], s[38:39]
	s_cbranch_execz .LBB500_148
; %bb.147:                              ;   in Loop: Header=BB500_98 Depth=2
	v_bcnt_u32_b32 v5, v60, 0
	v_bcnt_u32_b32 v5, v61, v5
	s_waitcnt lgkmcnt(0)
	v_add_u32_e32 v5, v181, v5
	ds_write_b32 v183, v5
.LBB500_148:                            ;   in Loop: Header=BB500_98 Depth=2
	s_or_b64 exec, exec, s[36:37]
	s_waitcnt vmcnt(7)
	v_xor_b32_e32 v184, 0x7fffffff, v184
	v_lshrrev_b32_e32 v5, s93, v184
	v_and_b32_e32 v60, s94, v5
	v_mul_u32_u24_e32 v5, 5, v60
	v_add_lshl_u32 v5, v5, v150, 2
	; wave barrier
	v_add_u32_e32 v187, 0x410, v5
	ds_read_b32 v186, v5 offset:1040
	v_and_b32_e32 v5, 1, v60
	v_add_co_u32_e32 v61, vcc, -1, v5
	v_addc_co_u32_e64 v188, s[36:37], 0, -1, vcc
	v_cmp_ne_u32_e32 vcc, 0, v5
	v_xor_b32_e32 v5, vcc_hi, v188
	v_and_b32_e32 v188, exec_hi, v5
	v_lshlrev_b32_e32 v5, 30, v60
	v_xor_b32_e32 v61, vcc_lo, v61
	v_cmp_gt_i64_e32 vcc, 0, v[4:5]
	v_not_b32_e32 v5, v5
	v_ashrrev_i32_e32 v5, 31, v5
	v_and_b32_e32 v61, exec_lo, v61
	v_xor_b32_e32 v189, vcc_hi, v5
	v_xor_b32_e32 v5, vcc_lo, v5
	v_and_b32_e32 v61, v61, v5
	v_lshlrev_b32_e32 v5, 29, v60
	v_cmp_gt_i64_e32 vcc, 0, v[4:5]
	v_not_b32_e32 v5, v5
	v_ashrrev_i32_e32 v5, 31, v5
	v_and_b32_e32 v188, v188, v189
	v_xor_b32_e32 v189, vcc_hi, v5
	v_xor_b32_e32 v5, vcc_lo, v5
	v_and_b32_e32 v61, v61, v5
	v_lshlrev_b32_e32 v5, 28, v60
	v_cmp_gt_i64_e32 vcc, 0, v[4:5]
	v_not_b32_e32 v5, v5
	v_ashrrev_i32_e32 v5, 31, v5
	v_and_b32_e32 v188, v188, v189
	;; [unrolled: 8-line block ×5, first 2 shown]
	v_xor_b32_e32 v189, vcc_hi, v5
	v_xor_b32_e32 v5, vcc_lo, v5
	v_and_b32_e32 v188, v188, v189
	v_and_b32_e32 v189, v61, v5
	v_lshlrev_b32_e32 v5, 24, v60
	v_cmp_gt_i64_e32 vcc, 0, v[4:5]
	v_not_b32_e32 v5, v5
	v_ashrrev_i32_e32 v5, 31, v5
	v_xor_b32_e32 v60, vcc_hi, v5
	v_xor_b32_e32 v5, vcc_lo, v5
	v_and_b32_e32 v61, v188, v60
	v_and_b32_e32 v60, v189, v5
	v_mbcnt_lo_u32_b32 v5, v60, 0
	v_mbcnt_hi_u32_b32 v188, v61, v5
	v_cmp_eq_u32_e32 vcc, 0, v188
	v_cmp_ne_u64_e64 s[36:37], 0, v[60:61]
	s_and_b64 s[38:39], s[36:37], vcc
	; wave barrier
	s_and_saveexec_b64 s[36:37], s[38:39]
	s_cbranch_execz .LBB500_150
; %bb.149:                              ;   in Loop: Header=BB500_98 Depth=2
	v_bcnt_u32_b32 v5, v60, 0
	v_bcnt_u32_b32 v5, v61, v5
	s_waitcnt lgkmcnt(0)
	v_add_u32_e32 v5, v186, v5
	ds_write_b32 v187, v5
.LBB500_150:                            ;   in Loop: Header=BB500_98 Depth=2
	s_or_b64 exec, exec, s[36:37]
	s_waitcnt vmcnt(6)
	v_xor_b32_e32 v182, 0x7fffffff, v182
	v_lshrrev_b32_e32 v5, s93, v182
	v_and_b32_e32 v60, s94, v5
	v_mul_u32_u24_e32 v5, 5, v60
	v_add_lshl_u32 v5, v5, v150, 2
	; wave barrier
	v_add_u32_e32 v190, 0x410, v5
	ds_read_b32 v189, v5 offset:1040
	v_and_b32_e32 v5, 1, v60
	v_add_co_u32_e32 v61, vcc, -1, v5
	v_addc_co_u32_e64 v191, s[36:37], 0, -1, vcc
	v_cmp_ne_u32_e32 vcc, 0, v5
	v_xor_b32_e32 v5, vcc_hi, v191
	v_and_b32_e32 v191, exec_hi, v5
	v_lshlrev_b32_e32 v5, 30, v60
	v_xor_b32_e32 v61, vcc_lo, v61
	v_cmp_gt_i64_e32 vcc, 0, v[4:5]
	v_not_b32_e32 v5, v5
	v_ashrrev_i32_e32 v5, 31, v5
	v_and_b32_e32 v61, exec_lo, v61
	v_xor_b32_e32 v192, vcc_hi, v5
	v_xor_b32_e32 v5, vcc_lo, v5
	v_and_b32_e32 v61, v61, v5
	v_lshlrev_b32_e32 v5, 29, v60
	v_cmp_gt_i64_e32 vcc, 0, v[4:5]
	v_not_b32_e32 v5, v5
	v_ashrrev_i32_e32 v5, 31, v5
	v_and_b32_e32 v191, v191, v192
	v_xor_b32_e32 v192, vcc_hi, v5
	v_xor_b32_e32 v5, vcc_lo, v5
	v_and_b32_e32 v61, v61, v5
	v_lshlrev_b32_e32 v5, 28, v60
	v_cmp_gt_i64_e32 vcc, 0, v[4:5]
	v_not_b32_e32 v5, v5
	v_ashrrev_i32_e32 v5, 31, v5
	v_and_b32_e32 v191, v191, v192
	v_xor_b32_e32 v192, vcc_hi, v5
	v_xor_b32_e32 v5, vcc_lo, v5
	v_and_b32_e32 v61, v61, v5
	v_lshlrev_b32_e32 v5, 27, v60
	v_cmp_gt_i64_e32 vcc, 0, v[4:5]
	v_not_b32_e32 v5, v5
	v_ashrrev_i32_e32 v5, 31, v5
	v_and_b32_e32 v191, v191, v192
	v_xor_b32_e32 v192, vcc_hi, v5
	v_xor_b32_e32 v5, vcc_lo, v5
	v_and_b32_e32 v61, v61, v5
	v_lshlrev_b32_e32 v5, 26, v60
	v_cmp_gt_i64_e32 vcc, 0, v[4:5]
	v_not_b32_e32 v5, v5
	v_ashrrev_i32_e32 v5, 31, v5
	v_and_b32_e32 v191, v191, v192
	v_xor_b32_e32 v192, vcc_hi, v5
	v_xor_b32_e32 v5, vcc_lo, v5
	v_and_b32_e32 v61, v61, v5
	v_lshlrev_b32_e32 v5, 25, v60
	v_cmp_gt_i64_e32 vcc, 0, v[4:5]
	v_not_b32_e32 v5, v5
	v_ashrrev_i32_e32 v5, 31, v5
	v_and_b32_e32 v191, v191, v192
	v_xor_b32_e32 v192, vcc_hi, v5
	v_xor_b32_e32 v5, vcc_lo, v5
	v_and_b32_e32 v191, v191, v192
	v_and_b32_e32 v192, v61, v5
	v_lshlrev_b32_e32 v5, 24, v60
	v_cmp_gt_i64_e32 vcc, 0, v[4:5]
	v_not_b32_e32 v5, v5
	v_ashrrev_i32_e32 v5, 31, v5
	v_xor_b32_e32 v60, vcc_hi, v5
	v_xor_b32_e32 v5, vcc_lo, v5
	v_and_b32_e32 v61, v191, v60
	v_and_b32_e32 v60, v192, v5
	v_mbcnt_lo_u32_b32 v5, v60, 0
	v_mbcnt_hi_u32_b32 v191, v61, v5
	v_cmp_eq_u32_e32 vcc, 0, v191
	v_cmp_ne_u64_e64 s[36:37], 0, v[60:61]
	s_and_b64 s[38:39], s[36:37], vcc
	; wave barrier
	s_and_saveexec_b64 s[36:37], s[38:39]
	s_cbranch_execz .LBB500_152
; %bb.151:                              ;   in Loop: Header=BB500_98 Depth=2
	v_bcnt_u32_b32 v5, v60, 0
	v_bcnt_u32_b32 v5, v61, v5
	s_waitcnt lgkmcnt(0)
	v_add_u32_e32 v5, v189, v5
	ds_write_b32 v190, v5
.LBB500_152:                            ;   in Loop: Header=BB500_98 Depth=2
	s_or_b64 exec, exec, s[36:37]
	s_waitcnt vmcnt(5)
	v_xor_b32_e32 v177, 0x7fffffff, v177
	v_lshrrev_b32_e32 v5, s93, v177
	v_and_b32_e32 v60, s94, v5
	v_mul_u32_u24_e32 v5, 5, v60
	v_add_lshl_u32 v5, v5, v150, 2
	; wave barrier
	v_add_u32_e32 v193, 0x410, v5
	ds_read_b32 v192, v5 offset:1040
	v_and_b32_e32 v5, 1, v60
	v_add_co_u32_e32 v61, vcc, -1, v5
	v_addc_co_u32_e64 v194, s[36:37], 0, -1, vcc
	v_cmp_ne_u32_e32 vcc, 0, v5
	v_xor_b32_e32 v5, vcc_hi, v194
	v_and_b32_e32 v194, exec_hi, v5
	v_lshlrev_b32_e32 v5, 30, v60
	v_xor_b32_e32 v61, vcc_lo, v61
	v_cmp_gt_i64_e32 vcc, 0, v[4:5]
	v_not_b32_e32 v5, v5
	v_ashrrev_i32_e32 v5, 31, v5
	v_and_b32_e32 v61, exec_lo, v61
	v_xor_b32_e32 v195, vcc_hi, v5
	v_xor_b32_e32 v5, vcc_lo, v5
	v_and_b32_e32 v61, v61, v5
	v_lshlrev_b32_e32 v5, 29, v60
	v_cmp_gt_i64_e32 vcc, 0, v[4:5]
	v_not_b32_e32 v5, v5
	v_ashrrev_i32_e32 v5, 31, v5
	v_and_b32_e32 v194, v194, v195
	v_xor_b32_e32 v195, vcc_hi, v5
	v_xor_b32_e32 v5, vcc_lo, v5
	v_and_b32_e32 v61, v61, v5
	v_lshlrev_b32_e32 v5, 28, v60
	v_cmp_gt_i64_e32 vcc, 0, v[4:5]
	v_not_b32_e32 v5, v5
	v_ashrrev_i32_e32 v5, 31, v5
	v_and_b32_e32 v194, v194, v195
	;; [unrolled: 8-line block ×5, first 2 shown]
	v_xor_b32_e32 v195, vcc_hi, v5
	v_xor_b32_e32 v5, vcc_lo, v5
	v_and_b32_e32 v194, v194, v195
	v_and_b32_e32 v195, v61, v5
	v_lshlrev_b32_e32 v5, 24, v60
	v_cmp_gt_i64_e32 vcc, 0, v[4:5]
	v_not_b32_e32 v5, v5
	v_ashrrev_i32_e32 v5, 31, v5
	v_xor_b32_e32 v60, vcc_hi, v5
	v_xor_b32_e32 v5, vcc_lo, v5
	v_and_b32_e32 v61, v194, v60
	v_and_b32_e32 v60, v195, v5
	v_mbcnt_lo_u32_b32 v5, v60, 0
	v_mbcnt_hi_u32_b32 v194, v61, v5
	v_cmp_eq_u32_e32 vcc, 0, v194
	v_cmp_ne_u64_e64 s[36:37], 0, v[60:61]
	s_and_b64 s[38:39], s[36:37], vcc
	; wave barrier
	s_and_saveexec_b64 s[36:37], s[38:39]
	s_cbranch_execz .LBB500_154
; %bb.153:                              ;   in Loop: Header=BB500_98 Depth=2
	v_bcnt_u32_b32 v5, v60, 0
	v_bcnt_u32_b32 v5, v61, v5
	s_waitcnt lgkmcnt(0)
	v_add_u32_e32 v5, v192, v5
	ds_write_b32 v193, v5
.LBB500_154:                            ;   in Loop: Header=BB500_98 Depth=2
	s_or_b64 exec, exec, s[36:37]
	s_waitcnt vmcnt(4)
	v_xor_b32_e32 v173, 0x7fffffff, v173
	v_lshrrev_b32_e32 v5, s93, v173
	v_and_b32_e32 v60, s94, v5
	v_mul_u32_u24_e32 v5, 5, v60
	v_add_lshl_u32 v5, v5, v150, 2
	; wave barrier
	v_add_u32_e32 v196, 0x410, v5
	ds_read_b32 v195, v5 offset:1040
	v_and_b32_e32 v5, 1, v60
	v_add_co_u32_e32 v61, vcc, -1, v5
	v_addc_co_u32_e64 v197, s[36:37], 0, -1, vcc
	v_cmp_ne_u32_e32 vcc, 0, v5
	v_xor_b32_e32 v5, vcc_hi, v197
	v_and_b32_e32 v197, exec_hi, v5
	v_lshlrev_b32_e32 v5, 30, v60
	v_xor_b32_e32 v61, vcc_lo, v61
	v_cmp_gt_i64_e32 vcc, 0, v[4:5]
	v_not_b32_e32 v5, v5
	v_ashrrev_i32_e32 v5, 31, v5
	v_and_b32_e32 v61, exec_lo, v61
	v_xor_b32_e32 v198, vcc_hi, v5
	v_xor_b32_e32 v5, vcc_lo, v5
	v_and_b32_e32 v61, v61, v5
	v_lshlrev_b32_e32 v5, 29, v60
	v_cmp_gt_i64_e32 vcc, 0, v[4:5]
	v_not_b32_e32 v5, v5
	v_ashrrev_i32_e32 v5, 31, v5
	v_and_b32_e32 v197, v197, v198
	v_xor_b32_e32 v198, vcc_hi, v5
	v_xor_b32_e32 v5, vcc_lo, v5
	v_and_b32_e32 v61, v61, v5
	v_lshlrev_b32_e32 v5, 28, v60
	v_cmp_gt_i64_e32 vcc, 0, v[4:5]
	v_not_b32_e32 v5, v5
	v_ashrrev_i32_e32 v5, 31, v5
	v_and_b32_e32 v197, v197, v198
	;; [unrolled: 8-line block ×5, first 2 shown]
	v_xor_b32_e32 v198, vcc_hi, v5
	v_xor_b32_e32 v5, vcc_lo, v5
	v_and_b32_e32 v197, v197, v198
	v_and_b32_e32 v198, v61, v5
	v_lshlrev_b32_e32 v5, 24, v60
	v_cmp_gt_i64_e32 vcc, 0, v[4:5]
	v_not_b32_e32 v5, v5
	v_ashrrev_i32_e32 v5, 31, v5
	v_xor_b32_e32 v60, vcc_hi, v5
	v_xor_b32_e32 v5, vcc_lo, v5
	v_and_b32_e32 v61, v197, v60
	v_and_b32_e32 v60, v198, v5
	v_mbcnt_lo_u32_b32 v5, v60, 0
	v_mbcnt_hi_u32_b32 v198, v61, v5
	v_cmp_eq_u32_e32 vcc, 0, v198
	v_cmp_ne_u64_e64 s[36:37], 0, v[60:61]
	s_and_b64 s[38:39], s[36:37], vcc
	; wave barrier
	s_and_saveexec_b64 s[36:37], s[38:39]
	s_cbranch_execz .LBB500_156
; %bb.155:                              ;   in Loop: Header=BB500_98 Depth=2
	v_bcnt_u32_b32 v5, v60, 0
	v_bcnt_u32_b32 v5, v61, v5
	s_waitcnt lgkmcnt(0)
	v_add_u32_e32 v5, v195, v5
	ds_write_b32 v196, v5
.LBB500_156:                            ;   in Loop: Header=BB500_98 Depth=2
	s_or_b64 exec, exec, s[36:37]
	s_waitcnt vmcnt(3)
	v_xor_b32_e32 v197, 0x7fffffff, v168
	v_lshrrev_b32_e32 v5, s93, v197
	v_and_b32_e32 v60, s94, v5
	v_mul_u32_u24_e32 v5, 5, v60
	v_add_lshl_u32 v5, v5, v150, 2
	; wave barrier
	v_add_u32_e32 v168, 0x410, v5
	ds_read_b32 v199, v5 offset:1040
	v_and_b32_e32 v5, 1, v60
	v_add_co_u32_e32 v61, vcc, -1, v5
	v_addc_co_u32_e64 v200, s[36:37], 0, -1, vcc
	v_cmp_ne_u32_e32 vcc, 0, v5
	v_xor_b32_e32 v5, vcc_hi, v200
	v_and_b32_e32 v200, exec_hi, v5
	v_lshlrev_b32_e32 v5, 30, v60
	v_xor_b32_e32 v61, vcc_lo, v61
	v_cmp_gt_i64_e32 vcc, 0, v[4:5]
	v_not_b32_e32 v5, v5
	v_ashrrev_i32_e32 v5, 31, v5
	v_and_b32_e32 v61, exec_lo, v61
	v_xor_b32_e32 v201, vcc_hi, v5
	v_xor_b32_e32 v5, vcc_lo, v5
	v_and_b32_e32 v61, v61, v5
	v_lshlrev_b32_e32 v5, 29, v60
	v_cmp_gt_i64_e32 vcc, 0, v[4:5]
	v_not_b32_e32 v5, v5
	v_ashrrev_i32_e32 v5, 31, v5
	v_and_b32_e32 v200, v200, v201
	v_xor_b32_e32 v201, vcc_hi, v5
	v_xor_b32_e32 v5, vcc_lo, v5
	v_and_b32_e32 v61, v61, v5
	v_lshlrev_b32_e32 v5, 28, v60
	v_cmp_gt_i64_e32 vcc, 0, v[4:5]
	v_not_b32_e32 v5, v5
	v_ashrrev_i32_e32 v5, 31, v5
	v_and_b32_e32 v200, v200, v201
	;; [unrolled: 8-line block ×5, first 2 shown]
	v_xor_b32_e32 v201, vcc_hi, v5
	v_xor_b32_e32 v5, vcc_lo, v5
	v_and_b32_e32 v200, v200, v201
	v_and_b32_e32 v201, v61, v5
	v_lshlrev_b32_e32 v5, 24, v60
	v_cmp_gt_i64_e32 vcc, 0, v[4:5]
	v_not_b32_e32 v5, v5
	v_ashrrev_i32_e32 v5, 31, v5
	v_xor_b32_e32 v60, vcc_hi, v5
	v_xor_b32_e32 v5, vcc_lo, v5
	v_and_b32_e32 v61, v200, v60
	v_and_b32_e32 v60, v201, v5
	v_mbcnt_lo_u32_b32 v5, v60, 0
	v_mbcnt_hi_u32_b32 v201, v61, v5
	v_cmp_eq_u32_e32 vcc, 0, v201
	v_cmp_ne_u64_e64 s[36:37], 0, v[60:61]
	s_and_b64 s[38:39], s[36:37], vcc
	; wave barrier
	s_and_saveexec_b64 s[36:37], s[38:39]
	s_cbranch_execz .LBB500_158
; %bb.157:                              ;   in Loop: Header=BB500_98 Depth=2
	v_bcnt_u32_b32 v5, v60, 0
	v_bcnt_u32_b32 v5, v61, v5
	s_waitcnt lgkmcnt(0)
	v_add_u32_e32 v5, v199, v5
	ds_write_b32 v168, v5
.LBB500_158:                            ;   in Loop: Header=BB500_98 Depth=2
	s_or_b64 exec, exec, s[36:37]
	s_waitcnt vmcnt(2)
	v_xor_b32_e32 v200, 0x7fffffff, v163
	v_lshrrev_b32_e32 v5, s93, v200
	v_and_b32_e32 v60, s94, v5
	v_mul_u32_u24_e32 v5, 5, v60
	v_add_lshl_u32 v5, v5, v150, 2
	; wave barrier
	v_add_u32_e32 v163, 0x410, v5
	ds_read_b32 v202, v5 offset:1040
	v_and_b32_e32 v5, 1, v60
	v_add_co_u32_e32 v61, vcc, -1, v5
	v_addc_co_u32_e64 v203, s[36:37], 0, -1, vcc
	v_cmp_ne_u32_e32 vcc, 0, v5
	v_xor_b32_e32 v5, vcc_hi, v203
	v_and_b32_e32 v203, exec_hi, v5
	v_lshlrev_b32_e32 v5, 30, v60
	v_xor_b32_e32 v61, vcc_lo, v61
	v_cmp_gt_i64_e32 vcc, 0, v[4:5]
	v_not_b32_e32 v5, v5
	v_ashrrev_i32_e32 v5, 31, v5
	v_and_b32_e32 v61, exec_lo, v61
	v_xor_b32_e32 v204, vcc_hi, v5
	v_xor_b32_e32 v5, vcc_lo, v5
	v_and_b32_e32 v61, v61, v5
	v_lshlrev_b32_e32 v5, 29, v60
	v_cmp_gt_i64_e32 vcc, 0, v[4:5]
	v_not_b32_e32 v5, v5
	v_ashrrev_i32_e32 v5, 31, v5
	v_and_b32_e32 v203, v203, v204
	v_xor_b32_e32 v204, vcc_hi, v5
	v_xor_b32_e32 v5, vcc_lo, v5
	v_and_b32_e32 v61, v61, v5
	v_lshlrev_b32_e32 v5, 28, v60
	v_cmp_gt_i64_e32 vcc, 0, v[4:5]
	v_not_b32_e32 v5, v5
	v_ashrrev_i32_e32 v5, 31, v5
	v_and_b32_e32 v203, v203, v204
	;; [unrolled: 8-line block ×5, first 2 shown]
	v_xor_b32_e32 v204, vcc_hi, v5
	v_xor_b32_e32 v5, vcc_lo, v5
	v_and_b32_e32 v203, v203, v204
	v_and_b32_e32 v204, v61, v5
	v_lshlrev_b32_e32 v5, 24, v60
	v_cmp_gt_i64_e32 vcc, 0, v[4:5]
	v_not_b32_e32 v5, v5
	v_ashrrev_i32_e32 v5, 31, v5
	v_xor_b32_e32 v60, vcc_hi, v5
	v_xor_b32_e32 v5, vcc_lo, v5
	v_and_b32_e32 v61, v203, v60
	v_and_b32_e32 v60, v204, v5
	v_mbcnt_lo_u32_b32 v5, v60, 0
	v_mbcnt_hi_u32_b32 v204, v61, v5
	v_cmp_eq_u32_e32 vcc, 0, v204
	v_cmp_ne_u64_e64 s[36:37], 0, v[60:61]
	s_and_b64 s[38:39], s[36:37], vcc
	; wave barrier
	s_and_saveexec_b64 s[36:37], s[38:39]
	s_cbranch_execz .LBB500_160
; %bb.159:                              ;   in Loop: Header=BB500_98 Depth=2
	v_bcnt_u32_b32 v5, v60, 0
	v_bcnt_u32_b32 v5, v61, v5
	s_waitcnt lgkmcnt(0)
	v_add_u32_e32 v5, v202, v5
	ds_write_b32 v163, v5
.LBB500_160:                            ;   in Loop: Header=BB500_98 Depth=2
	s_or_b64 exec, exec, s[36:37]
	s_waitcnt vmcnt(1)
	v_xor_b32_e32 v203, 0x7fffffff, v158
	v_lshrrev_b32_e32 v5, s93, v203
	v_and_b32_e32 v60, s94, v5
	v_mul_u32_u24_e32 v5, 5, v60
	v_add_lshl_u32 v5, v5, v150, 2
	; wave barrier
	v_add_u32_e32 v158, 0x410, v5
	ds_read_b32 v205, v5 offset:1040
	v_and_b32_e32 v5, 1, v60
	v_add_co_u32_e32 v61, vcc, -1, v5
	v_addc_co_u32_e64 v206, s[36:37], 0, -1, vcc
	v_cmp_ne_u32_e32 vcc, 0, v5
	v_xor_b32_e32 v5, vcc_hi, v206
	v_and_b32_e32 v206, exec_hi, v5
	v_lshlrev_b32_e32 v5, 30, v60
	v_xor_b32_e32 v61, vcc_lo, v61
	v_cmp_gt_i64_e32 vcc, 0, v[4:5]
	v_not_b32_e32 v5, v5
	v_ashrrev_i32_e32 v5, 31, v5
	v_and_b32_e32 v61, exec_lo, v61
	v_xor_b32_e32 v207, vcc_hi, v5
	v_xor_b32_e32 v5, vcc_lo, v5
	v_and_b32_e32 v61, v61, v5
	v_lshlrev_b32_e32 v5, 29, v60
	v_cmp_gt_i64_e32 vcc, 0, v[4:5]
	v_not_b32_e32 v5, v5
	v_ashrrev_i32_e32 v5, 31, v5
	v_and_b32_e32 v206, v206, v207
	v_xor_b32_e32 v207, vcc_hi, v5
	v_xor_b32_e32 v5, vcc_lo, v5
	v_and_b32_e32 v61, v61, v5
	v_lshlrev_b32_e32 v5, 28, v60
	v_cmp_gt_i64_e32 vcc, 0, v[4:5]
	v_not_b32_e32 v5, v5
	v_ashrrev_i32_e32 v5, 31, v5
	v_and_b32_e32 v206, v206, v207
	;; [unrolled: 8-line block ×5, first 2 shown]
	v_xor_b32_e32 v207, vcc_hi, v5
	v_xor_b32_e32 v5, vcc_lo, v5
	v_and_b32_e32 v206, v206, v207
	v_and_b32_e32 v207, v61, v5
	v_lshlrev_b32_e32 v5, 24, v60
	v_cmp_gt_i64_e32 vcc, 0, v[4:5]
	v_not_b32_e32 v5, v5
	v_ashrrev_i32_e32 v5, 31, v5
	v_xor_b32_e32 v60, vcc_hi, v5
	v_xor_b32_e32 v5, vcc_lo, v5
	v_and_b32_e32 v61, v206, v60
	v_and_b32_e32 v60, v207, v5
	v_mbcnt_lo_u32_b32 v5, v60, 0
	v_mbcnt_hi_u32_b32 v207, v61, v5
	v_cmp_eq_u32_e32 vcc, 0, v207
	v_cmp_ne_u64_e64 s[36:37], 0, v[60:61]
	s_and_b64 s[38:39], s[36:37], vcc
	; wave barrier
	s_and_saveexec_b64 s[36:37], s[38:39]
	s_cbranch_execz .LBB500_162
; %bb.161:                              ;   in Loop: Header=BB500_98 Depth=2
	v_bcnt_u32_b32 v5, v60, 0
	v_bcnt_u32_b32 v5, v61, v5
	s_waitcnt lgkmcnt(0)
	v_add_u32_e32 v5, v205, v5
	ds_write_b32 v158, v5
.LBB500_162:                            ;   in Loop: Header=BB500_98 Depth=2
	s_or_b64 exec, exec, s[36:37]
	s_waitcnt vmcnt(0)
	v_xor_b32_e32 v206, 0x7fffffff, v62
	v_lshrrev_b32_e32 v5, s93, v206
	v_and_b32_e32 v60, s94, v5
	v_mul_u32_u24_e32 v5, 5, v60
	v_add_lshl_u32 v5, v5, v150, 2
	; wave barrier
	v_add_u32_e32 v209, 0x410, v5
	ds_read_b32 v208, v5 offset:1040
	v_and_b32_e32 v5, 1, v60
	v_add_co_u32_e32 v61, vcc, -1, v5
	v_addc_co_u32_e64 v62, s[36:37], 0, -1, vcc
	v_cmp_ne_u32_e32 vcc, 0, v5
	v_xor_b32_e32 v5, vcc_hi, v62
	v_and_b32_e32 v62, exec_hi, v5
	v_lshlrev_b32_e32 v5, 30, v60
	v_xor_b32_e32 v61, vcc_lo, v61
	v_cmp_gt_i64_e32 vcc, 0, v[4:5]
	v_not_b32_e32 v5, v5
	v_ashrrev_i32_e32 v5, 31, v5
	v_and_b32_e32 v61, exec_lo, v61
	v_xor_b32_e32 v210, vcc_hi, v5
	v_xor_b32_e32 v5, vcc_lo, v5
	v_and_b32_e32 v61, v61, v5
	v_lshlrev_b32_e32 v5, 29, v60
	v_cmp_gt_i64_e32 vcc, 0, v[4:5]
	v_not_b32_e32 v5, v5
	v_ashrrev_i32_e32 v5, 31, v5
	v_and_b32_e32 v62, v62, v210
	v_xor_b32_e32 v210, vcc_hi, v5
	v_xor_b32_e32 v5, vcc_lo, v5
	v_and_b32_e32 v61, v61, v5
	v_lshlrev_b32_e32 v5, 28, v60
	v_cmp_gt_i64_e32 vcc, 0, v[4:5]
	v_not_b32_e32 v5, v5
	v_ashrrev_i32_e32 v5, 31, v5
	v_and_b32_e32 v62, v62, v210
	;; [unrolled: 8-line block ×5, first 2 shown]
	v_xor_b32_e32 v210, vcc_hi, v5
	v_xor_b32_e32 v5, vcc_lo, v5
	v_and_b32_e32 v62, v62, v210
	v_and_b32_e32 v210, v61, v5
	v_lshlrev_b32_e32 v5, 24, v60
	v_cmp_gt_i64_e32 vcc, 0, v[4:5]
	v_not_b32_e32 v5, v5
	v_ashrrev_i32_e32 v5, 31, v5
	v_xor_b32_e32 v60, vcc_hi, v5
	v_xor_b32_e32 v5, vcc_lo, v5
	v_and_b32_e32 v61, v62, v60
	v_and_b32_e32 v60, v210, v5
	v_mbcnt_lo_u32_b32 v5, v60, 0
	v_mbcnt_hi_u32_b32 v211, v61, v5
	v_cmp_eq_u32_e32 vcc, 0, v211
	v_cmp_ne_u64_e64 s[36:37], 0, v[60:61]
	s_and_b64 s[38:39], s[36:37], vcc
	; wave barrier
	s_and_saveexec_b64 s[36:37], s[38:39]
	s_cbranch_execz .LBB500_164
; %bb.163:                              ;   in Loop: Header=BB500_98 Depth=2
	v_bcnt_u32_b32 v5, v60, 0
	v_bcnt_u32_b32 v5, v61, v5
	s_waitcnt lgkmcnt(0)
	v_add_u32_e32 v5, v208, v5
	ds_write_b32 v209, v5
.LBB500_164:                            ;   in Loop: Header=BB500_98 Depth=2
	s_or_b64 exec, exec, s[36:37]
	v_xor_b32_e32 v210, 0x7fffffff, v63
	v_lshrrev_b32_e32 v5, s93, v210
	v_and_b32_e32 v60, s94, v5
	v_mul_u32_u24_e32 v5, 5, v60
	v_add_lshl_u32 v5, v5, v150, 2
	; wave barrier
	v_add_u32_e32 v213, 0x410, v5
	ds_read_b32 v212, v5 offset:1040
	v_and_b32_e32 v5, 1, v60
	v_add_co_u32_e32 v61, vcc, -1, v5
	v_addc_co_u32_e64 v62, s[36:37], 0, -1, vcc
	v_cmp_ne_u32_e32 vcc, 0, v5
	v_xor_b32_e32 v5, vcc_hi, v62
	v_and_b32_e32 v62, exec_hi, v5
	v_lshlrev_b32_e32 v5, 30, v60
	v_xor_b32_e32 v61, vcc_lo, v61
	v_cmp_gt_i64_e32 vcc, 0, v[4:5]
	v_not_b32_e32 v5, v5
	v_ashrrev_i32_e32 v5, 31, v5
	v_and_b32_e32 v61, exec_lo, v61
	v_xor_b32_e32 v63, vcc_hi, v5
	v_xor_b32_e32 v5, vcc_lo, v5
	v_and_b32_e32 v61, v61, v5
	v_lshlrev_b32_e32 v5, 29, v60
	v_cmp_gt_i64_e32 vcc, 0, v[4:5]
	v_not_b32_e32 v5, v5
	v_ashrrev_i32_e32 v5, 31, v5
	v_and_b32_e32 v62, v62, v63
	v_xor_b32_e32 v63, vcc_hi, v5
	v_xor_b32_e32 v5, vcc_lo, v5
	v_and_b32_e32 v61, v61, v5
	v_lshlrev_b32_e32 v5, 28, v60
	v_cmp_gt_i64_e32 vcc, 0, v[4:5]
	v_not_b32_e32 v5, v5
	v_ashrrev_i32_e32 v5, 31, v5
	v_and_b32_e32 v62, v62, v63
	;; [unrolled: 8-line block ×5, first 2 shown]
	v_xor_b32_e32 v63, vcc_hi, v5
	v_xor_b32_e32 v5, vcc_lo, v5
	v_and_b32_e32 v62, v62, v63
	v_and_b32_e32 v63, v61, v5
	v_lshlrev_b32_e32 v5, 24, v60
	v_cmp_gt_i64_e32 vcc, 0, v[4:5]
	v_not_b32_e32 v5, v5
	v_ashrrev_i32_e32 v5, 31, v5
	v_xor_b32_e32 v60, vcc_hi, v5
	v_xor_b32_e32 v5, vcc_lo, v5
	v_and_b32_e32 v61, v62, v60
	v_and_b32_e32 v60, v63, v5
	v_mbcnt_lo_u32_b32 v5, v60, 0
	v_mbcnt_hi_u32_b32 v214, v61, v5
	v_cmp_eq_u32_e32 vcc, 0, v214
	v_cmp_ne_u64_e64 s[36:37], 0, v[60:61]
	s_and_b64 s[38:39], s[36:37], vcc
	; wave barrier
	s_and_saveexec_b64 s[36:37], s[38:39]
	s_cbranch_execz .LBB500_166
; %bb.165:                              ;   in Loop: Header=BB500_98 Depth=2
	v_bcnt_u32_b32 v5, v60, 0
	v_bcnt_u32_b32 v5, v61, v5
	s_waitcnt lgkmcnt(0)
	v_add_u32_e32 v5, v212, v5
	ds_write_b32 v213, v5
.LBB500_166:                            ;   in Loop: Header=BB500_98 Depth=2
	s_or_b64 exec, exec, s[36:37]
	; wave barrier
	s_waitcnt lgkmcnt(0)
	s_barrier
	ds_read_b32 v5, v64 offset:1040
	ds_read2_b32 v[62:63], v66 offset0:1 offset1:2
	ds_read2_b32 v[60:61], v66 offset0:3 offset1:4
	s_waitcnt lgkmcnt(1)
	v_add3_u32 v215, v62, v5, v63
	s_waitcnt lgkmcnt(0)
	v_add3_u32 v61, v215, v60, v61
	s_nop 1
	v_mov_b32_dpp v215, v61 row_shr:1 row_mask:0xf bank_mask:0xf
	v_cndmask_b32_e64 v215, v215, 0, s[16:17]
	v_add_u32_e32 v61, v215, v61
	s_nop 1
	v_mov_b32_dpp v215, v61 row_shr:2 row_mask:0xf bank_mask:0xf
	v_cndmask_b32_e64 v215, 0, v215, s[18:19]
	v_add_u32_e32 v61, v61, v215
	;; [unrolled: 4-line block ×4, first 2 shown]
	s_nop 1
	v_mov_b32_dpp v215, v61 row_bcast:15 row_mask:0xf bank_mask:0xf
	v_cndmask_b32_e64 v215, v215, 0, s[24:25]
	v_add_u32_e32 v61, v61, v215
	s_nop 1
	v_mov_b32_dpp v215, v61 row_bcast:31 row_mask:0xf bank_mask:0xf
	v_cndmask_b32_e64 v215, 0, v215, s[26:27]
	v_add_u32_e32 v61, v61, v215
	s_and_saveexec_b64 s[36:37], s[6:7]
	s_cbranch_execz .LBB500_168
; %bb.167:                              ;   in Loop: Header=BB500_98 Depth=2
	ds_write_b32 v19, v61 offset:1024
.LBB500_168:                            ;   in Loop: Header=BB500_98 Depth=2
	s_or_b64 exec, exec, s[36:37]
	s_waitcnt lgkmcnt(0)
	s_barrier
	s_and_saveexec_b64 s[36:37], s[8:9]
	s_cbranch_execz .LBB500_170
; %bb.169:                              ;   in Loop: Header=BB500_98 Depth=2
	v_add_u32_e32 v215, v64, v67
	ds_read_b32 v216, v215 offset:1024
	s_waitcnt lgkmcnt(0)
	s_nop 0
	v_mov_b32_dpp v217, v216 row_shr:1 row_mask:0xf bank_mask:0xf
	v_cndmask_b32_e64 v217, v217, 0, s[30:31]
	v_add_u32_e32 v216, v217, v216
	s_nop 1
	v_mov_b32_dpp v217, v216 row_shr:2 row_mask:0xf bank_mask:0xf
	v_cndmask_b32_e64 v217, 0, v217, s[34:35]
	v_add_u32_e32 v216, v216, v217
	ds_write_b32 v215, v216 offset:1024
.LBB500_170:                            ;   in Loop: Header=BB500_98 Depth=2
	s_or_b64 exec, exec, s[36:37]
	v_mov_b32_e32 v215, 0
	s_waitcnt lgkmcnt(0)
	s_barrier
	s_and_saveexec_b64 s[36:37], s[10:11]
	s_cbranch_execz .LBB500_172
; %bb.171:                              ;   in Loop: Header=BB500_98 Depth=2
	ds_read_b32 v215, v19 offset:1020
.LBB500_172:                            ;   in Loop: Header=BB500_98 Depth=2
	s_or_b64 exec, exec, s[36:37]
	s_waitcnt lgkmcnt(0)
	v_add_u32_e32 v61, v215, v61
	ds_bpermute_b32 v61, v127, v61
	s_waitcnt lgkmcnt(0)
	v_cndmask_b32_e64 v61, v61, v215, s[28:29]
	v_cndmask_b32_e64 v61, v61, 0, s[12:13]
	v_add_u32_e32 v5, v61, v5
	ds_write_b32 v64, v61 offset:1040
	v_add_u32_e32 v61, v5, v62
	v_add_u32_e32 v62, v61, v63
	ds_write2_b32 v66, v5, v61 offset0:1 offset1:2
	v_add_u32_e32 v5, v62, v60
	ds_write2_b32 v66, v62, v5 offset0:3 offset1:4
	s_waitcnt lgkmcnt(0)
	s_barrier
	ds_read_b32 v60, v157
	ds_read_b32 v61, v162
	;; [unrolled: 1-line block ×16, first 2 shown]
	ds_read_b32 v158, v64 offset:1040
	v_mov_b32_e32 v5, 0x1000
	s_and_saveexec_b64 s[36:37], s[14:15]
	s_cbranch_execz .LBB500_174
; %bb.173:                              ;   in Loop: Header=BB500_98 Depth=2
	ds_read_b32 v5, v64 offset:1060
.LBB500_174:                            ;   in Loop: Header=BB500_98 Depth=2
	s_or_b64 exec, exec, s[36:37]
	s_waitcnt lgkmcnt(0)
	s_barrier
	s_and_saveexec_b64 s[36:37], s[4:5]
	s_cbranch_execz .LBB500_176
; %bb.175:                              ;   in Loop: Header=BB500_98 Depth=2
	ds_read_b32 v163, v3
	s_waitcnt lgkmcnt(0)
	v_sub_u32_e32 v158, v163, v158
	ds_write_b32 v3, v158
.LBB500_176:                            ;   in Loop: Header=BB500_98 Depth=2
	s_or_b64 exec, exec, s[36:37]
	v_add_u32_e32 v172, v153, v155
	v_add3_u32 v168, v160, v156, v60
	v_lshlrev_b32_e32 v60, 2, v172
	v_add3_u32 v167, v165, v161, v61
	ds_write_b32 v60, v152 offset:1024
	v_lshlrev_b32_e32 v60, 2, v168
	v_add3_u32 v166, v170, v166, v62
	ds_write_b32 v60, v154 offset:1024
	;; [unrolled: 3-line block ×14, first 2 shown]
	v_lshlrev_b32_e32 v60, 2, v63
	ds_write_b32 v60, v206 offset:1024
	v_lshlrev_b32_e32 v60, 2, v62
	v_cmp_lt_u32_e64 s[36:37], v2, v151
	ds_write_b32 v60, v210 offset:1024
	s_waitcnt lgkmcnt(0)
	s_barrier
	s_and_saveexec_b64 s[38:39], s[36:37]
	s_cbranch_execz .LBB500_192
; %bb.177:                              ;   in Loop: Header=BB500_98 Depth=2
	v_add_u32_e32 v60, v64, v67
	ds_read_b32 v60, v60 offset:1024
	v_mov_b32_e32 v154, s75
	s_waitcnt lgkmcnt(0)
	v_lshrrev_b32_e32 v61, s93, v60
	v_and_b32_e32 v61, s94, v61
	v_lshlrev_b32_e32 v61, 2, v61
	ds_read_b32 v152, v61
	v_mov_b32_e32 v61, v4
	v_xor_b32_e32 v159, 0x7fffffff, v60
	s_waitcnt lgkmcnt(0)
	v_add_u32_e32 v60, v152, v2
	v_lshlrev_b64 v[60:61], 2, v[60:61]
	v_add_co_u32_e32 v60, vcc, s74, v60
	v_addc_co_u32_e32 v61, vcc, v154, v61, vcc
	global_store_dword v[60:61], v159, off
	s_or_b64 exec, exec, s[38:39]
	v_cmp_lt_u32_e64 s[38:39], v7, v151
	s_and_saveexec_b64 s[40:41], s[38:39]
	s_cbranch_execnz .LBB500_193
.LBB500_178:                            ;   in Loop: Header=BB500_98 Depth=2
	s_or_b64 exec, exec, s[40:41]
	v_cmp_lt_u32_e64 s[40:41], v9, v151
	s_and_saveexec_b64 s[42:43], s[40:41]
	s_cbranch_execz .LBB500_194
.LBB500_179:                            ;   in Loop: Header=BB500_98 Depth=2
	ds_read_b32 v60, v72 offset:2048
	v_mov_b32_e32 v154, s75
	s_waitcnt lgkmcnt(0)
	v_lshrrev_b32_e32 v61, s93, v60
	v_and_b32_e32 v61, s94, v61
	v_lshlrev_b32_e32 v61, 2, v61
	ds_read_b32 v152, v61
	v_mov_b32_e32 v61, v4
	v_xor_b32_e32 v159, 0x7fffffff, v60
	s_waitcnt lgkmcnt(0)
	v_add_u32_e32 v60, v152, v9
	v_lshlrev_b64 v[60:61], 2, v[60:61]
	v_add_co_u32_e32 v60, vcc, s74, v60
	v_addc_co_u32_e32 v61, vcc, v154, v61, vcc
	global_store_dword v[60:61], v159, off
	s_or_b64 exec, exec, s[42:43]
	v_cmp_lt_u32_e64 s[42:43], v11, v151
	s_and_saveexec_b64 s[44:45], s[42:43]
	s_cbranch_execnz .LBB500_195
.LBB500_180:                            ;   in Loop: Header=BB500_98 Depth=2
	s_or_b64 exec, exec, s[44:45]
	v_cmp_lt_u32_e64 s[44:45], v6, v151
	s_and_saveexec_b64 s[46:47], s[44:45]
	s_cbranch_execz .LBB500_196
.LBB500_181:                            ;   in Loop: Header=BB500_98 Depth=2
	ds_read_b32 v60, v72 offset:4096
	v_mov_b32_e32 v154, s75
	s_waitcnt lgkmcnt(0)
	v_lshrrev_b32_e32 v61, s93, v60
	v_and_b32_e32 v61, s94, v61
	v_lshlrev_b32_e32 v61, 2, v61
	ds_read_b32 v152, v61
	v_mov_b32_e32 v61, v4
	v_xor_b32_e32 v159, 0x7fffffff, v60
	s_waitcnt lgkmcnt(0)
	v_add_u32_e32 v60, v152, v6
	v_lshlrev_b64 v[60:61], 2, v[60:61]
	v_add_co_u32_e32 v60, vcc, s74, v60
	v_addc_co_u32_e32 v61, vcc, v154, v61, vcc
	global_store_dword v[60:61], v159, off
	s_or_b64 exec, exec, s[46:47]
	v_cmp_lt_u32_e64 s[46:47], v8, v151
	s_and_saveexec_b64 s[48:49], s[46:47]
	s_cbranch_execnz .LBB500_197
.LBB500_182:                            ;   in Loop: Header=BB500_98 Depth=2
	s_or_b64 exec, exec, s[48:49]
	v_cmp_lt_u32_e64 s[48:49], v10, v151
	s_and_saveexec_b64 s[50:51], s[48:49]
	s_cbranch_execz .LBB500_198
.LBB500_183:                            ;   in Loop: Header=BB500_98 Depth=2
	ds_read_b32 v60, v72 offset:6144
	v_mov_b32_e32 v154, s75
	s_waitcnt lgkmcnt(0)
	v_lshrrev_b32_e32 v61, s93, v60
	v_and_b32_e32 v61, s94, v61
	v_lshlrev_b32_e32 v61, 2, v61
	ds_read_b32 v152, v61
	v_mov_b32_e32 v61, v4
	v_xor_b32_e32 v159, 0x7fffffff, v60
	s_waitcnt lgkmcnt(0)
	v_add_u32_e32 v60, v152, v10
	v_lshlrev_b64 v[60:61], 2, v[60:61]
	v_add_co_u32_e32 v60, vcc, s74, v60
	v_addc_co_u32_e32 v61, vcc, v154, v61, vcc
	global_store_dword v[60:61], v159, off
	s_or_b64 exec, exec, s[50:51]
	v_cmp_lt_u32_e64 s[50:51], v12, v151
	s_and_saveexec_b64 s[52:53], s[50:51]
	s_cbranch_execnz .LBB500_199
.LBB500_184:                            ;   in Loop: Header=BB500_98 Depth=2
	s_or_b64 exec, exec, s[52:53]
	v_cmp_lt_u32_e64 s[52:53], v14, v151
	s_and_saveexec_b64 s[54:55], s[52:53]
	s_cbranch_execz .LBB500_200
.LBB500_185:                            ;   in Loop: Header=BB500_98 Depth=2
	ds_read_b32 v60, v72 offset:8192
	v_mov_b32_e32 v154, s75
	s_waitcnt lgkmcnt(0)
	v_lshrrev_b32_e32 v61, s93, v60
	v_and_b32_e32 v61, s94, v61
	v_lshlrev_b32_e32 v61, 2, v61
	ds_read_b32 v152, v61
	v_mov_b32_e32 v61, v4
	v_xor_b32_e32 v159, 0x7fffffff, v60
	s_waitcnt lgkmcnt(0)
	v_add_u32_e32 v60, v152, v14
	v_lshlrev_b64 v[60:61], 2, v[60:61]
	v_add_co_u32_e32 v60, vcc, s74, v60
	v_addc_co_u32_e32 v61, vcc, v154, v61, vcc
	global_store_dword v[60:61], v159, off
	s_or_b64 exec, exec, s[54:55]
	v_cmp_lt_u32_e64 s[54:55], v16, v151
	s_and_saveexec_b64 s[56:57], s[54:55]
	s_cbranch_execnz .LBB500_201
.LBB500_186:                            ;   in Loop: Header=BB500_98 Depth=2
	s_or_b64 exec, exec, s[56:57]
	v_cmp_lt_u32_e64 s[56:57], v18, v151
	s_and_saveexec_b64 s[58:59], s[56:57]
	s_cbranch_execz .LBB500_202
.LBB500_187:                            ;   in Loop: Header=BB500_98 Depth=2
	ds_read_b32 v60, v72 offset:10240
	v_mov_b32_e32 v154, s75
	s_waitcnt lgkmcnt(0)
	v_lshrrev_b32_e32 v61, s93, v60
	v_and_b32_e32 v61, s94, v61
	v_lshlrev_b32_e32 v61, 2, v61
	ds_read_b32 v152, v61
	v_mov_b32_e32 v61, v4
	v_xor_b32_e32 v159, 0x7fffffff, v60
	s_waitcnt lgkmcnt(0)
	v_add_u32_e32 v60, v152, v18
	v_lshlrev_b64 v[60:61], 2, v[60:61]
	v_add_co_u32_e32 v60, vcc, s74, v60
	v_addc_co_u32_e32 v61, vcc, v154, v61, vcc
	global_store_dword v[60:61], v159, off
	s_or_b64 exec, exec, s[58:59]
	v_cmp_lt_u32_e64 s[58:59], v20, v151
	s_and_saveexec_b64 s[60:61], s[58:59]
	s_cbranch_execnz .LBB500_203
.LBB500_188:                            ;   in Loop: Header=BB500_98 Depth=2
	s_or_b64 exec, exec, s[60:61]
	v_cmp_lt_u32_e64 s[60:61], v22, v151
	s_and_saveexec_b64 s[62:63], s[60:61]
	s_cbranch_execz .LBB500_204
.LBB500_189:                            ;   in Loop: Header=BB500_98 Depth=2
	ds_read_b32 v60, v72 offset:12288
	v_mov_b32_e32 v154, s75
	s_waitcnt lgkmcnt(0)
	v_lshrrev_b32_e32 v61, s93, v60
	v_and_b32_e32 v61, s94, v61
	v_lshlrev_b32_e32 v61, 2, v61
	ds_read_b32 v152, v61
	v_mov_b32_e32 v61, v4
	v_xor_b32_e32 v159, 0x7fffffff, v60
	s_waitcnt lgkmcnt(0)
	v_add_u32_e32 v60, v152, v22
	v_lshlrev_b64 v[60:61], 2, v[60:61]
	v_add_co_u32_e32 v60, vcc, s74, v60
	v_addc_co_u32_e32 v61, vcc, v154, v61, vcc
	global_store_dword v[60:61], v159, off
	s_or_b64 exec, exec, s[62:63]
	v_cmp_lt_u32_e64 s[62:63], v24, v151
	s_and_saveexec_b64 s[64:65], s[62:63]
	s_cbranch_execnz .LBB500_205
.LBB500_190:                            ;   in Loop: Header=BB500_98 Depth=2
	s_or_b64 exec, exec, s[64:65]
	v_cmp_lt_u32_e64 s[64:65], v26, v151
	s_and_saveexec_b64 s[66:67], s[64:65]
	s_cbranch_execz .LBB500_206
.LBB500_191:                            ;   in Loop: Header=BB500_98 Depth=2
	ds_read_b32 v60, v72 offset:14336
	v_mov_b32_e32 v154, s75
	s_waitcnt lgkmcnt(0)
	v_lshrrev_b32_e32 v61, s93, v60
	v_and_b32_e32 v61, s94, v61
	v_lshlrev_b32_e32 v61, 2, v61
	ds_read_b32 v152, v61
	v_mov_b32_e32 v61, v4
	v_xor_b32_e32 v159, 0x7fffffff, v60
	s_waitcnt lgkmcnt(0)
	v_add_u32_e32 v60, v152, v26
	v_lshlrev_b64 v[60:61], 2, v[60:61]
	v_add_co_u32_e32 v60, vcc, s74, v60
	v_addc_co_u32_e32 v61, vcc, v154, v61, vcc
	global_store_dword v[60:61], v159, off
	s_or_b64 exec, exec, s[66:67]
	v_cmp_lt_u32_e64 s[66:67], v28, v151
	s_and_saveexec_b64 s[78:79], s[66:67]
	s_cbranch_execnz .LBB500_207
	s_branch .LBB500_208
.LBB500_192:                            ;   in Loop: Header=BB500_98 Depth=2
	s_or_b64 exec, exec, s[38:39]
	v_cmp_lt_u32_e64 s[38:39], v7, v151
	s_and_saveexec_b64 s[40:41], s[38:39]
	s_cbranch_execz .LBB500_178
.LBB500_193:                            ;   in Loop: Header=BB500_98 Depth=2
	ds_read_b32 v60, v72 offset:1024
	v_mov_b32_e32 v154, s75
	s_waitcnt lgkmcnt(0)
	v_lshrrev_b32_e32 v61, s93, v60
	v_and_b32_e32 v61, s94, v61
	v_lshlrev_b32_e32 v61, 2, v61
	ds_read_b32 v152, v61
	v_mov_b32_e32 v61, v4
	v_xor_b32_e32 v159, 0x7fffffff, v60
	s_waitcnt lgkmcnt(0)
	v_add_u32_e32 v60, v152, v7
	v_lshlrev_b64 v[60:61], 2, v[60:61]
	v_add_co_u32_e32 v60, vcc, s74, v60
	v_addc_co_u32_e32 v61, vcc, v154, v61, vcc
	global_store_dword v[60:61], v159, off
	s_or_b64 exec, exec, s[40:41]
	v_cmp_lt_u32_e64 s[40:41], v9, v151
	s_and_saveexec_b64 s[42:43], s[40:41]
	s_cbranch_execnz .LBB500_179
.LBB500_194:                            ;   in Loop: Header=BB500_98 Depth=2
	s_or_b64 exec, exec, s[42:43]
	v_cmp_lt_u32_e64 s[42:43], v11, v151
	s_and_saveexec_b64 s[44:45], s[42:43]
	s_cbranch_execz .LBB500_180
.LBB500_195:                            ;   in Loop: Header=BB500_98 Depth=2
	ds_read_b32 v60, v72 offset:3072
	v_mov_b32_e32 v154, s75
	s_waitcnt lgkmcnt(0)
	v_lshrrev_b32_e32 v61, s93, v60
	v_and_b32_e32 v61, s94, v61
	v_lshlrev_b32_e32 v61, 2, v61
	ds_read_b32 v152, v61
	v_mov_b32_e32 v61, v4
	v_xor_b32_e32 v159, 0x7fffffff, v60
	s_waitcnt lgkmcnt(0)
	v_add_u32_e32 v60, v152, v11
	v_lshlrev_b64 v[60:61], 2, v[60:61]
	v_add_co_u32_e32 v60, vcc, s74, v60
	v_addc_co_u32_e32 v61, vcc, v154, v61, vcc
	global_store_dword v[60:61], v159, off
	s_or_b64 exec, exec, s[44:45]
	v_cmp_lt_u32_e64 s[44:45], v6, v151
	s_and_saveexec_b64 s[46:47], s[44:45]
	s_cbranch_execnz .LBB500_181
.LBB500_196:                            ;   in Loop: Header=BB500_98 Depth=2
	s_or_b64 exec, exec, s[46:47]
	v_cmp_lt_u32_e64 s[46:47], v8, v151
	s_and_saveexec_b64 s[48:49], s[46:47]
	s_cbranch_execz .LBB500_182
.LBB500_197:                            ;   in Loop: Header=BB500_98 Depth=2
	ds_read_b32 v60, v72 offset:5120
	v_mov_b32_e32 v154, s75
	s_waitcnt lgkmcnt(0)
	v_lshrrev_b32_e32 v61, s93, v60
	v_and_b32_e32 v61, s94, v61
	v_lshlrev_b32_e32 v61, 2, v61
	ds_read_b32 v152, v61
	v_mov_b32_e32 v61, v4
	v_xor_b32_e32 v159, 0x7fffffff, v60
	s_waitcnt lgkmcnt(0)
	v_add_u32_e32 v60, v152, v8
	v_lshlrev_b64 v[60:61], 2, v[60:61]
	v_add_co_u32_e32 v60, vcc, s74, v60
	v_addc_co_u32_e32 v61, vcc, v154, v61, vcc
	global_store_dword v[60:61], v159, off
	s_or_b64 exec, exec, s[48:49]
	v_cmp_lt_u32_e64 s[48:49], v10, v151
	s_and_saveexec_b64 s[50:51], s[48:49]
	s_cbranch_execnz .LBB500_183
.LBB500_198:                            ;   in Loop: Header=BB500_98 Depth=2
	s_or_b64 exec, exec, s[50:51]
	v_cmp_lt_u32_e64 s[50:51], v12, v151
	s_and_saveexec_b64 s[52:53], s[50:51]
	s_cbranch_execz .LBB500_184
.LBB500_199:                            ;   in Loop: Header=BB500_98 Depth=2
	ds_read_b32 v60, v72 offset:7168
	v_mov_b32_e32 v154, s75
	s_waitcnt lgkmcnt(0)
	v_lshrrev_b32_e32 v61, s93, v60
	v_and_b32_e32 v61, s94, v61
	v_lshlrev_b32_e32 v61, 2, v61
	ds_read_b32 v152, v61
	v_mov_b32_e32 v61, v4
	v_xor_b32_e32 v159, 0x7fffffff, v60
	s_waitcnt lgkmcnt(0)
	v_add_u32_e32 v60, v152, v12
	v_lshlrev_b64 v[60:61], 2, v[60:61]
	v_add_co_u32_e32 v60, vcc, s74, v60
	v_addc_co_u32_e32 v61, vcc, v154, v61, vcc
	global_store_dword v[60:61], v159, off
	s_or_b64 exec, exec, s[52:53]
	v_cmp_lt_u32_e64 s[52:53], v14, v151
	s_and_saveexec_b64 s[54:55], s[52:53]
	s_cbranch_execnz .LBB500_185
.LBB500_200:                            ;   in Loop: Header=BB500_98 Depth=2
	s_or_b64 exec, exec, s[54:55]
	v_cmp_lt_u32_e64 s[54:55], v16, v151
	s_and_saveexec_b64 s[56:57], s[54:55]
	s_cbranch_execz .LBB500_186
.LBB500_201:                            ;   in Loop: Header=BB500_98 Depth=2
	ds_read_b32 v60, v72 offset:9216
	v_mov_b32_e32 v154, s75
	s_waitcnt lgkmcnt(0)
	v_lshrrev_b32_e32 v61, s93, v60
	v_and_b32_e32 v61, s94, v61
	v_lshlrev_b32_e32 v61, 2, v61
	ds_read_b32 v152, v61
	v_mov_b32_e32 v61, v4
	v_xor_b32_e32 v159, 0x7fffffff, v60
	s_waitcnt lgkmcnt(0)
	v_add_u32_e32 v60, v152, v16
	v_lshlrev_b64 v[60:61], 2, v[60:61]
	v_add_co_u32_e32 v60, vcc, s74, v60
	v_addc_co_u32_e32 v61, vcc, v154, v61, vcc
	global_store_dword v[60:61], v159, off
	s_or_b64 exec, exec, s[56:57]
	v_cmp_lt_u32_e64 s[56:57], v18, v151
	s_and_saveexec_b64 s[58:59], s[56:57]
	s_cbranch_execnz .LBB500_187
.LBB500_202:                            ;   in Loop: Header=BB500_98 Depth=2
	s_or_b64 exec, exec, s[58:59]
	v_cmp_lt_u32_e64 s[58:59], v20, v151
	s_and_saveexec_b64 s[60:61], s[58:59]
	s_cbranch_execz .LBB500_188
.LBB500_203:                            ;   in Loop: Header=BB500_98 Depth=2
	ds_read_b32 v60, v72 offset:11264
	v_mov_b32_e32 v154, s75
	s_waitcnt lgkmcnt(0)
	v_lshrrev_b32_e32 v61, s93, v60
	v_and_b32_e32 v61, s94, v61
	v_lshlrev_b32_e32 v61, 2, v61
	ds_read_b32 v152, v61
	v_mov_b32_e32 v61, v4
	v_xor_b32_e32 v159, 0x7fffffff, v60
	s_waitcnt lgkmcnt(0)
	v_add_u32_e32 v60, v152, v20
	v_lshlrev_b64 v[60:61], 2, v[60:61]
	v_add_co_u32_e32 v60, vcc, s74, v60
	v_addc_co_u32_e32 v61, vcc, v154, v61, vcc
	global_store_dword v[60:61], v159, off
	s_or_b64 exec, exec, s[60:61]
	v_cmp_lt_u32_e64 s[60:61], v22, v151
	s_and_saveexec_b64 s[62:63], s[60:61]
	s_cbranch_execnz .LBB500_189
.LBB500_204:                            ;   in Loop: Header=BB500_98 Depth=2
	s_or_b64 exec, exec, s[62:63]
	v_cmp_lt_u32_e64 s[62:63], v24, v151
	s_and_saveexec_b64 s[64:65], s[62:63]
	s_cbranch_execz .LBB500_190
.LBB500_205:                            ;   in Loop: Header=BB500_98 Depth=2
	ds_read_b32 v60, v72 offset:13312
	v_mov_b32_e32 v154, s75
	s_waitcnt lgkmcnt(0)
	v_lshrrev_b32_e32 v61, s93, v60
	v_and_b32_e32 v61, s94, v61
	v_lshlrev_b32_e32 v61, 2, v61
	ds_read_b32 v152, v61
	v_mov_b32_e32 v61, v4
	v_xor_b32_e32 v159, 0x7fffffff, v60
	s_waitcnt lgkmcnt(0)
	v_add_u32_e32 v60, v152, v24
	v_lshlrev_b64 v[60:61], 2, v[60:61]
	v_add_co_u32_e32 v60, vcc, s74, v60
	v_addc_co_u32_e32 v61, vcc, v154, v61, vcc
	global_store_dword v[60:61], v159, off
	s_or_b64 exec, exec, s[64:65]
	v_cmp_lt_u32_e64 s[64:65], v26, v151
	s_and_saveexec_b64 s[66:67], s[64:65]
	s_cbranch_execnz .LBB500_191
.LBB500_206:                            ;   in Loop: Header=BB500_98 Depth=2
	s_or_b64 exec, exec, s[66:67]
	v_cmp_lt_u32_e64 s[66:67], v28, v151
	s_and_saveexec_b64 s[78:79], s[66:67]
	s_cbranch_execz .LBB500_208
.LBB500_207:                            ;   in Loop: Header=BB500_98 Depth=2
	ds_read_b32 v60, v72 offset:15360
	v_mov_b32_e32 v154, s75
	s_waitcnt lgkmcnt(0)
	v_lshrrev_b32_e32 v61, s93, v60
	v_and_b32_e32 v61, s94, v61
	v_lshlrev_b32_e32 v61, 2, v61
	ds_read_b32 v152, v61
	v_mov_b32_e32 v61, v4
	v_xor_b32_e32 v159, 0x7fffffff, v60
	s_waitcnt lgkmcnt(0)
	v_add_u32_e32 v60, v152, v28
	v_lshlrev_b64 v[60:61], 2, v[60:61]
	v_add_co_u32_e32 v60, vcc, s74, v60
	v_addc_co_u32_e32 v61, vcc, v154, v61, vcc
	global_store_dword v[60:61], v159, off
.LBB500_208:                            ;   in Loop: Header=BB500_98 Depth=2
	s_or_b64 exec, exec, s[78:79]
	s_lshl_b64 s[78:79], s[88:89], 3
	v_mov_b32_e32 v61, s79
	v_add_co_u32_e32 v60, vcc, s78, v128
	v_addc_co_u32_e32 v61, vcc, v129, v61, vcc
	v_cmp_lt_u32_e32 vcc, v109, v151
	s_and_saveexec_b64 s[78:79], vcc
	s_xor_b64 s[78:79], exec, s[78:79]
	s_cbranch_execz .LBB500_240
; %bb.209:                              ;   in Loop: Header=BB500_98 Depth=2
	global_load_dwordx2 v[58:59], v[60:61], off
	s_or_b64 exec, exec, s[78:79]
	v_cmp_lt_u32_e32 vcc, v110, v151
	s_and_saveexec_b64 s[78:79], vcc
	s_cbranch_execnz .LBB500_241
.LBB500_210:                            ;   in Loop: Header=BB500_98 Depth=2
	s_or_b64 exec, exec, s[78:79]
	v_cmp_lt_u32_e32 vcc, v111, v151
	s_and_saveexec_b64 s[78:79], vcc
	s_cbranch_execz .LBB500_242
.LBB500_211:                            ;   in Loop: Header=BB500_98 Depth=2
	global_load_dwordx2 v[54:55], v[60:61], off offset:1024
	s_or_b64 exec, exec, s[78:79]
	v_cmp_lt_u32_e32 vcc, v112, v151
	s_and_saveexec_b64 s[78:79], vcc
	s_cbranch_execnz .LBB500_243
.LBB500_212:                            ;   in Loop: Header=BB500_98 Depth=2
	s_or_b64 exec, exec, s[78:79]
	v_cmp_lt_u32_e32 vcc, v113, v151
	s_and_saveexec_b64 s[78:79], vcc
	s_cbranch_execz .LBB500_244
.LBB500_213:                            ;   in Loop: Header=BB500_98 Depth=2
	global_load_dwordx2 v[46:47], v[60:61], off offset:2048
	s_or_b64 exec, exec, s[78:79]
	v_cmp_lt_u32_e32 vcc, v114, v151
	s_and_saveexec_b64 s[78:79], vcc
	s_cbranch_execnz .LBB500_245
.LBB500_214:                            ;   in Loop: Header=BB500_98 Depth=2
	s_or_b64 exec, exec, s[78:79]
	v_cmp_lt_u32_e32 vcc, v115, v151
	s_and_saveexec_b64 s[78:79], vcc
	s_cbranch_execz .LBB500_246
.LBB500_215:                            ;   in Loop: Header=BB500_98 Depth=2
	global_load_dwordx2 v[38:39], v[60:61], off offset:3072
	s_or_b64 exec, exec, s[78:79]
	v_cmp_lt_u32_e32 vcc, v116, v151
	s_and_saveexec_b64 s[78:79], vcc
	s_cbranch_execnz .LBB500_247
.LBB500_216:                            ;   in Loop: Header=BB500_98 Depth=2
	s_or_b64 exec, exec, s[78:79]
	v_cmp_lt_u32_e32 vcc, v117, v151
	s_and_saveexec_b64 s[78:79], vcc
	s_cbranch_execz .LBB500_248
.LBB500_217:                            ;   in Loop: Header=BB500_98 Depth=2
	v_add_co_u32_e32 v52, vcc, 0x1000, v60
	v_addc_co_u32_e32 v53, vcc, 0, v61, vcc
	global_load_dwordx2 v[52:53], v[52:53], off
	s_or_b64 exec, exec, s[78:79]
	v_cmp_lt_u32_e32 vcc, v118, v151
	s_and_saveexec_b64 s[78:79], vcc
	s_cbranch_execnz .LBB500_249
.LBB500_218:                            ;   in Loop: Header=BB500_98 Depth=2
	s_or_b64 exec, exec, s[78:79]
	v_cmp_lt_u32_e32 vcc, v119, v151
	s_and_saveexec_b64 s[78:79], vcc
	s_cbranch_execz .LBB500_250
.LBB500_219:                            ;   in Loop: Header=BB500_98 Depth=2
	v_add_co_u32_e32 v44, vcc, 0x1000, v60
	v_addc_co_u32_e32 v45, vcc, 0, v61, vcc
	global_load_dwordx2 v[44:45], v[44:45], off offset:1024
	s_or_b64 exec, exec, s[78:79]
	v_cmp_lt_u32_e32 vcc, v120, v151
	s_and_saveexec_b64 s[78:79], vcc
	s_cbranch_execnz .LBB500_251
.LBB500_220:                            ;   in Loop: Header=BB500_98 Depth=2
	s_or_b64 exec, exec, s[78:79]
	v_cmp_lt_u32_e32 vcc, v121, v151
	s_and_saveexec_b64 s[78:79], vcc
	s_cbranch_execz .LBB500_252
.LBB500_221:                            ;   in Loop: Header=BB500_98 Depth=2
	v_add_co_u32_e32 v36, vcc, 0x1000, v60
	v_addc_co_u32_e32 v37, vcc, 0, v61, vcc
	global_load_dwordx2 v[36:37], v[36:37], off offset:2048
	s_or_b64 exec, exec, s[78:79]
	v_cmp_lt_u32_e32 vcc, v122, v151
	s_and_saveexec_b64 s[78:79], vcc
	s_cbranch_execnz .LBB500_253
.LBB500_222:                            ;   in Loop: Header=BB500_98 Depth=2
	s_or_b64 exec, exec, s[78:79]
	v_cmp_lt_u32_e32 vcc, v123, v151
	s_and_saveexec_b64 s[78:79], vcc
	s_cbranch_execz .LBB500_254
.LBB500_223:                            ;   in Loop: Header=BB500_98 Depth=2
	v_add_co_u32_e32 v30, vcc, 0x1000, v60
	v_addc_co_u32_e32 v31, vcc, 0, v61, vcc
	global_load_dwordx2 v[30:31], v[30:31], off offset:3072
	s_or_b64 exec, exec, s[78:79]
	v_cmp_lt_u32_e32 vcc, v124, v151
	s_and_saveexec_b64 s[78:79], vcc
	s_cbranch_execnz .LBB500_255
.LBB500_224:                            ;   in Loop: Header=BB500_98 Depth=2
	s_or_b64 exec, exec, s[78:79]
	s_and_saveexec_b64 s[78:79], s[36:37]
	s_cbranch_execz .LBB500_256
.LBB500_225:                            ;   in Loop: Header=BB500_98 Depth=2
	v_add_u32_e32 v60, v64, v67
	ds_read_b32 v60, v60 offset:1024
	s_waitcnt lgkmcnt(0)
	v_lshrrev_b32_e32 v60, s93, v60
	v_and_b32_e32 v149, s94, v60
	s_or_b64 exec, exec, s[78:79]
	s_and_saveexec_b64 s[78:79], s[38:39]
	s_cbranch_execnz .LBB500_257
.LBB500_226:                            ;   in Loop: Header=BB500_98 Depth=2
	s_or_b64 exec, exec, s[78:79]
	s_and_saveexec_b64 s[78:79], s[40:41]
	s_cbranch_execz .LBB500_258
.LBB500_227:                            ;   in Loop: Header=BB500_98 Depth=2
	ds_read_b32 v60, v72 offset:2048
	s_waitcnt lgkmcnt(0)
	v_lshrrev_b32_e32 v60, s93, v60
	v_and_b32_e32 v146, s94, v60
	s_or_b64 exec, exec, s[78:79]
	s_and_saveexec_b64 s[78:79], s[42:43]
	s_cbranch_execnz .LBB500_259
.LBB500_228:                            ;   in Loop: Header=BB500_98 Depth=2
	s_or_b64 exec, exec, s[78:79]
	s_and_saveexec_b64 s[78:79], s[44:45]
	s_cbranch_execz .LBB500_260
.LBB500_229:                            ;   in Loop: Header=BB500_98 Depth=2
	ds_read_b32 v60, v72 offset:4096
	s_waitcnt lgkmcnt(0)
	v_lshrrev_b32_e32 v60, s93, v60
	v_and_b32_e32 v143, s94, v60
	s_or_b64 exec, exec, s[78:79]
	s_and_saveexec_b64 s[78:79], s[46:47]
	s_cbranch_execnz .LBB500_261
.LBB500_230:                            ;   in Loop: Header=BB500_98 Depth=2
	s_or_b64 exec, exec, s[78:79]
	s_and_saveexec_b64 s[78:79], s[48:49]
	s_cbranch_execz .LBB500_262
.LBB500_231:                            ;   in Loop: Header=BB500_98 Depth=2
	ds_read_b32 v60, v72 offset:6144
	s_waitcnt lgkmcnt(0)
	v_lshrrev_b32_e32 v60, s93, v60
	v_and_b32_e32 v141, s94, v60
	s_or_b64 exec, exec, s[78:79]
	s_and_saveexec_b64 s[78:79], s[50:51]
	s_cbranch_execnz .LBB500_263
.LBB500_232:                            ;   in Loop: Header=BB500_98 Depth=2
	s_or_b64 exec, exec, s[78:79]
	s_and_saveexec_b64 s[78:79], s[52:53]
	s_cbranch_execz .LBB500_264
.LBB500_233:                            ;   in Loop: Header=BB500_98 Depth=2
	ds_read_b32 v60, v72 offset:8192
	s_waitcnt lgkmcnt(0)
	v_lshrrev_b32_e32 v60, s93, v60
	v_and_b32_e32 v139, s94, v60
	s_or_b64 exec, exec, s[78:79]
	s_and_saveexec_b64 s[78:79], s[54:55]
	s_cbranch_execnz .LBB500_265
.LBB500_234:                            ;   in Loop: Header=BB500_98 Depth=2
	s_or_b64 exec, exec, s[78:79]
	s_and_saveexec_b64 s[78:79], s[56:57]
	s_cbranch_execz .LBB500_266
.LBB500_235:                            ;   in Loop: Header=BB500_98 Depth=2
	ds_read_b32 v60, v72 offset:10240
	s_waitcnt lgkmcnt(0)
	v_lshrrev_b32_e32 v60, s93, v60
	v_and_b32_e32 v137, s94, v60
	s_or_b64 exec, exec, s[78:79]
	s_and_saveexec_b64 s[78:79], s[58:59]
	s_cbranch_execnz .LBB500_267
.LBB500_236:                            ;   in Loop: Header=BB500_98 Depth=2
	s_or_b64 exec, exec, s[78:79]
	s_and_saveexec_b64 s[78:79], s[60:61]
	s_cbranch_execz .LBB500_268
.LBB500_237:                            ;   in Loop: Header=BB500_98 Depth=2
	ds_read_b32 v60, v72 offset:12288
	s_waitcnt lgkmcnt(0)
	v_lshrrev_b32_e32 v60, s93, v60
	v_and_b32_e32 v135, s94, v60
	s_or_b64 exec, exec, s[78:79]
	s_and_saveexec_b64 s[78:79], s[62:63]
	s_cbranch_execnz .LBB500_269
.LBB500_238:                            ;   in Loop: Header=BB500_98 Depth=2
	s_or_b64 exec, exec, s[78:79]
	s_and_saveexec_b64 s[78:79], s[64:65]
	s_cbranch_execz .LBB500_270
.LBB500_239:                            ;   in Loop: Header=BB500_98 Depth=2
	ds_read_b32 v60, v72 offset:14336
	s_waitcnt lgkmcnt(0)
	v_lshrrev_b32_e32 v60, s93, v60
	v_and_b32_e32 v133, s94, v60
	s_or_b64 exec, exec, s[78:79]
	s_and_saveexec_b64 s[78:79], s[66:67]
	s_cbranch_execnz .LBB500_271
	s_branch .LBB500_272
.LBB500_240:                            ;   in Loop: Header=BB500_98 Depth=2
	s_or_b64 exec, exec, s[78:79]
	v_cmp_lt_u32_e32 vcc, v110, v151
	s_and_saveexec_b64 s[78:79], vcc
	s_cbranch_execz .LBB500_210
.LBB500_241:                            ;   in Loop: Header=BB500_98 Depth=2
	global_load_dwordx2 v[56:57], v[60:61], off offset:512
	s_or_b64 exec, exec, s[78:79]
	v_cmp_lt_u32_e32 vcc, v111, v151
	s_and_saveexec_b64 s[78:79], vcc
	s_cbranch_execnz .LBB500_211
.LBB500_242:                            ;   in Loop: Header=BB500_98 Depth=2
	s_or_b64 exec, exec, s[78:79]
	v_cmp_lt_u32_e32 vcc, v112, v151
	s_and_saveexec_b64 s[78:79], vcc
	s_cbranch_execz .LBB500_212
.LBB500_243:                            ;   in Loop: Header=BB500_98 Depth=2
	global_load_dwordx2 v[50:51], v[60:61], off offset:1536
	s_or_b64 exec, exec, s[78:79]
	v_cmp_lt_u32_e32 vcc, v113, v151
	s_and_saveexec_b64 s[78:79], vcc
	s_cbranch_execnz .LBB500_213
.LBB500_244:                            ;   in Loop: Header=BB500_98 Depth=2
	s_or_b64 exec, exec, s[78:79]
	v_cmp_lt_u32_e32 vcc, v114, v151
	s_and_saveexec_b64 s[78:79], vcc
	s_cbranch_execz .LBB500_214
.LBB500_245:                            ;   in Loop: Header=BB500_98 Depth=2
	global_load_dwordx2 v[42:43], v[60:61], off offset:2560
	s_or_b64 exec, exec, s[78:79]
	v_cmp_lt_u32_e32 vcc, v115, v151
	s_and_saveexec_b64 s[78:79], vcc
	s_cbranch_execnz .LBB500_215
.LBB500_246:                            ;   in Loop: Header=BB500_98 Depth=2
	s_or_b64 exec, exec, s[78:79]
	v_cmp_lt_u32_e32 vcc, v116, v151
	s_and_saveexec_b64 s[78:79], vcc
	s_cbranch_execz .LBB500_216
.LBB500_247:                            ;   in Loop: Header=BB500_98 Depth=2
	global_load_dwordx2 v[34:35], v[60:61], off offset:3584
	s_or_b64 exec, exec, s[78:79]
	v_cmp_lt_u32_e32 vcc, v117, v151
	s_and_saveexec_b64 s[78:79], vcc
	s_cbranch_execnz .LBB500_217
.LBB500_248:                            ;   in Loop: Header=BB500_98 Depth=2
	s_or_b64 exec, exec, s[78:79]
	v_cmp_lt_u32_e32 vcc, v118, v151
	s_and_saveexec_b64 s[78:79], vcc
	s_cbranch_execz .LBB500_218
.LBB500_249:                            ;   in Loop: Header=BB500_98 Depth=2
	v_add_co_u32_e32 v48, vcc, 0x1000, v60
	v_addc_co_u32_e32 v49, vcc, 0, v61, vcc
	global_load_dwordx2 v[48:49], v[48:49], off offset:512
	s_or_b64 exec, exec, s[78:79]
	v_cmp_lt_u32_e32 vcc, v119, v151
	s_and_saveexec_b64 s[78:79], vcc
	s_cbranch_execnz .LBB500_219
.LBB500_250:                            ;   in Loop: Header=BB500_98 Depth=2
	s_or_b64 exec, exec, s[78:79]
	v_cmp_lt_u32_e32 vcc, v120, v151
	s_and_saveexec_b64 s[78:79], vcc
	s_cbranch_execz .LBB500_220
.LBB500_251:                            ;   in Loop: Header=BB500_98 Depth=2
	v_add_co_u32_e32 v40, vcc, 0x1000, v60
	v_addc_co_u32_e32 v41, vcc, 0, v61, vcc
	global_load_dwordx2 v[40:41], v[40:41], off offset:1536
	s_or_b64 exec, exec, s[78:79]
	v_cmp_lt_u32_e32 vcc, v121, v151
	s_and_saveexec_b64 s[78:79], vcc
	s_cbranch_execnz .LBB500_221
.LBB500_252:                            ;   in Loop: Header=BB500_98 Depth=2
	s_or_b64 exec, exec, s[78:79]
	v_cmp_lt_u32_e32 vcc, v122, v151
	s_and_saveexec_b64 s[78:79], vcc
	s_cbranch_execz .LBB500_222
.LBB500_253:                            ;   in Loop: Header=BB500_98 Depth=2
	v_add_co_u32_e32 v32, vcc, 0x1000, v60
	v_addc_co_u32_e32 v33, vcc, 0, v61, vcc
	global_load_dwordx2 v[32:33], v[32:33], off offset:2560
	s_or_b64 exec, exec, s[78:79]
	v_cmp_lt_u32_e32 vcc, v123, v151
	s_and_saveexec_b64 s[78:79], vcc
	s_cbranch_execnz .LBB500_223
.LBB500_254:                            ;   in Loop: Header=BB500_98 Depth=2
	s_or_b64 exec, exec, s[78:79]
	v_cmp_lt_u32_e32 vcc, v124, v151
	s_and_saveexec_b64 s[78:79], vcc
	s_cbranch_execz .LBB500_224
.LBB500_255:                            ;   in Loop: Header=BB500_98 Depth=2
	v_add_co_u32_e32 v0, vcc, 0x1000, v60
	v_addc_co_u32_e32 v1, vcc, 0, v61, vcc
	global_load_dwordx2 v[0:1], v[0:1], off offset:3584
	s_or_b64 exec, exec, s[78:79]
	s_and_saveexec_b64 s[78:79], s[36:37]
	s_cbranch_execnz .LBB500_225
.LBB500_256:                            ;   in Loop: Header=BB500_98 Depth=2
	s_or_b64 exec, exec, s[78:79]
	s_and_saveexec_b64 s[78:79], s[38:39]
	s_cbranch_execz .LBB500_226
.LBB500_257:                            ;   in Loop: Header=BB500_98 Depth=2
	ds_read_b32 v60, v72 offset:1024
	s_waitcnt lgkmcnt(0)
	v_lshrrev_b32_e32 v60, s93, v60
	v_and_b32_e32 v147, s94, v60
	s_or_b64 exec, exec, s[78:79]
	s_and_saveexec_b64 s[78:79], s[40:41]
	s_cbranch_execnz .LBB500_227
.LBB500_258:                            ;   in Loop: Header=BB500_98 Depth=2
	s_or_b64 exec, exec, s[78:79]
	s_and_saveexec_b64 s[78:79], s[42:43]
	s_cbranch_execz .LBB500_228
.LBB500_259:                            ;   in Loop: Header=BB500_98 Depth=2
	ds_read_b32 v60, v72 offset:3072
	s_waitcnt lgkmcnt(0)
	v_lshrrev_b32_e32 v60, s93, v60
	v_and_b32_e32 v144, s94, v60
	s_or_b64 exec, exec, s[78:79]
	s_and_saveexec_b64 s[78:79], s[44:45]
	s_cbranch_execnz .LBB500_229
.LBB500_260:                            ;   in Loop: Header=BB500_98 Depth=2
	s_or_b64 exec, exec, s[78:79]
	s_and_saveexec_b64 s[78:79], s[46:47]
	s_cbranch_execz .LBB500_230
.LBB500_261:                            ;   in Loop: Header=BB500_98 Depth=2
	ds_read_b32 v60, v72 offset:5120
	s_waitcnt lgkmcnt(0)
	v_lshrrev_b32_e32 v60, s93, v60
	v_and_b32_e32 v142, s94, v60
	s_or_b64 exec, exec, s[78:79]
	s_and_saveexec_b64 s[78:79], s[48:49]
	s_cbranch_execnz .LBB500_231
.LBB500_262:                            ;   in Loop: Header=BB500_98 Depth=2
	s_or_b64 exec, exec, s[78:79]
	s_and_saveexec_b64 s[78:79], s[50:51]
	s_cbranch_execz .LBB500_232
.LBB500_263:                            ;   in Loop: Header=BB500_98 Depth=2
	ds_read_b32 v60, v72 offset:7168
	s_waitcnt lgkmcnt(0)
	v_lshrrev_b32_e32 v60, s93, v60
	v_and_b32_e32 v140, s94, v60
	s_or_b64 exec, exec, s[78:79]
	s_and_saveexec_b64 s[78:79], s[52:53]
	s_cbranch_execnz .LBB500_233
.LBB500_264:                            ;   in Loop: Header=BB500_98 Depth=2
	s_or_b64 exec, exec, s[78:79]
	s_and_saveexec_b64 s[78:79], s[54:55]
	s_cbranch_execz .LBB500_234
.LBB500_265:                            ;   in Loop: Header=BB500_98 Depth=2
	ds_read_b32 v60, v72 offset:9216
	s_waitcnt lgkmcnt(0)
	v_lshrrev_b32_e32 v60, s93, v60
	v_and_b32_e32 v138, s94, v60
	s_or_b64 exec, exec, s[78:79]
	s_and_saveexec_b64 s[78:79], s[56:57]
	s_cbranch_execnz .LBB500_235
.LBB500_266:                            ;   in Loop: Header=BB500_98 Depth=2
	s_or_b64 exec, exec, s[78:79]
	s_and_saveexec_b64 s[78:79], s[58:59]
	s_cbranch_execz .LBB500_236
.LBB500_267:                            ;   in Loop: Header=BB500_98 Depth=2
	ds_read_b32 v60, v72 offset:11264
	s_waitcnt lgkmcnt(0)
	v_lshrrev_b32_e32 v60, s93, v60
	v_and_b32_e32 v136, s94, v60
	s_or_b64 exec, exec, s[78:79]
	s_and_saveexec_b64 s[78:79], s[60:61]
	s_cbranch_execnz .LBB500_237
.LBB500_268:                            ;   in Loop: Header=BB500_98 Depth=2
	s_or_b64 exec, exec, s[78:79]
	s_and_saveexec_b64 s[78:79], s[62:63]
	s_cbranch_execz .LBB500_238
.LBB500_269:                            ;   in Loop: Header=BB500_98 Depth=2
	ds_read_b32 v60, v72 offset:13312
	s_waitcnt lgkmcnt(0)
	v_lshrrev_b32_e32 v60, s93, v60
	v_and_b32_e32 v134, s94, v60
	s_or_b64 exec, exec, s[78:79]
	s_and_saveexec_b64 s[78:79], s[64:65]
	s_cbranch_execnz .LBB500_239
.LBB500_270:                            ;   in Loop: Header=BB500_98 Depth=2
	s_or_b64 exec, exec, s[78:79]
	s_and_saveexec_b64 s[78:79], s[66:67]
	s_cbranch_execz .LBB500_272
.LBB500_271:                            ;   in Loop: Header=BB500_98 Depth=2
	ds_read_b32 v60, v72 offset:15360
	s_waitcnt lgkmcnt(0)
	v_lshrrev_b32_e32 v60, s93, v60
	v_and_b32_e32 v132, s94, v60
.LBB500_272:                            ;   in Loop: Header=BB500_98 Depth=2
	s_or_b64 exec, exec, s[78:79]
	v_lshlrev_b32_e32 v60, 3, v172
	s_barrier
	s_waitcnt vmcnt(0)
	ds_write_b64 v60, v[58:59] offset:1024
	v_lshlrev_b32_e32 v60, 3, v168
	ds_write_b64 v60, v[56:57] offset:1024
	v_lshlrev_b32_e32 v60, 3, v167
	;; [unrolled: 2-line block ×15, first 2 shown]
	ds_write_b64 v60, v[0:1] offset:1024
	s_waitcnt lgkmcnt(0)
	s_barrier
	s_and_saveexec_b64 s[78:79], s[36:37]
	s_cbranch_execz .LBB500_288
; %bb.273:                              ;   in Loop: Header=BB500_98 Depth=2
	v_lshlrev_b32_e32 v60, 2, v149
	ds_read_b32 v62, v60
	ds_read_b64 v[60:61], v73 offset:1024
	v_mov_b32_e32 v63, v4
	v_mov_b32_e32 v151, s81
	s_waitcnt lgkmcnt(1)
	v_add_u32_e32 v62, v62, v2
	v_lshlrev_b64 v[62:63], 3, v[62:63]
	v_add_co_u32_e32 v62, vcc, s80, v62
	v_addc_co_u32_e32 v63, vcc, v151, v63, vcc
	s_waitcnt lgkmcnt(0)
	global_store_dwordx2 v[62:63], v[60:61], off
	s_or_b64 exec, exec, s[78:79]
	s_and_saveexec_b64 s[36:37], s[38:39]
	s_cbranch_execnz .LBB500_289
.LBB500_274:                            ;   in Loop: Header=BB500_98 Depth=2
	s_or_b64 exec, exec, s[36:37]
	s_and_saveexec_b64 s[36:37], s[40:41]
	s_cbranch_execz .LBB500_290
.LBB500_275:                            ;   in Loop: Header=BB500_98 Depth=2
	v_lshlrev_b32_e32 v60, 2, v146
	ds_read_b32 v62, v60
	v_add_u32_e32 v60, v72, v3
	ds_read_b64 v[60:61], v60 offset:4096
	v_mov_b32_e32 v63, v4
	v_mov_b32_e32 v151, s81
	s_waitcnt lgkmcnt(1)
	v_add_u32_e32 v62, v62, v9
	v_lshlrev_b64 v[62:63], 3, v[62:63]
	v_add_co_u32_e32 v62, vcc, s80, v62
	v_addc_co_u32_e32 v63, vcc, v151, v63, vcc
	s_waitcnt lgkmcnt(0)
	global_store_dwordx2 v[62:63], v[60:61], off
	s_or_b64 exec, exec, s[36:37]
	s_and_saveexec_b64 s[36:37], s[42:43]
	s_cbranch_execnz .LBB500_291
.LBB500_276:                            ;   in Loop: Header=BB500_98 Depth=2
	s_or_b64 exec, exec, s[36:37]
	s_and_saveexec_b64 s[36:37], s[44:45]
	s_cbranch_execz .LBB500_292
.LBB500_277:                            ;   in Loop: Header=BB500_98 Depth=2
	v_lshlrev_b32_e32 v60, 2, v143
	ds_read_b32 v62, v60
	v_add_u32_e32 v60, v72, v3
	ds_read_b64 v[60:61], v60 offset:8192
	v_mov_b32_e32 v63, v4
	v_mov_b32_e32 v151, s81
	s_waitcnt lgkmcnt(1)
	v_add_u32_e32 v62, v62, v6
	v_lshlrev_b64 v[62:63], 3, v[62:63]
	v_add_co_u32_e32 v62, vcc, s80, v62
	v_addc_co_u32_e32 v63, vcc, v151, v63, vcc
	s_waitcnt lgkmcnt(0)
	global_store_dwordx2 v[62:63], v[60:61], off
	s_or_b64 exec, exec, s[36:37]
	s_and_saveexec_b64 s[36:37], s[46:47]
	s_cbranch_execnz .LBB500_293
.LBB500_278:                            ;   in Loop: Header=BB500_98 Depth=2
	s_or_b64 exec, exec, s[36:37]
	s_and_saveexec_b64 s[36:37], s[48:49]
	s_cbranch_execz .LBB500_294
.LBB500_279:                            ;   in Loop: Header=BB500_98 Depth=2
	v_lshlrev_b32_e32 v60, 2, v141
	ds_read_b32 v62, v60
	v_add_u32_e32 v60, v72, v3
	ds_read_b64 v[60:61], v60 offset:12288
	v_mov_b32_e32 v63, v4
	v_mov_b32_e32 v151, s81
	s_waitcnt lgkmcnt(1)
	v_add_u32_e32 v62, v62, v10
	v_lshlrev_b64 v[62:63], 3, v[62:63]
	v_add_co_u32_e32 v62, vcc, s80, v62
	v_addc_co_u32_e32 v63, vcc, v151, v63, vcc
	s_waitcnt lgkmcnt(0)
	global_store_dwordx2 v[62:63], v[60:61], off
	s_or_b64 exec, exec, s[36:37]
	s_and_saveexec_b64 s[36:37], s[50:51]
	s_cbranch_execnz .LBB500_295
.LBB500_280:                            ;   in Loop: Header=BB500_98 Depth=2
	s_or_b64 exec, exec, s[36:37]
	s_and_saveexec_b64 s[36:37], s[52:53]
	s_cbranch_execz .LBB500_296
.LBB500_281:                            ;   in Loop: Header=BB500_98 Depth=2
	v_lshlrev_b32_e32 v60, 2, v139
	ds_read_b32 v62, v60
	v_add_u32_e32 v60, v72, v3
	ds_read_b64 v[60:61], v60 offset:16384
	v_mov_b32_e32 v63, v4
	v_mov_b32_e32 v151, s81
	s_waitcnt lgkmcnt(1)
	v_add_u32_e32 v62, v62, v14
	v_lshlrev_b64 v[62:63], 3, v[62:63]
	v_add_co_u32_e32 v62, vcc, s80, v62
	v_addc_co_u32_e32 v63, vcc, v151, v63, vcc
	s_waitcnt lgkmcnt(0)
	global_store_dwordx2 v[62:63], v[60:61], off
	s_or_b64 exec, exec, s[36:37]
	s_and_saveexec_b64 s[36:37], s[54:55]
	s_cbranch_execnz .LBB500_297
.LBB500_282:                            ;   in Loop: Header=BB500_98 Depth=2
	s_or_b64 exec, exec, s[36:37]
	s_and_saveexec_b64 s[36:37], s[56:57]
	s_cbranch_execz .LBB500_298
.LBB500_283:                            ;   in Loop: Header=BB500_98 Depth=2
	v_lshlrev_b32_e32 v60, 2, v137
	ds_read_b32 v62, v60
	v_add_u32_e32 v60, v72, v3
	ds_read_b64 v[60:61], v60 offset:20480
	v_mov_b32_e32 v63, v4
	v_mov_b32_e32 v151, s81
	s_waitcnt lgkmcnt(1)
	v_add_u32_e32 v62, v62, v18
	v_lshlrev_b64 v[62:63], 3, v[62:63]
	v_add_co_u32_e32 v62, vcc, s80, v62
	v_addc_co_u32_e32 v63, vcc, v151, v63, vcc
	s_waitcnt lgkmcnt(0)
	global_store_dwordx2 v[62:63], v[60:61], off
	s_or_b64 exec, exec, s[36:37]
	s_and_saveexec_b64 s[36:37], s[58:59]
	s_cbranch_execnz .LBB500_299
.LBB500_284:                            ;   in Loop: Header=BB500_98 Depth=2
	s_or_b64 exec, exec, s[36:37]
	s_and_saveexec_b64 s[36:37], s[60:61]
	s_cbranch_execz .LBB500_300
.LBB500_285:                            ;   in Loop: Header=BB500_98 Depth=2
	v_lshlrev_b32_e32 v60, 2, v135
	ds_read_b32 v62, v60
	v_add_u32_e32 v60, v72, v3
	ds_read_b64 v[60:61], v60 offset:24576
	v_mov_b32_e32 v63, v4
	v_mov_b32_e32 v151, s81
	s_waitcnt lgkmcnt(1)
	v_add_u32_e32 v62, v62, v22
	v_lshlrev_b64 v[62:63], 3, v[62:63]
	v_add_co_u32_e32 v62, vcc, s80, v62
	v_addc_co_u32_e32 v63, vcc, v151, v63, vcc
	s_waitcnt lgkmcnt(0)
	global_store_dwordx2 v[62:63], v[60:61], off
	s_or_b64 exec, exec, s[36:37]
	s_and_saveexec_b64 s[36:37], s[62:63]
	s_cbranch_execnz .LBB500_301
.LBB500_286:                            ;   in Loop: Header=BB500_98 Depth=2
	s_or_b64 exec, exec, s[36:37]
	s_and_saveexec_b64 s[36:37], s[64:65]
	s_cbranch_execz .LBB500_302
.LBB500_287:                            ;   in Loop: Header=BB500_98 Depth=2
	v_lshlrev_b32_e32 v60, 2, v133
	ds_read_b32 v62, v60
	v_add_u32_e32 v60, v72, v3
	ds_read_b64 v[60:61], v60 offset:28672
	v_mov_b32_e32 v63, v4
	v_mov_b32_e32 v151, s81
	s_waitcnt lgkmcnt(1)
	v_add_u32_e32 v62, v62, v26
	v_lshlrev_b64 v[62:63], 3, v[62:63]
	v_add_co_u32_e32 v62, vcc, s80, v62
	v_addc_co_u32_e32 v63, vcc, v151, v63, vcc
	s_waitcnt lgkmcnt(0)
	global_store_dwordx2 v[62:63], v[60:61], off
	s_or_b64 exec, exec, s[36:37]
	s_and_saveexec_b64 s[36:37], s[66:67]
	s_cbranch_execnz .LBB500_303
	s_branch .LBB500_304
.LBB500_288:                            ;   in Loop: Header=BB500_98 Depth=2
	s_or_b64 exec, exec, s[78:79]
	s_and_saveexec_b64 s[36:37], s[38:39]
	s_cbranch_execz .LBB500_274
.LBB500_289:                            ;   in Loop: Header=BB500_98 Depth=2
	v_lshlrev_b32_e32 v60, 2, v147
	ds_read_b32 v62, v60
	v_add_u32_e32 v60, v72, v3
	ds_read_b64 v[60:61], v60 offset:2048
	v_mov_b32_e32 v63, v4
	v_mov_b32_e32 v151, s81
	s_waitcnt lgkmcnt(1)
	v_add_u32_e32 v62, v62, v7
	v_lshlrev_b64 v[62:63], 3, v[62:63]
	v_add_co_u32_e32 v62, vcc, s80, v62
	v_addc_co_u32_e32 v63, vcc, v151, v63, vcc
	s_waitcnt lgkmcnt(0)
	global_store_dwordx2 v[62:63], v[60:61], off
	s_or_b64 exec, exec, s[36:37]
	s_and_saveexec_b64 s[36:37], s[40:41]
	s_cbranch_execnz .LBB500_275
.LBB500_290:                            ;   in Loop: Header=BB500_98 Depth=2
	s_or_b64 exec, exec, s[36:37]
	s_and_saveexec_b64 s[36:37], s[42:43]
	s_cbranch_execz .LBB500_276
.LBB500_291:                            ;   in Loop: Header=BB500_98 Depth=2
	v_lshlrev_b32_e32 v60, 2, v144
	ds_read_b32 v62, v60
	v_add_u32_e32 v60, v72, v3
	ds_read_b64 v[60:61], v60 offset:6144
	v_mov_b32_e32 v63, v4
	v_mov_b32_e32 v151, s81
	s_waitcnt lgkmcnt(1)
	v_add_u32_e32 v62, v62, v11
	v_lshlrev_b64 v[62:63], 3, v[62:63]
	v_add_co_u32_e32 v62, vcc, s80, v62
	v_addc_co_u32_e32 v63, vcc, v151, v63, vcc
	s_waitcnt lgkmcnt(0)
	global_store_dwordx2 v[62:63], v[60:61], off
	s_or_b64 exec, exec, s[36:37]
	s_and_saveexec_b64 s[36:37], s[44:45]
	s_cbranch_execnz .LBB500_277
.LBB500_292:                            ;   in Loop: Header=BB500_98 Depth=2
	s_or_b64 exec, exec, s[36:37]
	s_and_saveexec_b64 s[36:37], s[46:47]
	s_cbranch_execz .LBB500_278
.LBB500_293:                            ;   in Loop: Header=BB500_98 Depth=2
	v_lshlrev_b32_e32 v60, 2, v142
	ds_read_b32 v62, v60
	v_add_u32_e32 v60, v72, v3
	ds_read_b64 v[60:61], v60 offset:10240
	v_mov_b32_e32 v63, v4
	v_mov_b32_e32 v151, s81
	s_waitcnt lgkmcnt(1)
	v_add_u32_e32 v62, v62, v8
	v_lshlrev_b64 v[62:63], 3, v[62:63]
	v_add_co_u32_e32 v62, vcc, s80, v62
	v_addc_co_u32_e32 v63, vcc, v151, v63, vcc
	s_waitcnt lgkmcnt(0)
	global_store_dwordx2 v[62:63], v[60:61], off
	s_or_b64 exec, exec, s[36:37]
	s_and_saveexec_b64 s[36:37], s[48:49]
	s_cbranch_execnz .LBB500_279
.LBB500_294:                            ;   in Loop: Header=BB500_98 Depth=2
	s_or_b64 exec, exec, s[36:37]
	s_and_saveexec_b64 s[36:37], s[50:51]
	s_cbranch_execz .LBB500_280
.LBB500_295:                            ;   in Loop: Header=BB500_98 Depth=2
	v_lshlrev_b32_e32 v60, 2, v140
	ds_read_b32 v62, v60
	v_add_u32_e32 v60, v72, v3
	ds_read_b64 v[60:61], v60 offset:14336
	v_mov_b32_e32 v63, v4
	v_mov_b32_e32 v151, s81
	s_waitcnt lgkmcnt(1)
	v_add_u32_e32 v62, v62, v12
	v_lshlrev_b64 v[62:63], 3, v[62:63]
	v_add_co_u32_e32 v62, vcc, s80, v62
	v_addc_co_u32_e32 v63, vcc, v151, v63, vcc
	s_waitcnt lgkmcnt(0)
	global_store_dwordx2 v[62:63], v[60:61], off
	s_or_b64 exec, exec, s[36:37]
	s_and_saveexec_b64 s[36:37], s[52:53]
	s_cbranch_execnz .LBB500_281
.LBB500_296:                            ;   in Loop: Header=BB500_98 Depth=2
	s_or_b64 exec, exec, s[36:37]
	s_and_saveexec_b64 s[36:37], s[54:55]
	s_cbranch_execz .LBB500_282
.LBB500_297:                            ;   in Loop: Header=BB500_98 Depth=2
	v_lshlrev_b32_e32 v60, 2, v138
	ds_read_b32 v62, v60
	v_add_u32_e32 v60, v72, v3
	ds_read_b64 v[60:61], v60 offset:18432
	v_mov_b32_e32 v63, v4
	v_mov_b32_e32 v151, s81
	s_waitcnt lgkmcnt(1)
	v_add_u32_e32 v62, v62, v16
	v_lshlrev_b64 v[62:63], 3, v[62:63]
	v_add_co_u32_e32 v62, vcc, s80, v62
	v_addc_co_u32_e32 v63, vcc, v151, v63, vcc
	s_waitcnt lgkmcnt(0)
	global_store_dwordx2 v[62:63], v[60:61], off
	s_or_b64 exec, exec, s[36:37]
	s_and_saveexec_b64 s[36:37], s[56:57]
	s_cbranch_execnz .LBB500_283
.LBB500_298:                            ;   in Loop: Header=BB500_98 Depth=2
	s_or_b64 exec, exec, s[36:37]
	s_and_saveexec_b64 s[36:37], s[58:59]
	s_cbranch_execz .LBB500_284
.LBB500_299:                            ;   in Loop: Header=BB500_98 Depth=2
	v_lshlrev_b32_e32 v60, 2, v136
	ds_read_b32 v62, v60
	v_add_u32_e32 v60, v72, v3
	ds_read_b64 v[60:61], v60 offset:22528
	v_mov_b32_e32 v63, v4
	v_mov_b32_e32 v151, s81
	s_waitcnt lgkmcnt(1)
	v_add_u32_e32 v62, v62, v20
	v_lshlrev_b64 v[62:63], 3, v[62:63]
	v_add_co_u32_e32 v62, vcc, s80, v62
	v_addc_co_u32_e32 v63, vcc, v151, v63, vcc
	s_waitcnt lgkmcnt(0)
	global_store_dwordx2 v[62:63], v[60:61], off
	s_or_b64 exec, exec, s[36:37]
	s_and_saveexec_b64 s[36:37], s[60:61]
	s_cbranch_execnz .LBB500_285
.LBB500_300:                            ;   in Loop: Header=BB500_98 Depth=2
	s_or_b64 exec, exec, s[36:37]
	s_and_saveexec_b64 s[36:37], s[62:63]
	s_cbranch_execz .LBB500_286
.LBB500_301:                            ;   in Loop: Header=BB500_98 Depth=2
	v_lshlrev_b32_e32 v60, 2, v134
	ds_read_b32 v62, v60
	v_add_u32_e32 v60, v72, v3
	ds_read_b64 v[60:61], v60 offset:26624
	v_mov_b32_e32 v63, v4
	v_mov_b32_e32 v151, s81
	s_waitcnt lgkmcnt(1)
	v_add_u32_e32 v62, v62, v24
	v_lshlrev_b64 v[62:63], 3, v[62:63]
	v_add_co_u32_e32 v62, vcc, s80, v62
	v_addc_co_u32_e32 v63, vcc, v151, v63, vcc
	s_waitcnt lgkmcnt(0)
	global_store_dwordx2 v[62:63], v[60:61], off
	s_or_b64 exec, exec, s[36:37]
	s_and_saveexec_b64 s[36:37], s[64:65]
	s_cbranch_execnz .LBB500_287
.LBB500_302:                            ;   in Loop: Header=BB500_98 Depth=2
	s_or_b64 exec, exec, s[36:37]
	s_and_saveexec_b64 s[36:37], s[66:67]
	s_cbranch_execz .LBB500_304
.LBB500_303:                            ;   in Loop: Header=BB500_98 Depth=2
	v_lshlrev_b32_e32 v60, 2, v132
	ds_read_b32 v62, v60
	v_add_u32_e32 v60, v72, v3
	ds_read_b64 v[60:61], v60 offset:30720
	v_mov_b32_e32 v63, v4
	v_mov_b32_e32 v151, s81
	s_waitcnt lgkmcnt(1)
	v_add_u32_e32 v62, v62, v28
	v_lshlrev_b64 v[62:63], 3, v[62:63]
	v_add_co_u32_e32 v62, vcc, s80, v62
	v_addc_co_u32_e32 v63, vcc, v151, v63, vcc
	s_waitcnt lgkmcnt(0)
	global_store_dwordx2 v[62:63], v[60:61], off
.LBB500_304:                            ;   in Loop: Header=BB500_98 Depth=2
	s_or_b64 exec, exec, s[36:37]
	s_barrier
	s_and_saveexec_b64 s[36:37], s[4:5]
	s_cbranch_execz .LBB500_97
; %bb.305:                              ;   in Loop: Header=BB500_98 Depth=2
	ds_read_b32 v60, v3
	s_waitcnt lgkmcnt(0)
	v_add_u32_e32 v5, v60, v5
	ds_write_b32 v3, v5
	s_branch .LBB500_97
.LBB500_306:                            ;   in Loop: Header=BB500_12 Depth=1
	s_waitcnt lgkmcnt(0)
	s_barrier
	s_mov_b64 s[16:17], 0
.LBB500_307:                            ;   in Loop: Header=BB500_12 Depth=1
	s_and_b64 vcc, exec, s[16:17]
	s_cbranch_vccz .LBB500_601
; %bb.308:                              ;   in Loop: Header=BB500_12 Depth=1
	s_mov_b32 s22, s87
	s_mov_b32 s88, s69
	s_barrier
	s_waitcnt lgkmcnt(0)
                                        ; implicit-def: $vgpr44
                                        ; implicit-def: $vgpr5
                                        ; implicit-def: $vgpr30
                                        ; implicit-def: $vgpr31
                                        ; implicit-def: $vgpr32
                                        ; implicit-def: $vgpr33
                                        ; implicit-def: $vgpr34
                                        ; implicit-def: $vgpr35
                                        ; implicit-def: $vgpr36
                                        ; implicit-def: $vgpr37
                                        ; implicit-def: $vgpr38
                                        ; implicit-def: $vgpr39
                                        ; implicit-def: $vgpr40
                                        ; implicit-def: $vgpr41
                                        ; implicit-def: $vgpr42
                                        ; implicit-def: $vgpr43
	s_branch .LBB500_310
.LBB500_309:                            ;   in Loop: Header=BB500_310 Depth=2
	s_or_b64 exec, exec, s[16:17]
	s_addk_i32 s22, 0xf000
	s_cmp_ge_u32 s23, s92
	s_mov_b32 s88, s23
	s_cbranch_scc1 .LBB500_380
.LBB500_310:                            ;   Parent Loop BB500_12 Depth=1
                                        ; =>  This Inner Loop Header: Depth=2
	s_add_i32 s23, s88, 0x1000
	s_cmp_gt_u32 s23, s92
	s_cbranch_scc1 .LBB500_313
; %bb.311:                              ;   in Loop: Header=BB500_310 Depth=2
	s_lshl_b64 s[16:17], s[88:89], 2
	v_mov_b32_e32 v1, s17
	v_add_co_u32_e32 v0, vcc, s16, v74
	v_addc_co_u32_e32 v1, vcc, v75, v1, vcc
	s_waitcnt vmcnt(6)
	v_add_co_u32_e32 v54, vcc, 0x1000, v0
	s_waitcnt vmcnt(5)
	v_addc_co_u32_e32 v55, vcc, 0, v1, vcc
	v_add_co_u32_e32 v62, vcc, s84, v0
	v_addc_co_u32_e32 v63, vcc, 0, v1, vcc
	global_load_dword v46, v[0:1], off
	global_load_dword v47, v[0:1], off offset:1024
	global_load_dword v48, v[0:1], off offset:2048
	;; [unrolled: 1-line block ×3, first 2 shown]
	global_load_dword v50, v[54:55], off
	global_load_dword v51, v[54:55], off offset:1024
	global_load_dword v52, v[54:55], off offset:2048
	;; [unrolled: 1-line block ×3, first 2 shown]
	v_add_co_u32_e32 v128, vcc, 0x3000, v0
	v_addc_co_u32_e32 v129, vcc, 0, v1, vcc
	global_load_dword v54, v[62:63], off
	global_load_dword v55, v[62:63], off offset:1024
	global_load_dword v56, v[62:63], off offset:2048
	;; [unrolled: 1-line block ×3, first 2 shown]
	global_load_dword v58, v[128:129], off
	global_load_dword v59, v[128:129], off offset:1024
	global_load_dword v60, v[128:129], off offset:2048
	v_add_co_u32_e32 v0, vcc, 0x3c00, v0
	s_movk_i32 s24, 0x1000
	v_addc_co_u32_e32 v1, vcc, 0, v1, vcc
	s_mov_b64 s[16:17], -1
	s_cbranch_execz .LBB500_314
; %bb.312:                              ;   in Loop: Header=BB500_310 Depth=2
                                        ; implicit-def: $vgpr43
                                        ; implicit-def: $vgpr42
                                        ; implicit-def: $vgpr41
                                        ; implicit-def: $vgpr40
                                        ; implicit-def: $vgpr39
                                        ; implicit-def: $vgpr38
                                        ; implicit-def: $vgpr37
                                        ; implicit-def: $vgpr36
                                        ; implicit-def: $vgpr35
                                        ; implicit-def: $vgpr34
                                        ; implicit-def: $vgpr33
                                        ; implicit-def: $vgpr32
                                        ; implicit-def: $vgpr31
                                        ; implicit-def: $vgpr30
                                        ; implicit-def: $vgpr5
                                        ; implicit-def: $vgpr44
	v_mov_b32_e32 v45, s22
	s_and_saveexec_b64 s[18:19], s[16:17]
	s_cbranch_execnz .LBB500_333
	s_branch .LBB500_334
.LBB500_313:                            ;   in Loop: Header=BB500_310 Depth=2
	s_mov_b64 s[16:17], 0
                                        ; implicit-def: $sgpr24
                                        ; implicit-def: $vgpr46
                                        ; implicit-def: $vgpr47
                                        ; implicit-def: $vgpr48
                                        ; implicit-def: $vgpr49
                                        ; implicit-def: $vgpr50
                                        ; implicit-def: $vgpr51
                                        ; implicit-def: $vgpr52
                                        ; implicit-def: $vgpr53
                                        ; implicit-def: $vgpr54
                                        ; implicit-def: $vgpr55
                                        ; implicit-def: $vgpr56
                                        ; implicit-def: $vgpr57
                                        ; implicit-def: $vgpr58
                                        ; implicit-def: $vgpr59
                                        ; implicit-def: $vgpr60
                                        ; implicit-def: $vgpr0_vgpr1
.LBB500_314:                            ;   in Loop: Header=BB500_310 Depth=2
	s_lshl_b64 s[18:19], s[88:89], 2
	s_add_u32 s18, s74, s18
	s_addc_u32 s19, s75, s19
	v_cmp_gt_u32_e32 vcc, s22, v2
	s_and_saveexec_b64 s[20:21], vcc
	s_cbranch_execz .LBB500_366
; %bb.315:                              ;   in Loop: Header=BB500_310 Depth=2
	global_load_dword v43, v88, s[18:19]
	s_or_b64 exec, exec, s[20:21]
	v_cmp_gt_u32_e32 vcc, s22, v7
	s_and_saveexec_b64 s[20:21], vcc
	s_cbranch_execnz .LBB500_367
.LBB500_316:                            ;   in Loop: Header=BB500_310 Depth=2
	s_or_b64 exec, exec, s[20:21]
	v_cmp_gt_u32_e32 vcc, s22, v9
	s_and_saveexec_b64 s[20:21], vcc
	s_cbranch_execz .LBB500_368
.LBB500_317:                            ;   in Loop: Header=BB500_310 Depth=2
	global_load_dword v41, v88, s[18:19] offset:2048
	s_or_b64 exec, exec, s[20:21]
	v_cmp_gt_u32_e32 vcc, s22, v11
	s_and_saveexec_b64 s[20:21], vcc
	s_cbranch_execnz .LBB500_369
.LBB500_318:                            ;   in Loop: Header=BB500_310 Depth=2
	s_or_b64 exec, exec, s[20:21]
	v_cmp_gt_u32_e32 vcc, s22, v6
	s_and_saveexec_b64 s[20:21], vcc
	s_cbranch_execz .LBB500_370
.LBB500_319:                            ;   in Loop: Header=BB500_310 Depth=2
	global_load_dword v39, v89, s[18:19]
	s_or_b64 exec, exec, s[20:21]
	v_cmp_gt_u32_e32 vcc, s22, v8
	s_and_saveexec_b64 s[20:21], vcc
	s_cbranch_execnz .LBB500_371
.LBB500_320:                            ;   in Loop: Header=BB500_310 Depth=2
	s_or_b64 exec, exec, s[20:21]
	v_cmp_gt_u32_e32 vcc, s22, v10
	s_and_saveexec_b64 s[20:21], vcc
	s_cbranch_execz .LBB500_372
.LBB500_321:                            ;   in Loop: Header=BB500_310 Depth=2
	global_load_dword v37, v91, s[18:19]
	s_or_b64 exec, exec, s[20:21]
	v_cmp_gt_u32_e32 vcc, s22, v12
	s_and_saveexec_b64 s[20:21], vcc
	s_cbranch_execnz .LBB500_373
.LBB500_322:                            ;   in Loop: Header=BB500_310 Depth=2
	s_or_b64 exec, exec, s[20:21]
	v_cmp_gt_u32_e32 vcc, s22, v14
	s_and_saveexec_b64 s[20:21], vcc
	s_cbranch_execz .LBB500_374
.LBB500_323:                            ;   in Loop: Header=BB500_310 Depth=2
	global_load_dword v35, v93, s[18:19]
	s_or_b64 exec, exec, s[20:21]
	v_cmp_gt_u32_e32 vcc, s22, v16
	s_and_saveexec_b64 s[20:21], vcc
	s_cbranch_execnz .LBB500_375
.LBB500_324:                            ;   in Loop: Header=BB500_310 Depth=2
	s_or_b64 exec, exec, s[20:21]
	v_cmp_gt_u32_e32 vcc, s22, v18
	s_and_saveexec_b64 s[20:21], vcc
	s_cbranch_execz .LBB500_376
.LBB500_325:                            ;   in Loop: Header=BB500_310 Depth=2
	global_load_dword v33, v95, s[18:19]
	s_or_b64 exec, exec, s[20:21]
	v_cmp_gt_u32_e32 vcc, s22, v20
	s_and_saveexec_b64 s[20:21], vcc
	s_cbranch_execnz .LBB500_377
.LBB500_326:                            ;   in Loop: Header=BB500_310 Depth=2
	s_or_b64 exec, exec, s[20:21]
	v_cmp_gt_u32_e32 vcc, s22, v22
	s_and_saveexec_b64 s[20:21], vcc
	s_cbranch_execz .LBB500_378
.LBB500_327:                            ;   in Loop: Header=BB500_310 Depth=2
	global_load_dword v31, v97, s[18:19]
	s_or_b64 exec, exec, s[20:21]
	v_cmp_gt_u32_e32 vcc, s22, v24
	s_and_saveexec_b64 s[20:21], vcc
	s_cbranch_execnz .LBB500_379
.LBB500_328:                            ;   in Loop: Header=BB500_310 Depth=2
	s_or_b64 exec, exec, s[20:21]
	v_cmp_gt_u32_e32 vcc, s22, v26
	s_and_saveexec_b64 s[20:21], vcc
	s_cbranch_execz .LBB500_330
.LBB500_329:                            ;   in Loop: Header=BB500_310 Depth=2
	global_load_dword v5, v99, s[18:19]
.LBB500_330:                            ;   in Loop: Header=BB500_310 Depth=2
	s_or_b64 exec, exec, s[20:21]
	v_cmp_gt_u32_e32 vcc, s22, v28
                                        ; implicit-def: $sgpr24
                                        ; implicit-def: $vgpr0_vgpr1
	s_and_saveexec_b64 s[20:21], vcc
; %bb.331:                              ;   in Loop: Header=BB500_310 Depth=2
	v_mov_b32_e32 v1, s19
	v_add_co_u32_e32 v0, vcc, s18, v100
	s_sub_i32 s24, s92, s88
	v_addc_co_u32_e32 v1, vcc, 0, v1, vcc
	s_or_b64 s[16:17], s[16:17], exec
                                        ; implicit-def: $vgpr44
; %bb.332:                              ;   in Loop: Header=BB500_310 Depth=2
	s_or_b64 exec, exec, s[20:21]
	s_waitcnt vmcnt(0)
	v_mov_b32_e32 v46, v43
	v_mov_b32_e32 v47, v42
	;; [unrolled: 1-line block ×16, first 2 shown]
	s_and_saveexec_b64 s[18:19], s[16:17]
	s_cbranch_execz .LBB500_334
.LBB500_333:                            ;   in Loop: Header=BB500_310 Depth=2
	global_load_dword v44, v[0:1], off
	v_mov_b32_e32 v45, s24
	s_waitcnt vmcnt(1)
	v_mov_b32_e32 v5, v60
	v_mov_b32_e32 v30, v59
	;; [unrolled: 1-line block ×15, first 2 shown]
.LBB500_334:                            ;   in Loop: Header=BB500_310 Depth=2
	s_or_b64 exec, exec, s[18:19]
	v_cmp_lt_u32_e32 vcc, v2, v45
	s_and_saveexec_b64 s[16:17], vcc
	s_cbranch_execz .LBB500_350
; %bb.335:                              ;   in Loop: Header=BB500_310 Depth=2
	v_xor_b32_e32 v0, 0x7fffffff, v43
	v_lshrrev_b32_e32 v0, s93, v0
	v_and_b32_e32 v0, s94, v0
	v_lshl_or_b32 v0, v0, 4, v86
	ds_add_u32 v0, v87
	s_or_b64 exec, exec, s[16:17]
	v_cmp_lt_u32_e32 vcc, v7, v45
	s_and_saveexec_b64 s[16:17], vcc
	s_cbranch_execnz .LBB500_351
.LBB500_336:                            ;   in Loop: Header=BB500_310 Depth=2
	s_or_b64 exec, exec, s[16:17]
	v_cmp_lt_u32_e32 vcc, v9, v45
	s_and_saveexec_b64 s[16:17], vcc
	s_cbranch_execz .LBB500_352
.LBB500_337:                            ;   in Loop: Header=BB500_310 Depth=2
	v_xor_b32_e32 v0, 0x7fffffff, v41
	v_lshrrev_b32_e32 v0, s93, v0
	v_and_b32_e32 v0, s94, v0
	v_lshl_or_b32 v0, v0, 4, v86
	ds_add_u32 v0, v87
	s_or_b64 exec, exec, s[16:17]
	v_cmp_lt_u32_e32 vcc, v11, v45
	s_and_saveexec_b64 s[16:17], vcc
	s_cbranch_execnz .LBB500_353
.LBB500_338:                            ;   in Loop: Header=BB500_310 Depth=2
	s_or_b64 exec, exec, s[16:17]
	v_cmp_lt_u32_e32 vcc, v6, v45
	s_and_saveexec_b64 s[16:17], vcc
	s_cbranch_execz .LBB500_354
.LBB500_339:                            ;   in Loop: Header=BB500_310 Depth=2
	v_xor_b32_e32 v0, 0x7fffffff, v39
	v_lshrrev_b32_e32 v0, s93, v0
	v_and_b32_e32 v0, s94, v0
	v_lshl_or_b32 v0, v0, 4, v86
	ds_add_u32 v0, v87
	s_or_b64 exec, exec, s[16:17]
	v_cmp_lt_u32_e32 vcc, v8, v45
	s_and_saveexec_b64 s[16:17], vcc
	s_cbranch_execnz .LBB500_355
.LBB500_340:                            ;   in Loop: Header=BB500_310 Depth=2
	s_or_b64 exec, exec, s[16:17]
	v_cmp_lt_u32_e32 vcc, v10, v45
	s_and_saveexec_b64 s[16:17], vcc
	s_cbranch_execz .LBB500_356
.LBB500_341:                            ;   in Loop: Header=BB500_310 Depth=2
	v_xor_b32_e32 v0, 0x7fffffff, v37
	v_lshrrev_b32_e32 v0, s93, v0
	v_and_b32_e32 v0, s94, v0
	v_lshl_or_b32 v0, v0, 4, v86
	ds_add_u32 v0, v87
	s_or_b64 exec, exec, s[16:17]
	v_cmp_lt_u32_e32 vcc, v12, v45
	s_and_saveexec_b64 s[16:17], vcc
	s_cbranch_execnz .LBB500_357
.LBB500_342:                            ;   in Loop: Header=BB500_310 Depth=2
	s_or_b64 exec, exec, s[16:17]
	v_cmp_lt_u32_e32 vcc, v14, v45
	s_and_saveexec_b64 s[16:17], vcc
	s_cbranch_execz .LBB500_358
.LBB500_343:                            ;   in Loop: Header=BB500_310 Depth=2
	v_xor_b32_e32 v0, 0x7fffffff, v35
	v_lshrrev_b32_e32 v0, s93, v0
	v_and_b32_e32 v0, s94, v0
	v_lshl_or_b32 v0, v0, 4, v86
	ds_add_u32 v0, v87
	s_or_b64 exec, exec, s[16:17]
	v_cmp_lt_u32_e32 vcc, v16, v45
	s_and_saveexec_b64 s[16:17], vcc
	s_cbranch_execnz .LBB500_359
.LBB500_344:                            ;   in Loop: Header=BB500_310 Depth=2
	s_or_b64 exec, exec, s[16:17]
	v_cmp_lt_u32_e32 vcc, v18, v45
	s_and_saveexec_b64 s[16:17], vcc
	s_cbranch_execz .LBB500_360
.LBB500_345:                            ;   in Loop: Header=BB500_310 Depth=2
	v_xor_b32_e32 v0, 0x7fffffff, v33
	v_lshrrev_b32_e32 v0, s93, v0
	v_and_b32_e32 v0, s94, v0
	v_lshl_or_b32 v0, v0, 4, v86
	ds_add_u32 v0, v87
	s_or_b64 exec, exec, s[16:17]
	v_cmp_lt_u32_e32 vcc, v20, v45
	s_and_saveexec_b64 s[16:17], vcc
	s_cbranch_execnz .LBB500_361
.LBB500_346:                            ;   in Loop: Header=BB500_310 Depth=2
	s_or_b64 exec, exec, s[16:17]
	v_cmp_lt_u32_e32 vcc, v22, v45
	s_and_saveexec_b64 s[16:17], vcc
	s_cbranch_execz .LBB500_362
.LBB500_347:                            ;   in Loop: Header=BB500_310 Depth=2
	v_xor_b32_e32 v0, 0x7fffffff, v31
	v_lshrrev_b32_e32 v0, s93, v0
	v_and_b32_e32 v0, s94, v0
	v_lshl_or_b32 v0, v0, 4, v86
	ds_add_u32 v0, v87
	s_or_b64 exec, exec, s[16:17]
	v_cmp_lt_u32_e32 vcc, v24, v45
	s_and_saveexec_b64 s[16:17], vcc
	s_cbranch_execnz .LBB500_363
.LBB500_348:                            ;   in Loop: Header=BB500_310 Depth=2
	s_or_b64 exec, exec, s[16:17]
	v_cmp_lt_u32_e32 vcc, v26, v45
	s_and_saveexec_b64 s[16:17], vcc
	s_cbranch_execz .LBB500_364
.LBB500_349:                            ;   in Loop: Header=BB500_310 Depth=2
	v_xor_b32_e32 v0, 0x7fffffff, v5
	v_lshrrev_b32_e32 v0, s93, v0
	v_and_b32_e32 v0, s94, v0
	v_lshl_or_b32 v0, v0, 4, v86
	ds_add_u32 v0, v87
	s_or_b64 exec, exec, s[16:17]
	v_cmp_lt_u32_e32 vcc, v28, v45
	s_and_saveexec_b64 s[16:17], vcc
	s_cbranch_execz .LBB500_309
	s_branch .LBB500_365
.LBB500_350:                            ;   in Loop: Header=BB500_310 Depth=2
	s_or_b64 exec, exec, s[16:17]
	v_cmp_lt_u32_e32 vcc, v7, v45
	s_and_saveexec_b64 s[16:17], vcc
	s_cbranch_execz .LBB500_336
.LBB500_351:                            ;   in Loop: Header=BB500_310 Depth=2
	v_xor_b32_e32 v0, 0x7fffffff, v42
	v_lshrrev_b32_e32 v0, s93, v0
	v_and_b32_e32 v0, s94, v0
	v_lshl_or_b32 v0, v0, 4, v86
	ds_add_u32 v0, v87
	s_or_b64 exec, exec, s[16:17]
	v_cmp_lt_u32_e32 vcc, v9, v45
	s_and_saveexec_b64 s[16:17], vcc
	s_cbranch_execnz .LBB500_337
.LBB500_352:                            ;   in Loop: Header=BB500_310 Depth=2
	s_or_b64 exec, exec, s[16:17]
	v_cmp_lt_u32_e32 vcc, v11, v45
	s_and_saveexec_b64 s[16:17], vcc
	s_cbranch_execz .LBB500_338
.LBB500_353:                            ;   in Loop: Header=BB500_310 Depth=2
	v_xor_b32_e32 v0, 0x7fffffff, v40
	v_lshrrev_b32_e32 v0, s93, v0
	v_and_b32_e32 v0, s94, v0
	v_lshl_or_b32 v0, v0, 4, v86
	ds_add_u32 v0, v87
	s_or_b64 exec, exec, s[16:17]
	v_cmp_lt_u32_e32 vcc, v6, v45
	s_and_saveexec_b64 s[16:17], vcc
	s_cbranch_execnz .LBB500_339
.LBB500_354:                            ;   in Loop: Header=BB500_310 Depth=2
	s_or_b64 exec, exec, s[16:17]
	v_cmp_lt_u32_e32 vcc, v8, v45
	s_and_saveexec_b64 s[16:17], vcc
	s_cbranch_execz .LBB500_340
.LBB500_355:                            ;   in Loop: Header=BB500_310 Depth=2
	v_xor_b32_e32 v0, 0x7fffffff, v38
	v_lshrrev_b32_e32 v0, s93, v0
	v_and_b32_e32 v0, s94, v0
	v_lshl_or_b32 v0, v0, 4, v86
	ds_add_u32 v0, v87
	s_or_b64 exec, exec, s[16:17]
	v_cmp_lt_u32_e32 vcc, v10, v45
	s_and_saveexec_b64 s[16:17], vcc
	s_cbranch_execnz .LBB500_341
.LBB500_356:                            ;   in Loop: Header=BB500_310 Depth=2
	s_or_b64 exec, exec, s[16:17]
	v_cmp_lt_u32_e32 vcc, v12, v45
	s_and_saveexec_b64 s[16:17], vcc
	s_cbranch_execz .LBB500_342
.LBB500_357:                            ;   in Loop: Header=BB500_310 Depth=2
	v_xor_b32_e32 v0, 0x7fffffff, v36
	v_lshrrev_b32_e32 v0, s93, v0
	v_and_b32_e32 v0, s94, v0
	v_lshl_or_b32 v0, v0, 4, v86
	ds_add_u32 v0, v87
	s_or_b64 exec, exec, s[16:17]
	v_cmp_lt_u32_e32 vcc, v14, v45
	s_and_saveexec_b64 s[16:17], vcc
	s_cbranch_execnz .LBB500_343
.LBB500_358:                            ;   in Loop: Header=BB500_310 Depth=2
	s_or_b64 exec, exec, s[16:17]
	v_cmp_lt_u32_e32 vcc, v16, v45
	s_and_saveexec_b64 s[16:17], vcc
	s_cbranch_execz .LBB500_344
.LBB500_359:                            ;   in Loop: Header=BB500_310 Depth=2
	v_xor_b32_e32 v0, 0x7fffffff, v34
	v_lshrrev_b32_e32 v0, s93, v0
	v_and_b32_e32 v0, s94, v0
	v_lshl_or_b32 v0, v0, 4, v86
	ds_add_u32 v0, v87
	s_or_b64 exec, exec, s[16:17]
	v_cmp_lt_u32_e32 vcc, v18, v45
	s_and_saveexec_b64 s[16:17], vcc
	s_cbranch_execnz .LBB500_345
.LBB500_360:                            ;   in Loop: Header=BB500_310 Depth=2
	s_or_b64 exec, exec, s[16:17]
	v_cmp_lt_u32_e32 vcc, v20, v45
	s_and_saveexec_b64 s[16:17], vcc
	s_cbranch_execz .LBB500_346
.LBB500_361:                            ;   in Loop: Header=BB500_310 Depth=2
	v_xor_b32_e32 v0, 0x7fffffff, v32
	v_lshrrev_b32_e32 v0, s93, v0
	v_and_b32_e32 v0, s94, v0
	v_lshl_or_b32 v0, v0, 4, v86
	ds_add_u32 v0, v87
	s_or_b64 exec, exec, s[16:17]
	v_cmp_lt_u32_e32 vcc, v22, v45
	s_and_saveexec_b64 s[16:17], vcc
	s_cbranch_execnz .LBB500_347
.LBB500_362:                            ;   in Loop: Header=BB500_310 Depth=2
	s_or_b64 exec, exec, s[16:17]
	v_cmp_lt_u32_e32 vcc, v24, v45
	s_and_saveexec_b64 s[16:17], vcc
	s_cbranch_execz .LBB500_348
.LBB500_363:                            ;   in Loop: Header=BB500_310 Depth=2
	v_xor_b32_e32 v0, 0x7fffffff, v30
	v_lshrrev_b32_e32 v0, s93, v0
	v_and_b32_e32 v0, s94, v0
	v_lshl_or_b32 v0, v0, 4, v86
	ds_add_u32 v0, v87
	s_or_b64 exec, exec, s[16:17]
	v_cmp_lt_u32_e32 vcc, v26, v45
	s_and_saveexec_b64 s[16:17], vcc
	s_cbranch_execnz .LBB500_349
.LBB500_364:                            ;   in Loop: Header=BB500_310 Depth=2
	s_or_b64 exec, exec, s[16:17]
	v_cmp_lt_u32_e32 vcc, v28, v45
	s_and_saveexec_b64 s[16:17], vcc
	s_cbranch_execz .LBB500_309
.LBB500_365:                            ;   in Loop: Header=BB500_310 Depth=2
	s_waitcnt vmcnt(0)
	v_xor_b32_e32 v0, 0x7fffffff, v44
	v_lshrrev_b32_e32 v0, s93, v0
	v_and_b32_e32 v0, s94, v0
	v_lshl_or_b32 v0, v0, 4, v86
	ds_add_u32 v0, v87
	s_branch .LBB500_309
.LBB500_366:                            ;   in Loop: Header=BB500_310 Depth=2
	s_or_b64 exec, exec, s[20:21]
	v_cmp_gt_u32_e32 vcc, s22, v7
	s_and_saveexec_b64 s[20:21], vcc
	s_cbranch_execz .LBB500_316
.LBB500_367:                            ;   in Loop: Header=BB500_310 Depth=2
	global_load_dword v42, v88, s[18:19] offset:1024
	s_or_b64 exec, exec, s[20:21]
	v_cmp_gt_u32_e32 vcc, s22, v9
	s_and_saveexec_b64 s[20:21], vcc
	s_cbranch_execnz .LBB500_317
.LBB500_368:                            ;   in Loop: Header=BB500_310 Depth=2
	s_or_b64 exec, exec, s[20:21]
	v_cmp_gt_u32_e32 vcc, s22, v11
	s_and_saveexec_b64 s[20:21], vcc
	s_cbranch_execz .LBB500_318
.LBB500_369:                            ;   in Loop: Header=BB500_310 Depth=2
	global_load_dword v40, v88, s[18:19] offset:3072
	s_or_b64 exec, exec, s[20:21]
	v_cmp_gt_u32_e32 vcc, s22, v6
	s_and_saveexec_b64 s[20:21], vcc
	s_cbranch_execnz .LBB500_319
.LBB500_370:                            ;   in Loop: Header=BB500_310 Depth=2
	s_or_b64 exec, exec, s[20:21]
	v_cmp_gt_u32_e32 vcc, s22, v8
	s_and_saveexec_b64 s[20:21], vcc
	s_cbranch_execz .LBB500_320
.LBB500_371:                            ;   in Loop: Header=BB500_310 Depth=2
	global_load_dword v38, v90, s[18:19]
	s_or_b64 exec, exec, s[20:21]
	v_cmp_gt_u32_e32 vcc, s22, v10
	s_and_saveexec_b64 s[20:21], vcc
	s_cbranch_execnz .LBB500_321
.LBB500_372:                            ;   in Loop: Header=BB500_310 Depth=2
	s_or_b64 exec, exec, s[20:21]
	v_cmp_gt_u32_e32 vcc, s22, v12
	s_and_saveexec_b64 s[20:21], vcc
	s_cbranch_execz .LBB500_322
.LBB500_373:                            ;   in Loop: Header=BB500_310 Depth=2
	global_load_dword v36, v92, s[18:19]
	s_or_b64 exec, exec, s[20:21]
	v_cmp_gt_u32_e32 vcc, s22, v14
	s_and_saveexec_b64 s[20:21], vcc
	s_cbranch_execnz .LBB500_323
.LBB500_374:                            ;   in Loop: Header=BB500_310 Depth=2
	s_or_b64 exec, exec, s[20:21]
	v_cmp_gt_u32_e32 vcc, s22, v16
	s_and_saveexec_b64 s[20:21], vcc
	s_cbranch_execz .LBB500_324
.LBB500_375:                            ;   in Loop: Header=BB500_310 Depth=2
	global_load_dword v34, v94, s[18:19]
	s_or_b64 exec, exec, s[20:21]
	v_cmp_gt_u32_e32 vcc, s22, v18
	s_and_saveexec_b64 s[20:21], vcc
	s_cbranch_execnz .LBB500_325
.LBB500_376:                            ;   in Loop: Header=BB500_310 Depth=2
	s_or_b64 exec, exec, s[20:21]
	v_cmp_gt_u32_e32 vcc, s22, v20
	s_and_saveexec_b64 s[20:21], vcc
	s_cbranch_execz .LBB500_326
.LBB500_377:                            ;   in Loop: Header=BB500_310 Depth=2
	global_load_dword v32, v96, s[18:19]
	s_or_b64 exec, exec, s[20:21]
	v_cmp_gt_u32_e32 vcc, s22, v22
	s_and_saveexec_b64 s[20:21], vcc
	s_cbranch_execnz .LBB500_327
.LBB500_378:                            ;   in Loop: Header=BB500_310 Depth=2
	s_or_b64 exec, exec, s[20:21]
	v_cmp_gt_u32_e32 vcc, s22, v24
	s_and_saveexec_b64 s[20:21], vcc
	s_cbranch_execz .LBB500_328
.LBB500_379:                            ;   in Loop: Header=BB500_310 Depth=2
	global_load_dword v30, v98, s[18:19]
	s_or_b64 exec, exec, s[20:21]
	v_cmp_gt_u32_e32 vcc, s22, v26
	s_and_saveexec_b64 s[20:21], vcc
	s_cbranch_execz .LBB500_330
	s_branch .LBB500_329
.LBB500_380:                            ;   in Loop: Header=BB500_12 Depth=1
	v_mov_b32_e32 v0, 0
	s_waitcnt lgkmcnt(0)
	s_barrier
	s_and_saveexec_b64 s[16:17], s[4:5]
	s_cbranch_execz .LBB500_382
; %bb.381:                              ;   in Loop: Header=BB500_12 Depth=1
	ds_read2_b64 v[30:33], v17 offset1:1
	s_waitcnt lgkmcnt(0)
	v_add_u32_e32 v0, v31, v30
	v_add3_u32 v0, v0, v32, v33
.LBB500_382:                            ;   in Loop: Header=BB500_12 Depth=1
	s_or_b64 exec, exec, s[16:17]
	s_nop 0
	v_mov_b32_dpp v1, v0 row_shr:1 row_mask:0xf bank_mask:0xf
	v_cmp_eq_u32_e64 s[16:17], 0, v102
	v_cndmask_b32_e64 v1, v1, 0, s[16:17]
	v_add_u32_e32 v0, v1, v0
	v_cmp_lt_u32_e64 s[18:19], 1, v102
	v_cmp_lt_u32_e64 s[20:21], 3, v102
	v_mov_b32_dpp v1, v0 row_shr:2 row_mask:0xf bank_mask:0xf
	v_cndmask_b32_e64 v1, 0, v1, s[18:19]
	v_add_u32_e32 v0, v0, v1
	v_cmp_lt_u32_e64 s[22:23], 7, v102
	v_cmp_lt_u32_e64 s[26:27], 31, v101
	v_mov_b32_dpp v1, v0 row_shr:4 row_mask:0xf bank_mask:0xf
	v_cndmask_b32_e64 v1, 0, v1, s[20:21]
	v_add_u32_e32 v0, v0, v1
	v_cmp_eq_u32_e64 s[24:25], 0, v104
	s_nop 0
	v_mov_b32_dpp v1, v0 row_shr:8 row_mask:0xf bank_mask:0xf
	v_cndmask_b32_e64 v1, 0, v1, s[22:23]
	v_add_u32_e32 v0, v0, v1
	s_nop 1
	v_mov_b32_dpp v1, v0 row_bcast:15 row_mask:0xf bank_mask:0xf
	v_and_b32_e32 v1, v103, v1
	v_add_u32_e32 v0, v0, v1
	s_nop 1
	v_mov_b32_dpp v1, v0 row_bcast:31 row_mask:0xf bank_mask:0xf
	v_cndmask_b32_e64 v1, 0, v1, s[26:27]
	v_add_u32_e32 v0, v0, v1
	s_and_saveexec_b64 s[28:29], s[6:7]
	s_cbranch_execz .LBB500_384
; %bb.383:                              ;   in Loop: Header=BB500_12 Depth=1
	ds_write_b32 v21, v0
.LBB500_384:                            ;   in Loop: Header=BB500_12 Depth=1
	s_or_b64 exec, exec, s[28:29]
	s_waitcnt lgkmcnt(0)
	s_barrier
	s_and_saveexec_b64 s[28:29], s[8:9]
	s_cbranch_execz .LBB500_386
; %bb.385:                              ;   in Loop: Header=BB500_12 Depth=1
	ds_read_b32 v1, v23
	v_cmp_ne_u32_e32 vcc, 0, v105
	s_waitcnt lgkmcnt(0)
	v_mov_b32_dpp v5, v1 row_shr:1 row_mask:0xf bank_mask:0xf
	v_cndmask_b32_e32 v5, 0, v5, vcc
	v_add_u32_e32 v1, v5, v1
	v_cmp_lt_u32_e32 vcc, 1, v105
	s_nop 0
	v_mov_b32_dpp v5, v1 row_shr:2 row_mask:0xf bank_mask:0xf
	v_cndmask_b32_e32 v5, 0, v5, vcc
	v_add_u32_e32 v1, v1, v5
	ds_write_b32 v23, v1
.LBB500_386:                            ;   in Loop: Header=BB500_12 Depth=1
	s_or_b64 exec, exec, s[28:29]
	v_mov_b32_e32 v1, 0
	s_waitcnt lgkmcnt(0)
	s_barrier
	s_and_saveexec_b64 s[28:29], s[10:11]
	s_cbranch_execz .LBB500_388
; %bb.387:                              ;   in Loop: Header=BB500_12 Depth=1
	ds_read_b32 v1, v25
.LBB500_388:                            ;   in Loop: Header=BB500_12 Depth=1
	s_or_b64 exec, exec, s[28:29]
	v_cmp_lt_i32_e32 vcc, v106, v107
	v_cndmask_b32_e32 v5, v106, v101, vcc
	s_waitcnt lgkmcnt(0)
	v_add_u32_e32 v0, v1, v0
	v_lshlrev_b32_e32 v127, 2, v5
	ds_bpermute_b32 v0, v127, v0
	v_cmp_eq_u32_e64 s[28:29], 0, v101
	s_waitcnt lgkmcnt(0)
	s_barrier
	s_and_saveexec_b64 s[30:31], s[4:5]
	s_cbranch_execz .LBB500_390
; %bb.389:                              ;   in Loop: Header=BB500_12 Depth=1
	v_cndmask_b32_e64 v0, v0, v1, s[28:29]
	v_add_u32_e32 v0, s69, v0
	ds_write_b32 v3, v0
.LBB500_390:                            ;   in Loop: Header=BB500_12 Depth=1
	s_or_b64 exec, exec, s[30:31]
	s_load_dwordx2 s[30:31], s[90:91], 0x0
	v_add_co_u32_e32 v128, vcc, v76, v108
	v_addc_co_u32_e32 v129, vcc, 0, v77, vcc
	s_waitcnt lgkmcnt(0)
	s_cmp_lt_u32 s68, s30
	s_cselect_b32 s34, 12, 18
	s_cmp_lt_u32 s33, s31
	s_cselect_b32 s30, 14, 20
	s_add_u32 s30, s90, s30
	s_addc_u32 s31, s91, 0
	s_add_u32 s34, s90, s34
	global_load_ushort v5, v4, s[30:31]
	s_addc_u32 s35, s91, 0
	global_load_ushort v60, v4, s[34:35]
	v_add_co_u32_e32 v130, vcc, v78, v125
	v_addc_co_u32_e32 v131, vcc, 0, v79, vcc
	v_add_co_u32_e32 v145, vcc, 0xf00, v130
	v_cmp_eq_u32_e64 s[30:31], 0, v105
	v_cmp_lt_u32_e64 s[34:35], 1, v105
	s_mov_b32 s95, s87
	v_addc_co_u32_e32 v148, vcc, 0, v131, vcc
	s_mov_b32 s88, s69
                                        ; implicit-def: $vgpr0_vgpr1
                                        ; implicit-def: $vgpr30_vgpr31
                                        ; implicit-def: $vgpr32_vgpr33
                                        ; implicit-def: $vgpr36_vgpr37
                                        ; implicit-def: $vgpr40_vgpr41
                                        ; implicit-def: $vgpr44_vgpr45
                                        ; implicit-def: $vgpr48_vgpr49
                                        ; implicit-def: $vgpr52_vgpr53
                                        ; implicit-def: $vgpr34_vgpr35
                                        ; implicit-def: $vgpr38_vgpr39
                                        ; implicit-def: $vgpr42_vgpr43
                                        ; implicit-def: $vgpr46_vgpr47
                                        ; implicit-def: $vgpr50_vgpr51
                                        ; implicit-def: $vgpr54_vgpr55
                                        ; implicit-def: $vgpr56_vgpr57
                                        ; implicit-def: $vgpr58_vgpr59
                                        ; implicit-def: $vgpr132
                                        ; implicit-def: $vgpr133
                                        ; implicit-def: $vgpr134
                                        ; implicit-def: $vgpr135
                                        ; implicit-def: $vgpr136
                                        ; implicit-def: $vgpr137
                                        ; implicit-def: $vgpr138
                                        ; implicit-def: $vgpr139
                                        ; implicit-def: $vgpr140
                                        ; implicit-def: $vgpr141
                                        ; implicit-def: $vgpr142
                                        ; implicit-def: $vgpr143
                                        ; implicit-def: $vgpr144
                                        ; implicit-def: $vgpr146
                                        ; implicit-def: $vgpr147
                                        ; implicit-def: $vgpr149
	s_waitcnt vmcnt(1)
	v_mad_u32_u24 v5, v27, v5, v29
	s_waitcnt vmcnt(0)
	v_mad_u64_u32 v[60:61], s[36:37], v5, v60, v[2:3]
	v_lshrrev_b32_e32 v150, 6, v60
	s_branch .LBB500_392
.LBB500_391:                            ;   in Loop: Header=BB500_392 Depth=2
	s_or_b64 exec, exec, s[36:37]
	s_addk_i32 s95, 0xf000
	s_cmp_lt_u32 s96, s92
	s_mov_b32 s88, s96
	s_cbranch_scc0 .LBB500_600
.LBB500_392:                            ;   Parent Loop BB500_12 Depth=1
                                        ; =>  This Inner Loop Header: Depth=2
	s_add_i32 s96, s88, 0x1000
	s_cmp_gt_u32 s96, s92
	s_cbranch_scc1 .LBB500_395
; %bb.393:                              ;   in Loop: Header=BB500_392 Depth=2
	s_lshl_b64 s[36:37], s[88:89], 2
	v_mov_b32_e32 v5, s37
	v_add_co_u32_e32 v60, vcc, s36, v130
	v_addc_co_u32_e32 v61, vcc, v131, v5, vcc
	global_load_dword v5, v[60:61], off
	global_load_dword v154, v[60:61], off offset:256
	global_load_dword v159, v[60:61], off offset:512
	global_load_dword v164, v[60:61], off offset:768
	global_load_dword v169, v[60:61], off offset:1024
	global_load_dword v174, v[60:61], off offset:1280
	global_load_dword v179, v[60:61], off offset:1536
	global_load_dword v184, v[60:61], off offset:1792
	global_load_dword v182, v[60:61], off offset:2048
	global_load_dword v177, v[60:61], off offset:2304
	global_load_dword v173, v[60:61], off offset:2560
	global_load_dword v168, v[60:61], off offset:2816
	global_load_dword v163, v[60:61], off offset:3072
	global_load_dword v158, v[60:61], off offset:3328
	global_load_dword v62, v[60:61], off offset:3584
	s_mov_b64 s[36:37], -1
	s_movk_i32 s40, 0x1000
	s_cbranch_execz .LBB500_396
; %bb.394:                              ;   in Loop: Header=BB500_392 Depth=2
                                        ; implicit-def: $sgpr38
	v_mov_b32_e32 v63, s38
	v_mov_b32_e32 v151, s95
	s_and_saveexec_b64 s[38:39], s[36:37]
	s_cbranch_execnz .LBB500_427
	s_branch .LBB500_428
.LBB500_395:                            ;   in Loop: Header=BB500_392 Depth=2
	s_mov_b64 s[36:37], 0
                                        ; implicit-def: $sgpr40
                                        ; implicit-def: $vgpr5
                                        ; implicit-def: $vgpr154
                                        ; implicit-def: $vgpr159
                                        ; implicit-def: $vgpr164
                                        ; implicit-def: $vgpr169
                                        ; implicit-def: $vgpr174
                                        ; implicit-def: $vgpr179
                                        ; implicit-def: $vgpr184
                                        ; implicit-def: $vgpr182
                                        ; implicit-def: $vgpr177
                                        ; implicit-def: $vgpr173
                                        ; implicit-def: $vgpr168
                                        ; implicit-def: $vgpr163
                                        ; implicit-def: $vgpr158
                                        ; implicit-def: $vgpr62
.LBB500_396:                            ;   in Loop: Header=BB500_392 Depth=2
	s_lshl_b64 s[36:37], s[88:89], 2
	s_waitcnt vmcnt(14)
	v_mov_b32_e32 v5, s37
	v_add_co_u32_e32 v60, vcc, s36, v130
	v_addc_co_u32_e32 v61, vcc, v131, v5, vcc
	v_cmp_gt_u32_e32 vcc, s95, v109
	s_waitcnt vmcnt(13)
	v_bfrev_b32_e32 v154, 1
	v_bfrev_b32_e32 v5, 1
	s_and_saveexec_b64 s[36:37], vcc
	s_cbranch_execz .LBB500_398
; %bb.397:                              ;   in Loop: Header=BB500_392 Depth=2
	global_load_dword v5, v[60:61], off
.LBB500_398:                            ;   in Loop: Header=BB500_392 Depth=2
	s_or_b64 exec, exec, s[36:37]
	v_cmp_gt_u32_e32 vcc, s95, v110
	s_and_saveexec_b64 s[36:37], vcc
	s_cbranch_execz .LBB500_400
; %bb.399:                              ;   in Loop: Header=BB500_392 Depth=2
	global_load_dword v154, v[60:61], off offset:256
.LBB500_400:                            ;   in Loop: Header=BB500_392 Depth=2
	s_or_b64 exec, exec, s[36:37]
	v_cmp_gt_u32_e32 vcc, s95, v111
	s_waitcnt vmcnt(11)
	v_bfrev_b32_e32 v164, 1
	v_bfrev_b32_e32 v159, 1
	s_and_saveexec_b64 s[36:37], vcc
	s_cbranch_execz .LBB500_402
; %bb.401:                              ;   in Loop: Header=BB500_392 Depth=2
	global_load_dword v159, v[60:61], off offset:512
.LBB500_402:                            ;   in Loop: Header=BB500_392 Depth=2
	s_or_b64 exec, exec, s[36:37]
	v_cmp_gt_u32_e32 vcc, s95, v112
	s_and_saveexec_b64 s[36:37], vcc
	s_cbranch_execz .LBB500_404
; %bb.403:                              ;   in Loop: Header=BB500_392 Depth=2
	global_load_dword v164, v[60:61], off offset:768
.LBB500_404:                            ;   in Loop: Header=BB500_392 Depth=2
	s_or_b64 exec, exec, s[36:37]
	v_cmp_gt_u32_e32 vcc, s95, v113
	s_waitcnt vmcnt(9)
	v_bfrev_b32_e32 v174, 1
	v_bfrev_b32_e32 v169, 1
	s_and_saveexec_b64 s[36:37], vcc
	s_cbranch_execz .LBB500_406
; %bb.405:                              ;   in Loop: Header=BB500_392 Depth=2
	global_load_dword v169, v[60:61], off offset:1024
.LBB500_406:                            ;   in Loop: Header=BB500_392 Depth=2
	;; [unrolled: 17-line block ×6, first 2 shown]
	s_or_b64 exec, exec, s[36:37]
	v_cmp_gt_u32_e32 vcc, s95, v122
	s_and_saveexec_b64 s[36:37], vcc
	s_cbranch_execz .LBB500_424
; %bb.423:                              ;   in Loop: Header=BB500_392 Depth=2
	global_load_dword v158, v[60:61], off offset:3328
.LBB500_424:                            ;   in Loop: Header=BB500_392 Depth=2
	s_or_b64 exec, exec, s[36:37]
	v_cmp_gt_u32_e32 vcc, s95, v123
	s_waitcnt vmcnt(0)
	v_bfrev_b32_e32 v62, 1
	s_and_saveexec_b64 s[36:37], vcc
	s_cbranch_execz .LBB500_426
; %bb.425:                              ;   in Loop: Header=BB500_392 Depth=2
	global_load_dword v62, v[60:61], off offset:3584
.LBB500_426:                            ;   in Loop: Header=BB500_392 Depth=2
	s_or_b64 exec, exec, s[36:37]
	s_sub_i32 s40, s92, s88
	v_cmp_gt_u32_e64 s[36:37], s95, v124
	s_brev_b32 s38, 1
	v_mov_b32_e32 v63, s38
	v_mov_b32_e32 v151, s95
	s_and_saveexec_b64 s[38:39], s[36:37]
	s_cbranch_execz .LBB500_428
.LBB500_427:                            ;   in Loop: Header=BB500_392 Depth=2
	s_lshl_b64 s[36:37], s[88:89], 2
	v_mov_b32_e32 v61, s37
	v_add_co_u32_e32 v60, vcc, s36, v145
	v_addc_co_u32_e32 v61, vcc, v148, v61, vcc
	global_load_dword v63, v[60:61], off
	v_mov_b32_e32 v151, s40
.LBB500_428:                            ;   in Loop: Header=BB500_392 Depth=2
	s_or_b64 exec, exec, s[38:39]
	s_waitcnt vmcnt(14)
	v_xor_b32_e32 v152, 0x7fffffff, v5
	v_lshrrev_b32_e32 v5, s93, v152
	v_and_b32_e32 v60, s94, v5
	v_mad_u32_u24 v5, v60, 5, v150
	v_lshl_add_u32 v153, v5, 2, v65
	v_and_b32_e32 v5, 1, v60
	v_add_co_u32_e32 v61, vcc, -1, v5
	v_addc_co_u32_e64 v155, s[36:37], 0, -1, vcc
	v_cmp_ne_u32_e32 vcc, 0, v5
	v_xor_b32_e32 v5, vcc_hi, v155
	v_and_b32_e32 v155, exec_hi, v5
	v_lshlrev_b32_e32 v5, 30, v60
	v_xor_b32_e32 v61, vcc_lo, v61
	v_cmp_gt_i64_e32 vcc, 0, v[4:5]
	v_not_b32_e32 v5, v5
	v_ashrrev_i32_e32 v5, 31, v5
	v_and_b32_e32 v61, exec_lo, v61
	v_xor_b32_e32 v156, vcc_hi, v5
	v_xor_b32_e32 v5, vcc_lo, v5
	v_and_b32_e32 v61, v61, v5
	v_lshlrev_b32_e32 v5, 29, v60
	v_cmp_gt_i64_e32 vcc, 0, v[4:5]
	v_not_b32_e32 v5, v5
	v_ashrrev_i32_e32 v5, 31, v5
	v_and_b32_e32 v155, v155, v156
	v_xor_b32_e32 v156, vcc_hi, v5
	v_xor_b32_e32 v5, vcc_lo, v5
	v_and_b32_e32 v61, v61, v5
	v_lshlrev_b32_e32 v5, 28, v60
	v_cmp_gt_i64_e32 vcc, 0, v[4:5]
	v_not_b32_e32 v5, v5
	v_ashrrev_i32_e32 v5, 31, v5
	v_and_b32_e32 v155, v155, v156
	;; [unrolled: 8-line block ×5, first 2 shown]
	v_xor_b32_e32 v156, vcc_hi, v5
	v_xor_b32_e32 v5, vcc_lo, v5
	v_and_b32_e32 v155, v155, v156
	v_and_b32_e32 v156, v61, v5
	v_lshlrev_b32_e32 v5, 24, v60
	v_cmp_gt_i64_e32 vcc, 0, v[4:5]
	v_not_b32_e32 v5, v5
	v_ashrrev_i32_e32 v5, 31, v5
	v_xor_b32_e32 v60, vcc_hi, v5
	v_xor_b32_e32 v5, vcc_lo, v5
	v_and_b32_e32 v61, v155, v60
	v_and_b32_e32 v60, v156, v5
	v_mbcnt_lo_u32_b32 v5, v60, 0
	v_mbcnt_hi_u32_b32 v155, v61, v5
	v_cmp_eq_u32_e32 vcc, 0, v155
	v_cmp_ne_u64_e64 s[36:37], 0, v[60:61]
	s_and_b64 s[38:39], s[36:37], vcc
	ds_write2_b32 v126, v4, v4 offset1:1
	ds_write2_b32 v66, v4, v4 offset0:2 offset1:3
	ds_write_b32 v66, v4 offset:16
	s_waitcnt lgkmcnt(0)
	s_barrier
	s_waitcnt lgkmcnt(0)
	; wave barrier
	s_and_saveexec_b64 s[36:37], s[38:39]
	s_cbranch_execz .LBB500_430
; %bb.429:                              ;   in Loop: Header=BB500_392 Depth=2
	v_bcnt_u32_b32 v5, v60, 0
	v_bcnt_u32_b32 v5, v61, v5
	ds_write_b32 v153, v5
.LBB500_430:                            ;   in Loop: Header=BB500_392 Depth=2
	s_or_b64 exec, exec, s[36:37]
	s_waitcnt vmcnt(13)
	v_xor_b32_e32 v154, 0x7fffffff, v154
	v_lshrrev_b32_e32 v5, s93, v154
	v_and_b32_e32 v60, s94, v5
	v_mul_u32_u24_e32 v5, 5, v60
	v_add_lshl_u32 v5, v5, v150, 2
	; wave barrier
	v_add_u32_e32 v157, 0x410, v5
	ds_read_b32 v156, v5 offset:1040
	v_and_b32_e32 v5, 1, v60
	v_add_co_u32_e32 v61, vcc, -1, v5
	v_addc_co_u32_e64 v160, s[36:37], 0, -1, vcc
	v_cmp_ne_u32_e32 vcc, 0, v5
	v_xor_b32_e32 v5, vcc_hi, v160
	v_and_b32_e32 v160, exec_hi, v5
	v_lshlrev_b32_e32 v5, 30, v60
	v_xor_b32_e32 v61, vcc_lo, v61
	v_cmp_gt_i64_e32 vcc, 0, v[4:5]
	v_not_b32_e32 v5, v5
	v_ashrrev_i32_e32 v5, 31, v5
	v_and_b32_e32 v61, exec_lo, v61
	v_xor_b32_e32 v161, vcc_hi, v5
	v_xor_b32_e32 v5, vcc_lo, v5
	v_and_b32_e32 v61, v61, v5
	v_lshlrev_b32_e32 v5, 29, v60
	v_cmp_gt_i64_e32 vcc, 0, v[4:5]
	v_not_b32_e32 v5, v5
	v_ashrrev_i32_e32 v5, 31, v5
	v_and_b32_e32 v160, v160, v161
	v_xor_b32_e32 v161, vcc_hi, v5
	v_xor_b32_e32 v5, vcc_lo, v5
	v_and_b32_e32 v61, v61, v5
	v_lshlrev_b32_e32 v5, 28, v60
	v_cmp_gt_i64_e32 vcc, 0, v[4:5]
	v_not_b32_e32 v5, v5
	v_ashrrev_i32_e32 v5, 31, v5
	v_and_b32_e32 v160, v160, v161
	;; [unrolled: 8-line block ×5, first 2 shown]
	v_xor_b32_e32 v161, vcc_hi, v5
	v_xor_b32_e32 v5, vcc_lo, v5
	v_and_b32_e32 v160, v160, v161
	v_and_b32_e32 v161, v61, v5
	v_lshlrev_b32_e32 v5, 24, v60
	v_cmp_gt_i64_e32 vcc, 0, v[4:5]
	v_not_b32_e32 v5, v5
	v_ashrrev_i32_e32 v5, 31, v5
	v_xor_b32_e32 v60, vcc_hi, v5
	v_xor_b32_e32 v5, vcc_lo, v5
	v_and_b32_e32 v61, v160, v60
	v_and_b32_e32 v60, v161, v5
	v_mbcnt_lo_u32_b32 v5, v60, 0
	v_mbcnt_hi_u32_b32 v160, v61, v5
	v_cmp_eq_u32_e32 vcc, 0, v160
	v_cmp_ne_u64_e64 s[36:37], 0, v[60:61]
	s_and_b64 s[38:39], s[36:37], vcc
	; wave barrier
	s_and_saveexec_b64 s[36:37], s[38:39]
	s_cbranch_execz .LBB500_432
; %bb.431:                              ;   in Loop: Header=BB500_392 Depth=2
	v_bcnt_u32_b32 v5, v60, 0
	v_bcnt_u32_b32 v5, v61, v5
	s_waitcnt lgkmcnt(0)
	v_add_u32_e32 v5, v156, v5
	ds_write_b32 v157, v5
.LBB500_432:                            ;   in Loop: Header=BB500_392 Depth=2
	s_or_b64 exec, exec, s[36:37]
	s_waitcnt vmcnt(12)
	v_xor_b32_e32 v159, 0x7fffffff, v159
	v_lshrrev_b32_e32 v5, s93, v159
	v_and_b32_e32 v60, s94, v5
	v_mul_u32_u24_e32 v5, 5, v60
	v_add_lshl_u32 v5, v5, v150, 2
	; wave barrier
	v_add_u32_e32 v162, 0x410, v5
	ds_read_b32 v161, v5 offset:1040
	v_and_b32_e32 v5, 1, v60
	v_add_co_u32_e32 v61, vcc, -1, v5
	v_addc_co_u32_e64 v165, s[36:37], 0, -1, vcc
	v_cmp_ne_u32_e32 vcc, 0, v5
	v_xor_b32_e32 v5, vcc_hi, v165
	v_and_b32_e32 v165, exec_hi, v5
	v_lshlrev_b32_e32 v5, 30, v60
	v_xor_b32_e32 v61, vcc_lo, v61
	v_cmp_gt_i64_e32 vcc, 0, v[4:5]
	v_not_b32_e32 v5, v5
	v_ashrrev_i32_e32 v5, 31, v5
	v_and_b32_e32 v61, exec_lo, v61
	v_xor_b32_e32 v166, vcc_hi, v5
	v_xor_b32_e32 v5, vcc_lo, v5
	v_and_b32_e32 v61, v61, v5
	v_lshlrev_b32_e32 v5, 29, v60
	v_cmp_gt_i64_e32 vcc, 0, v[4:5]
	v_not_b32_e32 v5, v5
	v_ashrrev_i32_e32 v5, 31, v5
	v_and_b32_e32 v165, v165, v166
	v_xor_b32_e32 v166, vcc_hi, v5
	v_xor_b32_e32 v5, vcc_lo, v5
	v_and_b32_e32 v61, v61, v5
	v_lshlrev_b32_e32 v5, 28, v60
	v_cmp_gt_i64_e32 vcc, 0, v[4:5]
	v_not_b32_e32 v5, v5
	v_ashrrev_i32_e32 v5, 31, v5
	v_and_b32_e32 v165, v165, v166
	;; [unrolled: 8-line block ×5, first 2 shown]
	v_xor_b32_e32 v166, vcc_hi, v5
	v_xor_b32_e32 v5, vcc_lo, v5
	v_and_b32_e32 v165, v165, v166
	v_and_b32_e32 v166, v61, v5
	v_lshlrev_b32_e32 v5, 24, v60
	v_cmp_gt_i64_e32 vcc, 0, v[4:5]
	v_not_b32_e32 v5, v5
	v_ashrrev_i32_e32 v5, 31, v5
	v_xor_b32_e32 v60, vcc_hi, v5
	v_xor_b32_e32 v5, vcc_lo, v5
	v_and_b32_e32 v61, v165, v60
	v_and_b32_e32 v60, v166, v5
	v_mbcnt_lo_u32_b32 v5, v60, 0
	v_mbcnt_hi_u32_b32 v165, v61, v5
	v_cmp_eq_u32_e32 vcc, 0, v165
	v_cmp_ne_u64_e64 s[36:37], 0, v[60:61]
	s_and_b64 s[38:39], s[36:37], vcc
	; wave barrier
	s_and_saveexec_b64 s[36:37], s[38:39]
	s_cbranch_execz .LBB500_434
; %bb.433:                              ;   in Loop: Header=BB500_392 Depth=2
	v_bcnt_u32_b32 v5, v60, 0
	v_bcnt_u32_b32 v5, v61, v5
	s_waitcnt lgkmcnt(0)
	v_add_u32_e32 v5, v161, v5
	ds_write_b32 v162, v5
.LBB500_434:                            ;   in Loop: Header=BB500_392 Depth=2
	s_or_b64 exec, exec, s[36:37]
	s_waitcnt vmcnt(11)
	v_xor_b32_e32 v164, 0x7fffffff, v164
	v_lshrrev_b32_e32 v5, s93, v164
	v_and_b32_e32 v60, s94, v5
	v_mul_u32_u24_e32 v5, 5, v60
	v_add_lshl_u32 v5, v5, v150, 2
	; wave barrier
	v_add_u32_e32 v167, 0x410, v5
	ds_read_b32 v166, v5 offset:1040
	v_and_b32_e32 v5, 1, v60
	v_add_co_u32_e32 v61, vcc, -1, v5
	v_addc_co_u32_e64 v170, s[36:37], 0, -1, vcc
	v_cmp_ne_u32_e32 vcc, 0, v5
	v_xor_b32_e32 v5, vcc_hi, v170
	v_and_b32_e32 v170, exec_hi, v5
	v_lshlrev_b32_e32 v5, 30, v60
	v_xor_b32_e32 v61, vcc_lo, v61
	v_cmp_gt_i64_e32 vcc, 0, v[4:5]
	v_not_b32_e32 v5, v5
	v_ashrrev_i32_e32 v5, 31, v5
	v_and_b32_e32 v61, exec_lo, v61
	v_xor_b32_e32 v171, vcc_hi, v5
	v_xor_b32_e32 v5, vcc_lo, v5
	v_and_b32_e32 v61, v61, v5
	v_lshlrev_b32_e32 v5, 29, v60
	v_cmp_gt_i64_e32 vcc, 0, v[4:5]
	v_not_b32_e32 v5, v5
	v_ashrrev_i32_e32 v5, 31, v5
	v_and_b32_e32 v170, v170, v171
	v_xor_b32_e32 v171, vcc_hi, v5
	v_xor_b32_e32 v5, vcc_lo, v5
	v_and_b32_e32 v61, v61, v5
	v_lshlrev_b32_e32 v5, 28, v60
	v_cmp_gt_i64_e32 vcc, 0, v[4:5]
	v_not_b32_e32 v5, v5
	v_ashrrev_i32_e32 v5, 31, v5
	v_and_b32_e32 v170, v170, v171
	;; [unrolled: 8-line block ×5, first 2 shown]
	v_xor_b32_e32 v171, vcc_hi, v5
	v_xor_b32_e32 v5, vcc_lo, v5
	v_and_b32_e32 v170, v170, v171
	v_and_b32_e32 v171, v61, v5
	v_lshlrev_b32_e32 v5, 24, v60
	v_cmp_gt_i64_e32 vcc, 0, v[4:5]
	v_not_b32_e32 v5, v5
	v_ashrrev_i32_e32 v5, 31, v5
	v_xor_b32_e32 v60, vcc_hi, v5
	v_xor_b32_e32 v5, vcc_lo, v5
	v_and_b32_e32 v61, v170, v60
	v_and_b32_e32 v60, v171, v5
	v_mbcnt_lo_u32_b32 v5, v60, 0
	v_mbcnt_hi_u32_b32 v170, v61, v5
	v_cmp_eq_u32_e32 vcc, 0, v170
	v_cmp_ne_u64_e64 s[36:37], 0, v[60:61]
	s_and_b64 s[38:39], s[36:37], vcc
	; wave barrier
	s_and_saveexec_b64 s[36:37], s[38:39]
	s_cbranch_execz .LBB500_436
; %bb.435:                              ;   in Loop: Header=BB500_392 Depth=2
	v_bcnt_u32_b32 v5, v60, 0
	v_bcnt_u32_b32 v5, v61, v5
	s_waitcnt lgkmcnt(0)
	v_add_u32_e32 v5, v166, v5
	ds_write_b32 v167, v5
.LBB500_436:                            ;   in Loop: Header=BB500_392 Depth=2
	s_or_b64 exec, exec, s[36:37]
	s_waitcnt vmcnt(10)
	v_xor_b32_e32 v169, 0x7fffffff, v169
	v_lshrrev_b32_e32 v5, s93, v169
	v_and_b32_e32 v60, s94, v5
	v_mul_u32_u24_e32 v5, 5, v60
	v_add_lshl_u32 v5, v5, v150, 2
	; wave barrier
	v_add_u32_e32 v172, 0x410, v5
	ds_read_b32 v171, v5 offset:1040
	v_and_b32_e32 v5, 1, v60
	v_add_co_u32_e32 v61, vcc, -1, v5
	v_addc_co_u32_e64 v175, s[36:37], 0, -1, vcc
	v_cmp_ne_u32_e32 vcc, 0, v5
	v_xor_b32_e32 v5, vcc_hi, v175
	v_and_b32_e32 v175, exec_hi, v5
	v_lshlrev_b32_e32 v5, 30, v60
	v_xor_b32_e32 v61, vcc_lo, v61
	v_cmp_gt_i64_e32 vcc, 0, v[4:5]
	v_not_b32_e32 v5, v5
	v_ashrrev_i32_e32 v5, 31, v5
	v_and_b32_e32 v61, exec_lo, v61
	v_xor_b32_e32 v176, vcc_hi, v5
	v_xor_b32_e32 v5, vcc_lo, v5
	v_and_b32_e32 v61, v61, v5
	v_lshlrev_b32_e32 v5, 29, v60
	v_cmp_gt_i64_e32 vcc, 0, v[4:5]
	v_not_b32_e32 v5, v5
	v_ashrrev_i32_e32 v5, 31, v5
	v_and_b32_e32 v175, v175, v176
	v_xor_b32_e32 v176, vcc_hi, v5
	v_xor_b32_e32 v5, vcc_lo, v5
	v_and_b32_e32 v61, v61, v5
	v_lshlrev_b32_e32 v5, 28, v60
	v_cmp_gt_i64_e32 vcc, 0, v[4:5]
	v_not_b32_e32 v5, v5
	v_ashrrev_i32_e32 v5, 31, v5
	v_and_b32_e32 v175, v175, v176
	;; [unrolled: 8-line block ×5, first 2 shown]
	v_xor_b32_e32 v176, vcc_hi, v5
	v_xor_b32_e32 v5, vcc_lo, v5
	v_and_b32_e32 v175, v175, v176
	v_and_b32_e32 v176, v61, v5
	v_lshlrev_b32_e32 v5, 24, v60
	v_cmp_gt_i64_e32 vcc, 0, v[4:5]
	v_not_b32_e32 v5, v5
	v_ashrrev_i32_e32 v5, 31, v5
	v_xor_b32_e32 v60, vcc_hi, v5
	v_xor_b32_e32 v5, vcc_lo, v5
	v_and_b32_e32 v61, v175, v60
	v_and_b32_e32 v60, v176, v5
	v_mbcnt_lo_u32_b32 v5, v60, 0
	v_mbcnt_hi_u32_b32 v175, v61, v5
	v_cmp_eq_u32_e32 vcc, 0, v175
	v_cmp_ne_u64_e64 s[36:37], 0, v[60:61]
	s_and_b64 s[38:39], s[36:37], vcc
	; wave barrier
	s_and_saveexec_b64 s[36:37], s[38:39]
	s_cbranch_execz .LBB500_438
; %bb.437:                              ;   in Loop: Header=BB500_392 Depth=2
	v_bcnt_u32_b32 v5, v60, 0
	v_bcnt_u32_b32 v5, v61, v5
	s_waitcnt lgkmcnt(0)
	v_add_u32_e32 v5, v171, v5
	ds_write_b32 v172, v5
.LBB500_438:                            ;   in Loop: Header=BB500_392 Depth=2
	s_or_b64 exec, exec, s[36:37]
	s_waitcnt vmcnt(9)
	v_xor_b32_e32 v174, 0x7fffffff, v174
	v_lshrrev_b32_e32 v5, s93, v174
	v_and_b32_e32 v60, s94, v5
	v_mul_u32_u24_e32 v5, 5, v60
	v_add_lshl_u32 v5, v5, v150, 2
	; wave barrier
	v_add_u32_e32 v178, 0x410, v5
	ds_read_b32 v176, v5 offset:1040
	v_and_b32_e32 v5, 1, v60
	v_add_co_u32_e32 v61, vcc, -1, v5
	v_addc_co_u32_e64 v180, s[36:37], 0, -1, vcc
	v_cmp_ne_u32_e32 vcc, 0, v5
	v_xor_b32_e32 v5, vcc_hi, v180
	v_and_b32_e32 v180, exec_hi, v5
	v_lshlrev_b32_e32 v5, 30, v60
	v_xor_b32_e32 v61, vcc_lo, v61
	v_cmp_gt_i64_e32 vcc, 0, v[4:5]
	v_not_b32_e32 v5, v5
	v_ashrrev_i32_e32 v5, 31, v5
	v_and_b32_e32 v61, exec_lo, v61
	v_xor_b32_e32 v181, vcc_hi, v5
	v_xor_b32_e32 v5, vcc_lo, v5
	v_and_b32_e32 v61, v61, v5
	v_lshlrev_b32_e32 v5, 29, v60
	v_cmp_gt_i64_e32 vcc, 0, v[4:5]
	v_not_b32_e32 v5, v5
	v_ashrrev_i32_e32 v5, 31, v5
	v_and_b32_e32 v180, v180, v181
	v_xor_b32_e32 v181, vcc_hi, v5
	v_xor_b32_e32 v5, vcc_lo, v5
	v_and_b32_e32 v61, v61, v5
	v_lshlrev_b32_e32 v5, 28, v60
	v_cmp_gt_i64_e32 vcc, 0, v[4:5]
	v_not_b32_e32 v5, v5
	v_ashrrev_i32_e32 v5, 31, v5
	v_and_b32_e32 v180, v180, v181
	;; [unrolled: 8-line block ×5, first 2 shown]
	v_xor_b32_e32 v181, vcc_hi, v5
	v_xor_b32_e32 v5, vcc_lo, v5
	v_and_b32_e32 v180, v180, v181
	v_and_b32_e32 v181, v61, v5
	v_lshlrev_b32_e32 v5, 24, v60
	v_cmp_gt_i64_e32 vcc, 0, v[4:5]
	v_not_b32_e32 v5, v5
	v_ashrrev_i32_e32 v5, 31, v5
	v_xor_b32_e32 v60, vcc_hi, v5
	v_xor_b32_e32 v5, vcc_lo, v5
	v_and_b32_e32 v61, v180, v60
	v_and_b32_e32 v60, v181, v5
	v_mbcnt_lo_u32_b32 v5, v60, 0
	v_mbcnt_hi_u32_b32 v180, v61, v5
	v_cmp_eq_u32_e32 vcc, 0, v180
	v_cmp_ne_u64_e64 s[36:37], 0, v[60:61]
	s_and_b64 s[38:39], s[36:37], vcc
	; wave barrier
	s_and_saveexec_b64 s[36:37], s[38:39]
	s_cbranch_execz .LBB500_440
; %bb.439:                              ;   in Loop: Header=BB500_392 Depth=2
	v_bcnt_u32_b32 v5, v60, 0
	v_bcnt_u32_b32 v5, v61, v5
	s_waitcnt lgkmcnt(0)
	v_add_u32_e32 v5, v176, v5
	ds_write_b32 v178, v5
.LBB500_440:                            ;   in Loop: Header=BB500_392 Depth=2
	s_or_b64 exec, exec, s[36:37]
	s_waitcnt vmcnt(8)
	v_xor_b32_e32 v179, 0x7fffffff, v179
	v_lshrrev_b32_e32 v5, s93, v179
	v_and_b32_e32 v60, s94, v5
	v_mul_u32_u24_e32 v5, 5, v60
	v_add_lshl_u32 v5, v5, v150, 2
	; wave barrier
	v_add_u32_e32 v183, 0x410, v5
	ds_read_b32 v181, v5 offset:1040
	v_and_b32_e32 v5, 1, v60
	v_add_co_u32_e32 v61, vcc, -1, v5
	v_addc_co_u32_e64 v185, s[36:37], 0, -1, vcc
	v_cmp_ne_u32_e32 vcc, 0, v5
	v_xor_b32_e32 v5, vcc_hi, v185
	v_and_b32_e32 v185, exec_hi, v5
	v_lshlrev_b32_e32 v5, 30, v60
	v_xor_b32_e32 v61, vcc_lo, v61
	v_cmp_gt_i64_e32 vcc, 0, v[4:5]
	v_not_b32_e32 v5, v5
	v_ashrrev_i32_e32 v5, 31, v5
	v_and_b32_e32 v61, exec_lo, v61
	v_xor_b32_e32 v186, vcc_hi, v5
	v_xor_b32_e32 v5, vcc_lo, v5
	v_and_b32_e32 v61, v61, v5
	v_lshlrev_b32_e32 v5, 29, v60
	v_cmp_gt_i64_e32 vcc, 0, v[4:5]
	v_not_b32_e32 v5, v5
	v_ashrrev_i32_e32 v5, 31, v5
	v_and_b32_e32 v185, v185, v186
	v_xor_b32_e32 v186, vcc_hi, v5
	v_xor_b32_e32 v5, vcc_lo, v5
	v_and_b32_e32 v61, v61, v5
	v_lshlrev_b32_e32 v5, 28, v60
	v_cmp_gt_i64_e32 vcc, 0, v[4:5]
	v_not_b32_e32 v5, v5
	v_ashrrev_i32_e32 v5, 31, v5
	v_and_b32_e32 v185, v185, v186
	;; [unrolled: 8-line block ×5, first 2 shown]
	v_xor_b32_e32 v186, vcc_hi, v5
	v_xor_b32_e32 v5, vcc_lo, v5
	v_and_b32_e32 v185, v185, v186
	v_and_b32_e32 v186, v61, v5
	v_lshlrev_b32_e32 v5, 24, v60
	v_cmp_gt_i64_e32 vcc, 0, v[4:5]
	v_not_b32_e32 v5, v5
	v_ashrrev_i32_e32 v5, 31, v5
	v_xor_b32_e32 v60, vcc_hi, v5
	v_xor_b32_e32 v5, vcc_lo, v5
	v_and_b32_e32 v61, v185, v60
	v_and_b32_e32 v60, v186, v5
	v_mbcnt_lo_u32_b32 v5, v60, 0
	v_mbcnt_hi_u32_b32 v185, v61, v5
	v_cmp_eq_u32_e32 vcc, 0, v185
	v_cmp_ne_u64_e64 s[36:37], 0, v[60:61]
	s_and_b64 s[38:39], s[36:37], vcc
	; wave barrier
	s_and_saveexec_b64 s[36:37], s[38:39]
	s_cbranch_execz .LBB500_442
; %bb.441:                              ;   in Loop: Header=BB500_392 Depth=2
	v_bcnt_u32_b32 v5, v60, 0
	v_bcnt_u32_b32 v5, v61, v5
	s_waitcnt lgkmcnt(0)
	v_add_u32_e32 v5, v181, v5
	ds_write_b32 v183, v5
.LBB500_442:                            ;   in Loop: Header=BB500_392 Depth=2
	s_or_b64 exec, exec, s[36:37]
	s_waitcnt vmcnt(7)
	v_xor_b32_e32 v184, 0x7fffffff, v184
	v_lshrrev_b32_e32 v5, s93, v184
	v_and_b32_e32 v60, s94, v5
	v_mul_u32_u24_e32 v5, 5, v60
	v_add_lshl_u32 v5, v5, v150, 2
	; wave barrier
	v_add_u32_e32 v187, 0x410, v5
	ds_read_b32 v186, v5 offset:1040
	v_and_b32_e32 v5, 1, v60
	v_add_co_u32_e32 v61, vcc, -1, v5
	v_addc_co_u32_e64 v188, s[36:37], 0, -1, vcc
	v_cmp_ne_u32_e32 vcc, 0, v5
	v_xor_b32_e32 v5, vcc_hi, v188
	v_and_b32_e32 v188, exec_hi, v5
	v_lshlrev_b32_e32 v5, 30, v60
	v_xor_b32_e32 v61, vcc_lo, v61
	v_cmp_gt_i64_e32 vcc, 0, v[4:5]
	v_not_b32_e32 v5, v5
	v_ashrrev_i32_e32 v5, 31, v5
	v_and_b32_e32 v61, exec_lo, v61
	v_xor_b32_e32 v189, vcc_hi, v5
	v_xor_b32_e32 v5, vcc_lo, v5
	v_and_b32_e32 v61, v61, v5
	v_lshlrev_b32_e32 v5, 29, v60
	v_cmp_gt_i64_e32 vcc, 0, v[4:5]
	v_not_b32_e32 v5, v5
	v_ashrrev_i32_e32 v5, 31, v5
	v_and_b32_e32 v188, v188, v189
	v_xor_b32_e32 v189, vcc_hi, v5
	v_xor_b32_e32 v5, vcc_lo, v5
	v_and_b32_e32 v61, v61, v5
	v_lshlrev_b32_e32 v5, 28, v60
	v_cmp_gt_i64_e32 vcc, 0, v[4:5]
	v_not_b32_e32 v5, v5
	v_ashrrev_i32_e32 v5, 31, v5
	v_and_b32_e32 v188, v188, v189
	;; [unrolled: 8-line block ×5, first 2 shown]
	v_xor_b32_e32 v189, vcc_hi, v5
	v_xor_b32_e32 v5, vcc_lo, v5
	v_and_b32_e32 v188, v188, v189
	v_and_b32_e32 v189, v61, v5
	v_lshlrev_b32_e32 v5, 24, v60
	v_cmp_gt_i64_e32 vcc, 0, v[4:5]
	v_not_b32_e32 v5, v5
	v_ashrrev_i32_e32 v5, 31, v5
	v_xor_b32_e32 v60, vcc_hi, v5
	v_xor_b32_e32 v5, vcc_lo, v5
	v_and_b32_e32 v61, v188, v60
	v_and_b32_e32 v60, v189, v5
	v_mbcnt_lo_u32_b32 v5, v60, 0
	v_mbcnt_hi_u32_b32 v188, v61, v5
	v_cmp_eq_u32_e32 vcc, 0, v188
	v_cmp_ne_u64_e64 s[36:37], 0, v[60:61]
	s_and_b64 s[38:39], s[36:37], vcc
	; wave barrier
	s_and_saveexec_b64 s[36:37], s[38:39]
	s_cbranch_execz .LBB500_444
; %bb.443:                              ;   in Loop: Header=BB500_392 Depth=2
	v_bcnt_u32_b32 v5, v60, 0
	v_bcnt_u32_b32 v5, v61, v5
	s_waitcnt lgkmcnt(0)
	v_add_u32_e32 v5, v186, v5
	ds_write_b32 v187, v5
.LBB500_444:                            ;   in Loop: Header=BB500_392 Depth=2
	s_or_b64 exec, exec, s[36:37]
	s_waitcnt vmcnt(6)
	v_xor_b32_e32 v182, 0x7fffffff, v182
	v_lshrrev_b32_e32 v5, s93, v182
	v_and_b32_e32 v60, s94, v5
	v_mul_u32_u24_e32 v5, 5, v60
	v_add_lshl_u32 v5, v5, v150, 2
	; wave barrier
	v_add_u32_e32 v190, 0x410, v5
	ds_read_b32 v189, v5 offset:1040
	v_and_b32_e32 v5, 1, v60
	v_add_co_u32_e32 v61, vcc, -1, v5
	v_addc_co_u32_e64 v191, s[36:37], 0, -1, vcc
	v_cmp_ne_u32_e32 vcc, 0, v5
	v_xor_b32_e32 v5, vcc_hi, v191
	v_and_b32_e32 v191, exec_hi, v5
	v_lshlrev_b32_e32 v5, 30, v60
	v_xor_b32_e32 v61, vcc_lo, v61
	v_cmp_gt_i64_e32 vcc, 0, v[4:5]
	v_not_b32_e32 v5, v5
	v_ashrrev_i32_e32 v5, 31, v5
	v_and_b32_e32 v61, exec_lo, v61
	v_xor_b32_e32 v192, vcc_hi, v5
	v_xor_b32_e32 v5, vcc_lo, v5
	v_and_b32_e32 v61, v61, v5
	v_lshlrev_b32_e32 v5, 29, v60
	v_cmp_gt_i64_e32 vcc, 0, v[4:5]
	v_not_b32_e32 v5, v5
	v_ashrrev_i32_e32 v5, 31, v5
	v_and_b32_e32 v191, v191, v192
	v_xor_b32_e32 v192, vcc_hi, v5
	v_xor_b32_e32 v5, vcc_lo, v5
	v_and_b32_e32 v61, v61, v5
	v_lshlrev_b32_e32 v5, 28, v60
	v_cmp_gt_i64_e32 vcc, 0, v[4:5]
	v_not_b32_e32 v5, v5
	v_ashrrev_i32_e32 v5, 31, v5
	v_and_b32_e32 v191, v191, v192
	;; [unrolled: 8-line block ×5, first 2 shown]
	v_xor_b32_e32 v192, vcc_hi, v5
	v_xor_b32_e32 v5, vcc_lo, v5
	v_and_b32_e32 v191, v191, v192
	v_and_b32_e32 v192, v61, v5
	v_lshlrev_b32_e32 v5, 24, v60
	v_cmp_gt_i64_e32 vcc, 0, v[4:5]
	v_not_b32_e32 v5, v5
	v_ashrrev_i32_e32 v5, 31, v5
	v_xor_b32_e32 v60, vcc_hi, v5
	v_xor_b32_e32 v5, vcc_lo, v5
	v_and_b32_e32 v61, v191, v60
	v_and_b32_e32 v60, v192, v5
	v_mbcnt_lo_u32_b32 v5, v60, 0
	v_mbcnt_hi_u32_b32 v191, v61, v5
	v_cmp_eq_u32_e32 vcc, 0, v191
	v_cmp_ne_u64_e64 s[36:37], 0, v[60:61]
	s_and_b64 s[38:39], s[36:37], vcc
	; wave barrier
	s_and_saveexec_b64 s[36:37], s[38:39]
	s_cbranch_execz .LBB500_446
; %bb.445:                              ;   in Loop: Header=BB500_392 Depth=2
	v_bcnt_u32_b32 v5, v60, 0
	v_bcnt_u32_b32 v5, v61, v5
	s_waitcnt lgkmcnt(0)
	v_add_u32_e32 v5, v189, v5
	ds_write_b32 v190, v5
.LBB500_446:                            ;   in Loop: Header=BB500_392 Depth=2
	s_or_b64 exec, exec, s[36:37]
	s_waitcnt vmcnt(5)
	v_xor_b32_e32 v177, 0x7fffffff, v177
	v_lshrrev_b32_e32 v5, s93, v177
	v_and_b32_e32 v60, s94, v5
	v_mul_u32_u24_e32 v5, 5, v60
	v_add_lshl_u32 v5, v5, v150, 2
	; wave barrier
	v_add_u32_e32 v193, 0x410, v5
	ds_read_b32 v192, v5 offset:1040
	v_and_b32_e32 v5, 1, v60
	v_add_co_u32_e32 v61, vcc, -1, v5
	v_addc_co_u32_e64 v194, s[36:37], 0, -1, vcc
	v_cmp_ne_u32_e32 vcc, 0, v5
	v_xor_b32_e32 v5, vcc_hi, v194
	v_and_b32_e32 v194, exec_hi, v5
	v_lshlrev_b32_e32 v5, 30, v60
	v_xor_b32_e32 v61, vcc_lo, v61
	v_cmp_gt_i64_e32 vcc, 0, v[4:5]
	v_not_b32_e32 v5, v5
	v_ashrrev_i32_e32 v5, 31, v5
	v_and_b32_e32 v61, exec_lo, v61
	v_xor_b32_e32 v195, vcc_hi, v5
	v_xor_b32_e32 v5, vcc_lo, v5
	v_and_b32_e32 v61, v61, v5
	v_lshlrev_b32_e32 v5, 29, v60
	v_cmp_gt_i64_e32 vcc, 0, v[4:5]
	v_not_b32_e32 v5, v5
	v_ashrrev_i32_e32 v5, 31, v5
	v_and_b32_e32 v194, v194, v195
	v_xor_b32_e32 v195, vcc_hi, v5
	v_xor_b32_e32 v5, vcc_lo, v5
	v_and_b32_e32 v61, v61, v5
	v_lshlrev_b32_e32 v5, 28, v60
	v_cmp_gt_i64_e32 vcc, 0, v[4:5]
	v_not_b32_e32 v5, v5
	v_ashrrev_i32_e32 v5, 31, v5
	v_and_b32_e32 v194, v194, v195
	;; [unrolled: 8-line block ×5, first 2 shown]
	v_xor_b32_e32 v195, vcc_hi, v5
	v_xor_b32_e32 v5, vcc_lo, v5
	v_and_b32_e32 v194, v194, v195
	v_and_b32_e32 v195, v61, v5
	v_lshlrev_b32_e32 v5, 24, v60
	v_cmp_gt_i64_e32 vcc, 0, v[4:5]
	v_not_b32_e32 v5, v5
	v_ashrrev_i32_e32 v5, 31, v5
	v_xor_b32_e32 v60, vcc_hi, v5
	v_xor_b32_e32 v5, vcc_lo, v5
	v_and_b32_e32 v61, v194, v60
	v_and_b32_e32 v60, v195, v5
	v_mbcnt_lo_u32_b32 v5, v60, 0
	v_mbcnt_hi_u32_b32 v194, v61, v5
	v_cmp_eq_u32_e32 vcc, 0, v194
	v_cmp_ne_u64_e64 s[36:37], 0, v[60:61]
	s_and_b64 s[38:39], s[36:37], vcc
	; wave barrier
	s_and_saveexec_b64 s[36:37], s[38:39]
	s_cbranch_execz .LBB500_448
; %bb.447:                              ;   in Loop: Header=BB500_392 Depth=2
	v_bcnt_u32_b32 v5, v60, 0
	v_bcnt_u32_b32 v5, v61, v5
	s_waitcnt lgkmcnt(0)
	v_add_u32_e32 v5, v192, v5
	ds_write_b32 v193, v5
.LBB500_448:                            ;   in Loop: Header=BB500_392 Depth=2
	s_or_b64 exec, exec, s[36:37]
	s_waitcnt vmcnt(4)
	v_xor_b32_e32 v173, 0x7fffffff, v173
	v_lshrrev_b32_e32 v5, s93, v173
	v_and_b32_e32 v60, s94, v5
	v_mul_u32_u24_e32 v5, 5, v60
	v_add_lshl_u32 v5, v5, v150, 2
	; wave barrier
	v_add_u32_e32 v196, 0x410, v5
	ds_read_b32 v195, v5 offset:1040
	v_and_b32_e32 v5, 1, v60
	v_add_co_u32_e32 v61, vcc, -1, v5
	v_addc_co_u32_e64 v197, s[36:37], 0, -1, vcc
	v_cmp_ne_u32_e32 vcc, 0, v5
	v_xor_b32_e32 v5, vcc_hi, v197
	v_and_b32_e32 v197, exec_hi, v5
	v_lshlrev_b32_e32 v5, 30, v60
	v_xor_b32_e32 v61, vcc_lo, v61
	v_cmp_gt_i64_e32 vcc, 0, v[4:5]
	v_not_b32_e32 v5, v5
	v_ashrrev_i32_e32 v5, 31, v5
	v_and_b32_e32 v61, exec_lo, v61
	v_xor_b32_e32 v198, vcc_hi, v5
	v_xor_b32_e32 v5, vcc_lo, v5
	v_and_b32_e32 v61, v61, v5
	v_lshlrev_b32_e32 v5, 29, v60
	v_cmp_gt_i64_e32 vcc, 0, v[4:5]
	v_not_b32_e32 v5, v5
	v_ashrrev_i32_e32 v5, 31, v5
	v_and_b32_e32 v197, v197, v198
	v_xor_b32_e32 v198, vcc_hi, v5
	v_xor_b32_e32 v5, vcc_lo, v5
	v_and_b32_e32 v61, v61, v5
	v_lshlrev_b32_e32 v5, 28, v60
	v_cmp_gt_i64_e32 vcc, 0, v[4:5]
	v_not_b32_e32 v5, v5
	v_ashrrev_i32_e32 v5, 31, v5
	v_and_b32_e32 v197, v197, v198
	;; [unrolled: 8-line block ×5, first 2 shown]
	v_xor_b32_e32 v198, vcc_hi, v5
	v_xor_b32_e32 v5, vcc_lo, v5
	v_and_b32_e32 v197, v197, v198
	v_and_b32_e32 v198, v61, v5
	v_lshlrev_b32_e32 v5, 24, v60
	v_cmp_gt_i64_e32 vcc, 0, v[4:5]
	v_not_b32_e32 v5, v5
	v_ashrrev_i32_e32 v5, 31, v5
	v_xor_b32_e32 v60, vcc_hi, v5
	v_xor_b32_e32 v5, vcc_lo, v5
	v_and_b32_e32 v61, v197, v60
	v_and_b32_e32 v60, v198, v5
	v_mbcnt_lo_u32_b32 v5, v60, 0
	v_mbcnt_hi_u32_b32 v198, v61, v5
	v_cmp_eq_u32_e32 vcc, 0, v198
	v_cmp_ne_u64_e64 s[36:37], 0, v[60:61]
	s_and_b64 s[38:39], s[36:37], vcc
	; wave barrier
	s_and_saveexec_b64 s[36:37], s[38:39]
	s_cbranch_execz .LBB500_450
; %bb.449:                              ;   in Loop: Header=BB500_392 Depth=2
	v_bcnt_u32_b32 v5, v60, 0
	v_bcnt_u32_b32 v5, v61, v5
	s_waitcnt lgkmcnt(0)
	v_add_u32_e32 v5, v195, v5
	ds_write_b32 v196, v5
.LBB500_450:                            ;   in Loop: Header=BB500_392 Depth=2
	s_or_b64 exec, exec, s[36:37]
	s_waitcnt vmcnt(3)
	v_xor_b32_e32 v197, 0x7fffffff, v168
	v_lshrrev_b32_e32 v5, s93, v197
	v_and_b32_e32 v60, s94, v5
	v_mul_u32_u24_e32 v5, 5, v60
	v_add_lshl_u32 v5, v5, v150, 2
	; wave barrier
	v_add_u32_e32 v168, 0x410, v5
	ds_read_b32 v199, v5 offset:1040
	v_and_b32_e32 v5, 1, v60
	v_add_co_u32_e32 v61, vcc, -1, v5
	v_addc_co_u32_e64 v200, s[36:37], 0, -1, vcc
	v_cmp_ne_u32_e32 vcc, 0, v5
	v_xor_b32_e32 v5, vcc_hi, v200
	v_and_b32_e32 v200, exec_hi, v5
	v_lshlrev_b32_e32 v5, 30, v60
	v_xor_b32_e32 v61, vcc_lo, v61
	v_cmp_gt_i64_e32 vcc, 0, v[4:5]
	v_not_b32_e32 v5, v5
	v_ashrrev_i32_e32 v5, 31, v5
	v_and_b32_e32 v61, exec_lo, v61
	v_xor_b32_e32 v201, vcc_hi, v5
	v_xor_b32_e32 v5, vcc_lo, v5
	v_and_b32_e32 v61, v61, v5
	v_lshlrev_b32_e32 v5, 29, v60
	v_cmp_gt_i64_e32 vcc, 0, v[4:5]
	v_not_b32_e32 v5, v5
	v_ashrrev_i32_e32 v5, 31, v5
	v_and_b32_e32 v200, v200, v201
	v_xor_b32_e32 v201, vcc_hi, v5
	v_xor_b32_e32 v5, vcc_lo, v5
	v_and_b32_e32 v61, v61, v5
	v_lshlrev_b32_e32 v5, 28, v60
	v_cmp_gt_i64_e32 vcc, 0, v[4:5]
	v_not_b32_e32 v5, v5
	v_ashrrev_i32_e32 v5, 31, v5
	v_and_b32_e32 v200, v200, v201
	;; [unrolled: 8-line block ×5, first 2 shown]
	v_xor_b32_e32 v201, vcc_hi, v5
	v_xor_b32_e32 v5, vcc_lo, v5
	v_and_b32_e32 v200, v200, v201
	v_and_b32_e32 v201, v61, v5
	v_lshlrev_b32_e32 v5, 24, v60
	v_cmp_gt_i64_e32 vcc, 0, v[4:5]
	v_not_b32_e32 v5, v5
	v_ashrrev_i32_e32 v5, 31, v5
	v_xor_b32_e32 v60, vcc_hi, v5
	v_xor_b32_e32 v5, vcc_lo, v5
	v_and_b32_e32 v61, v200, v60
	v_and_b32_e32 v60, v201, v5
	v_mbcnt_lo_u32_b32 v5, v60, 0
	v_mbcnt_hi_u32_b32 v201, v61, v5
	v_cmp_eq_u32_e32 vcc, 0, v201
	v_cmp_ne_u64_e64 s[36:37], 0, v[60:61]
	s_and_b64 s[38:39], s[36:37], vcc
	; wave barrier
	s_and_saveexec_b64 s[36:37], s[38:39]
	s_cbranch_execz .LBB500_452
; %bb.451:                              ;   in Loop: Header=BB500_392 Depth=2
	v_bcnt_u32_b32 v5, v60, 0
	v_bcnt_u32_b32 v5, v61, v5
	s_waitcnt lgkmcnt(0)
	v_add_u32_e32 v5, v199, v5
	ds_write_b32 v168, v5
.LBB500_452:                            ;   in Loop: Header=BB500_392 Depth=2
	s_or_b64 exec, exec, s[36:37]
	s_waitcnt vmcnt(2)
	v_xor_b32_e32 v200, 0x7fffffff, v163
	v_lshrrev_b32_e32 v5, s93, v200
	v_and_b32_e32 v60, s94, v5
	v_mul_u32_u24_e32 v5, 5, v60
	v_add_lshl_u32 v5, v5, v150, 2
	; wave barrier
	v_add_u32_e32 v163, 0x410, v5
	ds_read_b32 v202, v5 offset:1040
	v_and_b32_e32 v5, 1, v60
	v_add_co_u32_e32 v61, vcc, -1, v5
	v_addc_co_u32_e64 v203, s[36:37], 0, -1, vcc
	v_cmp_ne_u32_e32 vcc, 0, v5
	v_xor_b32_e32 v5, vcc_hi, v203
	v_and_b32_e32 v203, exec_hi, v5
	v_lshlrev_b32_e32 v5, 30, v60
	v_xor_b32_e32 v61, vcc_lo, v61
	v_cmp_gt_i64_e32 vcc, 0, v[4:5]
	v_not_b32_e32 v5, v5
	v_ashrrev_i32_e32 v5, 31, v5
	v_and_b32_e32 v61, exec_lo, v61
	v_xor_b32_e32 v204, vcc_hi, v5
	v_xor_b32_e32 v5, vcc_lo, v5
	v_and_b32_e32 v61, v61, v5
	v_lshlrev_b32_e32 v5, 29, v60
	v_cmp_gt_i64_e32 vcc, 0, v[4:5]
	v_not_b32_e32 v5, v5
	v_ashrrev_i32_e32 v5, 31, v5
	v_and_b32_e32 v203, v203, v204
	v_xor_b32_e32 v204, vcc_hi, v5
	v_xor_b32_e32 v5, vcc_lo, v5
	v_and_b32_e32 v61, v61, v5
	v_lshlrev_b32_e32 v5, 28, v60
	v_cmp_gt_i64_e32 vcc, 0, v[4:5]
	v_not_b32_e32 v5, v5
	v_ashrrev_i32_e32 v5, 31, v5
	v_and_b32_e32 v203, v203, v204
	;; [unrolled: 8-line block ×5, first 2 shown]
	v_xor_b32_e32 v204, vcc_hi, v5
	v_xor_b32_e32 v5, vcc_lo, v5
	v_and_b32_e32 v203, v203, v204
	v_and_b32_e32 v204, v61, v5
	v_lshlrev_b32_e32 v5, 24, v60
	v_cmp_gt_i64_e32 vcc, 0, v[4:5]
	v_not_b32_e32 v5, v5
	v_ashrrev_i32_e32 v5, 31, v5
	v_xor_b32_e32 v60, vcc_hi, v5
	v_xor_b32_e32 v5, vcc_lo, v5
	v_and_b32_e32 v61, v203, v60
	v_and_b32_e32 v60, v204, v5
	v_mbcnt_lo_u32_b32 v5, v60, 0
	v_mbcnt_hi_u32_b32 v204, v61, v5
	v_cmp_eq_u32_e32 vcc, 0, v204
	v_cmp_ne_u64_e64 s[36:37], 0, v[60:61]
	s_and_b64 s[38:39], s[36:37], vcc
	; wave barrier
	s_and_saveexec_b64 s[36:37], s[38:39]
	s_cbranch_execz .LBB500_454
; %bb.453:                              ;   in Loop: Header=BB500_392 Depth=2
	v_bcnt_u32_b32 v5, v60, 0
	v_bcnt_u32_b32 v5, v61, v5
	s_waitcnt lgkmcnt(0)
	v_add_u32_e32 v5, v202, v5
	ds_write_b32 v163, v5
.LBB500_454:                            ;   in Loop: Header=BB500_392 Depth=2
	s_or_b64 exec, exec, s[36:37]
	s_waitcnt vmcnt(1)
	v_xor_b32_e32 v203, 0x7fffffff, v158
	v_lshrrev_b32_e32 v5, s93, v203
	v_and_b32_e32 v60, s94, v5
	v_mul_u32_u24_e32 v5, 5, v60
	v_add_lshl_u32 v5, v5, v150, 2
	; wave barrier
	v_add_u32_e32 v158, 0x410, v5
	ds_read_b32 v205, v5 offset:1040
	v_and_b32_e32 v5, 1, v60
	v_add_co_u32_e32 v61, vcc, -1, v5
	v_addc_co_u32_e64 v206, s[36:37], 0, -1, vcc
	v_cmp_ne_u32_e32 vcc, 0, v5
	v_xor_b32_e32 v5, vcc_hi, v206
	v_and_b32_e32 v206, exec_hi, v5
	v_lshlrev_b32_e32 v5, 30, v60
	v_xor_b32_e32 v61, vcc_lo, v61
	v_cmp_gt_i64_e32 vcc, 0, v[4:5]
	v_not_b32_e32 v5, v5
	v_ashrrev_i32_e32 v5, 31, v5
	v_and_b32_e32 v61, exec_lo, v61
	v_xor_b32_e32 v207, vcc_hi, v5
	v_xor_b32_e32 v5, vcc_lo, v5
	v_and_b32_e32 v61, v61, v5
	v_lshlrev_b32_e32 v5, 29, v60
	v_cmp_gt_i64_e32 vcc, 0, v[4:5]
	v_not_b32_e32 v5, v5
	v_ashrrev_i32_e32 v5, 31, v5
	v_and_b32_e32 v206, v206, v207
	v_xor_b32_e32 v207, vcc_hi, v5
	v_xor_b32_e32 v5, vcc_lo, v5
	v_and_b32_e32 v61, v61, v5
	v_lshlrev_b32_e32 v5, 28, v60
	v_cmp_gt_i64_e32 vcc, 0, v[4:5]
	v_not_b32_e32 v5, v5
	v_ashrrev_i32_e32 v5, 31, v5
	v_and_b32_e32 v206, v206, v207
	;; [unrolled: 8-line block ×5, first 2 shown]
	v_xor_b32_e32 v207, vcc_hi, v5
	v_xor_b32_e32 v5, vcc_lo, v5
	v_and_b32_e32 v206, v206, v207
	v_and_b32_e32 v207, v61, v5
	v_lshlrev_b32_e32 v5, 24, v60
	v_cmp_gt_i64_e32 vcc, 0, v[4:5]
	v_not_b32_e32 v5, v5
	v_ashrrev_i32_e32 v5, 31, v5
	v_xor_b32_e32 v60, vcc_hi, v5
	v_xor_b32_e32 v5, vcc_lo, v5
	v_and_b32_e32 v61, v206, v60
	v_and_b32_e32 v60, v207, v5
	v_mbcnt_lo_u32_b32 v5, v60, 0
	v_mbcnt_hi_u32_b32 v207, v61, v5
	v_cmp_eq_u32_e32 vcc, 0, v207
	v_cmp_ne_u64_e64 s[36:37], 0, v[60:61]
	s_and_b64 s[38:39], s[36:37], vcc
	; wave barrier
	s_and_saveexec_b64 s[36:37], s[38:39]
	s_cbranch_execz .LBB500_456
; %bb.455:                              ;   in Loop: Header=BB500_392 Depth=2
	v_bcnt_u32_b32 v5, v60, 0
	v_bcnt_u32_b32 v5, v61, v5
	s_waitcnt lgkmcnt(0)
	v_add_u32_e32 v5, v205, v5
	ds_write_b32 v158, v5
.LBB500_456:                            ;   in Loop: Header=BB500_392 Depth=2
	s_or_b64 exec, exec, s[36:37]
	s_waitcnt vmcnt(0)
	v_xor_b32_e32 v206, 0x7fffffff, v62
	v_lshrrev_b32_e32 v5, s93, v206
	v_and_b32_e32 v60, s94, v5
	v_mul_u32_u24_e32 v5, 5, v60
	v_add_lshl_u32 v5, v5, v150, 2
	; wave barrier
	v_add_u32_e32 v209, 0x410, v5
	ds_read_b32 v208, v5 offset:1040
	v_and_b32_e32 v5, 1, v60
	v_add_co_u32_e32 v61, vcc, -1, v5
	v_addc_co_u32_e64 v62, s[36:37], 0, -1, vcc
	v_cmp_ne_u32_e32 vcc, 0, v5
	v_xor_b32_e32 v5, vcc_hi, v62
	v_and_b32_e32 v62, exec_hi, v5
	v_lshlrev_b32_e32 v5, 30, v60
	v_xor_b32_e32 v61, vcc_lo, v61
	v_cmp_gt_i64_e32 vcc, 0, v[4:5]
	v_not_b32_e32 v5, v5
	v_ashrrev_i32_e32 v5, 31, v5
	v_and_b32_e32 v61, exec_lo, v61
	v_xor_b32_e32 v210, vcc_hi, v5
	v_xor_b32_e32 v5, vcc_lo, v5
	v_and_b32_e32 v61, v61, v5
	v_lshlrev_b32_e32 v5, 29, v60
	v_cmp_gt_i64_e32 vcc, 0, v[4:5]
	v_not_b32_e32 v5, v5
	v_ashrrev_i32_e32 v5, 31, v5
	v_and_b32_e32 v62, v62, v210
	v_xor_b32_e32 v210, vcc_hi, v5
	v_xor_b32_e32 v5, vcc_lo, v5
	v_and_b32_e32 v61, v61, v5
	v_lshlrev_b32_e32 v5, 28, v60
	v_cmp_gt_i64_e32 vcc, 0, v[4:5]
	v_not_b32_e32 v5, v5
	v_ashrrev_i32_e32 v5, 31, v5
	v_and_b32_e32 v62, v62, v210
	;; [unrolled: 8-line block ×5, first 2 shown]
	v_xor_b32_e32 v210, vcc_hi, v5
	v_xor_b32_e32 v5, vcc_lo, v5
	v_and_b32_e32 v62, v62, v210
	v_and_b32_e32 v210, v61, v5
	v_lshlrev_b32_e32 v5, 24, v60
	v_cmp_gt_i64_e32 vcc, 0, v[4:5]
	v_not_b32_e32 v5, v5
	v_ashrrev_i32_e32 v5, 31, v5
	v_xor_b32_e32 v60, vcc_hi, v5
	v_xor_b32_e32 v5, vcc_lo, v5
	v_and_b32_e32 v61, v62, v60
	v_and_b32_e32 v60, v210, v5
	v_mbcnt_lo_u32_b32 v5, v60, 0
	v_mbcnt_hi_u32_b32 v211, v61, v5
	v_cmp_eq_u32_e32 vcc, 0, v211
	v_cmp_ne_u64_e64 s[36:37], 0, v[60:61]
	s_and_b64 s[38:39], s[36:37], vcc
	; wave barrier
	s_and_saveexec_b64 s[36:37], s[38:39]
	s_cbranch_execz .LBB500_458
; %bb.457:                              ;   in Loop: Header=BB500_392 Depth=2
	v_bcnt_u32_b32 v5, v60, 0
	v_bcnt_u32_b32 v5, v61, v5
	s_waitcnt lgkmcnt(0)
	v_add_u32_e32 v5, v208, v5
	ds_write_b32 v209, v5
.LBB500_458:                            ;   in Loop: Header=BB500_392 Depth=2
	s_or_b64 exec, exec, s[36:37]
	v_xor_b32_e32 v210, 0x7fffffff, v63
	v_lshrrev_b32_e32 v5, s93, v210
	v_and_b32_e32 v60, s94, v5
	v_mul_u32_u24_e32 v5, 5, v60
	v_add_lshl_u32 v5, v5, v150, 2
	; wave barrier
	v_add_u32_e32 v213, 0x410, v5
	ds_read_b32 v212, v5 offset:1040
	v_and_b32_e32 v5, 1, v60
	v_add_co_u32_e32 v61, vcc, -1, v5
	v_addc_co_u32_e64 v62, s[36:37], 0, -1, vcc
	v_cmp_ne_u32_e32 vcc, 0, v5
	v_xor_b32_e32 v5, vcc_hi, v62
	v_and_b32_e32 v62, exec_hi, v5
	v_lshlrev_b32_e32 v5, 30, v60
	v_xor_b32_e32 v61, vcc_lo, v61
	v_cmp_gt_i64_e32 vcc, 0, v[4:5]
	v_not_b32_e32 v5, v5
	v_ashrrev_i32_e32 v5, 31, v5
	v_and_b32_e32 v61, exec_lo, v61
	v_xor_b32_e32 v63, vcc_hi, v5
	v_xor_b32_e32 v5, vcc_lo, v5
	v_and_b32_e32 v61, v61, v5
	v_lshlrev_b32_e32 v5, 29, v60
	v_cmp_gt_i64_e32 vcc, 0, v[4:5]
	v_not_b32_e32 v5, v5
	v_ashrrev_i32_e32 v5, 31, v5
	v_and_b32_e32 v62, v62, v63
	v_xor_b32_e32 v63, vcc_hi, v5
	v_xor_b32_e32 v5, vcc_lo, v5
	v_and_b32_e32 v61, v61, v5
	v_lshlrev_b32_e32 v5, 28, v60
	v_cmp_gt_i64_e32 vcc, 0, v[4:5]
	v_not_b32_e32 v5, v5
	v_ashrrev_i32_e32 v5, 31, v5
	v_and_b32_e32 v62, v62, v63
	;; [unrolled: 8-line block ×5, first 2 shown]
	v_xor_b32_e32 v63, vcc_hi, v5
	v_xor_b32_e32 v5, vcc_lo, v5
	v_and_b32_e32 v62, v62, v63
	v_and_b32_e32 v63, v61, v5
	v_lshlrev_b32_e32 v5, 24, v60
	v_cmp_gt_i64_e32 vcc, 0, v[4:5]
	v_not_b32_e32 v5, v5
	v_ashrrev_i32_e32 v5, 31, v5
	v_xor_b32_e32 v60, vcc_hi, v5
	v_xor_b32_e32 v5, vcc_lo, v5
	v_and_b32_e32 v61, v62, v60
	v_and_b32_e32 v60, v63, v5
	v_mbcnt_lo_u32_b32 v5, v60, 0
	v_mbcnt_hi_u32_b32 v214, v61, v5
	v_cmp_eq_u32_e32 vcc, 0, v214
	v_cmp_ne_u64_e64 s[36:37], 0, v[60:61]
	s_and_b64 s[38:39], s[36:37], vcc
	; wave barrier
	s_and_saveexec_b64 s[36:37], s[38:39]
	s_cbranch_execz .LBB500_460
; %bb.459:                              ;   in Loop: Header=BB500_392 Depth=2
	v_bcnt_u32_b32 v5, v60, 0
	v_bcnt_u32_b32 v5, v61, v5
	s_waitcnt lgkmcnt(0)
	v_add_u32_e32 v5, v212, v5
	ds_write_b32 v213, v5
.LBB500_460:                            ;   in Loop: Header=BB500_392 Depth=2
	s_or_b64 exec, exec, s[36:37]
	; wave barrier
	s_waitcnt lgkmcnt(0)
	s_barrier
	ds_read_b32 v5, v64 offset:1040
	ds_read2_b32 v[62:63], v66 offset0:1 offset1:2
	ds_read2_b32 v[60:61], v66 offset0:3 offset1:4
	s_waitcnt lgkmcnt(1)
	v_add3_u32 v215, v62, v5, v63
	s_waitcnt lgkmcnt(0)
	v_add3_u32 v61, v215, v60, v61
	s_nop 1
	v_mov_b32_dpp v215, v61 row_shr:1 row_mask:0xf bank_mask:0xf
	v_cndmask_b32_e64 v215, v215, 0, s[16:17]
	v_add_u32_e32 v61, v215, v61
	s_nop 1
	v_mov_b32_dpp v215, v61 row_shr:2 row_mask:0xf bank_mask:0xf
	v_cndmask_b32_e64 v215, 0, v215, s[18:19]
	v_add_u32_e32 v61, v61, v215
	;; [unrolled: 4-line block ×4, first 2 shown]
	s_nop 1
	v_mov_b32_dpp v215, v61 row_bcast:15 row_mask:0xf bank_mask:0xf
	v_cndmask_b32_e64 v215, v215, 0, s[24:25]
	v_add_u32_e32 v61, v61, v215
	s_nop 1
	v_mov_b32_dpp v215, v61 row_bcast:31 row_mask:0xf bank_mask:0xf
	v_cndmask_b32_e64 v215, 0, v215, s[26:27]
	v_add_u32_e32 v61, v61, v215
	s_and_saveexec_b64 s[36:37], s[6:7]
	s_cbranch_execz .LBB500_462
; %bb.461:                              ;   in Loop: Header=BB500_392 Depth=2
	ds_write_b32 v19, v61 offset:1024
.LBB500_462:                            ;   in Loop: Header=BB500_392 Depth=2
	s_or_b64 exec, exec, s[36:37]
	s_waitcnt lgkmcnt(0)
	s_barrier
	s_and_saveexec_b64 s[36:37], s[8:9]
	s_cbranch_execz .LBB500_464
; %bb.463:                              ;   in Loop: Header=BB500_392 Depth=2
	v_add_u32_e32 v215, v64, v67
	ds_read_b32 v216, v215 offset:1024
	s_waitcnt lgkmcnt(0)
	s_nop 0
	v_mov_b32_dpp v217, v216 row_shr:1 row_mask:0xf bank_mask:0xf
	v_cndmask_b32_e64 v217, v217, 0, s[30:31]
	v_add_u32_e32 v216, v217, v216
	s_nop 1
	v_mov_b32_dpp v217, v216 row_shr:2 row_mask:0xf bank_mask:0xf
	v_cndmask_b32_e64 v217, 0, v217, s[34:35]
	v_add_u32_e32 v216, v216, v217
	ds_write_b32 v215, v216 offset:1024
.LBB500_464:                            ;   in Loop: Header=BB500_392 Depth=2
	s_or_b64 exec, exec, s[36:37]
	v_mov_b32_e32 v215, 0
	s_waitcnt lgkmcnt(0)
	s_barrier
	s_and_saveexec_b64 s[36:37], s[10:11]
	s_cbranch_execz .LBB500_466
; %bb.465:                              ;   in Loop: Header=BB500_392 Depth=2
	ds_read_b32 v215, v19 offset:1020
.LBB500_466:                            ;   in Loop: Header=BB500_392 Depth=2
	s_or_b64 exec, exec, s[36:37]
	s_waitcnt lgkmcnt(0)
	v_add_u32_e32 v61, v215, v61
	ds_bpermute_b32 v61, v127, v61
	s_waitcnt lgkmcnt(0)
	v_cndmask_b32_e64 v61, v61, v215, s[28:29]
	v_cndmask_b32_e64 v61, v61, 0, s[12:13]
	v_add_u32_e32 v5, v61, v5
	ds_write_b32 v64, v61 offset:1040
	v_add_u32_e32 v61, v5, v62
	v_add_u32_e32 v62, v61, v63
	ds_write2_b32 v66, v5, v61 offset0:1 offset1:2
	v_add_u32_e32 v5, v62, v60
	ds_write2_b32 v66, v62, v5 offset0:3 offset1:4
	s_waitcnt lgkmcnt(0)
	s_barrier
	ds_read_b32 v60, v157
	ds_read_b32 v61, v162
	;; [unrolled: 1-line block ×16, first 2 shown]
	ds_read_b32 v158, v64 offset:1040
	v_mov_b32_e32 v5, 0x1000
	s_and_saveexec_b64 s[36:37], s[14:15]
	s_cbranch_execz .LBB500_468
; %bb.467:                              ;   in Loop: Header=BB500_392 Depth=2
	ds_read_b32 v5, v64 offset:1060
.LBB500_468:                            ;   in Loop: Header=BB500_392 Depth=2
	s_or_b64 exec, exec, s[36:37]
	s_waitcnt lgkmcnt(0)
	s_barrier
	s_and_saveexec_b64 s[36:37], s[4:5]
	s_cbranch_execz .LBB500_470
; %bb.469:                              ;   in Loop: Header=BB500_392 Depth=2
	ds_read_b32 v163, v3
	s_waitcnt lgkmcnt(0)
	v_sub_u32_e32 v158, v163, v158
	ds_write_b32 v3, v158
.LBB500_470:                            ;   in Loop: Header=BB500_392 Depth=2
	s_or_b64 exec, exec, s[36:37]
	v_add_u32_e32 v172, v153, v155
	v_add3_u32 v168, v160, v156, v60
	v_lshlrev_b32_e32 v60, 2, v172
	v_add3_u32 v167, v165, v161, v61
	ds_write_b32 v60, v152 offset:1024
	v_lshlrev_b32_e32 v60, 2, v168
	v_add3_u32 v166, v170, v166, v62
	ds_write_b32 v60, v154 offset:1024
	;; [unrolled: 3-line block ×14, first 2 shown]
	v_lshlrev_b32_e32 v60, 2, v63
	ds_write_b32 v60, v206 offset:1024
	v_lshlrev_b32_e32 v60, 2, v62
	v_cmp_lt_u32_e64 s[36:37], v2, v151
	ds_write_b32 v60, v210 offset:1024
	s_waitcnt lgkmcnt(0)
	s_barrier
	s_and_saveexec_b64 s[38:39], s[36:37]
	s_cbranch_execz .LBB500_486
; %bb.471:                              ;   in Loop: Header=BB500_392 Depth=2
	v_add_u32_e32 v60, v64, v67
	ds_read_b32 v60, v60 offset:1024
	v_mov_b32_e32 v154, s77
	s_waitcnt lgkmcnt(0)
	v_lshrrev_b32_e32 v61, s93, v60
	v_and_b32_e32 v61, s94, v61
	v_lshlrev_b32_e32 v61, 2, v61
	ds_read_b32 v152, v61
	v_mov_b32_e32 v61, v4
	v_xor_b32_e32 v159, 0x7fffffff, v60
	s_waitcnt lgkmcnt(0)
	v_add_u32_e32 v60, v152, v2
	v_lshlrev_b64 v[60:61], 2, v[60:61]
	v_add_co_u32_e32 v60, vcc, s76, v60
	v_addc_co_u32_e32 v61, vcc, v154, v61, vcc
	global_store_dword v[60:61], v159, off
	s_or_b64 exec, exec, s[38:39]
	v_cmp_lt_u32_e64 s[38:39], v7, v151
	s_and_saveexec_b64 s[40:41], s[38:39]
	s_cbranch_execnz .LBB500_487
.LBB500_472:                            ;   in Loop: Header=BB500_392 Depth=2
	s_or_b64 exec, exec, s[40:41]
	v_cmp_lt_u32_e64 s[40:41], v9, v151
	s_and_saveexec_b64 s[42:43], s[40:41]
	s_cbranch_execz .LBB500_488
.LBB500_473:                            ;   in Loop: Header=BB500_392 Depth=2
	ds_read_b32 v60, v72 offset:2048
	v_mov_b32_e32 v154, s77
	s_waitcnt lgkmcnt(0)
	v_lshrrev_b32_e32 v61, s93, v60
	v_and_b32_e32 v61, s94, v61
	v_lshlrev_b32_e32 v61, 2, v61
	ds_read_b32 v152, v61
	v_mov_b32_e32 v61, v4
	v_xor_b32_e32 v159, 0x7fffffff, v60
	s_waitcnt lgkmcnt(0)
	v_add_u32_e32 v60, v152, v9
	v_lshlrev_b64 v[60:61], 2, v[60:61]
	v_add_co_u32_e32 v60, vcc, s76, v60
	v_addc_co_u32_e32 v61, vcc, v154, v61, vcc
	global_store_dword v[60:61], v159, off
	s_or_b64 exec, exec, s[42:43]
	v_cmp_lt_u32_e64 s[42:43], v11, v151
	s_and_saveexec_b64 s[44:45], s[42:43]
	s_cbranch_execnz .LBB500_489
.LBB500_474:                            ;   in Loop: Header=BB500_392 Depth=2
	s_or_b64 exec, exec, s[44:45]
	v_cmp_lt_u32_e64 s[44:45], v6, v151
	s_and_saveexec_b64 s[46:47], s[44:45]
	s_cbranch_execz .LBB500_490
.LBB500_475:                            ;   in Loop: Header=BB500_392 Depth=2
	ds_read_b32 v60, v72 offset:4096
	v_mov_b32_e32 v154, s77
	s_waitcnt lgkmcnt(0)
	v_lshrrev_b32_e32 v61, s93, v60
	v_and_b32_e32 v61, s94, v61
	v_lshlrev_b32_e32 v61, 2, v61
	ds_read_b32 v152, v61
	v_mov_b32_e32 v61, v4
	v_xor_b32_e32 v159, 0x7fffffff, v60
	s_waitcnt lgkmcnt(0)
	v_add_u32_e32 v60, v152, v6
	v_lshlrev_b64 v[60:61], 2, v[60:61]
	v_add_co_u32_e32 v60, vcc, s76, v60
	v_addc_co_u32_e32 v61, vcc, v154, v61, vcc
	global_store_dword v[60:61], v159, off
	s_or_b64 exec, exec, s[46:47]
	v_cmp_lt_u32_e64 s[46:47], v8, v151
	s_and_saveexec_b64 s[48:49], s[46:47]
	s_cbranch_execnz .LBB500_491
.LBB500_476:                            ;   in Loop: Header=BB500_392 Depth=2
	s_or_b64 exec, exec, s[48:49]
	v_cmp_lt_u32_e64 s[48:49], v10, v151
	s_and_saveexec_b64 s[50:51], s[48:49]
	s_cbranch_execz .LBB500_492
.LBB500_477:                            ;   in Loop: Header=BB500_392 Depth=2
	ds_read_b32 v60, v72 offset:6144
	v_mov_b32_e32 v154, s77
	s_waitcnt lgkmcnt(0)
	v_lshrrev_b32_e32 v61, s93, v60
	v_and_b32_e32 v61, s94, v61
	v_lshlrev_b32_e32 v61, 2, v61
	ds_read_b32 v152, v61
	v_mov_b32_e32 v61, v4
	v_xor_b32_e32 v159, 0x7fffffff, v60
	s_waitcnt lgkmcnt(0)
	v_add_u32_e32 v60, v152, v10
	v_lshlrev_b64 v[60:61], 2, v[60:61]
	v_add_co_u32_e32 v60, vcc, s76, v60
	v_addc_co_u32_e32 v61, vcc, v154, v61, vcc
	global_store_dword v[60:61], v159, off
	s_or_b64 exec, exec, s[50:51]
	v_cmp_lt_u32_e64 s[50:51], v12, v151
	s_and_saveexec_b64 s[52:53], s[50:51]
	s_cbranch_execnz .LBB500_493
.LBB500_478:                            ;   in Loop: Header=BB500_392 Depth=2
	s_or_b64 exec, exec, s[52:53]
	v_cmp_lt_u32_e64 s[52:53], v14, v151
	s_and_saveexec_b64 s[54:55], s[52:53]
	s_cbranch_execz .LBB500_494
.LBB500_479:                            ;   in Loop: Header=BB500_392 Depth=2
	ds_read_b32 v60, v72 offset:8192
	v_mov_b32_e32 v154, s77
	s_waitcnt lgkmcnt(0)
	v_lshrrev_b32_e32 v61, s93, v60
	v_and_b32_e32 v61, s94, v61
	v_lshlrev_b32_e32 v61, 2, v61
	ds_read_b32 v152, v61
	v_mov_b32_e32 v61, v4
	v_xor_b32_e32 v159, 0x7fffffff, v60
	s_waitcnt lgkmcnt(0)
	v_add_u32_e32 v60, v152, v14
	v_lshlrev_b64 v[60:61], 2, v[60:61]
	v_add_co_u32_e32 v60, vcc, s76, v60
	v_addc_co_u32_e32 v61, vcc, v154, v61, vcc
	global_store_dword v[60:61], v159, off
	s_or_b64 exec, exec, s[54:55]
	v_cmp_lt_u32_e64 s[54:55], v16, v151
	s_and_saveexec_b64 s[56:57], s[54:55]
	s_cbranch_execnz .LBB500_495
.LBB500_480:                            ;   in Loop: Header=BB500_392 Depth=2
	s_or_b64 exec, exec, s[56:57]
	v_cmp_lt_u32_e64 s[56:57], v18, v151
	s_and_saveexec_b64 s[58:59], s[56:57]
	s_cbranch_execz .LBB500_496
.LBB500_481:                            ;   in Loop: Header=BB500_392 Depth=2
	ds_read_b32 v60, v72 offset:10240
	v_mov_b32_e32 v154, s77
	s_waitcnt lgkmcnt(0)
	v_lshrrev_b32_e32 v61, s93, v60
	v_and_b32_e32 v61, s94, v61
	v_lshlrev_b32_e32 v61, 2, v61
	ds_read_b32 v152, v61
	v_mov_b32_e32 v61, v4
	v_xor_b32_e32 v159, 0x7fffffff, v60
	s_waitcnt lgkmcnt(0)
	v_add_u32_e32 v60, v152, v18
	v_lshlrev_b64 v[60:61], 2, v[60:61]
	v_add_co_u32_e32 v60, vcc, s76, v60
	v_addc_co_u32_e32 v61, vcc, v154, v61, vcc
	global_store_dword v[60:61], v159, off
	s_or_b64 exec, exec, s[58:59]
	v_cmp_lt_u32_e64 s[58:59], v20, v151
	s_and_saveexec_b64 s[60:61], s[58:59]
	s_cbranch_execnz .LBB500_497
.LBB500_482:                            ;   in Loop: Header=BB500_392 Depth=2
	s_or_b64 exec, exec, s[60:61]
	v_cmp_lt_u32_e64 s[60:61], v22, v151
	s_and_saveexec_b64 s[62:63], s[60:61]
	s_cbranch_execz .LBB500_498
.LBB500_483:                            ;   in Loop: Header=BB500_392 Depth=2
	ds_read_b32 v60, v72 offset:12288
	v_mov_b32_e32 v154, s77
	s_waitcnt lgkmcnt(0)
	v_lshrrev_b32_e32 v61, s93, v60
	v_and_b32_e32 v61, s94, v61
	v_lshlrev_b32_e32 v61, 2, v61
	ds_read_b32 v152, v61
	v_mov_b32_e32 v61, v4
	v_xor_b32_e32 v159, 0x7fffffff, v60
	s_waitcnt lgkmcnt(0)
	v_add_u32_e32 v60, v152, v22
	v_lshlrev_b64 v[60:61], 2, v[60:61]
	v_add_co_u32_e32 v60, vcc, s76, v60
	v_addc_co_u32_e32 v61, vcc, v154, v61, vcc
	global_store_dword v[60:61], v159, off
	s_or_b64 exec, exec, s[62:63]
	v_cmp_lt_u32_e64 s[62:63], v24, v151
	s_and_saveexec_b64 s[64:65], s[62:63]
	s_cbranch_execnz .LBB500_499
.LBB500_484:                            ;   in Loop: Header=BB500_392 Depth=2
	s_or_b64 exec, exec, s[64:65]
	v_cmp_lt_u32_e64 s[64:65], v26, v151
	s_and_saveexec_b64 s[66:67], s[64:65]
	s_cbranch_execz .LBB500_500
.LBB500_485:                            ;   in Loop: Header=BB500_392 Depth=2
	ds_read_b32 v60, v72 offset:14336
	v_mov_b32_e32 v154, s77
	s_waitcnt lgkmcnt(0)
	v_lshrrev_b32_e32 v61, s93, v60
	v_and_b32_e32 v61, s94, v61
	v_lshlrev_b32_e32 v61, 2, v61
	ds_read_b32 v152, v61
	v_mov_b32_e32 v61, v4
	v_xor_b32_e32 v159, 0x7fffffff, v60
	s_waitcnt lgkmcnt(0)
	v_add_u32_e32 v60, v152, v26
	v_lshlrev_b64 v[60:61], 2, v[60:61]
	v_add_co_u32_e32 v60, vcc, s76, v60
	v_addc_co_u32_e32 v61, vcc, v154, v61, vcc
	global_store_dword v[60:61], v159, off
	s_or_b64 exec, exec, s[66:67]
	v_cmp_lt_u32_e64 s[66:67], v28, v151
	s_and_saveexec_b64 s[78:79], s[66:67]
	s_cbranch_execnz .LBB500_501
	s_branch .LBB500_502
.LBB500_486:                            ;   in Loop: Header=BB500_392 Depth=2
	s_or_b64 exec, exec, s[38:39]
	v_cmp_lt_u32_e64 s[38:39], v7, v151
	s_and_saveexec_b64 s[40:41], s[38:39]
	s_cbranch_execz .LBB500_472
.LBB500_487:                            ;   in Loop: Header=BB500_392 Depth=2
	ds_read_b32 v60, v72 offset:1024
	v_mov_b32_e32 v154, s77
	s_waitcnt lgkmcnt(0)
	v_lshrrev_b32_e32 v61, s93, v60
	v_and_b32_e32 v61, s94, v61
	v_lshlrev_b32_e32 v61, 2, v61
	ds_read_b32 v152, v61
	v_mov_b32_e32 v61, v4
	v_xor_b32_e32 v159, 0x7fffffff, v60
	s_waitcnt lgkmcnt(0)
	v_add_u32_e32 v60, v152, v7
	v_lshlrev_b64 v[60:61], 2, v[60:61]
	v_add_co_u32_e32 v60, vcc, s76, v60
	v_addc_co_u32_e32 v61, vcc, v154, v61, vcc
	global_store_dword v[60:61], v159, off
	s_or_b64 exec, exec, s[40:41]
	v_cmp_lt_u32_e64 s[40:41], v9, v151
	s_and_saveexec_b64 s[42:43], s[40:41]
	s_cbranch_execnz .LBB500_473
.LBB500_488:                            ;   in Loop: Header=BB500_392 Depth=2
	s_or_b64 exec, exec, s[42:43]
	v_cmp_lt_u32_e64 s[42:43], v11, v151
	s_and_saveexec_b64 s[44:45], s[42:43]
	s_cbranch_execz .LBB500_474
.LBB500_489:                            ;   in Loop: Header=BB500_392 Depth=2
	ds_read_b32 v60, v72 offset:3072
	v_mov_b32_e32 v154, s77
	s_waitcnt lgkmcnt(0)
	v_lshrrev_b32_e32 v61, s93, v60
	v_and_b32_e32 v61, s94, v61
	v_lshlrev_b32_e32 v61, 2, v61
	ds_read_b32 v152, v61
	v_mov_b32_e32 v61, v4
	v_xor_b32_e32 v159, 0x7fffffff, v60
	s_waitcnt lgkmcnt(0)
	v_add_u32_e32 v60, v152, v11
	v_lshlrev_b64 v[60:61], 2, v[60:61]
	v_add_co_u32_e32 v60, vcc, s76, v60
	v_addc_co_u32_e32 v61, vcc, v154, v61, vcc
	global_store_dword v[60:61], v159, off
	s_or_b64 exec, exec, s[44:45]
	v_cmp_lt_u32_e64 s[44:45], v6, v151
	s_and_saveexec_b64 s[46:47], s[44:45]
	s_cbranch_execnz .LBB500_475
.LBB500_490:                            ;   in Loop: Header=BB500_392 Depth=2
	s_or_b64 exec, exec, s[46:47]
	v_cmp_lt_u32_e64 s[46:47], v8, v151
	s_and_saveexec_b64 s[48:49], s[46:47]
	s_cbranch_execz .LBB500_476
.LBB500_491:                            ;   in Loop: Header=BB500_392 Depth=2
	ds_read_b32 v60, v72 offset:5120
	v_mov_b32_e32 v154, s77
	s_waitcnt lgkmcnt(0)
	v_lshrrev_b32_e32 v61, s93, v60
	v_and_b32_e32 v61, s94, v61
	v_lshlrev_b32_e32 v61, 2, v61
	ds_read_b32 v152, v61
	v_mov_b32_e32 v61, v4
	v_xor_b32_e32 v159, 0x7fffffff, v60
	s_waitcnt lgkmcnt(0)
	v_add_u32_e32 v60, v152, v8
	v_lshlrev_b64 v[60:61], 2, v[60:61]
	v_add_co_u32_e32 v60, vcc, s76, v60
	v_addc_co_u32_e32 v61, vcc, v154, v61, vcc
	global_store_dword v[60:61], v159, off
	s_or_b64 exec, exec, s[48:49]
	v_cmp_lt_u32_e64 s[48:49], v10, v151
	s_and_saveexec_b64 s[50:51], s[48:49]
	s_cbranch_execnz .LBB500_477
.LBB500_492:                            ;   in Loop: Header=BB500_392 Depth=2
	s_or_b64 exec, exec, s[50:51]
	v_cmp_lt_u32_e64 s[50:51], v12, v151
	s_and_saveexec_b64 s[52:53], s[50:51]
	s_cbranch_execz .LBB500_478
.LBB500_493:                            ;   in Loop: Header=BB500_392 Depth=2
	ds_read_b32 v60, v72 offset:7168
	v_mov_b32_e32 v154, s77
	s_waitcnt lgkmcnt(0)
	v_lshrrev_b32_e32 v61, s93, v60
	v_and_b32_e32 v61, s94, v61
	v_lshlrev_b32_e32 v61, 2, v61
	ds_read_b32 v152, v61
	v_mov_b32_e32 v61, v4
	v_xor_b32_e32 v159, 0x7fffffff, v60
	s_waitcnt lgkmcnt(0)
	v_add_u32_e32 v60, v152, v12
	v_lshlrev_b64 v[60:61], 2, v[60:61]
	v_add_co_u32_e32 v60, vcc, s76, v60
	v_addc_co_u32_e32 v61, vcc, v154, v61, vcc
	global_store_dword v[60:61], v159, off
	s_or_b64 exec, exec, s[52:53]
	v_cmp_lt_u32_e64 s[52:53], v14, v151
	s_and_saveexec_b64 s[54:55], s[52:53]
	s_cbranch_execnz .LBB500_479
.LBB500_494:                            ;   in Loop: Header=BB500_392 Depth=2
	s_or_b64 exec, exec, s[54:55]
	v_cmp_lt_u32_e64 s[54:55], v16, v151
	s_and_saveexec_b64 s[56:57], s[54:55]
	s_cbranch_execz .LBB500_480
.LBB500_495:                            ;   in Loop: Header=BB500_392 Depth=2
	ds_read_b32 v60, v72 offset:9216
	v_mov_b32_e32 v154, s77
	s_waitcnt lgkmcnt(0)
	v_lshrrev_b32_e32 v61, s93, v60
	v_and_b32_e32 v61, s94, v61
	v_lshlrev_b32_e32 v61, 2, v61
	ds_read_b32 v152, v61
	v_mov_b32_e32 v61, v4
	v_xor_b32_e32 v159, 0x7fffffff, v60
	s_waitcnt lgkmcnt(0)
	v_add_u32_e32 v60, v152, v16
	v_lshlrev_b64 v[60:61], 2, v[60:61]
	v_add_co_u32_e32 v60, vcc, s76, v60
	v_addc_co_u32_e32 v61, vcc, v154, v61, vcc
	global_store_dword v[60:61], v159, off
	s_or_b64 exec, exec, s[56:57]
	v_cmp_lt_u32_e64 s[56:57], v18, v151
	s_and_saveexec_b64 s[58:59], s[56:57]
	s_cbranch_execnz .LBB500_481
.LBB500_496:                            ;   in Loop: Header=BB500_392 Depth=2
	s_or_b64 exec, exec, s[58:59]
	v_cmp_lt_u32_e64 s[58:59], v20, v151
	s_and_saveexec_b64 s[60:61], s[58:59]
	s_cbranch_execz .LBB500_482
.LBB500_497:                            ;   in Loop: Header=BB500_392 Depth=2
	ds_read_b32 v60, v72 offset:11264
	v_mov_b32_e32 v154, s77
	s_waitcnt lgkmcnt(0)
	v_lshrrev_b32_e32 v61, s93, v60
	v_and_b32_e32 v61, s94, v61
	v_lshlrev_b32_e32 v61, 2, v61
	ds_read_b32 v152, v61
	v_mov_b32_e32 v61, v4
	v_xor_b32_e32 v159, 0x7fffffff, v60
	s_waitcnt lgkmcnt(0)
	v_add_u32_e32 v60, v152, v20
	v_lshlrev_b64 v[60:61], 2, v[60:61]
	v_add_co_u32_e32 v60, vcc, s76, v60
	v_addc_co_u32_e32 v61, vcc, v154, v61, vcc
	global_store_dword v[60:61], v159, off
	s_or_b64 exec, exec, s[60:61]
	v_cmp_lt_u32_e64 s[60:61], v22, v151
	s_and_saveexec_b64 s[62:63], s[60:61]
	s_cbranch_execnz .LBB500_483
.LBB500_498:                            ;   in Loop: Header=BB500_392 Depth=2
	s_or_b64 exec, exec, s[62:63]
	v_cmp_lt_u32_e64 s[62:63], v24, v151
	s_and_saveexec_b64 s[64:65], s[62:63]
	s_cbranch_execz .LBB500_484
.LBB500_499:                            ;   in Loop: Header=BB500_392 Depth=2
	ds_read_b32 v60, v72 offset:13312
	v_mov_b32_e32 v154, s77
	s_waitcnt lgkmcnt(0)
	v_lshrrev_b32_e32 v61, s93, v60
	v_and_b32_e32 v61, s94, v61
	v_lshlrev_b32_e32 v61, 2, v61
	ds_read_b32 v152, v61
	v_mov_b32_e32 v61, v4
	v_xor_b32_e32 v159, 0x7fffffff, v60
	s_waitcnt lgkmcnt(0)
	v_add_u32_e32 v60, v152, v24
	v_lshlrev_b64 v[60:61], 2, v[60:61]
	v_add_co_u32_e32 v60, vcc, s76, v60
	v_addc_co_u32_e32 v61, vcc, v154, v61, vcc
	global_store_dword v[60:61], v159, off
	s_or_b64 exec, exec, s[64:65]
	v_cmp_lt_u32_e64 s[64:65], v26, v151
	s_and_saveexec_b64 s[66:67], s[64:65]
	s_cbranch_execnz .LBB500_485
.LBB500_500:                            ;   in Loop: Header=BB500_392 Depth=2
	s_or_b64 exec, exec, s[66:67]
	v_cmp_lt_u32_e64 s[66:67], v28, v151
	s_and_saveexec_b64 s[78:79], s[66:67]
	s_cbranch_execz .LBB500_502
.LBB500_501:                            ;   in Loop: Header=BB500_392 Depth=2
	ds_read_b32 v60, v72 offset:15360
	v_mov_b32_e32 v154, s77
	s_waitcnt lgkmcnt(0)
	v_lshrrev_b32_e32 v61, s93, v60
	v_and_b32_e32 v61, s94, v61
	v_lshlrev_b32_e32 v61, 2, v61
	ds_read_b32 v152, v61
	v_mov_b32_e32 v61, v4
	v_xor_b32_e32 v159, 0x7fffffff, v60
	s_waitcnt lgkmcnt(0)
	v_add_u32_e32 v60, v152, v28
	v_lshlrev_b64 v[60:61], 2, v[60:61]
	v_add_co_u32_e32 v60, vcc, s76, v60
	v_addc_co_u32_e32 v61, vcc, v154, v61, vcc
	global_store_dword v[60:61], v159, off
.LBB500_502:                            ;   in Loop: Header=BB500_392 Depth=2
	s_or_b64 exec, exec, s[78:79]
	s_lshl_b64 s[78:79], s[88:89], 3
	v_mov_b32_e32 v61, s79
	v_add_co_u32_e32 v60, vcc, s78, v128
	v_addc_co_u32_e32 v61, vcc, v129, v61, vcc
	v_cmp_lt_u32_e32 vcc, v109, v151
	s_and_saveexec_b64 s[78:79], vcc
	s_xor_b64 s[78:79], exec, s[78:79]
	s_cbranch_execz .LBB500_534
; %bb.503:                              ;   in Loop: Header=BB500_392 Depth=2
	global_load_dwordx2 v[58:59], v[60:61], off
	s_or_b64 exec, exec, s[78:79]
	v_cmp_lt_u32_e32 vcc, v110, v151
	s_and_saveexec_b64 s[78:79], vcc
	s_cbranch_execnz .LBB500_535
.LBB500_504:                            ;   in Loop: Header=BB500_392 Depth=2
	s_or_b64 exec, exec, s[78:79]
	v_cmp_lt_u32_e32 vcc, v111, v151
	s_and_saveexec_b64 s[78:79], vcc
	s_cbranch_execz .LBB500_536
.LBB500_505:                            ;   in Loop: Header=BB500_392 Depth=2
	global_load_dwordx2 v[54:55], v[60:61], off offset:1024
	s_or_b64 exec, exec, s[78:79]
	v_cmp_lt_u32_e32 vcc, v112, v151
	s_and_saveexec_b64 s[78:79], vcc
	s_cbranch_execnz .LBB500_537
.LBB500_506:                            ;   in Loop: Header=BB500_392 Depth=2
	s_or_b64 exec, exec, s[78:79]
	v_cmp_lt_u32_e32 vcc, v113, v151
	s_and_saveexec_b64 s[78:79], vcc
	s_cbranch_execz .LBB500_538
.LBB500_507:                            ;   in Loop: Header=BB500_392 Depth=2
	global_load_dwordx2 v[46:47], v[60:61], off offset:2048
	s_or_b64 exec, exec, s[78:79]
	v_cmp_lt_u32_e32 vcc, v114, v151
	s_and_saveexec_b64 s[78:79], vcc
	s_cbranch_execnz .LBB500_539
.LBB500_508:                            ;   in Loop: Header=BB500_392 Depth=2
	s_or_b64 exec, exec, s[78:79]
	v_cmp_lt_u32_e32 vcc, v115, v151
	s_and_saveexec_b64 s[78:79], vcc
	s_cbranch_execz .LBB500_540
.LBB500_509:                            ;   in Loop: Header=BB500_392 Depth=2
	global_load_dwordx2 v[38:39], v[60:61], off offset:3072
	s_or_b64 exec, exec, s[78:79]
	v_cmp_lt_u32_e32 vcc, v116, v151
	s_and_saveexec_b64 s[78:79], vcc
	s_cbranch_execnz .LBB500_541
.LBB500_510:                            ;   in Loop: Header=BB500_392 Depth=2
	s_or_b64 exec, exec, s[78:79]
	v_cmp_lt_u32_e32 vcc, v117, v151
	s_and_saveexec_b64 s[78:79], vcc
	s_cbranch_execz .LBB500_542
.LBB500_511:                            ;   in Loop: Header=BB500_392 Depth=2
	v_add_co_u32_e32 v52, vcc, 0x1000, v60
	v_addc_co_u32_e32 v53, vcc, 0, v61, vcc
	global_load_dwordx2 v[52:53], v[52:53], off
	s_or_b64 exec, exec, s[78:79]
	v_cmp_lt_u32_e32 vcc, v118, v151
	s_and_saveexec_b64 s[78:79], vcc
	s_cbranch_execnz .LBB500_543
.LBB500_512:                            ;   in Loop: Header=BB500_392 Depth=2
	s_or_b64 exec, exec, s[78:79]
	v_cmp_lt_u32_e32 vcc, v119, v151
	s_and_saveexec_b64 s[78:79], vcc
	s_cbranch_execz .LBB500_544
.LBB500_513:                            ;   in Loop: Header=BB500_392 Depth=2
	v_add_co_u32_e32 v44, vcc, 0x1000, v60
	v_addc_co_u32_e32 v45, vcc, 0, v61, vcc
	global_load_dwordx2 v[44:45], v[44:45], off offset:1024
	s_or_b64 exec, exec, s[78:79]
	v_cmp_lt_u32_e32 vcc, v120, v151
	s_and_saveexec_b64 s[78:79], vcc
	s_cbranch_execnz .LBB500_545
.LBB500_514:                            ;   in Loop: Header=BB500_392 Depth=2
	s_or_b64 exec, exec, s[78:79]
	v_cmp_lt_u32_e32 vcc, v121, v151
	s_and_saveexec_b64 s[78:79], vcc
	s_cbranch_execz .LBB500_546
.LBB500_515:                            ;   in Loop: Header=BB500_392 Depth=2
	v_add_co_u32_e32 v36, vcc, 0x1000, v60
	v_addc_co_u32_e32 v37, vcc, 0, v61, vcc
	global_load_dwordx2 v[36:37], v[36:37], off offset:2048
	s_or_b64 exec, exec, s[78:79]
	v_cmp_lt_u32_e32 vcc, v122, v151
	s_and_saveexec_b64 s[78:79], vcc
	s_cbranch_execnz .LBB500_547
.LBB500_516:                            ;   in Loop: Header=BB500_392 Depth=2
	s_or_b64 exec, exec, s[78:79]
	v_cmp_lt_u32_e32 vcc, v123, v151
	s_and_saveexec_b64 s[78:79], vcc
	s_cbranch_execz .LBB500_548
.LBB500_517:                            ;   in Loop: Header=BB500_392 Depth=2
	v_add_co_u32_e32 v30, vcc, 0x1000, v60
	v_addc_co_u32_e32 v31, vcc, 0, v61, vcc
	global_load_dwordx2 v[30:31], v[30:31], off offset:3072
	s_or_b64 exec, exec, s[78:79]
	v_cmp_lt_u32_e32 vcc, v124, v151
	s_and_saveexec_b64 s[78:79], vcc
	s_cbranch_execnz .LBB500_549
.LBB500_518:                            ;   in Loop: Header=BB500_392 Depth=2
	s_or_b64 exec, exec, s[78:79]
	s_and_saveexec_b64 s[78:79], s[36:37]
	s_cbranch_execz .LBB500_550
.LBB500_519:                            ;   in Loop: Header=BB500_392 Depth=2
	v_add_u32_e32 v60, v64, v67
	ds_read_b32 v60, v60 offset:1024
	s_waitcnt lgkmcnt(0)
	v_lshrrev_b32_e32 v60, s93, v60
	v_and_b32_e32 v149, s94, v60
	s_or_b64 exec, exec, s[78:79]
	s_and_saveexec_b64 s[78:79], s[38:39]
	s_cbranch_execnz .LBB500_551
.LBB500_520:                            ;   in Loop: Header=BB500_392 Depth=2
	s_or_b64 exec, exec, s[78:79]
	s_and_saveexec_b64 s[78:79], s[40:41]
	s_cbranch_execz .LBB500_552
.LBB500_521:                            ;   in Loop: Header=BB500_392 Depth=2
	ds_read_b32 v60, v72 offset:2048
	s_waitcnt lgkmcnt(0)
	v_lshrrev_b32_e32 v60, s93, v60
	v_and_b32_e32 v146, s94, v60
	s_or_b64 exec, exec, s[78:79]
	s_and_saveexec_b64 s[78:79], s[42:43]
	s_cbranch_execnz .LBB500_553
.LBB500_522:                            ;   in Loop: Header=BB500_392 Depth=2
	s_or_b64 exec, exec, s[78:79]
	s_and_saveexec_b64 s[78:79], s[44:45]
	s_cbranch_execz .LBB500_554
.LBB500_523:                            ;   in Loop: Header=BB500_392 Depth=2
	ds_read_b32 v60, v72 offset:4096
	s_waitcnt lgkmcnt(0)
	v_lshrrev_b32_e32 v60, s93, v60
	v_and_b32_e32 v143, s94, v60
	s_or_b64 exec, exec, s[78:79]
	s_and_saveexec_b64 s[78:79], s[46:47]
	s_cbranch_execnz .LBB500_555
.LBB500_524:                            ;   in Loop: Header=BB500_392 Depth=2
	s_or_b64 exec, exec, s[78:79]
	s_and_saveexec_b64 s[78:79], s[48:49]
	s_cbranch_execz .LBB500_556
.LBB500_525:                            ;   in Loop: Header=BB500_392 Depth=2
	ds_read_b32 v60, v72 offset:6144
	s_waitcnt lgkmcnt(0)
	v_lshrrev_b32_e32 v60, s93, v60
	v_and_b32_e32 v141, s94, v60
	s_or_b64 exec, exec, s[78:79]
	s_and_saveexec_b64 s[78:79], s[50:51]
	s_cbranch_execnz .LBB500_557
.LBB500_526:                            ;   in Loop: Header=BB500_392 Depth=2
	s_or_b64 exec, exec, s[78:79]
	s_and_saveexec_b64 s[78:79], s[52:53]
	s_cbranch_execz .LBB500_558
.LBB500_527:                            ;   in Loop: Header=BB500_392 Depth=2
	ds_read_b32 v60, v72 offset:8192
	s_waitcnt lgkmcnt(0)
	v_lshrrev_b32_e32 v60, s93, v60
	v_and_b32_e32 v139, s94, v60
	s_or_b64 exec, exec, s[78:79]
	s_and_saveexec_b64 s[78:79], s[54:55]
	s_cbranch_execnz .LBB500_559
.LBB500_528:                            ;   in Loop: Header=BB500_392 Depth=2
	s_or_b64 exec, exec, s[78:79]
	s_and_saveexec_b64 s[78:79], s[56:57]
	s_cbranch_execz .LBB500_560
.LBB500_529:                            ;   in Loop: Header=BB500_392 Depth=2
	ds_read_b32 v60, v72 offset:10240
	s_waitcnt lgkmcnt(0)
	v_lshrrev_b32_e32 v60, s93, v60
	v_and_b32_e32 v137, s94, v60
	s_or_b64 exec, exec, s[78:79]
	s_and_saveexec_b64 s[78:79], s[58:59]
	s_cbranch_execnz .LBB500_561
.LBB500_530:                            ;   in Loop: Header=BB500_392 Depth=2
	s_or_b64 exec, exec, s[78:79]
	s_and_saveexec_b64 s[78:79], s[60:61]
	s_cbranch_execz .LBB500_562
.LBB500_531:                            ;   in Loop: Header=BB500_392 Depth=2
	ds_read_b32 v60, v72 offset:12288
	s_waitcnt lgkmcnt(0)
	v_lshrrev_b32_e32 v60, s93, v60
	v_and_b32_e32 v135, s94, v60
	s_or_b64 exec, exec, s[78:79]
	s_and_saveexec_b64 s[78:79], s[62:63]
	s_cbranch_execnz .LBB500_563
.LBB500_532:                            ;   in Loop: Header=BB500_392 Depth=2
	s_or_b64 exec, exec, s[78:79]
	s_and_saveexec_b64 s[78:79], s[64:65]
	s_cbranch_execz .LBB500_564
.LBB500_533:                            ;   in Loop: Header=BB500_392 Depth=2
	ds_read_b32 v60, v72 offset:14336
	s_waitcnt lgkmcnt(0)
	v_lshrrev_b32_e32 v60, s93, v60
	v_and_b32_e32 v133, s94, v60
	s_or_b64 exec, exec, s[78:79]
	s_and_saveexec_b64 s[78:79], s[66:67]
	s_cbranch_execnz .LBB500_565
	s_branch .LBB500_566
.LBB500_534:                            ;   in Loop: Header=BB500_392 Depth=2
	s_or_b64 exec, exec, s[78:79]
	v_cmp_lt_u32_e32 vcc, v110, v151
	s_and_saveexec_b64 s[78:79], vcc
	s_cbranch_execz .LBB500_504
.LBB500_535:                            ;   in Loop: Header=BB500_392 Depth=2
	global_load_dwordx2 v[56:57], v[60:61], off offset:512
	s_or_b64 exec, exec, s[78:79]
	v_cmp_lt_u32_e32 vcc, v111, v151
	s_and_saveexec_b64 s[78:79], vcc
	s_cbranch_execnz .LBB500_505
.LBB500_536:                            ;   in Loop: Header=BB500_392 Depth=2
	s_or_b64 exec, exec, s[78:79]
	v_cmp_lt_u32_e32 vcc, v112, v151
	s_and_saveexec_b64 s[78:79], vcc
	s_cbranch_execz .LBB500_506
.LBB500_537:                            ;   in Loop: Header=BB500_392 Depth=2
	global_load_dwordx2 v[50:51], v[60:61], off offset:1536
	s_or_b64 exec, exec, s[78:79]
	v_cmp_lt_u32_e32 vcc, v113, v151
	s_and_saveexec_b64 s[78:79], vcc
	s_cbranch_execnz .LBB500_507
.LBB500_538:                            ;   in Loop: Header=BB500_392 Depth=2
	s_or_b64 exec, exec, s[78:79]
	v_cmp_lt_u32_e32 vcc, v114, v151
	s_and_saveexec_b64 s[78:79], vcc
	s_cbranch_execz .LBB500_508
.LBB500_539:                            ;   in Loop: Header=BB500_392 Depth=2
	global_load_dwordx2 v[42:43], v[60:61], off offset:2560
	s_or_b64 exec, exec, s[78:79]
	v_cmp_lt_u32_e32 vcc, v115, v151
	s_and_saveexec_b64 s[78:79], vcc
	s_cbranch_execnz .LBB500_509
.LBB500_540:                            ;   in Loop: Header=BB500_392 Depth=2
	s_or_b64 exec, exec, s[78:79]
	v_cmp_lt_u32_e32 vcc, v116, v151
	s_and_saveexec_b64 s[78:79], vcc
	s_cbranch_execz .LBB500_510
.LBB500_541:                            ;   in Loop: Header=BB500_392 Depth=2
	global_load_dwordx2 v[34:35], v[60:61], off offset:3584
	s_or_b64 exec, exec, s[78:79]
	v_cmp_lt_u32_e32 vcc, v117, v151
	s_and_saveexec_b64 s[78:79], vcc
	s_cbranch_execnz .LBB500_511
.LBB500_542:                            ;   in Loop: Header=BB500_392 Depth=2
	s_or_b64 exec, exec, s[78:79]
	v_cmp_lt_u32_e32 vcc, v118, v151
	s_and_saveexec_b64 s[78:79], vcc
	s_cbranch_execz .LBB500_512
.LBB500_543:                            ;   in Loop: Header=BB500_392 Depth=2
	v_add_co_u32_e32 v48, vcc, 0x1000, v60
	v_addc_co_u32_e32 v49, vcc, 0, v61, vcc
	global_load_dwordx2 v[48:49], v[48:49], off offset:512
	s_or_b64 exec, exec, s[78:79]
	v_cmp_lt_u32_e32 vcc, v119, v151
	s_and_saveexec_b64 s[78:79], vcc
	s_cbranch_execnz .LBB500_513
.LBB500_544:                            ;   in Loop: Header=BB500_392 Depth=2
	s_or_b64 exec, exec, s[78:79]
	v_cmp_lt_u32_e32 vcc, v120, v151
	s_and_saveexec_b64 s[78:79], vcc
	s_cbranch_execz .LBB500_514
.LBB500_545:                            ;   in Loop: Header=BB500_392 Depth=2
	v_add_co_u32_e32 v40, vcc, 0x1000, v60
	v_addc_co_u32_e32 v41, vcc, 0, v61, vcc
	global_load_dwordx2 v[40:41], v[40:41], off offset:1536
	s_or_b64 exec, exec, s[78:79]
	v_cmp_lt_u32_e32 vcc, v121, v151
	s_and_saveexec_b64 s[78:79], vcc
	s_cbranch_execnz .LBB500_515
.LBB500_546:                            ;   in Loop: Header=BB500_392 Depth=2
	s_or_b64 exec, exec, s[78:79]
	v_cmp_lt_u32_e32 vcc, v122, v151
	s_and_saveexec_b64 s[78:79], vcc
	s_cbranch_execz .LBB500_516
.LBB500_547:                            ;   in Loop: Header=BB500_392 Depth=2
	v_add_co_u32_e32 v32, vcc, 0x1000, v60
	v_addc_co_u32_e32 v33, vcc, 0, v61, vcc
	global_load_dwordx2 v[32:33], v[32:33], off offset:2560
	s_or_b64 exec, exec, s[78:79]
	v_cmp_lt_u32_e32 vcc, v123, v151
	s_and_saveexec_b64 s[78:79], vcc
	s_cbranch_execnz .LBB500_517
.LBB500_548:                            ;   in Loop: Header=BB500_392 Depth=2
	s_or_b64 exec, exec, s[78:79]
	v_cmp_lt_u32_e32 vcc, v124, v151
	s_and_saveexec_b64 s[78:79], vcc
	s_cbranch_execz .LBB500_518
.LBB500_549:                            ;   in Loop: Header=BB500_392 Depth=2
	v_add_co_u32_e32 v0, vcc, 0x1000, v60
	v_addc_co_u32_e32 v1, vcc, 0, v61, vcc
	global_load_dwordx2 v[0:1], v[0:1], off offset:3584
	s_or_b64 exec, exec, s[78:79]
	s_and_saveexec_b64 s[78:79], s[36:37]
	s_cbranch_execnz .LBB500_519
.LBB500_550:                            ;   in Loop: Header=BB500_392 Depth=2
	s_or_b64 exec, exec, s[78:79]
	s_and_saveexec_b64 s[78:79], s[38:39]
	s_cbranch_execz .LBB500_520
.LBB500_551:                            ;   in Loop: Header=BB500_392 Depth=2
	ds_read_b32 v60, v72 offset:1024
	s_waitcnt lgkmcnt(0)
	v_lshrrev_b32_e32 v60, s93, v60
	v_and_b32_e32 v147, s94, v60
	s_or_b64 exec, exec, s[78:79]
	s_and_saveexec_b64 s[78:79], s[40:41]
	s_cbranch_execnz .LBB500_521
.LBB500_552:                            ;   in Loop: Header=BB500_392 Depth=2
	s_or_b64 exec, exec, s[78:79]
	s_and_saveexec_b64 s[78:79], s[42:43]
	s_cbranch_execz .LBB500_522
.LBB500_553:                            ;   in Loop: Header=BB500_392 Depth=2
	ds_read_b32 v60, v72 offset:3072
	s_waitcnt lgkmcnt(0)
	v_lshrrev_b32_e32 v60, s93, v60
	v_and_b32_e32 v144, s94, v60
	s_or_b64 exec, exec, s[78:79]
	s_and_saveexec_b64 s[78:79], s[44:45]
	s_cbranch_execnz .LBB500_523
.LBB500_554:                            ;   in Loop: Header=BB500_392 Depth=2
	s_or_b64 exec, exec, s[78:79]
	s_and_saveexec_b64 s[78:79], s[46:47]
	s_cbranch_execz .LBB500_524
.LBB500_555:                            ;   in Loop: Header=BB500_392 Depth=2
	ds_read_b32 v60, v72 offset:5120
	s_waitcnt lgkmcnt(0)
	v_lshrrev_b32_e32 v60, s93, v60
	v_and_b32_e32 v142, s94, v60
	s_or_b64 exec, exec, s[78:79]
	s_and_saveexec_b64 s[78:79], s[48:49]
	s_cbranch_execnz .LBB500_525
.LBB500_556:                            ;   in Loop: Header=BB500_392 Depth=2
	s_or_b64 exec, exec, s[78:79]
	s_and_saveexec_b64 s[78:79], s[50:51]
	s_cbranch_execz .LBB500_526
.LBB500_557:                            ;   in Loop: Header=BB500_392 Depth=2
	ds_read_b32 v60, v72 offset:7168
	s_waitcnt lgkmcnt(0)
	v_lshrrev_b32_e32 v60, s93, v60
	v_and_b32_e32 v140, s94, v60
	s_or_b64 exec, exec, s[78:79]
	s_and_saveexec_b64 s[78:79], s[52:53]
	s_cbranch_execnz .LBB500_527
.LBB500_558:                            ;   in Loop: Header=BB500_392 Depth=2
	s_or_b64 exec, exec, s[78:79]
	s_and_saveexec_b64 s[78:79], s[54:55]
	s_cbranch_execz .LBB500_528
.LBB500_559:                            ;   in Loop: Header=BB500_392 Depth=2
	ds_read_b32 v60, v72 offset:9216
	s_waitcnt lgkmcnt(0)
	v_lshrrev_b32_e32 v60, s93, v60
	v_and_b32_e32 v138, s94, v60
	s_or_b64 exec, exec, s[78:79]
	s_and_saveexec_b64 s[78:79], s[56:57]
	s_cbranch_execnz .LBB500_529
.LBB500_560:                            ;   in Loop: Header=BB500_392 Depth=2
	s_or_b64 exec, exec, s[78:79]
	s_and_saveexec_b64 s[78:79], s[58:59]
	s_cbranch_execz .LBB500_530
.LBB500_561:                            ;   in Loop: Header=BB500_392 Depth=2
	ds_read_b32 v60, v72 offset:11264
	s_waitcnt lgkmcnt(0)
	v_lshrrev_b32_e32 v60, s93, v60
	v_and_b32_e32 v136, s94, v60
	s_or_b64 exec, exec, s[78:79]
	s_and_saveexec_b64 s[78:79], s[60:61]
	s_cbranch_execnz .LBB500_531
.LBB500_562:                            ;   in Loop: Header=BB500_392 Depth=2
	s_or_b64 exec, exec, s[78:79]
	s_and_saveexec_b64 s[78:79], s[62:63]
	s_cbranch_execz .LBB500_532
.LBB500_563:                            ;   in Loop: Header=BB500_392 Depth=2
	ds_read_b32 v60, v72 offset:13312
	s_waitcnt lgkmcnt(0)
	v_lshrrev_b32_e32 v60, s93, v60
	v_and_b32_e32 v134, s94, v60
	s_or_b64 exec, exec, s[78:79]
	s_and_saveexec_b64 s[78:79], s[64:65]
	s_cbranch_execnz .LBB500_533
.LBB500_564:                            ;   in Loop: Header=BB500_392 Depth=2
	s_or_b64 exec, exec, s[78:79]
	s_and_saveexec_b64 s[78:79], s[66:67]
	s_cbranch_execz .LBB500_566
.LBB500_565:                            ;   in Loop: Header=BB500_392 Depth=2
	ds_read_b32 v60, v72 offset:15360
	s_waitcnt lgkmcnt(0)
	v_lshrrev_b32_e32 v60, s93, v60
	v_and_b32_e32 v132, s94, v60
.LBB500_566:                            ;   in Loop: Header=BB500_392 Depth=2
	s_or_b64 exec, exec, s[78:79]
	v_lshlrev_b32_e32 v60, 3, v172
	s_barrier
	s_waitcnt vmcnt(0)
	ds_write_b64 v60, v[58:59] offset:1024
	v_lshlrev_b32_e32 v60, 3, v168
	ds_write_b64 v60, v[56:57] offset:1024
	v_lshlrev_b32_e32 v60, 3, v167
	ds_write_b64 v60, v[54:55] offset:1024
	v_lshlrev_b32_e32 v60, 3, v166
	ds_write_b64 v60, v[50:51] offset:1024
	v_lshlrev_b32_e32 v60, 3, v165
	ds_write_b64 v60, v[46:47] offset:1024
	v_lshlrev_b32_e32 v60, 3, v163
	ds_write_b64 v60, v[42:43] offset:1024
	v_lshlrev_b32_e32 v60, 3, v162
	ds_write_b64 v60, v[38:39] offset:1024
	v_lshlrev_b32_e32 v60, 3, v161
	ds_write_b64 v60, v[34:35] offset:1024
	v_lshlrev_b32_e32 v60, 3, v160
	ds_write_b64 v60, v[52:53] offset:1024
	v_lshlrev_b32_e32 v60, 3, v158
	ds_write_b64 v60, v[48:49] offset:1024
	v_lshlrev_b32_e32 v60, 3, v157
	ds_write_b64 v60, v[44:45] offset:1024
	v_lshlrev_b32_e32 v60, 3, v156
	ds_write_b64 v60, v[40:41] offset:1024
	v_lshlrev_b32_e32 v60, 3, v155
	ds_write_b64 v60, v[36:37] offset:1024
	v_lshlrev_b32_e32 v60, 3, v153
	ds_write_b64 v60, v[32:33] offset:1024
	v_lshlrev_b32_e32 v60, 3, v63
	ds_write_b64 v60, v[30:31] offset:1024
	v_lshlrev_b32_e32 v60, 3, v62
	ds_write_b64 v60, v[0:1] offset:1024
	s_waitcnt lgkmcnt(0)
	s_barrier
	s_and_saveexec_b64 s[78:79], s[36:37]
	s_cbranch_execz .LBB500_582
; %bb.567:                              ;   in Loop: Header=BB500_392 Depth=2
	v_lshlrev_b32_e32 v60, 2, v149
	ds_read_b32 v62, v60
	ds_read_b64 v[60:61], v73 offset:1024
	v_mov_b32_e32 v63, v4
	v_mov_b32_e32 v151, s83
	s_waitcnt lgkmcnt(1)
	v_add_u32_e32 v62, v62, v2
	v_lshlrev_b64 v[62:63], 3, v[62:63]
	v_add_co_u32_e32 v62, vcc, s82, v62
	v_addc_co_u32_e32 v63, vcc, v151, v63, vcc
	s_waitcnt lgkmcnt(0)
	global_store_dwordx2 v[62:63], v[60:61], off
	s_or_b64 exec, exec, s[78:79]
	s_and_saveexec_b64 s[36:37], s[38:39]
	s_cbranch_execnz .LBB500_583
.LBB500_568:                            ;   in Loop: Header=BB500_392 Depth=2
	s_or_b64 exec, exec, s[36:37]
	s_and_saveexec_b64 s[36:37], s[40:41]
	s_cbranch_execz .LBB500_584
.LBB500_569:                            ;   in Loop: Header=BB500_392 Depth=2
	v_lshlrev_b32_e32 v60, 2, v146
	ds_read_b32 v62, v60
	v_add_u32_e32 v60, v72, v3
	ds_read_b64 v[60:61], v60 offset:4096
	v_mov_b32_e32 v63, v4
	v_mov_b32_e32 v151, s83
	s_waitcnt lgkmcnt(1)
	v_add_u32_e32 v62, v62, v9
	v_lshlrev_b64 v[62:63], 3, v[62:63]
	v_add_co_u32_e32 v62, vcc, s82, v62
	v_addc_co_u32_e32 v63, vcc, v151, v63, vcc
	s_waitcnt lgkmcnt(0)
	global_store_dwordx2 v[62:63], v[60:61], off
	s_or_b64 exec, exec, s[36:37]
	s_and_saveexec_b64 s[36:37], s[42:43]
	s_cbranch_execnz .LBB500_585
.LBB500_570:                            ;   in Loop: Header=BB500_392 Depth=2
	s_or_b64 exec, exec, s[36:37]
	s_and_saveexec_b64 s[36:37], s[44:45]
	s_cbranch_execz .LBB500_586
.LBB500_571:                            ;   in Loop: Header=BB500_392 Depth=2
	v_lshlrev_b32_e32 v60, 2, v143
	ds_read_b32 v62, v60
	v_add_u32_e32 v60, v72, v3
	ds_read_b64 v[60:61], v60 offset:8192
	v_mov_b32_e32 v63, v4
	v_mov_b32_e32 v151, s83
	s_waitcnt lgkmcnt(1)
	v_add_u32_e32 v62, v62, v6
	v_lshlrev_b64 v[62:63], 3, v[62:63]
	v_add_co_u32_e32 v62, vcc, s82, v62
	v_addc_co_u32_e32 v63, vcc, v151, v63, vcc
	s_waitcnt lgkmcnt(0)
	global_store_dwordx2 v[62:63], v[60:61], off
	s_or_b64 exec, exec, s[36:37]
	s_and_saveexec_b64 s[36:37], s[46:47]
	s_cbranch_execnz .LBB500_587
.LBB500_572:                            ;   in Loop: Header=BB500_392 Depth=2
	s_or_b64 exec, exec, s[36:37]
	s_and_saveexec_b64 s[36:37], s[48:49]
	s_cbranch_execz .LBB500_588
.LBB500_573:                            ;   in Loop: Header=BB500_392 Depth=2
	v_lshlrev_b32_e32 v60, 2, v141
	ds_read_b32 v62, v60
	v_add_u32_e32 v60, v72, v3
	ds_read_b64 v[60:61], v60 offset:12288
	v_mov_b32_e32 v63, v4
	v_mov_b32_e32 v151, s83
	s_waitcnt lgkmcnt(1)
	v_add_u32_e32 v62, v62, v10
	v_lshlrev_b64 v[62:63], 3, v[62:63]
	v_add_co_u32_e32 v62, vcc, s82, v62
	v_addc_co_u32_e32 v63, vcc, v151, v63, vcc
	s_waitcnt lgkmcnt(0)
	global_store_dwordx2 v[62:63], v[60:61], off
	s_or_b64 exec, exec, s[36:37]
	s_and_saveexec_b64 s[36:37], s[50:51]
	s_cbranch_execnz .LBB500_589
.LBB500_574:                            ;   in Loop: Header=BB500_392 Depth=2
	s_or_b64 exec, exec, s[36:37]
	s_and_saveexec_b64 s[36:37], s[52:53]
	s_cbranch_execz .LBB500_590
.LBB500_575:                            ;   in Loop: Header=BB500_392 Depth=2
	v_lshlrev_b32_e32 v60, 2, v139
	ds_read_b32 v62, v60
	v_add_u32_e32 v60, v72, v3
	ds_read_b64 v[60:61], v60 offset:16384
	v_mov_b32_e32 v63, v4
	v_mov_b32_e32 v151, s83
	s_waitcnt lgkmcnt(1)
	v_add_u32_e32 v62, v62, v14
	v_lshlrev_b64 v[62:63], 3, v[62:63]
	v_add_co_u32_e32 v62, vcc, s82, v62
	v_addc_co_u32_e32 v63, vcc, v151, v63, vcc
	s_waitcnt lgkmcnt(0)
	global_store_dwordx2 v[62:63], v[60:61], off
	s_or_b64 exec, exec, s[36:37]
	s_and_saveexec_b64 s[36:37], s[54:55]
	s_cbranch_execnz .LBB500_591
.LBB500_576:                            ;   in Loop: Header=BB500_392 Depth=2
	s_or_b64 exec, exec, s[36:37]
	s_and_saveexec_b64 s[36:37], s[56:57]
	s_cbranch_execz .LBB500_592
.LBB500_577:                            ;   in Loop: Header=BB500_392 Depth=2
	v_lshlrev_b32_e32 v60, 2, v137
	ds_read_b32 v62, v60
	v_add_u32_e32 v60, v72, v3
	ds_read_b64 v[60:61], v60 offset:20480
	v_mov_b32_e32 v63, v4
	v_mov_b32_e32 v151, s83
	s_waitcnt lgkmcnt(1)
	v_add_u32_e32 v62, v62, v18
	v_lshlrev_b64 v[62:63], 3, v[62:63]
	v_add_co_u32_e32 v62, vcc, s82, v62
	v_addc_co_u32_e32 v63, vcc, v151, v63, vcc
	s_waitcnt lgkmcnt(0)
	global_store_dwordx2 v[62:63], v[60:61], off
	s_or_b64 exec, exec, s[36:37]
	s_and_saveexec_b64 s[36:37], s[58:59]
	s_cbranch_execnz .LBB500_593
.LBB500_578:                            ;   in Loop: Header=BB500_392 Depth=2
	s_or_b64 exec, exec, s[36:37]
	s_and_saveexec_b64 s[36:37], s[60:61]
	s_cbranch_execz .LBB500_594
.LBB500_579:                            ;   in Loop: Header=BB500_392 Depth=2
	v_lshlrev_b32_e32 v60, 2, v135
	ds_read_b32 v62, v60
	v_add_u32_e32 v60, v72, v3
	ds_read_b64 v[60:61], v60 offset:24576
	v_mov_b32_e32 v63, v4
	v_mov_b32_e32 v151, s83
	s_waitcnt lgkmcnt(1)
	v_add_u32_e32 v62, v62, v22
	v_lshlrev_b64 v[62:63], 3, v[62:63]
	v_add_co_u32_e32 v62, vcc, s82, v62
	v_addc_co_u32_e32 v63, vcc, v151, v63, vcc
	s_waitcnt lgkmcnt(0)
	global_store_dwordx2 v[62:63], v[60:61], off
	s_or_b64 exec, exec, s[36:37]
	s_and_saveexec_b64 s[36:37], s[62:63]
	s_cbranch_execnz .LBB500_595
.LBB500_580:                            ;   in Loop: Header=BB500_392 Depth=2
	s_or_b64 exec, exec, s[36:37]
	s_and_saveexec_b64 s[36:37], s[64:65]
	s_cbranch_execz .LBB500_596
.LBB500_581:                            ;   in Loop: Header=BB500_392 Depth=2
	v_lshlrev_b32_e32 v60, 2, v133
	ds_read_b32 v62, v60
	v_add_u32_e32 v60, v72, v3
	ds_read_b64 v[60:61], v60 offset:28672
	v_mov_b32_e32 v63, v4
	v_mov_b32_e32 v151, s83
	s_waitcnt lgkmcnt(1)
	v_add_u32_e32 v62, v62, v26
	v_lshlrev_b64 v[62:63], 3, v[62:63]
	v_add_co_u32_e32 v62, vcc, s82, v62
	v_addc_co_u32_e32 v63, vcc, v151, v63, vcc
	s_waitcnt lgkmcnt(0)
	global_store_dwordx2 v[62:63], v[60:61], off
	s_or_b64 exec, exec, s[36:37]
	s_and_saveexec_b64 s[36:37], s[66:67]
	s_cbranch_execnz .LBB500_597
	s_branch .LBB500_598
.LBB500_582:                            ;   in Loop: Header=BB500_392 Depth=2
	s_or_b64 exec, exec, s[78:79]
	s_and_saveexec_b64 s[36:37], s[38:39]
	s_cbranch_execz .LBB500_568
.LBB500_583:                            ;   in Loop: Header=BB500_392 Depth=2
	v_lshlrev_b32_e32 v60, 2, v147
	ds_read_b32 v62, v60
	v_add_u32_e32 v60, v72, v3
	ds_read_b64 v[60:61], v60 offset:2048
	v_mov_b32_e32 v63, v4
	v_mov_b32_e32 v151, s83
	s_waitcnt lgkmcnt(1)
	v_add_u32_e32 v62, v62, v7
	v_lshlrev_b64 v[62:63], 3, v[62:63]
	v_add_co_u32_e32 v62, vcc, s82, v62
	v_addc_co_u32_e32 v63, vcc, v151, v63, vcc
	s_waitcnt lgkmcnt(0)
	global_store_dwordx2 v[62:63], v[60:61], off
	s_or_b64 exec, exec, s[36:37]
	s_and_saveexec_b64 s[36:37], s[40:41]
	s_cbranch_execnz .LBB500_569
.LBB500_584:                            ;   in Loop: Header=BB500_392 Depth=2
	s_or_b64 exec, exec, s[36:37]
	s_and_saveexec_b64 s[36:37], s[42:43]
	s_cbranch_execz .LBB500_570
.LBB500_585:                            ;   in Loop: Header=BB500_392 Depth=2
	v_lshlrev_b32_e32 v60, 2, v144
	ds_read_b32 v62, v60
	v_add_u32_e32 v60, v72, v3
	ds_read_b64 v[60:61], v60 offset:6144
	v_mov_b32_e32 v63, v4
	v_mov_b32_e32 v151, s83
	s_waitcnt lgkmcnt(1)
	v_add_u32_e32 v62, v62, v11
	v_lshlrev_b64 v[62:63], 3, v[62:63]
	v_add_co_u32_e32 v62, vcc, s82, v62
	v_addc_co_u32_e32 v63, vcc, v151, v63, vcc
	s_waitcnt lgkmcnt(0)
	global_store_dwordx2 v[62:63], v[60:61], off
	s_or_b64 exec, exec, s[36:37]
	s_and_saveexec_b64 s[36:37], s[44:45]
	s_cbranch_execnz .LBB500_571
.LBB500_586:                            ;   in Loop: Header=BB500_392 Depth=2
	s_or_b64 exec, exec, s[36:37]
	s_and_saveexec_b64 s[36:37], s[46:47]
	s_cbranch_execz .LBB500_572
.LBB500_587:                            ;   in Loop: Header=BB500_392 Depth=2
	v_lshlrev_b32_e32 v60, 2, v142
	ds_read_b32 v62, v60
	v_add_u32_e32 v60, v72, v3
	ds_read_b64 v[60:61], v60 offset:10240
	v_mov_b32_e32 v63, v4
	v_mov_b32_e32 v151, s83
	s_waitcnt lgkmcnt(1)
	v_add_u32_e32 v62, v62, v8
	v_lshlrev_b64 v[62:63], 3, v[62:63]
	v_add_co_u32_e32 v62, vcc, s82, v62
	v_addc_co_u32_e32 v63, vcc, v151, v63, vcc
	s_waitcnt lgkmcnt(0)
	global_store_dwordx2 v[62:63], v[60:61], off
	s_or_b64 exec, exec, s[36:37]
	s_and_saveexec_b64 s[36:37], s[48:49]
	s_cbranch_execnz .LBB500_573
.LBB500_588:                            ;   in Loop: Header=BB500_392 Depth=2
	s_or_b64 exec, exec, s[36:37]
	s_and_saveexec_b64 s[36:37], s[50:51]
	s_cbranch_execz .LBB500_574
.LBB500_589:                            ;   in Loop: Header=BB500_392 Depth=2
	v_lshlrev_b32_e32 v60, 2, v140
	ds_read_b32 v62, v60
	v_add_u32_e32 v60, v72, v3
	ds_read_b64 v[60:61], v60 offset:14336
	v_mov_b32_e32 v63, v4
	v_mov_b32_e32 v151, s83
	s_waitcnt lgkmcnt(1)
	v_add_u32_e32 v62, v62, v12
	v_lshlrev_b64 v[62:63], 3, v[62:63]
	v_add_co_u32_e32 v62, vcc, s82, v62
	v_addc_co_u32_e32 v63, vcc, v151, v63, vcc
	s_waitcnt lgkmcnt(0)
	global_store_dwordx2 v[62:63], v[60:61], off
	s_or_b64 exec, exec, s[36:37]
	s_and_saveexec_b64 s[36:37], s[52:53]
	s_cbranch_execnz .LBB500_575
.LBB500_590:                            ;   in Loop: Header=BB500_392 Depth=2
	s_or_b64 exec, exec, s[36:37]
	s_and_saveexec_b64 s[36:37], s[54:55]
	s_cbranch_execz .LBB500_576
.LBB500_591:                            ;   in Loop: Header=BB500_392 Depth=2
	v_lshlrev_b32_e32 v60, 2, v138
	ds_read_b32 v62, v60
	v_add_u32_e32 v60, v72, v3
	ds_read_b64 v[60:61], v60 offset:18432
	v_mov_b32_e32 v63, v4
	v_mov_b32_e32 v151, s83
	s_waitcnt lgkmcnt(1)
	v_add_u32_e32 v62, v62, v16
	v_lshlrev_b64 v[62:63], 3, v[62:63]
	v_add_co_u32_e32 v62, vcc, s82, v62
	v_addc_co_u32_e32 v63, vcc, v151, v63, vcc
	s_waitcnt lgkmcnt(0)
	global_store_dwordx2 v[62:63], v[60:61], off
	s_or_b64 exec, exec, s[36:37]
	s_and_saveexec_b64 s[36:37], s[56:57]
	s_cbranch_execnz .LBB500_577
.LBB500_592:                            ;   in Loop: Header=BB500_392 Depth=2
	s_or_b64 exec, exec, s[36:37]
	s_and_saveexec_b64 s[36:37], s[58:59]
	s_cbranch_execz .LBB500_578
.LBB500_593:                            ;   in Loop: Header=BB500_392 Depth=2
	v_lshlrev_b32_e32 v60, 2, v136
	ds_read_b32 v62, v60
	v_add_u32_e32 v60, v72, v3
	ds_read_b64 v[60:61], v60 offset:22528
	v_mov_b32_e32 v63, v4
	v_mov_b32_e32 v151, s83
	s_waitcnt lgkmcnt(1)
	v_add_u32_e32 v62, v62, v20
	v_lshlrev_b64 v[62:63], 3, v[62:63]
	v_add_co_u32_e32 v62, vcc, s82, v62
	v_addc_co_u32_e32 v63, vcc, v151, v63, vcc
	s_waitcnt lgkmcnt(0)
	global_store_dwordx2 v[62:63], v[60:61], off
	s_or_b64 exec, exec, s[36:37]
	s_and_saveexec_b64 s[36:37], s[60:61]
	s_cbranch_execnz .LBB500_579
.LBB500_594:                            ;   in Loop: Header=BB500_392 Depth=2
	s_or_b64 exec, exec, s[36:37]
	s_and_saveexec_b64 s[36:37], s[62:63]
	s_cbranch_execz .LBB500_580
.LBB500_595:                            ;   in Loop: Header=BB500_392 Depth=2
	v_lshlrev_b32_e32 v60, 2, v134
	ds_read_b32 v62, v60
	v_add_u32_e32 v60, v72, v3
	ds_read_b64 v[60:61], v60 offset:26624
	v_mov_b32_e32 v63, v4
	v_mov_b32_e32 v151, s83
	s_waitcnt lgkmcnt(1)
	v_add_u32_e32 v62, v62, v24
	v_lshlrev_b64 v[62:63], 3, v[62:63]
	v_add_co_u32_e32 v62, vcc, s82, v62
	v_addc_co_u32_e32 v63, vcc, v151, v63, vcc
	s_waitcnt lgkmcnt(0)
	global_store_dwordx2 v[62:63], v[60:61], off
	s_or_b64 exec, exec, s[36:37]
	s_and_saveexec_b64 s[36:37], s[64:65]
	s_cbranch_execnz .LBB500_581
.LBB500_596:                            ;   in Loop: Header=BB500_392 Depth=2
	s_or_b64 exec, exec, s[36:37]
	s_and_saveexec_b64 s[36:37], s[66:67]
	s_cbranch_execz .LBB500_598
.LBB500_597:                            ;   in Loop: Header=BB500_392 Depth=2
	v_lshlrev_b32_e32 v60, 2, v132
	ds_read_b32 v62, v60
	v_add_u32_e32 v60, v72, v3
	ds_read_b64 v[60:61], v60 offset:30720
	v_mov_b32_e32 v63, v4
	v_mov_b32_e32 v151, s83
	s_waitcnt lgkmcnt(1)
	v_add_u32_e32 v62, v62, v28
	v_lshlrev_b64 v[62:63], 3, v[62:63]
	v_add_co_u32_e32 v62, vcc, s82, v62
	v_addc_co_u32_e32 v63, vcc, v151, v63, vcc
	s_waitcnt lgkmcnt(0)
	global_store_dwordx2 v[62:63], v[60:61], off
.LBB500_598:                            ;   in Loop: Header=BB500_392 Depth=2
	s_or_b64 exec, exec, s[36:37]
	s_barrier
	s_and_saveexec_b64 s[36:37], s[4:5]
	s_cbranch_execz .LBB500_391
; %bb.599:                              ;   in Loop: Header=BB500_392 Depth=2
	ds_read_b32 v60, v3
	s_waitcnt lgkmcnt(0)
	v_add_u32_e32 v5, v60, v5
	ds_write_b32 v3, v5
	s_branch .LBB500_391
.LBB500_600:                            ;   in Loop: Header=BB500_12 Depth=1
	s_waitcnt lgkmcnt(0)
	s_barrier
.LBB500_601:                            ;   in Loop: Header=BB500_12 Depth=1
	s_mov_b64 s[16:17], 0
.LBB500_602:                            ;   in Loop: Header=BB500_12 Depth=1
	s_andn2_b64 vcc, exec, s[16:17]
	s_cbranch_vccnz .LBB500_11
; %bb.603:                              ;   in Loop: Header=BB500_12 Depth=1
	s_mov_b64 s[16:17], -1
	s_and_b64 vcc, exec, s[70:71]
	s_cbranch_vccz .LBB500_897
; %bb.604:                              ;   in Loop: Header=BB500_12 Depth=1
	s_mov_b32 s22, s87
	s_mov_b32 s88, s69
	s_barrier
	s_waitcnt lgkmcnt(0)
                                        ; implicit-def: $vgpr44
                                        ; implicit-def: $vgpr5
                                        ; implicit-def: $vgpr30
                                        ; implicit-def: $vgpr31
                                        ; implicit-def: $vgpr32
                                        ; implicit-def: $vgpr33
                                        ; implicit-def: $vgpr34
                                        ; implicit-def: $vgpr35
                                        ; implicit-def: $vgpr36
                                        ; implicit-def: $vgpr37
                                        ; implicit-def: $vgpr38
                                        ; implicit-def: $vgpr39
                                        ; implicit-def: $vgpr40
                                        ; implicit-def: $vgpr41
                                        ; implicit-def: $vgpr42
                                        ; implicit-def: $vgpr43
	s_branch .LBB500_606
.LBB500_605:                            ;   in Loop: Header=BB500_606 Depth=2
	s_or_b64 exec, exec, s[16:17]
	s_addk_i32 s22, 0xf000
	s_cmp_ge_u32 s23, s92
	s_mov_b32 s88, s23
	s_cbranch_scc1 .LBB500_676
.LBB500_606:                            ;   Parent Loop BB500_12 Depth=1
                                        ; =>  This Inner Loop Header: Depth=2
	s_add_i32 s23, s88, 0x1000
	s_cmp_gt_u32 s23, s92
	s_cbranch_scc1 .LBB500_609
; %bb.607:                              ;   in Loop: Header=BB500_606 Depth=2
	s_lshl_b64 s[16:17], s[88:89], 2
	v_mov_b32_e32 v1, s17
	v_add_co_u32_e32 v0, vcc, s16, v80
	v_addc_co_u32_e32 v1, vcc, v81, v1, vcc
	s_waitcnt vmcnt(6)
	v_add_co_u32_e32 v54, vcc, 0x1000, v0
	s_waitcnt vmcnt(5)
	v_addc_co_u32_e32 v55, vcc, 0, v1, vcc
	v_add_co_u32_e32 v62, vcc, s84, v0
	v_addc_co_u32_e32 v63, vcc, 0, v1, vcc
	global_load_dword v46, v[0:1], off
	global_load_dword v47, v[0:1], off offset:1024
	global_load_dword v48, v[0:1], off offset:2048
	;; [unrolled: 1-line block ×3, first 2 shown]
	global_load_dword v50, v[54:55], off
	global_load_dword v51, v[54:55], off offset:1024
	global_load_dword v52, v[54:55], off offset:2048
	;; [unrolled: 1-line block ×3, first 2 shown]
	v_add_co_u32_e32 v128, vcc, 0x3000, v0
	v_addc_co_u32_e32 v129, vcc, 0, v1, vcc
	global_load_dword v54, v[62:63], off
	global_load_dword v55, v[62:63], off offset:1024
	global_load_dword v56, v[62:63], off offset:2048
	;; [unrolled: 1-line block ×3, first 2 shown]
	global_load_dword v58, v[128:129], off
	global_load_dword v59, v[128:129], off offset:1024
	global_load_dword v60, v[128:129], off offset:2048
	v_add_co_u32_e32 v0, vcc, 0x3c00, v0
	s_movk_i32 s24, 0x1000
	v_addc_co_u32_e32 v1, vcc, 0, v1, vcc
	s_mov_b64 s[16:17], -1
	s_cbranch_execz .LBB500_610
; %bb.608:                              ;   in Loop: Header=BB500_606 Depth=2
                                        ; implicit-def: $vgpr43
                                        ; implicit-def: $vgpr42
                                        ; implicit-def: $vgpr41
                                        ; implicit-def: $vgpr40
                                        ; implicit-def: $vgpr39
                                        ; implicit-def: $vgpr38
                                        ; implicit-def: $vgpr37
                                        ; implicit-def: $vgpr36
                                        ; implicit-def: $vgpr35
                                        ; implicit-def: $vgpr34
                                        ; implicit-def: $vgpr33
                                        ; implicit-def: $vgpr32
                                        ; implicit-def: $vgpr31
                                        ; implicit-def: $vgpr30
                                        ; implicit-def: $vgpr5
                                        ; implicit-def: $vgpr44
	v_mov_b32_e32 v45, s22
	s_and_saveexec_b64 s[18:19], s[16:17]
	s_cbranch_execnz .LBB500_629
	s_branch .LBB500_630
.LBB500_609:                            ;   in Loop: Header=BB500_606 Depth=2
	s_mov_b64 s[16:17], 0
                                        ; implicit-def: $sgpr24
                                        ; implicit-def: $vgpr46
                                        ; implicit-def: $vgpr47
                                        ; implicit-def: $vgpr48
                                        ; implicit-def: $vgpr49
                                        ; implicit-def: $vgpr50
                                        ; implicit-def: $vgpr51
                                        ; implicit-def: $vgpr52
                                        ; implicit-def: $vgpr53
                                        ; implicit-def: $vgpr54
                                        ; implicit-def: $vgpr55
                                        ; implicit-def: $vgpr56
                                        ; implicit-def: $vgpr57
                                        ; implicit-def: $vgpr58
                                        ; implicit-def: $vgpr59
                                        ; implicit-def: $vgpr60
                                        ; implicit-def: $vgpr0_vgpr1
.LBB500_610:                            ;   in Loop: Header=BB500_606 Depth=2
	s_lshl_b64 s[18:19], s[88:89], 2
	s_add_u32 s18, s72, s18
	s_addc_u32 s19, s73, s19
	v_cmp_gt_u32_e32 vcc, s22, v2
	s_and_saveexec_b64 s[20:21], vcc
	s_cbranch_execz .LBB500_662
; %bb.611:                              ;   in Loop: Header=BB500_606 Depth=2
	global_load_dword v43, v88, s[18:19]
	s_or_b64 exec, exec, s[20:21]
	v_cmp_gt_u32_e32 vcc, s22, v7
	s_and_saveexec_b64 s[20:21], vcc
	s_cbranch_execnz .LBB500_663
.LBB500_612:                            ;   in Loop: Header=BB500_606 Depth=2
	s_or_b64 exec, exec, s[20:21]
	v_cmp_gt_u32_e32 vcc, s22, v9
	s_and_saveexec_b64 s[20:21], vcc
	s_cbranch_execz .LBB500_664
.LBB500_613:                            ;   in Loop: Header=BB500_606 Depth=2
	global_load_dword v41, v88, s[18:19] offset:2048
	s_or_b64 exec, exec, s[20:21]
	v_cmp_gt_u32_e32 vcc, s22, v11
	s_and_saveexec_b64 s[20:21], vcc
	s_cbranch_execnz .LBB500_665
.LBB500_614:                            ;   in Loop: Header=BB500_606 Depth=2
	s_or_b64 exec, exec, s[20:21]
	v_cmp_gt_u32_e32 vcc, s22, v6
	s_and_saveexec_b64 s[20:21], vcc
	s_cbranch_execz .LBB500_666
.LBB500_615:                            ;   in Loop: Header=BB500_606 Depth=2
	global_load_dword v39, v89, s[18:19]
	s_or_b64 exec, exec, s[20:21]
	v_cmp_gt_u32_e32 vcc, s22, v8
	s_and_saveexec_b64 s[20:21], vcc
	s_cbranch_execnz .LBB500_667
.LBB500_616:                            ;   in Loop: Header=BB500_606 Depth=2
	s_or_b64 exec, exec, s[20:21]
	v_cmp_gt_u32_e32 vcc, s22, v10
	s_and_saveexec_b64 s[20:21], vcc
	s_cbranch_execz .LBB500_668
.LBB500_617:                            ;   in Loop: Header=BB500_606 Depth=2
	global_load_dword v37, v91, s[18:19]
	s_or_b64 exec, exec, s[20:21]
	v_cmp_gt_u32_e32 vcc, s22, v12
	s_and_saveexec_b64 s[20:21], vcc
	s_cbranch_execnz .LBB500_669
.LBB500_618:                            ;   in Loop: Header=BB500_606 Depth=2
	s_or_b64 exec, exec, s[20:21]
	v_cmp_gt_u32_e32 vcc, s22, v14
	s_and_saveexec_b64 s[20:21], vcc
	s_cbranch_execz .LBB500_670
.LBB500_619:                            ;   in Loop: Header=BB500_606 Depth=2
	global_load_dword v35, v93, s[18:19]
	s_or_b64 exec, exec, s[20:21]
	v_cmp_gt_u32_e32 vcc, s22, v16
	s_and_saveexec_b64 s[20:21], vcc
	s_cbranch_execnz .LBB500_671
.LBB500_620:                            ;   in Loop: Header=BB500_606 Depth=2
	s_or_b64 exec, exec, s[20:21]
	v_cmp_gt_u32_e32 vcc, s22, v18
	s_and_saveexec_b64 s[20:21], vcc
	s_cbranch_execz .LBB500_672
.LBB500_621:                            ;   in Loop: Header=BB500_606 Depth=2
	global_load_dword v33, v95, s[18:19]
	s_or_b64 exec, exec, s[20:21]
	v_cmp_gt_u32_e32 vcc, s22, v20
	s_and_saveexec_b64 s[20:21], vcc
	s_cbranch_execnz .LBB500_673
.LBB500_622:                            ;   in Loop: Header=BB500_606 Depth=2
	s_or_b64 exec, exec, s[20:21]
	v_cmp_gt_u32_e32 vcc, s22, v22
	s_and_saveexec_b64 s[20:21], vcc
	s_cbranch_execz .LBB500_674
.LBB500_623:                            ;   in Loop: Header=BB500_606 Depth=2
	global_load_dword v31, v97, s[18:19]
	s_or_b64 exec, exec, s[20:21]
	v_cmp_gt_u32_e32 vcc, s22, v24
	s_and_saveexec_b64 s[20:21], vcc
	s_cbranch_execnz .LBB500_675
.LBB500_624:                            ;   in Loop: Header=BB500_606 Depth=2
	s_or_b64 exec, exec, s[20:21]
	v_cmp_gt_u32_e32 vcc, s22, v26
	s_and_saveexec_b64 s[20:21], vcc
	s_cbranch_execz .LBB500_626
.LBB500_625:                            ;   in Loop: Header=BB500_606 Depth=2
	global_load_dword v5, v99, s[18:19]
.LBB500_626:                            ;   in Loop: Header=BB500_606 Depth=2
	s_or_b64 exec, exec, s[20:21]
	v_cmp_gt_u32_e32 vcc, s22, v28
                                        ; implicit-def: $sgpr24
                                        ; implicit-def: $vgpr0_vgpr1
	s_and_saveexec_b64 s[20:21], vcc
; %bb.627:                              ;   in Loop: Header=BB500_606 Depth=2
	v_mov_b32_e32 v1, s19
	v_add_co_u32_e32 v0, vcc, s18, v100
	s_sub_i32 s24, s92, s88
	v_addc_co_u32_e32 v1, vcc, 0, v1, vcc
	s_or_b64 s[16:17], s[16:17], exec
                                        ; implicit-def: $vgpr44
; %bb.628:                              ;   in Loop: Header=BB500_606 Depth=2
	s_or_b64 exec, exec, s[20:21]
	s_waitcnt vmcnt(0)
	v_mov_b32_e32 v46, v43
	v_mov_b32_e32 v47, v42
	;; [unrolled: 1-line block ×16, first 2 shown]
	s_and_saveexec_b64 s[18:19], s[16:17]
	s_cbranch_execz .LBB500_630
.LBB500_629:                            ;   in Loop: Header=BB500_606 Depth=2
	global_load_dword v44, v[0:1], off
	v_mov_b32_e32 v45, s24
	s_waitcnt vmcnt(1)
	v_mov_b32_e32 v5, v60
	v_mov_b32_e32 v30, v59
	;; [unrolled: 1-line block ×15, first 2 shown]
.LBB500_630:                            ;   in Loop: Header=BB500_606 Depth=2
	s_or_b64 exec, exec, s[18:19]
	v_cmp_lt_u32_e32 vcc, v2, v45
	s_and_saveexec_b64 s[16:17], vcc
	s_cbranch_execz .LBB500_646
; %bb.631:                              ;   in Loop: Header=BB500_606 Depth=2
	v_xor_b32_e32 v0, 0x7fffffff, v43
	v_lshrrev_b32_e32 v0, s85, v0
	v_and_b32_e32 v0, s94, v0
	v_lshl_or_b32 v0, v0, 4, v86
	ds_add_u32 v0, v87
	s_or_b64 exec, exec, s[16:17]
	v_cmp_lt_u32_e32 vcc, v7, v45
	s_and_saveexec_b64 s[16:17], vcc
	s_cbranch_execnz .LBB500_647
.LBB500_632:                            ;   in Loop: Header=BB500_606 Depth=2
	s_or_b64 exec, exec, s[16:17]
	v_cmp_lt_u32_e32 vcc, v9, v45
	s_and_saveexec_b64 s[16:17], vcc
	s_cbranch_execz .LBB500_648
.LBB500_633:                            ;   in Loop: Header=BB500_606 Depth=2
	v_xor_b32_e32 v0, 0x7fffffff, v41
	v_lshrrev_b32_e32 v0, s85, v0
	v_and_b32_e32 v0, s94, v0
	v_lshl_or_b32 v0, v0, 4, v86
	ds_add_u32 v0, v87
	s_or_b64 exec, exec, s[16:17]
	v_cmp_lt_u32_e32 vcc, v11, v45
	s_and_saveexec_b64 s[16:17], vcc
	s_cbranch_execnz .LBB500_649
.LBB500_634:                            ;   in Loop: Header=BB500_606 Depth=2
	s_or_b64 exec, exec, s[16:17]
	v_cmp_lt_u32_e32 vcc, v6, v45
	s_and_saveexec_b64 s[16:17], vcc
	s_cbranch_execz .LBB500_650
.LBB500_635:                            ;   in Loop: Header=BB500_606 Depth=2
	v_xor_b32_e32 v0, 0x7fffffff, v39
	v_lshrrev_b32_e32 v0, s85, v0
	v_and_b32_e32 v0, s94, v0
	v_lshl_or_b32 v0, v0, 4, v86
	ds_add_u32 v0, v87
	s_or_b64 exec, exec, s[16:17]
	v_cmp_lt_u32_e32 vcc, v8, v45
	s_and_saveexec_b64 s[16:17], vcc
	s_cbranch_execnz .LBB500_651
.LBB500_636:                            ;   in Loop: Header=BB500_606 Depth=2
	s_or_b64 exec, exec, s[16:17]
	v_cmp_lt_u32_e32 vcc, v10, v45
	s_and_saveexec_b64 s[16:17], vcc
	s_cbranch_execz .LBB500_652
.LBB500_637:                            ;   in Loop: Header=BB500_606 Depth=2
	v_xor_b32_e32 v0, 0x7fffffff, v37
	v_lshrrev_b32_e32 v0, s85, v0
	v_and_b32_e32 v0, s94, v0
	v_lshl_or_b32 v0, v0, 4, v86
	ds_add_u32 v0, v87
	s_or_b64 exec, exec, s[16:17]
	v_cmp_lt_u32_e32 vcc, v12, v45
	s_and_saveexec_b64 s[16:17], vcc
	s_cbranch_execnz .LBB500_653
.LBB500_638:                            ;   in Loop: Header=BB500_606 Depth=2
	s_or_b64 exec, exec, s[16:17]
	v_cmp_lt_u32_e32 vcc, v14, v45
	s_and_saveexec_b64 s[16:17], vcc
	s_cbranch_execz .LBB500_654
.LBB500_639:                            ;   in Loop: Header=BB500_606 Depth=2
	v_xor_b32_e32 v0, 0x7fffffff, v35
	v_lshrrev_b32_e32 v0, s85, v0
	v_and_b32_e32 v0, s94, v0
	v_lshl_or_b32 v0, v0, 4, v86
	ds_add_u32 v0, v87
	s_or_b64 exec, exec, s[16:17]
	v_cmp_lt_u32_e32 vcc, v16, v45
	s_and_saveexec_b64 s[16:17], vcc
	s_cbranch_execnz .LBB500_655
.LBB500_640:                            ;   in Loop: Header=BB500_606 Depth=2
	s_or_b64 exec, exec, s[16:17]
	v_cmp_lt_u32_e32 vcc, v18, v45
	s_and_saveexec_b64 s[16:17], vcc
	s_cbranch_execz .LBB500_656
.LBB500_641:                            ;   in Loop: Header=BB500_606 Depth=2
	v_xor_b32_e32 v0, 0x7fffffff, v33
	v_lshrrev_b32_e32 v0, s85, v0
	v_and_b32_e32 v0, s94, v0
	v_lshl_or_b32 v0, v0, 4, v86
	ds_add_u32 v0, v87
	s_or_b64 exec, exec, s[16:17]
	v_cmp_lt_u32_e32 vcc, v20, v45
	s_and_saveexec_b64 s[16:17], vcc
	s_cbranch_execnz .LBB500_657
.LBB500_642:                            ;   in Loop: Header=BB500_606 Depth=2
	s_or_b64 exec, exec, s[16:17]
	v_cmp_lt_u32_e32 vcc, v22, v45
	s_and_saveexec_b64 s[16:17], vcc
	s_cbranch_execz .LBB500_658
.LBB500_643:                            ;   in Loop: Header=BB500_606 Depth=2
	v_xor_b32_e32 v0, 0x7fffffff, v31
	v_lshrrev_b32_e32 v0, s85, v0
	v_and_b32_e32 v0, s94, v0
	v_lshl_or_b32 v0, v0, 4, v86
	ds_add_u32 v0, v87
	s_or_b64 exec, exec, s[16:17]
	v_cmp_lt_u32_e32 vcc, v24, v45
	s_and_saveexec_b64 s[16:17], vcc
	s_cbranch_execnz .LBB500_659
.LBB500_644:                            ;   in Loop: Header=BB500_606 Depth=2
	s_or_b64 exec, exec, s[16:17]
	v_cmp_lt_u32_e32 vcc, v26, v45
	s_and_saveexec_b64 s[16:17], vcc
	s_cbranch_execz .LBB500_660
.LBB500_645:                            ;   in Loop: Header=BB500_606 Depth=2
	v_xor_b32_e32 v0, 0x7fffffff, v5
	v_lshrrev_b32_e32 v0, s85, v0
	v_and_b32_e32 v0, s94, v0
	v_lshl_or_b32 v0, v0, 4, v86
	ds_add_u32 v0, v87
	s_or_b64 exec, exec, s[16:17]
	v_cmp_lt_u32_e32 vcc, v28, v45
	s_and_saveexec_b64 s[16:17], vcc
	s_cbranch_execz .LBB500_605
	s_branch .LBB500_661
.LBB500_646:                            ;   in Loop: Header=BB500_606 Depth=2
	s_or_b64 exec, exec, s[16:17]
	v_cmp_lt_u32_e32 vcc, v7, v45
	s_and_saveexec_b64 s[16:17], vcc
	s_cbranch_execz .LBB500_632
.LBB500_647:                            ;   in Loop: Header=BB500_606 Depth=2
	v_xor_b32_e32 v0, 0x7fffffff, v42
	v_lshrrev_b32_e32 v0, s85, v0
	v_and_b32_e32 v0, s94, v0
	v_lshl_or_b32 v0, v0, 4, v86
	ds_add_u32 v0, v87
	s_or_b64 exec, exec, s[16:17]
	v_cmp_lt_u32_e32 vcc, v9, v45
	s_and_saveexec_b64 s[16:17], vcc
	s_cbranch_execnz .LBB500_633
.LBB500_648:                            ;   in Loop: Header=BB500_606 Depth=2
	s_or_b64 exec, exec, s[16:17]
	v_cmp_lt_u32_e32 vcc, v11, v45
	s_and_saveexec_b64 s[16:17], vcc
	s_cbranch_execz .LBB500_634
.LBB500_649:                            ;   in Loop: Header=BB500_606 Depth=2
	v_xor_b32_e32 v0, 0x7fffffff, v40
	v_lshrrev_b32_e32 v0, s85, v0
	v_and_b32_e32 v0, s94, v0
	v_lshl_or_b32 v0, v0, 4, v86
	ds_add_u32 v0, v87
	s_or_b64 exec, exec, s[16:17]
	v_cmp_lt_u32_e32 vcc, v6, v45
	s_and_saveexec_b64 s[16:17], vcc
	s_cbranch_execnz .LBB500_635
.LBB500_650:                            ;   in Loop: Header=BB500_606 Depth=2
	s_or_b64 exec, exec, s[16:17]
	v_cmp_lt_u32_e32 vcc, v8, v45
	s_and_saveexec_b64 s[16:17], vcc
	s_cbranch_execz .LBB500_636
.LBB500_651:                            ;   in Loop: Header=BB500_606 Depth=2
	v_xor_b32_e32 v0, 0x7fffffff, v38
	v_lshrrev_b32_e32 v0, s85, v0
	v_and_b32_e32 v0, s94, v0
	v_lshl_or_b32 v0, v0, 4, v86
	ds_add_u32 v0, v87
	s_or_b64 exec, exec, s[16:17]
	v_cmp_lt_u32_e32 vcc, v10, v45
	s_and_saveexec_b64 s[16:17], vcc
	s_cbranch_execnz .LBB500_637
.LBB500_652:                            ;   in Loop: Header=BB500_606 Depth=2
	s_or_b64 exec, exec, s[16:17]
	v_cmp_lt_u32_e32 vcc, v12, v45
	s_and_saveexec_b64 s[16:17], vcc
	s_cbranch_execz .LBB500_638
.LBB500_653:                            ;   in Loop: Header=BB500_606 Depth=2
	v_xor_b32_e32 v0, 0x7fffffff, v36
	v_lshrrev_b32_e32 v0, s85, v0
	v_and_b32_e32 v0, s94, v0
	v_lshl_or_b32 v0, v0, 4, v86
	ds_add_u32 v0, v87
	s_or_b64 exec, exec, s[16:17]
	v_cmp_lt_u32_e32 vcc, v14, v45
	s_and_saveexec_b64 s[16:17], vcc
	s_cbranch_execnz .LBB500_639
.LBB500_654:                            ;   in Loop: Header=BB500_606 Depth=2
	s_or_b64 exec, exec, s[16:17]
	v_cmp_lt_u32_e32 vcc, v16, v45
	s_and_saveexec_b64 s[16:17], vcc
	s_cbranch_execz .LBB500_640
.LBB500_655:                            ;   in Loop: Header=BB500_606 Depth=2
	v_xor_b32_e32 v0, 0x7fffffff, v34
	v_lshrrev_b32_e32 v0, s85, v0
	v_and_b32_e32 v0, s94, v0
	v_lshl_or_b32 v0, v0, 4, v86
	ds_add_u32 v0, v87
	s_or_b64 exec, exec, s[16:17]
	v_cmp_lt_u32_e32 vcc, v18, v45
	s_and_saveexec_b64 s[16:17], vcc
	s_cbranch_execnz .LBB500_641
.LBB500_656:                            ;   in Loop: Header=BB500_606 Depth=2
	s_or_b64 exec, exec, s[16:17]
	v_cmp_lt_u32_e32 vcc, v20, v45
	s_and_saveexec_b64 s[16:17], vcc
	s_cbranch_execz .LBB500_642
.LBB500_657:                            ;   in Loop: Header=BB500_606 Depth=2
	v_xor_b32_e32 v0, 0x7fffffff, v32
	v_lshrrev_b32_e32 v0, s85, v0
	v_and_b32_e32 v0, s94, v0
	v_lshl_or_b32 v0, v0, 4, v86
	ds_add_u32 v0, v87
	s_or_b64 exec, exec, s[16:17]
	v_cmp_lt_u32_e32 vcc, v22, v45
	s_and_saveexec_b64 s[16:17], vcc
	s_cbranch_execnz .LBB500_643
.LBB500_658:                            ;   in Loop: Header=BB500_606 Depth=2
	s_or_b64 exec, exec, s[16:17]
	v_cmp_lt_u32_e32 vcc, v24, v45
	s_and_saveexec_b64 s[16:17], vcc
	s_cbranch_execz .LBB500_644
.LBB500_659:                            ;   in Loop: Header=BB500_606 Depth=2
	v_xor_b32_e32 v0, 0x7fffffff, v30
	v_lshrrev_b32_e32 v0, s85, v0
	v_and_b32_e32 v0, s94, v0
	v_lshl_or_b32 v0, v0, 4, v86
	ds_add_u32 v0, v87
	s_or_b64 exec, exec, s[16:17]
	v_cmp_lt_u32_e32 vcc, v26, v45
	s_and_saveexec_b64 s[16:17], vcc
	s_cbranch_execnz .LBB500_645
.LBB500_660:                            ;   in Loop: Header=BB500_606 Depth=2
	s_or_b64 exec, exec, s[16:17]
	v_cmp_lt_u32_e32 vcc, v28, v45
	s_and_saveexec_b64 s[16:17], vcc
	s_cbranch_execz .LBB500_605
.LBB500_661:                            ;   in Loop: Header=BB500_606 Depth=2
	s_waitcnt vmcnt(0)
	v_xor_b32_e32 v0, 0x7fffffff, v44
	v_lshrrev_b32_e32 v0, s85, v0
	v_and_b32_e32 v0, s94, v0
	v_lshl_or_b32 v0, v0, 4, v86
	ds_add_u32 v0, v87
	s_branch .LBB500_605
.LBB500_662:                            ;   in Loop: Header=BB500_606 Depth=2
	s_or_b64 exec, exec, s[20:21]
	v_cmp_gt_u32_e32 vcc, s22, v7
	s_and_saveexec_b64 s[20:21], vcc
	s_cbranch_execz .LBB500_612
.LBB500_663:                            ;   in Loop: Header=BB500_606 Depth=2
	global_load_dword v42, v88, s[18:19] offset:1024
	s_or_b64 exec, exec, s[20:21]
	v_cmp_gt_u32_e32 vcc, s22, v9
	s_and_saveexec_b64 s[20:21], vcc
	s_cbranch_execnz .LBB500_613
.LBB500_664:                            ;   in Loop: Header=BB500_606 Depth=2
	s_or_b64 exec, exec, s[20:21]
	v_cmp_gt_u32_e32 vcc, s22, v11
	s_and_saveexec_b64 s[20:21], vcc
	s_cbranch_execz .LBB500_614
.LBB500_665:                            ;   in Loop: Header=BB500_606 Depth=2
	global_load_dword v40, v88, s[18:19] offset:3072
	s_or_b64 exec, exec, s[20:21]
	v_cmp_gt_u32_e32 vcc, s22, v6
	s_and_saveexec_b64 s[20:21], vcc
	s_cbranch_execnz .LBB500_615
.LBB500_666:                            ;   in Loop: Header=BB500_606 Depth=2
	s_or_b64 exec, exec, s[20:21]
	v_cmp_gt_u32_e32 vcc, s22, v8
	s_and_saveexec_b64 s[20:21], vcc
	s_cbranch_execz .LBB500_616
.LBB500_667:                            ;   in Loop: Header=BB500_606 Depth=2
	global_load_dword v38, v90, s[18:19]
	s_or_b64 exec, exec, s[20:21]
	v_cmp_gt_u32_e32 vcc, s22, v10
	s_and_saveexec_b64 s[20:21], vcc
	s_cbranch_execnz .LBB500_617
.LBB500_668:                            ;   in Loop: Header=BB500_606 Depth=2
	s_or_b64 exec, exec, s[20:21]
	v_cmp_gt_u32_e32 vcc, s22, v12
	s_and_saveexec_b64 s[20:21], vcc
	s_cbranch_execz .LBB500_618
.LBB500_669:                            ;   in Loop: Header=BB500_606 Depth=2
	global_load_dword v36, v92, s[18:19]
	s_or_b64 exec, exec, s[20:21]
	v_cmp_gt_u32_e32 vcc, s22, v14
	s_and_saveexec_b64 s[20:21], vcc
	s_cbranch_execnz .LBB500_619
.LBB500_670:                            ;   in Loop: Header=BB500_606 Depth=2
	s_or_b64 exec, exec, s[20:21]
	v_cmp_gt_u32_e32 vcc, s22, v16
	s_and_saveexec_b64 s[20:21], vcc
	s_cbranch_execz .LBB500_620
.LBB500_671:                            ;   in Loop: Header=BB500_606 Depth=2
	global_load_dword v34, v94, s[18:19]
	s_or_b64 exec, exec, s[20:21]
	v_cmp_gt_u32_e32 vcc, s22, v18
	s_and_saveexec_b64 s[20:21], vcc
	s_cbranch_execnz .LBB500_621
.LBB500_672:                            ;   in Loop: Header=BB500_606 Depth=2
	s_or_b64 exec, exec, s[20:21]
	v_cmp_gt_u32_e32 vcc, s22, v20
	s_and_saveexec_b64 s[20:21], vcc
	s_cbranch_execz .LBB500_622
.LBB500_673:                            ;   in Loop: Header=BB500_606 Depth=2
	global_load_dword v32, v96, s[18:19]
	s_or_b64 exec, exec, s[20:21]
	v_cmp_gt_u32_e32 vcc, s22, v22
	s_and_saveexec_b64 s[20:21], vcc
	s_cbranch_execnz .LBB500_623
.LBB500_674:                            ;   in Loop: Header=BB500_606 Depth=2
	s_or_b64 exec, exec, s[20:21]
	v_cmp_gt_u32_e32 vcc, s22, v24
	s_and_saveexec_b64 s[20:21], vcc
	s_cbranch_execz .LBB500_624
.LBB500_675:                            ;   in Loop: Header=BB500_606 Depth=2
	global_load_dword v30, v98, s[18:19]
	s_or_b64 exec, exec, s[20:21]
	v_cmp_gt_u32_e32 vcc, s22, v26
	s_and_saveexec_b64 s[20:21], vcc
	s_cbranch_execz .LBB500_626
	s_branch .LBB500_625
.LBB500_676:                            ;   in Loop: Header=BB500_12 Depth=1
	v_mov_b32_e32 v0, 0
	s_waitcnt lgkmcnt(0)
	s_barrier
	s_and_saveexec_b64 s[16:17], s[4:5]
	s_cbranch_execz .LBB500_678
; %bb.677:                              ;   in Loop: Header=BB500_12 Depth=1
	ds_read2_b64 v[30:33], v17 offset1:1
	s_waitcnt lgkmcnt(0)
	v_add_u32_e32 v0, v31, v30
	v_add3_u32 v0, v0, v32, v33
.LBB500_678:                            ;   in Loop: Header=BB500_12 Depth=1
	s_or_b64 exec, exec, s[16:17]
	s_nop 0
	v_mov_b32_dpp v1, v0 row_shr:1 row_mask:0xf bank_mask:0xf
	v_cmp_eq_u32_e64 s[16:17], 0, v102
	v_cndmask_b32_e64 v1, v1, 0, s[16:17]
	v_add_u32_e32 v0, v1, v0
	v_cmp_lt_u32_e64 s[18:19], 1, v102
	v_cmp_lt_u32_e64 s[20:21], 3, v102
	v_mov_b32_dpp v1, v0 row_shr:2 row_mask:0xf bank_mask:0xf
	v_cndmask_b32_e64 v1, 0, v1, s[18:19]
	v_add_u32_e32 v0, v0, v1
	v_cmp_lt_u32_e64 s[22:23], 7, v102
	v_cmp_lt_u32_e64 s[26:27], 31, v101
	v_mov_b32_dpp v1, v0 row_shr:4 row_mask:0xf bank_mask:0xf
	v_cndmask_b32_e64 v1, 0, v1, s[20:21]
	v_add_u32_e32 v0, v0, v1
	v_cmp_eq_u32_e64 s[24:25], 0, v104
	s_nop 0
	v_mov_b32_dpp v1, v0 row_shr:8 row_mask:0xf bank_mask:0xf
	v_cndmask_b32_e64 v1, 0, v1, s[22:23]
	v_add_u32_e32 v0, v0, v1
	s_nop 1
	v_mov_b32_dpp v1, v0 row_bcast:15 row_mask:0xf bank_mask:0xf
	v_and_b32_e32 v1, v103, v1
	v_add_u32_e32 v0, v0, v1
	s_nop 1
	v_mov_b32_dpp v1, v0 row_bcast:31 row_mask:0xf bank_mask:0xf
	v_cndmask_b32_e64 v1, 0, v1, s[26:27]
	v_add_u32_e32 v0, v0, v1
	s_and_saveexec_b64 s[28:29], s[6:7]
	s_cbranch_execz .LBB500_680
; %bb.679:                              ;   in Loop: Header=BB500_12 Depth=1
	ds_write_b32 v21, v0
.LBB500_680:                            ;   in Loop: Header=BB500_12 Depth=1
	s_or_b64 exec, exec, s[28:29]
	s_waitcnt lgkmcnt(0)
	s_barrier
	s_and_saveexec_b64 s[28:29], s[8:9]
	s_cbranch_execz .LBB500_682
; %bb.681:                              ;   in Loop: Header=BB500_12 Depth=1
	ds_read_b32 v1, v23
	v_cmp_ne_u32_e32 vcc, 0, v105
	s_waitcnt lgkmcnt(0)
	v_mov_b32_dpp v5, v1 row_shr:1 row_mask:0xf bank_mask:0xf
	v_cndmask_b32_e32 v5, 0, v5, vcc
	v_add_u32_e32 v1, v5, v1
	v_cmp_lt_u32_e32 vcc, 1, v105
	s_nop 0
	v_mov_b32_dpp v5, v1 row_shr:2 row_mask:0xf bank_mask:0xf
	v_cndmask_b32_e32 v5, 0, v5, vcc
	v_add_u32_e32 v1, v1, v5
	ds_write_b32 v23, v1
.LBB500_682:                            ;   in Loop: Header=BB500_12 Depth=1
	s_or_b64 exec, exec, s[28:29]
	v_mov_b32_e32 v1, 0
	s_waitcnt lgkmcnt(0)
	s_barrier
	s_and_saveexec_b64 s[28:29], s[10:11]
	s_cbranch_execz .LBB500_684
; %bb.683:                              ;   in Loop: Header=BB500_12 Depth=1
	ds_read_b32 v1, v25
.LBB500_684:                            ;   in Loop: Header=BB500_12 Depth=1
	s_or_b64 exec, exec, s[28:29]
	v_cmp_lt_i32_e32 vcc, v106, v107
	v_cndmask_b32_e32 v5, v106, v101, vcc
	s_waitcnt lgkmcnt(0)
	v_add_u32_e32 v0, v1, v0
	v_lshlrev_b32_e32 v127, 2, v5
	ds_bpermute_b32 v0, v127, v0
	v_cmp_eq_u32_e64 s[28:29], 0, v101
	s_waitcnt lgkmcnt(0)
	s_barrier
	s_and_saveexec_b64 s[30:31], s[4:5]
	s_cbranch_execz .LBB500_686
; %bb.685:                              ;   in Loop: Header=BB500_12 Depth=1
	v_cndmask_b32_e64 v0, v0, v1, s[28:29]
	v_add_u32_e32 v0, s69, v0
	ds_write_b32 v3, v0
.LBB500_686:                            ;   in Loop: Header=BB500_12 Depth=1
	s_or_b64 exec, exec, s[30:31]
	s_load_dwordx2 s[30:31], s[90:91], 0x0
	v_add_co_u32_e32 v128, vcc, v82, v108
	v_addc_co_u32_e32 v129, vcc, 0, v83, vcc
	s_waitcnt lgkmcnt(0)
	s_cmp_lt_u32 s68, s30
	s_cselect_b32 s34, 12, 18
	s_cmp_lt_u32 s33, s31
	s_cselect_b32 s30, 14, 20
	s_add_u32 s30, s90, s30
	s_addc_u32 s31, s91, 0
	s_add_u32 s34, s90, s34
	global_load_ushort v5, v4, s[30:31]
	s_addc_u32 s35, s91, 0
	global_load_ushort v60, v4, s[34:35]
	v_add_co_u32_e32 v130, vcc, v84, v125
	v_addc_co_u32_e32 v131, vcc, 0, v85, vcc
	v_add_co_u32_e32 v145, vcc, 0xf00, v130
	v_cmp_eq_u32_e64 s[30:31], 0, v105
	v_cmp_lt_u32_e64 s[34:35], 1, v105
	s_mov_b32 s95, s87
	v_addc_co_u32_e32 v148, vcc, 0, v131, vcc
	s_mov_b32 s88, s69
                                        ; implicit-def: $vgpr0_vgpr1
                                        ; implicit-def: $vgpr30_vgpr31
                                        ; implicit-def: $vgpr32_vgpr33
                                        ; implicit-def: $vgpr36_vgpr37
                                        ; implicit-def: $vgpr40_vgpr41
                                        ; implicit-def: $vgpr44_vgpr45
                                        ; implicit-def: $vgpr48_vgpr49
                                        ; implicit-def: $vgpr52_vgpr53
                                        ; implicit-def: $vgpr34_vgpr35
                                        ; implicit-def: $vgpr38_vgpr39
                                        ; implicit-def: $vgpr42_vgpr43
                                        ; implicit-def: $vgpr46_vgpr47
                                        ; implicit-def: $vgpr50_vgpr51
                                        ; implicit-def: $vgpr54_vgpr55
                                        ; implicit-def: $vgpr56_vgpr57
                                        ; implicit-def: $vgpr58_vgpr59
                                        ; implicit-def: $vgpr132
                                        ; implicit-def: $vgpr133
                                        ; implicit-def: $vgpr134
                                        ; implicit-def: $vgpr135
                                        ; implicit-def: $vgpr136
                                        ; implicit-def: $vgpr137
                                        ; implicit-def: $vgpr138
                                        ; implicit-def: $vgpr139
                                        ; implicit-def: $vgpr140
                                        ; implicit-def: $vgpr141
                                        ; implicit-def: $vgpr142
                                        ; implicit-def: $vgpr143
                                        ; implicit-def: $vgpr144
                                        ; implicit-def: $vgpr146
                                        ; implicit-def: $vgpr147
                                        ; implicit-def: $vgpr149
	s_waitcnt vmcnt(1)
	v_mad_u32_u24 v5, v27, v5, v29
	s_waitcnt vmcnt(0)
	v_mad_u64_u32 v[60:61], s[36:37], v5, v60, v[2:3]
	v_lshrrev_b32_e32 v150, 6, v60
	s_branch .LBB500_688
.LBB500_687:                            ;   in Loop: Header=BB500_688 Depth=2
	s_or_b64 exec, exec, s[36:37]
	s_addk_i32 s95, 0xf000
	s_cmp_lt_u32 s96, s92
	s_mov_b32 s88, s96
	s_cbranch_scc0 .LBB500_896
.LBB500_688:                            ;   Parent Loop BB500_12 Depth=1
                                        ; =>  This Inner Loop Header: Depth=2
	s_add_i32 s96, s88, 0x1000
	s_cmp_gt_u32 s96, s92
	s_cbranch_scc1 .LBB500_691
; %bb.689:                              ;   in Loop: Header=BB500_688 Depth=2
	s_lshl_b64 s[36:37], s[88:89], 2
	v_mov_b32_e32 v5, s37
	v_add_co_u32_e32 v60, vcc, s36, v130
	v_addc_co_u32_e32 v61, vcc, v131, v5, vcc
	global_load_dword v5, v[60:61], off
	global_load_dword v154, v[60:61], off offset:256
	global_load_dword v159, v[60:61], off offset:512
	;; [unrolled: 1-line block ×14, first 2 shown]
	s_mov_b64 s[36:37], -1
	s_movk_i32 s40, 0x1000
	s_cbranch_execz .LBB500_692
; %bb.690:                              ;   in Loop: Header=BB500_688 Depth=2
                                        ; implicit-def: $sgpr38
	v_mov_b32_e32 v63, s38
	v_mov_b32_e32 v151, s95
	s_and_saveexec_b64 s[38:39], s[36:37]
	s_cbranch_execnz .LBB500_723
	s_branch .LBB500_724
.LBB500_691:                            ;   in Loop: Header=BB500_688 Depth=2
	s_mov_b64 s[36:37], 0
                                        ; implicit-def: $sgpr40
                                        ; implicit-def: $vgpr5
                                        ; implicit-def: $vgpr154
                                        ; implicit-def: $vgpr159
                                        ; implicit-def: $vgpr164
                                        ; implicit-def: $vgpr169
                                        ; implicit-def: $vgpr174
                                        ; implicit-def: $vgpr179
                                        ; implicit-def: $vgpr184
                                        ; implicit-def: $vgpr182
                                        ; implicit-def: $vgpr177
                                        ; implicit-def: $vgpr173
                                        ; implicit-def: $vgpr168
                                        ; implicit-def: $vgpr163
                                        ; implicit-def: $vgpr158
                                        ; implicit-def: $vgpr62
.LBB500_692:                            ;   in Loop: Header=BB500_688 Depth=2
	s_lshl_b64 s[36:37], s[88:89], 2
	s_waitcnt vmcnt(14)
	v_mov_b32_e32 v5, s37
	v_add_co_u32_e32 v60, vcc, s36, v130
	v_addc_co_u32_e32 v61, vcc, v131, v5, vcc
	v_cmp_gt_u32_e32 vcc, s95, v109
	s_waitcnt vmcnt(13)
	v_bfrev_b32_e32 v154, 1
	v_bfrev_b32_e32 v5, 1
	s_and_saveexec_b64 s[36:37], vcc
	s_cbranch_execz .LBB500_694
; %bb.693:                              ;   in Loop: Header=BB500_688 Depth=2
	global_load_dword v5, v[60:61], off
.LBB500_694:                            ;   in Loop: Header=BB500_688 Depth=2
	s_or_b64 exec, exec, s[36:37]
	v_cmp_gt_u32_e32 vcc, s95, v110
	s_and_saveexec_b64 s[36:37], vcc
	s_cbranch_execz .LBB500_696
; %bb.695:                              ;   in Loop: Header=BB500_688 Depth=2
	global_load_dword v154, v[60:61], off offset:256
.LBB500_696:                            ;   in Loop: Header=BB500_688 Depth=2
	s_or_b64 exec, exec, s[36:37]
	v_cmp_gt_u32_e32 vcc, s95, v111
	s_waitcnt vmcnt(11)
	v_bfrev_b32_e32 v164, 1
	v_bfrev_b32_e32 v159, 1
	s_and_saveexec_b64 s[36:37], vcc
	s_cbranch_execz .LBB500_698
; %bb.697:                              ;   in Loop: Header=BB500_688 Depth=2
	global_load_dword v159, v[60:61], off offset:512
.LBB500_698:                            ;   in Loop: Header=BB500_688 Depth=2
	s_or_b64 exec, exec, s[36:37]
	v_cmp_gt_u32_e32 vcc, s95, v112
	s_and_saveexec_b64 s[36:37], vcc
	s_cbranch_execz .LBB500_700
; %bb.699:                              ;   in Loop: Header=BB500_688 Depth=2
	global_load_dword v164, v[60:61], off offset:768
.LBB500_700:                            ;   in Loop: Header=BB500_688 Depth=2
	s_or_b64 exec, exec, s[36:37]
	v_cmp_gt_u32_e32 vcc, s95, v113
	s_waitcnt vmcnt(9)
	v_bfrev_b32_e32 v174, 1
	v_bfrev_b32_e32 v169, 1
	s_and_saveexec_b64 s[36:37], vcc
	s_cbranch_execz .LBB500_702
; %bb.701:                              ;   in Loop: Header=BB500_688 Depth=2
	global_load_dword v169, v[60:61], off offset:1024
.LBB500_702:                            ;   in Loop: Header=BB500_688 Depth=2
	;; [unrolled: 17-line block ×6, first 2 shown]
	s_or_b64 exec, exec, s[36:37]
	v_cmp_gt_u32_e32 vcc, s95, v122
	s_and_saveexec_b64 s[36:37], vcc
	s_cbranch_execz .LBB500_720
; %bb.719:                              ;   in Loop: Header=BB500_688 Depth=2
	global_load_dword v158, v[60:61], off offset:3328
.LBB500_720:                            ;   in Loop: Header=BB500_688 Depth=2
	s_or_b64 exec, exec, s[36:37]
	v_cmp_gt_u32_e32 vcc, s95, v123
	s_waitcnt vmcnt(0)
	v_bfrev_b32_e32 v62, 1
	s_and_saveexec_b64 s[36:37], vcc
	s_cbranch_execz .LBB500_722
; %bb.721:                              ;   in Loop: Header=BB500_688 Depth=2
	global_load_dword v62, v[60:61], off offset:3584
.LBB500_722:                            ;   in Loop: Header=BB500_688 Depth=2
	s_or_b64 exec, exec, s[36:37]
	s_sub_i32 s40, s92, s88
	v_cmp_gt_u32_e64 s[36:37], s95, v124
	s_brev_b32 s38, 1
	v_mov_b32_e32 v63, s38
	v_mov_b32_e32 v151, s95
	s_and_saveexec_b64 s[38:39], s[36:37]
	s_cbranch_execz .LBB500_724
.LBB500_723:                            ;   in Loop: Header=BB500_688 Depth=2
	s_lshl_b64 s[36:37], s[88:89], 2
	v_mov_b32_e32 v61, s37
	v_add_co_u32_e32 v60, vcc, s36, v145
	v_addc_co_u32_e32 v61, vcc, v148, v61, vcc
	global_load_dword v63, v[60:61], off
	v_mov_b32_e32 v151, s40
.LBB500_724:                            ;   in Loop: Header=BB500_688 Depth=2
	s_or_b64 exec, exec, s[38:39]
	s_waitcnt vmcnt(14)
	v_xor_b32_e32 v152, 0x7fffffff, v5
	v_lshrrev_b32_e32 v5, s85, v152
	v_and_b32_e32 v60, s94, v5
	v_mad_u32_u24 v5, v60, 5, v150
	v_lshl_add_u32 v153, v5, 2, v65
	v_and_b32_e32 v5, 1, v60
	v_add_co_u32_e32 v61, vcc, -1, v5
	v_addc_co_u32_e64 v155, s[36:37], 0, -1, vcc
	v_cmp_ne_u32_e32 vcc, 0, v5
	v_xor_b32_e32 v5, vcc_hi, v155
	v_and_b32_e32 v155, exec_hi, v5
	v_lshlrev_b32_e32 v5, 30, v60
	v_xor_b32_e32 v61, vcc_lo, v61
	v_cmp_gt_i64_e32 vcc, 0, v[4:5]
	v_not_b32_e32 v5, v5
	v_ashrrev_i32_e32 v5, 31, v5
	v_and_b32_e32 v61, exec_lo, v61
	v_xor_b32_e32 v156, vcc_hi, v5
	v_xor_b32_e32 v5, vcc_lo, v5
	v_and_b32_e32 v61, v61, v5
	v_lshlrev_b32_e32 v5, 29, v60
	v_cmp_gt_i64_e32 vcc, 0, v[4:5]
	v_not_b32_e32 v5, v5
	v_ashrrev_i32_e32 v5, 31, v5
	v_and_b32_e32 v155, v155, v156
	v_xor_b32_e32 v156, vcc_hi, v5
	v_xor_b32_e32 v5, vcc_lo, v5
	v_and_b32_e32 v61, v61, v5
	v_lshlrev_b32_e32 v5, 28, v60
	v_cmp_gt_i64_e32 vcc, 0, v[4:5]
	v_not_b32_e32 v5, v5
	v_ashrrev_i32_e32 v5, 31, v5
	v_and_b32_e32 v155, v155, v156
	;; [unrolled: 8-line block ×5, first 2 shown]
	v_xor_b32_e32 v156, vcc_hi, v5
	v_xor_b32_e32 v5, vcc_lo, v5
	v_and_b32_e32 v155, v155, v156
	v_and_b32_e32 v156, v61, v5
	v_lshlrev_b32_e32 v5, 24, v60
	v_cmp_gt_i64_e32 vcc, 0, v[4:5]
	v_not_b32_e32 v5, v5
	v_ashrrev_i32_e32 v5, 31, v5
	v_xor_b32_e32 v60, vcc_hi, v5
	v_xor_b32_e32 v5, vcc_lo, v5
	v_and_b32_e32 v61, v155, v60
	v_and_b32_e32 v60, v156, v5
	v_mbcnt_lo_u32_b32 v5, v60, 0
	v_mbcnt_hi_u32_b32 v155, v61, v5
	v_cmp_eq_u32_e32 vcc, 0, v155
	v_cmp_ne_u64_e64 s[36:37], 0, v[60:61]
	s_and_b64 s[38:39], s[36:37], vcc
	ds_write2_b32 v126, v4, v4 offset1:1
	ds_write2_b32 v66, v4, v4 offset0:2 offset1:3
	ds_write_b32 v66, v4 offset:16
	s_waitcnt lgkmcnt(0)
	s_barrier
	s_waitcnt lgkmcnt(0)
	; wave barrier
	s_and_saveexec_b64 s[36:37], s[38:39]
	s_cbranch_execz .LBB500_726
; %bb.725:                              ;   in Loop: Header=BB500_688 Depth=2
	v_bcnt_u32_b32 v5, v60, 0
	v_bcnt_u32_b32 v5, v61, v5
	ds_write_b32 v153, v5
.LBB500_726:                            ;   in Loop: Header=BB500_688 Depth=2
	s_or_b64 exec, exec, s[36:37]
	s_waitcnt vmcnt(13)
	v_xor_b32_e32 v154, 0x7fffffff, v154
	v_lshrrev_b32_e32 v5, s85, v154
	v_and_b32_e32 v60, s94, v5
	v_mul_u32_u24_e32 v5, 5, v60
	v_add_lshl_u32 v5, v5, v150, 2
	; wave barrier
	v_add_u32_e32 v157, 0x410, v5
	ds_read_b32 v156, v5 offset:1040
	v_and_b32_e32 v5, 1, v60
	v_add_co_u32_e32 v61, vcc, -1, v5
	v_addc_co_u32_e64 v160, s[36:37], 0, -1, vcc
	v_cmp_ne_u32_e32 vcc, 0, v5
	v_xor_b32_e32 v5, vcc_hi, v160
	v_and_b32_e32 v160, exec_hi, v5
	v_lshlrev_b32_e32 v5, 30, v60
	v_xor_b32_e32 v61, vcc_lo, v61
	v_cmp_gt_i64_e32 vcc, 0, v[4:5]
	v_not_b32_e32 v5, v5
	v_ashrrev_i32_e32 v5, 31, v5
	v_and_b32_e32 v61, exec_lo, v61
	v_xor_b32_e32 v161, vcc_hi, v5
	v_xor_b32_e32 v5, vcc_lo, v5
	v_and_b32_e32 v61, v61, v5
	v_lshlrev_b32_e32 v5, 29, v60
	v_cmp_gt_i64_e32 vcc, 0, v[4:5]
	v_not_b32_e32 v5, v5
	v_ashrrev_i32_e32 v5, 31, v5
	v_and_b32_e32 v160, v160, v161
	v_xor_b32_e32 v161, vcc_hi, v5
	v_xor_b32_e32 v5, vcc_lo, v5
	v_and_b32_e32 v61, v61, v5
	v_lshlrev_b32_e32 v5, 28, v60
	v_cmp_gt_i64_e32 vcc, 0, v[4:5]
	v_not_b32_e32 v5, v5
	v_ashrrev_i32_e32 v5, 31, v5
	v_and_b32_e32 v160, v160, v161
	;; [unrolled: 8-line block ×5, first 2 shown]
	v_xor_b32_e32 v161, vcc_hi, v5
	v_xor_b32_e32 v5, vcc_lo, v5
	v_and_b32_e32 v160, v160, v161
	v_and_b32_e32 v161, v61, v5
	v_lshlrev_b32_e32 v5, 24, v60
	v_cmp_gt_i64_e32 vcc, 0, v[4:5]
	v_not_b32_e32 v5, v5
	v_ashrrev_i32_e32 v5, 31, v5
	v_xor_b32_e32 v60, vcc_hi, v5
	v_xor_b32_e32 v5, vcc_lo, v5
	v_and_b32_e32 v61, v160, v60
	v_and_b32_e32 v60, v161, v5
	v_mbcnt_lo_u32_b32 v5, v60, 0
	v_mbcnt_hi_u32_b32 v160, v61, v5
	v_cmp_eq_u32_e32 vcc, 0, v160
	v_cmp_ne_u64_e64 s[36:37], 0, v[60:61]
	s_and_b64 s[38:39], s[36:37], vcc
	; wave barrier
	s_and_saveexec_b64 s[36:37], s[38:39]
	s_cbranch_execz .LBB500_728
; %bb.727:                              ;   in Loop: Header=BB500_688 Depth=2
	v_bcnt_u32_b32 v5, v60, 0
	v_bcnt_u32_b32 v5, v61, v5
	s_waitcnt lgkmcnt(0)
	v_add_u32_e32 v5, v156, v5
	ds_write_b32 v157, v5
.LBB500_728:                            ;   in Loop: Header=BB500_688 Depth=2
	s_or_b64 exec, exec, s[36:37]
	s_waitcnt vmcnt(12)
	v_xor_b32_e32 v159, 0x7fffffff, v159
	v_lshrrev_b32_e32 v5, s85, v159
	v_and_b32_e32 v60, s94, v5
	v_mul_u32_u24_e32 v5, 5, v60
	v_add_lshl_u32 v5, v5, v150, 2
	; wave barrier
	v_add_u32_e32 v162, 0x410, v5
	ds_read_b32 v161, v5 offset:1040
	v_and_b32_e32 v5, 1, v60
	v_add_co_u32_e32 v61, vcc, -1, v5
	v_addc_co_u32_e64 v165, s[36:37], 0, -1, vcc
	v_cmp_ne_u32_e32 vcc, 0, v5
	v_xor_b32_e32 v5, vcc_hi, v165
	v_and_b32_e32 v165, exec_hi, v5
	v_lshlrev_b32_e32 v5, 30, v60
	v_xor_b32_e32 v61, vcc_lo, v61
	v_cmp_gt_i64_e32 vcc, 0, v[4:5]
	v_not_b32_e32 v5, v5
	v_ashrrev_i32_e32 v5, 31, v5
	v_and_b32_e32 v61, exec_lo, v61
	v_xor_b32_e32 v166, vcc_hi, v5
	v_xor_b32_e32 v5, vcc_lo, v5
	v_and_b32_e32 v61, v61, v5
	v_lshlrev_b32_e32 v5, 29, v60
	v_cmp_gt_i64_e32 vcc, 0, v[4:5]
	v_not_b32_e32 v5, v5
	v_ashrrev_i32_e32 v5, 31, v5
	v_and_b32_e32 v165, v165, v166
	v_xor_b32_e32 v166, vcc_hi, v5
	v_xor_b32_e32 v5, vcc_lo, v5
	v_and_b32_e32 v61, v61, v5
	v_lshlrev_b32_e32 v5, 28, v60
	v_cmp_gt_i64_e32 vcc, 0, v[4:5]
	v_not_b32_e32 v5, v5
	v_ashrrev_i32_e32 v5, 31, v5
	v_and_b32_e32 v165, v165, v166
	;; [unrolled: 8-line block ×5, first 2 shown]
	v_xor_b32_e32 v166, vcc_hi, v5
	v_xor_b32_e32 v5, vcc_lo, v5
	v_and_b32_e32 v165, v165, v166
	v_and_b32_e32 v166, v61, v5
	v_lshlrev_b32_e32 v5, 24, v60
	v_cmp_gt_i64_e32 vcc, 0, v[4:5]
	v_not_b32_e32 v5, v5
	v_ashrrev_i32_e32 v5, 31, v5
	v_xor_b32_e32 v60, vcc_hi, v5
	v_xor_b32_e32 v5, vcc_lo, v5
	v_and_b32_e32 v61, v165, v60
	v_and_b32_e32 v60, v166, v5
	v_mbcnt_lo_u32_b32 v5, v60, 0
	v_mbcnt_hi_u32_b32 v165, v61, v5
	v_cmp_eq_u32_e32 vcc, 0, v165
	v_cmp_ne_u64_e64 s[36:37], 0, v[60:61]
	s_and_b64 s[38:39], s[36:37], vcc
	; wave barrier
	s_and_saveexec_b64 s[36:37], s[38:39]
	s_cbranch_execz .LBB500_730
; %bb.729:                              ;   in Loop: Header=BB500_688 Depth=2
	v_bcnt_u32_b32 v5, v60, 0
	v_bcnt_u32_b32 v5, v61, v5
	s_waitcnt lgkmcnt(0)
	v_add_u32_e32 v5, v161, v5
	ds_write_b32 v162, v5
.LBB500_730:                            ;   in Loop: Header=BB500_688 Depth=2
	s_or_b64 exec, exec, s[36:37]
	s_waitcnt vmcnt(11)
	v_xor_b32_e32 v164, 0x7fffffff, v164
	v_lshrrev_b32_e32 v5, s85, v164
	v_and_b32_e32 v60, s94, v5
	v_mul_u32_u24_e32 v5, 5, v60
	v_add_lshl_u32 v5, v5, v150, 2
	; wave barrier
	v_add_u32_e32 v167, 0x410, v5
	ds_read_b32 v166, v5 offset:1040
	v_and_b32_e32 v5, 1, v60
	v_add_co_u32_e32 v61, vcc, -1, v5
	v_addc_co_u32_e64 v170, s[36:37], 0, -1, vcc
	v_cmp_ne_u32_e32 vcc, 0, v5
	v_xor_b32_e32 v5, vcc_hi, v170
	v_and_b32_e32 v170, exec_hi, v5
	v_lshlrev_b32_e32 v5, 30, v60
	v_xor_b32_e32 v61, vcc_lo, v61
	v_cmp_gt_i64_e32 vcc, 0, v[4:5]
	v_not_b32_e32 v5, v5
	v_ashrrev_i32_e32 v5, 31, v5
	v_and_b32_e32 v61, exec_lo, v61
	v_xor_b32_e32 v171, vcc_hi, v5
	v_xor_b32_e32 v5, vcc_lo, v5
	v_and_b32_e32 v61, v61, v5
	v_lshlrev_b32_e32 v5, 29, v60
	v_cmp_gt_i64_e32 vcc, 0, v[4:5]
	v_not_b32_e32 v5, v5
	v_ashrrev_i32_e32 v5, 31, v5
	v_and_b32_e32 v170, v170, v171
	v_xor_b32_e32 v171, vcc_hi, v5
	v_xor_b32_e32 v5, vcc_lo, v5
	v_and_b32_e32 v61, v61, v5
	v_lshlrev_b32_e32 v5, 28, v60
	v_cmp_gt_i64_e32 vcc, 0, v[4:5]
	v_not_b32_e32 v5, v5
	v_ashrrev_i32_e32 v5, 31, v5
	v_and_b32_e32 v170, v170, v171
	;; [unrolled: 8-line block ×5, first 2 shown]
	v_xor_b32_e32 v171, vcc_hi, v5
	v_xor_b32_e32 v5, vcc_lo, v5
	v_and_b32_e32 v170, v170, v171
	v_and_b32_e32 v171, v61, v5
	v_lshlrev_b32_e32 v5, 24, v60
	v_cmp_gt_i64_e32 vcc, 0, v[4:5]
	v_not_b32_e32 v5, v5
	v_ashrrev_i32_e32 v5, 31, v5
	v_xor_b32_e32 v60, vcc_hi, v5
	v_xor_b32_e32 v5, vcc_lo, v5
	v_and_b32_e32 v61, v170, v60
	v_and_b32_e32 v60, v171, v5
	v_mbcnt_lo_u32_b32 v5, v60, 0
	v_mbcnt_hi_u32_b32 v170, v61, v5
	v_cmp_eq_u32_e32 vcc, 0, v170
	v_cmp_ne_u64_e64 s[36:37], 0, v[60:61]
	s_and_b64 s[38:39], s[36:37], vcc
	; wave barrier
	s_and_saveexec_b64 s[36:37], s[38:39]
	s_cbranch_execz .LBB500_732
; %bb.731:                              ;   in Loop: Header=BB500_688 Depth=2
	v_bcnt_u32_b32 v5, v60, 0
	v_bcnt_u32_b32 v5, v61, v5
	s_waitcnt lgkmcnt(0)
	v_add_u32_e32 v5, v166, v5
	ds_write_b32 v167, v5
.LBB500_732:                            ;   in Loop: Header=BB500_688 Depth=2
	s_or_b64 exec, exec, s[36:37]
	s_waitcnt vmcnt(10)
	v_xor_b32_e32 v169, 0x7fffffff, v169
	v_lshrrev_b32_e32 v5, s85, v169
	v_and_b32_e32 v60, s94, v5
	v_mul_u32_u24_e32 v5, 5, v60
	v_add_lshl_u32 v5, v5, v150, 2
	; wave barrier
	v_add_u32_e32 v172, 0x410, v5
	ds_read_b32 v171, v5 offset:1040
	v_and_b32_e32 v5, 1, v60
	v_add_co_u32_e32 v61, vcc, -1, v5
	v_addc_co_u32_e64 v175, s[36:37], 0, -1, vcc
	v_cmp_ne_u32_e32 vcc, 0, v5
	v_xor_b32_e32 v5, vcc_hi, v175
	v_and_b32_e32 v175, exec_hi, v5
	v_lshlrev_b32_e32 v5, 30, v60
	v_xor_b32_e32 v61, vcc_lo, v61
	v_cmp_gt_i64_e32 vcc, 0, v[4:5]
	v_not_b32_e32 v5, v5
	v_ashrrev_i32_e32 v5, 31, v5
	v_and_b32_e32 v61, exec_lo, v61
	v_xor_b32_e32 v176, vcc_hi, v5
	v_xor_b32_e32 v5, vcc_lo, v5
	v_and_b32_e32 v61, v61, v5
	v_lshlrev_b32_e32 v5, 29, v60
	v_cmp_gt_i64_e32 vcc, 0, v[4:5]
	v_not_b32_e32 v5, v5
	v_ashrrev_i32_e32 v5, 31, v5
	v_and_b32_e32 v175, v175, v176
	v_xor_b32_e32 v176, vcc_hi, v5
	v_xor_b32_e32 v5, vcc_lo, v5
	v_and_b32_e32 v61, v61, v5
	v_lshlrev_b32_e32 v5, 28, v60
	v_cmp_gt_i64_e32 vcc, 0, v[4:5]
	v_not_b32_e32 v5, v5
	v_ashrrev_i32_e32 v5, 31, v5
	v_and_b32_e32 v175, v175, v176
	;; [unrolled: 8-line block ×5, first 2 shown]
	v_xor_b32_e32 v176, vcc_hi, v5
	v_xor_b32_e32 v5, vcc_lo, v5
	v_and_b32_e32 v175, v175, v176
	v_and_b32_e32 v176, v61, v5
	v_lshlrev_b32_e32 v5, 24, v60
	v_cmp_gt_i64_e32 vcc, 0, v[4:5]
	v_not_b32_e32 v5, v5
	v_ashrrev_i32_e32 v5, 31, v5
	v_xor_b32_e32 v60, vcc_hi, v5
	v_xor_b32_e32 v5, vcc_lo, v5
	v_and_b32_e32 v61, v175, v60
	v_and_b32_e32 v60, v176, v5
	v_mbcnt_lo_u32_b32 v5, v60, 0
	v_mbcnt_hi_u32_b32 v175, v61, v5
	v_cmp_eq_u32_e32 vcc, 0, v175
	v_cmp_ne_u64_e64 s[36:37], 0, v[60:61]
	s_and_b64 s[38:39], s[36:37], vcc
	; wave barrier
	s_and_saveexec_b64 s[36:37], s[38:39]
	s_cbranch_execz .LBB500_734
; %bb.733:                              ;   in Loop: Header=BB500_688 Depth=2
	v_bcnt_u32_b32 v5, v60, 0
	v_bcnt_u32_b32 v5, v61, v5
	s_waitcnt lgkmcnt(0)
	v_add_u32_e32 v5, v171, v5
	ds_write_b32 v172, v5
.LBB500_734:                            ;   in Loop: Header=BB500_688 Depth=2
	s_or_b64 exec, exec, s[36:37]
	s_waitcnt vmcnt(9)
	v_xor_b32_e32 v174, 0x7fffffff, v174
	v_lshrrev_b32_e32 v5, s85, v174
	v_and_b32_e32 v60, s94, v5
	v_mul_u32_u24_e32 v5, 5, v60
	v_add_lshl_u32 v5, v5, v150, 2
	; wave barrier
	v_add_u32_e32 v178, 0x410, v5
	ds_read_b32 v176, v5 offset:1040
	v_and_b32_e32 v5, 1, v60
	v_add_co_u32_e32 v61, vcc, -1, v5
	v_addc_co_u32_e64 v180, s[36:37], 0, -1, vcc
	v_cmp_ne_u32_e32 vcc, 0, v5
	v_xor_b32_e32 v5, vcc_hi, v180
	v_and_b32_e32 v180, exec_hi, v5
	v_lshlrev_b32_e32 v5, 30, v60
	v_xor_b32_e32 v61, vcc_lo, v61
	v_cmp_gt_i64_e32 vcc, 0, v[4:5]
	v_not_b32_e32 v5, v5
	v_ashrrev_i32_e32 v5, 31, v5
	v_and_b32_e32 v61, exec_lo, v61
	v_xor_b32_e32 v181, vcc_hi, v5
	v_xor_b32_e32 v5, vcc_lo, v5
	v_and_b32_e32 v61, v61, v5
	v_lshlrev_b32_e32 v5, 29, v60
	v_cmp_gt_i64_e32 vcc, 0, v[4:5]
	v_not_b32_e32 v5, v5
	v_ashrrev_i32_e32 v5, 31, v5
	v_and_b32_e32 v180, v180, v181
	v_xor_b32_e32 v181, vcc_hi, v5
	v_xor_b32_e32 v5, vcc_lo, v5
	v_and_b32_e32 v61, v61, v5
	v_lshlrev_b32_e32 v5, 28, v60
	v_cmp_gt_i64_e32 vcc, 0, v[4:5]
	v_not_b32_e32 v5, v5
	v_ashrrev_i32_e32 v5, 31, v5
	v_and_b32_e32 v180, v180, v181
	;; [unrolled: 8-line block ×5, first 2 shown]
	v_xor_b32_e32 v181, vcc_hi, v5
	v_xor_b32_e32 v5, vcc_lo, v5
	v_and_b32_e32 v180, v180, v181
	v_and_b32_e32 v181, v61, v5
	v_lshlrev_b32_e32 v5, 24, v60
	v_cmp_gt_i64_e32 vcc, 0, v[4:5]
	v_not_b32_e32 v5, v5
	v_ashrrev_i32_e32 v5, 31, v5
	v_xor_b32_e32 v60, vcc_hi, v5
	v_xor_b32_e32 v5, vcc_lo, v5
	v_and_b32_e32 v61, v180, v60
	v_and_b32_e32 v60, v181, v5
	v_mbcnt_lo_u32_b32 v5, v60, 0
	v_mbcnt_hi_u32_b32 v180, v61, v5
	v_cmp_eq_u32_e32 vcc, 0, v180
	v_cmp_ne_u64_e64 s[36:37], 0, v[60:61]
	s_and_b64 s[38:39], s[36:37], vcc
	; wave barrier
	s_and_saveexec_b64 s[36:37], s[38:39]
	s_cbranch_execz .LBB500_736
; %bb.735:                              ;   in Loop: Header=BB500_688 Depth=2
	v_bcnt_u32_b32 v5, v60, 0
	v_bcnt_u32_b32 v5, v61, v5
	s_waitcnt lgkmcnt(0)
	v_add_u32_e32 v5, v176, v5
	ds_write_b32 v178, v5
.LBB500_736:                            ;   in Loop: Header=BB500_688 Depth=2
	s_or_b64 exec, exec, s[36:37]
	s_waitcnt vmcnt(8)
	v_xor_b32_e32 v179, 0x7fffffff, v179
	v_lshrrev_b32_e32 v5, s85, v179
	v_and_b32_e32 v60, s94, v5
	v_mul_u32_u24_e32 v5, 5, v60
	v_add_lshl_u32 v5, v5, v150, 2
	; wave barrier
	v_add_u32_e32 v183, 0x410, v5
	ds_read_b32 v181, v5 offset:1040
	v_and_b32_e32 v5, 1, v60
	v_add_co_u32_e32 v61, vcc, -1, v5
	v_addc_co_u32_e64 v185, s[36:37], 0, -1, vcc
	v_cmp_ne_u32_e32 vcc, 0, v5
	v_xor_b32_e32 v5, vcc_hi, v185
	v_and_b32_e32 v185, exec_hi, v5
	v_lshlrev_b32_e32 v5, 30, v60
	v_xor_b32_e32 v61, vcc_lo, v61
	v_cmp_gt_i64_e32 vcc, 0, v[4:5]
	v_not_b32_e32 v5, v5
	v_ashrrev_i32_e32 v5, 31, v5
	v_and_b32_e32 v61, exec_lo, v61
	v_xor_b32_e32 v186, vcc_hi, v5
	v_xor_b32_e32 v5, vcc_lo, v5
	v_and_b32_e32 v61, v61, v5
	v_lshlrev_b32_e32 v5, 29, v60
	v_cmp_gt_i64_e32 vcc, 0, v[4:5]
	v_not_b32_e32 v5, v5
	v_ashrrev_i32_e32 v5, 31, v5
	v_and_b32_e32 v185, v185, v186
	v_xor_b32_e32 v186, vcc_hi, v5
	v_xor_b32_e32 v5, vcc_lo, v5
	v_and_b32_e32 v61, v61, v5
	v_lshlrev_b32_e32 v5, 28, v60
	v_cmp_gt_i64_e32 vcc, 0, v[4:5]
	v_not_b32_e32 v5, v5
	v_ashrrev_i32_e32 v5, 31, v5
	v_and_b32_e32 v185, v185, v186
	;; [unrolled: 8-line block ×5, first 2 shown]
	v_xor_b32_e32 v186, vcc_hi, v5
	v_xor_b32_e32 v5, vcc_lo, v5
	v_and_b32_e32 v185, v185, v186
	v_and_b32_e32 v186, v61, v5
	v_lshlrev_b32_e32 v5, 24, v60
	v_cmp_gt_i64_e32 vcc, 0, v[4:5]
	v_not_b32_e32 v5, v5
	v_ashrrev_i32_e32 v5, 31, v5
	v_xor_b32_e32 v60, vcc_hi, v5
	v_xor_b32_e32 v5, vcc_lo, v5
	v_and_b32_e32 v61, v185, v60
	v_and_b32_e32 v60, v186, v5
	v_mbcnt_lo_u32_b32 v5, v60, 0
	v_mbcnt_hi_u32_b32 v185, v61, v5
	v_cmp_eq_u32_e32 vcc, 0, v185
	v_cmp_ne_u64_e64 s[36:37], 0, v[60:61]
	s_and_b64 s[38:39], s[36:37], vcc
	; wave barrier
	s_and_saveexec_b64 s[36:37], s[38:39]
	s_cbranch_execz .LBB500_738
; %bb.737:                              ;   in Loop: Header=BB500_688 Depth=2
	v_bcnt_u32_b32 v5, v60, 0
	v_bcnt_u32_b32 v5, v61, v5
	s_waitcnt lgkmcnt(0)
	v_add_u32_e32 v5, v181, v5
	ds_write_b32 v183, v5
.LBB500_738:                            ;   in Loop: Header=BB500_688 Depth=2
	s_or_b64 exec, exec, s[36:37]
	s_waitcnt vmcnt(7)
	v_xor_b32_e32 v184, 0x7fffffff, v184
	v_lshrrev_b32_e32 v5, s85, v184
	v_and_b32_e32 v60, s94, v5
	v_mul_u32_u24_e32 v5, 5, v60
	v_add_lshl_u32 v5, v5, v150, 2
	; wave barrier
	v_add_u32_e32 v187, 0x410, v5
	ds_read_b32 v186, v5 offset:1040
	v_and_b32_e32 v5, 1, v60
	v_add_co_u32_e32 v61, vcc, -1, v5
	v_addc_co_u32_e64 v188, s[36:37], 0, -1, vcc
	v_cmp_ne_u32_e32 vcc, 0, v5
	v_xor_b32_e32 v5, vcc_hi, v188
	v_and_b32_e32 v188, exec_hi, v5
	v_lshlrev_b32_e32 v5, 30, v60
	v_xor_b32_e32 v61, vcc_lo, v61
	v_cmp_gt_i64_e32 vcc, 0, v[4:5]
	v_not_b32_e32 v5, v5
	v_ashrrev_i32_e32 v5, 31, v5
	v_and_b32_e32 v61, exec_lo, v61
	v_xor_b32_e32 v189, vcc_hi, v5
	v_xor_b32_e32 v5, vcc_lo, v5
	v_and_b32_e32 v61, v61, v5
	v_lshlrev_b32_e32 v5, 29, v60
	v_cmp_gt_i64_e32 vcc, 0, v[4:5]
	v_not_b32_e32 v5, v5
	v_ashrrev_i32_e32 v5, 31, v5
	v_and_b32_e32 v188, v188, v189
	v_xor_b32_e32 v189, vcc_hi, v5
	v_xor_b32_e32 v5, vcc_lo, v5
	v_and_b32_e32 v61, v61, v5
	v_lshlrev_b32_e32 v5, 28, v60
	v_cmp_gt_i64_e32 vcc, 0, v[4:5]
	v_not_b32_e32 v5, v5
	v_ashrrev_i32_e32 v5, 31, v5
	v_and_b32_e32 v188, v188, v189
	;; [unrolled: 8-line block ×5, first 2 shown]
	v_xor_b32_e32 v189, vcc_hi, v5
	v_xor_b32_e32 v5, vcc_lo, v5
	v_and_b32_e32 v188, v188, v189
	v_and_b32_e32 v189, v61, v5
	v_lshlrev_b32_e32 v5, 24, v60
	v_cmp_gt_i64_e32 vcc, 0, v[4:5]
	v_not_b32_e32 v5, v5
	v_ashrrev_i32_e32 v5, 31, v5
	v_xor_b32_e32 v60, vcc_hi, v5
	v_xor_b32_e32 v5, vcc_lo, v5
	v_and_b32_e32 v61, v188, v60
	v_and_b32_e32 v60, v189, v5
	v_mbcnt_lo_u32_b32 v5, v60, 0
	v_mbcnt_hi_u32_b32 v188, v61, v5
	v_cmp_eq_u32_e32 vcc, 0, v188
	v_cmp_ne_u64_e64 s[36:37], 0, v[60:61]
	s_and_b64 s[38:39], s[36:37], vcc
	; wave barrier
	s_and_saveexec_b64 s[36:37], s[38:39]
	s_cbranch_execz .LBB500_740
; %bb.739:                              ;   in Loop: Header=BB500_688 Depth=2
	v_bcnt_u32_b32 v5, v60, 0
	v_bcnt_u32_b32 v5, v61, v5
	s_waitcnt lgkmcnt(0)
	v_add_u32_e32 v5, v186, v5
	ds_write_b32 v187, v5
.LBB500_740:                            ;   in Loop: Header=BB500_688 Depth=2
	s_or_b64 exec, exec, s[36:37]
	s_waitcnt vmcnt(6)
	v_xor_b32_e32 v182, 0x7fffffff, v182
	v_lshrrev_b32_e32 v5, s85, v182
	v_and_b32_e32 v60, s94, v5
	v_mul_u32_u24_e32 v5, 5, v60
	v_add_lshl_u32 v5, v5, v150, 2
	; wave barrier
	v_add_u32_e32 v190, 0x410, v5
	ds_read_b32 v189, v5 offset:1040
	v_and_b32_e32 v5, 1, v60
	v_add_co_u32_e32 v61, vcc, -1, v5
	v_addc_co_u32_e64 v191, s[36:37], 0, -1, vcc
	v_cmp_ne_u32_e32 vcc, 0, v5
	v_xor_b32_e32 v5, vcc_hi, v191
	v_and_b32_e32 v191, exec_hi, v5
	v_lshlrev_b32_e32 v5, 30, v60
	v_xor_b32_e32 v61, vcc_lo, v61
	v_cmp_gt_i64_e32 vcc, 0, v[4:5]
	v_not_b32_e32 v5, v5
	v_ashrrev_i32_e32 v5, 31, v5
	v_and_b32_e32 v61, exec_lo, v61
	v_xor_b32_e32 v192, vcc_hi, v5
	v_xor_b32_e32 v5, vcc_lo, v5
	v_and_b32_e32 v61, v61, v5
	v_lshlrev_b32_e32 v5, 29, v60
	v_cmp_gt_i64_e32 vcc, 0, v[4:5]
	v_not_b32_e32 v5, v5
	v_ashrrev_i32_e32 v5, 31, v5
	v_and_b32_e32 v191, v191, v192
	v_xor_b32_e32 v192, vcc_hi, v5
	v_xor_b32_e32 v5, vcc_lo, v5
	v_and_b32_e32 v61, v61, v5
	v_lshlrev_b32_e32 v5, 28, v60
	v_cmp_gt_i64_e32 vcc, 0, v[4:5]
	v_not_b32_e32 v5, v5
	v_ashrrev_i32_e32 v5, 31, v5
	v_and_b32_e32 v191, v191, v192
	;; [unrolled: 8-line block ×5, first 2 shown]
	v_xor_b32_e32 v192, vcc_hi, v5
	v_xor_b32_e32 v5, vcc_lo, v5
	v_and_b32_e32 v191, v191, v192
	v_and_b32_e32 v192, v61, v5
	v_lshlrev_b32_e32 v5, 24, v60
	v_cmp_gt_i64_e32 vcc, 0, v[4:5]
	v_not_b32_e32 v5, v5
	v_ashrrev_i32_e32 v5, 31, v5
	v_xor_b32_e32 v60, vcc_hi, v5
	v_xor_b32_e32 v5, vcc_lo, v5
	v_and_b32_e32 v61, v191, v60
	v_and_b32_e32 v60, v192, v5
	v_mbcnt_lo_u32_b32 v5, v60, 0
	v_mbcnt_hi_u32_b32 v191, v61, v5
	v_cmp_eq_u32_e32 vcc, 0, v191
	v_cmp_ne_u64_e64 s[36:37], 0, v[60:61]
	s_and_b64 s[38:39], s[36:37], vcc
	; wave barrier
	s_and_saveexec_b64 s[36:37], s[38:39]
	s_cbranch_execz .LBB500_742
; %bb.741:                              ;   in Loop: Header=BB500_688 Depth=2
	v_bcnt_u32_b32 v5, v60, 0
	v_bcnt_u32_b32 v5, v61, v5
	s_waitcnt lgkmcnt(0)
	v_add_u32_e32 v5, v189, v5
	ds_write_b32 v190, v5
.LBB500_742:                            ;   in Loop: Header=BB500_688 Depth=2
	s_or_b64 exec, exec, s[36:37]
	s_waitcnt vmcnt(5)
	v_xor_b32_e32 v177, 0x7fffffff, v177
	v_lshrrev_b32_e32 v5, s85, v177
	v_and_b32_e32 v60, s94, v5
	v_mul_u32_u24_e32 v5, 5, v60
	v_add_lshl_u32 v5, v5, v150, 2
	; wave barrier
	v_add_u32_e32 v193, 0x410, v5
	ds_read_b32 v192, v5 offset:1040
	v_and_b32_e32 v5, 1, v60
	v_add_co_u32_e32 v61, vcc, -1, v5
	v_addc_co_u32_e64 v194, s[36:37], 0, -1, vcc
	v_cmp_ne_u32_e32 vcc, 0, v5
	v_xor_b32_e32 v5, vcc_hi, v194
	v_and_b32_e32 v194, exec_hi, v5
	v_lshlrev_b32_e32 v5, 30, v60
	v_xor_b32_e32 v61, vcc_lo, v61
	v_cmp_gt_i64_e32 vcc, 0, v[4:5]
	v_not_b32_e32 v5, v5
	v_ashrrev_i32_e32 v5, 31, v5
	v_and_b32_e32 v61, exec_lo, v61
	v_xor_b32_e32 v195, vcc_hi, v5
	v_xor_b32_e32 v5, vcc_lo, v5
	v_and_b32_e32 v61, v61, v5
	v_lshlrev_b32_e32 v5, 29, v60
	v_cmp_gt_i64_e32 vcc, 0, v[4:5]
	v_not_b32_e32 v5, v5
	v_ashrrev_i32_e32 v5, 31, v5
	v_and_b32_e32 v194, v194, v195
	v_xor_b32_e32 v195, vcc_hi, v5
	v_xor_b32_e32 v5, vcc_lo, v5
	v_and_b32_e32 v61, v61, v5
	v_lshlrev_b32_e32 v5, 28, v60
	v_cmp_gt_i64_e32 vcc, 0, v[4:5]
	v_not_b32_e32 v5, v5
	v_ashrrev_i32_e32 v5, 31, v5
	v_and_b32_e32 v194, v194, v195
	;; [unrolled: 8-line block ×5, first 2 shown]
	v_xor_b32_e32 v195, vcc_hi, v5
	v_xor_b32_e32 v5, vcc_lo, v5
	v_and_b32_e32 v194, v194, v195
	v_and_b32_e32 v195, v61, v5
	v_lshlrev_b32_e32 v5, 24, v60
	v_cmp_gt_i64_e32 vcc, 0, v[4:5]
	v_not_b32_e32 v5, v5
	v_ashrrev_i32_e32 v5, 31, v5
	v_xor_b32_e32 v60, vcc_hi, v5
	v_xor_b32_e32 v5, vcc_lo, v5
	v_and_b32_e32 v61, v194, v60
	v_and_b32_e32 v60, v195, v5
	v_mbcnt_lo_u32_b32 v5, v60, 0
	v_mbcnt_hi_u32_b32 v194, v61, v5
	v_cmp_eq_u32_e32 vcc, 0, v194
	v_cmp_ne_u64_e64 s[36:37], 0, v[60:61]
	s_and_b64 s[38:39], s[36:37], vcc
	; wave barrier
	s_and_saveexec_b64 s[36:37], s[38:39]
	s_cbranch_execz .LBB500_744
; %bb.743:                              ;   in Loop: Header=BB500_688 Depth=2
	v_bcnt_u32_b32 v5, v60, 0
	v_bcnt_u32_b32 v5, v61, v5
	s_waitcnt lgkmcnt(0)
	v_add_u32_e32 v5, v192, v5
	ds_write_b32 v193, v5
.LBB500_744:                            ;   in Loop: Header=BB500_688 Depth=2
	s_or_b64 exec, exec, s[36:37]
	s_waitcnt vmcnt(4)
	v_xor_b32_e32 v173, 0x7fffffff, v173
	v_lshrrev_b32_e32 v5, s85, v173
	v_and_b32_e32 v60, s94, v5
	v_mul_u32_u24_e32 v5, 5, v60
	v_add_lshl_u32 v5, v5, v150, 2
	; wave barrier
	v_add_u32_e32 v196, 0x410, v5
	ds_read_b32 v195, v5 offset:1040
	v_and_b32_e32 v5, 1, v60
	v_add_co_u32_e32 v61, vcc, -1, v5
	v_addc_co_u32_e64 v197, s[36:37], 0, -1, vcc
	v_cmp_ne_u32_e32 vcc, 0, v5
	v_xor_b32_e32 v5, vcc_hi, v197
	v_and_b32_e32 v197, exec_hi, v5
	v_lshlrev_b32_e32 v5, 30, v60
	v_xor_b32_e32 v61, vcc_lo, v61
	v_cmp_gt_i64_e32 vcc, 0, v[4:5]
	v_not_b32_e32 v5, v5
	v_ashrrev_i32_e32 v5, 31, v5
	v_and_b32_e32 v61, exec_lo, v61
	v_xor_b32_e32 v198, vcc_hi, v5
	v_xor_b32_e32 v5, vcc_lo, v5
	v_and_b32_e32 v61, v61, v5
	v_lshlrev_b32_e32 v5, 29, v60
	v_cmp_gt_i64_e32 vcc, 0, v[4:5]
	v_not_b32_e32 v5, v5
	v_ashrrev_i32_e32 v5, 31, v5
	v_and_b32_e32 v197, v197, v198
	v_xor_b32_e32 v198, vcc_hi, v5
	v_xor_b32_e32 v5, vcc_lo, v5
	v_and_b32_e32 v61, v61, v5
	v_lshlrev_b32_e32 v5, 28, v60
	v_cmp_gt_i64_e32 vcc, 0, v[4:5]
	v_not_b32_e32 v5, v5
	v_ashrrev_i32_e32 v5, 31, v5
	v_and_b32_e32 v197, v197, v198
	;; [unrolled: 8-line block ×5, first 2 shown]
	v_xor_b32_e32 v198, vcc_hi, v5
	v_xor_b32_e32 v5, vcc_lo, v5
	v_and_b32_e32 v197, v197, v198
	v_and_b32_e32 v198, v61, v5
	v_lshlrev_b32_e32 v5, 24, v60
	v_cmp_gt_i64_e32 vcc, 0, v[4:5]
	v_not_b32_e32 v5, v5
	v_ashrrev_i32_e32 v5, 31, v5
	v_xor_b32_e32 v60, vcc_hi, v5
	v_xor_b32_e32 v5, vcc_lo, v5
	v_and_b32_e32 v61, v197, v60
	v_and_b32_e32 v60, v198, v5
	v_mbcnt_lo_u32_b32 v5, v60, 0
	v_mbcnt_hi_u32_b32 v198, v61, v5
	v_cmp_eq_u32_e32 vcc, 0, v198
	v_cmp_ne_u64_e64 s[36:37], 0, v[60:61]
	s_and_b64 s[38:39], s[36:37], vcc
	; wave barrier
	s_and_saveexec_b64 s[36:37], s[38:39]
	s_cbranch_execz .LBB500_746
; %bb.745:                              ;   in Loop: Header=BB500_688 Depth=2
	v_bcnt_u32_b32 v5, v60, 0
	v_bcnt_u32_b32 v5, v61, v5
	s_waitcnt lgkmcnt(0)
	v_add_u32_e32 v5, v195, v5
	ds_write_b32 v196, v5
.LBB500_746:                            ;   in Loop: Header=BB500_688 Depth=2
	s_or_b64 exec, exec, s[36:37]
	s_waitcnt vmcnt(3)
	v_xor_b32_e32 v197, 0x7fffffff, v168
	v_lshrrev_b32_e32 v5, s85, v197
	v_and_b32_e32 v60, s94, v5
	v_mul_u32_u24_e32 v5, 5, v60
	v_add_lshl_u32 v5, v5, v150, 2
	; wave barrier
	v_add_u32_e32 v168, 0x410, v5
	ds_read_b32 v199, v5 offset:1040
	v_and_b32_e32 v5, 1, v60
	v_add_co_u32_e32 v61, vcc, -1, v5
	v_addc_co_u32_e64 v200, s[36:37], 0, -1, vcc
	v_cmp_ne_u32_e32 vcc, 0, v5
	v_xor_b32_e32 v5, vcc_hi, v200
	v_and_b32_e32 v200, exec_hi, v5
	v_lshlrev_b32_e32 v5, 30, v60
	v_xor_b32_e32 v61, vcc_lo, v61
	v_cmp_gt_i64_e32 vcc, 0, v[4:5]
	v_not_b32_e32 v5, v5
	v_ashrrev_i32_e32 v5, 31, v5
	v_and_b32_e32 v61, exec_lo, v61
	v_xor_b32_e32 v201, vcc_hi, v5
	v_xor_b32_e32 v5, vcc_lo, v5
	v_and_b32_e32 v61, v61, v5
	v_lshlrev_b32_e32 v5, 29, v60
	v_cmp_gt_i64_e32 vcc, 0, v[4:5]
	v_not_b32_e32 v5, v5
	v_ashrrev_i32_e32 v5, 31, v5
	v_and_b32_e32 v200, v200, v201
	v_xor_b32_e32 v201, vcc_hi, v5
	v_xor_b32_e32 v5, vcc_lo, v5
	v_and_b32_e32 v61, v61, v5
	v_lshlrev_b32_e32 v5, 28, v60
	v_cmp_gt_i64_e32 vcc, 0, v[4:5]
	v_not_b32_e32 v5, v5
	v_ashrrev_i32_e32 v5, 31, v5
	v_and_b32_e32 v200, v200, v201
	;; [unrolled: 8-line block ×5, first 2 shown]
	v_xor_b32_e32 v201, vcc_hi, v5
	v_xor_b32_e32 v5, vcc_lo, v5
	v_and_b32_e32 v200, v200, v201
	v_and_b32_e32 v201, v61, v5
	v_lshlrev_b32_e32 v5, 24, v60
	v_cmp_gt_i64_e32 vcc, 0, v[4:5]
	v_not_b32_e32 v5, v5
	v_ashrrev_i32_e32 v5, 31, v5
	v_xor_b32_e32 v60, vcc_hi, v5
	v_xor_b32_e32 v5, vcc_lo, v5
	v_and_b32_e32 v61, v200, v60
	v_and_b32_e32 v60, v201, v5
	v_mbcnt_lo_u32_b32 v5, v60, 0
	v_mbcnt_hi_u32_b32 v201, v61, v5
	v_cmp_eq_u32_e32 vcc, 0, v201
	v_cmp_ne_u64_e64 s[36:37], 0, v[60:61]
	s_and_b64 s[38:39], s[36:37], vcc
	; wave barrier
	s_and_saveexec_b64 s[36:37], s[38:39]
	s_cbranch_execz .LBB500_748
; %bb.747:                              ;   in Loop: Header=BB500_688 Depth=2
	v_bcnt_u32_b32 v5, v60, 0
	v_bcnt_u32_b32 v5, v61, v5
	s_waitcnt lgkmcnt(0)
	v_add_u32_e32 v5, v199, v5
	ds_write_b32 v168, v5
.LBB500_748:                            ;   in Loop: Header=BB500_688 Depth=2
	s_or_b64 exec, exec, s[36:37]
	s_waitcnt vmcnt(2)
	v_xor_b32_e32 v200, 0x7fffffff, v163
	v_lshrrev_b32_e32 v5, s85, v200
	v_and_b32_e32 v60, s94, v5
	v_mul_u32_u24_e32 v5, 5, v60
	v_add_lshl_u32 v5, v5, v150, 2
	; wave barrier
	v_add_u32_e32 v163, 0x410, v5
	ds_read_b32 v202, v5 offset:1040
	v_and_b32_e32 v5, 1, v60
	v_add_co_u32_e32 v61, vcc, -1, v5
	v_addc_co_u32_e64 v203, s[36:37], 0, -1, vcc
	v_cmp_ne_u32_e32 vcc, 0, v5
	v_xor_b32_e32 v5, vcc_hi, v203
	v_and_b32_e32 v203, exec_hi, v5
	v_lshlrev_b32_e32 v5, 30, v60
	v_xor_b32_e32 v61, vcc_lo, v61
	v_cmp_gt_i64_e32 vcc, 0, v[4:5]
	v_not_b32_e32 v5, v5
	v_ashrrev_i32_e32 v5, 31, v5
	v_and_b32_e32 v61, exec_lo, v61
	v_xor_b32_e32 v204, vcc_hi, v5
	v_xor_b32_e32 v5, vcc_lo, v5
	v_and_b32_e32 v61, v61, v5
	v_lshlrev_b32_e32 v5, 29, v60
	v_cmp_gt_i64_e32 vcc, 0, v[4:5]
	v_not_b32_e32 v5, v5
	v_ashrrev_i32_e32 v5, 31, v5
	v_and_b32_e32 v203, v203, v204
	v_xor_b32_e32 v204, vcc_hi, v5
	v_xor_b32_e32 v5, vcc_lo, v5
	v_and_b32_e32 v61, v61, v5
	v_lshlrev_b32_e32 v5, 28, v60
	v_cmp_gt_i64_e32 vcc, 0, v[4:5]
	v_not_b32_e32 v5, v5
	v_ashrrev_i32_e32 v5, 31, v5
	v_and_b32_e32 v203, v203, v204
	;; [unrolled: 8-line block ×5, first 2 shown]
	v_xor_b32_e32 v204, vcc_hi, v5
	v_xor_b32_e32 v5, vcc_lo, v5
	v_and_b32_e32 v203, v203, v204
	v_and_b32_e32 v204, v61, v5
	v_lshlrev_b32_e32 v5, 24, v60
	v_cmp_gt_i64_e32 vcc, 0, v[4:5]
	v_not_b32_e32 v5, v5
	v_ashrrev_i32_e32 v5, 31, v5
	v_xor_b32_e32 v60, vcc_hi, v5
	v_xor_b32_e32 v5, vcc_lo, v5
	v_and_b32_e32 v61, v203, v60
	v_and_b32_e32 v60, v204, v5
	v_mbcnt_lo_u32_b32 v5, v60, 0
	v_mbcnt_hi_u32_b32 v204, v61, v5
	v_cmp_eq_u32_e32 vcc, 0, v204
	v_cmp_ne_u64_e64 s[36:37], 0, v[60:61]
	s_and_b64 s[38:39], s[36:37], vcc
	; wave barrier
	s_and_saveexec_b64 s[36:37], s[38:39]
	s_cbranch_execz .LBB500_750
; %bb.749:                              ;   in Loop: Header=BB500_688 Depth=2
	v_bcnt_u32_b32 v5, v60, 0
	v_bcnt_u32_b32 v5, v61, v5
	s_waitcnt lgkmcnt(0)
	v_add_u32_e32 v5, v202, v5
	ds_write_b32 v163, v5
.LBB500_750:                            ;   in Loop: Header=BB500_688 Depth=2
	s_or_b64 exec, exec, s[36:37]
	s_waitcnt vmcnt(1)
	v_xor_b32_e32 v203, 0x7fffffff, v158
	v_lshrrev_b32_e32 v5, s85, v203
	v_and_b32_e32 v60, s94, v5
	v_mul_u32_u24_e32 v5, 5, v60
	v_add_lshl_u32 v5, v5, v150, 2
	; wave barrier
	v_add_u32_e32 v158, 0x410, v5
	ds_read_b32 v205, v5 offset:1040
	v_and_b32_e32 v5, 1, v60
	v_add_co_u32_e32 v61, vcc, -1, v5
	v_addc_co_u32_e64 v206, s[36:37], 0, -1, vcc
	v_cmp_ne_u32_e32 vcc, 0, v5
	v_xor_b32_e32 v5, vcc_hi, v206
	v_and_b32_e32 v206, exec_hi, v5
	v_lshlrev_b32_e32 v5, 30, v60
	v_xor_b32_e32 v61, vcc_lo, v61
	v_cmp_gt_i64_e32 vcc, 0, v[4:5]
	v_not_b32_e32 v5, v5
	v_ashrrev_i32_e32 v5, 31, v5
	v_and_b32_e32 v61, exec_lo, v61
	v_xor_b32_e32 v207, vcc_hi, v5
	v_xor_b32_e32 v5, vcc_lo, v5
	v_and_b32_e32 v61, v61, v5
	v_lshlrev_b32_e32 v5, 29, v60
	v_cmp_gt_i64_e32 vcc, 0, v[4:5]
	v_not_b32_e32 v5, v5
	v_ashrrev_i32_e32 v5, 31, v5
	v_and_b32_e32 v206, v206, v207
	v_xor_b32_e32 v207, vcc_hi, v5
	v_xor_b32_e32 v5, vcc_lo, v5
	v_and_b32_e32 v61, v61, v5
	v_lshlrev_b32_e32 v5, 28, v60
	v_cmp_gt_i64_e32 vcc, 0, v[4:5]
	v_not_b32_e32 v5, v5
	v_ashrrev_i32_e32 v5, 31, v5
	v_and_b32_e32 v206, v206, v207
	;; [unrolled: 8-line block ×5, first 2 shown]
	v_xor_b32_e32 v207, vcc_hi, v5
	v_xor_b32_e32 v5, vcc_lo, v5
	v_and_b32_e32 v206, v206, v207
	v_and_b32_e32 v207, v61, v5
	v_lshlrev_b32_e32 v5, 24, v60
	v_cmp_gt_i64_e32 vcc, 0, v[4:5]
	v_not_b32_e32 v5, v5
	v_ashrrev_i32_e32 v5, 31, v5
	v_xor_b32_e32 v60, vcc_hi, v5
	v_xor_b32_e32 v5, vcc_lo, v5
	v_and_b32_e32 v61, v206, v60
	v_and_b32_e32 v60, v207, v5
	v_mbcnt_lo_u32_b32 v5, v60, 0
	v_mbcnt_hi_u32_b32 v207, v61, v5
	v_cmp_eq_u32_e32 vcc, 0, v207
	v_cmp_ne_u64_e64 s[36:37], 0, v[60:61]
	s_and_b64 s[38:39], s[36:37], vcc
	; wave barrier
	s_and_saveexec_b64 s[36:37], s[38:39]
	s_cbranch_execz .LBB500_752
; %bb.751:                              ;   in Loop: Header=BB500_688 Depth=2
	v_bcnt_u32_b32 v5, v60, 0
	v_bcnt_u32_b32 v5, v61, v5
	s_waitcnt lgkmcnt(0)
	v_add_u32_e32 v5, v205, v5
	ds_write_b32 v158, v5
.LBB500_752:                            ;   in Loop: Header=BB500_688 Depth=2
	s_or_b64 exec, exec, s[36:37]
	s_waitcnt vmcnt(0)
	v_xor_b32_e32 v206, 0x7fffffff, v62
	v_lshrrev_b32_e32 v5, s85, v206
	v_and_b32_e32 v60, s94, v5
	v_mul_u32_u24_e32 v5, 5, v60
	v_add_lshl_u32 v5, v5, v150, 2
	; wave barrier
	v_add_u32_e32 v209, 0x410, v5
	ds_read_b32 v208, v5 offset:1040
	v_and_b32_e32 v5, 1, v60
	v_add_co_u32_e32 v61, vcc, -1, v5
	v_addc_co_u32_e64 v62, s[36:37], 0, -1, vcc
	v_cmp_ne_u32_e32 vcc, 0, v5
	v_xor_b32_e32 v5, vcc_hi, v62
	v_and_b32_e32 v62, exec_hi, v5
	v_lshlrev_b32_e32 v5, 30, v60
	v_xor_b32_e32 v61, vcc_lo, v61
	v_cmp_gt_i64_e32 vcc, 0, v[4:5]
	v_not_b32_e32 v5, v5
	v_ashrrev_i32_e32 v5, 31, v5
	v_and_b32_e32 v61, exec_lo, v61
	v_xor_b32_e32 v210, vcc_hi, v5
	v_xor_b32_e32 v5, vcc_lo, v5
	v_and_b32_e32 v61, v61, v5
	v_lshlrev_b32_e32 v5, 29, v60
	v_cmp_gt_i64_e32 vcc, 0, v[4:5]
	v_not_b32_e32 v5, v5
	v_ashrrev_i32_e32 v5, 31, v5
	v_and_b32_e32 v62, v62, v210
	v_xor_b32_e32 v210, vcc_hi, v5
	v_xor_b32_e32 v5, vcc_lo, v5
	v_and_b32_e32 v61, v61, v5
	v_lshlrev_b32_e32 v5, 28, v60
	v_cmp_gt_i64_e32 vcc, 0, v[4:5]
	v_not_b32_e32 v5, v5
	v_ashrrev_i32_e32 v5, 31, v5
	v_and_b32_e32 v62, v62, v210
	;; [unrolled: 8-line block ×5, first 2 shown]
	v_xor_b32_e32 v210, vcc_hi, v5
	v_xor_b32_e32 v5, vcc_lo, v5
	v_and_b32_e32 v62, v62, v210
	v_and_b32_e32 v210, v61, v5
	v_lshlrev_b32_e32 v5, 24, v60
	v_cmp_gt_i64_e32 vcc, 0, v[4:5]
	v_not_b32_e32 v5, v5
	v_ashrrev_i32_e32 v5, 31, v5
	v_xor_b32_e32 v60, vcc_hi, v5
	v_xor_b32_e32 v5, vcc_lo, v5
	v_and_b32_e32 v61, v62, v60
	v_and_b32_e32 v60, v210, v5
	v_mbcnt_lo_u32_b32 v5, v60, 0
	v_mbcnt_hi_u32_b32 v211, v61, v5
	v_cmp_eq_u32_e32 vcc, 0, v211
	v_cmp_ne_u64_e64 s[36:37], 0, v[60:61]
	s_and_b64 s[38:39], s[36:37], vcc
	; wave barrier
	s_and_saveexec_b64 s[36:37], s[38:39]
	s_cbranch_execz .LBB500_754
; %bb.753:                              ;   in Loop: Header=BB500_688 Depth=2
	v_bcnt_u32_b32 v5, v60, 0
	v_bcnt_u32_b32 v5, v61, v5
	s_waitcnt lgkmcnt(0)
	v_add_u32_e32 v5, v208, v5
	ds_write_b32 v209, v5
.LBB500_754:                            ;   in Loop: Header=BB500_688 Depth=2
	s_or_b64 exec, exec, s[36:37]
	v_xor_b32_e32 v210, 0x7fffffff, v63
	v_lshrrev_b32_e32 v5, s85, v210
	v_and_b32_e32 v60, s94, v5
	v_mul_u32_u24_e32 v5, 5, v60
	v_add_lshl_u32 v5, v5, v150, 2
	; wave barrier
	v_add_u32_e32 v213, 0x410, v5
	ds_read_b32 v212, v5 offset:1040
	v_and_b32_e32 v5, 1, v60
	v_add_co_u32_e32 v61, vcc, -1, v5
	v_addc_co_u32_e64 v62, s[36:37], 0, -1, vcc
	v_cmp_ne_u32_e32 vcc, 0, v5
	v_xor_b32_e32 v5, vcc_hi, v62
	v_and_b32_e32 v62, exec_hi, v5
	v_lshlrev_b32_e32 v5, 30, v60
	v_xor_b32_e32 v61, vcc_lo, v61
	v_cmp_gt_i64_e32 vcc, 0, v[4:5]
	v_not_b32_e32 v5, v5
	v_ashrrev_i32_e32 v5, 31, v5
	v_and_b32_e32 v61, exec_lo, v61
	v_xor_b32_e32 v63, vcc_hi, v5
	v_xor_b32_e32 v5, vcc_lo, v5
	v_and_b32_e32 v61, v61, v5
	v_lshlrev_b32_e32 v5, 29, v60
	v_cmp_gt_i64_e32 vcc, 0, v[4:5]
	v_not_b32_e32 v5, v5
	v_ashrrev_i32_e32 v5, 31, v5
	v_and_b32_e32 v62, v62, v63
	v_xor_b32_e32 v63, vcc_hi, v5
	v_xor_b32_e32 v5, vcc_lo, v5
	v_and_b32_e32 v61, v61, v5
	v_lshlrev_b32_e32 v5, 28, v60
	v_cmp_gt_i64_e32 vcc, 0, v[4:5]
	v_not_b32_e32 v5, v5
	v_ashrrev_i32_e32 v5, 31, v5
	v_and_b32_e32 v62, v62, v63
	;; [unrolled: 8-line block ×5, first 2 shown]
	v_xor_b32_e32 v63, vcc_hi, v5
	v_xor_b32_e32 v5, vcc_lo, v5
	v_and_b32_e32 v62, v62, v63
	v_and_b32_e32 v63, v61, v5
	v_lshlrev_b32_e32 v5, 24, v60
	v_cmp_gt_i64_e32 vcc, 0, v[4:5]
	v_not_b32_e32 v5, v5
	v_ashrrev_i32_e32 v5, 31, v5
	v_xor_b32_e32 v60, vcc_hi, v5
	v_xor_b32_e32 v5, vcc_lo, v5
	v_and_b32_e32 v61, v62, v60
	v_and_b32_e32 v60, v63, v5
	v_mbcnt_lo_u32_b32 v5, v60, 0
	v_mbcnt_hi_u32_b32 v214, v61, v5
	v_cmp_eq_u32_e32 vcc, 0, v214
	v_cmp_ne_u64_e64 s[36:37], 0, v[60:61]
	s_and_b64 s[38:39], s[36:37], vcc
	; wave barrier
	s_and_saveexec_b64 s[36:37], s[38:39]
	s_cbranch_execz .LBB500_756
; %bb.755:                              ;   in Loop: Header=BB500_688 Depth=2
	v_bcnt_u32_b32 v5, v60, 0
	v_bcnt_u32_b32 v5, v61, v5
	s_waitcnt lgkmcnt(0)
	v_add_u32_e32 v5, v212, v5
	ds_write_b32 v213, v5
.LBB500_756:                            ;   in Loop: Header=BB500_688 Depth=2
	s_or_b64 exec, exec, s[36:37]
	; wave barrier
	s_waitcnt lgkmcnt(0)
	s_barrier
	ds_read_b32 v5, v64 offset:1040
	ds_read2_b32 v[62:63], v66 offset0:1 offset1:2
	ds_read2_b32 v[60:61], v66 offset0:3 offset1:4
	s_waitcnt lgkmcnt(1)
	v_add3_u32 v215, v62, v5, v63
	s_waitcnt lgkmcnt(0)
	v_add3_u32 v61, v215, v60, v61
	s_nop 1
	v_mov_b32_dpp v215, v61 row_shr:1 row_mask:0xf bank_mask:0xf
	v_cndmask_b32_e64 v215, v215, 0, s[16:17]
	v_add_u32_e32 v61, v215, v61
	s_nop 1
	v_mov_b32_dpp v215, v61 row_shr:2 row_mask:0xf bank_mask:0xf
	v_cndmask_b32_e64 v215, 0, v215, s[18:19]
	v_add_u32_e32 v61, v61, v215
	;; [unrolled: 4-line block ×4, first 2 shown]
	s_nop 1
	v_mov_b32_dpp v215, v61 row_bcast:15 row_mask:0xf bank_mask:0xf
	v_cndmask_b32_e64 v215, v215, 0, s[24:25]
	v_add_u32_e32 v61, v61, v215
	s_nop 1
	v_mov_b32_dpp v215, v61 row_bcast:31 row_mask:0xf bank_mask:0xf
	v_cndmask_b32_e64 v215, 0, v215, s[26:27]
	v_add_u32_e32 v61, v61, v215
	s_and_saveexec_b64 s[36:37], s[6:7]
	s_cbranch_execz .LBB500_758
; %bb.757:                              ;   in Loop: Header=BB500_688 Depth=2
	ds_write_b32 v19, v61 offset:1024
.LBB500_758:                            ;   in Loop: Header=BB500_688 Depth=2
	s_or_b64 exec, exec, s[36:37]
	s_waitcnt lgkmcnt(0)
	s_barrier
	s_and_saveexec_b64 s[36:37], s[8:9]
	s_cbranch_execz .LBB500_760
; %bb.759:                              ;   in Loop: Header=BB500_688 Depth=2
	v_add_u32_e32 v215, v64, v67
	ds_read_b32 v216, v215 offset:1024
	s_waitcnt lgkmcnt(0)
	s_nop 0
	v_mov_b32_dpp v217, v216 row_shr:1 row_mask:0xf bank_mask:0xf
	v_cndmask_b32_e64 v217, v217, 0, s[30:31]
	v_add_u32_e32 v216, v217, v216
	s_nop 1
	v_mov_b32_dpp v217, v216 row_shr:2 row_mask:0xf bank_mask:0xf
	v_cndmask_b32_e64 v217, 0, v217, s[34:35]
	v_add_u32_e32 v216, v216, v217
	ds_write_b32 v215, v216 offset:1024
.LBB500_760:                            ;   in Loop: Header=BB500_688 Depth=2
	s_or_b64 exec, exec, s[36:37]
	v_mov_b32_e32 v215, 0
	s_waitcnt lgkmcnt(0)
	s_barrier
	s_and_saveexec_b64 s[36:37], s[10:11]
	s_cbranch_execz .LBB500_762
; %bb.761:                              ;   in Loop: Header=BB500_688 Depth=2
	ds_read_b32 v215, v19 offset:1020
.LBB500_762:                            ;   in Loop: Header=BB500_688 Depth=2
	s_or_b64 exec, exec, s[36:37]
	s_waitcnt lgkmcnt(0)
	v_add_u32_e32 v61, v215, v61
	ds_bpermute_b32 v61, v127, v61
	s_waitcnt lgkmcnt(0)
	v_cndmask_b32_e64 v61, v61, v215, s[28:29]
	v_cndmask_b32_e64 v61, v61, 0, s[12:13]
	v_add_u32_e32 v5, v61, v5
	ds_write_b32 v64, v61 offset:1040
	v_add_u32_e32 v61, v5, v62
	v_add_u32_e32 v62, v61, v63
	ds_write2_b32 v66, v5, v61 offset0:1 offset1:2
	v_add_u32_e32 v5, v62, v60
	ds_write2_b32 v66, v62, v5 offset0:3 offset1:4
	s_waitcnt lgkmcnt(0)
	s_barrier
	ds_read_b32 v60, v157
	ds_read_b32 v61, v162
	ds_read_b32 v62, v167
	ds_read_b32 v63, v172
	ds_read_b32 v157, v178
	ds_read_b32 v162, v183
	ds_read_b32 v178, v187
	ds_read_b32 v183, v190
	ds_read_b32 v187, v193
	ds_read_b32 v190, v196
	ds_read_b32 v193, v168
	ds_read_b32 v196, v163
	ds_read_b32 v215, v158
	ds_read_b32 v209, v209
	ds_read_b32 v213, v213
	ds_read_b32 v153, v153
	ds_read_b32 v158, v64 offset:1040
	v_mov_b32_e32 v5, 0x1000
	s_and_saveexec_b64 s[36:37], s[14:15]
	s_cbranch_execz .LBB500_764
; %bb.763:                              ;   in Loop: Header=BB500_688 Depth=2
	ds_read_b32 v5, v64 offset:1060
.LBB500_764:                            ;   in Loop: Header=BB500_688 Depth=2
	s_or_b64 exec, exec, s[36:37]
	s_waitcnt lgkmcnt(0)
	s_barrier
	s_and_saveexec_b64 s[36:37], s[4:5]
	s_cbranch_execz .LBB500_766
; %bb.765:                              ;   in Loop: Header=BB500_688 Depth=2
	ds_read_b32 v163, v3
	s_waitcnt lgkmcnt(0)
	v_sub_u32_e32 v158, v163, v158
	ds_write_b32 v3, v158
.LBB500_766:                            ;   in Loop: Header=BB500_688 Depth=2
	s_or_b64 exec, exec, s[36:37]
	v_add_u32_e32 v172, v153, v155
	v_add3_u32 v168, v160, v156, v60
	v_lshlrev_b32_e32 v60, 2, v172
	v_add3_u32 v167, v165, v161, v61
	ds_write_b32 v60, v152 offset:1024
	v_lshlrev_b32_e32 v60, 2, v168
	v_add3_u32 v166, v170, v166, v62
	ds_write_b32 v60, v154 offset:1024
	;; [unrolled: 3-line block ×14, first 2 shown]
	v_lshlrev_b32_e32 v60, 2, v63
	ds_write_b32 v60, v206 offset:1024
	v_lshlrev_b32_e32 v60, 2, v62
	v_cmp_lt_u32_e64 s[36:37], v2, v151
	ds_write_b32 v60, v210 offset:1024
	s_waitcnt lgkmcnt(0)
	s_barrier
	s_and_saveexec_b64 s[38:39], s[36:37]
	s_cbranch_execz .LBB500_782
; %bb.767:                              ;   in Loop: Header=BB500_688 Depth=2
	v_add_u32_e32 v60, v64, v67
	ds_read_b32 v60, v60 offset:1024
	v_mov_b32_e32 v154, s75
	s_waitcnt lgkmcnt(0)
	v_lshrrev_b32_e32 v61, s85, v60
	v_and_b32_e32 v61, s94, v61
	v_lshlrev_b32_e32 v61, 2, v61
	ds_read_b32 v152, v61
	v_mov_b32_e32 v61, v4
	v_xor_b32_e32 v159, 0x7fffffff, v60
	s_waitcnt lgkmcnt(0)
	v_add_u32_e32 v60, v152, v2
	v_lshlrev_b64 v[60:61], 2, v[60:61]
	v_add_co_u32_e32 v60, vcc, s74, v60
	v_addc_co_u32_e32 v61, vcc, v154, v61, vcc
	global_store_dword v[60:61], v159, off
	s_or_b64 exec, exec, s[38:39]
	v_cmp_lt_u32_e64 s[38:39], v7, v151
	s_and_saveexec_b64 s[40:41], s[38:39]
	s_cbranch_execnz .LBB500_783
.LBB500_768:                            ;   in Loop: Header=BB500_688 Depth=2
	s_or_b64 exec, exec, s[40:41]
	v_cmp_lt_u32_e64 s[40:41], v9, v151
	s_and_saveexec_b64 s[42:43], s[40:41]
	s_cbranch_execz .LBB500_784
.LBB500_769:                            ;   in Loop: Header=BB500_688 Depth=2
	ds_read_b32 v60, v72 offset:2048
	v_mov_b32_e32 v154, s75
	s_waitcnt lgkmcnt(0)
	v_lshrrev_b32_e32 v61, s85, v60
	v_and_b32_e32 v61, s94, v61
	v_lshlrev_b32_e32 v61, 2, v61
	ds_read_b32 v152, v61
	v_mov_b32_e32 v61, v4
	v_xor_b32_e32 v159, 0x7fffffff, v60
	s_waitcnt lgkmcnt(0)
	v_add_u32_e32 v60, v152, v9
	v_lshlrev_b64 v[60:61], 2, v[60:61]
	v_add_co_u32_e32 v60, vcc, s74, v60
	v_addc_co_u32_e32 v61, vcc, v154, v61, vcc
	global_store_dword v[60:61], v159, off
	s_or_b64 exec, exec, s[42:43]
	v_cmp_lt_u32_e64 s[42:43], v11, v151
	s_and_saveexec_b64 s[44:45], s[42:43]
	s_cbranch_execnz .LBB500_785
.LBB500_770:                            ;   in Loop: Header=BB500_688 Depth=2
	s_or_b64 exec, exec, s[44:45]
	v_cmp_lt_u32_e64 s[44:45], v6, v151
	s_and_saveexec_b64 s[46:47], s[44:45]
	s_cbranch_execz .LBB500_786
.LBB500_771:                            ;   in Loop: Header=BB500_688 Depth=2
	ds_read_b32 v60, v72 offset:4096
	v_mov_b32_e32 v154, s75
	s_waitcnt lgkmcnt(0)
	v_lshrrev_b32_e32 v61, s85, v60
	v_and_b32_e32 v61, s94, v61
	v_lshlrev_b32_e32 v61, 2, v61
	ds_read_b32 v152, v61
	v_mov_b32_e32 v61, v4
	v_xor_b32_e32 v159, 0x7fffffff, v60
	s_waitcnt lgkmcnt(0)
	v_add_u32_e32 v60, v152, v6
	v_lshlrev_b64 v[60:61], 2, v[60:61]
	v_add_co_u32_e32 v60, vcc, s74, v60
	v_addc_co_u32_e32 v61, vcc, v154, v61, vcc
	global_store_dword v[60:61], v159, off
	s_or_b64 exec, exec, s[46:47]
	v_cmp_lt_u32_e64 s[46:47], v8, v151
	s_and_saveexec_b64 s[48:49], s[46:47]
	s_cbranch_execnz .LBB500_787
.LBB500_772:                            ;   in Loop: Header=BB500_688 Depth=2
	s_or_b64 exec, exec, s[48:49]
	v_cmp_lt_u32_e64 s[48:49], v10, v151
	s_and_saveexec_b64 s[50:51], s[48:49]
	s_cbranch_execz .LBB500_788
.LBB500_773:                            ;   in Loop: Header=BB500_688 Depth=2
	ds_read_b32 v60, v72 offset:6144
	v_mov_b32_e32 v154, s75
	s_waitcnt lgkmcnt(0)
	v_lshrrev_b32_e32 v61, s85, v60
	v_and_b32_e32 v61, s94, v61
	v_lshlrev_b32_e32 v61, 2, v61
	ds_read_b32 v152, v61
	v_mov_b32_e32 v61, v4
	v_xor_b32_e32 v159, 0x7fffffff, v60
	s_waitcnt lgkmcnt(0)
	v_add_u32_e32 v60, v152, v10
	v_lshlrev_b64 v[60:61], 2, v[60:61]
	v_add_co_u32_e32 v60, vcc, s74, v60
	v_addc_co_u32_e32 v61, vcc, v154, v61, vcc
	global_store_dword v[60:61], v159, off
	s_or_b64 exec, exec, s[50:51]
	v_cmp_lt_u32_e64 s[50:51], v12, v151
	s_and_saveexec_b64 s[52:53], s[50:51]
	s_cbranch_execnz .LBB500_789
.LBB500_774:                            ;   in Loop: Header=BB500_688 Depth=2
	s_or_b64 exec, exec, s[52:53]
	v_cmp_lt_u32_e64 s[52:53], v14, v151
	s_and_saveexec_b64 s[54:55], s[52:53]
	s_cbranch_execz .LBB500_790
.LBB500_775:                            ;   in Loop: Header=BB500_688 Depth=2
	ds_read_b32 v60, v72 offset:8192
	v_mov_b32_e32 v154, s75
	s_waitcnt lgkmcnt(0)
	v_lshrrev_b32_e32 v61, s85, v60
	v_and_b32_e32 v61, s94, v61
	v_lshlrev_b32_e32 v61, 2, v61
	ds_read_b32 v152, v61
	v_mov_b32_e32 v61, v4
	v_xor_b32_e32 v159, 0x7fffffff, v60
	s_waitcnt lgkmcnt(0)
	v_add_u32_e32 v60, v152, v14
	v_lshlrev_b64 v[60:61], 2, v[60:61]
	v_add_co_u32_e32 v60, vcc, s74, v60
	v_addc_co_u32_e32 v61, vcc, v154, v61, vcc
	global_store_dword v[60:61], v159, off
	s_or_b64 exec, exec, s[54:55]
	v_cmp_lt_u32_e64 s[54:55], v16, v151
	s_and_saveexec_b64 s[56:57], s[54:55]
	s_cbranch_execnz .LBB500_791
.LBB500_776:                            ;   in Loop: Header=BB500_688 Depth=2
	s_or_b64 exec, exec, s[56:57]
	v_cmp_lt_u32_e64 s[56:57], v18, v151
	s_and_saveexec_b64 s[58:59], s[56:57]
	s_cbranch_execz .LBB500_792
.LBB500_777:                            ;   in Loop: Header=BB500_688 Depth=2
	ds_read_b32 v60, v72 offset:10240
	v_mov_b32_e32 v154, s75
	s_waitcnt lgkmcnt(0)
	v_lshrrev_b32_e32 v61, s85, v60
	v_and_b32_e32 v61, s94, v61
	v_lshlrev_b32_e32 v61, 2, v61
	ds_read_b32 v152, v61
	v_mov_b32_e32 v61, v4
	v_xor_b32_e32 v159, 0x7fffffff, v60
	s_waitcnt lgkmcnt(0)
	v_add_u32_e32 v60, v152, v18
	v_lshlrev_b64 v[60:61], 2, v[60:61]
	v_add_co_u32_e32 v60, vcc, s74, v60
	v_addc_co_u32_e32 v61, vcc, v154, v61, vcc
	global_store_dword v[60:61], v159, off
	s_or_b64 exec, exec, s[58:59]
	v_cmp_lt_u32_e64 s[58:59], v20, v151
	s_and_saveexec_b64 s[60:61], s[58:59]
	s_cbranch_execnz .LBB500_793
.LBB500_778:                            ;   in Loop: Header=BB500_688 Depth=2
	s_or_b64 exec, exec, s[60:61]
	v_cmp_lt_u32_e64 s[60:61], v22, v151
	s_and_saveexec_b64 s[62:63], s[60:61]
	s_cbranch_execz .LBB500_794
.LBB500_779:                            ;   in Loop: Header=BB500_688 Depth=2
	ds_read_b32 v60, v72 offset:12288
	v_mov_b32_e32 v154, s75
	s_waitcnt lgkmcnt(0)
	v_lshrrev_b32_e32 v61, s85, v60
	v_and_b32_e32 v61, s94, v61
	v_lshlrev_b32_e32 v61, 2, v61
	ds_read_b32 v152, v61
	v_mov_b32_e32 v61, v4
	v_xor_b32_e32 v159, 0x7fffffff, v60
	s_waitcnt lgkmcnt(0)
	v_add_u32_e32 v60, v152, v22
	v_lshlrev_b64 v[60:61], 2, v[60:61]
	v_add_co_u32_e32 v60, vcc, s74, v60
	v_addc_co_u32_e32 v61, vcc, v154, v61, vcc
	global_store_dword v[60:61], v159, off
	s_or_b64 exec, exec, s[62:63]
	v_cmp_lt_u32_e64 s[62:63], v24, v151
	s_and_saveexec_b64 s[64:65], s[62:63]
	s_cbranch_execnz .LBB500_795
.LBB500_780:                            ;   in Loop: Header=BB500_688 Depth=2
	s_or_b64 exec, exec, s[64:65]
	v_cmp_lt_u32_e64 s[64:65], v26, v151
	s_and_saveexec_b64 s[66:67], s[64:65]
	s_cbranch_execz .LBB500_796
.LBB500_781:                            ;   in Loop: Header=BB500_688 Depth=2
	ds_read_b32 v60, v72 offset:14336
	v_mov_b32_e32 v154, s75
	s_waitcnt lgkmcnt(0)
	v_lshrrev_b32_e32 v61, s85, v60
	v_and_b32_e32 v61, s94, v61
	v_lshlrev_b32_e32 v61, 2, v61
	ds_read_b32 v152, v61
	v_mov_b32_e32 v61, v4
	v_xor_b32_e32 v159, 0x7fffffff, v60
	s_waitcnt lgkmcnt(0)
	v_add_u32_e32 v60, v152, v26
	v_lshlrev_b64 v[60:61], 2, v[60:61]
	v_add_co_u32_e32 v60, vcc, s74, v60
	v_addc_co_u32_e32 v61, vcc, v154, v61, vcc
	global_store_dword v[60:61], v159, off
	s_or_b64 exec, exec, s[66:67]
	v_cmp_lt_u32_e64 s[66:67], v28, v151
	s_and_saveexec_b64 s[78:79], s[66:67]
	s_cbranch_execnz .LBB500_797
	s_branch .LBB500_798
.LBB500_782:                            ;   in Loop: Header=BB500_688 Depth=2
	s_or_b64 exec, exec, s[38:39]
	v_cmp_lt_u32_e64 s[38:39], v7, v151
	s_and_saveexec_b64 s[40:41], s[38:39]
	s_cbranch_execz .LBB500_768
.LBB500_783:                            ;   in Loop: Header=BB500_688 Depth=2
	ds_read_b32 v60, v72 offset:1024
	v_mov_b32_e32 v154, s75
	s_waitcnt lgkmcnt(0)
	v_lshrrev_b32_e32 v61, s85, v60
	v_and_b32_e32 v61, s94, v61
	v_lshlrev_b32_e32 v61, 2, v61
	ds_read_b32 v152, v61
	v_mov_b32_e32 v61, v4
	v_xor_b32_e32 v159, 0x7fffffff, v60
	s_waitcnt lgkmcnt(0)
	v_add_u32_e32 v60, v152, v7
	v_lshlrev_b64 v[60:61], 2, v[60:61]
	v_add_co_u32_e32 v60, vcc, s74, v60
	v_addc_co_u32_e32 v61, vcc, v154, v61, vcc
	global_store_dword v[60:61], v159, off
	s_or_b64 exec, exec, s[40:41]
	v_cmp_lt_u32_e64 s[40:41], v9, v151
	s_and_saveexec_b64 s[42:43], s[40:41]
	s_cbranch_execnz .LBB500_769
.LBB500_784:                            ;   in Loop: Header=BB500_688 Depth=2
	s_or_b64 exec, exec, s[42:43]
	v_cmp_lt_u32_e64 s[42:43], v11, v151
	s_and_saveexec_b64 s[44:45], s[42:43]
	s_cbranch_execz .LBB500_770
.LBB500_785:                            ;   in Loop: Header=BB500_688 Depth=2
	ds_read_b32 v60, v72 offset:3072
	v_mov_b32_e32 v154, s75
	s_waitcnt lgkmcnt(0)
	v_lshrrev_b32_e32 v61, s85, v60
	v_and_b32_e32 v61, s94, v61
	v_lshlrev_b32_e32 v61, 2, v61
	ds_read_b32 v152, v61
	v_mov_b32_e32 v61, v4
	v_xor_b32_e32 v159, 0x7fffffff, v60
	s_waitcnt lgkmcnt(0)
	v_add_u32_e32 v60, v152, v11
	v_lshlrev_b64 v[60:61], 2, v[60:61]
	v_add_co_u32_e32 v60, vcc, s74, v60
	v_addc_co_u32_e32 v61, vcc, v154, v61, vcc
	global_store_dword v[60:61], v159, off
	s_or_b64 exec, exec, s[44:45]
	v_cmp_lt_u32_e64 s[44:45], v6, v151
	s_and_saveexec_b64 s[46:47], s[44:45]
	s_cbranch_execnz .LBB500_771
.LBB500_786:                            ;   in Loop: Header=BB500_688 Depth=2
	s_or_b64 exec, exec, s[46:47]
	v_cmp_lt_u32_e64 s[46:47], v8, v151
	s_and_saveexec_b64 s[48:49], s[46:47]
	s_cbranch_execz .LBB500_772
.LBB500_787:                            ;   in Loop: Header=BB500_688 Depth=2
	ds_read_b32 v60, v72 offset:5120
	v_mov_b32_e32 v154, s75
	s_waitcnt lgkmcnt(0)
	v_lshrrev_b32_e32 v61, s85, v60
	v_and_b32_e32 v61, s94, v61
	v_lshlrev_b32_e32 v61, 2, v61
	ds_read_b32 v152, v61
	v_mov_b32_e32 v61, v4
	v_xor_b32_e32 v159, 0x7fffffff, v60
	s_waitcnt lgkmcnt(0)
	v_add_u32_e32 v60, v152, v8
	v_lshlrev_b64 v[60:61], 2, v[60:61]
	v_add_co_u32_e32 v60, vcc, s74, v60
	v_addc_co_u32_e32 v61, vcc, v154, v61, vcc
	global_store_dword v[60:61], v159, off
	s_or_b64 exec, exec, s[48:49]
	v_cmp_lt_u32_e64 s[48:49], v10, v151
	s_and_saveexec_b64 s[50:51], s[48:49]
	s_cbranch_execnz .LBB500_773
.LBB500_788:                            ;   in Loop: Header=BB500_688 Depth=2
	s_or_b64 exec, exec, s[50:51]
	v_cmp_lt_u32_e64 s[50:51], v12, v151
	s_and_saveexec_b64 s[52:53], s[50:51]
	s_cbranch_execz .LBB500_774
.LBB500_789:                            ;   in Loop: Header=BB500_688 Depth=2
	ds_read_b32 v60, v72 offset:7168
	v_mov_b32_e32 v154, s75
	s_waitcnt lgkmcnt(0)
	v_lshrrev_b32_e32 v61, s85, v60
	v_and_b32_e32 v61, s94, v61
	v_lshlrev_b32_e32 v61, 2, v61
	ds_read_b32 v152, v61
	v_mov_b32_e32 v61, v4
	v_xor_b32_e32 v159, 0x7fffffff, v60
	s_waitcnt lgkmcnt(0)
	v_add_u32_e32 v60, v152, v12
	v_lshlrev_b64 v[60:61], 2, v[60:61]
	v_add_co_u32_e32 v60, vcc, s74, v60
	v_addc_co_u32_e32 v61, vcc, v154, v61, vcc
	global_store_dword v[60:61], v159, off
	s_or_b64 exec, exec, s[52:53]
	v_cmp_lt_u32_e64 s[52:53], v14, v151
	s_and_saveexec_b64 s[54:55], s[52:53]
	s_cbranch_execnz .LBB500_775
.LBB500_790:                            ;   in Loop: Header=BB500_688 Depth=2
	s_or_b64 exec, exec, s[54:55]
	v_cmp_lt_u32_e64 s[54:55], v16, v151
	s_and_saveexec_b64 s[56:57], s[54:55]
	s_cbranch_execz .LBB500_776
.LBB500_791:                            ;   in Loop: Header=BB500_688 Depth=2
	ds_read_b32 v60, v72 offset:9216
	v_mov_b32_e32 v154, s75
	s_waitcnt lgkmcnt(0)
	v_lshrrev_b32_e32 v61, s85, v60
	v_and_b32_e32 v61, s94, v61
	v_lshlrev_b32_e32 v61, 2, v61
	ds_read_b32 v152, v61
	v_mov_b32_e32 v61, v4
	v_xor_b32_e32 v159, 0x7fffffff, v60
	s_waitcnt lgkmcnt(0)
	v_add_u32_e32 v60, v152, v16
	v_lshlrev_b64 v[60:61], 2, v[60:61]
	v_add_co_u32_e32 v60, vcc, s74, v60
	v_addc_co_u32_e32 v61, vcc, v154, v61, vcc
	global_store_dword v[60:61], v159, off
	s_or_b64 exec, exec, s[56:57]
	v_cmp_lt_u32_e64 s[56:57], v18, v151
	s_and_saveexec_b64 s[58:59], s[56:57]
	s_cbranch_execnz .LBB500_777
.LBB500_792:                            ;   in Loop: Header=BB500_688 Depth=2
	s_or_b64 exec, exec, s[58:59]
	v_cmp_lt_u32_e64 s[58:59], v20, v151
	s_and_saveexec_b64 s[60:61], s[58:59]
	s_cbranch_execz .LBB500_778
.LBB500_793:                            ;   in Loop: Header=BB500_688 Depth=2
	ds_read_b32 v60, v72 offset:11264
	v_mov_b32_e32 v154, s75
	s_waitcnt lgkmcnt(0)
	v_lshrrev_b32_e32 v61, s85, v60
	v_and_b32_e32 v61, s94, v61
	v_lshlrev_b32_e32 v61, 2, v61
	ds_read_b32 v152, v61
	v_mov_b32_e32 v61, v4
	v_xor_b32_e32 v159, 0x7fffffff, v60
	s_waitcnt lgkmcnt(0)
	v_add_u32_e32 v60, v152, v20
	v_lshlrev_b64 v[60:61], 2, v[60:61]
	v_add_co_u32_e32 v60, vcc, s74, v60
	v_addc_co_u32_e32 v61, vcc, v154, v61, vcc
	global_store_dword v[60:61], v159, off
	s_or_b64 exec, exec, s[60:61]
	v_cmp_lt_u32_e64 s[60:61], v22, v151
	s_and_saveexec_b64 s[62:63], s[60:61]
	s_cbranch_execnz .LBB500_779
.LBB500_794:                            ;   in Loop: Header=BB500_688 Depth=2
	s_or_b64 exec, exec, s[62:63]
	v_cmp_lt_u32_e64 s[62:63], v24, v151
	s_and_saveexec_b64 s[64:65], s[62:63]
	s_cbranch_execz .LBB500_780
.LBB500_795:                            ;   in Loop: Header=BB500_688 Depth=2
	ds_read_b32 v60, v72 offset:13312
	v_mov_b32_e32 v154, s75
	s_waitcnt lgkmcnt(0)
	v_lshrrev_b32_e32 v61, s85, v60
	v_and_b32_e32 v61, s94, v61
	v_lshlrev_b32_e32 v61, 2, v61
	ds_read_b32 v152, v61
	v_mov_b32_e32 v61, v4
	v_xor_b32_e32 v159, 0x7fffffff, v60
	s_waitcnt lgkmcnt(0)
	v_add_u32_e32 v60, v152, v24
	v_lshlrev_b64 v[60:61], 2, v[60:61]
	v_add_co_u32_e32 v60, vcc, s74, v60
	v_addc_co_u32_e32 v61, vcc, v154, v61, vcc
	global_store_dword v[60:61], v159, off
	s_or_b64 exec, exec, s[64:65]
	v_cmp_lt_u32_e64 s[64:65], v26, v151
	s_and_saveexec_b64 s[66:67], s[64:65]
	s_cbranch_execnz .LBB500_781
.LBB500_796:                            ;   in Loop: Header=BB500_688 Depth=2
	s_or_b64 exec, exec, s[66:67]
	v_cmp_lt_u32_e64 s[66:67], v28, v151
	s_and_saveexec_b64 s[78:79], s[66:67]
	s_cbranch_execz .LBB500_798
.LBB500_797:                            ;   in Loop: Header=BB500_688 Depth=2
	ds_read_b32 v60, v72 offset:15360
	v_mov_b32_e32 v154, s75
	s_waitcnt lgkmcnt(0)
	v_lshrrev_b32_e32 v61, s85, v60
	v_and_b32_e32 v61, s94, v61
	v_lshlrev_b32_e32 v61, 2, v61
	ds_read_b32 v152, v61
	v_mov_b32_e32 v61, v4
	v_xor_b32_e32 v159, 0x7fffffff, v60
	s_waitcnt lgkmcnt(0)
	v_add_u32_e32 v60, v152, v28
	v_lshlrev_b64 v[60:61], 2, v[60:61]
	v_add_co_u32_e32 v60, vcc, s74, v60
	v_addc_co_u32_e32 v61, vcc, v154, v61, vcc
	global_store_dword v[60:61], v159, off
.LBB500_798:                            ;   in Loop: Header=BB500_688 Depth=2
	s_or_b64 exec, exec, s[78:79]
	s_lshl_b64 s[78:79], s[88:89], 3
	v_mov_b32_e32 v61, s79
	v_add_co_u32_e32 v60, vcc, s78, v128
	v_addc_co_u32_e32 v61, vcc, v129, v61, vcc
	v_cmp_lt_u32_e32 vcc, v109, v151
	s_and_saveexec_b64 s[78:79], vcc
	s_xor_b64 s[78:79], exec, s[78:79]
	s_cbranch_execz .LBB500_830
; %bb.799:                              ;   in Loop: Header=BB500_688 Depth=2
	global_load_dwordx2 v[58:59], v[60:61], off
	s_or_b64 exec, exec, s[78:79]
	v_cmp_lt_u32_e32 vcc, v110, v151
	s_and_saveexec_b64 s[78:79], vcc
	s_cbranch_execnz .LBB500_831
.LBB500_800:                            ;   in Loop: Header=BB500_688 Depth=2
	s_or_b64 exec, exec, s[78:79]
	v_cmp_lt_u32_e32 vcc, v111, v151
	s_and_saveexec_b64 s[78:79], vcc
	s_cbranch_execz .LBB500_832
.LBB500_801:                            ;   in Loop: Header=BB500_688 Depth=2
	global_load_dwordx2 v[54:55], v[60:61], off offset:1024
	s_or_b64 exec, exec, s[78:79]
	v_cmp_lt_u32_e32 vcc, v112, v151
	s_and_saveexec_b64 s[78:79], vcc
	s_cbranch_execnz .LBB500_833
.LBB500_802:                            ;   in Loop: Header=BB500_688 Depth=2
	s_or_b64 exec, exec, s[78:79]
	v_cmp_lt_u32_e32 vcc, v113, v151
	s_and_saveexec_b64 s[78:79], vcc
	s_cbranch_execz .LBB500_834
.LBB500_803:                            ;   in Loop: Header=BB500_688 Depth=2
	global_load_dwordx2 v[46:47], v[60:61], off offset:2048
	s_or_b64 exec, exec, s[78:79]
	v_cmp_lt_u32_e32 vcc, v114, v151
	s_and_saveexec_b64 s[78:79], vcc
	s_cbranch_execnz .LBB500_835
.LBB500_804:                            ;   in Loop: Header=BB500_688 Depth=2
	s_or_b64 exec, exec, s[78:79]
	v_cmp_lt_u32_e32 vcc, v115, v151
	s_and_saveexec_b64 s[78:79], vcc
	s_cbranch_execz .LBB500_836
.LBB500_805:                            ;   in Loop: Header=BB500_688 Depth=2
	global_load_dwordx2 v[38:39], v[60:61], off offset:3072
	s_or_b64 exec, exec, s[78:79]
	v_cmp_lt_u32_e32 vcc, v116, v151
	s_and_saveexec_b64 s[78:79], vcc
	s_cbranch_execnz .LBB500_837
.LBB500_806:                            ;   in Loop: Header=BB500_688 Depth=2
	s_or_b64 exec, exec, s[78:79]
	v_cmp_lt_u32_e32 vcc, v117, v151
	s_and_saveexec_b64 s[78:79], vcc
	s_cbranch_execz .LBB500_838
.LBB500_807:                            ;   in Loop: Header=BB500_688 Depth=2
	v_add_co_u32_e32 v52, vcc, 0x1000, v60
	v_addc_co_u32_e32 v53, vcc, 0, v61, vcc
	global_load_dwordx2 v[52:53], v[52:53], off
	s_or_b64 exec, exec, s[78:79]
	v_cmp_lt_u32_e32 vcc, v118, v151
	s_and_saveexec_b64 s[78:79], vcc
	s_cbranch_execnz .LBB500_839
.LBB500_808:                            ;   in Loop: Header=BB500_688 Depth=2
	s_or_b64 exec, exec, s[78:79]
	v_cmp_lt_u32_e32 vcc, v119, v151
	s_and_saveexec_b64 s[78:79], vcc
	s_cbranch_execz .LBB500_840
.LBB500_809:                            ;   in Loop: Header=BB500_688 Depth=2
	v_add_co_u32_e32 v44, vcc, 0x1000, v60
	v_addc_co_u32_e32 v45, vcc, 0, v61, vcc
	global_load_dwordx2 v[44:45], v[44:45], off offset:1024
	s_or_b64 exec, exec, s[78:79]
	v_cmp_lt_u32_e32 vcc, v120, v151
	s_and_saveexec_b64 s[78:79], vcc
	s_cbranch_execnz .LBB500_841
.LBB500_810:                            ;   in Loop: Header=BB500_688 Depth=2
	s_or_b64 exec, exec, s[78:79]
	v_cmp_lt_u32_e32 vcc, v121, v151
	s_and_saveexec_b64 s[78:79], vcc
	s_cbranch_execz .LBB500_842
.LBB500_811:                            ;   in Loop: Header=BB500_688 Depth=2
	v_add_co_u32_e32 v36, vcc, 0x1000, v60
	v_addc_co_u32_e32 v37, vcc, 0, v61, vcc
	global_load_dwordx2 v[36:37], v[36:37], off offset:2048
	s_or_b64 exec, exec, s[78:79]
	v_cmp_lt_u32_e32 vcc, v122, v151
	s_and_saveexec_b64 s[78:79], vcc
	s_cbranch_execnz .LBB500_843
.LBB500_812:                            ;   in Loop: Header=BB500_688 Depth=2
	s_or_b64 exec, exec, s[78:79]
	v_cmp_lt_u32_e32 vcc, v123, v151
	s_and_saveexec_b64 s[78:79], vcc
	s_cbranch_execz .LBB500_844
.LBB500_813:                            ;   in Loop: Header=BB500_688 Depth=2
	v_add_co_u32_e32 v30, vcc, 0x1000, v60
	v_addc_co_u32_e32 v31, vcc, 0, v61, vcc
	global_load_dwordx2 v[30:31], v[30:31], off offset:3072
	s_or_b64 exec, exec, s[78:79]
	v_cmp_lt_u32_e32 vcc, v124, v151
	s_and_saveexec_b64 s[78:79], vcc
	s_cbranch_execnz .LBB500_845
.LBB500_814:                            ;   in Loop: Header=BB500_688 Depth=2
	s_or_b64 exec, exec, s[78:79]
	s_and_saveexec_b64 s[78:79], s[36:37]
	s_cbranch_execz .LBB500_846
.LBB500_815:                            ;   in Loop: Header=BB500_688 Depth=2
	v_add_u32_e32 v60, v64, v67
	ds_read_b32 v60, v60 offset:1024
	s_waitcnt lgkmcnt(0)
	v_lshrrev_b32_e32 v60, s85, v60
	v_and_b32_e32 v149, s94, v60
	s_or_b64 exec, exec, s[78:79]
	s_and_saveexec_b64 s[78:79], s[38:39]
	s_cbranch_execnz .LBB500_847
.LBB500_816:                            ;   in Loop: Header=BB500_688 Depth=2
	s_or_b64 exec, exec, s[78:79]
	s_and_saveexec_b64 s[78:79], s[40:41]
	s_cbranch_execz .LBB500_848
.LBB500_817:                            ;   in Loop: Header=BB500_688 Depth=2
	ds_read_b32 v60, v72 offset:2048
	s_waitcnt lgkmcnt(0)
	v_lshrrev_b32_e32 v60, s85, v60
	v_and_b32_e32 v146, s94, v60
	s_or_b64 exec, exec, s[78:79]
	s_and_saveexec_b64 s[78:79], s[42:43]
	s_cbranch_execnz .LBB500_849
.LBB500_818:                            ;   in Loop: Header=BB500_688 Depth=2
	s_or_b64 exec, exec, s[78:79]
	s_and_saveexec_b64 s[78:79], s[44:45]
	s_cbranch_execz .LBB500_850
.LBB500_819:                            ;   in Loop: Header=BB500_688 Depth=2
	ds_read_b32 v60, v72 offset:4096
	s_waitcnt lgkmcnt(0)
	v_lshrrev_b32_e32 v60, s85, v60
	v_and_b32_e32 v143, s94, v60
	s_or_b64 exec, exec, s[78:79]
	s_and_saveexec_b64 s[78:79], s[46:47]
	s_cbranch_execnz .LBB500_851
.LBB500_820:                            ;   in Loop: Header=BB500_688 Depth=2
	s_or_b64 exec, exec, s[78:79]
	s_and_saveexec_b64 s[78:79], s[48:49]
	s_cbranch_execz .LBB500_852
.LBB500_821:                            ;   in Loop: Header=BB500_688 Depth=2
	ds_read_b32 v60, v72 offset:6144
	s_waitcnt lgkmcnt(0)
	v_lshrrev_b32_e32 v60, s85, v60
	v_and_b32_e32 v141, s94, v60
	s_or_b64 exec, exec, s[78:79]
	s_and_saveexec_b64 s[78:79], s[50:51]
	s_cbranch_execnz .LBB500_853
.LBB500_822:                            ;   in Loop: Header=BB500_688 Depth=2
	s_or_b64 exec, exec, s[78:79]
	s_and_saveexec_b64 s[78:79], s[52:53]
	s_cbranch_execz .LBB500_854
.LBB500_823:                            ;   in Loop: Header=BB500_688 Depth=2
	ds_read_b32 v60, v72 offset:8192
	s_waitcnt lgkmcnt(0)
	v_lshrrev_b32_e32 v60, s85, v60
	v_and_b32_e32 v139, s94, v60
	s_or_b64 exec, exec, s[78:79]
	s_and_saveexec_b64 s[78:79], s[54:55]
	s_cbranch_execnz .LBB500_855
.LBB500_824:                            ;   in Loop: Header=BB500_688 Depth=2
	s_or_b64 exec, exec, s[78:79]
	s_and_saveexec_b64 s[78:79], s[56:57]
	s_cbranch_execz .LBB500_856
.LBB500_825:                            ;   in Loop: Header=BB500_688 Depth=2
	ds_read_b32 v60, v72 offset:10240
	s_waitcnt lgkmcnt(0)
	v_lshrrev_b32_e32 v60, s85, v60
	v_and_b32_e32 v137, s94, v60
	s_or_b64 exec, exec, s[78:79]
	s_and_saveexec_b64 s[78:79], s[58:59]
	s_cbranch_execnz .LBB500_857
.LBB500_826:                            ;   in Loop: Header=BB500_688 Depth=2
	s_or_b64 exec, exec, s[78:79]
	s_and_saveexec_b64 s[78:79], s[60:61]
	s_cbranch_execz .LBB500_858
.LBB500_827:                            ;   in Loop: Header=BB500_688 Depth=2
	ds_read_b32 v60, v72 offset:12288
	s_waitcnt lgkmcnt(0)
	v_lshrrev_b32_e32 v60, s85, v60
	v_and_b32_e32 v135, s94, v60
	s_or_b64 exec, exec, s[78:79]
	s_and_saveexec_b64 s[78:79], s[62:63]
	s_cbranch_execnz .LBB500_859
.LBB500_828:                            ;   in Loop: Header=BB500_688 Depth=2
	s_or_b64 exec, exec, s[78:79]
	s_and_saveexec_b64 s[78:79], s[64:65]
	s_cbranch_execz .LBB500_860
.LBB500_829:                            ;   in Loop: Header=BB500_688 Depth=2
	ds_read_b32 v60, v72 offset:14336
	s_waitcnt lgkmcnt(0)
	v_lshrrev_b32_e32 v60, s85, v60
	v_and_b32_e32 v133, s94, v60
	s_or_b64 exec, exec, s[78:79]
	s_and_saveexec_b64 s[78:79], s[66:67]
	s_cbranch_execnz .LBB500_861
	s_branch .LBB500_862
.LBB500_830:                            ;   in Loop: Header=BB500_688 Depth=2
	s_or_b64 exec, exec, s[78:79]
	v_cmp_lt_u32_e32 vcc, v110, v151
	s_and_saveexec_b64 s[78:79], vcc
	s_cbranch_execz .LBB500_800
.LBB500_831:                            ;   in Loop: Header=BB500_688 Depth=2
	global_load_dwordx2 v[56:57], v[60:61], off offset:512
	s_or_b64 exec, exec, s[78:79]
	v_cmp_lt_u32_e32 vcc, v111, v151
	s_and_saveexec_b64 s[78:79], vcc
	s_cbranch_execnz .LBB500_801
.LBB500_832:                            ;   in Loop: Header=BB500_688 Depth=2
	s_or_b64 exec, exec, s[78:79]
	v_cmp_lt_u32_e32 vcc, v112, v151
	s_and_saveexec_b64 s[78:79], vcc
	s_cbranch_execz .LBB500_802
.LBB500_833:                            ;   in Loop: Header=BB500_688 Depth=2
	global_load_dwordx2 v[50:51], v[60:61], off offset:1536
	s_or_b64 exec, exec, s[78:79]
	v_cmp_lt_u32_e32 vcc, v113, v151
	s_and_saveexec_b64 s[78:79], vcc
	s_cbranch_execnz .LBB500_803
.LBB500_834:                            ;   in Loop: Header=BB500_688 Depth=2
	s_or_b64 exec, exec, s[78:79]
	v_cmp_lt_u32_e32 vcc, v114, v151
	s_and_saveexec_b64 s[78:79], vcc
	s_cbranch_execz .LBB500_804
.LBB500_835:                            ;   in Loop: Header=BB500_688 Depth=2
	global_load_dwordx2 v[42:43], v[60:61], off offset:2560
	s_or_b64 exec, exec, s[78:79]
	v_cmp_lt_u32_e32 vcc, v115, v151
	s_and_saveexec_b64 s[78:79], vcc
	s_cbranch_execnz .LBB500_805
.LBB500_836:                            ;   in Loop: Header=BB500_688 Depth=2
	s_or_b64 exec, exec, s[78:79]
	v_cmp_lt_u32_e32 vcc, v116, v151
	s_and_saveexec_b64 s[78:79], vcc
	s_cbranch_execz .LBB500_806
.LBB500_837:                            ;   in Loop: Header=BB500_688 Depth=2
	global_load_dwordx2 v[34:35], v[60:61], off offset:3584
	s_or_b64 exec, exec, s[78:79]
	v_cmp_lt_u32_e32 vcc, v117, v151
	s_and_saveexec_b64 s[78:79], vcc
	s_cbranch_execnz .LBB500_807
.LBB500_838:                            ;   in Loop: Header=BB500_688 Depth=2
	s_or_b64 exec, exec, s[78:79]
	v_cmp_lt_u32_e32 vcc, v118, v151
	s_and_saveexec_b64 s[78:79], vcc
	s_cbranch_execz .LBB500_808
.LBB500_839:                            ;   in Loop: Header=BB500_688 Depth=2
	v_add_co_u32_e32 v48, vcc, 0x1000, v60
	v_addc_co_u32_e32 v49, vcc, 0, v61, vcc
	global_load_dwordx2 v[48:49], v[48:49], off offset:512
	s_or_b64 exec, exec, s[78:79]
	v_cmp_lt_u32_e32 vcc, v119, v151
	s_and_saveexec_b64 s[78:79], vcc
	s_cbranch_execnz .LBB500_809
.LBB500_840:                            ;   in Loop: Header=BB500_688 Depth=2
	s_or_b64 exec, exec, s[78:79]
	v_cmp_lt_u32_e32 vcc, v120, v151
	s_and_saveexec_b64 s[78:79], vcc
	s_cbranch_execz .LBB500_810
.LBB500_841:                            ;   in Loop: Header=BB500_688 Depth=2
	v_add_co_u32_e32 v40, vcc, 0x1000, v60
	v_addc_co_u32_e32 v41, vcc, 0, v61, vcc
	global_load_dwordx2 v[40:41], v[40:41], off offset:1536
	s_or_b64 exec, exec, s[78:79]
	v_cmp_lt_u32_e32 vcc, v121, v151
	s_and_saveexec_b64 s[78:79], vcc
	s_cbranch_execnz .LBB500_811
.LBB500_842:                            ;   in Loop: Header=BB500_688 Depth=2
	s_or_b64 exec, exec, s[78:79]
	v_cmp_lt_u32_e32 vcc, v122, v151
	s_and_saveexec_b64 s[78:79], vcc
	s_cbranch_execz .LBB500_812
.LBB500_843:                            ;   in Loop: Header=BB500_688 Depth=2
	v_add_co_u32_e32 v32, vcc, 0x1000, v60
	v_addc_co_u32_e32 v33, vcc, 0, v61, vcc
	global_load_dwordx2 v[32:33], v[32:33], off offset:2560
	s_or_b64 exec, exec, s[78:79]
	v_cmp_lt_u32_e32 vcc, v123, v151
	s_and_saveexec_b64 s[78:79], vcc
	s_cbranch_execnz .LBB500_813
.LBB500_844:                            ;   in Loop: Header=BB500_688 Depth=2
	s_or_b64 exec, exec, s[78:79]
	v_cmp_lt_u32_e32 vcc, v124, v151
	s_and_saveexec_b64 s[78:79], vcc
	s_cbranch_execz .LBB500_814
.LBB500_845:                            ;   in Loop: Header=BB500_688 Depth=2
	v_add_co_u32_e32 v0, vcc, 0x1000, v60
	v_addc_co_u32_e32 v1, vcc, 0, v61, vcc
	global_load_dwordx2 v[0:1], v[0:1], off offset:3584
	s_or_b64 exec, exec, s[78:79]
	s_and_saveexec_b64 s[78:79], s[36:37]
	s_cbranch_execnz .LBB500_815
.LBB500_846:                            ;   in Loop: Header=BB500_688 Depth=2
	s_or_b64 exec, exec, s[78:79]
	s_and_saveexec_b64 s[78:79], s[38:39]
	s_cbranch_execz .LBB500_816
.LBB500_847:                            ;   in Loop: Header=BB500_688 Depth=2
	ds_read_b32 v60, v72 offset:1024
	s_waitcnt lgkmcnt(0)
	v_lshrrev_b32_e32 v60, s85, v60
	v_and_b32_e32 v147, s94, v60
	s_or_b64 exec, exec, s[78:79]
	s_and_saveexec_b64 s[78:79], s[40:41]
	s_cbranch_execnz .LBB500_817
.LBB500_848:                            ;   in Loop: Header=BB500_688 Depth=2
	s_or_b64 exec, exec, s[78:79]
	s_and_saveexec_b64 s[78:79], s[42:43]
	s_cbranch_execz .LBB500_818
.LBB500_849:                            ;   in Loop: Header=BB500_688 Depth=2
	ds_read_b32 v60, v72 offset:3072
	s_waitcnt lgkmcnt(0)
	v_lshrrev_b32_e32 v60, s85, v60
	v_and_b32_e32 v144, s94, v60
	s_or_b64 exec, exec, s[78:79]
	s_and_saveexec_b64 s[78:79], s[44:45]
	s_cbranch_execnz .LBB500_819
.LBB500_850:                            ;   in Loop: Header=BB500_688 Depth=2
	s_or_b64 exec, exec, s[78:79]
	s_and_saveexec_b64 s[78:79], s[46:47]
	s_cbranch_execz .LBB500_820
.LBB500_851:                            ;   in Loop: Header=BB500_688 Depth=2
	ds_read_b32 v60, v72 offset:5120
	s_waitcnt lgkmcnt(0)
	v_lshrrev_b32_e32 v60, s85, v60
	v_and_b32_e32 v142, s94, v60
	s_or_b64 exec, exec, s[78:79]
	s_and_saveexec_b64 s[78:79], s[48:49]
	s_cbranch_execnz .LBB500_821
.LBB500_852:                            ;   in Loop: Header=BB500_688 Depth=2
	s_or_b64 exec, exec, s[78:79]
	s_and_saveexec_b64 s[78:79], s[50:51]
	s_cbranch_execz .LBB500_822
.LBB500_853:                            ;   in Loop: Header=BB500_688 Depth=2
	ds_read_b32 v60, v72 offset:7168
	s_waitcnt lgkmcnt(0)
	v_lshrrev_b32_e32 v60, s85, v60
	v_and_b32_e32 v140, s94, v60
	s_or_b64 exec, exec, s[78:79]
	s_and_saveexec_b64 s[78:79], s[52:53]
	s_cbranch_execnz .LBB500_823
.LBB500_854:                            ;   in Loop: Header=BB500_688 Depth=2
	s_or_b64 exec, exec, s[78:79]
	s_and_saveexec_b64 s[78:79], s[54:55]
	s_cbranch_execz .LBB500_824
.LBB500_855:                            ;   in Loop: Header=BB500_688 Depth=2
	ds_read_b32 v60, v72 offset:9216
	s_waitcnt lgkmcnt(0)
	v_lshrrev_b32_e32 v60, s85, v60
	v_and_b32_e32 v138, s94, v60
	s_or_b64 exec, exec, s[78:79]
	s_and_saveexec_b64 s[78:79], s[56:57]
	s_cbranch_execnz .LBB500_825
.LBB500_856:                            ;   in Loop: Header=BB500_688 Depth=2
	s_or_b64 exec, exec, s[78:79]
	s_and_saveexec_b64 s[78:79], s[58:59]
	s_cbranch_execz .LBB500_826
.LBB500_857:                            ;   in Loop: Header=BB500_688 Depth=2
	ds_read_b32 v60, v72 offset:11264
	s_waitcnt lgkmcnt(0)
	v_lshrrev_b32_e32 v60, s85, v60
	v_and_b32_e32 v136, s94, v60
	s_or_b64 exec, exec, s[78:79]
	s_and_saveexec_b64 s[78:79], s[60:61]
	s_cbranch_execnz .LBB500_827
.LBB500_858:                            ;   in Loop: Header=BB500_688 Depth=2
	s_or_b64 exec, exec, s[78:79]
	s_and_saveexec_b64 s[78:79], s[62:63]
	s_cbranch_execz .LBB500_828
.LBB500_859:                            ;   in Loop: Header=BB500_688 Depth=2
	ds_read_b32 v60, v72 offset:13312
	s_waitcnt lgkmcnt(0)
	v_lshrrev_b32_e32 v60, s85, v60
	v_and_b32_e32 v134, s94, v60
	s_or_b64 exec, exec, s[78:79]
	s_and_saveexec_b64 s[78:79], s[64:65]
	s_cbranch_execnz .LBB500_829
.LBB500_860:                            ;   in Loop: Header=BB500_688 Depth=2
	s_or_b64 exec, exec, s[78:79]
	s_and_saveexec_b64 s[78:79], s[66:67]
	s_cbranch_execz .LBB500_862
.LBB500_861:                            ;   in Loop: Header=BB500_688 Depth=2
	ds_read_b32 v60, v72 offset:15360
	s_waitcnt lgkmcnt(0)
	v_lshrrev_b32_e32 v60, s85, v60
	v_and_b32_e32 v132, s94, v60
.LBB500_862:                            ;   in Loop: Header=BB500_688 Depth=2
	s_or_b64 exec, exec, s[78:79]
	v_lshlrev_b32_e32 v60, 3, v172
	s_barrier
	s_waitcnt vmcnt(0)
	ds_write_b64 v60, v[58:59] offset:1024
	v_lshlrev_b32_e32 v60, 3, v168
	ds_write_b64 v60, v[56:57] offset:1024
	v_lshlrev_b32_e32 v60, 3, v167
	;; [unrolled: 2-line block ×15, first 2 shown]
	ds_write_b64 v60, v[0:1] offset:1024
	s_waitcnt lgkmcnt(0)
	s_barrier
	s_and_saveexec_b64 s[78:79], s[36:37]
	s_cbranch_execz .LBB500_878
; %bb.863:                              ;   in Loop: Header=BB500_688 Depth=2
	v_lshlrev_b32_e32 v60, 2, v149
	ds_read_b32 v62, v60
	ds_read_b64 v[60:61], v73 offset:1024
	v_mov_b32_e32 v63, v4
	v_mov_b32_e32 v151, s81
	s_waitcnt lgkmcnt(1)
	v_add_u32_e32 v62, v62, v2
	v_lshlrev_b64 v[62:63], 3, v[62:63]
	v_add_co_u32_e32 v62, vcc, s80, v62
	v_addc_co_u32_e32 v63, vcc, v151, v63, vcc
	s_waitcnt lgkmcnt(0)
	global_store_dwordx2 v[62:63], v[60:61], off
	s_or_b64 exec, exec, s[78:79]
	s_and_saveexec_b64 s[36:37], s[38:39]
	s_cbranch_execnz .LBB500_879
.LBB500_864:                            ;   in Loop: Header=BB500_688 Depth=2
	s_or_b64 exec, exec, s[36:37]
	s_and_saveexec_b64 s[36:37], s[40:41]
	s_cbranch_execz .LBB500_880
.LBB500_865:                            ;   in Loop: Header=BB500_688 Depth=2
	v_lshlrev_b32_e32 v60, 2, v146
	ds_read_b32 v62, v60
	v_add_u32_e32 v60, v72, v3
	ds_read_b64 v[60:61], v60 offset:4096
	v_mov_b32_e32 v63, v4
	v_mov_b32_e32 v151, s81
	s_waitcnt lgkmcnt(1)
	v_add_u32_e32 v62, v62, v9
	v_lshlrev_b64 v[62:63], 3, v[62:63]
	v_add_co_u32_e32 v62, vcc, s80, v62
	v_addc_co_u32_e32 v63, vcc, v151, v63, vcc
	s_waitcnt lgkmcnt(0)
	global_store_dwordx2 v[62:63], v[60:61], off
	s_or_b64 exec, exec, s[36:37]
	s_and_saveexec_b64 s[36:37], s[42:43]
	s_cbranch_execnz .LBB500_881
.LBB500_866:                            ;   in Loop: Header=BB500_688 Depth=2
	s_or_b64 exec, exec, s[36:37]
	s_and_saveexec_b64 s[36:37], s[44:45]
	s_cbranch_execz .LBB500_882
.LBB500_867:                            ;   in Loop: Header=BB500_688 Depth=2
	v_lshlrev_b32_e32 v60, 2, v143
	ds_read_b32 v62, v60
	v_add_u32_e32 v60, v72, v3
	ds_read_b64 v[60:61], v60 offset:8192
	v_mov_b32_e32 v63, v4
	v_mov_b32_e32 v151, s81
	s_waitcnt lgkmcnt(1)
	v_add_u32_e32 v62, v62, v6
	v_lshlrev_b64 v[62:63], 3, v[62:63]
	v_add_co_u32_e32 v62, vcc, s80, v62
	v_addc_co_u32_e32 v63, vcc, v151, v63, vcc
	s_waitcnt lgkmcnt(0)
	global_store_dwordx2 v[62:63], v[60:61], off
	s_or_b64 exec, exec, s[36:37]
	s_and_saveexec_b64 s[36:37], s[46:47]
	s_cbranch_execnz .LBB500_883
.LBB500_868:                            ;   in Loop: Header=BB500_688 Depth=2
	s_or_b64 exec, exec, s[36:37]
	s_and_saveexec_b64 s[36:37], s[48:49]
	s_cbranch_execz .LBB500_884
.LBB500_869:                            ;   in Loop: Header=BB500_688 Depth=2
	v_lshlrev_b32_e32 v60, 2, v141
	ds_read_b32 v62, v60
	v_add_u32_e32 v60, v72, v3
	ds_read_b64 v[60:61], v60 offset:12288
	v_mov_b32_e32 v63, v4
	v_mov_b32_e32 v151, s81
	s_waitcnt lgkmcnt(1)
	v_add_u32_e32 v62, v62, v10
	v_lshlrev_b64 v[62:63], 3, v[62:63]
	v_add_co_u32_e32 v62, vcc, s80, v62
	v_addc_co_u32_e32 v63, vcc, v151, v63, vcc
	s_waitcnt lgkmcnt(0)
	global_store_dwordx2 v[62:63], v[60:61], off
	s_or_b64 exec, exec, s[36:37]
	s_and_saveexec_b64 s[36:37], s[50:51]
	s_cbranch_execnz .LBB500_885
.LBB500_870:                            ;   in Loop: Header=BB500_688 Depth=2
	s_or_b64 exec, exec, s[36:37]
	s_and_saveexec_b64 s[36:37], s[52:53]
	s_cbranch_execz .LBB500_886
.LBB500_871:                            ;   in Loop: Header=BB500_688 Depth=2
	v_lshlrev_b32_e32 v60, 2, v139
	ds_read_b32 v62, v60
	v_add_u32_e32 v60, v72, v3
	ds_read_b64 v[60:61], v60 offset:16384
	v_mov_b32_e32 v63, v4
	v_mov_b32_e32 v151, s81
	s_waitcnt lgkmcnt(1)
	v_add_u32_e32 v62, v62, v14
	v_lshlrev_b64 v[62:63], 3, v[62:63]
	v_add_co_u32_e32 v62, vcc, s80, v62
	v_addc_co_u32_e32 v63, vcc, v151, v63, vcc
	s_waitcnt lgkmcnt(0)
	global_store_dwordx2 v[62:63], v[60:61], off
	s_or_b64 exec, exec, s[36:37]
	s_and_saveexec_b64 s[36:37], s[54:55]
	s_cbranch_execnz .LBB500_887
.LBB500_872:                            ;   in Loop: Header=BB500_688 Depth=2
	s_or_b64 exec, exec, s[36:37]
	s_and_saveexec_b64 s[36:37], s[56:57]
	s_cbranch_execz .LBB500_888
.LBB500_873:                            ;   in Loop: Header=BB500_688 Depth=2
	v_lshlrev_b32_e32 v60, 2, v137
	ds_read_b32 v62, v60
	v_add_u32_e32 v60, v72, v3
	ds_read_b64 v[60:61], v60 offset:20480
	v_mov_b32_e32 v63, v4
	v_mov_b32_e32 v151, s81
	s_waitcnt lgkmcnt(1)
	v_add_u32_e32 v62, v62, v18
	v_lshlrev_b64 v[62:63], 3, v[62:63]
	v_add_co_u32_e32 v62, vcc, s80, v62
	v_addc_co_u32_e32 v63, vcc, v151, v63, vcc
	s_waitcnt lgkmcnt(0)
	global_store_dwordx2 v[62:63], v[60:61], off
	s_or_b64 exec, exec, s[36:37]
	s_and_saveexec_b64 s[36:37], s[58:59]
	s_cbranch_execnz .LBB500_889
.LBB500_874:                            ;   in Loop: Header=BB500_688 Depth=2
	s_or_b64 exec, exec, s[36:37]
	s_and_saveexec_b64 s[36:37], s[60:61]
	s_cbranch_execz .LBB500_890
.LBB500_875:                            ;   in Loop: Header=BB500_688 Depth=2
	v_lshlrev_b32_e32 v60, 2, v135
	ds_read_b32 v62, v60
	v_add_u32_e32 v60, v72, v3
	ds_read_b64 v[60:61], v60 offset:24576
	v_mov_b32_e32 v63, v4
	v_mov_b32_e32 v151, s81
	s_waitcnt lgkmcnt(1)
	v_add_u32_e32 v62, v62, v22
	v_lshlrev_b64 v[62:63], 3, v[62:63]
	v_add_co_u32_e32 v62, vcc, s80, v62
	v_addc_co_u32_e32 v63, vcc, v151, v63, vcc
	s_waitcnt lgkmcnt(0)
	global_store_dwordx2 v[62:63], v[60:61], off
	s_or_b64 exec, exec, s[36:37]
	s_and_saveexec_b64 s[36:37], s[62:63]
	s_cbranch_execnz .LBB500_891
.LBB500_876:                            ;   in Loop: Header=BB500_688 Depth=2
	s_or_b64 exec, exec, s[36:37]
	s_and_saveexec_b64 s[36:37], s[64:65]
	s_cbranch_execz .LBB500_892
.LBB500_877:                            ;   in Loop: Header=BB500_688 Depth=2
	v_lshlrev_b32_e32 v60, 2, v133
	ds_read_b32 v62, v60
	v_add_u32_e32 v60, v72, v3
	ds_read_b64 v[60:61], v60 offset:28672
	v_mov_b32_e32 v63, v4
	v_mov_b32_e32 v151, s81
	s_waitcnt lgkmcnt(1)
	v_add_u32_e32 v62, v62, v26
	v_lshlrev_b64 v[62:63], 3, v[62:63]
	v_add_co_u32_e32 v62, vcc, s80, v62
	v_addc_co_u32_e32 v63, vcc, v151, v63, vcc
	s_waitcnt lgkmcnt(0)
	global_store_dwordx2 v[62:63], v[60:61], off
	s_or_b64 exec, exec, s[36:37]
	s_and_saveexec_b64 s[36:37], s[66:67]
	s_cbranch_execnz .LBB500_893
	s_branch .LBB500_894
.LBB500_878:                            ;   in Loop: Header=BB500_688 Depth=2
	s_or_b64 exec, exec, s[78:79]
	s_and_saveexec_b64 s[36:37], s[38:39]
	s_cbranch_execz .LBB500_864
.LBB500_879:                            ;   in Loop: Header=BB500_688 Depth=2
	v_lshlrev_b32_e32 v60, 2, v147
	ds_read_b32 v62, v60
	v_add_u32_e32 v60, v72, v3
	ds_read_b64 v[60:61], v60 offset:2048
	v_mov_b32_e32 v63, v4
	v_mov_b32_e32 v151, s81
	s_waitcnt lgkmcnt(1)
	v_add_u32_e32 v62, v62, v7
	v_lshlrev_b64 v[62:63], 3, v[62:63]
	v_add_co_u32_e32 v62, vcc, s80, v62
	v_addc_co_u32_e32 v63, vcc, v151, v63, vcc
	s_waitcnt lgkmcnt(0)
	global_store_dwordx2 v[62:63], v[60:61], off
	s_or_b64 exec, exec, s[36:37]
	s_and_saveexec_b64 s[36:37], s[40:41]
	s_cbranch_execnz .LBB500_865
.LBB500_880:                            ;   in Loop: Header=BB500_688 Depth=2
	s_or_b64 exec, exec, s[36:37]
	s_and_saveexec_b64 s[36:37], s[42:43]
	s_cbranch_execz .LBB500_866
.LBB500_881:                            ;   in Loop: Header=BB500_688 Depth=2
	v_lshlrev_b32_e32 v60, 2, v144
	ds_read_b32 v62, v60
	v_add_u32_e32 v60, v72, v3
	ds_read_b64 v[60:61], v60 offset:6144
	v_mov_b32_e32 v63, v4
	v_mov_b32_e32 v151, s81
	s_waitcnt lgkmcnt(1)
	v_add_u32_e32 v62, v62, v11
	v_lshlrev_b64 v[62:63], 3, v[62:63]
	v_add_co_u32_e32 v62, vcc, s80, v62
	v_addc_co_u32_e32 v63, vcc, v151, v63, vcc
	s_waitcnt lgkmcnt(0)
	global_store_dwordx2 v[62:63], v[60:61], off
	s_or_b64 exec, exec, s[36:37]
	s_and_saveexec_b64 s[36:37], s[44:45]
	s_cbranch_execnz .LBB500_867
.LBB500_882:                            ;   in Loop: Header=BB500_688 Depth=2
	s_or_b64 exec, exec, s[36:37]
	s_and_saveexec_b64 s[36:37], s[46:47]
	s_cbranch_execz .LBB500_868
.LBB500_883:                            ;   in Loop: Header=BB500_688 Depth=2
	v_lshlrev_b32_e32 v60, 2, v142
	ds_read_b32 v62, v60
	v_add_u32_e32 v60, v72, v3
	ds_read_b64 v[60:61], v60 offset:10240
	v_mov_b32_e32 v63, v4
	v_mov_b32_e32 v151, s81
	s_waitcnt lgkmcnt(1)
	v_add_u32_e32 v62, v62, v8
	v_lshlrev_b64 v[62:63], 3, v[62:63]
	v_add_co_u32_e32 v62, vcc, s80, v62
	v_addc_co_u32_e32 v63, vcc, v151, v63, vcc
	s_waitcnt lgkmcnt(0)
	global_store_dwordx2 v[62:63], v[60:61], off
	s_or_b64 exec, exec, s[36:37]
	s_and_saveexec_b64 s[36:37], s[48:49]
	s_cbranch_execnz .LBB500_869
.LBB500_884:                            ;   in Loop: Header=BB500_688 Depth=2
	s_or_b64 exec, exec, s[36:37]
	s_and_saveexec_b64 s[36:37], s[50:51]
	s_cbranch_execz .LBB500_870
.LBB500_885:                            ;   in Loop: Header=BB500_688 Depth=2
	v_lshlrev_b32_e32 v60, 2, v140
	ds_read_b32 v62, v60
	v_add_u32_e32 v60, v72, v3
	ds_read_b64 v[60:61], v60 offset:14336
	v_mov_b32_e32 v63, v4
	v_mov_b32_e32 v151, s81
	s_waitcnt lgkmcnt(1)
	v_add_u32_e32 v62, v62, v12
	v_lshlrev_b64 v[62:63], 3, v[62:63]
	v_add_co_u32_e32 v62, vcc, s80, v62
	v_addc_co_u32_e32 v63, vcc, v151, v63, vcc
	s_waitcnt lgkmcnt(0)
	global_store_dwordx2 v[62:63], v[60:61], off
	s_or_b64 exec, exec, s[36:37]
	s_and_saveexec_b64 s[36:37], s[52:53]
	s_cbranch_execnz .LBB500_871
.LBB500_886:                            ;   in Loop: Header=BB500_688 Depth=2
	s_or_b64 exec, exec, s[36:37]
	s_and_saveexec_b64 s[36:37], s[54:55]
	s_cbranch_execz .LBB500_872
.LBB500_887:                            ;   in Loop: Header=BB500_688 Depth=2
	v_lshlrev_b32_e32 v60, 2, v138
	ds_read_b32 v62, v60
	v_add_u32_e32 v60, v72, v3
	ds_read_b64 v[60:61], v60 offset:18432
	v_mov_b32_e32 v63, v4
	v_mov_b32_e32 v151, s81
	s_waitcnt lgkmcnt(1)
	v_add_u32_e32 v62, v62, v16
	v_lshlrev_b64 v[62:63], 3, v[62:63]
	v_add_co_u32_e32 v62, vcc, s80, v62
	v_addc_co_u32_e32 v63, vcc, v151, v63, vcc
	s_waitcnt lgkmcnt(0)
	global_store_dwordx2 v[62:63], v[60:61], off
	s_or_b64 exec, exec, s[36:37]
	s_and_saveexec_b64 s[36:37], s[56:57]
	s_cbranch_execnz .LBB500_873
.LBB500_888:                            ;   in Loop: Header=BB500_688 Depth=2
	s_or_b64 exec, exec, s[36:37]
	s_and_saveexec_b64 s[36:37], s[58:59]
	s_cbranch_execz .LBB500_874
.LBB500_889:                            ;   in Loop: Header=BB500_688 Depth=2
	v_lshlrev_b32_e32 v60, 2, v136
	ds_read_b32 v62, v60
	v_add_u32_e32 v60, v72, v3
	ds_read_b64 v[60:61], v60 offset:22528
	v_mov_b32_e32 v63, v4
	v_mov_b32_e32 v151, s81
	s_waitcnt lgkmcnt(1)
	v_add_u32_e32 v62, v62, v20
	v_lshlrev_b64 v[62:63], 3, v[62:63]
	v_add_co_u32_e32 v62, vcc, s80, v62
	v_addc_co_u32_e32 v63, vcc, v151, v63, vcc
	s_waitcnt lgkmcnt(0)
	global_store_dwordx2 v[62:63], v[60:61], off
	s_or_b64 exec, exec, s[36:37]
	s_and_saveexec_b64 s[36:37], s[60:61]
	s_cbranch_execnz .LBB500_875
.LBB500_890:                            ;   in Loop: Header=BB500_688 Depth=2
	s_or_b64 exec, exec, s[36:37]
	s_and_saveexec_b64 s[36:37], s[62:63]
	s_cbranch_execz .LBB500_876
.LBB500_891:                            ;   in Loop: Header=BB500_688 Depth=2
	v_lshlrev_b32_e32 v60, 2, v134
	ds_read_b32 v62, v60
	v_add_u32_e32 v60, v72, v3
	ds_read_b64 v[60:61], v60 offset:26624
	v_mov_b32_e32 v63, v4
	v_mov_b32_e32 v151, s81
	s_waitcnt lgkmcnt(1)
	v_add_u32_e32 v62, v62, v24
	v_lshlrev_b64 v[62:63], 3, v[62:63]
	v_add_co_u32_e32 v62, vcc, s80, v62
	v_addc_co_u32_e32 v63, vcc, v151, v63, vcc
	s_waitcnt lgkmcnt(0)
	global_store_dwordx2 v[62:63], v[60:61], off
	s_or_b64 exec, exec, s[36:37]
	s_and_saveexec_b64 s[36:37], s[64:65]
	s_cbranch_execnz .LBB500_877
.LBB500_892:                            ;   in Loop: Header=BB500_688 Depth=2
	s_or_b64 exec, exec, s[36:37]
	s_and_saveexec_b64 s[36:37], s[66:67]
	s_cbranch_execz .LBB500_894
.LBB500_893:                            ;   in Loop: Header=BB500_688 Depth=2
	v_lshlrev_b32_e32 v60, 2, v132
	ds_read_b32 v62, v60
	v_add_u32_e32 v60, v72, v3
	ds_read_b64 v[60:61], v60 offset:30720
	v_mov_b32_e32 v63, v4
	v_mov_b32_e32 v151, s81
	s_waitcnt lgkmcnt(1)
	v_add_u32_e32 v62, v62, v28
	v_lshlrev_b64 v[62:63], 3, v[62:63]
	v_add_co_u32_e32 v62, vcc, s80, v62
	v_addc_co_u32_e32 v63, vcc, v151, v63, vcc
	s_waitcnt lgkmcnt(0)
	global_store_dwordx2 v[62:63], v[60:61], off
.LBB500_894:                            ;   in Loop: Header=BB500_688 Depth=2
	s_or_b64 exec, exec, s[36:37]
	s_barrier
	s_and_saveexec_b64 s[36:37], s[4:5]
	s_cbranch_execz .LBB500_687
; %bb.895:                              ;   in Loop: Header=BB500_688 Depth=2
	ds_read_b32 v60, v3
	s_waitcnt lgkmcnt(0)
	v_add_u32_e32 v5, v60, v5
	ds_write_b32 v3, v5
	s_branch .LBB500_687
.LBB500_896:                            ;   in Loop: Header=BB500_12 Depth=1
	s_waitcnt lgkmcnt(0)
	s_barrier
	s_mov_b64 s[16:17], 0
.LBB500_897:                            ;   in Loop: Header=BB500_12 Depth=1
	s_and_b64 vcc, exec, s[16:17]
	s_cbranch_vccz .LBB500_11
; %bb.898:                              ;   in Loop: Header=BB500_12 Depth=1
	s_mov_b32 s22, s87
	s_mov_b32 s88, s69
	s_barrier
	s_waitcnt lgkmcnt(0)
                                        ; implicit-def: $vgpr44
                                        ; implicit-def: $vgpr5
                                        ; implicit-def: $vgpr30
                                        ; implicit-def: $vgpr31
                                        ; implicit-def: $vgpr32
                                        ; implicit-def: $vgpr33
                                        ; implicit-def: $vgpr34
                                        ; implicit-def: $vgpr35
                                        ; implicit-def: $vgpr36
                                        ; implicit-def: $vgpr37
                                        ; implicit-def: $vgpr38
                                        ; implicit-def: $vgpr39
                                        ; implicit-def: $vgpr40
                                        ; implicit-def: $vgpr41
                                        ; implicit-def: $vgpr42
                                        ; implicit-def: $vgpr43
	s_branch .LBB500_900
.LBB500_899:                            ;   in Loop: Header=BB500_900 Depth=2
	s_or_b64 exec, exec, s[16:17]
	s_addk_i32 s22, 0xf000
	s_cmp_ge_u32 s23, s92
	s_mov_b32 s88, s23
	s_cbranch_scc1 .LBB500_970
.LBB500_900:                            ;   Parent Loop BB500_12 Depth=1
                                        ; =>  This Inner Loop Header: Depth=2
	s_add_i32 s23, s88, 0x1000
	s_cmp_gt_u32 s23, s92
	s_cbranch_scc1 .LBB500_903
; %bb.901:                              ;   in Loop: Header=BB500_900 Depth=2
	s_lshl_b64 s[16:17], s[88:89], 2
	v_mov_b32_e32 v1, s17
	v_add_co_u32_e32 v0, vcc, s16, v80
	v_addc_co_u32_e32 v1, vcc, v81, v1, vcc
	s_waitcnt vmcnt(6)
	v_add_co_u32_e32 v54, vcc, 0x1000, v0
	s_waitcnt vmcnt(5)
	v_addc_co_u32_e32 v55, vcc, 0, v1, vcc
	v_add_co_u32_e32 v62, vcc, s84, v0
	v_addc_co_u32_e32 v63, vcc, 0, v1, vcc
	global_load_dword v46, v[0:1], off
	global_load_dword v47, v[0:1], off offset:1024
	global_load_dword v48, v[0:1], off offset:2048
	;; [unrolled: 1-line block ×3, first 2 shown]
	global_load_dword v50, v[54:55], off
	global_load_dword v51, v[54:55], off offset:1024
	global_load_dword v52, v[54:55], off offset:2048
	;; [unrolled: 1-line block ×3, first 2 shown]
	v_add_co_u32_e32 v128, vcc, 0x3000, v0
	v_addc_co_u32_e32 v129, vcc, 0, v1, vcc
	global_load_dword v54, v[62:63], off
	global_load_dword v55, v[62:63], off offset:1024
	global_load_dword v56, v[62:63], off offset:2048
	;; [unrolled: 1-line block ×3, first 2 shown]
	global_load_dword v58, v[128:129], off
	global_load_dword v59, v[128:129], off offset:1024
	global_load_dword v60, v[128:129], off offset:2048
	v_add_co_u32_e32 v0, vcc, 0x3c00, v0
	s_movk_i32 s24, 0x1000
	v_addc_co_u32_e32 v1, vcc, 0, v1, vcc
	s_mov_b64 s[16:17], -1
	s_cbranch_execz .LBB500_904
; %bb.902:                              ;   in Loop: Header=BB500_900 Depth=2
                                        ; implicit-def: $vgpr43
                                        ; implicit-def: $vgpr42
                                        ; implicit-def: $vgpr41
                                        ; implicit-def: $vgpr40
                                        ; implicit-def: $vgpr39
                                        ; implicit-def: $vgpr38
                                        ; implicit-def: $vgpr37
                                        ; implicit-def: $vgpr36
                                        ; implicit-def: $vgpr35
                                        ; implicit-def: $vgpr34
                                        ; implicit-def: $vgpr33
                                        ; implicit-def: $vgpr32
                                        ; implicit-def: $vgpr31
                                        ; implicit-def: $vgpr30
                                        ; implicit-def: $vgpr5
                                        ; implicit-def: $vgpr44
	v_mov_b32_e32 v45, s22
	s_and_saveexec_b64 s[18:19], s[16:17]
	s_cbranch_execnz .LBB500_923
	s_branch .LBB500_924
.LBB500_903:                            ;   in Loop: Header=BB500_900 Depth=2
	s_mov_b64 s[16:17], 0
                                        ; implicit-def: $sgpr24
                                        ; implicit-def: $vgpr46
                                        ; implicit-def: $vgpr47
                                        ; implicit-def: $vgpr48
                                        ; implicit-def: $vgpr49
                                        ; implicit-def: $vgpr50
                                        ; implicit-def: $vgpr51
                                        ; implicit-def: $vgpr52
                                        ; implicit-def: $vgpr53
                                        ; implicit-def: $vgpr54
                                        ; implicit-def: $vgpr55
                                        ; implicit-def: $vgpr56
                                        ; implicit-def: $vgpr57
                                        ; implicit-def: $vgpr58
                                        ; implicit-def: $vgpr59
                                        ; implicit-def: $vgpr60
                                        ; implicit-def: $vgpr0_vgpr1
.LBB500_904:                            ;   in Loop: Header=BB500_900 Depth=2
	s_lshl_b64 s[18:19], s[88:89], 2
	s_add_u32 s18, s72, s18
	s_addc_u32 s19, s73, s19
	v_cmp_gt_u32_e32 vcc, s22, v2
	s_and_saveexec_b64 s[20:21], vcc
	s_cbranch_execz .LBB500_956
; %bb.905:                              ;   in Loop: Header=BB500_900 Depth=2
	global_load_dword v43, v88, s[18:19]
	s_or_b64 exec, exec, s[20:21]
	v_cmp_gt_u32_e32 vcc, s22, v7
	s_and_saveexec_b64 s[20:21], vcc
	s_cbranch_execnz .LBB500_957
.LBB500_906:                            ;   in Loop: Header=BB500_900 Depth=2
	s_or_b64 exec, exec, s[20:21]
	v_cmp_gt_u32_e32 vcc, s22, v9
	s_and_saveexec_b64 s[20:21], vcc
	s_cbranch_execz .LBB500_958
.LBB500_907:                            ;   in Loop: Header=BB500_900 Depth=2
	global_load_dword v41, v88, s[18:19] offset:2048
	s_or_b64 exec, exec, s[20:21]
	v_cmp_gt_u32_e32 vcc, s22, v11
	s_and_saveexec_b64 s[20:21], vcc
	s_cbranch_execnz .LBB500_959
.LBB500_908:                            ;   in Loop: Header=BB500_900 Depth=2
	s_or_b64 exec, exec, s[20:21]
	v_cmp_gt_u32_e32 vcc, s22, v6
	s_and_saveexec_b64 s[20:21], vcc
	s_cbranch_execz .LBB500_960
.LBB500_909:                            ;   in Loop: Header=BB500_900 Depth=2
	global_load_dword v39, v89, s[18:19]
	s_or_b64 exec, exec, s[20:21]
	v_cmp_gt_u32_e32 vcc, s22, v8
	s_and_saveexec_b64 s[20:21], vcc
	s_cbranch_execnz .LBB500_961
.LBB500_910:                            ;   in Loop: Header=BB500_900 Depth=2
	s_or_b64 exec, exec, s[20:21]
	v_cmp_gt_u32_e32 vcc, s22, v10
	s_and_saveexec_b64 s[20:21], vcc
	s_cbranch_execz .LBB500_962
.LBB500_911:                            ;   in Loop: Header=BB500_900 Depth=2
	global_load_dword v37, v91, s[18:19]
	s_or_b64 exec, exec, s[20:21]
	v_cmp_gt_u32_e32 vcc, s22, v12
	s_and_saveexec_b64 s[20:21], vcc
	s_cbranch_execnz .LBB500_963
.LBB500_912:                            ;   in Loop: Header=BB500_900 Depth=2
	s_or_b64 exec, exec, s[20:21]
	v_cmp_gt_u32_e32 vcc, s22, v14
	s_and_saveexec_b64 s[20:21], vcc
	s_cbranch_execz .LBB500_964
.LBB500_913:                            ;   in Loop: Header=BB500_900 Depth=2
	global_load_dword v35, v93, s[18:19]
	s_or_b64 exec, exec, s[20:21]
	v_cmp_gt_u32_e32 vcc, s22, v16
	s_and_saveexec_b64 s[20:21], vcc
	s_cbranch_execnz .LBB500_965
.LBB500_914:                            ;   in Loop: Header=BB500_900 Depth=2
	s_or_b64 exec, exec, s[20:21]
	v_cmp_gt_u32_e32 vcc, s22, v18
	s_and_saveexec_b64 s[20:21], vcc
	s_cbranch_execz .LBB500_966
.LBB500_915:                            ;   in Loop: Header=BB500_900 Depth=2
	global_load_dword v33, v95, s[18:19]
	s_or_b64 exec, exec, s[20:21]
	v_cmp_gt_u32_e32 vcc, s22, v20
	s_and_saveexec_b64 s[20:21], vcc
	s_cbranch_execnz .LBB500_967
.LBB500_916:                            ;   in Loop: Header=BB500_900 Depth=2
	s_or_b64 exec, exec, s[20:21]
	v_cmp_gt_u32_e32 vcc, s22, v22
	s_and_saveexec_b64 s[20:21], vcc
	s_cbranch_execz .LBB500_968
.LBB500_917:                            ;   in Loop: Header=BB500_900 Depth=2
	global_load_dword v31, v97, s[18:19]
	s_or_b64 exec, exec, s[20:21]
	v_cmp_gt_u32_e32 vcc, s22, v24
	s_and_saveexec_b64 s[20:21], vcc
	s_cbranch_execnz .LBB500_969
.LBB500_918:                            ;   in Loop: Header=BB500_900 Depth=2
	s_or_b64 exec, exec, s[20:21]
	v_cmp_gt_u32_e32 vcc, s22, v26
	s_and_saveexec_b64 s[20:21], vcc
	s_cbranch_execz .LBB500_920
.LBB500_919:                            ;   in Loop: Header=BB500_900 Depth=2
	global_load_dword v5, v99, s[18:19]
.LBB500_920:                            ;   in Loop: Header=BB500_900 Depth=2
	s_or_b64 exec, exec, s[20:21]
	v_cmp_gt_u32_e32 vcc, s22, v28
                                        ; implicit-def: $sgpr24
                                        ; implicit-def: $vgpr0_vgpr1
	s_and_saveexec_b64 s[20:21], vcc
; %bb.921:                              ;   in Loop: Header=BB500_900 Depth=2
	v_mov_b32_e32 v1, s19
	v_add_co_u32_e32 v0, vcc, s18, v100
	s_sub_i32 s24, s92, s88
	v_addc_co_u32_e32 v1, vcc, 0, v1, vcc
	s_or_b64 s[16:17], s[16:17], exec
                                        ; implicit-def: $vgpr44
; %bb.922:                              ;   in Loop: Header=BB500_900 Depth=2
	s_or_b64 exec, exec, s[20:21]
	s_waitcnt vmcnt(0)
	v_mov_b32_e32 v46, v43
	v_mov_b32_e32 v47, v42
	;; [unrolled: 1-line block ×16, first 2 shown]
	s_and_saveexec_b64 s[18:19], s[16:17]
	s_cbranch_execz .LBB500_924
.LBB500_923:                            ;   in Loop: Header=BB500_900 Depth=2
	global_load_dword v44, v[0:1], off
	v_mov_b32_e32 v45, s24
	s_waitcnt vmcnt(1)
	v_mov_b32_e32 v5, v60
	v_mov_b32_e32 v30, v59
	;; [unrolled: 1-line block ×15, first 2 shown]
.LBB500_924:                            ;   in Loop: Header=BB500_900 Depth=2
	s_or_b64 exec, exec, s[18:19]
	v_cmp_lt_u32_e32 vcc, v2, v45
	s_and_saveexec_b64 s[16:17], vcc
	s_cbranch_execz .LBB500_940
; %bb.925:                              ;   in Loop: Header=BB500_900 Depth=2
	v_xor_b32_e32 v0, 0x7fffffff, v43
	v_lshrrev_b32_e32 v0, s85, v0
	v_and_b32_e32 v0, s94, v0
	v_lshl_or_b32 v0, v0, 4, v86
	ds_add_u32 v0, v87
	s_or_b64 exec, exec, s[16:17]
	v_cmp_lt_u32_e32 vcc, v7, v45
	s_and_saveexec_b64 s[16:17], vcc
	s_cbranch_execnz .LBB500_941
.LBB500_926:                            ;   in Loop: Header=BB500_900 Depth=2
	s_or_b64 exec, exec, s[16:17]
	v_cmp_lt_u32_e32 vcc, v9, v45
	s_and_saveexec_b64 s[16:17], vcc
	s_cbranch_execz .LBB500_942
.LBB500_927:                            ;   in Loop: Header=BB500_900 Depth=2
	v_xor_b32_e32 v0, 0x7fffffff, v41
	v_lshrrev_b32_e32 v0, s85, v0
	v_and_b32_e32 v0, s94, v0
	v_lshl_or_b32 v0, v0, 4, v86
	ds_add_u32 v0, v87
	s_or_b64 exec, exec, s[16:17]
	v_cmp_lt_u32_e32 vcc, v11, v45
	s_and_saveexec_b64 s[16:17], vcc
	s_cbranch_execnz .LBB500_943
.LBB500_928:                            ;   in Loop: Header=BB500_900 Depth=2
	s_or_b64 exec, exec, s[16:17]
	v_cmp_lt_u32_e32 vcc, v6, v45
	s_and_saveexec_b64 s[16:17], vcc
	s_cbranch_execz .LBB500_944
.LBB500_929:                            ;   in Loop: Header=BB500_900 Depth=2
	v_xor_b32_e32 v0, 0x7fffffff, v39
	v_lshrrev_b32_e32 v0, s85, v0
	v_and_b32_e32 v0, s94, v0
	v_lshl_or_b32 v0, v0, 4, v86
	ds_add_u32 v0, v87
	s_or_b64 exec, exec, s[16:17]
	v_cmp_lt_u32_e32 vcc, v8, v45
	s_and_saveexec_b64 s[16:17], vcc
	s_cbranch_execnz .LBB500_945
.LBB500_930:                            ;   in Loop: Header=BB500_900 Depth=2
	s_or_b64 exec, exec, s[16:17]
	v_cmp_lt_u32_e32 vcc, v10, v45
	s_and_saveexec_b64 s[16:17], vcc
	s_cbranch_execz .LBB500_946
.LBB500_931:                            ;   in Loop: Header=BB500_900 Depth=2
	v_xor_b32_e32 v0, 0x7fffffff, v37
	v_lshrrev_b32_e32 v0, s85, v0
	v_and_b32_e32 v0, s94, v0
	v_lshl_or_b32 v0, v0, 4, v86
	ds_add_u32 v0, v87
	s_or_b64 exec, exec, s[16:17]
	v_cmp_lt_u32_e32 vcc, v12, v45
	s_and_saveexec_b64 s[16:17], vcc
	s_cbranch_execnz .LBB500_947
.LBB500_932:                            ;   in Loop: Header=BB500_900 Depth=2
	s_or_b64 exec, exec, s[16:17]
	v_cmp_lt_u32_e32 vcc, v14, v45
	s_and_saveexec_b64 s[16:17], vcc
	s_cbranch_execz .LBB500_948
.LBB500_933:                            ;   in Loop: Header=BB500_900 Depth=2
	v_xor_b32_e32 v0, 0x7fffffff, v35
	v_lshrrev_b32_e32 v0, s85, v0
	v_and_b32_e32 v0, s94, v0
	v_lshl_or_b32 v0, v0, 4, v86
	ds_add_u32 v0, v87
	s_or_b64 exec, exec, s[16:17]
	v_cmp_lt_u32_e32 vcc, v16, v45
	s_and_saveexec_b64 s[16:17], vcc
	s_cbranch_execnz .LBB500_949
.LBB500_934:                            ;   in Loop: Header=BB500_900 Depth=2
	s_or_b64 exec, exec, s[16:17]
	v_cmp_lt_u32_e32 vcc, v18, v45
	s_and_saveexec_b64 s[16:17], vcc
	s_cbranch_execz .LBB500_950
.LBB500_935:                            ;   in Loop: Header=BB500_900 Depth=2
	v_xor_b32_e32 v0, 0x7fffffff, v33
	v_lshrrev_b32_e32 v0, s85, v0
	v_and_b32_e32 v0, s94, v0
	v_lshl_or_b32 v0, v0, 4, v86
	ds_add_u32 v0, v87
	s_or_b64 exec, exec, s[16:17]
	v_cmp_lt_u32_e32 vcc, v20, v45
	s_and_saveexec_b64 s[16:17], vcc
	s_cbranch_execnz .LBB500_951
.LBB500_936:                            ;   in Loop: Header=BB500_900 Depth=2
	s_or_b64 exec, exec, s[16:17]
	v_cmp_lt_u32_e32 vcc, v22, v45
	s_and_saveexec_b64 s[16:17], vcc
	s_cbranch_execz .LBB500_952
.LBB500_937:                            ;   in Loop: Header=BB500_900 Depth=2
	v_xor_b32_e32 v0, 0x7fffffff, v31
	v_lshrrev_b32_e32 v0, s85, v0
	v_and_b32_e32 v0, s94, v0
	v_lshl_or_b32 v0, v0, 4, v86
	ds_add_u32 v0, v87
	s_or_b64 exec, exec, s[16:17]
	v_cmp_lt_u32_e32 vcc, v24, v45
	s_and_saveexec_b64 s[16:17], vcc
	s_cbranch_execnz .LBB500_953
.LBB500_938:                            ;   in Loop: Header=BB500_900 Depth=2
	s_or_b64 exec, exec, s[16:17]
	v_cmp_lt_u32_e32 vcc, v26, v45
	s_and_saveexec_b64 s[16:17], vcc
	s_cbranch_execz .LBB500_954
.LBB500_939:                            ;   in Loop: Header=BB500_900 Depth=2
	v_xor_b32_e32 v0, 0x7fffffff, v5
	v_lshrrev_b32_e32 v0, s85, v0
	v_and_b32_e32 v0, s94, v0
	v_lshl_or_b32 v0, v0, 4, v86
	ds_add_u32 v0, v87
	s_or_b64 exec, exec, s[16:17]
	v_cmp_lt_u32_e32 vcc, v28, v45
	s_and_saveexec_b64 s[16:17], vcc
	s_cbranch_execz .LBB500_899
	s_branch .LBB500_955
.LBB500_940:                            ;   in Loop: Header=BB500_900 Depth=2
	s_or_b64 exec, exec, s[16:17]
	v_cmp_lt_u32_e32 vcc, v7, v45
	s_and_saveexec_b64 s[16:17], vcc
	s_cbranch_execz .LBB500_926
.LBB500_941:                            ;   in Loop: Header=BB500_900 Depth=2
	v_xor_b32_e32 v0, 0x7fffffff, v42
	v_lshrrev_b32_e32 v0, s85, v0
	v_and_b32_e32 v0, s94, v0
	v_lshl_or_b32 v0, v0, 4, v86
	ds_add_u32 v0, v87
	s_or_b64 exec, exec, s[16:17]
	v_cmp_lt_u32_e32 vcc, v9, v45
	s_and_saveexec_b64 s[16:17], vcc
	s_cbranch_execnz .LBB500_927
.LBB500_942:                            ;   in Loop: Header=BB500_900 Depth=2
	s_or_b64 exec, exec, s[16:17]
	v_cmp_lt_u32_e32 vcc, v11, v45
	s_and_saveexec_b64 s[16:17], vcc
	s_cbranch_execz .LBB500_928
.LBB500_943:                            ;   in Loop: Header=BB500_900 Depth=2
	v_xor_b32_e32 v0, 0x7fffffff, v40
	v_lshrrev_b32_e32 v0, s85, v0
	v_and_b32_e32 v0, s94, v0
	v_lshl_or_b32 v0, v0, 4, v86
	ds_add_u32 v0, v87
	s_or_b64 exec, exec, s[16:17]
	v_cmp_lt_u32_e32 vcc, v6, v45
	s_and_saveexec_b64 s[16:17], vcc
	s_cbranch_execnz .LBB500_929
.LBB500_944:                            ;   in Loop: Header=BB500_900 Depth=2
	s_or_b64 exec, exec, s[16:17]
	v_cmp_lt_u32_e32 vcc, v8, v45
	s_and_saveexec_b64 s[16:17], vcc
	s_cbranch_execz .LBB500_930
.LBB500_945:                            ;   in Loop: Header=BB500_900 Depth=2
	v_xor_b32_e32 v0, 0x7fffffff, v38
	v_lshrrev_b32_e32 v0, s85, v0
	v_and_b32_e32 v0, s94, v0
	v_lshl_or_b32 v0, v0, 4, v86
	ds_add_u32 v0, v87
	s_or_b64 exec, exec, s[16:17]
	v_cmp_lt_u32_e32 vcc, v10, v45
	s_and_saveexec_b64 s[16:17], vcc
	s_cbranch_execnz .LBB500_931
.LBB500_946:                            ;   in Loop: Header=BB500_900 Depth=2
	s_or_b64 exec, exec, s[16:17]
	v_cmp_lt_u32_e32 vcc, v12, v45
	s_and_saveexec_b64 s[16:17], vcc
	s_cbranch_execz .LBB500_932
.LBB500_947:                            ;   in Loop: Header=BB500_900 Depth=2
	v_xor_b32_e32 v0, 0x7fffffff, v36
	v_lshrrev_b32_e32 v0, s85, v0
	v_and_b32_e32 v0, s94, v0
	v_lshl_or_b32 v0, v0, 4, v86
	ds_add_u32 v0, v87
	s_or_b64 exec, exec, s[16:17]
	v_cmp_lt_u32_e32 vcc, v14, v45
	s_and_saveexec_b64 s[16:17], vcc
	s_cbranch_execnz .LBB500_933
.LBB500_948:                            ;   in Loop: Header=BB500_900 Depth=2
	s_or_b64 exec, exec, s[16:17]
	v_cmp_lt_u32_e32 vcc, v16, v45
	s_and_saveexec_b64 s[16:17], vcc
	s_cbranch_execz .LBB500_934
.LBB500_949:                            ;   in Loop: Header=BB500_900 Depth=2
	v_xor_b32_e32 v0, 0x7fffffff, v34
	v_lshrrev_b32_e32 v0, s85, v0
	v_and_b32_e32 v0, s94, v0
	v_lshl_or_b32 v0, v0, 4, v86
	ds_add_u32 v0, v87
	s_or_b64 exec, exec, s[16:17]
	v_cmp_lt_u32_e32 vcc, v18, v45
	s_and_saveexec_b64 s[16:17], vcc
	s_cbranch_execnz .LBB500_935
.LBB500_950:                            ;   in Loop: Header=BB500_900 Depth=2
	s_or_b64 exec, exec, s[16:17]
	v_cmp_lt_u32_e32 vcc, v20, v45
	s_and_saveexec_b64 s[16:17], vcc
	s_cbranch_execz .LBB500_936
.LBB500_951:                            ;   in Loop: Header=BB500_900 Depth=2
	v_xor_b32_e32 v0, 0x7fffffff, v32
	v_lshrrev_b32_e32 v0, s85, v0
	v_and_b32_e32 v0, s94, v0
	v_lshl_or_b32 v0, v0, 4, v86
	ds_add_u32 v0, v87
	s_or_b64 exec, exec, s[16:17]
	v_cmp_lt_u32_e32 vcc, v22, v45
	s_and_saveexec_b64 s[16:17], vcc
	s_cbranch_execnz .LBB500_937
.LBB500_952:                            ;   in Loop: Header=BB500_900 Depth=2
	s_or_b64 exec, exec, s[16:17]
	v_cmp_lt_u32_e32 vcc, v24, v45
	s_and_saveexec_b64 s[16:17], vcc
	s_cbranch_execz .LBB500_938
.LBB500_953:                            ;   in Loop: Header=BB500_900 Depth=2
	v_xor_b32_e32 v0, 0x7fffffff, v30
	v_lshrrev_b32_e32 v0, s85, v0
	v_and_b32_e32 v0, s94, v0
	v_lshl_or_b32 v0, v0, 4, v86
	ds_add_u32 v0, v87
	s_or_b64 exec, exec, s[16:17]
	v_cmp_lt_u32_e32 vcc, v26, v45
	s_and_saveexec_b64 s[16:17], vcc
	s_cbranch_execnz .LBB500_939
.LBB500_954:                            ;   in Loop: Header=BB500_900 Depth=2
	s_or_b64 exec, exec, s[16:17]
	v_cmp_lt_u32_e32 vcc, v28, v45
	s_and_saveexec_b64 s[16:17], vcc
	s_cbranch_execz .LBB500_899
.LBB500_955:                            ;   in Loop: Header=BB500_900 Depth=2
	s_waitcnt vmcnt(0)
	v_xor_b32_e32 v0, 0x7fffffff, v44
	v_lshrrev_b32_e32 v0, s85, v0
	v_and_b32_e32 v0, s94, v0
	v_lshl_or_b32 v0, v0, 4, v86
	ds_add_u32 v0, v87
	s_branch .LBB500_899
.LBB500_956:                            ;   in Loop: Header=BB500_900 Depth=2
	s_or_b64 exec, exec, s[20:21]
	v_cmp_gt_u32_e32 vcc, s22, v7
	s_and_saveexec_b64 s[20:21], vcc
	s_cbranch_execz .LBB500_906
.LBB500_957:                            ;   in Loop: Header=BB500_900 Depth=2
	global_load_dword v42, v88, s[18:19] offset:1024
	s_or_b64 exec, exec, s[20:21]
	v_cmp_gt_u32_e32 vcc, s22, v9
	s_and_saveexec_b64 s[20:21], vcc
	s_cbranch_execnz .LBB500_907
.LBB500_958:                            ;   in Loop: Header=BB500_900 Depth=2
	s_or_b64 exec, exec, s[20:21]
	v_cmp_gt_u32_e32 vcc, s22, v11
	s_and_saveexec_b64 s[20:21], vcc
	s_cbranch_execz .LBB500_908
.LBB500_959:                            ;   in Loop: Header=BB500_900 Depth=2
	global_load_dword v40, v88, s[18:19] offset:3072
	s_or_b64 exec, exec, s[20:21]
	v_cmp_gt_u32_e32 vcc, s22, v6
	s_and_saveexec_b64 s[20:21], vcc
	s_cbranch_execnz .LBB500_909
.LBB500_960:                            ;   in Loop: Header=BB500_900 Depth=2
	s_or_b64 exec, exec, s[20:21]
	v_cmp_gt_u32_e32 vcc, s22, v8
	s_and_saveexec_b64 s[20:21], vcc
	s_cbranch_execz .LBB500_910
.LBB500_961:                            ;   in Loop: Header=BB500_900 Depth=2
	global_load_dword v38, v90, s[18:19]
	s_or_b64 exec, exec, s[20:21]
	v_cmp_gt_u32_e32 vcc, s22, v10
	s_and_saveexec_b64 s[20:21], vcc
	s_cbranch_execnz .LBB500_911
.LBB500_962:                            ;   in Loop: Header=BB500_900 Depth=2
	s_or_b64 exec, exec, s[20:21]
	v_cmp_gt_u32_e32 vcc, s22, v12
	s_and_saveexec_b64 s[20:21], vcc
	s_cbranch_execz .LBB500_912
.LBB500_963:                            ;   in Loop: Header=BB500_900 Depth=2
	global_load_dword v36, v92, s[18:19]
	s_or_b64 exec, exec, s[20:21]
	v_cmp_gt_u32_e32 vcc, s22, v14
	s_and_saveexec_b64 s[20:21], vcc
	s_cbranch_execnz .LBB500_913
.LBB500_964:                            ;   in Loop: Header=BB500_900 Depth=2
	s_or_b64 exec, exec, s[20:21]
	v_cmp_gt_u32_e32 vcc, s22, v16
	s_and_saveexec_b64 s[20:21], vcc
	s_cbranch_execz .LBB500_914
.LBB500_965:                            ;   in Loop: Header=BB500_900 Depth=2
	global_load_dword v34, v94, s[18:19]
	s_or_b64 exec, exec, s[20:21]
	v_cmp_gt_u32_e32 vcc, s22, v18
	s_and_saveexec_b64 s[20:21], vcc
	s_cbranch_execnz .LBB500_915
.LBB500_966:                            ;   in Loop: Header=BB500_900 Depth=2
	s_or_b64 exec, exec, s[20:21]
	v_cmp_gt_u32_e32 vcc, s22, v20
	s_and_saveexec_b64 s[20:21], vcc
	s_cbranch_execz .LBB500_916
.LBB500_967:                            ;   in Loop: Header=BB500_900 Depth=2
	global_load_dword v32, v96, s[18:19]
	s_or_b64 exec, exec, s[20:21]
	v_cmp_gt_u32_e32 vcc, s22, v22
	s_and_saveexec_b64 s[20:21], vcc
	s_cbranch_execnz .LBB500_917
.LBB500_968:                            ;   in Loop: Header=BB500_900 Depth=2
	s_or_b64 exec, exec, s[20:21]
	v_cmp_gt_u32_e32 vcc, s22, v24
	s_and_saveexec_b64 s[20:21], vcc
	s_cbranch_execz .LBB500_918
.LBB500_969:                            ;   in Loop: Header=BB500_900 Depth=2
	global_load_dword v30, v98, s[18:19]
	s_or_b64 exec, exec, s[20:21]
	v_cmp_gt_u32_e32 vcc, s22, v26
	s_and_saveexec_b64 s[20:21], vcc
	s_cbranch_execz .LBB500_920
	s_branch .LBB500_919
.LBB500_970:                            ;   in Loop: Header=BB500_12 Depth=1
	v_mov_b32_e32 v0, 0
	s_waitcnt lgkmcnt(0)
	s_barrier
	s_and_saveexec_b64 s[16:17], s[4:5]
	s_cbranch_execz .LBB500_972
; %bb.971:                              ;   in Loop: Header=BB500_12 Depth=1
	ds_read2_b64 v[30:33], v17 offset1:1
	s_waitcnt lgkmcnt(0)
	v_add_u32_e32 v0, v31, v30
	v_add3_u32 v0, v0, v32, v33
.LBB500_972:                            ;   in Loop: Header=BB500_12 Depth=1
	s_or_b64 exec, exec, s[16:17]
	s_nop 0
	v_mov_b32_dpp v1, v0 row_shr:1 row_mask:0xf bank_mask:0xf
	v_cmp_eq_u32_e64 s[16:17], 0, v102
	v_cndmask_b32_e64 v1, v1, 0, s[16:17]
	v_add_u32_e32 v0, v1, v0
	v_cmp_lt_u32_e64 s[18:19], 1, v102
	v_cmp_lt_u32_e64 s[20:21], 3, v102
	v_mov_b32_dpp v1, v0 row_shr:2 row_mask:0xf bank_mask:0xf
	v_cndmask_b32_e64 v1, 0, v1, s[18:19]
	v_add_u32_e32 v0, v0, v1
	v_cmp_lt_u32_e64 s[22:23], 7, v102
	v_cmp_lt_u32_e64 s[26:27], 31, v101
	v_mov_b32_dpp v1, v0 row_shr:4 row_mask:0xf bank_mask:0xf
	v_cndmask_b32_e64 v1, 0, v1, s[20:21]
	v_add_u32_e32 v0, v0, v1
	v_cmp_eq_u32_e64 s[24:25], 0, v104
	s_nop 0
	v_mov_b32_dpp v1, v0 row_shr:8 row_mask:0xf bank_mask:0xf
	v_cndmask_b32_e64 v1, 0, v1, s[22:23]
	v_add_u32_e32 v0, v0, v1
	s_nop 1
	v_mov_b32_dpp v1, v0 row_bcast:15 row_mask:0xf bank_mask:0xf
	v_and_b32_e32 v1, v103, v1
	v_add_u32_e32 v0, v0, v1
	s_nop 1
	v_mov_b32_dpp v1, v0 row_bcast:31 row_mask:0xf bank_mask:0xf
	v_cndmask_b32_e64 v1, 0, v1, s[26:27]
	v_add_u32_e32 v0, v0, v1
	s_and_saveexec_b64 s[28:29], s[6:7]
	s_cbranch_execz .LBB500_974
; %bb.973:                              ;   in Loop: Header=BB500_12 Depth=1
	ds_write_b32 v21, v0
.LBB500_974:                            ;   in Loop: Header=BB500_12 Depth=1
	s_or_b64 exec, exec, s[28:29]
	s_waitcnt lgkmcnt(0)
	s_barrier
	s_and_saveexec_b64 s[28:29], s[8:9]
	s_cbranch_execz .LBB500_976
; %bb.975:                              ;   in Loop: Header=BB500_12 Depth=1
	ds_read_b32 v1, v23
	v_cmp_ne_u32_e32 vcc, 0, v105
	s_waitcnt lgkmcnt(0)
	v_mov_b32_dpp v5, v1 row_shr:1 row_mask:0xf bank_mask:0xf
	v_cndmask_b32_e32 v5, 0, v5, vcc
	v_add_u32_e32 v1, v5, v1
	v_cmp_lt_u32_e32 vcc, 1, v105
	s_nop 0
	v_mov_b32_dpp v5, v1 row_shr:2 row_mask:0xf bank_mask:0xf
	v_cndmask_b32_e32 v5, 0, v5, vcc
	v_add_u32_e32 v1, v1, v5
	ds_write_b32 v23, v1
.LBB500_976:                            ;   in Loop: Header=BB500_12 Depth=1
	s_or_b64 exec, exec, s[28:29]
	v_mov_b32_e32 v1, 0
	s_waitcnt lgkmcnt(0)
	s_barrier
	s_and_saveexec_b64 s[28:29], s[10:11]
	s_cbranch_execz .LBB500_978
; %bb.977:                              ;   in Loop: Header=BB500_12 Depth=1
	ds_read_b32 v1, v25
.LBB500_978:                            ;   in Loop: Header=BB500_12 Depth=1
	s_or_b64 exec, exec, s[28:29]
	v_cmp_lt_i32_e32 vcc, v106, v107
	v_cndmask_b32_e32 v5, v106, v101, vcc
	s_waitcnt lgkmcnt(0)
	v_add_u32_e32 v0, v1, v0
	v_lshlrev_b32_e32 v127, 2, v5
	ds_bpermute_b32 v0, v127, v0
	v_cmp_eq_u32_e64 s[28:29], 0, v101
	s_waitcnt lgkmcnt(0)
	s_barrier
	s_and_saveexec_b64 s[30:31], s[4:5]
	s_cbranch_execz .LBB500_980
; %bb.979:                              ;   in Loop: Header=BB500_12 Depth=1
	v_cndmask_b32_e64 v0, v0, v1, s[28:29]
	v_add_u32_e32 v0, s69, v0
	ds_write_b32 v3, v0
.LBB500_980:                            ;   in Loop: Header=BB500_12 Depth=1
	s_or_b64 exec, exec, s[30:31]
	s_load_dwordx2 s[30:31], s[90:91], 0x0
	v_add_co_u32_e32 v128, vcc, v82, v108
	v_addc_co_u32_e32 v129, vcc, 0, v83, vcc
	s_waitcnt lgkmcnt(0)
	s_cmp_lt_u32 s68, s30
	s_cselect_b32 s34, 12, 18
	s_cmp_lt_u32 s33, s31
	s_cselect_b32 s30, 14, 20
	s_add_u32 s30, s90, s30
	s_addc_u32 s31, s91, 0
	s_add_u32 s34, s90, s34
	global_load_ushort v5, v4, s[30:31]
	s_addc_u32 s35, s91, 0
	global_load_ushort v60, v4, s[34:35]
	v_add_co_u32_e32 v130, vcc, v84, v125
	v_addc_co_u32_e32 v131, vcc, 0, v85, vcc
	v_add_co_u32_e32 v145, vcc, 0xf00, v130
	v_cmp_eq_u32_e64 s[30:31], 0, v105
	v_cmp_lt_u32_e64 s[34:35], 1, v105
	s_mov_b32 s95, s87
	v_addc_co_u32_e32 v148, vcc, 0, v131, vcc
	s_mov_b32 s88, s69
                                        ; implicit-def: $vgpr0_vgpr1
                                        ; implicit-def: $vgpr30_vgpr31
                                        ; implicit-def: $vgpr32_vgpr33
                                        ; implicit-def: $vgpr36_vgpr37
                                        ; implicit-def: $vgpr40_vgpr41
                                        ; implicit-def: $vgpr44_vgpr45
                                        ; implicit-def: $vgpr48_vgpr49
                                        ; implicit-def: $vgpr52_vgpr53
                                        ; implicit-def: $vgpr34_vgpr35
                                        ; implicit-def: $vgpr38_vgpr39
                                        ; implicit-def: $vgpr42_vgpr43
                                        ; implicit-def: $vgpr46_vgpr47
                                        ; implicit-def: $vgpr50_vgpr51
                                        ; implicit-def: $vgpr54_vgpr55
                                        ; implicit-def: $vgpr56_vgpr57
                                        ; implicit-def: $vgpr58_vgpr59
                                        ; implicit-def: $vgpr132
                                        ; implicit-def: $vgpr133
                                        ; implicit-def: $vgpr134
                                        ; implicit-def: $vgpr135
                                        ; implicit-def: $vgpr136
                                        ; implicit-def: $vgpr137
                                        ; implicit-def: $vgpr138
                                        ; implicit-def: $vgpr139
                                        ; implicit-def: $vgpr140
                                        ; implicit-def: $vgpr141
                                        ; implicit-def: $vgpr142
                                        ; implicit-def: $vgpr143
                                        ; implicit-def: $vgpr144
                                        ; implicit-def: $vgpr146
                                        ; implicit-def: $vgpr147
                                        ; implicit-def: $vgpr149
	s_waitcnt vmcnt(1)
	v_mad_u32_u24 v5, v27, v5, v29
	s_waitcnt vmcnt(0)
	v_mad_u64_u32 v[60:61], s[36:37], v5, v60, v[2:3]
	v_lshrrev_b32_e32 v150, 6, v60
	s_branch .LBB500_982
.LBB500_981:                            ;   in Loop: Header=BB500_982 Depth=2
	s_or_b64 exec, exec, s[36:37]
	s_addk_i32 s95, 0xf000
	s_cmp_lt_u32 s96, s92
	s_mov_b32 s88, s96
	s_cbranch_scc0 .LBB500_10
.LBB500_982:                            ;   Parent Loop BB500_12 Depth=1
                                        ; =>  This Inner Loop Header: Depth=2
	s_add_i32 s96, s88, 0x1000
	s_cmp_gt_u32 s96, s92
	s_cbranch_scc1 .LBB500_985
; %bb.983:                              ;   in Loop: Header=BB500_982 Depth=2
	s_lshl_b64 s[36:37], s[88:89], 2
	v_mov_b32_e32 v5, s37
	v_add_co_u32_e32 v60, vcc, s36, v130
	v_addc_co_u32_e32 v61, vcc, v131, v5, vcc
	global_load_dword v5, v[60:61], off
	global_load_dword v154, v[60:61], off offset:256
	global_load_dword v159, v[60:61], off offset:512
	;; [unrolled: 1-line block ×14, first 2 shown]
	s_mov_b64 s[36:37], -1
	s_movk_i32 s40, 0x1000
	s_cbranch_execz .LBB500_986
; %bb.984:                              ;   in Loop: Header=BB500_982 Depth=2
                                        ; implicit-def: $sgpr38
	v_mov_b32_e32 v63, s38
	v_mov_b32_e32 v151, s95
	s_and_saveexec_b64 s[38:39], s[36:37]
	s_cbranch_execnz .LBB500_1017
	s_branch .LBB500_1018
.LBB500_985:                            ;   in Loop: Header=BB500_982 Depth=2
	s_mov_b64 s[36:37], 0
                                        ; implicit-def: $sgpr40
                                        ; implicit-def: $vgpr5
                                        ; implicit-def: $vgpr154
                                        ; implicit-def: $vgpr159
                                        ; implicit-def: $vgpr164
                                        ; implicit-def: $vgpr169
                                        ; implicit-def: $vgpr174
                                        ; implicit-def: $vgpr179
                                        ; implicit-def: $vgpr184
                                        ; implicit-def: $vgpr182
                                        ; implicit-def: $vgpr177
                                        ; implicit-def: $vgpr173
                                        ; implicit-def: $vgpr168
                                        ; implicit-def: $vgpr163
                                        ; implicit-def: $vgpr158
                                        ; implicit-def: $vgpr62
.LBB500_986:                            ;   in Loop: Header=BB500_982 Depth=2
	s_lshl_b64 s[36:37], s[88:89], 2
	s_waitcnt vmcnt(14)
	v_mov_b32_e32 v5, s37
	v_add_co_u32_e32 v60, vcc, s36, v130
	v_addc_co_u32_e32 v61, vcc, v131, v5, vcc
	v_cmp_gt_u32_e32 vcc, s95, v109
	s_waitcnt vmcnt(13)
	v_bfrev_b32_e32 v154, 1
	v_bfrev_b32_e32 v5, 1
	s_and_saveexec_b64 s[36:37], vcc
	s_cbranch_execz .LBB500_988
; %bb.987:                              ;   in Loop: Header=BB500_982 Depth=2
	global_load_dword v5, v[60:61], off
.LBB500_988:                            ;   in Loop: Header=BB500_982 Depth=2
	s_or_b64 exec, exec, s[36:37]
	v_cmp_gt_u32_e32 vcc, s95, v110
	s_and_saveexec_b64 s[36:37], vcc
	s_cbranch_execz .LBB500_990
; %bb.989:                              ;   in Loop: Header=BB500_982 Depth=2
	global_load_dword v154, v[60:61], off offset:256
.LBB500_990:                            ;   in Loop: Header=BB500_982 Depth=2
	s_or_b64 exec, exec, s[36:37]
	v_cmp_gt_u32_e32 vcc, s95, v111
	s_waitcnt vmcnt(11)
	v_bfrev_b32_e32 v164, 1
	v_bfrev_b32_e32 v159, 1
	s_and_saveexec_b64 s[36:37], vcc
	s_cbranch_execz .LBB500_992
; %bb.991:                              ;   in Loop: Header=BB500_982 Depth=2
	global_load_dword v159, v[60:61], off offset:512
.LBB500_992:                            ;   in Loop: Header=BB500_982 Depth=2
	s_or_b64 exec, exec, s[36:37]
	v_cmp_gt_u32_e32 vcc, s95, v112
	s_and_saveexec_b64 s[36:37], vcc
	s_cbranch_execz .LBB500_994
; %bb.993:                              ;   in Loop: Header=BB500_982 Depth=2
	global_load_dword v164, v[60:61], off offset:768
.LBB500_994:                            ;   in Loop: Header=BB500_982 Depth=2
	s_or_b64 exec, exec, s[36:37]
	v_cmp_gt_u32_e32 vcc, s95, v113
	s_waitcnt vmcnt(9)
	v_bfrev_b32_e32 v174, 1
	v_bfrev_b32_e32 v169, 1
	s_and_saveexec_b64 s[36:37], vcc
	s_cbranch_execz .LBB500_996
; %bb.995:                              ;   in Loop: Header=BB500_982 Depth=2
	global_load_dword v169, v[60:61], off offset:1024
.LBB500_996:                            ;   in Loop: Header=BB500_982 Depth=2
	s_or_b64 exec, exec, s[36:37]
	v_cmp_gt_u32_e32 vcc, s95, v114
	s_and_saveexec_b64 s[36:37], vcc
	s_cbranch_execz .LBB500_998
; %bb.997:                              ;   in Loop: Header=BB500_982 Depth=2
	global_load_dword v174, v[60:61], off offset:1280
.LBB500_998:                            ;   in Loop: Header=BB500_982 Depth=2
	s_or_b64 exec, exec, s[36:37]
	v_cmp_gt_u32_e32 vcc, s95, v115
	s_waitcnt vmcnt(7)
	v_bfrev_b32_e32 v184, 1
	v_bfrev_b32_e32 v179, 1
	s_and_saveexec_b64 s[36:37], vcc
	s_cbranch_execz .LBB500_1000
; %bb.999:                              ;   in Loop: Header=BB500_982 Depth=2
	global_load_dword v179, v[60:61], off offset:1536
.LBB500_1000:                           ;   in Loop: Header=BB500_982 Depth=2
	s_or_b64 exec, exec, s[36:37]
	v_cmp_gt_u32_e32 vcc, s95, v116
	s_and_saveexec_b64 s[36:37], vcc
	s_cbranch_execz .LBB500_1002
; %bb.1001:                             ;   in Loop: Header=BB500_982 Depth=2
	global_load_dword v184, v[60:61], off offset:1792
.LBB500_1002:                           ;   in Loop: Header=BB500_982 Depth=2
	s_or_b64 exec, exec, s[36:37]
	v_cmp_gt_u32_e32 vcc, s95, v117
	s_waitcnt vmcnt(5)
	v_bfrev_b32_e32 v177, 1
	v_bfrev_b32_e32 v182, 1
	s_and_saveexec_b64 s[36:37], vcc
	s_cbranch_execz .LBB500_1004
; %bb.1003:                             ;   in Loop: Header=BB500_982 Depth=2
	global_load_dword v182, v[60:61], off offset:2048
.LBB500_1004:                           ;   in Loop: Header=BB500_982 Depth=2
	s_or_b64 exec, exec, s[36:37]
	v_cmp_gt_u32_e32 vcc, s95, v118
	s_and_saveexec_b64 s[36:37], vcc
	s_cbranch_execz .LBB500_1006
; %bb.1005:                             ;   in Loop: Header=BB500_982 Depth=2
	global_load_dword v177, v[60:61], off offset:2304
.LBB500_1006:                           ;   in Loop: Header=BB500_982 Depth=2
	s_or_b64 exec, exec, s[36:37]
	v_cmp_gt_u32_e32 vcc, s95, v119
	s_waitcnt vmcnt(3)
	v_bfrev_b32_e32 v168, 1
	v_bfrev_b32_e32 v173, 1
	s_and_saveexec_b64 s[36:37], vcc
	s_cbranch_execz .LBB500_1008
; %bb.1007:                             ;   in Loop: Header=BB500_982 Depth=2
	global_load_dword v173, v[60:61], off offset:2560
.LBB500_1008:                           ;   in Loop: Header=BB500_982 Depth=2
	;; [unrolled: 17-line block ×3, first 2 shown]
	s_or_b64 exec, exec, s[36:37]
	v_cmp_gt_u32_e32 vcc, s95, v122
	s_and_saveexec_b64 s[36:37], vcc
	s_cbranch_execz .LBB500_1014
; %bb.1013:                             ;   in Loop: Header=BB500_982 Depth=2
	global_load_dword v158, v[60:61], off offset:3328
.LBB500_1014:                           ;   in Loop: Header=BB500_982 Depth=2
	s_or_b64 exec, exec, s[36:37]
	v_cmp_gt_u32_e32 vcc, s95, v123
	s_waitcnt vmcnt(0)
	v_bfrev_b32_e32 v62, 1
	s_and_saveexec_b64 s[36:37], vcc
	s_cbranch_execz .LBB500_1016
; %bb.1015:                             ;   in Loop: Header=BB500_982 Depth=2
	global_load_dword v62, v[60:61], off offset:3584
.LBB500_1016:                           ;   in Loop: Header=BB500_982 Depth=2
	s_or_b64 exec, exec, s[36:37]
	s_sub_i32 s40, s92, s88
	v_cmp_gt_u32_e64 s[36:37], s95, v124
	s_brev_b32 s38, 1
	v_mov_b32_e32 v63, s38
	v_mov_b32_e32 v151, s95
	s_and_saveexec_b64 s[38:39], s[36:37]
	s_cbranch_execz .LBB500_1018
.LBB500_1017:                           ;   in Loop: Header=BB500_982 Depth=2
	s_lshl_b64 s[36:37], s[88:89], 2
	v_mov_b32_e32 v61, s37
	v_add_co_u32_e32 v60, vcc, s36, v145
	v_addc_co_u32_e32 v61, vcc, v148, v61, vcc
	global_load_dword v63, v[60:61], off
	v_mov_b32_e32 v151, s40
.LBB500_1018:                           ;   in Loop: Header=BB500_982 Depth=2
	s_or_b64 exec, exec, s[38:39]
	s_waitcnt vmcnt(14)
	v_xor_b32_e32 v152, 0x7fffffff, v5
	v_lshrrev_b32_e32 v5, s85, v152
	v_and_b32_e32 v60, s94, v5
	v_mad_u32_u24 v5, v60, 5, v150
	v_lshl_add_u32 v153, v5, 2, v65
	v_and_b32_e32 v5, 1, v60
	v_add_co_u32_e32 v61, vcc, -1, v5
	v_addc_co_u32_e64 v155, s[36:37], 0, -1, vcc
	v_cmp_ne_u32_e32 vcc, 0, v5
	v_xor_b32_e32 v5, vcc_hi, v155
	v_and_b32_e32 v155, exec_hi, v5
	v_lshlrev_b32_e32 v5, 30, v60
	v_xor_b32_e32 v61, vcc_lo, v61
	v_cmp_gt_i64_e32 vcc, 0, v[4:5]
	v_not_b32_e32 v5, v5
	v_ashrrev_i32_e32 v5, 31, v5
	v_and_b32_e32 v61, exec_lo, v61
	v_xor_b32_e32 v156, vcc_hi, v5
	v_xor_b32_e32 v5, vcc_lo, v5
	v_and_b32_e32 v61, v61, v5
	v_lshlrev_b32_e32 v5, 29, v60
	v_cmp_gt_i64_e32 vcc, 0, v[4:5]
	v_not_b32_e32 v5, v5
	v_ashrrev_i32_e32 v5, 31, v5
	v_and_b32_e32 v155, v155, v156
	v_xor_b32_e32 v156, vcc_hi, v5
	v_xor_b32_e32 v5, vcc_lo, v5
	v_and_b32_e32 v61, v61, v5
	v_lshlrev_b32_e32 v5, 28, v60
	v_cmp_gt_i64_e32 vcc, 0, v[4:5]
	v_not_b32_e32 v5, v5
	v_ashrrev_i32_e32 v5, 31, v5
	v_and_b32_e32 v155, v155, v156
	;; [unrolled: 8-line block ×5, first 2 shown]
	v_xor_b32_e32 v156, vcc_hi, v5
	v_xor_b32_e32 v5, vcc_lo, v5
	v_and_b32_e32 v155, v155, v156
	v_and_b32_e32 v156, v61, v5
	v_lshlrev_b32_e32 v5, 24, v60
	v_cmp_gt_i64_e32 vcc, 0, v[4:5]
	v_not_b32_e32 v5, v5
	v_ashrrev_i32_e32 v5, 31, v5
	v_xor_b32_e32 v60, vcc_hi, v5
	v_xor_b32_e32 v5, vcc_lo, v5
	v_and_b32_e32 v61, v155, v60
	v_and_b32_e32 v60, v156, v5
	v_mbcnt_lo_u32_b32 v5, v60, 0
	v_mbcnt_hi_u32_b32 v155, v61, v5
	v_cmp_eq_u32_e32 vcc, 0, v155
	v_cmp_ne_u64_e64 s[36:37], 0, v[60:61]
	s_and_b64 s[38:39], s[36:37], vcc
	ds_write2_b32 v126, v4, v4 offset1:1
	ds_write2_b32 v66, v4, v4 offset0:2 offset1:3
	ds_write_b32 v66, v4 offset:16
	s_waitcnt lgkmcnt(0)
	s_barrier
	s_waitcnt lgkmcnt(0)
	; wave barrier
	s_and_saveexec_b64 s[36:37], s[38:39]
	s_cbranch_execz .LBB500_1020
; %bb.1019:                             ;   in Loop: Header=BB500_982 Depth=2
	v_bcnt_u32_b32 v5, v60, 0
	v_bcnt_u32_b32 v5, v61, v5
	ds_write_b32 v153, v5
.LBB500_1020:                           ;   in Loop: Header=BB500_982 Depth=2
	s_or_b64 exec, exec, s[36:37]
	s_waitcnt vmcnt(13)
	v_xor_b32_e32 v154, 0x7fffffff, v154
	v_lshrrev_b32_e32 v5, s85, v154
	v_and_b32_e32 v60, s94, v5
	v_mul_u32_u24_e32 v5, 5, v60
	v_add_lshl_u32 v5, v5, v150, 2
	; wave barrier
	v_add_u32_e32 v157, 0x410, v5
	ds_read_b32 v156, v5 offset:1040
	v_and_b32_e32 v5, 1, v60
	v_add_co_u32_e32 v61, vcc, -1, v5
	v_addc_co_u32_e64 v160, s[36:37], 0, -1, vcc
	v_cmp_ne_u32_e32 vcc, 0, v5
	v_xor_b32_e32 v5, vcc_hi, v160
	v_and_b32_e32 v160, exec_hi, v5
	v_lshlrev_b32_e32 v5, 30, v60
	v_xor_b32_e32 v61, vcc_lo, v61
	v_cmp_gt_i64_e32 vcc, 0, v[4:5]
	v_not_b32_e32 v5, v5
	v_ashrrev_i32_e32 v5, 31, v5
	v_and_b32_e32 v61, exec_lo, v61
	v_xor_b32_e32 v161, vcc_hi, v5
	v_xor_b32_e32 v5, vcc_lo, v5
	v_and_b32_e32 v61, v61, v5
	v_lshlrev_b32_e32 v5, 29, v60
	v_cmp_gt_i64_e32 vcc, 0, v[4:5]
	v_not_b32_e32 v5, v5
	v_ashrrev_i32_e32 v5, 31, v5
	v_and_b32_e32 v160, v160, v161
	v_xor_b32_e32 v161, vcc_hi, v5
	v_xor_b32_e32 v5, vcc_lo, v5
	v_and_b32_e32 v61, v61, v5
	v_lshlrev_b32_e32 v5, 28, v60
	v_cmp_gt_i64_e32 vcc, 0, v[4:5]
	v_not_b32_e32 v5, v5
	v_ashrrev_i32_e32 v5, 31, v5
	v_and_b32_e32 v160, v160, v161
	;; [unrolled: 8-line block ×5, first 2 shown]
	v_xor_b32_e32 v161, vcc_hi, v5
	v_xor_b32_e32 v5, vcc_lo, v5
	v_and_b32_e32 v160, v160, v161
	v_and_b32_e32 v161, v61, v5
	v_lshlrev_b32_e32 v5, 24, v60
	v_cmp_gt_i64_e32 vcc, 0, v[4:5]
	v_not_b32_e32 v5, v5
	v_ashrrev_i32_e32 v5, 31, v5
	v_xor_b32_e32 v60, vcc_hi, v5
	v_xor_b32_e32 v5, vcc_lo, v5
	v_and_b32_e32 v61, v160, v60
	v_and_b32_e32 v60, v161, v5
	v_mbcnt_lo_u32_b32 v5, v60, 0
	v_mbcnt_hi_u32_b32 v160, v61, v5
	v_cmp_eq_u32_e32 vcc, 0, v160
	v_cmp_ne_u64_e64 s[36:37], 0, v[60:61]
	s_and_b64 s[38:39], s[36:37], vcc
	; wave barrier
	s_and_saveexec_b64 s[36:37], s[38:39]
	s_cbranch_execz .LBB500_1022
; %bb.1021:                             ;   in Loop: Header=BB500_982 Depth=2
	v_bcnt_u32_b32 v5, v60, 0
	v_bcnt_u32_b32 v5, v61, v5
	s_waitcnt lgkmcnt(0)
	v_add_u32_e32 v5, v156, v5
	ds_write_b32 v157, v5
.LBB500_1022:                           ;   in Loop: Header=BB500_982 Depth=2
	s_or_b64 exec, exec, s[36:37]
	s_waitcnt vmcnt(12)
	v_xor_b32_e32 v159, 0x7fffffff, v159
	v_lshrrev_b32_e32 v5, s85, v159
	v_and_b32_e32 v60, s94, v5
	v_mul_u32_u24_e32 v5, 5, v60
	v_add_lshl_u32 v5, v5, v150, 2
	; wave barrier
	v_add_u32_e32 v162, 0x410, v5
	ds_read_b32 v161, v5 offset:1040
	v_and_b32_e32 v5, 1, v60
	v_add_co_u32_e32 v61, vcc, -1, v5
	v_addc_co_u32_e64 v165, s[36:37], 0, -1, vcc
	v_cmp_ne_u32_e32 vcc, 0, v5
	v_xor_b32_e32 v5, vcc_hi, v165
	v_and_b32_e32 v165, exec_hi, v5
	v_lshlrev_b32_e32 v5, 30, v60
	v_xor_b32_e32 v61, vcc_lo, v61
	v_cmp_gt_i64_e32 vcc, 0, v[4:5]
	v_not_b32_e32 v5, v5
	v_ashrrev_i32_e32 v5, 31, v5
	v_and_b32_e32 v61, exec_lo, v61
	v_xor_b32_e32 v166, vcc_hi, v5
	v_xor_b32_e32 v5, vcc_lo, v5
	v_and_b32_e32 v61, v61, v5
	v_lshlrev_b32_e32 v5, 29, v60
	v_cmp_gt_i64_e32 vcc, 0, v[4:5]
	v_not_b32_e32 v5, v5
	v_ashrrev_i32_e32 v5, 31, v5
	v_and_b32_e32 v165, v165, v166
	v_xor_b32_e32 v166, vcc_hi, v5
	v_xor_b32_e32 v5, vcc_lo, v5
	v_and_b32_e32 v61, v61, v5
	v_lshlrev_b32_e32 v5, 28, v60
	v_cmp_gt_i64_e32 vcc, 0, v[4:5]
	v_not_b32_e32 v5, v5
	v_ashrrev_i32_e32 v5, 31, v5
	v_and_b32_e32 v165, v165, v166
	;; [unrolled: 8-line block ×5, first 2 shown]
	v_xor_b32_e32 v166, vcc_hi, v5
	v_xor_b32_e32 v5, vcc_lo, v5
	v_and_b32_e32 v165, v165, v166
	v_and_b32_e32 v166, v61, v5
	v_lshlrev_b32_e32 v5, 24, v60
	v_cmp_gt_i64_e32 vcc, 0, v[4:5]
	v_not_b32_e32 v5, v5
	v_ashrrev_i32_e32 v5, 31, v5
	v_xor_b32_e32 v60, vcc_hi, v5
	v_xor_b32_e32 v5, vcc_lo, v5
	v_and_b32_e32 v61, v165, v60
	v_and_b32_e32 v60, v166, v5
	v_mbcnt_lo_u32_b32 v5, v60, 0
	v_mbcnt_hi_u32_b32 v165, v61, v5
	v_cmp_eq_u32_e32 vcc, 0, v165
	v_cmp_ne_u64_e64 s[36:37], 0, v[60:61]
	s_and_b64 s[38:39], s[36:37], vcc
	; wave barrier
	s_and_saveexec_b64 s[36:37], s[38:39]
	s_cbranch_execz .LBB500_1024
; %bb.1023:                             ;   in Loop: Header=BB500_982 Depth=2
	v_bcnt_u32_b32 v5, v60, 0
	v_bcnt_u32_b32 v5, v61, v5
	s_waitcnt lgkmcnt(0)
	v_add_u32_e32 v5, v161, v5
	ds_write_b32 v162, v5
.LBB500_1024:                           ;   in Loop: Header=BB500_982 Depth=2
	s_or_b64 exec, exec, s[36:37]
	s_waitcnt vmcnt(11)
	v_xor_b32_e32 v164, 0x7fffffff, v164
	v_lshrrev_b32_e32 v5, s85, v164
	v_and_b32_e32 v60, s94, v5
	v_mul_u32_u24_e32 v5, 5, v60
	v_add_lshl_u32 v5, v5, v150, 2
	; wave barrier
	v_add_u32_e32 v167, 0x410, v5
	ds_read_b32 v166, v5 offset:1040
	v_and_b32_e32 v5, 1, v60
	v_add_co_u32_e32 v61, vcc, -1, v5
	v_addc_co_u32_e64 v170, s[36:37], 0, -1, vcc
	v_cmp_ne_u32_e32 vcc, 0, v5
	v_xor_b32_e32 v5, vcc_hi, v170
	v_and_b32_e32 v170, exec_hi, v5
	v_lshlrev_b32_e32 v5, 30, v60
	v_xor_b32_e32 v61, vcc_lo, v61
	v_cmp_gt_i64_e32 vcc, 0, v[4:5]
	v_not_b32_e32 v5, v5
	v_ashrrev_i32_e32 v5, 31, v5
	v_and_b32_e32 v61, exec_lo, v61
	v_xor_b32_e32 v171, vcc_hi, v5
	v_xor_b32_e32 v5, vcc_lo, v5
	v_and_b32_e32 v61, v61, v5
	v_lshlrev_b32_e32 v5, 29, v60
	v_cmp_gt_i64_e32 vcc, 0, v[4:5]
	v_not_b32_e32 v5, v5
	v_ashrrev_i32_e32 v5, 31, v5
	v_and_b32_e32 v170, v170, v171
	v_xor_b32_e32 v171, vcc_hi, v5
	v_xor_b32_e32 v5, vcc_lo, v5
	v_and_b32_e32 v61, v61, v5
	v_lshlrev_b32_e32 v5, 28, v60
	v_cmp_gt_i64_e32 vcc, 0, v[4:5]
	v_not_b32_e32 v5, v5
	v_ashrrev_i32_e32 v5, 31, v5
	v_and_b32_e32 v170, v170, v171
	;; [unrolled: 8-line block ×5, first 2 shown]
	v_xor_b32_e32 v171, vcc_hi, v5
	v_xor_b32_e32 v5, vcc_lo, v5
	v_and_b32_e32 v170, v170, v171
	v_and_b32_e32 v171, v61, v5
	v_lshlrev_b32_e32 v5, 24, v60
	v_cmp_gt_i64_e32 vcc, 0, v[4:5]
	v_not_b32_e32 v5, v5
	v_ashrrev_i32_e32 v5, 31, v5
	v_xor_b32_e32 v60, vcc_hi, v5
	v_xor_b32_e32 v5, vcc_lo, v5
	v_and_b32_e32 v61, v170, v60
	v_and_b32_e32 v60, v171, v5
	v_mbcnt_lo_u32_b32 v5, v60, 0
	v_mbcnt_hi_u32_b32 v170, v61, v5
	v_cmp_eq_u32_e32 vcc, 0, v170
	v_cmp_ne_u64_e64 s[36:37], 0, v[60:61]
	s_and_b64 s[38:39], s[36:37], vcc
	; wave barrier
	s_and_saveexec_b64 s[36:37], s[38:39]
	s_cbranch_execz .LBB500_1026
; %bb.1025:                             ;   in Loop: Header=BB500_982 Depth=2
	v_bcnt_u32_b32 v5, v60, 0
	v_bcnt_u32_b32 v5, v61, v5
	s_waitcnt lgkmcnt(0)
	v_add_u32_e32 v5, v166, v5
	ds_write_b32 v167, v5
.LBB500_1026:                           ;   in Loop: Header=BB500_982 Depth=2
	s_or_b64 exec, exec, s[36:37]
	s_waitcnt vmcnt(10)
	v_xor_b32_e32 v169, 0x7fffffff, v169
	v_lshrrev_b32_e32 v5, s85, v169
	v_and_b32_e32 v60, s94, v5
	v_mul_u32_u24_e32 v5, 5, v60
	v_add_lshl_u32 v5, v5, v150, 2
	; wave barrier
	v_add_u32_e32 v172, 0x410, v5
	ds_read_b32 v171, v5 offset:1040
	v_and_b32_e32 v5, 1, v60
	v_add_co_u32_e32 v61, vcc, -1, v5
	v_addc_co_u32_e64 v175, s[36:37], 0, -1, vcc
	v_cmp_ne_u32_e32 vcc, 0, v5
	v_xor_b32_e32 v5, vcc_hi, v175
	v_and_b32_e32 v175, exec_hi, v5
	v_lshlrev_b32_e32 v5, 30, v60
	v_xor_b32_e32 v61, vcc_lo, v61
	v_cmp_gt_i64_e32 vcc, 0, v[4:5]
	v_not_b32_e32 v5, v5
	v_ashrrev_i32_e32 v5, 31, v5
	v_and_b32_e32 v61, exec_lo, v61
	v_xor_b32_e32 v176, vcc_hi, v5
	v_xor_b32_e32 v5, vcc_lo, v5
	v_and_b32_e32 v61, v61, v5
	v_lshlrev_b32_e32 v5, 29, v60
	v_cmp_gt_i64_e32 vcc, 0, v[4:5]
	v_not_b32_e32 v5, v5
	v_ashrrev_i32_e32 v5, 31, v5
	v_and_b32_e32 v175, v175, v176
	v_xor_b32_e32 v176, vcc_hi, v5
	v_xor_b32_e32 v5, vcc_lo, v5
	v_and_b32_e32 v61, v61, v5
	v_lshlrev_b32_e32 v5, 28, v60
	v_cmp_gt_i64_e32 vcc, 0, v[4:5]
	v_not_b32_e32 v5, v5
	v_ashrrev_i32_e32 v5, 31, v5
	v_and_b32_e32 v175, v175, v176
	;; [unrolled: 8-line block ×5, first 2 shown]
	v_xor_b32_e32 v176, vcc_hi, v5
	v_xor_b32_e32 v5, vcc_lo, v5
	v_and_b32_e32 v175, v175, v176
	v_and_b32_e32 v176, v61, v5
	v_lshlrev_b32_e32 v5, 24, v60
	v_cmp_gt_i64_e32 vcc, 0, v[4:5]
	v_not_b32_e32 v5, v5
	v_ashrrev_i32_e32 v5, 31, v5
	v_xor_b32_e32 v60, vcc_hi, v5
	v_xor_b32_e32 v5, vcc_lo, v5
	v_and_b32_e32 v61, v175, v60
	v_and_b32_e32 v60, v176, v5
	v_mbcnt_lo_u32_b32 v5, v60, 0
	v_mbcnt_hi_u32_b32 v175, v61, v5
	v_cmp_eq_u32_e32 vcc, 0, v175
	v_cmp_ne_u64_e64 s[36:37], 0, v[60:61]
	s_and_b64 s[38:39], s[36:37], vcc
	; wave barrier
	s_and_saveexec_b64 s[36:37], s[38:39]
	s_cbranch_execz .LBB500_1028
; %bb.1027:                             ;   in Loop: Header=BB500_982 Depth=2
	v_bcnt_u32_b32 v5, v60, 0
	v_bcnt_u32_b32 v5, v61, v5
	s_waitcnt lgkmcnt(0)
	v_add_u32_e32 v5, v171, v5
	ds_write_b32 v172, v5
.LBB500_1028:                           ;   in Loop: Header=BB500_982 Depth=2
	s_or_b64 exec, exec, s[36:37]
	s_waitcnt vmcnt(9)
	v_xor_b32_e32 v174, 0x7fffffff, v174
	v_lshrrev_b32_e32 v5, s85, v174
	v_and_b32_e32 v60, s94, v5
	v_mul_u32_u24_e32 v5, 5, v60
	v_add_lshl_u32 v5, v5, v150, 2
	; wave barrier
	v_add_u32_e32 v178, 0x410, v5
	ds_read_b32 v176, v5 offset:1040
	v_and_b32_e32 v5, 1, v60
	v_add_co_u32_e32 v61, vcc, -1, v5
	v_addc_co_u32_e64 v180, s[36:37], 0, -1, vcc
	v_cmp_ne_u32_e32 vcc, 0, v5
	v_xor_b32_e32 v5, vcc_hi, v180
	v_and_b32_e32 v180, exec_hi, v5
	v_lshlrev_b32_e32 v5, 30, v60
	v_xor_b32_e32 v61, vcc_lo, v61
	v_cmp_gt_i64_e32 vcc, 0, v[4:5]
	v_not_b32_e32 v5, v5
	v_ashrrev_i32_e32 v5, 31, v5
	v_and_b32_e32 v61, exec_lo, v61
	v_xor_b32_e32 v181, vcc_hi, v5
	v_xor_b32_e32 v5, vcc_lo, v5
	v_and_b32_e32 v61, v61, v5
	v_lshlrev_b32_e32 v5, 29, v60
	v_cmp_gt_i64_e32 vcc, 0, v[4:5]
	v_not_b32_e32 v5, v5
	v_ashrrev_i32_e32 v5, 31, v5
	v_and_b32_e32 v180, v180, v181
	v_xor_b32_e32 v181, vcc_hi, v5
	v_xor_b32_e32 v5, vcc_lo, v5
	v_and_b32_e32 v61, v61, v5
	v_lshlrev_b32_e32 v5, 28, v60
	v_cmp_gt_i64_e32 vcc, 0, v[4:5]
	v_not_b32_e32 v5, v5
	v_ashrrev_i32_e32 v5, 31, v5
	v_and_b32_e32 v180, v180, v181
	;; [unrolled: 8-line block ×5, first 2 shown]
	v_xor_b32_e32 v181, vcc_hi, v5
	v_xor_b32_e32 v5, vcc_lo, v5
	v_and_b32_e32 v180, v180, v181
	v_and_b32_e32 v181, v61, v5
	v_lshlrev_b32_e32 v5, 24, v60
	v_cmp_gt_i64_e32 vcc, 0, v[4:5]
	v_not_b32_e32 v5, v5
	v_ashrrev_i32_e32 v5, 31, v5
	v_xor_b32_e32 v60, vcc_hi, v5
	v_xor_b32_e32 v5, vcc_lo, v5
	v_and_b32_e32 v61, v180, v60
	v_and_b32_e32 v60, v181, v5
	v_mbcnt_lo_u32_b32 v5, v60, 0
	v_mbcnt_hi_u32_b32 v180, v61, v5
	v_cmp_eq_u32_e32 vcc, 0, v180
	v_cmp_ne_u64_e64 s[36:37], 0, v[60:61]
	s_and_b64 s[38:39], s[36:37], vcc
	; wave barrier
	s_and_saveexec_b64 s[36:37], s[38:39]
	s_cbranch_execz .LBB500_1030
; %bb.1029:                             ;   in Loop: Header=BB500_982 Depth=2
	v_bcnt_u32_b32 v5, v60, 0
	v_bcnt_u32_b32 v5, v61, v5
	s_waitcnt lgkmcnt(0)
	v_add_u32_e32 v5, v176, v5
	ds_write_b32 v178, v5
.LBB500_1030:                           ;   in Loop: Header=BB500_982 Depth=2
	s_or_b64 exec, exec, s[36:37]
	s_waitcnt vmcnt(8)
	v_xor_b32_e32 v179, 0x7fffffff, v179
	v_lshrrev_b32_e32 v5, s85, v179
	v_and_b32_e32 v60, s94, v5
	v_mul_u32_u24_e32 v5, 5, v60
	v_add_lshl_u32 v5, v5, v150, 2
	; wave barrier
	v_add_u32_e32 v183, 0x410, v5
	ds_read_b32 v181, v5 offset:1040
	v_and_b32_e32 v5, 1, v60
	v_add_co_u32_e32 v61, vcc, -1, v5
	v_addc_co_u32_e64 v185, s[36:37], 0, -1, vcc
	v_cmp_ne_u32_e32 vcc, 0, v5
	v_xor_b32_e32 v5, vcc_hi, v185
	v_and_b32_e32 v185, exec_hi, v5
	v_lshlrev_b32_e32 v5, 30, v60
	v_xor_b32_e32 v61, vcc_lo, v61
	v_cmp_gt_i64_e32 vcc, 0, v[4:5]
	v_not_b32_e32 v5, v5
	v_ashrrev_i32_e32 v5, 31, v5
	v_and_b32_e32 v61, exec_lo, v61
	v_xor_b32_e32 v186, vcc_hi, v5
	v_xor_b32_e32 v5, vcc_lo, v5
	v_and_b32_e32 v61, v61, v5
	v_lshlrev_b32_e32 v5, 29, v60
	v_cmp_gt_i64_e32 vcc, 0, v[4:5]
	v_not_b32_e32 v5, v5
	v_ashrrev_i32_e32 v5, 31, v5
	v_and_b32_e32 v185, v185, v186
	v_xor_b32_e32 v186, vcc_hi, v5
	v_xor_b32_e32 v5, vcc_lo, v5
	v_and_b32_e32 v61, v61, v5
	v_lshlrev_b32_e32 v5, 28, v60
	v_cmp_gt_i64_e32 vcc, 0, v[4:5]
	v_not_b32_e32 v5, v5
	v_ashrrev_i32_e32 v5, 31, v5
	v_and_b32_e32 v185, v185, v186
	;; [unrolled: 8-line block ×5, first 2 shown]
	v_xor_b32_e32 v186, vcc_hi, v5
	v_xor_b32_e32 v5, vcc_lo, v5
	v_and_b32_e32 v185, v185, v186
	v_and_b32_e32 v186, v61, v5
	v_lshlrev_b32_e32 v5, 24, v60
	v_cmp_gt_i64_e32 vcc, 0, v[4:5]
	v_not_b32_e32 v5, v5
	v_ashrrev_i32_e32 v5, 31, v5
	v_xor_b32_e32 v60, vcc_hi, v5
	v_xor_b32_e32 v5, vcc_lo, v5
	v_and_b32_e32 v61, v185, v60
	v_and_b32_e32 v60, v186, v5
	v_mbcnt_lo_u32_b32 v5, v60, 0
	v_mbcnt_hi_u32_b32 v185, v61, v5
	v_cmp_eq_u32_e32 vcc, 0, v185
	v_cmp_ne_u64_e64 s[36:37], 0, v[60:61]
	s_and_b64 s[38:39], s[36:37], vcc
	; wave barrier
	s_and_saveexec_b64 s[36:37], s[38:39]
	s_cbranch_execz .LBB500_1032
; %bb.1031:                             ;   in Loop: Header=BB500_982 Depth=2
	v_bcnt_u32_b32 v5, v60, 0
	v_bcnt_u32_b32 v5, v61, v5
	s_waitcnt lgkmcnt(0)
	v_add_u32_e32 v5, v181, v5
	ds_write_b32 v183, v5
.LBB500_1032:                           ;   in Loop: Header=BB500_982 Depth=2
	s_or_b64 exec, exec, s[36:37]
	s_waitcnt vmcnt(7)
	v_xor_b32_e32 v184, 0x7fffffff, v184
	v_lshrrev_b32_e32 v5, s85, v184
	v_and_b32_e32 v60, s94, v5
	v_mul_u32_u24_e32 v5, 5, v60
	v_add_lshl_u32 v5, v5, v150, 2
	; wave barrier
	v_add_u32_e32 v187, 0x410, v5
	ds_read_b32 v186, v5 offset:1040
	v_and_b32_e32 v5, 1, v60
	v_add_co_u32_e32 v61, vcc, -1, v5
	v_addc_co_u32_e64 v188, s[36:37], 0, -1, vcc
	v_cmp_ne_u32_e32 vcc, 0, v5
	v_xor_b32_e32 v5, vcc_hi, v188
	v_and_b32_e32 v188, exec_hi, v5
	v_lshlrev_b32_e32 v5, 30, v60
	v_xor_b32_e32 v61, vcc_lo, v61
	v_cmp_gt_i64_e32 vcc, 0, v[4:5]
	v_not_b32_e32 v5, v5
	v_ashrrev_i32_e32 v5, 31, v5
	v_and_b32_e32 v61, exec_lo, v61
	v_xor_b32_e32 v189, vcc_hi, v5
	v_xor_b32_e32 v5, vcc_lo, v5
	v_and_b32_e32 v61, v61, v5
	v_lshlrev_b32_e32 v5, 29, v60
	v_cmp_gt_i64_e32 vcc, 0, v[4:5]
	v_not_b32_e32 v5, v5
	v_ashrrev_i32_e32 v5, 31, v5
	v_and_b32_e32 v188, v188, v189
	v_xor_b32_e32 v189, vcc_hi, v5
	v_xor_b32_e32 v5, vcc_lo, v5
	v_and_b32_e32 v61, v61, v5
	v_lshlrev_b32_e32 v5, 28, v60
	v_cmp_gt_i64_e32 vcc, 0, v[4:5]
	v_not_b32_e32 v5, v5
	v_ashrrev_i32_e32 v5, 31, v5
	v_and_b32_e32 v188, v188, v189
	;; [unrolled: 8-line block ×5, first 2 shown]
	v_xor_b32_e32 v189, vcc_hi, v5
	v_xor_b32_e32 v5, vcc_lo, v5
	v_and_b32_e32 v188, v188, v189
	v_and_b32_e32 v189, v61, v5
	v_lshlrev_b32_e32 v5, 24, v60
	v_cmp_gt_i64_e32 vcc, 0, v[4:5]
	v_not_b32_e32 v5, v5
	v_ashrrev_i32_e32 v5, 31, v5
	v_xor_b32_e32 v60, vcc_hi, v5
	v_xor_b32_e32 v5, vcc_lo, v5
	v_and_b32_e32 v61, v188, v60
	v_and_b32_e32 v60, v189, v5
	v_mbcnt_lo_u32_b32 v5, v60, 0
	v_mbcnt_hi_u32_b32 v188, v61, v5
	v_cmp_eq_u32_e32 vcc, 0, v188
	v_cmp_ne_u64_e64 s[36:37], 0, v[60:61]
	s_and_b64 s[38:39], s[36:37], vcc
	; wave barrier
	s_and_saveexec_b64 s[36:37], s[38:39]
	s_cbranch_execz .LBB500_1034
; %bb.1033:                             ;   in Loop: Header=BB500_982 Depth=2
	v_bcnt_u32_b32 v5, v60, 0
	v_bcnt_u32_b32 v5, v61, v5
	s_waitcnt lgkmcnt(0)
	v_add_u32_e32 v5, v186, v5
	ds_write_b32 v187, v5
.LBB500_1034:                           ;   in Loop: Header=BB500_982 Depth=2
	s_or_b64 exec, exec, s[36:37]
	s_waitcnt vmcnt(6)
	v_xor_b32_e32 v182, 0x7fffffff, v182
	v_lshrrev_b32_e32 v5, s85, v182
	v_and_b32_e32 v60, s94, v5
	v_mul_u32_u24_e32 v5, 5, v60
	v_add_lshl_u32 v5, v5, v150, 2
	; wave barrier
	v_add_u32_e32 v190, 0x410, v5
	ds_read_b32 v189, v5 offset:1040
	v_and_b32_e32 v5, 1, v60
	v_add_co_u32_e32 v61, vcc, -1, v5
	v_addc_co_u32_e64 v191, s[36:37], 0, -1, vcc
	v_cmp_ne_u32_e32 vcc, 0, v5
	v_xor_b32_e32 v5, vcc_hi, v191
	v_and_b32_e32 v191, exec_hi, v5
	v_lshlrev_b32_e32 v5, 30, v60
	v_xor_b32_e32 v61, vcc_lo, v61
	v_cmp_gt_i64_e32 vcc, 0, v[4:5]
	v_not_b32_e32 v5, v5
	v_ashrrev_i32_e32 v5, 31, v5
	v_and_b32_e32 v61, exec_lo, v61
	v_xor_b32_e32 v192, vcc_hi, v5
	v_xor_b32_e32 v5, vcc_lo, v5
	v_and_b32_e32 v61, v61, v5
	v_lshlrev_b32_e32 v5, 29, v60
	v_cmp_gt_i64_e32 vcc, 0, v[4:5]
	v_not_b32_e32 v5, v5
	v_ashrrev_i32_e32 v5, 31, v5
	v_and_b32_e32 v191, v191, v192
	v_xor_b32_e32 v192, vcc_hi, v5
	v_xor_b32_e32 v5, vcc_lo, v5
	v_and_b32_e32 v61, v61, v5
	v_lshlrev_b32_e32 v5, 28, v60
	v_cmp_gt_i64_e32 vcc, 0, v[4:5]
	v_not_b32_e32 v5, v5
	v_ashrrev_i32_e32 v5, 31, v5
	v_and_b32_e32 v191, v191, v192
	;; [unrolled: 8-line block ×5, first 2 shown]
	v_xor_b32_e32 v192, vcc_hi, v5
	v_xor_b32_e32 v5, vcc_lo, v5
	v_and_b32_e32 v191, v191, v192
	v_and_b32_e32 v192, v61, v5
	v_lshlrev_b32_e32 v5, 24, v60
	v_cmp_gt_i64_e32 vcc, 0, v[4:5]
	v_not_b32_e32 v5, v5
	v_ashrrev_i32_e32 v5, 31, v5
	v_xor_b32_e32 v60, vcc_hi, v5
	v_xor_b32_e32 v5, vcc_lo, v5
	v_and_b32_e32 v61, v191, v60
	v_and_b32_e32 v60, v192, v5
	v_mbcnt_lo_u32_b32 v5, v60, 0
	v_mbcnt_hi_u32_b32 v191, v61, v5
	v_cmp_eq_u32_e32 vcc, 0, v191
	v_cmp_ne_u64_e64 s[36:37], 0, v[60:61]
	s_and_b64 s[38:39], s[36:37], vcc
	; wave barrier
	s_and_saveexec_b64 s[36:37], s[38:39]
	s_cbranch_execz .LBB500_1036
; %bb.1035:                             ;   in Loop: Header=BB500_982 Depth=2
	v_bcnt_u32_b32 v5, v60, 0
	v_bcnt_u32_b32 v5, v61, v5
	s_waitcnt lgkmcnt(0)
	v_add_u32_e32 v5, v189, v5
	ds_write_b32 v190, v5
.LBB500_1036:                           ;   in Loop: Header=BB500_982 Depth=2
	s_or_b64 exec, exec, s[36:37]
	s_waitcnt vmcnt(5)
	v_xor_b32_e32 v177, 0x7fffffff, v177
	v_lshrrev_b32_e32 v5, s85, v177
	v_and_b32_e32 v60, s94, v5
	v_mul_u32_u24_e32 v5, 5, v60
	v_add_lshl_u32 v5, v5, v150, 2
	; wave barrier
	v_add_u32_e32 v193, 0x410, v5
	ds_read_b32 v192, v5 offset:1040
	v_and_b32_e32 v5, 1, v60
	v_add_co_u32_e32 v61, vcc, -1, v5
	v_addc_co_u32_e64 v194, s[36:37], 0, -1, vcc
	v_cmp_ne_u32_e32 vcc, 0, v5
	v_xor_b32_e32 v5, vcc_hi, v194
	v_and_b32_e32 v194, exec_hi, v5
	v_lshlrev_b32_e32 v5, 30, v60
	v_xor_b32_e32 v61, vcc_lo, v61
	v_cmp_gt_i64_e32 vcc, 0, v[4:5]
	v_not_b32_e32 v5, v5
	v_ashrrev_i32_e32 v5, 31, v5
	v_and_b32_e32 v61, exec_lo, v61
	v_xor_b32_e32 v195, vcc_hi, v5
	v_xor_b32_e32 v5, vcc_lo, v5
	v_and_b32_e32 v61, v61, v5
	v_lshlrev_b32_e32 v5, 29, v60
	v_cmp_gt_i64_e32 vcc, 0, v[4:5]
	v_not_b32_e32 v5, v5
	v_ashrrev_i32_e32 v5, 31, v5
	v_and_b32_e32 v194, v194, v195
	v_xor_b32_e32 v195, vcc_hi, v5
	v_xor_b32_e32 v5, vcc_lo, v5
	v_and_b32_e32 v61, v61, v5
	v_lshlrev_b32_e32 v5, 28, v60
	v_cmp_gt_i64_e32 vcc, 0, v[4:5]
	v_not_b32_e32 v5, v5
	v_ashrrev_i32_e32 v5, 31, v5
	v_and_b32_e32 v194, v194, v195
	;; [unrolled: 8-line block ×5, first 2 shown]
	v_xor_b32_e32 v195, vcc_hi, v5
	v_xor_b32_e32 v5, vcc_lo, v5
	v_and_b32_e32 v194, v194, v195
	v_and_b32_e32 v195, v61, v5
	v_lshlrev_b32_e32 v5, 24, v60
	v_cmp_gt_i64_e32 vcc, 0, v[4:5]
	v_not_b32_e32 v5, v5
	v_ashrrev_i32_e32 v5, 31, v5
	v_xor_b32_e32 v60, vcc_hi, v5
	v_xor_b32_e32 v5, vcc_lo, v5
	v_and_b32_e32 v61, v194, v60
	v_and_b32_e32 v60, v195, v5
	v_mbcnt_lo_u32_b32 v5, v60, 0
	v_mbcnt_hi_u32_b32 v195, v61, v5
	v_cmp_eq_u32_e32 vcc, 0, v195
	v_cmp_ne_u64_e64 s[36:37], 0, v[60:61]
	s_and_b64 s[38:39], s[36:37], vcc
	; wave barrier
	s_and_saveexec_b64 s[36:37], s[38:39]
	s_cbranch_execz .LBB500_1038
; %bb.1037:                             ;   in Loop: Header=BB500_982 Depth=2
	v_bcnt_u32_b32 v5, v60, 0
	v_bcnt_u32_b32 v5, v61, v5
	s_waitcnt lgkmcnt(0)
	v_add_u32_e32 v5, v192, v5
	ds_write_b32 v193, v5
.LBB500_1038:                           ;   in Loop: Header=BB500_982 Depth=2
	s_or_b64 exec, exec, s[36:37]
	s_waitcnt vmcnt(4)
	v_xor_b32_e32 v194, 0x7fffffff, v173
	v_lshrrev_b32_e32 v5, s85, v194
	v_and_b32_e32 v60, s94, v5
	v_mul_u32_u24_e32 v5, 5, v60
	v_add_lshl_u32 v5, v5, v150, 2
	; wave barrier
	v_add_u32_e32 v197, 0x410, v5
	ds_read_b32 v196, v5 offset:1040
	v_and_b32_e32 v5, 1, v60
	v_add_co_u32_e32 v61, vcc, -1, v5
	v_addc_co_u32_e64 v173, s[36:37], 0, -1, vcc
	v_cmp_ne_u32_e32 vcc, 0, v5
	v_xor_b32_e32 v5, vcc_hi, v173
	v_and_b32_e32 v173, exec_hi, v5
	v_lshlrev_b32_e32 v5, 30, v60
	v_xor_b32_e32 v61, vcc_lo, v61
	v_cmp_gt_i64_e32 vcc, 0, v[4:5]
	v_not_b32_e32 v5, v5
	v_ashrrev_i32_e32 v5, 31, v5
	v_and_b32_e32 v61, exec_lo, v61
	v_xor_b32_e32 v198, vcc_hi, v5
	v_xor_b32_e32 v5, vcc_lo, v5
	v_and_b32_e32 v61, v61, v5
	v_lshlrev_b32_e32 v5, 29, v60
	v_cmp_gt_i64_e32 vcc, 0, v[4:5]
	v_not_b32_e32 v5, v5
	v_ashrrev_i32_e32 v5, 31, v5
	v_and_b32_e32 v173, v173, v198
	v_xor_b32_e32 v198, vcc_hi, v5
	v_xor_b32_e32 v5, vcc_lo, v5
	v_and_b32_e32 v61, v61, v5
	v_lshlrev_b32_e32 v5, 28, v60
	v_cmp_gt_i64_e32 vcc, 0, v[4:5]
	v_not_b32_e32 v5, v5
	v_ashrrev_i32_e32 v5, 31, v5
	v_and_b32_e32 v173, v173, v198
	;; [unrolled: 8-line block ×5, first 2 shown]
	v_xor_b32_e32 v198, vcc_hi, v5
	v_xor_b32_e32 v5, vcc_lo, v5
	v_and_b32_e32 v173, v173, v198
	v_and_b32_e32 v198, v61, v5
	v_lshlrev_b32_e32 v5, 24, v60
	v_cmp_gt_i64_e32 vcc, 0, v[4:5]
	v_not_b32_e32 v5, v5
	v_ashrrev_i32_e32 v5, 31, v5
	v_xor_b32_e32 v60, vcc_hi, v5
	v_xor_b32_e32 v5, vcc_lo, v5
	v_and_b32_e32 v61, v173, v60
	v_and_b32_e32 v60, v198, v5
	v_mbcnt_lo_u32_b32 v5, v60, 0
	v_mbcnt_hi_u32_b32 v199, v61, v5
	v_cmp_eq_u32_e32 vcc, 0, v199
	v_cmp_ne_u64_e64 s[36:37], 0, v[60:61]
	s_and_b64 s[38:39], s[36:37], vcc
	; wave barrier
	s_and_saveexec_b64 s[36:37], s[38:39]
	s_cbranch_execz .LBB500_1040
; %bb.1039:                             ;   in Loop: Header=BB500_982 Depth=2
	v_bcnt_u32_b32 v5, v60, 0
	v_bcnt_u32_b32 v5, v61, v5
	s_waitcnt lgkmcnt(0)
	v_add_u32_e32 v5, v196, v5
	ds_write_b32 v197, v5
.LBB500_1040:                           ;   in Loop: Header=BB500_982 Depth=2
	s_or_b64 exec, exec, s[36:37]
	s_waitcnt vmcnt(3)
	v_xor_b32_e32 v198, 0x7fffffff, v168
	v_lshrrev_b32_e32 v5, s85, v198
	v_and_b32_e32 v60, s94, v5
	v_mul_u32_u24_e32 v5, 5, v60
	v_add_lshl_u32 v5, v5, v150, 2
	; wave barrier
	v_add_u32_e32 v168, 0x410, v5
	ds_read_b32 v200, v5 offset:1040
	v_and_b32_e32 v5, 1, v60
	v_add_co_u32_e32 v61, vcc, -1, v5
	v_addc_co_u32_e64 v173, s[36:37], 0, -1, vcc
	v_cmp_ne_u32_e32 vcc, 0, v5
	v_xor_b32_e32 v5, vcc_hi, v173
	v_and_b32_e32 v173, exec_hi, v5
	v_lshlrev_b32_e32 v5, 30, v60
	v_xor_b32_e32 v61, vcc_lo, v61
	v_cmp_gt_i64_e32 vcc, 0, v[4:5]
	v_not_b32_e32 v5, v5
	v_ashrrev_i32_e32 v5, 31, v5
	v_and_b32_e32 v61, exec_lo, v61
	v_xor_b32_e32 v201, vcc_hi, v5
	v_xor_b32_e32 v5, vcc_lo, v5
	v_and_b32_e32 v61, v61, v5
	v_lshlrev_b32_e32 v5, 29, v60
	v_cmp_gt_i64_e32 vcc, 0, v[4:5]
	v_not_b32_e32 v5, v5
	v_ashrrev_i32_e32 v5, 31, v5
	v_and_b32_e32 v173, v173, v201
	v_xor_b32_e32 v201, vcc_hi, v5
	v_xor_b32_e32 v5, vcc_lo, v5
	v_and_b32_e32 v61, v61, v5
	v_lshlrev_b32_e32 v5, 28, v60
	v_cmp_gt_i64_e32 vcc, 0, v[4:5]
	v_not_b32_e32 v5, v5
	v_ashrrev_i32_e32 v5, 31, v5
	v_and_b32_e32 v173, v173, v201
	;; [unrolled: 8-line block ×5, first 2 shown]
	v_xor_b32_e32 v201, vcc_hi, v5
	v_xor_b32_e32 v5, vcc_lo, v5
	v_and_b32_e32 v173, v173, v201
	v_and_b32_e32 v201, v61, v5
	v_lshlrev_b32_e32 v5, 24, v60
	v_cmp_gt_i64_e32 vcc, 0, v[4:5]
	v_not_b32_e32 v5, v5
	v_ashrrev_i32_e32 v5, 31, v5
	v_xor_b32_e32 v60, vcc_hi, v5
	v_xor_b32_e32 v5, vcc_lo, v5
	v_and_b32_e32 v61, v173, v60
	v_and_b32_e32 v60, v201, v5
	v_mbcnt_lo_u32_b32 v5, v60, 0
	v_mbcnt_hi_u32_b32 v202, v61, v5
	v_cmp_eq_u32_e32 vcc, 0, v202
	v_cmp_ne_u64_e64 s[36:37], 0, v[60:61]
	s_and_b64 s[38:39], s[36:37], vcc
	; wave barrier
	s_and_saveexec_b64 s[36:37], s[38:39]
	s_cbranch_execz .LBB500_1042
; %bb.1041:                             ;   in Loop: Header=BB500_982 Depth=2
	v_bcnt_u32_b32 v5, v60, 0
	v_bcnt_u32_b32 v5, v61, v5
	s_waitcnt lgkmcnt(0)
	v_add_u32_e32 v5, v200, v5
	ds_write_b32 v168, v5
.LBB500_1042:                           ;   in Loop: Header=BB500_982 Depth=2
	s_or_b64 exec, exec, s[36:37]
	s_waitcnt vmcnt(2)
	v_xor_b32_e32 v201, 0x7fffffff, v163
	v_lshrrev_b32_e32 v5, s85, v201
	v_and_b32_e32 v60, s94, v5
	v_mul_u32_u24_e32 v5, 5, v60
	v_add_lshl_u32 v5, v5, v150, 2
	; wave barrier
	v_add_u32_e32 v163, 0x410, v5
	ds_read_b32 v203, v5 offset:1040
	v_and_b32_e32 v5, 1, v60
	v_add_co_u32_e32 v61, vcc, -1, v5
	v_addc_co_u32_e64 v173, s[36:37], 0, -1, vcc
	v_cmp_ne_u32_e32 vcc, 0, v5
	v_xor_b32_e32 v5, vcc_hi, v173
	v_and_b32_e32 v173, exec_hi, v5
	v_lshlrev_b32_e32 v5, 30, v60
	v_xor_b32_e32 v61, vcc_lo, v61
	v_cmp_gt_i64_e32 vcc, 0, v[4:5]
	v_not_b32_e32 v5, v5
	v_ashrrev_i32_e32 v5, 31, v5
	v_and_b32_e32 v61, exec_lo, v61
	v_xor_b32_e32 v204, vcc_hi, v5
	v_xor_b32_e32 v5, vcc_lo, v5
	v_and_b32_e32 v61, v61, v5
	v_lshlrev_b32_e32 v5, 29, v60
	v_cmp_gt_i64_e32 vcc, 0, v[4:5]
	v_not_b32_e32 v5, v5
	v_ashrrev_i32_e32 v5, 31, v5
	v_and_b32_e32 v173, v173, v204
	v_xor_b32_e32 v204, vcc_hi, v5
	v_xor_b32_e32 v5, vcc_lo, v5
	v_and_b32_e32 v61, v61, v5
	v_lshlrev_b32_e32 v5, 28, v60
	v_cmp_gt_i64_e32 vcc, 0, v[4:5]
	v_not_b32_e32 v5, v5
	v_ashrrev_i32_e32 v5, 31, v5
	v_and_b32_e32 v173, v173, v204
	;; [unrolled: 8-line block ×5, first 2 shown]
	v_xor_b32_e32 v204, vcc_hi, v5
	v_xor_b32_e32 v5, vcc_lo, v5
	v_and_b32_e32 v173, v173, v204
	v_and_b32_e32 v204, v61, v5
	v_lshlrev_b32_e32 v5, 24, v60
	v_cmp_gt_i64_e32 vcc, 0, v[4:5]
	v_not_b32_e32 v5, v5
	v_ashrrev_i32_e32 v5, 31, v5
	v_xor_b32_e32 v60, vcc_hi, v5
	v_xor_b32_e32 v5, vcc_lo, v5
	v_and_b32_e32 v61, v173, v60
	v_and_b32_e32 v60, v204, v5
	v_mbcnt_lo_u32_b32 v5, v60, 0
	v_mbcnt_hi_u32_b32 v205, v61, v5
	v_cmp_eq_u32_e32 vcc, 0, v205
	v_cmp_ne_u64_e64 s[36:37], 0, v[60:61]
	s_and_b64 s[38:39], s[36:37], vcc
	; wave barrier
	s_and_saveexec_b64 s[36:37], s[38:39]
	s_cbranch_execz .LBB500_1044
; %bb.1043:                             ;   in Loop: Header=BB500_982 Depth=2
	v_bcnt_u32_b32 v5, v60, 0
	v_bcnt_u32_b32 v5, v61, v5
	s_waitcnt lgkmcnt(0)
	v_add_u32_e32 v5, v203, v5
	ds_write_b32 v163, v5
.LBB500_1044:                           ;   in Loop: Header=BB500_982 Depth=2
	s_or_b64 exec, exec, s[36:37]
	s_waitcnt vmcnt(1)
	v_xor_b32_e32 v204, 0x7fffffff, v158
	v_lshrrev_b32_e32 v5, s85, v204
	v_and_b32_e32 v60, s94, v5
	v_mul_u32_u24_e32 v5, 5, v60
	v_add_lshl_u32 v5, v5, v150, 2
	; wave barrier
	v_add_u32_e32 v158, 0x410, v5
	ds_read_b32 v206, v5 offset:1040
	v_and_b32_e32 v5, 1, v60
	v_add_co_u32_e32 v61, vcc, -1, v5
	v_addc_co_u32_e64 v173, s[36:37], 0, -1, vcc
	v_cmp_ne_u32_e32 vcc, 0, v5
	v_xor_b32_e32 v5, vcc_hi, v173
	v_and_b32_e32 v173, exec_hi, v5
	v_lshlrev_b32_e32 v5, 30, v60
	v_xor_b32_e32 v61, vcc_lo, v61
	v_cmp_gt_i64_e32 vcc, 0, v[4:5]
	v_not_b32_e32 v5, v5
	v_ashrrev_i32_e32 v5, 31, v5
	v_and_b32_e32 v61, exec_lo, v61
	v_xor_b32_e32 v207, vcc_hi, v5
	v_xor_b32_e32 v5, vcc_lo, v5
	v_and_b32_e32 v61, v61, v5
	v_lshlrev_b32_e32 v5, 29, v60
	v_cmp_gt_i64_e32 vcc, 0, v[4:5]
	v_not_b32_e32 v5, v5
	v_ashrrev_i32_e32 v5, 31, v5
	v_and_b32_e32 v173, v173, v207
	v_xor_b32_e32 v207, vcc_hi, v5
	v_xor_b32_e32 v5, vcc_lo, v5
	v_and_b32_e32 v61, v61, v5
	v_lshlrev_b32_e32 v5, 28, v60
	v_cmp_gt_i64_e32 vcc, 0, v[4:5]
	v_not_b32_e32 v5, v5
	v_ashrrev_i32_e32 v5, 31, v5
	v_and_b32_e32 v173, v173, v207
	;; [unrolled: 8-line block ×5, first 2 shown]
	v_xor_b32_e32 v207, vcc_hi, v5
	v_xor_b32_e32 v5, vcc_lo, v5
	v_and_b32_e32 v173, v173, v207
	v_and_b32_e32 v207, v61, v5
	v_lshlrev_b32_e32 v5, 24, v60
	v_cmp_gt_i64_e32 vcc, 0, v[4:5]
	v_not_b32_e32 v5, v5
	v_ashrrev_i32_e32 v5, 31, v5
	v_xor_b32_e32 v60, vcc_hi, v5
	v_xor_b32_e32 v5, vcc_lo, v5
	v_and_b32_e32 v61, v173, v60
	v_and_b32_e32 v60, v207, v5
	v_mbcnt_lo_u32_b32 v5, v60, 0
	v_mbcnt_hi_u32_b32 v208, v61, v5
	v_cmp_eq_u32_e32 vcc, 0, v208
	v_cmp_ne_u64_e64 s[36:37], 0, v[60:61]
	s_and_b64 s[38:39], s[36:37], vcc
	; wave barrier
	s_and_saveexec_b64 s[36:37], s[38:39]
	s_cbranch_execz .LBB500_1046
; %bb.1045:                             ;   in Loop: Header=BB500_982 Depth=2
	v_bcnt_u32_b32 v5, v60, 0
	v_bcnt_u32_b32 v5, v61, v5
	s_waitcnt lgkmcnt(0)
	v_add_u32_e32 v5, v206, v5
	ds_write_b32 v158, v5
.LBB500_1046:                           ;   in Loop: Header=BB500_982 Depth=2
	s_or_b64 exec, exec, s[36:37]
	s_waitcnt vmcnt(0)
	v_xor_b32_e32 v207, 0x7fffffff, v62
	v_lshrrev_b32_e32 v5, s85, v207
	v_and_b32_e32 v60, s94, v5
	v_mul_u32_u24_e32 v5, 5, v60
	v_add_lshl_u32 v5, v5, v150, 2
	; wave barrier
	v_add_u32_e32 v210, 0x410, v5
	ds_read_b32 v209, v5 offset:1040
	v_and_b32_e32 v5, 1, v60
	v_add_co_u32_e32 v61, vcc, -1, v5
	v_addc_co_u32_e64 v62, s[36:37], 0, -1, vcc
	v_cmp_ne_u32_e32 vcc, 0, v5
	v_xor_b32_e32 v5, vcc_hi, v62
	v_and_b32_e32 v62, exec_hi, v5
	v_lshlrev_b32_e32 v5, 30, v60
	v_xor_b32_e32 v61, vcc_lo, v61
	v_cmp_gt_i64_e32 vcc, 0, v[4:5]
	v_not_b32_e32 v5, v5
	v_ashrrev_i32_e32 v5, 31, v5
	v_and_b32_e32 v61, exec_lo, v61
	v_xor_b32_e32 v173, vcc_hi, v5
	v_xor_b32_e32 v5, vcc_lo, v5
	v_and_b32_e32 v61, v61, v5
	v_lshlrev_b32_e32 v5, 29, v60
	v_cmp_gt_i64_e32 vcc, 0, v[4:5]
	v_not_b32_e32 v5, v5
	v_ashrrev_i32_e32 v5, 31, v5
	v_and_b32_e32 v62, v62, v173
	v_xor_b32_e32 v173, vcc_hi, v5
	v_xor_b32_e32 v5, vcc_lo, v5
	v_and_b32_e32 v61, v61, v5
	v_lshlrev_b32_e32 v5, 28, v60
	v_cmp_gt_i64_e32 vcc, 0, v[4:5]
	v_not_b32_e32 v5, v5
	v_ashrrev_i32_e32 v5, 31, v5
	v_and_b32_e32 v62, v62, v173
	;; [unrolled: 8-line block ×5, first 2 shown]
	v_xor_b32_e32 v173, vcc_hi, v5
	v_xor_b32_e32 v5, vcc_lo, v5
	v_and_b32_e32 v62, v62, v173
	v_and_b32_e32 v173, v61, v5
	v_lshlrev_b32_e32 v5, 24, v60
	v_cmp_gt_i64_e32 vcc, 0, v[4:5]
	v_not_b32_e32 v5, v5
	v_ashrrev_i32_e32 v5, 31, v5
	v_xor_b32_e32 v60, vcc_hi, v5
	v_xor_b32_e32 v5, vcc_lo, v5
	v_and_b32_e32 v61, v62, v60
	v_and_b32_e32 v60, v173, v5
	v_mbcnt_lo_u32_b32 v5, v60, 0
	v_mbcnt_hi_u32_b32 v212, v61, v5
	v_cmp_eq_u32_e32 vcc, 0, v212
	v_cmp_ne_u64_e64 s[36:37], 0, v[60:61]
	s_and_b64 s[38:39], s[36:37], vcc
	; wave barrier
	s_and_saveexec_b64 s[36:37], s[38:39]
	s_cbranch_execz .LBB500_1048
; %bb.1047:                             ;   in Loop: Header=BB500_982 Depth=2
	v_bcnt_u32_b32 v5, v60, 0
	v_bcnt_u32_b32 v5, v61, v5
	s_waitcnt lgkmcnt(0)
	v_add_u32_e32 v5, v209, v5
	ds_write_b32 v210, v5
.LBB500_1048:                           ;   in Loop: Header=BB500_982 Depth=2
	s_or_b64 exec, exec, s[36:37]
	v_xor_b32_e32 v211, 0x7fffffff, v63
	v_lshrrev_b32_e32 v5, s85, v211
	v_and_b32_e32 v60, s94, v5
	v_mul_u32_u24_e32 v5, 5, v60
	v_add_lshl_u32 v5, v5, v150, 2
	; wave barrier
	v_add_u32_e32 v214, 0x410, v5
	ds_read_b32 v213, v5 offset:1040
	v_and_b32_e32 v5, 1, v60
	v_add_co_u32_e32 v61, vcc, -1, v5
	v_addc_co_u32_e64 v62, s[36:37], 0, -1, vcc
	v_cmp_ne_u32_e32 vcc, 0, v5
	v_xor_b32_e32 v5, vcc_hi, v62
	v_and_b32_e32 v62, exec_hi, v5
	v_lshlrev_b32_e32 v5, 30, v60
	v_xor_b32_e32 v61, vcc_lo, v61
	v_cmp_gt_i64_e32 vcc, 0, v[4:5]
	v_not_b32_e32 v5, v5
	v_ashrrev_i32_e32 v5, 31, v5
	v_and_b32_e32 v61, exec_lo, v61
	v_xor_b32_e32 v63, vcc_hi, v5
	v_xor_b32_e32 v5, vcc_lo, v5
	v_and_b32_e32 v61, v61, v5
	v_lshlrev_b32_e32 v5, 29, v60
	v_cmp_gt_i64_e32 vcc, 0, v[4:5]
	v_not_b32_e32 v5, v5
	v_ashrrev_i32_e32 v5, 31, v5
	v_and_b32_e32 v62, v62, v63
	v_xor_b32_e32 v63, vcc_hi, v5
	v_xor_b32_e32 v5, vcc_lo, v5
	v_and_b32_e32 v61, v61, v5
	v_lshlrev_b32_e32 v5, 28, v60
	v_cmp_gt_i64_e32 vcc, 0, v[4:5]
	v_not_b32_e32 v5, v5
	v_ashrrev_i32_e32 v5, 31, v5
	v_and_b32_e32 v62, v62, v63
	;; [unrolled: 8-line block ×5, first 2 shown]
	v_xor_b32_e32 v63, vcc_hi, v5
	v_xor_b32_e32 v5, vcc_lo, v5
	v_and_b32_e32 v62, v62, v63
	v_and_b32_e32 v63, v61, v5
	v_lshlrev_b32_e32 v5, 24, v60
	v_cmp_gt_i64_e32 vcc, 0, v[4:5]
	v_not_b32_e32 v5, v5
	v_ashrrev_i32_e32 v5, 31, v5
	v_xor_b32_e32 v60, vcc_hi, v5
	v_xor_b32_e32 v5, vcc_lo, v5
	v_and_b32_e32 v61, v62, v60
	v_and_b32_e32 v60, v63, v5
	v_mbcnt_lo_u32_b32 v5, v60, 0
	v_mbcnt_hi_u32_b32 v215, v61, v5
	v_cmp_eq_u32_e32 vcc, 0, v215
	v_cmp_ne_u64_e64 s[36:37], 0, v[60:61]
	s_and_b64 s[38:39], s[36:37], vcc
	; wave barrier
	s_and_saveexec_b64 s[36:37], s[38:39]
	s_cbranch_execz .LBB500_1050
; %bb.1049:                             ;   in Loop: Header=BB500_982 Depth=2
	v_bcnt_u32_b32 v5, v60, 0
	v_bcnt_u32_b32 v5, v61, v5
	s_waitcnt lgkmcnt(0)
	v_add_u32_e32 v5, v213, v5
	ds_write_b32 v214, v5
.LBB500_1050:                           ;   in Loop: Header=BB500_982 Depth=2
	s_or_b64 exec, exec, s[36:37]
	; wave barrier
	s_waitcnt lgkmcnt(0)
	s_barrier
	ds_read_b32 v5, v64 offset:1040
	ds_read2_b32 v[62:63], v66 offset0:1 offset1:2
	ds_read2_b32 v[60:61], v66 offset0:3 offset1:4
	s_waitcnt lgkmcnt(1)
	v_add3_u32 v173, v62, v5, v63
	s_waitcnt lgkmcnt(0)
	v_add3_u32 v61, v173, v60, v61
	s_nop 1
	v_mov_b32_dpp v173, v61 row_shr:1 row_mask:0xf bank_mask:0xf
	v_cndmask_b32_e64 v173, v173, 0, s[16:17]
	v_add_u32_e32 v61, v173, v61
	s_nop 1
	v_mov_b32_dpp v173, v61 row_shr:2 row_mask:0xf bank_mask:0xf
	v_cndmask_b32_e64 v173, 0, v173, s[18:19]
	v_add_u32_e32 v61, v61, v173
	;; [unrolled: 4-line block ×4, first 2 shown]
	s_nop 1
	v_mov_b32_dpp v173, v61 row_bcast:15 row_mask:0xf bank_mask:0xf
	v_cndmask_b32_e64 v173, v173, 0, s[24:25]
	v_add_u32_e32 v61, v61, v173
	s_nop 1
	v_mov_b32_dpp v173, v61 row_bcast:31 row_mask:0xf bank_mask:0xf
	v_cndmask_b32_e64 v173, 0, v173, s[26:27]
	v_add_u32_e32 v61, v61, v173
	s_and_saveexec_b64 s[36:37], s[6:7]
	s_cbranch_execz .LBB500_1052
; %bb.1051:                             ;   in Loop: Header=BB500_982 Depth=2
	ds_write_b32 v19, v61 offset:1024
.LBB500_1052:                           ;   in Loop: Header=BB500_982 Depth=2
	s_or_b64 exec, exec, s[36:37]
	v_add_u32_e32 v173, v64, v67
	s_waitcnt lgkmcnt(0)
	s_barrier
	s_and_saveexec_b64 s[36:37], s[8:9]
	s_cbranch_execz .LBB500_1054
; %bb.1053:                             ;   in Loop: Header=BB500_982 Depth=2
	ds_read_b32 v216, v173 offset:1024
	s_waitcnt lgkmcnt(0)
	s_nop 0
	v_mov_b32_dpp v217, v216 row_shr:1 row_mask:0xf bank_mask:0xf
	v_cndmask_b32_e64 v217, v217, 0, s[30:31]
	v_add_u32_e32 v216, v217, v216
	s_nop 1
	v_mov_b32_dpp v217, v216 row_shr:2 row_mask:0xf bank_mask:0xf
	v_cndmask_b32_e64 v217, 0, v217, s[34:35]
	v_add_u32_e32 v216, v216, v217
	ds_write_b32 v173, v216 offset:1024
.LBB500_1054:                           ;   in Loop: Header=BB500_982 Depth=2
	s_or_b64 exec, exec, s[36:37]
	v_mov_b32_e32 v216, 0
	s_waitcnt lgkmcnt(0)
	s_barrier
	s_and_saveexec_b64 s[36:37], s[10:11]
	s_cbranch_execz .LBB500_1056
; %bb.1055:                             ;   in Loop: Header=BB500_982 Depth=2
	ds_read_b32 v216, v19 offset:1020
.LBB500_1056:                           ;   in Loop: Header=BB500_982 Depth=2
	s_or_b64 exec, exec, s[36:37]
	s_waitcnt lgkmcnt(0)
	v_add_u32_e32 v61, v216, v61
	ds_bpermute_b32 v61, v127, v61
	s_waitcnt lgkmcnt(0)
	v_cndmask_b32_e64 v61, v61, v216, s[28:29]
	v_cndmask_b32_e64 v61, v61, 0, s[12:13]
	v_add_u32_e32 v5, v61, v5
	ds_write_b32 v64, v61 offset:1040
	v_add_u32_e32 v61, v5, v62
	v_add_u32_e32 v62, v61, v63
	ds_write2_b32 v66, v5, v61 offset0:1 offset1:2
	v_add_u32_e32 v5, v62, v60
	ds_write2_b32 v66, v62, v5 offset0:3 offset1:4
	s_waitcnt lgkmcnt(0)
	s_barrier
	ds_read_b32 v60, v157
	ds_read_b32 v61, v162
	;; [unrolled: 1-line block ×16, first 2 shown]
	ds_read_b32 v158, v64 offset:1040
	v_mov_b32_e32 v5, 0x1000
	s_and_saveexec_b64 s[36:37], s[14:15]
	s_cbranch_execz .LBB500_1058
; %bb.1057:                             ;   in Loop: Header=BB500_982 Depth=2
	ds_read_b32 v5, v64 offset:1060
.LBB500_1058:                           ;   in Loop: Header=BB500_982 Depth=2
	s_or_b64 exec, exec, s[36:37]
	s_waitcnt lgkmcnt(0)
	s_barrier
	s_and_saveexec_b64 s[36:37], s[4:5]
	s_cbranch_execz .LBB500_1060
; %bb.1059:                             ;   in Loop: Header=BB500_982 Depth=2
	ds_read_b32 v163, v3
	s_waitcnt lgkmcnt(0)
	v_sub_u32_e32 v158, v163, v158
	ds_write_b32 v3, v158
.LBB500_1060:                           ;   in Loop: Header=BB500_982 Depth=2
	s_or_b64 exec, exec, s[36:37]
	v_add_u32_e32 v172, v153, v155
	v_add3_u32 v168, v160, v156, v60
	v_lshlrev_b32_e32 v60, 2, v172
	v_add3_u32 v167, v165, v161, v61
	ds_write_b32 v60, v152 offset:1024
	v_lshlrev_b32_e32 v60, 2, v168
	v_add3_u32 v166, v170, v166, v62
	ds_write_b32 v60, v154 offset:1024
	;; [unrolled: 3-line block ×14, first 2 shown]
	v_lshlrev_b32_e32 v60, 2, v63
	ds_write_b32 v60, v207 offset:1024
	v_lshlrev_b32_e32 v60, 2, v62
	v_cmp_lt_u32_e64 s[36:37], v2, v151
	ds_write_b32 v60, v211 offset:1024
	s_waitcnt lgkmcnt(0)
	s_barrier
	s_and_saveexec_b64 s[38:39], s[36:37]
	s_cbranch_execz .LBB500_1076
; %bb.1061:                             ;   in Loop: Header=BB500_982 Depth=2
	ds_read_b32 v60, v173 offset:1024
	v_mov_b32_e32 v154, s77
	s_waitcnt lgkmcnt(0)
	v_lshrrev_b32_e32 v61, s85, v60
	v_and_b32_e32 v61, s94, v61
	v_lshlrev_b32_e32 v61, 2, v61
	ds_read_b32 v152, v61
	v_mov_b32_e32 v61, v4
	v_xor_b32_e32 v159, 0x7fffffff, v60
	s_waitcnt lgkmcnt(0)
	v_add_u32_e32 v60, v152, v2
	v_lshlrev_b64 v[60:61], 2, v[60:61]
	v_add_co_u32_e32 v60, vcc, s76, v60
	v_addc_co_u32_e32 v61, vcc, v154, v61, vcc
	global_store_dword v[60:61], v159, off
	s_or_b64 exec, exec, s[38:39]
	v_cmp_lt_u32_e64 s[38:39], v7, v151
	s_and_saveexec_b64 s[40:41], s[38:39]
	s_cbranch_execnz .LBB500_1077
.LBB500_1062:                           ;   in Loop: Header=BB500_982 Depth=2
	s_or_b64 exec, exec, s[40:41]
	v_cmp_lt_u32_e64 s[40:41], v9, v151
	s_and_saveexec_b64 s[42:43], s[40:41]
	s_cbranch_execz .LBB500_1078
.LBB500_1063:                           ;   in Loop: Header=BB500_982 Depth=2
	ds_read_b32 v60, v72 offset:2048
	v_mov_b32_e32 v154, s77
	s_waitcnt lgkmcnt(0)
	v_lshrrev_b32_e32 v61, s85, v60
	v_and_b32_e32 v61, s94, v61
	v_lshlrev_b32_e32 v61, 2, v61
	ds_read_b32 v152, v61
	v_mov_b32_e32 v61, v4
	v_xor_b32_e32 v159, 0x7fffffff, v60
	s_waitcnt lgkmcnt(0)
	v_add_u32_e32 v60, v152, v9
	v_lshlrev_b64 v[60:61], 2, v[60:61]
	v_add_co_u32_e32 v60, vcc, s76, v60
	v_addc_co_u32_e32 v61, vcc, v154, v61, vcc
	global_store_dword v[60:61], v159, off
	s_or_b64 exec, exec, s[42:43]
	v_cmp_lt_u32_e64 s[42:43], v11, v151
	s_and_saveexec_b64 s[44:45], s[42:43]
	s_cbranch_execnz .LBB500_1079
.LBB500_1064:                           ;   in Loop: Header=BB500_982 Depth=2
	s_or_b64 exec, exec, s[44:45]
	v_cmp_lt_u32_e64 s[44:45], v6, v151
	s_and_saveexec_b64 s[46:47], s[44:45]
	s_cbranch_execz .LBB500_1080
.LBB500_1065:                           ;   in Loop: Header=BB500_982 Depth=2
	ds_read_b32 v60, v72 offset:4096
	v_mov_b32_e32 v154, s77
	s_waitcnt lgkmcnt(0)
	v_lshrrev_b32_e32 v61, s85, v60
	v_and_b32_e32 v61, s94, v61
	v_lshlrev_b32_e32 v61, 2, v61
	ds_read_b32 v152, v61
	v_mov_b32_e32 v61, v4
	v_xor_b32_e32 v159, 0x7fffffff, v60
	s_waitcnt lgkmcnt(0)
	v_add_u32_e32 v60, v152, v6
	v_lshlrev_b64 v[60:61], 2, v[60:61]
	v_add_co_u32_e32 v60, vcc, s76, v60
	v_addc_co_u32_e32 v61, vcc, v154, v61, vcc
	global_store_dword v[60:61], v159, off
	s_or_b64 exec, exec, s[46:47]
	v_cmp_lt_u32_e64 s[46:47], v8, v151
	s_and_saveexec_b64 s[48:49], s[46:47]
	s_cbranch_execnz .LBB500_1081
.LBB500_1066:                           ;   in Loop: Header=BB500_982 Depth=2
	s_or_b64 exec, exec, s[48:49]
	v_cmp_lt_u32_e64 s[48:49], v10, v151
	s_and_saveexec_b64 s[50:51], s[48:49]
	s_cbranch_execz .LBB500_1082
.LBB500_1067:                           ;   in Loop: Header=BB500_982 Depth=2
	ds_read_b32 v60, v72 offset:6144
	v_mov_b32_e32 v154, s77
	s_waitcnt lgkmcnt(0)
	v_lshrrev_b32_e32 v61, s85, v60
	v_and_b32_e32 v61, s94, v61
	v_lshlrev_b32_e32 v61, 2, v61
	ds_read_b32 v152, v61
	v_mov_b32_e32 v61, v4
	v_xor_b32_e32 v159, 0x7fffffff, v60
	s_waitcnt lgkmcnt(0)
	v_add_u32_e32 v60, v152, v10
	v_lshlrev_b64 v[60:61], 2, v[60:61]
	v_add_co_u32_e32 v60, vcc, s76, v60
	v_addc_co_u32_e32 v61, vcc, v154, v61, vcc
	global_store_dword v[60:61], v159, off
	s_or_b64 exec, exec, s[50:51]
	v_cmp_lt_u32_e64 s[50:51], v12, v151
	s_and_saveexec_b64 s[52:53], s[50:51]
	s_cbranch_execnz .LBB500_1083
.LBB500_1068:                           ;   in Loop: Header=BB500_982 Depth=2
	s_or_b64 exec, exec, s[52:53]
	v_cmp_lt_u32_e64 s[52:53], v14, v151
	s_and_saveexec_b64 s[54:55], s[52:53]
	s_cbranch_execz .LBB500_1084
.LBB500_1069:                           ;   in Loop: Header=BB500_982 Depth=2
	ds_read_b32 v60, v72 offset:8192
	v_mov_b32_e32 v154, s77
	s_waitcnt lgkmcnt(0)
	v_lshrrev_b32_e32 v61, s85, v60
	v_and_b32_e32 v61, s94, v61
	v_lshlrev_b32_e32 v61, 2, v61
	ds_read_b32 v152, v61
	v_mov_b32_e32 v61, v4
	v_xor_b32_e32 v159, 0x7fffffff, v60
	s_waitcnt lgkmcnt(0)
	v_add_u32_e32 v60, v152, v14
	v_lshlrev_b64 v[60:61], 2, v[60:61]
	v_add_co_u32_e32 v60, vcc, s76, v60
	v_addc_co_u32_e32 v61, vcc, v154, v61, vcc
	global_store_dword v[60:61], v159, off
	s_or_b64 exec, exec, s[54:55]
	v_cmp_lt_u32_e64 s[54:55], v16, v151
	s_and_saveexec_b64 s[56:57], s[54:55]
	s_cbranch_execnz .LBB500_1085
.LBB500_1070:                           ;   in Loop: Header=BB500_982 Depth=2
	s_or_b64 exec, exec, s[56:57]
	v_cmp_lt_u32_e64 s[56:57], v18, v151
	s_and_saveexec_b64 s[58:59], s[56:57]
	s_cbranch_execz .LBB500_1086
.LBB500_1071:                           ;   in Loop: Header=BB500_982 Depth=2
	ds_read_b32 v60, v72 offset:10240
	v_mov_b32_e32 v154, s77
	s_waitcnt lgkmcnt(0)
	v_lshrrev_b32_e32 v61, s85, v60
	v_and_b32_e32 v61, s94, v61
	v_lshlrev_b32_e32 v61, 2, v61
	ds_read_b32 v152, v61
	v_mov_b32_e32 v61, v4
	v_xor_b32_e32 v159, 0x7fffffff, v60
	s_waitcnt lgkmcnt(0)
	v_add_u32_e32 v60, v152, v18
	v_lshlrev_b64 v[60:61], 2, v[60:61]
	v_add_co_u32_e32 v60, vcc, s76, v60
	v_addc_co_u32_e32 v61, vcc, v154, v61, vcc
	global_store_dword v[60:61], v159, off
	s_or_b64 exec, exec, s[58:59]
	v_cmp_lt_u32_e64 s[58:59], v20, v151
	s_and_saveexec_b64 s[60:61], s[58:59]
	s_cbranch_execnz .LBB500_1087
.LBB500_1072:                           ;   in Loop: Header=BB500_982 Depth=2
	s_or_b64 exec, exec, s[60:61]
	v_cmp_lt_u32_e64 s[60:61], v22, v151
	s_and_saveexec_b64 s[62:63], s[60:61]
	s_cbranch_execz .LBB500_1088
.LBB500_1073:                           ;   in Loop: Header=BB500_982 Depth=2
	ds_read_b32 v60, v72 offset:12288
	v_mov_b32_e32 v154, s77
	s_waitcnt lgkmcnt(0)
	v_lshrrev_b32_e32 v61, s85, v60
	v_and_b32_e32 v61, s94, v61
	v_lshlrev_b32_e32 v61, 2, v61
	ds_read_b32 v152, v61
	v_mov_b32_e32 v61, v4
	v_xor_b32_e32 v159, 0x7fffffff, v60
	s_waitcnt lgkmcnt(0)
	v_add_u32_e32 v60, v152, v22
	v_lshlrev_b64 v[60:61], 2, v[60:61]
	v_add_co_u32_e32 v60, vcc, s76, v60
	v_addc_co_u32_e32 v61, vcc, v154, v61, vcc
	global_store_dword v[60:61], v159, off
	s_or_b64 exec, exec, s[62:63]
	v_cmp_lt_u32_e64 s[62:63], v24, v151
	s_and_saveexec_b64 s[64:65], s[62:63]
	s_cbranch_execnz .LBB500_1089
.LBB500_1074:                           ;   in Loop: Header=BB500_982 Depth=2
	s_or_b64 exec, exec, s[64:65]
	v_cmp_lt_u32_e64 s[64:65], v26, v151
	s_and_saveexec_b64 s[66:67], s[64:65]
	s_cbranch_execz .LBB500_1090
.LBB500_1075:                           ;   in Loop: Header=BB500_982 Depth=2
	ds_read_b32 v60, v72 offset:14336
	v_mov_b32_e32 v154, s77
	s_waitcnt lgkmcnt(0)
	v_lshrrev_b32_e32 v61, s85, v60
	v_and_b32_e32 v61, s94, v61
	v_lshlrev_b32_e32 v61, 2, v61
	ds_read_b32 v152, v61
	v_mov_b32_e32 v61, v4
	v_xor_b32_e32 v159, 0x7fffffff, v60
	s_waitcnt lgkmcnt(0)
	v_add_u32_e32 v60, v152, v26
	v_lshlrev_b64 v[60:61], 2, v[60:61]
	v_add_co_u32_e32 v60, vcc, s76, v60
	v_addc_co_u32_e32 v61, vcc, v154, v61, vcc
	global_store_dword v[60:61], v159, off
	s_or_b64 exec, exec, s[66:67]
	v_cmp_lt_u32_e64 s[66:67], v28, v151
	s_and_saveexec_b64 s[78:79], s[66:67]
	s_cbranch_execnz .LBB500_1091
	s_branch .LBB500_1092
.LBB500_1076:                           ;   in Loop: Header=BB500_982 Depth=2
	s_or_b64 exec, exec, s[38:39]
	v_cmp_lt_u32_e64 s[38:39], v7, v151
	s_and_saveexec_b64 s[40:41], s[38:39]
	s_cbranch_execz .LBB500_1062
.LBB500_1077:                           ;   in Loop: Header=BB500_982 Depth=2
	ds_read_b32 v60, v72 offset:1024
	v_mov_b32_e32 v154, s77
	s_waitcnt lgkmcnt(0)
	v_lshrrev_b32_e32 v61, s85, v60
	v_and_b32_e32 v61, s94, v61
	v_lshlrev_b32_e32 v61, 2, v61
	ds_read_b32 v152, v61
	v_mov_b32_e32 v61, v4
	v_xor_b32_e32 v159, 0x7fffffff, v60
	s_waitcnt lgkmcnt(0)
	v_add_u32_e32 v60, v152, v7
	v_lshlrev_b64 v[60:61], 2, v[60:61]
	v_add_co_u32_e32 v60, vcc, s76, v60
	v_addc_co_u32_e32 v61, vcc, v154, v61, vcc
	global_store_dword v[60:61], v159, off
	s_or_b64 exec, exec, s[40:41]
	v_cmp_lt_u32_e64 s[40:41], v9, v151
	s_and_saveexec_b64 s[42:43], s[40:41]
	s_cbranch_execnz .LBB500_1063
.LBB500_1078:                           ;   in Loop: Header=BB500_982 Depth=2
	s_or_b64 exec, exec, s[42:43]
	v_cmp_lt_u32_e64 s[42:43], v11, v151
	s_and_saveexec_b64 s[44:45], s[42:43]
	s_cbranch_execz .LBB500_1064
.LBB500_1079:                           ;   in Loop: Header=BB500_982 Depth=2
	ds_read_b32 v60, v72 offset:3072
	v_mov_b32_e32 v154, s77
	s_waitcnt lgkmcnt(0)
	v_lshrrev_b32_e32 v61, s85, v60
	v_and_b32_e32 v61, s94, v61
	v_lshlrev_b32_e32 v61, 2, v61
	ds_read_b32 v152, v61
	v_mov_b32_e32 v61, v4
	v_xor_b32_e32 v159, 0x7fffffff, v60
	s_waitcnt lgkmcnt(0)
	v_add_u32_e32 v60, v152, v11
	v_lshlrev_b64 v[60:61], 2, v[60:61]
	v_add_co_u32_e32 v60, vcc, s76, v60
	v_addc_co_u32_e32 v61, vcc, v154, v61, vcc
	global_store_dword v[60:61], v159, off
	s_or_b64 exec, exec, s[44:45]
	v_cmp_lt_u32_e64 s[44:45], v6, v151
	s_and_saveexec_b64 s[46:47], s[44:45]
	s_cbranch_execnz .LBB500_1065
.LBB500_1080:                           ;   in Loop: Header=BB500_982 Depth=2
	s_or_b64 exec, exec, s[46:47]
	v_cmp_lt_u32_e64 s[46:47], v8, v151
	s_and_saveexec_b64 s[48:49], s[46:47]
	s_cbranch_execz .LBB500_1066
.LBB500_1081:                           ;   in Loop: Header=BB500_982 Depth=2
	ds_read_b32 v60, v72 offset:5120
	v_mov_b32_e32 v154, s77
	s_waitcnt lgkmcnt(0)
	v_lshrrev_b32_e32 v61, s85, v60
	v_and_b32_e32 v61, s94, v61
	v_lshlrev_b32_e32 v61, 2, v61
	ds_read_b32 v152, v61
	v_mov_b32_e32 v61, v4
	v_xor_b32_e32 v159, 0x7fffffff, v60
	s_waitcnt lgkmcnt(0)
	v_add_u32_e32 v60, v152, v8
	v_lshlrev_b64 v[60:61], 2, v[60:61]
	v_add_co_u32_e32 v60, vcc, s76, v60
	v_addc_co_u32_e32 v61, vcc, v154, v61, vcc
	global_store_dword v[60:61], v159, off
	s_or_b64 exec, exec, s[48:49]
	v_cmp_lt_u32_e64 s[48:49], v10, v151
	s_and_saveexec_b64 s[50:51], s[48:49]
	s_cbranch_execnz .LBB500_1067
.LBB500_1082:                           ;   in Loop: Header=BB500_982 Depth=2
	s_or_b64 exec, exec, s[50:51]
	v_cmp_lt_u32_e64 s[50:51], v12, v151
	s_and_saveexec_b64 s[52:53], s[50:51]
	s_cbranch_execz .LBB500_1068
.LBB500_1083:                           ;   in Loop: Header=BB500_982 Depth=2
	ds_read_b32 v60, v72 offset:7168
	v_mov_b32_e32 v154, s77
	s_waitcnt lgkmcnt(0)
	v_lshrrev_b32_e32 v61, s85, v60
	v_and_b32_e32 v61, s94, v61
	v_lshlrev_b32_e32 v61, 2, v61
	ds_read_b32 v152, v61
	v_mov_b32_e32 v61, v4
	v_xor_b32_e32 v159, 0x7fffffff, v60
	s_waitcnt lgkmcnt(0)
	v_add_u32_e32 v60, v152, v12
	v_lshlrev_b64 v[60:61], 2, v[60:61]
	v_add_co_u32_e32 v60, vcc, s76, v60
	v_addc_co_u32_e32 v61, vcc, v154, v61, vcc
	global_store_dword v[60:61], v159, off
	s_or_b64 exec, exec, s[52:53]
	v_cmp_lt_u32_e64 s[52:53], v14, v151
	s_and_saveexec_b64 s[54:55], s[52:53]
	s_cbranch_execnz .LBB500_1069
.LBB500_1084:                           ;   in Loop: Header=BB500_982 Depth=2
	s_or_b64 exec, exec, s[54:55]
	v_cmp_lt_u32_e64 s[54:55], v16, v151
	s_and_saveexec_b64 s[56:57], s[54:55]
	s_cbranch_execz .LBB500_1070
.LBB500_1085:                           ;   in Loop: Header=BB500_982 Depth=2
	ds_read_b32 v60, v72 offset:9216
	v_mov_b32_e32 v154, s77
	s_waitcnt lgkmcnt(0)
	v_lshrrev_b32_e32 v61, s85, v60
	v_and_b32_e32 v61, s94, v61
	v_lshlrev_b32_e32 v61, 2, v61
	ds_read_b32 v152, v61
	v_mov_b32_e32 v61, v4
	v_xor_b32_e32 v159, 0x7fffffff, v60
	s_waitcnt lgkmcnt(0)
	v_add_u32_e32 v60, v152, v16
	v_lshlrev_b64 v[60:61], 2, v[60:61]
	v_add_co_u32_e32 v60, vcc, s76, v60
	v_addc_co_u32_e32 v61, vcc, v154, v61, vcc
	global_store_dword v[60:61], v159, off
	s_or_b64 exec, exec, s[56:57]
	v_cmp_lt_u32_e64 s[56:57], v18, v151
	s_and_saveexec_b64 s[58:59], s[56:57]
	s_cbranch_execnz .LBB500_1071
.LBB500_1086:                           ;   in Loop: Header=BB500_982 Depth=2
	s_or_b64 exec, exec, s[58:59]
	v_cmp_lt_u32_e64 s[58:59], v20, v151
	s_and_saveexec_b64 s[60:61], s[58:59]
	s_cbranch_execz .LBB500_1072
.LBB500_1087:                           ;   in Loop: Header=BB500_982 Depth=2
	ds_read_b32 v60, v72 offset:11264
	v_mov_b32_e32 v154, s77
	s_waitcnt lgkmcnt(0)
	v_lshrrev_b32_e32 v61, s85, v60
	v_and_b32_e32 v61, s94, v61
	v_lshlrev_b32_e32 v61, 2, v61
	ds_read_b32 v152, v61
	v_mov_b32_e32 v61, v4
	v_xor_b32_e32 v159, 0x7fffffff, v60
	s_waitcnt lgkmcnt(0)
	v_add_u32_e32 v60, v152, v20
	v_lshlrev_b64 v[60:61], 2, v[60:61]
	v_add_co_u32_e32 v60, vcc, s76, v60
	v_addc_co_u32_e32 v61, vcc, v154, v61, vcc
	global_store_dword v[60:61], v159, off
	s_or_b64 exec, exec, s[60:61]
	v_cmp_lt_u32_e64 s[60:61], v22, v151
	s_and_saveexec_b64 s[62:63], s[60:61]
	s_cbranch_execnz .LBB500_1073
.LBB500_1088:                           ;   in Loop: Header=BB500_982 Depth=2
	s_or_b64 exec, exec, s[62:63]
	v_cmp_lt_u32_e64 s[62:63], v24, v151
	s_and_saveexec_b64 s[64:65], s[62:63]
	s_cbranch_execz .LBB500_1074
.LBB500_1089:                           ;   in Loop: Header=BB500_982 Depth=2
	ds_read_b32 v60, v72 offset:13312
	v_mov_b32_e32 v154, s77
	s_waitcnt lgkmcnt(0)
	v_lshrrev_b32_e32 v61, s85, v60
	v_and_b32_e32 v61, s94, v61
	v_lshlrev_b32_e32 v61, 2, v61
	ds_read_b32 v152, v61
	v_mov_b32_e32 v61, v4
	v_xor_b32_e32 v159, 0x7fffffff, v60
	s_waitcnt lgkmcnt(0)
	v_add_u32_e32 v60, v152, v24
	v_lshlrev_b64 v[60:61], 2, v[60:61]
	v_add_co_u32_e32 v60, vcc, s76, v60
	v_addc_co_u32_e32 v61, vcc, v154, v61, vcc
	global_store_dword v[60:61], v159, off
	s_or_b64 exec, exec, s[64:65]
	v_cmp_lt_u32_e64 s[64:65], v26, v151
	s_and_saveexec_b64 s[66:67], s[64:65]
	s_cbranch_execnz .LBB500_1075
.LBB500_1090:                           ;   in Loop: Header=BB500_982 Depth=2
	s_or_b64 exec, exec, s[66:67]
	v_cmp_lt_u32_e64 s[66:67], v28, v151
	s_and_saveexec_b64 s[78:79], s[66:67]
	s_cbranch_execz .LBB500_1092
.LBB500_1091:                           ;   in Loop: Header=BB500_982 Depth=2
	ds_read_b32 v60, v72 offset:15360
	v_mov_b32_e32 v154, s77
	s_waitcnt lgkmcnt(0)
	v_lshrrev_b32_e32 v61, s85, v60
	v_and_b32_e32 v61, s94, v61
	v_lshlrev_b32_e32 v61, 2, v61
	ds_read_b32 v152, v61
	v_mov_b32_e32 v61, v4
	v_xor_b32_e32 v159, 0x7fffffff, v60
	s_waitcnt lgkmcnt(0)
	v_add_u32_e32 v60, v152, v28
	v_lshlrev_b64 v[60:61], 2, v[60:61]
	v_add_co_u32_e32 v60, vcc, s76, v60
	v_addc_co_u32_e32 v61, vcc, v154, v61, vcc
	global_store_dword v[60:61], v159, off
.LBB500_1092:                           ;   in Loop: Header=BB500_982 Depth=2
	s_or_b64 exec, exec, s[78:79]
	s_lshl_b64 s[78:79], s[88:89], 3
	v_mov_b32_e32 v61, s79
	v_add_co_u32_e32 v60, vcc, s78, v128
	v_addc_co_u32_e32 v61, vcc, v129, v61, vcc
	v_cmp_lt_u32_e32 vcc, v109, v151
	s_and_saveexec_b64 s[78:79], vcc
	s_xor_b64 s[78:79], exec, s[78:79]
	s_cbranch_execz .LBB500_1124
; %bb.1093:                             ;   in Loop: Header=BB500_982 Depth=2
	global_load_dwordx2 v[58:59], v[60:61], off
	s_or_b64 exec, exec, s[78:79]
	v_cmp_lt_u32_e32 vcc, v110, v151
	s_and_saveexec_b64 s[78:79], vcc
	s_cbranch_execnz .LBB500_1125
.LBB500_1094:                           ;   in Loop: Header=BB500_982 Depth=2
	s_or_b64 exec, exec, s[78:79]
	v_cmp_lt_u32_e32 vcc, v111, v151
	s_and_saveexec_b64 s[78:79], vcc
	s_cbranch_execz .LBB500_1126
.LBB500_1095:                           ;   in Loop: Header=BB500_982 Depth=2
	global_load_dwordx2 v[54:55], v[60:61], off offset:1024
	s_or_b64 exec, exec, s[78:79]
	v_cmp_lt_u32_e32 vcc, v112, v151
	s_and_saveexec_b64 s[78:79], vcc
	s_cbranch_execnz .LBB500_1127
.LBB500_1096:                           ;   in Loop: Header=BB500_982 Depth=2
	s_or_b64 exec, exec, s[78:79]
	v_cmp_lt_u32_e32 vcc, v113, v151
	s_and_saveexec_b64 s[78:79], vcc
	s_cbranch_execz .LBB500_1128
.LBB500_1097:                           ;   in Loop: Header=BB500_982 Depth=2
	global_load_dwordx2 v[46:47], v[60:61], off offset:2048
	s_or_b64 exec, exec, s[78:79]
	v_cmp_lt_u32_e32 vcc, v114, v151
	s_and_saveexec_b64 s[78:79], vcc
	s_cbranch_execnz .LBB500_1129
.LBB500_1098:                           ;   in Loop: Header=BB500_982 Depth=2
	s_or_b64 exec, exec, s[78:79]
	v_cmp_lt_u32_e32 vcc, v115, v151
	s_and_saveexec_b64 s[78:79], vcc
	s_cbranch_execz .LBB500_1130
.LBB500_1099:                           ;   in Loop: Header=BB500_982 Depth=2
	global_load_dwordx2 v[38:39], v[60:61], off offset:3072
	s_or_b64 exec, exec, s[78:79]
	v_cmp_lt_u32_e32 vcc, v116, v151
	s_and_saveexec_b64 s[78:79], vcc
	s_cbranch_execnz .LBB500_1131
.LBB500_1100:                           ;   in Loop: Header=BB500_982 Depth=2
	s_or_b64 exec, exec, s[78:79]
	v_cmp_lt_u32_e32 vcc, v117, v151
	s_and_saveexec_b64 s[78:79], vcc
	s_cbranch_execz .LBB500_1132
.LBB500_1101:                           ;   in Loop: Header=BB500_982 Depth=2
	v_add_co_u32_e32 v52, vcc, 0x1000, v60
	v_addc_co_u32_e32 v53, vcc, 0, v61, vcc
	global_load_dwordx2 v[52:53], v[52:53], off
	s_or_b64 exec, exec, s[78:79]
	v_cmp_lt_u32_e32 vcc, v118, v151
	s_and_saveexec_b64 s[78:79], vcc
	s_cbranch_execnz .LBB500_1133
.LBB500_1102:                           ;   in Loop: Header=BB500_982 Depth=2
	s_or_b64 exec, exec, s[78:79]
	v_cmp_lt_u32_e32 vcc, v119, v151
	s_and_saveexec_b64 s[78:79], vcc
	s_cbranch_execz .LBB500_1134
.LBB500_1103:                           ;   in Loop: Header=BB500_982 Depth=2
	v_add_co_u32_e32 v44, vcc, 0x1000, v60
	v_addc_co_u32_e32 v45, vcc, 0, v61, vcc
	global_load_dwordx2 v[44:45], v[44:45], off offset:1024
	s_or_b64 exec, exec, s[78:79]
	v_cmp_lt_u32_e32 vcc, v120, v151
	s_and_saveexec_b64 s[78:79], vcc
	s_cbranch_execnz .LBB500_1135
.LBB500_1104:                           ;   in Loop: Header=BB500_982 Depth=2
	s_or_b64 exec, exec, s[78:79]
	v_cmp_lt_u32_e32 vcc, v121, v151
	s_and_saveexec_b64 s[78:79], vcc
	s_cbranch_execz .LBB500_1136
.LBB500_1105:                           ;   in Loop: Header=BB500_982 Depth=2
	v_add_co_u32_e32 v36, vcc, 0x1000, v60
	v_addc_co_u32_e32 v37, vcc, 0, v61, vcc
	global_load_dwordx2 v[36:37], v[36:37], off offset:2048
	s_or_b64 exec, exec, s[78:79]
	v_cmp_lt_u32_e32 vcc, v122, v151
	s_and_saveexec_b64 s[78:79], vcc
	s_cbranch_execnz .LBB500_1137
.LBB500_1106:                           ;   in Loop: Header=BB500_982 Depth=2
	s_or_b64 exec, exec, s[78:79]
	v_cmp_lt_u32_e32 vcc, v123, v151
	s_and_saveexec_b64 s[78:79], vcc
	s_cbranch_execz .LBB500_1138
.LBB500_1107:                           ;   in Loop: Header=BB500_982 Depth=2
	v_add_co_u32_e32 v30, vcc, 0x1000, v60
	v_addc_co_u32_e32 v31, vcc, 0, v61, vcc
	global_load_dwordx2 v[30:31], v[30:31], off offset:3072
	s_or_b64 exec, exec, s[78:79]
	v_cmp_lt_u32_e32 vcc, v124, v151
	s_and_saveexec_b64 s[78:79], vcc
	s_cbranch_execnz .LBB500_1139
.LBB500_1108:                           ;   in Loop: Header=BB500_982 Depth=2
	s_or_b64 exec, exec, s[78:79]
	s_and_saveexec_b64 s[78:79], s[36:37]
	s_cbranch_execz .LBB500_1140
.LBB500_1109:                           ;   in Loop: Header=BB500_982 Depth=2
	ds_read_b32 v60, v173 offset:1024
	s_waitcnt lgkmcnt(0)
	v_lshrrev_b32_e32 v60, s85, v60
	v_and_b32_e32 v149, s94, v60
	s_or_b64 exec, exec, s[78:79]
	s_and_saveexec_b64 s[78:79], s[38:39]
	s_cbranch_execnz .LBB500_1141
.LBB500_1110:                           ;   in Loop: Header=BB500_982 Depth=2
	s_or_b64 exec, exec, s[78:79]
	s_and_saveexec_b64 s[78:79], s[40:41]
	s_cbranch_execz .LBB500_1142
.LBB500_1111:                           ;   in Loop: Header=BB500_982 Depth=2
	ds_read_b32 v60, v72 offset:2048
	s_waitcnt lgkmcnt(0)
	v_lshrrev_b32_e32 v60, s85, v60
	v_and_b32_e32 v146, s94, v60
	s_or_b64 exec, exec, s[78:79]
	s_and_saveexec_b64 s[78:79], s[42:43]
	s_cbranch_execnz .LBB500_1143
.LBB500_1112:                           ;   in Loop: Header=BB500_982 Depth=2
	s_or_b64 exec, exec, s[78:79]
	s_and_saveexec_b64 s[78:79], s[44:45]
	s_cbranch_execz .LBB500_1144
.LBB500_1113:                           ;   in Loop: Header=BB500_982 Depth=2
	ds_read_b32 v60, v72 offset:4096
	s_waitcnt lgkmcnt(0)
	v_lshrrev_b32_e32 v60, s85, v60
	v_and_b32_e32 v143, s94, v60
	s_or_b64 exec, exec, s[78:79]
	s_and_saveexec_b64 s[78:79], s[46:47]
	s_cbranch_execnz .LBB500_1145
.LBB500_1114:                           ;   in Loop: Header=BB500_982 Depth=2
	s_or_b64 exec, exec, s[78:79]
	s_and_saveexec_b64 s[78:79], s[48:49]
	s_cbranch_execz .LBB500_1146
.LBB500_1115:                           ;   in Loop: Header=BB500_982 Depth=2
	ds_read_b32 v60, v72 offset:6144
	s_waitcnt lgkmcnt(0)
	v_lshrrev_b32_e32 v60, s85, v60
	v_and_b32_e32 v141, s94, v60
	s_or_b64 exec, exec, s[78:79]
	s_and_saveexec_b64 s[78:79], s[50:51]
	s_cbranch_execnz .LBB500_1147
.LBB500_1116:                           ;   in Loop: Header=BB500_982 Depth=2
	s_or_b64 exec, exec, s[78:79]
	s_and_saveexec_b64 s[78:79], s[52:53]
	s_cbranch_execz .LBB500_1148
.LBB500_1117:                           ;   in Loop: Header=BB500_982 Depth=2
	ds_read_b32 v60, v72 offset:8192
	s_waitcnt lgkmcnt(0)
	v_lshrrev_b32_e32 v60, s85, v60
	v_and_b32_e32 v139, s94, v60
	s_or_b64 exec, exec, s[78:79]
	s_and_saveexec_b64 s[78:79], s[54:55]
	s_cbranch_execnz .LBB500_1149
.LBB500_1118:                           ;   in Loop: Header=BB500_982 Depth=2
	s_or_b64 exec, exec, s[78:79]
	s_and_saveexec_b64 s[78:79], s[56:57]
	s_cbranch_execz .LBB500_1150
.LBB500_1119:                           ;   in Loop: Header=BB500_982 Depth=2
	ds_read_b32 v60, v72 offset:10240
	s_waitcnt lgkmcnt(0)
	v_lshrrev_b32_e32 v60, s85, v60
	v_and_b32_e32 v137, s94, v60
	s_or_b64 exec, exec, s[78:79]
	s_and_saveexec_b64 s[78:79], s[58:59]
	s_cbranch_execnz .LBB500_1151
.LBB500_1120:                           ;   in Loop: Header=BB500_982 Depth=2
	s_or_b64 exec, exec, s[78:79]
	s_and_saveexec_b64 s[78:79], s[60:61]
	s_cbranch_execz .LBB500_1152
.LBB500_1121:                           ;   in Loop: Header=BB500_982 Depth=2
	ds_read_b32 v60, v72 offset:12288
	s_waitcnt lgkmcnt(0)
	v_lshrrev_b32_e32 v60, s85, v60
	v_and_b32_e32 v135, s94, v60
	s_or_b64 exec, exec, s[78:79]
	s_and_saveexec_b64 s[78:79], s[62:63]
	s_cbranch_execnz .LBB500_1153
.LBB500_1122:                           ;   in Loop: Header=BB500_982 Depth=2
	s_or_b64 exec, exec, s[78:79]
	s_and_saveexec_b64 s[78:79], s[64:65]
	s_cbranch_execz .LBB500_1154
.LBB500_1123:                           ;   in Loop: Header=BB500_982 Depth=2
	ds_read_b32 v60, v72 offset:14336
	s_waitcnt lgkmcnt(0)
	v_lshrrev_b32_e32 v60, s85, v60
	v_and_b32_e32 v133, s94, v60
	s_or_b64 exec, exec, s[78:79]
	s_and_saveexec_b64 s[78:79], s[66:67]
	s_cbranch_execnz .LBB500_1155
	s_branch .LBB500_1156
.LBB500_1124:                           ;   in Loop: Header=BB500_982 Depth=2
	s_or_b64 exec, exec, s[78:79]
	v_cmp_lt_u32_e32 vcc, v110, v151
	s_and_saveexec_b64 s[78:79], vcc
	s_cbranch_execz .LBB500_1094
.LBB500_1125:                           ;   in Loop: Header=BB500_982 Depth=2
	global_load_dwordx2 v[56:57], v[60:61], off offset:512
	s_or_b64 exec, exec, s[78:79]
	v_cmp_lt_u32_e32 vcc, v111, v151
	s_and_saveexec_b64 s[78:79], vcc
	s_cbranch_execnz .LBB500_1095
.LBB500_1126:                           ;   in Loop: Header=BB500_982 Depth=2
	s_or_b64 exec, exec, s[78:79]
	v_cmp_lt_u32_e32 vcc, v112, v151
	s_and_saveexec_b64 s[78:79], vcc
	s_cbranch_execz .LBB500_1096
.LBB500_1127:                           ;   in Loop: Header=BB500_982 Depth=2
	global_load_dwordx2 v[50:51], v[60:61], off offset:1536
	s_or_b64 exec, exec, s[78:79]
	v_cmp_lt_u32_e32 vcc, v113, v151
	s_and_saveexec_b64 s[78:79], vcc
	s_cbranch_execnz .LBB500_1097
.LBB500_1128:                           ;   in Loop: Header=BB500_982 Depth=2
	s_or_b64 exec, exec, s[78:79]
	v_cmp_lt_u32_e32 vcc, v114, v151
	s_and_saveexec_b64 s[78:79], vcc
	s_cbranch_execz .LBB500_1098
.LBB500_1129:                           ;   in Loop: Header=BB500_982 Depth=2
	global_load_dwordx2 v[42:43], v[60:61], off offset:2560
	s_or_b64 exec, exec, s[78:79]
	v_cmp_lt_u32_e32 vcc, v115, v151
	s_and_saveexec_b64 s[78:79], vcc
	s_cbranch_execnz .LBB500_1099
.LBB500_1130:                           ;   in Loop: Header=BB500_982 Depth=2
	s_or_b64 exec, exec, s[78:79]
	v_cmp_lt_u32_e32 vcc, v116, v151
	s_and_saveexec_b64 s[78:79], vcc
	s_cbranch_execz .LBB500_1100
.LBB500_1131:                           ;   in Loop: Header=BB500_982 Depth=2
	global_load_dwordx2 v[34:35], v[60:61], off offset:3584
	s_or_b64 exec, exec, s[78:79]
	v_cmp_lt_u32_e32 vcc, v117, v151
	s_and_saveexec_b64 s[78:79], vcc
	s_cbranch_execnz .LBB500_1101
.LBB500_1132:                           ;   in Loop: Header=BB500_982 Depth=2
	s_or_b64 exec, exec, s[78:79]
	v_cmp_lt_u32_e32 vcc, v118, v151
	s_and_saveexec_b64 s[78:79], vcc
	s_cbranch_execz .LBB500_1102
.LBB500_1133:                           ;   in Loop: Header=BB500_982 Depth=2
	v_add_co_u32_e32 v48, vcc, 0x1000, v60
	v_addc_co_u32_e32 v49, vcc, 0, v61, vcc
	global_load_dwordx2 v[48:49], v[48:49], off offset:512
	s_or_b64 exec, exec, s[78:79]
	v_cmp_lt_u32_e32 vcc, v119, v151
	s_and_saveexec_b64 s[78:79], vcc
	s_cbranch_execnz .LBB500_1103
.LBB500_1134:                           ;   in Loop: Header=BB500_982 Depth=2
	s_or_b64 exec, exec, s[78:79]
	v_cmp_lt_u32_e32 vcc, v120, v151
	s_and_saveexec_b64 s[78:79], vcc
	s_cbranch_execz .LBB500_1104
.LBB500_1135:                           ;   in Loop: Header=BB500_982 Depth=2
	v_add_co_u32_e32 v40, vcc, 0x1000, v60
	v_addc_co_u32_e32 v41, vcc, 0, v61, vcc
	global_load_dwordx2 v[40:41], v[40:41], off offset:1536
	s_or_b64 exec, exec, s[78:79]
	v_cmp_lt_u32_e32 vcc, v121, v151
	s_and_saveexec_b64 s[78:79], vcc
	s_cbranch_execnz .LBB500_1105
.LBB500_1136:                           ;   in Loop: Header=BB500_982 Depth=2
	s_or_b64 exec, exec, s[78:79]
	v_cmp_lt_u32_e32 vcc, v122, v151
	s_and_saveexec_b64 s[78:79], vcc
	s_cbranch_execz .LBB500_1106
.LBB500_1137:                           ;   in Loop: Header=BB500_982 Depth=2
	v_add_co_u32_e32 v32, vcc, 0x1000, v60
	v_addc_co_u32_e32 v33, vcc, 0, v61, vcc
	global_load_dwordx2 v[32:33], v[32:33], off offset:2560
	s_or_b64 exec, exec, s[78:79]
	v_cmp_lt_u32_e32 vcc, v123, v151
	s_and_saveexec_b64 s[78:79], vcc
	s_cbranch_execnz .LBB500_1107
.LBB500_1138:                           ;   in Loop: Header=BB500_982 Depth=2
	s_or_b64 exec, exec, s[78:79]
	v_cmp_lt_u32_e32 vcc, v124, v151
	s_and_saveexec_b64 s[78:79], vcc
	s_cbranch_execz .LBB500_1108
.LBB500_1139:                           ;   in Loop: Header=BB500_982 Depth=2
	v_add_co_u32_e32 v0, vcc, 0x1000, v60
	v_addc_co_u32_e32 v1, vcc, 0, v61, vcc
	global_load_dwordx2 v[0:1], v[0:1], off offset:3584
	s_or_b64 exec, exec, s[78:79]
	s_and_saveexec_b64 s[78:79], s[36:37]
	s_cbranch_execnz .LBB500_1109
.LBB500_1140:                           ;   in Loop: Header=BB500_982 Depth=2
	s_or_b64 exec, exec, s[78:79]
	s_and_saveexec_b64 s[78:79], s[38:39]
	s_cbranch_execz .LBB500_1110
.LBB500_1141:                           ;   in Loop: Header=BB500_982 Depth=2
	ds_read_b32 v60, v72 offset:1024
	s_waitcnt lgkmcnt(0)
	v_lshrrev_b32_e32 v60, s85, v60
	v_and_b32_e32 v147, s94, v60
	s_or_b64 exec, exec, s[78:79]
	s_and_saveexec_b64 s[78:79], s[40:41]
	s_cbranch_execnz .LBB500_1111
.LBB500_1142:                           ;   in Loop: Header=BB500_982 Depth=2
	s_or_b64 exec, exec, s[78:79]
	s_and_saveexec_b64 s[78:79], s[42:43]
	s_cbranch_execz .LBB500_1112
.LBB500_1143:                           ;   in Loop: Header=BB500_982 Depth=2
	ds_read_b32 v60, v72 offset:3072
	s_waitcnt lgkmcnt(0)
	v_lshrrev_b32_e32 v60, s85, v60
	v_and_b32_e32 v144, s94, v60
	s_or_b64 exec, exec, s[78:79]
	s_and_saveexec_b64 s[78:79], s[44:45]
	s_cbranch_execnz .LBB500_1113
.LBB500_1144:                           ;   in Loop: Header=BB500_982 Depth=2
	s_or_b64 exec, exec, s[78:79]
	s_and_saveexec_b64 s[78:79], s[46:47]
	s_cbranch_execz .LBB500_1114
.LBB500_1145:                           ;   in Loop: Header=BB500_982 Depth=2
	ds_read_b32 v60, v72 offset:5120
	s_waitcnt lgkmcnt(0)
	v_lshrrev_b32_e32 v60, s85, v60
	v_and_b32_e32 v142, s94, v60
	s_or_b64 exec, exec, s[78:79]
	s_and_saveexec_b64 s[78:79], s[48:49]
	s_cbranch_execnz .LBB500_1115
.LBB500_1146:                           ;   in Loop: Header=BB500_982 Depth=2
	s_or_b64 exec, exec, s[78:79]
	s_and_saveexec_b64 s[78:79], s[50:51]
	s_cbranch_execz .LBB500_1116
.LBB500_1147:                           ;   in Loop: Header=BB500_982 Depth=2
	ds_read_b32 v60, v72 offset:7168
	s_waitcnt lgkmcnt(0)
	v_lshrrev_b32_e32 v60, s85, v60
	v_and_b32_e32 v140, s94, v60
	s_or_b64 exec, exec, s[78:79]
	s_and_saveexec_b64 s[78:79], s[52:53]
	s_cbranch_execnz .LBB500_1117
.LBB500_1148:                           ;   in Loop: Header=BB500_982 Depth=2
	s_or_b64 exec, exec, s[78:79]
	s_and_saveexec_b64 s[78:79], s[54:55]
	s_cbranch_execz .LBB500_1118
.LBB500_1149:                           ;   in Loop: Header=BB500_982 Depth=2
	ds_read_b32 v60, v72 offset:9216
	s_waitcnt lgkmcnt(0)
	v_lshrrev_b32_e32 v60, s85, v60
	v_and_b32_e32 v138, s94, v60
	s_or_b64 exec, exec, s[78:79]
	s_and_saveexec_b64 s[78:79], s[56:57]
	s_cbranch_execnz .LBB500_1119
.LBB500_1150:                           ;   in Loop: Header=BB500_982 Depth=2
	s_or_b64 exec, exec, s[78:79]
	s_and_saveexec_b64 s[78:79], s[58:59]
	s_cbranch_execz .LBB500_1120
.LBB500_1151:                           ;   in Loop: Header=BB500_982 Depth=2
	ds_read_b32 v60, v72 offset:11264
	s_waitcnt lgkmcnt(0)
	v_lshrrev_b32_e32 v60, s85, v60
	v_and_b32_e32 v136, s94, v60
	s_or_b64 exec, exec, s[78:79]
	s_and_saveexec_b64 s[78:79], s[60:61]
	s_cbranch_execnz .LBB500_1121
.LBB500_1152:                           ;   in Loop: Header=BB500_982 Depth=2
	s_or_b64 exec, exec, s[78:79]
	s_and_saveexec_b64 s[78:79], s[62:63]
	s_cbranch_execz .LBB500_1122
.LBB500_1153:                           ;   in Loop: Header=BB500_982 Depth=2
	ds_read_b32 v60, v72 offset:13312
	s_waitcnt lgkmcnt(0)
	v_lshrrev_b32_e32 v60, s85, v60
	v_and_b32_e32 v134, s94, v60
	s_or_b64 exec, exec, s[78:79]
	s_and_saveexec_b64 s[78:79], s[64:65]
	s_cbranch_execnz .LBB500_1123
.LBB500_1154:                           ;   in Loop: Header=BB500_982 Depth=2
	s_or_b64 exec, exec, s[78:79]
	s_and_saveexec_b64 s[78:79], s[66:67]
	s_cbranch_execz .LBB500_1156
.LBB500_1155:                           ;   in Loop: Header=BB500_982 Depth=2
	ds_read_b32 v60, v72 offset:15360
	s_waitcnt lgkmcnt(0)
	v_lshrrev_b32_e32 v60, s85, v60
	v_and_b32_e32 v132, s94, v60
.LBB500_1156:                           ;   in Loop: Header=BB500_982 Depth=2
	s_or_b64 exec, exec, s[78:79]
	v_lshlrev_b32_e32 v60, 3, v172
	s_barrier
	s_waitcnt vmcnt(0)
	ds_write_b64 v60, v[58:59] offset:1024
	v_lshlrev_b32_e32 v60, 3, v168
	ds_write_b64 v60, v[56:57] offset:1024
	v_lshlrev_b32_e32 v60, 3, v167
	ds_write_b64 v60, v[54:55] offset:1024
	v_lshlrev_b32_e32 v60, 3, v166
	ds_write_b64 v60, v[50:51] offset:1024
	v_lshlrev_b32_e32 v60, 3, v165
	ds_write_b64 v60, v[46:47] offset:1024
	v_lshlrev_b32_e32 v60, 3, v163
	ds_write_b64 v60, v[42:43] offset:1024
	v_lshlrev_b32_e32 v60, 3, v162
	ds_write_b64 v60, v[38:39] offset:1024
	v_lshlrev_b32_e32 v60, 3, v161
	ds_write_b64 v60, v[34:35] offset:1024
	v_lshlrev_b32_e32 v60, 3, v160
	ds_write_b64 v60, v[52:53] offset:1024
	v_lshlrev_b32_e32 v60, 3, v158
	ds_write_b64 v60, v[48:49] offset:1024
	v_lshlrev_b32_e32 v60, 3, v157
	ds_write_b64 v60, v[44:45] offset:1024
	v_lshlrev_b32_e32 v60, 3, v156
	ds_write_b64 v60, v[40:41] offset:1024
	v_lshlrev_b32_e32 v60, 3, v155
	ds_write_b64 v60, v[36:37] offset:1024
	v_lshlrev_b32_e32 v60, 3, v153
	ds_write_b64 v60, v[32:33] offset:1024
	v_lshlrev_b32_e32 v60, 3, v63
	ds_write_b64 v60, v[30:31] offset:1024
	v_lshlrev_b32_e32 v60, 3, v62
	ds_write_b64 v60, v[0:1] offset:1024
	s_waitcnt lgkmcnt(0)
	s_barrier
	s_and_saveexec_b64 s[78:79], s[36:37]
	s_cbranch_execz .LBB500_1172
; %bb.1157:                             ;   in Loop: Header=BB500_982 Depth=2
	v_lshlrev_b32_e32 v60, 2, v149
	ds_read_b32 v62, v60
	ds_read_b64 v[60:61], v73 offset:1024
	v_mov_b32_e32 v63, v4
	v_mov_b32_e32 v151, s83
	s_waitcnt lgkmcnt(1)
	v_add_u32_e32 v62, v62, v2
	v_lshlrev_b64 v[62:63], 3, v[62:63]
	v_add_co_u32_e32 v62, vcc, s82, v62
	v_addc_co_u32_e32 v63, vcc, v151, v63, vcc
	s_waitcnt lgkmcnt(0)
	global_store_dwordx2 v[62:63], v[60:61], off
	s_or_b64 exec, exec, s[78:79]
	v_add_u32_e32 v60, v72, v3
	s_and_saveexec_b64 s[36:37], s[38:39]
	s_cbranch_execnz .LBB500_1173
.LBB500_1158:                           ;   in Loop: Header=BB500_982 Depth=2
	s_or_b64 exec, exec, s[36:37]
	s_and_saveexec_b64 s[36:37], s[40:41]
	s_cbranch_execz .LBB500_1174
.LBB500_1159:                           ;   in Loop: Header=BB500_982 Depth=2
	v_lshlrev_b32_e32 v61, 2, v146
	ds_read_b32 v61, v61
	ds_read_b64 v[62:63], v60 offset:4096
	v_mov_b32_e32 v153, v4
	v_mov_b32_e32 v151, s83
	s_waitcnt lgkmcnt(1)
	v_add_u32_e32 v152, v61, v9
	v_lshlrev_b64 v[152:153], 3, v[152:153]
	v_add_co_u32_e32 v152, vcc, s82, v152
	v_addc_co_u32_e32 v153, vcc, v151, v153, vcc
	s_waitcnt lgkmcnt(0)
	global_store_dwordx2 v[152:153], v[62:63], off
	s_or_b64 exec, exec, s[36:37]
	s_and_saveexec_b64 s[36:37], s[42:43]
	s_cbranch_execnz .LBB500_1175
.LBB500_1160:                           ;   in Loop: Header=BB500_982 Depth=2
	s_or_b64 exec, exec, s[36:37]
	s_and_saveexec_b64 s[36:37], s[44:45]
	s_cbranch_execz .LBB500_1176
.LBB500_1161:                           ;   in Loop: Header=BB500_982 Depth=2
	v_lshlrev_b32_e32 v61, 2, v143
	ds_read_b32 v61, v61
	ds_read_b64 v[62:63], v60 offset:8192
	v_mov_b32_e32 v153, v4
	v_mov_b32_e32 v151, s83
	s_waitcnt lgkmcnt(1)
	v_add_u32_e32 v152, v61, v6
	v_lshlrev_b64 v[152:153], 3, v[152:153]
	v_add_co_u32_e32 v152, vcc, s82, v152
	v_addc_co_u32_e32 v153, vcc, v151, v153, vcc
	s_waitcnt lgkmcnt(0)
	global_store_dwordx2 v[152:153], v[62:63], off
	s_or_b64 exec, exec, s[36:37]
	s_and_saveexec_b64 s[36:37], s[46:47]
	s_cbranch_execnz .LBB500_1177
.LBB500_1162:                           ;   in Loop: Header=BB500_982 Depth=2
	s_or_b64 exec, exec, s[36:37]
	s_and_saveexec_b64 s[36:37], s[48:49]
	s_cbranch_execz .LBB500_1178
.LBB500_1163:                           ;   in Loop: Header=BB500_982 Depth=2
	v_lshlrev_b32_e32 v61, 2, v141
	ds_read_b32 v61, v61
	ds_read_b64 v[62:63], v60 offset:12288
	v_mov_b32_e32 v153, v4
	v_mov_b32_e32 v151, s83
	s_waitcnt lgkmcnt(1)
	v_add_u32_e32 v152, v61, v10
	v_lshlrev_b64 v[152:153], 3, v[152:153]
	v_add_co_u32_e32 v152, vcc, s82, v152
	v_addc_co_u32_e32 v153, vcc, v151, v153, vcc
	s_waitcnt lgkmcnt(0)
	global_store_dwordx2 v[152:153], v[62:63], off
	s_or_b64 exec, exec, s[36:37]
	s_and_saveexec_b64 s[36:37], s[50:51]
	s_cbranch_execnz .LBB500_1179
.LBB500_1164:                           ;   in Loop: Header=BB500_982 Depth=2
	s_or_b64 exec, exec, s[36:37]
	s_and_saveexec_b64 s[36:37], s[52:53]
	s_cbranch_execz .LBB500_1180
.LBB500_1165:                           ;   in Loop: Header=BB500_982 Depth=2
	v_lshlrev_b32_e32 v61, 2, v139
	ds_read_b32 v61, v61
	ds_read_b64 v[62:63], v60 offset:16384
	v_mov_b32_e32 v153, v4
	v_mov_b32_e32 v151, s83
	s_waitcnt lgkmcnt(1)
	v_add_u32_e32 v152, v61, v14
	v_lshlrev_b64 v[152:153], 3, v[152:153]
	v_add_co_u32_e32 v152, vcc, s82, v152
	v_addc_co_u32_e32 v153, vcc, v151, v153, vcc
	s_waitcnt lgkmcnt(0)
	global_store_dwordx2 v[152:153], v[62:63], off
	s_or_b64 exec, exec, s[36:37]
	s_and_saveexec_b64 s[36:37], s[54:55]
	s_cbranch_execnz .LBB500_1181
.LBB500_1166:                           ;   in Loop: Header=BB500_982 Depth=2
	s_or_b64 exec, exec, s[36:37]
	s_and_saveexec_b64 s[36:37], s[56:57]
	s_cbranch_execz .LBB500_1182
.LBB500_1167:                           ;   in Loop: Header=BB500_982 Depth=2
	v_lshlrev_b32_e32 v61, 2, v137
	ds_read_b32 v61, v61
	ds_read_b64 v[62:63], v60 offset:20480
	v_mov_b32_e32 v153, v4
	v_mov_b32_e32 v151, s83
	s_waitcnt lgkmcnt(1)
	v_add_u32_e32 v152, v61, v18
	v_lshlrev_b64 v[152:153], 3, v[152:153]
	v_add_co_u32_e32 v152, vcc, s82, v152
	v_addc_co_u32_e32 v153, vcc, v151, v153, vcc
	s_waitcnt lgkmcnt(0)
	global_store_dwordx2 v[152:153], v[62:63], off
	s_or_b64 exec, exec, s[36:37]
	s_and_saveexec_b64 s[36:37], s[58:59]
	s_cbranch_execnz .LBB500_1183
.LBB500_1168:                           ;   in Loop: Header=BB500_982 Depth=2
	s_or_b64 exec, exec, s[36:37]
	s_and_saveexec_b64 s[36:37], s[60:61]
	s_cbranch_execz .LBB500_1184
.LBB500_1169:                           ;   in Loop: Header=BB500_982 Depth=2
	v_lshlrev_b32_e32 v61, 2, v135
	ds_read_b32 v61, v61
	ds_read_b64 v[62:63], v60 offset:24576
	v_mov_b32_e32 v153, v4
	v_mov_b32_e32 v151, s83
	s_waitcnt lgkmcnt(1)
	v_add_u32_e32 v152, v61, v22
	v_lshlrev_b64 v[152:153], 3, v[152:153]
	v_add_co_u32_e32 v152, vcc, s82, v152
	v_addc_co_u32_e32 v153, vcc, v151, v153, vcc
	s_waitcnt lgkmcnt(0)
	global_store_dwordx2 v[152:153], v[62:63], off
	s_or_b64 exec, exec, s[36:37]
	s_and_saveexec_b64 s[36:37], s[62:63]
	s_cbranch_execnz .LBB500_1185
.LBB500_1170:                           ;   in Loop: Header=BB500_982 Depth=2
	s_or_b64 exec, exec, s[36:37]
	s_and_saveexec_b64 s[36:37], s[64:65]
	s_cbranch_execz .LBB500_1186
.LBB500_1171:                           ;   in Loop: Header=BB500_982 Depth=2
	v_lshlrev_b32_e32 v61, 2, v133
	ds_read_b32 v61, v61
	ds_read_b64 v[62:63], v60 offset:28672
	v_mov_b32_e32 v153, v4
	v_mov_b32_e32 v151, s83
	s_waitcnt lgkmcnt(1)
	v_add_u32_e32 v152, v61, v26
	v_lshlrev_b64 v[152:153], 3, v[152:153]
	v_add_co_u32_e32 v152, vcc, s82, v152
	v_addc_co_u32_e32 v153, vcc, v151, v153, vcc
	s_waitcnt lgkmcnt(0)
	global_store_dwordx2 v[152:153], v[62:63], off
	s_or_b64 exec, exec, s[36:37]
	s_and_saveexec_b64 s[36:37], s[66:67]
	s_cbranch_execnz .LBB500_1187
	s_branch .LBB500_1188
.LBB500_1172:                           ;   in Loop: Header=BB500_982 Depth=2
	s_or_b64 exec, exec, s[78:79]
	v_add_u32_e32 v60, v72, v3
	s_and_saveexec_b64 s[36:37], s[38:39]
	s_cbranch_execz .LBB500_1158
.LBB500_1173:                           ;   in Loop: Header=BB500_982 Depth=2
	v_lshlrev_b32_e32 v61, 2, v147
	ds_read_b32 v61, v61
	ds_read_b64 v[62:63], v60 offset:2048
	v_mov_b32_e32 v153, v4
	v_mov_b32_e32 v151, s83
	s_waitcnt lgkmcnt(1)
	v_add_u32_e32 v152, v61, v7
	v_lshlrev_b64 v[152:153], 3, v[152:153]
	v_add_co_u32_e32 v152, vcc, s82, v152
	v_addc_co_u32_e32 v153, vcc, v151, v153, vcc
	s_waitcnt lgkmcnt(0)
	global_store_dwordx2 v[152:153], v[62:63], off
	s_or_b64 exec, exec, s[36:37]
	s_and_saveexec_b64 s[36:37], s[40:41]
	s_cbranch_execnz .LBB500_1159
.LBB500_1174:                           ;   in Loop: Header=BB500_982 Depth=2
	s_or_b64 exec, exec, s[36:37]
	s_and_saveexec_b64 s[36:37], s[42:43]
	s_cbranch_execz .LBB500_1160
.LBB500_1175:                           ;   in Loop: Header=BB500_982 Depth=2
	v_lshlrev_b32_e32 v61, 2, v144
	ds_read_b32 v61, v61
	ds_read_b64 v[62:63], v60 offset:6144
	v_mov_b32_e32 v153, v4
	v_mov_b32_e32 v151, s83
	s_waitcnt lgkmcnt(1)
	v_add_u32_e32 v152, v61, v11
	v_lshlrev_b64 v[152:153], 3, v[152:153]
	v_add_co_u32_e32 v152, vcc, s82, v152
	v_addc_co_u32_e32 v153, vcc, v151, v153, vcc
	s_waitcnt lgkmcnt(0)
	global_store_dwordx2 v[152:153], v[62:63], off
	s_or_b64 exec, exec, s[36:37]
	s_and_saveexec_b64 s[36:37], s[44:45]
	s_cbranch_execnz .LBB500_1161
.LBB500_1176:                           ;   in Loop: Header=BB500_982 Depth=2
	s_or_b64 exec, exec, s[36:37]
	s_and_saveexec_b64 s[36:37], s[46:47]
	s_cbranch_execz .LBB500_1162
.LBB500_1177:                           ;   in Loop: Header=BB500_982 Depth=2
	v_lshlrev_b32_e32 v61, 2, v142
	ds_read_b32 v61, v61
	ds_read_b64 v[62:63], v60 offset:10240
	v_mov_b32_e32 v153, v4
	v_mov_b32_e32 v151, s83
	s_waitcnt lgkmcnt(1)
	v_add_u32_e32 v152, v61, v8
	v_lshlrev_b64 v[152:153], 3, v[152:153]
	v_add_co_u32_e32 v152, vcc, s82, v152
	v_addc_co_u32_e32 v153, vcc, v151, v153, vcc
	s_waitcnt lgkmcnt(0)
	global_store_dwordx2 v[152:153], v[62:63], off
	s_or_b64 exec, exec, s[36:37]
	s_and_saveexec_b64 s[36:37], s[48:49]
	s_cbranch_execnz .LBB500_1163
.LBB500_1178:                           ;   in Loop: Header=BB500_982 Depth=2
	s_or_b64 exec, exec, s[36:37]
	s_and_saveexec_b64 s[36:37], s[50:51]
	s_cbranch_execz .LBB500_1164
.LBB500_1179:                           ;   in Loop: Header=BB500_982 Depth=2
	v_lshlrev_b32_e32 v61, 2, v140
	ds_read_b32 v61, v61
	ds_read_b64 v[62:63], v60 offset:14336
	v_mov_b32_e32 v153, v4
	v_mov_b32_e32 v151, s83
	s_waitcnt lgkmcnt(1)
	v_add_u32_e32 v152, v61, v12
	v_lshlrev_b64 v[152:153], 3, v[152:153]
	v_add_co_u32_e32 v152, vcc, s82, v152
	v_addc_co_u32_e32 v153, vcc, v151, v153, vcc
	s_waitcnt lgkmcnt(0)
	global_store_dwordx2 v[152:153], v[62:63], off
	s_or_b64 exec, exec, s[36:37]
	s_and_saveexec_b64 s[36:37], s[52:53]
	s_cbranch_execnz .LBB500_1165
.LBB500_1180:                           ;   in Loop: Header=BB500_982 Depth=2
	s_or_b64 exec, exec, s[36:37]
	s_and_saveexec_b64 s[36:37], s[54:55]
	s_cbranch_execz .LBB500_1166
.LBB500_1181:                           ;   in Loop: Header=BB500_982 Depth=2
	v_lshlrev_b32_e32 v61, 2, v138
	ds_read_b32 v61, v61
	ds_read_b64 v[62:63], v60 offset:18432
	v_mov_b32_e32 v153, v4
	v_mov_b32_e32 v151, s83
	s_waitcnt lgkmcnt(1)
	v_add_u32_e32 v152, v61, v16
	v_lshlrev_b64 v[152:153], 3, v[152:153]
	v_add_co_u32_e32 v152, vcc, s82, v152
	v_addc_co_u32_e32 v153, vcc, v151, v153, vcc
	s_waitcnt lgkmcnt(0)
	global_store_dwordx2 v[152:153], v[62:63], off
	s_or_b64 exec, exec, s[36:37]
	s_and_saveexec_b64 s[36:37], s[56:57]
	s_cbranch_execnz .LBB500_1167
.LBB500_1182:                           ;   in Loop: Header=BB500_982 Depth=2
	s_or_b64 exec, exec, s[36:37]
	s_and_saveexec_b64 s[36:37], s[58:59]
	s_cbranch_execz .LBB500_1168
.LBB500_1183:                           ;   in Loop: Header=BB500_982 Depth=2
	v_lshlrev_b32_e32 v61, 2, v136
	ds_read_b32 v61, v61
	ds_read_b64 v[62:63], v60 offset:22528
	v_mov_b32_e32 v153, v4
	v_mov_b32_e32 v151, s83
	s_waitcnt lgkmcnt(1)
	v_add_u32_e32 v152, v61, v20
	v_lshlrev_b64 v[152:153], 3, v[152:153]
	v_add_co_u32_e32 v152, vcc, s82, v152
	v_addc_co_u32_e32 v153, vcc, v151, v153, vcc
	s_waitcnt lgkmcnt(0)
	global_store_dwordx2 v[152:153], v[62:63], off
	s_or_b64 exec, exec, s[36:37]
	s_and_saveexec_b64 s[36:37], s[60:61]
	s_cbranch_execnz .LBB500_1169
.LBB500_1184:                           ;   in Loop: Header=BB500_982 Depth=2
	s_or_b64 exec, exec, s[36:37]
	s_and_saveexec_b64 s[36:37], s[62:63]
	s_cbranch_execz .LBB500_1170
.LBB500_1185:                           ;   in Loop: Header=BB500_982 Depth=2
	v_lshlrev_b32_e32 v61, 2, v134
	ds_read_b32 v61, v61
	ds_read_b64 v[62:63], v60 offset:26624
	v_mov_b32_e32 v153, v4
	v_mov_b32_e32 v151, s83
	s_waitcnt lgkmcnt(1)
	v_add_u32_e32 v152, v61, v24
	v_lshlrev_b64 v[152:153], 3, v[152:153]
	v_add_co_u32_e32 v152, vcc, s82, v152
	v_addc_co_u32_e32 v153, vcc, v151, v153, vcc
	s_waitcnt lgkmcnt(0)
	global_store_dwordx2 v[152:153], v[62:63], off
	s_or_b64 exec, exec, s[36:37]
	s_and_saveexec_b64 s[36:37], s[64:65]
	s_cbranch_execnz .LBB500_1171
.LBB500_1186:                           ;   in Loop: Header=BB500_982 Depth=2
	s_or_b64 exec, exec, s[36:37]
	s_and_saveexec_b64 s[36:37], s[66:67]
	s_cbranch_execz .LBB500_1188
.LBB500_1187:                           ;   in Loop: Header=BB500_982 Depth=2
	v_lshlrev_b32_e32 v61, 2, v132
	ds_read_b32 v62, v61
	ds_read_b64 v[60:61], v60 offset:30720
	v_mov_b32_e32 v63, v4
	v_mov_b32_e32 v151, s83
	s_waitcnt lgkmcnt(1)
	v_add_u32_e32 v62, v62, v28
	v_lshlrev_b64 v[62:63], 3, v[62:63]
	v_add_co_u32_e32 v62, vcc, s82, v62
	v_addc_co_u32_e32 v63, vcc, v151, v63, vcc
	s_waitcnt lgkmcnt(0)
	global_store_dwordx2 v[62:63], v[60:61], off
.LBB500_1188:                           ;   in Loop: Header=BB500_982 Depth=2
	s_or_b64 exec, exec, s[36:37]
	s_barrier
	s_and_saveexec_b64 s[36:37], s[4:5]
	s_cbranch_execz .LBB500_981
; %bb.1189:                             ;   in Loop: Header=BB500_982 Depth=2
	ds_read_b32 v60, v3
	s_waitcnt lgkmcnt(0)
	v_add_u32_e32 v5, v60, v5
	ds_write_b32 v3, v5
	s_branch .LBB500_981
.LBB500_1190:
	s_endpgm
	.section	.rodata,"a",@progbits
	.p2align	6, 0x0
	.amdhsa_kernel _ZN7rocprim17ROCPRIM_400000_NS6detail17trampoline_kernelINS0_14default_configENS1_36segmented_radix_sort_config_selectorIilEEZNS1_25segmented_radix_sort_implIS3_Lb1EPKiPiPKlPlN2at6native12_GLOBAL__N_18offset_tEEE10hipError_tPvRmT1_PNSt15iterator_traitsISK_E10value_typeET2_T3_PNSL_ISQ_E10value_typeET4_jRbjT5_SW_jjP12ihipStream_tbEUlT_E_NS1_11comp_targetILNS1_3genE4ELNS1_11target_archE910ELNS1_3gpuE8ELNS1_3repE0EEENS1_30default_config_static_selectorELNS0_4arch9wavefront6targetE1EEEvSK_
		.amdhsa_group_segment_fixed_size 33808
		.amdhsa_private_segment_fixed_size 264
		.amdhsa_kernarg_size 352
		.amdhsa_user_sgpr_count 8
		.amdhsa_user_sgpr_private_segment_buffer 1
		.amdhsa_user_sgpr_dispatch_ptr 0
		.amdhsa_user_sgpr_queue_ptr 0
		.amdhsa_user_sgpr_kernarg_segment_ptr 1
		.amdhsa_user_sgpr_dispatch_id 0
		.amdhsa_user_sgpr_flat_scratch_init 1
		.amdhsa_user_sgpr_kernarg_preload_length 0
		.amdhsa_user_sgpr_kernarg_preload_offset 0
		.amdhsa_user_sgpr_private_segment_size 0
		.amdhsa_uses_dynamic_stack 0
		.amdhsa_system_sgpr_private_segment_wavefront_offset 1
		.amdhsa_system_sgpr_workgroup_id_x 1
		.amdhsa_system_sgpr_workgroup_id_y 1
		.amdhsa_system_sgpr_workgroup_id_z 0
		.amdhsa_system_sgpr_workgroup_info 0
		.amdhsa_system_vgpr_workitem_id 2
		.amdhsa_next_free_vgpr 280
		.amdhsa_next_free_sgpr 97
		.amdhsa_accum_offset 248
		.amdhsa_reserve_vcc 1
		.amdhsa_reserve_flat_scratch 1
		.amdhsa_float_round_mode_32 0
		.amdhsa_float_round_mode_16_64 0
		.amdhsa_float_denorm_mode_32 3
		.amdhsa_float_denorm_mode_16_64 3
		.amdhsa_dx10_clamp 1
		.amdhsa_ieee_mode 1
		.amdhsa_fp16_overflow 0
		.amdhsa_tg_split 0
		.amdhsa_exception_fp_ieee_invalid_op 0
		.amdhsa_exception_fp_denorm_src 0
		.amdhsa_exception_fp_ieee_div_zero 0
		.amdhsa_exception_fp_ieee_overflow 0
		.amdhsa_exception_fp_ieee_underflow 0
		.amdhsa_exception_fp_ieee_inexact 0
		.amdhsa_exception_int_div_zero 0
	.end_amdhsa_kernel
	.section	.text._ZN7rocprim17ROCPRIM_400000_NS6detail17trampoline_kernelINS0_14default_configENS1_36segmented_radix_sort_config_selectorIilEEZNS1_25segmented_radix_sort_implIS3_Lb1EPKiPiPKlPlN2at6native12_GLOBAL__N_18offset_tEEE10hipError_tPvRmT1_PNSt15iterator_traitsISK_E10value_typeET2_T3_PNSL_ISQ_E10value_typeET4_jRbjT5_SW_jjP12ihipStream_tbEUlT_E_NS1_11comp_targetILNS1_3genE4ELNS1_11target_archE910ELNS1_3gpuE8ELNS1_3repE0EEENS1_30default_config_static_selectorELNS0_4arch9wavefront6targetE1EEEvSK_,"axG",@progbits,_ZN7rocprim17ROCPRIM_400000_NS6detail17trampoline_kernelINS0_14default_configENS1_36segmented_radix_sort_config_selectorIilEEZNS1_25segmented_radix_sort_implIS3_Lb1EPKiPiPKlPlN2at6native12_GLOBAL__N_18offset_tEEE10hipError_tPvRmT1_PNSt15iterator_traitsISK_E10value_typeET2_T3_PNSL_ISQ_E10value_typeET4_jRbjT5_SW_jjP12ihipStream_tbEUlT_E_NS1_11comp_targetILNS1_3genE4ELNS1_11target_archE910ELNS1_3gpuE8ELNS1_3repE0EEENS1_30default_config_static_selectorELNS0_4arch9wavefront6targetE1EEEvSK_,comdat
.Lfunc_end500:
	.size	_ZN7rocprim17ROCPRIM_400000_NS6detail17trampoline_kernelINS0_14default_configENS1_36segmented_radix_sort_config_selectorIilEEZNS1_25segmented_radix_sort_implIS3_Lb1EPKiPiPKlPlN2at6native12_GLOBAL__N_18offset_tEEE10hipError_tPvRmT1_PNSt15iterator_traitsISK_E10value_typeET2_T3_PNSL_ISQ_E10value_typeET4_jRbjT5_SW_jjP12ihipStream_tbEUlT_E_NS1_11comp_targetILNS1_3genE4ELNS1_11target_archE910ELNS1_3gpuE8ELNS1_3repE0EEENS1_30default_config_static_selectorELNS0_4arch9wavefront6targetE1EEEvSK_, .Lfunc_end500-_ZN7rocprim17ROCPRIM_400000_NS6detail17trampoline_kernelINS0_14default_configENS1_36segmented_radix_sort_config_selectorIilEEZNS1_25segmented_radix_sort_implIS3_Lb1EPKiPiPKlPlN2at6native12_GLOBAL__N_18offset_tEEE10hipError_tPvRmT1_PNSt15iterator_traitsISK_E10value_typeET2_T3_PNSL_ISQ_E10value_typeET4_jRbjT5_SW_jjP12ihipStream_tbEUlT_E_NS1_11comp_targetILNS1_3genE4ELNS1_11target_archE910ELNS1_3gpuE8ELNS1_3repE0EEENS1_30default_config_static_selectorELNS0_4arch9wavefront6targetE1EEEvSK_
                                        ; -- End function
	.section	.AMDGPU.csdata,"",@progbits
; Kernel info:
; codeLenInByte = 63608
; NumSgprs: 103
; NumVgprs: 248
; NumAgprs: 32
; TotalNumVgprs: 280
; ScratchSize: 264
; MemoryBound: 0
; FloatMode: 240
; IeeeMode: 1
; LDSByteSize: 33808 bytes/workgroup (compile time only)
; SGPRBlocks: 12
; VGPRBlocks: 34
; NumSGPRsForWavesPerEU: 103
; NumVGPRsForWavesPerEU: 280
; AccumOffset: 248
; Occupancy: 1
; WaveLimiterHint : 1
; COMPUTE_PGM_RSRC2:SCRATCH_EN: 1
; COMPUTE_PGM_RSRC2:USER_SGPR: 8
; COMPUTE_PGM_RSRC2:TRAP_HANDLER: 0
; COMPUTE_PGM_RSRC2:TGID_X_EN: 1
; COMPUTE_PGM_RSRC2:TGID_Y_EN: 1
; COMPUTE_PGM_RSRC2:TGID_Z_EN: 0
; COMPUTE_PGM_RSRC2:TIDIG_COMP_CNT: 2
; COMPUTE_PGM_RSRC3_GFX90A:ACCUM_OFFSET: 61
; COMPUTE_PGM_RSRC3_GFX90A:TG_SPLIT: 0
	.section	.text._ZN7rocprim17ROCPRIM_400000_NS6detail17trampoline_kernelINS0_14default_configENS1_36segmented_radix_sort_config_selectorIilEEZNS1_25segmented_radix_sort_implIS3_Lb1EPKiPiPKlPlN2at6native12_GLOBAL__N_18offset_tEEE10hipError_tPvRmT1_PNSt15iterator_traitsISK_E10value_typeET2_T3_PNSL_ISQ_E10value_typeET4_jRbjT5_SW_jjP12ihipStream_tbEUlT_E_NS1_11comp_targetILNS1_3genE3ELNS1_11target_archE908ELNS1_3gpuE7ELNS1_3repE0EEENS1_30default_config_static_selectorELNS0_4arch9wavefront6targetE1EEEvSK_,"axG",@progbits,_ZN7rocprim17ROCPRIM_400000_NS6detail17trampoline_kernelINS0_14default_configENS1_36segmented_radix_sort_config_selectorIilEEZNS1_25segmented_radix_sort_implIS3_Lb1EPKiPiPKlPlN2at6native12_GLOBAL__N_18offset_tEEE10hipError_tPvRmT1_PNSt15iterator_traitsISK_E10value_typeET2_T3_PNSL_ISQ_E10value_typeET4_jRbjT5_SW_jjP12ihipStream_tbEUlT_E_NS1_11comp_targetILNS1_3genE3ELNS1_11target_archE908ELNS1_3gpuE7ELNS1_3repE0EEENS1_30default_config_static_selectorELNS0_4arch9wavefront6targetE1EEEvSK_,comdat
	.globl	_ZN7rocprim17ROCPRIM_400000_NS6detail17trampoline_kernelINS0_14default_configENS1_36segmented_radix_sort_config_selectorIilEEZNS1_25segmented_radix_sort_implIS3_Lb1EPKiPiPKlPlN2at6native12_GLOBAL__N_18offset_tEEE10hipError_tPvRmT1_PNSt15iterator_traitsISK_E10value_typeET2_T3_PNSL_ISQ_E10value_typeET4_jRbjT5_SW_jjP12ihipStream_tbEUlT_E_NS1_11comp_targetILNS1_3genE3ELNS1_11target_archE908ELNS1_3gpuE7ELNS1_3repE0EEENS1_30default_config_static_selectorELNS0_4arch9wavefront6targetE1EEEvSK_ ; -- Begin function _ZN7rocprim17ROCPRIM_400000_NS6detail17trampoline_kernelINS0_14default_configENS1_36segmented_radix_sort_config_selectorIilEEZNS1_25segmented_radix_sort_implIS3_Lb1EPKiPiPKlPlN2at6native12_GLOBAL__N_18offset_tEEE10hipError_tPvRmT1_PNSt15iterator_traitsISK_E10value_typeET2_T3_PNSL_ISQ_E10value_typeET4_jRbjT5_SW_jjP12ihipStream_tbEUlT_E_NS1_11comp_targetILNS1_3genE3ELNS1_11target_archE908ELNS1_3gpuE7ELNS1_3repE0EEENS1_30default_config_static_selectorELNS0_4arch9wavefront6targetE1EEEvSK_
	.p2align	8
	.type	_ZN7rocprim17ROCPRIM_400000_NS6detail17trampoline_kernelINS0_14default_configENS1_36segmented_radix_sort_config_selectorIilEEZNS1_25segmented_radix_sort_implIS3_Lb1EPKiPiPKlPlN2at6native12_GLOBAL__N_18offset_tEEE10hipError_tPvRmT1_PNSt15iterator_traitsISK_E10value_typeET2_T3_PNSL_ISQ_E10value_typeET4_jRbjT5_SW_jjP12ihipStream_tbEUlT_E_NS1_11comp_targetILNS1_3genE3ELNS1_11target_archE908ELNS1_3gpuE7ELNS1_3repE0EEENS1_30default_config_static_selectorELNS0_4arch9wavefront6targetE1EEEvSK_,@function
_ZN7rocprim17ROCPRIM_400000_NS6detail17trampoline_kernelINS0_14default_configENS1_36segmented_radix_sort_config_selectorIilEEZNS1_25segmented_radix_sort_implIS3_Lb1EPKiPiPKlPlN2at6native12_GLOBAL__N_18offset_tEEE10hipError_tPvRmT1_PNSt15iterator_traitsISK_E10value_typeET2_T3_PNSL_ISQ_E10value_typeET4_jRbjT5_SW_jjP12ihipStream_tbEUlT_E_NS1_11comp_targetILNS1_3genE3ELNS1_11target_archE908ELNS1_3gpuE7ELNS1_3repE0EEENS1_30default_config_static_selectorELNS0_4arch9wavefront6targetE1EEEvSK_: ; @_ZN7rocprim17ROCPRIM_400000_NS6detail17trampoline_kernelINS0_14default_configENS1_36segmented_radix_sort_config_selectorIilEEZNS1_25segmented_radix_sort_implIS3_Lb1EPKiPiPKlPlN2at6native12_GLOBAL__N_18offset_tEEE10hipError_tPvRmT1_PNSt15iterator_traitsISK_E10value_typeET2_T3_PNSL_ISQ_E10value_typeET4_jRbjT5_SW_jjP12ihipStream_tbEUlT_E_NS1_11comp_targetILNS1_3genE3ELNS1_11target_archE908ELNS1_3gpuE7ELNS1_3repE0EEENS1_30default_config_static_selectorELNS0_4arch9wavefront6targetE1EEEvSK_
; %bb.0:
	.section	.rodata,"a",@progbits
	.p2align	6, 0x0
	.amdhsa_kernel _ZN7rocprim17ROCPRIM_400000_NS6detail17trampoline_kernelINS0_14default_configENS1_36segmented_radix_sort_config_selectorIilEEZNS1_25segmented_radix_sort_implIS3_Lb1EPKiPiPKlPlN2at6native12_GLOBAL__N_18offset_tEEE10hipError_tPvRmT1_PNSt15iterator_traitsISK_E10value_typeET2_T3_PNSL_ISQ_E10value_typeET4_jRbjT5_SW_jjP12ihipStream_tbEUlT_E_NS1_11comp_targetILNS1_3genE3ELNS1_11target_archE908ELNS1_3gpuE7ELNS1_3repE0EEENS1_30default_config_static_selectorELNS0_4arch9wavefront6targetE1EEEvSK_
		.amdhsa_group_segment_fixed_size 0
		.amdhsa_private_segment_fixed_size 0
		.amdhsa_kernarg_size 96
		.amdhsa_user_sgpr_count 6
		.amdhsa_user_sgpr_private_segment_buffer 1
		.amdhsa_user_sgpr_dispatch_ptr 0
		.amdhsa_user_sgpr_queue_ptr 0
		.amdhsa_user_sgpr_kernarg_segment_ptr 1
		.amdhsa_user_sgpr_dispatch_id 0
		.amdhsa_user_sgpr_flat_scratch_init 0
		.amdhsa_user_sgpr_kernarg_preload_length 0
		.amdhsa_user_sgpr_kernarg_preload_offset 0
		.amdhsa_user_sgpr_private_segment_size 0
		.amdhsa_uses_dynamic_stack 0
		.amdhsa_system_sgpr_private_segment_wavefront_offset 0
		.amdhsa_system_sgpr_workgroup_id_x 1
		.amdhsa_system_sgpr_workgroup_id_y 0
		.amdhsa_system_sgpr_workgroup_id_z 0
		.amdhsa_system_sgpr_workgroup_info 0
		.amdhsa_system_vgpr_workitem_id 0
		.amdhsa_next_free_vgpr 1
		.amdhsa_next_free_sgpr 0
		.amdhsa_accum_offset 4
		.amdhsa_reserve_vcc 0
		.amdhsa_reserve_flat_scratch 0
		.amdhsa_float_round_mode_32 0
		.amdhsa_float_round_mode_16_64 0
		.amdhsa_float_denorm_mode_32 3
		.amdhsa_float_denorm_mode_16_64 3
		.amdhsa_dx10_clamp 1
		.amdhsa_ieee_mode 1
		.amdhsa_fp16_overflow 0
		.amdhsa_tg_split 0
		.amdhsa_exception_fp_ieee_invalid_op 0
		.amdhsa_exception_fp_denorm_src 0
		.amdhsa_exception_fp_ieee_div_zero 0
		.amdhsa_exception_fp_ieee_overflow 0
		.amdhsa_exception_fp_ieee_underflow 0
		.amdhsa_exception_fp_ieee_inexact 0
		.amdhsa_exception_int_div_zero 0
	.end_amdhsa_kernel
	.section	.text._ZN7rocprim17ROCPRIM_400000_NS6detail17trampoline_kernelINS0_14default_configENS1_36segmented_radix_sort_config_selectorIilEEZNS1_25segmented_radix_sort_implIS3_Lb1EPKiPiPKlPlN2at6native12_GLOBAL__N_18offset_tEEE10hipError_tPvRmT1_PNSt15iterator_traitsISK_E10value_typeET2_T3_PNSL_ISQ_E10value_typeET4_jRbjT5_SW_jjP12ihipStream_tbEUlT_E_NS1_11comp_targetILNS1_3genE3ELNS1_11target_archE908ELNS1_3gpuE7ELNS1_3repE0EEENS1_30default_config_static_selectorELNS0_4arch9wavefront6targetE1EEEvSK_,"axG",@progbits,_ZN7rocprim17ROCPRIM_400000_NS6detail17trampoline_kernelINS0_14default_configENS1_36segmented_radix_sort_config_selectorIilEEZNS1_25segmented_radix_sort_implIS3_Lb1EPKiPiPKlPlN2at6native12_GLOBAL__N_18offset_tEEE10hipError_tPvRmT1_PNSt15iterator_traitsISK_E10value_typeET2_T3_PNSL_ISQ_E10value_typeET4_jRbjT5_SW_jjP12ihipStream_tbEUlT_E_NS1_11comp_targetILNS1_3genE3ELNS1_11target_archE908ELNS1_3gpuE7ELNS1_3repE0EEENS1_30default_config_static_selectorELNS0_4arch9wavefront6targetE1EEEvSK_,comdat
.Lfunc_end501:
	.size	_ZN7rocprim17ROCPRIM_400000_NS6detail17trampoline_kernelINS0_14default_configENS1_36segmented_radix_sort_config_selectorIilEEZNS1_25segmented_radix_sort_implIS3_Lb1EPKiPiPKlPlN2at6native12_GLOBAL__N_18offset_tEEE10hipError_tPvRmT1_PNSt15iterator_traitsISK_E10value_typeET2_T3_PNSL_ISQ_E10value_typeET4_jRbjT5_SW_jjP12ihipStream_tbEUlT_E_NS1_11comp_targetILNS1_3genE3ELNS1_11target_archE908ELNS1_3gpuE7ELNS1_3repE0EEENS1_30default_config_static_selectorELNS0_4arch9wavefront6targetE1EEEvSK_, .Lfunc_end501-_ZN7rocprim17ROCPRIM_400000_NS6detail17trampoline_kernelINS0_14default_configENS1_36segmented_radix_sort_config_selectorIilEEZNS1_25segmented_radix_sort_implIS3_Lb1EPKiPiPKlPlN2at6native12_GLOBAL__N_18offset_tEEE10hipError_tPvRmT1_PNSt15iterator_traitsISK_E10value_typeET2_T3_PNSL_ISQ_E10value_typeET4_jRbjT5_SW_jjP12ihipStream_tbEUlT_E_NS1_11comp_targetILNS1_3genE3ELNS1_11target_archE908ELNS1_3gpuE7ELNS1_3repE0EEENS1_30default_config_static_selectorELNS0_4arch9wavefront6targetE1EEEvSK_
                                        ; -- End function
	.section	.AMDGPU.csdata,"",@progbits
; Kernel info:
; codeLenInByte = 0
; NumSgprs: 4
; NumVgprs: 0
; NumAgprs: 0
; TotalNumVgprs: 0
; ScratchSize: 0
; MemoryBound: 0
; FloatMode: 240
; IeeeMode: 1
; LDSByteSize: 0 bytes/workgroup (compile time only)
; SGPRBlocks: 0
; VGPRBlocks: 0
; NumSGPRsForWavesPerEU: 4
; NumVGPRsForWavesPerEU: 1
; AccumOffset: 4
; Occupancy: 8
; WaveLimiterHint : 0
; COMPUTE_PGM_RSRC2:SCRATCH_EN: 0
; COMPUTE_PGM_RSRC2:USER_SGPR: 6
; COMPUTE_PGM_RSRC2:TRAP_HANDLER: 0
; COMPUTE_PGM_RSRC2:TGID_X_EN: 1
; COMPUTE_PGM_RSRC2:TGID_Y_EN: 0
; COMPUTE_PGM_RSRC2:TGID_Z_EN: 0
; COMPUTE_PGM_RSRC2:TIDIG_COMP_CNT: 0
; COMPUTE_PGM_RSRC3_GFX90A:ACCUM_OFFSET: 0
; COMPUTE_PGM_RSRC3_GFX90A:TG_SPLIT: 0
	.section	.text._ZN7rocprim17ROCPRIM_400000_NS6detail17trampoline_kernelINS0_14default_configENS1_36segmented_radix_sort_config_selectorIilEEZNS1_25segmented_radix_sort_implIS3_Lb1EPKiPiPKlPlN2at6native12_GLOBAL__N_18offset_tEEE10hipError_tPvRmT1_PNSt15iterator_traitsISK_E10value_typeET2_T3_PNSL_ISQ_E10value_typeET4_jRbjT5_SW_jjP12ihipStream_tbEUlT_E_NS1_11comp_targetILNS1_3genE2ELNS1_11target_archE906ELNS1_3gpuE6ELNS1_3repE0EEENS1_30default_config_static_selectorELNS0_4arch9wavefront6targetE1EEEvSK_,"axG",@progbits,_ZN7rocprim17ROCPRIM_400000_NS6detail17trampoline_kernelINS0_14default_configENS1_36segmented_radix_sort_config_selectorIilEEZNS1_25segmented_radix_sort_implIS3_Lb1EPKiPiPKlPlN2at6native12_GLOBAL__N_18offset_tEEE10hipError_tPvRmT1_PNSt15iterator_traitsISK_E10value_typeET2_T3_PNSL_ISQ_E10value_typeET4_jRbjT5_SW_jjP12ihipStream_tbEUlT_E_NS1_11comp_targetILNS1_3genE2ELNS1_11target_archE906ELNS1_3gpuE6ELNS1_3repE0EEENS1_30default_config_static_selectorELNS0_4arch9wavefront6targetE1EEEvSK_,comdat
	.globl	_ZN7rocprim17ROCPRIM_400000_NS6detail17trampoline_kernelINS0_14default_configENS1_36segmented_radix_sort_config_selectorIilEEZNS1_25segmented_radix_sort_implIS3_Lb1EPKiPiPKlPlN2at6native12_GLOBAL__N_18offset_tEEE10hipError_tPvRmT1_PNSt15iterator_traitsISK_E10value_typeET2_T3_PNSL_ISQ_E10value_typeET4_jRbjT5_SW_jjP12ihipStream_tbEUlT_E_NS1_11comp_targetILNS1_3genE2ELNS1_11target_archE906ELNS1_3gpuE6ELNS1_3repE0EEENS1_30default_config_static_selectorELNS0_4arch9wavefront6targetE1EEEvSK_ ; -- Begin function _ZN7rocprim17ROCPRIM_400000_NS6detail17trampoline_kernelINS0_14default_configENS1_36segmented_radix_sort_config_selectorIilEEZNS1_25segmented_radix_sort_implIS3_Lb1EPKiPiPKlPlN2at6native12_GLOBAL__N_18offset_tEEE10hipError_tPvRmT1_PNSt15iterator_traitsISK_E10value_typeET2_T3_PNSL_ISQ_E10value_typeET4_jRbjT5_SW_jjP12ihipStream_tbEUlT_E_NS1_11comp_targetILNS1_3genE2ELNS1_11target_archE906ELNS1_3gpuE6ELNS1_3repE0EEENS1_30default_config_static_selectorELNS0_4arch9wavefront6targetE1EEEvSK_
	.p2align	8
	.type	_ZN7rocprim17ROCPRIM_400000_NS6detail17trampoline_kernelINS0_14default_configENS1_36segmented_radix_sort_config_selectorIilEEZNS1_25segmented_radix_sort_implIS3_Lb1EPKiPiPKlPlN2at6native12_GLOBAL__N_18offset_tEEE10hipError_tPvRmT1_PNSt15iterator_traitsISK_E10value_typeET2_T3_PNSL_ISQ_E10value_typeET4_jRbjT5_SW_jjP12ihipStream_tbEUlT_E_NS1_11comp_targetILNS1_3genE2ELNS1_11target_archE906ELNS1_3gpuE6ELNS1_3repE0EEENS1_30default_config_static_selectorELNS0_4arch9wavefront6targetE1EEEvSK_,@function
_ZN7rocprim17ROCPRIM_400000_NS6detail17trampoline_kernelINS0_14default_configENS1_36segmented_radix_sort_config_selectorIilEEZNS1_25segmented_radix_sort_implIS3_Lb1EPKiPiPKlPlN2at6native12_GLOBAL__N_18offset_tEEE10hipError_tPvRmT1_PNSt15iterator_traitsISK_E10value_typeET2_T3_PNSL_ISQ_E10value_typeET4_jRbjT5_SW_jjP12ihipStream_tbEUlT_E_NS1_11comp_targetILNS1_3genE2ELNS1_11target_archE906ELNS1_3gpuE6ELNS1_3repE0EEENS1_30default_config_static_selectorELNS0_4arch9wavefront6targetE1EEEvSK_: ; @_ZN7rocprim17ROCPRIM_400000_NS6detail17trampoline_kernelINS0_14default_configENS1_36segmented_radix_sort_config_selectorIilEEZNS1_25segmented_radix_sort_implIS3_Lb1EPKiPiPKlPlN2at6native12_GLOBAL__N_18offset_tEEE10hipError_tPvRmT1_PNSt15iterator_traitsISK_E10value_typeET2_T3_PNSL_ISQ_E10value_typeET4_jRbjT5_SW_jjP12ihipStream_tbEUlT_E_NS1_11comp_targetILNS1_3genE2ELNS1_11target_archE906ELNS1_3gpuE6ELNS1_3repE0EEENS1_30default_config_static_selectorELNS0_4arch9wavefront6targetE1EEEvSK_
; %bb.0:
	.section	.rodata,"a",@progbits
	.p2align	6, 0x0
	.amdhsa_kernel _ZN7rocprim17ROCPRIM_400000_NS6detail17trampoline_kernelINS0_14default_configENS1_36segmented_radix_sort_config_selectorIilEEZNS1_25segmented_radix_sort_implIS3_Lb1EPKiPiPKlPlN2at6native12_GLOBAL__N_18offset_tEEE10hipError_tPvRmT1_PNSt15iterator_traitsISK_E10value_typeET2_T3_PNSL_ISQ_E10value_typeET4_jRbjT5_SW_jjP12ihipStream_tbEUlT_E_NS1_11comp_targetILNS1_3genE2ELNS1_11target_archE906ELNS1_3gpuE6ELNS1_3repE0EEENS1_30default_config_static_selectorELNS0_4arch9wavefront6targetE1EEEvSK_
		.amdhsa_group_segment_fixed_size 0
		.amdhsa_private_segment_fixed_size 0
		.amdhsa_kernarg_size 96
		.amdhsa_user_sgpr_count 6
		.amdhsa_user_sgpr_private_segment_buffer 1
		.amdhsa_user_sgpr_dispatch_ptr 0
		.amdhsa_user_sgpr_queue_ptr 0
		.amdhsa_user_sgpr_kernarg_segment_ptr 1
		.amdhsa_user_sgpr_dispatch_id 0
		.amdhsa_user_sgpr_flat_scratch_init 0
		.amdhsa_user_sgpr_kernarg_preload_length 0
		.amdhsa_user_sgpr_kernarg_preload_offset 0
		.amdhsa_user_sgpr_private_segment_size 0
		.amdhsa_uses_dynamic_stack 0
		.amdhsa_system_sgpr_private_segment_wavefront_offset 0
		.amdhsa_system_sgpr_workgroup_id_x 1
		.amdhsa_system_sgpr_workgroup_id_y 0
		.amdhsa_system_sgpr_workgroup_id_z 0
		.amdhsa_system_sgpr_workgroup_info 0
		.amdhsa_system_vgpr_workitem_id 0
		.amdhsa_next_free_vgpr 1
		.amdhsa_next_free_sgpr 0
		.amdhsa_accum_offset 4
		.amdhsa_reserve_vcc 0
		.amdhsa_reserve_flat_scratch 0
		.amdhsa_float_round_mode_32 0
		.amdhsa_float_round_mode_16_64 0
		.amdhsa_float_denorm_mode_32 3
		.amdhsa_float_denorm_mode_16_64 3
		.amdhsa_dx10_clamp 1
		.amdhsa_ieee_mode 1
		.amdhsa_fp16_overflow 0
		.amdhsa_tg_split 0
		.amdhsa_exception_fp_ieee_invalid_op 0
		.amdhsa_exception_fp_denorm_src 0
		.amdhsa_exception_fp_ieee_div_zero 0
		.amdhsa_exception_fp_ieee_overflow 0
		.amdhsa_exception_fp_ieee_underflow 0
		.amdhsa_exception_fp_ieee_inexact 0
		.amdhsa_exception_int_div_zero 0
	.end_amdhsa_kernel
	.section	.text._ZN7rocprim17ROCPRIM_400000_NS6detail17trampoline_kernelINS0_14default_configENS1_36segmented_radix_sort_config_selectorIilEEZNS1_25segmented_radix_sort_implIS3_Lb1EPKiPiPKlPlN2at6native12_GLOBAL__N_18offset_tEEE10hipError_tPvRmT1_PNSt15iterator_traitsISK_E10value_typeET2_T3_PNSL_ISQ_E10value_typeET4_jRbjT5_SW_jjP12ihipStream_tbEUlT_E_NS1_11comp_targetILNS1_3genE2ELNS1_11target_archE906ELNS1_3gpuE6ELNS1_3repE0EEENS1_30default_config_static_selectorELNS0_4arch9wavefront6targetE1EEEvSK_,"axG",@progbits,_ZN7rocprim17ROCPRIM_400000_NS6detail17trampoline_kernelINS0_14default_configENS1_36segmented_radix_sort_config_selectorIilEEZNS1_25segmented_radix_sort_implIS3_Lb1EPKiPiPKlPlN2at6native12_GLOBAL__N_18offset_tEEE10hipError_tPvRmT1_PNSt15iterator_traitsISK_E10value_typeET2_T3_PNSL_ISQ_E10value_typeET4_jRbjT5_SW_jjP12ihipStream_tbEUlT_E_NS1_11comp_targetILNS1_3genE2ELNS1_11target_archE906ELNS1_3gpuE6ELNS1_3repE0EEENS1_30default_config_static_selectorELNS0_4arch9wavefront6targetE1EEEvSK_,comdat
.Lfunc_end502:
	.size	_ZN7rocprim17ROCPRIM_400000_NS6detail17trampoline_kernelINS0_14default_configENS1_36segmented_radix_sort_config_selectorIilEEZNS1_25segmented_radix_sort_implIS3_Lb1EPKiPiPKlPlN2at6native12_GLOBAL__N_18offset_tEEE10hipError_tPvRmT1_PNSt15iterator_traitsISK_E10value_typeET2_T3_PNSL_ISQ_E10value_typeET4_jRbjT5_SW_jjP12ihipStream_tbEUlT_E_NS1_11comp_targetILNS1_3genE2ELNS1_11target_archE906ELNS1_3gpuE6ELNS1_3repE0EEENS1_30default_config_static_selectorELNS0_4arch9wavefront6targetE1EEEvSK_, .Lfunc_end502-_ZN7rocprim17ROCPRIM_400000_NS6detail17trampoline_kernelINS0_14default_configENS1_36segmented_radix_sort_config_selectorIilEEZNS1_25segmented_radix_sort_implIS3_Lb1EPKiPiPKlPlN2at6native12_GLOBAL__N_18offset_tEEE10hipError_tPvRmT1_PNSt15iterator_traitsISK_E10value_typeET2_T3_PNSL_ISQ_E10value_typeET4_jRbjT5_SW_jjP12ihipStream_tbEUlT_E_NS1_11comp_targetILNS1_3genE2ELNS1_11target_archE906ELNS1_3gpuE6ELNS1_3repE0EEENS1_30default_config_static_selectorELNS0_4arch9wavefront6targetE1EEEvSK_
                                        ; -- End function
	.section	.AMDGPU.csdata,"",@progbits
; Kernel info:
; codeLenInByte = 0
; NumSgprs: 4
; NumVgprs: 0
; NumAgprs: 0
; TotalNumVgprs: 0
; ScratchSize: 0
; MemoryBound: 0
; FloatMode: 240
; IeeeMode: 1
; LDSByteSize: 0 bytes/workgroup (compile time only)
; SGPRBlocks: 0
; VGPRBlocks: 0
; NumSGPRsForWavesPerEU: 4
; NumVGPRsForWavesPerEU: 1
; AccumOffset: 4
; Occupancy: 8
; WaveLimiterHint : 0
; COMPUTE_PGM_RSRC2:SCRATCH_EN: 0
; COMPUTE_PGM_RSRC2:USER_SGPR: 6
; COMPUTE_PGM_RSRC2:TRAP_HANDLER: 0
; COMPUTE_PGM_RSRC2:TGID_X_EN: 1
; COMPUTE_PGM_RSRC2:TGID_Y_EN: 0
; COMPUTE_PGM_RSRC2:TGID_Z_EN: 0
; COMPUTE_PGM_RSRC2:TIDIG_COMP_CNT: 0
; COMPUTE_PGM_RSRC3_GFX90A:ACCUM_OFFSET: 0
; COMPUTE_PGM_RSRC3_GFX90A:TG_SPLIT: 0
	.section	.text._ZN7rocprim17ROCPRIM_400000_NS6detail17trampoline_kernelINS0_14default_configENS1_36segmented_radix_sort_config_selectorIilEEZNS1_25segmented_radix_sort_implIS3_Lb1EPKiPiPKlPlN2at6native12_GLOBAL__N_18offset_tEEE10hipError_tPvRmT1_PNSt15iterator_traitsISK_E10value_typeET2_T3_PNSL_ISQ_E10value_typeET4_jRbjT5_SW_jjP12ihipStream_tbEUlT_E_NS1_11comp_targetILNS1_3genE10ELNS1_11target_archE1201ELNS1_3gpuE5ELNS1_3repE0EEENS1_30default_config_static_selectorELNS0_4arch9wavefront6targetE1EEEvSK_,"axG",@progbits,_ZN7rocprim17ROCPRIM_400000_NS6detail17trampoline_kernelINS0_14default_configENS1_36segmented_radix_sort_config_selectorIilEEZNS1_25segmented_radix_sort_implIS3_Lb1EPKiPiPKlPlN2at6native12_GLOBAL__N_18offset_tEEE10hipError_tPvRmT1_PNSt15iterator_traitsISK_E10value_typeET2_T3_PNSL_ISQ_E10value_typeET4_jRbjT5_SW_jjP12ihipStream_tbEUlT_E_NS1_11comp_targetILNS1_3genE10ELNS1_11target_archE1201ELNS1_3gpuE5ELNS1_3repE0EEENS1_30default_config_static_selectorELNS0_4arch9wavefront6targetE1EEEvSK_,comdat
	.globl	_ZN7rocprim17ROCPRIM_400000_NS6detail17trampoline_kernelINS0_14default_configENS1_36segmented_radix_sort_config_selectorIilEEZNS1_25segmented_radix_sort_implIS3_Lb1EPKiPiPKlPlN2at6native12_GLOBAL__N_18offset_tEEE10hipError_tPvRmT1_PNSt15iterator_traitsISK_E10value_typeET2_T3_PNSL_ISQ_E10value_typeET4_jRbjT5_SW_jjP12ihipStream_tbEUlT_E_NS1_11comp_targetILNS1_3genE10ELNS1_11target_archE1201ELNS1_3gpuE5ELNS1_3repE0EEENS1_30default_config_static_selectorELNS0_4arch9wavefront6targetE1EEEvSK_ ; -- Begin function _ZN7rocprim17ROCPRIM_400000_NS6detail17trampoline_kernelINS0_14default_configENS1_36segmented_radix_sort_config_selectorIilEEZNS1_25segmented_radix_sort_implIS3_Lb1EPKiPiPKlPlN2at6native12_GLOBAL__N_18offset_tEEE10hipError_tPvRmT1_PNSt15iterator_traitsISK_E10value_typeET2_T3_PNSL_ISQ_E10value_typeET4_jRbjT5_SW_jjP12ihipStream_tbEUlT_E_NS1_11comp_targetILNS1_3genE10ELNS1_11target_archE1201ELNS1_3gpuE5ELNS1_3repE0EEENS1_30default_config_static_selectorELNS0_4arch9wavefront6targetE1EEEvSK_
	.p2align	8
	.type	_ZN7rocprim17ROCPRIM_400000_NS6detail17trampoline_kernelINS0_14default_configENS1_36segmented_radix_sort_config_selectorIilEEZNS1_25segmented_radix_sort_implIS3_Lb1EPKiPiPKlPlN2at6native12_GLOBAL__N_18offset_tEEE10hipError_tPvRmT1_PNSt15iterator_traitsISK_E10value_typeET2_T3_PNSL_ISQ_E10value_typeET4_jRbjT5_SW_jjP12ihipStream_tbEUlT_E_NS1_11comp_targetILNS1_3genE10ELNS1_11target_archE1201ELNS1_3gpuE5ELNS1_3repE0EEENS1_30default_config_static_selectorELNS0_4arch9wavefront6targetE1EEEvSK_,@function
_ZN7rocprim17ROCPRIM_400000_NS6detail17trampoline_kernelINS0_14default_configENS1_36segmented_radix_sort_config_selectorIilEEZNS1_25segmented_radix_sort_implIS3_Lb1EPKiPiPKlPlN2at6native12_GLOBAL__N_18offset_tEEE10hipError_tPvRmT1_PNSt15iterator_traitsISK_E10value_typeET2_T3_PNSL_ISQ_E10value_typeET4_jRbjT5_SW_jjP12ihipStream_tbEUlT_E_NS1_11comp_targetILNS1_3genE10ELNS1_11target_archE1201ELNS1_3gpuE5ELNS1_3repE0EEENS1_30default_config_static_selectorELNS0_4arch9wavefront6targetE1EEEvSK_: ; @_ZN7rocprim17ROCPRIM_400000_NS6detail17trampoline_kernelINS0_14default_configENS1_36segmented_radix_sort_config_selectorIilEEZNS1_25segmented_radix_sort_implIS3_Lb1EPKiPiPKlPlN2at6native12_GLOBAL__N_18offset_tEEE10hipError_tPvRmT1_PNSt15iterator_traitsISK_E10value_typeET2_T3_PNSL_ISQ_E10value_typeET4_jRbjT5_SW_jjP12ihipStream_tbEUlT_E_NS1_11comp_targetILNS1_3genE10ELNS1_11target_archE1201ELNS1_3gpuE5ELNS1_3repE0EEENS1_30default_config_static_selectorELNS0_4arch9wavefront6targetE1EEEvSK_
; %bb.0:
	.section	.rodata,"a",@progbits
	.p2align	6, 0x0
	.amdhsa_kernel _ZN7rocprim17ROCPRIM_400000_NS6detail17trampoline_kernelINS0_14default_configENS1_36segmented_radix_sort_config_selectorIilEEZNS1_25segmented_radix_sort_implIS3_Lb1EPKiPiPKlPlN2at6native12_GLOBAL__N_18offset_tEEE10hipError_tPvRmT1_PNSt15iterator_traitsISK_E10value_typeET2_T3_PNSL_ISQ_E10value_typeET4_jRbjT5_SW_jjP12ihipStream_tbEUlT_E_NS1_11comp_targetILNS1_3genE10ELNS1_11target_archE1201ELNS1_3gpuE5ELNS1_3repE0EEENS1_30default_config_static_selectorELNS0_4arch9wavefront6targetE1EEEvSK_
		.amdhsa_group_segment_fixed_size 0
		.amdhsa_private_segment_fixed_size 0
		.amdhsa_kernarg_size 96
		.amdhsa_user_sgpr_count 6
		.amdhsa_user_sgpr_private_segment_buffer 1
		.amdhsa_user_sgpr_dispatch_ptr 0
		.amdhsa_user_sgpr_queue_ptr 0
		.amdhsa_user_sgpr_kernarg_segment_ptr 1
		.amdhsa_user_sgpr_dispatch_id 0
		.amdhsa_user_sgpr_flat_scratch_init 0
		.amdhsa_user_sgpr_kernarg_preload_length 0
		.amdhsa_user_sgpr_kernarg_preload_offset 0
		.amdhsa_user_sgpr_private_segment_size 0
		.amdhsa_uses_dynamic_stack 0
		.amdhsa_system_sgpr_private_segment_wavefront_offset 0
		.amdhsa_system_sgpr_workgroup_id_x 1
		.amdhsa_system_sgpr_workgroup_id_y 0
		.amdhsa_system_sgpr_workgroup_id_z 0
		.amdhsa_system_sgpr_workgroup_info 0
		.amdhsa_system_vgpr_workitem_id 0
		.amdhsa_next_free_vgpr 1
		.amdhsa_next_free_sgpr 0
		.amdhsa_accum_offset 4
		.amdhsa_reserve_vcc 0
		.amdhsa_reserve_flat_scratch 0
		.amdhsa_float_round_mode_32 0
		.amdhsa_float_round_mode_16_64 0
		.amdhsa_float_denorm_mode_32 3
		.amdhsa_float_denorm_mode_16_64 3
		.amdhsa_dx10_clamp 1
		.amdhsa_ieee_mode 1
		.amdhsa_fp16_overflow 0
		.amdhsa_tg_split 0
		.amdhsa_exception_fp_ieee_invalid_op 0
		.amdhsa_exception_fp_denorm_src 0
		.amdhsa_exception_fp_ieee_div_zero 0
		.amdhsa_exception_fp_ieee_overflow 0
		.amdhsa_exception_fp_ieee_underflow 0
		.amdhsa_exception_fp_ieee_inexact 0
		.amdhsa_exception_int_div_zero 0
	.end_amdhsa_kernel
	.section	.text._ZN7rocprim17ROCPRIM_400000_NS6detail17trampoline_kernelINS0_14default_configENS1_36segmented_radix_sort_config_selectorIilEEZNS1_25segmented_radix_sort_implIS3_Lb1EPKiPiPKlPlN2at6native12_GLOBAL__N_18offset_tEEE10hipError_tPvRmT1_PNSt15iterator_traitsISK_E10value_typeET2_T3_PNSL_ISQ_E10value_typeET4_jRbjT5_SW_jjP12ihipStream_tbEUlT_E_NS1_11comp_targetILNS1_3genE10ELNS1_11target_archE1201ELNS1_3gpuE5ELNS1_3repE0EEENS1_30default_config_static_selectorELNS0_4arch9wavefront6targetE1EEEvSK_,"axG",@progbits,_ZN7rocprim17ROCPRIM_400000_NS6detail17trampoline_kernelINS0_14default_configENS1_36segmented_radix_sort_config_selectorIilEEZNS1_25segmented_radix_sort_implIS3_Lb1EPKiPiPKlPlN2at6native12_GLOBAL__N_18offset_tEEE10hipError_tPvRmT1_PNSt15iterator_traitsISK_E10value_typeET2_T3_PNSL_ISQ_E10value_typeET4_jRbjT5_SW_jjP12ihipStream_tbEUlT_E_NS1_11comp_targetILNS1_3genE10ELNS1_11target_archE1201ELNS1_3gpuE5ELNS1_3repE0EEENS1_30default_config_static_selectorELNS0_4arch9wavefront6targetE1EEEvSK_,comdat
.Lfunc_end503:
	.size	_ZN7rocprim17ROCPRIM_400000_NS6detail17trampoline_kernelINS0_14default_configENS1_36segmented_radix_sort_config_selectorIilEEZNS1_25segmented_radix_sort_implIS3_Lb1EPKiPiPKlPlN2at6native12_GLOBAL__N_18offset_tEEE10hipError_tPvRmT1_PNSt15iterator_traitsISK_E10value_typeET2_T3_PNSL_ISQ_E10value_typeET4_jRbjT5_SW_jjP12ihipStream_tbEUlT_E_NS1_11comp_targetILNS1_3genE10ELNS1_11target_archE1201ELNS1_3gpuE5ELNS1_3repE0EEENS1_30default_config_static_selectorELNS0_4arch9wavefront6targetE1EEEvSK_, .Lfunc_end503-_ZN7rocprim17ROCPRIM_400000_NS6detail17trampoline_kernelINS0_14default_configENS1_36segmented_radix_sort_config_selectorIilEEZNS1_25segmented_radix_sort_implIS3_Lb1EPKiPiPKlPlN2at6native12_GLOBAL__N_18offset_tEEE10hipError_tPvRmT1_PNSt15iterator_traitsISK_E10value_typeET2_T3_PNSL_ISQ_E10value_typeET4_jRbjT5_SW_jjP12ihipStream_tbEUlT_E_NS1_11comp_targetILNS1_3genE10ELNS1_11target_archE1201ELNS1_3gpuE5ELNS1_3repE0EEENS1_30default_config_static_selectorELNS0_4arch9wavefront6targetE1EEEvSK_
                                        ; -- End function
	.section	.AMDGPU.csdata,"",@progbits
; Kernel info:
; codeLenInByte = 0
; NumSgprs: 4
; NumVgprs: 0
; NumAgprs: 0
; TotalNumVgprs: 0
; ScratchSize: 0
; MemoryBound: 0
; FloatMode: 240
; IeeeMode: 1
; LDSByteSize: 0 bytes/workgroup (compile time only)
; SGPRBlocks: 0
; VGPRBlocks: 0
; NumSGPRsForWavesPerEU: 4
; NumVGPRsForWavesPerEU: 1
; AccumOffset: 4
; Occupancy: 8
; WaveLimiterHint : 0
; COMPUTE_PGM_RSRC2:SCRATCH_EN: 0
; COMPUTE_PGM_RSRC2:USER_SGPR: 6
; COMPUTE_PGM_RSRC2:TRAP_HANDLER: 0
; COMPUTE_PGM_RSRC2:TGID_X_EN: 1
; COMPUTE_PGM_RSRC2:TGID_Y_EN: 0
; COMPUTE_PGM_RSRC2:TGID_Z_EN: 0
; COMPUTE_PGM_RSRC2:TIDIG_COMP_CNT: 0
; COMPUTE_PGM_RSRC3_GFX90A:ACCUM_OFFSET: 0
; COMPUTE_PGM_RSRC3_GFX90A:TG_SPLIT: 0
	.section	.text._ZN7rocprim17ROCPRIM_400000_NS6detail17trampoline_kernelINS0_14default_configENS1_36segmented_radix_sort_config_selectorIilEEZNS1_25segmented_radix_sort_implIS3_Lb1EPKiPiPKlPlN2at6native12_GLOBAL__N_18offset_tEEE10hipError_tPvRmT1_PNSt15iterator_traitsISK_E10value_typeET2_T3_PNSL_ISQ_E10value_typeET4_jRbjT5_SW_jjP12ihipStream_tbEUlT_E_NS1_11comp_targetILNS1_3genE10ELNS1_11target_archE1200ELNS1_3gpuE4ELNS1_3repE0EEENS1_30default_config_static_selectorELNS0_4arch9wavefront6targetE1EEEvSK_,"axG",@progbits,_ZN7rocprim17ROCPRIM_400000_NS6detail17trampoline_kernelINS0_14default_configENS1_36segmented_radix_sort_config_selectorIilEEZNS1_25segmented_radix_sort_implIS3_Lb1EPKiPiPKlPlN2at6native12_GLOBAL__N_18offset_tEEE10hipError_tPvRmT1_PNSt15iterator_traitsISK_E10value_typeET2_T3_PNSL_ISQ_E10value_typeET4_jRbjT5_SW_jjP12ihipStream_tbEUlT_E_NS1_11comp_targetILNS1_3genE10ELNS1_11target_archE1200ELNS1_3gpuE4ELNS1_3repE0EEENS1_30default_config_static_selectorELNS0_4arch9wavefront6targetE1EEEvSK_,comdat
	.globl	_ZN7rocprim17ROCPRIM_400000_NS6detail17trampoline_kernelINS0_14default_configENS1_36segmented_radix_sort_config_selectorIilEEZNS1_25segmented_radix_sort_implIS3_Lb1EPKiPiPKlPlN2at6native12_GLOBAL__N_18offset_tEEE10hipError_tPvRmT1_PNSt15iterator_traitsISK_E10value_typeET2_T3_PNSL_ISQ_E10value_typeET4_jRbjT5_SW_jjP12ihipStream_tbEUlT_E_NS1_11comp_targetILNS1_3genE10ELNS1_11target_archE1200ELNS1_3gpuE4ELNS1_3repE0EEENS1_30default_config_static_selectorELNS0_4arch9wavefront6targetE1EEEvSK_ ; -- Begin function _ZN7rocprim17ROCPRIM_400000_NS6detail17trampoline_kernelINS0_14default_configENS1_36segmented_radix_sort_config_selectorIilEEZNS1_25segmented_radix_sort_implIS3_Lb1EPKiPiPKlPlN2at6native12_GLOBAL__N_18offset_tEEE10hipError_tPvRmT1_PNSt15iterator_traitsISK_E10value_typeET2_T3_PNSL_ISQ_E10value_typeET4_jRbjT5_SW_jjP12ihipStream_tbEUlT_E_NS1_11comp_targetILNS1_3genE10ELNS1_11target_archE1200ELNS1_3gpuE4ELNS1_3repE0EEENS1_30default_config_static_selectorELNS0_4arch9wavefront6targetE1EEEvSK_
	.p2align	8
	.type	_ZN7rocprim17ROCPRIM_400000_NS6detail17trampoline_kernelINS0_14default_configENS1_36segmented_radix_sort_config_selectorIilEEZNS1_25segmented_radix_sort_implIS3_Lb1EPKiPiPKlPlN2at6native12_GLOBAL__N_18offset_tEEE10hipError_tPvRmT1_PNSt15iterator_traitsISK_E10value_typeET2_T3_PNSL_ISQ_E10value_typeET4_jRbjT5_SW_jjP12ihipStream_tbEUlT_E_NS1_11comp_targetILNS1_3genE10ELNS1_11target_archE1200ELNS1_3gpuE4ELNS1_3repE0EEENS1_30default_config_static_selectorELNS0_4arch9wavefront6targetE1EEEvSK_,@function
_ZN7rocprim17ROCPRIM_400000_NS6detail17trampoline_kernelINS0_14default_configENS1_36segmented_radix_sort_config_selectorIilEEZNS1_25segmented_radix_sort_implIS3_Lb1EPKiPiPKlPlN2at6native12_GLOBAL__N_18offset_tEEE10hipError_tPvRmT1_PNSt15iterator_traitsISK_E10value_typeET2_T3_PNSL_ISQ_E10value_typeET4_jRbjT5_SW_jjP12ihipStream_tbEUlT_E_NS1_11comp_targetILNS1_3genE10ELNS1_11target_archE1200ELNS1_3gpuE4ELNS1_3repE0EEENS1_30default_config_static_selectorELNS0_4arch9wavefront6targetE1EEEvSK_: ; @_ZN7rocprim17ROCPRIM_400000_NS6detail17trampoline_kernelINS0_14default_configENS1_36segmented_radix_sort_config_selectorIilEEZNS1_25segmented_radix_sort_implIS3_Lb1EPKiPiPKlPlN2at6native12_GLOBAL__N_18offset_tEEE10hipError_tPvRmT1_PNSt15iterator_traitsISK_E10value_typeET2_T3_PNSL_ISQ_E10value_typeET4_jRbjT5_SW_jjP12ihipStream_tbEUlT_E_NS1_11comp_targetILNS1_3genE10ELNS1_11target_archE1200ELNS1_3gpuE4ELNS1_3repE0EEENS1_30default_config_static_selectorELNS0_4arch9wavefront6targetE1EEEvSK_
; %bb.0:
	.section	.rodata,"a",@progbits
	.p2align	6, 0x0
	.amdhsa_kernel _ZN7rocprim17ROCPRIM_400000_NS6detail17trampoline_kernelINS0_14default_configENS1_36segmented_radix_sort_config_selectorIilEEZNS1_25segmented_radix_sort_implIS3_Lb1EPKiPiPKlPlN2at6native12_GLOBAL__N_18offset_tEEE10hipError_tPvRmT1_PNSt15iterator_traitsISK_E10value_typeET2_T3_PNSL_ISQ_E10value_typeET4_jRbjT5_SW_jjP12ihipStream_tbEUlT_E_NS1_11comp_targetILNS1_3genE10ELNS1_11target_archE1200ELNS1_3gpuE4ELNS1_3repE0EEENS1_30default_config_static_selectorELNS0_4arch9wavefront6targetE1EEEvSK_
		.amdhsa_group_segment_fixed_size 0
		.amdhsa_private_segment_fixed_size 0
		.amdhsa_kernarg_size 96
		.amdhsa_user_sgpr_count 6
		.amdhsa_user_sgpr_private_segment_buffer 1
		.amdhsa_user_sgpr_dispatch_ptr 0
		.amdhsa_user_sgpr_queue_ptr 0
		.amdhsa_user_sgpr_kernarg_segment_ptr 1
		.amdhsa_user_sgpr_dispatch_id 0
		.amdhsa_user_sgpr_flat_scratch_init 0
		.amdhsa_user_sgpr_kernarg_preload_length 0
		.amdhsa_user_sgpr_kernarg_preload_offset 0
		.amdhsa_user_sgpr_private_segment_size 0
		.amdhsa_uses_dynamic_stack 0
		.amdhsa_system_sgpr_private_segment_wavefront_offset 0
		.amdhsa_system_sgpr_workgroup_id_x 1
		.amdhsa_system_sgpr_workgroup_id_y 0
		.amdhsa_system_sgpr_workgroup_id_z 0
		.amdhsa_system_sgpr_workgroup_info 0
		.amdhsa_system_vgpr_workitem_id 0
		.amdhsa_next_free_vgpr 1
		.amdhsa_next_free_sgpr 0
		.amdhsa_accum_offset 4
		.amdhsa_reserve_vcc 0
		.amdhsa_reserve_flat_scratch 0
		.amdhsa_float_round_mode_32 0
		.amdhsa_float_round_mode_16_64 0
		.amdhsa_float_denorm_mode_32 3
		.amdhsa_float_denorm_mode_16_64 3
		.amdhsa_dx10_clamp 1
		.amdhsa_ieee_mode 1
		.amdhsa_fp16_overflow 0
		.amdhsa_tg_split 0
		.amdhsa_exception_fp_ieee_invalid_op 0
		.amdhsa_exception_fp_denorm_src 0
		.amdhsa_exception_fp_ieee_div_zero 0
		.amdhsa_exception_fp_ieee_overflow 0
		.amdhsa_exception_fp_ieee_underflow 0
		.amdhsa_exception_fp_ieee_inexact 0
		.amdhsa_exception_int_div_zero 0
	.end_amdhsa_kernel
	.section	.text._ZN7rocprim17ROCPRIM_400000_NS6detail17trampoline_kernelINS0_14default_configENS1_36segmented_radix_sort_config_selectorIilEEZNS1_25segmented_radix_sort_implIS3_Lb1EPKiPiPKlPlN2at6native12_GLOBAL__N_18offset_tEEE10hipError_tPvRmT1_PNSt15iterator_traitsISK_E10value_typeET2_T3_PNSL_ISQ_E10value_typeET4_jRbjT5_SW_jjP12ihipStream_tbEUlT_E_NS1_11comp_targetILNS1_3genE10ELNS1_11target_archE1200ELNS1_3gpuE4ELNS1_3repE0EEENS1_30default_config_static_selectorELNS0_4arch9wavefront6targetE1EEEvSK_,"axG",@progbits,_ZN7rocprim17ROCPRIM_400000_NS6detail17trampoline_kernelINS0_14default_configENS1_36segmented_radix_sort_config_selectorIilEEZNS1_25segmented_radix_sort_implIS3_Lb1EPKiPiPKlPlN2at6native12_GLOBAL__N_18offset_tEEE10hipError_tPvRmT1_PNSt15iterator_traitsISK_E10value_typeET2_T3_PNSL_ISQ_E10value_typeET4_jRbjT5_SW_jjP12ihipStream_tbEUlT_E_NS1_11comp_targetILNS1_3genE10ELNS1_11target_archE1200ELNS1_3gpuE4ELNS1_3repE0EEENS1_30default_config_static_selectorELNS0_4arch9wavefront6targetE1EEEvSK_,comdat
.Lfunc_end504:
	.size	_ZN7rocprim17ROCPRIM_400000_NS6detail17trampoline_kernelINS0_14default_configENS1_36segmented_radix_sort_config_selectorIilEEZNS1_25segmented_radix_sort_implIS3_Lb1EPKiPiPKlPlN2at6native12_GLOBAL__N_18offset_tEEE10hipError_tPvRmT1_PNSt15iterator_traitsISK_E10value_typeET2_T3_PNSL_ISQ_E10value_typeET4_jRbjT5_SW_jjP12ihipStream_tbEUlT_E_NS1_11comp_targetILNS1_3genE10ELNS1_11target_archE1200ELNS1_3gpuE4ELNS1_3repE0EEENS1_30default_config_static_selectorELNS0_4arch9wavefront6targetE1EEEvSK_, .Lfunc_end504-_ZN7rocprim17ROCPRIM_400000_NS6detail17trampoline_kernelINS0_14default_configENS1_36segmented_radix_sort_config_selectorIilEEZNS1_25segmented_radix_sort_implIS3_Lb1EPKiPiPKlPlN2at6native12_GLOBAL__N_18offset_tEEE10hipError_tPvRmT1_PNSt15iterator_traitsISK_E10value_typeET2_T3_PNSL_ISQ_E10value_typeET4_jRbjT5_SW_jjP12ihipStream_tbEUlT_E_NS1_11comp_targetILNS1_3genE10ELNS1_11target_archE1200ELNS1_3gpuE4ELNS1_3repE0EEENS1_30default_config_static_selectorELNS0_4arch9wavefront6targetE1EEEvSK_
                                        ; -- End function
	.section	.AMDGPU.csdata,"",@progbits
; Kernel info:
; codeLenInByte = 0
; NumSgprs: 4
; NumVgprs: 0
; NumAgprs: 0
; TotalNumVgprs: 0
; ScratchSize: 0
; MemoryBound: 0
; FloatMode: 240
; IeeeMode: 1
; LDSByteSize: 0 bytes/workgroup (compile time only)
; SGPRBlocks: 0
; VGPRBlocks: 0
; NumSGPRsForWavesPerEU: 4
; NumVGPRsForWavesPerEU: 1
; AccumOffset: 4
; Occupancy: 8
; WaveLimiterHint : 0
; COMPUTE_PGM_RSRC2:SCRATCH_EN: 0
; COMPUTE_PGM_RSRC2:USER_SGPR: 6
; COMPUTE_PGM_RSRC2:TRAP_HANDLER: 0
; COMPUTE_PGM_RSRC2:TGID_X_EN: 1
; COMPUTE_PGM_RSRC2:TGID_Y_EN: 0
; COMPUTE_PGM_RSRC2:TGID_Z_EN: 0
; COMPUTE_PGM_RSRC2:TIDIG_COMP_CNT: 0
; COMPUTE_PGM_RSRC3_GFX90A:ACCUM_OFFSET: 0
; COMPUTE_PGM_RSRC3_GFX90A:TG_SPLIT: 0
	.section	.text._ZN7rocprim17ROCPRIM_400000_NS6detail17trampoline_kernelINS0_14default_configENS1_36segmented_radix_sort_config_selectorIilEEZNS1_25segmented_radix_sort_implIS3_Lb1EPKiPiPKlPlN2at6native12_GLOBAL__N_18offset_tEEE10hipError_tPvRmT1_PNSt15iterator_traitsISK_E10value_typeET2_T3_PNSL_ISQ_E10value_typeET4_jRbjT5_SW_jjP12ihipStream_tbEUlT_E_NS1_11comp_targetILNS1_3genE9ELNS1_11target_archE1100ELNS1_3gpuE3ELNS1_3repE0EEENS1_30default_config_static_selectorELNS0_4arch9wavefront6targetE1EEEvSK_,"axG",@progbits,_ZN7rocprim17ROCPRIM_400000_NS6detail17trampoline_kernelINS0_14default_configENS1_36segmented_radix_sort_config_selectorIilEEZNS1_25segmented_radix_sort_implIS3_Lb1EPKiPiPKlPlN2at6native12_GLOBAL__N_18offset_tEEE10hipError_tPvRmT1_PNSt15iterator_traitsISK_E10value_typeET2_T3_PNSL_ISQ_E10value_typeET4_jRbjT5_SW_jjP12ihipStream_tbEUlT_E_NS1_11comp_targetILNS1_3genE9ELNS1_11target_archE1100ELNS1_3gpuE3ELNS1_3repE0EEENS1_30default_config_static_selectorELNS0_4arch9wavefront6targetE1EEEvSK_,comdat
	.globl	_ZN7rocprim17ROCPRIM_400000_NS6detail17trampoline_kernelINS0_14default_configENS1_36segmented_radix_sort_config_selectorIilEEZNS1_25segmented_radix_sort_implIS3_Lb1EPKiPiPKlPlN2at6native12_GLOBAL__N_18offset_tEEE10hipError_tPvRmT1_PNSt15iterator_traitsISK_E10value_typeET2_T3_PNSL_ISQ_E10value_typeET4_jRbjT5_SW_jjP12ihipStream_tbEUlT_E_NS1_11comp_targetILNS1_3genE9ELNS1_11target_archE1100ELNS1_3gpuE3ELNS1_3repE0EEENS1_30default_config_static_selectorELNS0_4arch9wavefront6targetE1EEEvSK_ ; -- Begin function _ZN7rocprim17ROCPRIM_400000_NS6detail17trampoline_kernelINS0_14default_configENS1_36segmented_radix_sort_config_selectorIilEEZNS1_25segmented_radix_sort_implIS3_Lb1EPKiPiPKlPlN2at6native12_GLOBAL__N_18offset_tEEE10hipError_tPvRmT1_PNSt15iterator_traitsISK_E10value_typeET2_T3_PNSL_ISQ_E10value_typeET4_jRbjT5_SW_jjP12ihipStream_tbEUlT_E_NS1_11comp_targetILNS1_3genE9ELNS1_11target_archE1100ELNS1_3gpuE3ELNS1_3repE0EEENS1_30default_config_static_selectorELNS0_4arch9wavefront6targetE1EEEvSK_
	.p2align	8
	.type	_ZN7rocprim17ROCPRIM_400000_NS6detail17trampoline_kernelINS0_14default_configENS1_36segmented_radix_sort_config_selectorIilEEZNS1_25segmented_radix_sort_implIS3_Lb1EPKiPiPKlPlN2at6native12_GLOBAL__N_18offset_tEEE10hipError_tPvRmT1_PNSt15iterator_traitsISK_E10value_typeET2_T3_PNSL_ISQ_E10value_typeET4_jRbjT5_SW_jjP12ihipStream_tbEUlT_E_NS1_11comp_targetILNS1_3genE9ELNS1_11target_archE1100ELNS1_3gpuE3ELNS1_3repE0EEENS1_30default_config_static_selectorELNS0_4arch9wavefront6targetE1EEEvSK_,@function
_ZN7rocprim17ROCPRIM_400000_NS6detail17trampoline_kernelINS0_14default_configENS1_36segmented_radix_sort_config_selectorIilEEZNS1_25segmented_radix_sort_implIS3_Lb1EPKiPiPKlPlN2at6native12_GLOBAL__N_18offset_tEEE10hipError_tPvRmT1_PNSt15iterator_traitsISK_E10value_typeET2_T3_PNSL_ISQ_E10value_typeET4_jRbjT5_SW_jjP12ihipStream_tbEUlT_E_NS1_11comp_targetILNS1_3genE9ELNS1_11target_archE1100ELNS1_3gpuE3ELNS1_3repE0EEENS1_30default_config_static_selectorELNS0_4arch9wavefront6targetE1EEEvSK_: ; @_ZN7rocprim17ROCPRIM_400000_NS6detail17trampoline_kernelINS0_14default_configENS1_36segmented_radix_sort_config_selectorIilEEZNS1_25segmented_radix_sort_implIS3_Lb1EPKiPiPKlPlN2at6native12_GLOBAL__N_18offset_tEEE10hipError_tPvRmT1_PNSt15iterator_traitsISK_E10value_typeET2_T3_PNSL_ISQ_E10value_typeET4_jRbjT5_SW_jjP12ihipStream_tbEUlT_E_NS1_11comp_targetILNS1_3genE9ELNS1_11target_archE1100ELNS1_3gpuE3ELNS1_3repE0EEENS1_30default_config_static_selectorELNS0_4arch9wavefront6targetE1EEEvSK_
; %bb.0:
	.section	.rodata,"a",@progbits
	.p2align	6, 0x0
	.amdhsa_kernel _ZN7rocprim17ROCPRIM_400000_NS6detail17trampoline_kernelINS0_14default_configENS1_36segmented_radix_sort_config_selectorIilEEZNS1_25segmented_radix_sort_implIS3_Lb1EPKiPiPKlPlN2at6native12_GLOBAL__N_18offset_tEEE10hipError_tPvRmT1_PNSt15iterator_traitsISK_E10value_typeET2_T3_PNSL_ISQ_E10value_typeET4_jRbjT5_SW_jjP12ihipStream_tbEUlT_E_NS1_11comp_targetILNS1_3genE9ELNS1_11target_archE1100ELNS1_3gpuE3ELNS1_3repE0EEENS1_30default_config_static_selectorELNS0_4arch9wavefront6targetE1EEEvSK_
		.amdhsa_group_segment_fixed_size 0
		.amdhsa_private_segment_fixed_size 0
		.amdhsa_kernarg_size 96
		.amdhsa_user_sgpr_count 6
		.amdhsa_user_sgpr_private_segment_buffer 1
		.amdhsa_user_sgpr_dispatch_ptr 0
		.amdhsa_user_sgpr_queue_ptr 0
		.amdhsa_user_sgpr_kernarg_segment_ptr 1
		.amdhsa_user_sgpr_dispatch_id 0
		.amdhsa_user_sgpr_flat_scratch_init 0
		.amdhsa_user_sgpr_kernarg_preload_length 0
		.amdhsa_user_sgpr_kernarg_preload_offset 0
		.amdhsa_user_sgpr_private_segment_size 0
		.amdhsa_uses_dynamic_stack 0
		.amdhsa_system_sgpr_private_segment_wavefront_offset 0
		.amdhsa_system_sgpr_workgroup_id_x 1
		.amdhsa_system_sgpr_workgroup_id_y 0
		.amdhsa_system_sgpr_workgroup_id_z 0
		.amdhsa_system_sgpr_workgroup_info 0
		.amdhsa_system_vgpr_workitem_id 0
		.amdhsa_next_free_vgpr 1
		.amdhsa_next_free_sgpr 0
		.amdhsa_accum_offset 4
		.amdhsa_reserve_vcc 0
		.amdhsa_reserve_flat_scratch 0
		.amdhsa_float_round_mode_32 0
		.amdhsa_float_round_mode_16_64 0
		.amdhsa_float_denorm_mode_32 3
		.amdhsa_float_denorm_mode_16_64 3
		.amdhsa_dx10_clamp 1
		.amdhsa_ieee_mode 1
		.amdhsa_fp16_overflow 0
		.amdhsa_tg_split 0
		.amdhsa_exception_fp_ieee_invalid_op 0
		.amdhsa_exception_fp_denorm_src 0
		.amdhsa_exception_fp_ieee_div_zero 0
		.amdhsa_exception_fp_ieee_overflow 0
		.amdhsa_exception_fp_ieee_underflow 0
		.amdhsa_exception_fp_ieee_inexact 0
		.amdhsa_exception_int_div_zero 0
	.end_amdhsa_kernel
	.section	.text._ZN7rocprim17ROCPRIM_400000_NS6detail17trampoline_kernelINS0_14default_configENS1_36segmented_radix_sort_config_selectorIilEEZNS1_25segmented_radix_sort_implIS3_Lb1EPKiPiPKlPlN2at6native12_GLOBAL__N_18offset_tEEE10hipError_tPvRmT1_PNSt15iterator_traitsISK_E10value_typeET2_T3_PNSL_ISQ_E10value_typeET4_jRbjT5_SW_jjP12ihipStream_tbEUlT_E_NS1_11comp_targetILNS1_3genE9ELNS1_11target_archE1100ELNS1_3gpuE3ELNS1_3repE0EEENS1_30default_config_static_selectorELNS0_4arch9wavefront6targetE1EEEvSK_,"axG",@progbits,_ZN7rocprim17ROCPRIM_400000_NS6detail17trampoline_kernelINS0_14default_configENS1_36segmented_radix_sort_config_selectorIilEEZNS1_25segmented_radix_sort_implIS3_Lb1EPKiPiPKlPlN2at6native12_GLOBAL__N_18offset_tEEE10hipError_tPvRmT1_PNSt15iterator_traitsISK_E10value_typeET2_T3_PNSL_ISQ_E10value_typeET4_jRbjT5_SW_jjP12ihipStream_tbEUlT_E_NS1_11comp_targetILNS1_3genE9ELNS1_11target_archE1100ELNS1_3gpuE3ELNS1_3repE0EEENS1_30default_config_static_selectorELNS0_4arch9wavefront6targetE1EEEvSK_,comdat
.Lfunc_end505:
	.size	_ZN7rocprim17ROCPRIM_400000_NS6detail17trampoline_kernelINS0_14default_configENS1_36segmented_radix_sort_config_selectorIilEEZNS1_25segmented_radix_sort_implIS3_Lb1EPKiPiPKlPlN2at6native12_GLOBAL__N_18offset_tEEE10hipError_tPvRmT1_PNSt15iterator_traitsISK_E10value_typeET2_T3_PNSL_ISQ_E10value_typeET4_jRbjT5_SW_jjP12ihipStream_tbEUlT_E_NS1_11comp_targetILNS1_3genE9ELNS1_11target_archE1100ELNS1_3gpuE3ELNS1_3repE0EEENS1_30default_config_static_selectorELNS0_4arch9wavefront6targetE1EEEvSK_, .Lfunc_end505-_ZN7rocprim17ROCPRIM_400000_NS6detail17trampoline_kernelINS0_14default_configENS1_36segmented_radix_sort_config_selectorIilEEZNS1_25segmented_radix_sort_implIS3_Lb1EPKiPiPKlPlN2at6native12_GLOBAL__N_18offset_tEEE10hipError_tPvRmT1_PNSt15iterator_traitsISK_E10value_typeET2_T3_PNSL_ISQ_E10value_typeET4_jRbjT5_SW_jjP12ihipStream_tbEUlT_E_NS1_11comp_targetILNS1_3genE9ELNS1_11target_archE1100ELNS1_3gpuE3ELNS1_3repE0EEENS1_30default_config_static_selectorELNS0_4arch9wavefront6targetE1EEEvSK_
                                        ; -- End function
	.section	.AMDGPU.csdata,"",@progbits
; Kernel info:
; codeLenInByte = 0
; NumSgprs: 4
; NumVgprs: 0
; NumAgprs: 0
; TotalNumVgprs: 0
; ScratchSize: 0
; MemoryBound: 0
; FloatMode: 240
; IeeeMode: 1
; LDSByteSize: 0 bytes/workgroup (compile time only)
; SGPRBlocks: 0
; VGPRBlocks: 0
; NumSGPRsForWavesPerEU: 4
; NumVGPRsForWavesPerEU: 1
; AccumOffset: 4
; Occupancy: 8
; WaveLimiterHint : 0
; COMPUTE_PGM_RSRC2:SCRATCH_EN: 0
; COMPUTE_PGM_RSRC2:USER_SGPR: 6
; COMPUTE_PGM_RSRC2:TRAP_HANDLER: 0
; COMPUTE_PGM_RSRC2:TGID_X_EN: 1
; COMPUTE_PGM_RSRC2:TGID_Y_EN: 0
; COMPUTE_PGM_RSRC2:TGID_Z_EN: 0
; COMPUTE_PGM_RSRC2:TIDIG_COMP_CNT: 0
; COMPUTE_PGM_RSRC3_GFX90A:ACCUM_OFFSET: 0
; COMPUTE_PGM_RSRC3_GFX90A:TG_SPLIT: 0
	.section	.text._ZN7rocprim17ROCPRIM_400000_NS6detail17trampoline_kernelINS0_14default_configENS1_36segmented_radix_sort_config_selectorIilEEZNS1_25segmented_radix_sort_implIS3_Lb1EPKiPiPKlPlN2at6native12_GLOBAL__N_18offset_tEEE10hipError_tPvRmT1_PNSt15iterator_traitsISK_E10value_typeET2_T3_PNSL_ISQ_E10value_typeET4_jRbjT5_SW_jjP12ihipStream_tbEUlT_E_NS1_11comp_targetILNS1_3genE8ELNS1_11target_archE1030ELNS1_3gpuE2ELNS1_3repE0EEENS1_30default_config_static_selectorELNS0_4arch9wavefront6targetE1EEEvSK_,"axG",@progbits,_ZN7rocprim17ROCPRIM_400000_NS6detail17trampoline_kernelINS0_14default_configENS1_36segmented_radix_sort_config_selectorIilEEZNS1_25segmented_radix_sort_implIS3_Lb1EPKiPiPKlPlN2at6native12_GLOBAL__N_18offset_tEEE10hipError_tPvRmT1_PNSt15iterator_traitsISK_E10value_typeET2_T3_PNSL_ISQ_E10value_typeET4_jRbjT5_SW_jjP12ihipStream_tbEUlT_E_NS1_11comp_targetILNS1_3genE8ELNS1_11target_archE1030ELNS1_3gpuE2ELNS1_3repE0EEENS1_30default_config_static_selectorELNS0_4arch9wavefront6targetE1EEEvSK_,comdat
	.globl	_ZN7rocprim17ROCPRIM_400000_NS6detail17trampoline_kernelINS0_14default_configENS1_36segmented_radix_sort_config_selectorIilEEZNS1_25segmented_radix_sort_implIS3_Lb1EPKiPiPKlPlN2at6native12_GLOBAL__N_18offset_tEEE10hipError_tPvRmT1_PNSt15iterator_traitsISK_E10value_typeET2_T3_PNSL_ISQ_E10value_typeET4_jRbjT5_SW_jjP12ihipStream_tbEUlT_E_NS1_11comp_targetILNS1_3genE8ELNS1_11target_archE1030ELNS1_3gpuE2ELNS1_3repE0EEENS1_30default_config_static_selectorELNS0_4arch9wavefront6targetE1EEEvSK_ ; -- Begin function _ZN7rocprim17ROCPRIM_400000_NS6detail17trampoline_kernelINS0_14default_configENS1_36segmented_radix_sort_config_selectorIilEEZNS1_25segmented_radix_sort_implIS3_Lb1EPKiPiPKlPlN2at6native12_GLOBAL__N_18offset_tEEE10hipError_tPvRmT1_PNSt15iterator_traitsISK_E10value_typeET2_T3_PNSL_ISQ_E10value_typeET4_jRbjT5_SW_jjP12ihipStream_tbEUlT_E_NS1_11comp_targetILNS1_3genE8ELNS1_11target_archE1030ELNS1_3gpuE2ELNS1_3repE0EEENS1_30default_config_static_selectorELNS0_4arch9wavefront6targetE1EEEvSK_
	.p2align	8
	.type	_ZN7rocprim17ROCPRIM_400000_NS6detail17trampoline_kernelINS0_14default_configENS1_36segmented_radix_sort_config_selectorIilEEZNS1_25segmented_radix_sort_implIS3_Lb1EPKiPiPKlPlN2at6native12_GLOBAL__N_18offset_tEEE10hipError_tPvRmT1_PNSt15iterator_traitsISK_E10value_typeET2_T3_PNSL_ISQ_E10value_typeET4_jRbjT5_SW_jjP12ihipStream_tbEUlT_E_NS1_11comp_targetILNS1_3genE8ELNS1_11target_archE1030ELNS1_3gpuE2ELNS1_3repE0EEENS1_30default_config_static_selectorELNS0_4arch9wavefront6targetE1EEEvSK_,@function
_ZN7rocprim17ROCPRIM_400000_NS6detail17trampoline_kernelINS0_14default_configENS1_36segmented_radix_sort_config_selectorIilEEZNS1_25segmented_radix_sort_implIS3_Lb1EPKiPiPKlPlN2at6native12_GLOBAL__N_18offset_tEEE10hipError_tPvRmT1_PNSt15iterator_traitsISK_E10value_typeET2_T3_PNSL_ISQ_E10value_typeET4_jRbjT5_SW_jjP12ihipStream_tbEUlT_E_NS1_11comp_targetILNS1_3genE8ELNS1_11target_archE1030ELNS1_3gpuE2ELNS1_3repE0EEENS1_30default_config_static_selectorELNS0_4arch9wavefront6targetE1EEEvSK_: ; @_ZN7rocprim17ROCPRIM_400000_NS6detail17trampoline_kernelINS0_14default_configENS1_36segmented_radix_sort_config_selectorIilEEZNS1_25segmented_radix_sort_implIS3_Lb1EPKiPiPKlPlN2at6native12_GLOBAL__N_18offset_tEEE10hipError_tPvRmT1_PNSt15iterator_traitsISK_E10value_typeET2_T3_PNSL_ISQ_E10value_typeET4_jRbjT5_SW_jjP12ihipStream_tbEUlT_E_NS1_11comp_targetILNS1_3genE8ELNS1_11target_archE1030ELNS1_3gpuE2ELNS1_3repE0EEENS1_30default_config_static_selectorELNS0_4arch9wavefront6targetE1EEEvSK_
; %bb.0:
	.section	.rodata,"a",@progbits
	.p2align	6, 0x0
	.amdhsa_kernel _ZN7rocprim17ROCPRIM_400000_NS6detail17trampoline_kernelINS0_14default_configENS1_36segmented_radix_sort_config_selectorIilEEZNS1_25segmented_radix_sort_implIS3_Lb1EPKiPiPKlPlN2at6native12_GLOBAL__N_18offset_tEEE10hipError_tPvRmT1_PNSt15iterator_traitsISK_E10value_typeET2_T3_PNSL_ISQ_E10value_typeET4_jRbjT5_SW_jjP12ihipStream_tbEUlT_E_NS1_11comp_targetILNS1_3genE8ELNS1_11target_archE1030ELNS1_3gpuE2ELNS1_3repE0EEENS1_30default_config_static_selectorELNS0_4arch9wavefront6targetE1EEEvSK_
		.amdhsa_group_segment_fixed_size 0
		.amdhsa_private_segment_fixed_size 0
		.amdhsa_kernarg_size 96
		.amdhsa_user_sgpr_count 6
		.amdhsa_user_sgpr_private_segment_buffer 1
		.amdhsa_user_sgpr_dispatch_ptr 0
		.amdhsa_user_sgpr_queue_ptr 0
		.amdhsa_user_sgpr_kernarg_segment_ptr 1
		.amdhsa_user_sgpr_dispatch_id 0
		.amdhsa_user_sgpr_flat_scratch_init 0
		.amdhsa_user_sgpr_kernarg_preload_length 0
		.amdhsa_user_sgpr_kernarg_preload_offset 0
		.amdhsa_user_sgpr_private_segment_size 0
		.amdhsa_uses_dynamic_stack 0
		.amdhsa_system_sgpr_private_segment_wavefront_offset 0
		.amdhsa_system_sgpr_workgroup_id_x 1
		.amdhsa_system_sgpr_workgroup_id_y 0
		.amdhsa_system_sgpr_workgroup_id_z 0
		.amdhsa_system_sgpr_workgroup_info 0
		.amdhsa_system_vgpr_workitem_id 0
		.amdhsa_next_free_vgpr 1
		.amdhsa_next_free_sgpr 0
		.amdhsa_accum_offset 4
		.amdhsa_reserve_vcc 0
		.amdhsa_reserve_flat_scratch 0
		.amdhsa_float_round_mode_32 0
		.amdhsa_float_round_mode_16_64 0
		.amdhsa_float_denorm_mode_32 3
		.amdhsa_float_denorm_mode_16_64 3
		.amdhsa_dx10_clamp 1
		.amdhsa_ieee_mode 1
		.amdhsa_fp16_overflow 0
		.amdhsa_tg_split 0
		.amdhsa_exception_fp_ieee_invalid_op 0
		.amdhsa_exception_fp_denorm_src 0
		.amdhsa_exception_fp_ieee_div_zero 0
		.amdhsa_exception_fp_ieee_overflow 0
		.amdhsa_exception_fp_ieee_underflow 0
		.amdhsa_exception_fp_ieee_inexact 0
		.amdhsa_exception_int_div_zero 0
	.end_amdhsa_kernel
	.section	.text._ZN7rocprim17ROCPRIM_400000_NS6detail17trampoline_kernelINS0_14default_configENS1_36segmented_radix_sort_config_selectorIilEEZNS1_25segmented_radix_sort_implIS3_Lb1EPKiPiPKlPlN2at6native12_GLOBAL__N_18offset_tEEE10hipError_tPvRmT1_PNSt15iterator_traitsISK_E10value_typeET2_T3_PNSL_ISQ_E10value_typeET4_jRbjT5_SW_jjP12ihipStream_tbEUlT_E_NS1_11comp_targetILNS1_3genE8ELNS1_11target_archE1030ELNS1_3gpuE2ELNS1_3repE0EEENS1_30default_config_static_selectorELNS0_4arch9wavefront6targetE1EEEvSK_,"axG",@progbits,_ZN7rocprim17ROCPRIM_400000_NS6detail17trampoline_kernelINS0_14default_configENS1_36segmented_radix_sort_config_selectorIilEEZNS1_25segmented_radix_sort_implIS3_Lb1EPKiPiPKlPlN2at6native12_GLOBAL__N_18offset_tEEE10hipError_tPvRmT1_PNSt15iterator_traitsISK_E10value_typeET2_T3_PNSL_ISQ_E10value_typeET4_jRbjT5_SW_jjP12ihipStream_tbEUlT_E_NS1_11comp_targetILNS1_3genE8ELNS1_11target_archE1030ELNS1_3gpuE2ELNS1_3repE0EEENS1_30default_config_static_selectorELNS0_4arch9wavefront6targetE1EEEvSK_,comdat
.Lfunc_end506:
	.size	_ZN7rocprim17ROCPRIM_400000_NS6detail17trampoline_kernelINS0_14default_configENS1_36segmented_radix_sort_config_selectorIilEEZNS1_25segmented_radix_sort_implIS3_Lb1EPKiPiPKlPlN2at6native12_GLOBAL__N_18offset_tEEE10hipError_tPvRmT1_PNSt15iterator_traitsISK_E10value_typeET2_T3_PNSL_ISQ_E10value_typeET4_jRbjT5_SW_jjP12ihipStream_tbEUlT_E_NS1_11comp_targetILNS1_3genE8ELNS1_11target_archE1030ELNS1_3gpuE2ELNS1_3repE0EEENS1_30default_config_static_selectorELNS0_4arch9wavefront6targetE1EEEvSK_, .Lfunc_end506-_ZN7rocprim17ROCPRIM_400000_NS6detail17trampoline_kernelINS0_14default_configENS1_36segmented_radix_sort_config_selectorIilEEZNS1_25segmented_radix_sort_implIS3_Lb1EPKiPiPKlPlN2at6native12_GLOBAL__N_18offset_tEEE10hipError_tPvRmT1_PNSt15iterator_traitsISK_E10value_typeET2_T3_PNSL_ISQ_E10value_typeET4_jRbjT5_SW_jjP12ihipStream_tbEUlT_E_NS1_11comp_targetILNS1_3genE8ELNS1_11target_archE1030ELNS1_3gpuE2ELNS1_3repE0EEENS1_30default_config_static_selectorELNS0_4arch9wavefront6targetE1EEEvSK_
                                        ; -- End function
	.section	.AMDGPU.csdata,"",@progbits
; Kernel info:
; codeLenInByte = 0
; NumSgprs: 4
; NumVgprs: 0
; NumAgprs: 0
; TotalNumVgprs: 0
; ScratchSize: 0
; MemoryBound: 0
; FloatMode: 240
; IeeeMode: 1
; LDSByteSize: 0 bytes/workgroup (compile time only)
; SGPRBlocks: 0
; VGPRBlocks: 0
; NumSGPRsForWavesPerEU: 4
; NumVGPRsForWavesPerEU: 1
; AccumOffset: 4
; Occupancy: 8
; WaveLimiterHint : 0
; COMPUTE_PGM_RSRC2:SCRATCH_EN: 0
; COMPUTE_PGM_RSRC2:USER_SGPR: 6
; COMPUTE_PGM_RSRC2:TRAP_HANDLER: 0
; COMPUTE_PGM_RSRC2:TGID_X_EN: 1
; COMPUTE_PGM_RSRC2:TGID_Y_EN: 0
; COMPUTE_PGM_RSRC2:TGID_Z_EN: 0
; COMPUTE_PGM_RSRC2:TIDIG_COMP_CNT: 0
; COMPUTE_PGM_RSRC3_GFX90A:ACCUM_OFFSET: 0
; COMPUTE_PGM_RSRC3_GFX90A:TG_SPLIT: 0
	.section	.text._ZN7rocprim17ROCPRIM_400000_NS6detail17trampoline_kernelINS0_14default_configENS1_36segmented_radix_sort_config_selectorIilEEZNS1_25segmented_radix_sort_implIS3_Lb1EPKiPiPKlPlN2at6native12_GLOBAL__N_18offset_tEEE10hipError_tPvRmT1_PNSt15iterator_traitsISK_E10value_typeET2_T3_PNSL_ISQ_E10value_typeET4_jRbjT5_SW_jjP12ihipStream_tbEUlT_E0_NS1_11comp_targetILNS1_3genE0ELNS1_11target_archE4294967295ELNS1_3gpuE0ELNS1_3repE0EEENS1_60segmented_radix_sort_warp_sort_medium_config_static_selectorELNS0_4arch9wavefront6targetE1EEEvSK_,"axG",@progbits,_ZN7rocprim17ROCPRIM_400000_NS6detail17trampoline_kernelINS0_14default_configENS1_36segmented_radix_sort_config_selectorIilEEZNS1_25segmented_radix_sort_implIS3_Lb1EPKiPiPKlPlN2at6native12_GLOBAL__N_18offset_tEEE10hipError_tPvRmT1_PNSt15iterator_traitsISK_E10value_typeET2_T3_PNSL_ISQ_E10value_typeET4_jRbjT5_SW_jjP12ihipStream_tbEUlT_E0_NS1_11comp_targetILNS1_3genE0ELNS1_11target_archE4294967295ELNS1_3gpuE0ELNS1_3repE0EEENS1_60segmented_radix_sort_warp_sort_medium_config_static_selectorELNS0_4arch9wavefront6targetE1EEEvSK_,comdat
	.globl	_ZN7rocprim17ROCPRIM_400000_NS6detail17trampoline_kernelINS0_14default_configENS1_36segmented_radix_sort_config_selectorIilEEZNS1_25segmented_radix_sort_implIS3_Lb1EPKiPiPKlPlN2at6native12_GLOBAL__N_18offset_tEEE10hipError_tPvRmT1_PNSt15iterator_traitsISK_E10value_typeET2_T3_PNSL_ISQ_E10value_typeET4_jRbjT5_SW_jjP12ihipStream_tbEUlT_E0_NS1_11comp_targetILNS1_3genE0ELNS1_11target_archE4294967295ELNS1_3gpuE0ELNS1_3repE0EEENS1_60segmented_radix_sort_warp_sort_medium_config_static_selectorELNS0_4arch9wavefront6targetE1EEEvSK_ ; -- Begin function _ZN7rocprim17ROCPRIM_400000_NS6detail17trampoline_kernelINS0_14default_configENS1_36segmented_radix_sort_config_selectorIilEEZNS1_25segmented_radix_sort_implIS3_Lb1EPKiPiPKlPlN2at6native12_GLOBAL__N_18offset_tEEE10hipError_tPvRmT1_PNSt15iterator_traitsISK_E10value_typeET2_T3_PNSL_ISQ_E10value_typeET4_jRbjT5_SW_jjP12ihipStream_tbEUlT_E0_NS1_11comp_targetILNS1_3genE0ELNS1_11target_archE4294967295ELNS1_3gpuE0ELNS1_3repE0EEENS1_60segmented_radix_sort_warp_sort_medium_config_static_selectorELNS0_4arch9wavefront6targetE1EEEvSK_
	.p2align	8
	.type	_ZN7rocprim17ROCPRIM_400000_NS6detail17trampoline_kernelINS0_14default_configENS1_36segmented_radix_sort_config_selectorIilEEZNS1_25segmented_radix_sort_implIS3_Lb1EPKiPiPKlPlN2at6native12_GLOBAL__N_18offset_tEEE10hipError_tPvRmT1_PNSt15iterator_traitsISK_E10value_typeET2_T3_PNSL_ISQ_E10value_typeET4_jRbjT5_SW_jjP12ihipStream_tbEUlT_E0_NS1_11comp_targetILNS1_3genE0ELNS1_11target_archE4294967295ELNS1_3gpuE0ELNS1_3repE0EEENS1_60segmented_radix_sort_warp_sort_medium_config_static_selectorELNS0_4arch9wavefront6targetE1EEEvSK_,@function
_ZN7rocprim17ROCPRIM_400000_NS6detail17trampoline_kernelINS0_14default_configENS1_36segmented_radix_sort_config_selectorIilEEZNS1_25segmented_radix_sort_implIS3_Lb1EPKiPiPKlPlN2at6native12_GLOBAL__N_18offset_tEEE10hipError_tPvRmT1_PNSt15iterator_traitsISK_E10value_typeET2_T3_PNSL_ISQ_E10value_typeET4_jRbjT5_SW_jjP12ihipStream_tbEUlT_E0_NS1_11comp_targetILNS1_3genE0ELNS1_11target_archE4294967295ELNS1_3gpuE0ELNS1_3repE0EEENS1_60segmented_radix_sort_warp_sort_medium_config_static_selectorELNS0_4arch9wavefront6targetE1EEEvSK_: ; @_ZN7rocprim17ROCPRIM_400000_NS6detail17trampoline_kernelINS0_14default_configENS1_36segmented_radix_sort_config_selectorIilEEZNS1_25segmented_radix_sort_implIS3_Lb1EPKiPiPKlPlN2at6native12_GLOBAL__N_18offset_tEEE10hipError_tPvRmT1_PNSt15iterator_traitsISK_E10value_typeET2_T3_PNSL_ISQ_E10value_typeET4_jRbjT5_SW_jjP12ihipStream_tbEUlT_E0_NS1_11comp_targetILNS1_3genE0ELNS1_11target_archE4294967295ELNS1_3gpuE0ELNS1_3repE0EEENS1_60segmented_radix_sort_warp_sort_medium_config_static_selectorELNS0_4arch9wavefront6targetE1EEEvSK_
; %bb.0:
	.section	.rodata,"a",@progbits
	.p2align	6, 0x0
	.amdhsa_kernel _ZN7rocprim17ROCPRIM_400000_NS6detail17trampoline_kernelINS0_14default_configENS1_36segmented_radix_sort_config_selectorIilEEZNS1_25segmented_radix_sort_implIS3_Lb1EPKiPiPKlPlN2at6native12_GLOBAL__N_18offset_tEEE10hipError_tPvRmT1_PNSt15iterator_traitsISK_E10value_typeET2_T3_PNSL_ISQ_E10value_typeET4_jRbjT5_SW_jjP12ihipStream_tbEUlT_E0_NS1_11comp_targetILNS1_3genE0ELNS1_11target_archE4294967295ELNS1_3gpuE0ELNS1_3repE0EEENS1_60segmented_radix_sort_warp_sort_medium_config_static_selectorELNS0_4arch9wavefront6targetE1EEEvSK_
		.amdhsa_group_segment_fixed_size 0
		.amdhsa_private_segment_fixed_size 0
		.amdhsa_kernarg_size 88
		.amdhsa_user_sgpr_count 6
		.amdhsa_user_sgpr_private_segment_buffer 1
		.amdhsa_user_sgpr_dispatch_ptr 0
		.amdhsa_user_sgpr_queue_ptr 0
		.amdhsa_user_sgpr_kernarg_segment_ptr 1
		.amdhsa_user_sgpr_dispatch_id 0
		.amdhsa_user_sgpr_flat_scratch_init 0
		.amdhsa_user_sgpr_kernarg_preload_length 0
		.amdhsa_user_sgpr_kernarg_preload_offset 0
		.amdhsa_user_sgpr_private_segment_size 0
		.amdhsa_uses_dynamic_stack 0
		.amdhsa_system_sgpr_private_segment_wavefront_offset 0
		.amdhsa_system_sgpr_workgroup_id_x 1
		.amdhsa_system_sgpr_workgroup_id_y 0
		.amdhsa_system_sgpr_workgroup_id_z 0
		.amdhsa_system_sgpr_workgroup_info 0
		.amdhsa_system_vgpr_workitem_id 0
		.amdhsa_next_free_vgpr 1
		.amdhsa_next_free_sgpr 0
		.amdhsa_accum_offset 4
		.amdhsa_reserve_vcc 0
		.amdhsa_reserve_flat_scratch 0
		.amdhsa_float_round_mode_32 0
		.amdhsa_float_round_mode_16_64 0
		.amdhsa_float_denorm_mode_32 3
		.amdhsa_float_denorm_mode_16_64 3
		.amdhsa_dx10_clamp 1
		.amdhsa_ieee_mode 1
		.amdhsa_fp16_overflow 0
		.amdhsa_tg_split 0
		.amdhsa_exception_fp_ieee_invalid_op 0
		.amdhsa_exception_fp_denorm_src 0
		.amdhsa_exception_fp_ieee_div_zero 0
		.amdhsa_exception_fp_ieee_overflow 0
		.amdhsa_exception_fp_ieee_underflow 0
		.amdhsa_exception_fp_ieee_inexact 0
		.amdhsa_exception_int_div_zero 0
	.end_amdhsa_kernel
	.section	.text._ZN7rocprim17ROCPRIM_400000_NS6detail17trampoline_kernelINS0_14default_configENS1_36segmented_radix_sort_config_selectorIilEEZNS1_25segmented_radix_sort_implIS3_Lb1EPKiPiPKlPlN2at6native12_GLOBAL__N_18offset_tEEE10hipError_tPvRmT1_PNSt15iterator_traitsISK_E10value_typeET2_T3_PNSL_ISQ_E10value_typeET4_jRbjT5_SW_jjP12ihipStream_tbEUlT_E0_NS1_11comp_targetILNS1_3genE0ELNS1_11target_archE4294967295ELNS1_3gpuE0ELNS1_3repE0EEENS1_60segmented_radix_sort_warp_sort_medium_config_static_selectorELNS0_4arch9wavefront6targetE1EEEvSK_,"axG",@progbits,_ZN7rocprim17ROCPRIM_400000_NS6detail17trampoline_kernelINS0_14default_configENS1_36segmented_radix_sort_config_selectorIilEEZNS1_25segmented_radix_sort_implIS3_Lb1EPKiPiPKlPlN2at6native12_GLOBAL__N_18offset_tEEE10hipError_tPvRmT1_PNSt15iterator_traitsISK_E10value_typeET2_T3_PNSL_ISQ_E10value_typeET4_jRbjT5_SW_jjP12ihipStream_tbEUlT_E0_NS1_11comp_targetILNS1_3genE0ELNS1_11target_archE4294967295ELNS1_3gpuE0ELNS1_3repE0EEENS1_60segmented_radix_sort_warp_sort_medium_config_static_selectorELNS0_4arch9wavefront6targetE1EEEvSK_,comdat
.Lfunc_end507:
	.size	_ZN7rocprim17ROCPRIM_400000_NS6detail17trampoline_kernelINS0_14default_configENS1_36segmented_radix_sort_config_selectorIilEEZNS1_25segmented_radix_sort_implIS3_Lb1EPKiPiPKlPlN2at6native12_GLOBAL__N_18offset_tEEE10hipError_tPvRmT1_PNSt15iterator_traitsISK_E10value_typeET2_T3_PNSL_ISQ_E10value_typeET4_jRbjT5_SW_jjP12ihipStream_tbEUlT_E0_NS1_11comp_targetILNS1_3genE0ELNS1_11target_archE4294967295ELNS1_3gpuE0ELNS1_3repE0EEENS1_60segmented_radix_sort_warp_sort_medium_config_static_selectorELNS0_4arch9wavefront6targetE1EEEvSK_, .Lfunc_end507-_ZN7rocprim17ROCPRIM_400000_NS6detail17trampoline_kernelINS0_14default_configENS1_36segmented_radix_sort_config_selectorIilEEZNS1_25segmented_radix_sort_implIS3_Lb1EPKiPiPKlPlN2at6native12_GLOBAL__N_18offset_tEEE10hipError_tPvRmT1_PNSt15iterator_traitsISK_E10value_typeET2_T3_PNSL_ISQ_E10value_typeET4_jRbjT5_SW_jjP12ihipStream_tbEUlT_E0_NS1_11comp_targetILNS1_3genE0ELNS1_11target_archE4294967295ELNS1_3gpuE0ELNS1_3repE0EEENS1_60segmented_radix_sort_warp_sort_medium_config_static_selectorELNS0_4arch9wavefront6targetE1EEEvSK_
                                        ; -- End function
	.section	.AMDGPU.csdata,"",@progbits
; Kernel info:
; codeLenInByte = 0
; NumSgprs: 4
; NumVgprs: 0
; NumAgprs: 0
; TotalNumVgprs: 0
; ScratchSize: 0
; MemoryBound: 0
; FloatMode: 240
; IeeeMode: 1
; LDSByteSize: 0 bytes/workgroup (compile time only)
; SGPRBlocks: 0
; VGPRBlocks: 0
; NumSGPRsForWavesPerEU: 4
; NumVGPRsForWavesPerEU: 1
; AccumOffset: 4
; Occupancy: 8
; WaveLimiterHint : 0
; COMPUTE_PGM_RSRC2:SCRATCH_EN: 0
; COMPUTE_PGM_RSRC2:USER_SGPR: 6
; COMPUTE_PGM_RSRC2:TRAP_HANDLER: 0
; COMPUTE_PGM_RSRC2:TGID_X_EN: 1
; COMPUTE_PGM_RSRC2:TGID_Y_EN: 0
; COMPUTE_PGM_RSRC2:TGID_Z_EN: 0
; COMPUTE_PGM_RSRC2:TIDIG_COMP_CNT: 0
; COMPUTE_PGM_RSRC3_GFX90A:ACCUM_OFFSET: 0
; COMPUTE_PGM_RSRC3_GFX90A:TG_SPLIT: 0
	.section	.text._ZN7rocprim17ROCPRIM_400000_NS6detail17trampoline_kernelINS0_14default_configENS1_36segmented_radix_sort_config_selectorIilEEZNS1_25segmented_radix_sort_implIS3_Lb1EPKiPiPKlPlN2at6native12_GLOBAL__N_18offset_tEEE10hipError_tPvRmT1_PNSt15iterator_traitsISK_E10value_typeET2_T3_PNSL_ISQ_E10value_typeET4_jRbjT5_SW_jjP12ihipStream_tbEUlT_E0_NS1_11comp_targetILNS1_3genE5ELNS1_11target_archE942ELNS1_3gpuE9ELNS1_3repE0EEENS1_60segmented_radix_sort_warp_sort_medium_config_static_selectorELNS0_4arch9wavefront6targetE1EEEvSK_,"axG",@progbits,_ZN7rocprim17ROCPRIM_400000_NS6detail17trampoline_kernelINS0_14default_configENS1_36segmented_radix_sort_config_selectorIilEEZNS1_25segmented_radix_sort_implIS3_Lb1EPKiPiPKlPlN2at6native12_GLOBAL__N_18offset_tEEE10hipError_tPvRmT1_PNSt15iterator_traitsISK_E10value_typeET2_T3_PNSL_ISQ_E10value_typeET4_jRbjT5_SW_jjP12ihipStream_tbEUlT_E0_NS1_11comp_targetILNS1_3genE5ELNS1_11target_archE942ELNS1_3gpuE9ELNS1_3repE0EEENS1_60segmented_radix_sort_warp_sort_medium_config_static_selectorELNS0_4arch9wavefront6targetE1EEEvSK_,comdat
	.globl	_ZN7rocprim17ROCPRIM_400000_NS6detail17trampoline_kernelINS0_14default_configENS1_36segmented_radix_sort_config_selectorIilEEZNS1_25segmented_radix_sort_implIS3_Lb1EPKiPiPKlPlN2at6native12_GLOBAL__N_18offset_tEEE10hipError_tPvRmT1_PNSt15iterator_traitsISK_E10value_typeET2_T3_PNSL_ISQ_E10value_typeET4_jRbjT5_SW_jjP12ihipStream_tbEUlT_E0_NS1_11comp_targetILNS1_3genE5ELNS1_11target_archE942ELNS1_3gpuE9ELNS1_3repE0EEENS1_60segmented_radix_sort_warp_sort_medium_config_static_selectorELNS0_4arch9wavefront6targetE1EEEvSK_ ; -- Begin function _ZN7rocprim17ROCPRIM_400000_NS6detail17trampoline_kernelINS0_14default_configENS1_36segmented_radix_sort_config_selectorIilEEZNS1_25segmented_radix_sort_implIS3_Lb1EPKiPiPKlPlN2at6native12_GLOBAL__N_18offset_tEEE10hipError_tPvRmT1_PNSt15iterator_traitsISK_E10value_typeET2_T3_PNSL_ISQ_E10value_typeET4_jRbjT5_SW_jjP12ihipStream_tbEUlT_E0_NS1_11comp_targetILNS1_3genE5ELNS1_11target_archE942ELNS1_3gpuE9ELNS1_3repE0EEENS1_60segmented_radix_sort_warp_sort_medium_config_static_selectorELNS0_4arch9wavefront6targetE1EEEvSK_
	.p2align	8
	.type	_ZN7rocprim17ROCPRIM_400000_NS6detail17trampoline_kernelINS0_14default_configENS1_36segmented_radix_sort_config_selectorIilEEZNS1_25segmented_radix_sort_implIS3_Lb1EPKiPiPKlPlN2at6native12_GLOBAL__N_18offset_tEEE10hipError_tPvRmT1_PNSt15iterator_traitsISK_E10value_typeET2_T3_PNSL_ISQ_E10value_typeET4_jRbjT5_SW_jjP12ihipStream_tbEUlT_E0_NS1_11comp_targetILNS1_3genE5ELNS1_11target_archE942ELNS1_3gpuE9ELNS1_3repE0EEENS1_60segmented_radix_sort_warp_sort_medium_config_static_selectorELNS0_4arch9wavefront6targetE1EEEvSK_,@function
_ZN7rocprim17ROCPRIM_400000_NS6detail17trampoline_kernelINS0_14default_configENS1_36segmented_radix_sort_config_selectorIilEEZNS1_25segmented_radix_sort_implIS3_Lb1EPKiPiPKlPlN2at6native12_GLOBAL__N_18offset_tEEE10hipError_tPvRmT1_PNSt15iterator_traitsISK_E10value_typeET2_T3_PNSL_ISQ_E10value_typeET4_jRbjT5_SW_jjP12ihipStream_tbEUlT_E0_NS1_11comp_targetILNS1_3genE5ELNS1_11target_archE942ELNS1_3gpuE9ELNS1_3repE0EEENS1_60segmented_radix_sort_warp_sort_medium_config_static_selectorELNS0_4arch9wavefront6targetE1EEEvSK_: ; @_ZN7rocprim17ROCPRIM_400000_NS6detail17trampoline_kernelINS0_14default_configENS1_36segmented_radix_sort_config_selectorIilEEZNS1_25segmented_radix_sort_implIS3_Lb1EPKiPiPKlPlN2at6native12_GLOBAL__N_18offset_tEEE10hipError_tPvRmT1_PNSt15iterator_traitsISK_E10value_typeET2_T3_PNSL_ISQ_E10value_typeET4_jRbjT5_SW_jjP12ihipStream_tbEUlT_E0_NS1_11comp_targetILNS1_3genE5ELNS1_11target_archE942ELNS1_3gpuE9ELNS1_3repE0EEENS1_60segmented_radix_sort_warp_sort_medium_config_static_selectorELNS0_4arch9wavefront6targetE1EEEvSK_
; %bb.0:
	.section	.rodata,"a",@progbits
	.p2align	6, 0x0
	.amdhsa_kernel _ZN7rocprim17ROCPRIM_400000_NS6detail17trampoline_kernelINS0_14default_configENS1_36segmented_radix_sort_config_selectorIilEEZNS1_25segmented_radix_sort_implIS3_Lb1EPKiPiPKlPlN2at6native12_GLOBAL__N_18offset_tEEE10hipError_tPvRmT1_PNSt15iterator_traitsISK_E10value_typeET2_T3_PNSL_ISQ_E10value_typeET4_jRbjT5_SW_jjP12ihipStream_tbEUlT_E0_NS1_11comp_targetILNS1_3genE5ELNS1_11target_archE942ELNS1_3gpuE9ELNS1_3repE0EEENS1_60segmented_radix_sort_warp_sort_medium_config_static_selectorELNS0_4arch9wavefront6targetE1EEEvSK_
		.amdhsa_group_segment_fixed_size 0
		.amdhsa_private_segment_fixed_size 0
		.amdhsa_kernarg_size 88
		.amdhsa_user_sgpr_count 6
		.amdhsa_user_sgpr_private_segment_buffer 1
		.amdhsa_user_sgpr_dispatch_ptr 0
		.amdhsa_user_sgpr_queue_ptr 0
		.amdhsa_user_sgpr_kernarg_segment_ptr 1
		.amdhsa_user_sgpr_dispatch_id 0
		.amdhsa_user_sgpr_flat_scratch_init 0
		.amdhsa_user_sgpr_kernarg_preload_length 0
		.amdhsa_user_sgpr_kernarg_preload_offset 0
		.amdhsa_user_sgpr_private_segment_size 0
		.amdhsa_uses_dynamic_stack 0
		.amdhsa_system_sgpr_private_segment_wavefront_offset 0
		.amdhsa_system_sgpr_workgroup_id_x 1
		.amdhsa_system_sgpr_workgroup_id_y 0
		.amdhsa_system_sgpr_workgroup_id_z 0
		.amdhsa_system_sgpr_workgroup_info 0
		.amdhsa_system_vgpr_workitem_id 0
		.amdhsa_next_free_vgpr 1
		.amdhsa_next_free_sgpr 0
		.amdhsa_accum_offset 4
		.amdhsa_reserve_vcc 0
		.amdhsa_reserve_flat_scratch 0
		.amdhsa_float_round_mode_32 0
		.amdhsa_float_round_mode_16_64 0
		.amdhsa_float_denorm_mode_32 3
		.amdhsa_float_denorm_mode_16_64 3
		.amdhsa_dx10_clamp 1
		.amdhsa_ieee_mode 1
		.amdhsa_fp16_overflow 0
		.amdhsa_tg_split 0
		.amdhsa_exception_fp_ieee_invalid_op 0
		.amdhsa_exception_fp_denorm_src 0
		.amdhsa_exception_fp_ieee_div_zero 0
		.amdhsa_exception_fp_ieee_overflow 0
		.amdhsa_exception_fp_ieee_underflow 0
		.amdhsa_exception_fp_ieee_inexact 0
		.amdhsa_exception_int_div_zero 0
	.end_amdhsa_kernel
	.section	.text._ZN7rocprim17ROCPRIM_400000_NS6detail17trampoline_kernelINS0_14default_configENS1_36segmented_radix_sort_config_selectorIilEEZNS1_25segmented_radix_sort_implIS3_Lb1EPKiPiPKlPlN2at6native12_GLOBAL__N_18offset_tEEE10hipError_tPvRmT1_PNSt15iterator_traitsISK_E10value_typeET2_T3_PNSL_ISQ_E10value_typeET4_jRbjT5_SW_jjP12ihipStream_tbEUlT_E0_NS1_11comp_targetILNS1_3genE5ELNS1_11target_archE942ELNS1_3gpuE9ELNS1_3repE0EEENS1_60segmented_radix_sort_warp_sort_medium_config_static_selectorELNS0_4arch9wavefront6targetE1EEEvSK_,"axG",@progbits,_ZN7rocprim17ROCPRIM_400000_NS6detail17trampoline_kernelINS0_14default_configENS1_36segmented_radix_sort_config_selectorIilEEZNS1_25segmented_radix_sort_implIS3_Lb1EPKiPiPKlPlN2at6native12_GLOBAL__N_18offset_tEEE10hipError_tPvRmT1_PNSt15iterator_traitsISK_E10value_typeET2_T3_PNSL_ISQ_E10value_typeET4_jRbjT5_SW_jjP12ihipStream_tbEUlT_E0_NS1_11comp_targetILNS1_3genE5ELNS1_11target_archE942ELNS1_3gpuE9ELNS1_3repE0EEENS1_60segmented_radix_sort_warp_sort_medium_config_static_selectorELNS0_4arch9wavefront6targetE1EEEvSK_,comdat
.Lfunc_end508:
	.size	_ZN7rocprim17ROCPRIM_400000_NS6detail17trampoline_kernelINS0_14default_configENS1_36segmented_radix_sort_config_selectorIilEEZNS1_25segmented_radix_sort_implIS3_Lb1EPKiPiPKlPlN2at6native12_GLOBAL__N_18offset_tEEE10hipError_tPvRmT1_PNSt15iterator_traitsISK_E10value_typeET2_T3_PNSL_ISQ_E10value_typeET4_jRbjT5_SW_jjP12ihipStream_tbEUlT_E0_NS1_11comp_targetILNS1_3genE5ELNS1_11target_archE942ELNS1_3gpuE9ELNS1_3repE0EEENS1_60segmented_radix_sort_warp_sort_medium_config_static_selectorELNS0_4arch9wavefront6targetE1EEEvSK_, .Lfunc_end508-_ZN7rocprim17ROCPRIM_400000_NS6detail17trampoline_kernelINS0_14default_configENS1_36segmented_radix_sort_config_selectorIilEEZNS1_25segmented_radix_sort_implIS3_Lb1EPKiPiPKlPlN2at6native12_GLOBAL__N_18offset_tEEE10hipError_tPvRmT1_PNSt15iterator_traitsISK_E10value_typeET2_T3_PNSL_ISQ_E10value_typeET4_jRbjT5_SW_jjP12ihipStream_tbEUlT_E0_NS1_11comp_targetILNS1_3genE5ELNS1_11target_archE942ELNS1_3gpuE9ELNS1_3repE0EEENS1_60segmented_radix_sort_warp_sort_medium_config_static_selectorELNS0_4arch9wavefront6targetE1EEEvSK_
                                        ; -- End function
	.section	.AMDGPU.csdata,"",@progbits
; Kernel info:
; codeLenInByte = 0
; NumSgprs: 4
; NumVgprs: 0
; NumAgprs: 0
; TotalNumVgprs: 0
; ScratchSize: 0
; MemoryBound: 0
; FloatMode: 240
; IeeeMode: 1
; LDSByteSize: 0 bytes/workgroup (compile time only)
; SGPRBlocks: 0
; VGPRBlocks: 0
; NumSGPRsForWavesPerEU: 4
; NumVGPRsForWavesPerEU: 1
; AccumOffset: 4
; Occupancy: 8
; WaveLimiterHint : 0
; COMPUTE_PGM_RSRC2:SCRATCH_EN: 0
; COMPUTE_PGM_RSRC2:USER_SGPR: 6
; COMPUTE_PGM_RSRC2:TRAP_HANDLER: 0
; COMPUTE_PGM_RSRC2:TGID_X_EN: 1
; COMPUTE_PGM_RSRC2:TGID_Y_EN: 0
; COMPUTE_PGM_RSRC2:TGID_Z_EN: 0
; COMPUTE_PGM_RSRC2:TIDIG_COMP_CNT: 0
; COMPUTE_PGM_RSRC3_GFX90A:ACCUM_OFFSET: 0
; COMPUTE_PGM_RSRC3_GFX90A:TG_SPLIT: 0
	.text
	.p2align	2                               ; -- Begin function _ZN7rocprim17ROCPRIM_400000_NS6detail26segmented_warp_sort_helperINS1_20WarpSortHelperConfigILj16ELj8ELj256EEEilLi256ELb1EvE4sortIPKiPiPKlPlEEvT_T0_T1_T2_jjjjRNS5_12storage_typeE
	.type	_ZN7rocprim17ROCPRIM_400000_NS6detail26segmented_warp_sort_helperINS1_20WarpSortHelperConfigILj16ELj8ELj256EEEilLi256ELb1EvE4sortIPKiPiPKlPlEEvT_T0_T1_T2_jjjjRNS5_12storage_typeE,@function
_ZN7rocprim17ROCPRIM_400000_NS6detail26segmented_warp_sort_helperINS1_20WarpSortHelperConfigILj16ELj8ELj256EEEilLi256ELb1EvE4sortIPKiPiPKlPlEEvT_T0_T1_T2_jjjjRNS5_12storage_typeE: ; @_ZN7rocprim17ROCPRIM_400000_NS6detail26segmented_warp_sort_helperINS1_20WarpSortHelperConfigILj16ELj8ELj256EEEilLi256ELb1EvE4sortIPKiPiPKlPlEEvT_T0_T1_T2_jjjjRNS5_12storage_typeE
; %bb.0:
	s_waitcnt vmcnt(0) expcnt(0) lgkmcnt(0)
	s_or_saveexec_b64 s[4:5], -1
	buffer_store_dword v40, off, s[0:3], s32 ; 4-byte Folded Spill
	s_mov_b64 exec, s[4:5]
	v_writelane_b32 v40, s34, 0
	v_writelane_b32 v40, s35, 1
	;; [unrolled: 1-line block ×14, first 2 shown]
	v_mbcnt_lo_u32_b32 v13, -1, 0
	v_sub_u32_e32 v12, v9, v8
	v_mov_b32_e32 v9, 0
	v_mbcnt_hi_u32_b32 v13, -1, v13
	v_lshlrev_b64 v[54:55], 2, v[8:9]
	v_lshlrev_b32_e32 v82, 3, v13
	v_add_co_u32_e32 v0, vcc, v0, v54
	v_and_b32_e32 v83, 0x78, v82
	v_addc_co_u32_e32 v1, vcc, v1, v55, vcc
	v_lshlrev_b32_e32 v80, 2, v83
	s_brev_b32 s16, 1
	v_add_co_u32_e32 v0, vcc, v0, v80
	s_mov_b32 s22, s16
	s_mov_b32 s23, s16
	v_addc_co_u32_e32 v1, vcc, 0, v1, vcc
	s_mov_b32 s17, s16
	s_mov_b32 s18, s16
	;; [unrolled: 1-line block ×5, first 2 shown]
	v_pk_mov_b32 v[26:27], s[22:23], s[22:23] op_sel:[0,1]
	v_cmp_lt_u32_e32 vcc, v83, v12
	v_pk_mov_b32 v[24:25], s[20:21], s[20:21] op_sel:[0,1]
	v_pk_mov_b32 v[22:23], s[18:19], s[18:19] op_sel:[0,1]
	;; [unrolled: 1-line block ×3, first 2 shown]
	s_and_saveexec_b64 s[4:5], vcc
	s_cbranch_execz .LBB509_2
; %bb.1:
	flat_load_dword v20, v[0:1]
	v_bfrev_b32_e32 v21, 1
	v_mov_b32_e32 v22, v21
	v_mov_b32_e32 v23, v21
	;; [unrolled: 1-line block ×6, first 2 shown]
.LBB509_2:
	s_or_b64 exec, exec, s[4:5]
	v_or_b32_e32 v13, 1, v83
	v_cmp_lt_u32_e64 s[4:5], v13, v12
	s_and_saveexec_b64 s[6:7], s[4:5]
	s_cbranch_execz .LBB509_4
; %bb.3:
	flat_load_dword v21, v[0:1] offset:4
.LBB509_4:
	s_or_b64 exec, exec, s[6:7]
	v_or_b32_e32 v13, 2, v83
	v_cmp_lt_u32_e64 s[6:7], v13, v12
	s_and_saveexec_b64 s[10:11], s[6:7]
	s_cbranch_execz .LBB509_6
; %bb.5:
	flat_load_dword v22, v[0:1] offset:8
.LBB509_6:
	;; [unrolled: 8-line block ×7, first 2 shown]
	s_or_b64 exec, exec, s[20:21]
	v_lshlrev_b64 v[0:1], 3, v[8:9]
	v_add_co_u32_e64 v4, s[20:21], v4, v0
	v_addc_co_u32_e64 v5, s[20:21], v5, v1, s[20:21]
	v_lshlrev_b32_e32 v81, 3, v83
	v_add_co_u32_e64 v8, s[20:21], v4, v81
	v_addc_co_u32_e64 v9, s[20:21], 0, v5, s[20:21]
	; wave barrier
                                        ; implicit-def: $vgpr4_vgpr5
	s_and_saveexec_b64 s[20:21], vcc
	s_cbranch_execnz .LBB509_236
; %bb.17:
	s_or_b64 exec, exec, s[20:21]
	s_and_saveexec_b64 s[20:21], s[4:5]
                                        ; implicit-def: $vgpr32_vgpr33_vgpr34_vgpr35
	s_cbranch_execnz .LBB509_237
.LBB509_18:
	s_or_b64 exec, exec, s[20:21]
                                        ; implicit-def: $vgpr64_vgpr65
	s_and_saveexec_b64 s[20:21], s[6:7]
	s_cbranch_execnz .LBB509_238
.LBB509_19:
	s_or_b64 exec, exec, s[20:21]
	s_and_saveexec_b64 s[20:21], s[18:19]
                                        ; implicit-def: $vgpr50_vgpr51_vgpr52_vgpr53
	s_cbranch_execnz .LBB509_239
.LBB509_20:
	s_or_b64 exec, exec, s[20:21]
                                        ; implicit-def: $vgpr66_vgpr67
	s_and_saveexec_b64 s[20:21], s[10:11]
	s_cbranch_execnz .LBB509_240
.LBB509_21:
	s_or_b64 exec, exec, s[20:21]
	s_and_saveexec_b64 s[20:21], s[26:27]
                                        ; implicit-def: $vgpr48_vgpr49_vgpr50_vgpr51
	s_cbranch_execnz .LBB509_241
.LBB509_22:
	s_or_b64 exec, exec, s[20:21]
                                        ; implicit-def: $vgpr48_vgpr49
	s_and_saveexec_b64 s[20:21], s[14:15]
	s_cbranch_execnz .LBB509_242
.LBB509_23:
	s_or_b64 exec, exec, s[20:21]
	s_and_saveexec_b64 s[20:21], s[16:17]
                                        ; implicit-def: $vgpr36_vgpr37_vgpr38_vgpr39
	s_cbranch_execz .LBB509_25
.LBB509_24:
	flat_load_dwordx2 v[38:39], v[8:9] offset:56
.LBB509_25:
	s_or_b64 exec, exec, s[20:21]
	v_cmp_ne_u32_e64 s[20:21], 0, v10
	v_cmp_ne_u32_e64 s[22:23], 32, v11
	s_or_b64 s[20:21], s[20:21], s[22:23]
	v_bfe_u32 v8, v31, 10, 10
	v_bfe_u32 v9, v31, 20, 10
	; wave barrier
                                        ; implicit-def: $vgpr12_vgpr13_vgpr14_vgpr15_vgpr16_vgpr17_vgpr18_vgpr19
	s_and_saveexec_b64 s[22:23], s[20:21]
	s_xor_b64 s[42:43], exec, s[22:23]
	s_cbranch_execz .LBB509_121
; %bb.26:
	s_load_dwordx2 s[20:21], s[8:9], 0x0
	v_mov_b32_e32 v12, 0
	v_lshlrev_b32_e64 v11, v11, -1
	v_lshlrev_b32_e64 v10, v10, -1
	v_xor_b32_e32 v84, v11, v10
	s_waitcnt lgkmcnt(0)
	s_cmp_lt_u32 s12, s20
	s_cselect_b32 s22, 12, 18
	s_cmp_lt_u32 s13, s21
	s_cselect_b32 s20, 14, 20
	s_add_u32 s20, s8, s20
	s_addc_u32 s21, s9, 0
	s_add_u32 s22, s8, s22
	s_addc_u32 s23, s9, 0
	global_load_ushort v13, v12, s[20:21]
	global_load_ushort v14, v12, s[22:23]
	v_and_b32_e32 v12, 0x3ff, v31
	s_movk_i32 s20, 0x800
	s_waitcnt vmcnt(0)
	v_mad_u32_u24 v8, v9, v13, v8
	v_mul_lo_u32 v8, v8, v14
	v_add_lshl_u32 v85, v8, v12, 3
	v_pk_mov_b32 v[12:13], v[20:21], v[20:21] op_sel:[0,1]
	v_cmp_gt_u32_e64 s[20:21], s20, v85
	v_pk_mov_b32 v[14:15], v[22:23], v[22:23] op_sel:[0,1]
	v_pk_mov_b32 v[16:17], v[24:25], v[24:25] op_sel:[0,1]
	;; [unrolled: 1-line block ×3, first 2 shown]
	s_and_saveexec_b64 s[22:23], s[20:21]
	s_cbranch_execz .LBB509_80
; %bb.27:
	v_and_b32_e32 v8, v21, v84
	v_and_b32_e32 v9, v20, v84
	v_cmp_gt_u32_e64 s[20:21], v8, v9
	v_pk_mov_b32 v[8:9], v[20:21], v[20:21] op_sel:[0,1]
	v_pk_mov_b32 v[68:69], v[34:35], v[34:35] op_sel:[0,1]
	v_pk_mov_b32 v[10:11], v[22:23], v[22:23] op_sel:[0,1]
	v_pk_mov_b32 v[12:13], v[24:25], v[24:25] op_sel:[0,1]
	v_pk_mov_b32 v[14:15], v[26:27], v[26:27] op_sel:[0,1]
	v_mov_b32_e32 v86, v20
	s_and_saveexec_b64 s[24:25], s[20:21]
	s_cbranch_execz .LBB509_29
; %bb.28:
	v_mov_b32_e32 v8, v21
	v_mov_b32_e32 v9, v20
	;; [unrolled: 1-line block ×8, first 2 shown]
	v_pk_mov_b32 v[68:69], v[4:5], v[4:5] op_sel:[0,1]
	v_pk_mov_b32 v[4:5], v[34:35], v[34:35] op_sel:[0,1]
	v_mov_b32_e32 v86, v21
	v_mov_b32_e32 v21, v20
.LBB509_29:
	s_or_b64 exec, exec, s[24:25]
	v_and_b32_e32 v16, v11, v84
	v_and_b32_e32 v17, v10, v84
	v_pk_mov_b32 v[28:29], v[14:15], v[14:15] op_sel:[0,1]
	v_cmp_gt_u32_e64 s[20:21], v16, v17
	v_pk_mov_b32 v[70:71], v[52:53], v[52:53] op_sel:[0,1]
	v_pk_mov_b32 v[26:27], v[12:13], v[12:13] op_sel:[0,1]
	;; [unrolled: 1-line block ×4, first 2 shown]
	v_mov_b32_e32 v20, v11
	s_and_saveexec_b64 s[24:25], s[20:21]
	s_cbranch_execz .LBB509_31
; %bb.30:
	v_mov_b32_e32 v22, v8
	v_mov_b32_e32 v23, v9
	;; [unrolled: 1-line block ×8, first 2 shown]
	v_pk_mov_b32 v[70:71], v[64:65], v[64:65] op_sel:[0,1]
	v_pk_mov_b32 v[64:65], v[52:53], v[52:53] op_sel:[0,1]
	v_mov_b32_e32 v20, v10
	v_mov_b32_e32 v10, v11
.LBB509_31:
	s_or_b64 exec, exec, s[24:25]
	v_and_b32_e32 v8, v27, v84
	v_and_b32_e32 v9, v26, v84
	v_pk_mov_b32 v[36:37], v[28:29], v[28:29] op_sel:[0,1]
	v_cmp_gt_u32_e64 s[20:21], v8, v9
	v_pk_mov_b32 v[8:9], v[66:67], v[66:67] op_sel:[0,1]
	v_pk_mov_b32 v[34:35], v[26:27], v[26:27] op_sel:[0,1]
	;; [unrolled: 1-line block ×4, first 2 shown]
	v_mov_b32_e32 v52, v27
	s_and_saveexec_b64 s[24:25], s[20:21]
	s_cbranch_execz .LBB509_33
; %bb.32:
	v_mov_b32_e32 v30, v22
	v_mov_b32_e32 v31, v23
	;; [unrolled: 1-line block ×8, first 2 shown]
	v_pk_mov_b32 v[8:9], v[50:51], v[50:51] op_sel:[0,1]
	v_pk_mov_b32 v[50:51], v[66:67], v[66:67] op_sel:[0,1]
	v_mov_b32_e32 v52, v26
	v_mov_b32_e32 v26, v27
.LBB509_33:
	s_or_b64 exec, exec, s[24:25]
	v_and_b32_e32 v11, v37, v84
	v_and_b32_e32 v12, v36, v84
	v_cmp_gt_u32_e64 s[20:21], v11, v12
	v_pk_mov_b32 v[12:13], v[30:31], v[30:31] op_sel:[0,1]
	v_pk_mov_b32 v[22:23], v[48:49], v[48:49] op_sel:[0,1]
	;; [unrolled: 1-line block ×5, first 2 shown]
	v_mov_b32_e32 v53, v37
	s_and_saveexec_b64 s[24:25], s[20:21]
	s_cbranch_execz .LBB509_35
; %bb.34:
	v_mov_b32_e32 v12, v30
	v_mov_b32_e32 v13, v31
	;; [unrolled: 1-line block ×8, first 2 shown]
	v_pk_mov_b32 v[22:23], v[38:39], v[38:39] op_sel:[0,1]
	v_pk_mov_b32 v[38:39], v[48:49], v[48:49] op_sel:[0,1]
	v_mov_b32_e32 v53, v36
	v_mov_b32_e32 v36, v37
.LBB509_35:
	s_or_b64 exec, exec, s[24:25]
	v_and_b32_e32 v11, v10, v84
	v_and_b32_e32 v24, v21, v84
	v_cmp_gt_u32_e64 s[20:21], v11, v24
	v_pk_mov_b32 v[24:25], v[64:65], v[64:65] op_sel:[0,1]
	v_mov_b32_e32 v35, v10
	s_and_saveexec_b64 s[24:25], s[20:21]
	s_xor_b64 s[20:21], exec, s[24:25]
; %bb.36:
	v_mov_b32_e32 v13, v10
	v_mov_b32_e32 v14, v21
	v_pk_mov_b32 v[24:25], v[68:69], v[68:69] op_sel:[0,1]
	v_pk_mov_b32 v[68:69], v[64:65], v[64:65] op_sel:[0,1]
	v_mov_b32_e32 v35, v21
	v_mov_b32_e32 v21, v10
; %bb.37:
	s_or_b64 exec, exec, s[20:21]
	v_and_b32_e32 v10, v26, v84
	v_and_b32_e32 v11, v20, v84
	v_cmp_gt_u32_e64 s[20:21], v10, v11
	v_pk_mov_b32 v[28:29], v[70:71], v[70:71] op_sel:[0,1]
	v_mov_b32_e32 v37, v26
	s_and_saveexec_b64 s[24:25], s[20:21]
; %bb.38:
	v_mov_b32_e32 v15, v26
	v_mov_b32_e32 v16, v20
	v_pk_mov_b32 v[28:29], v[8:9], v[8:9] op_sel:[0,1]
	v_pk_mov_b32 v[8:9], v[70:71], v[70:71] op_sel:[0,1]
	v_mov_b32_e32 v37, v20
	v_mov_b32_e32 v20, v26
; %bb.39:
	s_or_b64 exec, exec, s[24:25]
	v_and_b32_e32 v10, v36, v84
	v_and_b32_e32 v11, v52, v84
	v_cmp_gt_u32_e64 s[20:21], v10, v11
	v_pk_mov_b32 v[10:11], v[50:51], v[50:51] op_sel:[0,1]
	v_mov_b32_e32 v48, v36
	s_and_saveexec_b64 s[24:25], s[20:21]
	;; [unrolled: 15-line block ×19, first 2 shown]
; %bb.74:
	v_mov_b32_e32 v16, v36
	v_mov_b32_e32 v17, v68
	v_pk_mov_b32 v[24:25], v[50:51], v[50:51] op_sel:[0,1]
	v_pk_mov_b32 v[50:51], v[26:27], v[26:27] op_sel:[0,1]
	v_mov_b32_e32 v30, v68
	v_mov_b32_e32 v68, v36
; %bb.75:
	s_or_b64 exec, exec, s[24:25]
	v_and_b32_e32 v35, v34, v84
	v_and_b32_e32 v31, v32, v84
	v_cmp_gt_u32_e64 s[20:21], v35, v31
	v_pk_mov_b32 v[26:27], v[8:9], v[8:9] op_sel:[0,1]
	s_and_saveexec_b64 s[24:25], s[20:21]
; %bb.76:
	v_mov_b32_e32 v18, v34
	v_mov_b32_e32 v19, v32
	;; [unrolled: 1-line block ×3, first 2 shown]
	v_pk_mov_b32 v[26:27], v[38:39], v[38:39] op_sel:[0,1]
	v_pk_mov_b32 v[38:39], v[8:9], v[8:9] op_sel:[0,1]
	v_mov_b32_e32 v32, v34
; %bb.77:
	s_or_b64 exec, exec, s[24:25]
	v_and_b32_e32 v8, v49, v84
	v_and_b32_e32 v9, v21, v84
	v_cmp_gt_u32_e64 s[20:21], v8, v9
	v_and_b32_e32 v8, v68, v84
	v_and_b32_e32 v9, v33, v84
	v_cndmask_b32_e64 v65, v29, v23, s[20:21]
	v_cndmask_b32_e64 v64, v28, v22, s[20:21]
	v_cndmask_b32_e64 v35, v23, v29, s[20:21]
	v_cndmask_b32_e64 v34, v22, v28, s[20:21]
	v_cndmask_b32_e64 v14, v14, v21, s[20:21]
	v_cndmask_b32_e64 v13, v13, v49, s[20:21]
	v_cmp_gt_u32_e64 s[20:21], v8, v9
	v_and_b32_e32 v8, v30, v84
	v_cndmask_b32_e64 v53, v11, v25, s[20:21]
	v_cndmask_b32_e64 v52, v10, v24, s[20:21]
	;; [unrolled: 1-line block ×6, first 2 shown]
	v_cmp_gt_u32_e64 s[20:21], v31, v8
	v_pk_mov_b32 v[48:49], v[26:27], v[26:27] op_sel:[0,1]
	s_and_saveexec_b64 s[24:25], s[20:21]
; %bb.78:
	v_mov_b32_e32 v17, v32
	v_mov_b32_e32 v18, v30
	v_pk_mov_b32 v[48:49], v[50:51], v[50:51] op_sel:[0,1]
	v_pk_mov_b32 v[50:51], v[26:27], v[26:27] op_sel:[0,1]
; %bb.79:
	s_or_b64 exec, exec, s[24:25]
.LBB509_80:
	s_or_b64 exec, exec, s[22:23]
	v_and_b32_e32 v8, 0xfffffe00, v85
	s_movk_i32 s20, 0x800
	v_lshlrev_b32_e32 v9, 2, v8
	v_sub_u32_e64 v10, s20, v8 clamp
	v_add_u32_e32 v8, v9, v9
	v_lshl_add_u32 v22, v82, 3, v8
	v_add_u32_e32 v11, 0x2000, v22
	v_add_u32_e32 v23, 0x2010, v22
	v_lshl_add_u32 v21, v82, 2, v9
	ds_write2_b64 v11, v[4:5], v[34:35] offset1:1
	ds_write2_b32 v21, v13, v14 offset0:1 offset1:2
	ds_write2_b64 v23, v[64:65], v[52:53] offset1:1
	ds_write2_b32 v21, v15, v16 offset0:3 offset1:4
	v_add_u32_e32 v23, 0x2020, v22
	ds_write2_b64 v23, v[66:67], v[50:51] offset1:1
	ds_write2_b32 v21, v17, v18 offset0:5 offset1:6
	v_add_u32_e32 v23, 0x2030, v22
	ds_write2_b32 v21, v20, v19 offset1:7
	ds_write2_b64 v23, v[48:49], v[38:39] offset1:1
	v_or_b32_e32 v20, 8, v82
	v_min_u32_e32 v20, v10, v20
	v_add_u32_e32 v23, 8, v20
	v_and_b32_e32 v26, 0x3f0, v82
	v_min_u32_e32 v23, v10, v23
	v_and_b32_e32 v24, 8, v82
	v_min_u32_e32 v27, v10, v24
	v_sub_u32_e32 v28, v20, v26
	v_sub_u32_e32 v25, v23, v20
	v_sub_u32_e64 v25, v27, v25 clamp
	v_min_u32_e32 v28, v27, v28
	v_lshl_add_u32 v24, v26, 2, v9
	v_cmp_lt_u32_e64 s[20:21], v25, v28
	; wave barrier
	s_and_saveexec_b64 s[22:23], s[20:21]
	s_cbranch_execz .LBB509_84
; %bb.81:
	v_lshlrev_b32_e32 v29, 2, v20
	v_lshlrev_b32_e32 v30, 2, v27
	v_add3_u32 v29, v9, v29, v30
	s_mov_b64 s[24:25], 0
.LBB509_82:                             ; =>This Inner Loop Header: Depth=1
	v_add_u32_e32 v30, v28, v25
	v_lshrrev_b32_e32 v30, 1, v30
	v_not_b32_e32 v31, v30
	v_lshl_add_u32 v32, v30, 2, v24
	v_lshl_add_u32 v31, v31, 2, v29
	ds_read_b32 v32, v32
	ds_read_b32 v31, v31
	v_add_u32_e32 v33, 1, v30
	s_waitcnt lgkmcnt(1)
	v_and_b32_e32 v32, v32, v84
	s_waitcnt lgkmcnt(0)
	v_and_b32_e32 v31, v31, v84
	v_cmp_gt_u32_e64 s[20:21], v31, v32
	v_cndmask_b32_e64 v28, v28, v30, s[20:21]
	v_cndmask_b32_e64 v25, v33, v25, s[20:21]
	v_cmp_ge_u32_e64 s[20:21], v25, v28
	s_or_b64 s[24:25], s[20:21], s[24:25]
	s_andn2_b64 exec, exec, s[24:25]
	s_cbranch_execnz .LBB509_82
; %bb.83:
	s_or_b64 exec, exec, s[24:25]
.LBB509_84:
	s_or_b64 exec, exec, s[22:23]
	v_add_u32_e32 v27, v20, v27
	v_add_u32_e32 v26, v25, v26
	v_sub_u32_e32 v27, v27, v25
	v_cmp_le_u32_e64 s[20:21], v26, v20
	v_cmp_le_u32_e64 s[22:23], v27, v23
	s_or_b64 s[20:21], s[20:21], s[22:23]
	s_and_saveexec_b64 s[44:45], s[20:21]
	s_cbranch_execz .LBB509_90
; %bb.85:
	v_cmp_lt_u32_e64 s[20:21], v26, v20
                                        ; implicit-def: $vgpr12
	s_and_saveexec_b64 s[22:23], s[20:21]
	s_cbranch_execz .LBB509_87
; %bb.86:
	v_lshl_add_u32 v4, v25, 2, v24
	ds_read_b32 v12, v4
.LBB509_87:
	s_or_b64 exec, exec, s[22:23]
	v_cmp_ge_u32_e64 s[22:23], v27, v23
	v_cmp_lt_u32_e64 s[24:25], v27, v23
                                        ; implicit-def: $vgpr13
	s_and_saveexec_b64 s[28:29], s[24:25]
	s_cbranch_execz .LBB509_89
; %bb.88:
	v_lshl_add_u32 v4, v27, 2, v9
	ds_read_b32 v13, v4
.LBB509_89:
	s_or_b64 exec, exec, s[28:29]
	s_waitcnt lgkmcnt(0)
	v_and_b32_e32 v4, v13, v84
	v_and_b32_e32 v5, v12, v84
	v_cmp_le_u32_e64 s[24:25], v4, v5
	s_and_b64 s[20:21], s[20:21], s[24:25]
	s_or_b64 s[20:21], s[22:23], s[20:21]
	v_cndmask_b32_e64 v4, v27, v26, s[20:21]
	v_cndmask_b32_e64 v5, v23, v20, s[20:21]
	v_add_u32_e32 v14, 1, v4
	v_add_u32_e32 v5, -1, v5
	v_min_u32_e32 v5, v14, v5
	v_lshl_add_u32 v5, v5, 2, v9
	ds_read_b32 v5, v5
	v_lshl_add_u32 v4, v4, 3, v8
	s_waitcnt lgkmcnt(0)
	v_cndmask_b32_e64 v15, v5, v13, s[20:21]
	v_cndmask_b32_e64 v16, v12, v5, s[20:21]
	;; [unrolled: 1-line block ×4, first 2 shown]
	v_and_b32_e32 v17, v15, v84
	v_and_b32_e32 v18, v16, v84
	v_cmp_lt_u32_e64 s[24:25], v14, v20
	v_cmp_le_u32_e64 s[28:29], v17, v18
	v_cmp_ge_u32_e64 s[22:23], v5, v23
	s_and_b64 s[24:25], s[24:25], s[28:29]
	s_or_b64 s[22:23], s[22:23], s[24:25]
	v_cndmask_b32_e64 v17, v5, v14, s[22:23]
	v_cndmask_b32_e64 v18, v23, v20, s[22:23]
	v_add_u32_e32 v19, 1, v17
	v_add_u32_e32 v18, -1, v18
	v_min_u32_e32 v18, v19, v18
	v_lshl_add_u32 v18, v18, 2, v9
	ds_read_b32 v18, v18
	v_cndmask_b32_e64 v5, v19, v5, s[22:23]
	v_cndmask_b32_e64 v14, v14, v19, s[22:23]
	v_cmp_lt_u32_e64 s[28:29], v14, v20
	v_cmp_ge_u32_e64 s[24:25], v5, v23
	s_waitcnt lgkmcnt(0)
	v_cndmask_b32_e64 v24, v18, v15, s[22:23]
	v_cndmask_b32_e64 v18, v16, v18, s[22:23]
	v_and_b32_e32 v19, v24, v84
	v_and_b32_e32 v25, v18, v84
	v_cmp_le_u32_e64 s[30:31], v19, v25
	s_and_b64 s[28:29], s[28:29], s[30:31]
	s_or_b64 s[24:25], s[24:25], s[28:29]
	v_cndmask_b32_e64 v19, v5, v14, s[24:25]
	v_cndmask_b32_e64 v25, v23, v20, s[24:25]
	v_add_u32_e32 v26, 1, v19
	v_add_u32_e32 v25, -1, v25
	v_min_u32_e32 v25, v26, v25
	v_lshl_add_u32 v25, v25, 2, v9
	ds_read_b32 v25, v25
	v_cndmask_b32_e64 v28, v26, v5, s[24:25]
	v_cndmask_b32_e64 v14, v14, v26, s[24:25]
	v_cmp_lt_u32_e64 s[30:31], v14, v20
	v_cmp_ge_u32_e64 s[28:29], v28, v23
	s_waitcnt lgkmcnt(0)
	v_cndmask_b32_e64 v27, v25, v24, s[24:25]
	v_cndmask_b32_e64 v25, v18, v25, s[24:25]
	v_and_b32_e32 v5, v27, v84
	v_and_b32_e32 v26, v25, v84
	v_cmp_le_u32_e64 s[34:35], v5, v26
	s_and_b64 s[30:31], s[30:31], s[34:35]
	s_or_b64 s[28:29], s[28:29], s[30:31]
	v_cndmask_b32_e64 v26, v28, v14, s[28:29]
	v_cndmask_b32_e64 v5, v23, v20, s[28:29]
	v_add_u32_e32 v29, 1, v26
	v_add_u32_e32 v5, -1, v5
	v_min_u32_e32 v5, v29, v5
	v_lshl_add_u32 v5, v5, 2, v9
	ds_read_b32 v30, v5
	v_lshl_add_u32 v19, v19, 3, v8
	ds_read_b64 v[64:65], v19 offset:8192
	v_lshl_add_u32 v17, v17, 3, v8
	v_lshl_add_u32 v19, v26, 3, v8
	ds_read_b64 v[4:5], v4 offset:8192
	ds_read_b64 v[34:35], v17 offset:8192
	;; [unrolled: 1-line block ×3, first 2 shown]
	s_waitcnt lgkmcnt(4)
	v_cndmask_b32_e64 v17, v30, v27, s[28:29]
	v_cndmask_b32_e64 v30, v25, v30, s[28:29]
	;; [unrolled: 1-line block ×4, first 2 shown]
	v_and_b32_e32 v29, v17, v84
	v_and_b32_e32 v31, v30, v84
	v_cmp_lt_u32_e64 s[34:35], v14, v20
	v_cmp_le_u32_e64 s[36:37], v29, v31
	v_cmp_ge_u32_e64 s[30:31], v28, v23
	s_and_b64 s[34:35], s[34:35], s[36:37]
	s_or_b64 s[30:31], s[30:31], s[34:35]
	v_cndmask_b32_e64 v29, v28, v14, s[30:31]
	v_cndmask_b32_e64 v31, v23, v20, s[30:31]
	v_add_u32_e32 v32, 1, v29
	v_add_u32_e32 v31, -1, v31
	v_min_u32_e32 v31, v32, v31
	v_lshl_add_u32 v31, v31, 2, v9
	ds_read_b32 v31, v31
	v_lshl_add_u32 v29, v29, 3, v8
	ds_read_b64 v[66:67], v29 offset:8192
	v_cndmask_b32_e64 v28, v32, v28, s[30:31]
	v_cndmask_b32_e64 v14, v14, v32, s[30:31]
	s_waitcnt lgkmcnt(1)
	v_cndmask_b32_e64 v19, v31, v17, s[30:31]
	v_cndmask_b32_e64 v26, v30, v31, s[30:31]
	v_and_b32_e32 v31, v19, v84
	v_and_b32_e32 v32, v26, v84
	v_cmp_lt_u32_e64 s[36:37], v14, v20
	v_cmp_le_u32_e64 s[38:39], v31, v32
	v_cmp_ge_u32_e64 s[34:35], v28, v23
	s_and_b64 s[36:37], s[36:37], s[38:39]
	s_or_b64 s[34:35], s[34:35], s[36:37]
	v_cndmask_b32_e64 v31, v28, v14, s[34:35]
	v_cndmask_b32_e64 v32, v23, v20, s[34:35]
	v_add_u32_e32 v33, 1, v31
	v_add_u32_e32 v32, -1, v32
	v_min_u32_e32 v32, v33, v32
	v_lshl_add_u32 v32, v32, 2, v9
	ds_read_b32 v32, v32
	v_lshl_add_u32 v29, v31, 3, v8
	ds_read_b64 v[50:51], v29 offset:8192
	v_cndmask_b32_e64 v28, v33, v28, s[34:35]
	v_cmp_ge_u32_e64 s[36:37], v28, v23
	s_waitcnt lgkmcnt(1)
	v_cndmask_b32_e64 v29, v32, v19, s[34:35]
	v_cndmask_b32_e64 v31, v26, v32, s[34:35]
	;; [unrolled: 1-line block ×3, first 2 shown]
	v_and_b32_e32 v14, v29, v84
	v_and_b32_e32 v33, v31, v84
	v_cmp_lt_u32_e64 s[38:39], v32, v20
	v_cmp_le_u32_e64 s[40:41], v14, v33
	s_and_b64 s[38:39], s[38:39], s[40:41]
	s_or_b64 s[36:37], s[36:37], s[38:39]
	v_cndmask_b32_e64 v14, v28, v32, s[36:37]
	v_cndmask_b32_e64 v33, v23, v20, s[36:37]
	v_lshl_add_u32 v36, v14, 3, v8
	v_add_u32_e32 v37, 1, v14
	v_add_u32_e32 v14, -1, v33
	v_min_u32_e32 v14, v37, v14
	v_lshl_add_u32 v14, v14, 2, v9
	ds_read_b64 v[48:49], v36 offset:8192
	ds_read_b32 v33, v14
	v_cndmask_b32_e64 v12, v13, v12, s[20:21]
	v_cndmask_b32_e64 v13, v15, v16, s[22:23]
	;; [unrolled: 1-line block ×4, first 2 shown]
	s_waitcnt lgkmcnt(0)
	v_cndmask_b32_e64 v24, v33, v29, s[36:37]
	v_cndmask_b32_e64 v25, v31, v33, s[36:37]
	;; [unrolled: 1-line block ×4, first 2 shown]
	v_cmp_ge_u32_e64 s[20:21], v16, v23
	v_cmp_lt_u32_e64 s[22:23], v18, v20
	v_and_b32_e32 v20, v24, v84
	v_and_b32_e32 v23, v25, v84
	v_cmp_le_u32_e64 s[24:25], v20, v23
	s_and_b64 s[22:23], s[22:23], s[24:25]
	s_or_b64 s[20:21], s[20:21], s[22:23]
	v_cndmask_b32_e64 v16, v16, v18, s[20:21]
	v_lshl_add_u32 v16, v16, 3, v8
	ds_read_b64 v[38:39], v16 offset:8192
	v_cndmask_b32_e64 v16, v17, v30, s[30:31]
	v_cndmask_b32_e64 v17, v19, v26, s[34:35]
	;; [unrolled: 1-line block ×4, first 2 shown]
.LBB509_90:
	s_or_b64 exec, exec, s[44:45]
	v_add_u32_e32 v20, 0x2000, v22
	v_and_b32_e32 v26, 0x3e0, v82
	; wave barrier
	ds_write2_b64 v20, v[4:5], v[34:35] offset1:1
	ds_write2_b64 v21, v[12:13], v[14:15] offset1:1
	ds_write2_b64 v11, v[64:65], v[52:53] offset0:2 offset1:3
	ds_write2_b64 v11, v[66:67], v[50:51] offset0:4 offset1:5
	;; [unrolled: 1-line block ×3, first 2 shown]
	s_waitcnt lgkmcnt(5)
	ds_write2_b64 v11, v[48:49], v[38:39] offset0:6 offset1:7
	v_or_b32_e32 v20, 16, v26
	v_min_u32_e32 v20, v10, v20
	v_add_u32_e32 v23, 16, v20
	v_min_u32_e32 v23, v10, v23
	v_and_b32_e32 v24, 24, v82
	v_min_u32_e32 v27, v10, v24
	v_sub_u32_e32 v28, v20, v26
	v_sub_u32_e32 v25, v23, v20
	v_sub_u32_e64 v25, v27, v25 clamp
	v_min_u32_e32 v28, v27, v28
	v_lshl_add_u32 v24, v26, 2, v9
	v_cmp_lt_u32_e64 s[20:21], v25, v28
	; wave barrier
	s_and_saveexec_b64 s[22:23], s[20:21]
	s_cbranch_execz .LBB509_94
; %bb.91:
	v_lshlrev_b32_e32 v29, 2, v20
	v_lshlrev_b32_e32 v30, 2, v27
	v_add3_u32 v29, v9, v29, v30
	s_mov_b64 s[24:25], 0
.LBB509_92:                             ; =>This Inner Loop Header: Depth=1
	v_add_u32_e32 v30, v28, v25
	v_lshrrev_b32_e32 v30, 1, v30
	v_not_b32_e32 v31, v30
	v_lshl_add_u32 v32, v30, 2, v24
	v_lshl_add_u32 v31, v31, 2, v29
	ds_read_b32 v32, v32
	ds_read_b32 v31, v31
	v_add_u32_e32 v33, 1, v30
	s_waitcnt lgkmcnt(1)
	v_and_b32_e32 v32, v32, v84
	s_waitcnt lgkmcnt(0)
	v_and_b32_e32 v31, v31, v84
	v_cmp_gt_u32_e64 s[20:21], v31, v32
	v_cndmask_b32_e64 v28, v28, v30, s[20:21]
	v_cndmask_b32_e64 v25, v33, v25, s[20:21]
	v_cmp_ge_u32_e64 s[20:21], v25, v28
	s_or_b64 s[24:25], s[20:21], s[24:25]
	s_andn2_b64 exec, exec, s[24:25]
	s_cbranch_execnz .LBB509_92
; %bb.93:
	s_or_b64 exec, exec, s[24:25]
.LBB509_94:
	s_or_b64 exec, exec, s[22:23]
	v_add_u32_e32 v27, v20, v27
	v_add_u32_e32 v26, v25, v26
	v_sub_u32_e32 v27, v27, v25
	v_cmp_le_u32_e64 s[20:21], v26, v20
	v_cmp_le_u32_e64 s[22:23], v27, v23
	s_or_b64 s[20:21], s[20:21], s[22:23]
	s_and_saveexec_b64 s[44:45], s[20:21]
	s_cbranch_execz .LBB509_100
; %bb.95:
	v_cmp_lt_u32_e64 s[20:21], v26, v20
                                        ; implicit-def: $vgpr12
	s_and_saveexec_b64 s[22:23], s[20:21]
	s_cbranch_execz .LBB509_97
; %bb.96:
	v_lshl_add_u32 v4, v25, 2, v24
	ds_read_b32 v12, v4
.LBB509_97:
	s_or_b64 exec, exec, s[22:23]
	v_cmp_ge_u32_e64 s[22:23], v27, v23
	v_cmp_lt_u32_e64 s[24:25], v27, v23
                                        ; implicit-def: $vgpr13
	s_and_saveexec_b64 s[28:29], s[24:25]
	s_cbranch_execz .LBB509_99
; %bb.98:
	v_lshl_add_u32 v4, v27, 2, v9
	ds_read_b32 v13, v4
.LBB509_99:
	s_or_b64 exec, exec, s[28:29]
	s_waitcnt lgkmcnt(0)
	v_and_b32_e32 v4, v13, v84
	v_and_b32_e32 v5, v12, v84
	v_cmp_le_u32_e64 s[24:25], v4, v5
	s_and_b64 s[20:21], s[20:21], s[24:25]
	s_or_b64 s[20:21], s[22:23], s[20:21]
	v_cndmask_b32_e64 v4, v27, v26, s[20:21]
	v_cndmask_b32_e64 v5, v23, v20, s[20:21]
	v_add_u32_e32 v14, 1, v4
	v_add_u32_e32 v5, -1, v5
	v_min_u32_e32 v5, v14, v5
	v_lshl_add_u32 v5, v5, 2, v9
	ds_read_b32 v5, v5
	v_lshl_add_u32 v4, v4, 3, v8
	s_waitcnt lgkmcnt(0)
	v_cndmask_b32_e64 v15, v5, v13, s[20:21]
	v_cndmask_b32_e64 v16, v12, v5, s[20:21]
	;; [unrolled: 1-line block ×4, first 2 shown]
	v_and_b32_e32 v17, v15, v84
	v_and_b32_e32 v18, v16, v84
	v_cmp_lt_u32_e64 s[24:25], v14, v20
	v_cmp_le_u32_e64 s[28:29], v17, v18
	v_cmp_ge_u32_e64 s[22:23], v5, v23
	s_and_b64 s[24:25], s[24:25], s[28:29]
	s_or_b64 s[22:23], s[22:23], s[24:25]
	v_cndmask_b32_e64 v17, v5, v14, s[22:23]
	v_cndmask_b32_e64 v18, v23, v20, s[22:23]
	v_add_u32_e32 v19, 1, v17
	v_add_u32_e32 v18, -1, v18
	v_min_u32_e32 v18, v19, v18
	v_lshl_add_u32 v18, v18, 2, v9
	ds_read_b32 v18, v18
	v_cndmask_b32_e64 v5, v19, v5, s[22:23]
	v_cndmask_b32_e64 v14, v14, v19, s[22:23]
	v_cmp_lt_u32_e64 s[28:29], v14, v20
	v_cmp_ge_u32_e64 s[24:25], v5, v23
	s_waitcnt lgkmcnt(0)
	v_cndmask_b32_e64 v24, v18, v15, s[22:23]
	v_cndmask_b32_e64 v18, v16, v18, s[22:23]
	v_and_b32_e32 v19, v24, v84
	v_and_b32_e32 v25, v18, v84
	v_cmp_le_u32_e64 s[30:31], v19, v25
	s_and_b64 s[28:29], s[28:29], s[30:31]
	s_or_b64 s[24:25], s[24:25], s[28:29]
	v_cndmask_b32_e64 v19, v5, v14, s[24:25]
	v_cndmask_b32_e64 v25, v23, v20, s[24:25]
	v_add_u32_e32 v26, 1, v19
	v_add_u32_e32 v25, -1, v25
	v_min_u32_e32 v25, v26, v25
	v_lshl_add_u32 v25, v25, 2, v9
	ds_read_b32 v25, v25
	v_cndmask_b32_e64 v28, v26, v5, s[24:25]
	v_cndmask_b32_e64 v14, v14, v26, s[24:25]
	v_cmp_lt_u32_e64 s[30:31], v14, v20
	v_cmp_ge_u32_e64 s[28:29], v28, v23
	s_waitcnt lgkmcnt(0)
	v_cndmask_b32_e64 v27, v25, v24, s[24:25]
	v_cndmask_b32_e64 v25, v18, v25, s[24:25]
	v_and_b32_e32 v5, v27, v84
	v_and_b32_e32 v26, v25, v84
	v_cmp_le_u32_e64 s[34:35], v5, v26
	s_and_b64 s[30:31], s[30:31], s[34:35]
	s_or_b64 s[28:29], s[28:29], s[30:31]
	v_cndmask_b32_e64 v26, v28, v14, s[28:29]
	v_cndmask_b32_e64 v5, v23, v20, s[28:29]
	v_add_u32_e32 v29, 1, v26
	v_add_u32_e32 v5, -1, v5
	v_min_u32_e32 v5, v29, v5
	v_lshl_add_u32 v5, v5, 2, v9
	ds_read_b32 v30, v5
	v_lshl_add_u32 v19, v19, 3, v8
	ds_read_b64 v[64:65], v19 offset:8192
	v_lshl_add_u32 v17, v17, 3, v8
	v_lshl_add_u32 v19, v26, 3, v8
	ds_read_b64 v[4:5], v4 offset:8192
	ds_read_b64 v[34:35], v17 offset:8192
	;; [unrolled: 1-line block ×3, first 2 shown]
	s_waitcnt lgkmcnt(4)
	v_cndmask_b32_e64 v17, v30, v27, s[28:29]
	v_cndmask_b32_e64 v30, v25, v30, s[28:29]
	;; [unrolled: 1-line block ×4, first 2 shown]
	v_and_b32_e32 v29, v17, v84
	v_and_b32_e32 v31, v30, v84
	v_cmp_lt_u32_e64 s[34:35], v14, v20
	v_cmp_le_u32_e64 s[36:37], v29, v31
	v_cmp_ge_u32_e64 s[30:31], v28, v23
	s_and_b64 s[34:35], s[34:35], s[36:37]
	s_or_b64 s[30:31], s[30:31], s[34:35]
	v_cndmask_b32_e64 v29, v28, v14, s[30:31]
	v_cndmask_b32_e64 v31, v23, v20, s[30:31]
	v_add_u32_e32 v32, 1, v29
	v_add_u32_e32 v31, -1, v31
	v_min_u32_e32 v31, v32, v31
	v_lshl_add_u32 v31, v31, 2, v9
	ds_read_b32 v31, v31
	v_lshl_add_u32 v29, v29, 3, v8
	ds_read_b64 v[66:67], v29 offset:8192
	v_cndmask_b32_e64 v28, v32, v28, s[30:31]
	v_cndmask_b32_e64 v14, v14, v32, s[30:31]
	s_waitcnt lgkmcnt(1)
	v_cndmask_b32_e64 v19, v31, v17, s[30:31]
	v_cndmask_b32_e64 v26, v30, v31, s[30:31]
	v_and_b32_e32 v31, v19, v84
	v_and_b32_e32 v32, v26, v84
	v_cmp_lt_u32_e64 s[36:37], v14, v20
	v_cmp_le_u32_e64 s[38:39], v31, v32
	v_cmp_ge_u32_e64 s[34:35], v28, v23
	s_and_b64 s[36:37], s[36:37], s[38:39]
	s_or_b64 s[34:35], s[34:35], s[36:37]
	v_cndmask_b32_e64 v31, v28, v14, s[34:35]
	v_cndmask_b32_e64 v32, v23, v20, s[34:35]
	v_add_u32_e32 v33, 1, v31
	v_add_u32_e32 v32, -1, v32
	v_min_u32_e32 v32, v33, v32
	v_lshl_add_u32 v32, v32, 2, v9
	ds_read_b32 v32, v32
	v_lshl_add_u32 v29, v31, 3, v8
	ds_read_b64 v[50:51], v29 offset:8192
	v_cndmask_b32_e64 v28, v33, v28, s[34:35]
	v_cmp_ge_u32_e64 s[36:37], v28, v23
	s_waitcnt lgkmcnt(1)
	v_cndmask_b32_e64 v29, v32, v19, s[34:35]
	v_cndmask_b32_e64 v31, v26, v32, s[34:35]
	;; [unrolled: 1-line block ×3, first 2 shown]
	v_and_b32_e32 v14, v29, v84
	v_and_b32_e32 v33, v31, v84
	v_cmp_lt_u32_e64 s[38:39], v32, v20
	v_cmp_le_u32_e64 s[40:41], v14, v33
	s_and_b64 s[38:39], s[38:39], s[40:41]
	s_or_b64 s[36:37], s[36:37], s[38:39]
	v_cndmask_b32_e64 v14, v28, v32, s[36:37]
	v_cndmask_b32_e64 v33, v23, v20, s[36:37]
	v_lshl_add_u32 v36, v14, 3, v8
	v_add_u32_e32 v37, 1, v14
	v_add_u32_e32 v14, -1, v33
	v_min_u32_e32 v14, v37, v14
	v_lshl_add_u32 v14, v14, 2, v9
	ds_read_b64 v[48:49], v36 offset:8192
	ds_read_b32 v33, v14
	v_cndmask_b32_e64 v12, v13, v12, s[20:21]
	v_cndmask_b32_e64 v13, v15, v16, s[22:23]
	v_cndmask_b32_e64 v14, v24, v18, s[24:25]
	v_cndmask_b32_e64 v15, v27, v25, s[28:29]
	s_waitcnt lgkmcnt(0)
	v_cndmask_b32_e64 v24, v33, v29, s[36:37]
	v_cndmask_b32_e64 v25, v31, v33, s[36:37]
	;; [unrolled: 1-line block ×4, first 2 shown]
	v_cmp_ge_u32_e64 s[20:21], v16, v23
	v_cmp_lt_u32_e64 s[22:23], v18, v20
	v_and_b32_e32 v20, v24, v84
	v_and_b32_e32 v23, v25, v84
	v_cmp_le_u32_e64 s[24:25], v20, v23
	s_and_b64 s[22:23], s[22:23], s[24:25]
	s_or_b64 s[20:21], s[20:21], s[22:23]
	v_cndmask_b32_e64 v16, v16, v18, s[20:21]
	v_lshl_add_u32 v16, v16, 3, v8
	ds_read_b64 v[38:39], v16 offset:8192
	v_cndmask_b32_e64 v16, v17, v30, s[30:31]
	v_cndmask_b32_e64 v17, v19, v26, s[34:35]
	;; [unrolled: 1-line block ×4, first 2 shown]
.LBB509_100:
	s_or_b64 exec, exec, s[44:45]
	v_add_u32_e32 v20, 0x2000, v22
	v_and_b32_e32 v26, 0x3c0, v82
	; wave barrier
	ds_write2_b64 v20, v[4:5], v[34:35] offset1:1
	ds_write2_b64 v21, v[12:13], v[14:15] offset1:1
	ds_write2_b64 v11, v[64:65], v[52:53] offset0:2 offset1:3
	ds_write2_b64 v11, v[66:67], v[50:51] offset0:4 offset1:5
	;; [unrolled: 1-line block ×3, first 2 shown]
	s_waitcnt lgkmcnt(5)
	ds_write2_b64 v11, v[48:49], v[38:39] offset0:6 offset1:7
	v_or_b32_e32 v20, 32, v26
	v_min_u32_e32 v20, v10, v20
	v_add_u32_e32 v23, 32, v20
	v_min_u32_e32 v23, v10, v23
	v_and_b32_e32 v24, 56, v82
	v_min_u32_e32 v27, v10, v24
	v_sub_u32_e32 v28, v20, v26
	v_sub_u32_e32 v25, v23, v20
	v_sub_u32_e64 v25, v27, v25 clamp
	v_min_u32_e32 v28, v27, v28
	v_lshl_add_u32 v24, v26, 2, v9
	v_cmp_lt_u32_e64 s[20:21], v25, v28
	; wave barrier
	s_and_saveexec_b64 s[22:23], s[20:21]
	s_cbranch_execz .LBB509_104
; %bb.101:
	v_lshlrev_b32_e32 v29, 2, v20
	v_lshlrev_b32_e32 v30, 2, v27
	v_add3_u32 v29, v9, v29, v30
	s_mov_b64 s[24:25], 0
.LBB509_102:                            ; =>This Inner Loop Header: Depth=1
	v_add_u32_e32 v30, v28, v25
	v_lshrrev_b32_e32 v30, 1, v30
	v_not_b32_e32 v31, v30
	v_lshl_add_u32 v32, v30, 2, v24
	v_lshl_add_u32 v31, v31, 2, v29
	ds_read_b32 v32, v32
	ds_read_b32 v31, v31
	v_add_u32_e32 v33, 1, v30
	s_waitcnt lgkmcnt(1)
	v_and_b32_e32 v32, v32, v84
	s_waitcnt lgkmcnt(0)
	v_and_b32_e32 v31, v31, v84
	v_cmp_gt_u32_e64 s[20:21], v31, v32
	v_cndmask_b32_e64 v28, v28, v30, s[20:21]
	v_cndmask_b32_e64 v25, v33, v25, s[20:21]
	v_cmp_ge_u32_e64 s[20:21], v25, v28
	s_or_b64 s[24:25], s[20:21], s[24:25]
	s_andn2_b64 exec, exec, s[24:25]
	s_cbranch_execnz .LBB509_102
; %bb.103:
	s_or_b64 exec, exec, s[24:25]
.LBB509_104:
	s_or_b64 exec, exec, s[22:23]
	v_add_u32_e32 v27, v20, v27
	v_add_u32_e32 v26, v25, v26
	v_sub_u32_e32 v27, v27, v25
	v_cmp_le_u32_e64 s[20:21], v26, v20
	v_cmp_le_u32_e64 s[22:23], v27, v23
	s_or_b64 s[20:21], s[20:21], s[22:23]
	s_and_saveexec_b64 s[44:45], s[20:21]
	s_cbranch_execz .LBB509_110
; %bb.105:
	v_cmp_lt_u32_e64 s[20:21], v26, v20
                                        ; implicit-def: $vgpr12
	s_and_saveexec_b64 s[22:23], s[20:21]
	s_cbranch_execz .LBB509_107
; %bb.106:
	v_lshl_add_u32 v4, v25, 2, v24
	ds_read_b32 v12, v4
.LBB509_107:
	s_or_b64 exec, exec, s[22:23]
	v_cmp_ge_u32_e64 s[22:23], v27, v23
	v_cmp_lt_u32_e64 s[24:25], v27, v23
                                        ; implicit-def: $vgpr13
	s_and_saveexec_b64 s[28:29], s[24:25]
	s_cbranch_execz .LBB509_109
; %bb.108:
	v_lshl_add_u32 v4, v27, 2, v9
	ds_read_b32 v13, v4
.LBB509_109:
	s_or_b64 exec, exec, s[28:29]
	s_waitcnt lgkmcnt(0)
	v_and_b32_e32 v4, v13, v84
	v_and_b32_e32 v5, v12, v84
	v_cmp_le_u32_e64 s[24:25], v4, v5
	s_and_b64 s[20:21], s[20:21], s[24:25]
	s_or_b64 s[20:21], s[22:23], s[20:21]
	v_cndmask_b32_e64 v4, v27, v26, s[20:21]
	v_cndmask_b32_e64 v5, v23, v20, s[20:21]
	v_add_u32_e32 v14, 1, v4
	v_add_u32_e32 v5, -1, v5
	v_min_u32_e32 v5, v14, v5
	v_lshl_add_u32 v5, v5, 2, v9
	ds_read_b32 v5, v5
	v_lshl_add_u32 v4, v4, 3, v8
	s_waitcnt lgkmcnt(0)
	v_cndmask_b32_e64 v15, v5, v13, s[20:21]
	v_cndmask_b32_e64 v16, v12, v5, s[20:21]
	;; [unrolled: 1-line block ×4, first 2 shown]
	v_and_b32_e32 v17, v15, v84
	v_and_b32_e32 v18, v16, v84
	v_cmp_lt_u32_e64 s[24:25], v14, v20
	v_cmp_le_u32_e64 s[28:29], v17, v18
	v_cmp_ge_u32_e64 s[22:23], v5, v23
	s_and_b64 s[24:25], s[24:25], s[28:29]
	s_or_b64 s[22:23], s[22:23], s[24:25]
	v_cndmask_b32_e64 v17, v5, v14, s[22:23]
	v_cndmask_b32_e64 v18, v23, v20, s[22:23]
	v_add_u32_e32 v19, 1, v17
	v_add_u32_e32 v18, -1, v18
	v_min_u32_e32 v18, v19, v18
	v_lshl_add_u32 v18, v18, 2, v9
	ds_read_b32 v18, v18
	v_cndmask_b32_e64 v5, v19, v5, s[22:23]
	v_cndmask_b32_e64 v14, v14, v19, s[22:23]
	v_cmp_lt_u32_e64 s[28:29], v14, v20
	v_cmp_ge_u32_e64 s[24:25], v5, v23
	s_waitcnt lgkmcnt(0)
	v_cndmask_b32_e64 v24, v18, v15, s[22:23]
	v_cndmask_b32_e64 v18, v16, v18, s[22:23]
	v_and_b32_e32 v19, v24, v84
	v_and_b32_e32 v25, v18, v84
	v_cmp_le_u32_e64 s[30:31], v19, v25
	s_and_b64 s[28:29], s[28:29], s[30:31]
	s_or_b64 s[24:25], s[24:25], s[28:29]
	v_cndmask_b32_e64 v19, v5, v14, s[24:25]
	v_cndmask_b32_e64 v25, v23, v20, s[24:25]
	v_add_u32_e32 v26, 1, v19
	v_add_u32_e32 v25, -1, v25
	v_min_u32_e32 v25, v26, v25
	v_lshl_add_u32 v25, v25, 2, v9
	ds_read_b32 v25, v25
	v_cndmask_b32_e64 v28, v26, v5, s[24:25]
	v_cndmask_b32_e64 v14, v14, v26, s[24:25]
	v_cmp_lt_u32_e64 s[30:31], v14, v20
	v_cmp_ge_u32_e64 s[28:29], v28, v23
	s_waitcnt lgkmcnt(0)
	v_cndmask_b32_e64 v27, v25, v24, s[24:25]
	v_cndmask_b32_e64 v25, v18, v25, s[24:25]
	v_and_b32_e32 v5, v27, v84
	v_and_b32_e32 v26, v25, v84
	v_cmp_le_u32_e64 s[34:35], v5, v26
	s_and_b64 s[30:31], s[30:31], s[34:35]
	s_or_b64 s[28:29], s[28:29], s[30:31]
	v_cndmask_b32_e64 v26, v28, v14, s[28:29]
	v_cndmask_b32_e64 v5, v23, v20, s[28:29]
	v_add_u32_e32 v29, 1, v26
	v_add_u32_e32 v5, -1, v5
	v_min_u32_e32 v5, v29, v5
	v_lshl_add_u32 v5, v5, 2, v9
	ds_read_b32 v30, v5
	v_lshl_add_u32 v19, v19, 3, v8
	ds_read_b64 v[64:65], v19 offset:8192
	v_lshl_add_u32 v17, v17, 3, v8
	v_lshl_add_u32 v19, v26, 3, v8
	ds_read_b64 v[4:5], v4 offset:8192
	ds_read_b64 v[34:35], v17 offset:8192
	;; [unrolled: 1-line block ×3, first 2 shown]
	s_waitcnt lgkmcnt(4)
	v_cndmask_b32_e64 v17, v30, v27, s[28:29]
	v_cndmask_b32_e64 v30, v25, v30, s[28:29]
	;; [unrolled: 1-line block ×4, first 2 shown]
	v_and_b32_e32 v29, v17, v84
	v_and_b32_e32 v31, v30, v84
	v_cmp_lt_u32_e64 s[34:35], v14, v20
	v_cmp_le_u32_e64 s[36:37], v29, v31
	v_cmp_ge_u32_e64 s[30:31], v28, v23
	s_and_b64 s[34:35], s[34:35], s[36:37]
	s_or_b64 s[30:31], s[30:31], s[34:35]
	v_cndmask_b32_e64 v29, v28, v14, s[30:31]
	v_cndmask_b32_e64 v31, v23, v20, s[30:31]
	v_add_u32_e32 v32, 1, v29
	v_add_u32_e32 v31, -1, v31
	v_min_u32_e32 v31, v32, v31
	v_lshl_add_u32 v31, v31, 2, v9
	ds_read_b32 v31, v31
	v_lshl_add_u32 v29, v29, 3, v8
	ds_read_b64 v[66:67], v29 offset:8192
	v_cndmask_b32_e64 v28, v32, v28, s[30:31]
	v_cndmask_b32_e64 v14, v14, v32, s[30:31]
	s_waitcnt lgkmcnt(1)
	v_cndmask_b32_e64 v19, v31, v17, s[30:31]
	v_cndmask_b32_e64 v26, v30, v31, s[30:31]
	v_and_b32_e32 v31, v19, v84
	v_and_b32_e32 v32, v26, v84
	v_cmp_lt_u32_e64 s[36:37], v14, v20
	v_cmp_le_u32_e64 s[38:39], v31, v32
	v_cmp_ge_u32_e64 s[34:35], v28, v23
	s_and_b64 s[36:37], s[36:37], s[38:39]
	s_or_b64 s[34:35], s[34:35], s[36:37]
	v_cndmask_b32_e64 v31, v28, v14, s[34:35]
	v_cndmask_b32_e64 v32, v23, v20, s[34:35]
	v_add_u32_e32 v33, 1, v31
	v_add_u32_e32 v32, -1, v32
	v_min_u32_e32 v32, v33, v32
	v_lshl_add_u32 v32, v32, 2, v9
	ds_read_b32 v32, v32
	v_lshl_add_u32 v29, v31, 3, v8
	ds_read_b64 v[50:51], v29 offset:8192
	v_cndmask_b32_e64 v28, v33, v28, s[34:35]
	v_cmp_ge_u32_e64 s[36:37], v28, v23
	s_waitcnt lgkmcnt(1)
	v_cndmask_b32_e64 v29, v32, v19, s[34:35]
	v_cndmask_b32_e64 v31, v26, v32, s[34:35]
	;; [unrolled: 1-line block ×3, first 2 shown]
	v_and_b32_e32 v14, v29, v84
	v_and_b32_e32 v33, v31, v84
	v_cmp_lt_u32_e64 s[38:39], v32, v20
	v_cmp_le_u32_e64 s[40:41], v14, v33
	s_and_b64 s[38:39], s[38:39], s[40:41]
	s_or_b64 s[36:37], s[36:37], s[38:39]
	v_cndmask_b32_e64 v14, v28, v32, s[36:37]
	v_cndmask_b32_e64 v33, v23, v20, s[36:37]
	v_lshl_add_u32 v36, v14, 3, v8
	v_add_u32_e32 v37, 1, v14
	v_add_u32_e32 v14, -1, v33
	v_min_u32_e32 v14, v37, v14
	v_lshl_add_u32 v14, v14, 2, v9
	ds_read_b64 v[48:49], v36 offset:8192
	ds_read_b32 v33, v14
	v_cndmask_b32_e64 v12, v13, v12, s[20:21]
	v_cndmask_b32_e64 v13, v15, v16, s[22:23]
	;; [unrolled: 1-line block ×4, first 2 shown]
	s_waitcnt lgkmcnt(0)
	v_cndmask_b32_e64 v24, v33, v29, s[36:37]
	v_cndmask_b32_e64 v25, v31, v33, s[36:37]
	;; [unrolled: 1-line block ×4, first 2 shown]
	v_cmp_ge_u32_e64 s[20:21], v16, v23
	v_cmp_lt_u32_e64 s[22:23], v18, v20
	v_and_b32_e32 v20, v24, v84
	v_and_b32_e32 v23, v25, v84
	v_cmp_le_u32_e64 s[24:25], v20, v23
	s_and_b64 s[22:23], s[22:23], s[24:25]
	s_or_b64 s[20:21], s[20:21], s[22:23]
	v_cndmask_b32_e64 v16, v16, v18, s[20:21]
	v_lshl_add_u32 v16, v16, 3, v8
	ds_read_b64 v[38:39], v16 offset:8192
	v_cndmask_b32_e64 v16, v17, v30, s[30:31]
	v_cndmask_b32_e64 v17, v19, v26, s[34:35]
	;; [unrolled: 1-line block ×4, first 2 shown]
.LBB509_110:
	s_or_b64 exec, exec, s[44:45]
	v_add_u32_e32 v20, 0x2000, v22
	v_and_b32_e32 v23, 0x380, v82
	; wave barrier
	ds_write2_b64 v20, v[4:5], v[34:35] offset1:1
	ds_write2_b64 v21, v[12:13], v[14:15] offset1:1
	ds_write2_b64 v11, v[64:65], v[52:53] offset0:2 offset1:3
	ds_write2_b64 v11, v[66:67], v[50:51] offset0:4 offset1:5
	ds_write2_b64 v21, v[16:17], v[18:19] offset0:2 offset1:3
	s_waitcnt lgkmcnt(5)
	ds_write2_b64 v11, v[48:49], v[38:39] offset0:6 offset1:7
	v_or_b32_e32 v11, 64, v23
	v_min_u32_e32 v11, v10, v11
	v_add_u32_e32 v20, 64, v11
	v_min_u32_e32 v20, v10, v20
	v_min_u32_e32 v10, v10, v83
	v_sub_u32_e32 v24, v11, v23
	v_sub_u32_e32 v22, v20, v11
	v_sub_u32_e64 v22, v10, v22 clamp
	v_min_u32_e32 v24, v10, v24
	v_lshl_add_u32 v21, v23, 2, v9
	v_cmp_lt_u32_e64 s[20:21], v22, v24
	; wave barrier
	s_and_saveexec_b64 s[22:23], s[20:21]
	s_cbranch_execz .LBB509_114
; %bb.111:
	v_lshlrev_b32_e32 v25, 2, v11
	v_lshlrev_b32_e32 v26, 2, v10
	v_add3_u32 v25, v9, v25, v26
	s_mov_b64 s[24:25], 0
.LBB509_112:                            ; =>This Inner Loop Header: Depth=1
	v_add_u32_e32 v26, v24, v22
	v_lshrrev_b32_e32 v26, 1, v26
	v_not_b32_e32 v27, v26
	v_lshl_add_u32 v28, v26, 2, v21
	v_lshl_add_u32 v27, v27, 2, v25
	ds_read_b32 v28, v28
	ds_read_b32 v27, v27
	v_add_u32_e32 v29, 1, v26
	s_waitcnt lgkmcnt(1)
	v_and_b32_e32 v28, v28, v84
	s_waitcnt lgkmcnt(0)
	v_and_b32_e32 v27, v27, v84
	v_cmp_gt_u32_e64 s[20:21], v27, v28
	v_cndmask_b32_e64 v24, v24, v26, s[20:21]
	v_cndmask_b32_e64 v22, v29, v22, s[20:21]
	v_cmp_ge_u32_e64 s[20:21], v22, v24
	s_or_b64 s[24:25], s[20:21], s[24:25]
	s_andn2_b64 exec, exec, s[24:25]
	s_cbranch_execnz .LBB509_112
; %bb.113:
	s_or_b64 exec, exec, s[24:25]
.LBB509_114:
	s_or_b64 exec, exec, s[22:23]
	v_add_u32_e32 v10, v11, v10
	v_add_u32_e32 v23, v22, v23
	v_sub_u32_e32 v24, v10, v22
	v_cmp_le_u32_e64 s[20:21], v23, v11
	v_cmp_le_u32_e64 s[22:23], v24, v20
	s_or_b64 s[20:21], s[20:21], s[22:23]
	s_and_saveexec_b64 s[44:45], s[20:21]
	s_cbranch_execz .LBB509_120
; %bb.115:
	v_cmp_lt_u32_e64 s[20:21], v23, v11
                                        ; implicit-def: $vgpr10
	s_and_saveexec_b64 s[22:23], s[20:21]
	s_cbranch_execz .LBB509_117
; %bb.116:
	v_lshl_add_u32 v4, v22, 2, v21
	ds_read_b32 v10, v4
.LBB509_117:
	s_or_b64 exec, exec, s[22:23]
	v_cmp_ge_u32_e64 s[22:23], v24, v20
	v_cmp_lt_u32_e64 s[24:25], v24, v20
                                        ; implicit-def: $vgpr12
	s_and_saveexec_b64 s[28:29], s[24:25]
	s_cbranch_execz .LBB509_119
; %bb.118:
	v_lshl_add_u32 v4, v24, 2, v9
	ds_read_b32 v12, v4
.LBB509_119:
	s_or_b64 exec, exec, s[28:29]
	s_waitcnt lgkmcnt(0)
	v_and_b32_e32 v4, v12, v84
	v_and_b32_e32 v5, v10, v84
	v_cmp_le_u32_e64 s[24:25], v4, v5
	s_and_b64 s[20:21], s[20:21], s[24:25]
	s_or_b64 s[20:21], s[22:23], s[20:21]
	v_cndmask_b32_e64 v4, v24, v23, s[20:21]
	v_cndmask_b32_e64 v5, v20, v11, s[20:21]
	v_add_u32_e32 v13, 1, v4
	v_add_u32_e32 v5, -1, v5
	v_min_u32_e32 v5, v13, v5
	v_lshl_add_u32 v5, v5, 2, v9
	ds_read_b32 v5, v5
	v_lshl_add_u32 v4, v4, 3, v8
	s_waitcnt lgkmcnt(0)
	v_cndmask_b32_e64 v14, v5, v12, s[20:21]
	v_cndmask_b32_e64 v15, v10, v5, s[20:21]
	;; [unrolled: 1-line block ×4, first 2 shown]
	v_and_b32_e32 v16, v14, v84
	v_and_b32_e32 v17, v15, v84
	v_cmp_lt_u32_e64 s[24:25], v13, v11
	v_cmp_le_u32_e64 s[28:29], v16, v17
	v_cmp_ge_u32_e64 s[22:23], v5, v20
	s_and_b64 s[24:25], s[24:25], s[28:29]
	s_or_b64 s[22:23], s[22:23], s[24:25]
	v_cndmask_b32_e64 v16, v5, v13, s[22:23]
	v_cndmask_b32_e64 v17, v20, v11, s[22:23]
	v_add_u32_e32 v18, 1, v16
	v_add_u32_e32 v17, -1, v17
	v_min_u32_e32 v17, v18, v17
	v_lshl_add_u32 v17, v17, 2, v9
	ds_read_b32 v17, v17
	v_cndmask_b32_e64 v5, v18, v5, s[22:23]
	v_cndmask_b32_e64 v13, v13, v18, s[22:23]
	v_cmp_lt_u32_e64 s[28:29], v13, v11
	v_cmp_ge_u32_e64 s[24:25], v5, v20
	s_waitcnt lgkmcnt(0)
	v_cndmask_b32_e64 v19, v17, v14, s[22:23]
	v_cndmask_b32_e64 v17, v15, v17, s[22:23]
	v_and_b32_e32 v18, v19, v84
	v_and_b32_e32 v21, v17, v84
	v_cmp_le_u32_e64 s[30:31], v18, v21
	s_and_b64 s[28:29], s[28:29], s[30:31]
	s_or_b64 s[24:25], s[24:25], s[28:29]
	v_cndmask_b32_e64 v18, v5, v13, s[24:25]
	v_cndmask_b32_e64 v21, v20, v11, s[24:25]
	v_add_u32_e32 v22, 1, v18
	v_add_u32_e32 v21, -1, v21
	v_min_u32_e32 v21, v22, v21
	v_lshl_add_u32 v21, v21, 2, v9
	ds_read_b32 v21, v21
	v_cndmask_b32_e64 v24, v22, v5, s[24:25]
	v_cndmask_b32_e64 v13, v13, v22, s[24:25]
	v_cmp_lt_u32_e64 s[30:31], v13, v11
	v_cmp_ge_u32_e64 s[28:29], v24, v20
	s_waitcnt lgkmcnt(0)
	v_cndmask_b32_e64 v23, v21, v19, s[24:25]
	v_cndmask_b32_e64 v21, v17, v21, s[24:25]
	v_and_b32_e32 v5, v23, v84
	v_and_b32_e32 v22, v21, v84
	v_cmp_le_u32_e64 s[34:35], v5, v22
	s_and_b64 s[30:31], s[30:31], s[34:35]
	s_or_b64 s[28:29], s[28:29], s[30:31]
	v_cndmask_b32_e64 v22, v24, v13, s[28:29]
	v_cndmask_b32_e64 v5, v20, v11, s[28:29]
	v_add_u32_e32 v25, 1, v22
	v_add_u32_e32 v5, -1, v5
	v_min_u32_e32 v5, v25, v5
	v_lshl_add_u32 v5, v5, 2, v9
	ds_read_b32 v26, v5
	v_lshl_add_u32 v18, v18, 3, v8
	ds_read_b64 v[64:65], v18 offset:8192
	v_lshl_add_u32 v16, v16, 3, v8
	v_lshl_add_u32 v18, v22, 3, v8
	ds_read_b64 v[4:5], v4 offset:8192
	ds_read_b64 v[34:35], v16 offset:8192
	;; [unrolled: 1-line block ×3, first 2 shown]
	s_waitcnt lgkmcnt(4)
	v_cndmask_b32_e64 v16, v26, v23, s[28:29]
	v_cndmask_b32_e64 v26, v21, v26, s[28:29]
	;; [unrolled: 1-line block ×4, first 2 shown]
	v_and_b32_e32 v25, v16, v84
	v_and_b32_e32 v27, v26, v84
	v_cmp_lt_u32_e64 s[34:35], v13, v11
	v_cmp_le_u32_e64 s[36:37], v25, v27
	v_cmp_ge_u32_e64 s[30:31], v24, v20
	s_and_b64 s[34:35], s[34:35], s[36:37]
	s_or_b64 s[30:31], s[30:31], s[34:35]
	v_cndmask_b32_e64 v25, v24, v13, s[30:31]
	v_cndmask_b32_e64 v27, v20, v11, s[30:31]
	v_add_u32_e32 v28, 1, v25
	v_add_u32_e32 v27, -1, v27
	v_min_u32_e32 v27, v28, v27
	v_lshl_add_u32 v27, v27, 2, v9
	ds_read_b32 v27, v27
	v_lshl_add_u32 v25, v25, 3, v8
	ds_read_b64 v[66:67], v25 offset:8192
	v_cndmask_b32_e64 v24, v28, v24, s[30:31]
	v_cndmask_b32_e64 v13, v13, v28, s[30:31]
	s_waitcnt lgkmcnt(1)
	v_cndmask_b32_e64 v18, v27, v16, s[30:31]
	v_cndmask_b32_e64 v22, v26, v27, s[30:31]
	v_and_b32_e32 v27, v18, v84
	v_and_b32_e32 v28, v22, v84
	v_cmp_lt_u32_e64 s[36:37], v13, v11
	v_cmp_le_u32_e64 s[38:39], v27, v28
	v_cmp_ge_u32_e64 s[34:35], v24, v20
	s_and_b64 s[36:37], s[36:37], s[38:39]
	s_or_b64 s[34:35], s[34:35], s[36:37]
	v_cndmask_b32_e64 v27, v24, v13, s[34:35]
	v_cndmask_b32_e64 v28, v20, v11, s[34:35]
	v_add_u32_e32 v29, 1, v27
	v_add_u32_e32 v28, -1, v28
	v_min_u32_e32 v28, v29, v28
	v_lshl_add_u32 v28, v28, 2, v9
	ds_read_b32 v28, v28
	v_lshl_add_u32 v25, v27, 3, v8
	ds_read_b64 v[50:51], v25 offset:8192
	v_cndmask_b32_e64 v24, v29, v24, s[34:35]
	v_cmp_ge_u32_e64 s[36:37], v24, v20
	s_waitcnt lgkmcnt(1)
	v_cndmask_b32_e64 v25, v28, v18, s[34:35]
	v_cndmask_b32_e64 v27, v22, v28, s[34:35]
	v_cndmask_b32_e64 v28, v13, v29, s[34:35]
	v_and_b32_e32 v13, v25, v84
	v_and_b32_e32 v29, v27, v84
	v_cmp_lt_u32_e64 s[38:39], v28, v11
	v_cmp_le_u32_e64 s[40:41], v13, v29
	s_and_b64 s[38:39], s[38:39], s[40:41]
	s_or_b64 s[36:37], s[36:37], s[38:39]
	v_cndmask_b32_e64 v13, v24, v28, s[36:37]
	v_cndmask_b32_e64 v29, v20, v11, s[36:37]
	v_lshl_add_u32 v30, v13, 3, v8
	v_add_u32_e32 v31, 1, v13
	v_add_u32_e32 v13, -1, v29
	v_min_u32_e32 v13, v31, v13
	v_lshl_add_u32 v9, v13, 2, v9
	ds_read_b64 v[48:49], v30 offset:8192
	ds_read_b32 v9, v9
	v_cndmask_b32_e64 v12, v12, v10, s[20:21]
	v_cndmask_b32_e64 v13, v14, v15, s[22:23]
	v_cndmask_b32_e64 v14, v19, v17, s[24:25]
	v_cndmask_b32_e64 v17, v31, v24, s[36:37]
	s_waitcnt lgkmcnt(0)
	v_cndmask_b32_e64 v10, v9, v25, s[36:37]
	v_cndmask_b32_e64 v9, v27, v9, s[36:37]
	v_cndmask_b32_e64 v19, v28, v31, s[36:37]
	v_cmp_ge_u32_e64 s[20:21], v17, v20
	v_cmp_lt_u32_e64 s[22:23], v19, v11
	v_and_b32_e32 v11, v10, v84
	v_and_b32_e32 v20, v9, v84
	v_cmp_le_u32_e64 s[24:25], v11, v20
	s_and_b64 s[22:23], s[22:23], s[24:25]
	s_or_b64 s[20:21], s[20:21], s[22:23]
	v_cndmask_b32_e64 v11, v17, v19, s[20:21]
	v_lshl_add_u32 v8, v11, 3, v8
	ds_read_b64 v[38:39], v8 offset:8192
	v_cndmask_b32_e64 v15, v23, v21, s[28:29]
	v_cndmask_b32_e64 v16, v16, v26, s[30:31]
	;; [unrolled: 1-line block ×5, first 2 shown]
.LBB509_120:
	s_or_b64 exec, exec, s[44:45]
	; wave barrier
	s_waitcnt lgkmcnt(0)
	s_barrier
                                        ; implicit-def: $vgpr82
                                        ; implicit-def: $vgpr20_vgpr21_vgpr22_vgpr23_vgpr24_vgpr25_vgpr26_vgpr27
                                        ; implicit-def: $vgpr83
                                        ; implicit-def: $vgpr31
                                        ; implicit-def: $vgpr8
                                        ; implicit-def: $vgpr9
.LBB509_121:
	s_andn2_saveexec_b64 s[38:39], s[42:43]
	s_cbranch_execz .LBB509_217
; %bb.122:
	s_load_dwordx2 s[20:21], s[8:9], 0x0
	v_mov_b32_e32 v10, 0
	s_waitcnt lgkmcnt(0)
	s_cmp_lt_u32 s12, s20
	s_cselect_b32 s20, 12, 18
	s_cmp_lt_u32 s13, s21
	s_cselect_b32 s12, 14, 20
	s_add_u32 s12, s8, s12
	s_addc_u32 s13, s9, 0
	s_add_u32 s8, s8, s20
	s_addc_u32 s9, s9, 0
	global_load_ushort v11, v10, s[12:13]
	global_load_ushort v12, v10, s[8:9]
	v_and_b32_e32 v10, 0x3ff, v31
	s_movk_i32 s8, 0x800
	s_waitcnt vmcnt(0)
	v_mad_u32_u24 v8, v9, v11, v8
	v_mul_lo_u32 v8, v8, v12
	v_add_lshl_u32 v84, v8, v10, 3
	v_pk_mov_b32 v[12:13], v[20:21], v[20:21] op_sel:[0,1]
	v_cmp_gt_u32_e64 s[8:9], s8, v84
	v_pk_mov_b32 v[14:15], v[22:23], v[22:23] op_sel:[0,1]
	v_pk_mov_b32 v[16:17], v[24:25], v[24:25] op_sel:[0,1]
	v_pk_mov_b32 v[18:19], v[26:27], v[26:27] op_sel:[0,1]
	s_and_saveexec_b64 s[12:13], s[8:9]
	s_cbranch_execz .LBB509_176
; %bb.123:
	v_pk_mov_b32 v[8:9], v[20:21], v[20:21] op_sel:[0,1]
	v_cmp_gt_i32_e64 s[8:9], v21, v20
	v_pk_mov_b32 v[68:69], v[34:35], v[34:35] op_sel:[0,1]
	v_pk_mov_b32 v[10:11], v[22:23], v[22:23] op_sel:[0,1]
	v_pk_mov_b32 v[12:13], v[24:25], v[24:25] op_sel:[0,1]
	v_pk_mov_b32 v[14:15], v[26:27], v[26:27] op_sel:[0,1]
	v_mov_b32_e32 v85, v20
	s_and_saveexec_b64 s[20:21], s[8:9]
	s_cbranch_execz .LBB509_125
; %bb.124:
	v_mov_b32_e32 v8, v21
	v_mov_b32_e32 v9, v20
	v_mov_b32_e32 v10, v22
	v_mov_b32_e32 v11, v23
	v_mov_b32_e32 v12, v24
	v_mov_b32_e32 v13, v25
	v_mov_b32_e32 v14, v26
	v_mov_b32_e32 v15, v27
	v_pk_mov_b32 v[68:69], v[4:5], v[4:5] op_sel:[0,1]
	v_pk_mov_b32 v[4:5], v[34:35], v[34:35] op_sel:[0,1]
	v_mov_b32_e32 v85, v21
	v_mov_b32_e32 v21, v20
.LBB509_125:
	s_or_b64 exec, exec, s[20:21]
	v_pk_mov_b32 v[28:29], v[14:15], v[14:15] op_sel:[0,1]
	v_cmp_gt_i32_e64 s[8:9], v11, v10
	v_pk_mov_b32 v[70:71], v[52:53], v[52:53] op_sel:[0,1]
	v_pk_mov_b32 v[26:27], v[12:13], v[12:13] op_sel:[0,1]
	v_pk_mov_b32 v[24:25], v[10:11], v[10:11] op_sel:[0,1]
	v_pk_mov_b32 v[22:23], v[8:9], v[8:9] op_sel:[0,1]
	v_mov_b32_e32 v20, v11
	s_and_saveexec_b64 s[20:21], s[8:9]
	s_cbranch_execz .LBB509_127
; %bb.126:
	v_mov_b32_e32 v22, v8
	v_mov_b32_e32 v23, v9
	v_mov_b32_e32 v24, v11
	v_mov_b32_e32 v25, v10
	v_mov_b32_e32 v26, v12
	v_mov_b32_e32 v27, v13
	v_mov_b32_e32 v28, v14
	v_mov_b32_e32 v29, v15
	v_pk_mov_b32 v[70:71], v[64:65], v[64:65] op_sel:[0,1]
	v_pk_mov_b32 v[64:65], v[52:53], v[52:53] op_sel:[0,1]
	v_mov_b32_e32 v20, v10
	v_mov_b32_e32 v10, v11
.LBB509_127:
	s_or_b64 exec, exec, s[20:21]
	;; [unrolled: 24-line block ×4, first 2 shown]
	v_cmp_gt_i32_e64 s[8:9], v10, v21
	v_pk_mov_b32 v[24:25], v[64:65], v[64:65] op_sel:[0,1]
	v_mov_b32_e32 v32, v10
	s_and_saveexec_b64 s[20:21], s[8:9]
	s_xor_b64 s[8:9], exec, s[20:21]
; %bb.132:
	v_mov_b32_e32 v13, v10
	v_mov_b32_e32 v14, v21
	v_pk_mov_b32 v[24:25], v[68:69], v[68:69] op_sel:[0,1]
	v_pk_mov_b32 v[68:69], v[64:65], v[64:65] op_sel:[0,1]
	v_mov_b32_e32 v32, v21
	v_mov_b32_e32 v21, v10
; %bb.133:
	s_or_b64 exec, exec, s[8:9]
	v_cmp_gt_i32_e64 s[8:9], v26, v20
	v_pk_mov_b32 v[28:29], v[70:71], v[70:71] op_sel:[0,1]
	v_mov_b32_e32 v35, v26
	s_and_saveexec_b64 s[20:21], s[8:9]
; %bb.134:
	v_mov_b32_e32 v15, v26
	v_mov_b32_e32 v16, v20
	v_pk_mov_b32 v[28:29], v[8:9], v[8:9] op_sel:[0,1]
	v_pk_mov_b32 v[8:9], v[70:71], v[70:71] op_sel:[0,1]
	v_mov_b32_e32 v35, v20
	v_mov_b32_e32 v20, v26
; %bb.135:
	s_or_b64 exec, exec, s[20:21]
	v_cmp_gt_i32_e64 s[8:9], v36, v52
	v_pk_mov_b32 v[10:11], v[50:51], v[50:51] op_sel:[0,1]
	v_mov_b32_e32 v37, v36
	s_and_saveexec_b64 s[20:21], s[8:9]
	;; [unrolled: 13-line block ×19, first 2 shown]
; %bb.170:
	v_mov_b32_e32 v16, v36
	v_mov_b32_e32 v17, v49
	v_pk_mov_b32 v[24:25], v[50:51], v[50:51] op_sel:[0,1]
	v_pk_mov_b32 v[50:51], v[26:27], v[26:27] op_sel:[0,1]
	v_mov_b32_e32 v32, v49
	v_mov_b32_e32 v49, v36
; %bb.171:
	s_or_b64 exec, exec, s[20:21]
	v_cmp_gt_i32_e64 s[8:9], v37, v30
	v_pk_mov_b32 v[26:27], v[28:29], v[28:29] op_sel:[0,1]
	s_and_saveexec_b64 s[20:21], s[8:9]
; %bb.172:
	v_mov_b32_e32 v18, v37
	v_mov_b32_e32 v19, v30
	v_pk_mov_b32 v[26:27], v[38:39], v[38:39] op_sel:[0,1]
	v_pk_mov_b32 v[38:39], v[28:29], v[28:29] op_sel:[0,1]
	v_mov_b32_e32 v30, v37
; %bb.173:
	s_or_b64 exec, exec, s[20:21]
	v_cmp_gt_i32_e64 s[8:9], v48, v21
	v_cndmask_b32_e64 v65, v9, v23, s[8:9]
	v_cndmask_b32_e64 v64, v8, v22, s[8:9]
	;; [unrolled: 1-line block ×6, first 2 shown]
	v_cmp_gt_i32_e64 s[8:9], v49, v31
	v_cndmask_b32_e64 v53, v11, v25, s[8:9]
	v_cndmask_b32_e64 v52, v10, v24, s[8:9]
	;; [unrolled: 1-line block ×6, first 2 shown]
	v_cmp_gt_i32_e64 s[8:9], v30, v32
	v_pk_mov_b32 v[48:49], v[26:27], v[26:27] op_sel:[0,1]
	s_and_saveexec_b64 s[20:21], s[8:9]
; %bb.174:
	v_mov_b32_e32 v17, v30
	v_mov_b32_e32 v18, v32
	v_pk_mov_b32 v[48:49], v[50:51], v[50:51] op_sel:[0,1]
	v_pk_mov_b32 v[50:51], v[26:27], v[26:27] op_sel:[0,1]
; %bb.175:
	s_or_b64 exec, exec, s[20:21]
.LBB509_176:
	s_or_b64 exec, exec, s[12:13]
	v_and_b32_e32 v8, 0xfffffe00, v84
	s_movk_i32 s8, 0x800
	v_lshlrev_b32_e32 v9, 2, v8
	v_sub_u32_e64 v10, s8, v8 clamp
	v_add_u32_e32 v8, v9, v9
	v_lshl_add_u32 v22, v82, 3, v8
	v_add_u32_e32 v11, 0x2000, v22
	v_add_u32_e32 v23, 0x2010, v22
	v_lshl_add_u32 v21, v82, 2, v9
	ds_write2_b64 v11, v[4:5], v[34:35] offset1:1
	ds_write2_b32 v21, v13, v14 offset0:1 offset1:2
	ds_write2_b64 v23, v[64:65], v[52:53] offset1:1
	ds_write2_b32 v21, v15, v16 offset0:3 offset1:4
	v_add_u32_e32 v23, 0x2020, v22
	ds_write2_b64 v23, v[66:67], v[50:51] offset1:1
	ds_write2_b32 v21, v17, v18 offset0:5 offset1:6
	v_add_u32_e32 v23, 0x2030, v22
	ds_write2_b32 v21, v20, v19 offset1:7
	ds_write2_b64 v23, v[48:49], v[38:39] offset1:1
	v_or_b32_e32 v20, 8, v82
	v_min_u32_e32 v20, v10, v20
	v_add_u32_e32 v23, 8, v20
	v_and_b32_e32 v26, 0x3f0, v82
	v_min_u32_e32 v23, v10, v23
	v_and_b32_e32 v24, 8, v82
	v_min_u32_e32 v27, v10, v24
	v_sub_u32_e32 v28, v20, v26
	v_sub_u32_e32 v25, v23, v20
	v_sub_u32_e64 v25, v27, v25 clamp
	v_min_u32_e32 v28, v27, v28
	v_lshl_add_u32 v24, v26, 2, v9
	v_cmp_lt_u32_e64 s[8:9], v25, v28
	; wave barrier
	s_and_saveexec_b64 s[12:13], s[8:9]
	s_cbranch_execz .LBB509_180
; %bb.177:
	v_lshlrev_b32_e32 v29, 2, v20
	v_lshlrev_b32_e32 v30, 2, v27
	v_add3_u32 v29, v9, v29, v30
	s_mov_b64 s[20:21], 0
.LBB509_178:                            ; =>This Inner Loop Header: Depth=1
	v_add_u32_e32 v30, v28, v25
	v_lshrrev_b32_e32 v30, 1, v30
	v_not_b32_e32 v31, v30
	v_lshl_add_u32 v32, v30, 2, v24
	v_lshl_add_u32 v31, v31, 2, v29
	ds_read_b32 v32, v32
	ds_read_b32 v31, v31
	v_add_u32_e32 v33, 1, v30
	s_waitcnt lgkmcnt(0)
	v_cmp_gt_i32_e64 s[8:9], v31, v32
	v_cndmask_b32_e64 v28, v28, v30, s[8:9]
	v_cndmask_b32_e64 v25, v33, v25, s[8:9]
	v_cmp_ge_u32_e64 s[8:9], v25, v28
	s_or_b64 s[20:21], s[8:9], s[20:21]
	s_andn2_b64 exec, exec, s[20:21]
	s_cbranch_execnz .LBB509_178
; %bb.179:
	s_or_b64 exec, exec, s[20:21]
.LBB509_180:
	s_or_b64 exec, exec, s[12:13]
	v_add_u32_e32 v27, v20, v27
	v_add_u32_e32 v26, v25, v26
	v_sub_u32_e32 v27, v27, v25
	v_cmp_le_u32_e64 s[8:9], v26, v20
	v_cmp_le_u32_e64 s[12:13], v27, v23
	s_or_b64 s[8:9], s[8:9], s[12:13]
	s_and_saveexec_b64 s[40:41], s[8:9]
	s_cbranch_execz .LBB509_186
; %bb.181:
	v_cmp_lt_u32_e64 s[8:9], v26, v20
                                        ; implicit-def: $vgpr12
	s_and_saveexec_b64 s[12:13], s[8:9]
	s_cbranch_execz .LBB509_183
; %bb.182:
	v_lshl_add_u32 v4, v25, 2, v24
	ds_read_b32 v12, v4
.LBB509_183:
	s_or_b64 exec, exec, s[12:13]
	v_cmp_ge_u32_e64 s[20:21], v27, v23
	v_cmp_lt_u32_e64 s[12:13], v27, v23
                                        ; implicit-def: $vgpr13
	s_and_saveexec_b64 s[22:23], s[12:13]
	s_cbranch_execz .LBB509_185
; %bb.184:
	v_lshl_add_u32 v4, v27, 2, v9
	ds_read_b32 v13, v4
.LBB509_185:
	s_or_b64 exec, exec, s[22:23]
	s_waitcnt lgkmcnt(0)
	v_cmp_le_i32_e64 s[12:13], v13, v12
	s_and_b64 s[8:9], s[8:9], s[12:13]
	s_or_b64 s[8:9], s[20:21], s[8:9]
	v_cndmask_b32_e64 v4, v27, v26, s[8:9]
	v_cndmask_b32_e64 v5, v23, v20, s[8:9]
	v_add_u32_e32 v14, 1, v4
	v_add_u32_e32 v5, -1, v5
	v_min_u32_e32 v5, v14, v5
	v_lshl_add_u32 v5, v5, 2, v9
	ds_read_b32 v5, v5
	v_cndmask_b32_e64 v15, v14, v27, s[8:9]
	v_cmp_ge_u32_e64 s[12:13], v15, v23
	v_lshl_add_u32 v4, v4, 3, v8
	s_waitcnt lgkmcnt(0)
	v_cndmask_b32_e64 v16, v5, v13, s[8:9]
	v_cndmask_b32_e64 v17, v12, v5, s[8:9]
	;; [unrolled: 1-line block ×3, first 2 shown]
	v_cmp_lt_u32_e64 s[20:21], v5, v20
	v_cmp_le_i32_e64 s[22:23], v16, v17
	s_and_b64 s[20:21], s[20:21], s[22:23]
	s_or_b64 s[20:21], s[12:13], s[20:21]
	v_cndmask_b32_e64 v14, v15, v5, s[20:21]
	v_cndmask_b32_e64 v18, v23, v20, s[20:21]
	v_add_u32_e32 v19, 1, v14
	v_add_u32_e32 v18, -1, v18
	v_min_u32_e32 v18, v19, v18
	v_lshl_add_u32 v18, v18, 2, v9
	ds_read_b32 v18, v18
	v_cndmask_b32_e64 v5, v5, v19, s[20:21]
	v_cndmask_b32_e64 v15, v19, v15, s[20:21]
	v_cmp_lt_u32_e64 s[22:23], v5, v20
	v_cmp_ge_u32_e64 s[12:13], v15, v23
	s_waitcnt lgkmcnt(0)
	v_cndmask_b32_e64 v24, v18, v16, s[20:21]
	v_cndmask_b32_e64 v18, v17, v18, s[20:21]
	v_cmp_le_i32_e64 s[24:25], v24, v18
	s_and_b64 s[22:23], s[22:23], s[24:25]
	s_or_b64 s[22:23], s[12:13], s[22:23]
	v_cndmask_b32_e64 v19, v15, v5, s[22:23]
	v_cndmask_b32_e64 v25, v23, v20, s[22:23]
	v_add_u32_e32 v26, 1, v19
	v_add_u32_e32 v25, -1, v25
	v_min_u32_e32 v25, v26, v25
	v_lshl_add_u32 v25, v25, 2, v9
	ds_read_b32 v25, v25
	v_cndmask_b32_e64 v15, v26, v15, s[22:23]
	v_cndmask_b32_e64 v26, v5, v26, s[22:23]
	v_cmp_lt_u32_e64 s[24:25], v26, v20
	v_cmp_ge_u32_e64 s[12:13], v15, v23
	s_waitcnt lgkmcnt(0)
	v_cndmask_b32_e64 v27, v25, v24, s[22:23]
	v_cndmask_b32_e64 v25, v18, v25, s[22:23]
	v_cmp_le_i32_e64 s[28:29], v27, v25
	s_and_b64 s[24:25], s[24:25], s[28:29]
	s_or_b64 s[12:13], s[12:13], s[24:25]
	v_cndmask_b32_e64 v28, v15, v26, s[12:13]
	v_cndmask_b32_e64 v5, v23, v20, s[12:13]
	v_add_u32_e32 v29, 1, v28
	v_add_u32_e32 v5, -1, v5
	v_min_u32_e32 v5, v29, v5
	v_lshl_add_u32 v5, v5, 2, v9
	ds_read_b32 v30, v5
	v_lshl_add_u32 v19, v19, 3, v8
	ds_read_b64 v[64:65], v19 offset:8192
	v_lshl_add_u32 v14, v14, 3, v8
	v_lshl_add_u32 v19, v28, 3, v8
	ds_read_b64 v[4:5], v4 offset:8192
	ds_read_b64 v[34:35], v14 offset:8192
	;; [unrolled: 1-line block ×3, first 2 shown]
	s_waitcnt lgkmcnt(4)
	v_cndmask_b32_e64 v31, v30, v27, s[12:13]
	v_cndmask_b32_e64 v30, v25, v30, s[12:13]
	;; [unrolled: 1-line block ×4, first 2 shown]
	v_cmp_lt_u32_e64 s[28:29], v15, v20
	v_cmp_le_i32_e64 s[30:31], v31, v30
	v_cmp_ge_u32_e64 s[24:25], v14, v23
	s_and_b64 s[28:29], s[28:29], s[30:31]
	s_or_b64 s[24:25], s[24:25], s[28:29]
	v_cndmask_b32_e64 v26, v14, v15, s[24:25]
	v_cndmask_b32_e64 v29, v23, v20, s[24:25]
	v_add_u32_e32 v32, 1, v26
	v_add_u32_e32 v29, -1, v29
	v_min_u32_e32 v29, v32, v29
	v_lshl_add_u32 v29, v29, 2, v9
	ds_read_b32 v29, v29
	v_lshl_add_u32 v26, v26, 3, v8
	ds_read_b64 v[66:67], v26 offset:8192
	v_cndmask_b32_e64 v15, v15, v32, s[24:25]
	v_cndmask_b32_e64 v14, v32, v14, s[24:25]
	s_waitcnt lgkmcnt(1)
	v_cndmask_b32_e64 v19, v29, v31, s[24:25]
	v_cndmask_b32_e64 v28, v30, v29, s[24:25]
	v_cmp_lt_u32_e64 s[30:31], v15, v20
	v_cmp_le_i32_e64 s[34:35], v19, v28
	v_cmp_ge_u32_e64 s[28:29], v14, v23
	s_and_b64 s[30:31], s[30:31], s[34:35]
	s_or_b64 s[28:29], s[28:29], s[30:31]
	v_cndmask_b32_e64 v29, v14, v15, s[28:29]
	v_cndmask_b32_e64 v32, v23, v20, s[28:29]
	v_add_u32_e32 v33, 1, v29
	v_add_u32_e32 v32, -1, v32
	v_min_u32_e32 v32, v33, v32
	v_lshl_add_u32 v32, v32, 2, v9
	ds_read_b32 v32, v32
	v_lshl_add_u32 v26, v29, 3, v8
	ds_read_b64 v[50:51], v26 offset:8192
	v_cndmask_b32_e64 v12, v13, v12, s[8:9]
	v_cndmask_b32_e64 v13, v16, v17, s[20:21]
	s_waitcnt lgkmcnt(1)
	v_cndmask_b32_e64 v26, v32, v19, s[28:29]
	v_cndmask_b32_e64 v29, v28, v32, s[28:29]
	;; [unrolled: 1-line block ×4, first 2 shown]
	v_cmp_lt_u32_e64 s[34:35], v33, v20
	v_cmp_le_i32_e64 s[36:37], v26, v29
	v_cmp_ge_u32_e64 s[30:31], v32, v23
	s_and_b64 s[34:35], s[34:35], s[36:37]
	s_or_b64 s[30:31], s[30:31], s[34:35]
	v_cndmask_b32_e64 v14, v32, v33, s[30:31]
	v_cndmask_b32_e64 v15, v23, v20, s[30:31]
	v_lshl_add_u32 v36, v14, 3, v8
	v_add_u32_e32 v37, 1, v14
	v_add_u32_e32 v14, -1, v15
	v_min_u32_e32 v14, v37, v14
	v_lshl_add_u32 v14, v14, 2, v9
	ds_read_b64 v[48:49], v36 offset:8192
	ds_read_b32 v36, v14
	v_cndmask_b32_e64 v14, v24, v18, s[22:23]
	v_cndmask_b32_e64 v15, v27, v25, s[12:13]
	;; [unrolled: 1-line block ×4, first 2 shown]
	s_waitcnt lgkmcnt(0)
	v_cndmask_b32_e64 v24, v36, v26, s[30:31]
	v_cndmask_b32_e64 v25, v29, v36, s[30:31]
	v_cmp_lt_u32_e64 s[12:13], v17, v20
	v_cmp_le_i32_e64 s[20:21], v24, v25
	v_cmp_ge_u32_e64 s[8:9], v16, v23
	s_and_b64 s[12:13], s[12:13], s[20:21]
	s_or_b64 s[8:9], s[8:9], s[12:13]
	v_cndmask_b32_e64 v16, v16, v17, s[8:9]
	v_lshl_add_u32 v16, v16, 3, v8
	ds_read_b64 v[38:39], v16 offset:8192
	v_cndmask_b32_e64 v16, v31, v30, s[24:25]
	v_cndmask_b32_e64 v17, v19, v28, s[28:29]
	;; [unrolled: 1-line block ×4, first 2 shown]
.LBB509_186:
	s_or_b64 exec, exec, s[40:41]
	v_add_u32_e32 v20, 0x2000, v22
	v_and_b32_e32 v26, 0x3e0, v82
	; wave barrier
	ds_write2_b64 v20, v[4:5], v[34:35] offset1:1
	ds_write2_b64 v21, v[12:13], v[14:15] offset1:1
	ds_write2_b64 v11, v[64:65], v[52:53] offset0:2 offset1:3
	ds_write2_b64 v11, v[66:67], v[50:51] offset0:4 offset1:5
	;; [unrolled: 1-line block ×3, first 2 shown]
	s_waitcnt lgkmcnt(5)
	ds_write2_b64 v11, v[48:49], v[38:39] offset0:6 offset1:7
	v_or_b32_e32 v20, 16, v26
	v_min_u32_e32 v20, v10, v20
	v_add_u32_e32 v23, 16, v20
	v_min_u32_e32 v23, v10, v23
	v_and_b32_e32 v24, 24, v82
	v_min_u32_e32 v27, v10, v24
	v_sub_u32_e32 v28, v20, v26
	v_sub_u32_e32 v25, v23, v20
	v_sub_u32_e64 v25, v27, v25 clamp
	v_min_u32_e32 v28, v27, v28
	v_lshl_add_u32 v24, v26, 2, v9
	v_cmp_lt_u32_e64 s[8:9], v25, v28
	; wave barrier
	s_and_saveexec_b64 s[12:13], s[8:9]
	s_cbranch_execz .LBB509_190
; %bb.187:
	v_lshlrev_b32_e32 v29, 2, v20
	v_lshlrev_b32_e32 v30, 2, v27
	v_add3_u32 v29, v9, v29, v30
	s_mov_b64 s[20:21], 0
.LBB509_188:                            ; =>This Inner Loop Header: Depth=1
	v_add_u32_e32 v30, v28, v25
	v_lshrrev_b32_e32 v30, 1, v30
	v_not_b32_e32 v31, v30
	v_lshl_add_u32 v32, v30, 2, v24
	v_lshl_add_u32 v31, v31, 2, v29
	ds_read_b32 v32, v32
	ds_read_b32 v31, v31
	v_add_u32_e32 v33, 1, v30
	s_waitcnt lgkmcnt(0)
	v_cmp_gt_i32_e64 s[8:9], v31, v32
	v_cndmask_b32_e64 v28, v28, v30, s[8:9]
	v_cndmask_b32_e64 v25, v33, v25, s[8:9]
	v_cmp_ge_u32_e64 s[8:9], v25, v28
	s_or_b64 s[20:21], s[8:9], s[20:21]
	s_andn2_b64 exec, exec, s[20:21]
	s_cbranch_execnz .LBB509_188
; %bb.189:
	s_or_b64 exec, exec, s[20:21]
.LBB509_190:
	s_or_b64 exec, exec, s[12:13]
	v_add_u32_e32 v27, v20, v27
	v_add_u32_e32 v26, v25, v26
	v_sub_u32_e32 v27, v27, v25
	v_cmp_le_u32_e64 s[8:9], v26, v20
	v_cmp_le_u32_e64 s[12:13], v27, v23
	s_or_b64 s[8:9], s[8:9], s[12:13]
	s_and_saveexec_b64 s[40:41], s[8:9]
	s_cbranch_execz .LBB509_196
; %bb.191:
	v_cmp_lt_u32_e64 s[8:9], v26, v20
                                        ; implicit-def: $vgpr12
	s_and_saveexec_b64 s[12:13], s[8:9]
	s_cbranch_execz .LBB509_193
; %bb.192:
	v_lshl_add_u32 v4, v25, 2, v24
	ds_read_b32 v12, v4
.LBB509_193:
	s_or_b64 exec, exec, s[12:13]
	v_cmp_ge_u32_e64 s[20:21], v27, v23
	v_cmp_lt_u32_e64 s[12:13], v27, v23
                                        ; implicit-def: $vgpr13
	s_and_saveexec_b64 s[22:23], s[12:13]
	s_cbranch_execz .LBB509_195
; %bb.194:
	v_lshl_add_u32 v4, v27, 2, v9
	ds_read_b32 v13, v4
.LBB509_195:
	s_or_b64 exec, exec, s[22:23]
	s_waitcnt lgkmcnt(0)
	v_cmp_le_i32_e64 s[12:13], v13, v12
	s_and_b64 s[8:9], s[8:9], s[12:13]
	s_or_b64 s[8:9], s[20:21], s[8:9]
	v_cndmask_b32_e64 v4, v27, v26, s[8:9]
	v_cndmask_b32_e64 v5, v23, v20, s[8:9]
	v_add_u32_e32 v14, 1, v4
	v_add_u32_e32 v5, -1, v5
	v_min_u32_e32 v5, v14, v5
	v_lshl_add_u32 v5, v5, 2, v9
	ds_read_b32 v5, v5
	v_cndmask_b32_e64 v15, v14, v27, s[8:9]
	v_cmp_ge_u32_e64 s[12:13], v15, v23
	v_lshl_add_u32 v4, v4, 3, v8
	s_waitcnt lgkmcnt(0)
	v_cndmask_b32_e64 v16, v5, v13, s[8:9]
	v_cndmask_b32_e64 v17, v12, v5, s[8:9]
	;; [unrolled: 1-line block ×3, first 2 shown]
	v_cmp_lt_u32_e64 s[20:21], v5, v20
	v_cmp_le_i32_e64 s[22:23], v16, v17
	s_and_b64 s[20:21], s[20:21], s[22:23]
	s_or_b64 s[20:21], s[12:13], s[20:21]
	v_cndmask_b32_e64 v14, v15, v5, s[20:21]
	v_cndmask_b32_e64 v18, v23, v20, s[20:21]
	v_add_u32_e32 v19, 1, v14
	v_add_u32_e32 v18, -1, v18
	v_min_u32_e32 v18, v19, v18
	v_lshl_add_u32 v18, v18, 2, v9
	ds_read_b32 v18, v18
	v_cndmask_b32_e64 v5, v5, v19, s[20:21]
	v_cndmask_b32_e64 v15, v19, v15, s[20:21]
	v_cmp_lt_u32_e64 s[22:23], v5, v20
	v_cmp_ge_u32_e64 s[12:13], v15, v23
	s_waitcnt lgkmcnt(0)
	v_cndmask_b32_e64 v24, v18, v16, s[20:21]
	v_cndmask_b32_e64 v18, v17, v18, s[20:21]
	v_cmp_le_i32_e64 s[24:25], v24, v18
	s_and_b64 s[22:23], s[22:23], s[24:25]
	s_or_b64 s[22:23], s[12:13], s[22:23]
	v_cndmask_b32_e64 v19, v15, v5, s[22:23]
	v_cndmask_b32_e64 v25, v23, v20, s[22:23]
	v_add_u32_e32 v26, 1, v19
	v_add_u32_e32 v25, -1, v25
	v_min_u32_e32 v25, v26, v25
	v_lshl_add_u32 v25, v25, 2, v9
	ds_read_b32 v25, v25
	v_cndmask_b32_e64 v15, v26, v15, s[22:23]
	v_cndmask_b32_e64 v26, v5, v26, s[22:23]
	v_cmp_lt_u32_e64 s[24:25], v26, v20
	v_cmp_ge_u32_e64 s[12:13], v15, v23
	s_waitcnt lgkmcnt(0)
	v_cndmask_b32_e64 v27, v25, v24, s[22:23]
	v_cndmask_b32_e64 v25, v18, v25, s[22:23]
	v_cmp_le_i32_e64 s[28:29], v27, v25
	s_and_b64 s[24:25], s[24:25], s[28:29]
	s_or_b64 s[12:13], s[12:13], s[24:25]
	v_cndmask_b32_e64 v28, v15, v26, s[12:13]
	v_cndmask_b32_e64 v5, v23, v20, s[12:13]
	v_add_u32_e32 v29, 1, v28
	v_add_u32_e32 v5, -1, v5
	v_min_u32_e32 v5, v29, v5
	v_lshl_add_u32 v5, v5, 2, v9
	ds_read_b32 v30, v5
	v_lshl_add_u32 v19, v19, 3, v8
	ds_read_b64 v[64:65], v19 offset:8192
	v_lshl_add_u32 v14, v14, 3, v8
	v_lshl_add_u32 v19, v28, 3, v8
	ds_read_b64 v[4:5], v4 offset:8192
	ds_read_b64 v[34:35], v14 offset:8192
	;; [unrolled: 1-line block ×3, first 2 shown]
	s_waitcnt lgkmcnt(4)
	v_cndmask_b32_e64 v31, v30, v27, s[12:13]
	v_cndmask_b32_e64 v30, v25, v30, s[12:13]
	;; [unrolled: 1-line block ×4, first 2 shown]
	v_cmp_lt_u32_e64 s[28:29], v15, v20
	v_cmp_le_i32_e64 s[30:31], v31, v30
	v_cmp_ge_u32_e64 s[24:25], v14, v23
	s_and_b64 s[28:29], s[28:29], s[30:31]
	s_or_b64 s[24:25], s[24:25], s[28:29]
	v_cndmask_b32_e64 v26, v14, v15, s[24:25]
	v_cndmask_b32_e64 v29, v23, v20, s[24:25]
	v_add_u32_e32 v32, 1, v26
	v_add_u32_e32 v29, -1, v29
	v_min_u32_e32 v29, v32, v29
	v_lshl_add_u32 v29, v29, 2, v9
	ds_read_b32 v29, v29
	v_lshl_add_u32 v26, v26, 3, v8
	ds_read_b64 v[66:67], v26 offset:8192
	v_cndmask_b32_e64 v15, v15, v32, s[24:25]
	v_cndmask_b32_e64 v14, v32, v14, s[24:25]
	s_waitcnt lgkmcnt(1)
	v_cndmask_b32_e64 v19, v29, v31, s[24:25]
	v_cndmask_b32_e64 v28, v30, v29, s[24:25]
	v_cmp_lt_u32_e64 s[30:31], v15, v20
	v_cmp_le_i32_e64 s[34:35], v19, v28
	v_cmp_ge_u32_e64 s[28:29], v14, v23
	s_and_b64 s[30:31], s[30:31], s[34:35]
	s_or_b64 s[28:29], s[28:29], s[30:31]
	v_cndmask_b32_e64 v29, v14, v15, s[28:29]
	v_cndmask_b32_e64 v32, v23, v20, s[28:29]
	v_add_u32_e32 v33, 1, v29
	v_add_u32_e32 v32, -1, v32
	v_min_u32_e32 v32, v33, v32
	v_lshl_add_u32 v32, v32, 2, v9
	ds_read_b32 v32, v32
	v_lshl_add_u32 v26, v29, 3, v8
	ds_read_b64 v[50:51], v26 offset:8192
	v_cndmask_b32_e64 v12, v13, v12, s[8:9]
	v_cndmask_b32_e64 v13, v16, v17, s[20:21]
	s_waitcnt lgkmcnt(1)
	v_cndmask_b32_e64 v26, v32, v19, s[28:29]
	v_cndmask_b32_e64 v29, v28, v32, s[28:29]
	;; [unrolled: 1-line block ×4, first 2 shown]
	v_cmp_lt_u32_e64 s[34:35], v33, v20
	v_cmp_le_i32_e64 s[36:37], v26, v29
	v_cmp_ge_u32_e64 s[30:31], v32, v23
	s_and_b64 s[34:35], s[34:35], s[36:37]
	s_or_b64 s[30:31], s[30:31], s[34:35]
	v_cndmask_b32_e64 v14, v32, v33, s[30:31]
	v_cndmask_b32_e64 v15, v23, v20, s[30:31]
	v_lshl_add_u32 v36, v14, 3, v8
	v_add_u32_e32 v37, 1, v14
	v_add_u32_e32 v14, -1, v15
	v_min_u32_e32 v14, v37, v14
	v_lshl_add_u32 v14, v14, 2, v9
	ds_read_b64 v[48:49], v36 offset:8192
	ds_read_b32 v36, v14
	v_cndmask_b32_e64 v14, v24, v18, s[22:23]
	v_cndmask_b32_e64 v15, v27, v25, s[12:13]
	;; [unrolled: 1-line block ×4, first 2 shown]
	s_waitcnt lgkmcnt(0)
	v_cndmask_b32_e64 v24, v36, v26, s[30:31]
	v_cndmask_b32_e64 v25, v29, v36, s[30:31]
	v_cmp_lt_u32_e64 s[12:13], v17, v20
	v_cmp_le_i32_e64 s[20:21], v24, v25
	v_cmp_ge_u32_e64 s[8:9], v16, v23
	s_and_b64 s[12:13], s[12:13], s[20:21]
	s_or_b64 s[8:9], s[8:9], s[12:13]
	v_cndmask_b32_e64 v16, v16, v17, s[8:9]
	v_lshl_add_u32 v16, v16, 3, v8
	ds_read_b64 v[38:39], v16 offset:8192
	v_cndmask_b32_e64 v16, v31, v30, s[24:25]
	v_cndmask_b32_e64 v17, v19, v28, s[28:29]
	;; [unrolled: 1-line block ×4, first 2 shown]
.LBB509_196:
	s_or_b64 exec, exec, s[40:41]
	v_add_u32_e32 v20, 0x2000, v22
	v_and_b32_e32 v26, 0x3c0, v82
	; wave barrier
	ds_write2_b64 v20, v[4:5], v[34:35] offset1:1
	ds_write2_b64 v21, v[12:13], v[14:15] offset1:1
	ds_write2_b64 v11, v[64:65], v[52:53] offset0:2 offset1:3
	ds_write2_b64 v11, v[66:67], v[50:51] offset0:4 offset1:5
	;; [unrolled: 1-line block ×3, first 2 shown]
	s_waitcnt lgkmcnt(5)
	ds_write2_b64 v11, v[48:49], v[38:39] offset0:6 offset1:7
	v_or_b32_e32 v20, 32, v26
	v_min_u32_e32 v20, v10, v20
	v_add_u32_e32 v23, 32, v20
	v_min_u32_e32 v23, v10, v23
	v_and_b32_e32 v24, 56, v82
	v_min_u32_e32 v27, v10, v24
	v_sub_u32_e32 v28, v20, v26
	v_sub_u32_e32 v25, v23, v20
	v_sub_u32_e64 v25, v27, v25 clamp
	v_min_u32_e32 v28, v27, v28
	v_lshl_add_u32 v24, v26, 2, v9
	v_cmp_lt_u32_e64 s[8:9], v25, v28
	; wave barrier
	s_and_saveexec_b64 s[12:13], s[8:9]
	s_cbranch_execz .LBB509_200
; %bb.197:
	v_lshlrev_b32_e32 v29, 2, v20
	v_lshlrev_b32_e32 v30, 2, v27
	v_add3_u32 v29, v9, v29, v30
	s_mov_b64 s[20:21], 0
.LBB509_198:                            ; =>This Inner Loop Header: Depth=1
	v_add_u32_e32 v30, v28, v25
	v_lshrrev_b32_e32 v30, 1, v30
	v_not_b32_e32 v31, v30
	v_lshl_add_u32 v32, v30, 2, v24
	v_lshl_add_u32 v31, v31, 2, v29
	ds_read_b32 v32, v32
	ds_read_b32 v31, v31
	v_add_u32_e32 v33, 1, v30
	s_waitcnt lgkmcnt(0)
	v_cmp_gt_i32_e64 s[8:9], v31, v32
	v_cndmask_b32_e64 v28, v28, v30, s[8:9]
	v_cndmask_b32_e64 v25, v33, v25, s[8:9]
	v_cmp_ge_u32_e64 s[8:9], v25, v28
	s_or_b64 s[20:21], s[8:9], s[20:21]
	s_andn2_b64 exec, exec, s[20:21]
	s_cbranch_execnz .LBB509_198
; %bb.199:
	s_or_b64 exec, exec, s[20:21]
.LBB509_200:
	s_or_b64 exec, exec, s[12:13]
	v_add_u32_e32 v27, v20, v27
	v_add_u32_e32 v26, v25, v26
	v_sub_u32_e32 v27, v27, v25
	v_cmp_le_u32_e64 s[8:9], v26, v20
	v_cmp_le_u32_e64 s[12:13], v27, v23
	s_or_b64 s[8:9], s[8:9], s[12:13]
	s_and_saveexec_b64 s[40:41], s[8:9]
	s_cbranch_execz .LBB509_206
; %bb.201:
	v_cmp_lt_u32_e64 s[8:9], v26, v20
                                        ; implicit-def: $vgpr12
	s_and_saveexec_b64 s[12:13], s[8:9]
	s_cbranch_execz .LBB509_203
; %bb.202:
	v_lshl_add_u32 v4, v25, 2, v24
	ds_read_b32 v12, v4
.LBB509_203:
	s_or_b64 exec, exec, s[12:13]
	v_cmp_ge_u32_e64 s[20:21], v27, v23
	v_cmp_lt_u32_e64 s[12:13], v27, v23
                                        ; implicit-def: $vgpr13
	s_and_saveexec_b64 s[22:23], s[12:13]
	s_cbranch_execz .LBB509_205
; %bb.204:
	v_lshl_add_u32 v4, v27, 2, v9
	ds_read_b32 v13, v4
.LBB509_205:
	s_or_b64 exec, exec, s[22:23]
	s_waitcnt lgkmcnt(0)
	v_cmp_le_i32_e64 s[12:13], v13, v12
	s_and_b64 s[8:9], s[8:9], s[12:13]
	s_or_b64 s[8:9], s[20:21], s[8:9]
	v_cndmask_b32_e64 v4, v27, v26, s[8:9]
	v_cndmask_b32_e64 v5, v23, v20, s[8:9]
	v_add_u32_e32 v14, 1, v4
	v_add_u32_e32 v5, -1, v5
	v_min_u32_e32 v5, v14, v5
	v_lshl_add_u32 v5, v5, 2, v9
	ds_read_b32 v5, v5
	v_cndmask_b32_e64 v15, v14, v27, s[8:9]
	v_cmp_ge_u32_e64 s[12:13], v15, v23
	v_lshl_add_u32 v4, v4, 3, v8
	s_waitcnt lgkmcnt(0)
	v_cndmask_b32_e64 v16, v5, v13, s[8:9]
	v_cndmask_b32_e64 v17, v12, v5, s[8:9]
	;; [unrolled: 1-line block ×3, first 2 shown]
	v_cmp_lt_u32_e64 s[20:21], v5, v20
	v_cmp_le_i32_e64 s[22:23], v16, v17
	s_and_b64 s[20:21], s[20:21], s[22:23]
	s_or_b64 s[20:21], s[12:13], s[20:21]
	v_cndmask_b32_e64 v14, v15, v5, s[20:21]
	v_cndmask_b32_e64 v18, v23, v20, s[20:21]
	v_add_u32_e32 v19, 1, v14
	v_add_u32_e32 v18, -1, v18
	v_min_u32_e32 v18, v19, v18
	v_lshl_add_u32 v18, v18, 2, v9
	ds_read_b32 v18, v18
	v_cndmask_b32_e64 v5, v5, v19, s[20:21]
	v_cndmask_b32_e64 v15, v19, v15, s[20:21]
	v_cmp_lt_u32_e64 s[22:23], v5, v20
	v_cmp_ge_u32_e64 s[12:13], v15, v23
	s_waitcnt lgkmcnt(0)
	v_cndmask_b32_e64 v24, v18, v16, s[20:21]
	v_cndmask_b32_e64 v18, v17, v18, s[20:21]
	v_cmp_le_i32_e64 s[24:25], v24, v18
	s_and_b64 s[22:23], s[22:23], s[24:25]
	s_or_b64 s[22:23], s[12:13], s[22:23]
	v_cndmask_b32_e64 v19, v15, v5, s[22:23]
	v_cndmask_b32_e64 v25, v23, v20, s[22:23]
	v_add_u32_e32 v26, 1, v19
	v_add_u32_e32 v25, -1, v25
	v_min_u32_e32 v25, v26, v25
	v_lshl_add_u32 v25, v25, 2, v9
	ds_read_b32 v25, v25
	v_cndmask_b32_e64 v15, v26, v15, s[22:23]
	v_cndmask_b32_e64 v26, v5, v26, s[22:23]
	v_cmp_lt_u32_e64 s[24:25], v26, v20
	v_cmp_ge_u32_e64 s[12:13], v15, v23
	s_waitcnt lgkmcnt(0)
	v_cndmask_b32_e64 v27, v25, v24, s[22:23]
	v_cndmask_b32_e64 v25, v18, v25, s[22:23]
	v_cmp_le_i32_e64 s[28:29], v27, v25
	s_and_b64 s[24:25], s[24:25], s[28:29]
	s_or_b64 s[12:13], s[12:13], s[24:25]
	v_cndmask_b32_e64 v28, v15, v26, s[12:13]
	v_cndmask_b32_e64 v5, v23, v20, s[12:13]
	v_add_u32_e32 v29, 1, v28
	v_add_u32_e32 v5, -1, v5
	v_min_u32_e32 v5, v29, v5
	v_lshl_add_u32 v5, v5, 2, v9
	ds_read_b32 v30, v5
	v_lshl_add_u32 v19, v19, 3, v8
	ds_read_b64 v[64:65], v19 offset:8192
	v_lshl_add_u32 v14, v14, 3, v8
	v_lshl_add_u32 v19, v28, 3, v8
	ds_read_b64 v[4:5], v4 offset:8192
	ds_read_b64 v[34:35], v14 offset:8192
	;; [unrolled: 1-line block ×3, first 2 shown]
	s_waitcnt lgkmcnt(4)
	v_cndmask_b32_e64 v31, v30, v27, s[12:13]
	v_cndmask_b32_e64 v30, v25, v30, s[12:13]
	v_cndmask_b32_e64 v14, v29, v15, s[12:13]
	v_cndmask_b32_e64 v15, v26, v29, s[12:13]
	v_cmp_lt_u32_e64 s[28:29], v15, v20
	v_cmp_le_i32_e64 s[30:31], v31, v30
	v_cmp_ge_u32_e64 s[24:25], v14, v23
	s_and_b64 s[28:29], s[28:29], s[30:31]
	s_or_b64 s[24:25], s[24:25], s[28:29]
	v_cndmask_b32_e64 v26, v14, v15, s[24:25]
	v_cndmask_b32_e64 v29, v23, v20, s[24:25]
	v_add_u32_e32 v32, 1, v26
	v_add_u32_e32 v29, -1, v29
	v_min_u32_e32 v29, v32, v29
	v_lshl_add_u32 v29, v29, 2, v9
	ds_read_b32 v29, v29
	v_lshl_add_u32 v26, v26, 3, v8
	ds_read_b64 v[66:67], v26 offset:8192
	v_cndmask_b32_e64 v15, v15, v32, s[24:25]
	v_cndmask_b32_e64 v14, v32, v14, s[24:25]
	s_waitcnt lgkmcnt(1)
	v_cndmask_b32_e64 v19, v29, v31, s[24:25]
	v_cndmask_b32_e64 v28, v30, v29, s[24:25]
	v_cmp_lt_u32_e64 s[30:31], v15, v20
	v_cmp_le_i32_e64 s[34:35], v19, v28
	v_cmp_ge_u32_e64 s[28:29], v14, v23
	s_and_b64 s[30:31], s[30:31], s[34:35]
	s_or_b64 s[28:29], s[28:29], s[30:31]
	v_cndmask_b32_e64 v29, v14, v15, s[28:29]
	v_cndmask_b32_e64 v32, v23, v20, s[28:29]
	v_add_u32_e32 v33, 1, v29
	v_add_u32_e32 v32, -1, v32
	v_min_u32_e32 v32, v33, v32
	v_lshl_add_u32 v32, v32, 2, v9
	ds_read_b32 v32, v32
	v_lshl_add_u32 v26, v29, 3, v8
	ds_read_b64 v[50:51], v26 offset:8192
	v_cndmask_b32_e64 v12, v13, v12, s[8:9]
	v_cndmask_b32_e64 v13, v16, v17, s[20:21]
	s_waitcnt lgkmcnt(1)
	v_cndmask_b32_e64 v26, v32, v19, s[28:29]
	v_cndmask_b32_e64 v29, v28, v32, s[28:29]
	;; [unrolled: 1-line block ×4, first 2 shown]
	v_cmp_lt_u32_e64 s[34:35], v33, v20
	v_cmp_le_i32_e64 s[36:37], v26, v29
	v_cmp_ge_u32_e64 s[30:31], v32, v23
	s_and_b64 s[34:35], s[34:35], s[36:37]
	s_or_b64 s[30:31], s[30:31], s[34:35]
	v_cndmask_b32_e64 v14, v32, v33, s[30:31]
	v_cndmask_b32_e64 v15, v23, v20, s[30:31]
	v_lshl_add_u32 v36, v14, 3, v8
	v_add_u32_e32 v37, 1, v14
	v_add_u32_e32 v14, -1, v15
	v_min_u32_e32 v14, v37, v14
	v_lshl_add_u32 v14, v14, 2, v9
	ds_read_b64 v[48:49], v36 offset:8192
	ds_read_b32 v36, v14
	v_cndmask_b32_e64 v14, v24, v18, s[22:23]
	v_cndmask_b32_e64 v15, v27, v25, s[12:13]
	;; [unrolled: 1-line block ×4, first 2 shown]
	s_waitcnt lgkmcnt(0)
	v_cndmask_b32_e64 v24, v36, v26, s[30:31]
	v_cndmask_b32_e64 v25, v29, v36, s[30:31]
	v_cmp_lt_u32_e64 s[12:13], v17, v20
	v_cmp_le_i32_e64 s[20:21], v24, v25
	v_cmp_ge_u32_e64 s[8:9], v16, v23
	s_and_b64 s[12:13], s[12:13], s[20:21]
	s_or_b64 s[8:9], s[8:9], s[12:13]
	v_cndmask_b32_e64 v16, v16, v17, s[8:9]
	v_lshl_add_u32 v16, v16, 3, v8
	ds_read_b64 v[38:39], v16 offset:8192
	v_cndmask_b32_e64 v16, v31, v30, s[24:25]
	v_cndmask_b32_e64 v17, v19, v28, s[28:29]
	;; [unrolled: 1-line block ×4, first 2 shown]
.LBB509_206:
	s_or_b64 exec, exec, s[40:41]
	v_add_u32_e32 v20, 0x2000, v22
	v_and_b32_e32 v23, 0x380, v82
	; wave barrier
	ds_write2_b64 v20, v[4:5], v[34:35] offset1:1
	ds_write2_b64 v21, v[12:13], v[14:15] offset1:1
	ds_write2_b64 v11, v[64:65], v[52:53] offset0:2 offset1:3
	ds_write2_b64 v11, v[66:67], v[50:51] offset0:4 offset1:5
	;; [unrolled: 1-line block ×3, first 2 shown]
	s_waitcnt lgkmcnt(5)
	ds_write2_b64 v11, v[48:49], v[38:39] offset0:6 offset1:7
	v_or_b32_e32 v11, 64, v23
	v_min_u32_e32 v11, v10, v11
	v_add_u32_e32 v20, 64, v11
	v_min_u32_e32 v20, v10, v20
	v_min_u32_e32 v10, v10, v83
	v_sub_u32_e32 v24, v11, v23
	v_sub_u32_e32 v22, v20, v11
	v_sub_u32_e64 v22, v10, v22 clamp
	v_min_u32_e32 v24, v10, v24
	v_lshl_add_u32 v21, v23, 2, v9
	v_cmp_lt_u32_e64 s[8:9], v22, v24
	; wave barrier
	s_and_saveexec_b64 s[12:13], s[8:9]
	s_cbranch_execz .LBB509_210
; %bb.207:
	v_lshlrev_b32_e32 v25, 2, v11
	v_lshlrev_b32_e32 v26, 2, v10
	v_add3_u32 v25, v9, v25, v26
	s_mov_b64 s[20:21], 0
.LBB509_208:                            ; =>This Inner Loop Header: Depth=1
	v_add_u32_e32 v26, v24, v22
	v_lshrrev_b32_e32 v26, 1, v26
	v_not_b32_e32 v27, v26
	v_lshl_add_u32 v28, v26, 2, v21
	v_lshl_add_u32 v27, v27, 2, v25
	ds_read_b32 v28, v28
	ds_read_b32 v27, v27
	v_add_u32_e32 v29, 1, v26
	s_waitcnt lgkmcnt(0)
	v_cmp_gt_i32_e64 s[8:9], v27, v28
	v_cndmask_b32_e64 v24, v24, v26, s[8:9]
	v_cndmask_b32_e64 v22, v29, v22, s[8:9]
	v_cmp_ge_u32_e64 s[8:9], v22, v24
	s_or_b64 s[20:21], s[8:9], s[20:21]
	s_andn2_b64 exec, exec, s[20:21]
	s_cbranch_execnz .LBB509_208
; %bb.209:
	s_or_b64 exec, exec, s[20:21]
.LBB509_210:
	s_or_b64 exec, exec, s[12:13]
	v_add_u32_e32 v10, v11, v10
	v_add_u32_e32 v23, v22, v23
	v_sub_u32_e32 v24, v10, v22
	v_cmp_le_u32_e64 s[8:9], v23, v11
	v_cmp_le_u32_e64 s[12:13], v24, v20
	s_or_b64 s[8:9], s[8:9], s[12:13]
	s_and_saveexec_b64 s[40:41], s[8:9]
	s_cbranch_execz .LBB509_216
; %bb.211:
	v_cmp_lt_u32_e64 s[8:9], v23, v11
                                        ; implicit-def: $vgpr10
	s_and_saveexec_b64 s[12:13], s[8:9]
	s_cbranch_execz .LBB509_213
; %bb.212:
	v_lshl_add_u32 v4, v22, 2, v21
	ds_read_b32 v10, v4
.LBB509_213:
	s_or_b64 exec, exec, s[12:13]
	v_cmp_ge_u32_e64 s[20:21], v24, v20
	v_cmp_lt_u32_e64 s[12:13], v24, v20
                                        ; implicit-def: $vgpr12
	s_and_saveexec_b64 s[22:23], s[12:13]
	s_cbranch_execz .LBB509_215
; %bb.214:
	v_lshl_add_u32 v4, v24, 2, v9
	ds_read_b32 v12, v4
.LBB509_215:
	s_or_b64 exec, exec, s[22:23]
	s_waitcnt lgkmcnt(0)
	v_cmp_le_i32_e64 s[12:13], v12, v10
	s_and_b64 s[8:9], s[8:9], s[12:13]
	s_or_b64 s[8:9], s[20:21], s[8:9]
	v_cndmask_b32_e64 v4, v24, v23, s[8:9]
	v_cndmask_b32_e64 v5, v20, v11, s[8:9]
	v_add_u32_e32 v13, 1, v4
	v_add_u32_e32 v5, -1, v5
	v_min_u32_e32 v5, v13, v5
	v_lshl_add_u32 v5, v5, 2, v9
	ds_read_b32 v5, v5
	v_cndmask_b32_e64 v14, v13, v24, s[8:9]
	v_cmp_ge_u32_e64 s[12:13], v14, v20
	v_lshl_add_u32 v4, v4, 3, v8
	s_waitcnt lgkmcnt(0)
	v_cndmask_b32_e64 v15, v5, v12, s[8:9]
	v_cndmask_b32_e64 v16, v10, v5, s[8:9]
	;; [unrolled: 1-line block ×3, first 2 shown]
	v_cmp_lt_u32_e64 s[20:21], v5, v11
	v_cmp_le_i32_e64 s[22:23], v15, v16
	s_and_b64 s[20:21], s[20:21], s[22:23]
	s_or_b64 s[20:21], s[12:13], s[20:21]
	v_cndmask_b32_e64 v13, v14, v5, s[20:21]
	v_cndmask_b32_e64 v17, v20, v11, s[20:21]
	v_add_u32_e32 v18, 1, v13
	v_add_u32_e32 v17, -1, v17
	v_min_u32_e32 v17, v18, v17
	v_lshl_add_u32 v17, v17, 2, v9
	ds_read_b32 v17, v17
	v_cndmask_b32_e64 v5, v5, v18, s[20:21]
	v_cndmask_b32_e64 v14, v18, v14, s[20:21]
	v_cmp_lt_u32_e64 s[22:23], v5, v11
	v_cmp_ge_u32_e64 s[12:13], v14, v20
	s_waitcnt lgkmcnt(0)
	v_cndmask_b32_e64 v19, v17, v15, s[20:21]
	v_cndmask_b32_e64 v17, v16, v17, s[20:21]
	v_cmp_le_i32_e64 s[24:25], v19, v17
	s_and_b64 s[22:23], s[22:23], s[24:25]
	s_or_b64 s[22:23], s[12:13], s[22:23]
	v_cndmask_b32_e64 v18, v14, v5, s[22:23]
	v_cndmask_b32_e64 v21, v20, v11, s[22:23]
	v_add_u32_e32 v22, 1, v18
	v_add_u32_e32 v21, -1, v21
	v_min_u32_e32 v21, v22, v21
	v_lshl_add_u32 v21, v21, 2, v9
	ds_read_b32 v21, v21
	v_cndmask_b32_e64 v14, v22, v14, s[22:23]
	v_cndmask_b32_e64 v22, v5, v22, s[22:23]
	v_cmp_lt_u32_e64 s[24:25], v22, v11
	v_cmp_ge_u32_e64 s[12:13], v14, v20
	s_waitcnt lgkmcnt(0)
	v_cndmask_b32_e64 v23, v21, v19, s[22:23]
	v_cndmask_b32_e64 v21, v17, v21, s[22:23]
	v_cmp_le_i32_e64 s[28:29], v23, v21
	s_and_b64 s[24:25], s[24:25], s[28:29]
	s_or_b64 s[12:13], s[12:13], s[24:25]
	v_cndmask_b32_e64 v24, v14, v22, s[12:13]
	v_cndmask_b32_e64 v5, v20, v11, s[12:13]
	v_add_u32_e32 v25, 1, v24
	v_add_u32_e32 v5, -1, v5
	v_min_u32_e32 v5, v25, v5
	v_lshl_add_u32 v5, v5, 2, v9
	ds_read_b32 v26, v5
	v_lshl_add_u32 v18, v18, 3, v8
	ds_read_b64 v[64:65], v18 offset:8192
	v_lshl_add_u32 v13, v13, 3, v8
	v_lshl_add_u32 v18, v24, 3, v8
	ds_read_b64 v[4:5], v4 offset:8192
	ds_read_b64 v[34:35], v13 offset:8192
	;; [unrolled: 1-line block ×3, first 2 shown]
	s_waitcnt lgkmcnt(4)
	v_cndmask_b32_e64 v27, v26, v23, s[12:13]
	v_cndmask_b32_e64 v26, v21, v26, s[12:13]
	;; [unrolled: 1-line block ×4, first 2 shown]
	v_cmp_lt_u32_e64 s[28:29], v14, v11
	v_cmp_le_i32_e64 s[30:31], v27, v26
	v_cmp_ge_u32_e64 s[24:25], v13, v20
	s_and_b64 s[28:29], s[28:29], s[30:31]
	s_or_b64 s[24:25], s[24:25], s[28:29]
	v_cndmask_b32_e64 v22, v13, v14, s[24:25]
	v_cndmask_b32_e64 v25, v20, v11, s[24:25]
	v_add_u32_e32 v28, 1, v22
	v_add_u32_e32 v25, -1, v25
	v_min_u32_e32 v25, v28, v25
	v_lshl_add_u32 v25, v25, 2, v9
	ds_read_b32 v25, v25
	v_lshl_add_u32 v22, v22, 3, v8
	ds_read_b64 v[66:67], v22 offset:8192
	v_cndmask_b32_e64 v14, v14, v28, s[24:25]
	v_cndmask_b32_e64 v13, v28, v13, s[24:25]
	s_waitcnt lgkmcnt(1)
	v_cndmask_b32_e64 v18, v25, v27, s[24:25]
	v_cndmask_b32_e64 v24, v26, v25, s[24:25]
	v_cmp_lt_u32_e64 s[30:31], v14, v11
	v_cmp_le_i32_e64 s[34:35], v18, v24
	v_cmp_ge_u32_e64 s[28:29], v13, v20
	s_and_b64 s[30:31], s[30:31], s[34:35]
	s_or_b64 s[28:29], s[28:29], s[30:31]
	v_cndmask_b32_e64 v25, v13, v14, s[28:29]
	v_cndmask_b32_e64 v28, v20, v11, s[28:29]
	v_add_u32_e32 v29, 1, v25
	v_add_u32_e32 v28, -1, v28
	v_min_u32_e32 v28, v29, v28
	v_lshl_add_u32 v28, v28, 2, v9
	ds_read_b32 v28, v28
	v_lshl_add_u32 v22, v25, 3, v8
	ds_read_b64 v[50:51], v22 offset:8192
	v_cndmask_b32_e64 v12, v12, v10, s[8:9]
	s_waitcnt lgkmcnt(1)
	v_cndmask_b32_e64 v22, v28, v18, s[28:29]
	v_cndmask_b32_e64 v25, v24, v28, s[28:29]
	;; [unrolled: 1-line block ×4, first 2 shown]
	v_cmp_lt_u32_e64 s[34:35], v29, v11
	v_cmp_le_i32_e64 s[36:37], v22, v25
	v_cmp_ge_u32_e64 s[30:31], v28, v20
	s_and_b64 s[34:35], s[34:35], s[36:37]
	s_or_b64 s[30:31], s[30:31], s[34:35]
	v_cndmask_b32_e64 v13, v28, v29, s[30:31]
	v_cndmask_b32_e64 v14, v20, v11, s[30:31]
	v_lshl_add_u32 v30, v13, 3, v8
	v_add_u32_e32 v31, 1, v13
	v_add_u32_e32 v13, -1, v14
	v_min_u32_e32 v13, v31, v13
	v_lshl_add_u32 v9, v13, 2, v9
	ds_read_b64 v[48:49], v30 offset:8192
	ds_read_b32 v9, v9
	v_cndmask_b32_e64 v14, v19, v17, s[22:23]
	v_cndmask_b32_e64 v17, v29, v31, s[30:31]
	;; [unrolled: 1-line block ×4, first 2 shown]
	s_waitcnt lgkmcnt(0)
	v_cndmask_b32_e64 v10, v9, v22, s[30:31]
	v_cndmask_b32_e64 v9, v25, v9, s[30:31]
	v_cndmask_b32_e64 v16, v31, v28, s[30:31]
	v_cmp_lt_u32_e64 s[12:13], v17, v11
	v_cmp_le_i32_e64 s[20:21], v10, v9
	v_cmp_ge_u32_e64 s[8:9], v16, v20
	s_and_b64 s[12:13], s[12:13], s[20:21]
	s_or_b64 s[8:9], s[8:9], s[12:13]
	v_cndmask_b32_e64 v11, v16, v17, s[8:9]
	v_lshl_add_u32 v8, v11, 3, v8
	ds_read_b64 v[38:39], v8 offset:8192
	v_cndmask_b32_e64 v16, v27, v26, s[24:25]
	v_cndmask_b32_e64 v17, v18, v24, s[28:29]
	;; [unrolled: 1-line block ×4, first 2 shown]
.LBB509_216:
	s_or_b64 exec, exec, s[40:41]
	; wave barrier
	s_waitcnt lgkmcnt(0)
	s_barrier
.LBB509_217:
	s_or_b64 exec, exec, s[38:39]
	v_add_co_u32_e64 v2, s[8:9], v2, v54
	v_addc_co_u32_e64 v3, s[8:9], v3, v55, s[8:9]
	v_add_co_u32_e64 v2, s[8:9], v2, v80
	v_addc_co_u32_e64 v3, s[8:9], 0, v3, s[8:9]
	s_waitcnt lgkmcnt(0)
	; wave barrier
	s_and_saveexec_b64 s[8:9], vcc
	s_cbranch_execnz .LBB509_243
; %bb.218:
	s_or_b64 exec, exec, s[8:9]
	s_and_saveexec_b64 s[8:9], s[4:5]
	s_cbranch_execnz .LBB509_244
.LBB509_219:
	s_or_b64 exec, exec, s[8:9]
	s_and_saveexec_b64 s[8:9], s[6:7]
	s_cbranch_execnz .LBB509_245
.LBB509_220:
	s_or_b64 exec, exec, s[8:9]
	s_and_saveexec_b64 s[8:9], s[18:19]
	s_cbranch_execnz .LBB509_246
.LBB509_221:
	s_or_b64 exec, exec, s[8:9]
	s_and_saveexec_b64 s[8:9], s[10:11]
	s_cbranch_execnz .LBB509_247
.LBB509_222:
	s_or_b64 exec, exec, s[8:9]
	s_and_saveexec_b64 s[8:9], s[26:27]
	s_cbranch_execnz .LBB509_248
.LBB509_223:
	s_or_b64 exec, exec, s[8:9]
	s_and_saveexec_b64 s[8:9], s[14:15]
	s_cbranch_execnz .LBB509_249
.LBB509_224:
	s_or_b64 exec, exec, s[8:9]
	s_and_saveexec_b64 s[8:9], s[16:17]
	s_cbranch_execz .LBB509_226
.LBB509_225:
	flat_store_dword v[2:3], v19 offset:28
.LBB509_226:
	s_or_b64 exec, exec, s[8:9]
	v_add_co_u32_e64 v0, s[8:9], v6, v0
	v_addc_co_u32_e64 v1, s[8:9], v7, v1, s[8:9]
	v_add_co_u32_e64 v0, s[8:9], v0, v81
	v_addc_co_u32_e64 v1, s[8:9], 0, v1, s[8:9]
	; wave barrier
	s_and_saveexec_b64 s[8:9], vcc
	s_cbranch_execnz .LBB509_250
; %bb.227:
	s_or_b64 exec, exec, s[8:9]
	s_and_saveexec_b64 s[8:9], s[4:5]
	s_cbranch_execnz .LBB509_251
.LBB509_228:
	s_or_b64 exec, exec, s[8:9]
	s_and_saveexec_b64 s[4:5], s[6:7]
	s_cbranch_execnz .LBB509_252
.LBB509_229:
	s_or_b64 exec, exec, s[4:5]
	s_and_saveexec_b64 s[4:5], s[18:19]
	s_cbranch_execnz .LBB509_253
.LBB509_230:
	s_or_b64 exec, exec, s[4:5]
	s_and_saveexec_b64 s[4:5], s[10:11]
	s_cbranch_execnz .LBB509_254
.LBB509_231:
	s_or_b64 exec, exec, s[4:5]
	s_and_saveexec_b64 s[4:5], s[26:27]
	s_cbranch_execnz .LBB509_255
.LBB509_232:
	s_or_b64 exec, exec, s[4:5]
	s_and_saveexec_b64 s[4:5], s[14:15]
	s_cbranch_execnz .LBB509_256
.LBB509_233:
	s_or_b64 exec, exec, s[4:5]
	s_and_saveexec_b64 s[4:5], s[16:17]
	s_cbranch_execz .LBB509_235
.LBB509_234:
	s_waitcnt vmcnt(0) lgkmcnt(0)
	flat_store_dwordx2 v[0:1], v[38:39] offset:56
.LBB509_235:
	s_or_b64 exec, exec, s[4:5]
	v_readlane_b32 s30, v40, 12
	v_readlane_b32 s31, v40, 13
	;; [unrolled: 1-line block ×14, first 2 shown]
	s_or_saveexec_b64 s[4:5], -1
	buffer_load_dword v40, off, s[0:3], s32 ; 4-byte Folded Reload
	s_mov_b64 exec, s[4:5]
	s_waitcnt vmcnt(0) lgkmcnt(0)
	s_setpc_b64 s[30:31]
.LBB509_236:
	flat_load_dwordx2 v[4:5], v[8:9]
	s_or_b64 exec, exec, s[20:21]
	s_and_saveexec_b64 s[20:21], s[4:5]
                                        ; implicit-def: $vgpr32_vgpr33_vgpr34_vgpr35
	s_cbranch_execz .LBB509_18
.LBB509_237:
	flat_load_dwordx2 v[34:35], v[8:9] offset:8
	s_or_b64 exec, exec, s[20:21]
                                        ; implicit-def: $vgpr64_vgpr65
	s_and_saveexec_b64 s[20:21], s[6:7]
	s_cbranch_execz .LBB509_19
.LBB509_238:
	flat_load_dwordx2 v[64:65], v[8:9] offset:16
	s_or_b64 exec, exec, s[20:21]
	s_and_saveexec_b64 s[20:21], s[18:19]
                                        ; implicit-def: $vgpr50_vgpr51_vgpr52_vgpr53
	s_cbranch_execz .LBB509_20
.LBB509_239:
	flat_load_dwordx2 v[52:53], v[8:9] offset:24
	s_or_b64 exec, exec, s[20:21]
                                        ; implicit-def: $vgpr66_vgpr67
	s_and_saveexec_b64 s[20:21], s[10:11]
	s_cbranch_execz .LBB509_21
.LBB509_240:
	flat_load_dwordx2 v[66:67], v[8:9] offset:32
	s_or_b64 exec, exec, s[20:21]
	s_and_saveexec_b64 s[20:21], s[26:27]
                                        ; implicit-def: $vgpr48_vgpr49_vgpr50_vgpr51
	s_cbranch_execz .LBB509_22
.LBB509_241:
	flat_load_dwordx2 v[50:51], v[8:9] offset:40
	s_or_b64 exec, exec, s[20:21]
                                        ; implicit-def: $vgpr48_vgpr49
	s_and_saveexec_b64 s[20:21], s[14:15]
	s_cbranch_execz .LBB509_23
.LBB509_242:
	flat_load_dwordx2 v[48:49], v[8:9] offset:48
	s_or_b64 exec, exec, s[20:21]
	s_and_saveexec_b64 s[20:21], s[16:17]
                                        ; implicit-def: $vgpr36_vgpr37_vgpr38_vgpr39
	s_cbranch_execnz .LBB509_24
	s_branch .LBB509_25
.LBB509_243:
	flat_store_dword v[2:3], v12
	s_or_b64 exec, exec, s[8:9]
	s_and_saveexec_b64 s[8:9], s[4:5]
	s_cbranch_execz .LBB509_219
.LBB509_244:
	flat_store_dword v[2:3], v13 offset:4
	s_or_b64 exec, exec, s[8:9]
	s_and_saveexec_b64 s[8:9], s[6:7]
	s_cbranch_execz .LBB509_220
.LBB509_245:
	flat_store_dword v[2:3], v14 offset:8
	s_or_b64 exec, exec, s[8:9]
	s_and_saveexec_b64 s[8:9], s[18:19]
	s_cbranch_execz .LBB509_221
.LBB509_246:
	flat_store_dword v[2:3], v15 offset:12
	s_or_b64 exec, exec, s[8:9]
	s_and_saveexec_b64 s[8:9], s[10:11]
	s_cbranch_execz .LBB509_222
.LBB509_247:
	flat_store_dword v[2:3], v16 offset:16
	s_or_b64 exec, exec, s[8:9]
	s_and_saveexec_b64 s[8:9], s[26:27]
	s_cbranch_execz .LBB509_223
.LBB509_248:
	flat_store_dword v[2:3], v17 offset:20
	s_or_b64 exec, exec, s[8:9]
	s_and_saveexec_b64 s[8:9], s[14:15]
	s_cbranch_execz .LBB509_224
.LBB509_249:
	flat_store_dword v[2:3], v18 offset:24
	s_or_b64 exec, exec, s[8:9]
	s_and_saveexec_b64 s[8:9], s[16:17]
	s_cbranch_execnz .LBB509_225
	s_branch .LBB509_226
.LBB509_250:
	s_waitcnt vmcnt(0) lgkmcnt(0)
	flat_store_dwordx2 v[0:1], v[4:5]
	s_or_b64 exec, exec, s[8:9]
	s_and_saveexec_b64 s[8:9], s[4:5]
	s_cbranch_execz .LBB509_228
.LBB509_251:
	s_waitcnt vmcnt(0) lgkmcnt(0)
	flat_store_dwordx2 v[0:1], v[34:35] offset:8
	s_or_b64 exec, exec, s[8:9]
	s_and_saveexec_b64 s[4:5], s[6:7]
	s_cbranch_execz .LBB509_229
.LBB509_252:
	s_waitcnt vmcnt(0) lgkmcnt(0)
	flat_store_dwordx2 v[0:1], v[64:65] offset:16
	s_or_b64 exec, exec, s[4:5]
	s_and_saveexec_b64 s[4:5], s[18:19]
	s_cbranch_execz .LBB509_230
.LBB509_253:
	s_waitcnt vmcnt(0) lgkmcnt(0)
	flat_store_dwordx2 v[0:1], v[52:53] offset:24
	s_or_b64 exec, exec, s[4:5]
	s_and_saveexec_b64 s[4:5], s[10:11]
	s_cbranch_execz .LBB509_231
.LBB509_254:
	s_waitcnt vmcnt(0) lgkmcnt(0)
	flat_store_dwordx2 v[0:1], v[66:67] offset:32
	s_or_b64 exec, exec, s[4:5]
	s_and_saveexec_b64 s[4:5], s[26:27]
	s_cbranch_execz .LBB509_232
.LBB509_255:
	s_waitcnt vmcnt(0) lgkmcnt(0)
	flat_store_dwordx2 v[0:1], v[50:51] offset:40
	s_or_b64 exec, exec, s[4:5]
	s_and_saveexec_b64 s[4:5], s[14:15]
	s_cbranch_execz .LBB509_233
.LBB509_256:
	s_waitcnt vmcnt(0) lgkmcnt(0)
	flat_store_dwordx2 v[0:1], v[48:49] offset:48
	s_or_b64 exec, exec, s[4:5]
	s_and_saveexec_b64 s[4:5], s[16:17]
	s_cbranch_execnz .LBB509_234
	s_branch .LBB509_235
.Lfunc_end509:
	.size	_ZN7rocprim17ROCPRIM_400000_NS6detail26segmented_warp_sort_helperINS1_20WarpSortHelperConfigILj16ELj8ELj256EEEilLi256ELb1EvE4sortIPKiPiPKlPlEEvT_T0_T1_T2_jjjjRNS5_12storage_typeE, .Lfunc_end509-_ZN7rocprim17ROCPRIM_400000_NS6detail26segmented_warp_sort_helperINS1_20WarpSortHelperConfigILj16ELj8ELj256EEEilLi256ELb1EvE4sortIPKiPiPKlPlEEvT_T0_T1_T2_jjjjRNS5_12storage_typeE
                                        ; -- End function
	.section	.AMDGPU.csdata,"",@progbits
; Function info:
; codeLenInByte = 17544
; NumSgprs: 50
; NumVgprs: 87
; NumAgprs: 0
; TotalNumVgprs: 87
; ScratchSize: 8
; MemoryBound: 0
	.section	.text._ZN7rocprim17ROCPRIM_400000_NS6detail17trampoline_kernelINS0_14default_configENS1_36segmented_radix_sort_config_selectorIilEEZNS1_25segmented_radix_sort_implIS3_Lb1EPKiPiPKlPlN2at6native12_GLOBAL__N_18offset_tEEE10hipError_tPvRmT1_PNSt15iterator_traitsISK_E10value_typeET2_T3_PNSL_ISQ_E10value_typeET4_jRbjT5_SW_jjP12ihipStream_tbEUlT_E0_NS1_11comp_targetILNS1_3genE4ELNS1_11target_archE910ELNS1_3gpuE8ELNS1_3repE0EEENS1_60segmented_radix_sort_warp_sort_medium_config_static_selectorELNS0_4arch9wavefront6targetE1EEEvSK_,"axG",@progbits,_ZN7rocprim17ROCPRIM_400000_NS6detail17trampoline_kernelINS0_14default_configENS1_36segmented_radix_sort_config_selectorIilEEZNS1_25segmented_radix_sort_implIS3_Lb1EPKiPiPKlPlN2at6native12_GLOBAL__N_18offset_tEEE10hipError_tPvRmT1_PNSt15iterator_traitsISK_E10value_typeET2_T3_PNSL_ISQ_E10value_typeET4_jRbjT5_SW_jjP12ihipStream_tbEUlT_E0_NS1_11comp_targetILNS1_3genE4ELNS1_11target_archE910ELNS1_3gpuE8ELNS1_3repE0EEENS1_60segmented_radix_sort_warp_sort_medium_config_static_selectorELNS0_4arch9wavefront6targetE1EEEvSK_,comdat
	.globl	_ZN7rocprim17ROCPRIM_400000_NS6detail17trampoline_kernelINS0_14default_configENS1_36segmented_radix_sort_config_selectorIilEEZNS1_25segmented_radix_sort_implIS3_Lb1EPKiPiPKlPlN2at6native12_GLOBAL__N_18offset_tEEE10hipError_tPvRmT1_PNSt15iterator_traitsISK_E10value_typeET2_T3_PNSL_ISQ_E10value_typeET4_jRbjT5_SW_jjP12ihipStream_tbEUlT_E0_NS1_11comp_targetILNS1_3genE4ELNS1_11target_archE910ELNS1_3gpuE8ELNS1_3repE0EEENS1_60segmented_radix_sort_warp_sort_medium_config_static_selectorELNS0_4arch9wavefront6targetE1EEEvSK_ ; -- Begin function _ZN7rocprim17ROCPRIM_400000_NS6detail17trampoline_kernelINS0_14default_configENS1_36segmented_radix_sort_config_selectorIilEEZNS1_25segmented_radix_sort_implIS3_Lb1EPKiPiPKlPlN2at6native12_GLOBAL__N_18offset_tEEE10hipError_tPvRmT1_PNSt15iterator_traitsISK_E10value_typeET2_T3_PNSL_ISQ_E10value_typeET4_jRbjT5_SW_jjP12ihipStream_tbEUlT_E0_NS1_11comp_targetILNS1_3genE4ELNS1_11target_archE910ELNS1_3gpuE8ELNS1_3repE0EEENS1_60segmented_radix_sort_warp_sort_medium_config_static_selectorELNS0_4arch9wavefront6targetE1EEEvSK_
	.p2align	8
	.type	_ZN7rocprim17ROCPRIM_400000_NS6detail17trampoline_kernelINS0_14default_configENS1_36segmented_radix_sort_config_selectorIilEEZNS1_25segmented_radix_sort_implIS3_Lb1EPKiPiPKlPlN2at6native12_GLOBAL__N_18offset_tEEE10hipError_tPvRmT1_PNSt15iterator_traitsISK_E10value_typeET2_T3_PNSL_ISQ_E10value_typeET4_jRbjT5_SW_jjP12ihipStream_tbEUlT_E0_NS1_11comp_targetILNS1_3genE4ELNS1_11target_archE910ELNS1_3gpuE8ELNS1_3repE0EEENS1_60segmented_radix_sort_warp_sort_medium_config_static_selectorELNS0_4arch9wavefront6targetE1EEEvSK_,@function
_ZN7rocprim17ROCPRIM_400000_NS6detail17trampoline_kernelINS0_14default_configENS1_36segmented_radix_sort_config_selectorIilEEZNS1_25segmented_radix_sort_implIS3_Lb1EPKiPiPKlPlN2at6native12_GLOBAL__N_18offset_tEEE10hipError_tPvRmT1_PNSt15iterator_traitsISK_E10value_typeET2_T3_PNSL_ISQ_E10value_typeET4_jRbjT5_SW_jjP12ihipStream_tbEUlT_E0_NS1_11comp_targetILNS1_3genE4ELNS1_11target_archE910ELNS1_3gpuE8ELNS1_3repE0EEENS1_60segmented_radix_sort_warp_sort_medium_config_static_selectorELNS0_4arch9wavefront6targetE1EEEvSK_: ; @_ZN7rocprim17ROCPRIM_400000_NS6detail17trampoline_kernelINS0_14default_configENS1_36segmented_radix_sort_config_selectorIilEEZNS1_25segmented_radix_sort_implIS3_Lb1EPKiPiPKlPlN2at6native12_GLOBAL__N_18offset_tEEE10hipError_tPvRmT1_PNSt15iterator_traitsISK_E10value_typeET2_T3_PNSL_ISQ_E10value_typeET4_jRbjT5_SW_jjP12ihipStream_tbEUlT_E0_NS1_11comp_targetILNS1_3genE4ELNS1_11target_archE910ELNS1_3gpuE8ELNS1_3repE0EEENS1_60segmented_radix_sort_warp_sort_medium_config_static_selectorELNS0_4arch9wavefront6targetE1EEEvSK_
; %bb.0:
	s_add_u32 flat_scratch_lo, s6, s10
	s_addc_u32 flat_scratch_hi, s7, 0
	s_add_u32 s0, s0, s10
	s_load_dword s6, s[4:5], 0x64
	s_load_dword s10, s[4:5], 0x34
	s_addc_u32 s1, s1, 0
	v_bfe_u32 v1, v0, 10, 10
	v_bfe_u32 v2, v0, 20, 10
	s_waitcnt lgkmcnt(0)
	s_lshr_b32 s7, s6, 16
	s_and_b32 s6, s6, 0xffff
	v_mad_u32_u24 v1, v2, s7, v1
	v_and_b32_e32 v2, 0x3ff, v0
	v_mad_u64_u32 v[2:3], s[6:7], v1, s6, v[2:3]
	v_lshrrev_b32_e32 v1, 4, v2
	v_lshl_add_u32 v2, s8, 4, v1
	v_cmp_gt_u32_e32 vcc, s10, v2
	s_mov_b32 s32, 0
	s_and_saveexec_b64 s[6:7], vcc
	s_cbranch_execz .LBB510_6
; %bb.1:
	s_load_dwordx2 s[6:7], s[4:5], 0x38
	s_load_dwordx4 s[12:15], s[4:5], 0x40
	v_mov_b32_e32 v3, 0
	v_lshlrev_b64 v[2:3], 2, v[2:3]
	s_waitcnt lgkmcnt(0)
	v_mov_b32_e32 v1, s7
	v_add_co_u32_e32 v2, vcc, s6, v2
	v_addc_co_u32_e32 v3, vcc, v1, v3, vcc
	global_load_dword v1, v[2:3], off
	s_waitcnt vmcnt(0)
	v_add_u32_e32 v2, s13, v1
	v_add_u32_e32 v1, s15, v1
	v_mul_lo_u32 v41, v2, s12
	v_mul_lo_u32 v42, v1, s14
	v_cmp_gt_u32_e32 vcc, v42, v41
	s_and_b64 exec, exec, vcc
	s_cbranch_execz .LBB510_6
; %bb.2:
	s_load_dwordx4 s[56:59], s[4:5], 0x20
	s_load_dword s6, s[4:5], 0x30
	s_load_dwordx8 s[48:55], s[4:5], 0x0
	s_load_dwordx2 s[60:61], s[4:5], 0x50
	s_mov_b32 s46, s8
	s_mov_b32 s33, s9
	s_waitcnt lgkmcnt(0)
	s_bitcmp0_b32 s6, 0
	s_mov_b64 s[6:7], -1
	s_cbranch_scc0 .LBB510_4
; %bb.3:
	s_add_u32 s8, s4, 0x58
	s_addc_u32 s9, s5, 0
	s_mov_b32 s12, s46
	s_mov_b32 s13, s33
	v_mov_b32_e32 v31, v0
	v_mov_b32_e32 v43, v0
	;; [unrolled: 1-line block ×14, first 2 shown]
	s_getpc_b64 s[6:7]
	s_add_u32 s6, s6, _ZN7rocprim17ROCPRIM_400000_NS6detail26segmented_warp_sort_helperINS1_20WarpSortHelperConfigILj16ELj8ELj256EEEilLi256ELb1EvE4sortIPKiPiPKlPlEEvT_T0_T1_T2_jjjjRNS5_12storage_typeE@rel32@lo+4
	s_addc_u32 s7, s7, _ZN7rocprim17ROCPRIM_400000_NS6detail26segmented_warp_sort_helperINS1_20WarpSortHelperConfigILj16ELj8ELj256EEEilLi256ELb1EvE4sortIPKiPiPKlPlEEvT_T0_T1_T2_jjjjRNS5_12storage_typeE@rel32@hi+12
	s_mov_b64 s[50:51], s[4:5]
	s_swappc_b64 s[30:31], s[6:7]
	v_mov_b32_e32 v0, v43
	s_mov_b64 s[4:5], s[50:51]
	s_mov_b64 s[6:7], 0
.LBB510_4:
	s_andn2_b64 vcc, exec, s[6:7]
	s_cbranch_vccnz .LBB510_6
; %bb.5:
	s_add_u32 s8, s4, 0x58
	s_addc_u32 s9, s5, 0
	s_mov_b32 s12, s46
	s_mov_b32 s13, s33
	v_mov_b32_e32 v31, v0
	v_mov_b32_e32 v0, s48
	;; [unrolled: 1-line block ×13, first 2 shown]
	s_getpc_b64 s[4:5]
	s_add_u32 s4, s4, _ZN7rocprim17ROCPRIM_400000_NS6detail26segmented_warp_sort_helperINS1_20WarpSortHelperConfigILj16ELj8ELj256EEEilLi256ELb1EvE4sortIPKiPiPKlPlEEvT_T0_T1_T2_jjjjRNS5_12storage_typeE@rel32@lo+4
	s_addc_u32 s5, s5, _ZN7rocprim17ROCPRIM_400000_NS6detail26segmented_warp_sort_helperINS1_20WarpSortHelperConfigILj16ELj8ELj256EEEilLi256ELb1EvE4sortIPKiPiPKlPlEEvT_T0_T1_T2_jjjjRNS5_12storage_typeE@rel32@hi+12
	s_swappc_b64 s[30:31], s[4:5]
.LBB510_6:
	s_endpgm
	.section	.rodata,"a",@progbits
	.p2align	6, 0x0
	.amdhsa_kernel _ZN7rocprim17ROCPRIM_400000_NS6detail17trampoline_kernelINS0_14default_configENS1_36segmented_radix_sort_config_selectorIilEEZNS1_25segmented_radix_sort_implIS3_Lb1EPKiPiPKlPlN2at6native12_GLOBAL__N_18offset_tEEE10hipError_tPvRmT1_PNSt15iterator_traitsISK_E10value_typeET2_T3_PNSL_ISQ_E10value_typeET4_jRbjT5_SW_jjP12ihipStream_tbEUlT_E0_NS1_11comp_targetILNS1_3genE4ELNS1_11target_archE910ELNS1_3gpuE8ELNS1_3repE0EEENS1_60segmented_radix_sort_warp_sort_medium_config_static_selectorELNS0_4arch9wavefront6targetE1EEEvSK_
		.amdhsa_group_segment_fixed_size 24576
		.amdhsa_private_segment_fixed_size 8
		.amdhsa_kernarg_size 344
		.amdhsa_user_sgpr_count 8
		.amdhsa_user_sgpr_private_segment_buffer 1
		.amdhsa_user_sgpr_dispatch_ptr 0
		.amdhsa_user_sgpr_queue_ptr 0
		.amdhsa_user_sgpr_kernarg_segment_ptr 1
		.amdhsa_user_sgpr_dispatch_id 0
		.amdhsa_user_sgpr_flat_scratch_init 1
		.amdhsa_user_sgpr_kernarg_preload_length 0
		.amdhsa_user_sgpr_kernarg_preload_offset 0
		.amdhsa_user_sgpr_private_segment_size 0
		.amdhsa_uses_dynamic_stack 0
		.amdhsa_system_sgpr_private_segment_wavefront_offset 1
		.amdhsa_system_sgpr_workgroup_id_x 1
		.amdhsa_system_sgpr_workgroup_id_y 1
		.amdhsa_system_sgpr_workgroup_id_z 0
		.amdhsa_system_sgpr_workgroup_info 0
		.amdhsa_system_vgpr_workitem_id 2
		.amdhsa_next_free_vgpr 87
		.amdhsa_next_free_sgpr 62
		.amdhsa_accum_offset 88
		.amdhsa_reserve_vcc 1
		.amdhsa_reserve_flat_scratch 1
		.amdhsa_float_round_mode_32 0
		.amdhsa_float_round_mode_16_64 0
		.amdhsa_float_denorm_mode_32 3
		.amdhsa_float_denorm_mode_16_64 3
		.amdhsa_dx10_clamp 1
		.amdhsa_ieee_mode 1
		.amdhsa_fp16_overflow 0
		.amdhsa_tg_split 0
		.amdhsa_exception_fp_ieee_invalid_op 0
		.amdhsa_exception_fp_denorm_src 0
		.amdhsa_exception_fp_ieee_div_zero 0
		.amdhsa_exception_fp_ieee_overflow 0
		.amdhsa_exception_fp_ieee_underflow 0
		.amdhsa_exception_fp_ieee_inexact 0
		.amdhsa_exception_int_div_zero 0
	.end_amdhsa_kernel
	.section	.text._ZN7rocprim17ROCPRIM_400000_NS6detail17trampoline_kernelINS0_14default_configENS1_36segmented_radix_sort_config_selectorIilEEZNS1_25segmented_radix_sort_implIS3_Lb1EPKiPiPKlPlN2at6native12_GLOBAL__N_18offset_tEEE10hipError_tPvRmT1_PNSt15iterator_traitsISK_E10value_typeET2_T3_PNSL_ISQ_E10value_typeET4_jRbjT5_SW_jjP12ihipStream_tbEUlT_E0_NS1_11comp_targetILNS1_3genE4ELNS1_11target_archE910ELNS1_3gpuE8ELNS1_3repE0EEENS1_60segmented_radix_sort_warp_sort_medium_config_static_selectorELNS0_4arch9wavefront6targetE1EEEvSK_,"axG",@progbits,_ZN7rocprim17ROCPRIM_400000_NS6detail17trampoline_kernelINS0_14default_configENS1_36segmented_radix_sort_config_selectorIilEEZNS1_25segmented_radix_sort_implIS3_Lb1EPKiPiPKlPlN2at6native12_GLOBAL__N_18offset_tEEE10hipError_tPvRmT1_PNSt15iterator_traitsISK_E10value_typeET2_T3_PNSL_ISQ_E10value_typeET4_jRbjT5_SW_jjP12ihipStream_tbEUlT_E0_NS1_11comp_targetILNS1_3genE4ELNS1_11target_archE910ELNS1_3gpuE8ELNS1_3repE0EEENS1_60segmented_radix_sort_warp_sort_medium_config_static_selectorELNS0_4arch9wavefront6targetE1EEEvSK_,comdat
.Lfunc_end510:
	.size	_ZN7rocprim17ROCPRIM_400000_NS6detail17trampoline_kernelINS0_14default_configENS1_36segmented_radix_sort_config_selectorIilEEZNS1_25segmented_radix_sort_implIS3_Lb1EPKiPiPKlPlN2at6native12_GLOBAL__N_18offset_tEEE10hipError_tPvRmT1_PNSt15iterator_traitsISK_E10value_typeET2_T3_PNSL_ISQ_E10value_typeET4_jRbjT5_SW_jjP12ihipStream_tbEUlT_E0_NS1_11comp_targetILNS1_3genE4ELNS1_11target_archE910ELNS1_3gpuE8ELNS1_3repE0EEENS1_60segmented_radix_sort_warp_sort_medium_config_static_selectorELNS0_4arch9wavefront6targetE1EEEvSK_, .Lfunc_end510-_ZN7rocprim17ROCPRIM_400000_NS6detail17trampoline_kernelINS0_14default_configENS1_36segmented_radix_sort_config_selectorIilEEZNS1_25segmented_radix_sort_implIS3_Lb1EPKiPiPKlPlN2at6native12_GLOBAL__N_18offset_tEEE10hipError_tPvRmT1_PNSt15iterator_traitsISK_E10value_typeET2_T3_PNSL_ISQ_E10value_typeET4_jRbjT5_SW_jjP12ihipStream_tbEUlT_E0_NS1_11comp_targetILNS1_3genE4ELNS1_11target_archE910ELNS1_3gpuE8ELNS1_3repE0EEENS1_60segmented_radix_sort_warp_sort_medium_config_static_selectorELNS0_4arch9wavefront6targetE1EEEvSK_
                                        ; -- End function
	.section	.AMDGPU.csdata,"",@progbits
; Kernel info:
; codeLenInByte = 488
; NumSgprs: 68
; NumVgprs: 87
; NumAgprs: 0
; TotalNumVgprs: 87
; ScratchSize: 8
; MemoryBound: 0
; FloatMode: 240
; IeeeMode: 1
; LDSByteSize: 24576 bytes/workgroup (compile time only)
; SGPRBlocks: 8
; VGPRBlocks: 10
; NumSGPRsForWavesPerEU: 68
; NumVGPRsForWavesPerEU: 87
; AccumOffset: 88
; Occupancy: 2
; WaveLimiterHint : 0
; COMPUTE_PGM_RSRC2:SCRATCH_EN: 1
; COMPUTE_PGM_RSRC2:USER_SGPR: 8
; COMPUTE_PGM_RSRC2:TRAP_HANDLER: 0
; COMPUTE_PGM_RSRC2:TGID_X_EN: 1
; COMPUTE_PGM_RSRC2:TGID_Y_EN: 1
; COMPUTE_PGM_RSRC2:TGID_Z_EN: 0
; COMPUTE_PGM_RSRC2:TIDIG_COMP_CNT: 2
; COMPUTE_PGM_RSRC3_GFX90A:ACCUM_OFFSET: 21
; COMPUTE_PGM_RSRC3_GFX90A:TG_SPLIT: 0
	.section	.text._ZN7rocprim17ROCPRIM_400000_NS6detail17trampoline_kernelINS0_14default_configENS1_36segmented_radix_sort_config_selectorIilEEZNS1_25segmented_radix_sort_implIS3_Lb1EPKiPiPKlPlN2at6native12_GLOBAL__N_18offset_tEEE10hipError_tPvRmT1_PNSt15iterator_traitsISK_E10value_typeET2_T3_PNSL_ISQ_E10value_typeET4_jRbjT5_SW_jjP12ihipStream_tbEUlT_E0_NS1_11comp_targetILNS1_3genE3ELNS1_11target_archE908ELNS1_3gpuE7ELNS1_3repE0EEENS1_60segmented_radix_sort_warp_sort_medium_config_static_selectorELNS0_4arch9wavefront6targetE1EEEvSK_,"axG",@progbits,_ZN7rocprim17ROCPRIM_400000_NS6detail17trampoline_kernelINS0_14default_configENS1_36segmented_radix_sort_config_selectorIilEEZNS1_25segmented_radix_sort_implIS3_Lb1EPKiPiPKlPlN2at6native12_GLOBAL__N_18offset_tEEE10hipError_tPvRmT1_PNSt15iterator_traitsISK_E10value_typeET2_T3_PNSL_ISQ_E10value_typeET4_jRbjT5_SW_jjP12ihipStream_tbEUlT_E0_NS1_11comp_targetILNS1_3genE3ELNS1_11target_archE908ELNS1_3gpuE7ELNS1_3repE0EEENS1_60segmented_radix_sort_warp_sort_medium_config_static_selectorELNS0_4arch9wavefront6targetE1EEEvSK_,comdat
	.globl	_ZN7rocprim17ROCPRIM_400000_NS6detail17trampoline_kernelINS0_14default_configENS1_36segmented_radix_sort_config_selectorIilEEZNS1_25segmented_radix_sort_implIS3_Lb1EPKiPiPKlPlN2at6native12_GLOBAL__N_18offset_tEEE10hipError_tPvRmT1_PNSt15iterator_traitsISK_E10value_typeET2_T3_PNSL_ISQ_E10value_typeET4_jRbjT5_SW_jjP12ihipStream_tbEUlT_E0_NS1_11comp_targetILNS1_3genE3ELNS1_11target_archE908ELNS1_3gpuE7ELNS1_3repE0EEENS1_60segmented_radix_sort_warp_sort_medium_config_static_selectorELNS0_4arch9wavefront6targetE1EEEvSK_ ; -- Begin function _ZN7rocprim17ROCPRIM_400000_NS6detail17trampoline_kernelINS0_14default_configENS1_36segmented_radix_sort_config_selectorIilEEZNS1_25segmented_radix_sort_implIS3_Lb1EPKiPiPKlPlN2at6native12_GLOBAL__N_18offset_tEEE10hipError_tPvRmT1_PNSt15iterator_traitsISK_E10value_typeET2_T3_PNSL_ISQ_E10value_typeET4_jRbjT5_SW_jjP12ihipStream_tbEUlT_E0_NS1_11comp_targetILNS1_3genE3ELNS1_11target_archE908ELNS1_3gpuE7ELNS1_3repE0EEENS1_60segmented_radix_sort_warp_sort_medium_config_static_selectorELNS0_4arch9wavefront6targetE1EEEvSK_
	.p2align	8
	.type	_ZN7rocprim17ROCPRIM_400000_NS6detail17trampoline_kernelINS0_14default_configENS1_36segmented_radix_sort_config_selectorIilEEZNS1_25segmented_radix_sort_implIS3_Lb1EPKiPiPKlPlN2at6native12_GLOBAL__N_18offset_tEEE10hipError_tPvRmT1_PNSt15iterator_traitsISK_E10value_typeET2_T3_PNSL_ISQ_E10value_typeET4_jRbjT5_SW_jjP12ihipStream_tbEUlT_E0_NS1_11comp_targetILNS1_3genE3ELNS1_11target_archE908ELNS1_3gpuE7ELNS1_3repE0EEENS1_60segmented_radix_sort_warp_sort_medium_config_static_selectorELNS0_4arch9wavefront6targetE1EEEvSK_,@function
_ZN7rocprim17ROCPRIM_400000_NS6detail17trampoline_kernelINS0_14default_configENS1_36segmented_radix_sort_config_selectorIilEEZNS1_25segmented_radix_sort_implIS3_Lb1EPKiPiPKlPlN2at6native12_GLOBAL__N_18offset_tEEE10hipError_tPvRmT1_PNSt15iterator_traitsISK_E10value_typeET2_T3_PNSL_ISQ_E10value_typeET4_jRbjT5_SW_jjP12ihipStream_tbEUlT_E0_NS1_11comp_targetILNS1_3genE3ELNS1_11target_archE908ELNS1_3gpuE7ELNS1_3repE0EEENS1_60segmented_radix_sort_warp_sort_medium_config_static_selectorELNS0_4arch9wavefront6targetE1EEEvSK_: ; @_ZN7rocprim17ROCPRIM_400000_NS6detail17trampoline_kernelINS0_14default_configENS1_36segmented_radix_sort_config_selectorIilEEZNS1_25segmented_radix_sort_implIS3_Lb1EPKiPiPKlPlN2at6native12_GLOBAL__N_18offset_tEEE10hipError_tPvRmT1_PNSt15iterator_traitsISK_E10value_typeET2_T3_PNSL_ISQ_E10value_typeET4_jRbjT5_SW_jjP12ihipStream_tbEUlT_E0_NS1_11comp_targetILNS1_3genE3ELNS1_11target_archE908ELNS1_3gpuE7ELNS1_3repE0EEENS1_60segmented_radix_sort_warp_sort_medium_config_static_selectorELNS0_4arch9wavefront6targetE1EEEvSK_
; %bb.0:
	.section	.rodata,"a",@progbits
	.p2align	6, 0x0
	.amdhsa_kernel _ZN7rocprim17ROCPRIM_400000_NS6detail17trampoline_kernelINS0_14default_configENS1_36segmented_radix_sort_config_selectorIilEEZNS1_25segmented_radix_sort_implIS3_Lb1EPKiPiPKlPlN2at6native12_GLOBAL__N_18offset_tEEE10hipError_tPvRmT1_PNSt15iterator_traitsISK_E10value_typeET2_T3_PNSL_ISQ_E10value_typeET4_jRbjT5_SW_jjP12ihipStream_tbEUlT_E0_NS1_11comp_targetILNS1_3genE3ELNS1_11target_archE908ELNS1_3gpuE7ELNS1_3repE0EEENS1_60segmented_radix_sort_warp_sort_medium_config_static_selectorELNS0_4arch9wavefront6targetE1EEEvSK_
		.amdhsa_group_segment_fixed_size 0
		.amdhsa_private_segment_fixed_size 0
		.amdhsa_kernarg_size 88
		.amdhsa_user_sgpr_count 6
		.amdhsa_user_sgpr_private_segment_buffer 1
		.amdhsa_user_sgpr_dispatch_ptr 0
		.amdhsa_user_sgpr_queue_ptr 0
		.amdhsa_user_sgpr_kernarg_segment_ptr 1
		.amdhsa_user_sgpr_dispatch_id 0
		.amdhsa_user_sgpr_flat_scratch_init 0
		.amdhsa_user_sgpr_kernarg_preload_length 0
		.amdhsa_user_sgpr_kernarg_preload_offset 0
		.amdhsa_user_sgpr_private_segment_size 0
		.amdhsa_uses_dynamic_stack 0
		.amdhsa_system_sgpr_private_segment_wavefront_offset 0
		.amdhsa_system_sgpr_workgroup_id_x 1
		.amdhsa_system_sgpr_workgroup_id_y 0
		.amdhsa_system_sgpr_workgroup_id_z 0
		.amdhsa_system_sgpr_workgroup_info 0
		.amdhsa_system_vgpr_workitem_id 0
		.amdhsa_next_free_vgpr 1
		.amdhsa_next_free_sgpr 0
		.amdhsa_accum_offset 4
		.amdhsa_reserve_vcc 0
		.amdhsa_reserve_flat_scratch 0
		.amdhsa_float_round_mode_32 0
		.amdhsa_float_round_mode_16_64 0
		.amdhsa_float_denorm_mode_32 3
		.amdhsa_float_denorm_mode_16_64 3
		.amdhsa_dx10_clamp 1
		.amdhsa_ieee_mode 1
		.amdhsa_fp16_overflow 0
		.amdhsa_tg_split 0
		.amdhsa_exception_fp_ieee_invalid_op 0
		.amdhsa_exception_fp_denorm_src 0
		.amdhsa_exception_fp_ieee_div_zero 0
		.amdhsa_exception_fp_ieee_overflow 0
		.amdhsa_exception_fp_ieee_underflow 0
		.amdhsa_exception_fp_ieee_inexact 0
		.amdhsa_exception_int_div_zero 0
	.end_amdhsa_kernel
	.section	.text._ZN7rocprim17ROCPRIM_400000_NS6detail17trampoline_kernelINS0_14default_configENS1_36segmented_radix_sort_config_selectorIilEEZNS1_25segmented_radix_sort_implIS3_Lb1EPKiPiPKlPlN2at6native12_GLOBAL__N_18offset_tEEE10hipError_tPvRmT1_PNSt15iterator_traitsISK_E10value_typeET2_T3_PNSL_ISQ_E10value_typeET4_jRbjT5_SW_jjP12ihipStream_tbEUlT_E0_NS1_11comp_targetILNS1_3genE3ELNS1_11target_archE908ELNS1_3gpuE7ELNS1_3repE0EEENS1_60segmented_radix_sort_warp_sort_medium_config_static_selectorELNS0_4arch9wavefront6targetE1EEEvSK_,"axG",@progbits,_ZN7rocprim17ROCPRIM_400000_NS6detail17trampoline_kernelINS0_14default_configENS1_36segmented_radix_sort_config_selectorIilEEZNS1_25segmented_radix_sort_implIS3_Lb1EPKiPiPKlPlN2at6native12_GLOBAL__N_18offset_tEEE10hipError_tPvRmT1_PNSt15iterator_traitsISK_E10value_typeET2_T3_PNSL_ISQ_E10value_typeET4_jRbjT5_SW_jjP12ihipStream_tbEUlT_E0_NS1_11comp_targetILNS1_3genE3ELNS1_11target_archE908ELNS1_3gpuE7ELNS1_3repE0EEENS1_60segmented_radix_sort_warp_sort_medium_config_static_selectorELNS0_4arch9wavefront6targetE1EEEvSK_,comdat
.Lfunc_end511:
	.size	_ZN7rocprim17ROCPRIM_400000_NS6detail17trampoline_kernelINS0_14default_configENS1_36segmented_radix_sort_config_selectorIilEEZNS1_25segmented_radix_sort_implIS3_Lb1EPKiPiPKlPlN2at6native12_GLOBAL__N_18offset_tEEE10hipError_tPvRmT1_PNSt15iterator_traitsISK_E10value_typeET2_T3_PNSL_ISQ_E10value_typeET4_jRbjT5_SW_jjP12ihipStream_tbEUlT_E0_NS1_11comp_targetILNS1_3genE3ELNS1_11target_archE908ELNS1_3gpuE7ELNS1_3repE0EEENS1_60segmented_radix_sort_warp_sort_medium_config_static_selectorELNS0_4arch9wavefront6targetE1EEEvSK_, .Lfunc_end511-_ZN7rocprim17ROCPRIM_400000_NS6detail17trampoline_kernelINS0_14default_configENS1_36segmented_radix_sort_config_selectorIilEEZNS1_25segmented_radix_sort_implIS3_Lb1EPKiPiPKlPlN2at6native12_GLOBAL__N_18offset_tEEE10hipError_tPvRmT1_PNSt15iterator_traitsISK_E10value_typeET2_T3_PNSL_ISQ_E10value_typeET4_jRbjT5_SW_jjP12ihipStream_tbEUlT_E0_NS1_11comp_targetILNS1_3genE3ELNS1_11target_archE908ELNS1_3gpuE7ELNS1_3repE0EEENS1_60segmented_radix_sort_warp_sort_medium_config_static_selectorELNS0_4arch9wavefront6targetE1EEEvSK_
                                        ; -- End function
	.section	.AMDGPU.csdata,"",@progbits
; Kernel info:
; codeLenInByte = 0
; NumSgprs: 4
; NumVgprs: 0
; NumAgprs: 0
; TotalNumVgprs: 0
; ScratchSize: 0
; MemoryBound: 0
; FloatMode: 240
; IeeeMode: 1
; LDSByteSize: 0 bytes/workgroup (compile time only)
; SGPRBlocks: 0
; VGPRBlocks: 0
; NumSGPRsForWavesPerEU: 4
; NumVGPRsForWavesPerEU: 1
; AccumOffset: 4
; Occupancy: 8
; WaveLimiterHint : 0
; COMPUTE_PGM_RSRC2:SCRATCH_EN: 0
; COMPUTE_PGM_RSRC2:USER_SGPR: 6
; COMPUTE_PGM_RSRC2:TRAP_HANDLER: 0
; COMPUTE_PGM_RSRC2:TGID_X_EN: 1
; COMPUTE_PGM_RSRC2:TGID_Y_EN: 0
; COMPUTE_PGM_RSRC2:TGID_Z_EN: 0
; COMPUTE_PGM_RSRC2:TIDIG_COMP_CNT: 0
; COMPUTE_PGM_RSRC3_GFX90A:ACCUM_OFFSET: 0
; COMPUTE_PGM_RSRC3_GFX90A:TG_SPLIT: 0
	.section	.text._ZN7rocprim17ROCPRIM_400000_NS6detail17trampoline_kernelINS0_14default_configENS1_36segmented_radix_sort_config_selectorIilEEZNS1_25segmented_radix_sort_implIS3_Lb1EPKiPiPKlPlN2at6native12_GLOBAL__N_18offset_tEEE10hipError_tPvRmT1_PNSt15iterator_traitsISK_E10value_typeET2_T3_PNSL_ISQ_E10value_typeET4_jRbjT5_SW_jjP12ihipStream_tbEUlT_E0_NS1_11comp_targetILNS1_3genE2ELNS1_11target_archE906ELNS1_3gpuE6ELNS1_3repE0EEENS1_60segmented_radix_sort_warp_sort_medium_config_static_selectorELNS0_4arch9wavefront6targetE1EEEvSK_,"axG",@progbits,_ZN7rocprim17ROCPRIM_400000_NS6detail17trampoline_kernelINS0_14default_configENS1_36segmented_radix_sort_config_selectorIilEEZNS1_25segmented_radix_sort_implIS3_Lb1EPKiPiPKlPlN2at6native12_GLOBAL__N_18offset_tEEE10hipError_tPvRmT1_PNSt15iterator_traitsISK_E10value_typeET2_T3_PNSL_ISQ_E10value_typeET4_jRbjT5_SW_jjP12ihipStream_tbEUlT_E0_NS1_11comp_targetILNS1_3genE2ELNS1_11target_archE906ELNS1_3gpuE6ELNS1_3repE0EEENS1_60segmented_radix_sort_warp_sort_medium_config_static_selectorELNS0_4arch9wavefront6targetE1EEEvSK_,comdat
	.globl	_ZN7rocprim17ROCPRIM_400000_NS6detail17trampoline_kernelINS0_14default_configENS1_36segmented_radix_sort_config_selectorIilEEZNS1_25segmented_radix_sort_implIS3_Lb1EPKiPiPKlPlN2at6native12_GLOBAL__N_18offset_tEEE10hipError_tPvRmT1_PNSt15iterator_traitsISK_E10value_typeET2_T3_PNSL_ISQ_E10value_typeET4_jRbjT5_SW_jjP12ihipStream_tbEUlT_E0_NS1_11comp_targetILNS1_3genE2ELNS1_11target_archE906ELNS1_3gpuE6ELNS1_3repE0EEENS1_60segmented_radix_sort_warp_sort_medium_config_static_selectorELNS0_4arch9wavefront6targetE1EEEvSK_ ; -- Begin function _ZN7rocprim17ROCPRIM_400000_NS6detail17trampoline_kernelINS0_14default_configENS1_36segmented_radix_sort_config_selectorIilEEZNS1_25segmented_radix_sort_implIS3_Lb1EPKiPiPKlPlN2at6native12_GLOBAL__N_18offset_tEEE10hipError_tPvRmT1_PNSt15iterator_traitsISK_E10value_typeET2_T3_PNSL_ISQ_E10value_typeET4_jRbjT5_SW_jjP12ihipStream_tbEUlT_E0_NS1_11comp_targetILNS1_3genE2ELNS1_11target_archE906ELNS1_3gpuE6ELNS1_3repE0EEENS1_60segmented_radix_sort_warp_sort_medium_config_static_selectorELNS0_4arch9wavefront6targetE1EEEvSK_
	.p2align	8
	.type	_ZN7rocprim17ROCPRIM_400000_NS6detail17trampoline_kernelINS0_14default_configENS1_36segmented_radix_sort_config_selectorIilEEZNS1_25segmented_radix_sort_implIS3_Lb1EPKiPiPKlPlN2at6native12_GLOBAL__N_18offset_tEEE10hipError_tPvRmT1_PNSt15iterator_traitsISK_E10value_typeET2_T3_PNSL_ISQ_E10value_typeET4_jRbjT5_SW_jjP12ihipStream_tbEUlT_E0_NS1_11comp_targetILNS1_3genE2ELNS1_11target_archE906ELNS1_3gpuE6ELNS1_3repE0EEENS1_60segmented_radix_sort_warp_sort_medium_config_static_selectorELNS0_4arch9wavefront6targetE1EEEvSK_,@function
_ZN7rocprim17ROCPRIM_400000_NS6detail17trampoline_kernelINS0_14default_configENS1_36segmented_radix_sort_config_selectorIilEEZNS1_25segmented_radix_sort_implIS3_Lb1EPKiPiPKlPlN2at6native12_GLOBAL__N_18offset_tEEE10hipError_tPvRmT1_PNSt15iterator_traitsISK_E10value_typeET2_T3_PNSL_ISQ_E10value_typeET4_jRbjT5_SW_jjP12ihipStream_tbEUlT_E0_NS1_11comp_targetILNS1_3genE2ELNS1_11target_archE906ELNS1_3gpuE6ELNS1_3repE0EEENS1_60segmented_radix_sort_warp_sort_medium_config_static_selectorELNS0_4arch9wavefront6targetE1EEEvSK_: ; @_ZN7rocprim17ROCPRIM_400000_NS6detail17trampoline_kernelINS0_14default_configENS1_36segmented_radix_sort_config_selectorIilEEZNS1_25segmented_radix_sort_implIS3_Lb1EPKiPiPKlPlN2at6native12_GLOBAL__N_18offset_tEEE10hipError_tPvRmT1_PNSt15iterator_traitsISK_E10value_typeET2_T3_PNSL_ISQ_E10value_typeET4_jRbjT5_SW_jjP12ihipStream_tbEUlT_E0_NS1_11comp_targetILNS1_3genE2ELNS1_11target_archE906ELNS1_3gpuE6ELNS1_3repE0EEENS1_60segmented_radix_sort_warp_sort_medium_config_static_selectorELNS0_4arch9wavefront6targetE1EEEvSK_
; %bb.0:
	.section	.rodata,"a",@progbits
	.p2align	6, 0x0
	.amdhsa_kernel _ZN7rocprim17ROCPRIM_400000_NS6detail17trampoline_kernelINS0_14default_configENS1_36segmented_radix_sort_config_selectorIilEEZNS1_25segmented_radix_sort_implIS3_Lb1EPKiPiPKlPlN2at6native12_GLOBAL__N_18offset_tEEE10hipError_tPvRmT1_PNSt15iterator_traitsISK_E10value_typeET2_T3_PNSL_ISQ_E10value_typeET4_jRbjT5_SW_jjP12ihipStream_tbEUlT_E0_NS1_11comp_targetILNS1_3genE2ELNS1_11target_archE906ELNS1_3gpuE6ELNS1_3repE0EEENS1_60segmented_radix_sort_warp_sort_medium_config_static_selectorELNS0_4arch9wavefront6targetE1EEEvSK_
		.amdhsa_group_segment_fixed_size 0
		.amdhsa_private_segment_fixed_size 0
		.amdhsa_kernarg_size 88
		.amdhsa_user_sgpr_count 6
		.amdhsa_user_sgpr_private_segment_buffer 1
		.amdhsa_user_sgpr_dispatch_ptr 0
		.amdhsa_user_sgpr_queue_ptr 0
		.amdhsa_user_sgpr_kernarg_segment_ptr 1
		.amdhsa_user_sgpr_dispatch_id 0
		.amdhsa_user_sgpr_flat_scratch_init 0
		.amdhsa_user_sgpr_kernarg_preload_length 0
		.amdhsa_user_sgpr_kernarg_preload_offset 0
		.amdhsa_user_sgpr_private_segment_size 0
		.amdhsa_uses_dynamic_stack 0
		.amdhsa_system_sgpr_private_segment_wavefront_offset 0
		.amdhsa_system_sgpr_workgroup_id_x 1
		.amdhsa_system_sgpr_workgroup_id_y 0
		.amdhsa_system_sgpr_workgroup_id_z 0
		.amdhsa_system_sgpr_workgroup_info 0
		.amdhsa_system_vgpr_workitem_id 0
		.amdhsa_next_free_vgpr 1
		.amdhsa_next_free_sgpr 0
		.amdhsa_accum_offset 4
		.amdhsa_reserve_vcc 0
		.amdhsa_reserve_flat_scratch 0
		.amdhsa_float_round_mode_32 0
		.amdhsa_float_round_mode_16_64 0
		.amdhsa_float_denorm_mode_32 3
		.amdhsa_float_denorm_mode_16_64 3
		.amdhsa_dx10_clamp 1
		.amdhsa_ieee_mode 1
		.amdhsa_fp16_overflow 0
		.amdhsa_tg_split 0
		.amdhsa_exception_fp_ieee_invalid_op 0
		.amdhsa_exception_fp_denorm_src 0
		.amdhsa_exception_fp_ieee_div_zero 0
		.amdhsa_exception_fp_ieee_overflow 0
		.amdhsa_exception_fp_ieee_underflow 0
		.amdhsa_exception_fp_ieee_inexact 0
		.amdhsa_exception_int_div_zero 0
	.end_amdhsa_kernel
	.section	.text._ZN7rocprim17ROCPRIM_400000_NS6detail17trampoline_kernelINS0_14default_configENS1_36segmented_radix_sort_config_selectorIilEEZNS1_25segmented_radix_sort_implIS3_Lb1EPKiPiPKlPlN2at6native12_GLOBAL__N_18offset_tEEE10hipError_tPvRmT1_PNSt15iterator_traitsISK_E10value_typeET2_T3_PNSL_ISQ_E10value_typeET4_jRbjT5_SW_jjP12ihipStream_tbEUlT_E0_NS1_11comp_targetILNS1_3genE2ELNS1_11target_archE906ELNS1_3gpuE6ELNS1_3repE0EEENS1_60segmented_radix_sort_warp_sort_medium_config_static_selectorELNS0_4arch9wavefront6targetE1EEEvSK_,"axG",@progbits,_ZN7rocprim17ROCPRIM_400000_NS6detail17trampoline_kernelINS0_14default_configENS1_36segmented_radix_sort_config_selectorIilEEZNS1_25segmented_radix_sort_implIS3_Lb1EPKiPiPKlPlN2at6native12_GLOBAL__N_18offset_tEEE10hipError_tPvRmT1_PNSt15iterator_traitsISK_E10value_typeET2_T3_PNSL_ISQ_E10value_typeET4_jRbjT5_SW_jjP12ihipStream_tbEUlT_E0_NS1_11comp_targetILNS1_3genE2ELNS1_11target_archE906ELNS1_3gpuE6ELNS1_3repE0EEENS1_60segmented_radix_sort_warp_sort_medium_config_static_selectorELNS0_4arch9wavefront6targetE1EEEvSK_,comdat
.Lfunc_end512:
	.size	_ZN7rocprim17ROCPRIM_400000_NS6detail17trampoline_kernelINS0_14default_configENS1_36segmented_radix_sort_config_selectorIilEEZNS1_25segmented_radix_sort_implIS3_Lb1EPKiPiPKlPlN2at6native12_GLOBAL__N_18offset_tEEE10hipError_tPvRmT1_PNSt15iterator_traitsISK_E10value_typeET2_T3_PNSL_ISQ_E10value_typeET4_jRbjT5_SW_jjP12ihipStream_tbEUlT_E0_NS1_11comp_targetILNS1_3genE2ELNS1_11target_archE906ELNS1_3gpuE6ELNS1_3repE0EEENS1_60segmented_radix_sort_warp_sort_medium_config_static_selectorELNS0_4arch9wavefront6targetE1EEEvSK_, .Lfunc_end512-_ZN7rocprim17ROCPRIM_400000_NS6detail17trampoline_kernelINS0_14default_configENS1_36segmented_radix_sort_config_selectorIilEEZNS1_25segmented_radix_sort_implIS3_Lb1EPKiPiPKlPlN2at6native12_GLOBAL__N_18offset_tEEE10hipError_tPvRmT1_PNSt15iterator_traitsISK_E10value_typeET2_T3_PNSL_ISQ_E10value_typeET4_jRbjT5_SW_jjP12ihipStream_tbEUlT_E0_NS1_11comp_targetILNS1_3genE2ELNS1_11target_archE906ELNS1_3gpuE6ELNS1_3repE0EEENS1_60segmented_radix_sort_warp_sort_medium_config_static_selectorELNS0_4arch9wavefront6targetE1EEEvSK_
                                        ; -- End function
	.section	.AMDGPU.csdata,"",@progbits
; Kernel info:
; codeLenInByte = 0
; NumSgprs: 4
; NumVgprs: 0
; NumAgprs: 0
; TotalNumVgprs: 0
; ScratchSize: 0
; MemoryBound: 0
; FloatMode: 240
; IeeeMode: 1
; LDSByteSize: 0 bytes/workgroup (compile time only)
; SGPRBlocks: 0
; VGPRBlocks: 0
; NumSGPRsForWavesPerEU: 4
; NumVGPRsForWavesPerEU: 1
; AccumOffset: 4
; Occupancy: 8
; WaveLimiterHint : 0
; COMPUTE_PGM_RSRC2:SCRATCH_EN: 0
; COMPUTE_PGM_RSRC2:USER_SGPR: 6
; COMPUTE_PGM_RSRC2:TRAP_HANDLER: 0
; COMPUTE_PGM_RSRC2:TGID_X_EN: 1
; COMPUTE_PGM_RSRC2:TGID_Y_EN: 0
; COMPUTE_PGM_RSRC2:TGID_Z_EN: 0
; COMPUTE_PGM_RSRC2:TIDIG_COMP_CNT: 0
; COMPUTE_PGM_RSRC3_GFX90A:ACCUM_OFFSET: 0
; COMPUTE_PGM_RSRC3_GFX90A:TG_SPLIT: 0
	.section	.text._ZN7rocprim17ROCPRIM_400000_NS6detail17trampoline_kernelINS0_14default_configENS1_36segmented_radix_sort_config_selectorIilEEZNS1_25segmented_radix_sort_implIS3_Lb1EPKiPiPKlPlN2at6native12_GLOBAL__N_18offset_tEEE10hipError_tPvRmT1_PNSt15iterator_traitsISK_E10value_typeET2_T3_PNSL_ISQ_E10value_typeET4_jRbjT5_SW_jjP12ihipStream_tbEUlT_E0_NS1_11comp_targetILNS1_3genE10ELNS1_11target_archE1201ELNS1_3gpuE5ELNS1_3repE0EEENS1_60segmented_radix_sort_warp_sort_medium_config_static_selectorELNS0_4arch9wavefront6targetE1EEEvSK_,"axG",@progbits,_ZN7rocprim17ROCPRIM_400000_NS6detail17trampoline_kernelINS0_14default_configENS1_36segmented_radix_sort_config_selectorIilEEZNS1_25segmented_radix_sort_implIS3_Lb1EPKiPiPKlPlN2at6native12_GLOBAL__N_18offset_tEEE10hipError_tPvRmT1_PNSt15iterator_traitsISK_E10value_typeET2_T3_PNSL_ISQ_E10value_typeET4_jRbjT5_SW_jjP12ihipStream_tbEUlT_E0_NS1_11comp_targetILNS1_3genE10ELNS1_11target_archE1201ELNS1_3gpuE5ELNS1_3repE0EEENS1_60segmented_radix_sort_warp_sort_medium_config_static_selectorELNS0_4arch9wavefront6targetE1EEEvSK_,comdat
	.globl	_ZN7rocprim17ROCPRIM_400000_NS6detail17trampoline_kernelINS0_14default_configENS1_36segmented_radix_sort_config_selectorIilEEZNS1_25segmented_radix_sort_implIS3_Lb1EPKiPiPKlPlN2at6native12_GLOBAL__N_18offset_tEEE10hipError_tPvRmT1_PNSt15iterator_traitsISK_E10value_typeET2_T3_PNSL_ISQ_E10value_typeET4_jRbjT5_SW_jjP12ihipStream_tbEUlT_E0_NS1_11comp_targetILNS1_3genE10ELNS1_11target_archE1201ELNS1_3gpuE5ELNS1_3repE0EEENS1_60segmented_radix_sort_warp_sort_medium_config_static_selectorELNS0_4arch9wavefront6targetE1EEEvSK_ ; -- Begin function _ZN7rocprim17ROCPRIM_400000_NS6detail17trampoline_kernelINS0_14default_configENS1_36segmented_radix_sort_config_selectorIilEEZNS1_25segmented_radix_sort_implIS3_Lb1EPKiPiPKlPlN2at6native12_GLOBAL__N_18offset_tEEE10hipError_tPvRmT1_PNSt15iterator_traitsISK_E10value_typeET2_T3_PNSL_ISQ_E10value_typeET4_jRbjT5_SW_jjP12ihipStream_tbEUlT_E0_NS1_11comp_targetILNS1_3genE10ELNS1_11target_archE1201ELNS1_3gpuE5ELNS1_3repE0EEENS1_60segmented_radix_sort_warp_sort_medium_config_static_selectorELNS0_4arch9wavefront6targetE1EEEvSK_
	.p2align	8
	.type	_ZN7rocprim17ROCPRIM_400000_NS6detail17trampoline_kernelINS0_14default_configENS1_36segmented_radix_sort_config_selectorIilEEZNS1_25segmented_radix_sort_implIS3_Lb1EPKiPiPKlPlN2at6native12_GLOBAL__N_18offset_tEEE10hipError_tPvRmT1_PNSt15iterator_traitsISK_E10value_typeET2_T3_PNSL_ISQ_E10value_typeET4_jRbjT5_SW_jjP12ihipStream_tbEUlT_E0_NS1_11comp_targetILNS1_3genE10ELNS1_11target_archE1201ELNS1_3gpuE5ELNS1_3repE0EEENS1_60segmented_radix_sort_warp_sort_medium_config_static_selectorELNS0_4arch9wavefront6targetE1EEEvSK_,@function
_ZN7rocprim17ROCPRIM_400000_NS6detail17trampoline_kernelINS0_14default_configENS1_36segmented_radix_sort_config_selectorIilEEZNS1_25segmented_radix_sort_implIS3_Lb1EPKiPiPKlPlN2at6native12_GLOBAL__N_18offset_tEEE10hipError_tPvRmT1_PNSt15iterator_traitsISK_E10value_typeET2_T3_PNSL_ISQ_E10value_typeET4_jRbjT5_SW_jjP12ihipStream_tbEUlT_E0_NS1_11comp_targetILNS1_3genE10ELNS1_11target_archE1201ELNS1_3gpuE5ELNS1_3repE0EEENS1_60segmented_radix_sort_warp_sort_medium_config_static_selectorELNS0_4arch9wavefront6targetE1EEEvSK_: ; @_ZN7rocprim17ROCPRIM_400000_NS6detail17trampoline_kernelINS0_14default_configENS1_36segmented_radix_sort_config_selectorIilEEZNS1_25segmented_radix_sort_implIS3_Lb1EPKiPiPKlPlN2at6native12_GLOBAL__N_18offset_tEEE10hipError_tPvRmT1_PNSt15iterator_traitsISK_E10value_typeET2_T3_PNSL_ISQ_E10value_typeET4_jRbjT5_SW_jjP12ihipStream_tbEUlT_E0_NS1_11comp_targetILNS1_3genE10ELNS1_11target_archE1201ELNS1_3gpuE5ELNS1_3repE0EEENS1_60segmented_radix_sort_warp_sort_medium_config_static_selectorELNS0_4arch9wavefront6targetE1EEEvSK_
; %bb.0:
	.section	.rodata,"a",@progbits
	.p2align	6, 0x0
	.amdhsa_kernel _ZN7rocprim17ROCPRIM_400000_NS6detail17trampoline_kernelINS0_14default_configENS1_36segmented_radix_sort_config_selectorIilEEZNS1_25segmented_radix_sort_implIS3_Lb1EPKiPiPKlPlN2at6native12_GLOBAL__N_18offset_tEEE10hipError_tPvRmT1_PNSt15iterator_traitsISK_E10value_typeET2_T3_PNSL_ISQ_E10value_typeET4_jRbjT5_SW_jjP12ihipStream_tbEUlT_E0_NS1_11comp_targetILNS1_3genE10ELNS1_11target_archE1201ELNS1_3gpuE5ELNS1_3repE0EEENS1_60segmented_radix_sort_warp_sort_medium_config_static_selectorELNS0_4arch9wavefront6targetE1EEEvSK_
		.amdhsa_group_segment_fixed_size 0
		.amdhsa_private_segment_fixed_size 0
		.amdhsa_kernarg_size 88
		.amdhsa_user_sgpr_count 6
		.amdhsa_user_sgpr_private_segment_buffer 1
		.amdhsa_user_sgpr_dispatch_ptr 0
		.amdhsa_user_sgpr_queue_ptr 0
		.amdhsa_user_sgpr_kernarg_segment_ptr 1
		.amdhsa_user_sgpr_dispatch_id 0
		.amdhsa_user_sgpr_flat_scratch_init 0
		.amdhsa_user_sgpr_kernarg_preload_length 0
		.amdhsa_user_sgpr_kernarg_preload_offset 0
		.amdhsa_user_sgpr_private_segment_size 0
		.amdhsa_uses_dynamic_stack 0
		.amdhsa_system_sgpr_private_segment_wavefront_offset 0
		.amdhsa_system_sgpr_workgroup_id_x 1
		.amdhsa_system_sgpr_workgroup_id_y 0
		.amdhsa_system_sgpr_workgroup_id_z 0
		.amdhsa_system_sgpr_workgroup_info 0
		.amdhsa_system_vgpr_workitem_id 0
		.amdhsa_next_free_vgpr 1
		.amdhsa_next_free_sgpr 0
		.amdhsa_accum_offset 4
		.amdhsa_reserve_vcc 0
		.amdhsa_reserve_flat_scratch 0
		.amdhsa_float_round_mode_32 0
		.amdhsa_float_round_mode_16_64 0
		.amdhsa_float_denorm_mode_32 3
		.amdhsa_float_denorm_mode_16_64 3
		.amdhsa_dx10_clamp 1
		.amdhsa_ieee_mode 1
		.amdhsa_fp16_overflow 0
		.amdhsa_tg_split 0
		.amdhsa_exception_fp_ieee_invalid_op 0
		.amdhsa_exception_fp_denorm_src 0
		.amdhsa_exception_fp_ieee_div_zero 0
		.amdhsa_exception_fp_ieee_overflow 0
		.amdhsa_exception_fp_ieee_underflow 0
		.amdhsa_exception_fp_ieee_inexact 0
		.amdhsa_exception_int_div_zero 0
	.end_amdhsa_kernel
	.section	.text._ZN7rocprim17ROCPRIM_400000_NS6detail17trampoline_kernelINS0_14default_configENS1_36segmented_radix_sort_config_selectorIilEEZNS1_25segmented_radix_sort_implIS3_Lb1EPKiPiPKlPlN2at6native12_GLOBAL__N_18offset_tEEE10hipError_tPvRmT1_PNSt15iterator_traitsISK_E10value_typeET2_T3_PNSL_ISQ_E10value_typeET4_jRbjT5_SW_jjP12ihipStream_tbEUlT_E0_NS1_11comp_targetILNS1_3genE10ELNS1_11target_archE1201ELNS1_3gpuE5ELNS1_3repE0EEENS1_60segmented_radix_sort_warp_sort_medium_config_static_selectorELNS0_4arch9wavefront6targetE1EEEvSK_,"axG",@progbits,_ZN7rocprim17ROCPRIM_400000_NS6detail17trampoline_kernelINS0_14default_configENS1_36segmented_radix_sort_config_selectorIilEEZNS1_25segmented_radix_sort_implIS3_Lb1EPKiPiPKlPlN2at6native12_GLOBAL__N_18offset_tEEE10hipError_tPvRmT1_PNSt15iterator_traitsISK_E10value_typeET2_T3_PNSL_ISQ_E10value_typeET4_jRbjT5_SW_jjP12ihipStream_tbEUlT_E0_NS1_11comp_targetILNS1_3genE10ELNS1_11target_archE1201ELNS1_3gpuE5ELNS1_3repE0EEENS1_60segmented_radix_sort_warp_sort_medium_config_static_selectorELNS0_4arch9wavefront6targetE1EEEvSK_,comdat
.Lfunc_end513:
	.size	_ZN7rocprim17ROCPRIM_400000_NS6detail17trampoline_kernelINS0_14default_configENS1_36segmented_radix_sort_config_selectorIilEEZNS1_25segmented_radix_sort_implIS3_Lb1EPKiPiPKlPlN2at6native12_GLOBAL__N_18offset_tEEE10hipError_tPvRmT1_PNSt15iterator_traitsISK_E10value_typeET2_T3_PNSL_ISQ_E10value_typeET4_jRbjT5_SW_jjP12ihipStream_tbEUlT_E0_NS1_11comp_targetILNS1_3genE10ELNS1_11target_archE1201ELNS1_3gpuE5ELNS1_3repE0EEENS1_60segmented_radix_sort_warp_sort_medium_config_static_selectorELNS0_4arch9wavefront6targetE1EEEvSK_, .Lfunc_end513-_ZN7rocprim17ROCPRIM_400000_NS6detail17trampoline_kernelINS0_14default_configENS1_36segmented_radix_sort_config_selectorIilEEZNS1_25segmented_radix_sort_implIS3_Lb1EPKiPiPKlPlN2at6native12_GLOBAL__N_18offset_tEEE10hipError_tPvRmT1_PNSt15iterator_traitsISK_E10value_typeET2_T3_PNSL_ISQ_E10value_typeET4_jRbjT5_SW_jjP12ihipStream_tbEUlT_E0_NS1_11comp_targetILNS1_3genE10ELNS1_11target_archE1201ELNS1_3gpuE5ELNS1_3repE0EEENS1_60segmented_radix_sort_warp_sort_medium_config_static_selectorELNS0_4arch9wavefront6targetE1EEEvSK_
                                        ; -- End function
	.section	.AMDGPU.csdata,"",@progbits
; Kernel info:
; codeLenInByte = 0
; NumSgprs: 4
; NumVgprs: 0
; NumAgprs: 0
; TotalNumVgprs: 0
; ScratchSize: 0
; MemoryBound: 0
; FloatMode: 240
; IeeeMode: 1
; LDSByteSize: 0 bytes/workgroup (compile time only)
; SGPRBlocks: 0
; VGPRBlocks: 0
; NumSGPRsForWavesPerEU: 4
; NumVGPRsForWavesPerEU: 1
; AccumOffset: 4
; Occupancy: 8
; WaveLimiterHint : 0
; COMPUTE_PGM_RSRC2:SCRATCH_EN: 0
; COMPUTE_PGM_RSRC2:USER_SGPR: 6
; COMPUTE_PGM_RSRC2:TRAP_HANDLER: 0
; COMPUTE_PGM_RSRC2:TGID_X_EN: 1
; COMPUTE_PGM_RSRC2:TGID_Y_EN: 0
; COMPUTE_PGM_RSRC2:TGID_Z_EN: 0
; COMPUTE_PGM_RSRC2:TIDIG_COMP_CNT: 0
; COMPUTE_PGM_RSRC3_GFX90A:ACCUM_OFFSET: 0
; COMPUTE_PGM_RSRC3_GFX90A:TG_SPLIT: 0
	.section	.text._ZN7rocprim17ROCPRIM_400000_NS6detail17trampoline_kernelINS0_14default_configENS1_36segmented_radix_sort_config_selectorIilEEZNS1_25segmented_radix_sort_implIS3_Lb1EPKiPiPKlPlN2at6native12_GLOBAL__N_18offset_tEEE10hipError_tPvRmT1_PNSt15iterator_traitsISK_E10value_typeET2_T3_PNSL_ISQ_E10value_typeET4_jRbjT5_SW_jjP12ihipStream_tbEUlT_E0_NS1_11comp_targetILNS1_3genE10ELNS1_11target_archE1200ELNS1_3gpuE4ELNS1_3repE0EEENS1_60segmented_radix_sort_warp_sort_medium_config_static_selectorELNS0_4arch9wavefront6targetE1EEEvSK_,"axG",@progbits,_ZN7rocprim17ROCPRIM_400000_NS6detail17trampoline_kernelINS0_14default_configENS1_36segmented_radix_sort_config_selectorIilEEZNS1_25segmented_radix_sort_implIS3_Lb1EPKiPiPKlPlN2at6native12_GLOBAL__N_18offset_tEEE10hipError_tPvRmT1_PNSt15iterator_traitsISK_E10value_typeET2_T3_PNSL_ISQ_E10value_typeET4_jRbjT5_SW_jjP12ihipStream_tbEUlT_E0_NS1_11comp_targetILNS1_3genE10ELNS1_11target_archE1200ELNS1_3gpuE4ELNS1_3repE0EEENS1_60segmented_radix_sort_warp_sort_medium_config_static_selectorELNS0_4arch9wavefront6targetE1EEEvSK_,comdat
	.globl	_ZN7rocprim17ROCPRIM_400000_NS6detail17trampoline_kernelINS0_14default_configENS1_36segmented_radix_sort_config_selectorIilEEZNS1_25segmented_radix_sort_implIS3_Lb1EPKiPiPKlPlN2at6native12_GLOBAL__N_18offset_tEEE10hipError_tPvRmT1_PNSt15iterator_traitsISK_E10value_typeET2_T3_PNSL_ISQ_E10value_typeET4_jRbjT5_SW_jjP12ihipStream_tbEUlT_E0_NS1_11comp_targetILNS1_3genE10ELNS1_11target_archE1200ELNS1_3gpuE4ELNS1_3repE0EEENS1_60segmented_radix_sort_warp_sort_medium_config_static_selectorELNS0_4arch9wavefront6targetE1EEEvSK_ ; -- Begin function _ZN7rocprim17ROCPRIM_400000_NS6detail17trampoline_kernelINS0_14default_configENS1_36segmented_radix_sort_config_selectorIilEEZNS1_25segmented_radix_sort_implIS3_Lb1EPKiPiPKlPlN2at6native12_GLOBAL__N_18offset_tEEE10hipError_tPvRmT1_PNSt15iterator_traitsISK_E10value_typeET2_T3_PNSL_ISQ_E10value_typeET4_jRbjT5_SW_jjP12ihipStream_tbEUlT_E0_NS1_11comp_targetILNS1_3genE10ELNS1_11target_archE1200ELNS1_3gpuE4ELNS1_3repE0EEENS1_60segmented_radix_sort_warp_sort_medium_config_static_selectorELNS0_4arch9wavefront6targetE1EEEvSK_
	.p2align	8
	.type	_ZN7rocprim17ROCPRIM_400000_NS6detail17trampoline_kernelINS0_14default_configENS1_36segmented_radix_sort_config_selectorIilEEZNS1_25segmented_radix_sort_implIS3_Lb1EPKiPiPKlPlN2at6native12_GLOBAL__N_18offset_tEEE10hipError_tPvRmT1_PNSt15iterator_traitsISK_E10value_typeET2_T3_PNSL_ISQ_E10value_typeET4_jRbjT5_SW_jjP12ihipStream_tbEUlT_E0_NS1_11comp_targetILNS1_3genE10ELNS1_11target_archE1200ELNS1_3gpuE4ELNS1_3repE0EEENS1_60segmented_radix_sort_warp_sort_medium_config_static_selectorELNS0_4arch9wavefront6targetE1EEEvSK_,@function
_ZN7rocprim17ROCPRIM_400000_NS6detail17trampoline_kernelINS0_14default_configENS1_36segmented_radix_sort_config_selectorIilEEZNS1_25segmented_radix_sort_implIS3_Lb1EPKiPiPKlPlN2at6native12_GLOBAL__N_18offset_tEEE10hipError_tPvRmT1_PNSt15iterator_traitsISK_E10value_typeET2_T3_PNSL_ISQ_E10value_typeET4_jRbjT5_SW_jjP12ihipStream_tbEUlT_E0_NS1_11comp_targetILNS1_3genE10ELNS1_11target_archE1200ELNS1_3gpuE4ELNS1_3repE0EEENS1_60segmented_radix_sort_warp_sort_medium_config_static_selectorELNS0_4arch9wavefront6targetE1EEEvSK_: ; @_ZN7rocprim17ROCPRIM_400000_NS6detail17trampoline_kernelINS0_14default_configENS1_36segmented_radix_sort_config_selectorIilEEZNS1_25segmented_radix_sort_implIS3_Lb1EPKiPiPKlPlN2at6native12_GLOBAL__N_18offset_tEEE10hipError_tPvRmT1_PNSt15iterator_traitsISK_E10value_typeET2_T3_PNSL_ISQ_E10value_typeET4_jRbjT5_SW_jjP12ihipStream_tbEUlT_E0_NS1_11comp_targetILNS1_3genE10ELNS1_11target_archE1200ELNS1_3gpuE4ELNS1_3repE0EEENS1_60segmented_radix_sort_warp_sort_medium_config_static_selectorELNS0_4arch9wavefront6targetE1EEEvSK_
; %bb.0:
	.section	.rodata,"a",@progbits
	.p2align	6, 0x0
	.amdhsa_kernel _ZN7rocprim17ROCPRIM_400000_NS6detail17trampoline_kernelINS0_14default_configENS1_36segmented_radix_sort_config_selectorIilEEZNS1_25segmented_radix_sort_implIS3_Lb1EPKiPiPKlPlN2at6native12_GLOBAL__N_18offset_tEEE10hipError_tPvRmT1_PNSt15iterator_traitsISK_E10value_typeET2_T3_PNSL_ISQ_E10value_typeET4_jRbjT5_SW_jjP12ihipStream_tbEUlT_E0_NS1_11comp_targetILNS1_3genE10ELNS1_11target_archE1200ELNS1_3gpuE4ELNS1_3repE0EEENS1_60segmented_radix_sort_warp_sort_medium_config_static_selectorELNS0_4arch9wavefront6targetE1EEEvSK_
		.amdhsa_group_segment_fixed_size 0
		.amdhsa_private_segment_fixed_size 0
		.amdhsa_kernarg_size 88
		.amdhsa_user_sgpr_count 6
		.amdhsa_user_sgpr_private_segment_buffer 1
		.amdhsa_user_sgpr_dispatch_ptr 0
		.amdhsa_user_sgpr_queue_ptr 0
		.amdhsa_user_sgpr_kernarg_segment_ptr 1
		.amdhsa_user_sgpr_dispatch_id 0
		.amdhsa_user_sgpr_flat_scratch_init 0
		.amdhsa_user_sgpr_kernarg_preload_length 0
		.amdhsa_user_sgpr_kernarg_preload_offset 0
		.amdhsa_user_sgpr_private_segment_size 0
		.amdhsa_uses_dynamic_stack 0
		.amdhsa_system_sgpr_private_segment_wavefront_offset 0
		.amdhsa_system_sgpr_workgroup_id_x 1
		.amdhsa_system_sgpr_workgroup_id_y 0
		.amdhsa_system_sgpr_workgroup_id_z 0
		.amdhsa_system_sgpr_workgroup_info 0
		.amdhsa_system_vgpr_workitem_id 0
		.amdhsa_next_free_vgpr 1
		.amdhsa_next_free_sgpr 0
		.amdhsa_accum_offset 4
		.amdhsa_reserve_vcc 0
		.amdhsa_reserve_flat_scratch 0
		.amdhsa_float_round_mode_32 0
		.amdhsa_float_round_mode_16_64 0
		.amdhsa_float_denorm_mode_32 3
		.amdhsa_float_denorm_mode_16_64 3
		.amdhsa_dx10_clamp 1
		.amdhsa_ieee_mode 1
		.amdhsa_fp16_overflow 0
		.amdhsa_tg_split 0
		.amdhsa_exception_fp_ieee_invalid_op 0
		.amdhsa_exception_fp_denorm_src 0
		.amdhsa_exception_fp_ieee_div_zero 0
		.amdhsa_exception_fp_ieee_overflow 0
		.amdhsa_exception_fp_ieee_underflow 0
		.amdhsa_exception_fp_ieee_inexact 0
		.amdhsa_exception_int_div_zero 0
	.end_amdhsa_kernel
	.section	.text._ZN7rocprim17ROCPRIM_400000_NS6detail17trampoline_kernelINS0_14default_configENS1_36segmented_radix_sort_config_selectorIilEEZNS1_25segmented_radix_sort_implIS3_Lb1EPKiPiPKlPlN2at6native12_GLOBAL__N_18offset_tEEE10hipError_tPvRmT1_PNSt15iterator_traitsISK_E10value_typeET2_T3_PNSL_ISQ_E10value_typeET4_jRbjT5_SW_jjP12ihipStream_tbEUlT_E0_NS1_11comp_targetILNS1_3genE10ELNS1_11target_archE1200ELNS1_3gpuE4ELNS1_3repE0EEENS1_60segmented_radix_sort_warp_sort_medium_config_static_selectorELNS0_4arch9wavefront6targetE1EEEvSK_,"axG",@progbits,_ZN7rocprim17ROCPRIM_400000_NS6detail17trampoline_kernelINS0_14default_configENS1_36segmented_radix_sort_config_selectorIilEEZNS1_25segmented_radix_sort_implIS3_Lb1EPKiPiPKlPlN2at6native12_GLOBAL__N_18offset_tEEE10hipError_tPvRmT1_PNSt15iterator_traitsISK_E10value_typeET2_T3_PNSL_ISQ_E10value_typeET4_jRbjT5_SW_jjP12ihipStream_tbEUlT_E0_NS1_11comp_targetILNS1_3genE10ELNS1_11target_archE1200ELNS1_3gpuE4ELNS1_3repE0EEENS1_60segmented_radix_sort_warp_sort_medium_config_static_selectorELNS0_4arch9wavefront6targetE1EEEvSK_,comdat
.Lfunc_end514:
	.size	_ZN7rocprim17ROCPRIM_400000_NS6detail17trampoline_kernelINS0_14default_configENS1_36segmented_radix_sort_config_selectorIilEEZNS1_25segmented_radix_sort_implIS3_Lb1EPKiPiPKlPlN2at6native12_GLOBAL__N_18offset_tEEE10hipError_tPvRmT1_PNSt15iterator_traitsISK_E10value_typeET2_T3_PNSL_ISQ_E10value_typeET4_jRbjT5_SW_jjP12ihipStream_tbEUlT_E0_NS1_11comp_targetILNS1_3genE10ELNS1_11target_archE1200ELNS1_3gpuE4ELNS1_3repE0EEENS1_60segmented_radix_sort_warp_sort_medium_config_static_selectorELNS0_4arch9wavefront6targetE1EEEvSK_, .Lfunc_end514-_ZN7rocprim17ROCPRIM_400000_NS6detail17trampoline_kernelINS0_14default_configENS1_36segmented_radix_sort_config_selectorIilEEZNS1_25segmented_radix_sort_implIS3_Lb1EPKiPiPKlPlN2at6native12_GLOBAL__N_18offset_tEEE10hipError_tPvRmT1_PNSt15iterator_traitsISK_E10value_typeET2_T3_PNSL_ISQ_E10value_typeET4_jRbjT5_SW_jjP12ihipStream_tbEUlT_E0_NS1_11comp_targetILNS1_3genE10ELNS1_11target_archE1200ELNS1_3gpuE4ELNS1_3repE0EEENS1_60segmented_radix_sort_warp_sort_medium_config_static_selectorELNS0_4arch9wavefront6targetE1EEEvSK_
                                        ; -- End function
	.section	.AMDGPU.csdata,"",@progbits
; Kernel info:
; codeLenInByte = 0
; NumSgprs: 4
; NumVgprs: 0
; NumAgprs: 0
; TotalNumVgprs: 0
; ScratchSize: 0
; MemoryBound: 0
; FloatMode: 240
; IeeeMode: 1
; LDSByteSize: 0 bytes/workgroup (compile time only)
; SGPRBlocks: 0
; VGPRBlocks: 0
; NumSGPRsForWavesPerEU: 4
; NumVGPRsForWavesPerEU: 1
; AccumOffset: 4
; Occupancy: 8
; WaveLimiterHint : 0
; COMPUTE_PGM_RSRC2:SCRATCH_EN: 0
; COMPUTE_PGM_RSRC2:USER_SGPR: 6
; COMPUTE_PGM_RSRC2:TRAP_HANDLER: 0
; COMPUTE_PGM_RSRC2:TGID_X_EN: 1
; COMPUTE_PGM_RSRC2:TGID_Y_EN: 0
; COMPUTE_PGM_RSRC2:TGID_Z_EN: 0
; COMPUTE_PGM_RSRC2:TIDIG_COMP_CNT: 0
; COMPUTE_PGM_RSRC3_GFX90A:ACCUM_OFFSET: 0
; COMPUTE_PGM_RSRC3_GFX90A:TG_SPLIT: 0
	.section	.text._ZN7rocprim17ROCPRIM_400000_NS6detail17trampoline_kernelINS0_14default_configENS1_36segmented_radix_sort_config_selectorIilEEZNS1_25segmented_radix_sort_implIS3_Lb1EPKiPiPKlPlN2at6native12_GLOBAL__N_18offset_tEEE10hipError_tPvRmT1_PNSt15iterator_traitsISK_E10value_typeET2_T3_PNSL_ISQ_E10value_typeET4_jRbjT5_SW_jjP12ihipStream_tbEUlT_E0_NS1_11comp_targetILNS1_3genE9ELNS1_11target_archE1100ELNS1_3gpuE3ELNS1_3repE0EEENS1_60segmented_radix_sort_warp_sort_medium_config_static_selectorELNS0_4arch9wavefront6targetE1EEEvSK_,"axG",@progbits,_ZN7rocprim17ROCPRIM_400000_NS6detail17trampoline_kernelINS0_14default_configENS1_36segmented_radix_sort_config_selectorIilEEZNS1_25segmented_radix_sort_implIS3_Lb1EPKiPiPKlPlN2at6native12_GLOBAL__N_18offset_tEEE10hipError_tPvRmT1_PNSt15iterator_traitsISK_E10value_typeET2_T3_PNSL_ISQ_E10value_typeET4_jRbjT5_SW_jjP12ihipStream_tbEUlT_E0_NS1_11comp_targetILNS1_3genE9ELNS1_11target_archE1100ELNS1_3gpuE3ELNS1_3repE0EEENS1_60segmented_radix_sort_warp_sort_medium_config_static_selectorELNS0_4arch9wavefront6targetE1EEEvSK_,comdat
	.globl	_ZN7rocprim17ROCPRIM_400000_NS6detail17trampoline_kernelINS0_14default_configENS1_36segmented_radix_sort_config_selectorIilEEZNS1_25segmented_radix_sort_implIS3_Lb1EPKiPiPKlPlN2at6native12_GLOBAL__N_18offset_tEEE10hipError_tPvRmT1_PNSt15iterator_traitsISK_E10value_typeET2_T3_PNSL_ISQ_E10value_typeET4_jRbjT5_SW_jjP12ihipStream_tbEUlT_E0_NS1_11comp_targetILNS1_3genE9ELNS1_11target_archE1100ELNS1_3gpuE3ELNS1_3repE0EEENS1_60segmented_radix_sort_warp_sort_medium_config_static_selectorELNS0_4arch9wavefront6targetE1EEEvSK_ ; -- Begin function _ZN7rocprim17ROCPRIM_400000_NS6detail17trampoline_kernelINS0_14default_configENS1_36segmented_radix_sort_config_selectorIilEEZNS1_25segmented_radix_sort_implIS3_Lb1EPKiPiPKlPlN2at6native12_GLOBAL__N_18offset_tEEE10hipError_tPvRmT1_PNSt15iterator_traitsISK_E10value_typeET2_T3_PNSL_ISQ_E10value_typeET4_jRbjT5_SW_jjP12ihipStream_tbEUlT_E0_NS1_11comp_targetILNS1_3genE9ELNS1_11target_archE1100ELNS1_3gpuE3ELNS1_3repE0EEENS1_60segmented_radix_sort_warp_sort_medium_config_static_selectorELNS0_4arch9wavefront6targetE1EEEvSK_
	.p2align	8
	.type	_ZN7rocprim17ROCPRIM_400000_NS6detail17trampoline_kernelINS0_14default_configENS1_36segmented_radix_sort_config_selectorIilEEZNS1_25segmented_radix_sort_implIS3_Lb1EPKiPiPKlPlN2at6native12_GLOBAL__N_18offset_tEEE10hipError_tPvRmT1_PNSt15iterator_traitsISK_E10value_typeET2_T3_PNSL_ISQ_E10value_typeET4_jRbjT5_SW_jjP12ihipStream_tbEUlT_E0_NS1_11comp_targetILNS1_3genE9ELNS1_11target_archE1100ELNS1_3gpuE3ELNS1_3repE0EEENS1_60segmented_radix_sort_warp_sort_medium_config_static_selectorELNS0_4arch9wavefront6targetE1EEEvSK_,@function
_ZN7rocprim17ROCPRIM_400000_NS6detail17trampoline_kernelINS0_14default_configENS1_36segmented_radix_sort_config_selectorIilEEZNS1_25segmented_radix_sort_implIS3_Lb1EPKiPiPKlPlN2at6native12_GLOBAL__N_18offset_tEEE10hipError_tPvRmT1_PNSt15iterator_traitsISK_E10value_typeET2_T3_PNSL_ISQ_E10value_typeET4_jRbjT5_SW_jjP12ihipStream_tbEUlT_E0_NS1_11comp_targetILNS1_3genE9ELNS1_11target_archE1100ELNS1_3gpuE3ELNS1_3repE0EEENS1_60segmented_radix_sort_warp_sort_medium_config_static_selectorELNS0_4arch9wavefront6targetE1EEEvSK_: ; @_ZN7rocprim17ROCPRIM_400000_NS6detail17trampoline_kernelINS0_14default_configENS1_36segmented_radix_sort_config_selectorIilEEZNS1_25segmented_radix_sort_implIS3_Lb1EPKiPiPKlPlN2at6native12_GLOBAL__N_18offset_tEEE10hipError_tPvRmT1_PNSt15iterator_traitsISK_E10value_typeET2_T3_PNSL_ISQ_E10value_typeET4_jRbjT5_SW_jjP12ihipStream_tbEUlT_E0_NS1_11comp_targetILNS1_3genE9ELNS1_11target_archE1100ELNS1_3gpuE3ELNS1_3repE0EEENS1_60segmented_radix_sort_warp_sort_medium_config_static_selectorELNS0_4arch9wavefront6targetE1EEEvSK_
; %bb.0:
	.section	.rodata,"a",@progbits
	.p2align	6, 0x0
	.amdhsa_kernel _ZN7rocprim17ROCPRIM_400000_NS6detail17trampoline_kernelINS0_14default_configENS1_36segmented_radix_sort_config_selectorIilEEZNS1_25segmented_radix_sort_implIS3_Lb1EPKiPiPKlPlN2at6native12_GLOBAL__N_18offset_tEEE10hipError_tPvRmT1_PNSt15iterator_traitsISK_E10value_typeET2_T3_PNSL_ISQ_E10value_typeET4_jRbjT5_SW_jjP12ihipStream_tbEUlT_E0_NS1_11comp_targetILNS1_3genE9ELNS1_11target_archE1100ELNS1_3gpuE3ELNS1_3repE0EEENS1_60segmented_radix_sort_warp_sort_medium_config_static_selectorELNS0_4arch9wavefront6targetE1EEEvSK_
		.amdhsa_group_segment_fixed_size 0
		.amdhsa_private_segment_fixed_size 0
		.amdhsa_kernarg_size 88
		.amdhsa_user_sgpr_count 6
		.amdhsa_user_sgpr_private_segment_buffer 1
		.amdhsa_user_sgpr_dispatch_ptr 0
		.amdhsa_user_sgpr_queue_ptr 0
		.amdhsa_user_sgpr_kernarg_segment_ptr 1
		.amdhsa_user_sgpr_dispatch_id 0
		.amdhsa_user_sgpr_flat_scratch_init 0
		.amdhsa_user_sgpr_kernarg_preload_length 0
		.amdhsa_user_sgpr_kernarg_preload_offset 0
		.amdhsa_user_sgpr_private_segment_size 0
		.amdhsa_uses_dynamic_stack 0
		.amdhsa_system_sgpr_private_segment_wavefront_offset 0
		.amdhsa_system_sgpr_workgroup_id_x 1
		.amdhsa_system_sgpr_workgroup_id_y 0
		.amdhsa_system_sgpr_workgroup_id_z 0
		.amdhsa_system_sgpr_workgroup_info 0
		.amdhsa_system_vgpr_workitem_id 0
		.amdhsa_next_free_vgpr 1
		.amdhsa_next_free_sgpr 0
		.amdhsa_accum_offset 4
		.amdhsa_reserve_vcc 0
		.amdhsa_reserve_flat_scratch 0
		.amdhsa_float_round_mode_32 0
		.amdhsa_float_round_mode_16_64 0
		.amdhsa_float_denorm_mode_32 3
		.amdhsa_float_denorm_mode_16_64 3
		.amdhsa_dx10_clamp 1
		.amdhsa_ieee_mode 1
		.amdhsa_fp16_overflow 0
		.amdhsa_tg_split 0
		.amdhsa_exception_fp_ieee_invalid_op 0
		.amdhsa_exception_fp_denorm_src 0
		.amdhsa_exception_fp_ieee_div_zero 0
		.amdhsa_exception_fp_ieee_overflow 0
		.amdhsa_exception_fp_ieee_underflow 0
		.amdhsa_exception_fp_ieee_inexact 0
		.amdhsa_exception_int_div_zero 0
	.end_amdhsa_kernel
	.section	.text._ZN7rocprim17ROCPRIM_400000_NS6detail17trampoline_kernelINS0_14default_configENS1_36segmented_radix_sort_config_selectorIilEEZNS1_25segmented_radix_sort_implIS3_Lb1EPKiPiPKlPlN2at6native12_GLOBAL__N_18offset_tEEE10hipError_tPvRmT1_PNSt15iterator_traitsISK_E10value_typeET2_T3_PNSL_ISQ_E10value_typeET4_jRbjT5_SW_jjP12ihipStream_tbEUlT_E0_NS1_11comp_targetILNS1_3genE9ELNS1_11target_archE1100ELNS1_3gpuE3ELNS1_3repE0EEENS1_60segmented_radix_sort_warp_sort_medium_config_static_selectorELNS0_4arch9wavefront6targetE1EEEvSK_,"axG",@progbits,_ZN7rocprim17ROCPRIM_400000_NS6detail17trampoline_kernelINS0_14default_configENS1_36segmented_radix_sort_config_selectorIilEEZNS1_25segmented_radix_sort_implIS3_Lb1EPKiPiPKlPlN2at6native12_GLOBAL__N_18offset_tEEE10hipError_tPvRmT1_PNSt15iterator_traitsISK_E10value_typeET2_T3_PNSL_ISQ_E10value_typeET4_jRbjT5_SW_jjP12ihipStream_tbEUlT_E0_NS1_11comp_targetILNS1_3genE9ELNS1_11target_archE1100ELNS1_3gpuE3ELNS1_3repE0EEENS1_60segmented_radix_sort_warp_sort_medium_config_static_selectorELNS0_4arch9wavefront6targetE1EEEvSK_,comdat
.Lfunc_end515:
	.size	_ZN7rocprim17ROCPRIM_400000_NS6detail17trampoline_kernelINS0_14default_configENS1_36segmented_radix_sort_config_selectorIilEEZNS1_25segmented_radix_sort_implIS3_Lb1EPKiPiPKlPlN2at6native12_GLOBAL__N_18offset_tEEE10hipError_tPvRmT1_PNSt15iterator_traitsISK_E10value_typeET2_T3_PNSL_ISQ_E10value_typeET4_jRbjT5_SW_jjP12ihipStream_tbEUlT_E0_NS1_11comp_targetILNS1_3genE9ELNS1_11target_archE1100ELNS1_3gpuE3ELNS1_3repE0EEENS1_60segmented_radix_sort_warp_sort_medium_config_static_selectorELNS0_4arch9wavefront6targetE1EEEvSK_, .Lfunc_end515-_ZN7rocprim17ROCPRIM_400000_NS6detail17trampoline_kernelINS0_14default_configENS1_36segmented_radix_sort_config_selectorIilEEZNS1_25segmented_radix_sort_implIS3_Lb1EPKiPiPKlPlN2at6native12_GLOBAL__N_18offset_tEEE10hipError_tPvRmT1_PNSt15iterator_traitsISK_E10value_typeET2_T3_PNSL_ISQ_E10value_typeET4_jRbjT5_SW_jjP12ihipStream_tbEUlT_E0_NS1_11comp_targetILNS1_3genE9ELNS1_11target_archE1100ELNS1_3gpuE3ELNS1_3repE0EEENS1_60segmented_radix_sort_warp_sort_medium_config_static_selectorELNS0_4arch9wavefront6targetE1EEEvSK_
                                        ; -- End function
	.section	.AMDGPU.csdata,"",@progbits
; Kernel info:
; codeLenInByte = 0
; NumSgprs: 4
; NumVgprs: 0
; NumAgprs: 0
; TotalNumVgprs: 0
; ScratchSize: 0
; MemoryBound: 0
; FloatMode: 240
; IeeeMode: 1
; LDSByteSize: 0 bytes/workgroup (compile time only)
; SGPRBlocks: 0
; VGPRBlocks: 0
; NumSGPRsForWavesPerEU: 4
; NumVGPRsForWavesPerEU: 1
; AccumOffset: 4
; Occupancy: 8
; WaveLimiterHint : 0
; COMPUTE_PGM_RSRC2:SCRATCH_EN: 0
; COMPUTE_PGM_RSRC2:USER_SGPR: 6
; COMPUTE_PGM_RSRC2:TRAP_HANDLER: 0
; COMPUTE_PGM_RSRC2:TGID_X_EN: 1
; COMPUTE_PGM_RSRC2:TGID_Y_EN: 0
; COMPUTE_PGM_RSRC2:TGID_Z_EN: 0
; COMPUTE_PGM_RSRC2:TIDIG_COMP_CNT: 0
; COMPUTE_PGM_RSRC3_GFX90A:ACCUM_OFFSET: 0
; COMPUTE_PGM_RSRC3_GFX90A:TG_SPLIT: 0
	.section	.text._ZN7rocprim17ROCPRIM_400000_NS6detail17trampoline_kernelINS0_14default_configENS1_36segmented_radix_sort_config_selectorIilEEZNS1_25segmented_radix_sort_implIS3_Lb1EPKiPiPKlPlN2at6native12_GLOBAL__N_18offset_tEEE10hipError_tPvRmT1_PNSt15iterator_traitsISK_E10value_typeET2_T3_PNSL_ISQ_E10value_typeET4_jRbjT5_SW_jjP12ihipStream_tbEUlT_E0_NS1_11comp_targetILNS1_3genE8ELNS1_11target_archE1030ELNS1_3gpuE2ELNS1_3repE0EEENS1_60segmented_radix_sort_warp_sort_medium_config_static_selectorELNS0_4arch9wavefront6targetE1EEEvSK_,"axG",@progbits,_ZN7rocprim17ROCPRIM_400000_NS6detail17trampoline_kernelINS0_14default_configENS1_36segmented_radix_sort_config_selectorIilEEZNS1_25segmented_radix_sort_implIS3_Lb1EPKiPiPKlPlN2at6native12_GLOBAL__N_18offset_tEEE10hipError_tPvRmT1_PNSt15iterator_traitsISK_E10value_typeET2_T3_PNSL_ISQ_E10value_typeET4_jRbjT5_SW_jjP12ihipStream_tbEUlT_E0_NS1_11comp_targetILNS1_3genE8ELNS1_11target_archE1030ELNS1_3gpuE2ELNS1_3repE0EEENS1_60segmented_radix_sort_warp_sort_medium_config_static_selectorELNS0_4arch9wavefront6targetE1EEEvSK_,comdat
	.globl	_ZN7rocprim17ROCPRIM_400000_NS6detail17trampoline_kernelINS0_14default_configENS1_36segmented_radix_sort_config_selectorIilEEZNS1_25segmented_radix_sort_implIS3_Lb1EPKiPiPKlPlN2at6native12_GLOBAL__N_18offset_tEEE10hipError_tPvRmT1_PNSt15iterator_traitsISK_E10value_typeET2_T3_PNSL_ISQ_E10value_typeET4_jRbjT5_SW_jjP12ihipStream_tbEUlT_E0_NS1_11comp_targetILNS1_3genE8ELNS1_11target_archE1030ELNS1_3gpuE2ELNS1_3repE0EEENS1_60segmented_radix_sort_warp_sort_medium_config_static_selectorELNS0_4arch9wavefront6targetE1EEEvSK_ ; -- Begin function _ZN7rocprim17ROCPRIM_400000_NS6detail17trampoline_kernelINS0_14default_configENS1_36segmented_radix_sort_config_selectorIilEEZNS1_25segmented_radix_sort_implIS3_Lb1EPKiPiPKlPlN2at6native12_GLOBAL__N_18offset_tEEE10hipError_tPvRmT1_PNSt15iterator_traitsISK_E10value_typeET2_T3_PNSL_ISQ_E10value_typeET4_jRbjT5_SW_jjP12ihipStream_tbEUlT_E0_NS1_11comp_targetILNS1_3genE8ELNS1_11target_archE1030ELNS1_3gpuE2ELNS1_3repE0EEENS1_60segmented_radix_sort_warp_sort_medium_config_static_selectorELNS0_4arch9wavefront6targetE1EEEvSK_
	.p2align	8
	.type	_ZN7rocprim17ROCPRIM_400000_NS6detail17trampoline_kernelINS0_14default_configENS1_36segmented_radix_sort_config_selectorIilEEZNS1_25segmented_radix_sort_implIS3_Lb1EPKiPiPKlPlN2at6native12_GLOBAL__N_18offset_tEEE10hipError_tPvRmT1_PNSt15iterator_traitsISK_E10value_typeET2_T3_PNSL_ISQ_E10value_typeET4_jRbjT5_SW_jjP12ihipStream_tbEUlT_E0_NS1_11comp_targetILNS1_3genE8ELNS1_11target_archE1030ELNS1_3gpuE2ELNS1_3repE0EEENS1_60segmented_radix_sort_warp_sort_medium_config_static_selectorELNS0_4arch9wavefront6targetE1EEEvSK_,@function
_ZN7rocprim17ROCPRIM_400000_NS6detail17trampoline_kernelINS0_14default_configENS1_36segmented_radix_sort_config_selectorIilEEZNS1_25segmented_radix_sort_implIS3_Lb1EPKiPiPKlPlN2at6native12_GLOBAL__N_18offset_tEEE10hipError_tPvRmT1_PNSt15iterator_traitsISK_E10value_typeET2_T3_PNSL_ISQ_E10value_typeET4_jRbjT5_SW_jjP12ihipStream_tbEUlT_E0_NS1_11comp_targetILNS1_3genE8ELNS1_11target_archE1030ELNS1_3gpuE2ELNS1_3repE0EEENS1_60segmented_radix_sort_warp_sort_medium_config_static_selectorELNS0_4arch9wavefront6targetE1EEEvSK_: ; @_ZN7rocprim17ROCPRIM_400000_NS6detail17trampoline_kernelINS0_14default_configENS1_36segmented_radix_sort_config_selectorIilEEZNS1_25segmented_radix_sort_implIS3_Lb1EPKiPiPKlPlN2at6native12_GLOBAL__N_18offset_tEEE10hipError_tPvRmT1_PNSt15iterator_traitsISK_E10value_typeET2_T3_PNSL_ISQ_E10value_typeET4_jRbjT5_SW_jjP12ihipStream_tbEUlT_E0_NS1_11comp_targetILNS1_3genE8ELNS1_11target_archE1030ELNS1_3gpuE2ELNS1_3repE0EEENS1_60segmented_radix_sort_warp_sort_medium_config_static_selectorELNS0_4arch9wavefront6targetE1EEEvSK_
; %bb.0:
	.section	.rodata,"a",@progbits
	.p2align	6, 0x0
	.amdhsa_kernel _ZN7rocprim17ROCPRIM_400000_NS6detail17trampoline_kernelINS0_14default_configENS1_36segmented_radix_sort_config_selectorIilEEZNS1_25segmented_radix_sort_implIS3_Lb1EPKiPiPKlPlN2at6native12_GLOBAL__N_18offset_tEEE10hipError_tPvRmT1_PNSt15iterator_traitsISK_E10value_typeET2_T3_PNSL_ISQ_E10value_typeET4_jRbjT5_SW_jjP12ihipStream_tbEUlT_E0_NS1_11comp_targetILNS1_3genE8ELNS1_11target_archE1030ELNS1_3gpuE2ELNS1_3repE0EEENS1_60segmented_radix_sort_warp_sort_medium_config_static_selectorELNS0_4arch9wavefront6targetE1EEEvSK_
		.amdhsa_group_segment_fixed_size 0
		.amdhsa_private_segment_fixed_size 0
		.amdhsa_kernarg_size 88
		.amdhsa_user_sgpr_count 6
		.amdhsa_user_sgpr_private_segment_buffer 1
		.amdhsa_user_sgpr_dispatch_ptr 0
		.amdhsa_user_sgpr_queue_ptr 0
		.amdhsa_user_sgpr_kernarg_segment_ptr 1
		.amdhsa_user_sgpr_dispatch_id 0
		.amdhsa_user_sgpr_flat_scratch_init 0
		.amdhsa_user_sgpr_kernarg_preload_length 0
		.amdhsa_user_sgpr_kernarg_preload_offset 0
		.amdhsa_user_sgpr_private_segment_size 0
		.amdhsa_uses_dynamic_stack 0
		.amdhsa_system_sgpr_private_segment_wavefront_offset 0
		.amdhsa_system_sgpr_workgroup_id_x 1
		.amdhsa_system_sgpr_workgroup_id_y 0
		.amdhsa_system_sgpr_workgroup_id_z 0
		.amdhsa_system_sgpr_workgroup_info 0
		.amdhsa_system_vgpr_workitem_id 0
		.amdhsa_next_free_vgpr 1
		.amdhsa_next_free_sgpr 0
		.amdhsa_accum_offset 4
		.amdhsa_reserve_vcc 0
		.amdhsa_reserve_flat_scratch 0
		.amdhsa_float_round_mode_32 0
		.amdhsa_float_round_mode_16_64 0
		.amdhsa_float_denorm_mode_32 3
		.amdhsa_float_denorm_mode_16_64 3
		.amdhsa_dx10_clamp 1
		.amdhsa_ieee_mode 1
		.amdhsa_fp16_overflow 0
		.amdhsa_tg_split 0
		.amdhsa_exception_fp_ieee_invalid_op 0
		.amdhsa_exception_fp_denorm_src 0
		.amdhsa_exception_fp_ieee_div_zero 0
		.amdhsa_exception_fp_ieee_overflow 0
		.amdhsa_exception_fp_ieee_underflow 0
		.amdhsa_exception_fp_ieee_inexact 0
		.amdhsa_exception_int_div_zero 0
	.end_amdhsa_kernel
	.section	.text._ZN7rocprim17ROCPRIM_400000_NS6detail17trampoline_kernelINS0_14default_configENS1_36segmented_radix_sort_config_selectorIilEEZNS1_25segmented_radix_sort_implIS3_Lb1EPKiPiPKlPlN2at6native12_GLOBAL__N_18offset_tEEE10hipError_tPvRmT1_PNSt15iterator_traitsISK_E10value_typeET2_T3_PNSL_ISQ_E10value_typeET4_jRbjT5_SW_jjP12ihipStream_tbEUlT_E0_NS1_11comp_targetILNS1_3genE8ELNS1_11target_archE1030ELNS1_3gpuE2ELNS1_3repE0EEENS1_60segmented_radix_sort_warp_sort_medium_config_static_selectorELNS0_4arch9wavefront6targetE1EEEvSK_,"axG",@progbits,_ZN7rocprim17ROCPRIM_400000_NS6detail17trampoline_kernelINS0_14default_configENS1_36segmented_radix_sort_config_selectorIilEEZNS1_25segmented_radix_sort_implIS3_Lb1EPKiPiPKlPlN2at6native12_GLOBAL__N_18offset_tEEE10hipError_tPvRmT1_PNSt15iterator_traitsISK_E10value_typeET2_T3_PNSL_ISQ_E10value_typeET4_jRbjT5_SW_jjP12ihipStream_tbEUlT_E0_NS1_11comp_targetILNS1_3genE8ELNS1_11target_archE1030ELNS1_3gpuE2ELNS1_3repE0EEENS1_60segmented_radix_sort_warp_sort_medium_config_static_selectorELNS0_4arch9wavefront6targetE1EEEvSK_,comdat
.Lfunc_end516:
	.size	_ZN7rocprim17ROCPRIM_400000_NS6detail17trampoline_kernelINS0_14default_configENS1_36segmented_radix_sort_config_selectorIilEEZNS1_25segmented_radix_sort_implIS3_Lb1EPKiPiPKlPlN2at6native12_GLOBAL__N_18offset_tEEE10hipError_tPvRmT1_PNSt15iterator_traitsISK_E10value_typeET2_T3_PNSL_ISQ_E10value_typeET4_jRbjT5_SW_jjP12ihipStream_tbEUlT_E0_NS1_11comp_targetILNS1_3genE8ELNS1_11target_archE1030ELNS1_3gpuE2ELNS1_3repE0EEENS1_60segmented_radix_sort_warp_sort_medium_config_static_selectorELNS0_4arch9wavefront6targetE1EEEvSK_, .Lfunc_end516-_ZN7rocprim17ROCPRIM_400000_NS6detail17trampoline_kernelINS0_14default_configENS1_36segmented_radix_sort_config_selectorIilEEZNS1_25segmented_radix_sort_implIS3_Lb1EPKiPiPKlPlN2at6native12_GLOBAL__N_18offset_tEEE10hipError_tPvRmT1_PNSt15iterator_traitsISK_E10value_typeET2_T3_PNSL_ISQ_E10value_typeET4_jRbjT5_SW_jjP12ihipStream_tbEUlT_E0_NS1_11comp_targetILNS1_3genE8ELNS1_11target_archE1030ELNS1_3gpuE2ELNS1_3repE0EEENS1_60segmented_radix_sort_warp_sort_medium_config_static_selectorELNS0_4arch9wavefront6targetE1EEEvSK_
                                        ; -- End function
	.section	.AMDGPU.csdata,"",@progbits
; Kernel info:
; codeLenInByte = 0
; NumSgprs: 4
; NumVgprs: 0
; NumAgprs: 0
; TotalNumVgprs: 0
; ScratchSize: 0
; MemoryBound: 0
; FloatMode: 240
; IeeeMode: 1
; LDSByteSize: 0 bytes/workgroup (compile time only)
; SGPRBlocks: 0
; VGPRBlocks: 0
; NumSGPRsForWavesPerEU: 4
; NumVGPRsForWavesPerEU: 1
; AccumOffset: 4
; Occupancy: 8
; WaveLimiterHint : 0
; COMPUTE_PGM_RSRC2:SCRATCH_EN: 0
; COMPUTE_PGM_RSRC2:USER_SGPR: 6
; COMPUTE_PGM_RSRC2:TRAP_HANDLER: 0
; COMPUTE_PGM_RSRC2:TGID_X_EN: 1
; COMPUTE_PGM_RSRC2:TGID_Y_EN: 0
; COMPUTE_PGM_RSRC2:TGID_Z_EN: 0
; COMPUTE_PGM_RSRC2:TIDIG_COMP_CNT: 0
; COMPUTE_PGM_RSRC3_GFX90A:ACCUM_OFFSET: 0
; COMPUTE_PGM_RSRC3_GFX90A:TG_SPLIT: 0
	.section	.text._ZN7rocprim17ROCPRIM_400000_NS6detail17trampoline_kernelINS0_14default_configENS1_36segmented_radix_sort_config_selectorIilEEZNS1_25segmented_radix_sort_implIS3_Lb1EPKiPiPKlPlN2at6native12_GLOBAL__N_18offset_tEEE10hipError_tPvRmT1_PNSt15iterator_traitsISK_E10value_typeET2_T3_PNSL_ISQ_E10value_typeET4_jRbjT5_SW_jjP12ihipStream_tbEUlT_E1_NS1_11comp_targetILNS1_3genE0ELNS1_11target_archE4294967295ELNS1_3gpuE0ELNS1_3repE0EEENS1_59segmented_radix_sort_warp_sort_small_config_static_selectorELNS0_4arch9wavefront6targetE1EEEvSK_,"axG",@progbits,_ZN7rocprim17ROCPRIM_400000_NS6detail17trampoline_kernelINS0_14default_configENS1_36segmented_radix_sort_config_selectorIilEEZNS1_25segmented_radix_sort_implIS3_Lb1EPKiPiPKlPlN2at6native12_GLOBAL__N_18offset_tEEE10hipError_tPvRmT1_PNSt15iterator_traitsISK_E10value_typeET2_T3_PNSL_ISQ_E10value_typeET4_jRbjT5_SW_jjP12ihipStream_tbEUlT_E1_NS1_11comp_targetILNS1_3genE0ELNS1_11target_archE4294967295ELNS1_3gpuE0ELNS1_3repE0EEENS1_59segmented_radix_sort_warp_sort_small_config_static_selectorELNS0_4arch9wavefront6targetE1EEEvSK_,comdat
	.globl	_ZN7rocprim17ROCPRIM_400000_NS6detail17trampoline_kernelINS0_14default_configENS1_36segmented_radix_sort_config_selectorIilEEZNS1_25segmented_radix_sort_implIS3_Lb1EPKiPiPKlPlN2at6native12_GLOBAL__N_18offset_tEEE10hipError_tPvRmT1_PNSt15iterator_traitsISK_E10value_typeET2_T3_PNSL_ISQ_E10value_typeET4_jRbjT5_SW_jjP12ihipStream_tbEUlT_E1_NS1_11comp_targetILNS1_3genE0ELNS1_11target_archE4294967295ELNS1_3gpuE0ELNS1_3repE0EEENS1_59segmented_radix_sort_warp_sort_small_config_static_selectorELNS0_4arch9wavefront6targetE1EEEvSK_ ; -- Begin function _ZN7rocprim17ROCPRIM_400000_NS6detail17trampoline_kernelINS0_14default_configENS1_36segmented_radix_sort_config_selectorIilEEZNS1_25segmented_radix_sort_implIS3_Lb1EPKiPiPKlPlN2at6native12_GLOBAL__N_18offset_tEEE10hipError_tPvRmT1_PNSt15iterator_traitsISK_E10value_typeET2_T3_PNSL_ISQ_E10value_typeET4_jRbjT5_SW_jjP12ihipStream_tbEUlT_E1_NS1_11comp_targetILNS1_3genE0ELNS1_11target_archE4294967295ELNS1_3gpuE0ELNS1_3repE0EEENS1_59segmented_radix_sort_warp_sort_small_config_static_selectorELNS0_4arch9wavefront6targetE1EEEvSK_
	.p2align	8
	.type	_ZN7rocprim17ROCPRIM_400000_NS6detail17trampoline_kernelINS0_14default_configENS1_36segmented_radix_sort_config_selectorIilEEZNS1_25segmented_radix_sort_implIS3_Lb1EPKiPiPKlPlN2at6native12_GLOBAL__N_18offset_tEEE10hipError_tPvRmT1_PNSt15iterator_traitsISK_E10value_typeET2_T3_PNSL_ISQ_E10value_typeET4_jRbjT5_SW_jjP12ihipStream_tbEUlT_E1_NS1_11comp_targetILNS1_3genE0ELNS1_11target_archE4294967295ELNS1_3gpuE0ELNS1_3repE0EEENS1_59segmented_radix_sort_warp_sort_small_config_static_selectorELNS0_4arch9wavefront6targetE1EEEvSK_,@function
_ZN7rocprim17ROCPRIM_400000_NS6detail17trampoline_kernelINS0_14default_configENS1_36segmented_radix_sort_config_selectorIilEEZNS1_25segmented_radix_sort_implIS3_Lb1EPKiPiPKlPlN2at6native12_GLOBAL__N_18offset_tEEE10hipError_tPvRmT1_PNSt15iterator_traitsISK_E10value_typeET2_T3_PNSL_ISQ_E10value_typeET4_jRbjT5_SW_jjP12ihipStream_tbEUlT_E1_NS1_11comp_targetILNS1_3genE0ELNS1_11target_archE4294967295ELNS1_3gpuE0ELNS1_3repE0EEENS1_59segmented_radix_sort_warp_sort_small_config_static_selectorELNS0_4arch9wavefront6targetE1EEEvSK_: ; @_ZN7rocprim17ROCPRIM_400000_NS6detail17trampoline_kernelINS0_14default_configENS1_36segmented_radix_sort_config_selectorIilEEZNS1_25segmented_radix_sort_implIS3_Lb1EPKiPiPKlPlN2at6native12_GLOBAL__N_18offset_tEEE10hipError_tPvRmT1_PNSt15iterator_traitsISK_E10value_typeET2_T3_PNSL_ISQ_E10value_typeET4_jRbjT5_SW_jjP12ihipStream_tbEUlT_E1_NS1_11comp_targetILNS1_3genE0ELNS1_11target_archE4294967295ELNS1_3gpuE0ELNS1_3repE0EEENS1_59segmented_radix_sort_warp_sort_small_config_static_selectorELNS0_4arch9wavefront6targetE1EEEvSK_
; %bb.0:
	.section	.rodata,"a",@progbits
	.p2align	6, 0x0
	.amdhsa_kernel _ZN7rocprim17ROCPRIM_400000_NS6detail17trampoline_kernelINS0_14default_configENS1_36segmented_radix_sort_config_selectorIilEEZNS1_25segmented_radix_sort_implIS3_Lb1EPKiPiPKlPlN2at6native12_GLOBAL__N_18offset_tEEE10hipError_tPvRmT1_PNSt15iterator_traitsISK_E10value_typeET2_T3_PNSL_ISQ_E10value_typeET4_jRbjT5_SW_jjP12ihipStream_tbEUlT_E1_NS1_11comp_targetILNS1_3genE0ELNS1_11target_archE4294967295ELNS1_3gpuE0ELNS1_3repE0EEENS1_59segmented_radix_sort_warp_sort_small_config_static_selectorELNS0_4arch9wavefront6targetE1EEEvSK_
		.amdhsa_group_segment_fixed_size 0
		.amdhsa_private_segment_fixed_size 0
		.amdhsa_kernarg_size 88
		.amdhsa_user_sgpr_count 6
		.amdhsa_user_sgpr_private_segment_buffer 1
		.amdhsa_user_sgpr_dispatch_ptr 0
		.amdhsa_user_sgpr_queue_ptr 0
		.amdhsa_user_sgpr_kernarg_segment_ptr 1
		.amdhsa_user_sgpr_dispatch_id 0
		.amdhsa_user_sgpr_flat_scratch_init 0
		.amdhsa_user_sgpr_kernarg_preload_length 0
		.amdhsa_user_sgpr_kernarg_preload_offset 0
		.amdhsa_user_sgpr_private_segment_size 0
		.amdhsa_uses_dynamic_stack 0
		.amdhsa_system_sgpr_private_segment_wavefront_offset 0
		.amdhsa_system_sgpr_workgroup_id_x 1
		.amdhsa_system_sgpr_workgroup_id_y 0
		.amdhsa_system_sgpr_workgroup_id_z 0
		.amdhsa_system_sgpr_workgroup_info 0
		.amdhsa_system_vgpr_workitem_id 0
		.amdhsa_next_free_vgpr 1
		.amdhsa_next_free_sgpr 0
		.amdhsa_accum_offset 4
		.amdhsa_reserve_vcc 0
		.amdhsa_reserve_flat_scratch 0
		.amdhsa_float_round_mode_32 0
		.amdhsa_float_round_mode_16_64 0
		.amdhsa_float_denorm_mode_32 3
		.amdhsa_float_denorm_mode_16_64 3
		.amdhsa_dx10_clamp 1
		.amdhsa_ieee_mode 1
		.amdhsa_fp16_overflow 0
		.amdhsa_tg_split 0
		.amdhsa_exception_fp_ieee_invalid_op 0
		.amdhsa_exception_fp_denorm_src 0
		.amdhsa_exception_fp_ieee_div_zero 0
		.amdhsa_exception_fp_ieee_overflow 0
		.amdhsa_exception_fp_ieee_underflow 0
		.amdhsa_exception_fp_ieee_inexact 0
		.amdhsa_exception_int_div_zero 0
	.end_amdhsa_kernel
	.section	.text._ZN7rocprim17ROCPRIM_400000_NS6detail17trampoline_kernelINS0_14default_configENS1_36segmented_radix_sort_config_selectorIilEEZNS1_25segmented_radix_sort_implIS3_Lb1EPKiPiPKlPlN2at6native12_GLOBAL__N_18offset_tEEE10hipError_tPvRmT1_PNSt15iterator_traitsISK_E10value_typeET2_T3_PNSL_ISQ_E10value_typeET4_jRbjT5_SW_jjP12ihipStream_tbEUlT_E1_NS1_11comp_targetILNS1_3genE0ELNS1_11target_archE4294967295ELNS1_3gpuE0ELNS1_3repE0EEENS1_59segmented_radix_sort_warp_sort_small_config_static_selectorELNS0_4arch9wavefront6targetE1EEEvSK_,"axG",@progbits,_ZN7rocprim17ROCPRIM_400000_NS6detail17trampoline_kernelINS0_14default_configENS1_36segmented_radix_sort_config_selectorIilEEZNS1_25segmented_radix_sort_implIS3_Lb1EPKiPiPKlPlN2at6native12_GLOBAL__N_18offset_tEEE10hipError_tPvRmT1_PNSt15iterator_traitsISK_E10value_typeET2_T3_PNSL_ISQ_E10value_typeET4_jRbjT5_SW_jjP12ihipStream_tbEUlT_E1_NS1_11comp_targetILNS1_3genE0ELNS1_11target_archE4294967295ELNS1_3gpuE0ELNS1_3repE0EEENS1_59segmented_radix_sort_warp_sort_small_config_static_selectorELNS0_4arch9wavefront6targetE1EEEvSK_,comdat
.Lfunc_end517:
	.size	_ZN7rocprim17ROCPRIM_400000_NS6detail17trampoline_kernelINS0_14default_configENS1_36segmented_radix_sort_config_selectorIilEEZNS1_25segmented_radix_sort_implIS3_Lb1EPKiPiPKlPlN2at6native12_GLOBAL__N_18offset_tEEE10hipError_tPvRmT1_PNSt15iterator_traitsISK_E10value_typeET2_T3_PNSL_ISQ_E10value_typeET4_jRbjT5_SW_jjP12ihipStream_tbEUlT_E1_NS1_11comp_targetILNS1_3genE0ELNS1_11target_archE4294967295ELNS1_3gpuE0ELNS1_3repE0EEENS1_59segmented_radix_sort_warp_sort_small_config_static_selectorELNS0_4arch9wavefront6targetE1EEEvSK_, .Lfunc_end517-_ZN7rocprim17ROCPRIM_400000_NS6detail17trampoline_kernelINS0_14default_configENS1_36segmented_radix_sort_config_selectorIilEEZNS1_25segmented_radix_sort_implIS3_Lb1EPKiPiPKlPlN2at6native12_GLOBAL__N_18offset_tEEE10hipError_tPvRmT1_PNSt15iterator_traitsISK_E10value_typeET2_T3_PNSL_ISQ_E10value_typeET4_jRbjT5_SW_jjP12ihipStream_tbEUlT_E1_NS1_11comp_targetILNS1_3genE0ELNS1_11target_archE4294967295ELNS1_3gpuE0ELNS1_3repE0EEENS1_59segmented_radix_sort_warp_sort_small_config_static_selectorELNS0_4arch9wavefront6targetE1EEEvSK_
                                        ; -- End function
	.section	.AMDGPU.csdata,"",@progbits
; Kernel info:
; codeLenInByte = 0
; NumSgprs: 4
; NumVgprs: 0
; NumAgprs: 0
; TotalNumVgprs: 0
; ScratchSize: 0
; MemoryBound: 0
; FloatMode: 240
; IeeeMode: 1
; LDSByteSize: 0 bytes/workgroup (compile time only)
; SGPRBlocks: 0
; VGPRBlocks: 0
; NumSGPRsForWavesPerEU: 4
; NumVGPRsForWavesPerEU: 1
; AccumOffset: 4
; Occupancy: 8
; WaveLimiterHint : 0
; COMPUTE_PGM_RSRC2:SCRATCH_EN: 0
; COMPUTE_PGM_RSRC2:USER_SGPR: 6
; COMPUTE_PGM_RSRC2:TRAP_HANDLER: 0
; COMPUTE_PGM_RSRC2:TGID_X_EN: 1
; COMPUTE_PGM_RSRC2:TGID_Y_EN: 0
; COMPUTE_PGM_RSRC2:TGID_Z_EN: 0
; COMPUTE_PGM_RSRC2:TIDIG_COMP_CNT: 0
; COMPUTE_PGM_RSRC3_GFX90A:ACCUM_OFFSET: 0
; COMPUTE_PGM_RSRC3_GFX90A:TG_SPLIT: 0
	.section	.text._ZN7rocprim17ROCPRIM_400000_NS6detail17trampoline_kernelINS0_14default_configENS1_36segmented_radix_sort_config_selectorIilEEZNS1_25segmented_radix_sort_implIS3_Lb1EPKiPiPKlPlN2at6native12_GLOBAL__N_18offset_tEEE10hipError_tPvRmT1_PNSt15iterator_traitsISK_E10value_typeET2_T3_PNSL_ISQ_E10value_typeET4_jRbjT5_SW_jjP12ihipStream_tbEUlT_E1_NS1_11comp_targetILNS1_3genE5ELNS1_11target_archE942ELNS1_3gpuE9ELNS1_3repE0EEENS1_59segmented_radix_sort_warp_sort_small_config_static_selectorELNS0_4arch9wavefront6targetE1EEEvSK_,"axG",@progbits,_ZN7rocprim17ROCPRIM_400000_NS6detail17trampoline_kernelINS0_14default_configENS1_36segmented_radix_sort_config_selectorIilEEZNS1_25segmented_radix_sort_implIS3_Lb1EPKiPiPKlPlN2at6native12_GLOBAL__N_18offset_tEEE10hipError_tPvRmT1_PNSt15iterator_traitsISK_E10value_typeET2_T3_PNSL_ISQ_E10value_typeET4_jRbjT5_SW_jjP12ihipStream_tbEUlT_E1_NS1_11comp_targetILNS1_3genE5ELNS1_11target_archE942ELNS1_3gpuE9ELNS1_3repE0EEENS1_59segmented_radix_sort_warp_sort_small_config_static_selectorELNS0_4arch9wavefront6targetE1EEEvSK_,comdat
	.globl	_ZN7rocprim17ROCPRIM_400000_NS6detail17trampoline_kernelINS0_14default_configENS1_36segmented_radix_sort_config_selectorIilEEZNS1_25segmented_radix_sort_implIS3_Lb1EPKiPiPKlPlN2at6native12_GLOBAL__N_18offset_tEEE10hipError_tPvRmT1_PNSt15iterator_traitsISK_E10value_typeET2_T3_PNSL_ISQ_E10value_typeET4_jRbjT5_SW_jjP12ihipStream_tbEUlT_E1_NS1_11comp_targetILNS1_3genE5ELNS1_11target_archE942ELNS1_3gpuE9ELNS1_3repE0EEENS1_59segmented_radix_sort_warp_sort_small_config_static_selectorELNS0_4arch9wavefront6targetE1EEEvSK_ ; -- Begin function _ZN7rocprim17ROCPRIM_400000_NS6detail17trampoline_kernelINS0_14default_configENS1_36segmented_radix_sort_config_selectorIilEEZNS1_25segmented_radix_sort_implIS3_Lb1EPKiPiPKlPlN2at6native12_GLOBAL__N_18offset_tEEE10hipError_tPvRmT1_PNSt15iterator_traitsISK_E10value_typeET2_T3_PNSL_ISQ_E10value_typeET4_jRbjT5_SW_jjP12ihipStream_tbEUlT_E1_NS1_11comp_targetILNS1_3genE5ELNS1_11target_archE942ELNS1_3gpuE9ELNS1_3repE0EEENS1_59segmented_radix_sort_warp_sort_small_config_static_selectorELNS0_4arch9wavefront6targetE1EEEvSK_
	.p2align	8
	.type	_ZN7rocprim17ROCPRIM_400000_NS6detail17trampoline_kernelINS0_14default_configENS1_36segmented_radix_sort_config_selectorIilEEZNS1_25segmented_radix_sort_implIS3_Lb1EPKiPiPKlPlN2at6native12_GLOBAL__N_18offset_tEEE10hipError_tPvRmT1_PNSt15iterator_traitsISK_E10value_typeET2_T3_PNSL_ISQ_E10value_typeET4_jRbjT5_SW_jjP12ihipStream_tbEUlT_E1_NS1_11comp_targetILNS1_3genE5ELNS1_11target_archE942ELNS1_3gpuE9ELNS1_3repE0EEENS1_59segmented_radix_sort_warp_sort_small_config_static_selectorELNS0_4arch9wavefront6targetE1EEEvSK_,@function
_ZN7rocprim17ROCPRIM_400000_NS6detail17trampoline_kernelINS0_14default_configENS1_36segmented_radix_sort_config_selectorIilEEZNS1_25segmented_radix_sort_implIS3_Lb1EPKiPiPKlPlN2at6native12_GLOBAL__N_18offset_tEEE10hipError_tPvRmT1_PNSt15iterator_traitsISK_E10value_typeET2_T3_PNSL_ISQ_E10value_typeET4_jRbjT5_SW_jjP12ihipStream_tbEUlT_E1_NS1_11comp_targetILNS1_3genE5ELNS1_11target_archE942ELNS1_3gpuE9ELNS1_3repE0EEENS1_59segmented_radix_sort_warp_sort_small_config_static_selectorELNS0_4arch9wavefront6targetE1EEEvSK_: ; @_ZN7rocprim17ROCPRIM_400000_NS6detail17trampoline_kernelINS0_14default_configENS1_36segmented_radix_sort_config_selectorIilEEZNS1_25segmented_radix_sort_implIS3_Lb1EPKiPiPKlPlN2at6native12_GLOBAL__N_18offset_tEEE10hipError_tPvRmT1_PNSt15iterator_traitsISK_E10value_typeET2_T3_PNSL_ISQ_E10value_typeET4_jRbjT5_SW_jjP12ihipStream_tbEUlT_E1_NS1_11comp_targetILNS1_3genE5ELNS1_11target_archE942ELNS1_3gpuE9ELNS1_3repE0EEENS1_59segmented_radix_sort_warp_sort_small_config_static_selectorELNS0_4arch9wavefront6targetE1EEEvSK_
; %bb.0:
	.section	.rodata,"a",@progbits
	.p2align	6, 0x0
	.amdhsa_kernel _ZN7rocprim17ROCPRIM_400000_NS6detail17trampoline_kernelINS0_14default_configENS1_36segmented_radix_sort_config_selectorIilEEZNS1_25segmented_radix_sort_implIS3_Lb1EPKiPiPKlPlN2at6native12_GLOBAL__N_18offset_tEEE10hipError_tPvRmT1_PNSt15iterator_traitsISK_E10value_typeET2_T3_PNSL_ISQ_E10value_typeET4_jRbjT5_SW_jjP12ihipStream_tbEUlT_E1_NS1_11comp_targetILNS1_3genE5ELNS1_11target_archE942ELNS1_3gpuE9ELNS1_3repE0EEENS1_59segmented_radix_sort_warp_sort_small_config_static_selectorELNS0_4arch9wavefront6targetE1EEEvSK_
		.amdhsa_group_segment_fixed_size 0
		.amdhsa_private_segment_fixed_size 0
		.amdhsa_kernarg_size 88
		.amdhsa_user_sgpr_count 6
		.amdhsa_user_sgpr_private_segment_buffer 1
		.amdhsa_user_sgpr_dispatch_ptr 0
		.amdhsa_user_sgpr_queue_ptr 0
		.amdhsa_user_sgpr_kernarg_segment_ptr 1
		.amdhsa_user_sgpr_dispatch_id 0
		.amdhsa_user_sgpr_flat_scratch_init 0
		.amdhsa_user_sgpr_kernarg_preload_length 0
		.amdhsa_user_sgpr_kernarg_preload_offset 0
		.amdhsa_user_sgpr_private_segment_size 0
		.amdhsa_uses_dynamic_stack 0
		.amdhsa_system_sgpr_private_segment_wavefront_offset 0
		.amdhsa_system_sgpr_workgroup_id_x 1
		.amdhsa_system_sgpr_workgroup_id_y 0
		.amdhsa_system_sgpr_workgroup_id_z 0
		.amdhsa_system_sgpr_workgroup_info 0
		.amdhsa_system_vgpr_workitem_id 0
		.amdhsa_next_free_vgpr 1
		.amdhsa_next_free_sgpr 0
		.amdhsa_accum_offset 4
		.amdhsa_reserve_vcc 0
		.amdhsa_reserve_flat_scratch 0
		.amdhsa_float_round_mode_32 0
		.amdhsa_float_round_mode_16_64 0
		.amdhsa_float_denorm_mode_32 3
		.amdhsa_float_denorm_mode_16_64 3
		.amdhsa_dx10_clamp 1
		.amdhsa_ieee_mode 1
		.amdhsa_fp16_overflow 0
		.amdhsa_tg_split 0
		.amdhsa_exception_fp_ieee_invalid_op 0
		.amdhsa_exception_fp_denorm_src 0
		.amdhsa_exception_fp_ieee_div_zero 0
		.amdhsa_exception_fp_ieee_overflow 0
		.amdhsa_exception_fp_ieee_underflow 0
		.amdhsa_exception_fp_ieee_inexact 0
		.amdhsa_exception_int_div_zero 0
	.end_amdhsa_kernel
	.section	.text._ZN7rocprim17ROCPRIM_400000_NS6detail17trampoline_kernelINS0_14default_configENS1_36segmented_radix_sort_config_selectorIilEEZNS1_25segmented_radix_sort_implIS3_Lb1EPKiPiPKlPlN2at6native12_GLOBAL__N_18offset_tEEE10hipError_tPvRmT1_PNSt15iterator_traitsISK_E10value_typeET2_T3_PNSL_ISQ_E10value_typeET4_jRbjT5_SW_jjP12ihipStream_tbEUlT_E1_NS1_11comp_targetILNS1_3genE5ELNS1_11target_archE942ELNS1_3gpuE9ELNS1_3repE0EEENS1_59segmented_radix_sort_warp_sort_small_config_static_selectorELNS0_4arch9wavefront6targetE1EEEvSK_,"axG",@progbits,_ZN7rocprim17ROCPRIM_400000_NS6detail17trampoline_kernelINS0_14default_configENS1_36segmented_radix_sort_config_selectorIilEEZNS1_25segmented_radix_sort_implIS3_Lb1EPKiPiPKlPlN2at6native12_GLOBAL__N_18offset_tEEE10hipError_tPvRmT1_PNSt15iterator_traitsISK_E10value_typeET2_T3_PNSL_ISQ_E10value_typeET4_jRbjT5_SW_jjP12ihipStream_tbEUlT_E1_NS1_11comp_targetILNS1_3genE5ELNS1_11target_archE942ELNS1_3gpuE9ELNS1_3repE0EEENS1_59segmented_radix_sort_warp_sort_small_config_static_selectorELNS0_4arch9wavefront6targetE1EEEvSK_,comdat
.Lfunc_end518:
	.size	_ZN7rocprim17ROCPRIM_400000_NS6detail17trampoline_kernelINS0_14default_configENS1_36segmented_radix_sort_config_selectorIilEEZNS1_25segmented_radix_sort_implIS3_Lb1EPKiPiPKlPlN2at6native12_GLOBAL__N_18offset_tEEE10hipError_tPvRmT1_PNSt15iterator_traitsISK_E10value_typeET2_T3_PNSL_ISQ_E10value_typeET4_jRbjT5_SW_jjP12ihipStream_tbEUlT_E1_NS1_11comp_targetILNS1_3genE5ELNS1_11target_archE942ELNS1_3gpuE9ELNS1_3repE0EEENS1_59segmented_radix_sort_warp_sort_small_config_static_selectorELNS0_4arch9wavefront6targetE1EEEvSK_, .Lfunc_end518-_ZN7rocprim17ROCPRIM_400000_NS6detail17trampoline_kernelINS0_14default_configENS1_36segmented_radix_sort_config_selectorIilEEZNS1_25segmented_radix_sort_implIS3_Lb1EPKiPiPKlPlN2at6native12_GLOBAL__N_18offset_tEEE10hipError_tPvRmT1_PNSt15iterator_traitsISK_E10value_typeET2_T3_PNSL_ISQ_E10value_typeET4_jRbjT5_SW_jjP12ihipStream_tbEUlT_E1_NS1_11comp_targetILNS1_3genE5ELNS1_11target_archE942ELNS1_3gpuE9ELNS1_3repE0EEENS1_59segmented_radix_sort_warp_sort_small_config_static_selectorELNS0_4arch9wavefront6targetE1EEEvSK_
                                        ; -- End function
	.section	.AMDGPU.csdata,"",@progbits
; Kernel info:
; codeLenInByte = 0
; NumSgprs: 4
; NumVgprs: 0
; NumAgprs: 0
; TotalNumVgprs: 0
; ScratchSize: 0
; MemoryBound: 0
; FloatMode: 240
; IeeeMode: 1
; LDSByteSize: 0 bytes/workgroup (compile time only)
; SGPRBlocks: 0
; VGPRBlocks: 0
; NumSGPRsForWavesPerEU: 4
; NumVGPRsForWavesPerEU: 1
; AccumOffset: 4
; Occupancy: 8
; WaveLimiterHint : 0
; COMPUTE_PGM_RSRC2:SCRATCH_EN: 0
; COMPUTE_PGM_RSRC2:USER_SGPR: 6
; COMPUTE_PGM_RSRC2:TRAP_HANDLER: 0
; COMPUTE_PGM_RSRC2:TGID_X_EN: 1
; COMPUTE_PGM_RSRC2:TGID_Y_EN: 0
; COMPUTE_PGM_RSRC2:TGID_Z_EN: 0
; COMPUTE_PGM_RSRC2:TIDIG_COMP_CNT: 0
; COMPUTE_PGM_RSRC3_GFX90A:ACCUM_OFFSET: 0
; COMPUTE_PGM_RSRC3_GFX90A:TG_SPLIT: 0
	.text
	.p2align	2                               ; -- Begin function _ZN7rocprim17ROCPRIM_400000_NS6detail26segmented_warp_sort_helperINS1_20WarpSortHelperConfigILj8ELj4ELj256EEEilLi256ELb1EvE4sortIPKiPiPKlPlEEvT_T0_T1_T2_jjjjRNS5_12storage_typeE
	.type	_ZN7rocprim17ROCPRIM_400000_NS6detail26segmented_warp_sort_helperINS1_20WarpSortHelperConfigILj8ELj4ELj256EEEilLi256ELb1EvE4sortIPKiPiPKlPlEEvT_T0_T1_T2_jjjjRNS5_12storage_typeE,@function
_ZN7rocprim17ROCPRIM_400000_NS6detail26segmented_warp_sort_helperINS1_20WarpSortHelperConfigILj8ELj4ELj256EEEilLi256ELb1EvE4sortIPKiPiPKlPlEEvT_T0_T1_T2_jjjjRNS5_12storage_typeE: ; @_ZN7rocprim17ROCPRIM_400000_NS6detail26segmented_warp_sort_helperINS1_20WarpSortHelperConfigILj8ELj4ELj256EEEilLi256ELb1EvE4sortIPKiPiPKlPlEEvT_T0_T1_T2_jjjjRNS5_12storage_typeE
; %bb.0:
	s_waitcnt vmcnt(0) expcnt(0) lgkmcnt(0)
	v_mbcnt_lo_u32_b32 v15, -1, 0
	v_sub_u32_e32 v14, v9, v8
	v_mov_b32_e32 v9, 0
	v_mbcnt_hi_u32_b32 v15, -1, v15
	v_lshlrev_b64 v[84:85], 2, v[8:9]
	v_lshlrev_b32_e32 v97, 2, v15
	v_add_co_u32_e32 v0, vcc, v0, v84
	v_and_b32_e32 v98, 28, v97
	v_addc_co_u32_e32 v1, vcc, v1, v85, vcc
	v_lshlrev_b32_e32 v30, 2, v98
	v_add_co_u32_e32 v0, vcc, v0, v30
	v_addc_co_u32_e32 v1, vcc, 0, v1, vcc
	v_cmp_lt_u32_e64 s[4:5], v98, v14
	v_bfrev_b32_e32 v81, 1
	v_bfrev_b32_e32 v80, 1
	s_and_saveexec_b64 s[6:7], s[4:5]
	s_cbranch_execz .LBB519_2
; %bb.1:
	flat_load_dword v80, v[0:1]
.LBB519_2:
	s_or_b64 exec, exec, s[6:7]
	v_or_b32_e32 v15, 1, v98
	v_cmp_lt_u32_e64 s[6:7], v15, v14
	s_and_saveexec_b64 s[10:11], s[6:7]
	s_cbranch_execz .LBB519_4
; %bb.3:
	flat_load_dword v81, v[0:1] offset:4
.LBB519_4:
	s_or_b64 exec, exec, s[10:11]
	v_or_b32_e32 v15, 2, v98
	v_cmp_lt_u32_e64 s[16:17], v15, v14
	v_bfrev_b32_e32 v83, 1
	v_bfrev_b32_e32 v82, 1
	s_and_saveexec_b64 s[10:11], s[16:17]
	s_cbranch_execz .LBB519_6
; %bb.5:
	flat_load_dword v82, v[0:1] offset:8
.LBB519_6:
	s_or_b64 exec, exec, s[10:11]
	v_or_b32_e32 v15, 3, v98
	v_cmp_lt_u32_e64 s[10:11], v15, v14
	s_and_saveexec_b64 s[14:15], s[10:11]
	s_cbranch_execz .LBB519_8
; %bb.7:
	flat_load_dword v83, v[0:1] offset:12
.LBB519_8:
	s_or_b64 exec, exec, s[14:15]
	v_lshlrev_b64 v[86:87], 3, v[8:9]
	v_add_co_u32_e32 v0, vcc, v4, v86
	v_addc_co_u32_e32 v1, vcc, v5, v87, vcc
	v_lshlrev_b32_e32 v96, 3, v98
	v_add_co_u32_e32 v0, vcc, v0, v96
	v_addc_co_u32_e32 v1, vcc, 0, v1, vcc
	; wave barrier
                                        ; implicit-def: $vgpr14_vgpr15
	s_and_saveexec_b64 s[14:15], s[4:5]
	s_cbranch_execz .LBB519_10
; %bb.9:
	flat_load_dwordx2 v[14:15], v[0:1]
.LBB519_10:
	s_or_b64 exec, exec, s[14:15]
	s_and_saveexec_b64 s[14:15], s[6:7]
                                        ; implicit-def: $vgpr32_vgpr33_vgpr34_vgpr35_vgpr36_vgpr37_vgpr38_vgpr39
                                        ; implicit-def: $vgpr22_vgpr23_vgpr24_vgpr25_vgpr26_vgpr27_vgpr28_vgpr29
	s_cbranch_execz .LBB519_98
; %bb.11:
	flat_load_dwordx2 v[16:17], v[0:1] offset:8
                                        ; implicit-def: $vgpr32_vgpr33_vgpr34_vgpr35_vgpr36_vgpr37_vgpr38_vgpr39
                                        ; implicit-def: $vgpr22_vgpr23_vgpr24_vgpr25_vgpr26_vgpr27_vgpr28_vgpr29
	s_or_b64 exec, exec, s[14:15]
                                        ; implicit-def: $vgpr18_vgpr19
	s_and_saveexec_b64 s[14:15], s[16:17]
	s_cbranch_execnz .LBB519_99
.LBB519_12:
	s_or_b64 exec, exec, s[14:15]
	s_and_saveexec_b64 s[14:15], s[10:11]
	s_cbranch_execz .LBB519_14
.LBB519_13:
	flat_load_dwordx2 v[28:29], v[0:1] offset:24
	s_waitcnt vmcnt(0) lgkmcnt(0)
	v_pk_mov_b32 v[20:21], v[28:29], v[28:29] op_sel:[0,1]
.LBB519_14:
	s_or_b64 exec, exec, s[14:15]
	v_cmp_ne_u32_e32 vcc, 0, v10
	v_cmp_ne_u32_e64 s[14:15], 32, v11
	s_or_b64 s[14:15], vcc, s[14:15]
	v_bfe_u32 v0, v31, 10, 10
	v_bfe_u32 v4, v31, 20, 10
	; wave barrier
	s_and_saveexec_b64 s[18:19], s[14:15]
	s_xor_b64 s[26:27], exec, s[18:19]
	s_cbranch_execz .LBB519_58
; %bb.15:
	s_load_dwordx2 s[14:15], s[8:9], 0x0
	v_mov_b32_e32 v1, 0
	v_lshlrev_b32_e64 v9, v10, -1
	s_waitcnt vmcnt(0) lgkmcnt(0)
	v_mov_b32_e32 v10, v82
	s_cmp_lt_u32 s12, s14
	s_cselect_b32 s18, 12, 18
	s_cmp_lt_u32 s13, s15
	s_cselect_b32 s14, 14, 20
	s_add_u32 s14, s8, s14
	s_addc_u32 s15, s9, 0
	s_add_u32 s18, s8, s18
	s_addc_u32 s19, s9, 0
	global_load_ushort v5, v1, s[14:15]
	global_load_ushort v8, v1, s[18:19]
	v_lshlrev_b32_e64 v1, v11, -1
	v_and_b32_e32 v11, 0x3ff, v31
	s_movk_i32 s14, 0x400
	v_xor_b32_e32 v31, v1, v9
	s_waitcnt vmcnt(1)
	v_mad_u32_u24 v0, v4, v5, v0
	s_waitcnt vmcnt(0)
	v_mul_lo_u32 v0, v0, v8
	v_add_lshl_u32 v32, v0, v11, 2
	v_cmp_gt_u32_e32 vcc, s14, v32
	v_mov_b32_e32 v11, v81
	s_and_saveexec_b64 s[18:19], vcc
	s_cbranch_execz .LBB519_27
; %bb.16:
	v_and_b32_e32 v0, v81, v31
	v_and_b32_e32 v1, v80, v31
	v_cmp_gt_u32_e32 vcc, v0, v1
	v_and_b32_e32 v9, v83, v31
	v_and_b32_e32 v11, v82, v31
	v_cndmask_b32_e32 v5, v17, v15, vcc
	v_cndmask_b32_e32 v4, v16, v14, vcc
	;; [unrolled: 1-line block ×4, first 2 shown]
	v_cmp_gt_u32_e64 s[14:15], v9, v11
	v_mov_b32_e32 v8, v82
	s_and_saveexec_b64 s[20:21], s[14:15]
; %bb.17:
	v_pk_mov_b32 v[14:15], v[36:37], v[36:37] op_sel:[0,1]
	v_mov_b32_e32 v8, v83
	v_mov_b32_e32 v83, v82
	;; [unrolled: 1-line block ×3, first 2 shown]
	v_pk_mov_b32 v[36:37], v[28:29], v[28:29] op_sel:[0,1]
	v_pk_mov_b32 v[28:29], v[14:15], v[14:15] op_sel:[0,1]
; %bb.18:
	s_or_b64 exec, exec, s[20:21]
	v_cndmask_b32_e32 v33, v81, v80, vcc
	v_and_b32_e32 v10, v33, v31
	v_cmp_le_i32_e64 s[14:15], v11, v10
                                        ; implicit-def: $vgpr9
	s_and_saveexec_b64 s[20:21], s[14:15]
	s_xor_b64 s[14:15], exec, s[20:21]
                                        ; implicit-def: $vgpr48_vgpr49_vgpr50_vgpr51_vgpr52_vgpr53_vgpr54_vgpr55
                                        ; implicit-def: $vgpr64_vgpr65_vgpr66_vgpr67_vgpr68_vgpr69_vgpr70_vgpr71
                                        ; implicit-def: $vgpr14_vgpr15_vgpr16_vgpr17_vgpr18_vgpr19_vgpr20_vgpr21
; %bb.19:
	v_mov_b32_e32 v50, v4
	v_mov_b32_e32 v67, v5
	;; [unrolled: 1-line block ×6, first 2 shown]
	v_and_b32_e32 v9, v8, v31
                                        ; implicit-def: $vgpr36_vgpr37
                                        ; implicit-def: $vgpr11
                                        ; implicit-def: $vgpr22_vgpr23_vgpr24_vgpr25_vgpr26_vgpr27_vgpr28_vgpr29
; %bb.20:
	s_or_saveexec_b64 s[14:15], s[14:15]
	v_mov_b32_e32 v18, v33
	s_xor_b64 exec, exec, s[14:15]
; %bb.21:
	v_mov_b32_e32 v50, v36
	v_mov_b32_e32 v67, v37
	;; [unrolled: 1-line block ×8, first 2 shown]
; %bb.22:
	s_or_b64 exec, exec, s[14:15]
	v_cndmask_b32_e32 v19, v80, v81, vcc
	v_and_b32_e32 v11, v19, v31
	v_cmp_gt_i32_e32 vcc, v10, v11
	v_cndmask_b32_e32 v17, v67, v1, vcc
	v_cndmask_b32_e32 v15, v1, v67, vcc
	v_and_b32_e32 v1, v83, v31
	v_cndmask_b32_e32 v16, v50, v0, vcc
	v_cndmask_b32_e32 v14, v0, v50, vcc
	v_cmp_gt_u32_e64 s[14:15], v1, v9
	v_mov_b32_e32 v0, v8
	s_and_saveexec_b64 s[20:21], s[14:15]
; %bb.23:
	v_pk_mov_b32 v[10:11], v[4:5], v[4:5] op_sel:[0,1]
	v_mov_b32_e32 v0, v83
	v_mov_b32_e32 v83, v8
	;; [unrolled: 1-line block ×3, first 2 shown]
	v_pk_mov_b32 v[4:5], v[20:21], v[20:21] op_sel:[0,1]
	v_pk_mov_b32 v[20:21], v[10:11], v[10:11] op_sel:[0,1]
; %bb.24:
	s_or_b64 exec, exec, s[20:21]
	v_cndmask_b32_e32 v1, v18, v19, vcc
	v_and_b32_e32 v8, v1, v31
	v_cmp_gt_i32_e64 s[14:15], v9, v8
	v_mov_b32_e32 v81, v1
	v_pk_mov_b32 v[8:9], v[4:5], v[4:5] op_sel:[0,1]
	v_pk_mov_b32 v[10:11], v[0:1], v[0:1] op_sel:[0,1]
	s_and_saveexec_b64 s[20:21], s[14:15]
; %bb.25:
	v_mov_b32_e32 v10, v1
	v_mov_b32_e32 v11, v0
	;; [unrolled: 1-line block ×4, first 2 shown]
	v_pk_mov_b32 v[8:9], v[16:17], v[16:17] op_sel:[0,1]
	v_pk_mov_b32 v[16:17], v[4:5], v[4:5] op_sel:[0,1]
; %bb.26:
	s_or_b64 exec, exec, s[20:21]
	v_cndmask_b32_e32 v80, v19, v18, vcc
	v_mov_b32_e32 v82, v0
	v_pk_mov_b32 v[18:19], v[8:9], v[8:9] op_sel:[0,1]
.LBB519_27:
	s_or_b64 exec, exec, s[18:19]
	v_and_b32_e32 v22, 0xffffff00, v32
	v_mov_b32_e32 v23, 0
	v_lshlrev_b64 v[0:1], 2, v[22:23]
	v_add_co_u32_e32 v24, vcc, v12, v0
	v_addc_co_u32_e32 v25, vcc, v13, v1, vcc
	v_lshlrev_b64 v[0:1], 3, v[22:23]
	v_add_co_u32_e32 v0, vcc, v12, v0
	v_addc_co_u32_e32 v1, vcc, v13, v1, vcc
	v_add_co_u32_e32 v12, vcc, 0x1000, v0
	v_addc_co_u32_e32 v13, vcc, 0, v1, vcc
	v_lshlrev_b32_e32 v0, 2, v97
	v_add_co_u32_e32 v4, vcc, v24, v0
	v_addc_co_u32_e32 v5, vcc, 0, v25, vcc
	v_lshlrev_b32_e32 v0, 3, v97
	v_add_co_u32_e32 v0, vcc, v12, v0
	s_movk_i32 s14, 0x400
	v_addc_co_u32_e32 v1, vcc, 0, v13, vcc
	v_mov_b32_e32 v8, v80
	v_mov_b32_e32 v9, v11
	;; [unrolled: 1-line block ×3, first 2 shown]
	v_sub_u32_e64 v26, s14, v22 clamp
	flat_store_dwordx4 v[0:1], v[14:17]
	flat_store_dwordx4 v[4:5], v[8:11]
	flat_store_dwordx4 v[0:1], v[18:21] offset:16
	v_or_b32_e32 v9, 4, v97
	v_min_u32_e32 v27, v26, v9
	v_add_u32_e32 v9, 4, v27
	v_and_b32_e32 v8, 0x1f8, v97
	v_min_u32_e32 v28, v26, v9
	v_and_b32_e32 v9, 4, v97
	v_min_u32_e32 v9, v26, v9
	v_sub_u32_e32 v11, v27, v8
	v_sub_u32_e32 v10, v28, v27
	v_sub_u32_e64 v10, v9, v10 clamp
	v_min_u32_e32 v11, v9, v11
	v_cmp_lt_u32_e32 vcc, v10, v11
	; wave barrier
	s_and_saveexec_b64 s[14:15], vcc
	s_cbranch_execz .LBB519_31
; %bb.28:
	v_lshlrev_b32_e32 v22, 2, v8
	v_add_co_u32_e32 v29, vcc, v24, v22
	v_addc_co_u32_e32 v32, vcc, 0, v25, vcc
	v_lshlrev_b32_e32 v22, 2, v27
	v_add_co_u32_e32 v33, vcc, v24, v22
	v_addc_co_u32_e32 v34, vcc, 0, v25, vcc
	s_mov_b64 s[18:19], 0
.LBB519_29:                             ; =>This Inner Loop Header: Depth=1
	v_add_u32_e32 v22, v11, v10
	v_lshrrev_b32_e32 v22, 1, v22
	v_lshlrev_b64 v[38:39], 2, v[22:23]
	v_mov_b32_e32 v37, v23
	v_xad_u32 v36, v22, -1, v9
	v_add_co_u32_e32 v38, vcc, v29, v38
	v_addc_co_u32_e32 v39, vcc, v32, v39, vcc
	v_lshlrev_b64 v[36:37], 2, v[36:37]
	v_add_co_u32_e32 v36, vcc, v33, v36
	v_addc_co_u32_e32 v37, vcc, v34, v37, vcc
	flat_load_dword v35, v[38:39]
	flat_load_dword v48, v[36:37]
	v_add_u32_e32 v36, 1, v22
	s_waitcnt vmcnt(0) lgkmcnt(0)
	v_and_b32_e32 v35, v35, v31
	v_and_b32_e32 v37, v48, v31
	v_cmp_gt_u32_e32 vcc, v37, v35
	v_cndmask_b32_e32 v11, v11, v22, vcc
	v_cndmask_b32_e32 v10, v36, v10, vcc
	v_cmp_ge_u32_e32 vcc, v10, v11
	s_or_b64 s[18:19], vcc, s[18:19]
	s_andn2_b64 exec, exec, s[18:19]
	s_cbranch_execnz .LBB519_29
; %bb.30:
	s_or_b64 exec, exec, s[18:19]
.LBB519_31:
	s_or_b64 exec, exec, s[14:15]
	v_add_u32_e32 v9, v27, v9
	v_add_u32_e32 v8, v10, v8
	v_sub_u32_e32 v10, v9, v10
	v_cmp_le_u32_e32 vcc, v8, v27
	v_cmp_le_u32_e64 s[14:15], v10, v28
	s_or_b64 s[14:15], vcc, s[14:15]
	s_and_saveexec_b64 s[28:29], s[14:15]
	s_cbranch_execz .LBB519_37
; %bb.32:
	v_cmp_lt_u32_e32 vcc, v8, v27
                                        ; implicit-def: $vgpr9
	s_and_saveexec_b64 s[18:19], vcc
	s_cbranch_execz .LBB519_34
; %bb.33:
	v_mov_b32_e32 v9, 0
	v_lshlrev_b64 v[14:15], 2, v[8:9]
	v_add_co_u32_e64 v14, s[14:15], v24, v14
	v_addc_co_u32_e64 v15, s[14:15], v25, v15, s[14:15]
	flat_load_dword v9, v[14:15]
.LBB519_34:
	s_or_b64 exec, exec, s[18:19]
	v_cmp_ge_u32_e64 s[14:15], v10, v28
	v_cmp_lt_u32_e64 s[18:19], v10, v28
                                        ; implicit-def: $vgpr11
	s_and_saveexec_b64 s[20:21], s[18:19]
	s_cbranch_execz .LBB519_36
; %bb.35:
	v_mov_b32_e32 v11, 0
	v_lshlrev_b64 v[14:15], 2, v[10:11]
	v_add_co_u32_e64 v14, s[18:19], v24, v14
	v_addc_co_u32_e64 v15, s[18:19], v25, v15, s[18:19]
	flat_load_dword v11, v[14:15]
.LBB519_36:
	s_or_b64 exec, exec, s[20:21]
	s_waitcnt vmcnt(0) lgkmcnt(0)
	v_and_b32_e32 v14, v11, v31
	v_and_b32_e32 v15, v9, v31
	v_cmp_le_u32_e64 s[18:19], v14, v15
	s_and_b64 s[18:19], vcc, s[18:19]
	s_or_b64 vcc, s[14:15], s[18:19]
	v_cndmask_b32_e32 v20, v10, v8, vcc
	v_cndmask_b32_e32 v16, v28, v27, vcc
	v_mov_b32_e32 v21, 0
	v_add_u32_e32 v18, 1, v20
	v_add_u32_e32 v16, -1, v16
	v_lshlrev_b64 v[14:15], 3, v[20:21]
	v_min_u32_e32 v20, v18, v16
	v_lshlrev_b64 v[16:17], 2, v[20:21]
	v_add_co_u32_e64 v16, s[14:15], v24, v16
	v_addc_co_u32_e64 v17, s[14:15], v25, v17, s[14:15]
	flat_load_dword v16, v[16:17]
	v_cndmask_b32_e32 v8, v8, v18, vcc
	v_cndmask_b32_e32 v10, v18, v10, vcc
	v_cmp_lt_u32_e64 s[18:19], v8, v27
	v_cmp_ge_u32_e64 s[14:15], v10, v28
	v_cndmask_b32_e32 v80, v11, v9, vcc
	s_waitcnt vmcnt(0) lgkmcnt(0)
	v_cndmask_b32_e32 v29, v16, v11, vcc
	v_cndmask_b32_e32 v32, v9, v16, vcc
	v_and_b32_e32 v16, v29, v31
	v_and_b32_e32 v17, v32, v31
	v_cmp_le_u32_e64 s[20:21], v16, v17
	s_and_b64 s[18:19], s[18:19], s[20:21]
	s_or_b64 s[14:15], s[14:15], s[18:19]
	v_cndmask_b32_e64 v20, v10, v8, s[14:15]
	v_cndmask_b32_e64 v18, v28, v27, s[14:15]
	v_add_u32_e32 v22, 1, v20
	v_add_u32_e32 v18, -1, v18
	v_lshlrev_b64 v[16:17], 3, v[20:21]
	v_min_u32_e32 v20, v22, v18
	v_lshlrev_b64 v[18:19], 2, v[20:21]
	v_add_co_u32_e64 v18, s[18:19], v24, v18
	v_addc_co_u32_e64 v19, s[18:19], v25, v19, s[18:19]
	flat_load_dword v18, v[18:19]
	v_cndmask_b32_e64 v8, v8, v22, s[14:15]
	v_cndmask_b32_e64 v10, v22, v10, s[14:15]
	v_cmp_lt_u32_e64 s[20:21], v8, v27
	v_cmp_ge_u32_e64 s[18:19], v10, v28
	v_cndmask_b32_e64 v81, v29, v32, s[14:15]
	s_waitcnt vmcnt(0) lgkmcnt(0)
	v_cndmask_b32_e64 v33, v18, v29, s[14:15]
	v_cndmask_b32_e64 v34, v32, v18, s[14:15]
	v_and_b32_e32 v18, v33, v31
	v_and_b32_e32 v19, v34, v31
	v_cmp_le_u32_e64 s[22:23], v18, v19
	s_and_b64 s[20:21], s[20:21], s[22:23]
	s_or_b64 s[18:19], s[18:19], s[20:21]
	v_cndmask_b32_e64 v20, v10, v8, s[18:19]
	v_cndmask_b32_e64 v22, v28, v27, s[18:19]
	v_lshlrev_b64 v[18:19], 3, v[20:21]
	v_add_u32_e32 v35, 1, v20
	v_add_u32_e32 v20, -1, v22
	v_min_u32_e32 v20, v35, v20
	v_lshlrev_b64 v[22:23], 2, v[20:21]
	v_add_co_u32_e64 v22, s[20:21], v24, v22
	v_addc_co_u32_e64 v23, s[20:21], v25, v23, s[20:21]
	flat_load_dword v20, v[22:23]
	v_add_co_u32_e64 v14, s[20:21], v12, v14
	v_addc_co_u32_e64 v15, s[20:21], v13, v15, s[20:21]
	v_add_co_u32_e64 v16, s[20:21], v12, v16
	v_addc_co_u32_e64 v17, s[20:21], v13, v17, s[20:21]
	v_cndmask_b32_e64 v8, v8, v35, s[18:19]
	v_add_co_u32_e64 v18, s[20:21], v12, v18
	v_cmp_lt_u32_e64 s[22:23], v8, v27
	v_addc_co_u32_e64 v19, s[20:21], v13, v19, s[20:21]
	v_cndmask_b32_e64 v10, v35, v10, s[18:19]
	v_cmp_ge_u32_e64 s[20:21], v10, v28
	flat_load_dwordx2 v[14:15], v[14:15]
	v_cndmask_b32_e64 v82, v33, v34, s[18:19]
	flat_load_dwordx2 v[16:17], v[16:17]
	s_waitcnt vmcnt(0) lgkmcnt(0)
	v_cndmask_b32_e64 v22, v20, v33, s[18:19]
	flat_load_dwordx2 v[18:19], v[18:19]
	v_cndmask_b32_e64 v23, v34, v20, s[18:19]
	v_and_b32_e32 v20, v22, v31
	v_and_b32_e32 v27, v23, v31
	v_cmp_le_u32_e64 s[24:25], v20, v27
	s_and_b64 s[22:23], s[22:23], s[24:25]
	s_or_b64 s[20:21], s[20:21], s[22:23]
	v_cndmask_b32_e64 v20, v10, v8, s[20:21]
	v_lshlrev_b64 v[20:21], 3, v[20:21]
	v_add_co_u32_e64 v20, s[22:23], v12, v20
	v_addc_co_u32_e64 v21, s[22:23], v13, v21, s[22:23]
	flat_load_dwordx2 v[20:21], v[20:21]
	v_cndmask_b32_e64 v83, v22, v23, s[20:21]
.LBB519_37:
	s_or_b64 exec, exec, s[28:29]
	v_and_b32_e32 v10, 0x1f0, v97
	v_or_b32_e32 v8, 8, v10
	v_min_u32_e32 v22, v26, v8
	v_add_u32_e32 v8, 8, v22
	v_min_u32_e32 v23, v26, v8
	v_and_b32_e32 v8, 12, v97
	v_min_u32_e32 v11, v26, v8
	v_sub_u32_e32 v8, v22, v10
	v_sub_u32_e32 v9, v23, v22
	v_sub_u32_e64 v27, v11, v9 clamp
	v_min_u32_e32 v28, v11, v8
	v_cmp_lt_u32_e32 vcc, v27, v28
	; wave barrier
	flat_store_dwordx4 v[0:1], v[14:17]
	flat_store_dwordx4 v[4:5], v[80:83]
	s_waitcnt vmcnt(0) lgkmcnt(0)
	flat_store_dwordx4 v[0:1], v[18:21] offset:16
	; wave barrier
	s_and_saveexec_b64 s[14:15], vcc
	s_cbranch_execz .LBB519_41
; %bb.38:
	v_lshlrev_b32_e32 v8, 2, v10
	v_add_co_u32_e32 v29, vcc, v24, v8
	v_addc_co_u32_e32 v32, vcc, 0, v25, vcc
	v_lshlrev_b32_e32 v8, 2, v22
	v_add_co_u32_e32 v33, vcc, v24, v8
	v_addc_co_u32_e32 v34, vcc, 0, v25, vcc
	s_mov_b64 s[18:19], 0
	v_mov_b32_e32 v9, 0
.LBB519_39:                             ; =>This Inner Loop Header: Depth=1
	v_add_u32_e32 v8, v28, v27
	v_lshrrev_b32_e32 v8, 1, v8
	v_lshlrev_b64 v[38:39], 2, v[8:9]
	v_mov_b32_e32 v37, v9
	v_xad_u32 v36, v8, -1, v11
	v_add_co_u32_e32 v38, vcc, v29, v38
	v_addc_co_u32_e32 v39, vcc, v32, v39, vcc
	v_lshlrev_b64 v[36:37], 2, v[36:37]
	v_add_co_u32_e32 v36, vcc, v33, v36
	v_addc_co_u32_e32 v37, vcc, v34, v37, vcc
	flat_load_dword v35, v[38:39]
	flat_load_dword v48, v[36:37]
	v_add_u32_e32 v36, 1, v8
	s_waitcnt vmcnt(0) lgkmcnt(0)
	v_and_b32_e32 v35, v35, v31
	v_and_b32_e32 v37, v48, v31
	v_cmp_gt_u32_e32 vcc, v37, v35
	v_cndmask_b32_e32 v28, v28, v8, vcc
	v_cndmask_b32_e32 v27, v36, v27, vcc
	v_cmp_ge_u32_e32 vcc, v27, v28
	s_or_b64 s[18:19], vcc, s[18:19]
	s_andn2_b64 exec, exec, s[18:19]
	s_cbranch_execnz .LBB519_39
; %bb.40:
	s_or_b64 exec, exec, s[18:19]
.LBB519_41:
	s_or_b64 exec, exec, s[14:15]
	v_add_u32_e32 v9, v22, v11
	v_add_u32_e32 v8, v27, v10
	v_sub_u32_e32 v10, v9, v27
	v_cmp_le_u32_e32 vcc, v8, v22
	v_cmp_le_u32_e64 s[14:15], v10, v23
	s_or_b64 s[14:15], vcc, s[14:15]
	s_and_saveexec_b64 s[28:29], s[14:15]
	s_cbranch_execz .LBB519_47
; %bb.42:
	v_cmp_lt_u32_e32 vcc, v8, v22
                                        ; implicit-def: $vgpr9
	s_and_saveexec_b64 s[18:19], vcc
	s_cbranch_execz .LBB519_44
; %bb.43:
	v_mov_b32_e32 v9, 0
	v_lshlrev_b64 v[14:15], 2, v[8:9]
	v_add_co_u32_e64 v14, s[14:15], v24, v14
	v_addc_co_u32_e64 v15, s[14:15], v25, v15, s[14:15]
	flat_load_dword v9, v[14:15]
.LBB519_44:
	s_or_b64 exec, exec, s[18:19]
	v_cmp_ge_u32_e64 s[14:15], v10, v23
	v_cmp_lt_u32_e64 s[18:19], v10, v23
                                        ; implicit-def: $vgpr11
	s_and_saveexec_b64 s[20:21], s[18:19]
	s_cbranch_execz .LBB519_46
; %bb.45:
	v_mov_b32_e32 v11, 0
	v_lshlrev_b64 v[14:15], 2, v[10:11]
	v_add_co_u32_e64 v14, s[18:19], v24, v14
	v_addc_co_u32_e64 v15, s[18:19], v25, v15, s[18:19]
	flat_load_dword v11, v[14:15]
.LBB519_46:
	s_or_b64 exec, exec, s[20:21]
	s_waitcnt vmcnt(0) lgkmcnt(0)
	v_and_b32_e32 v14, v11, v31
	v_and_b32_e32 v15, v9, v31
	v_cmp_le_u32_e64 s[18:19], v14, v15
	s_and_b64 s[18:19], vcc, s[18:19]
	s_or_b64 vcc, s[14:15], s[18:19]
	v_cndmask_b32_e32 v20, v10, v8, vcc
	v_cndmask_b32_e32 v16, v23, v22, vcc
	v_mov_b32_e32 v21, 0
	v_add_u32_e32 v18, 1, v20
	v_add_u32_e32 v16, -1, v16
	v_lshlrev_b64 v[14:15], 3, v[20:21]
	v_min_u32_e32 v20, v18, v16
	v_lshlrev_b64 v[16:17], 2, v[20:21]
	v_add_co_u32_e64 v16, s[14:15], v24, v16
	v_addc_co_u32_e64 v17, s[14:15], v25, v17, s[14:15]
	flat_load_dword v16, v[16:17]
	v_cndmask_b32_e32 v8, v8, v18, vcc
	v_cndmask_b32_e32 v10, v18, v10, vcc
	v_cmp_lt_u32_e64 s[18:19], v8, v22
	v_cmp_ge_u32_e64 s[14:15], v10, v23
	v_cndmask_b32_e32 v80, v11, v9, vcc
	s_waitcnt vmcnt(0) lgkmcnt(0)
	v_cndmask_b32_e32 v27, v16, v11, vcc
	v_cndmask_b32_e32 v32, v9, v16, vcc
	v_and_b32_e32 v16, v27, v31
	v_and_b32_e32 v17, v32, v31
	v_cmp_le_u32_e64 s[20:21], v16, v17
	s_and_b64 s[18:19], s[18:19], s[20:21]
	s_or_b64 s[14:15], s[14:15], s[18:19]
	v_cndmask_b32_e64 v20, v10, v8, s[14:15]
	v_cndmask_b32_e64 v18, v23, v22, s[14:15]
	v_add_u32_e32 v28, 1, v20
	v_add_u32_e32 v18, -1, v18
	v_lshlrev_b64 v[16:17], 3, v[20:21]
	v_min_u32_e32 v20, v28, v18
	v_lshlrev_b64 v[18:19], 2, v[20:21]
	v_add_co_u32_e64 v18, s[18:19], v24, v18
	v_addc_co_u32_e64 v19, s[18:19], v25, v19, s[18:19]
	flat_load_dword v18, v[18:19]
	v_cndmask_b32_e64 v8, v8, v28, s[14:15]
	v_cndmask_b32_e64 v10, v28, v10, s[14:15]
	v_cmp_lt_u32_e64 s[20:21], v8, v22
	v_cmp_ge_u32_e64 s[18:19], v10, v23
	v_cndmask_b32_e64 v81, v27, v32, s[14:15]
	s_waitcnt vmcnt(0) lgkmcnt(0)
	v_cndmask_b32_e64 v33, v18, v27, s[14:15]
	v_cndmask_b32_e64 v34, v32, v18, s[14:15]
	v_and_b32_e32 v18, v33, v31
	v_and_b32_e32 v19, v34, v31
	v_cmp_le_u32_e64 s[22:23], v18, v19
	s_and_b64 s[20:21], s[20:21], s[22:23]
	s_or_b64 s[18:19], s[18:19], s[20:21]
	v_cndmask_b32_e64 v20, v10, v8, s[18:19]
	v_cndmask_b32_e64 v28, v23, v22, s[18:19]
	v_lshlrev_b64 v[18:19], 3, v[20:21]
	v_add_u32_e32 v35, 1, v20
	v_add_u32_e32 v20, -1, v28
	v_min_u32_e32 v20, v35, v20
	v_lshlrev_b64 v[28:29], 2, v[20:21]
	v_add_co_u32_e64 v28, s[20:21], v24, v28
	v_addc_co_u32_e64 v29, s[20:21], v25, v29, s[20:21]
	flat_load_dword v20, v[28:29]
	v_add_co_u32_e64 v14, s[20:21], v12, v14
	v_addc_co_u32_e64 v15, s[20:21], v13, v15, s[20:21]
	v_add_co_u32_e64 v16, s[20:21], v12, v16
	v_addc_co_u32_e64 v17, s[20:21], v13, v17, s[20:21]
	;; [unrolled: 2-line block ×3, first 2 shown]
	v_cndmask_b32_e64 v10, v35, v10, s[18:19]
	v_cndmask_b32_e64 v8, v8, v35, s[18:19]
	v_cmp_ge_u32_e64 s[20:21], v10, v23
	v_cmp_lt_u32_e64 s[22:23], v8, v22
	flat_load_dwordx2 v[14:15], v[14:15]
	v_cndmask_b32_e64 v82, v33, v34, s[18:19]
	flat_load_dwordx2 v[16:17], v[16:17]
	s_waitcnt vmcnt(0) lgkmcnt(0)
	v_cndmask_b32_e64 v22, v20, v33, s[18:19]
	flat_load_dwordx2 v[18:19], v[18:19]
	v_cndmask_b32_e64 v23, v34, v20, s[18:19]
	v_and_b32_e32 v20, v22, v31
	v_and_b32_e32 v28, v23, v31
	v_cmp_le_u32_e64 s[24:25], v20, v28
	s_and_b64 s[22:23], s[22:23], s[24:25]
	s_or_b64 s[20:21], s[20:21], s[22:23]
	v_cndmask_b32_e64 v20, v10, v8, s[20:21]
	v_lshlrev_b64 v[20:21], 3, v[20:21]
	v_add_co_u32_e64 v20, s[22:23], v12, v20
	v_addc_co_u32_e64 v21, s[22:23], v13, v21, s[22:23]
	flat_load_dwordx2 v[20:21], v[20:21]
	v_cndmask_b32_e64 v83, v22, v23, s[20:21]
.LBB519_47:
	s_or_b64 exec, exec, s[28:29]
	; wave barrier
	flat_store_dwordx4 v[0:1], v[14:17]
	flat_store_dwordx4 v[4:5], v[80:83]
	s_waitcnt vmcnt(0) lgkmcnt(0)
	flat_store_dwordx4 v[0:1], v[18:21] offset:16
	v_and_b32_e32 v4, 0x1e0, v97
	v_or_b32_e32 v0, 16, v4
	v_min_u32_e32 v8, v26, v0
	v_add_u32_e32 v0, 16, v8
	v_min_u32_e32 v9, v26, v0
	v_min_u32_e32 v5, v26, v98
	v_sub_u32_e32 v0, v8, v4
	v_sub_u32_e32 v1, v9, v8
	v_sub_u32_e64 v10, v5, v1 clamp
	v_min_u32_e32 v11, v5, v0
	v_cmp_lt_u32_e32 vcc, v10, v11
	; wave barrier
	s_and_saveexec_b64 s[14:15], vcc
	s_cbranch_execz .LBB519_51
; %bb.48:
	v_lshlrev_b32_e32 v0, 2, v4
	v_add_co_u32_e32 v22, vcc, v24, v0
	v_addc_co_u32_e32 v23, vcc, 0, v25, vcc
	v_lshlrev_b32_e32 v0, 2, v8
	v_add_co_u32_e32 v26, vcc, v24, v0
	v_addc_co_u32_e32 v27, vcc, 0, v25, vcc
	s_mov_b64 s[18:19], 0
	v_mov_b32_e32 v1, 0
.LBB519_49:                             ; =>This Inner Loop Header: Depth=1
	v_add_u32_e32 v0, v11, v10
	v_lshrrev_b32_e32 v0, 1, v0
	v_lshlrev_b64 v[32:33], 2, v[0:1]
	v_mov_b32_e32 v29, v1
	v_xad_u32 v28, v0, -1, v5
	v_add_co_u32_e32 v32, vcc, v22, v32
	v_addc_co_u32_e32 v33, vcc, v23, v33, vcc
	v_lshlrev_b64 v[28:29], 2, v[28:29]
	v_add_co_u32_e32 v28, vcc, v26, v28
	v_addc_co_u32_e32 v29, vcc, v27, v29, vcc
	flat_load_dword v34, v[32:33]
	flat_load_dword v35, v[28:29]
	v_add_u32_e32 v28, 1, v0
	s_waitcnt vmcnt(0) lgkmcnt(0)
	v_and_b32_e32 v29, v34, v31
	v_and_b32_e32 v32, v35, v31
	v_cmp_gt_u32_e32 vcc, v32, v29
	v_cndmask_b32_e32 v11, v11, v0, vcc
	v_cndmask_b32_e32 v10, v28, v10, vcc
	v_cmp_ge_u32_e32 vcc, v10, v11
	s_or_b64 s[18:19], vcc, s[18:19]
	s_andn2_b64 exec, exec, s[18:19]
	s_cbranch_execnz .LBB519_49
; %bb.50:
	s_or_b64 exec, exec, s[18:19]
.LBB519_51:
	s_or_b64 exec, exec, s[14:15]
	v_add_u32_e32 v1, v8, v5
	v_add_u32_e32 v0, v10, v4
	v_sub_u32_e32 v4, v1, v10
	v_cmp_le_u32_e32 vcc, v0, v8
	v_cmp_le_u32_e64 s[14:15], v4, v9
	s_or_b64 s[14:15], vcc, s[14:15]
	s_and_saveexec_b64 s[28:29], s[14:15]
	s_cbranch_execz .LBB519_57
; %bb.52:
	v_cmp_lt_u32_e32 vcc, v0, v8
                                        ; implicit-def: $vgpr1
	s_and_saveexec_b64 s[18:19], vcc
	s_cbranch_execz .LBB519_54
; %bb.53:
	v_mov_b32_e32 v1, 0
	v_lshlrev_b64 v[10:11], 2, v[0:1]
	v_add_co_u32_e64 v10, s[14:15], v24, v10
	v_addc_co_u32_e64 v11, s[14:15], v25, v11, s[14:15]
	flat_load_dword v1, v[10:11]
.LBB519_54:
	s_or_b64 exec, exec, s[18:19]
	v_cmp_ge_u32_e64 s[14:15], v4, v9
	v_cmp_lt_u32_e64 s[18:19], v4, v9
                                        ; implicit-def: $vgpr5
	s_and_saveexec_b64 s[20:21], s[18:19]
	s_cbranch_execz .LBB519_56
; %bb.55:
	v_mov_b32_e32 v5, 0
	v_lshlrev_b64 v[10:11], 2, v[4:5]
	v_add_co_u32_e64 v10, s[18:19], v24, v10
	v_addc_co_u32_e64 v11, s[18:19], v25, v11, s[18:19]
	flat_load_dword v5, v[10:11]
.LBB519_56:
	s_or_b64 exec, exec, s[20:21]
	s_waitcnt vmcnt(0) lgkmcnt(0)
	v_and_b32_e32 v10, v5, v31
	v_and_b32_e32 v11, v1, v31
	v_cmp_le_u32_e64 s[18:19], v10, v11
	s_and_b64 s[18:19], vcc, s[18:19]
	s_or_b64 vcc, s[14:15], s[18:19]
	v_cndmask_b32_e32 v10, v4, v0, vcc
	v_cndmask_b32_e32 v16, v9, v8, vcc
	v_mov_b32_e32 v11, 0
	v_lshlrev_b64 v[14:15], 3, v[10:11]
	v_add_u32_e32 v18, 1, v10
	v_add_u32_e32 v10, -1, v16
	v_min_u32_e32 v10, v18, v10
	v_lshlrev_b64 v[16:17], 2, v[10:11]
	v_add_co_u32_e64 v16, s[14:15], v24, v16
	v_addc_co_u32_e64 v17, s[14:15], v25, v17, s[14:15]
	flat_load_dword v10, v[16:17]
	v_cndmask_b32_e32 v0, v0, v18, vcc
	v_cndmask_b32_e32 v4, v18, v4, vcc
	v_cmp_lt_u32_e64 s[18:19], v0, v8
	v_cmp_ge_u32_e64 s[14:15], v4, v9
	v_cndmask_b32_e32 v80, v5, v1, vcc
	s_waitcnt vmcnt(0) lgkmcnt(0)
	v_cndmask_b32_e32 v22, v10, v5, vcc
	v_cndmask_b32_e32 v23, v1, v10, vcc
	v_and_b32_e32 v10, v22, v31
	v_and_b32_e32 v16, v23, v31
	v_cmp_le_u32_e64 s[20:21], v10, v16
	s_and_b64 s[18:19], s[18:19], s[20:21]
	s_or_b64 s[14:15], s[14:15], s[18:19]
	v_cndmask_b32_e64 v10, v4, v0, s[14:15]
	v_cndmask_b32_e64 v18, v9, v8, s[14:15]
	v_lshlrev_b64 v[16:17], 3, v[10:11]
	v_add_u32_e32 v20, 1, v10
	v_add_u32_e32 v10, -1, v18
	v_min_u32_e32 v10, v20, v10
	v_lshlrev_b64 v[18:19], 2, v[10:11]
	v_add_co_u32_e64 v18, s[18:19], v24, v18
	v_addc_co_u32_e64 v19, s[18:19], v25, v19, s[18:19]
	flat_load_dword v10, v[18:19]
	v_cndmask_b32_e64 v0, v0, v20, s[14:15]
	v_cndmask_b32_e64 v4, v20, v4, s[14:15]
	v_cmp_lt_u32_e64 s[20:21], v0, v8
	v_cmp_ge_u32_e64 s[18:19], v4, v9
	v_cndmask_b32_e64 v81, v22, v23, s[14:15]
	s_waitcnt vmcnt(0) lgkmcnt(0)
	v_cndmask_b32_e64 v26, v10, v22, s[14:15]
	v_cndmask_b32_e64 v27, v23, v10, s[14:15]
	v_and_b32_e32 v10, v26, v31
	v_and_b32_e32 v18, v27, v31
	v_cmp_le_u32_e64 s[22:23], v10, v18
	s_and_b64 s[20:21], s[20:21], s[22:23]
	s_or_b64 s[18:19], s[18:19], s[20:21]
	v_cndmask_b32_e64 v10, v4, v0, s[18:19]
	v_cndmask_b32_e64 v20, v9, v8, s[18:19]
	v_lshlrev_b64 v[18:19], 3, v[10:11]
	v_add_u32_e32 v28, 1, v10
	v_add_u32_e32 v10, -1, v20
	v_min_u32_e32 v10, v28, v10
	v_lshlrev_b64 v[20:21], 2, v[10:11]
	v_add_co_u32_e64 v20, s[20:21], v24, v20
	v_addc_co_u32_e64 v21, s[20:21], v25, v21, s[20:21]
	flat_load_dword v10, v[20:21]
	v_add_co_u32_e64 v14, s[20:21], v12, v14
	v_addc_co_u32_e64 v15, s[20:21], v13, v15, s[20:21]
	v_add_co_u32_e64 v16, s[20:21], v12, v16
	v_addc_co_u32_e64 v17, s[20:21], v13, v17, s[20:21]
	;; [unrolled: 2-line block ×3, first 2 shown]
	v_cndmask_b32_e64 v4, v28, v4, s[18:19]
	v_cndmask_b32_e64 v0, v0, v28, s[18:19]
	v_cmp_ge_u32_e64 s[20:21], v4, v9
	v_cmp_lt_u32_e64 s[22:23], v0, v8
	flat_load_dwordx2 v[14:15], v[14:15]
	v_cndmask_b32_e64 v82, v26, v27, s[18:19]
	flat_load_dwordx2 v[16:17], v[16:17]
	s_waitcnt vmcnt(0) lgkmcnt(0)
	v_cndmask_b32_e64 v24, v10, v26, s[18:19]
	flat_load_dwordx2 v[18:19], v[18:19]
	v_cndmask_b32_e64 v25, v27, v10, s[18:19]
	v_and_b32_e32 v8, v24, v31
	v_and_b32_e32 v9, v25, v31
	v_cmp_le_u32_e64 s[24:25], v8, v9
	s_and_b64 s[22:23], s[22:23], s[24:25]
	s_or_b64 s[20:21], s[20:21], s[22:23]
	v_cndmask_b32_e64 v10, v4, v0, s[20:21]
	v_lshlrev_b64 v[8:9], 3, v[10:11]
	v_add_co_u32_e64 v8, s[22:23], v12, v8
	v_addc_co_u32_e64 v9, s[22:23], v13, v9, s[22:23]
	flat_load_dwordx2 v[20:21], v[8:9]
	v_cndmask_b32_e64 v83, v24, v25, s[20:21]
.LBB519_57:
	s_or_b64 exec, exec, s[28:29]
	; wave barrier
	s_waitcnt lgkmcnt(0)
	s_barrier
                                        ; implicit-def: $vgpr97
                                        ; implicit-def: $vgpr12
                                        ; implicit-def: $vgpr13
                                        ; implicit-def: $vgpr98
                                        ; implicit-def: $vgpr31
                                        ; implicit-def: $vgpr0
                                        ; implicit-def: $vgpr4
                                        ; implicit-def: $vgpr32_vgpr33_vgpr34_vgpr35_vgpr36_vgpr37_vgpr38_vgpr39
                                        ; implicit-def: $vgpr22_vgpr23_vgpr24_vgpr25_vgpr26_vgpr27_vgpr28_vgpr29
.LBB519_58:
	s_andn2_saveexec_b64 s[22:23], s[26:27]
	s_cbranch_execz .LBB519_94
; %bb.59:
	s_load_dwordx2 s[14:15], s[8:9], 0x0
	v_mov_b32_e32 v1, 0
	v_and_b32_e32 v9, 0x3ff, v31
	s_movk_i32 s20, 0x400
	s_waitcnt lgkmcnt(0)
	s_cmp_lt_u32 s12, s14
	s_cselect_b32 s14, 12, 18
	s_cmp_lt_u32 s13, s15
	s_cselect_b32 s12, 14, 20
	s_add_u32 s12, s8, s12
	s_addc_u32 s13, s9, 0
	s_add_u32 s8, s8, s14
	s_addc_u32 s9, s9, 0
	global_load_ushort v5, v1, s[12:13]
	global_load_ushort v8, v1, s[8:9]
	s_waitcnt vmcnt(0)
	v_mad_u32_u24 v0, v4, v5, v0
	v_mul_lo_u32 v0, v0, v8
	v_add_lshl_u32 v0, v0, v9, 2
	v_cmp_gt_u32_e32 vcc, s20, v0
	s_and_saveexec_b64 s[14:15], vcc
	s_cbranch_execz .LBB519_63
; %bb.60:
	v_cmp_gt_i32_e32 vcc, v81, v80
	v_min_i32_e32 v10, v81, v80
	v_cndmask_b32_e32 v11, v14, v16, vcc
	v_cndmask_b32_e32 v18, v15, v17, vcc
	;; [unrolled: 1-line block ×4, first 2 shown]
	v_max_i32_e32 v16, v83, v82
	v_cmp_gt_i32_e32 vcc, v83, v82
	v_max_i32_e32 v4, v81, v80
	v_min_i32_e32 v5, v83, v82
	v_cndmask_b32_e32 v22, v28, v36, vcc
	v_cndmask_b32_e32 v19, v29, v37, vcc
	;; [unrolled: 1-line block ×4, first 2 shown]
	v_cmp_gt_i32_e32 vcc, v16, v10
	v_max_i32_e32 v8, v16, v10
	v_min_i32_e32 v9, v16, v10
	v_cndmask_b32_e32 v23, v20, v14, vcc
	v_cndmask_b32_e32 v24, v17, v15, vcc
	;; [unrolled: 1-line block ×4, first 2 shown]
	v_cmp_gt_i32_e32 vcc, v16, v4
	v_cmp_lt_i32_e64 s[8:9], v10, v5
	v_cndmask_b32_e32 v81, v8, v4, vcc
	v_cndmask_b32_e64 v10, v9, v5, s[8:9]
	v_cndmask_b32_e32 v15, v18, v17, vcc
	v_cndmask_b32_e32 v14, v11, v20, vcc
	v_cndmask_b32_e32 v17, v17, v18, vcc
	v_cndmask_b32_e32 v16, v20, v11, vcc
	v_cndmask_b32_e64 v21, v19, v24, s[8:9]
	v_cndmask_b32_e64 v20, v22, v23, s[8:9]
	;; [unrolled: 1-line block ×4, first 2 shown]
	v_cmp_gt_i32_e64 s[12:13], v10, v81
	v_mov_b32_e32 v82, v10
	s_and_saveexec_b64 s[18:19], s[12:13]
; %bb.61:
	v_pk_mov_b32 v[22:23], v[18:19], v[18:19] op_sel:[0,1]
	v_pk_mov_b32 v[18:19], v[16:17], v[16:17] op_sel:[0,1]
	;; [unrolled: 1-line block ×3, first 2 shown]
	v_mov_b32_e32 v82, v81
	v_mov_b32_e32 v81, v10
; %bb.62:
	s_or_b64 exec, exec, s[18:19]
	v_cndmask_b32_e32 v80, v4, v8, vcc
	v_cndmask_b32_e64 v83, v5, v9, s[8:9]
.LBB519_63:
	s_or_b64 exec, exec, s[14:15]
	v_and_b32_e32 v0, 0xffffff00, v0
	v_lshlrev_b64 v[4:5], 2, v[0:1]
	v_add_co_u32_e32 v22, vcc, v12, v4
	v_sub_u32_e64 v24, s20, v0 clamp
	v_addc_co_u32_e32 v23, vcc, v13, v5, vcc
	v_lshlrev_b64 v[0:1], 3, v[0:1]
	v_add_co_u32_e32 v0, vcc, v12, v0
	v_addc_co_u32_e32 v1, vcc, v13, v1, vcc
	s_movk_i32 s8, 0x1000
	v_add_co_u32_e32 v12, vcc, s8, v0
	v_or_b32_e32 v8, 4, v97
	v_addc_co_u32_e32 v13, vcc, 0, v1, vcc
	v_lshlrev_b32_e32 v0, 2, v97
	v_min_u32_e32 v25, v24, v8
	v_add_co_u32_e32 v4, vcc, v22, v0
	v_add_u32_e32 v8, 4, v25
	v_addc_co_u32_e32 v5, vcc, 0, v23, vcc
	v_lshlrev_b32_e32 v0, 3, v97
	v_and_b32_e32 v10, 0x1f8, v97
	v_min_u32_e32 v26, v24, v8
	v_and_b32_e32 v8, 4, v97
	v_add_co_u32_e32 v0, vcc, v12, v0
	v_min_u32_e32 v11, v24, v8
	v_sub_u32_e32 v8, v25, v10
	v_sub_u32_e32 v9, v26, v25
	v_addc_co_u32_e32 v1, vcc, 0, v13, vcc
	v_sub_u32_e64 v27, v11, v9 clamp
	v_min_u32_e32 v28, v11, v8
	v_cmp_lt_u32_e32 vcc, v27, v28
	flat_store_dwordx4 v[0:1], v[14:17]
	flat_store_dwordx4 v[4:5], v[80:83]
	flat_store_dwordx4 v[0:1], v[18:21] offset:16
	; wave barrier
	s_and_saveexec_b64 s[8:9], vcc
	s_cbranch_execz .LBB519_67
; %bb.64:
	v_lshlrev_b32_e32 v8, 2, v10
	v_add_co_u32_e32 v29, vcc, v22, v8
	v_addc_co_u32_e32 v31, vcc, 0, v23, vcc
	v_lshlrev_b32_e32 v8, 2, v25
	v_add_co_u32_e32 v32, vcc, v22, v8
	v_addc_co_u32_e32 v33, vcc, 0, v23, vcc
	s_mov_b64 s[12:13], 0
	v_mov_b32_e32 v9, 0
.LBB519_65:                             ; =>This Inner Loop Header: Depth=1
	v_add_u32_e32 v8, v28, v27
	v_lshrrev_b32_e32 v8, 1, v8
	v_lshlrev_b64 v[36:37], 2, v[8:9]
	v_mov_b32_e32 v35, v9
	v_xad_u32 v34, v8, -1, v11
	v_add_co_u32_e32 v36, vcc, v29, v36
	v_addc_co_u32_e32 v37, vcc, v31, v37, vcc
	v_lshlrev_b64 v[34:35], 2, v[34:35]
	v_add_co_u32_e32 v34, vcc, v32, v34
	v_addc_co_u32_e32 v35, vcc, v33, v35, vcc
	flat_load_dword v38, v[36:37]
	flat_load_dword v39, v[34:35]
	v_add_u32_e32 v34, 1, v8
	s_waitcnt vmcnt(0) lgkmcnt(0)
	v_cmp_gt_i32_e32 vcc, v39, v38
	v_cndmask_b32_e32 v28, v28, v8, vcc
	v_cndmask_b32_e32 v27, v34, v27, vcc
	v_cmp_ge_u32_e32 vcc, v27, v28
	s_or_b64 s[12:13], vcc, s[12:13]
	s_andn2_b64 exec, exec, s[12:13]
	s_cbranch_execnz .LBB519_65
; %bb.66:
	s_or_b64 exec, exec, s[12:13]
.LBB519_67:
	s_or_b64 exec, exec, s[8:9]
	v_add_u32_e32 v9, v25, v11
	v_add_u32_e32 v8, v27, v10
	v_sub_u32_e32 v10, v9, v27
	v_cmp_le_u32_e32 vcc, v8, v25
	v_cmp_le_u32_e64 s[8:9], v10, v26
	s_or_b64 s[8:9], vcc, s[8:9]
	s_and_saveexec_b64 s[24:25], s[8:9]
	s_cbranch_execz .LBB519_73
; %bb.68:
	v_cmp_lt_u32_e32 vcc, v8, v25
                                        ; implicit-def: $vgpr9
	s_and_saveexec_b64 s[12:13], vcc
	s_cbranch_execz .LBB519_70
; %bb.69:
	v_mov_b32_e32 v9, 0
	v_lshlrev_b64 v[14:15], 2, v[8:9]
	v_add_co_u32_e64 v14, s[8:9], v22, v14
	v_addc_co_u32_e64 v15, s[8:9], v23, v15, s[8:9]
	flat_load_dword v9, v[14:15]
.LBB519_70:
	s_or_b64 exec, exec, s[12:13]
	v_cmp_ge_u32_e64 s[8:9], v10, v26
	v_cmp_lt_u32_e64 s[12:13], v10, v26
                                        ; implicit-def: $vgpr11
	s_and_saveexec_b64 s[14:15], s[12:13]
	s_cbranch_execz .LBB519_72
; %bb.71:
	v_mov_b32_e32 v11, 0
	v_lshlrev_b64 v[14:15], 2, v[10:11]
	v_add_co_u32_e64 v14, s[12:13], v22, v14
	v_addc_co_u32_e64 v15, s[12:13], v23, v15, s[12:13]
	flat_load_dword v11, v[14:15]
.LBB519_72:
	s_or_b64 exec, exec, s[14:15]
	s_waitcnt vmcnt(0) lgkmcnt(0)
	v_cmp_le_i32_e64 s[12:13], v11, v9
	s_and_b64 s[12:13], vcc, s[12:13]
	s_or_b64 vcc, s[8:9], s[12:13]
	v_cndmask_b32_e32 v20, v10, v8, vcc
	v_cndmask_b32_e32 v16, v26, v25, vcc
	v_mov_b32_e32 v21, 0
	v_add_u32_e32 v18, 1, v20
	v_add_u32_e32 v16, -1, v16
	v_lshlrev_b64 v[14:15], 3, v[20:21]
	v_min_u32_e32 v20, v18, v16
	v_lshlrev_b64 v[16:17], 2, v[20:21]
	v_add_co_u32_e64 v16, s[8:9], v22, v16
	v_addc_co_u32_e64 v17, s[8:9], v23, v17, s[8:9]
	flat_load_dword v16, v[16:17]
	v_cndmask_b32_e32 v8, v8, v18, vcc
	v_cndmask_b32_e32 v10, v18, v10, vcc
	v_cmp_lt_u32_e64 s[12:13], v8, v25
	v_cmp_ge_u32_e64 s[8:9], v10, v26
	v_cndmask_b32_e32 v80, v11, v9, vcc
	s_waitcnt vmcnt(0) lgkmcnt(0)
	v_cndmask_b32_e32 v27, v16, v11, vcc
	v_cndmask_b32_e32 v31, v9, v16, vcc
	v_cmp_le_i32_e64 s[14:15], v27, v31
	s_and_b64 s[12:13], s[12:13], s[14:15]
	s_or_b64 s[8:9], s[8:9], s[12:13]
	v_cndmask_b32_e64 v20, v10, v8, s[8:9]
	v_cndmask_b32_e64 v18, v26, v25, s[8:9]
	v_add_u32_e32 v28, 1, v20
	v_add_u32_e32 v18, -1, v18
	v_lshlrev_b64 v[16:17], 3, v[20:21]
	v_min_u32_e32 v20, v28, v18
	v_lshlrev_b64 v[18:19], 2, v[20:21]
	v_add_co_u32_e64 v18, s[12:13], v22, v18
	v_addc_co_u32_e64 v19, s[12:13], v23, v19, s[12:13]
	flat_load_dword v18, v[18:19]
	v_cndmask_b32_e64 v8, v8, v28, s[8:9]
	v_cndmask_b32_e64 v10, v28, v10, s[8:9]
	v_cmp_lt_u32_e64 s[14:15], v8, v25
	v_cmp_ge_u32_e64 s[12:13], v10, v26
	v_cndmask_b32_e64 v81, v27, v31, s[8:9]
	s_waitcnt vmcnt(0) lgkmcnt(0)
	v_cndmask_b32_e64 v32, v18, v27, s[8:9]
	v_cndmask_b32_e64 v33, v31, v18, s[8:9]
	v_cmp_le_i32_e64 s[18:19], v32, v33
	s_and_b64 s[14:15], s[14:15], s[18:19]
	s_or_b64 s[12:13], s[12:13], s[14:15]
	v_cndmask_b32_e64 v20, v10, v8, s[12:13]
	v_cndmask_b32_e64 v28, v26, v25, s[12:13]
	v_lshlrev_b64 v[18:19], 3, v[20:21]
	v_add_u32_e32 v34, 1, v20
	v_add_u32_e32 v20, -1, v28
	v_min_u32_e32 v20, v34, v20
	v_lshlrev_b64 v[28:29], 2, v[20:21]
	v_add_co_u32_e64 v28, s[14:15], v22, v28
	v_addc_co_u32_e64 v29, s[14:15], v23, v29, s[14:15]
	flat_load_dword v20, v[28:29]
	v_add_co_u32_e64 v14, s[14:15], v12, v14
	v_addc_co_u32_e64 v15, s[14:15], v13, v15, s[14:15]
	v_add_co_u32_e64 v16, s[14:15], v12, v16
	v_addc_co_u32_e64 v17, s[14:15], v13, v17, s[14:15]
	;; [unrolled: 2-line block ×3, first 2 shown]
	v_cndmask_b32_e64 v10, v34, v10, s[12:13]
	v_cndmask_b32_e64 v8, v8, v34, s[12:13]
	v_cmp_ge_u32_e64 s[14:15], v10, v26
	v_cmp_lt_u32_e64 s[18:19], v8, v25
	flat_load_dwordx2 v[14:15], v[14:15]
	v_cndmask_b32_e64 v82, v32, v33, s[12:13]
	flat_load_dwordx2 v[16:17], v[16:17]
	s_waitcnt vmcnt(0) lgkmcnt(0)
	v_cndmask_b32_e64 v25, v20, v32, s[12:13]
	flat_load_dwordx2 v[18:19], v[18:19]
	v_cndmask_b32_e64 v26, v33, v20, s[12:13]
	v_cmp_le_i32_e64 s[20:21], v25, v26
	s_and_b64 s[18:19], s[18:19], s[20:21]
	s_or_b64 s[14:15], s[14:15], s[18:19]
	v_cndmask_b32_e64 v20, v10, v8, s[14:15]
	v_lshlrev_b64 v[20:21], 3, v[20:21]
	v_add_co_u32_e64 v20, s[18:19], v12, v20
	v_addc_co_u32_e64 v21, s[18:19], v13, v21, s[18:19]
	flat_load_dwordx2 v[20:21], v[20:21]
	v_cndmask_b32_e64 v83, v25, v26, s[14:15]
.LBB519_73:
	s_or_b64 exec, exec, s[24:25]
	v_and_b32_e32 v10, 0x1f0, v97
	v_or_b32_e32 v8, 8, v10
	v_min_u32_e32 v25, v24, v8
	v_add_u32_e32 v8, 8, v25
	v_min_u32_e32 v26, v24, v8
	v_and_b32_e32 v8, 12, v97
	v_min_u32_e32 v11, v24, v8
	v_sub_u32_e32 v8, v25, v10
	v_sub_u32_e32 v9, v26, v25
	v_sub_u32_e64 v27, v11, v9 clamp
	v_min_u32_e32 v28, v11, v8
	v_cmp_lt_u32_e32 vcc, v27, v28
	; wave barrier
	flat_store_dwordx4 v[0:1], v[14:17]
	flat_store_dwordx4 v[4:5], v[80:83]
	s_waitcnt vmcnt(0) lgkmcnt(0)
	flat_store_dwordx4 v[0:1], v[18:21] offset:16
	; wave barrier
	s_and_saveexec_b64 s[8:9], vcc
	s_cbranch_execz .LBB519_77
; %bb.74:
	v_lshlrev_b32_e32 v8, 2, v10
	v_add_co_u32_e32 v29, vcc, v22, v8
	v_addc_co_u32_e32 v31, vcc, 0, v23, vcc
	v_lshlrev_b32_e32 v8, 2, v25
	v_add_co_u32_e32 v32, vcc, v22, v8
	v_addc_co_u32_e32 v33, vcc, 0, v23, vcc
	s_mov_b64 s[12:13], 0
	v_mov_b32_e32 v9, 0
.LBB519_75:                             ; =>This Inner Loop Header: Depth=1
	v_add_u32_e32 v8, v28, v27
	v_lshrrev_b32_e32 v8, 1, v8
	v_lshlrev_b64 v[36:37], 2, v[8:9]
	v_mov_b32_e32 v35, v9
	v_xad_u32 v34, v8, -1, v11
	v_add_co_u32_e32 v36, vcc, v29, v36
	v_addc_co_u32_e32 v37, vcc, v31, v37, vcc
	v_lshlrev_b64 v[34:35], 2, v[34:35]
	v_add_co_u32_e32 v34, vcc, v32, v34
	v_addc_co_u32_e32 v35, vcc, v33, v35, vcc
	flat_load_dword v38, v[36:37]
	flat_load_dword v39, v[34:35]
	v_add_u32_e32 v34, 1, v8
	s_waitcnt vmcnt(0) lgkmcnt(0)
	v_cmp_gt_i32_e32 vcc, v39, v38
	v_cndmask_b32_e32 v28, v28, v8, vcc
	v_cndmask_b32_e32 v27, v34, v27, vcc
	v_cmp_ge_u32_e32 vcc, v27, v28
	s_or_b64 s[12:13], vcc, s[12:13]
	s_andn2_b64 exec, exec, s[12:13]
	s_cbranch_execnz .LBB519_75
; %bb.76:
	s_or_b64 exec, exec, s[12:13]
.LBB519_77:
	s_or_b64 exec, exec, s[8:9]
	v_add_u32_e32 v9, v25, v11
	v_add_u32_e32 v8, v27, v10
	v_sub_u32_e32 v10, v9, v27
	v_cmp_le_u32_e32 vcc, v8, v25
	v_cmp_le_u32_e64 s[8:9], v10, v26
	s_or_b64 s[8:9], vcc, s[8:9]
	s_and_saveexec_b64 s[24:25], s[8:9]
	s_cbranch_execz .LBB519_83
; %bb.78:
	v_cmp_lt_u32_e32 vcc, v8, v25
                                        ; implicit-def: $vgpr9
	s_and_saveexec_b64 s[12:13], vcc
	s_cbranch_execz .LBB519_80
; %bb.79:
	v_mov_b32_e32 v9, 0
	v_lshlrev_b64 v[14:15], 2, v[8:9]
	v_add_co_u32_e64 v14, s[8:9], v22, v14
	v_addc_co_u32_e64 v15, s[8:9], v23, v15, s[8:9]
	flat_load_dword v9, v[14:15]
.LBB519_80:
	s_or_b64 exec, exec, s[12:13]
	v_cmp_ge_u32_e64 s[8:9], v10, v26
	v_cmp_lt_u32_e64 s[12:13], v10, v26
                                        ; implicit-def: $vgpr11
	s_and_saveexec_b64 s[14:15], s[12:13]
	s_cbranch_execz .LBB519_82
; %bb.81:
	v_mov_b32_e32 v11, 0
	v_lshlrev_b64 v[14:15], 2, v[10:11]
	v_add_co_u32_e64 v14, s[12:13], v22, v14
	v_addc_co_u32_e64 v15, s[12:13], v23, v15, s[12:13]
	flat_load_dword v11, v[14:15]
.LBB519_82:
	s_or_b64 exec, exec, s[14:15]
	s_waitcnt vmcnt(0) lgkmcnt(0)
	v_cmp_le_i32_e64 s[12:13], v11, v9
	s_and_b64 s[12:13], vcc, s[12:13]
	s_or_b64 vcc, s[8:9], s[12:13]
	v_cndmask_b32_e32 v20, v10, v8, vcc
	v_cndmask_b32_e32 v16, v26, v25, vcc
	v_mov_b32_e32 v21, 0
	v_add_u32_e32 v18, 1, v20
	v_add_u32_e32 v16, -1, v16
	v_lshlrev_b64 v[14:15], 3, v[20:21]
	v_min_u32_e32 v20, v18, v16
	v_lshlrev_b64 v[16:17], 2, v[20:21]
	v_add_co_u32_e64 v16, s[8:9], v22, v16
	v_addc_co_u32_e64 v17, s[8:9], v23, v17, s[8:9]
	flat_load_dword v16, v[16:17]
	v_cndmask_b32_e32 v8, v8, v18, vcc
	v_cndmask_b32_e32 v10, v18, v10, vcc
	v_cmp_lt_u32_e64 s[12:13], v8, v25
	v_cmp_ge_u32_e64 s[8:9], v10, v26
	v_cndmask_b32_e32 v80, v11, v9, vcc
	s_waitcnt vmcnt(0) lgkmcnt(0)
	v_cndmask_b32_e32 v27, v16, v11, vcc
	v_cndmask_b32_e32 v31, v9, v16, vcc
	v_cmp_le_i32_e64 s[14:15], v27, v31
	s_and_b64 s[12:13], s[12:13], s[14:15]
	s_or_b64 s[8:9], s[8:9], s[12:13]
	v_cndmask_b32_e64 v20, v10, v8, s[8:9]
	v_cndmask_b32_e64 v18, v26, v25, s[8:9]
	v_add_u32_e32 v28, 1, v20
	v_add_u32_e32 v18, -1, v18
	v_lshlrev_b64 v[16:17], 3, v[20:21]
	v_min_u32_e32 v20, v28, v18
	v_lshlrev_b64 v[18:19], 2, v[20:21]
	v_add_co_u32_e64 v18, s[12:13], v22, v18
	v_addc_co_u32_e64 v19, s[12:13], v23, v19, s[12:13]
	flat_load_dword v18, v[18:19]
	v_cndmask_b32_e64 v8, v8, v28, s[8:9]
	v_cndmask_b32_e64 v10, v28, v10, s[8:9]
	v_cmp_lt_u32_e64 s[14:15], v8, v25
	v_cmp_ge_u32_e64 s[12:13], v10, v26
	v_cndmask_b32_e64 v81, v27, v31, s[8:9]
	s_waitcnt vmcnt(0) lgkmcnt(0)
	v_cndmask_b32_e64 v32, v18, v27, s[8:9]
	v_cndmask_b32_e64 v33, v31, v18, s[8:9]
	v_cmp_le_i32_e64 s[18:19], v32, v33
	s_and_b64 s[14:15], s[14:15], s[18:19]
	s_or_b64 s[12:13], s[12:13], s[14:15]
	v_cndmask_b32_e64 v20, v10, v8, s[12:13]
	v_cndmask_b32_e64 v28, v26, v25, s[12:13]
	v_lshlrev_b64 v[18:19], 3, v[20:21]
	v_add_u32_e32 v34, 1, v20
	v_add_u32_e32 v20, -1, v28
	v_min_u32_e32 v20, v34, v20
	v_lshlrev_b64 v[28:29], 2, v[20:21]
	v_add_co_u32_e64 v28, s[14:15], v22, v28
	v_addc_co_u32_e64 v29, s[14:15], v23, v29, s[14:15]
	flat_load_dword v20, v[28:29]
	v_add_co_u32_e64 v14, s[14:15], v12, v14
	v_addc_co_u32_e64 v15, s[14:15], v13, v15, s[14:15]
	v_add_co_u32_e64 v16, s[14:15], v12, v16
	v_addc_co_u32_e64 v17, s[14:15], v13, v17, s[14:15]
	;; [unrolled: 2-line block ×3, first 2 shown]
	v_cndmask_b32_e64 v10, v34, v10, s[12:13]
	v_cndmask_b32_e64 v8, v8, v34, s[12:13]
	v_cmp_ge_u32_e64 s[14:15], v10, v26
	v_cmp_lt_u32_e64 s[18:19], v8, v25
	flat_load_dwordx2 v[14:15], v[14:15]
	v_cndmask_b32_e64 v82, v32, v33, s[12:13]
	flat_load_dwordx2 v[16:17], v[16:17]
	s_waitcnt vmcnt(0) lgkmcnt(0)
	v_cndmask_b32_e64 v25, v20, v32, s[12:13]
	flat_load_dwordx2 v[18:19], v[18:19]
	v_cndmask_b32_e64 v26, v33, v20, s[12:13]
	v_cmp_le_i32_e64 s[20:21], v25, v26
	s_and_b64 s[18:19], s[18:19], s[20:21]
	s_or_b64 s[14:15], s[14:15], s[18:19]
	v_cndmask_b32_e64 v20, v10, v8, s[14:15]
	v_lshlrev_b64 v[20:21], 3, v[20:21]
	v_add_co_u32_e64 v20, s[18:19], v12, v20
	v_addc_co_u32_e64 v21, s[18:19], v13, v21, s[18:19]
	flat_load_dwordx2 v[20:21], v[20:21]
	v_cndmask_b32_e64 v83, v25, v26, s[14:15]
.LBB519_83:
	s_or_b64 exec, exec, s[24:25]
	; wave barrier
	flat_store_dwordx4 v[0:1], v[14:17]
	flat_store_dwordx4 v[4:5], v[80:83]
	s_waitcnt vmcnt(0) lgkmcnt(0)
	flat_store_dwordx4 v[0:1], v[18:21] offset:16
	v_and_b32_e32 v4, 0x1e0, v97
	v_or_b32_e32 v0, 16, v4
	v_min_u32_e32 v8, v24, v0
	v_add_u32_e32 v0, 16, v8
	v_min_u32_e32 v9, v24, v0
	v_min_u32_e32 v5, v24, v98
	v_sub_u32_e32 v0, v8, v4
	v_sub_u32_e32 v1, v9, v8
	v_sub_u32_e64 v10, v5, v1 clamp
	v_min_u32_e32 v11, v5, v0
	v_cmp_lt_u32_e32 vcc, v10, v11
	; wave barrier
	s_and_saveexec_b64 s[8:9], vcc
	s_cbranch_execz .LBB519_87
; %bb.84:
	v_lshlrev_b32_e32 v0, 2, v4
	v_add_co_u32_e32 v24, vcc, v22, v0
	v_addc_co_u32_e32 v25, vcc, 0, v23, vcc
	v_lshlrev_b32_e32 v0, 2, v8
	v_add_co_u32_e32 v26, vcc, v22, v0
	v_addc_co_u32_e32 v27, vcc, 0, v23, vcc
	s_mov_b64 s[12:13], 0
	v_mov_b32_e32 v1, 0
.LBB519_85:                             ; =>This Inner Loop Header: Depth=1
	v_add_u32_e32 v0, v11, v10
	v_lshrrev_b32_e32 v0, 1, v0
	v_lshlrev_b64 v[32:33], 2, v[0:1]
	v_mov_b32_e32 v29, v1
	v_xad_u32 v28, v0, -1, v5
	v_add_co_u32_e32 v32, vcc, v24, v32
	v_addc_co_u32_e32 v33, vcc, v25, v33, vcc
	v_lshlrev_b64 v[28:29], 2, v[28:29]
	v_add_co_u32_e32 v28, vcc, v26, v28
	v_addc_co_u32_e32 v29, vcc, v27, v29, vcc
	flat_load_dword v31, v[32:33]
	flat_load_dword v34, v[28:29]
	v_add_u32_e32 v28, 1, v0
	s_waitcnt vmcnt(0) lgkmcnt(0)
	v_cmp_gt_i32_e32 vcc, v34, v31
	v_cndmask_b32_e32 v11, v11, v0, vcc
	v_cndmask_b32_e32 v10, v28, v10, vcc
	v_cmp_ge_u32_e32 vcc, v10, v11
	s_or_b64 s[12:13], vcc, s[12:13]
	s_andn2_b64 exec, exec, s[12:13]
	s_cbranch_execnz .LBB519_85
; %bb.86:
	s_or_b64 exec, exec, s[12:13]
.LBB519_87:
	s_or_b64 exec, exec, s[8:9]
	v_add_u32_e32 v1, v8, v5
	v_add_u32_e32 v0, v10, v4
	v_sub_u32_e32 v4, v1, v10
	v_cmp_le_u32_e32 vcc, v0, v8
	v_cmp_le_u32_e64 s[8:9], v4, v9
	s_or_b64 s[8:9], vcc, s[8:9]
	s_and_saveexec_b64 s[24:25], s[8:9]
	s_cbranch_execz .LBB519_93
; %bb.88:
	v_cmp_lt_u32_e32 vcc, v0, v8
                                        ; implicit-def: $vgpr1
	s_and_saveexec_b64 s[12:13], vcc
	s_cbranch_execz .LBB519_90
; %bb.89:
	v_mov_b32_e32 v1, 0
	v_lshlrev_b64 v[10:11], 2, v[0:1]
	v_add_co_u32_e64 v10, s[8:9], v22, v10
	v_addc_co_u32_e64 v11, s[8:9], v23, v11, s[8:9]
	flat_load_dword v1, v[10:11]
.LBB519_90:
	s_or_b64 exec, exec, s[12:13]
	v_cmp_ge_u32_e64 s[8:9], v4, v9
	v_cmp_lt_u32_e64 s[12:13], v4, v9
                                        ; implicit-def: $vgpr5
	s_and_saveexec_b64 s[14:15], s[12:13]
	s_cbranch_execz .LBB519_92
; %bb.91:
	v_mov_b32_e32 v5, 0
	v_lshlrev_b64 v[10:11], 2, v[4:5]
	v_add_co_u32_e64 v10, s[12:13], v22, v10
	v_addc_co_u32_e64 v11, s[12:13], v23, v11, s[12:13]
	flat_load_dword v5, v[10:11]
.LBB519_92:
	s_or_b64 exec, exec, s[14:15]
	s_waitcnt vmcnt(0) lgkmcnt(0)
	v_cmp_le_i32_e64 s[12:13], v5, v1
	s_and_b64 s[12:13], vcc, s[12:13]
	s_or_b64 vcc, s[8:9], s[12:13]
	v_cndmask_b32_e32 v10, v4, v0, vcc
	v_cndmask_b32_e32 v16, v9, v8, vcc
	v_mov_b32_e32 v11, 0
	v_lshlrev_b64 v[14:15], 3, v[10:11]
	v_add_u32_e32 v18, 1, v10
	v_add_u32_e32 v10, -1, v16
	v_min_u32_e32 v10, v18, v10
	v_lshlrev_b64 v[16:17], 2, v[10:11]
	v_add_co_u32_e64 v16, s[8:9], v22, v16
	v_addc_co_u32_e64 v17, s[8:9], v23, v17, s[8:9]
	flat_load_dword v10, v[16:17]
	v_cndmask_b32_e32 v0, v0, v18, vcc
	v_cndmask_b32_e32 v4, v18, v4, vcc
	v_cmp_lt_u32_e64 s[12:13], v0, v8
	v_cmp_ge_u32_e64 s[8:9], v4, v9
	v_cndmask_b32_e32 v80, v5, v1, vcc
	s_waitcnt vmcnt(0) lgkmcnt(0)
	v_cndmask_b32_e32 v24, v10, v5, vcc
	v_cndmask_b32_e32 v25, v1, v10, vcc
	v_cmp_le_i32_e64 s[14:15], v24, v25
	s_and_b64 s[12:13], s[12:13], s[14:15]
	s_or_b64 s[8:9], s[8:9], s[12:13]
	v_cndmask_b32_e64 v10, v4, v0, s[8:9]
	v_cndmask_b32_e64 v18, v9, v8, s[8:9]
	v_lshlrev_b64 v[16:17], 3, v[10:11]
	v_add_u32_e32 v20, 1, v10
	v_add_u32_e32 v10, -1, v18
	v_min_u32_e32 v10, v20, v10
	v_lshlrev_b64 v[18:19], 2, v[10:11]
	v_add_co_u32_e64 v18, s[12:13], v22, v18
	v_addc_co_u32_e64 v19, s[12:13], v23, v19, s[12:13]
	flat_load_dword v10, v[18:19]
	v_cndmask_b32_e64 v0, v0, v20, s[8:9]
	v_cndmask_b32_e64 v4, v20, v4, s[8:9]
	v_cmp_lt_u32_e64 s[14:15], v0, v8
	v_cmp_ge_u32_e64 s[12:13], v4, v9
	v_cndmask_b32_e64 v81, v24, v25, s[8:9]
	s_waitcnt vmcnt(0) lgkmcnt(0)
	v_cndmask_b32_e64 v26, v10, v24, s[8:9]
	v_cndmask_b32_e64 v27, v25, v10, s[8:9]
	v_cmp_le_i32_e64 s[18:19], v26, v27
	s_and_b64 s[14:15], s[14:15], s[18:19]
	s_or_b64 s[12:13], s[12:13], s[14:15]
	v_cndmask_b32_e64 v10, v4, v0, s[12:13]
	v_cndmask_b32_e64 v20, v9, v8, s[12:13]
	v_lshlrev_b64 v[18:19], 3, v[10:11]
	v_add_u32_e32 v28, 1, v10
	v_add_u32_e32 v10, -1, v20
	v_min_u32_e32 v10, v28, v10
	v_lshlrev_b64 v[20:21], 2, v[10:11]
	v_add_co_u32_e64 v20, s[14:15], v22, v20
	v_addc_co_u32_e64 v21, s[14:15], v23, v21, s[14:15]
	flat_load_dword v10, v[20:21]
	v_add_co_u32_e64 v14, s[14:15], v12, v14
	v_addc_co_u32_e64 v15, s[14:15], v13, v15, s[14:15]
	v_add_co_u32_e64 v16, s[14:15], v12, v16
	v_addc_co_u32_e64 v17, s[14:15], v13, v17, s[14:15]
	v_add_co_u32_e64 v18, s[14:15], v12, v18
	v_cndmask_b32_e64 v0, v0, v28, s[12:13]
	v_addc_co_u32_e64 v19, s[14:15], v13, v19, s[14:15]
	v_cndmask_b32_e64 v4, v28, v4, s[12:13]
	v_cmp_lt_u32_e64 s[18:19], v0, v8
	v_cmp_ge_u32_e64 s[14:15], v4, v9
	flat_load_dwordx2 v[14:15], v[14:15]
	v_cndmask_b32_e64 v82, v26, v27, s[12:13]
	flat_load_dwordx2 v[16:17], v[16:17]
	s_waitcnt vmcnt(0) lgkmcnt(0)
	v_cndmask_b32_e64 v22, v10, v26, s[12:13]
	flat_load_dwordx2 v[18:19], v[18:19]
	v_cndmask_b32_e64 v23, v27, v10, s[12:13]
	v_cmp_le_i32_e64 s[20:21], v22, v23
	s_and_b64 s[18:19], s[18:19], s[20:21]
	s_or_b64 s[14:15], s[14:15], s[18:19]
	v_cndmask_b32_e64 v10, v4, v0, s[14:15]
	v_lshlrev_b64 v[8:9], 3, v[10:11]
	v_add_co_u32_e64 v8, s[18:19], v12, v8
	v_addc_co_u32_e64 v9, s[18:19], v13, v9, s[18:19]
	flat_load_dwordx2 v[20:21], v[8:9]
	v_cndmask_b32_e64 v83, v22, v23, s[14:15]
.LBB519_93:
	s_or_b64 exec, exec, s[24:25]
	; wave barrier
	s_waitcnt lgkmcnt(0)
	s_barrier
.LBB519_94:
	s_or_b64 exec, exec, s[22:23]
	v_add_co_u32_e32 v0, vcc, v2, v84
	v_addc_co_u32_e32 v1, vcc, v3, v85, vcc
	v_add_co_u32_e32 v0, vcc, v0, v30
	v_addc_co_u32_e32 v1, vcc, 0, v1, vcc
	s_waitcnt lgkmcnt(0)
	; wave barrier
	s_and_saveexec_b64 s[8:9], s[4:5]
	s_cbranch_execz .LBB519_100
; %bb.95:
	s_waitcnt vmcnt(0) lgkmcnt(0)
	flat_store_dword v[0:1], v80
	s_or_b64 exec, exec, s[8:9]
	s_and_saveexec_b64 s[8:9], s[6:7]
	s_cbranch_execnz .LBB519_101
.LBB519_96:
	s_or_b64 exec, exec, s[8:9]
	s_and_saveexec_b64 s[8:9], s[16:17]
	s_cbranch_execz .LBB519_102
.LBB519_97:
	s_waitcnt vmcnt(0) lgkmcnt(0)
	flat_store_dword v[0:1], v82 offset:8
	s_or_b64 exec, exec, s[8:9]
	s_and_saveexec_b64 s[8:9], s[10:11]
	s_cbranch_execnz .LBB519_103
	s_branch .LBB519_104
.LBB519_98:
	s_or_b64 exec, exec, s[14:15]
                                        ; implicit-def: $vgpr18_vgpr19
	s_and_saveexec_b64 s[14:15], s[16:17]
	s_cbranch_execz .LBB519_12
.LBB519_99:
	flat_load_dwordx2 v[36:37], v[0:1] offset:16
	s_waitcnt vmcnt(0) lgkmcnt(0)
	v_pk_mov_b32 v[18:19], v[36:37], v[36:37] op_sel:[0,1]
	s_or_b64 exec, exec, s[14:15]
	s_and_saveexec_b64 s[14:15], s[10:11]
	s_cbranch_execnz .LBB519_13
	s_branch .LBB519_14
.LBB519_100:
	s_or_b64 exec, exec, s[8:9]
	s_and_saveexec_b64 s[8:9], s[6:7]
	s_cbranch_execz .LBB519_96
.LBB519_101:
	s_waitcnt vmcnt(0) lgkmcnt(0)
	flat_store_dword v[0:1], v81 offset:4
	s_or_b64 exec, exec, s[8:9]
	s_and_saveexec_b64 s[8:9], s[16:17]
	s_cbranch_execnz .LBB519_97
.LBB519_102:
	s_or_b64 exec, exec, s[8:9]
	s_and_saveexec_b64 s[8:9], s[10:11]
	s_cbranch_execz .LBB519_104
.LBB519_103:
	s_waitcnt vmcnt(0) lgkmcnt(0)
	flat_store_dword v[0:1], v83 offset:12
.LBB519_104:
	s_or_b64 exec, exec, s[8:9]
	v_add_co_u32_e32 v0, vcc, v6, v86
	v_addc_co_u32_e32 v1, vcc, v7, v87, vcc
	v_add_co_u32_e32 v0, vcc, v0, v96
	v_addc_co_u32_e32 v1, vcc, 0, v1, vcc
	; wave barrier
	s_and_saveexec_b64 s[8:9], s[4:5]
	s_cbranch_execz .LBB519_109
; %bb.105:
	s_waitcnt vmcnt(0) lgkmcnt(0)
	flat_store_dwordx2 v[0:1], v[14:15]
	s_or_b64 exec, exec, s[8:9]
	s_and_saveexec_b64 s[4:5], s[6:7]
	s_cbranch_execnz .LBB519_110
.LBB519_106:
	s_or_b64 exec, exec, s[4:5]
	s_and_saveexec_b64 s[4:5], s[16:17]
	s_cbranch_execz .LBB519_111
.LBB519_107:
	s_waitcnt vmcnt(0)
	flat_store_dwordx2 v[0:1], v[18:19] offset:16
	s_or_b64 exec, exec, s[4:5]
	s_and_saveexec_b64 s[4:5], s[10:11]
	s_cbranch_execnz .LBB519_112
.LBB519_108:
	s_or_b64 exec, exec, s[4:5]
	s_waitcnt vmcnt(0) lgkmcnt(0)
	s_setpc_b64 s[30:31]
.LBB519_109:
	s_or_b64 exec, exec, s[8:9]
	s_and_saveexec_b64 s[4:5], s[6:7]
	s_cbranch_execz .LBB519_106
.LBB519_110:
	s_waitcnt vmcnt(0) lgkmcnt(0)
	flat_store_dwordx2 v[0:1], v[16:17] offset:8
	s_or_b64 exec, exec, s[4:5]
	s_and_saveexec_b64 s[4:5], s[16:17]
	s_cbranch_execnz .LBB519_107
.LBB519_111:
	s_or_b64 exec, exec, s[4:5]
	s_and_saveexec_b64 s[4:5], s[10:11]
	s_cbranch_execz .LBB519_108
.LBB519_112:
	s_waitcnt vmcnt(0)
	flat_store_dwordx2 v[0:1], v[20:21] offset:24
	s_or_b64 exec, exec, s[4:5]
	s_waitcnt vmcnt(0) lgkmcnt(0)
	s_setpc_b64 s[30:31]
.Lfunc_end519:
	.size	_ZN7rocprim17ROCPRIM_400000_NS6detail26segmented_warp_sort_helperINS1_20WarpSortHelperConfigILj8ELj4ELj256EEEilLi256ELb1EvE4sortIPKiPiPKlPlEEvT_T0_T1_T2_jjjjRNS5_12storage_typeE, .Lfunc_end519-_ZN7rocprim17ROCPRIM_400000_NS6detail26segmented_warp_sort_helperINS1_20WarpSortHelperConfigILj8ELj4ELj256EEEilLi256ELb1EvE4sortIPKiPiPKlPlEEvT_T0_T1_T2_jjjjRNS5_12storage_typeE
                                        ; -- End function
	.section	.AMDGPU.csdata,"",@progbits
; Function info:
; codeLenInByte = 7552
; NumSgprs: 36
; NumVgprs: 99
; NumAgprs: 0
; TotalNumVgprs: 99
; ScratchSize: 0
; MemoryBound: 1
	.section	.text._ZN7rocprim17ROCPRIM_400000_NS6detail17trampoline_kernelINS0_14default_configENS1_36segmented_radix_sort_config_selectorIilEEZNS1_25segmented_radix_sort_implIS3_Lb1EPKiPiPKlPlN2at6native12_GLOBAL__N_18offset_tEEE10hipError_tPvRmT1_PNSt15iterator_traitsISK_E10value_typeET2_T3_PNSL_ISQ_E10value_typeET4_jRbjT5_SW_jjP12ihipStream_tbEUlT_E1_NS1_11comp_targetILNS1_3genE4ELNS1_11target_archE910ELNS1_3gpuE8ELNS1_3repE0EEENS1_59segmented_radix_sort_warp_sort_small_config_static_selectorELNS0_4arch9wavefront6targetE1EEEvSK_,"axG",@progbits,_ZN7rocprim17ROCPRIM_400000_NS6detail17trampoline_kernelINS0_14default_configENS1_36segmented_radix_sort_config_selectorIilEEZNS1_25segmented_radix_sort_implIS3_Lb1EPKiPiPKlPlN2at6native12_GLOBAL__N_18offset_tEEE10hipError_tPvRmT1_PNSt15iterator_traitsISK_E10value_typeET2_T3_PNSL_ISQ_E10value_typeET4_jRbjT5_SW_jjP12ihipStream_tbEUlT_E1_NS1_11comp_targetILNS1_3genE4ELNS1_11target_archE910ELNS1_3gpuE8ELNS1_3repE0EEENS1_59segmented_radix_sort_warp_sort_small_config_static_selectorELNS0_4arch9wavefront6targetE1EEEvSK_,comdat
	.globl	_ZN7rocprim17ROCPRIM_400000_NS6detail17trampoline_kernelINS0_14default_configENS1_36segmented_radix_sort_config_selectorIilEEZNS1_25segmented_radix_sort_implIS3_Lb1EPKiPiPKlPlN2at6native12_GLOBAL__N_18offset_tEEE10hipError_tPvRmT1_PNSt15iterator_traitsISK_E10value_typeET2_T3_PNSL_ISQ_E10value_typeET4_jRbjT5_SW_jjP12ihipStream_tbEUlT_E1_NS1_11comp_targetILNS1_3genE4ELNS1_11target_archE910ELNS1_3gpuE8ELNS1_3repE0EEENS1_59segmented_radix_sort_warp_sort_small_config_static_selectorELNS0_4arch9wavefront6targetE1EEEvSK_ ; -- Begin function _ZN7rocprim17ROCPRIM_400000_NS6detail17trampoline_kernelINS0_14default_configENS1_36segmented_radix_sort_config_selectorIilEEZNS1_25segmented_radix_sort_implIS3_Lb1EPKiPiPKlPlN2at6native12_GLOBAL__N_18offset_tEEE10hipError_tPvRmT1_PNSt15iterator_traitsISK_E10value_typeET2_T3_PNSL_ISQ_E10value_typeET4_jRbjT5_SW_jjP12ihipStream_tbEUlT_E1_NS1_11comp_targetILNS1_3genE4ELNS1_11target_archE910ELNS1_3gpuE8ELNS1_3repE0EEENS1_59segmented_radix_sort_warp_sort_small_config_static_selectorELNS0_4arch9wavefront6targetE1EEEvSK_
	.p2align	8
	.type	_ZN7rocprim17ROCPRIM_400000_NS6detail17trampoline_kernelINS0_14default_configENS1_36segmented_radix_sort_config_selectorIilEEZNS1_25segmented_radix_sort_implIS3_Lb1EPKiPiPKlPlN2at6native12_GLOBAL__N_18offset_tEEE10hipError_tPvRmT1_PNSt15iterator_traitsISK_E10value_typeET2_T3_PNSL_ISQ_E10value_typeET4_jRbjT5_SW_jjP12ihipStream_tbEUlT_E1_NS1_11comp_targetILNS1_3genE4ELNS1_11target_archE910ELNS1_3gpuE8ELNS1_3repE0EEENS1_59segmented_radix_sort_warp_sort_small_config_static_selectorELNS0_4arch9wavefront6targetE1EEEvSK_,@function
_ZN7rocprim17ROCPRIM_400000_NS6detail17trampoline_kernelINS0_14default_configENS1_36segmented_radix_sort_config_selectorIilEEZNS1_25segmented_radix_sort_implIS3_Lb1EPKiPiPKlPlN2at6native12_GLOBAL__N_18offset_tEEE10hipError_tPvRmT1_PNSt15iterator_traitsISK_E10value_typeET2_T3_PNSL_ISQ_E10value_typeET4_jRbjT5_SW_jjP12ihipStream_tbEUlT_E1_NS1_11comp_targetILNS1_3genE4ELNS1_11target_archE910ELNS1_3gpuE8ELNS1_3repE0EEENS1_59segmented_radix_sort_warp_sort_small_config_static_selectorELNS0_4arch9wavefront6targetE1EEEvSK_: ; @_ZN7rocprim17ROCPRIM_400000_NS6detail17trampoline_kernelINS0_14default_configENS1_36segmented_radix_sort_config_selectorIilEEZNS1_25segmented_radix_sort_implIS3_Lb1EPKiPiPKlPlN2at6native12_GLOBAL__N_18offset_tEEE10hipError_tPvRmT1_PNSt15iterator_traitsISK_E10value_typeET2_T3_PNSL_ISQ_E10value_typeET4_jRbjT5_SW_jjP12ihipStream_tbEUlT_E1_NS1_11comp_targetILNS1_3genE4ELNS1_11target_archE910ELNS1_3gpuE8ELNS1_3repE0EEENS1_59segmented_radix_sort_warp_sort_small_config_static_selectorELNS0_4arch9wavefront6targetE1EEEvSK_
; %bb.0:
	s_add_u32 flat_scratch_lo, s6, s10
	s_addc_u32 flat_scratch_hi, s7, 0
	s_add_u32 s0, s0, s10
	s_load_dword s6, s[4:5], 0x64
	s_load_dword s10, s[4:5], 0x34
	s_addc_u32 s1, s1, 0
	v_bfe_u32 v1, v0, 10, 10
	v_bfe_u32 v2, v0, 20, 10
	s_waitcnt lgkmcnt(0)
	s_lshr_b32 s7, s6, 16
	s_and_b32 s6, s6, 0xffff
	v_mad_u32_u24 v1, v2, s7, v1
	v_and_b32_e32 v2, 0x3ff, v0
	v_mad_u64_u32 v[2:3], s[6:7], v1, s6, v[2:3]
	v_lshrrev_b32_e32 v1, 3, v2
	v_lshl_add_u32 v2, s8, 5, v1
	v_cmp_gt_u32_e32 vcc, s10, v2
	s_mov_b32 s32, 0
	s_and_saveexec_b64 s[6:7], vcc
	s_cbranch_execz .LBB520_6
; %bb.1:
	s_load_dwordx2 s[6:7], s[4:5], 0x38
	s_load_dwordx4 s[12:15], s[4:5], 0x40
	v_mov_b32_e32 v3, 0
	v_lshlrev_b64 v[2:3], 2, v[2:3]
	s_waitcnt lgkmcnt(0)
	v_mov_b32_e32 v1, s7
	v_sub_co_u32_e32 v2, vcc, s6, v2
	v_subb_co_u32_e32 v3, vcc, v1, v3, vcc
	global_load_dword v1, v[2:3], off offset:-4
	s_waitcnt vmcnt(0)
	v_add_u32_e32 v2, s13, v1
	v_add_u32_e32 v1, s15, v1
	v_mul_lo_u32 v40, v2, s12
	v_mul_lo_u32 v41, v1, s14
	v_cmp_gt_u32_e32 vcc, v41, v40
	s_and_b64 exec, exec, vcc
	s_cbranch_execz .LBB520_6
; %bb.2:
	s_load_dwordx4 s[44:47], s[4:5], 0x20
	s_load_dword s6, s[4:5], 0x30
	s_load_dwordx8 s[36:43], s[4:5], 0x0
	s_load_dwordx2 s[48:49], s[4:5], 0x50
	s_mov_b32 s34, s8
	s_mov_b32 s33, s9
	s_waitcnt lgkmcnt(0)
	s_bitcmp0_b32 s6, 0
	s_mov_b64 s[6:7], -1
	s_cbranch_scc0 .LBB520_4
; %bb.3:
	s_add_u32 s8, s4, 0x58
	s_mov_b64 s[6:7], src_shared_base
	s_addc_u32 s9, s5, 0
	s_mov_b32 s12, s34
	s_mov_b32 s13, s33
	v_mov_b32_e32 v31, v0
	v_mov_b32_e32 v42, v0
	;; [unrolled: 1-line block ×16, first 2 shown]
	s_getpc_b64 s[10:11]
	s_add_u32 s10, s10, _ZN7rocprim17ROCPRIM_400000_NS6detail26segmented_warp_sort_helperINS1_20WarpSortHelperConfigILj8ELj4ELj256EEEilLi256ELb1EvE4sortIPKiPiPKlPlEEvT_T0_T1_T2_jjjjRNS5_12storage_typeE@rel32@lo+4
	s_addc_u32 s11, s11, _ZN7rocprim17ROCPRIM_400000_NS6detail26segmented_warp_sort_helperINS1_20WarpSortHelperConfigILj8ELj4ELj256EEEilLi256ELb1EvE4sortIPKiPiPKlPlEEvT_T0_T1_T2_jjjjRNS5_12storage_typeE@rel32@hi+12
	s_mov_b64 s[38:39], s[4:5]
	s_swappc_b64 s[30:31], s[10:11]
	v_mov_b32_e32 v0, v42
	s_mov_b64 s[4:5], s[38:39]
	s_mov_b64 s[6:7], 0
.LBB520_4:
	s_andn2_b64 vcc, exec, s[6:7]
	s_cbranch_vccnz .LBB520_6
; %bb.5:
	s_add_u32 s8, s4, 0x58
	s_addc_u32 s9, s5, 0
	s_mov_b64 s[4:5], src_shared_base
	s_mov_b32 s12, s34
	s_mov_b32 s13, s33
	v_mov_b32_e32 v31, v0
	v_mov_b32_e32 v0, s36
	;; [unrolled: 1-line block ×15, first 2 shown]
	s_getpc_b64 s[6:7]
	s_add_u32 s6, s6, _ZN7rocprim17ROCPRIM_400000_NS6detail26segmented_warp_sort_helperINS1_20WarpSortHelperConfigILj8ELj4ELj256EEEilLi256ELb1EvE4sortIPKiPiPKlPlEEvT_T0_T1_T2_jjjjRNS5_12storage_typeE@rel32@lo+4
	s_addc_u32 s7, s7, _ZN7rocprim17ROCPRIM_400000_NS6detail26segmented_warp_sort_helperINS1_20WarpSortHelperConfigILj8ELj4ELj256EEEilLi256ELb1EvE4sortIPKiPiPKlPlEEvT_T0_T1_T2_jjjjRNS5_12storage_typeE@rel32@hi+12
	s_swappc_b64 s[30:31], s[6:7]
.LBB520_6:
	s_endpgm
	.section	.rodata,"a",@progbits
	.p2align	6, 0x0
	.amdhsa_kernel _ZN7rocprim17ROCPRIM_400000_NS6detail17trampoline_kernelINS0_14default_configENS1_36segmented_radix_sort_config_selectorIilEEZNS1_25segmented_radix_sort_implIS3_Lb1EPKiPiPKlPlN2at6native12_GLOBAL__N_18offset_tEEE10hipError_tPvRmT1_PNSt15iterator_traitsISK_E10value_typeET2_T3_PNSL_ISQ_E10value_typeET4_jRbjT5_SW_jjP12ihipStream_tbEUlT_E1_NS1_11comp_targetILNS1_3genE4ELNS1_11target_archE910ELNS1_3gpuE8ELNS1_3repE0EEENS1_59segmented_radix_sort_warp_sort_small_config_static_selectorELNS0_4arch9wavefront6targetE1EEEvSK_
		.amdhsa_group_segment_fixed_size 12288
		.amdhsa_private_segment_fixed_size 0
		.amdhsa_kernarg_size 344
		.amdhsa_user_sgpr_count 8
		.amdhsa_user_sgpr_private_segment_buffer 1
		.amdhsa_user_sgpr_dispatch_ptr 0
		.amdhsa_user_sgpr_queue_ptr 0
		.amdhsa_user_sgpr_kernarg_segment_ptr 1
		.amdhsa_user_sgpr_dispatch_id 0
		.amdhsa_user_sgpr_flat_scratch_init 1
		.amdhsa_user_sgpr_kernarg_preload_length 0
		.amdhsa_user_sgpr_kernarg_preload_offset 0
		.amdhsa_user_sgpr_private_segment_size 0
		.amdhsa_uses_dynamic_stack 0
		.amdhsa_system_sgpr_private_segment_wavefront_offset 0
		.amdhsa_system_sgpr_workgroup_id_x 1
		.amdhsa_system_sgpr_workgroup_id_y 1
		.amdhsa_system_sgpr_workgroup_id_z 0
		.amdhsa_system_sgpr_workgroup_info 0
		.amdhsa_system_vgpr_workitem_id 2
		.amdhsa_next_free_vgpr 99
		.amdhsa_next_free_sgpr 50
		.amdhsa_accum_offset 100
		.amdhsa_reserve_vcc 1
		.amdhsa_reserve_flat_scratch 1
		.amdhsa_float_round_mode_32 0
		.amdhsa_float_round_mode_16_64 0
		.amdhsa_float_denorm_mode_32 3
		.amdhsa_float_denorm_mode_16_64 3
		.amdhsa_dx10_clamp 1
		.amdhsa_ieee_mode 1
		.amdhsa_fp16_overflow 0
		.amdhsa_tg_split 0
		.amdhsa_exception_fp_ieee_invalid_op 0
		.amdhsa_exception_fp_denorm_src 0
		.amdhsa_exception_fp_ieee_div_zero 0
		.amdhsa_exception_fp_ieee_overflow 0
		.amdhsa_exception_fp_ieee_underflow 0
		.amdhsa_exception_fp_ieee_inexact 0
		.amdhsa_exception_int_div_zero 0
	.end_amdhsa_kernel
	.section	.text._ZN7rocprim17ROCPRIM_400000_NS6detail17trampoline_kernelINS0_14default_configENS1_36segmented_radix_sort_config_selectorIilEEZNS1_25segmented_radix_sort_implIS3_Lb1EPKiPiPKlPlN2at6native12_GLOBAL__N_18offset_tEEE10hipError_tPvRmT1_PNSt15iterator_traitsISK_E10value_typeET2_T3_PNSL_ISQ_E10value_typeET4_jRbjT5_SW_jjP12ihipStream_tbEUlT_E1_NS1_11comp_targetILNS1_3genE4ELNS1_11target_archE910ELNS1_3gpuE8ELNS1_3repE0EEENS1_59segmented_radix_sort_warp_sort_small_config_static_selectorELNS0_4arch9wavefront6targetE1EEEvSK_,"axG",@progbits,_ZN7rocprim17ROCPRIM_400000_NS6detail17trampoline_kernelINS0_14default_configENS1_36segmented_radix_sort_config_selectorIilEEZNS1_25segmented_radix_sort_implIS3_Lb1EPKiPiPKlPlN2at6native12_GLOBAL__N_18offset_tEEE10hipError_tPvRmT1_PNSt15iterator_traitsISK_E10value_typeET2_T3_PNSL_ISQ_E10value_typeET4_jRbjT5_SW_jjP12ihipStream_tbEUlT_E1_NS1_11comp_targetILNS1_3genE4ELNS1_11target_archE910ELNS1_3gpuE8ELNS1_3repE0EEENS1_59segmented_radix_sort_warp_sort_small_config_static_selectorELNS0_4arch9wavefront6targetE1EEEvSK_,comdat
.Lfunc_end520:
	.size	_ZN7rocprim17ROCPRIM_400000_NS6detail17trampoline_kernelINS0_14default_configENS1_36segmented_radix_sort_config_selectorIilEEZNS1_25segmented_radix_sort_implIS3_Lb1EPKiPiPKlPlN2at6native12_GLOBAL__N_18offset_tEEE10hipError_tPvRmT1_PNSt15iterator_traitsISK_E10value_typeET2_T3_PNSL_ISQ_E10value_typeET4_jRbjT5_SW_jjP12ihipStream_tbEUlT_E1_NS1_11comp_targetILNS1_3genE4ELNS1_11target_archE910ELNS1_3gpuE8ELNS1_3repE0EEENS1_59segmented_radix_sort_warp_sort_small_config_static_selectorELNS0_4arch9wavefront6targetE1EEEvSK_, .Lfunc_end520-_ZN7rocprim17ROCPRIM_400000_NS6detail17trampoline_kernelINS0_14default_configENS1_36segmented_radix_sort_config_selectorIilEEZNS1_25segmented_radix_sort_implIS3_Lb1EPKiPiPKlPlN2at6native12_GLOBAL__N_18offset_tEEE10hipError_tPvRmT1_PNSt15iterator_traitsISK_E10value_typeET2_T3_PNSL_ISQ_E10value_typeET4_jRbjT5_SW_jjP12ihipStream_tbEUlT_E1_NS1_11comp_targetILNS1_3genE4ELNS1_11target_archE910ELNS1_3gpuE8ELNS1_3repE0EEENS1_59segmented_radix_sort_warp_sort_small_config_static_selectorELNS0_4arch9wavefront6targetE1EEEvSK_
                                        ; -- End function
	.section	.AMDGPU.csdata,"",@progbits
; Kernel info:
; codeLenInByte = 512
; NumSgprs: 56
; NumVgprs: 99
; NumAgprs: 0
; TotalNumVgprs: 99
; ScratchSize: 0
; MemoryBound: 0
; FloatMode: 240
; IeeeMode: 1
; LDSByteSize: 12288 bytes/workgroup (compile time only)
; SGPRBlocks: 6
; VGPRBlocks: 12
; NumSGPRsForWavesPerEU: 56
; NumVGPRsForWavesPerEU: 99
; AccumOffset: 100
; Occupancy: 4
; WaveLimiterHint : 0
; COMPUTE_PGM_RSRC2:SCRATCH_EN: 0
; COMPUTE_PGM_RSRC2:USER_SGPR: 8
; COMPUTE_PGM_RSRC2:TRAP_HANDLER: 0
; COMPUTE_PGM_RSRC2:TGID_X_EN: 1
; COMPUTE_PGM_RSRC2:TGID_Y_EN: 1
; COMPUTE_PGM_RSRC2:TGID_Z_EN: 0
; COMPUTE_PGM_RSRC2:TIDIG_COMP_CNT: 2
; COMPUTE_PGM_RSRC3_GFX90A:ACCUM_OFFSET: 24
; COMPUTE_PGM_RSRC3_GFX90A:TG_SPLIT: 0
	.section	.text._ZN7rocprim17ROCPRIM_400000_NS6detail17trampoline_kernelINS0_14default_configENS1_36segmented_radix_sort_config_selectorIilEEZNS1_25segmented_radix_sort_implIS3_Lb1EPKiPiPKlPlN2at6native12_GLOBAL__N_18offset_tEEE10hipError_tPvRmT1_PNSt15iterator_traitsISK_E10value_typeET2_T3_PNSL_ISQ_E10value_typeET4_jRbjT5_SW_jjP12ihipStream_tbEUlT_E1_NS1_11comp_targetILNS1_3genE3ELNS1_11target_archE908ELNS1_3gpuE7ELNS1_3repE0EEENS1_59segmented_radix_sort_warp_sort_small_config_static_selectorELNS0_4arch9wavefront6targetE1EEEvSK_,"axG",@progbits,_ZN7rocprim17ROCPRIM_400000_NS6detail17trampoline_kernelINS0_14default_configENS1_36segmented_radix_sort_config_selectorIilEEZNS1_25segmented_radix_sort_implIS3_Lb1EPKiPiPKlPlN2at6native12_GLOBAL__N_18offset_tEEE10hipError_tPvRmT1_PNSt15iterator_traitsISK_E10value_typeET2_T3_PNSL_ISQ_E10value_typeET4_jRbjT5_SW_jjP12ihipStream_tbEUlT_E1_NS1_11comp_targetILNS1_3genE3ELNS1_11target_archE908ELNS1_3gpuE7ELNS1_3repE0EEENS1_59segmented_radix_sort_warp_sort_small_config_static_selectorELNS0_4arch9wavefront6targetE1EEEvSK_,comdat
	.globl	_ZN7rocprim17ROCPRIM_400000_NS6detail17trampoline_kernelINS0_14default_configENS1_36segmented_radix_sort_config_selectorIilEEZNS1_25segmented_radix_sort_implIS3_Lb1EPKiPiPKlPlN2at6native12_GLOBAL__N_18offset_tEEE10hipError_tPvRmT1_PNSt15iterator_traitsISK_E10value_typeET2_T3_PNSL_ISQ_E10value_typeET4_jRbjT5_SW_jjP12ihipStream_tbEUlT_E1_NS1_11comp_targetILNS1_3genE3ELNS1_11target_archE908ELNS1_3gpuE7ELNS1_3repE0EEENS1_59segmented_radix_sort_warp_sort_small_config_static_selectorELNS0_4arch9wavefront6targetE1EEEvSK_ ; -- Begin function _ZN7rocprim17ROCPRIM_400000_NS6detail17trampoline_kernelINS0_14default_configENS1_36segmented_radix_sort_config_selectorIilEEZNS1_25segmented_radix_sort_implIS3_Lb1EPKiPiPKlPlN2at6native12_GLOBAL__N_18offset_tEEE10hipError_tPvRmT1_PNSt15iterator_traitsISK_E10value_typeET2_T3_PNSL_ISQ_E10value_typeET4_jRbjT5_SW_jjP12ihipStream_tbEUlT_E1_NS1_11comp_targetILNS1_3genE3ELNS1_11target_archE908ELNS1_3gpuE7ELNS1_3repE0EEENS1_59segmented_radix_sort_warp_sort_small_config_static_selectorELNS0_4arch9wavefront6targetE1EEEvSK_
	.p2align	8
	.type	_ZN7rocprim17ROCPRIM_400000_NS6detail17trampoline_kernelINS0_14default_configENS1_36segmented_radix_sort_config_selectorIilEEZNS1_25segmented_radix_sort_implIS3_Lb1EPKiPiPKlPlN2at6native12_GLOBAL__N_18offset_tEEE10hipError_tPvRmT1_PNSt15iterator_traitsISK_E10value_typeET2_T3_PNSL_ISQ_E10value_typeET4_jRbjT5_SW_jjP12ihipStream_tbEUlT_E1_NS1_11comp_targetILNS1_3genE3ELNS1_11target_archE908ELNS1_3gpuE7ELNS1_3repE0EEENS1_59segmented_radix_sort_warp_sort_small_config_static_selectorELNS0_4arch9wavefront6targetE1EEEvSK_,@function
_ZN7rocprim17ROCPRIM_400000_NS6detail17trampoline_kernelINS0_14default_configENS1_36segmented_radix_sort_config_selectorIilEEZNS1_25segmented_radix_sort_implIS3_Lb1EPKiPiPKlPlN2at6native12_GLOBAL__N_18offset_tEEE10hipError_tPvRmT1_PNSt15iterator_traitsISK_E10value_typeET2_T3_PNSL_ISQ_E10value_typeET4_jRbjT5_SW_jjP12ihipStream_tbEUlT_E1_NS1_11comp_targetILNS1_3genE3ELNS1_11target_archE908ELNS1_3gpuE7ELNS1_3repE0EEENS1_59segmented_radix_sort_warp_sort_small_config_static_selectorELNS0_4arch9wavefront6targetE1EEEvSK_: ; @_ZN7rocprim17ROCPRIM_400000_NS6detail17trampoline_kernelINS0_14default_configENS1_36segmented_radix_sort_config_selectorIilEEZNS1_25segmented_radix_sort_implIS3_Lb1EPKiPiPKlPlN2at6native12_GLOBAL__N_18offset_tEEE10hipError_tPvRmT1_PNSt15iterator_traitsISK_E10value_typeET2_T3_PNSL_ISQ_E10value_typeET4_jRbjT5_SW_jjP12ihipStream_tbEUlT_E1_NS1_11comp_targetILNS1_3genE3ELNS1_11target_archE908ELNS1_3gpuE7ELNS1_3repE0EEENS1_59segmented_radix_sort_warp_sort_small_config_static_selectorELNS0_4arch9wavefront6targetE1EEEvSK_
; %bb.0:
	.section	.rodata,"a",@progbits
	.p2align	6, 0x0
	.amdhsa_kernel _ZN7rocprim17ROCPRIM_400000_NS6detail17trampoline_kernelINS0_14default_configENS1_36segmented_radix_sort_config_selectorIilEEZNS1_25segmented_radix_sort_implIS3_Lb1EPKiPiPKlPlN2at6native12_GLOBAL__N_18offset_tEEE10hipError_tPvRmT1_PNSt15iterator_traitsISK_E10value_typeET2_T3_PNSL_ISQ_E10value_typeET4_jRbjT5_SW_jjP12ihipStream_tbEUlT_E1_NS1_11comp_targetILNS1_3genE3ELNS1_11target_archE908ELNS1_3gpuE7ELNS1_3repE0EEENS1_59segmented_radix_sort_warp_sort_small_config_static_selectorELNS0_4arch9wavefront6targetE1EEEvSK_
		.amdhsa_group_segment_fixed_size 0
		.amdhsa_private_segment_fixed_size 0
		.amdhsa_kernarg_size 88
		.amdhsa_user_sgpr_count 6
		.amdhsa_user_sgpr_private_segment_buffer 1
		.amdhsa_user_sgpr_dispatch_ptr 0
		.amdhsa_user_sgpr_queue_ptr 0
		.amdhsa_user_sgpr_kernarg_segment_ptr 1
		.amdhsa_user_sgpr_dispatch_id 0
		.amdhsa_user_sgpr_flat_scratch_init 0
		.amdhsa_user_sgpr_kernarg_preload_length 0
		.amdhsa_user_sgpr_kernarg_preload_offset 0
		.amdhsa_user_sgpr_private_segment_size 0
		.amdhsa_uses_dynamic_stack 0
		.amdhsa_system_sgpr_private_segment_wavefront_offset 0
		.amdhsa_system_sgpr_workgroup_id_x 1
		.amdhsa_system_sgpr_workgroup_id_y 0
		.amdhsa_system_sgpr_workgroup_id_z 0
		.amdhsa_system_sgpr_workgroup_info 0
		.amdhsa_system_vgpr_workitem_id 0
		.amdhsa_next_free_vgpr 1
		.amdhsa_next_free_sgpr 0
		.amdhsa_accum_offset 4
		.amdhsa_reserve_vcc 0
		.amdhsa_reserve_flat_scratch 0
		.amdhsa_float_round_mode_32 0
		.amdhsa_float_round_mode_16_64 0
		.amdhsa_float_denorm_mode_32 3
		.amdhsa_float_denorm_mode_16_64 3
		.amdhsa_dx10_clamp 1
		.amdhsa_ieee_mode 1
		.amdhsa_fp16_overflow 0
		.amdhsa_tg_split 0
		.amdhsa_exception_fp_ieee_invalid_op 0
		.amdhsa_exception_fp_denorm_src 0
		.amdhsa_exception_fp_ieee_div_zero 0
		.amdhsa_exception_fp_ieee_overflow 0
		.amdhsa_exception_fp_ieee_underflow 0
		.amdhsa_exception_fp_ieee_inexact 0
		.amdhsa_exception_int_div_zero 0
	.end_amdhsa_kernel
	.section	.text._ZN7rocprim17ROCPRIM_400000_NS6detail17trampoline_kernelINS0_14default_configENS1_36segmented_radix_sort_config_selectorIilEEZNS1_25segmented_radix_sort_implIS3_Lb1EPKiPiPKlPlN2at6native12_GLOBAL__N_18offset_tEEE10hipError_tPvRmT1_PNSt15iterator_traitsISK_E10value_typeET2_T3_PNSL_ISQ_E10value_typeET4_jRbjT5_SW_jjP12ihipStream_tbEUlT_E1_NS1_11comp_targetILNS1_3genE3ELNS1_11target_archE908ELNS1_3gpuE7ELNS1_3repE0EEENS1_59segmented_radix_sort_warp_sort_small_config_static_selectorELNS0_4arch9wavefront6targetE1EEEvSK_,"axG",@progbits,_ZN7rocprim17ROCPRIM_400000_NS6detail17trampoline_kernelINS0_14default_configENS1_36segmented_radix_sort_config_selectorIilEEZNS1_25segmented_radix_sort_implIS3_Lb1EPKiPiPKlPlN2at6native12_GLOBAL__N_18offset_tEEE10hipError_tPvRmT1_PNSt15iterator_traitsISK_E10value_typeET2_T3_PNSL_ISQ_E10value_typeET4_jRbjT5_SW_jjP12ihipStream_tbEUlT_E1_NS1_11comp_targetILNS1_3genE3ELNS1_11target_archE908ELNS1_3gpuE7ELNS1_3repE0EEENS1_59segmented_radix_sort_warp_sort_small_config_static_selectorELNS0_4arch9wavefront6targetE1EEEvSK_,comdat
.Lfunc_end521:
	.size	_ZN7rocprim17ROCPRIM_400000_NS6detail17trampoline_kernelINS0_14default_configENS1_36segmented_radix_sort_config_selectorIilEEZNS1_25segmented_radix_sort_implIS3_Lb1EPKiPiPKlPlN2at6native12_GLOBAL__N_18offset_tEEE10hipError_tPvRmT1_PNSt15iterator_traitsISK_E10value_typeET2_T3_PNSL_ISQ_E10value_typeET4_jRbjT5_SW_jjP12ihipStream_tbEUlT_E1_NS1_11comp_targetILNS1_3genE3ELNS1_11target_archE908ELNS1_3gpuE7ELNS1_3repE0EEENS1_59segmented_radix_sort_warp_sort_small_config_static_selectorELNS0_4arch9wavefront6targetE1EEEvSK_, .Lfunc_end521-_ZN7rocprim17ROCPRIM_400000_NS6detail17trampoline_kernelINS0_14default_configENS1_36segmented_radix_sort_config_selectorIilEEZNS1_25segmented_radix_sort_implIS3_Lb1EPKiPiPKlPlN2at6native12_GLOBAL__N_18offset_tEEE10hipError_tPvRmT1_PNSt15iterator_traitsISK_E10value_typeET2_T3_PNSL_ISQ_E10value_typeET4_jRbjT5_SW_jjP12ihipStream_tbEUlT_E1_NS1_11comp_targetILNS1_3genE3ELNS1_11target_archE908ELNS1_3gpuE7ELNS1_3repE0EEENS1_59segmented_radix_sort_warp_sort_small_config_static_selectorELNS0_4arch9wavefront6targetE1EEEvSK_
                                        ; -- End function
	.section	.AMDGPU.csdata,"",@progbits
; Kernel info:
; codeLenInByte = 0
; NumSgprs: 4
; NumVgprs: 0
; NumAgprs: 0
; TotalNumVgprs: 0
; ScratchSize: 0
; MemoryBound: 0
; FloatMode: 240
; IeeeMode: 1
; LDSByteSize: 0 bytes/workgroup (compile time only)
; SGPRBlocks: 0
; VGPRBlocks: 0
; NumSGPRsForWavesPerEU: 4
; NumVGPRsForWavesPerEU: 1
; AccumOffset: 4
; Occupancy: 8
; WaveLimiterHint : 0
; COMPUTE_PGM_RSRC2:SCRATCH_EN: 0
; COMPUTE_PGM_RSRC2:USER_SGPR: 6
; COMPUTE_PGM_RSRC2:TRAP_HANDLER: 0
; COMPUTE_PGM_RSRC2:TGID_X_EN: 1
; COMPUTE_PGM_RSRC2:TGID_Y_EN: 0
; COMPUTE_PGM_RSRC2:TGID_Z_EN: 0
; COMPUTE_PGM_RSRC2:TIDIG_COMP_CNT: 0
; COMPUTE_PGM_RSRC3_GFX90A:ACCUM_OFFSET: 0
; COMPUTE_PGM_RSRC3_GFX90A:TG_SPLIT: 0
	.section	.text._ZN7rocprim17ROCPRIM_400000_NS6detail17trampoline_kernelINS0_14default_configENS1_36segmented_radix_sort_config_selectorIilEEZNS1_25segmented_radix_sort_implIS3_Lb1EPKiPiPKlPlN2at6native12_GLOBAL__N_18offset_tEEE10hipError_tPvRmT1_PNSt15iterator_traitsISK_E10value_typeET2_T3_PNSL_ISQ_E10value_typeET4_jRbjT5_SW_jjP12ihipStream_tbEUlT_E1_NS1_11comp_targetILNS1_3genE2ELNS1_11target_archE906ELNS1_3gpuE6ELNS1_3repE0EEENS1_59segmented_radix_sort_warp_sort_small_config_static_selectorELNS0_4arch9wavefront6targetE1EEEvSK_,"axG",@progbits,_ZN7rocprim17ROCPRIM_400000_NS6detail17trampoline_kernelINS0_14default_configENS1_36segmented_radix_sort_config_selectorIilEEZNS1_25segmented_radix_sort_implIS3_Lb1EPKiPiPKlPlN2at6native12_GLOBAL__N_18offset_tEEE10hipError_tPvRmT1_PNSt15iterator_traitsISK_E10value_typeET2_T3_PNSL_ISQ_E10value_typeET4_jRbjT5_SW_jjP12ihipStream_tbEUlT_E1_NS1_11comp_targetILNS1_3genE2ELNS1_11target_archE906ELNS1_3gpuE6ELNS1_3repE0EEENS1_59segmented_radix_sort_warp_sort_small_config_static_selectorELNS0_4arch9wavefront6targetE1EEEvSK_,comdat
	.globl	_ZN7rocprim17ROCPRIM_400000_NS6detail17trampoline_kernelINS0_14default_configENS1_36segmented_radix_sort_config_selectorIilEEZNS1_25segmented_radix_sort_implIS3_Lb1EPKiPiPKlPlN2at6native12_GLOBAL__N_18offset_tEEE10hipError_tPvRmT1_PNSt15iterator_traitsISK_E10value_typeET2_T3_PNSL_ISQ_E10value_typeET4_jRbjT5_SW_jjP12ihipStream_tbEUlT_E1_NS1_11comp_targetILNS1_3genE2ELNS1_11target_archE906ELNS1_3gpuE6ELNS1_3repE0EEENS1_59segmented_radix_sort_warp_sort_small_config_static_selectorELNS0_4arch9wavefront6targetE1EEEvSK_ ; -- Begin function _ZN7rocprim17ROCPRIM_400000_NS6detail17trampoline_kernelINS0_14default_configENS1_36segmented_radix_sort_config_selectorIilEEZNS1_25segmented_radix_sort_implIS3_Lb1EPKiPiPKlPlN2at6native12_GLOBAL__N_18offset_tEEE10hipError_tPvRmT1_PNSt15iterator_traitsISK_E10value_typeET2_T3_PNSL_ISQ_E10value_typeET4_jRbjT5_SW_jjP12ihipStream_tbEUlT_E1_NS1_11comp_targetILNS1_3genE2ELNS1_11target_archE906ELNS1_3gpuE6ELNS1_3repE0EEENS1_59segmented_radix_sort_warp_sort_small_config_static_selectorELNS0_4arch9wavefront6targetE1EEEvSK_
	.p2align	8
	.type	_ZN7rocprim17ROCPRIM_400000_NS6detail17trampoline_kernelINS0_14default_configENS1_36segmented_radix_sort_config_selectorIilEEZNS1_25segmented_radix_sort_implIS3_Lb1EPKiPiPKlPlN2at6native12_GLOBAL__N_18offset_tEEE10hipError_tPvRmT1_PNSt15iterator_traitsISK_E10value_typeET2_T3_PNSL_ISQ_E10value_typeET4_jRbjT5_SW_jjP12ihipStream_tbEUlT_E1_NS1_11comp_targetILNS1_3genE2ELNS1_11target_archE906ELNS1_3gpuE6ELNS1_3repE0EEENS1_59segmented_radix_sort_warp_sort_small_config_static_selectorELNS0_4arch9wavefront6targetE1EEEvSK_,@function
_ZN7rocprim17ROCPRIM_400000_NS6detail17trampoline_kernelINS0_14default_configENS1_36segmented_radix_sort_config_selectorIilEEZNS1_25segmented_radix_sort_implIS3_Lb1EPKiPiPKlPlN2at6native12_GLOBAL__N_18offset_tEEE10hipError_tPvRmT1_PNSt15iterator_traitsISK_E10value_typeET2_T3_PNSL_ISQ_E10value_typeET4_jRbjT5_SW_jjP12ihipStream_tbEUlT_E1_NS1_11comp_targetILNS1_3genE2ELNS1_11target_archE906ELNS1_3gpuE6ELNS1_3repE0EEENS1_59segmented_radix_sort_warp_sort_small_config_static_selectorELNS0_4arch9wavefront6targetE1EEEvSK_: ; @_ZN7rocprim17ROCPRIM_400000_NS6detail17trampoline_kernelINS0_14default_configENS1_36segmented_radix_sort_config_selectorIilEEZNS1_25segmented_radix_sort_implIS3_Lb1EPKiPiPKlPlN2at6native12_GLOBAL__N_18offset_tEEE10hipError_tPvRmT1_PNSt15iterator_traitsISK_E10value_typeET2_T3_PNSL_ISQ_E10value_typeET4_jRbjT5_SW_jjP12ihipStream_tbEUlT_E1_NS1_11comp_targetILNS1_3genE2ELNS1_11target_archE906ELNS1_3gpuE6ELNS1_3repE0EEENS1_59segmented_radix_sort_warp_sort_small_config_static_selectorELNS0_4arch9wavefront6targetE1EEEvSK_
; %bb.0:
	.section	.rodata,"a",@progbits
	.p2align	6, 0x0
	.amdhsa_kernel _ZN7rocprim17ROCPRIM_400000_NS6detail17trampoline_kernelINS0_14default_configENS1_36segmented_radix_sort_config_selectorIilEEZNS1_25segmented_radix_sort_implIS3_Lb1EPKiPiPKlPlN2at6native12_GLOBAL__N_18offset_tEEE10hipError_tPvRmT1_PNSt15iterator_traitsISK_E10value_typeET2_T3_PNSL_ISQ_E10value_typeET4_jRbjT5_SW_jjP12ihipStream_tbEUlT_E1_NS1_11comp_targetILNS1_3genE2ELNS1_11target_archE906ELNS1_3gpuE6ELNS1_3repE0EEENS1_59segmented_radix_sort_warp_sort_small_config_static_selectorELNS0_4arch9wavefront6targetE1EEEvSK_
		.amdhsa_group_segment_fixed_size 0
		.amdhsa_private_segment_fixed_size 0
		.amdhsa_kernarg_size 88
		.amdhsa_user_sgpr_count 6
		.amdhsa_user_sgpr_private_segment_buffer 1
		.amdhsa_user_sgpr_dispatch_ptr 0
		.amdhsa_user_sgpr_queue_ptr 0
		.amdhsa_user_sgpr_kernarg_segment_ptr 1
		.amdhsa_user_sgpr_dispatch_id 0
		.amdhsa_user_sgpr_flat_scratch_init 0
		.amdhsa_user_sgpr_kernarg_preload_length 0
		.amdhsa_user_sgpr_kernarg_preload_offset 0
		.amdhsa_user_sgpr_private_segment_size 0
		.amdhsa_uses_dynamic_stack 0
		.amdhsa_system_sgpr_private_segment_wavefront_offset 0
		.amdhsa_system_sgpr_workgroup_id_x 1
		.amdhsa_system_sgpr_workgroup_id_y 0
		.amdhsa_system_sgpr_workgroup_id_z 0
		.amdhsa_system_sgpr_workgroup_info 0
		.amdhsa_system_vgpr_workitem_id 0
		.amdhsa_next_free_vgpr 1
		.amdhsa_next_free_sgpr 0
		.amdhsa_accum_offset 4
		.amdhsa_reserve_vcc 0
		.amdhsa_reserve_flat_scratch 0
		.amdhsa_float_round_mode_32 0
		.amdhsa_float_round_mode_16_64 0
		.amdhsa_float_denorm_mode_32 3
		.amdhsa_float_denorm_mode_16_64 3
		.amdhsa_dx10_clamp 1
		.amdhsa_ieee_mode 1
		.amdhsa_fp16_overflow 0
		.amdhsa_tg_split 0
		.amdhsa_exception_fp_ieee_invalid_op 0
		.amdhsa_exception_fp_denorm_src 0
		.amdhsa_exception_fp_ieee_div_zero 0
		.amdhsa_exception_fp_ieee_overflow 0
		.amdhsa_exception_fp_ieee_underflow 0
		.amdhsa_exception_fp_ieee_inexact 0
		.amdhsa_exception_int_div_zero 0
	.end_amdhsa_kernel
	.section	.text._ZN7rocprim17ROCPRIM_400000_NS6detail17trampoline_kernelINS0_14default_configENS1_36segmented_radix_sort_config_selectorIilEEZNS1_25segmented_radix_sort_implIS3_Lb1EPKiPiPKlPlN2at6native12_GLOBAL__N_18offset_tEEE10hipError_tPvRmT1_PNSt15iterator_traitsISK_E10value_typeET2_T3_PNSL_ISQ_E10value_typeET4_jRbjT5_SW_jjP12ihipStream_tbEUlT_E1_NS1_11comp_targetILNS1_3genE2ELNS1_11target_archE906ELNS1_3gpuE6ELNS1_3repE0EEENS1_59segmented_radix_sort_warp_sort_small_config_static_selectorELNS0_4arch9wavefront6targetE1EEEvSK_,"axG",@progbits,_ZN7rocprim17ROCPRIM_400000_NS6detail17trampoline_kernelINS0_14default_configENS1_36segmented_radix_sort_config_selectorIilEEZNS1_25segmented_radix_sort_implIS3_Lb1EPKiPiPKlPlN2at6native12_GLOBAL__N_18offset_tEEE10hipError_tPvRmT1_PNSt15iterator_traitsISK_E10value_typeET2_T3_PNSL_ISQ_E10value_typeET4_jRbjT5_SW_jjP12ihipStream_tbEUlT_E1_NS1_11comp_targetILNS1_3genE2ELNS1_11target_archE906ELNS1_3gpuE6ELNS1_3repE0EEENS1_59segmented_radix_sort_warp_sort_small_config_static_selectorELNS0_4arch9wavefront6targetE1EEEvSK_,comdat
.Lfunc_end522:
	.size	_ZN7rocprim17ROCPRIM_400000_NS6detail17trampoline_kernelINS0_14default_configENS1_36segmented_radix_sort_config_selectorIilEEZNS1_25segmented_radix_sort_implIS3_Lb1EPKiPiPKlPlN2at6native12_GLOBAL__N_18offset_tEEE10hipError_tPvRmT1_PNSt15iterator_traitsISK_E10value_typeET2_T3_PNSL_ISQ_E10value_typeET4_jRbjT5_SW_jjP12ihipStream_tbEUlT_E1_NS1_11comp_targetILNS1_3genE2ELNS1_11target_archE906ELNS1_3gpuE6ELNS1_3repE0EEENS1_59segmented_radix_sort_warp_sort_small_config_static_selectorELNS0_4arch9wavefront6targetE1EEEvSK_, .Lfunc_end522-_ZN7rocprim17ROCPRIM_400000_NS6detail17trampoline_kernelINS0_14default_configENS1_36segmented_radix_sort_config_selectorIilEEZNS1_25segmented_radix_sort_implIS3_Lb1EPKiPiPKlPlN2at6native12_GLOBAL__N_18offset_tEEE10hipError_tPvRmT1_PNSt15iterator_traitsISK_E10value_typeET2_T3_PNSL_ISQ_E10value_typeET4_jRbjT5_SW_jjP12ihipStream_tbEUlT_E1_NS1_11comp_targetILNS1_3genE2ELNS1_11target_archE906ELNS1_3gpuE6ELNS1_3repE0EEENS1_59segmented_radix_sort_warp_sort_small_config_static_selectorELNS0_4arch9wavefront6targetE1EEEvSK_
                                        ; -- End function
	.section	.AMDGPU.csdata,"",@progbits
; Kernel info:
; codeLenInByte = 0
; NumSgprs: 4
; NumVgprs: 0
; NumAgprs: 0
; TotalNumVgprs: 0
; ScratchSize: 0
; MemoryBound: 0
; FloatMode: 240
; IeeeMode: 1
; LDSByteSize: 0 bytes/workgroup (compile time only)
; SGPRBlocks: 0
; VGPRBlocks: 0
; NumSGPRsForWavesPerEU: 4
; NumVGPRsForWavesPerEU: 1
; AccumOffset: 4
; Occupancy: 8
; WaveLimiterHint : 0
; COMPUTE_PGM_RSRC2:SCRATCH_EN: 0
; COMPUTE_PGM_RSRC2:USER_SGPR: 6
; COMPUTE_PGM_RSRC2:TRAP_HANDLER: 0
; COMPUTE_PGM_RSRC2:TGID_X_EN: 1
; COMPUTE_PGM_RSRC2:TGID_Y_EN: 0
; COMPUTE_PGM_RSRC2:TGID_Z_EN: 0
; COMPUTE_PGM_RSRC2:TIDIG_COMP_CNT: 0
; COMPUTE_PGM_RSRC3_GFX90A:ACCUM_OFFSET: 0
; COMPUTE_PGM_RSRC3_GFX90A:TG_SPLIT: 0
	.section	.text._ZN7rocprim17ROCPRIM_400000_NS6detail17trampoline_kernelINS0_14default_configENS1_36segmented_radix_sort_config_selectorIilEEZNS1_25segmented_radix_sort_implIS3_Lb1EPKiPiPKlPlN2at6native12_GLOBAL__N_18offset_tEEE10hipError_tPvRmT1_PNSt15iterator_traitsISK_E10value_typeET2_T3_PNSL_ISQ_E10value_typeET4_jRbjT5_SW_jjP12ihipStream_tbEUlT_E1_NS1_11comp_targetILNS1_3genE10ELNS1_11target_archE1201ELNS1_3gpuE5ELNS1_3repE0EEENS1_59segmented_radix_sort_warp_sort_small_config_static_selectorELNS0_4arch9wavefront6targetE1EEEvSK_,"axG",@progbits,_ZN7rocprim17ROCPRIM_400000_NS6detail17trampoline_kernelINS0_14default_configENS1_36segmented_radix_sort_config_selectorIilEEZNS1_25segmented_radix_sort_implIS3_Lb1EPKiPiPKlPlN2at6native12_GLOBAL__N_18offset_tEEE10hipError_tPvRmT1_PNSt15iterator_traitsISK_E10value_typeET2_T3_PNSL_ISQ_E10value_typeET4_jRbjT5_SW_jjP12ihipStream_tbEUlT_E1_NS1_11comp_targetILNS1_3genE10ELNS1_11target_archE1201ELNS1_3gpuE5ELNS1_3repE0EEENS1_59segmented_radix_sort_warp_sort_small_config_static_selectorELNS0_4arch9wavefront6targetE1EEEvSK_,comdat
	.globl	_ZN7rocprim17ROCPRIM_400000_NS6detail17trampoline_kernelINS0_14default_configENS1_36segmented_radix_sort_config_selectorIilEEZNS1_25segmented_radix_sort_implIS3_Lb1EPKiPiPKlPlN2at6native12_GLOBAL__N_18offset_tEEE10hipError_tPvRmT1_PNSt15iterator_traitsISK_E10value_typeET2_T3_PNSL_ISQ_E10value_typeET4_jRbjT5_SW_jjP12ihipStream_tbEUlT_E1_NS1_11comp_targetILNS1_3genE10ELNS1_11target_archE1201ELNS1_3gpuE5ELNS1_3repE0EEENS1_59segmented_radix_sort_warp_sort_small_config_static_selectorELNS0_4arch9wavefront6targetE1EEEvSK_ ; -- Begin function _ZN7rocprim17ROCPRIM_400000_NS6detail17trampoline_kernelINS0_14default_configENS1_36segmented_radix_sort_config_selectorIilEEZNS1_25segmented_radix_sort_implIS3_Lb1EPKiPiPKlPlN2at6native12_GLOBAL__N_18offset_tEEE10hipError_tPvRmT1_PNSt15iterator_traitsISK_E10value_typeET2_T3_PNSL_ISQ_E10value_typeET4_jRbjT5_SW_jjP12ihipStream_tbEUlT_E1_NS1_11comp_targetILNS1_3genE10ELNS1_11target_archE1201ELNS1_3gpuE5ELNS1_3repE0EEENS1_59segmented_radix_sort_warp_sort_small_config_static_selectorELNS0_4arch9wavefront6targetE1EEEvSK_
	.p2align	8
	.type	_ZN7rocprim17ROCPRIM_400000_NS6detail17trampoline_kernelINS0_14default_configENS1_36segmented_radix_sort_config_selectorIilEEZNS1_25segmented_radix_sort_implIS3_Lb1EPKiPiPKlPlN2at6native12_GLOBAL__N_18offset_tEEE10hipError_tPvRmT1_PNSt15iterator_traitsISK_E10value_typeET2_T3_PNSL_ISQ_E10value_typeET4_jRbjT5_SW_jjP12ihipStream_tbEUlT_E1_NS1_11comp_targetILNS1_3genE10ELNS1_11target_archE1201ELNS1_3gpuE5ELNS1_3repE0EEENS1_59segmented_radix_sort_warp_sort_small_config_static_selectorELNS0_4arch9wavefront6targetE1EEEvSK_,@function
_ZN7rocprim17ROCPRIM_400000_NS6detail17trampoline_kernelINS0_14default_configENS1_36segmented_radix_sort_config_selectorIilEEZNS1_25segmented_radix_sort_implIS3_Lb1EPKiPiPKlPlN2at6native12_GLOBAL__N_18offset_tEEE10hipError_tPvRmT1_PNSt15iterator_traitsISK_E10value_typeET2_T3_PNSL_ISQ_E10value_typeET4_jRbjT5_SW_jjP12ihipStream_tbEUlT_E1_NS1_11comp_targetILNS1_3genE10ELNS1_11target_archE1201ELNS1_3gpuE5ELNS1_3repE0EEENS1_59segmented_radix_sort_warp_sort_small_config_static_selectorELNS0_4arch9wavefront6targetE1EEEvSK_: ; @_ZN7rocprim17ROCPRIM_400000_NS6detail17trampoline_kernelINS0_14default_configENS1_36segmented_radix_sort_config_selectorIilEEZNS1_25segmented_radix_sort_implIS3_Lb1EPKiPiPKlPlN2at6native12_GLOBAL__N_18offset_tEEE10hipError_tPvRmT1_PNSt15iterator_traitsISK_E10value_typeET2_T3_PNSL_ISQ_E10value_typeET4_jRbjT5_SW_jjP12ihipStream_tbEUlT_E1_NS1_11comp_targetILNS1_3genE10ELNS1_11target_archE1201ELNS1_3gpuE5ELNS1_3repE0EEENS1_59segmented_radix_sort_warp_sort_small_config_static_selectorELNS0_4arch9wavefront6targetE1EEEvSK_
; %bb.0:
	.section	.rodata,"a",@progbits
	.p2align	6, 0x0
	.amdhsa_kernel _ZN7rocprim17ROCPRIM_400000_NS6detail17trampoline_kernelINS0_14default_configENS1_36segmented_radix_sort_config_selectorIilEEZNS1_25segmented_radix_sort_implIS3_Lb1EPKiPiPKlPlN2at6native12_GLOBAL__N_18offset_tEEE10hipError_tPvRmT1_PNSt15iterator_traitsISK_E10value_typeET2_T3_PNSL_ISQ_E10value_typeET4_jRbjT5_SW_jjP12ihipStream_tbEUlT_E1_NS1_11comp_targetILNS1_3genE10ELNS1_11target_archE1201ELNS1_3gpuE5ELNS1_3repE0EEENS1_59segmented_radix_sort_warp_sort_small_config_static_selectorELNS0_4arch9wavefront6targetE1EEEvSK_
		.amdhsa_group_segment_fixed_size 0
		.amdhsa_private_segment_fixed_size 0
		.amdhsa_kernarg_size 88
		.amdhsa_user_sgpr_count 6
		.amdhsa_user_sgpr_private_segment_buffer 1
		.amdhsa_user_sgpr_dispatch_ptr 0
		.amdhsa_user_sgpr_queue_ptr 0
		.amdhsa_user_sgpr_kernarg_segment_ptr 1
		.amdhsa_user_sgpr_dispatch_id 0
		.amdhsa_user_sgpr_flat_scratch_init 0
		.amdhsa_user_sgpr_kernarg_preload_length 0
		.amdhsa_user_sgpr_kernarg_preload_offset 0
		.amdhsa_user_sgpr_private_segment_size 0
		.amdhsa_uses_dynamic_stack 0
		.amdhsa_system_sgpr_private_segment_wavefront_offset 0
		.amdhsa_system_sgpr_workgroup_id_x 1
		.amdhsa_system_sgpr_workgroup_id_y 0
		.amdhsa_system_sgpr_workgroup_id_z 0
		.amdhsa_system_sgpr_workgroup_info 0
		.amdhsa_system_vgpr_workitem_id 0
		.amdhsa_next_free_vgpr 1
		.amdhsa_next_free_sgpr 0
		.amdhsa_accum_offset 4
		.amdhsa_reserve_vcc 0
		.amdhsa_reserve_flat_scratch 0
		.amdhsa_float_round_mode_32 0
		.amdhsa_float_round_mode_16_64 0
		.amdhsa_float_denorm_mode_32 3
		.amdhsa_float_denorm_mode_16_64 3
		.amdhsa_dx10_clamp 1
		.amdhsa_ieee_mode 1
		.amdhsa_fp16_overflow 0
		.amdhsa_tg_split 0
		.amdhsa_exception_fp_ieee_invalid_op 0
		.amdhsa_exception_fp_denorm_src 0
		.amdhsa_exception_fp_ieee_div_zero 0
		.amdhsa_exception_fp_ieee_overflow 0
		.amdhsa_exception_fp_ieee_underflow 0
		.amdhsa_exception_fp_ieee_inexact 0
		.amdhsa_exception_int_div_zero 0
	.end_amdhsa_kernel
	.section	.text._ZN7rocprim17ROCPRIM_400000_NS6detail17trampoline_kernelINS0_14default_configENS1_36segmented_radix_sort_config_selectorIilEEZNS1_25segmented_radix_sort_implIS3_Lb1EPKiPiPKlPlN2at6native12_GLOBAL__N_18offset_tEEE10hipError_tPvRmT1_PNSt15iterator_traitsISK_E10value_typeET2_T3_PNSL_ISQ_E10value_typeET4_jRbjT5_SW_jjP12ihipStream_tbEUlT_E1_NS1_11comp_targetILNS1_3genE10ELNS1_11target_archE1201ELNS1_3gpuE5ELNS1_3repE0EEENS1_59segmented_radix_sort_warp_sort_small_config_static_selectorELNS0_4arch9wavefront6targetE1EEEvSK_,"axG",@progbits,_ZN7rocprim17ROCPRIM_400000_NS6detail17trampoline_kernelINS0_14default_configENS1_36segmented_radix_sort_config_selectorIilEEZNS1_25segmented_radix_sort_implIS3_Lb1EPKiPiPKlPlN2at6native12_GLOBAL__N_18offset_tEEE10hipError_tPvRmT1_PNSt15iterator_traitsISK_E10value_typeET2_T3_PNSL_ISQ_E10value_typeET4_jRbjT5_SW_jjP12ihipStream_tbEUlT_E1_NS1_11comp_targetILNS1_3genE10ELNS1_11target_archE1201ELNS1_3gpuE5ELNS1_3repE0EEENS1_59segmented_radix_sort_warp_sort_small_config_static_selectorELNS0_4arch9wavefront6targetE1EEEvSK_,comdat
.Lfunc_end523:
	.size	_ZN7rocprim17ROCPRIM_400000_NS6detail17trampoline_kernelINS0_14default_configENS1_36segmented_radix_sort_config_selectorIilEEZNS1_25segmented_radix_sort_implIS3_Lb1EPKiPiPKlPlN2at6native12_GLOBAL__N_18offset_tEEE10hipError_tPvRmT1_PNSt15iterator_traitsISK_E10value_typeET2_T3_PNSL_ISQ_E10value_typeET4_jRbjT5_SW_jjP12ihipStream_tbEUlT_E1_NS1_11comp_targetILNS1_3genE10ELNS1_11target_archE1201ELNS1_3gpuE5ELNS1_3repE0EEENS1_59segmented_radix_sort_warp_sort_small_config_static_selectorELNS0_4arch9wavefront6targetE1EEEvSK_, .Lfunc_end523-_ZN7rocprim17ROCPRIM_400000_NS6detail17trampoline_kernelINS0_14default_configENS1_36segmented_radix_sort_config_selectorIilEEZNS1_25segmented_radix_sort_implIS3_Lb1EPKiPiPKlPlN2at6native12_GLOBAL__N_18offset_tEEE10hipError_tPvRmT1_PNSt15iterator_traitsISK_E10value_typeET2_T3_PNSL_ISQ_E10value_typeET4_jRbjT5_SW_jjP12ihipStream_tbEUlT_E1_NS1_11comp_targetILNS1_3genE10ELNS1_11target_archE1201ELNS1_3gpuE5ELNS1_3repE0EEENS1_59segmented_radix_sort_warp_sort_small_config_static_selectorELNS0_4arch9wavefront6targetE1EEEvSK_
                                        ; -- End function
	.section	.AMDGPU.csdata,"",@progbits
; Kernel info:
; codeLenInByte = 0
; NumSgprs: 4
; NumVgprs: 0
; NumAgprs: 0
; TotalNumVgprs: 0
; ScratchSize: 0
; MemoryBound: 0
; FloatMode: 240
; IeeeMode: 1
; LDSByteSize: 0 bytes/workgroup (compile time only)
; SGPRBlocks: 0
; VGPRBlocks: 0
; NumSGPRsForWavesPerEU: 4
; NumVGPRsForWavesPerEU: 1
; AccumOffset: 4
; Occupancy: 8
; WaveLimiterHint : 0
; COMPUTE_PGM_RSRC2:SCRATCH_EN: 0
; COMPUTE_PGM_RSRC2:USER_SGPR: 6
; COMPUTE_PGM_RSRC2:TRAP_HANDLER: 0
; COMPUTE_PGM_RSRC2:TGID_X_EN: 1
; COMPUTE_PGM_RSRC2:TGID_Y_EN: 0
; COMPUTE_PGM_RSRC2:TGID_Z_EN: 0
; COMPUTE_PGM_RSRC2:TIDIG_COMP_CNT: 0
; COMPUTE_PGM_RSRC3_GFX90A:ACCUM_OFFSET: 0
; COMPUTE_PGM_RSRC3_GFX90A:TG_SPLIT: 0
	.section	.text._ZN7rocprim17ROCPRIM_400000_NS6detail17trampoline_kernelINS0_14default_configENS1_36segmented_radix_sort_config_selectorIilEEZNS1_25segmented_radix_sort_implIS3_Lb1EPKiPiPKlPlN2at6native12_GLOBAL__N_18offset_tEEE10hipError_tPvRmT1_PNSt15iterator_traitsISK_E10value_typeET2_T3_PNSL_ISQ_E10value_typeET4_jRbjT5_SW_jjP12ihipStream_tbEUlT_E1_NS1_11comp_targetILNS1_3genE10ELNS1_11target_archE1200ELNS1_3gpuE4ELNS1_3repE0EEENS1_59segmented_radix_sort_warp_sort_small_config_static_selectorELNS0_4arch9wavefront6targetE1EEEvSK_,"axG",@progbits,_ZN7rocprim17ROCPRIM_400000_NS6detail17trampoline_kernelINS0_14default_configENS1_36segmented_radix_sort_config_selectorIilEEZNS1_25segmented_radix_sort_implIS3_Lb1EPKiPiPKlPlN2at6native12_GLOBAL__N_18offset_tEEE10hipError_tPvRmT1_PNSt15iterator_traitsISK_E10value_typeET2_T3_PNSL_ISQ_E10value_typeET4_jRbjT5_SW_jjP12ihipStream_tbEUlT_E1_NS1_11comp_targetILNS1_3genE10ELNS1_11target_archE1200ELNS1_3gpuE4ELNS1_3repE0EEENS1_59segmented_radix_sort_warp_sort_small_config_static_selectorELNS0_4arch9wavefront6targetE1EEEvSK_,comdat
	.globl	_ZN7rocprim17ROCPRIM_400000_NS6detail17trampoline_kernelINS0_14default_configENS1_36segmented_radix_sort_config_selectorIilEEZNS1_25segmented_radix_sort_implIS3_Lb1EPKiPiPKlPlN2at6native12_GLOBAL__N_18offset_tEEE10hipError_tPvRmT1_PNSt15iterator_traitsISK_E10value_typeET2_T3_PNSL_ISQ_E10value_typeET4_jRbjT5_SW_jjP12ihipStream_tbEUlT_E1_NS1_11comp_targetILNS1_3genE10ELNS1_11target_archE1200ELNS1_3gpuE4ELNS1_3repE0EEENS1_59segmented_radix_sort_warp_sort_small_config_static_selectorELNS0_4arch9wavefront6targetE1EEEvSK_ ; -- Begin function _ZN7rocprim17ROCPRIM_400000_NS6detail17trampoline_kernelINS0_14default_configENS1_36segmented_radix_sort_config_selectorIilEEZNS1_25segmented_radix_sort_implIS3_Lb1EPKiPiPKlPlN2at6native12_GLOBAL__N_18offset_tEEE10hipError_tPvRmT1_PNSt15iterator_traitsISK_E10value_typeET2_T3_PNSL_ISQ_E10value_typeET4_jRbjT5_SW_jjP12ihipStream_tbEUlT_E1_NS1_11comp_targetILNS1_3genE10ELNS1_11target_archE1200ELNS1_3gpuE4ELNS1_3repE0EEENS1_59segmented_radix_sort_warp_sort_small_config_static_selectorELNS0_4arch9wavefront6targetE1EEEvSK_
	.p2align	8
	.type	_ZN7rocprim17ROCPRIM_400000_NS6detail17trampoline_kernelINS0_14default_configENS1_36segmented_radix_sort_config_selectorIilEEZNS1_25segmented_radix_sort_implIS3_Lb1EPKiPiPKlPlN2at6native12_GLOBAL__N_18offset_tEEE10hipError_tPvRmT1_PNSt15iterator_traitsISK_E10value_typeET2_T3_PNSL_ISQ_E10value_typeET4_jRbjT5_SW_jjP12ihipStream_tbEUlT_E1_NS1_11comp_targetILNS1_3genE10ELNS1_11target_archE1200ELNS1_3gpuE4ELNS1_3repE0EEENS1_59segmented_radix_sort_warp_sort_small_config_static_selectorELNS0_4arch9wavefront6targetE1EEEvSK_,@function
_ZN7rocprim17ROCPRIM_400000_NS6detail17trampoline_kernelINS0_14default_configENS1_36segmented_radix_sort_config_selectorIilEEZNS1_25segmented_radix_sort_implIS3_Lb1EPKiPiPKlPlN2at6native12_GLOBAL__N_18offset_tEEE10hipError_tPvRmT1_PNSt15iterator_traitsISK_E10value_typeET2_T3_PNSL_ISQ_E10value_typeET4_jRbjT5_SW_jjP12ihipStream_tbEUlT_E1_NS1_11comp_targetILNS1_3genE10ELNS1_11target_archE1200ELNS1_3gpuE4ELNS1_3repE0EEENS1_59segmented_radix_sort_warp_sort_small_config_static_selectorELNS0_4arch9wavefront6targetE1EEEvSK_: ; @_ZN7rocprim17ROCPRIM_400000_NS6detail17trampoline_kernelINS0_14default_configENS1_36segmented_radix_sort_config_selectorIilEEZNS1_25segmented_radix_sort_implIS3_Lb1EPKiPiPKlPlN2at6native12_GLOBAL__N_18offset_tEEE10hipError_tPvRmT1_PNSt15iterator_traitsISK_E10value_typeET2_T3_PNSL_ISQ_E10value_typeET4_jRbjT5_SW_jjP12ihipStream_tbEUlT_E1_NS1_11comp_targetILNS1_3genE10ELNS1_11target_archE1200ELNS1_3gpuE4ELNS1_3repE0EEENS1_59segmented_radix_sort_warp_sort_small_config_static_selectorELNS0_4arch9wavefront6targetE1EEEvSK_
; %bb.0:
	.section	.rodata,"a",@progbits
	.p2align	6, 0x0
	.amdhsa_kernel _ZN7rocprim17ROCPRIM_400000_NS6detail17trampoline_kernelINS0_14default_configENS1_36segmented_radix_sort_config_selectorIilEEZNS1_25segmented_radix_sort_implIS3_Lb1EPKiPiPKlPlN2at6native12_GLOBAL__N_18offset_tEEE10hipError_tPvRmT1_PNSt15iterator_traitsISK_E10value_typeET2_T3_PNSL_ISQ_E10value_typeET4_jRbjT5_SW_jjP12ihipStream_tbEUlT_E1_NS1_11comp_targetILNS1_3genE10ELNS1_11target_archE1200ELNS1_3gpuE4ELNS1_3repE0EEENS1_59segmented_radix_sort_warp_sort_small_config_static_selectorELNS0_4arch9wavefront6targetE1EEEvSK_
		.amdhsa_group_segment_fixed_size 0
		.amdhsa_private_segment_fixed_size 0
		.amdhsa_kernarg_size 88
		.amdhsa_user_sgpr_count 6
		.amdhsa_user_sgpr_private_segment_buffer 1
		.amdhsa_user_sgpr_dispatch_ptr 0
		.amdhsa_user_sgpr_queue_ptr 0
		.amdhsa_user_sgpr_kernarg_segment_ptr 1
		.amdhsa_user_sgpr_dispatch_id 0
		.amdhsa_user_sgpr_flat_scratch_init 0
		.amdhsa_user_sgpr_kernarg_preload_length 0
		.amdhsa_user_sgpr_kernarg_preload_offset 0
		.amdhsa_user_sgpr_private_segment_size 0
		.amdhsa_uses_dynamic_stack 0
		.amdhsa_system_sgpr_private_segment_wavefront_offset 0
		.amdhsa_system_sgpr_workgroup_id_x 1
		.amdhsa_system_sgpr_workgroup_id_y 0
		.amdhsa_system_sgpr_workgroup_id_z 0
		.amdhsa_system_sgpr_workgroup_info 0
		.amdhsa_system_vgpr_workitem_id 0
		.amdhsa_next_free_vgpr 1
		.amdhsa_next_free_sgpr 0
		.amdhsa_accum_offset 4
		.amdhsa_reserve_vcc 0
		.amdhsa_reserve_flat_scratch 0
		.amdhsa_float_round_mode_32 0
		.amdhsa_float_round_mode_16_64 0
		.amdhsa_float_denorm_mode_32 3
		.amdhsa_float_denorm_mode_16_64 3
		.amdhsa_dx10_clamp 1
		.amdhsa_ieee_mode 1
		.amdhsa_fp16_overflow 0
		.amdhsa_tg_split 0
		.amdhsa_exception_fp_ieee_invalid_op 0
		.amdhsa_exception_fp_denorm_src 0
		.amdhsa_exception_fp_ieee_div_zero 0
		.amdhsa_exception_fp_ieee_overflow 0
		.amdhsa_exception_fp_ieee_underflow 0
		.amdhsa_exception_fp_ieee_inexact 0
		.amdhsa_exception_int_div_zero 0
	.end_amdhsa_kernel
	.section	.text._ZN7rocprim17ROCPRIM_400000_NS6detail17trampoline_kernelINS0_14default_configENS1_36segmented_radix_sort_config_selectorIilEEZNS1_25segmented_radix_sort_implIS3_Lb1EPKiPiPKlPlN2at6native12_GLOBAL__N_18offset_tEEE10hipError_tPvRmT1_PNSt15iterator_traitsISK_E10value_typeET2_T3_PNSL_ISQ_E10value_typeET4_jRbjT5_SW_jjP12ihipStream_tbEUlT_E1_NS1_11comp_targetILNS1_3genE10ELNS1_11target_archE1200ELNS1_3gpuE4ELNS1_3repE0EEENS1_59segmented_radix_sort_warp_sort_small_config_static_selectorELNS0_4arch9wavefront6targetE1EEEvSK_,"axG",@progbits,_ZN7rocprim17ROCPRIM_400000_NS6detail17trampoline_kernelINS0_14default_configENS1_36segmented_radix_sort_config_selectorIilEEZNS1_25segmented_radix_sort_implIS3_Lb1EPKiPiPKlPlN2at6native12_GLOBAL__N_18offset_tEEE10hipError_tPvRmT1_PNSt15iterator_traitsISK_E10value_typeET2_T3_PNSL_ISQ_E10value_typeET4_jRbjT5_SW_jjP12ihipStream_tbEUlT_E1_NS1_11comp_targetILNS1_3genE10ELNS1_11target_archE1200ELNS1_3gpuE4ELNS1_3repE0EEENS1_59segmented_radix_sort_warp_sort_small_config_static_selectorELNS0_4arch9wavefront6targetE1EEEvSK_,comdat
.Lfunc_end524:
	.size	_ZN7rocprim17ROCPRIM_400000_NS6detail17trampoline_kernelINS0_14default_configENS1_36segmented_radix_sort_config_selectorIilEEZNS1_25segmented_radix_sort_implIS3_Lb1EPKiPiPKlPlN2at6native12_GLOBAL__N_18offset_tEEE10hipError_tPvRmT1_PNSt15iterator_traitsISK_E10value_typeET2_T3_PNSL_ISQ_E10value_typeET4_jRbjT5_SW_jjP12ihipStream_tbEUlT_E1_NS1_11comp_targetILNS1_3genE10ELNS1_11target_archE1200ELNS1_3gpuE4ELNS1_3repE0EEENS1_59segmented_radix_sort_warp_sort_small_config_static_selectorELNS0_4arch9wavefront6targetE1EEEvSK_, .Lfunc_end524-_ZN7rocprim17ROCPRIM_400000_NS6detail17trampoline_kernelINS0_14default_configENS1_36segmented_radix_sort_config_selectorIilEEZNS1_25segmented_radix_sort_implIS3_Lb1EPKiPiPKlPlN2at6native12_GLOBAL__N_18offset_tEEE10hipError_tPvRmT1_PNSt15iterator_traitsISK_E10value_typeET2_T3_PNSL_ISQ_E10value_typeET4_jRbjT5_SW_jjP12ihipStream_tbEUlT_E1_NS1_11comp_targetILNS1_3genE10ELNS1_11target_archE1200ELNS1_3gpuE4ELNS1_3repE0EEENS1_59segmented_radix_sort_warp_sort_small_config_static_selectorELNS0_4arch9wavefront6targetE1EEEvSK_
                                        ; -- End function
	.section	.AMDGPU.csdata,"",@progbits
; Kernel info:
; codeLenInByte = 0
; NumSgprs: 4
; NumVgprs: 0
; NumAgprs: 0
; TotalNumVgprs: 0
; ScratchSize: 0
; MemoryBound: 0
; FloatMode: 240
; IeeeMode: 1
; LDSByteSize: 0 bytes/workgroup (compile time only)
; SGPRBlocks: 0
; VGPRBlocks: 0
; NumSGPRsForWavesPerEU: 4
; NumVGPRsForWavesPerEU: 1
; AccumOffset: 4
; Occupancy: 8
; WaveLimiterHint : 0
; COMPUTE_PGM_RSRC2:SCRATCH_EN: 0
; COMPUTE_PGM_RSRC2:USER_SGPR: 6
; COMPUTE_PGM_RSRC2:TRAP_HANDLER: 0
; COMPUTE_PGM_RSRC2:TGID_X_EN: 1
; COMPUTE_PGM_RSRC2:TGID_Y_EN: 0
; COMPUTE_PGM_RSRC2:TGID_Z_EN: 0
; COMPUTE_PGM_RSRC2:TIDIG_COMP_CNT: 0
; COMPUTE_PGM_RSRC3_GFX90A:ACCUM_OFFSET: 0
; COMPUTE_PGM_RSRC3_GFX90A:TG_SPLIT: 0
	.section	.text._ZN7rocprim17ROCPRIM_400000_NS6detail17trampoline_kernelINS0_14default_configENS1_36segmented_radix_sort_config_selectorIilEEZNS1_25segmented_radix_sort_implIS3_Lb1EPKiPiPKlPlN2at6native12_GLOBAL__N_18offset_tEEE10hipError_tPvRmT1_PNSt15iterator_traitsISK_E10value_typeET2_T3_PNSL_ISQ_E10value_typeET4_jRbjT5_SW_jjP12ihipStream_tbEUlT_E1_NS1_11comp_targetILNS1_3genE9ELNS1_11target_archE1100ELNS1_3gpuE3ELNS1_3repE0EEENS1_59segmented_radix_sort_warp_sort_small_config_static_selectorELNS0_4arch9wavefront6targetE1EEEvSK_,"axG",@progbits,_ZN7rocprim17ROCPRIM_400000_NS6detail17trampoline_kernelINS0_14default_configENS1_36segmented_radix_sort_config_selectorIilEEZNS1_25segmented_radix_sort_implIS3_Lb1EPKiPiPKlPlN2at6native12_GLOBAL__N_18offset_tEEE10hipError_tPvRmT1_PNSt15iterator_traitsISK_E10value_typeET2_T3_PNSL_ISQ_E10value_typeET4_jRbjT5_SW_jjP12ihipStream_tbEUlT_E1_NS1_11comp_targetILNS1_3genE9ELNS1_11target_archE1100ELNS1_3gpuE3ELNS1_3repE0EEENS1_59segmented_radix_sort_warp_sort_small_config_static_selectorELNS0_4arch9wavefront6targetE1EEEvSK_,comdat
	.globl	_ZN7rocprim17ROCPRIM_400000_NS6detail17trampoline_kernelINS0_14default_configENS1_36segmented_radix_sort_config_selectorIilEEZNS1_25segmented_radix_sort_implIS3_Lb1EPKiPiPKlPlN2at6native12_GLOBAL__N_18offset_tEEE10hipError_tPvRmT1_PNSt15iterator_traitsISK_E10value_typeET2_T3_PNSL_ISQ_E10value_typeET4_jRbjT5_SW_jjP12ihipStream_tbEUlT_E1_NS1_11comp_targetILNS1_3genE9ELNS1_11target_archE1100ELNS1_3gpuE3ELNS1_3repE0EEENS1_59segmented_radix_sort_warp_sort_small_config_static_selectorELNS0_4arch9wavefront6targetE1EEEvSK_ ; -- Begin function _ZN7rocprim17ROCPRIM_400000_NS6detail17trampoline_kernelINS0_14default_configENS1_36segmented_radix_sort_config_selectorIilEEZNS1_25segmented_radix_sort_implIS3_Lb1EPKiPiPKlPlN2at6native12_GLOBAL__N_18offset_tEEE10hipError_tPvRmT1_PNSt15iterator_traitsISK_E10value_typeET2_T3_PNSL_ISQ_E10value_typeET4_jRbjT5_SW_jjP12ihipStream_tbEUlT_E1_NS1_11comp_targetILNS1_3genE9ELNS1_11target_archE1100ELNS1_3gpuE3ELNS1_3repE0EEENS1_59segmented_radix_sort_warp_sort_small_config_static_selectorELNS0_4arch9wavefront6targetE1EEEvSK_
	.p2align	8
	.type	_ZN7rocprim17ROCPRIM_400000_NS6detail17trampoline_kernelINS0_14default_configENS1_36segmented_radix_sort_config_selectorIilEEZNS1_25segmented_radix_sort_implIS3_Lb1EPKiPiPKlPlN2at6native12_GLOBAL__N_18offset_tEEE10hipError_tPvRmT1_PNSt15iterator_traitsISK_E10value_typeET2_T3_PNSL_ISQ_E10value_typeET4_jRbjT5_SW_jjP12ihipStream_tbEUlT_E1_NS1_11comp_targetILNS1_3genE9ELNS1_11target_archE1100ELNS1_3gpuE3ELNS1_3repE0EEENS1_59segmented_radix_sort_warp_sort_small_config_static_selectorELNS0_4arch9wavefront6targetE1EEEvSK_,@function
_ZN7rocprim17ROCPRIM_400000_NS6detail17trampoline_kernelINS0_14default_configENS1_36segmented_radix_sort_config_selectorIilEEZNS1_25segmented_radix_sort_implIS3_Lb1EPKiPiPKlPlN2at6native12_GLOBAL__N_18offset_tEEE10hipError_tPvRmT1_PNSt15iterator_traitsISK_E10value_typeET2_T3_PNSL_ISQ_E10value_typeET4_jRbjT5_SW_jjP12ihipStream_tbEUlT_E1_NS1_11comp_targetILNS1_3genE9ELNS1_11target_archE1100ELNS1_3gpuE3ELNS1_3repE0EEENS1_59segmented_radix_sort_warp_sort_small_config_static_selectorELNS0_4arch9wavefront6targetE1EEEvSK_: ; @_ZN7rocprim17ROCPRIM_400000_NS6detail17trampoline_kernelINS0_14default_configENS1_36segmented_radix_sort_config_selectorIilEEZNS1_25segmented_radix_sort_implIS3_Lb1EPKiPiPKlPlN2at6native12_GLOBAL__N_18offset_tEEE10hipError_tPvRmT1_PNSt15iterator_traitsISK_E10value_typeET2_T3_PNSL_ISQ_E10value_typeET4_jRbjT5_SW_jjP12ihipStream_tbEUlT_E1_NS1_11comp_targetILNS1_3genE9ELNS1_11target_archE1100ELNS1_3gpuE3ELNS1_3repE0EEENS1_59segmented_radix_sort_warp_sort_small_config_static_selectorELNS0_4arch9wavefront6targetE1EEEvSK_
; %bb.0:
	.section	.rodata,"a",@progbits
	.p2align	6, 0x0
	.amdhsa_kernel _ZN7rocprim17ROCPRIM_400000_NS6detail17trampoline_kernelINS0_14default_configENS1_36segmented_radix_sort_config_selectorIilEEZNS1_25segmented_radix_sort_implIS3_Lb1EPKiPiPKlPlN2at6native12_GLOBAL__N_18offset_tEEE10hipError_tPvRmT1_PNSt15iterator_traitsISK_E10value_typeET2_T3_PNSL_ISQ_E10value_typeET4_jRbjT5_SW_jjP12ihipStream_tbEUlT_E1_NS1_11comp_targetILNS1_3genE9ELNS1_11target_archE1100ELNS1_3gpuE3ELNS1_3repE0EEENS1_59segmented_radix_sort_warp_sort_small_config_static_selectorELNS0_4arch9wavefront6targetE1EEEvSK_
		.amdhsa_group_segment_fixed_size 0
		.amdhsa_private_segment_fixed_size 0
		.amdhsa_kernarg_size 88
		.amdhsa_user_sgpr_count 6
		.amdhsa_user_sgpr_private_segment_buffer 1
		.amdhsa_user_sgpr_dispatch_ptr 0
		.amdhsa_user_sgpr_queue_ptr 0
		.amdhsa_user_sgpr_kernarg_segment_ptr 1
		.amdhsa_user_sgpr_dispatch_id 0
		.amdhsa_user_sgpr_flat_scratch_init 0
		.amdhsa_user_sgpr_kernarg_preload_length 0
		.amdhsa_user_sgpr_kernarg_preload_offset 0
		.amdhsa_user_sgpr_private_segment_size 0
		.amdhsa_uses_dynamic_stack 0
		.amdhsa_system_sgpr_private_segment_wavefront_offset 0
		.amdhsa_system_sgpr_workgroup_id_x 1
		.amdhsa_system_sgpr_workgroup_id_y 0
		.amdhsa_system_sgpr_workgroup_id_z 0
		.amdhsa_system_sgpr_workgroup_info 0
		.amdhsa_system_vgpr_workitem_id 0
		.amdhsa_next_free_vgpr 1
		.amdhsa_next_free_sgpr 0
		.amdhsa_accum_offset 4
		.amdhsa_reserve_vcc 0
		.amdhsa_reserve_flat_scratch 0
		.amdhsa_float_round_mode_32 0
		.amdhsa_float_round_mode_16_64 0
		.amdhsa_float_denorm_mode_32 3
		.amdhsa_float_denorm_mode_16_64 3
		.amdhsa_dx10_clamp 1
		.amdhsa_ieee_mode 1
		.amdhsa_fp16_overflow 0
		.amdhsa_tg_split 0
		.amdhsa_exception_fp_ieee_invalid_op 0
		.amdhsa_exception_fp_denorm_src 0
		.amdhsa_exception_fp_ieee_div_zero 0
		.amdhsa_exception_fp_ieee_overflow 0
		.amdhsa_exception_fp_ieee_underflow 0
		.amdhsa_exception_fp_ieee_inexact 0
		.amdhsa_exception_int_div_zero 0
	.end_amdhsa_kernel
	.section	.text._ZN7rocprim17ROCPRIM_400000_NS6detail17trampoline_kernelINS0_14default_configENS1_36segmented_radix_sort_config_selectorIilEEZNS1_25segmented_radix_sort_implIS3_Lb1EPKiPiPKlPlN2at6native12_GLOBAL__N_18offset_tEEE10hipError_tPvRmT1_PNSt15iterator_traitsISK_E10value_typeET2_T3_PNSL_ISQ_E10value_typeET4_jRbjT5_SW_jjP12ihipStream_tbEUlT_E1_NS1_11comp_targetILNS1_3genE9ELNS1_11target_archE1100ELNS1_3gpuE3ELNS1_3repE0EEENS1_59segmented_radix_sort_warp_sort_small_config_static_selectorELNS0_4arch9wavefront6targetE1EEEvSK_,"axG",@progbits,_ZN7rocprim17ROCPRIM_400000_NS6detail17trampoline_kernelINS0_14default_configENS1_36segmented_radix_sort_config_selectorIilEEZNS1_25segmented_radix_sort_implIS3_Lb1EPKiPiPKlPlN2at6native12_GLOBAL__N_18offset_tEEE10hipError_tPvRmT1_PNSt15iterator_traitsISK_E10value_typeET2_T3_PNSL_ISQ_E10value_typeET4_jRbjT5_SW_jjP12ihipStream_tbEUlT_E1_NS1_11comp_targetILNS1_3genE9ELNS1_11target_archE1100ELNS1_3gpuE3ELNS1_3repE0EEENS1_59segmented_radix_sort_warp_sort_small_config_static_selectorELNS0_4arch9wavefront6targetE1EEEvSK_,comdat
.Lfunc_end525:
	.size	_ZN7rocprim17ROCPRIM_400000_NS6detail17trampoline_kernelINS0_14default_configENS1_36segmented_radix_sort_config_selectorIilEEZNS1_25segmented_radix_sort_implIS3_Lb1EPKiPiPKlPlN2at6native12_GLOBAL__N_18offset_tEEE10hipError_tPvRmT1_PNSt15iterator_traitsISK_E10value_typeET2_T3_PNSL_ISQ_E10value_typeET4_jRbjT5_SW_jjP12ihipStream_tbEUlT_E1_NS1_11comp_targetILNS1_3genE9ELNS1_11target_archE1100ELNS1_3gpuE3ELNS1_3repE0EEENS1_59segmented_radix_sort_warp_sort_small_config_static_selectorELNS0_4arch9wavefront6targetE1EEEvSK_, .Lfunc_end525-_ZN7rocprim17ROCPRIM_400000_NS6detail17trampoline_kernelINS0_14default_configENS1_36segmented_radix_sort_config_selectorIilEEZNS1_25segmented_radix_sort_implIS3_Lb1EPKiPiPKlPlN2at6native12_GLOBAL__N_18offset_tEEE10hipError_tPvRmT1_PNSt15iterator_traitsISK_E10value_typeET2_T3_PNSL_ISQ_E10value_typeET4_jRbjT5_SW_jjP12ihipStream_tbEUlT_E1_NS1_11comp_targetILNS1_3genE9ELNS1_11target_archE1100ELNS1_3gpuE3ELNS1_3repE0EEENS1_59segmented_radix_sort_warp_sort_small_config_static_selectorELNS0_4arch9wavefront6targetE1EEEvSK_
                                        ; -- End function
	.section	.AMDGPU.csdata,"",@progbits
; Kernel info:
; codeLenInByte = 0
; NumSgprs: 4
; NumVgprs: 0
; NumAgprs: 0
; TotalNumVgprs: 0
; ScratchSize: 0
; MemoryBound: 0
; FloatMode: 240
; IeeeMode: 1
; LDSByteSize: 0 bytes/workgroup (compile time only)
; SGPRBlocks: 0
; VGPRBlocks: 0
; NumSGPRsForWavesPerEU: 4
; NumVGPRsForWavesPerEU: 1
; AccumOffset: 4
; Occupancy: 8
; WaveLimiterHint : 0
; COMPUTE_PGM_RSRC2:SCRATCH_EN: 0
; COMPUTE_PGM_RSRC2:USER_SGPR: 6
; COMPUTE_PGM_RSRC2:TRAP_HANDLER: 0
; COMPUTE_PGM_RSRC2:TGID_X_EN: 1
; COMPUTE_PGM_RSRC2:TGID_Y_EN: 0
; COMPUTE_PGM_RSRC2:TGID_Z_EN: 0
; COMPUTE_PGM_RSRC2:TIDIG_COMP_CNT: 0
; COMPUTE_PGM_RSRC3_GFX90A:ACCUM_OFFSET: 0
; COMPUTE_PGM_RSRC3_GFX90A:TG_SPLIT: 0
	.section	.text._ZN7rocprim17ROCPRIM_400000_NS6detail17trampoline_kernelINS0_14default_configENS1_36segmented_radix_sort_config_selectorIilEEZNS1_25segmented_radix_sort_implIS3_Lb1EPKiPiPKlPlN2at6native12_GLOBAL__N_18offset_tEEE10hipError_tPvRmT1_PNSt15iterator_traitsISK_E10value_typeET2_T3_PNSL_ISQ_E10value_typeET4_jRbjT5_SW_jjP12ihipStream_tbEUlT_E1_NS1_11comp_targetILNS1_3genE8ELNS1_11target_archE1030ELNS1_3gpuE2ELNS1_3repE0EEENS1_59segmented_radix_sort_warp_sort_small_config_static_selectorELNS0_4arch9wavefront6targetE1EEEvSK_,"axG",@progbits,_ZN7rocprim17ROCPRIM_400000_NS6detail17trampoline_kernelINS0_14default_configENS1_36segmented_radix_sort_config_selectorIilEEZNS1_25segmented_radix_sort_implIS3_Lb1EPKiPiPKlPlN2at6native12_GLOBAL__N_18offset_tEEE10hipError_tPvRmT1_PNSt15iterator_traitsISK_E10value_typeET2_T3_PNSL_ISQ_E10value_typeET4_jRbjT5_SW_jjP12ihipStream_tbEUlT_E1_NS1_11comp_targetILNS1_3genE8ELNS1_11target_archE1030ELNS1_3gpuE2ELNS1_3repE0EEENS1_59segmented_radix_sort_warp_sort_small_config_static_selectorELNS0_4arch9wavefront6targetE1EEEvSK_,comdat
	.globl	_ZN7rocprim17ROCPRIM_400000_NS6detail17trampoline_kernelINS0_14default_configENS1_36segmented_radix_sort_config_selectorIilEEZNS1_25segmented_radix_sort_implIS3_Lb1EPKiPiPKlPlN2at6native12_GLOBAL__N_18offset_tEEE10hipError_tPvRmT1_PNSt15iterator_traitsISK_E10value_typeET2_T3_PNSL_ISQ_E10value_typeET4_jRbjT5_SW_jjP12ihipStream_tbEUlT_E1_NS1_11comp_targetILNS1_3genE8ELNS1_11target_archE1030ELNS1_3gpuE2ELNS1_3repE0EEENS1_59segmented_radix_sort_warp_sort_small_config_static_selectorELNS0_4arch9wavefront6targetE1EEEvSK_ ; -- Begin function _ZN7rocprim17ROCPRIM_400000_NS6detail17trampoline_kernelINS0_14default_configENS1_36segmented_radix_sort_config_selectorIilEEZNS1_25segmented_radix_sort_implIS3_Lb1EPKiPiPKlPlN2at6native12_GLOBAL__N_18offset_tEEE10hipError_tPvRmT1_PNSt15iterator_traitsISK_E10value_typeET2_T3_PNSL_ISQ_E10value_typeET4_jRbjT5_SW_jjP12ihipStream_tbEUlT_E1_NS1_11comp_targetILNS1_3genE8ELNS1_11target_archE1030ELNS1_3gpuE2ELNS1_3repE0EEENS1_59segmented_radix_sort_warp_sort_small_config_static_selectorELNS0_4arch9wavefront6targetE1EEEvSK_
	.p2align	8
	.type	_ZN7rocprim17ROCPRIM_400000_NS6detail17trampoline_kernelINS0_14default_configENS1_36segmented_radix_sort_config_selectorIilEEZNS1_25segmented_radix_sort_implIS3_Lb1EPKiPiPKlPlN2at6native12_GLOBAL__N_18offset_tEEE10hipError_tPvRmT1_PNSt15iterator_traitsISK_E10value_typeET2_T3_PNSL_ISQ_E10value_typeET4_jRbjT5_SW_jjP12ihipStream_tbEUlT_E1_NS1_11comp_targetILNS1_3genE8ELNS1_11target_archE1030ELNS1_3gpuE2ELNS1_3repE0EEENS1_59segmented_radix_sort_warp_sort_small_config_static_selectorELNS0_4arch9wavefront6targetE1EEEvSK_,@function
_ZN7rocprim17ROCPRIM_400000_NS6detail17trampoline_kernelINS0_14default_configENS1_36segmented_radix_sort_config_selectorIilEEZNS1_25segmented_radix_sort_implIS3_Lb1EPKiPiPKlPlN2at6native12_GLOBAL__N_18offset_tEEE10hipError_tPvRmT1_PNSt15iterator_traitsISK_E10value_typeET2_T3_PNSL_ISQ_E10value_typeET4_jRbjT5_SW_jjP12ihipStream_tbEUlT_E1_NS1_11comp_targetILNS1_3genE8ELNS1_11target_archE1030ELNS1_3gpuE2ELNS1_3repE0EEENS1_59segmented_radix_sort_warp_sort_small_config_static_selectorELNS0_4arch9wavefront6targetE1EEEvSK_: ; @_ZN7rocprim17ROCPRIM_400000_NS6detail17trampoline_kernelINS0_14default_configENS1_36segmented_radix_sort_config_selectorIilEEZNS1_25segmented_radix_sort_implIS3_Lb1EPKiPiPKlPlN2at6native12_GLOBAL__N_18offset_tEEE10hipError_tPvRmT1_PNSt15iterator_traitsISK_E10value_typeET2_T3_PNSL_ISQ_E10value_typeET4_jRbjT5_SW_jjP12ihipStream_tbEUlT_E1_NS1_11comp_targetILNS1_3genE8ELNS1_11target_archE1030ELNS1_3gpuE2ELNS1_3repE0EEENS1_59segmented_radix_sort_warp_sort_small_config_static_selectorELNS0_4arch9wavefront6targetE1EEEvSK_
; %bb.0:
	.section	.rodata,"a",@progbits
	.p2align	6, 0x0
	.amdhsa_kernel _ZN7rocprim17ROCPRIM_400000_NS6detail17trampoline_kernelINS0_14default_configENS1_36segmented_radix_sort_config_selectorIilEEZNS1_25segmented_radix_sort_implIS3_Lb1EPKiPiPKlPlN2at6native12_GLOBAL__N_18offset_tEEE10hipError_tPvRmT1_PNSt15iterator_traitsISK_E10value_typeET2_T3_PNSL_ISQ_E10value_typeET4_jRbjT5_SW_jjP12ihipStream_tbEUlT_E1_NS1_11comp_targetILNS1_3genE8ELNS1_11target_archE1030ELNS1_3gpuE2ELNS1_3repE0EEENS1_59segmented_radix_sort_warp_sort_small_config_static_selectorELNS0_4arch9wavefront6targetE1EEEvSK_
		.amdhsa_group_segment_fixed_size 0
		.amdhsa_private_segment_fixed_size 0
		.amdhsa_kernarg_size 88
		.amdhsa_user_sgpr_count 6
		.amdhsa_user_sgpr_private_segment_buffer 1
		.amdhsa_user_sgpr_dispatch_ptr 0
		.amdhsa_user_sgpr_queue_ptr 0
		.amdhsa_user_sgpr_kernarg_segment_ptr 1
		.amdhsa_user_sgpr_dispatch_id 0
		.amdhsa_user_sgpr_flat_scratch_init 0
		.amdhsa_user_sgpr_kernarg_preload_length 0
		.amdhsa_user_sgpr_kernarg_preload_offset 0
		.amdhsa_user_sgpr_private_segment_size 0
		.amdhsa_uses_dynamic_stack 0
		.amdhsa_system_sgpr_private_segment_wavefront_offset 0
		.amdhsa_system_sgpr_workgroup_id_x 1
		.amdhsa_system_sgpr_workgroup_id_y 0
		.amdhsa_system_sgpr_workgroup_id_z 0
		.amdhsa_system_sgpr_workgroup_info 0
		.amdhsa_system_vgpr_workitem_id 0
		.amdhsa_next_free_vgpr 1
		.amdhsa_next_free_sgpr 0
		.amdhsa_accum_offset 4
		.amdhsa_reserve_vcc 0
		.amdhsa_reserve_flat_scratch 0
		.amdhsa_float_round_mode_32 0
		.amdhsa_float_round_mode_16_64 0
		.amdhsa_float_denorm_mode_32 3
		.amdhsa_float_denorm_mode_16_64 3
		.amdhsa_dx10_clamp 1
		.amdhsa_ieee_mode 1
		.amdhsa_fp16_overflow 0
		.amdhsa_tg_split 0
		.amdhsa_exception_fp_ieee_invalid_op 0
		.amdhsa_exception_fp_denorm_src 0
		.amdhsa_exception_fp_ieee_div_zero 0
		.amdhsa_exception_fp_ieee_overflow 0
		.amdhsa_exception_fp_ieee_underflow 0
		.amdhsa_exception_fp_ieee_inexact 0
		.amdhsa_exception_int_div_zero 0
	.end_amdhsa_kernel
	.section	.text._ZN7rocprim17ROCPRIM_400000_NS6detail17trampoline_kernelINS0_14default_configENS1_36segmented_radix_sort_config_selectorIilEEZNS1_25segmented_radix_sort_implIS3_Lb1EPKiPiPKlPlN2at6native12_GLOBAL__N_18offset_tEEE10hipError_tPvRmT1_PNSt15iterator_traitsISK_E10value_typeET2_T3_PNSL_ISQ_E10value_typeET4_jRbjT5_SW_jjP12ihipStream_tbEUlT_E1_NS1_11comp_targetILNS1_3genE8ELNS1_11target_archE1030ELNS1_3gpuE2ELNS1_3repE0EEENS1_59segmented_radix_sort_warp_sort_small_config_static_selectorELNS0_4arch9wavefront6targetE1EEEvSK_,"axG",@progbits,_ZN7rocprim17ROCPRIM_400000_NS6detail17trampoline_kernelINS0_14default_configENS1_36segmented_radix_sort_config_selectorIilEEZNS1_25segmented_radix_sort_implIS3_Lb1EPKiPiPKlPlN2at6native12_GLOBAL__N_18offset_tEEE10hipError_tPvRmT1_PNSt15iterator_traitsISK_E10value_typeET2_T3_PNSL_ISQ_E10value_typeET4_jRbjT5_SW_jjP12ihipStream_tbEUlT_E1_NS1_11comp_targetILNS1_3genE8ELNS1_11target_archE1030ELNS1_3gpuE2ELNS1_3repE0EEENS1_59segmented_radix_sort_warp_sort_small_config_static_selectorELNS0_4arch9wavefront6targetE1EEEvSK_,comdat
.Lfunc_end526:
	.size	_ZN7rocprim17ROCPRIM_400000_NS6detail17trampoline_kernelINS0_14default_configENS1_36segmented_radix_sort_config_selectorIilEEZNS1_25segmented_radix_sort_implIS3_Lb1EPKiPiPKlPlN2at6native12_GLOBAL__N_18offset_tEEE10hipError_tPvRmT1_PNSt15iterator_traitsISK_E10value_typeET2_T3_PNSL_ISQ_E10value_typeET4_jRbjT5_SW_jjP12ihipStream_tbEUlT_E1_NS1_11comp_targetILNS1_3genE8ELNS1_11target_archE1030ELNS1_3gpuE2ELNS1_3repE0EEENS1_59segmented_radix_sort_warp_sort_small_config_static_selectorELNS0_4arch9wavefront6targetE1EEEvSK_, .Lfunc_end526-_ZN7rocprim17ROCPRIM_400000_NS6detail17trampoline_kernelINS0_14default_configENS1_36segmented_radix_sort_config_selectorIilEEZNS1_25segmented_radix_sort_implIS3_Lb1EPKiPiPKlPlN2at6native12_GLOBAL__N_18offset_tEEE10hipError_tPvRmT1_PNSt15iterator_traitsISK_E10value_typeET2_T3_PNSL_ISQ_E10value_typeET4_jRbjT5_SW_jjP12ihipStream_tbEUlT_E1_NS1_11comp_targetILNS1_3genE8ELNS1_11target_archE1030ELNS1_3gpuE2ELNS1_3repE0EEENS1_59segmented_radix_sort_warp_sort_small_config_static_selectorELNS0_4arch9wavefront6targetE1EEEvSK_
                                        ; -- End function
	.section	.AMDGPU.csdata,"",@progbits
; Kernel info:
; codeLenInByte = 0
; NumSgprs: 4
; NumVgprs: 0
; NumAgprs: 0
; TotalNumVgprs: 0
; ScratchSize: 0
; MemoryBound: 0
; FloatMode: 240
; IeeeMode: 1
; LDSByteSize: 0 bytes/workgroup (compile time only)
; SGPRBlocks: 0
; VGPRBlocks: 0
; NumSGPRsForWavesPerEU: 4
; NumVGPRsForWavesPerEU: 1
; AccumOffset: 4
; Occupancy: 8
; WaveLimiterHint : 0
; COMPUTE_PGM_RSRC2:SCRATCH_EN: 0
; COMPUTE_PGM_RSRC2:USER_SGPR: 6
; COMPUTE_PGM_RSRC2:TRAP_HANDLER: 0
; COMPUTE_PGM_RSRC2:TGID_X_EN: 1
; COMPUTE_PGM_RSRC2:TGID_Y_EN: 0
; COMPUTE_PGM_RSRC2:TGID_Z_EN: 0
; COMPUTE_PGM_RSRC2:TIDIG_COMP_CNT: 0
; COMPUTE_PGM_RSRC3_GFX90A:ACCUM_OFFSET: 0
; COMPUTE_PGM_RSRC3_GFX90A:TG_SPLIT: 0
	.section	.text._ZN7rocprim17ROCPRIM_400000_NS6detail17trampoline_kernelINS0_14default_configENS1_36segmented_radix_sort_config_selectorIilEEZNS1_25segmented_radix_sort_implIS3_Lb1EPKiPiPKlPlN2at6native12_GLOBAL__N_18offset_tEEE10hipError_tPvRmT1_PNSt15iterator_traitsISK_E10value_typeET2_T3_PNSL_ISQ_E10value_typeET4_jRbjT5_SW_jjP12ihipStream_tbEUlT_E2_NS1_11comp_targetILNS1_3genE0ELNS1_11target_archE4294967295ELNS1_3gpuE0ELNS1_3repE0EEENS1_30default_config_static_selectorELNS0_4arch9wavefront6targetE1EEEvSK_,"axG",@progbits,_ZN7rocprim17ROCPRIM_400000_NS6detail17trampoline_kernelINS0_14default_configENS1_36segmented_radix_sort_config_selectorIilEEZNS1_25segmented_radix_sort_implIS3_Lb1EPKiPiPKlPlN2at6native12_GLOBAL__N_18offset_tEEE10hipError_tPvRmT1_PNSt15iterator_traitsISK_E10value_typeET2_T3_PNSL_ISQ_E10value_typeET4_jRbjT5_SW_jjP12ihipStream_tbEUlT_E2_NS1_11comp_targetILNS1_3genE0ELNS1_11target_archE4294967295ELNS1_3gpuE0ELNS1_3repE0EEENS1_30default_config_static_selectorELNS0_4arch9wavefront6targetE1EEEvSK_,comdat
	.globl	_ZN7rocprim17ROCPRIM_400000_NS6detail17trampoline_kernelINS0_14default_configENS1_36segmented_radix_sort_config_selectorIilEEZNS1_25segmented_radix_sort_implIS3_Lb1EPKiPiPKlPlN2at6native12_GLOBAL__N_18offset_tEEE10hipError_tPvRmT1_PNSt15iterator_traitsISK_E10value_typeET2_T3_PNSL_ISQ_E10value_typeET4_jRbjT5_SW_jjP12ihipStream_tbEUlT_E2_NS1_11comp_targetILNS1_3genE0ELNS1_11target_archE4294967295ELNS1_3gpuE0ELNS1_3repE0EEENS1_30default_config_static_selectorELNS0_4arch9wavefront6targetE1EEEvSK_ ; -- Begin function _ZN7rocprim17ROCPRIM_400000_NS6detail17trampoline_kernelINS0_14default_configENS1_36segmented_radix_sort_config_selectorIilEEZNS1_25segmented_radix_sort_implIS3_Lb1EPKiPiPKlPlN2at6native12_GLOBAL__N_18offset_tEEE10hipError_tPvRmT1_PNSt15iterator_traitsISK_E10value_typeET2_T3_PNSL_ISQ_E10value_typeET4_jRbjT5_SW_jjP12ihipStream_tbEUlT_E2_NS1_11comp_targetILNS1_3genE0ELNS1_11target_archE4294967295ELNS1_3gpuE0ELNS1_3repE0EEENS1_30default_config_static_selectorELNS0_4arch9wavefront6targetE1EEEvSK_
	.p2align	8
	.type	_ZN7rocprim17ROCPRIM_400000_NS6detail17trampoline_kernelINS0_14default_configENS1_36segmented_radix_sort_config_selectorIilEEZNS1_25segmented_radix_sort_implIS3_Lb1EPKiPiPKlPlN2at6native12_GLOBAL__N_18offset_tEEE10hipError_tPvRmT1_PNSt15iterator_traitsISK_E10value_typeET2_T3_PNSL_ISQ_E10value_typeET4_jRbjT5_SW_jjP12ihipStream_tbEUlT_E2_NS1_11comp_targetILNS1_3genE0ELNS1_11target_archE4294967295ELNS1_3gpuE0ELNS1_3repE0EEENS1_30default_config_static_selectorELNS0_4arch9wavefront6targetE1EEEvSK_,@function
_ZN7rocprim17ROCPRIM_400000_NS6detail17trampoline_kernelINS0_14default_configENS1_36segmented_radix_sort_config_selectorIilEEZNS1_25segmented_radix_sort_implIS3_Lb1EPKiPiPKlPlN2at6native12_GLOBAL__N_18offset_tEEE10hipError_tPvRmT1_PNSt15iterator_traitsISK_E10value_typeET2_T3_PNSL_ISQ_E10value_typeET4_jRbjT5_SW_jjP12ihipStream_tbEUlT_E2_NS1_11comp_targetILNS1_3genE0ELNS1_11target_archE4294967295ELNS1_3gpuE0ELNS1_3repE0EEENS1_30default_config_static_selectorELNS0_4arch9wavefront6targetE1EEEvSK_: ; @_ZN7rocprim17ROCPRIM_400000_NS6detail17trampoline_kernelINS0_14default_configENS1_36segmented_radix_sort_config_selectorIilEEZNS1_25segmented_radix_sort_implIS3_Lb1EPKiPiPKlPlN2at6native12_GLOBAL__N_18offset_tEEE10hipError_tPvRmT1_PNSt15iterator_traitsISK_E10value_typeET2_T3_PNSL_ISQ_E10value_typeET4_jRbjT5_SW_jjP12ihipStream_tbEUlT_E2_NS1_11comp_targetILNS1_3genE0ELNS1_11target_archE4294967295ELNS1_3gpuE0ELNS1_3repE0EEENS1_30default_config_static_selectorELNS0_4arch9wavefront6targetE1EEEvSK_
; %bb.0:
	.section	.rodata,"a",@progbits
	.p2align	6, 0x0
	.amdhsa_kernel _ZN7rocprim17ROCPRIM_400000_NS6detail17trampoline_kernelINS0_14default_configENS1_36segmented_radix_sort_config_selectorIilEEZNS1_25segmented_radix_sort_implIS3_Lb1EPKiPiPKlPlN2at6native12_GLOBAL__N_18offset_tEEE10hipError_tPvRmT1_PNSt15iterator_traitsISK_E10value_typeET2_T3_PNSL_ISQ_E10value_typeET4_jRbjT5_SW_jjP12ihipStream_tbEUlT_E2_NS1_11comp_targetILNS1_3genE0ELNS1_11target_archE4294967295ELNS1_3gpuE0ELNS1_3repE0EEENS1_30default_config_static_selectorELNS0_4arch9wavefront6targetE1EEEvSK_
		.amdhsa_group_segment_fixed_size 0
		.amdhsa_private_segment_fixed_size 0
		.amdhsa_kernarg_size 80
		.amdhsa_user_sgpr_count 6
		.amdhsa_user_sgpr_private_segment_buffer 1
		.amdhsa_user_sgpr_dispatch_ptr 0
		.amdhsa_user_sgpr_queue_ptr 0
		.amdhsa_user_sgpr_kernarg_segment_ptr 1
		.amdhsa_user_sgpr_dispatch_id 0
		.amdhsa_user_sgpr_flat_scratch_init 0
		.amdhsa_user_sgpr_kernarg_preload_length 0
		.amdhsa_user_sgpr_kernarg_preload_offset 0
		.amdhsa_user_sgpr_private_segment_size 0
		.amdhsa_uses_dynamic_stack 0
		.amdhsa_system_sgpr_private_segment_wavefront_offset 0
		.amdhsa_system_sgpr_workgroup_id_x 1
		.amdhsa_system_sgpr_workgroup_id_y 0
		.amdhsa_system_sgpr_workgroup_id_z 0
		.amdhsa_system_sgpr_workgroup_info 0
		.amdhsa_system_vgpr_workitem_id 0
		.amdhsa_next_free_vgpr 1
		.amdhsa_next_free_sgpr 0
		.amdhsa_accum_offset 4
		.amdhsa_reserve_vcc 0
		.amdhsa_reserve_flat_scratch 0
		.amdhsa_float_round_mode_32 0
		.amdhsa_float_round_mode_16_64 0
		.amdhsa_float_denorm_mode_32 3
		.amdhsa_float_denorm_mode_16_64 3
		.amdhsa_dx10_clamp 1
		.amdhsa_ieee_mode 1
		.amdhsa_fp16_overflow 0
		.amdhsa_tg_split 0
		.amdhsa_exception_fp_ieee_invalid_op 0
		.amdhsa_exception_fp_denorm_src 0
		.amdhsa_exception_fp_ieee_div_zero 0
		.amdhsa_exception_fp_ieee_overflow 0
		.amdhsa_exception_fp_ieee_underflow 0
		.amdhsa_exception_fp_ieee_inexact 0
		.amdhsa_exception_int_div_zero 0
	.end_amdhsa_kernel
	.section	.text._ZN7rocprim17ROCPRIM_400000_NS6detail17trampoline_kernelINS0_14default_configENS1_36segmented_radix_sort_config_selectorIilEEZNS1_25segmented_radix_sort_implIS3_Lb1EPKiPiPKlPlN2at6native12_GLOBAL__N_18offset_tEEE10hipError_tPvRmT1_PNSt15iterator_traitsISK_E10value_typeET2_T3_PNSL_ISQ_E10value_typeET4_jRbjT5_SW_jjP12ihipStream_tbEUlT_E2_NS1_11comp_targetILNS1_3genE0ELNS1_11target_archE4294967295ELNS1_3gpuE0ELNS1_3repE0EEENS1_30default_config_static_selectorELNS0_4arch9wavefront6targetE1EEEvSK_,"axG",@progbits,_ZN7rocprim17ROCPRIM_400000_NS6detail17trampoline_kernelINS0_14default_configENS1_36segmented_radix_sort_config_selectorIilEEZNS1_25segmented_radix_sort_implIS3_Lb1EPKiPiPKlPlN2at6native12_GLOBAL__N_18offset_tEEE10hipError_tPvRmT1_PNSt15iterator_traitsISK_E10value_typeET2_T3_PNSL_ISQ_E10value_typeET4_jRbjT5_SW_jjP12ihipStream_tbEUlT_E2_NS1_11comp_targetILNS1_3genE0ELNS1_11target_archE4294967295ELNS1_3gpuE0ELNS1_3repE0EEENS1_30default_config_static_selectorELNS0_4arch9wavefront6targetE1EEEvSK_,comdat
.Lfunc_end527:
	.size	_ZN7rocprim17ROCPRIM_400000_NS6detail17trampoline_kernelINS0_14default_configENS1_36segmented_radix_sort_config_selectorIilEEZNS1_25segmented_radix_sort_implIS3_Lb1EPKiPiPKlPlN2at6native12_GLOBAL__N_18offset_tEEE10hipError_tPvRmT1_PNSt15iterator_traitsISK_E10value_typeET2_T3_PNSL_ISQ_E10value_typeET4_jRbjT5_SW_jjP12ihipStream_tbEUlT_E2_NS1_11comp_targetILNS1_3genE0ELNS1_11target_archE4294967295ELNS1_3gpuE0ELNS1_3repE0EEENS1_30default_config_static_selectorELNS0_4arch9wavefront6targetE1EEEvSK_, .Lfunc_end527-_ZN7rocprim17ROCPRIM_400000_NS6detail17trampoline_kernelINS0_14default_configENS1_36segmented_radix_sort_config_selectorIilEEZNS1_25segmented_radix_sort_implIS3_Lb1EPKiPiPKlPlN2at6native12_GLOBAL__N_18offset_tEEE10hipError_tPvRmT1_PNSt15iterator_traitsISK_E10value_typeET2_T3_PNSL_ISQ_E10value_typeET4_jRbjT5_SW_jjP12ihipStream_tbEUlT_E2_NS1_11comp_targetILNS1_3genE0ELNS1_11target_archE4294967295ELNS1_3gpuE0ELNS1_3repE0EEENS1_30default_config_static_selectorELNS0_4arch9wavefront6targetE1EEEvSK_
                                        ; -- End function
	.section	.AMDGPU.csdata,"",@progbits
; Kernel info:
; codeLenInByte = 0
; NumSgprs: 4
; NumVgprs: 0
; NumAgprs: 0
; TotalNumVgprs: 0
; ScratchSize: 0
; MemoryBound: 0
; FloatMode: 240
; IeeeMode: 1
; LDSByteSize: 0 bytes/workgroup (compile time only)
; SGPRBlocks: 0
; VGPRBlocks: 0
; NumSGPRsForWavesPerEU: 4
; NumVGPRsForWavesPerEU: 1
; AccumOffset: 4
; Occupancy: 8
; WaveLimiterHint : 0
; COMPUTE_PGM_RSRC2:SCRATCH_EN: 0
; COMPUTE_PGM_RSRC2:USER_SGPR: 6
; COMPUTE_PGM_RSRC2:TRAP_HANDLER: 0
; COMPUTE_PGM_RSRC2:TGID_X_EN: 1
; COMPUTE_PGM_RSRC2:TGID_Y_EN: 0
; COMPUTE_PGM_RSRC2:TGID_Z_EN: 0
; COMPUTE_PGM_RSRC2:TIDIG_COMP_CNT: 0
; COMPUTE_PGM_RSRC3_GFX90A:ACCUM_OFFSET: 0
; COMPUTE_PGM_RSRC3_GFX90A:TG_SPLIT: 0
	.section	.text._ZN7rocprim17ROCPRIM_400000_NS6detail17trampoline_kernelINS0_14default_configENS1_36segmented_radix_sort_config_selectorIilEEZNS1_25segmented_radix_sort_implIS3_Lb1EPKiPiPKlPlN2at6native12_GLOBAL__N_18offset_tEEE10hipError_tPvRmT1_PNSt15iterator_traitsISK_E10value_typeET2_T3_PNSL_ISQ_E10value_typeET4_jRbjT5_SW_jjP12ihipStream_tbEUlT_E2_NS1_11comp_targetILNS1_3genE5ELNS1_11target_archE942ELNS1_3gpuE9ELNS1_3repE0EEENS1_30default_config_static_selectorELNS0_4arch9wavefront6targetE1EEEvSK_,"axG",@progbits,_ZN7rocprim17ROCPRIM_400000_NS6detail17trampoline_kernelINS0_14default_configENS1_36segmented_radix_sort_config_selectorIilEEZNS1_25segmented_radix_sort_implIS3_Lb1EPKiPiPKlPlN2at6native12_GLOBAL__N_18offset_tEEE10hipError_tPvRmT1_PNSt15iterator_traitsISK_E10value_typeET2_T3_PNSL_ISQ_E10value_typeET4_jRbjT5_SW_jjP12ihipStream_tbEUlT_E2_NS1_11comp_targetILNS1_3genE5ELNS1_11target_archE942ELNS1_3gpuE9ELNS1_3repE0EEENS1_30default_config_static_selectorELNS0_4arch9wavefront6targetE1EEEvSK_,comdat
	.globl	_ZN7rocprim17ROCPRIM_400000_NS6detail17trampoline_kernelINS0_14default_configENS1_36segmented_radix_sort_config_selectorIilEEZNS1_25segmented_radix_sort_implIS3_Lb1EPKiPiPKlPlN2at6native12_GLOBAL__N_18offset_tEEE10hipError_tPvRmT1_PNSt15iterator_traitsISK_E10value_typeET2_T3_PNSL_ISQ_E10value_typeET4_jRbjT5_SW_jjP12ihipStream_tbEUlT_E2_NS1_11comp_targetILNS1_3genE5ELNS1_11target_archE942ELNS1_3gpuE9ELNS1_3repE0EEENS1_30default_config_static_selectorELNS0_4arch9wavefront6targetE1EEEvSK_ ; -- Begin function _ZN7rocprim17ROCPRIM_400000_NS6detail17trampoline_kernelINS0_14default_configENS1_36segmented_radix_sort_config_selectorIilEEZNS1_25segmented_radix_sort_implIS3_Lb1EPKiPiPKlPlN2at6native12_GLOBAL__N_18offset_tEEE10hipError_tPvRmT1_PNSt15iterator_traitsISK_E10value_typeET2_T3_PNSL_ISQ_E10value_typeET4_jRbjT5_SW_jjP12ihipStream_tbEUlT_E2_NS1_11comp_targetILNS1_3genE5ELNS1_11target_archE942ELNS1_3gpuE9ELNS1_3repE0EEENS1_30default_config_static_selectorELNS0_4arch9wavefront6targetE1EEEvSK_
	.p2align	8
	.type	_ZN7rocprim17ROCPRIM_400000_NS6detail17trampoline_kernelINS0_14default_configENS1_36segmented_radix_sort_config_selectorIilEEZNS1_25segmented_radix_sort_implIS3_Lb1EPKiPiPKlPlN2at6native12_GLOBAL__N_18offset_tEEE10hipError_tPvRmT1_PNSt15iterator_traitsISK_E10value_typeET2_T3_PNSL_ISQ_E10value_typeET4_jRbjT5_SW_jjP12ihipStream_tbEUlT_E2_NS1_11comp_targetILNS1_3genE5ELNS1_11target_archE942ELNS1_3gpuE9ELNS1_3repE0EEENS1_30default_config_static_selectorELNS0_4arch9wavefront6targetE1EEEvSK_,@function
_ZN7rocprim17ROCPRIM_400000_NS6detail17trampoline_kernelINS0_14default_configENS1_36segmented_radix_sort_config_selectorIilEEZNS1_25segmented_radix_sort_implIS3_Lb1EPKiPiPKlPlN2at6native12_GLOBAL__N_18offset_tEEE10hipError_tPvRmT1_PNSt15iterator_traitsISK_E10value_typeET2_T3_PNSL_ISQ_E10value_typeET4_jRbjT5_SW_jjP12ihipStream_tbEUlT_E2_NS1_11comp_targetILNS1_3genE5ELNS1_11target_archE942ELNS1_3gpuE9ELNS1_3repE0EEENS1_30default_config_static_selectorELNS0_4arch9wavefront6targetE1EEEvSK_: ; @_ZN7rocprim17ROCPRIM_400000_NS6detail17trampoline_kernelINS0_14default_configENS1_36segmented_radix_sort_config_selectorIilEEZNS1_25segmented_radix_sort_implIS3_Lb1EPKiPiPKlPlN2at6native12_GLOBAL__N_18offset_tEEE10hipError_tPvRmT1_PNSt15iterator_traitsISK_E10value_typeET2_T3_PNSL_ISQ_E10value_typeET4_jRbjT5_SW_jjP12ihipStream_tbEUlT_E2_NS1_11comp_targetILNS1_3genE5ELNS1_11target_archE942ELNS1_3gpuE9ELNS1_3repE0EEENS1_30default_config_static_selectorELNS0_4arch9wavefront6targetE1EEEvSK_
; %bb.0:
	.section	.rodata,"a",@progbits
	.p2align	6, 0x0
	.amdhsa_kernel _ZN7rocprim17ROCPRIM_400000_NS6detail17trampoline_kernelINS0_14default_configENS1_36segmented_radix_sort_config_selectorIilEEZNS1_25segmented_radix_sort_implIS3_Lb1EPKiPiPKlPlN2at6native12_GLOBAL__N_18offset_tEEE10hipError_tPvRmT1_PNSt15iterator_traitsISK_E10value_typeET2_T3_PNSL_ISQ_E10value_typeET4_jRbjT5_SW_jjP12ihipStream_tbEUlT_E2_NS1_11comp_targetILNS1_3genE5ELNS1_11target_archE942ELNS1_3gpuE9ELNS1_3repE0EEENS1_30default_config_static_selectorELNS0_4arch9wavefront6targetE1EEEvSK_
		.amdhsa_group_segment_fixed_size 0
		.amdhsa_private_segment_fixed_size 0
		.amdhsa_kernarg_size 80
		.amdhsa_user_sgpr_count 6
		.amdhsa_user_sgpr_private_segment_buffer 1
		.amdhsa_user_sgpr_dispatch_ptr 0
		.amdhsa_user_sgpr_queue_ptr 0
		.amdhsa_user_sgpr_kernarg_segment_ptr 1
		.amdhsa_user_sgpr_dispatch_id 0
		.amdhsa_user_sgpr_flat_scratch_init 0
		.amdhsa_user_sgpr_kernarg_preload_length 0
		.amdhsa_user_sgpr_kernarg_preload_offset 0
		.amdhsa_user_sgpr_private_segment_size 0
		.amdhsa_uses_dynamic_stack 0
		.amdhsa_system_sgpr_private_segment_wavefront_offset 0
		.amdhsa_system_sgpr_workgroup_id_x 1
		.amdhsa_system_sgpr_workgroup_id_y 0
		.amdhsa_system_sgpr_workgroup_id_z 0
		.amdhsa_system_sgpr_workgroup_info 0
		.amdhsa_system_vgpr_workitem_id 0
		.amdhsa_next_free_vgpr 1
		.amdhsa_next_free_sgpr 0
		.amdhsa_accum_offset 4
		.amdhsa_reserve_vcc 0
		.amdhsa_reserve_flat_scratch 0
		.amdhsa_float_round_mode_32 0
		.amdhsa_float_round_mode_16_64 0
		.amdhsa_float_denorm_mode_32 3
		.amdhsa_float_denorm_mode_16_64 3
		.amdhsa_dx10_clamp 1
		.amdhsa_ieee_mode 1
		.amdhsa_fp16_overflow 0
		.amdhsa_tg_split 0
		.amdhsa_exception_fp_ieee_invalid_op 0
		.amdhsa_exception_fp_denorm_src 0
		.amdhsa_exception_fp_ieee_div_zero 0
		.amdhsa_exception_fp_ieee_overflow 0
		.amdhsa_exception_fp_ieee_underflow 0
		.amdhsa_exception_fp_ieee_inexact 0
		.amdhsa_exception_int_div_zero 0
	.end_amdhsa_kernel
	.section	.text._ZN7rocprim17ROCPRIM_400000_NS6detail17trampoline_kernelINS0_14default_configENS1_36segmented_radix_sort_config_selectorIilEEZNS1_25segmented_radix_sort_implIS3_Lb1EPKiPiPKlPlN2at6native12_GLOBAL__N_18offset_tEEE10hipError_tPvRmT1_PNSt15iterator_traitsISK_E10value_typeET2_T3_PNSL_ISQ_E10value_typeET4_jRbjT5_SW_jjP12ihipStream_tbEUlT_E2_NS1_11comp_targetILNS1_3genE5ELNS1_11target_archE942ELNS1_3gpuE9ELNS1_3repE0EEENS1_30default_config_static_selectorELNS0_4arch9wavefront6targetE1EEEvSK_,"axG",@progbits,_ZN7rocprim17ROCPRIM_400000_NS6detail17trampoline_kernelINS0_14default_configENS1_36segmented_radix_sort_config_selectorIilEEZNS1_25segmented_radix_sort_implIS3_Lb1EPKiPiPKlPlN2at6native12_GLOBAL__N_18offset_tEEE10hipError_tPvRmT1_PNSt15iterator_traitsISK_E10value_typeET2_T3_PNSL_ISQ_E10value_typeET4_jRbjT5_SW_jjP12ihipStream_tbEUlT_E2_NS1_11comp_targetILNS1_3genE5ELNS1_11target_archE942ELNS1_3gpuE9ELNS1_3repE0EEENS1_30default_config_static_selectorELNS0_4arch9wavefront6targetE1EEEvSK_,comdat
.Lfunc_end528:
	.size	_ZN7rocprim17ROCPRIM_400000_NS6detail17trampoline_kernelINS0_14default_configENS1_36segmented_radix_sort_config_selectorIilEEZNS1_25segmented_radix_sort_implIS3_Lb1EPKiPiPKlPlN2at6native12_GLOBAL__N_18offset_tEEE10hipError_tPvRmT1_PNSt15iterator_traitsISK_E10value_typeET2_T3_PNSL_ISQ_E10value_typeET4_jRbjT5_SW_jjP12ihipStream_tbEUlT_E2_NS1_11comp_targetILNS1_3genE5ELNS1_11target_archE942ELNS1_3gpuE9ELNS1_3repE0EEENS1_30default_config_static_selectorELNS0_4arch9wavefront6targetE1EEEvSK_, .Lfunc_end528-_ZN7rocprim17ROCPRIM_400000_NS6detail17trampoline_kernelINS0_14default_configENS1_36segmented_radix_sort_config_selectorIilEEZNS1_25segmented_radix_sort_implIS3_Lb1EPKiPiPKlPlN2at6native12_GLOBAL__N_18offset_tEEE10hipError_tPvRmT1_PNSt15iterator_traitsISK_E10value_typeET2_T3_PNSL_ISQ_E10value_typeET4_jRbjT5_SW_jjP12ihipStream_tbEUlT_E2_NS1_11comp_targetILNS1_3genE5ELNS1_11target_archE942ELNS1_3gpuE9ELNS1_3repE0EEENS1_30default_config_static_selectorELNS0_4arch9wavefront6targetE1EEEvSK_
                                        ; -- End function
	.section	.AMDGPU.csdata,"",@progbits
; Kernel info:
; codeLenInByte = 0
; NumSgprs: 4
; NumVgprs: 0
; NumAgprs: 0
; TotalNumVgprs: 0
; ScratchSize: 0
; MemoryBound: 0
; FloatMode: 240
; IeeeMode: 1
; LDSByteSize: 0 bytes/workgroup (compile time only)
; SGPRBlocks: 0
; VGPRBlocks: 0
; NumSGPRsForWavesPerEU: 4
; NumVGPRsForWavesPerEU: 1
; AccumOffset: 4
; Occupancy: 8
; WaveLimiterHint : 0
; COMPUTE_PGM_RSRC2:SCRATCH_EN: 0
; COMPUTE_PGM_RSRC2:USER_SGPR: 6
; COMPUTE_PGM_RSRC2:TRAP_HANDLER: 0
; COMPUTE_PGM_RSRC2:TGID_X_EN: 1
; COMPUTE_PGM_RSRC2:TGID_Y_EN: 0
; COMPUTE_PGM_RSRC2:TGID_Z_EN: 0
; COMPUTE_PGM_RSRC2:TIDIG_COMP_CNT: 0
; COMPUTE_PGM_RSRC3_GFX90A:ACCUM_OFFSET: 0
; COMPUTE_PGM_RSRC3_GFX90A:TG_SPLIT: 0
	.section	.text._ZN7rocprim17ROCPRIM_400000_NS6detail17trampoline_kernelINS0_14default_configENS1_36segmented_radix_sort_config_selectorIilEEZNS1_25segmented_radix_sort_implIS3_Lb1EPKiPiPKlPlN2at6native12_GLOBAL__N_18offset_tEEE10hipError_tPvRmT1_PNSt15iterator_traitsISK_E10value_typeET2_T3_PNSL_ISQ_E10value_typeET4_jRbjT5_SW_jjP12ihipStream_tbEUlT_E2_NS1_11comp_targetILNS1_3genE4ELNS1_11target_archE910ELNS1_3gpuE8ELNS1_3repE0EEENS1_30default_config_static_selectorELNS0_4arch9wavefront6targetE1EEEvSK_,"axG",@progbits,_ZN7rocprim17ROCPRIM_400000_NS6detail17trampoline_kernelINS0_14default_configENS1_36segmented_radix_sort_config_selectorIilEEZNS1_25segmented_radix_sort_implIS3_Lb1EPKiPiPKlPlN2at6native12_GLOBAL__N_18offset_tEEE10hipError_tPvRmT1_PNSt15iterator_traitsISK_E10value_typeET2_T3_PNSL_ISQ_E10value_typeET4_jRbjT5_SW_jjP12ihipStream_tbEUlT_E2_NS1_11comp_targetILNS1_3genE4ELNS1_11target_archE910ELNS1_3gpuE8ELNS1_3repE0EEENS1_30default_config_static_selectorELNS0_4arch9wavefront6targetE1EEEvSK_,comdat
	.globl	_ZN7rocprim17ROCPRIM_400000_NS6detail17trampoline_kernelINS0_14default_configENS1_36segmented_radix_sort_config_selectorIilEEZNS1_25segmented_radix_sort_implIS3_Lb1EPKiPiPKlPlN2at6native12_GLOBAL__N_18offset_tEEE10hipError_tPvRmT1_PNSt15iterator_traitsISK_E10value_typeET2_T3_PNSL_ISQ_E10value_typeET4_jRbjT5_SW_jjP12ihipStream_tbEUlT_E2_NS1_11comp_targetILNS1_3genE4ELNS1_11target_archE910ELNS1_3gpuE8ELNS1_3repE0EEENS1_30default_config_static_selectorELNS0_4arch9wavefront6targetE1EEEvSK_ ; -- Begin function _ZN7rocprim17ROCPRIM_400000_NS6detail17trampoline_kernelINS0_14default_configENS1_36segmented_radix_sort_config_selectorIilEEZNS1_25segmented_radix_sort_implIS3_Lb1EPKiPiPKlPlN2at6native12_GLOBAL__N_18offset_tEEE10hipError_tPvRmT1_PNSt15iterator_traitsISK_E10value_typeET2_T3_PNSL_ISQ_E10value_typeET4_jRbjT5_SW_jjP12ihipStream_tbEUlT_E2_NS1_11comp_targetILNS1_3genE4ELNS1_11target_archE910ELNS1_3gpuE8ELNS1_3repE0EEENS1_30default_config_static_selectorELNS0_4arch9wavefront6targetE1EEEvSK_
	.p2align	8
	.type	_ZN7rocprim17ROCPRIM_400000_NS6detail17trampoline_kernelINS0_14default_configENS1_36segmented_radix_sort_config_selectorIilEEZNS1_25segmented_radix_sort_implIS3_Lb1EPKiPiPKlPlN2at6native12_GLOBAL__N_18offset_tEEE10hipError_tPvRmT1_PNSt15iterator_traitsISK_E10value_typeET2_T3_PNSL_ISQ_E10value_typeET4_jRbjT5_SW_jjP12ihipStream_tbEUlT_E2_NS1_11comp_targetILNS1_3genE4ELNS1_11target_archE910ELNS1_3gpuE8ELNS1_3repE0EEENS1_30default_config_static_selectorELNS0_4arch9wavefront6targetE1EEEvSK_,@function
_ZN7rocprim17ROCPRIM_400000_NS6detail17trampoline_kernelINS0_14default_configENS1_36segmented_radix_sort_config_selectorIilEEZNS1_25segmented_radix_sort_implIS3_Lb1EPKiPiPKlPlN2at6native12_GLOBAL__N_18offset_tEEE10hipError_tPvRmT1_PNSt15iterator_traitsISK_E10value_typeET2_T3_PNSL_ISQ_E10value_typeET4_jRbjT5_SW_jjP12ihipStream_tbEUlT_E2_NS1_11comp_targetILNS1_3genE4ELNS1_11target_archE910ELNS1_3gpuE8ELNS1_3repE0EEENS1_30default_config_static_selectorELNS0_4arch9wavefront6targetE1EEEvSK_: ; @_ZN7rocprim17ROCPRIM_400000_NS6detail17trampoline_kernelINS0_14default_configENS1_36segmented_radix_sort_config_selectorIilEEZNS1_25segmented_radix_sort_implIS3_Lb1EPKiPiPKlPlN2at6native12_GLOBAL__N_18offset_tEEE10hipError_tPvRmT1_PNSt15iterator_traitsISK_E10value_typeET2_T3_PNSL_ISQ_E10value_typeET4_jRbjT5_SW_jjP12ihipStream_tbEUlT_E2_NS1_11comp_targetILNS1_3genE4ELNS1_11target_archE910ELNS1_3gpuE8ELNS1_3repE0EEENS1_30default_config_static_selectorELNS0_4arch9wavefront6targetE1EEEvSK_
; %bb.0:
	s_add_u32 flat_scratch_lo, s6, s10
	s_addc_u32 flat_scratch_hi, s7, 0
	s_add_u32 s0, s0, s10
	s_mov_b32 s33, s9
	s_mov_b32 s68, s8
	s_load_dwordx4 s[8:11], s[4:5], 0x34
	s_addc_u32 s1, s1, 0
	s_mov_b32 s32, 0
	s_waitcnt lgkmcnt(0)
	s_add_i32 s69, s9, s68
	s_add_i32 s92, s11, s68
	s_mul_i32 s69, s69, s8
	s_mul_i32 s92, s92, s10
	s_cmp_le_u32 s92, s69
	s_cbranch_scc1 .LBB529_1198
; %bb.1:
	s_load_dword s6, s[4:5], 0x30
	s_load_dwordx4 s[80:83], s[4:5], 0x20
	s_load_dwordx4 s[84:87], s[4:5], 0x44
	s_load_dwordx8 s[72:79], s[4:5], 0x0
	s_waitcnt lgkmcnt(0)
	s_bitcmp1_b32 s6, 0
	s_cselect_b64 s[70:71], -1, 0
	s_sub_i32 s87, s92, s69
	s_cmpk_lt_u32 s87, 0x1001
	s_mov_b64 s[6:7], -1
	s_cbranch_scc0 .LBB529_15
; %bb.2:
	s_cmp_lt_u32 s87, 33
	s_cbranch_scc0 .LBB529_9
; %bb.3:
	s_load_dword s6, s[4:5], 0x5c
	v_bfe_u32 v1, v0, 10, 10
	v_bfe_u32 v3, v0, 20, 10
	v_and_b32_e32 v2, 0x3ff, v0
	s_waitcnt lgkmcnt(0)
	s_lshr_b32 s7, s6, 16
	s_and_b32 s6, s6, 0xffff
	v_mad_u32_u24 v1, v3, s7, v1
	v_mad_u64_u32 v[2:3], s[6:7], v1, s6, v[2:3]
	v_cmp_gt_u32_e32 vcc, 8, v2
	s_and_saveexec_b64 s[34:35], vcc
	s_cbranch_execz .LBB529_8
; %bb.4:
	s_and_b32 s6, s84, 1
	v_cndmask_b32_e64 v1, 0, 1, s[70:71]
	v_cmp_ne_u32_e32 vcc, s6, v1
	s_mov_b64 s[6:7], -1
	s_cbranch_vccnz .LBB529_6
; %bb.5:
	s_add_u32 s8, s4, 0x50
	s_mov_b64 s[6:7], src_shared_base
	s_addc_u32 s9, s5, 0
	s_mov_b32 s12, s68
	s_mov_b32 s13, s33
	v_mov_b32_e32 v31, v0
	v_mov_b32_e32 v40, v0
	v_mov_b32_e32 v0, s72
	v_mov_b32_e32 v1, s73
	v_mov_b32_e32 v2, s76
	v_mov_b32_e32 v3, s77
	v_mov_b32_e32 v4, s78
	v_mov_b32_e32 v5, s79
	v_mov_b32_e32 v6, s82
	v_mov_b32_e32 v7, s83
	v_mov_b32_e32 v8, s69
	v_mov_b32_e32 v9, s92
	v_mov_b32_e32 v10, s85
	v_mov_b32_e32 v11, s86
	v_mov_b32_e32 v12, 0
	v_mov_b32_e32 v13, s7
	s_getpc_b64 s[10:11]
	s_add_u32 s10, s10, _ZN7rocprim17ROCPRIM_400000_NS6detail26segmented_warp_sort_helperINS1_20WarpSortHelperConfigILj8ELj4ELj256EEEilLi256ELb1EvE4sortIPKiPiPKlPlEEvT_T0_T1_T2_jjjjRNS5_12storage_typeE@rel32@lo+4
	s_addc_u32 s11, s11, _ZN7rocprim17ROCPRIM_400000_NS6detail26segmented_warp_sort_helperINS1_20WarpSortHelperConfigILj8ELj4ELj256EEEilLi256ELb1EvE4sortIPKiPiPKlPlEEvT_T0_T1_T2_jjjjRNS5_12storage_typeE@rel32@hi+12
	s_mov_b64 s[36:37], s[4:5]
	s_swappc_b64 s[30:31], s[10:11]
	v_mov_b32_e32 v0, v40
	s_mov_b64 s[4:5], s[36:37]
	s_mov_b64 s[6:7], 0
.LBB529_6:
	s_andn2_b64 vcc, exec, s[6:7]
	s_cbranch_vccnz .LBB529_8
; %bb.7:
	s_add_u32 s8, s4, 0x50
	s_mov_b64 s[6:7], src_shared_base
	s_addc_u32 s9, s5, 0
	s_mov_b32 s12, s68
	s_mov_b32 s13, s33
	v_mov_b32_e32 v31, v0
	v_mov_b32_e32 v40, v0
	v_mov_b32_e32 v0, s72
	v_mov_b32_e32 v1, s73
	v_mov_b32_e32 v2, s74
	v_mov_b32_e32 v3, s75
	v_mov_b32_e32 v4, s78
	v_mov_b32_e32 v5, s79
	v_mov_b32_e32 v6, s80
	v_mov_b32_e32 v7, s81
	v_mov_b32_e32 v8, s69
	v_mov_b32_e32 v9, s92
	v_mov_b32_e32 v10, s85
	v_mov_b32_e32 v11, s86
	v_mov_b32_e32 v12, 0
	v_mov_b32_e32 v13, s7
	s_getpc_b64 s[10:11]
	s_add_u32 s10, s10, _ZN7rocprim17ROCPRIM_400000_NS6detail26segmented_warp_sort_helperINS1_20WarpSortHelperConfigILj8ELj4ELj256EEEilLi256ELb1EvE4sortIPKiPiPKlPlEEvT_T0_T1_T2_jjjjRNS5_12storage_typeE@rel32@lo+4
	s_addc_u32 s11, s11, _ZN7rocprim17ROCPRIM_400000_NS6detail26segmented_warp_sort_helperINS1_20WarpSortHelperConfigILj8ELj4ELj256EEEilLi256ELb1EvE4sortIPKiPiPKlPlEEvT_T0_T1_T2_jjjjRNS5_12storage_typeE@rel32@hi+12
	s_mov_b64 s[36:37], s[4:5]
	s_swappc_b64 s[30:31], s[10:11]
	v_mov_b32_e32 v0, v40
	s_mov_b64 s[4:5], s[36:37]
.LBB529_8:
	s_or_b64 exec, exec, s[34:35]
	s_mov_b64 s[6:7], 0
.LBB529_9:
	s_andn2_b64 vcc, exec, s[6:7]
	s_cbranch_vccnz .LBB529_14
; %bb.10:
	s_and_b32 s6, s84, 1
	v_cndmask_b32_e64 v1, 0, 1, s[70:71]
	v_cmp_ne_u32_e32 vcc, s6, v1
	s_mov_b64 s[6:7], -1
	s_cbranch_vccnz .LBB529_12
; %bb.11:
	s_add_u32 s8, s4, 0x50
	s_mov_b64 s[6:7], src_shared_base
	s_addc_u32 s9, s5, 0
	s_mov_b32 s12, s68
	s_mov_b32 s13, s33
	v_mov_b32_e32 v31, v0
	v_mov_b32_e32 v40, v0
	;; [unrolled: 1-line block ×16, first 2 shown]
	s_getpc_b64 s[10:11]
	s_add_u32 s10, s10, _ZN7rocprim17ROCPRIM_400000_NS6detail40segmented_radix_sort_single_block_helperIilLj256ELj16ELb1EE4sortIPKiPiPKlPlEEbT_T0_T1_T2_jjjjRNS3_12storage_typeE@rel32@lo+4
	s_addc_u32 s11, s11, _ZN7rocprim17ROCPRIM_400000_NS6detail40segmented_radix_sort_single_block_helperIilLj256ELj16ELb1EE4sortIPKiPiPKlPlEEbT_T0_T1_T2_jjjjRNS3_12storage_typeE@rel32@hi+12
	s_mov_b64 s[48:49], s[4:5]
	s_swappc_b64 s[30:31], s[10:11]
	v_mov_b32_e32 v0, v40
	s_mov_b64 s[4:5], s[48:49]
	s_mov_b64 s[6:7], 0
.LBB529_12:
	s_andn2_b64 vcc, exec, s[6:7]
	s_cbranch_vccnz .LBB529_14
; %bb.13:
	s_add_u32 s8, s4, 0x50
	s_mov_b64 s[6:7], src_shared_base
	s_addc_u32 s9, s5, 0
	s_mov_b32 s12, s68
	s_mov_b32 s13, s33
	v_mov_b32_e32 v31, v0
	v_mov_b32_e32 v40, v0
	;; [unrolled: 1-line block ×16, first 2 shown]
	s_getpc_b64 s[10:11]
	s_add_u32 s10, s10, _ZN7rocprim17ROCPRIM_400000_NS6detail40segmented_radix_sort_single_block_helperIilLj256ELj16ELb1EE4sortIPKiPiPKlPlEEbT_T0_T1_T2_jjjjRNS3_12storage_typeE@rel32@lo+4
	s_addc_u32 s11, s11, _ZN7rocprim17ROCPRIM_400000_NS6detail40segmented_radix_sort_single_block_helperIilLj256ELj16ELb1EE4sortIPKiPiPKlPlEEbT_T0_T1_T2_jjjjRNS3_12storage_typeE@rel32@hi+12
	s_mov_b64 s[48:49], s[4:5]
	s_swappc_b64 s[30:31], s[10:11]
	v_mov_b32_e32 v0, v40
	s_mov_b64 s[4:5], s[48:49]
.LBB529_14:
	s_mov_b64 s[6:7], 0
.LBB529_15:
	s_andn2_b64 vcc, exec, s[6:7]
	s_cbranch_vccnz .LBB529_1198
; %bb.16:
	s_cmp_ge_u32 s85, s86
	s_cbranch_scc1 .LBB529_1198
; %bb.17:
	v_and_b32_e32 v2, 0x3ff, v0
	v_lshlrev_b32_e32 v3, 2, v2
	v_mov_b32_e32 v5, s77
	v_add_co_u32_e32 v13, vcc, s76, v3
	s_movk_i32 s6, 0x100
	v_addc_co_u32_e32 v15, vcc, 0, v5, vcc
	v_or_b32_e32 v5, 63, v2
	s_mov_b64 s[12:13], s[4:5]
	v_cmp_gt_u32_e64 s[4:5], s6, v2
	v_cmp_eq_u32_e64 s[6:7], v5, v2
	v_lshrrev_b32_e32 v5, 4, v2
	v_and_b32_e32 v19, 12, v5
	v_lshlrev_b32_e32 v5, 4, v2
	v_and_b32_e32 v30, 0xc00, v5
	v_bfe_u32 v27, v0, 20, 10
	v_bfe_u32 v29, v0, 10, 10
	v_mul_u32_u24_e32 v0, 5, v2
	v_mov_b32_e32 v65, 0x410
	v_lshl_add_u32 v66, v0, 2, v65
	v_lshlrev_b32_e32 v0, 3, v30
	v_sub_u32_e32 v67, 0, v5
	v_mov_b32_e32 v5, s83
	v_add_co_u32_e32 v68, vcc, s82, v0
	v_addc_co_u32_e32 v69, vcc, 0, v5, vcc
	v_lshlrev_b32_e32 v5, 2, v30
	v_mov_b32_e32 v31, s77
	v_add_co_u32_e32 v70, vcc, s76, v5
	v_addc_co_u32_e32 v71, vcc, 0, v31, vcc
	v_mov_b32_e32 v31, s75
	v_add_co_u32_e32 v74, vcc, s74, v3
	v_addc_co_u32_e32 v75, vcc, 0, v31, vcc
	;; [unrolled: 3-line block ×7, first 2 shown]
	v_mbcnt_lo_u32_b32 v0, -1, 0
	v_mbcnt_hi_u32_b32 v101, -1, v0
	v_mad_u32_u24 v17, v2, 12, v3
	v_and_b32_e32 v0, 63, v101
	v_and_b32_e32 v1, 3, v2
	v_or_b32_e32 v6, 0x400, v2
	v_or_b32_e32 v8, 0x500, v2
	;; [unrolled: 1-line block ×12, first 2 shown]
	s_add_u32 s90, s12, 0x50
	v_add_u32_e32 v64, v17, v3
	s_movk_i32 s14, 0xff
	v_or_b32_e32 v109, v0, v30
	s_mov_b32 s89, 0
	v_mov_b32_e32 v4, 0
	v_or_b32_e32 v7, 0x100, v2
	v_or_b32_e32 v9, 0x200, v2
	;; [unrolled: 1-line block ×4, first 2 shown]
	v_cmp_gt_u32_e64 s[8:9], 4, v2
	v_add_u32_e32 v23, 0x8400, v3
	v_cmp_lt_u32_e64 s[10:11], 63, v2
	v_add_u32_e32 v25, 0x83fc, v19
	s_addc_u32 s91, s13, 0
	v_cmp_eq_u32_e64 s[12:13], 0, v2
	v_cmp_ne_u32_e64 s[14:15], s14, v2
	v_add_u32_e32 v72, 0x400, v3
	v_lshlrev_b32_e32 v73, 3, v2
	s_movk_i32 s84, 0x2000
	v_lshlrev_b32_e32 v86, 2, v1
	v_mov_b32_e32 v87, 1
	v_lshlrev_b32_e32 v88, 2, v2
	v_lshlrev_b32_e32 v89, 2, v6
	v_lshlrev_b32_e32 v90, 2, v8
	v_lshlrev_b32_e32 v91, 2, v10
	v_lshlrev_b32_e32 v92, 2, v12
	v_lshlrev_b32_e32 v93, 2, v14
	v_lshlrev_b32_e32 v94, 2, v16
	v_lshlrev_b32_e32 v95, 2, v18
	v_lshlrev_b32_e32 v96, 2, v20
	v_lshlrev_b32_e32 v97, 2, v22
	v_lshlrev_b32_e32 v98, 2, v24
	v_lshlrev_b32_e32 v99, 2, v26
	v_lshlrev_b32_e32 v100, 2, v28
	v_and_b32_e32 v102, 15, v101
	v_bfe_i32 v103, v101, 4, 1
	v_and_b32_e32 v104, 16, v101
	v_and_b32_e32 v105, 3, v101
	v_add_u32_e32 v106, -1, v101
	v_and_b32_e32 v107, 64, v101
	v_lshlrev_b32_e32 v108, 3, v0
	v_or_b32_e32 v110, 64, v109
	v_or_b32_e32 v111, 0x80, v109
	;; [unrolled: 1-line block ×15, first 2 shown]
	v_lshlrev_b32_e32 v125, 2, v0
	v_add_u32_e32 v126, 0x410, v64
	s_mov_b32 s93, s85
	s_branch .LBB529_20
.LBB529_18:                             ;   in Loop: Header=BB529_20 Depth=1
	s_waitcnt lgkmcnt(0)
	s_barrier
.LBB529_19:                             ;   in Loop: Header=BB529_20 Depth=1
	s_add_i32 s93, s93, 8
	s_cmp_ge_u32 s93, s86
	s_cbranch_scc1 .LBB529_1198
.LBB529_20:                             ; =>This Loop Header: Depth=1
                                        ;     Child Loop BB529_24 Depth 2
                                        ;     Child Loop BB529_106 Depth 2
	;; [unrolled: 1-line block ×8, first 2 shown]
	s_sub_i32 s16, s86, s93
	s_min_u32 s16, s16, 8
	s_lshl_b32 s16, -1, s16
	s_xor_b64 s[70:71], s[70:71], -1
	s_not_b32 s94, s16
	s_cmp_lg_u32 s93, s85
	s_mov_b64 s[16:17], -1
	ds_write2st64_b32 v3, v4, v4 offset1:4
	ds_write2st64_b32 v3, v4, v4 offset0:8 offset1:12
	s_waitcnt lgkmcnt(0)
	s_cbranch_scc0 .LBB529_610
; %bb.21:                               ;   in Loop: Header=BB529_20 Depth=1
	s_and_b64 vcc, exec, s[70:71]
	s_cbranch_vccz .LBB529_315
; %bb.22:                               ;   in Loop: Header=BB529_20 Depth=1
	s_mov_b32 s22, s87
	s_mov_b32 s88, s69
	s_barrier
	s_waitcnt lgkmcnt(0)
                                        ; implicit-def: $vgpr44
                                        ; implicit-def: $vgpr5
                                        ; implicit-def: $vgpr30
                                        ; implicit-def: $vgpr31
                                        ; implicit-def: $vgpr32
                                        ; implicit-def: $vgpr33
                                        ; implicit-def: $vgpr34
                                        ; implicit-def: $vgpr35
                                        ; implicit-def: $vgpr36
                                        ; implicit-def: $vgpr37
                                        ; implicit-def: $vgpr38
                                        ; implicit-def: $vgpr39
                                        ; implicit-def: $vgpr40
                                        ; implicit-def: $vgpr41
                                        ; implicit-def: $vgpr42
                                        ; implicit-def: $vgpr43
	s_branch .LBB529_24
.LBB529_23:                             ;   in Loop: Header=BB529_24 Depth=2
	s_or_b64 exec, exec, s[16:17]
	s_addk_i32 s22, 0xf000
	s_cmp_ge_u32 s23, s92
	s_mov_b32 s88, s23
	s_cbranch_scc1 .LBB529_94
.LBB529_24:                             ;   Parent Loop BB529_20 Depth=1
                                        ; =>  This Inner Loop Header: Depth=2
	s_add_i32 s23, s88, 0x1000
	s_cmp_gt_u32 s23, s92
	s_cbranch_scc1 .LBB529_27
; %bb.25:                               ;   in Loop: Header=BB529_24 Depth=2
	s_lshl_b64 s[16:17], s[88:89], 2
	v_mov_b32_e32 v1, s17
	v_add_co_u32_e32 v0, vcc, s16, v13
	v_addc_co_u32_e32 v1, vcc, v15, v1, vcc
	s_waitcnt vmcnt(6)
	v_add_co_u32_e32 v54, vcc, 0x1000, v0
	s_waitcnt vmcnt(5)
	v_addc_co_u32_e32 v55, vcc, 0, v1, vcc
	v_add_co_u32_e32 v62, vcc, s84, v0
	v_addc_co_u32_e32 v63, vcc, 0, v1, vcc
	global_load_dword v46, v[0:1], off
	global_load_dword v47, v[0:1], off offset:1024
	global_load_dword v48, v[0:1], off offset:2048
	;; [unrolled: 1-line block ×3, first 2 shown]
	global_load_dword v50, v[54:55], off
	global_load_dword v51, v[54:55], off offset:1024
	global_load_dword v52, v[54:55], off offset:2048
	;; [unrolled: 1-line block ×3, first 2 shown]
	v_add_co_u32_e32 v128, vcc, 0x3000, v0
	v_addc_co_u32_e32 v129, vcc, 0, v1, vcc
	global_load_dword v54, v[62:63], off
	global_load_dword v55, v[62:63], off offset:1024
	global_load_dword v56, v[62:63], off offset:2048
	;; [unrolled: 1-line block ×3, first 2 shown]
	global_load_dword v58, v[128:129], off
	global_load_dword v59, v[128:129], off offset:1024
	global_load_dword v60, v[128:129], off offset:2048
	v_add_co_u32_e32 v0, vcc, 0x3c00, v0
	s_movk_i32 s24, 0x1000
	v_addc_co_u32_e32 v1, vcc, 0, v1, vcc
	s_mov_b64 s[16:17], -1
	s_cbranch_execz .LBB529_28
; %bb.26:                               ;   in Loop: Header=BB529_24 Depth=2
                                        ; implicit-def: $vgpr43
                                        ; implicit-def: $vgpr42
                                        ; implicit-def: $vgpr41
                                        ; implicit-def: $vgpr40
                                        ; implicit-def: $vgpr39
                                        ; implicit-def: $vgpr38
                                        ; implicit-def: $vgpr37
                                        ; implicit-def: $vgpr36
                                        ; implicit-def: $vgpr35
                                        ; implicit-def: $vgpr34
                                        ; implicit-def: $vgpr33
                                        ; implicit-def: $vgpr32
                                        ; implicit-def: $vgpr31
                                        ; implicit-def: $vgpr30
                                        ; implicit-def: $vgpr5
                                        ; implicit-def: $vgpr44
	v_mov_b32_e32 v45, s22
	s_and_saveexec_b64 s[18:19], s[16:17]
	s_cbranch_execnz .LBB529_47
	s_branch .LBB529_48
.LBB529_27:                             ;   in Loop: Header=BB529_24 Depth=2
	s_mov_b64 s[16:17], 0
                                        ; implicit-def: $sgpr24
                                        ; implicit-def: $vgpr46
                                        ; implicit-def: $vgpr47
                                        ; implicit-def: $vgpr48
                                        ; implicit-def: $vgpr49
                                        ; implicit-def: $vgpr50
                                        ; implicit-def: $vgpr51
                                        ; implicit-def: $vgpr52
                                        ; implicit-def: $vgpr53
                                        ; implicit-def: $vgpr54
                                        ; implicit-def: $vgpr55
                                        ; implicit-def: $vgpr56
                                        ; implicit-def: $vgpr57
                                        ; implicit-def: $vgpr58
                                        ; implicit-def: $vgpr59
                                        ; implicit-def: $vgpr60
                                        ; implicit-def: $vgpr0_vgpr1
.LBB529_28:                             ;   in Loop: Header=BB529_24 Depth=2
	s_lshl_b64 s[18:19], s[88:89], 2
	s_add_u32 s18, s76, s18
	s_addc_u32 s19, s77, s19
	v_cmp_gt_u32_e32 vcc, s22, v2
	s_and_saveexec_b64 s[20:21], vcc
	s_cbranch_execz .LBB529_80
; %bb.29:                               ;   in Loop: Header=BB529_24 Depth=2
	global_load_dword v43, v88, s[18:19]
	s_or_b64 exec, exec, s[20:21]
	v_cmp_gt_u32_e32 vcc, s22, v7
	s_and_saveexec_b64 s[20:21], vcc
	s_cbranch_execnz .LBB529_81
.LBB529_30:                             ;   in Loop: Header=BB529_24 Depth=2
	s_or_b64 exec, exec, s[20:21]
	v_cmp_gt_u32_e32 vcc, s22, v9
	s_and_saveexec_b64 s[20:21], vcc
	s_cbranch_execz .LBB529_82
.LBB529_31:                             ;   in Loop: Header=BB529_24 Depth=2
	global_load_dword v41, v88, s[18:19] offset:2048
	s_or_b64 exec, exec, s[20:21]
	v_cmp_gt_u32_e32 vcc, s22, v11
	s_and_saveexec_b64 s[20:21], vcc
	s_cbranch_execnz .LBB529_83
.LBB529_32:                             ;   in Loop: Header=BB529_24 Depth=2
	s_or_b64 exec, exec, s[20:21]
	v_cmp_gt_u32_e32 vcc, s22, v6
	s_and_saveexec_b64 s[20:21], vcc
	s_cbranch_execz .LBB529_84
.LBB529_33:                             ;   in Loop: Header=BB529_24 Depth=2
	global_load_dword v39, v89, s[18:19]
	s_or_b64 exec, exec, s[20:21]
	v_cmp_gt_u32_e32 vcc, s22, v8
	s_and_saveexec_b64 s[20:21], vcc
	s_cbranch_execnz .LBB529_85
.LBB529_34:                             ;   in Loop: Header=BB529_24 Depth=2
	s_or_b64 exec, exec, s[20:21]
	v_cmp_gt_u32_e32 vcc, s22, v10
	s_and_saveexec_b64 s[20:21], vcc
	s_cbranch_execz .LBB529_86
.LBB529_35:                             ;   in Loop: Header=BB529_24 Depth=2
	global_load_dword v37, v91, s[18:19]
	s_or_b64 exec, exec, s[20:21]
	v_cmp_gt_u32_e32 vcc, s22, v12
	s_and_saveexec_b64 s[20:21], vcc
	s_cbranch_execnz .LBB529_87
.LBB529_36:                             ;   in Loop: Header=BB529_24 Depth=2
	s_or_b64 exec, exec, s[20:21]
	v_cmp_gt_u32_e32 vcc, s22, v14
	s_and_saveexec_b64 s[20:21], vcc
	s_cbranch_execz .LBB529_88
.LBB529_37:                             ;   in Loop: Header=BB529_24 Depth=2
	global_load_dword v35, v93, s[18:19]
	s_or_b64 exec, exec, s[20:21]
	v_cmp_gt_u32_e32 vcc, s22, v16
	s_and_saveexec_b64 s[20:21], vcc
	s_cbranch_execnz .LBB529_89
.LBB529_38:                             ;   in Loop: Header=BB529_24 Depth=2
	s_or_b64 exec, exec, s[20:21]
	v_cmp_gt_u32_e32 vcc, s22, v18
	s_and_saveexec_b64 s[20:21], vcc
	s_cbranch_execz .LBB529_90
.LBB529_39:                             ;   in Loop: Header=BB529_24 Depth=2
	global_load_dword v33, v95, s[18:19]
	s_or_b64 exec, exec, s[20:21]
	v_cmp_gt_u32_e32 vcc, s22, v20
	s_and_saveexec_b64 s[20:21], vcc
	s_cbranch_execnz .LBB529_91
.LBB529_40:                             ;   in Loop: Header=BB529_24 Depth=2
	s_or_b64 exec, exec, s[20:21]
	v_cmp_gt_u32_e32 vcc, s22, v22
	s_and_saveexec_b64 s[20:21], vcc
	s_cbranch_execz .LBB529_92
.LBB529_41:                             ;   in Loop: Header=BB529_24 Depth=2
	global_load_dword v31, v97, s[18:19]
	s_or_b64 exec, exec, s[20:21]
	v_cmp_gt_u32_e32 vcc, s22, v24
	s_and_saveexec_b64 s[20:21], vcc
	s_cbranch_execnz .LBB529_93
.LBB529_42:                             ;   in Loop: Header=BB529_24 Depth=2
	s_or_b64 exec, exec, s[20:21]
	v_cmp_gt_u32_e32 vcc, s22, v26
	s_and_saveexec_b64 s[20:21], vcc
	s_cbranch_execz .LBB529_44
.LBB529_43:                             ;   in Loop: Header=BB529_24 Depth=2
	global_load_dword v5, v99, s[18:19]
.LBB529_44:                             ;   in Loop: Header=BB529_24 Depth=2
	s_or_b64 exec, exec, s[20:21]
	v_cmp_gt_u32_e32 vcc, s22, v28
                                        ; implicit-def: $sgpr24
                                        ; implicit-def: $vgpr0_vgpr1
	s_and_saveexec_b64 s[20:21], vcc
; %bb.45:                               ;   in Loop: Header=BB529_24 Depth=2
	v_mov_b32_e32 v1, s19
	v_add_co_u32_e32 v0, vcc, s18, v100
	s_sub_i32 s24, s92, s88
	v_addc_co_u32_e32 v1, vcc, 0, v1, vcc
	s_or_b64 s[16:17], s[16:17], exec
                                        ; implicit-def: $vgpr44
; %bb.46:                               ;   in Loop: Header=BB529_24 Depth=2
	s_or_b64 exec, exec, s[20:21]
	s_waitcnt vmcnt(0)
	v_mov_b32_e32 v46, v43
	v_mov_b32_e32 v47, v42
	;; [unrolled: 1-line block ×16, first 2 shown]
	s_and_saveexec_b64 s[18:19], s[16:17]
	s_cbranch_execz .LBB529_48
.LBB529_47:                             ;   in Loop: Header=BB529_24 Depth=2
	global_load_dword v44, v[0:1], off
	v_mov_b32_e32 v45, s24
	s_waitcnt vmcnt(1)
	v_mov_b32_e32 v5, v60
	v_mov_b32_e32 v30, v59
	;; [unrolled: 1-line block ×15, first 2 shown]
.LBB529_48:                             ;   in Loop: Header=BB529_24 Depth=2
	s_or_b64 exec, exec, s[18:19]
	v_cmp_lt_u32_e32 vcc, v2, v45
	s_and_saveexec_b64 s[16:17], vcc
	s_cbranch_execz .LBB529_64
; %bb.49:                               ;   in Loop: Header=BB529_24 Depth=2
	v_xor_b32_e32 v0, 0x7fffffff, v43
	v_lshrrev_b32_e32 v0, s93, v0
	v_and_b32_e32 v0, s94, v0
	v_lshl_or_b32 v0, v0, 4, v86
	ds_add_u32 v0, v87
	s_or_b64 exec, exec, s[16:17]
	v_cmp_lt_u32_e32 vcc, v7, v45
	s_and_saveexec_b64 s[16:17], vcc
	s_cbranch_execnz .LBB529_65
.LBB529_50:                             ;   in Loop: Header=BB529_24 Depth=2
	s_or_b64 exec, exec, s[16:17]
	v_cmp_lt_u32_e32 vcc, v9, v45
	s_and_saveexec_b64 s[16:17], vcc
	s_cbranch_execz .LBB529_66
.LBB529_51:                             ;   in Loop: Header=BB529_24 Depth=2
	v_xor_b32_e32 v0, 0x7fffffff, v41
	v_lshrrev_b32_e32 v0, s93, v0
	v_and_b32_e32 v0, s94, v0
	v_lshl_or_b32 v0, v0, 4, v86
	ds_add_u32 v0, v87
	s_or_b64 exec, exec, s[16:17]
	v_cmp_lt_u32_e32 vcc, v11, v45
	s_and_saveexec_b64 s[16:17], vcc
	s_cbranch_execnz .LBB529_67
.LBB529_52:                             ;   in Loop: Header=BB529_24 Depth=2
	s_or_b64 exec, exec, s[16:17]
	v_cmp_lt_u32_e32 vcc, v6, v45
	s_and_saveexec_b64 s[16:17], vcc
	s_cbranch_execz .LBB529_68
.LBB529_53:                             ;   in Loop: Header=BB529_24 Depth=2
	v_xor_b32_e32 v0, 0x7fffffff, v39
	v_lshrrev_b32_e32 v0, s93, v0
	v_and_b32_e32 v0, s94, v0
	v_lshl_or_b32 v0, v0, 4, v86
	ds_add_u32 v0, v87
	s_or_b64 exec, exec, s[16:17]
	v_cmp_lt_u32_e32 vcc, v8, v45
	s_and_saveexec_b64 s[16:17], vcc
	s_cbranch_execnz .LBB529_69
.LBB529_54:                             ;   in Loop: Header=BB529_24 Depth=2
	s_or_b64 exec, exec, s[16:17]
	v_cmp_lt_u32_e32 vcc, v10, v45
	s_and_saveexec_b64 s[16:17], vcc
	s_cbranch_execz .LBB529_70
.LBB529_55:                             ;   in Loop: Header=BB529_24 Depth=2
	v_xor_b32_e32 v0, 0x7fffffff, v37
	v_lshrrev_b32_e32 v0, s93, v0
	v_and_b32_e32 v0, s94, v0
	v_lshl_or_b32 v0, v0, 4, v86
	ds_add_u32 v0, v87
	s_or_b64 exec, exec, s[16:17]
	v_cmp_lt_u32_e32 vcc, v12, v45
	s_and_saveexec_b64 s[16:17], vcc
	s_cbranch_execnz .LBB529_71
.LBB529_56:                             ;   in Loop: Header=BB529_24 Depth=2
	s_or_b64 exec, exec, s[16:17]
	v_cmp_lt_u32_e32 vcc, v14, v45
	s_and_saveexec_b64 s[16:17], vcc
	s_cbranch_execz .LBB529_72
.LBB529_57:                             ;   in Loop: Header=BB529_24 Depth=2
	v_xor_b32_e32 v0, 0x7fffffff, v35
	v_lshrrev_b32_e32 v0, s93, v0
	v_and_b32_e32 v0, s94, v0
	v_lshl_or_b32 v0, v0, 4, v86
	ds_add_u32 v0, v87
	s_or_b64 exec, exec, s[16:17]
	v_cmp_lt_u32_e32 vcc, v16, v45
	s_and_saveexec_b64 s[16:17], vcc
	s_cbranch_execnz .LBB529_73
.LBB529_58:                             ;   in Loop: Header=BB529_24 Depth=2
	s_or_b64 exec, exec, s[16:17]
	v_cmp_lt_u32_e32 vcc, v18, v45
	s_and_saveexec_b64 s[16:17], vcc
	s_cbranch_execz .LBB529_74
.LBB529_59:                             ;   in Loop: Header=BB529_24 Depth=2
	v_xor_b32_e32 v0, 0x7fffffff, v33
	v_lshrrev_b32_e32 v0, s93, v0
	v_and_b32_e32 v0, s94, v0
	v_lshl_or_b32 v0, v0, 4, v86
	ds_add_u32 v0, v87
	s_or_b64 exec, exec, s[16:17]
	v_cmp_lt_u32_e32 vcc, v20, v45
	s_and_saveexec_b64 s[16:17], vcc
	s_cbranch_execnz .LBB529_75
.LBB529_60:                             ;   in Loop: Header=BB529_24 Depth=2
	s_or_b64 exec, exec, s[16:17]
	v_cmp_lt_u32_e32 vcc, v22, v45
	s_and_saveexec_b64 s[16:17], vcc
	s_cbranch_execz .LBB529_76
.LBB529_61:                             ;   in Loop: Header=BB529_24 Depth=2
	v_xor_b32_e32 v0, 0x7fffffff, v31
	v_lshrrev_b32_e32 v0, s93, v0
	v_and_b32_e32 v0, s94, v0
	v_lshl_or_b32 v0, v0, 4, v86
	ds_add_u32 v0, v87
	s_or_b64 exec, exec, s[16:17]
	v_cmp_lt_u32_e32 vcc, v24, v45
	s_and_saveexec_b64 s[16:17], vcc
	s_cbranch_execnz .LBB529_77
.LBB529_62:                             ;   in Loop: Header=BB529_24 Depth=2
	s_or_b64 exec, exec, s[16:17]
	v_cmp_lt_u32_e32 vcc, v26, v45
	s_and_saveexec_b64 s[16:17], vcc
	s_cbranch_execz .LBB529_78
.LBB529_63:                             ;   in Loop: Header=BB529_24 Depth=2
	v_xor_b32_e32 v0, 0x7fffffff, v5
	v_lshrrev_b32_e32 v0, s93, v0
	v_and_b32_e32 v0, s94, v0
	v_lshl_or_b32 v0, v0, 4, v86
	ds_add_u32 v0, v87
	s_or_b64 exec, exec, s[16:17]
	v_cmp_lt_u32_e32 vcc, v28, v45
	s_and_saveexec_b64 s[16:17], vcc
	s_cbranch_execz .LBB529_23
	s_branch .LBB529_79
.LBB529_64:                             ;   in Loop: Header=BB529_24 Depth=2
	s_or_b64 exec, exec, s[16:17]
	v_cmp_lt_u32_e32 vcc, v7, v45
	s_and_saveexec_b64 s[16:17], vcc
	s_cbranch_execz .LBB529_50
.LBB529_65:                             ;   in Loop: Header=BB529_24 Depth=2
	v_xor_b32_e32 v0, 0x7fffffff, v42
	v_lshrrev_b32_e32 v0, s93, v0
	v_and_b32_e32 v0, s94, v0
	v_lshl_or_b32 v0, v0, 4, v86
	ds_add_u32 v0, v87
	s_or_b64 exec, exec, s[16:17]
	v_cmp_lt_u32_e32 vcc, v9, v45
	s_and_saveexec_b64 s[16:17], vcc
	s_cbranch_execnz .LBB529_51
.LBB529_66:                             ;   in Loop: Header=BB529_24 Depth=2
	s_or_b64 exec, exec, s[16:17]
	v_cmp_lt_u32_e32 vcc, v11, v45
	s_and_saveexec_b64 s[16:17], vcc
	s_cbranch_execz .LBB529_52
.LBB529_67:                             ;   in Loop: Header=BB529_24 Depth=2
	v_xor_b32_e32 v0, 0x7fffffff, v40
	v_lshrrev_b32_e32 v0, s93, v0
	v_and_b32_e32 v0, s94, v0
	v_lshl_or_b32 v0, v0, 4, v86
	ds_add_u32 v0, v87
	s_or_b64 exec, exec, s[16:17]
	v_cmp_lt_u32_e32 vcc, v6, v45
	s_and_saveexec_b64 s[16:17], vcc
	s_cbranch_execnz .LBB529_53
.LBB529_68:                             ;   in Loop: Header=BB529_24 Depth=2
	s_or_b64 exec, exec, s[16:17]
	v_cmp_lt_u32_e32 vcc, v8, v45
	s_and_saveexec_b64 s[16:17], vcc
	s_cbranch_execz .LBB529_54
.LBB529_69:                             ;   in Loop: Header=BB529_24 Depth=2
	v_xor_b32_e32 v0, 0x7fffffff, v38
	v_lshrrev_b32_e32 v0, s93, v0
	v_and_b32_e32 v0, s94, v0
	v_lshl_or_b32 v0, v0, 4, v86
	ds_add_u32 v0, v87
	s_or_b64 exec, exec, s[16:17]
	v_cmp_lt_u32_e32 vcc, v10, v45
	s_and_saveexec_b64 s[16:17], vcc
	s_cbranch_execnz .LBB529_55
.LBB529_70:                             ;   in Loop: Header=BB529_24 Depth=2
	s_or_b64 exec, exec, s[16:17]
	v_cmp_lt_u32_e32 vcc, v12, v45
	s_and_saveexec_b64 s[16:17], vcc
	s_cbranch_execz .LBB529_56
.LBB529_71:                             ;   in Loop: Header=BB529_24 Depth=2
	v_xor_b32_e32 v0, 0x7fffffff, v36
	v_lshrrev_b32_e32 v0, s93, v0
	v_and_b32_e32 v0, s94, v0
	v_lshl_or_b32 v0, v0, 4, v86
	ds_add_u32 v0, v87
	s_or_b64 exec, exec, s[16:17]
	v_cmp_lt_u32_e32 vcc, v14, v45
	s_and_saveexec_b64 s[16:17], vcc
	s_cbranch_execnz .LBB529_57
.LBB529_72:                             ;   in Loop: Header=BB529_24 Depth=2
	s_or_b64 exec, exec, s[16:17]
	v_cmp_lt_u32_e32 vcc, v16, v45
	s_and_saveexec_b64 s[16:17], vcc
	s_cbranch_execz .LBB529_58
.LBB529_73:                             ;   in Loop: Header=BB529_24 Depth=2
	v_xor_b32_e32 v0, 0x7fffffff, v34
	v_lshrrev_b32_e32 v0, s93, v0
	v_and_b32_e32 v0, s94, v0
	v_lshl_or_b32 v0, v0, 4, v86
	ds_add_u32 v0, v87
	s_or_b64 exec, exec, s[16:17]
	v_cmp_lt_u32_e32 vcc, v18, v45
	s_and_saveexec_b64 s[16:17], vcc
	s_cbranch_execnz .LBB529_59
.LBB529_74:                             ;   in Loop: Header=BB529_24 Depth=2
	s_or_b64 exec, exec, s[16:17]
	v_cmp_lt_u32_e32 vcc, v20, v45
	s_and_saveexec_b64 s[16:17], vcc
	s_cbranch_execz .LBB529_60
.LBB529_75:                             ;   in Loop: Header=BB529_24 Depth=2
	v_xor_b32_e32 v0, 0x7fffffff, v32
	v_lshrrev_b32_e32 v0, s93, v0
	v_and_b32_e32 v0, s94, v0
	v_lshl_or_b32 v0, v0, 4, v86
	ds_add_u32 v0, v87
	s_or_b64 exec, exec, s[16:17]
	v_cmp_lt_u32_e32 vcc, v22, v45
	s_and_saveexec_b64 s[16:17], vcc
	s_cbranch_execnz .LBB529_61
.LBB529_76:                             ;   in Loop: Header=BB529_24 Depth=2
	s_or_b64 exec, exec, s[16:17]
	v_cmp_lt_u32_e32 vcc, v24, v45
	s_and_saveexec_b64 s[16:17], vcc
	s_cbranch_execz .LBB529_62
.LBB529_77:                             ;   in Loop: Header=BB529_24 Depth=2
	v_xor_b32_e32 v0, 0x7fffffff, v30
	v_lshrrev_b32_e32 v0, s93, v0
	v_and_b32_e32 v0, s94, v0
	v_lshl_or_b32 v0, v0, 4, v86
	ds_add_u32 v0, v87
	s_or_b64 exec, exec, s[16:17]
	v_cmp_lt_u32_e32 vcc, v26, v45
	s_and_saveexec_b64 s[16:17], vcc
	s_cbranch_execnz .LBB529_63
.LBB529_78:                             ;   in Loop: Header=BB529_24 Depth=2
	s_or_b64 exec, exec, s[16:17]
	v_cmp_lt_u32_e32 vcc, v28, v45
	s_and_saveexec_b64 s[16:17], vcc
	s_cbranch_execz .LBB529_23
.LBB529_79:                             ;   in Loop: Header=BB529_24 Depth=2
	s_waitcnt vmcnt(0)
	v_xor_b32_e32 v0, 0x7fffffff, v44
	v_lshrrev_b32_e32 v0, s93, v0
	v_and_b32_e32 v0, s94, v0
	v_lshl_or_b32 v0, v0, 4, v86
	ds_add_u32 v0, v87
	s_branch .LBB529_23
.LBB529_80:                             ;   in Loop: Header=BB529_24 Depth=2
	s_or_b64 exec, exec, s[20:21]
	v_cmp_gt_u32_e32 vcc, s22, v7
	s_and_saveexec_b64 s[20:21], vcc
	s_cbranch_execz .LBB529_30
.LBB529_81:                             ;   in Loop: Header=BB529_24 Depth=2
	global_load_dword v42, v88, s[18:19] offset:1024
	s_or_b64 exec, exec, s[20:21]
	v_cmp_gt_u32_e32 vcc, s22, v9
	s_and_saveexec_b64 s[20:21], vcc
	s_cbranch_execnz .LBB529_31
.LBB529_82:                             ;   in Loop: Header=BB529_24 Depth=2
	s_or_b64 exec, exec, s[20:21]
	v_cmp_gt_u32_e32 vcc, s22, v11
	s_and_saveexec_b64 s[20:21], vcc
	s_cbranch_execz .LBB529_32
.LBB529_83:                             ;   in Loop: Header=BB529_24 Depth=2
	global_load_dword v40, v88, s[18:19] offset:3072
	s_or_b64 exec, exec, s[20:21]
	v_cmp_gt_u32_e32 vcc, s22, v6
	s_and_saveexec_b64 s[20:21], vcc
	s_cbranch_execnz .LBB529_33
.LBB529_84:                             ;   in Loop: Header=BB529_24 Depth=2
	s_or_b64 exec, exec, s[20:21]
	v_cmp_gt_u32_e32 vcc, s22, v8
	s_and_saveexec_b64 s[20:21], vcc
	s_cbranch_execz .LBB529_34
.LBB529_85:                             ;   in Loop: Header=BB529_24 Depth=2
	global_load_dword v38, v90, s[18:19]
	s_or_b64 exec, exec, s[20:21]
	v_cmp_gt_u32_e32 vcc, s22, v10
	s_and_saveexec_b64 s[20:21], vcc
	s_cbranch_execnz .LBB529_35
.LBB529_86:                             ;   in Loop: Header=BB529_24 Depth=2
	s_or_b64 exec, exec, s[20:21]
	v_cmp_gt_u32_e32 vcc, s22, v12
	s_and_saveexec_b64 s[20:21], vcc
	s_cbranch_execz .LBB529_36
.LBB529_87:                             ;   in Loop: Header=BB529_24 Depth=2
	global_load_dword v36, v92, s[18:19]
	s_or_b64 exec, exec, s[20:21]
	v_cmp_gt_u32_e32 vcc, s22, v14
	s_and_saveexec_b64 s[20:21], vcc
	s_cbranch_execnz .LBB529_37
.LBB529_88:                             ;   in Loop: Header=BB529_24 Depth=2
	s_or_b64 exec, exec, s[20:21]
	v_cmp_gt_u32_e32 vcc, s22, v16
	s_and_saveexec_b64 s[20:21], vcc
	s_cbranch_execz .LBB529_38
.LBB529_89:                             ;   in Loop: Header=BB529_24 Depth=2
	global_load_dword v34, v94, s[18:19]
	s_or_b64 exec, exec, s[20:21]
	v_cmp_gt_u32_e32 vcc, s22, v18
	s_and_saveexec_b64 s[20:21], vcc
	s_cbranch_execnz .LBB529_39
.LBB529_90:                             ;   in Loop: Header=BB529_24 Depth=2
	s_or_b64 exec, exec, s[20:21]
	v_cmp_gt_u32_e32 vcc, s22, v20
	s_and_saveexec_b64 s[20:21], vcc
	s_cbranch_execz .LBB529_40
.LBB529_91:                             ;   in Loop: Header=BB529_24 Depth=2
	global_load_dword v32, v96, s[18:19]
	s_or_b64 exec, exec, s[20:21]
	v_cmp_gt_u32_e32 vcc, s22, v22
	s_and_saveexec_b64 s[20:21], vcc
	s_cbranch_execnz .LBB529_41
.LBB529_92:                             ;   in Loop: Header=BB529_24 Depth=2
	s_or_b64 exec, exec, s[20:21]
	v_cmp_gt_u32_e32 vcc, s22, v24
	s_and_saveexec_b64 s[20:21], vcc
	s_cbranch_execz .LBB529_42
.LBB529_93:                             ;   in Loop: Header=BB529_24 Depth=2
	global_load_dword v30, v98, s[18:19]
	s_or_b64 exec, exec, s[20:21]
	v_cmp_gt_u32_e32 vcc, s22, v26
	s_and_saveexec_b64 s[20:21], vcc
	s_cbranch_execz .LBB529_44
	s_branch .LBB529_43
.LBB529_94:                             ;   in Loop: Header=BB529_20 Depth=1
	v_mov_b32_e32 v0, 0
	s_waitcnt lgkmcnt(0)
	s_barrier
	s_and_saveexec_b64 s[16:17], s[4:5]
	s_cbranch_execz .LBB529_96
; %bb.95:                               ;   in Loop: Header=BB529_20 Depth=1
	ds_read2_b64 v[30:33], v17 offset1:1
	s_waitcnt lgkmcnt(0)
	v_add_u32_e32 v0, v31, v30
	v_add3_u32 v0, v0, v32, v33
.LBB529_96:                             ;   in Loop: Header=BB529_20 Depth=1
	s_or_b64 exec, exec, s[16:17]
	s_nop 0
	v_mov_b32_dpp v1, v0 row_shr:1 row_mask:0xf bank_mask:0xf
	v_cmp_eq_u32_e64 s[16:17], 0, v102
	v_cndmask_b32_e64 v1, v1, 0, s[16:17]
	v_add_u32_e32 v0, v1, v0
	v_cmp_lt_u32_e64 s[18:19], 1, v102
	v_cmp_lt_u32_e64 s[20:21], 3, v102
	v_mov_b32_dpp v1, v0 row_shr:2 row_mask:0xf bank_mask:0xf
	v_cndmask_b32_e64 v1, 0, v1, s[18:19]
	v_add_u32_e32 v0, v0, v1
	v_cmp_lt_u32_e64 s[22:23], 7, v102
	v_cmp_lt_u32_e64 s[26:27], 31, v101
	v_mov_b32_dpp v1, v0 row_shr:4 row_mask:0xf bank_mask:0xf
	v_cndmask_b32_e64 v1, 0, v1, s[20:21]
	v_add_u32_e32 v0, v0, v1
	v_cmp_eq_u32_e64 s[24:25], 0, v104
	s_nop 0
	v_mov_b32_dpp v1, v0 row_shr:8 row_mask:0xf bank_mask:0xf
	v_cndmask_b32_e64 v1, 0, v1, s[22:23]
	v_add_u32_e32 v0, v0, v1
	s_nop 1
	v_mov_b32_dpp v1, v0 row_bcast:15 row_mask:0xf bank_mask:0xf
	v_and_b32_e32 v1, v103, v1
	v_add_u32_e32 v0, v0, v1
	s_nop 1
	v_mov_b32_dpp v1, v0 row_bcast:31 row_mask:0xf bank_mask:0xf
	v_cndmask_b32_e64 v1, 0, v1, s[26:27]
	v_add_u32_e32 v0, v0, v1
	s_and_saveexec_b64 s[28:29], s[6:7]
	s_cbranch_execz .LBB529_98
; %bb.97:                               ;   in Loop: Header=BB529_20 Depth=1
	ds_write_b32 v21, v0
.LBB529_98:                             ;   in Loop: Header=BB529_20 Depth=1
	s_or_b64 exec, exec, s[28:29]
	s_waitcnt lgkmcnt(0)
	s_barrier
	s_and_saveexec_b64 s[28:29], s[8:9]
	s_cbranch_execz .LBB529_100
; %bb.99:                               ;   in Loop: Header=BB529_20 Depth=1
	ds_read_b32 v1, v23
	v_cmp_ne_u32_e32 vcc, 0, v105
	s_waitcnt lgkmcnt(0)
	v_mov_b32_dpp v5, v1 row_shr:1 row_mask:0xf bank_mask:0xf
	v_cndmask_b32_e32 v5, 0, v5, vcc
	v_add_u32_e32 v1, v5, v1
	v_cmp_lt_u32_e32 vcc, 1, v105
	s_nop 0
	v_mov_b32_dpp v5, v1 row_shr:2 row_mask:0xf bank_mask:0xf
	v_cndmask_b32_e32 v5, 0, v5, vcc
	v_add_u32_e32 v1, v1, v5
	ds_write_b32 v23, v1
.LBB529_100:                            ;   in Loop: Header=BB529_20 Depth=1
	s_or_b64 exec, exec, s[28:29]
	v_mov_b32_e32 v1, 0
	s_waitcnt lgkmcnt(0)
	s_barrier
	s_and_saveexec_b64 s[28:29], s[10:11]
	s_cbranch_execz .LBB529_102
; %bb.101:                              ;   in Loop: Header=BB529_20 Depth=1
	ds_read_b32 v1, v25
.LBB529_102:                            ;   in Loop: Header=BB529_20 Depth=1
	s_or_b64 exec, exec, s[28:29]
	v_cmp_lt_i32_e32 vcc, v106, v107
	v_cndmask_b32_e32 v5, v106, v101, vcc
	s_waitcnt lgkmcnt(0)
	v_add_u32_e32 v0, v1, v0
	v_lshlrev_b32_e32 v127, 2, v5
	ds_bpermute_b32 v0, v127, v0
	v_cmp_eq_u32_e64 s[28:29], 0, v101
	s_waitcnt lgkmcnt(0)
	s_barrier
	s_and_saveexec_b64 s[30:31], s[4:5]
	s_cbranch_execz .LBB529_104
; %bb.103:                              ;   in Loop: Header=BB529_20 Depth=1
	v_cndmask_b32_e64 v0, v0, v1, s[28:29]
	v_add_u32_e32 v0, s69, v0
	ds_write_b32 v3, v0
.LBB529_104:                            ;   in Loop: Header=BB529_20 Depth=1
	s_or_b64 exec, exec, s[30:31]
	s_load_dword s30, s[90:91], 0x4
	s_load_dword s36, s[90:91], 0xc
	v_add_co_u32_e32 v128, vcc, v68, v108
	v_addc_co_u32_e32 v129, vcc, 0, v69, vcc
	s_waitcnt lgkmcnt(0)
	s_cmp_lt_u32 s33, s30
	s_cselect_b32 s30, 14, 20
	s_add_u32 s30, s90, s30
	s_addc_u32 s31, s91, 0
	global_load_ushort v5, v4, s[30:31]
	v_add_co_u32_e32 v130, vcc, v70, v125
	v_addc_co_u32_e32 v131, vcc, 0, v71, vcc
	s_and_b32 s36, s36, 0xffff
	v_add_co_u32_e32 v145, vcc, 0xf00, v130
	v_cmp_eq_u32_e64 s[30:31], 0, v105
	v_cmp_lt_u32_e64 s[34:35], 1, v105
	s_mov_b32 s95, s87
	v_addc_co_u32_e32 v148, vcc, 0, v131, vcc
	s_mov_b32 s88, s69
                                        ; implicit-def: $vgpr0_vgpr1
                                        ; implicit-def: $vgpr30_vgpr31
                                        ; implicit-def: $vgpr32_vgpr33
                                        ; implicit-def: $vgpr36_vgpr37
                                        ; implicit-def: $vgpr40_vgpr41
                                        ; implicit-def: $vgpr44_vgpr45
                                        ; implicit-def: $vgpr48_vgpr49
                                        ; implicit-def: $vgpr52_vgpr53
                                        ; implicit-def: $vgpr34_vgpr35
                                        ; implicit-def: $vgpr38_vgpr39
                                        ; implicit-def: $vgpr42_vgpr43
                                        ; implicit-def: $vgpr46_vgpr47
                                        ; implicit-def: $vgpr50_vgpr51
                                        ; implicit-def: $vgpr54_vgpr55
                                        ; implicit-def: $vgpr56_vgpr57
                                        ; implicit-def: $vgpr58_vgpr59
                                        ; implicit-def: $vgpr132
                                        ; implicit-def: $vgpr133
                                        ; implicit-def: $vgpr134
                                        ; implicit-def: $vgpr135
                                        ; implicit-def: $vgpr136
                                        ; implicit-def: $vgpr137
                                        ; implicit-def: $vgpr138
                                        ; implicit-def: $vgpr139
                                        ; implicit-def: $vgpr140
                                        ; implicit-def: $vgpr141
                                        ; implicit-def: $vgpr142
                                        ; implicit-def: $vgpr143
                                        ; implicit-def: $vgpr144
                                        ; implicit-def: $vgpr146
                                        ; implicit-def: $vgpr147
                                        ; implicit-def: $vgpr149
	s_waitcnt vmcnt(0)
	v_mad_u32_u24 v5, v27, v5, v29
	v_mad_u64_u32 v[60:61], s[36:37], v5, s36, v[2:3]
	v_lshrrev_b32_e32 v150, 6, v60
	s_branch .LBB529_106
.LBB529_105:                            ;   in Loop: Header=BB529_106 Depth=2
	s_or_b64 exec, exec, s[36:37]
	s_addk_i32 s95, 0xf000
	s_cmp_lt_u32 s96, s92
	s_mov_b32 s88, s96
	s_cbranch_scc0 .LBB529_314
.LBB529_106:                            ;   Parent Loop BB529_20 Depth=1
                                        ; =>  This Inner Loop Header: Depth=2
	s_add_i32 s96, s88, 0x1000
	s_cmp_gt_u32 s96, s92
	s_cbranch_scc1 .LBB529_109
; %bb.107:                              ;   in Loop: Header=BB529_106 Depth=2
	s_lshl_b64 s[36:37], s[88:89], 2
	v_mov_b32_e32 v5, s37
	v_add_co_u32_e32 v60, vcc, s36, v130
	v_addc_co_u32_e32 v61, vcc, v131, v5, vcc
	global_load_dword v5, v[60:61], off
	global_load_dword v154, v[60:61], off offset:256
	global_load_dword v159, v[60:61], off offset:512
	;; [unrolled: 1-line block ×14, first 2 shown]
	s_mov_b64 s[36:37], -1
	s_movk_i32 s40, 0x1000
	s_cbranch_execz .LBB529_110
; %bb.108:                              ;   in Loop: Header=BB529_106 Depth=2
                                        ; implicit-def: $sgpr38
	v_mov_b32_e32 v63, s38
	v_mov_b32_e32 v151, s95
	s_and_saveexec_b64 s[38:39], s[36:37]
	s_cbranch_execnz .LBB529_141
	s_branch .LBB529_142
.LBB529_109:                            ;   in Loop: Header=BB529_106 Depth=2
	s_mov_b64 s[36:37], 0
                                        ; implicit-def: $sgpr40
                                        ; implicit-def: $vgpr5
                                        ; implicit-def: $vgpr154
                                        ; implicit-def: $vgpr159
                                        ; implicit-def: $vgpr164
                                        ; implicit-def: $vgpr169
                                        ; implicit-def: $vgpr174
                                        ; implicit-def: $vgpr179
                                        ; implicit-def: $vgpr184
                                        ; implicit-def: $vgpr182
                                        ; implicit-def: $vgpr177
                                        ; implicit-def: $vgpr173
                                        ; implicit-def: $vgpr168
                                        ; implicit-def: $vgpr163
                                        ; implicit-def: $vgpr158
                                        ; implicit-def: $vgpr62
.LBB529_110:                            ;   in Loop: Header=BB529_106 Depth=2
	s_lshl_b64 s[36:37], s[88:89], 2
	s_waitcnt vmcnt(14)
	v_mov_b32_e32 v5, s37
	v_add_co_u32_e32 v60, vcc, s36, v130
	v_addc_co_u32_e32 v61, vcc, v131, v5, vcc
	v_cmp_gt_u32_e32 vcc, s95, v109
	s_waitcnt vmcnt(13)
	v_bfrev_b32_e32 v154, 1
	v_bfrev_b32_e32 v5, 1
	s_and_saveexec_b64 s[36:37], vcc
	s_cbranch_execz .LBB529_112
; %bb.111:                              ;   in Loop: Header=BB529_106 Depth=2
	global_load_dword v5, v[60:61], off
.LBB529_112:                            ;   in Loop: Header=BB529_106 Depth=2
	s_or_b64 exec, exec, s[36:37]
	v_cmp_gt_u32_e32 vcc, s95, v110
	s_and_saveexec_b64 s[36:37], vcc
	s_cbranch_execz .LBB529_114
; %bb.113:                              ;   in Loop: Header=BB529_106 Depth=2
	global_load_dword v154, v[60:61], off offset:256
.LBB529_114:                            ;   in Loop: Header=BB529_106 Depth=2
	s_or_b64 exec, exec, s[36:37]
	v_cmp_gt_u32_e32 vcc, s95, v111
	s_waitcnt vmcnt(11)
	v_bfrev_b32_e32 v164, 1
	v_bfrev_b32_e32 v159, 1
	s_and_saveexec_b64 s[36:37], vcc
	s_cbranch_execz .LBB529_116
; %bb.115:                              ;   in Loop: Header=BB529_106 Depth=2
	global_load_dword v159, v[60:61], off offset:512
.LBB529_116:                            ;   in Loop: Header=BB529_106 Depth=2
	s_or_b64 exec, exec, s[36:37]
	v_cmp_gt_u32_e32 vcc, s95, v112
	s_and_saveexec_b64 s[36:37], vcc
	s_cbranch_execz .LBB529_118
; %bb.117:                              ;   in Loop: Header=BB529_106 Depth=2
	global_load_dword v164, v[60:61], off offset:768
.LBB529_118:                            ;   in Loop: Header=BB529_106 Depth=2
	s_or_b64 exec, exec, s[36:37]
	v_cmp_gt_u32_e32 vcc, s95, v113
	s_waitcnt vmcnt(9)
	v_bfrev_b32_e32 v174, 1
	v_bfrev_b32_e32 v169, 1
	s_and_saveexec_b64 s[36:37], vcc
	s_cbranch_execz .LBB529_120
; %bb.119:                              ;   in Loop: Header=BB529_106 Depth=2
	global_load_dword v169, v[60:61], off offset:1024
.LBB529_120:                            ;   in Loop: Header=BB529_106 Depth=2
	;; [unrolled: 17-line block ×6, first 2 shown]
	s_or_b64 exec, exec, s[36:37]
	v_cmp_gt_u32_e32 vcc, s95, v122
	s_and_saveexec_b64 s[36:37], vcc
	s_cbranch_execz .LBB529_138
; %bb.137:                              ;   in Loop: Header=BB529_106 Depth=2
	global_load_dword v158, v[60:61], off offset:3328
.LBB529_138:                            ;   in Loop: Header=BB529_106 Depth=2
	s_or_b64 exec, exec, s[36:37]
	v_cmp_gt_u32_e32 vcc, s95, v123
	s_waitcnt vmcnt(0)
	v_bfrev_b32_e32 v62, 1
	s_and_saveexec_b64 s[36:37], vcc
	s_cbranch_execz .LBB529_140
; %bb.139:                              ;   in Loop: Header=BB529_106 Depth=2
	global_load_dword v62, v[60:61], off offset:3584
.LBB529_140:                            ;   in Loop: Header=BB529_106 Depth=2
	s_or_b64 exec, exec, s[36:37]
	s_sub_i32 s40, s92, s88
	v_cmp_gt_u32_e64 s[36:37], s95, v124
	s_brev_b32 s38, 1
	v_mov_b32_e32 v63, s38
	v_mov_b32_e32 v151, s95
	s_and_saveexec_b64 s[38:39], s[36:37]
	s_cbranch_execz .LBB529_142
.LBB529_141:                            ;   in Loop: Header=BB529_106 Depth=2
	s_lshl_b64 s[36:37], s[88:89], 2
	v_mov_b32_e32 v61, s37
	v_add_co_u32_e32 v60, vcc, s36, v145
	v_addc_co_u32_e32 v61, vcc, v148, v61, vcc
	global_load_dword v63, v[60:61], off
	v_mov_b32_e32 v151, s40
.LBB529_142:                            ;   in Loop: Header=BB529_106 Depth=2
	s_or_b64 exec, exec, s[38:39]
	s_waitcnt vmcnt(14)
	v_xor_b32_e32 v152, 0x7fffffff, v5
	v_lshrrev_b32_e32 v5, s93, v152
	v_and_b32_e32 v60, s94, v5
	v_mad_u32_u24 v5, v60, 5, v150
	v_lshl_add_u32 v153, v5, 2, v65
	v_and_b32_e32 v5, 1, v60
	v_add_co_u32_e32 v61, vcc, -1, v5
	v_addc_co_u32_e64 v155, s[36:37], 0, -1, vcc
	v_cmp_ne_u32_e32 vcc, 0, v5
	v_xor_b32_e32 v5, vcc_hi, v155
	v_and_b32_e32 v155, exec_hi, v5
	v_lshlrev_b32_e32 v5, 30, v60
	v_xor_b32_e32 v61, vcc_lo, v61
	v_cmp_gt_i64_e32 vcc, 0, v[4:5]
	v_not_b32_e32 v5, v5
	v_ashrrev_i32_e32 v5, 31, v5
	v_and_b32_e32 v61, exec_lo, v61
	v_xor_b32_e32 v156, vcc_hi, v5
	v_xor_b32_e32 v5, vcc_lo, v5
	v_and_b32_e32 v61, v61, v5
	v_lshlrev_b32_e32 v5, 29, v60
	v_cmp_gt_i64_e32 vcc, 0, v[4:5]
	v_not_b32_e32 v5, v5
	v_ashrrev_i32_e32 v5, 31, v5
	v_and_b32_e32 v155, v155, v156
	v_xor_b32_e32 v156, vcc_hi, v5
	v_xor_b32_e32 v5, vcc_lo, v5
	v_and_b32_e32 v61, v61, v5
	v_lshlrev_b32_e32 v5, 28, v60
	v_cmp_gt_i64_e32 vcc, 0, v[4:5]
	v_not_b32_e32 v5, v5
	v_ashrrev_i32_e32 v5, 31, v5
	v_and_b32_e32 v155, v155, v156
	;; [unrolled: 8-line block ×5, first 2 shown]
	v_xor_b32_e32 v156, vcc_hi, v5
	v_xor_b32_e32 v5, vcc_lo, v5
	v_and_b32_e32 v155, v155, v156
	v_and_b32_e32 v156, v61, v5
	v_lshlrev_b32_e32 v5, 24, v60
	v_cmp_gt_i64_e32 vcc, 0, v[4:5]
	v_not_b32_e32 v5, v5
	v_ashrrev_i32_e32 v5, 31, v5
	v_xor_b32_e32 v60, vcc_hi, v5
	v_xor_b32_e32 v5, vcc_lo, v5
	v_and_b32_e32 v61, v155, v60
	v_and_b32_e32 v60, v156, v5
	v_mbcnt_lo_u32_b32 v5, v60, 0
	v_mbcnt_hi_u32_b32 v155, v61, v5
	v_cmp_eq_u32_e32 vcc, 0, v155
	v_cmp_ne_u64_e64 s[36:37], 0, v[60:61]
	s_and_b64 s[38:39], s[36:37], vcc
	ds_write2_b32 v126, v4, v4 offset1:1
	ds_write2_b32 v66, v4, v4 offset0:2 offset1:3
	ds_write_b32 v66, v4 offset:16
	s_waitcnt lgkmcnt(0)
	s_barrier
	s_waitcnt lgkmcnt(0)
	; wave barrier
	s_and_saveexec_b64 s[36:37], s[38:39]
	s_cbranch_execz .LBB529_144
; %bb.143:                              ;   in Loop: Header=BB529_106 Depth=2
	v_bcnt_u32_b32 v5, v60, 0
	v_bcnt_u32_b32 v5, v61, v5
	ds_write_b32 v153, v5
.LBB529_144:                            ;   in Loop: Header=BB529_106 Depth=2
	s_or_b64 exec, exec, s[36:37]
	s_waitcnt vmcnt(13)
	v_xor_b32_e32 v154, 0x7fffffff, v154
	v_lshrrev_b32_e32 v5, s93, v154
	v_and_b32_e32 v60, s94, v5
	v_mul_u32_u24_e32 v5, 5, v60
	v_add_lshl_u32 v5, v5, v150, 2
	; wave barrier
	v_add_u32_e32 v157, 0x410, v5
	ds_read_b32 v156, v5 offset:1040
	v_and_b32_e32 v5, 1, v60
	v_add_co_u32_e32 v61, vcc, -1, v5
	v_addc_co_u32_e64 v160, s[36:37], 0, -1, vcc
	v_cmp_ne_u32_e32 vcc, 0, v5
	v_xor_b32_e32 v5, vcc_hi, v160
	v_and_b32_e32 v160, exec_hi, v5
	v_lshlrev_b32_e32 v5, 30, v60
	v_xor_b32_e32 v61, vcc_lo, v61
	v_cmp_gt_i64_e32 vcc, 0, v[4:5]
	v_not_b32_e32 v5, v5
	v_ashrrev_i32_e32 v5, 31, v5
	v_and_b32_e32 v61, exec_lo, v61
	v_xor_b32_e32 v161, vcc_hi, v5
	v_xor_b32_e32 v5, vcc_lo, v5
	v_and_b32_e32 v61, v61, v5
	v_lshlrev_b32_e32 v5, 29, v60
	v_cmp_gt_i64_e32 vcc, 0, v[4:5]
	v_not_b32_e32 v5, v5
	v_ashrrev_i32_e32 v5, 31, v5
	v_and_b32_e32 v160, v160, v161
	v_xor_b32_e32 v161, vcc_hi, v5
	v_xor_b32_e32 v5, vcc_lo, v5
	v_and_b32_e32 v61, v61, v5
	v_lshlrev_b32_e32 v5, 28, v60
	v_cmp_gt_i64_e32 vcc, 0, v[4:5]
	v_not_b32_e32 v5, v5
	v_ashrrev_i32_e32 v5, 31, v5
	v_and_b32_e32 v160, v160, v161
	;; [unrolled: 8-line block ×5, first 2 shown]
	v_xor_b32_e32 v161, vcc_hi, v5
	v_xor_b32_e32 v5, vcc_lo, v5
	v_and_b32_e32 v160, v160, v161
	v_and_b32_e32 v161, v61, v5
	v_lshlrev_b32_e32 v5, 24, v60
	v_cmp_gt_i64_e32 vcc, 0, v[4:5]
	v_not_b32_e32 v5, v5
	v_ashrrev_i32_e32 v5, 31, v5
	v_xor_b32_e32 v60, vcc_hi, v5
	v_xor_b32_e32 v5, vcc_lo, v5
	v_and_b32_e32 v61, v160, v60
	v_and_b32_e32 v60, v161, v5
	v_mbcnt_lo_u32_b32 v5, v60, 0
	v_mbcnt_hi_u32_b32 v160, v61, v5
	v_cmp_eq_u32_e32 vcc, 0, v160
	v_cmp_ne_u64_e64 s[36:37], 0, v[60:61]
	s_and_b64 s[38:39], s[36:37], vcc
	; wave barrier
	s_and_saveexec_b64 s[36:37], s[38:39]
	s_cbranch_execz .LBB529_146
; %bb.145:                              ;   in Loop: Header=BB529_106 Depth=2
	v_bcnt_u32_b32 v5, v60, 0
	v_bcnt_u32_b32 v5, v61, v5
	s_waitcnt lgkmcnt(0)
	v_add_u32_e32 v5, v156, v5
	ds_write_b32 v157, v5
.LBB529_146:                            ;   in Loop: Header=BB529_106 Depth=2
	s_or_b64 exec, exec, s[36:37]
	s_waitcnt vmcnt(12)
	v_xor_b32_e32 v159, 0x7fffffff, v159
	v_lshrrev_b32_e32 v5, s93, v159
	v_and_b32_e32 v60, s94, v5
	v_mul_u32_u24_e32 v5, 5, v60
	v_add_lshl_u32 v5, v5, v150, 2
	; wave barrier
	v_add_u32_e32 v162, 0x410, v5
	ds_read_b32 v161, v5 offset:1040
	v_and_b32_e32 v5, 1, v60
	v_add_co_u32_e32 v61, vcc, -1, v5
	v_addc_co_u32_e64 v165, s[36:37], 0, -1, vcc
	v_cmp_ne_u32_e32 vcc, 0, v5
	v_xor_b32_e32 v5, vcc_hi, v165
	v_and_b32_e32 v165, exec_hi, v5
	v_lshlrev_b32_e32 v5, 30, v60
	v_xor_b32_e32 v61, vcc_lo, v61
	v_cmp_gt_i64_e32 vcc, 0, v[4:5]
	v_not_b32_e32 v5, v5
	v_ashrrev_i32_e32 v5, 31, v5
	v_and_b32_e32 v61, exec_lo, v61
	v_xor_b32_e32 v166, vcc_hi, v5
	v_xor_b32_e32 v5, vcc_lo, v5
	v_and_b32_e32 v61, v61, v5
	v_lshlrev_b32_e32 v5, 29, v60
	v_cmp_gt_i64_e32 vcc, 0, v[4:5]
	v_not_b32_e32 v5, v5
	v_ashrrev_i32_e32 v5, 31, v5
	v_and_b32_e32 v165, v165, v166
	v_xor_b32_e32 v166, vcc_hi, v5
	v_xor_b32_e32 v5, vcc_lo, v5
	v_and_b32_e32 v61, v61, v5
	v_lshlrev_b32_e32 v5, 28, v60
	v_cmp_gt_i64_e32 vcc, 0, v[4:5]
	v_not_b32_e32 v5, v5
	v_ashrrev_i32_e32 v5, 31, v5
	v_and_b32_e32 v165, v165, v166
	;; [unrolled: 8-line block ×5, first 2 shown]
	v_xor_b32_e32 v166, vcc_hi, v5
	v_xor_b32_e32 v5, vcc_lo, v5
	v_and_b32_e32 v165, v165, v166
	v_and_b32_e32 v166, v61, v5
	v_lshlrev_b32_e32 v5, 24, v60
	v_cmp_gt_i64_e32 vcc, 0, v[4:5]
	v_not_b32_e32 v5, v5
	v_ashrrev_i32_e32 v5, 31, v5
	v_xor_b32_e32 v60, vcc_hi, v5
	v_xor_b32_e32 v5, vcc_lo, v5
	v_and_b32_e32 v61, v165, v60
	v_and_b32_e32 v60, v166, v5
	v_mbcnt_lo_u32_b32 v5, v60, 0
	v_mbcnt_hi_u32_b32 v165, v61, v5
	v_cmp_eq_u32_e32 vcc, 0, v165
	v_cmp_ne_u64_e64 s[36:37], 0, v[60:61]
	s_and_b64 s[38:39], s[36:37], vcc
	; wave barrier
	s_and_saveexec_b64 s[36:37], s[38:39]
	s_cbranch_execz .LBB529_148
; %bb.147:                              ;   in Loop: Header=BB529_106 Depth=2
	v_bcnt_u32_b32 v5, v60, 0
	v_bcnt_u32_b32 v5, v61, v5
	s_waitcnt lgkmcnt(0)
	v_add_u32_e32 v5, v161, v5
	ds_write_b32 v162, v5
.LBB529_148:                            ;   in Loop: Header=BB529_106 Depth=2
	s_or_b64 exec, exec, s[36:37]
	s_waitcnt vmcnt(11)
	v_xor_b32_e32 v164, 0x7fffffff, v164
	v_lshrrev_b32_e32 v5, s93, v164
	v_and_b32_e32 v60, s94, v5
	v_mul_u32_u24_e32 v5, 5, v60
	v_add_lshl_u32 v5, v5, v150, 2
	; wave barrier
	v_add_u32_e32 v167, 0x410, v5
	ds_read_b32 v166, v5 offset:1040
	v_and_b32_e32 v5, 1, v60
	v_add_co_u32_e32 v61, vcc, -1, v5
	v_addc_co_u32_e64 v170, s[36:37], 0, -1, vcc
	v_cmp_ne_u32_e32 vcc, 0, v5
	v_xor_b32_e32 v5, vcc_hi, v170
	v_and_b32_e32 v170, exec_hi, v5
	v_lshlrev_b32_e32 v5, 30, v60
	v_xor_b32_e32 v61, vcc_lo, v61
	v_cmp_gt_i64_e32 vcc, 0, v[4:5]
	v_not_b32_e32 v5, v5
	v_ashrrev_i32_e32 v5, 31, v5
	v_and_b32_e32 v61, exec_lo, v61
	v_xor_b32_e32 v171, vcc_hi, v5
	v_xor_b32_e32 v5, vcc_lo, v5
	v_and_b32_e32 v61, v61, v5
	v_lshlrev_b32_e32 v5, 29, v60
	v_cmp_gt_i64_e32 vcc, 0, v[4:5]
	v_not_b32_e32 v5, v5
	v_ashrrev_i32_e32 v5, 31, v5
	v_and_b32_e32 v170, v170, v171
	v_xor_b32_e32 v171, vcc_hi, v5
	v_xor_b32_e32 v5, vcc_lo, v5
	v_and_b32_e32 v61, v61, v5
	v_lshlrev_b32_e32 v5, 28, v60
	v_cmp_gt_i64_e32 vcc, 0, v[4:5]
	v_not_b32_e32 v5, v5
	v_ashrrev_i32_e32 v5, 31, v5
	v_and_b32_e32 v170, v170, v171
	;; [unrolled: 8-line block ×5, first 2 shown]
	v_xor_b32_e32 v171, vcc_hi, v5
	v_xor_b32_e32 v5, vcc_lo, v5
	v_and_b32_e32 v170, v170, v171
	v_and_b32_e32 v171, v61, v5
	v_lshlrev_b32_e32 v5, 24, v60
	v_cmp_gt_i64_e32 vcc, 0, v[4:5]
	v_not_b32_e32 v5, v5
	v_ashrrev_i32_e32 v5, 31, v5
	v_xor_b32_e32 v60, vcc_hi, v5
	v_xor_b32_e32 v5, vcc_lo, v5
	v_and_b32_e32 v61, v170, v60
	v_and_b32_e32 v60, v171, v5
	v_mbcnt_lo_u32_b32 v5, v60, 0
	v_mbcnt_hi_u32_b32 v170, v61, v5
	v_cmp_eq_u32_e32 vcc, 0, v170
	v_cmp_ne_u64_e64 s[36:37], 0, v[60:61]
	s_and_b64 s[38:39], s[36:37], vcc
	; wave barrier
	s_and_saveexec_b64 s[36:37], s[38:39]
	s_cbranch_execz .LBB529_150
; %bb.149:                              ;   in Loop: Header=BB529_106 Depth=2
	v_bcnt_u32_b32 v5, v60, 0
	v_bcnt_u32_b32 v5, v61, v5
	s_waitcnt lgkmcnt(0)
	v_add_u32_e32 v5, v166, v5
	ds_write_b32 v167, v5
.LBB529_150:                            ;   in Loop: Header=BB529_106 Depth=2
	s_or_b64 exec, exec, s[36:37]
	s_waitcnt vmcnt(10)
	v_xor_b32_e32 v169, 0x7fffffff, v169
	v_lshrrev_b32_e32 v5, s93, v169
	v_and_b32_e32 v60, s94, v5
	v_mul_u32_u24_e32 v5, 5, v60
	v_add_lshl_u32 v5, v5, v150, 2
	; wave barrier
	v_add_u32_e32 v172, 0x410, v5
	ds_read_b32 v171, v5 offset:1040
	v_and_b32_e32 v5, 1, v60
	v_add_co_u32_e32 v61, vcc, -1, v5
	v_addc_co_u32_e64 v175, s[36:37], 0, -1, vcc
	v_cmp_ne_u32_e32 vcc, 0, v5
	v_xor_b32_e32 v5, vcc_hi, v175
	v_and_b32_e32 v175, exec_hi, v5
	v_lshlrev_b32_e32 v5, 30, v60
	v_xor_b32_e32 v61, vcc_lo, v61
	v_cmp_gt_i64_e32 vcc, 0, v[4:5]
	v_not_b32_e32 v5, v5
	v_ashrrev_i32_e32 v5, 31, v5
	v_and_b32_e32 v61, exec_lo, v61
	v_xor_b32_e32 v176, vcc_hi, v5
	v_xor_b32_e32 v5, vcc_lo, v5
	v_and_b32_e32 v61, v61, v5
	v_lshlrev_b32_e32 v5, 29, v60
	v_cmp_gt_i64_e32 vcc, 0, v[4:5]
	v_not_b32_e32 v5, v5
	v_ashrrev_i32_e32 v5, 31, v5
	v_and_b32_e32 v175, v175, v176
	v_xor_b32_e32 v176, vcc_hi, v5
	v_xor_b32_e32 v5, vcc_lo, v5
	v_and_b32_e32 v61, v61, v5
	v_lshlrev_b32_e32 v5, 28, v60
	v_cmp_gt_i64_e32 vcc, 0, v[4:5]
	v_not_b32_e32 v5, v5
	v_ashrrev_i32_e32 v5, 31, v5
	v_and_b32_e32 v175, v175, v176
	;; [unrolled: 8-line block ×5, first 2 shown]
	v_xor_b32_e32 v176, vcc_hi, v5
	v_xor_b32_e32 v5, vcc_lo, v5
	v_and_b32_e32 v175, v175, v176
	v_and_b32_e32 v176, v61, v5
	v_lshlrev_b32_e32 v5, 24, v60
	v_cmp_gt_i64_e32 vcc, 0, v[4:5]
	v_not_b32_e32 v5, v5
	v_ashrrev_i32_e32 v5, 31, v5
	v_xor_b32_e32 v60, vcc_hi, v5
	v_xor_b32_e32 v5, vcc_lo, v5
	v_and_b32_e32 v61, v175, v60
	v_and_b32_e32 v60, v176, v5
	v_mbcnt_lo_u32_b32 v5, v60, 0
	v_mbcnt_hi_u32_b32 v175, v61, v5
	v_cmp_eq_u32_e32 vcc, 0, v175
	v_cmp_ne_u64_e64 s[36:37], 0, v[60:61]
	s_and_b64 s[38:39], s[36:37], vcc
	; wave barrier
	s_and_saveexec_b64 s[36:37], s[38:39]
	s_cbranch_execz .LBB529_152
; %bb.151:                              ;   in Loop: Header=BB529_106 Depth=2
	v_bcnt_u32_b32 v5, v60, 0
	v_bcnt_u32_b32 v5, v61, v5
	s_waitcnt lgkmcnt(0)
	v_add_u32_e32 v5, v171, v5
	ds_write_b32 v172, v5
.LBB529_152:                            ;   in Loop: Header=BB529_106 Depth=2
	s_or_b64 exec, exec, s[36:37]
	s_waitcnt vmcnt(9)
	v_xor_b32_e32 v174, 0x7fffffff, v174
	v_lshrrev_b32_e32 v5, s93, v174
	v_and_b32_e32 v60, s94, v5
	v_mul_u32_u24_e32 v5, 5, v60
	v_add_lshl_u32 v5, v5, v150, 2
	; wave barrier
	v_add_u32_e32 v178, 0x410, v5
	ds_read_b32 v176, v5 offset:1040
	v_and_b32_e32 v5, 1, v60
	v_add_co_u32_e32 v61, vcc, -1, v5
	v_addc_co_u32_e64 v180, s[36:37], 0, -1, vcc
	v_cmp_ne_u32_e32 vcc, 0, v5
	v_xor_b32_e32 v5, vcc_hi, v180
	v_and_b32_e32 v180, exec_hi, v5
	v_lshlrev_b32_e32 v5, 30, v60
	v_xor_b32_e32 v61, vcc_lo, v61
	v_cmp_gt_i64_e32 vcc, 0, v[4:5]
	v_not_b32_e32 v5, v5
	v_ashrrev_i32_e32 v5, 31, v5
	v_and_b32_e32 v61, exec_lo, v61
	v_xor_b32_e32 v181, vcc_hi, v5
	v_xor_b32_e32 v5, vcc_lo, v5
	v_and_b32_e32 v61, v61, v5
	v_lshlrev_b32_e32 v5, 29, v60
	v_cmp_gt_i64_e32 vcc, 0, v[4:5]
	v_not_b32_e32 v5, v5
	v_ashrrev_i32_e32 v5, 31, v5
	v_and_b32_e32 v180, v180, v181
	v_xor_b32_e32 v181, vcc_hi, v5
	v_xor_b32_e32 v5, vcc_lo, v5
	v_and_b32_e32 v61, v61, v5
	v_lshlrev_b32_e32 v5, 28, v60
	v_cmp_gt_i64_e32 vcc, 0, v[4:5]
	v_not_b32_e32 v5, v5
	v_ashrrev_i32_e32 v5, 31, v5
	v_and_b32_e32 v180, v180, v181
	;; [unrolled: 8-line block ×5, first 2 shown]
	v_xor_b32_e32 v181, vcc_hi, v5
	v_xor_b32_e32 v5, vcc_lo, v5
	v_and_b32_e32 v180, v180, v181
	v_and_b32_e32 v181, v61, v5
	v_lshlrev_b32_e32 v5, 24, v60
	v_cmp_gt_i64_e32 vcc, 0, v[4:5]
	v_not_b32_e32 v5, v5
	v_ashrrev_i32_e32 v5, 31, v5
	v_xor_b32_e32 v60, vcc_hi, v5
	v_xor_b32_e32 v5, vcc_lo, v5
	v_and_b32_e32 v61, v180, v60
	v_and_b32_e32 v60, v181, v5
	v_mbcnt_lo_u32_b32 v5, v60, 0
	v_mbcnt_hi_u32_b32 v180, v61, v5
	v_cmp_eq_u32_e32 vcc, 0, v180
	v_cmp_ne_u64_e64 s[36:37], 0, v[60:61]
	s_and_b64 s[38:39], s[36:37], vcc
	; wave barrier
	s_and_saveexec_b64 s[36:37], s[38:39]
	s_cbranch_execz .LBB529_154
; %bb.153:                              ;   in Loop: Header=BB529_106 Depth=2
	v_bcnt_u32_b32 v5, v60, 0
	v_bcnt_u32_b32 v5, v61, v5
	s_waitcnt lgkmcnt(0)
	v_add_u32_e32 v5, v176, v5
	ds_write_b32 v178, v5
.LBB529_154:                            ;   in Loop: Header=BB529_106 Depth=2
	s_or_b64 exec, exec, s[36:37]
	s_waitcnt vmcnt(8)
	v_xor_b32_e32 v179, 0x7fffffff, v179
	v_lshrrev_b32_e32 v5, s93, v179
	v_and_b32_e32 v60, s94, v5
	v_mul_u32_u24_e32 v5, 5, v60
	v_add_lshl_u32 v5, v5, v150, 2
	; wave barrier
	v_add_u32_e32 v183, 0x410, v5
	ds_read_b32 v181, v5 offset:1040
	v_and_b32_e32 v5, 1, v60
	v_add_co_u32_e32 v61, vcc, -1, v5
	v_addc_co_u32_e64 v185, s[36:37], 0, -1, vcc
	v_cmp_ne_u32_e32 vcc, 0, v5
	v_xor_b32_e32 v5, vcc_hi, v185
	v_and_b32_e32 v185, exec_hi, v5
	v_lshlrev_b32_e32 v5, 30, v60
	v_xor_b32_e32 v61, vcc_lo, v61
	v_cmp_gt_i64_e32 vcc, 0, v[4:5]
	v_not_b32_e32 v5, v5
	v_ashrrev_i32_e32 v5, 31, v5
	v_and_b32_e32 v61, exec_lo, v61
	v_xor_b32_e32 v186, vcc_hi, v5
	v_xor_b32_e32 v5, vcc_lo, v5
	v_and_b32_e32 v61, v61, v5
	v_lshlrev_b32_e32 v5, 29, v60
	v_cmp_gt_i64_e32 vcc, 0, v[4:5]
	v_not_b32_e32 v5, v5
	v_ashrrev_i32_e32 v5, 31, v5
	v_and_b32_e32 v185, v185, v186
	v_xor_b32_e32 v186, vcc_hi, v5
	v_xor_b32_e32 v5, vcc_lo, v5
	v_and_b32_e32 v61, v61, v5
	v_lshlrev_b32_e32 v5, 28, v60
	v_cmp_gt_i64_e32 vcc, 0, v[4:5]
	v_not_b32_e32 v5, v5
	v_ashrrev_i32_e32 v5, 31, v5
	v_and_b32_e32 v185, v185, v186
	v_xor_b32_e32 v186, vcc_hi, v5
	v_xor_b32_e32 v5, vcc_lo, v5
	v_and_b32_e32 v61, v61, v5
	v_lshlrev_b32_e32 v5, 27, v60
	v_cmp_gt_i64_e32 vcc, 0, v[4:5]
	v_not_b32_e32 v5, v5
	v_ashrrev_i32_e32 v5, 31, v5
	v_and_b32_e32 v185, v185, v186
	v_xor_b32_e32 v186, vcc_hi, v5
	v_xor_b32_e32 v5, vcc_lo, v5
	v_and_b32_e32 v61, v61, v5
	v_lshlrev_b32_e32 v5, 26, v60
	v_cmp_gt_i64_e32 vcc, 0, v[4:5]
	v_not_b32_e32 v5, v5
	v_ashrrev_i32_e32 v5, 31, v5
	v_and_b32_e32 v185, v185, v186
	v_xor_b32_e32 v186, vcc_hi, v5
	v_xor_b32_e32 v5, vcc_lo, v5
	v_and_b32_e32 v61, v61, v5
	v_lshlrev_b32_e32 v5, 25, v60
	v_cmp_gt_i64_e32 vcc, 0, v[4:5]
	v_not_b32_e32 v5, v5
	v_ashrrev_i32_e32 v5, 31, v5
	v_and_b32_e32 v185, v185, v186
	v_xor_b32_e32 v186, vcc_hi, v5
	v_xor_b32_e32 v5, vcc_lo, v5
	v_and_b32_e32 v185, v185, v186
	v_and_b32_e32 v186, v61, v5
	v_lshlrev_b32_e32 v5, 24, v60
	v_cmp_gt_i64_e32 vcc, 0, v[4:5]
	v_not_b32_e32 v5, v5
	v_ashrrev_i32_e32 v5, 31, v5
	v_xor_b32_e32 v60, vcc_hi, v5
	v_xor_b32_e32 v5, vcc_lo, v5
	v_and_b32_e32 v61, v185, v60
	v_and_b32_e32 v60, v186, v5
	v_mbcnt_lo_u32_b32 v5, v60, 0
	v_mbcnt_hi_u32_b32 v185, v61, v5
	v_cmp_eq_u32_e32 vcc, 0, v185
	v_cmp_ne_u64_e64 s[36:37], 0, v[60:61]
	s_and_b64 s[38:39], s[36:37], vcc
	; wave barrier
	s_and_saveexec_b64 s[36:37], s[38:39]
	s_cbranch_execz .LBB529_156
; %bb.155:                              ;   in Loop: Header=BB529_106 Depth=2
	v_bcnt_u32_b32 v5, v60, 0
	v_bcnt_u32_b32 v5, v61, v5
	s_waitcnt lgkmcnt(0)
	v_add_u32_e32 v5, v181, v5
	ds_write_b32 v183, v5
.LBB529_156:                            ;   in Loop: Header=BB529_106 Depth=2
	s_or_b64 exec, exec, s[36:37]
	s_waitcnt vmcnt(7)
	v_xor_b32_e32 v184, 0x7fffffff, v184
	v_lshrrev_b32_e32 v5, s93, v184
	v_and_b32_e32 v60, s94, v5
	v_mul_u32_u24_e32 v5, 5, v60
	v_add_lshl_u32 v5, v5, v150, 2
	; wave barrier
	v_add_u32_e32 v187, 0x410, v5
	ds_read_b32 v186, v5 offset:1040
	v_and_b32_e32 v5, 1, v60
	v_add_co_u32_e32 v61, vcc, -1, v5
	v_addc_co_u32_e64 v188, s[36:37], 0, -1, vcc
	v_cmp_ne_u32_e32 vcc, 0, v5
	v_xor_b32_e32 v5, vcc_hi, v188
	v_and_b32_e32 v188, exec_hi, v5
	v_lshlrev_b32_e32 v5, 30, v60
	v_xor_b32_e32 v61, vcc_lo, v61
	v_cmp_gt_i64_e32 vcc, 0, v[4:5]
	v_not_b32_e32 v5, v5
	v_ashrrev_i32_e32 v5, 31, v5
	v_and_b32_e32 v61, exec_lo, v61
	v_xor_b32_e32 v189, vcc_hi, v5
	v_xor_b32_e32 v5, vcc_lo, v5
	v_and_b32_e32 v61, v61, v5
	v_lshlrev_b32_e32 v5, 29, v60
	v_cmp_gt_i64_e32 vcc, 0, v[4:5]
	v_not_b32_e32 v5, v5
	v_ashrrev_i32_e32 v5, 31, v5
	v_and_b32_e32 v188, v188, v189
	v_xor_b32_e32 v189, vcc_hi, v5
	v_xor_b32_e32 v5, vcc_lo, v5
	v_and_b32_e32 v61, v61, v5
	v_lshlrev_b32_e32 v5, 28, v60
	v_cmp_gt_i64_e32 vcc, 0, v[4:5]
	v_not_b32_e32 v5, v5
	v_ashrrev_i32_e32 v5, 31, v5
	v_and_b32_e32 v188, v188, v189
	v_xor_b32_e32 v189, vcc_hi, v5
	v_xor_b32_e32 v5, vcc_lo, v5
	v_and_b32_e32 v61, v61, v5
	v_lshlrev_b32_e32 v5, 27, v60
	v_cmp_gt_i64_e32 vcc, 0, v[4:5]
	v_not_b32_e32 v5, v5
	v_ashrrev_i32_e32 v5, 31, v5
	v_and_b32_e32 v188, v188, v189
	v_xor_b32_e32 v189, vcc_hi, v5
	v_xor_b32_e32 v5, vcc_lo, v5
	v_and_b32_e32 v61, v61, v5
	v_lshlrev_b32_e32 v5, 26, v60
	v_cmp_gt_i64_e32 vcc, 0, v[4:5]
	v_not_b32_e32 v5, v5
	v_ashrrev_i32_e32 v5, 31, v5
	v_and_b32_e32 v188, v188, v189
	v_xor_b32_e32 v189, vcc_hi, v5
	v_xor_b32_e32 v5, vcc_lo, v5
	v_and_b32_e32 v61, v61, v5
	v_lshlrev_b32_e32 v5, 25, v60
	v_cmp_gt_i64_e32 vcc, 0, v[4:5]
	v_not_b32_e32 v5, v5
	v_ashrrev_i32_e32 v5, 31, v5
	v_and_b32_e32 v188, v188, v189
	v_xor_b32_e32 v189, vcc_hi, v5
	v_xor_b32_e32 v5, vcc_lo, v5
	v_and_b32_e32 v188, v188, v189
	v_and_b32_e32 v189, v61, v5
	v_lshlrev_b32_e32 v5, 24, v60
	v_cmp_gt_i64_e32 vcc, 0, v[4:5]
	v_not_b32_e32 v5, v5
	v_ashrrev_i32_e32 v5, 31, v5
	v_xor_b32_e32 v60, vcc_hi, v5
	v_xor_b32_e32 v5, vcc_lo, v5
	v_and_b32_e32 v61, v188, v60
	v_and_b32_e32 v60, v189, v5
	v_mbcnt_lo_u32_b32 v5, v60, 0
	v_mbcnt_hi_u32_b32 v188, v61, v5
	v_cmp_eq_u32_e32 vcc, 0, v188
	v_cmp_ne_u64_e64 s[36:37], 0, v[60:61]
	s_and_b64 s[38:39], s[36:37], vcc
	; wave barrier
	s_and_saveexec_b64 s[36:37], s[38:39]
	s_cbranch_execz .LBB529_158
; %bb.157:                              ;   in Loop: Header=BB529_106 Depth=2
	v_bcnt_u32_b32 v5, v60, 0
	v_bcnt_u32_b32 v5, v61, v5
	s_waitcnt lgkmcnt(0)
	v_add_u32_e32 v5, v186, v5
	ds_write_b32 v187, v5
.LBB529_158:                            ;   in Loop: Header=BB529_106 Depth=2
	s_or_b64 exec, exec, s[36:37]
	s_waitcnt vmcnt(6)
	v_xor_b32_e32 v182, 0x7fffffff, v182
	v_lshrrev_b32_e32 v5, s93, v182
	v_and_b32_e32 v60, s94, v5
	v_mul_u32_u24_e32 v5, 5, v60
	v_add_lshl_u32 v5, v5, v150, 2
	; wave barrier
	v_add_u32_e32 v190, 0x410, v5
	ds_read_b32 v189, v5 offset:1040
	v_and_b32_e32 v5, 1, v60
	v_add_co_u32_e32 v61, vcc, -1, v5
	v_addc_co_u32_e64 v191, s[36:37], 0, -1, vcc
	v_cmp_ne_u32_e32 vcc, 0, v5
	v_xor_b32_e32 v5, vcc_hi, v191
	v_and_b32_e32 v191, exec_hi, v5
	v_lshlrev_b32_e32 v5, 30, v60
	v_xor_b32_e32 v61, vcc_lo, v61
	v_cmp_gt_i64_e32 vcc, 0, v[4:5]
	v_not_b32_e32 v5, v5
	v_ashrrev_i32_e32 v5, 31, v5
	v_and_b32_e32 v61, exec_lo, v61
	v_xor_b32_e32 v192, vcc_hi, v5
	v_xor_b32_e32 v5, vcc_lo, v5
	v_and_b32_e32 v61, v61, v5
	v_lshlrev_b32_e32 v5, 29, v60
	v_cmp_gt_i64_e32 vcc, 0, v[4:5]
	v_not_b32_e32 v5, v5
	v_ashrrev_i32_e32 v5, 31, v5
	v_and_b32_e32 v191, v191, v192
	v_xor_b32_e32 v192, vcc_hi, v5
	v_xor_b32_e32 v5, vcc_lo, v5
	v_and_b32_e32 v61, v61, v5
	v_lshlrev_b32_e32 v5, 28, v60
	v_cmp_gt_i64_e32 vcc, 0, v[4:5]
	v_not_b32_e32 v5, v5
	v_ashrrev_i32_e32 v5, 31, v5
	v_and_b32_e32 v191, v191, v192
	;; [unrolled: 8-line block ×5, first 2 shown]
	v_xor_b32_e32 v192, vcc_hi, v5
	v_xor_b32_e32 v5, vcc_lo, v5
	v_and_b32_e32 v191, v191, v192
	v_and_b32_e32 v192, v61, v5
	v_lshlrev_b32_e32 v5, 24, v60
	v_cmp_gt_i64_e32 vcc, 0, v[4:5]
	v_not_b32_e32 v5, v5
	v_ashrrev_i32_e32 v5, 31, v5
	v_xor_b32_e32 v60, vcc_hi, v5
	v_xor_b32_e32 v5, vcc_lo, v5
	v_and_b32_e32 v61, v191, v60
	v_and_b32_e32 v60, v192, v5
	v_mbcnt_lo_u32_b32 v5, v60, 0
	v_mbcnt_hi_u32_b32 v191, v61, v5
	v_cmp_eq_u32_e32 vcc, 0, v191
	v_cmp_ne_u64_e64 s[36:37], 0, v[60:61]
	s_and_b64 s[38:39], s[36:37], vcc
	; wave barrier
	s_and_saveexec_b64 s[36:37], s[38:39]
	s_cbranch_execz .LBB529_160
; %bb.159:                              ;   in Loop: Header=BB529_106 Depth=2
	v_bcnt_u32_b32 v5, v60, 0
	v_bcnt_u32_b32 v5, v61, v5
	s_waitcnt lgkmcnt(0)
	v_add_u32_e32 v5, v189, v5
	ds_write_b32 v190, v5
.LBB529_160:                            ;   in Loop: Header=BB529_106 Depth=2
	s_or_b64 exec, exec, s[36:37]
	s_waitcnt vmcnt(5)
	v_xor_b32_e32 v177, 0x7fffffff, v177
	v_lshrrev_b32_e32 v5, s93, v177
	v_and_b32_e32 v60, s94, v5
	v_mul_u32_u24_e32 v5, 5, v60
	v_add_lshl_u32 v5, v5, v150, 2
	; wave barrier
	v_add_u32_e32 v193, 0x410, v5
	ds_read_b32 v192, v5 offset:1040
	v_and_b32_e32 v5, 1, v60
	v_add_co_u32_e32 v61, vcc, -1, v5
	v_addc_co_u32_e64 v194, s[36:37], 0, -1, vcc
	v_cmp_ne_u32_e32 vcc, 0, v5
	v_xor_b32_e32 v5, vcc_hi, v194
	v_and_b32_e32 v194, exec_hi, v5
	v_lshlrev_b32_e32 v5, 30, v60
	v_xor_b32_e32 v61, vcc_lo, v61
	v_cmp_gt_i64_e32 vcc, 0, v[4:5]
	v_not_b32_e32 v5, v5
	v_ashrrev_i32_e32 v5, 31, v5
	v_and_b32_e32 v61, exec_lo, v61
	v_xor_b32_e32 v195, vcc_hi, v5
	v_xor_b32_e32 v5, vcc_lo, v5
	v_and_b32_e32 v61, v61, v5
	v_lshlrev_b32_e32 v5, 29, v60
	v_cmp_gt_i64_e32 vcc, 0, v[4:5]
	v_not_b32_e32 v5, v5
	v_ashrrev_i32_e32 v5, 31, v5
	v_and_b32_e32 v194, v194, v195
	v_xor_b32_e32 v195, vcc_hi, v5
	v_xor_b32_e32 v5, vcc_lo, v5
	v_and_b32_e32 v61, v61, v5
	v_lshlrev_b32_e32 v5, 28, v60
	v_cmp_gt_i64_e32 vcc, 0, v[4:5]
	v_not_b32_e32 v5, v5
	v_ashrrev_i32_e32 v5, 31, v5
	v_and_b32_e32 v194, v194, v195
	;; [unrolled: 8-line block ×5, first 2 shown]
	v_xor_b32_e32 v195, vcc_hi, v5
	v_xor_b32_e32 v5, vcc_lo, v5
	v_and_b32_e32 v194, v194, v195
	v_and_b32_e32 v195, v61, v5
	v_lshlrev_b32_e32 v5, 24, v60
	v_cmp_gt_i64_e32 vcc, 0, v[4:5]
	v_not_b32_e32 v5, v5
	v_ashrrev_i32_e32 v5, 31, v5
	v_xor_b32_e32 v60, vcc_hi, v5
	v_xor_b32_e32 v5, vcc_lo, v5
	v_and_b32_e32 v61, v194, v60
	v_and_b32_e32 v60, v195, v5
	v_mbcnt_lo_u32_b32 v5, v60, 0
	v_mbcnt_hi_u32_b32 v194, v61, v5
	v_cmp_eq_u32_e32 vcc, 0, v194
	v_cmp_ne_u64_e64 s[36:37], 0, v[60:61]
	s_and_b64 s[38:39], s[36:37], vcc
	; wave barrier
	s_and_saveexec_b64 s[36:37], s[38:39]
	s_cbranch_execz .LBB529_162
; %bb.161:                              ;   in Loop: Header=BB529_106 Depth=2
	v_bcnt_u32_b32 v5, v60, 0
	v_bcnt_u32_b32 v5, v61, v5
	s_waitcnt lgkmcnt(0)
	v_add_u32_e32 v5, v192, v5
	ds_write_b32 v193, v5
.LBB529_162:                            ;   in Loop: Header=BB529_106 Depth=2
	s_or_b64 exec, exec, s[36:37]
	s_waitcnt vmcnt(4)
	v_xor_b32_e32 v173, 0x7fffffff, v173
	v_lshrrev_b32_e32 v5, s93, v173
	v_and_b32_e32 v60, s94, v5
	v_mul_u32_u24_e32 v5, 5, v60
	v_add_lshl_u32 v5, v5, v150, 2
	; wave barrier
	v_add_u32_e32 v196, 0x410, v5
	ds_read_b32 v195, v5 offset:1040
	v_and_b32_e32 v5, 1, v60
	v_add_co_u32_e32 v61, vcc, -1, v5
	v_addc_co_u32_e64 v197, s[36:37], 0, -1, vcc
	v_cmp_ne_u32_e32 vcc, 0, v5
	v_xor_b32_e32 v5, vcc_hi, v197
	v_and_b32_e32 v197, exec_hi, v5
	v_lshlrev_b32_e32 v5, 30, v60
	v_xor_b32_e32 v61, vcc_lo, v61
	v_cmp_gt_i64_e32 vcc, 0, v[4:5]
	v_not_b32_e32 v5, v5
	v_ashrrev_i32_e32 v5, 31, v5
	v_and_b32_e32 v61, exec_lo, v61
	v_xor_b32_e32 v198, vcc_hi, v5
	v_xor_b32_e32 v5, vcc_lo, v5
	v_and_b32_e32 v61, v61, v5
	v_lshlrev_b32_e32 v5, 29, v60
	v_cmp_gt_i64_e32 vcc, 0, v[4:5]
	v_not_b32_e32 v5, v5
	v_ashrrev_i32_e32 v5, 31, v5
	v_and_b32_e32 v197, v197, v198
	v_xor_b32_e32 v198, vcc_hi, v5
	v_xor_b32_e32 v5, vcc_lo, v5
	v_and_b32_e32 v61, v61, v5
	v_lshlrev_b32_e32 v5, 28, v60
	v_cmp_gt_i64_e32 vcc, 0, v[4:5]
	v_not_b32_e32 v5, v5
	v_ashrrev_i32_e32 v5, 31, v5
	v_and_b32_e32 v197, v197, v198
	;; [unrolled: 8-line block ×5, first 2 shown]
	v_xor_b32_e32 v198, vcc_hi, v5
	v_xor_b32_e32 v5, vcc_lo, v5
	v_and_b32_e32 v197, v197, v198
	v_and_b32_e32 v198, v61, v5
	v_lshlrev_b32_e32 v5, 24, v60
	v_cmp_gt_i64_e32 vcc, 0, v[4:5]
	v_not_b32_e32 v5, v5
	v_ashrrev_i32_e32 v5, 31, v5
	v_xor_b32_e32 v60, vcc_hi, v5
	v_xor_b32_e32 v5, vcc_lo, v5
	v_and_b32_e32 v61, v197, v60
	v_and_b32_e32 v60, v198, v5
	v_mbcnt_lo_u32_b32 v5, v60, 0
	v_mbcnt_hi_u32_b32 v198, v61, v5
	v_cmp_eq_u32_e32 vcc, 0, v198
	v_cmp_ne_u64_e64 s[36:37], 0, v[60:61]
	s_and_b64 s[38:39], s[36:37], vcc
	; wave barrier
	s_and_saveexec_b64 s[36:37], s[38:39]
	s_cbranch_execz .LBB529_164
; %bb.163:                              ;   in Loop: Header=BB529_106 Depth=2
	v_bcnt_u32_b32 v5, v60, 0
	v_bcnt_u32_b32 v5, v61, v5
	s_waitcnt lgkmcnt(0)
	v_add_u32_e32 v5, v195, v5
	ds_write_b32 v196, v5
.LBB529_164:                            ;   in Loop: Header=BB529_106 Depth=2
	s_or_b64 exec, exec, s[36:37]
	s_waitcnt vmcnt(3)
	v_xor_b32_e32 v197, 0x7fffffff, v168
	v_lshrrev_b32_e32 v5, s93, v197
	v_and_b32_e32 v60, s94, v5
	v_mul_u32_u24_e32 v5, 5, v60
	v_add_lshl_u32 v5, v5, v150, 2
	; wave barrier
	v_add_u32_e32 v168, 0x410, v5
	ds_read_b32 v199, v5 offset:1040
	v_and_b32_e32 v5, 1, v60
	v_add_co_u32_e32 v61, vcc, -1, v5
	v_addc_co_u32_e64 v200, s[36:37], 0, -1, vcc
	v_cmp_ne_u32_e32 vcc, 0, v5
	v_xor_b32_e32 v5, vcc_hi, v200
	v_and_b32_e32 v200, exec_hi, v5
	v_lshlrev_b32_e32 v5, 30, v60
	v_xor_b32_e32 v61, vcc_lo, v61
	v_cmp_gt_i64_e32 vcc, 0, v[4:5]
	v_not_b32_e32 v5, v5
	v_ashrrev_i32_e32 v5, 31, v5
	v_and_b32_e32 v61, exec_lo, v61
	v_xor_b32_e32 v201, vcc_hi, v5
	v_xor_b32_e32 v5, vcc_lo, v5
	v_and_b32_e32 v61, v61, v5
	v_lshlrev_b32_e32 v5, 29, v60
	v_cmp_gt_i64_e32 vcc, 0, v[4:5]
	v_not_b32_e32 v5, v5
	v_ashrrev_i32_e32 v5, 31, v5
	v_and_b32_e32 v200, v200, v201
	v_xor_b32_e32 v201, vcc_hi, v5
	v_xor_b32_e32 v5, vcc_lo, v5
	v_and_b32_e32 v61, v61, v5
	v_lshlrev_b32_e32 v5, 28, v60
	v_cmp_gt_i64_e32 vcc, 0, v[4:5]
	v_not_b32_e32 v5, v5
	v_ashrrev_i32_e32 v5, 31, v5
	v_and_b32_e32 v200, v200, v201
	;; [unrolled: 8-line block ×5, first 2 shown]
	v_xor_b32_e32 v201, vcc_hi, v5
	v_xor_b32_e32 v5, vcc_lo, v5
	v_and_b32_e32 v200, v200, v201
	v_and_b32_e32 v201, v61, v5
	v_lshlrev_b32_e32 v5, 24, v60
	v_cmp_gt_i64_e32 vcc, 0, v[4:5]
	v_not_b32_e32 v5, v5
	v_ashrrev_i32_e32 v5, 31, v5
	v_xor_b32_e32 v60, vcc_hi, v5
	v_xor_b32_e32 v5, vcc_lo, v5
	v_and_b32_e32 v61, v200, v60
	v_and_b32_e32 v60, v201, v5
	v_mbcnt_lo_u32_b32 v5, v60, 0
	v_mbcnt_hi_u32_b32 v201, v61, v5
	v_cmp_eq_u32_e32 vcc, 0, v201
	v_cmp_ne_u64_e64 s[36:37], 0, v[60:61]
	s_and_b64 s[38:39], s[36:37], vcc
	; wave barrier
	s_and_saveexec_b64 s[36:37], s[38:39]
	s_cbranch_execz .LBB529_166
; %bb.165:                              ;   in Loop: Header=BB529_106 Depth=2
	v_bcnt_u32_b32 v5, v60, 0
	v_bcnt_u32_b32 v5, v61, v5
	s_waitcnt lgkmcnt(0)
	v_add_u32_e32 v5, v199, v5
	ds_write_b32 v168, v5
.LBB529_166:                            ;   in Loop: Header=BB529_106 Depth=2
	s_or_b64 exec, exec, s[36:37]
	s_waitcnt vmcnt(2)
	v_xor_b32_e32 v200, 0x7fffffff, v163
	v_lshrrev_b32_e32 v5, s93, v200
	v_and_b32_e32 v60, s94, v5
	v_mul_u32_u24_e32 v5, 5, v60
	v_add_lshl_u32 v5, v5, v150, 2
	; wave barrier
	v_add_u32_e32 v163, 0x410, v5
	ds_read_b32 v202, v5 offset:1040
	v_and_b32_e32 v5, 1, v60
	v_add_co_u32_e32 v61, vcc, -1, v5
	v_addc_co_u32_e64 v203, s[36:37], 0, -1, vcc
	v_cmp_ne_u32_e32 vcc, 0, v5
	v_xor_b32_e32 v5, vcc_hi, v203
	v_and_b32_e32 v203, exec_hi, v5
	v_lshlrev_b32_e32 v5, 30, v60
	v_xor_b32_e32 v61, vcc_lo, v61
	v_cmp_gt_i64_e32 vcc, 0, v[4:5]
	v_not_b32_e32 v5, v5
	v_ashrrev_i32_e32 v5, 31, v5
	v_and_b32_e32 v61, exec_lo, v61
	v_xor_b32_e32 v204, vcc_hi, v5
	v_xor_b32_e32 v5, vcc_lo, v5
	v_and_b32_e32 v61, v61, v5
	v_lshlrev_b32_e32 v5, 29, v60
	v_cmp_gt_i64_e32 vcc, 0, v[4:5]
	v_not_b32_e32 v5, v5
	v_ashrrev_i32_e32 v5, 31, v5
	v_and_b32_e32 v203, v203, v204
	v_xor_b32_e32 v204, vcc_hi, v5
	v_xor_b32_e32 v5, vcc_lo, v5
	v_and_b32_e32 v61, v61, v5
	v_lshlrev_b32_e32 v5, 28, v60
	v_cmp_gt_i64_e32 vcc, 0, v[4:5]
	v_not_b32_e32 v5, v5
	v_ashrrev_i32_e32 v5, 31, v5
	v_and_b32_e32 v203, v203, v204
	;; [unrolled: 8-line block ×5, first 2 shown]
	v_xor_b32_e32 v204, vcc_hi, v5
	v_xor_b32_e32 v5, vcc_lo, v5
	v_and_b32_e32 v203, v203, v204
	v_and_b32_e32 v204, v61, v5
	v_lshlrev_b32_e32 v5, 24, v60
	v_cmp_gt_i64_e32 vcc, 0, v[4:5]
	v_not_b32_e32 v5, v5
	v_ashrrev_i32_e32 v5, 31, v5
	v_xor_b32_e32 v60, vcc_hi, v5
	v_xor_b32_e32 v5, vcc_lo, v5
	v_and_b32_e32 v61, v203, v60
	v_and_b32_e32 v60, v204, v5
	v_mbcnt_lo_u32_b32 v5, v60, 0
	v_mbcnt_hi_u32_b32 v204, v61, v5
	v_cmp_eq_u32_e32 vcc, 0, v204
	v_cmp_ne_u64_e64 s[36:37], 0, v[60:61]
	s_and_b64 s[38:39], s[36:37], vcc
	; wave barrier
	s_and_saveexec_b64 s[36:37], s[38:39]
	s_cbranch_execz .LBB529_168
; %bb.167:                              ;   in Loop: Header=BB529_106 Depth=2
	v_bcnt_u32_b32 v5, v60, 0
	v_bcnt_u32_b32 v5, v61, v5
	s_waitcnt lgkmcnt(0)
	v_add_u32_e32 v5, v202, v5
	ds_write_b32 v163, v5
.LBB529_168:                            ;   in Loop: Header=BB529_106 Depth=2
	s_or_b64 exec, exec, s[36:37]
	s_waitcnt vmcnt(1)
	v_xor_b32_e32 v203, 0x7fffffff, v158
	v_lshrrev_b32_e32 v5, s93, v203
	v_and_b32_e32 v60, s94, v5
	v_mul_u32_u24_e32 v5, 5, v60
	v_add_lshl_u32 v5, v5, v150, 2
	; wave barrier
	v_add_u32_e32 v158, 0x410, v5
	ds_read_b32 v205, v5 offset:1040
	v_and_b32_e32 v5, 1, v60
	v_add_co_u32_e32 v61, vcc, -1, v5
	v_addc_co_u32_e64 v206, s[36:37], 0, -1, vcc
	v_cmp_ne_u32_e32 vcc, 0, v5
	v_xor_b32_e32 v5, vcc_hi, v206
	v_and_b32_e32 v206, exec_hi, v5
	v_lshlrev_b32_e32 v5, 30, v60
	v_xor_b32_e32 v61, vcc_lo, v61
	v_cmp_gt_i64_e32 vcc, 0, v[4:5]
	v_not_b32_e32 v5, v5
	v_ashrrev_i32_e32 v5, 31, v5
	v_and_b32_e32 v61, exec_lo, v61
	v_xor_b32_e32 v207, vcc_hi, v5
	v_xor_b32_e32 v5, vcc_lo, v5
	v_and_b32_e32 v61, v61, v5
	v_lshlrev_b32_e32 v5, 29, v60
	v_cmp_gt_i64_e32 vcc, 0, v[4:5]
	v_not_b32_e32 v5, v5
	v_ashrrev_i32_e32 v5, 31, v5
	v_and_b32_e32 v206, v206, v207
	v_xor_b32_e32 v207, vcc_hi, v5
	v_xor_b32_e32 v5, vcc_lo, v5
	v_and_b32_e32 v61, v61, v5
	v_lshlrev_b32_e32 v5, 28, v60
	v_cmp_gt_i64_e32 vcc, 0, v[4:5]
	v_not_b32_e32 v5, v5
	v_ashrrev_i32_e32 v5, 31, v5
	v_and_b32_e32 v206, v206, v207
	;; [unrolled: 8-line block ×5, first 2 shown]
	v_xor_b32_e32 v207, vcc_hi, v5
	v_xor_b32_e32 v5, vcc_lo, v5
	v_and_b32_e32 v206, v206, v207
	v_and_b32_e32 v207, v61, v5
	v_lshlrev_b32_e32 v5, 24, v60
	v_cmp_gt_i64_e32 vcc, 0, v[4:5]
	v_not_b32_e32 v5, v5
	v_ashrrev_i32_e32 v5, 31, v5
	v_xor_b32_e32 v60, vcc_hi, v5
	v_xor_b32_e32 v5, vcc_lo, v5
	v_and_b32_e32 v61, v206, v60
	v_and_b32_e32 v60, v207, v5
	v_mbcnt_lo_u32_b32 v5, v60, 0
	v_mbcnt_hi_u32_b32 v207, v61, v5
	v_cmp_eq_u32_e32 vcc, 0, v207
	v_cmp_ne_u64_e64 s[36:37], 0, v[60:61]
	s_and_b64 s[38:39], s[36:37], vcc
	; wave barrier
	s_and_saveexec_b64 s[36:37], s[38:39]
	s_cbranch_execz .LBB529_170
; %bb.169:                              ;   in Loop: Header=BB529_106 Depth=2
	v_bcnt_u32_b32 v5, v60, 0
	v_bcnt_u32_b32 v5, v61, v5
	s_waitcnt lgkmcnt(0)
	v_add_u32_e32 v5, v205, v5
	ds_write_b32 v158, v5
.LBB529_170:                            ;   in Loop: Header=BB529_106 Depth=2
	s_or_b64 exec, exec, s[36:37]
	s_waitcnt vmcnt(0)
	v_xor_b32_e32 v206, 0x7fffffff, v62
	v_lshrrev_b32_e32 v5, s93, v206
	v_and_b32_e32 v60, s94, v5
	v_mul_u32_u24_e32 v5, 5, v60
	v_add_lshl_u32 v5, v5, v150, 2
	; wave barrier
	v_add_u32_e32 v209, 0x410, v5
	ds_read_b32 v208, v5 offset:1040
	v_and_b32_e32 v5, 1, v60
	v_add_co_u32_e32 v61, vcc, -1, v5
	v_addc_co_u32_e64 v62, s[36:37], 0, -1, vcc
	v_cmp_ne_u32_e32 vcc, 0, v5
	v_xor_b32_e32 v5, vcc_hi, v62
	v_and_b32_e32 v62, exec_hi, v5
	v_lshlrev_b32_e32 v5, 30, v60
	v_xor_b32_e32 v61, vcc_lo, v61
	v_cmp_gt_i64_e32 vcc, 0, v[4:5]
	v_not_b32_e32 v5, v5
	v_ashrrev_i32_e32 v5, 31, v5
	v_and_b32_e32 v61, exec_lo, v61
	v_xor_b32_e32 v210, vcc_hi, v5
	v_xor_b32_e32 v5, vcc_lo, v5
	v_and_b32_e32 v61, v61, v5
	v_lshlrev_b32_e32 v5, 29, v60
	v_cmp_gt_i64_e32 vcc, 0, v[4:5]
	v_not_b32_e32 v5, v5
	v_ashrrev_i32_e32 v5, 31, v5
	v_and_b32_e32 v62, v62, v210
	v_xor_b32_e32 v210, vcc_hi, v5
	v_xor_b32_e32 v5, vcc_lo, v5
	v_and_b32_e32 v61, v61, v5
	v_lshlrev_b32_e32 v5, 28, v60
	v_cmp_gt_i64_e32 vcc, 0, v[4:5]
	v_not_b32_e32 v5, v5
	v_ashrrev_i32_e32 v5, 31, v5
	v_and_b32_e32 v62, v62, v210
	;; [unrolled: 8-line block ×5, first 2 shown]
	v_xor_b32_e32 v210, vcc_hi, v5
	v_xor_b32_e32 v5, vcc_lo, v5
	v_and_b32_e32 v62, v62, v210
	v_and_b32_e32 v210, v61, v5
	v_lshlrev_b32_e32 v5, 24, v60
	v_cmp_gt_i64_e32 vcc, 0, v[4:5]
	v_not_b32_e32 v5, v5
	v_ashrrev_i32_e32 v5, 31, v5
	v_xor_b32_e32 v60, vcc_hi, v5
	v_xor_b32_e32 v5, vcc_lo, v5
	v_and_b32_e32 v61, v62, v60
	v_and_b32_e32 v60, v210, v5
	v_mbcnt_lo_u32_b32 v5, v60, 0
	v_mbcnt_hi_u32_b32 v211, v61, v5
	v_cmp_eq_u32_e32 vcc, 0, v211
	v_cmp_ne_u64_e64 s[36:37], 0, v[60:61]
	s_and_b64 s[38:39], s[36:37], vcc
	; wave barrier
	s_and_saveexec_b64 s[36:37], s[38:39]
	s_cbranch_execz .LBB529_172
; %bb.171:                              ;   in Loop: Header=BB529_106 Depth=2
	v_bcnt_u32_b32 v5, v60, 0
	v_bcnt_u32_b32 v5, v61, v5
	s_waitcnt lgkmcnt(0)
	v_add_u32_e32 v5, v208, v5
	ds_write_b32 v209, v5
.LBB529_172:                            ;   in Loop: Header=BB529_106 Depth=2
	s_or_b64 exec, exec, s[36:37]
	v_xor_b32_e32 v210, 0x7fffffff, v63
	v_lshrrev_b32_e32 v5, s93, v210
	v_and_b32_e32 v60, s94, v5
	v_mul_u32_u24_e32 v5, 5, v60
	v_add_lshl_u32 v5, v5, v150, 2
	; wave barrier
	v_add_u32_e32 v213, 0x410, v5
	ds_read_b32 v212, v5 offset:1040
	v_and_b32_e32 v5, 1, v60
	v_add_co_u32_e32 v61, vcc, -1, v5
	v_addc_co_u32_e64 v62, s[36:37], 0, -1, vcc
	v_cmp_ne_u32_e32 vcc, 0, v5
	v_xor_b32_e32 v5, vcc_hi, v62
	v_and_b32_e32 v62, exec_hi, v5
	v_lshlrev_b32_e32 v5, 30, v60
	v_xor_b32_e32 v61, vcc_lo, v61
	v_cmp_gt_i64_e32 vcc, 0, v[4:5]
	v_not_b32_e32 v5, v5
	v_ashrrev_i32_e32 v5, 31, v5
	v_and_b32_e32 v61, exec_lo, v61
	v_xor_b32_e32 v63, vcc_hi, v5
	v_xor_b32_e32 v5, vcc_lo, v5
	v_and_b32_e32 v61, v61, v5
	v_lshlrev_b32_e32 v5, 29, v60
	v_cmp_gt_i64_e32 vcc, 0, v[4:5]
	v_not_b32_e32 v5, v5
	v_ashrrev_i32_e32 v5, 31, v5
	v_and_b32_e32 v62, v62, v63
	v_xor_b32_e32 v63, vcc_hi, v5
	v_xor_b32_e32 v5, vcc_lo, v5
	v_and_b32_e32 v61, v61, v5
	v_lshlrev_b32_e32 v5, 28, v60
	v_cmp_gt_i64_e32 vcc, 0, v[4:5]
	v_not_b32_e32 v5, v5
	v_ashrrev_i32_e32 v5, 31, v5
	v_and_b32_e32 v62, v62, v63
	;; [unrolled: 8-line block ×5, first 2 shown]
	v_xor_b32_e32 v63, vcc_hi, v5
	v_xor_b32_e32 v5, vcc_lo, v5
	v_and_b32_e32 v62, v62, v63
	v_and_b32_e32 v63, v61, v5
	v_lshlrev_b32_e32 v5, 24, v60
	v_cmp_gt_i64_e32 vcc, 0, v[4:5]
	v_not_b32_e32 v5, v5
	v_ashrrev_i32_e32 v5, 31, v5
	v_xor_b32_e32 v60, vcc_hi, v5
	v_xor_b32_e32 v5, vcc_lo, v5
	v_and_b32_e32 v61, v62, v60
	v_and_b32_e32 v60, v63, v5
	v_mbcnt_lo_u32_b32 v5, v60, 0
	v_mbcnt_hi_u32_b32 v214, v61, v5
	v_cmp_eq_u32_e32 vcc, 0, v214
	v_cmp_ne_u64_e64 s[36:37], 0, v[60:61]
	s_and_b64 s[38:39], s[36:37], vcc
	; wave barrier
	s_and_saveexec_b64 s[36:37], s[38:39]
	s_cbranch_execz .LBB529_174
; %bb.173:                              ;   in Loop: Header=BB529_106 Depth=2
	v_bcnt_u32_b32 v5, v60, 0
	v_bcnt_u32_b32 v5, v61, v5
	s_waitcnt lgkmcnt(0)
	v_add_u32_e32 v5, v212, v5
	ds_write_b32 v213, v5
.LBB529_174:                            ;   in Loop: Header=BB529_106 Depth=2
	s_or_b64 exec, exec, s[36:37]
	; wave barrier
	s_waitcnt lgkmcnt(0)
	s_barrier
	ds_read_b32 v5, v64 offset:1040
	ds_read2_b32 v[62:63], v66 offset0:1 offset1:2
	ds_read2_b32 v[60:61], v66 offset0:3 offset1:4
	s_waitcnt lgkmcnt(1)
	v_add3_u32 v215, v62, v5, v63
	s_waitcnt lgkmcnt(0)
	v_add3_u32 v61, v215, v60, v61
	s_nop 1
	v_mov_b32_dpp v215, v61 row_shr:1 row_mask:0xf bank_mask:0xf
	v_cndmask_b32_e64 v215, v215, 0, s[16:17]
	v_add_u32_e32 v61, v215, v61
	s_nop 1
	v_mov_b32_dpp v215, v61 row_shr:2 row_mask:0xf bank_mask:0xf
	v_cndmask_b32_e64 v215, 0, v215, s[18:19]
	v_add_u32_e32 v61, v61, v215
	;; [unrolled: 4-line block ×4, first 2 shown]
	s_nop 1
	v_mov_b32_dpp v215, v61 row_bcast:15 row_mask:0xf bank_mask:0xf
	v_cndmask_b32_e64 v215, v215, 0, s[24:25]
	v_add_u32_e32 v61, v61, v215
	s_nop 1
	v_mov_b32_dpp v215, v61 row_bcast:31 row_mask:0xf bank_mask:0xf
	v_cndmask_b32_e64 v215, 0, v215, s[26:27]
	v_add_u32_e32 v61, v61, v215
	s_and_saveexec_b64 s[36:37], s[6:7]
	s_cbranch_execz .LBB529_176
; %bb.175:                              ;   in Loop: Header=BB529_106 Depth=2
	ds_write_b32 v19, v61 offset:1024
.LBB529_176:                            ;   in Loop: Header=BB529_106 Depth=2
	s_or_b64 exec, exec, s[36:37]
	s_waitcnt lgkmcnt(0)
	s_barrier
	s_and_saveexec_b64 s[36:37], s[8:9]
	s_cbranch_execz .LBB529_178
; %bb.177:                              ;   in Loop: Header=BB529_106 Depth=2
	v_add_u32_e32 v215, v64, v67
	ds_read_b32 v216, v215 offset:1024
	s_waitcnt lgkmcnt(0)
	s_nop 0
	v_mov_b32_dpp v217, v216 row_shr:1 row_mask:0xf bank_mask:0xf
	v_cndmask_b32_e64 v217, v217, 0, s[30:31]
	v_add_u32_e32 v216, v217, v216
	s_nop 1
	v_mov_b32_dpp v217, v216 row_shr:2 row_mask:0xf bank_mask:0xf
	v_cndmask_b32_e64 v217, 0, v217, s[34:35]
	v_add_u32_e32 v216, v216, v217
	ds_write_b32 v215, v216 offset:1024
.LBB529_178:                            ;   in Loop: Header=BB529_106 Depth=2
	s_or_b64 exec, exec, s[36:37]
	v_mov_b32_e32 v215, 0
	s_waitcnt lgkmcnt(0)
	s_barrier
	s_and_saveexec_b64 s[36:37], s[10:11]
	s_cbranch_execz .LBB529_180
; %bb.179:                              ;   in Loop: Header=BB529_106 Depth=2
	ds_read_b32 v215, v19 offset:1020
.LBB529_180:                            ;   in Loop: Header=BB529_106 Depth=2
	s_or_b64 exec, exec, s[36:37]
	s_waitcnt lgkmcnt(0)
	v_add_u32_e32 v61, v215, v61
	ds_bpermute_b32 v61, v127, v61
	s_waitcnt lgkmcnt(0)
	v_cndmask_b32_e64 v61, v61, v215, s[28:29]
	v_cndmask_b32_e64 v61, v61, 0, s[12:13]
	v_add_u32_e32 v5, v61, v5
	ds_write_b32 v64, v61 offset:1040
	v_add_u32_e32 v61, v5, v62
	v_add_u32_e32 v62, v61, v63
	ds_write2_b32 v66, v5, v61 offset0:1 offset1:2
	v_add_u32_e32 v5, v62, v60
	ds_write2_b32 v66, v62, v5 offset0:3 offset1:4
	s_waitcnt lgkmcnt(0)
	s_barrier
	ds_read_b32 v60, v157
	ds_read_b32 v61, v162
	;; [unrolled: 1-line block ×16, first 2 shown]
	ds_read_b32 v158, v64 offset:1040
	v_mov_b32_e32 v5, 0x1000
	s_and_saveexec_b64 s[36:37], s[14:15]
	s_cbranch_execz .LBB529_182
; %bb.181:                              ;   in Loop: Header=BB529_106 Depth=2
	ds_read_b32 v5, v64 offset:1060
.LBB529_182:                            ;   in Loop: Header=BB529_106 Depth=2
	s_or_b64 exec, exec, s[36:37]
	s_waitcnt lgkmcnt(0)
	s_barrier
	s_and_saveexec_b64 s[36:37], s[4:5]
	s_cbranch_execz .LBB529_184
; %bb.183:                              ;   in Loop: Header=BB529_106 Depth=2
	ds_read_b32 v163, v3
	s_waitcnt lgkmcnt(0)
	v_sub_u32_e32 v158, v163, v158
	ds_write_b32 v3, v158
.LBB529_184:                            ;   in Loop: Header=BB529_106 Depth=2
	s_or_b64 exec, exec, s[36:37]
	v_add_u32_e32 v172, v153, v155
	v_add3_u32 v168, v160, v156, v60
	v_lshlrev_b32_e32 v60, 2, v172
	v_add3_u32 v167, v165, v161, v61
	ds_write_b32 v60, v152 offset:1024
	v_lshlrev_b32_e32 v60, 2, v168
	v_add3_u32 v166, v170, v166, v62
	ds_write_b32 v60, v154 offset:1024
	;; [unrolled: 3-line block ×14, first 2 shown]
	v_lshlrev_b32_e32 v60, 2, v63
	ds_write_b32 v60, v206 offset:1024
	v_lshlrev_b32_e32 v60, 2, v62
	v_cmp_lt_u32_e64 s[36:37], v2, v151
	ds_write_b32 v60, v210 offset:1024
	s_waitcnt lgkmcnt(0)
	s_barrier
	s_and_saveexec_b64 s[38:39], s[36:37]
	s_cbranch_execz .LBB529_200
; %bb.185:                              ;   in Loop: Header=BB529_106 Depth=2
	v_add_u32_e32 v60, v64, v67
	ds_read_b32 v60, v60 offset:1024
	v_mov_b32_e32 v154, s75
	s_waitcnt lgkmcnt(0)
	v_lshrrev_b32_e32 v61, s93, v60
	v_and_b32_e32 v61, s94, v61
	v_lshlrev_b32_e32 v61, 2, v61
	ds_read_b32 v152, v61
	v_mov_b32_e32 v61, v4
	v_xor_b32_e32 v159, 0x7fffffff, v60
	s_waitcnt lgkmcnt(0)
	v_add_u32_e32 v60, v152, v2
	v_lshlrev_b64 v[60:61], 2, v[60:61]
	v_add_co_u32_e32 v60, vcc, s74, v60
	v_addc_co_u32_e32 v61, vcc, v154, v61, vcc
	global_store_dword v[60:61], v159, off
	s_or_b64 exec, exec, s[38:39]
	v_cmp_lt_u32_e64 s[38:39], v7, v151
	s_and_saveexec_b64 s[40:41], s[38:39]
	s_cbranch_execnz .LBB529_201
.LBB529_186:                            ;   in Loop: Header=BB529_106 Depth=2
	s_or_b64 exec, exec, s[40:41]
	v_cmp_lt_u32_e64 s[40:41], v9, v151
	s_and_saveexec_b64 s[42:43], s[40:41]
	s_cbranch_execz .LBB529_202
.LBB529_187:                            ;   in Loop: Header=BB529_106 Depth=2
	ds_read_b32 v60, v72 offset:2048
	v_mov_b32_e32 v154, s75
	s_waitcnt lgkmcnt(0)
	v_lshrrev_b32_e32 v61, s93, v60
	v_and_b32_e32 v61, s94, v61
	v_lshlrev_b32_e32 v61, 2, v61
	ds_read_b32 v152, v61
	v_mov_b32_e32 v61, v4
	v_xor_b32_e32 v159, 0x7fffffff, v60
	s_waitcnt lgkmcnt(0)
	v_add_u32_e32 v60, v152, v9
	v_lshlrev_b64 v[60:61], 2, v[60:61]
	v_add_co_u32_e32 v60, vcc, s74, v60
	v_addc_co_u32_e32 v61, vcc, v154, v61, vcc
	global_store_dword v[60:61], v159, off
	s_or_b64 exec, exec, s[42:43]
	v_cmp_lt_u32_e64 s[42:43], v11, v151
	s_and_saveexec_b64 s[44:45], s[42:43]
	s_cbranch_execnz .LBB529_203
.LBB529_188:                            ;   in Loop: Header=BB529_106 Depth=2
	s_or_b64 exec, exec, s[44:45]
	v_cmp_lt_u32_e64 s[44:45], v6, v151
	s_and_saveexec_b64 s[46:47], s[44:45]
	s_cbranch_execz .LBB529_204
.LBB529_189:                            ;   in Loop: Header=BB529_106 Depth=2
	ds_read_b32 v60, v72 offset:4096
	v_mov_b32_e32 v154, s75
	s_waitcnt lgkmcnt(0)
	v_lshrrev_b32_e32 v61, s93, v60
	v_and_b32_e32 v61, s94, v61
	v_lshlrev_b32_e32 v61, 2, v61
	ds_read_b32 v152, v61
	v_mov_b32_e32 v61, v4
	v_xor_b32_e32 v159, 0x7fffffff, v60
	s_waitcnt lgkmcnt(0)
	v_add_u32_e32 v60, v152, v6
	v_lshlrev_b64 v[60:61], 2, v[60:61]
	v_add_co_u32_e32 v60, vcc, s74, v60
	v_addc_co_u32_e32 v61, vcc, v154, v61, vcc
	global_store_dword v[60:61], v159, off
	s_or_b64 exec, exec, s[46:47]
	v_cmp_lt_u32_e64 s[46:47], v8, v151
	s_and_saveexec_b64 s[48:49], s[46:47]
	s_cbranch_execnz .LBB529_205
.LBB529_190:                            ;   in Loop: Header=BB529_106 Depth=2
	s_or_b64 exec, exec, s[48:49]
	v_cmp_lt_u32_e64 s[48:49], v10, v151
	s_and_saveexec_b64 s[50:51], s[48:49]
	s_cbranch_execz .LBB529_206
.LBB529_191:                            ;   in Loop: Header=BB529_106 Depth=2
	ds_read_b32 v60, v72 offset:6144
	v_mov_b32_e32 v154, s75
	s_waitcnt lgkmcnt(0)
	v_lshrrev_b32_e32 v61, s93, v60
	v_and_b32_e32 v61, s94, v61
	v_lshlrev_b32_e32 v61, 2, v61
	ds_read_b32 v152, v61
	v_mov_b32_e32 v61, v4
	v_xor_b32_e32 v159, 0x7fffffff, v60
	s_waitcnt lgkmcnt(0)
	v_add_u32_e32 v60, v152, v10
	v_lshlrev_b64 v[60:61], 2, v[60:61]
	v_add_co_u32_e32 v60, vcc, s74, v60
	v_addc_co_u32_e32 v61, vcc, v154, v61, vcc
	global_store_dword v[60:61], v159, off
	s_or_b64 exec, exec, s[50:51]
	v_cmp_lt_u32_e64 s[50:51], v12, v151
	s_and_saveexec_b64 s[52:53], s[50:51]
	s_cbranch_execnz .LBB529_207
.LBB529_192:                            ;   in Loop: Header=BB529_106 Depth=2
	s_or_b64 exec, exec, s[52:53]
	v_cmp_lt_u32_e64 s[52:53], v14, v151
	s_and_saveexec_b64 s[54:55], s[52:53]
	s_cbranch_execz .LBB529_208
.LBB529_193:                            ;   in Loop: Header=BB529_106 Depth=2
	ds_read_b32 v60, v72 offset:8192
	v_mov_b32_e32 v154, s75
	s_waitcnt lgkmcnt(0)
	v_lshrrev_b32_e32 v61, s93, v60
	v_and_b32_e32 v61, s94, v61
	v_lshlrev_b32_e32 v61, 2, v61
	ds_read_b32 v152, v61
	v_mov_b32_e32 v61, v4
	v_xor_b32_e32 v159, 0x7fffffff, v60
	s_waitcnt lgkmcnt(0)
	v_add_u32_e32 v60, v152, v14
	v_lshlrev_b64 v[60:61], 2, v[60:61]
	v_add_co_u32_e32 v60, vcc, s74, v60
	v_addc_co_u32_e32 v61, vcc, v154, v61, vcc
	global_store_dword v[60:61], v159, off
	s_or_b64 exec, exec, s[54:55]
	v_cmp_lt_u32_e64 s[54:55], v16, v151
	s_and_saveexec_b64 s[56:57], s[54:55]
	s_cbranch_execnz .LBB529_209
.LBB529_194:                            ;   in Loop: Header=BB529_106 Depth=2
	s_or_b64 exec, exec, s[56:57]
	v_cmp_lt_u32_e64 s[56:57], v18, v151
	s_and_saveexec_b64 s[58:59], s[56:57]
	s_cbranch_execz .LBB529_210
.LBB529_195:                            ;   in Loop: Header=BB529_106 Depth=2
	ds_read_b32 v60, v72 offset:10240
	v_mov_b32_e32 v154, s75
	s_waitcnt lgkmcnt(0)
	v_lshrrev_b32_e32 v61, s93, v60
	v_and_b32_e32 v61, s94, v61
	v_lshlrev_b32_e32 v61, 2, v61
	ds_read_b32 v152, v61
	v_mov_b32_e32 v61, v4
	v_xor_b32_e32 v159, 0x7fffffff, v60
	s_waitcnt lgkmcnt(0)
	v_add_u32_e32 v60, v152, v18
	v_lshlrev_b64 v[60:61], 2, v[60:61]
	v_add_co_u32_e32 v60, vcc, s74, v60
	v_addc_co_u32_e32 v61, vcc, v154, v61, vcc
	global_store_dword v[60:61], v159, off
	s_or_b64 exec, exec, s[58:59]
	v_cmp_lt_u32_e64 s[58:59], v20, v151
	s_and_saveexec_b64 s[60:61], s[58:59]
	s_cbranch_execnz .LBB529_211
.LBB529_196:                            ;   in Loop: Header=BB529_106 Depth=2
	s_or_b64 exec, exec, s[60:61]
	v_cmp_lt_u32_e64 s[60:61], v22, v151
	s_and_saveexec_b64 s[62:63], s[60:61]
	s_cbranch_execz .LBB529_212
.LBB529_197:                            ;   in Loop: Header=BB529_106 Depth=2
	ds_read_b32 v60, v72 offset:12288
	v_mov_b32_e32 v154, s75
	s_waitcnt lgkmcnt(0)
	v_lshrrev_b32_e32 v61, s93, v60
	v_and_b32_e32 v61, s94, v61
	v_lshlrev_b32_e32 v61, 2, v61
	ds_read_b32 v152, v61
	v_mov_b32_e32 v61, v4
	v_xor_b32_e32 v159, 0x7fffffff, v60
	s_waitcnt lgkmcnt(0)
	v_add_u32_e32 v60, v152, v22
	v_lshlrev_b64 v[60:61], 2, v[60:61]
	v_add_co_u32_e32 v60, vcc, s74, v60
	v_addc_co_u32_e32 v61, vcc, v154, v61, vcc
	global_store_dword v[60:61], v159, off
	s_or_b64 exec, exec, s[62:63]
	v_cmp_lt_u32_e64 s[62:63], v24, v151
	s_and_saveexec_b64 s[64:65], s[62:63]
	s_cbranch_execnz .LBB529_213
.LBB529_198:                            ;   in Loop: Header=BB529_106 Depth=2
	s_or_b64 exec, exec, s[64:65]
	v_cmp_lt_u32_e64 s[64:65], v26, v151
	s_and_saveexec_b64 s[66:67], s[64:65]
	s_cbranch_execz .LBB529_214
.LBB529_199:                            ;   in Loop: Header=BB529_106 Depth=2
	ds_read_b32 v60, v72 offset:14336
	v_mov_b32_e32 v154, s75
	s_waitcnt lgkmcnt(0)
	v_lshrrev_b32_e32 v61, s93, v60
	v_and_b32_e32 v61, s94, v61
	v_lshlrev_b32_e32 v61, 2, v61
	ds_read_b32 v152, v61
	v_mov_b32_e32 v61, v4
	v_xor_b32_e32 v159, 0x7fffffff, v60
	s_waitcnt lgkmcnt(0)
	v_add_u32_e32 v60, v152, v26
	v_lshlrev_b64 v[60:61], 2, v[60:61]
	v_add_co_u32_e32 v60, vcc, s74, v60
	v_addc_co_u32_e32 v61, vcc, v154, v61, vcc
	global_store_dword v[60:61], v159, off
	s_or_b64 exec, exec, s[66:67]
	v_cmp_lt_u32_e64 s[66:67], v28, v151
	s_and_saveexec_b64 s[78:79], s[66:67]
	s_cbranch_execnz .LBB529_215
	s_branch .LBB529_216
.LBB529_200:                            ;   in Loop: Header=BB529_106 Depth=2
	s_or_b64 exec, exec, s[38:39]
	v_cmp_lt_u32_e64 s[38:39], v7, v151
	s_and_saveexec_b64 s[40:41], s[38:39]
	s_cbranch_execz .LBB529_186
.LBB529_201:                            ;   in Loop: Header=BB529_106 Depth=2
	ds_read_b32 v60, v72 offset:1024
	v_mov_b32_e32 v154, s75
	s_waitcnt lgkmcnt(0)
	v_lshrrev_b32_e32 v61, s93, v60
	v_and_b32_e32 v61, s94, v61
	v_lshlrev_b32_e32 v61, 2, v61
	ds_read_b32 v152, v61
	v_mov_b32_e32 v61, v4
	v_xor_b32_e32 v159, 0x7fffffff, v60
	s_waitcnt lgkmcnt(0)
	v_add_u32_e32 v60, v152, v7
	v_lshlrev_b64 v[60:61], 2, v[60:61]
	v_add_co_u32_e32 v60, vcc, s74, v60
	v_addc_co_u32_e32 v61, vcc, v154, v61, vcc
	global_store_dword v[60:61], v159, off
	s_or_b64 exec, exec, s[40:41]
	v_cmp_lt_u32_e64 s[40:41], v9, v151
	s_and_saveexec_b64 s[42:43], s[40:41]
	s_cbranch_execnz .LBB529_187
.LBB529_202:                            ;   in Loop: Header=BB529_106 Depth=2
	s_or_b64 exec, exec, s[42:43]
	v_cmp_lt_u32_e64 s[42:43], v11, v151
	s_and_saveexec_b64 s[44:45], s[42:43]
	s_cbranch_execz .LBB529_188
.LBB529_203:                            ;   in Loop: Header=BB529_106 Depth=2
	ds_read_b32 v60, v72 offset:3072
	v_mov_b32_e32 v154, s75
	s_waitcnt lgkmcnt(0)
	v_lshrrev_b32_e32 v61, s93, v60
	v_and_b32_e32 v61, s94, v61
	v_lshlrev_b32_e32 v61, 2, v61
	ds_read_b32 v152, v61
	v_mov_b32_e32 v61, v4
	v_xor_b32_e32 v159, 0x7fffffff, v60
	s_waitcnt lgkmcnt(0)
	v_add_u32_e32 v60, v152, v11
	v_lshlrev_b64 v[60:61], 2, v[60:61]
	v_add_co_u32_e32 v60, vcc, s74, v60
	v_addc_co_u32_e32 v61, vcc, v154, v61, vcc
	global_store_dword v[60:61], v159, off
	s_or_b64 exec, exec, s[44:45]
	v_cmp_lt_u32_e64 s[44:45], v6, v151
	s_and_saveexec_b64 s[46:47], s[44:45]
	s_cbranch_execnz .LBB529_189
.LBB529_204:                            ;   in Loop: Header=BB529_106 Depth=2
	s_or_b64 exec, exec, s[46:47]
	v_cmp_lt_u32_e64 s[46:47], v8, v151
	s_and_saveexec_b64 s[48:49], s[46:47]
	s_cbranch_execz .LBB529_190
.LBB529_205:                            ;   in Loop: Header=BB529_106 Depth=2
	ds_read_b32 v60, v72 offset:5120
	v_mov_b32_e32 v154, s75
	s_waitcnt lgkmcnt(0)
	v_lshrrev_b32_e32 v61, s93, v60
	v_and_b32_e32 v61, s94, v61
	v_lshlrev_b32_e32 v61, 2, v61
	ds_read_b32 v152, v61
	v_mov_b32_e32 v61, v4
	v_xor_b32_e32 v159, 0x7fffffff, v60
	s_waitcnt lgkmcnt(0)
	v_add_u32_e32 v60, v152, v8
	v_lshlrev_b64 v[60:61], 2, v[60:61]
	v_add_co_u32_e32 v60, vcc, s74, v60
	v_addc_co_u32_e32 v61, vcc, v154, v61, vcc
	global_store_dword v[60:61], v159, off
	s_or_b64 exec, exec, s[48:49]
	v_cmp_lt_u32_e64 s[48:49], v10, v151
	s_and_saveexec_b64 s[50:51], s[48:49]
	s_cbranch_execnz .LBB529_191
.LBB529_206:                            ;   in Loop: Header=BB529_106 Depth=2
	s_or_b64 exec, exec, s[50:51]
	v_cmp_lt_u32_e64 s[50:51], v12, v151
	s_and_saveexec_b64 s[52:53], s[50:51]
	s_cbranch_execz .LBB529_192
.LBB529_207:                            ;   in Loop: Header=BB529_106 Depth=2
	ds_read_b32 v60, v72 offset:7168
	v_mov_b32_e32 v154, s75
	s_waitcnt lgkmcnt(0)
	v_lshrrev_b32_e32 v61, s93, v60
	v_and_b32_e32 v61, s94, v61
	v_lshlrev_b32_e32 v61, 2, v61
	ds_read_b32 v152, v61
	v_mov_b32_e32 v61, v4
	v_xor_b32_e32 v159, 0x7fffffff, v60
	s_waitcnt lgkmcnt(0)
	v_add_u32_e32 v60, v152, v12
	v_lshlrev_b64 v[60:61], 2, v[60:61]
	v_add_co_u32_e32 v60, vcc, s74, v60
	v_addc_co_u32_e32 v61, vcc, v154, v61, vcc
	global_store_dword v[60:61], v159, off
	s_or_b64 exec, exec, s[52:53]
	v_cmp_lt_u32_e64 s[52:53], v14, v151
	s_and_saveexec_b64 s[54:55], s[52:53]
	s_cbranch_execnz .LBB529_193
.LBB529_208:                            ;   in Loop: Header=BB529_106 Depth=2
	s_or_b64 exec, exec, s[54:55]
	v_cmp_lt_u32_e64 s[54:55], v16, v151
	s_and_saveexec_b64 s[56:57], s[54:55]
	s_cbranch_execz .LBB529_194
.LBB529_209:                            ;   in Loop: Header=BB529_106 Depth=2
	ds_read_b32 v60, v72 offset:9216
	v_mov_b32_e32 v154, s75
	s_waitcnt lgkmcnt(0)
	v_lshrrev_b32_e32 v61, s93, v60
	v_and_b32_e32 v61, s94, v61
	v_lshlrev_b32_e32 v61, 2, v61
	ds_read_b32 v152, v61
	v_mov_b32_e32 v61, v4
	v_xor_b32_e32 v159, 0x7fffffff, v60
	s_waitcnt lgkmcnt(0)
	v_add_u32_e32 v60, v152, v16
	v_lshlrev_b64 v[60:61], 2, v[60:61]
	v_add_co_u32_e32 v60, vcc, s74, v60
	v_addc_co_u32_e32 v61, vcc, v154, v61, vcc
	global_store_dword v[60:61], v159, off
	s_or_b64 exec, exec, s[56:57]
	v_cmp_lt_u32_e64 s[56:57], v18, v151
	s_and_saveexec_b64 s[58:59], s[56:57]
	s_cbranch_execnz .LBB529_195
.LBB529_210:                            ;   in Loop: Header=BB529_106 Depth=2
	s_or_b64 exec, exec, s[58:59]
	v_cmp_lt_u32_e64 s[58:59], v20, v151
	s_and_saveexec_b64 s[60:61], s[58:59]
	s_cbranch_execz .LBB529_196
.LBB529_211:                            ;   in Loop: Header=BB529_106 Depth=2
	ds_read_b32 v60, v72 offset:11264
	v_mov_b32_e32 v154, s75
	s_waitcnt lgkmcnt(0)
	v_lshrrev_b32_e32 v61, s93, v60
	v_and_b32_e32 v61, s94, v61
	v_lshlrev_b32_e32 v61, 2, v61
	ds_read_b32 v152, v61
	v_mov_b32_e32 v61, v4
	v_xor_b32_e32 v159, 0x7fffffff, v60
	s_waitcnt lgkmcnt(0)
	v_add_u32_e32 v60, v152, v20
	v_lshlrev_b64 v[60:61], 2, v[60:61]
	v_add_co_u32_e32 v60, vcc, s74, v60
	v_addc_co_u32_e32 v61, vcc, v154, v61, vcc
	global_store_dword v[60:61], v159, off
	s_or_b64 exec, exec, s[60:61]
	v_cmp_lt_u32_e64 s[60:61], v22, v151
	s_and_saveexec_b64 s[62:63], s[60:61]
	s_cbranch_execnz .LBB529_197
.LBB529_212:                            ;   in Loop: Header=BB529_106 Depth=2
	s_or_b64 exec, exec, s[62:63]
	v_cmp_lt_u32_e64 s[62:63], v24, v151
	s_and_saveexec_b64 s[64:65], s[62:63]
	s_cbranch_execz .LBB529_198
.LBB529_213:                            ;   in Loop: Header=BB529_106 Depth=2
	ds_read_b32 v60, v72 offset:13312
	v_mov_b32_e32 v154, s75
	s_waitcnt lgkmcnt(0)
	v_lshrrev_b32_e32 v61, s93, v60
	v_and_b32_e32 v61, s94, v61
	v_lshlrev_b32_e32 v61, 2, v61
	ds_read_b32 v152, v61
	v_mov_b32_e32 v61, v4
	v_xor_b32_e32 v159, 0x7fffffff, v60
	s_waitcnt lgkmcnt(0)
	v_add_u32_e32 v60, v152, v24
	v_lshlrev_b64 v[60:61], 2, v[60:61]
	v_add_co_u32_e32 v60, vcc, s74, v60
	v_addc_co_u32_e32 v61, vcc, v154, v61, vcc
	global_store_dword v[60:61], v159, off
	s_or_b64 exec, exec, s[64:65]
	v_cmp_lt_u32_e64 s[64:65], v26, v151
	s_and_saveexec_b64 s[66:67], s[64:65]
	s_cbranch_execnz .LBB529_199
.LBB529_214:                            ;   in Loop: Header=BB529_106 Depth=2
	s_or_b64 exec, exec, s[66:67]
	v_cmp_lt_u32_e64 s[66:67], v28, v151
	s_and_saveexec_b64 s[78:79], s[66:67]
	s_cbranch_execz .LBB529_216
.LBB529_215:                            ;   in Loop: Header=BB529_106 Depth=2
	ds_read_b32 v60, v72 offset:15360
	v_mov_b32_e32 v154, s75
	s_waitcnt lgkmcnt(0)
	v_lshrrev_b32_e32 v61, s93, v60
	v_and_b32_e32 v61, s94, v61
	v_lshlrev_b32_e32 v61, 2, v61
	ds_read_b32 v152, v61
	v_mov_b32_e32 v61, v4
	v_xor_b32_e32 v159, 0x7fffffff, v60
	s_waitcnt lgkmcnt(0)
	v_add_u32_e32 v60, v152, v28
	v_lshlrev_b64 v[60:61], 2, v[60:61]
	v_add_co_u32_e32 v60, vcc, s74, v60
	v_addc_co_u32_e32 v61, vcc, v154, v61, vcc
	global_store_dword v[60:61], v159, off
.LBB529_216:                            ;   in Loop: Header=BB529_106 Depth=2
	s_or_b64 exec, exec, s[78:79]
	s_lshl_b64 s[78:79], s[88:89], 3
	v_mov_b32_e32 v61, s79
	v_add_co_u32_e32 v60, vcc, s78, v128
	v_addc_co_u32_e32 v61, vcc, v129, v61, vcc
	v_cmp_lt_u32_e32 vcc, v109, v151
	s_and_saveexec_b64 s[78:79], vcc
	s_xor_b64 s[78:79], exec, s[78:79]
	s_cbranch_execz .LBB529_248
; %bb.217:                              ;   in Loop: Header=BB529_106 Depth=2
	global_load_dwordx2 v[58:59], v[60:61], off
	s_or_b64 exec, exec, s[78:79]
	v_cmp_lt_u32_e32 vcc, v110, v151
	s_and_saveexec_b64 s[78:79], vcc
	s_cbranch_execnz .LBB529_249
.LBB529_218:                            ;   in Loop: Header=BB529_106 Depth=2
	s_or_b64 exec, exec, s[78:79]
	v_cmp_lt_u32_e32 vcc, v111, v151
	s_and_saveexec_b64 s[78:79], vcc
	s_cbranch_execz .LBB529_250
.LBB529_219:                            ;   in Loop: Header=BB529_106 Depth=2
	global_load_dwordx2 v[54:55], v[60:61], off offset:1024
	s_or_b64 exec, exec, s[78:79]
	v_cmp_lt_u32_e32 vcc, v112, v151
	s_and_saveexec_b64 s[78:79], vcc
	s_cbranch_execnz .LBB529_251
.LBB529_220:                            ;   in Loop: Header=BB529_106 Depth=2
	s_or_b64 exec, exec, s[78:79]
	v_cmp_lt_u32_e32 vcc, v113, v151
	s_and_saveexec_b64 s[78:79], vcc
	s_cbranch_execz .LBB529_252
.LBB529_221:                            ;   in Loop: Header=BB529_106 Depth=2
	global_load_dwordx2 v[46:47], v[60:61], off offset:2048
	s_or_b64 exec, exec, s[78:79]
	v_cmp_lt_u32_e32 vcc, v114, v151
	s_and_saveexec_b64 s[78:79], vcc
	s_cbranch_execnz .LBB529_253
.LBB529_222:                            ;   in Loop: Header=BB529_106 Depth=2
	s_or_b64 exec, exec, s[78:79]
	v_cmp_lt_u32_e32 vcc, v115, v151
	s_and_saveexec_b64 s[78:79], vcc
	s_cbranch_execz .LBB529_254
.LBB529_223:                            ;   in Loop: Header=BB529_106 Depth=2
	global_load_dwordx2 v[38:39], v[60:61], off offset:3072
	s_or_b64 exec, exec, s[78:79]
	v_cmp_lt_u32_e32 vcc, v116, v151
	s_and_saveexec_b64 s[78:79], vcc
	s_cbranch_execnz .LBB529_255
.LBB529_224:                            ;   in Loop: Header=BB529_106 Depth=2
	s_or_b64 exec, exec, s[78:79]
	v_cmp_lt_u32_e32 vcc, v117, v151
	s_and_saveexec_b64 s[78:79], vcc
	s_cbranch_execz .LBB529_256
.LBB529_225:                            ;   in Loop: Header=BB529_106 Depth=2
	v_add_co_u32_e32 v52, vcc, 0x1000, v60
	v_addc_co_u32_e32 v53, vcc, 0, v61, vcc
	global_load_dwordx2 v[52:53], v[52:53], off
	s_or_b64 exec, exec, s[78:79]
	v_cmp_lt_u32_e32 vcc, v118, v151
	s_and_saveexec_b64 s[78:79], vcc
	s_cbranch_execnz .LBB529_257
.LBB529_226:                            ;   in Loop: Header=BB529_106 Depth=2
	s_or_b64 exec, exec, s[78:79]
	v_cmp_lt_u32_e32 vcc, v119, v151
	s_and_saveexec_b64 s[78:79], vcc
	s_cbranch_execz .LBB529_258
.LBB529_227:                            ;   in Loop: Header=BB529_106 Depth=2
	v_add_co_u32_e32 v44, vcc, 0x1000, v60
	v_addc_co_u32_e32 v45, vcc, 0, v61, vcc
	global_load_dwordx2 v[44:45], v[44:45], off offset:1024
	s_or_b64 exec, exec, s[78:79]
	v_cmp_lt_u32_e32 vcc, v120, v151
	s_and_saveexec_b64 s[78:79], vcc
	s_cbranch_execnz .LBB529_259
.LBB529_228:                            ;   in Loop: Header=BB529_106 Depth=2
	s_or_b64 exec, exec, s[78:79]
	v_cmp_lt_u32_e32 vcc, v121, v151
	s_and_saveexec_b64 s[78:79], vcc
	s_cbranch_execz .LBB529_260
.LBB529_229:                            ;   in Loop: Header=BB529_106 Depth=2
	v_add_co_u32_e32 v36, vcc, 0x1000, v60
	v_addc_co_u32_e32 v37, vcc, 0, v61, vcc
	global_load_dwordx2 v[36:37], v[36:37], off offset:2048
	s_or_b64 exec, exec, s[78:79]
	v_cmp_lt_u32_e32 vcc, v122, v151
	s_and_saveexec_b64 s[78:79], vcc
	s_cbranch_execnz .LBB529_261
.LBB529_230:                            ;   in Loop: Header=BB529_106 Depth=2
	s_or_b64 exec, exec, s[78:79]
	v_cmp_lt_u32_e32 vcc, v123, v151
	s_and_saveexec_b64 s[78:79], vcc
	s_cbranch_execz .LBB529_262
.LBB529_231:                            ;   in Loop: Header=BB529_106 Depth=2
	v_add_co_u32_e32 v30, vcc, 0x1000, v60
	v_addc_co_u32_e32 v31, vcc, 0, v61, vcc
	global_load_dwordx2 v[30:31], v[30:31], off offset:3072
	s_or_b64 exec, exec, s[78:79]
	v_cmp_lt_u32_e32 vcc, v124, v151
	s_and_saveexec_b64 s[78:79], vcc
	s_cbranch_execnz .LBB529_263
.LBB529_232:                            ;   in Loop: Header=BB529_106 Depth=2
	s_or_b64 exec, exec, s[78:79]
	s_and_saveexec_b64 s[78:79], s[36:37]
	s_cbranch_execz .LBB529_264
.LBB529_233:                            ;   in Loop: Header=BB529_106 Depth=2
	v_add_u32_e32 v60, v64, v67
	ds_read_b32 v60, v60 offset:1024
	s_waitcnt lgkmcnt(0)
	v_lshrrev_b32_e32 v60, s93, v60
	v_and_b32_e32 v149, s94, v60
	s_or_b64 exec, exec, s[78:79]
	s_and_saveexec_b64 s[78:79], s[38:39]
	s_cbranch_execnz .LBB529_265
.LBB529_234:                            ;   in Loop: Header=BB529_106 Depth=2
	s_or_b64 exec, exec, s[78:79]
	s_and_saveexec_b64 s[78:79], s[40:41]
	s_cbranch_execz .LBB529_266
.LBB529_235:                            ;   in Loop: Header=BB529_106 Depth=2
	ds_read_b32 v60, v72 offset:2048
	s_waitcnt lgkmcnt(0)
	v_lshrrev_b32_e32 v60, s93, v60
	v_and_b32_e32 v146, s94, v60
	s_or_b64 exec, exec, s[78:79]
	s_and_saveexec_b64 s[78:79], s[42:43]
	s_cbranch_execnz .LBB529_267
.LBB529_236:                            ;   in Loop: Header=BB529_106 Depth=2
	s_or_b64 exec, exec, s[78:79]
	s_and_saveexec_b64 s[78:79], s[44:45]
	s_cbranch_execz .LBB529_268
.LBB529_237:                            ;   in Loop: Header=BB529_106 Depth=2
	ds_read_b32 v60, v72 offset:4096
	s_waitcnt lgkmcnt(0)
	v_lshrrev_b32_e32 v60, s93, v60
	v_and_b32_e32 v143, s94, v60
	s_or_b64 exec, exec, s[78:79]
	s_and_saveexec_b64 s[78:79], s[46:47]
	s_cbranch_execnz .LBB529_269
.LBB529_238:                            ;   in Loop: Header=BB529_106 Depth=2
	s_or_b64 exec, exec, s[78:79]
	s_and_saveexec_b64 s[78:79], s[48:49]
	s_cbranch_execz .LBB529_270
.LBB529_239:                            ;   in Loop: Header=BB529_106 Depth=2
	ds_read_b32 v60, v72 offset:6144
	s_waitcnt lgkmcnt(0)
	v_lshrrev_b32_e32 v60, s93, v60
	v_and_b32_e32 v141, s94, v60
	s_or_b64 exec, exec, s[78:79]
	s_and_saveexec_b64 s[78:79], s[50:51]
	s_cbranch_execnz .LBB529_271
.LBB529_240:                            ;   in Loop: Header=BB529_106 Depth=2
	s_or_b64 exec, exec, s[78:79]
	s_and_saveexec_b64 s[78:79], s[52:53]
	s_cbranch_execz .LBB529_272
.LBB529_241:                            ;   in Loop: Header=BB529_106 Depth=2
	ds_read_b32 v60, v72 offset:8192
	s_waitcnt lgkmcnt(0)
	v_lshrrev_b32_e32 v60, s93, v60
	v_and_b32_e32 v139, s94, v60
	s_or_b64 exec, exec, s[78:79]
	s_and_saveexec_b64 s[78:79], s[54:55]
	s_cbranch_execnz .LBB529_273
.LBB529_242:                            ;   in Loop: Header=BB529_106 Depth=2
	s_or_b64 exec, exec, s[78:79]
	s_and_saveexec_b64 s[78:79], s[56:57]
	s_cbranch_execz .LBB529_274
.LBB529_243:                            ;   in Loop: Header=BB529_106 Depth=2
	ds_read_b32 v60, v72 offset:10240
	s_waitcnt lgkmcnt(0)
	v_lshrrev_b32_e32 v60, s93, v60
	v_and_b32_e32 v137, s94, v60
	s_or_b64 exec, exec, s[78:79]
	s_and_saveexec_b64 s[78:79], s[58:59]
	s_cbranch_execnz .LBB529_275
.LBB529_244:                            ;   in Loop: Header=BB529_106 Depth=2
	s_or_b64 exec, exec, s[78:79]
	s_and_saveexec_b64 s[78:79], s[60:61]
	s_cbranch_execz .LBB529_276
.LBB529_245:                            ;   in Loop: Header=BB529_106 Depth=2
	ds_read_b32 v60, v72 offset:12288
	s_waitcnt lgkmcnt(0)
	v_lshrrev_b32_e32 v60, s93, v60
	v_and_b32_e32 v135, s94, v60
	s_or_b64 exec, exec, s[78:79]
	s_and_saveexec_b64 s[78:79], s[62:63]
	s_cbranch_execnz .LBB529_277
.LBB529_246:                            ;   in Loop: Header=BB529_106 Depth=2
	s_or_b64 exec, exec, s[78:79]
	s_and_saveexec_b64 s[78:79], s[64:65]
	s_cbranch_execz .LBB529_278
.LBB529_247:                            ;   in Loop: Header=BB529_106 Depth=2
	ds_read_b32 v60, v72 offset:14336
	s_waitcnt lgkmcnt(0)
	v_lshrrev_b32_e32 v60, s93, v60
	v_and_b32_e32 v133, s94, v60
	s_or_b64 exec, exec, s[78:79]
	s_and_saveexec_b64 s[78:79], s[66:67]
	s_cbranch_execnz .LBB529_279
	s_branch .LBB529_280
.LBB529_248:                            ;   in Loop: Header=BB529_106 Depth=2
	s_or_b64 exec, exec, s[78:79]
	v_cmp_lt_u32_e32 vcc, v110, v151
	s_and_saveexec_b64 s[78:79], vcc
	s_cbranch_execz .LBB529_218
.LBB529_249:                            ;   in Loop: Header=BB529_106 Depth=2
	global_load_dwordx2 v[56:57], v[60:61], off offset:512
	s_or_b64 exec, exec, s[78:79]
	v_cmp_lt_u32_e32 vcc, v111, v151
	s_and_saveexec_b64 s[78:79], vcc
	s_cbranch_execnz .LBB529_219
.LBB529_250:                            ;   in Loop: Header=BB529_106 Depth=2
	s_or_b64 exec, exec, s[78:79]
	v_cmp_lt_u32_e32 vcc, v112, v151
	s_and_saveexec_b64 s[78:79], vcc
	s_cbranch_execz .LBB529_220
.LBB529_251:                            ;   in Loop: Header=BB529_106 Depth=2
	global_load_dwordx2 v[50:51], v[60:61], off offset:1536
	s_or_b64 exec, exec, s[78:79]
	v_cmp_lt_u32_e32 vcc, v113, v151
	s_and_saveexec_b64 s[78:79], vcc
	s_cbranch_execnz .LBB529_221
.LBB529_252:                            ;   in Loop: Header=BB529_106 Depth=2
	s_or_b64 exec, exec, s[78:79]
	v_cmp_lt_u32_e32 vcc, v114, v151
	s_and_saveexec_b64 s[78:79], vcc
	s_cbranch_execz .LBB529_222
.LBB529_253:                            ;   in Loop: Header=BB529_106 Depth=2
	global_load_dwordx2 v[42:43], v[60:61], off offset:2560
	s_or_b64 exec, exec, s[78:79]
	v_cmp_lt_u32_e32 vcc, v115, v151
	s_and_saveexec_b64 s[78:79], vcc
	s_cbranch_execnz .LBB529_223
.LBB529_254:                            ;   in Loop: Header=BB529_106 Depth=2
	s_or_b64 exec, exec, s[78:79]
	v_cmp_lt_u32_e32 vcc, v116, v151
	s_and_saveexec_b64 s[78:79], vcc
	s_cbranch_execz .LBB529_224
.LBB529_255:                            ;   in Loop: Header=BB529_106 Depth=2
	global_load_dwordx2 v[34:35], v[60:61], off offset:3584
	s_or_b64 exec, exec, s[78:79]
	v_cmp_lt_u32_e32 vcc, v117, v151
	s_and_saveexec_b64 s[78:79], vcc
	s_cbranch_execnz .LBB529_225
.LBB529_256:                            ;   in Loop: Header=BB529_106 Depth=2
	s_or_b64 exec, exec, s[78:79]
	v_cmp_lt_u32_e32 vcc, v118, v151
	s_and_saveexec_b64 s[78:79], vcc
	s_cbranch_execz .LBB529_226
.LBB529_257:                            ;   in Loop: Header=BB529_106 Depth=2
	v_add_co_u32_e32 v48, vcc, 0x1000, v60
	v_addc_co_u32_e32 v49, vcc, 0, v61, vcc
	global_load_dwordx2 v[48:49], v[48:49], off offset:512
	s_or_b64 exec, exec, s[78:79]
	v_cmp_lt_u32_e32 vcc, v119, v151
	s_and_saveexec_b64 s[78:79], vcc
	s_cbranch_execnz .LBB529_227
.LBB529_258:                            ;   in Loop: Header=BB529_106 Depth=2
	s_or_b64 exec, exec, s[78:79]
	v_cmp_lt_u32_e32 vcc, v120, v151
	s_and_saveexec_b64 s[78:79], vcc
	s_cbranch_execz .LBB529_228
.LBB529_259:                            ;   in Loop: Header=BB529_106 Depth=2
	v_add_co_u32_e32 v40, vcc, 0x1000, v60
	v_addc_co_u32_e32 v41, vcc, 0, v61, vcc
	global_load_dwordx2 v[40:41], v[40:41], off offset:1536
	s_or_b64 exec, exec, s[78:79]
	v_cmp_lt_u32_e32 vcc, v121, v151
	s_and_saveexec_b64 s[78:79], vcc
	s_cbranch_execnz .LBB529_229
.LBB529_260:                            ;   in Loop: Header=BB529_106 Depth=2
	s_or_b64 exec, exec, s[78:79]
	v_cmp_lt_u32_e32 vcc, v122, v151
	s_and_saveexec_b64 s[78:79], vcc
	s_cbranch_execz .LBB529_230
.LBB529_261:                            ;   in Loop: Header=BB529_106 Depth=2
	v_add_co_u32_e32 v32, vcc, 0x1000, v60
	v_addc_co_u32_e32 v33, vcc, 0, v61, vcc
	global_load_dwordx2 v[32:33], v[32:33], off offset:2560
	s_or_b64 exec, exec, s[78:79]
	v_cmp_lt_u32_e32 vcc, v123, v151
	s_and_saveexec_b64 s[78:79], vcc
	s_cbranch_execnz .LBB529_231
.LBB529_262:                            ;   in Loop: Header=BB529_106 Depth=2
	s_or_b64 exec, exec, s[78:79]
	v_cmp_lt_u32_e32 vcc, v124, v151
	s_and_saveexec_b64 s[78:79], vcc
	s_cbranch_execz .LBB529_232
.LBB529_263:                            ;   in Loop: Header=BB529_106 Depth=2
	v_add_co_u32_e32 v0, vcc, 0x1000, v60
	v_addc_co_u32_e32 v1, vcc, 0, v61, vcc
	global_load_dwordx2 v[0:1], v[0:1], off offset:3584
	s_or_b64 exec, exec, s[78:79]
	s_and_saveexec_b64 s[78:79], s[36:37]
	s_cbranch_execnz .LBB529_233
.LBB529_264:                            ;   in Loop: Header=BB529_106 Depth=2
	s_or_b64 exec, exec, s[78:79]
	s_and_saveexec_b64 s[78:79], s[38:39]
	s_cbranch_execz .LBB529_234
.LBB529_265:                            ;   in Loop: Header=BB529_106 Depth=2
	ds_read_b32 v60, v72 offset:1024
	s_waitcnt lgkmcnt(0)
	v_lshrrev_b32_e32 v60, s93, v60
	v_and_b32_e32 v147, s94, v60
	s_or_b64 exec, exec, s[78:79]
	s_and_saveexec_b64 s[78:79], s[40:41]
	s_cbranch_execnz .LBB529_235
.LBB529_266:                            ;   in Loop: Header=BB529_106 Depth=2
	s_or_b64 exec, exec, s[78:79]
	s_and_saveexec_b64 s[78:79], s[42:43]
	s_cbranch_execz .LBB529_236
.LBB529_267:                            ;   in Loop: Header=BB529_106 Depth=2
	ds_read_b32 v60, v72 offset:3072
	s_waitcnt lgkmcnt(0)
	v_lshrrev_b32_e32 v60, s93, v60
	v_and_b32_e32 v144, s94, v60
	s_or_b64 exec, exec, s[78:79]
	s_and_saveexec_b64 s[78:79], s[44:45]
	s_cbranch_execnz .LBB529_237
.LBB529_268:                            ;   in Loop: Header=BB529_106 Depth=2
	s_or_b64 exec, exec, s[78:79]
	s_and_saveexec_b64 s[78:79], s[46:47]
	s_cbranch_execz .LBB529_238
.LBB529_269:                            ;   in Loop: Header=BB529_106 Depth=2
	ds_read_b32 v60, v72 offset:5120
	s_waitcnt lgkmcnt(0)
	v_lshrrev_b32_e32 v60, s93, v60
	v_and_b32_e32 v142, s94, v60
	s_or_b64 exec, exec, s[78:79]
	s_and_saveexec_b64 s[78:79], s[48:49]
	s_cbranch_execnz .LBB529_239
.LBB529_270:                            ;   in Loop: Header=BB529_106 Depth=2
	s_or_b64 exec, exec, s[78:79]
	s_and_saveexec_b64 s[78:79], s[50:51]
	s_cbranch_execz .LBB529_240
.LBB529_271:                            ;   in Loop: Header=BB529_106 Depth=2
	ds_read_b32 v60, v72 offset:7168
	s_waitcnt lgkmcnt(0)
	v_lshrrev_b32_e32 v60, s93, v60
	v_and_b32_e32 v140, s94, v60
	s_or_b64 exec, exec, s[78:79]
	s_and_saveexec_b64 s[78:79], s[52:53]
	s_cbranch_execnz .LBB529_241
.LBB529_272:                            ;   in Loop: Header=BB529_106 Depth=2
	s_or_b64 exec, exec, s[78:79]
	s_and_saveexec_b64 s[78:79], s[54:55]
	s_cbranch_execz .LBB529_242
.LBB529_273:                            ;   in Loop: Header=BB529_106 Depth=2
	ds_read_b32 v60, v72 offset:9216
	s_waitcnt lgkmcnt(0)
	v_lshrrev_b32_e32 v60, s93, v60
	v_and_b32_e32 v138, s94, v60
	s_or_b64 exec, exec, s[78:79]
	s_and_saveexec_b64 s[78:79], s[56:57]
	s_cbranch_execnz .LBB529_243
.LBB529_274:                            ;   in Loop: Header=BB529_106 Depth=2
	s_or_b64 exec, exec, s[78:79]
	s_and_saveexec_b64 s[78:79], s[58:59]
	s_cbranch_execz .LBB529_244
.LBB529_275:                            ;   in Loop: Header=BB529_106 Depth=2
	ds_read_b32 v60, v72 offset:11264
	s_waitcnt lgkmcnt(0)
	v_lshrrev_b32_e32 v60, s93, v60
	v_and_b32_e32 v136, s94, v60
	s_or_b64 exec, exec, s[78:79]
	s_and_saveexec_b64 s[78:79], s[60:61]
	s_cbranch_execnz .LBB529_245
.LBB529_276:                            ;   in Loop: Header=BB529_106 Depth=2
	s_or_b64 exec, exec, s[78:79]
	s_and_saveexec_b64 s[78:79], s[62:63]
	s_cbranch_execz .LBB529_246
.LBB529_277:                            ;   in Loop: Header=BB529_106 Depth=2
	ds_read_b32 v60, v72 offset:13312
	s_waitcnt lgkmcnt(0)
	v_lshrrev_b32_e32 v60, s93, v60
	v_and_b32_e32 v134, s94, v60
	s_or_b64 exec, exec, s[78:79]
	s_and_saveexec_b64 s[78:79], s[64:65]
	s_cbranch_execnz .LBB529_247
.LBB529_278:                            ;   in Loop: Header=BB529_106 Depth=2
	s_or_b64 exec, exec, s[78:79]
	s_and_saveexec_b64 s[78:79], s[66:67]
	s_cbranch_execz .LBB529_280
.LBB529_279:                            ;   in Loop: Header=BB529_106 Depth=2
	ds_read_b32 v60, v72 offset:15360
	s_waitcnt lgkmcnt(0)
	v_lshrrev_b32_e32 v60, s93, v60
	v_and_b32_e32 v132, s94, v60
.LBB529_280:                            ;   in Loop: Header=BB529_106 Depth=2
	s_or_b64 exec, exec, s[78:79]
	v_lshlrev_b32_e32 v60, 3, v172
	s_barrier
	s_waitcnt vmcnt(0)
	ds_write_b64 v60, v[58:59] offset:1024
	v_lshlrev_b32_e32 v60, 3, v168
	ds_write_b64 v60, v[56:57] offset:1024
	v_lshlrev_b32_e32 v60, 3, v167
	;; [unrolled: 2-line block ×15, first 2 shown]
	ds_write_b64 v60, v[0:1] offset:1024
	s_waitcnt lgkmcnt(0)
	s_barrier
	s_and_saveexec_b64 s[78:79], s[36:37]
	s_cbranch_execz .LBB529_296
; %bb.281:                              ;   in Loop: Header=BB529_106 Depth=2
	v_lshlrev_b32_e32 v60, 2, v149
	ds_read_b32 v62, v60
	ds_read_b64 v[60:61], v73 offset:1024
	v_mov_b32_e32 v63, v4
	v_mov_b32_e32 v151, s81
	s_waitcnt lgkmcnt(1)
	v_add_u32_e32 v62, v62, v2
	v_lshlrev_b64 v[62:63], 3, v[62:63]
	v_add_co_u32_e32 v62, vcc, s80, v62
	v_addc_co_u32_e32 v63, vcc, v151, v63, vcc
	s_waitcnt lgkmcnt(0)
	global_store_dwordx2 v[62:63], v[60:61], off
	s_or_b64 exec, exec, s[78:79]
	s_and_saveexec_b64 s[36:37], s[38:39]
	s_cbranch_execnz .LBB529_297
.LBB529_282:                            ;   in Loop: Header=BB529_106 Depth=2
	s_or_b64 exec, exec, s[36:37]
	s_and_saveexec_b64 s[36:37], s[40:41]
	s_cbranch_execz .LBB529_298
.LBB529_283:                            ;   in Loop: Header=BB529_106 Depth=2
	v_lshlrev_b32_e32 v60, 2, v146
	ds_read_b32 v62, v60
	v_add_u32_e32 v60, v72, v3
	ds_read_b64 v[60:61], v60 offset:4096
	v_mov_b32_e32 v63, v4
	v_mov_b32_e32 v151, s81
	s_waitcnt lgkmcnt(1)
	v_add_u32_e32 v62, v62, v9
	v_lshlrev_b64 v[62:63], 3, v[62:63]
	v_add_co_u32_e32 v62, vcc, s80, v62
	v_addc_co_u32_e32 v63, vcc, v151, v63, vcc
	s_waitcnt lgkmcnt(0)
	global_store_dwordx2 v[62:63], v[60:61], off
	s_or_b64 exec, exec, s[36:37]
	s_and_saveexec_b64 s[36:37], s[42:43]
	s_cbranch_execnz .LBB529_299
.LBB529_284:                            ;   in Loop: Header=BB529_106 Depth=2
	s_or_b64 exec, exec, s[36:37]
	s_and_saveexec_b64 s[36:37], s[44:45]
	s_cbranch_execz .LBB529_300
.LBB529_285:                            ;   in Loop: Header=BB529_106 Depth=2
	v_lshlrev_b32_e32 v60, 2, v143
	ds_read_b32 v62, v60
	v_add_u32_e32 v60, v72, v3
	ds_read_b64 v[60:61], v60 offset:8192
	v_mov_b32_e32 v63, v4
	v_mov_b32_e32 v151, s81
	s_waitcnt lgkmcnt(1)
	v_add_u32_e32 v62, v62, v6
	v_lshlrev_b64 v[62:63], 3, v[62:63]
	v_add_co_u32_e32 v62, vcc, s80, v62
	v_addc_co_u32_e32 v63, vcc, v151, v63, vcc
	s_waitcnt lgkmcnt(0)
	global_store_dwordx2 v[62:63], v[60:61], off
	s_or_b64 exec, exec, s[36:37]
	s_and_saveexec_b64 s[36:37], s[46:47]
	s_cbranch_execnz .LBB529_301
.LBB529_286:                            ;   in Loop: Header=BB529_106 Depth=2
	s_or_b64 exec, exec, s[36:37]
	s_and_saveexec_b64 s[36:37], s[48:49]
	s_cbranch_execz .LBB529_302
.LBB529_287:                            ;   in Loop: Header=BB529_106 Depth=2
	v_lshlrev_b32_e32 v60, 2, v141
	ds_read_b32 v62, v60
	v_add_u32_e32 v60, v72, v3
	ds_read_b64 v[60:61], v60 offset:12288
	v_mov_b32_e32 v63, v4
	v_mov_b32_e32 v151, s81
	s_waitcnt lgkmcnt(1)
	v_add_u32_e32 v62, v62, v10
	v_lshlrev_b64 v[62:63], 3, v[62:63]
	v_add_co_u32_e32 v62, vcc, s80, v62
	v_addc_co_u32_e32 v63, vcc, v151, v63, vcc
	s_waitcnt lgkmcnt(0)
	global_store_dwordx2 v[62:63], v[60:61], off
	s_or_b64 exec, exec, s[36:37]
	s_and_saveexec_b64 s[36:37], s[50:51]
	s_cbranch_execnz .LBB529_303
.LBB529_288:                            ;   in Loop: Header=BB529_106 Depth=2
	s_or_b64 exec, exec, s[36:37]
	s_and_saveexec_b64 s[36:37], s[52:53]
	s_cbranch_execz .LBB529_304
.LBB529_289:                            ;   in Loop: Header=BB529_106 Depth=2
	v_lshlrev_b32_e32 v60, 2, v139
	ds_read_b32 v62, v60
	v_add_u32_e32 v60, v72, v3
	ds_read_b64 v[60:61], v60 offset:16384
	v_mov_b32_e32 v63, v4
	v_mov_b32_e32 v151, s81
	s_waitcnt lgkmcnt(1)
	v_add_u32_e32 v62, v62, v14
	v_lshlrev_b64 v[62:63], 3, v[62:63]
	v_add_co_u32_e32 v62, vcc, s80, v62
	v_addc_co_u32_e32 v63, vcc, v151, v63, vcc
	s_waitcnt lgkmcnt(0)
	global_store_dwordx2 v[62:63], v[60:61], off
	s_or_b64 exec, exec, s[36:37]
	s_and_saveexec_b64 s[36:37], s[54:55]
	s_cbranch_execnz .LBB529_305
.LBB529_290:                            ;   in Loop: Header=BB529_106 Depth=2
	s_or_b64 exec, exec, s[36:37]
	s_and_saveexec_b64 s[36:37], s[56:57]
	s_cbranch_execz .LBB529_306
.LBB529_291:                            ;   in Loop: Header=BB529_106 Depth=2
	v_lshlrev_b32_e32 v60, 2, v137
	ds_read_b32 v62, v60
	v_add_u32_e32 v60, v72, v3
	ds_read_b64 v[60:61], v60 offset:20480
	v_mov_b32_e32 v63, v4
	v_mov_b32_e32 v151, s81
	s_waitcnt lgkmcnt(1)
	v_add_u32_e32 v62, v62, v18
	v_lshlrev_b64 v[62:63], 3, v[62:63]
	v_add_co_u32_e32 v62, vcc, s80, v62
	v_addc_co_u32_e32 v63, vcc, v151, v63, vcc
	s_waitcnt lgkmcnt(0)
	global_store_dwordx2 v[62:63], v[60:61], off
	s_or_b64 exec, exec, s[36:37]
	s_and_saveexec_b64 s[36:37], s[58:59]
	s_cbranch_execnz .LBB529_307
.LBB529_292:                            ;   in Loop: Header=BB529_106 Depth=2
	s_or_b64 exec, exec, s[36:37]
	s_and_saveexec_b64 s[36:37], s[60:61]
	s_cbranch_execz .LBB529_308
.LBB529_293:                            ;   in Loop: Header=BB529_106 Depth=2
	v_lshlrev_b32_e32 v60, 2, v135
	ds_read_b32 v62, v60
	v_add_u32_e32 v60, v72, v3
	ds_read_b64 v[60:61], v60 offset:24576
	v_mov_b32_e32 v63, v4
	v_mov_b32_e32 v151, s81
	s_waitcnt lgkmcnt(1)
	v_add_u32_e32 v62, v62, v22
	v_lshlrev_b64 v[62:63], 3, v[62:63]
	v_add_co_u32_e32 v62, vcc, s80, v62
	v_addc_co_u32_e32 v63, vcc, v151, v63, vcc
	s_waitcnt lgkmcnt(0)
	global_store_dwordx2 v[62:63], v[60:61], off
	s_or_b64 exec, exec, s[36:37]
	s_and_saveexec_b64 s[36:37], s[62:63]
	s_cbranch_execnz .LBB529_309
.LBB529_294:                            ;   in Loop: Header=BB529_106 Depth=2
	s_or_b64 exec, exec, s[36:37]
	s_and_saveexec_b64 s[36:37], s[64:65]
	s_cbranch_execz .LBB529_310
.LBB529_295:                            ;   in Loop: Header=BB529_106 Depth=2
	v_lshlrev_b32_e32 v60, 2, v133
	ds_read_b32 v62, v60
	v_add_u32_e32 v60, v72, v3
	ds_read_b64 v[60:61], v60 offset:28672
	v_mov_b32_e32 v63, v4
	v_mov_b32_e32 v151, s81
	s_waitcnt lgkmcnt(1)
	v_add_u32_e32 v62, v62, v26
	v_lshlrev_b64 v[62:63], 3, v[62:63]
	v_add_co_u32_e32 v62, vcc, s80, v62
	v_addc_co_u32_e32 v63, vcc, v151, v63, vcc
	s_waitcnt lgkmcnt(0)
	global_store_dwordx2 v[62:63], v[60:61], off
	s_or_b64 exec, exec, s[36:37]
	s_and_saveexec_b64 s[36:37], s[66:67]
	s_cbranch_execnz .LBB529_311
	s_branch .LBB529_312
.LBB529_296:                            ;   in Loop: Header=BB529_106 Depth=2
	s_or_b64 exec, exec, s[78:79]
	s_and_saveexec_b64 s[36:37], s[38:39]
	s_cbranch_execz .LBB529_282
.LBB529_297:                            ;   in Loop: Header=BB529_106 Depth=2
	v_lshlrev_b32_e32 v60, 2, v147
	ds_read_b32 v62, v60
	v_add_u32_e32 v60, v72, v3
	ds_read_b64 v[60:61], v60 offset:2048
	v_mov_b32_e32 v63, v4
	v_mov_b32_e32 v151, s81
	s_waitcnt lgkmcnt(1)
	v_add_u32_e32 v62, v62, v7
	v_lshlrev_b64 v[62:63], 3, v[62:63]
	v_add_co_u32_e32 v62, vcc, s80, v62
	v_addc_co_u32_e32 v63, vcc, v151, v63, vcc
	s_waitcnt lgkmcnt(0)
	global_store_dwordx2 v[62:63], v[60:61], off
	s_or_b64 exec, exec, s[36:37]
	s_and_saveexec_b64 s[36:37], s[40:41]
	s_cbranch_execnz .LBB529_283
.LBB529_298:                            ;   in Loop: Header=BB529_106 Depth=2
	s_or_b64 exec, exec, s[36:37]
	s_and_saveexec_b64 s[36:37], s[42:43]
	s_cbranch_execz .LBB529_284
.LBB529_299:                            ;   in Loop: Header=BB529_106 Depth=2
	v_lshlrev_b32_e32 v60, 2, v144
	ds_read_b32 v62, v60
	v_add_u32_e32 v60, v72, v3
	ds_read_b64 v[60:61], v60 offset:6144
	v_mov_b32_e32 v63, v4
	v_mov_b32_e32 v151, s81
	s_waitcnt lgkmcnt(1)
	v_add_u32_e32 v62, v62, v11
	v_lshlrev_b64 v[62:63], 3, v[62:63]
	v_add_co_u32_e32 v62, vcc, s80, v62
	v_addc_co_u32_e32 v63, vcc, v151, v63, vcc
	s_waitcnt lgkmcnt(0)
	global_store_dwordx2 v[62:63], v[60:61], off
	s_or_b64 exec, exec, s[36:37]
	s_and_saveexec_b64 s[36:37], s[44:45]
	s_cbranch_execnz .LBB529_285
.LBB529_300:                            ;   in Loop: Header=BB529_106 Depth=2
	s_or_b64 exec, exec, s[36:37]
	s_and_saveexec_b64 s[36:37], s[46:47]
	s_cbranch_execz .LBB529_286
.LBB529_301:                            ;   in Loop: Header=BB529_106 Depth=2
	v_lshlrev_b32_e32 v60, 2, v142
	ds_read_b32 v62, v60
	v_add_u32_e32 v60, v72, v3
	ds_read_b64 v[60:61], v60 offset:10240
	v_mov_b32_e32 v63, v4
	v_mov_b32_e32 v151, s81
	s_waitcnt lgkmcnt(1)
	v_add_u32_e32 v62, v62, v8
	v_lshlrev_b64 v[62:63], 3, v[62:63]
	v_add_co_u32_e32 v62, vcc, s80, v62
	v_addc_co_u32_e32 v63, vcc, v151, v63, vcc
	s_waitcnt lgkmcnt(0)
	global_store_dwordx2 v[62:63], v[60:61], off
	s_or_b64 exec, exec, s[36:37]
	s_and_saveexec_b64 s[36:37], s[48:49]
	s_cbranch_execnz .LBB529_287
.LBB529_302:                            ;   in Loop: Header=BB529_106 Depth=2
	s_or_b64 exec, exec, s[36:37]
	s_and_saveexec_b64 s[36:37], s[50:51]
	s_cbranch_execz .LBB529_288
.LBB529_303:                            ;   in Loop: Header=BB529_106 Depth=2
	v_lshlrev_b32_e32 v60, 2, v140
	ds_read_b32 v62, v60
	v_add_u32_e32 v60, v72, v3
	ds_read_b64 v[60:61], v60 offset:14336
	v_mov_b32_e32 v63, v4
	v_mov_b32_e32 v151, s81
	s_waitcnt lgkmcnt(1)
	v_add_u32_e32 v62, v62, v12
	v_lshlrev_b64 v[62:63], 3, v[62:63]
	v_add_co_u32_e32 v62, vcc, s80, v62
	v_addc_co_u32_e32 v63, vcc, v151, v63, vcc
	s_waitcnt lgkmcnt(0)
	global_store_dwordx2 v[62:63], v[60:61], off
	s_or_b64 exec, exec, s[36:37]
	s_and_saveexec_b64 s[36:37], s[52:53]
	s_cbranch_execnz .LBB529_289
.LBB529_304:                            ;   in Loop: Header=BB529_106 Depth=2
	s_or_b64 exec, exec, s[36:37]
	s_and_saveexec_b64 s[36:37], s[54:55]
	s_cbranch_execz .LBB529_290
.LBB529_305:                            ;   in Loop: Header=BB529_106 Depth=2
	v_lshlrev_b32_e32 v60, 2, v138
	ds_read_b32 v62, v60
	v_add_u32_e32 v60, v72, v3
	ds_read_b64 v[60:61], v60 offset:18432
	v_mov_b32_e32 v63, v4
	v_mov_b32_e32 v151, s81
	s_waitcnt lgkmcnt(1)
	v_add_u32_e32 v62, v62, v16
	v_lshlrev_b64 v[62:63], 3, v[62:63]
	v_add_co_u32_e32 v62, vcc, s80, v62
	v_addc_co_u32_e32 v63, vcc, v151, v63, vcc
	s_waitcnt lgkmcnt(0)
	global_store_dwordx2 v[62:63], v[60:61], off
	s_or_b64 exec, exec, s[36:37]
	s_and_saveexec_b64 s[36:37], s[56:57]
	s_cbranch_execnz .LBB529_291
.LBB529_306:                            ;   in Loop: Header=BB529_106 Depth=2
	s_or_b64 exec, exec, s[36:37]
	s_and_saveexec_b64 s[36:37], s[58:59]
	s_cbranch_execz .LBB529_292
.LBB529_307:                            ;   in Loop: Header=BB529_106 Depth=2
	v_lshlrev_b32_e32 v60, 2, v136
	ds_read_b32 v62, v60
	v_add_u32_e32 v60, v72, v3
	ds_read_b64 v[60:61], v60 offset:22528
	v_mov_b32_e32 v63, v4
	v_mov_b32_e32 v151, s81
	s_waitcnt lgkmcnt(1)
	v_add_u32_e32 v62, v62, v20
	v_lshlrev_b64 v[62:63], 3, v[62:63]
	v_add_co_u32_e32 v62, vcc, s80, v62
	v_addc_co_u32_e32 v63, vcc, v151, v63, vcc
	s_waitcnt lgkmcnt(0)
	global_store_dwordx2 v[62:63], v[60:61], off
	s_or_b64 exec, exec, s[36:37]
	s_and_saveexec_b64 s[36:37], s[60:61]
	s_cbranch_execnz .LBB529_293
.LBB529_308:                            ;   in Loop: Header=BB529_106 Depth=2
	s_or_b64 exec, exec, s[36:37]
	s_and_saveexec_b64 s[36:37], s[62:63]
	s_cbranch_execz .LBB529_294
.LBB529_309:                            ;   in Loop: Header=BB529_106 Depth=2
	v_lshlrev_b32_e32 v60, 2, v134
	ds_read_b32 v62, v60
	v_add_u32_e32 v60, v72, v3
	ds_read_b64 v[60:61], v60 offset:26624
	v_mov_b32_e32 v63, v4
	v_mov_b32_e32 v151, s81
	s_waitcnt lgkmcnt(1)
	v_add_u32_e32 v62, v62, v24
	v_lshlrev_b64 v[62:63], 3, v[62:63]
	v_add_co_u32_e32 v62, vcc, s80, v62
	v_addc_co_u32_e32 v63, vcc, v151, v63, vcc
	s_waitcnt lgkmcnt(0)
	global_store_dwordx2 v[62:63], v[60:61], off
	s_or_b64 exec, exec, s[36:37]
	s_and_saveexec_b64 s[36:37], s[64:65]
	s_cbranch_execnz .LBB529_295
.LBB529_310:                            ;   in Loop: Header=BB529_106 Depth=2
	s_or_b64 exec, exec, s[36:37]
	s_and_saveexec_b64 s[36:37], s[66:67]
	s_cbranch_execz .LBB529_312
.LBB529_311:                            ;   in Loop: Header=BB529_106 Depth=2
	v_lshlrev_b32_e32 v60, 2, v132
	ds_read_b32 v62, v60
	v_add_u32_e32 v60, v72, v3
	ds_read_b64 v[60:61], v60 offset:30720
	v_mov_b32_e32 v63, v4
	v_mov_b32_e32 v151, s81
	s_waitcnt lgkmcnt(1)
	v_add_u32_e32 v62, v62, v28
	v_lshlrev_b64 v[62:63], 3, v[62:63]
	v_add_co_u32_e32 v62, vcc, s80, v62
	v_addc_co_u32_e32 v63, vcc, v151, v63, vcc
	s_waitcnt lgkmcnt(0)
	global_store_dwordx2 v[62:63], v[60:61], off
.LBB529_312:                            ;   in Loop: Header=BB529_106 Depth=2
	s_or_b64 exec, exec, s[36:37]
	s_barrier
	s_and_saveexec_b64 s[36:37], s[4:5]
	s_cbranch_execz .LBB529_105
; %bb.313:                              ;   in Loop: Header=BB529_106 Depth=2
	ds_read_b32 v60, v3
	s_waitcnt lgkmcnt(0)
	v_add_u32_e32 v5, v60, v5
	ds_write_b32 v3, v5
	s_branch .LBB529_105
.LBB529_314:                            ;   in Loop: Header=BB529_20 Depth=1
	s_waitcnt lgkmcnt(0)
	s_barrier
	s_mov_b64 s[16:17], 0
.LBB529_315:                            ;   in Loop: Header=BB529_20 Depth=1
	s_and_b64 vcc, exec, s[16:17]
	s_cbranch_vccz .LBB529_609
; %bb.316:                              ;   in Loop: Header=BB529_20 Depth=1
	s_mov_b32 s22, s87
	s_mov_b32 s88, s69
	s_barrier
	s_waitcnt lgkmcnt(0)
                                        ; implicit-def: $vgpr44
                                        ; implicit-def: $vgpr5
                                        ; implicit-def: $vgpr30
                                        ; implicit-def: $vgpr31
                                        ; implicit-def: $vgpr32
                                        ; implicit-def: $vgpr33
                                        ; implicit-def: $vgpr34
                                        ; implicit-def: $vgpr35
                                        ; implicit-def: $vgpr36
                                        ; implicit-def: $vgpr37
                                        ; implicit-def: $vgpr38
                                        ; implicit-def: $vgpr39
                                        ; implicit-def: $vgpr40
                                        ; implicit-def: $vgpr41
                                        ; implicit-def: $vgpr42
                                        ; implicit-def: $vgpr43
	s_branch .LBB529_318
.LBB529_317:                            ;   in Loop: Header=BB529_318 Depth=2
	s_or_b64 exec, exec, s[16:17]
	s_addk_i32 s22, 0xf000
	s_cmp_ge_u32 s23, s92
	s_mov_b32 s88, s23
	s_cbranch_scc1 .LBB529_388
.LBB529_318:                            ;   Parent Loop BB529_20 Depth=1
                                        ; =>  This Inner Loop Header: Depth=2
	s_add_i32 s23, s88, 0x1000
	s_cmp_gt_u32 s23, s92
	s_cbranch_scc1 .LBB529_321
; %bb.319:                              ;   in Loop: Header=BB529_318 Depth=2
	s_lshl_b64 s[16:17], s[88:89], 2
	v_mov_b32_e32 v1, s17
	v_add_co_u32_e32 v0, vcc, s16, v74
	v_addc_co_u32_e32 v1, vcc, v75, v1, vcc
	s_waitcnt vmcnt(6)
	v_add_co_u32_e32 v54, vcc, 0x1000, v0
	s_waitcnt vmcnt(5)
	v_addc_co_u32_e32 v55, vcc, 0, v1, vcc
	v_add_co_u32_e32 v62, vcc, s84, v0
	v_addc_co_u32_e32 v63, vcc, 0, v1, vcc
	global_load_dword v46, v[0:1], off
	global_load_dword v47, v[0:1], off offset:1024
	global_load_dword v48, v[0:1], off offset:2048
	;; [unrolled: 1-line block ×3, first 2 shown]
	global_load_dword v50, v[54:55], off
	global_load_dword v51, v[54:55], off offset:1024
	global_load_dword v52, v[54:55], off offset:2048
	;; [unrolled: 1-line block ×3, first 2 shown]
	v_add_co_u32_e32 v128, vcc, 0x3000, v0
	v_addc_co_u32_e32 v129, vcc, 0, v1, vcc
	global_load_dword v54, v[62:63], off
	global_load_dword v55, v[62:63], off offset:1024
	global_load_dword v56, v[62:63], off offset:2048
	;; [unrolled: 1-line block ×3, first 2 shown]
	global_load_dword v58, v[128:129], off
	global_load_dword v59, v[128:129], off offset:1024
	global_load_dword v60, v[128:129], off offset:2048
	v_add_co_u32_e32 v0, vcc, 0x3c00, v0
	s_movk_i32 s24, 0x1000
	v_addc_co_u32_e32 v1, vcc, 0, v1, vcc
	s_mov_b64 s[16:17], -1
	s_cbranch_execz .LBB529_322
; %bb.320:                              ;   in Loop: Header=BB529_318 Depth=2
                                        ; implicit-def: $vgpr43
                                        ; implicit-def: $vgpr42
                                        ; implicit-def: $vgpr41
                                        ; implicit-def: $vgpr40
                                        ; implicit-def: $vgpr39
                                        ; implicit-def: $vgpr38
                                        ; implicit-def: $vgpr37
                                        ; implicit-def: $vgpr36
                                        ; implicit-def: $vgpr35
                                        ; implicit-def: $vgpr34
                                        ; implicit-def: $vgpr33
                                        ; implicit-def: $vgpr32
                                        ; implicit-def: $vgpr31
                                        ; implicit-def: $vgpr30
                                        ; implicit-def: $vgpr5
                                        ; implicit-def: $vgpr44
	v_mov_b32_e32 v45, s22
	s_and_saveexec_b64 s[18:19], s[16:17]
	s_cbranch_execnz .LBB529_341
	s_branch .LBB529_342
.LBB529_321:                            ;   in Loop: Header=BB529_318 Depth=2
	s_mov_b64 s[16:17], 0
                                        ; implicit-def: $sgpr24
                                        ; implicit-def: $vgpr46
                                        ; implicit-def: $vgpr47
                                        ; implicit-def: $vgpr48
                                        ; implicit-def: $vgpr49
                                        ; implicit-def: $vgpr50
                                        ; implicit-def: $vgpr51
                                        ; implicit-def: $vgpr52
                                        ; implicit-def: $vgpr53
                                        ; implicit-def: $vgpr54
                                        ; implicit-def: $vgpr55
                                        ; implicit-def: $vgpr56
                                        ; implicit-def: $vgpr57
                                        ; implicit-def: $vgpr58
                                        ; implicit-def: $vgpr59
                                        ; implicit-def: $vgpr60
                                        ; implicit-def: $vgpr0_vgpr1
.LBB529_322:                            ;   in Loop: Header=BB529_318 Depth=2
	s_lshl_b64 s[18:19], s[88:89], 2
	s_add_u32 s18, s74, s18
	s_addc_u32 s19, s75, s19
	v_cmp_gt_u32_e32 vcc, s22, v2
	s_and_saveexec_b64 s[20:21], vcc
	s_cbranch_execz .LBB529_374
; %bb.323:                              ;   in Loop: Header=BB529_318 Depth=2
	global_load_dword v43, v88, s[18:19]
	s_or_b64 exec, exec, s[20:21]
	v_cmp_gt_u32_e32 vcc, s22, v7
	s_and_saveexec_b64 s[20:21], vcc
	s_cbranch_execnz .LBB529_375
.LBB529_324:                            ;   in Loop: Header=BB529_318 Depth=2
	s_or_b64 exec, exec, s[20:21]
	v_cmp_gt_u32_e32 vcc, s22, v9
	s_and_saveexec_b64 s[20:21], vcc
	s_cbranch_execz .LBB529_376
.LBB529_325:                            ;   in Loop: Header=BB529_318 Depth=2
	global_load_dword v41, v88, s[18:19] offset:2048
	s_or_b64 exec, exec, s[20:21]
	v_cmp_gt_u32_e32 vcc, s22, v11
	s_and_saveexec_b64 s[20:21], vcc
	s_cbranch_execnz .LBB529_377
.LBB529_326:                            ;   in Loop: Header=BB529_318 Depth=2
	s_or_b64 exec, exec, s[20:21]
	v_cmp_gt_u32_e32 vcc, s22, v6
	s_and_saveexec_b64 s[20:21], vcc
	s_cbranch_execz .LBB529_378
.LBB529_327:                            ;   in Loop: Header=BB529_318 Depth=2
	global_load_dword v39, v89, s[18:19]
	s_or_b64 exec, exec, s[20:21]
	v_cmp_gt_u32_e32 vcc, s22, v8
	s_and_saveexec_b64 s[20:21], vcc
	s_cbranch_execnz .LBB529_379
.LBB529_328:                            ;   in Loop: Header=BB529_318 Depth=2
	s_or_b64 exec, exec, s[20:21]
	v_cmp_gt_u32_e32 vcc, s22, v10
	s_and_saveexec_b64 s[20:21], vcc
	s_cbranch_execz .LBB529_380
.LBB529_329:                            ;   in Loop: Header=BB529_318 Depth=2
	global_load_dword v37, v91, s[18:19]
	s_or_b64 exec, exec, s[20:21]
	v_cmp_gt_u32_e32 vcc, s22, v12
	s_and_saveexec_b64 s[20:21], vcc
	s_cbranch_execnz .LBB529_381
.LBB529_330:                            ;   in Loop: Header=BB529_318 Depth=2
	s_or_b64 exec, exec, s[20:21]
	v_cmp_gt_u32_e32 vcc, s22, v14
	s_and_saveexec_b64 s[20:21], vcc
	s_cbranch_execz .LBB529_382
.LBB529_331:                            ;   in Loop: Header=BB529_318 Depth=2
	global_load_dword v35, v93, s[18:19]
	s_or_b64 exec, exec, s[20:21]
	v_cmp_gt_u32_e32 vcc, s22, v16
	s_and_saveexec_b64 s[20:21], vcc
	s_cbranch_execnz .LBB529_383
.LBB529_332:                            ;   in Loop: Header=BB529_318 Depth=2
	s_or_b64 exec, exec, s[20:21]
	v_cmp_gt_u32_e32 vcc, s22, v18
	s_and_saveexec_b64 s[20:21], vcc
	s_cbranch_execz .LBB529_384
.LBB529_333:                            ;   in Loop: Header=BB529_318 Depth=2
	global_load_dword v33, v95, s[18:19]
	s_or_b64 exec, exec, s[20:21]
	v_cmp_gt_u32_e32 vcc, s22, v20
	s_and_saveexec_b64 s[20:21], vcc
	s_cbranch_execnz .LBB529_385
.LBB529_334:                            ;   in Loop: Header=BB529_318 Depth=2
	s_or_b64 exec, exec, s[20:21]
	v_cmp_gt_u32_e32 vcc, s22, v22
	s_and_saveexec_b64 s[20:21], vcc
	s_cbranch_execz .LBB529_386
.LBB529_335:                            ;   in Loop: Header=BB529_318 Depth=2
	global_load_dword v31, v97, s[18:19]
	s_or_b64 exec, exec, s[20:21]
	v_cmp_gt_u32_e32 vcc, s22, v24
	s_and_saveexec_b64 s[20:21], vcc
	s_cbranch_execnz .LBB529_387
.LBB529_336:                            ;   in Loop: Header=BB529_318 Depth=2
	s_or_b64 exec, exec, s[20:21]
	v_cmp_gt_u32_e32 vcc, s22, v26
	s_and_saveexec_b64 s[20:21], vcc
	s_cbranch_execz .LBB529_338
.LBB529_337:                            ;   in Loop: Header=BB529_318 Depth=2
	global_load_dword v5, v99, s[18:19]
.LBB529_338:                            ;   in Loop: Header=BB529_318 Depth=2
	s_or_b64 exec, exec, s[20:21]
	v_cmp_gt_u32_e32 vcc, s22, v28
                                        ; implicit-def: $sgpr24
                                        ; implicit-def: $vgpr0_vgpr1
	s_and_saveexec_b64 s[20:21], vcc
; %bb.339:                              ;   in Loop: Header=BB529_318 Depth=2
	v_mov_b32_e32 v1, s19
	v_add_co_u32_e32 v0, vcc, s18, v100
	s_sub_i32 s24, s92, s88
	v_addc_co_u32_e32 v1, vcc, 0, v1, vcc
	s_or_b64 s[16:17], s[16:17], exec
                                        ; implicit-def: $vgpr44
; %bb.340:                              ;   in Loop: Header=BB529_318 Depth=2
	s_or_b64 exec, exec, s[20:21]
	s_waitcnt vmcnt(0)
	v_mov_b32_e32 v46, v43
	v_mov_b32_e32 v47, v42
	;; [unrolled: 1-line block ×16, first 2 shown]
	s_and_saveexec_b64 s[18:19], s[16:17]
	s_cbranch_execz .LBB529_342
.LBB529_341:                            ;   in Loop: Header=BB529_318 Depth=2
	global_load_dword v44, v[0:1], off
	v_mov_b32_e32 v45, s24
	s_waitcnt vmcnt(1)
	v_mov_b32_e32 v5, v60
	v_mov_b32_e32 v30, v59
	;; [unrolled: 1-line block ×15, first 2 shown]
.LBB529_342:                            ;   in Loop: Header=BB529_318 Depth=2
	s_or_b64 exec, exec, s[18:19]
	v_cmp_lt_u32_e32 vcc, v2, v45
	s_and_saveexec_b64 s[16:17], vcc
	s_cbranch_execz .LBB529_358
; %bb.343:                              ;   in Loop: Header=BB529_318 Depth=2
	v_xor_b32_e32 v0, 0x7fffffff, v43
	v_lshrrev_b32_e32 v0, s93, v0
	v_and_b32_e32 v0, s94, v0
	v_lshl_or_b32 v0, v0, 4, v86
	ds_add_u32 v0, v87
	s_or_b64 exec, exec, s[16:17]
	v_cmp_lt_u32_e32 vcc, v7, v45
	s_and_saveexec_b64 s[16:17], vcc
	s_cbranch_execnz .LBB529_359
.LBB529_344:                            ;   in Loop: Header=BB529_318 Depth=2
	s_or_b64 exec, exec, s[16:17]
	v_cmp_lt_u32_e32 vcc, v9, v45
	s_and_saveexec_b64 s[16:17], vcc
	s_cbranch_execz .LBB529_360
.LBB529_345:                            ;   in Loop: Header=BB529_318 Depth=2
	v_xor_b32_e32 v0, 0x7fffffff, v41
	v_lshrrev_b32_e32 v0, s93, v0
	v_and_b32_e32 v0, s94, v0
	v_lshl_or_b32 v0, v0, 4, v86
	ds_add_u32 v0, v87
	s_or_b64 exec, exec, s[16:17]
	v_cmp_lt_u32_e32 vcc, v11, v45
	s_and_saveexec_b64 s[16:17], vcc
	s_cbranch_execnz .LBB529_361
.LBB529_346:                            ;   in Loop: Header=BB529_318 Depth=2
	s_or_b64 exec, exec, s[16:17]
	v_cmp_lt_u32_e32 vcc, v6, v45
	s_and_saveexec_b64 s[16:17], vcc
	s_cbranch_execz .LBB529_362
.LBB529_347:                            ;   in Loop: Header=BB529_318 Depth=2
	v_xor_b32_e32 v0, 0x7fffffff, v39
	v_lshrrev_b32_e32 v0, s93, v0
	v_and_b32_e32 v0, s94, v0
	v_lshl_or_b32 v0, v0, 4, v86
	ds_add_u32 v0, v87
	s_or_b64 exec, exec, s[16:17]
	v_cmp_lt_u32_e32 vcc, v8, v45
	s_and_saveexec_b64 s[16:17], vcc
	s_cbranch_execnz .LBB529_363
.LBB529_348:                            ;   in Loop: Header=BB529_318 Depth=2
	s_or_b64 exec, exec, s[16:17]
	v_cmp_lt_u32_e32 vcc, v10, v45
	s_and_saveexec_b64 s[16:17], vcc
	s_cbranch_execz .LBB529_364
.LBB529_349:                            ;   in Loop: Header=BB529_318 Depth=2
	v_xor_b32_e32 v0, 0x7fffffff, v37
	v_lshrrev_b32_e32 v0, s93, v0
	v_and_b32_e32 v0, s94, v0
	v_lshl_or_b32 v0, v0, 4, v86
	ds_add_u32 v0, v87
	s_or_b64 exec, exec, s[16:17]
	v_cmp_lt_u32_e32 vcc, v12, v45
	s_and_saveexec_b64 s[16:17], vcc
	s_cbranch_execnz .LBB529_365
.LBB529_350:                            ;   in Loop: Header=BB529_318 Depth=2
	s_or_b64 exec, exec, s[16:17]
	v_cmp_lt_u32_e32 vcc, v14, v45
	s_and_saveexec_b64 s[16:17], vcc
	s_cbranch_execz .LBB529_366
.LBB529_351:                            ;   in Loop: Header=BB529_318 Depth=2
	v_xor_b32_e32 v0, 0x7fffffff, v35
	v_lshrrev_b32_e32 v0, s93, v0
	v_and_b32_e32 v0, s94, v0
	v_lshl_or_b32 v0, v0, 4, v86
	ds_add_u32 v0, v87
	s_or_b64 exec, exec, s[16:17]
	v_cmp_lt_u32_e32 vcc, v16, v45
	s_and_saveexec_b64 s[16:17], vcc
	s_cbranch_execnz .LBB529_367
.LBB529_352:                            ;   in Loop: Header=BB529_318 Depth=2
	s_or_b64 exec, exec, s[16:17]
	v_cmp_lt_u32_e32 vcc, v18, v45
	s_and_saveexec_b64 s[16:17], vcc
	s_cbranch_execz .LBB529_368
.LBB529_353:                            ;   in Loop: Header=BB529_318 Depth=2
	v_xor_b32_e32 v0, 0x7fffffff, v33
	v_lshrrev_b32_e32 v0, s93, v0
	v_and_b32_e32 v0, s94, v0
	v_lshl_or_b32 v0, v0, 4, v86
	ds_add_u32 v0, v87
	s_or_b64 exec, exec, s[16:17]
	v_cmp_lt_u32_e32 vcc, v20, v45
	s_and_saveexec_b64 s[16:17], vcc
	s_cbranch_execnz .LBB529_369
.LBB529_354:                            ;   in Loop: Header=BB529_318 Depth=2
	s_or_b64 exec, exec, s[16:17]
	v_cmp_lt_u32_e32 vcc, v22, v45
	s_and_saveexec_b64 s[16:17], vcc
	s_cbranch_execz .LBB529_370
.LBB529_355:                            ;   in Loop: Header=BB529_318 Depth=2
	v_xor_b32_e32 v0, 0x7fffffff, v31
	v_lshrrev_b32_e32 v0, s93, v0
	v_and_b32_e32 v0, s94, v0
	v_lshl_or_b32 v0, v0, 4, v86
	ds_add_u32 v0, v87
	s_or_b64 exec, exec, s[16:17]
	v_cmp_lt_u32_e32 vcc, v24, v45
	s_and_saveexec_b64 s[16:17], vcc
	s_cbranch_execnz .LBB529_371
.LBB529_356:                            ;   in Loop: Header=BB529_318 Depth=2
	s_or_b64 exec, exec, s[16:17]
	v_cmp_lt_u32_e32 vcc, v26, v45
	s_and_saveexec_b64 s[16:17], vcc
	s_cbranch_execz .LBB529_372
.LBB529_357:                            ;   in Loop: Header=BB529_318 Depth=2
	v_xor_b32_e32 v0, 0x7fffffff, v5
	v_lshrrev_b32_e32 v0, s93, v0
	v_and_b32_e32 v0, s94, v0
	v_lshl_or_b32 v0, v0, 4, v86
	ds_add_u32 v0, v87
	s_or_b64 exec, exec, s[16:17]
	v_cmp_lt_u32_e32 vcc, v28, v45
	s_and_saveexec_b64 s[16:17], vcc
	s_cbranch_execz .LBB529_317
	s_branch .LBB529_373
.LBB529_358:                            ;   in Loop: Header=BB529_318 Depth=2
	s_or_b64 exec, exec, s[16:17]
	v_cmp_lt_u32_e32 vcc, v7, v45
	s_and_saveexec_b64 s[16:17], vcc
	s_cbranch_execz .LBB529_344
.LBB529_359:                            ;   in Loop: Header=BB529_318 Depth=2
	v_xor_b32_e32 v0, 0x7fffffff, v42
	v_lshrrev_b32_e32 v0, s93, v0
	v_and_b32_e32 v0, s94, v0
	v_lshl_or_b32 v0, v0, 4, v86
	ds_add_u32 v0, v87
	s_or_b64 exec, exec, s[16:17]
	v_cmp_lt_u32_e32 vcc, v9, v45
	s_and_saveexec_b64 s[16:17], vcc
	s_cbranch_execnz .LBB529_345
.LBB529_360:                            ;   in Loop: Header=BB529_318 Depth=2
	s_or_b64 exec, exec, s[16:17]
	v_cmp_lt_u32_e32 vcc, v11, v45
	s_and_saveexec_b64 s[16:17], vcc
	s_cbranch_execz .LBB529_346
.LBB529_361:                            ;   in Loop: Header=BB529_318 Depth=2
	v_xor_b32_e32 v0, 0x7fffffff, v40
	v_lshrrev_b32_e32 v0, s93, v0
	v_and_b32_e32 v0, s94, v0
	v_lshl_or_b32 v0, v0, 4, v86
	ds_add_u32 v0, v87
	s_or_b64 exec, exec, s[16:17]
	v_cmp_lt_u32_e32 vcc, v6, v45
	s_and_saveexec_b64 s[16:17], vcc
	s_cbranch_execnz .LBB529_347
.LBB529_362:                            ;   in Loop: Header=BB529_318 Depth=2
	s_or_b64 exec, exec, s[16:17]
	v_cmp_lt_u32_e32 vcc, v8, v45
	s_and_saveexec_b64 s[16:17], vcc
	s_cbranch_execz .LBB529_348
.LBB529_363:                            ;   in Loop: Header=BB529_318 Depth=2
	v_xor_b32_e32 v0, 0x7fffffff, v38
	v_lshrrev_b32_e32 v0, s93, v0
	v_and_b32_e32 v0, s94, v0
	v_lshl_or_b32 v0, v0, 4, v86
	ds_add_u32 v0, v87
	s_or_b64 exec, exec, s[16:17]
	v_cmp_lt_u32_e32 vcc, v10, v45
	s_and_saveexec_b64 s[16:17], vcc
	s_cbranch_execnz .LBB529_349
.LBB529_364:                            ;   in Loop: Header=BB529_318 Depth=2
	s_or_b64 exec, exec, s[16:17]
	v_cmp_lt_u32_e32 vcc, v12, v45
	s_and_saveexec_b64 s[16:17], vcc
	s_cbranch_execz .LBB529_350
.LBB529_365:                            ;   in Loop: Header=BB529_318 Depth=2
	v_xor_b32_e32 v0, 0x7fffffff, v36
	v_lshrrev_b32_e32 v0, s93, v0
	v_and_b32_e32 v0, s94, v0
	v_lshl_or_b32 v0, v0, 4, v86
	ds_add_u32 v0, v87
	s_or_b64 exec, exec, s[16:17]
	v_cmp_lt_u32_e32 vcc, v14, v45
	s_and_saveexec_b64 s[16:17], vcc
	s_cbranch_execnz .LBB529_351
.LBB529_366:                            ;   in Loop: Header=BB529_318 Depth=2
	s_or_b64 exec, exec, s[16:17]
	v_cmp_lt_u32_e32 vcc, v16, v45
	s_and_saveexec_b64 s[16:17], vcc
	s_cbranch_execz .LBB529_352
.LBB529_367:                            ;   in Loop: Header=BB529_318 Depth=2
	v_xor_b32_e32 v0, 0x7fffffff, v34
	v_lshrrev_b32_e32 v0, s93, v0
	v_and_b32_e32 v0, s94, v0
	v_lshl_or_b32 v0, v0, 4, v86
	ds_add_u32 v0, v87
	s_or_b64 exec, exec, s[16:17]
	v_cmp_lt_u32_e32 vcc, v18, v45
	s_and_saveexec_b64 s[16:17], vcc
	s_cbranch_execnz .LBB529_353
.LBB529_368:                            ;   in Loop: Header=BB529_318 Depth=2
	s_or_b64 exec, exec, s[16:17]
	v_cmp_lt_u32_e32 vcc, v20, v45
	s_and_saveexec_b64 s[16:17], vcc
	s_cbranch_execz .LBB529_354
.LBB529_369:                            ;   in Loop: Header=BB529_318 Depth=2
	v_xor_b32_e32 v0, 0x7fffffff, v32
	v_lshrrev_b32_e32 v0, s93, v0
	v_and_b32_e32 v0, s94, v0
	v_lshl_or_b32 v0, v0, 4, v86
	ds_add_u32 v0, v87
	s_or_b64 exec, exec, s[16:17]
	v_cmp_lt_u32_e32 vcc, v22, v45
	s_and_saveexec_b64 s[16:17], vcc
	s_cbranch_execnz .LBB529_355
.LBB529_370:                            ;   in Loop: Header=BB529_318 Depth=2
	s_or_b64 exec, exec, s[16:17]
	v_cmp_lt_u32_e32 vcc, v24, v45
	s_and_saveexec_b64 s[16:17], vcc
	s_cbranch_execz .LBB529_356
.LBB529_371:                            ;   in Loop: Header=BB529_318 Depth=2
	v_xor_b32_e32 v0, 0x7fffffff, v30
	v_lshrrev_b32_e32 v0, s93, v0
	v_and_b32_e32 v0, s94, v0
	v_lshl_or_b32 v0, v0, 4, v86
	ds_add_u32 v0, v87
	s_or_b64 exec, exec, s[16:17]
	v_cmp_lt_u32_e32 vcc, v26, v45
	s_and_saveexec_b64 s[16:17], vcc
	s_cbranch_execnz .LBB529_357
.LBB529_372:                            ;   in Loop: Header=BB529_318 Depth=2
	s_or_b64 exec, exec, s[16:17]
	v_cmp_lt_u32_e32 vcc, v28, v45
	s_and_saveexec_b64 s[16:17], vcc
	s_cbranch_execz .LBB529_317
.LBB529_373:                            ;   in Loop: Header=BB529_318 Depth=2
	s_waitcnt vmcnt(0)
	v_xor_b32_e32 v0, 0x7fffffff, v44
	v_lshrrev_b32_e32 v0, s93, v0
	v_and_b32_e32 v0, s94, v0
	v_lshl_or_b32 v0, v0, 4, v86
	ds_add_u32 v0, v87
	s_branch .LBB529_317
.LBB529_374:                            ;   in Loop: Header=BB529_318 Depth=2
	s_or_b64 exec, exec, s[20:21]
	v_cmp_gt_u32_e32 vcc, s22, v7
	s_and_saveexec_b64 s[20:21], vcc
	s_cbranch_execz .LBB529_324
.LBB529_375:                            ;   in Loop: Header=BB529_318 Depth=2
	global_load_dword v42, v88, s[18:19] offset:1024
	s_or_b64 exec, exec, s[20:21]
	v_cmp_gt_u32_e32 vcc, s22, v9
	s_and_saveexec_b64 s[20:21], vcc
	s_cbranch_execnz .LBB529_325
.LBB529_376:                            ;   in Loop: Header=BB529_318 Depth=2
	s_or_b64 exec, exec, s[20:21]
	v_cmp_gt_u32_e32 vcc, s22, v11
	s_and_saveexec_b64 s[20:21], vcc
	s_cbranch_execz .LBB529_326
.LBB529_377:                            ;   in Loop: Header=BB529_318 Depth=2
	global_load_dword v40, v88, s[18:19] offset:3072
	s_or_b64 exec, exec, s[20:21]
	v_cmp_gt_u32_e32 vcc, s22, v6
	s_and_saveexec_b64 s[20:21], vcc
	s_cbranch_execnz .LBB529_327
.LBB529_378:                            ;   in Loop: Header=BB529_318 Depth=2
	s_or_b64 exec, exec, s[20:21]
	v_cmp_gt_u32_e32 vcc, s22, v8
	s_and_saveexec_b64 s[20:21], vcc
	s_cbranch_execz .LBB529_328
.LBB529_379:                            ;   in Loop: Header=BB529_318 Depth=2
	global_load_dword v38, v90, s[18:19]
	s_or_b64 exec, exec, s[20:21]
	v_cmp_gt_u32_e32 vcc, s22, v10
	s_and_saveexec_b64 s[20:21], vcc
	s_cbranch_execnz .LBB529_329
.LBB529_380:                            ;   in Loop: Header=BB529_318 Depth=2
	s_or_b64 exec, exec, s[20:21]
	v_cmp_gt_u32_e32 vcc, s22, v12
	s_and_saveexec_b64 s[20:21], vcc
	s_cbranch_execz .LBB529_330
.LBB529_381:                            ;   in Loop: Header=BB529_318 Depth=2
	global_load_dword v36, v92, s[18:19]
	s_or_b64 exec, exec, s[20:21]
	v_cmp_gt_u32_e32 vcc, s22, v14
	s_and_saveexec_b64 s[20:21], vcc
	s_cbranch_execnz .LBB529_331
.LBB529_382:                            ;   in Loop: Header=BB529_318 Depth=2
	s_or_b64 exec, exec, s[20:21]
	v_cmp_gt_u32_e32 vcc, s22, v16
	s_and_saveexec_b64 s[20:21], vcc
	s_cbranch_execz .LBB529_332
.LBB529_383:                            ;   in Loop: Header=BB529_318 Depth=2
	global_load_dword v34, v94, s[18:19]
	s_or_b64 exec, exec, s[20:21]
	v_cmp_gt_u32_e32 vcc, s22, v18
	s_and_saveexec_b64 s[20:21], vcc
	s_cbranch_execnz .LBB529_333
.LBB529_384:                            ;   in Loop: Header=BB529_318 Depth=2
	s_or_b64 exec, exec, s[20:21]
	v_cmp_gt_u32_e32 vcc, s22, v20
	s_and_saveexec_b64 s[20:21], vcc
	s_cbranch_execz .LBB529_334
.LBB529_385:                            ;   in Loop: Header=BB529_318 Depth=2
	global_load_dword v32, v96, s[18:19]
	s_or_b64 exec, exec, s[20:21]
	v_cmp_gt_u32_e32 vcc, s22, v22
	s_and_saveexec_b64 s[20:21], vcc
	s_cbranch_execnz .LBB529_335
.LBB529_386:                            ;   in Loop: Header=BB529_318 Depth=2
	s_or_b64 exec, exec, s[20:21]
	v_cmp_gt_u32_e32 vcc, s22, v24
	s_and_saveexec_b64 s[20:21], vcc
	s_cbranch_execz .LBB529_336
.LBB529_387:                            ;   in Loop: Header=BB529_318 Depth=2
	global_load_dword v30, v98, s[18:19]
	s_or_b64 exec, exec, s[20:21]
	v_cmp_gt_u32_e32 vcc, s22, v26
	s_and_saveexec_b64 s[20:21], vcc
	s_cbranch_execz .LBB529_338
	s_branch .LBB529_337
.LBB529_388:                            ;   in Loop: Header=BB529_20 Depth=1
	v_mov_b32_e32 v0, 0
	s_waitcnt lgkmcnt(0)
	s_barrier
	s_and_saveexec_b64 s[16:17], s[4:5]
	s_cbranch_execz .LBB529_390
; %bb.389:                              ;   in Loop: Header=BB529_20 Depth=1
	ds_read2_b64 v[30:33], v17 offset1:1
	s_waitcnt lgkmcnt(0)
	v_add_u32_e32 v0, v31, v30
	v_add3_u32 v0, v0, v32, v33
.LBB529_390:                            ;   in Loop: Header=BB529_20 Depth=1
	s_or_b64 exec, exec, s[16:17]
	s_nop 0
	v_mov_b32_dpp v1, v0 row_shr:1 row_mask:0xf bank_mask:0xf
	v_cmp_eq_u32_e64 s[16:17], 0, v102
	v_cndmask_b32_e64 v1, v1, 0, s[16:17]
	v_add_u32_e32 v0, v1, v0
	v_cmp_lt_u32_e64 s[18:19], 1, v102
	v_cmp_lt_u32_e64 s[20:21], 3, v102
	v_mov_b32_dpp v1, v0 row_shr:2 row_mask:0xf bank_mask:0xf
	v_cndmask_b32_e64 v1, 0, v1, s[18:19]
	v_add_u32_e32 v0, v0, v1
	v_cmp_lt_u32_e64 s[22:23], 7, v102
	v_cmp_lt_u32_e64 s[26:27], 31, v101
	v_mov_b32_dpp v1, v0 row_shr:4 row_mask:0xf bank_mask:0xf
	v_cndmask_b32_e64 v1, 0, v1, s[20:21]
	v_add_u32_e32 v0, v0, v1
	v_cmp_eq_u32_e64 s[24:25], 0, v104
	s_nop 0
	v_mov_b32_dpp v1, v0 row_shr:8 row_mask:0xf bank_mask:0xf
	v_cndmask_b32_e64 v1, 0, v1, s[22:23]
	v_add_u32_e32 v0, v0, v1
	s_nop 1
	v_mov_b32_dpp v1, v0 row_bcast:15 row_mask:0xf bank_mask:0xf
	v_and_b32_e32 v1, v103, v1
	v_add_u32_e32 v0, v0, v1
	s_nop 1
	v_mov_b32_dpp v1, v0 row_bcast:31 row_mask:0xf bank_mask:0xf
	v_cndmask_b32_e64 v1, 0, v1, s[26:27]
	v_add_u32_e32 v0, v0, v1
	s_and_saveexec_b64 s[28:29], s[6:7]
	s_cbranch_execz .LBB529_392
; %bb.391:                              ;   in Loop: Header=BB529_20 Depth=1
	ds_write_b32 v21, v0
.LBB529_392:                            ;   in Loop: Header=BB529_20 Depth=1
	s_or_b64 exec, exec, s[28:29]
	s_waitcnt lgkmcnt(0)
	s_barrier
	s_and_saveexec_b64 s[28:29], s[8:9]
	s_cbranch_execz .LBB529_394
; %bb.393:                              ;   in Loop: Header=BB529_20 Depth=1
	ds_read_b32 v1, v23
	v_cmp_ne_u32_e32 vcc, 0, v105
	s_waitcnt lgkmcnt(0)
	v_mov_b32_dpp v5, v1 row_shr:1 row_mask:0xf bank_mask:0xf
	v_cndmask_b32_e32 v5, 0, v5, vcc
	v_add_u32_e32 v1, v5, v1
	v_cmp_lt_u32_e32 vcc, 1, v105
	s_nop 0
	v_mov_b32_dpp v5, v1 row_shr:2 row_mask:0xf bank_mask:0xf
	v_cndmask_b32_e32 v5, 0, v5, vcc
	v_add_u32_e32 v1, v1, v5
	ds_write_b32 v23, v1
.LBB529_394:                            ;   in Loop: Header=BB529_20 Depth=1
	s_or_b64 exec, exec, s[28:29]
	v_mov_b32_e32 v1, 0
	s_waitcnt lgkmcnt(0)
	s_barrier
	s_and_saveexec_b64 s[28:29], s[10:11]
	s_cbranch_execz .LBB529_396
; %bb.395:                              ;   in Loop: Header=BB529_20 Depth=1
	ds_read_b32 v1, v25
.LBB529_396:                            ;   in Loop: Header=BB529_20 Depth=1
	s_or_b64 exec, exec, s[28:29]
	v_cmp_lt_i32_e32 vcc, v106, v107
	v_cndmask_b32_e32 v5, v106, v101, vcc
	s_waitcnt lgkmcnt(0)
	v_add_u32_e32 v0, v1, v0
	v_lshlrev_b32_e32 v127, 2, v5
	ds_bpermute_b32 v0, v127, v0
	v_cmp_eq_u32_e64 s[28:29], 0, v101
	s_waitcnt lgkmcnt(0)
	s_barrier
	s_and_saveexec_b64 s[30:31], s[4:5]
	s_cbranch_execz .LBB529_398
; %bb.397:                              ;   in Loop: Header=BB529_20 Depth=1
	v_cndmask_b32_e64 v0, v0, v1, s[28:29]
	v_add_u32_e32 v0, s69, v0
	ds_write_b32 v3, v0
.LBB529_398:                            ;   in Loop: Header=BB529_20 Depth=1
	s_or_b64 exec, exec, s[30:31]
	s_load_dwordx2 s[30:31], s[90:91], 0x0
	v_add_co_u32_e32 v128, vcc, v76, v108
	v_addc_co_u32_e32 v129, vcc, 0, v77, vcc
	s_waitcnt lgkmcnt(0)
	s_cmp_lt_u32 s68, s30
	s_cselect_b32 s34, 12, 18
	s_cmp_lt_u32 s33, s31
	s_cselect_b32 s30, 14, 20
	s_add_u32 s30, s90, s30
	s_addc_u32 s31, s91, 0
	s_add_u32 s34, s90, s34
	global_load_ushort v5, v4, s[30:31]
	s_addc_u32 s35, s91, 0
	global_load_ushort v60, v4, s[34:35]
	v_add_co_u32_e32 v130, vcc, v78, v125
	v_addc_co_u32_e32 v131, vcc, 0, v79, vcc
	v_add_co_u32_e32 v145, vcc, 0xf00, v130
	v_cmp_eq_u32_e64 s[30:31], 0, v105
	v_cmp_lt_u32_e64 s[34:35], 1, v105
	s_mov_b32 s95, s87
	v_addc_co_u32_e32 v148, vcc, 0, v131, vcc
	s_mov_b32 s88, s69
                                        ; implicit-def: $vgpr0_vgpr1
                                        ; implicit-def: $vgpr30_vgpr31
                                        ; implicit-def: $vgpr32_vgpr33
                                        ; implicit-def: $vgpr36_vgpr37
                                        ; implicit-def: $vgpr40_vgpr41
                                        ; implicit-def: $vgpr44_vgpr45
                                        ; implicit-def: $vgpr48_vgpr49
                                        ; implicit-def: $vgpr52_vgpr53
                                        ; implicit-def: $vgpr34_vgpr35
                                        ; implicit-def: $vgpr38_vgpr39
                                        ; implicit-def: $vgpr42_vgpr43
                                        ; implicit-def: $vgpr46_vgpr47
                                        ; implicit-def: $vgpr50_vgpr51
                                        ; implicit-def: $vgpr54_vgpr55
                                        ; implicit-def: $vgpr56_vgpr57
                                        ; implicit-def: $vgpr58_vgpr59
                                        ; implicit-def: $vgpr132
                                        ; implicit-def: $vgpr133
                                        ; implicit-def: $vgpr134
                                        ; implicit-def: $vgpr135
                                        ; implicit-def: $vgpr136
                                        ; implicit-def: $vgpr137
                                        ; implicit-def: $vgpr138
                                        ; implicit-def: $vgpr139
                                        ; implicit-def: $vgpr140
                                        ; implicit-def: $vgpr141
                                        ; implicit-def: $vgpr142
                                        ; implicit-def: $vgpr143
                                        ; implicit-def: $vgpr144
                                        ; implicit-def: $vgpr146
                                        ; implicit-def: $vgpr147
                                        ; implicit-def: $vgpr149
	s_waitcnt vmcnt(1)
	v_mad_u32_u24 v5, v27, v5, v29
	s_waitcnt vmcnt(0)
	v_mad_u64_u32 v[60:61], s[36:37], v5, v60, v[2:3]
	v_lshrrev_b32_e32 v150, 6, v60
	s_branch .LBB529_400
.LBB529_399:                            ;   in Loop: Header=BB529_400 Depth=2
	s_or_b64 exec, exec, s[36:37]
	s_addk_i32 s95, 0xf000
	s_cmp_lt_u32 s96, s92
	s_mov_b32 s88, s96
	s_cbranch_scc0 .LBB529_608
.LBB529_400:                            ;   Parent Loop BB529_20 Depth=1
                                        ; =>  This Inner Loop Header: Depth=2
	s_add_i32 s96, s88, 0x1000
	s_cmp_gt_u32 s96, s92
	s_cbranch_scc1 .LBB529_403
; %bb.401:                              ;   in Loop: Header=BB529_400 Depth=2
	s_lshl_b64 s[36:37], s[88:89], 2
	v_mov_b32_e32 v5, s37
	v_add_co_u32_e32 v60, vcc, s36, v130
	v_addc_co_u32_e32 v61, vcc, v131, v5, vcc
	global_load_dword v5, v[60:61], off
	global_load_dword v154, v[60:61], off offset:256
	global_load_dword v159, v[60:61], off offset:512
	;; [unrolled: 1-line block ×14, first 2 shown]
	s_mov_b64 s[36:37], -1
	s_movk_i32 s40, 0x1000
	s_cbranch_execz .LBB529_404
; %bb.402:                              ;   in Loop: Header=BB529_400 Depth=2
                                        ; implicit-def: $sgpr38
	v_mov_b32_e32 v63, s38
	v_mov_b32_e32 v151, s95
	s_and_saveexec_b64 s[38:39], s[36:37]
	s_cbranch_execnz .LBB529_435
	s_branch .LBB529_436
.LBB529_403:                            ;   in Loop: Header=BB529_400 Depth=2
	s_mov_b64 s[36:37], 0
                                        ; implicit-def: $sgpr40
                                        ; implicit-def: $vgpr5
                                        ; implicit-def: $vgpr154
                                        ; implicit-def: $vgpr159
                                        ; implicit-def: $vgpr164
                                        ; implicit-def: $vgpr169
                                        ; implicit-def: $vgpr174
                                        ; implicit-def: $vgpr179
                                        ; implicit-def: $vgpr184
                                        ; implicit-def: $vgpr182
                                        ; implicit-def: $vgpr177
                                        ; implicit-def: $vgpr173
                                        ; implicit-def: $vgpr168
                                        ; implicit-def: $vgpr163
                                        ; implicit-def: $vgpr158
                                        ; implicit-def: $vgpr62
.LBB529_404:                            ;   in Loop: Header=BB529_400 Depth=2
	s_lshl_b64 s[36:37], s[88:89], 2
	s_waitcnt vmcnt(14)
	v_mov_b32_e32 v5, s37
	v_add_co_u32_e32 v60, vcc, s36, v130
	v_addc_co_u32_e32 v61, vcc, v131, v5, vcc
	v_cmp_gt_u32_e32 vcc, s95, v109
	s_waitcnt vmcnt(13)
	v_bfrev_b32_e32 v154, 1
	v_bfrev_b32_e32 v5, 1
	s_and_saveexec_b64 s[36:37], vcc
	s_cbranch_execz .LBB529_406
; %bb.405:                              ;   in Loop: Header=BB529_400 Depth=2
	global_load_dword v5, v[60:61], off
.LBB529_406:                            ;   in Loop: Header=BB529_400 Depth=2
	s_or_b64 exec, exec, s[36:37]
	v_cmp_gt_u32_e32 vcc, s95, v110
	s_and_saveexec_b64 s[36:37], vcc
	s_cbranch_execz .LBB529_408
; %bb.407:                              ;   in Loop: Header=BB529_400 Depth=2
	global_load_dword v154, v[60:61], off offset:256
.LBB529_408:                            ;   in Loop: Header=BB529_400 Depth=2
	s_or_b64 exec, exec, s[36:37]
	v_cmp_gt_u32_e32 vcc, s95, v111
	s_waitcnt vmcnt(11)
	v_bfrev_b32_e32 v164, 1
	v_bfrev_b32_e32 v159, 1
	s_and_saveexec_b64 s[36:37], vcc
	s_cbranch_execz .LBB529_410
; %bb.409:                              ;   in Loop: Header=BB529_400 Depth=2
	global_load_dword v159, v[60:61], off offset:512
.LBB529_410:                            ;   in Loop: Header=BB529_400 Depth=2
	s_or_b64 exec, exec, s[36:37]
	v_cmp_gt_u32_e32 vcc, s95, v112
	s_and_saveexec_b64 s[36:37], vcc
	s_cbranch_execz .LBB529_412
; %bb.411:                              ;   in Loop: Header=BB529_400 Depth=2
	global_load_dword v164, v[60:61], off offset:768
.LBB529_412:                            ;   in Loop: Header=BB529_400 Depth=2
	s_or_b64 exec, exec, s[36:37]
	v_cmp_gt_u32_e32 vcc, s95, v113
	s_waitcnt vmcnt(9)
	v_bfrev_b32_e32 v174, 1
	v_bfrev_b32_e32 v169, 1
	s_and_saveexec_b64 s[36:37], vcc
	s_cbranch_execz .LBB529_414
; %bb.413:                              ;   in Loop: Header=BB529_400 Depth=2
	global_load_dword v169, v[60:61], off offset:1024
.LBB529_414:                            ;   in Loop: Header=BB529_400 Depth=2
	;; [unrolled: 17-line block ×6, first 2 shown]
	s_or_b64 exec, exec, s[36:37]
	v_cmp_gt_u32_e32 vcc, s95, v122
	s_and_saveexec_b64 s[36:37], vcc
	s_cbranch_execz .LBB529_432
; %bb.431:                              ;   in Loop: Header=BB529_400 Depth=2
	global_load_dword v158, v[60:61], off offset:3328
.LBB529_432:                            ;   in Loop: Header=BB529_400 Depth=2
	s_or_b64 exec, exec, s[36:37]
	v_cmp_gt_u32_e32 vcc, s95, v123
	s_waitcnt vmcnt(0)
	v_bfrev_b32_e32 v62, 1
	s_and_saveexec_b64 s[36:37], vcc
	s_cbranch_execz .LBB529_434
; %bb.433:                              ;   in Loop: Header=BB529_400 Depth=2
	global_load_dword v62, v[60:61], off offset:3584
.LBB529_434:                            ;   in Loop: Header=BB529_400 Depth=2
	s_or_b64 exec, exec, s[36:37]
	s_sub_i32 s40, s92, s88
	v_cmp_gt_u32_e64 s[36:37], s95, v124
	s_brev_b32 s38, 1
	v_mov_b32_e32 v63, s38
	v_mov_b32_e32 v151, s95
	s_and_saveexec_b64 s[38:39], s[36:37]
	s_cbranch_execz .LBB529_436
.LBB529_435:                            ;   in Loop: Header=BB529_400 Depth=2
	s_lshl_b64 s[36:37], s[88:89], 2
	v_mov_b32_e32 v61, s37
	v_add_co_u32_e32 v60, vcc, s36, v145
	v_addc_co_u32_e32 v61, vcc, v148, v61, vcc
	global_load_dword v63, v[60:61], off
	v_mov_b32_e32 v151, s40
.LBB529_436:                            ;   in Loop: Header=BB529_400 Depth=2
	s_or_b64 exec, exec, s[38:39]
	s_waitcnt vmcnt(14)
	v_xor_b32_e32 v152, 0x7fffffff, v5
	v_lshrrev_b32_e32 v5, s93, v152
	v_and_b32_e32 v60, s94, v5
	v_mad_u32_u24 v5, v60, 5, v150
	v_lshl_add_u32 v153, v5, 2, v65
	v_and_b32_e32 v5, 1, v60
	v_add_co_u32_e32 v61, vcc, -1, v5
	v_addc_co_u32_e64 v155, s[36:37], 0, -1, vcc
	v_cmp_ne_u32_e32 vcc, 0, v5
	v_xor_b32_e32 v5, vcc_hi, v155
	v_and_b32_e32 v155, exec_hi, v5
	v_lshlrev_b32_e32 v5, 30, v60
	v_xor_b32_e32 v61, vcc_lo, v61
	v_cmp_gt_i64_e32 vcc, 0, v[4:5]
	v_not_b32_e32 v5, v5
	v_ashrrev_i32_e32 v5, 31, v5
	v_and_b32_e32 v61, exec_lo, v61
	v_xor_b32_e32 v156, vcc_hi, v5
	v_xor_b32_e32 v5, vcc_lo, v5
	v_and_b32_e32 v61, v61, v5
	v_lshlrev_b32_e32 v5, 29, v60
	v_cmp_gt_i64_e32 vcc, 0, v[4:5]
	v_not_b32_e32 v5, v5
	v_ashrrev_i32_e32 v5, 31, v5
	v_and_b32_e32 v155, v155, v156
	v_xor_b32_e32 v156, vcc_hi, v5
	v_xor_b32_e32 v5, vcc_lo, v5
	v_and_b32_e32 v61, v61, v5
	v_lshlrev_b32_e32 v5, 28, v60
	v_cmp_gt_i64_e32 vcc, 0, v[4:5]
	v_not_b32_e32 v5, v5
	v_ashrrev_i32_e32 v5, 31, v5
	v_and_b32_e32 v155, v155, v156
	;; [unrolled: 8-line block ×5, first 2 shown]
	v_xor_b32_e32 v156, vcc_hi, v5
	v_xor_b32_e32 v5, vcc_lo, v5
	v_and_b32_e32 v155, v155, v156
	v_and_b32_e32 v156, v61, v5
	v_lshlrev_b32_e32 v5, 24, v60
	v_cmp_gt_i64_e32 vcc, 0, v[4:5]
	v_not_b32_e32 v5, v5
	v_ashrrev_i32_e32 v5, 31, v5
	v_xor_b32_e32 v60, vcc_hi, v5
	v_xor_b32_e32 v5, vcc_lo, v5
	v_and_b32_e32 v61, v155, v60
	v_and_b32_e32 v60, v156, v5
	v_mbcnt_lo_u32_b32 v5, v60, 0
	v_mbcnt_hi_u32_b32 v155, v61, v5
	v_cmp_eq_u32_e32 vcc, 0, v155
	v_cmp_ne_u64_e64 s[36:37], 0, v[60:61]
	s_and_b64 s[38:39], s[36:37], vcc
	ds_write2_b32 v126, v4, v4 offset1:1
	ds_write2_b32 v66, v4, v4 offset0:2 offset1:3
	ds_write_b32 v66, v4 offset:16
	s_waitcnt lgkmcnt(0)
	s_barrier
	s_waitcnt lgkmcnt(0)
	; wave barrier
	s_and_saveexec_b64 s[36:37], s[38:39]
	s_cbranch_execz .LBB529_438
; %bb.437:                              ;   in Loop: Header=BB529_400 Depth=2
	v_bcnt_u32_b32 v5, v60, 0
	v_bcnt_u32_b32 v5, v61, v5
	ds_write_b32 v153, v5
.LBB529_438:                            ;   in Loop: Header=BB529_400 Depth=2
	s_or_b64 exec, exec, s[36:37]
	s_waitcnt vmcnt(13)
	v_xor_b32_e32 v154, 0x7fffffff, v154
	v_lshrrev_b32_e32 v5, s93, v154
	v_and_b32_e32 v60, s94, v5
	v_mul_u32_u24_e32 v5, 5, v60
	v_add_lshl_u32 v5, v5, v150, 2
	; wave barrier
	v_add_u32_e32 v157, 0x410, v5
	ds_read_b32 v156, v5 offset:1040
	v_and_b32_e32 v5, 1, v60
	v_add_co_u32_e32 v61, vcc, -1, v5
	v_addc_co_u32_e64 v160, s[36:37], 0, -1, vcc
	v_cmp_ne_u32_e32 vcc, 0, v5
	v_xor_b32_e32 v5, vcc_hi, v160
	v_and_b32_e32 v160, exec_hi, v5
	v_lshlrev_b32_e32 v5, 30, v60
	v_xor_b32_e32 v61, vcc_lo, v61
	v_cmp_gt_i64_e32 vcc, 0, v[4:5]
	v_not_b32_e32 v5, v5
	v_ashrrev_i32_e32 v5, 31, v5
	v_and_b32_e32 v61, exec_lo, v61
	v_xor_b32_e32 v161, vcc_hi, v5
	v_xor_b32_e32 v5, vcc_lo, v5
	v_and_b32_e32 v61, v61, v5
	v_lshlrev_b32_e32 v5, 29, v60
	v_cmp_gt_i64_e32 vcc, 0, v[4:5]
	v_not_b32_e32 v5, v5
	v_ashrrev_i32_e32 v5, 31, v5
	v_and_b32_e32 v160, v160, v161
	v_xor_b32_e32 v161, vcc_hi, v5
	v_xor_b32_e32 v5, vcc_lo, v5
	v_and_b32_e32 v61, v61, v5
	v_lshlrev_b32_e32 v5, 28, v60
	v_cmp_gt_i64_e32 vcc, 0, v[4:5]
	v_not_b32_e32 v5, v5
	v_ashrrev_i32_e32 v5, 31, v5
	v_and_b32_e32 v160, v160, v161
	;; [unrolled: 8-line block ×5, first 2 shown]
	v_xor_b32_e32 v161, vcc_hi, v5
	v_xor_b32_e32 v5, vcc_lo, v5
	v_and_b32_e32 v160, v160, v161
	v_and_b32_e32 v161, v61, v5
	v_lshlrev_b32_e32 v5, 24, v60
	v_cmp_gt_i64_e32 vcc, 0, v[4:5]
	v_not_b32_e32 v5, v5
	v_ashrrev_i32_e32 v5, 31, v5
	v_xor_b32_e32 v60, vcc_hi, v5
	v_xor_b32_e32 v5, vcc_lo, v5
	v_and_b32_e32 v61, v160, v60
	v_and_b32_e32 v60, v161, v5
	v_mbcnt_lo_u32_b32 v5, v60, 0
	v_mbcnt_hi_u32_b32 v160, v61, v5
	v_cmp_eq_u32_e32 vcc, 0, v160
	v_cmp_ne_u64_e64 s[36:37], 0, v[60:61]
	s_and_b64 s[38:39], s[36:37], vcc
	; wave barrier
	s_and_saveexec_b64 s[36:37], s[38:39]
	s_cbranch_execz .LBB529_440
; %bb.439:                              ;   in Loop: Header=BB529_400 Depth=2
	v_bcnt_u32_b32 v5, v60, 0
	v_bcnt_u32_b32 v5, v61, v5
	s_waitcnt lgkmcnt(0)
	v_add_u32_e32 v5, v156, v5
	ds_write_b32 v157, v5
.LBB529_440:                            ;   in Loop: Header=BB529_400 Depth=2
	s_or_b64 exec, exec, s[36:37]
	s_waitcnt vmcnt(12)
	v_xor_b32_e32 v159, 0x7fffffff, v159
	v_lshrrev_b32_e32 v5, s93, v159
	v_and_b32_e32 v60, s94, v5
	v_mul_u32_u24_e32 v5, 5, v60
	v_add_lshl_u32 v5, v5, v150, 2
	; wave barrier
	v_add_u32_e32 v162, 0x410, v5
	ds_read_b32 v161, v5 offset:1040
	v_and_b32_e32 v5, 1, v60
	v_add_co_u32_e32 v61, vcc, -1, v5
	v_addc_co_u32_e64 v165, s[36:37], 0, -1, vcc
	v_cmp_ne_u32_e32 vcc, 0, v5
	v_xor_b32_e32 v5, vcc_hi, v165
	v_and_b32_e32 v165, exec_hi, v5
	v_lshlrev_b32_e32 v5, 30, v60
	v_xor_b32_e32 v61, vcc_lo, v61
	v_cmp_gt_i64_e32 vcc, 0, v[4:5]
	v_not_b32_e32 v5, v5
	v_ashrrev_i32_e32 v5, 31, v5
	v_and_b32_e32 v61, exec_lo, v61
	v_xor_b32_e32 v166, vcc_hi, v5
	v_xor_b32_e32 v5, vcc_lo, v5
	v_and_b32_e32 v61, v61, v5
	v_lshlrev_b32_e32 v5, 29, v60
	v_cmp_gt_i64_e32 vcc, 0, v[4:5]
	v_not_b32_e32 v5, v5
	v_ashrrev_i32_e32 v5, 31, v5
	v_and_b32_e32 v165, v165, v166
	v_xor_b32_e32 v166, vcc_hi, v5
	v_xor_b32_e32 v5, vcc_lo, v5
	v_and_b32_e32 v61, v61, v5
	v_lshlrev_b32_e32 v5, 28, v60
	v_cmp_gt_i64_e32 vcc, 0, v[4:5]
	v_not_b32_e32 v5, v5
	v_ashrrev_i32_e32 v5, 31, v5
	v_and_b32_e32 v165, v165, v166
	;; [unrolled: 8-line block ×5, first 2 shown]
	v_xor_b32_e32 v166, vcc_hi, v5
	v_xor_b32_e32 v5, vcc_lo, v5
	v_and_b32_e32 v165, v165, v166
	v_and_b32_e32 v166, v61, v5
	v_lshlrev_b32_e32 v5, 24, v60
	v_cmp_gt_i64_e32 vcc, 0, v[4:5]
	v_not_b32_e32 v5, v5
	v_ashrrev_i32_e32 v5, 31, v5
	v_xor_b32_e32 v60, vcc_hi, v5
	v_xor_b32_e32 v5, vcc_lo, v5
	v_and_b32_e32 v61, v165, v60
	v_and_b32_e32 v60, v166, v5
	v_mbcnt_lo_u32_b32 v5, v60, 0
	v_mbcnt_hi_u32_b32 v165, v61, v5
	v_cmp_eq_u32_e32 vcc, 0, v165
	v_cmp_ne_u64_e64 s[36:37], 0, v[60:61]
	s_and_b64 s[38:39], s[36:37], vcc
	; wave barrier
	s_and_saveexec_b64 s[36:37], s[38:39]
	s_cbranch_execz .LBB529_442
; %bb.441:                              ;   in Loop: Header=BB529_400 Depth=2
	v_bcnt_u32_b32 v5, v60, 0
	v_bcnt_u32_b32 v5, v61, v5
	s_waitcnt lgkmcnt(0)
	v_add_u32_e32 v5, v161, v5
	ds_write_b32 v162, v5
.LBB529_442:                            ;   in Loop: Header=BB529_400 Depth=2
	s_or_b64 exec, exec, s[36:37]
	s_waitcnt vmcnt(11)
	v_xor_b32_e32 v164, 0x7fffffff, v164
	v_lshrrev_b32_e32 v5, s93, v164
	v_and_b32_e32 v60, s94, v5
	v_mul_u32_u24_e32 v5, 5, v60
	v_add_lshl_u32 v5, v5, v150, 2
	; wave barrier
	v_add_u32_e32 v167, 0x410, v5
	ds_read_b32 v166, v5 offset:1040
	v_and_b32_e32 v5, 1, v60
	v_add_co_u32_e32 v61, vcc, -1, v5
	v_addc_co_u32_e64 v170, s[36:37], 0, -1, vcc
	v_cmp_ne_u32_e32 vcc, 0, v5
	v_xor_b32_e32 v5, vcc_hi, v170
	v_and_b32_e32 v170, exec_hi, v5
	v_lshlrev_b32_e32 v5, 30, v60
	v_xor_b32_e32 v61, vcc_lo, v61
	v_cmp_gt_i64_e32 vcc, 0, v[4:5]
	v_not_b32_e32 v5, v5
	v_ashrrev_i32_e32 v5, 31, v5
	v_and_b32_e32 v61, exec_lo, v61
	v_xor_b32_e32 v171, vcc_hi, v5
	v_xor_b32_e32 v5, vcc_lo, v5
	v_and_b32_e32 v61, v61, v5
	v_lshlrev_b32_e32 v5, 29, v60
	v_cmp_gt_i64_e32 vcc, 0, v[4:5]
	v_not_b32_e32 v5, v5
	v_ashrrev_i32_e32 v5, 31, v5
	v_and_b32_e32 v170, v170, v171
	v_xor_b32_e32 v171, vcc_hi, v5
	v_xor_b32_e32 v5, vcc_lo, v5
	v_and_b32_e32 v61, v61, v5
	v_lshlrev_b32_e32 v5, 28, v60
	v_cmp_gt_i64_e32 vcc, 0, v[4:5]
	v_not_b32_e32 v5, v5
	v_ashrrev_i32_e32 v5, 31, v5
	v_and_b32_e32 v170, v170, v171
	v_xor_b32_e32 v171, vcc_hi, v5
	v_xor_b32_e32 v5, vcc_lo, v5
	v_and_b32_e32 v61, v61, v5
	v_lshlrev_b32_e32 v5, 27, v60
	v_cmp_gt_i64_e32 vcc, 0, v[4:5]
	v_not_b32_e32 v5, v5
	v_ashrrev_i32_e32 v5, 31, v5
	v_and_b32_e32 v170, v170, v171
	v_xor_b32_e32 v171, vcc_hi, v5
	v_xor_b32_e32 v5, vcc_lo, v5
	v_and_b32_e32 v61, v61, v5
	v_lshlrev_b32_e32 v5, 26, v60
	v_cmp_gt_i64_e32 vcc, 0, v[4:5]
	v_not_b32_e32 v5, v5
	v_ashrrev_i32_e32 v5, 31, v5
	v_and_b32_e32 v170, v170, v171
	v_xor_b32_e32 v171, vcc_hi, v5
	v_xor_b32_e32 v5, vcc_lo, v5
	v_and_b32_e32 v61, v61, v5
	v_lshlrev_b32_e32 v5, 25, v60
	v_cmp_gt_i64_e32 vcc, 0, v[4:5]
	v_not_b32_e32 v5, v5
	v_ashrrev_i32_e32 v5, 31, v5
	v_and_b32_e32 v170, v170, v171
	v_xor_b32_e32 v171, vcc_hi, v5
	v_xor_b32_e32 v5, vcc_lo, v5
	v_and_b32_e32 v170, v170, v171
	v_and_b32_e32 v171, v61, v5
	v_lshlrev_b32_e32 v5, 24, v60
	v_cmp_gt_i64_e32 vcc, 0, v[4:5]
	v_not_b32_e32 v5, v5
	v_ashrrev_i32_e32 v5, 31, v5
	v_xor_b32_e32 v60, vcc_hi, v5
	v_xor_b32_e32 v5, vcc_lo, v5
	v_and_b32_e32 v61, v170, v60
	v_and_b32_e32 v60, v171, v5
	v_mbcnt_lo_u32_b32 v5, v60, 0
	v_mbcnt_hi_u32_b32 v170, v61, v5
	v_cmp_eq_u32_e32 vcc, 0, v170
	v_cmp_ne_u64_e64 s[36:37], 0, v[60:61]
	s_and_b64 s[38:39], s[36:37], vcc
	; wave barrier
	s_and_saveexec_b64 s[36:37], s[38:39]
	s_cbranch_execz .LBB529_444
; %bb.443:                              ;   in Loop: Header=BB529_400 Depth=2
	v_bcnt_u32_b32 v5, v60, 0
	v_bcnt_u32_b32 v5, v61, v5
	s_waitcnt lgkmcnt(0)
	v_add_u32_e32 v5, v166, v5
	ds_write_b32 v167, v5
.LBB529_444:                            ;   in Loop: Header=BB529_400 Depth=2
	s_or_b64 exec, exec, s[36:37]
	s_waitcnt vmcnt(10)
	v_xor_b32_e32 v169, 0x7fffffff, v169
	v_lshrrev_b32_e32 v5, s93, v169
	v_and_b32_e32 v60, s94, v5
	v_mul_u32_u24_e32 v5, 5, v60
	v_add_lshl_u32 v5, v5, v150, 2
	; wave barrier
	v_add_u32_e32 v172, 0x410, v5
	ds_read_b32 v171, v5 offset:1040
	v_and_b32_e32 v5, 1, v60
	v_add_co_u32_e32 v61, vcc, -1, v5
	v_addc_co_u32_e64 v175, s[36:37], 0, -1, vcc
	v_cmp_ne_u32_e32 vcc, 0, v5
	v_xor_b32_e32 v5, vcc_hi, v175
	v_and_b32_e32 v175, exec_hi, v5
	v_lshlrev_b32_e32 v5, 30, v60
	v_xor_b32_e32 v61, vcc_lo, v61
	v_cmp_gt_i64_e32 vcc, 0, v[4:5]
	v_not_b32_e32 v5, v5
	v_ashrrev_i32_e32 v5, 31, v5
	v_and_b32_e32 v61, exec_lo, v61
	v_xor_b32_e32 v176, vcc_hi, v5
	v_xor_b32_e32 v5, vcc_lo, v5
	v_and_b32_e32 v61, v61, v5
	v_lshlrev_b32_e32 v5, 29, v60
	v_cmp_gt_i64_e32 vcc, 0, v[4:5]
	v_not_b32_e32 v5, v5
	v_ashrrev_i32_e32 v5, 31, v5
	v_and_b32_e32 v175, v175, v176
	v_xor_b32_e32 v176, vcc_hi, v5
	v_xor_b32_e32 v5, vcc_lo, v5
	v_and_b32_e32 v61, v61, v5
	v_lshlrev_b32_e32 v5, 28, v60
	v_cmp_gt_i64_e32 vcc, 0, v[4:5]
	v_not_b32_e32 v5, v5
	v_ashrrev_i32_e32 v5, 31, v5
	v_and_b32_e32 v175, v175, v176
	v_xor_b32_e32 v176, vcc_hi, v5
	v_xor_b32_e32 v5, vcc_lo, v5
	v_and_b32_e32 v61, v61, v5
	v_lshlrev_b32_e32 v5, 27, v60
	v_cmp_gt_i64_e32 vcc, 0, v[4:5]
	v_not_b32_e32 v5, v5
	v_ashrrev_i32_e32 v5, 31, v5
	v_and_b32_e32 v175, v175, v176
	v_xor_b32_e32 v176, vcc_hi, v5
	v_xor_b32_e32 v5, vcc_lo, v5
	v_and_b32_e32 v61, v61, v5
	v_lshlrev_b32_e32 v5, 26, v60
	v_cmp_gt_i64_e32 vcc, 0, v[4:5]
	v_not_b32_e32 v5, v5
	v_ashrrev_i32_e32 v5, 31, v5
	v_and_b32_e32 v175, v175, v176
	v_xor_b32_e32 v176, vcc_hi, v5
	v_xor_b32_e32 v5, vcc_lo, v5
	v_and_b32_e32 v61, v61, v5
	v_lshlrev_b32_e32 v5, 25, v60
	v_cmp_gt_i64_e32 vcc, 0, v[4:5]
	v_not_b32_e32 v5, v5
	v_ashrrev_i32_e32 v5, 31, v5
	v_and_b32_e32 v175, v175, v176
	v_xor_b32_e32 v176, vcc_hi, v5
	v_xor_b32_e32 v5, vcc_lo, v5
	v_and_b32_e32 v175, v175, v176
	v_and_b32_e32 v176, v61, v5
	v_lshlrev_b32_e32 v5, 24, v60
	v_cmp_gt_i64_e32 vcc, 0, v[4:5]
	v_not_b32_e32 v5, v5
	v_ashrrev_i32_e32 v5, 31, v5
	v_xor_b32_e32 v60, vcc_hi, v5
	v_xor_b32_e32 v5, vcc_lo, v5
	v_and_b32_e32 v61, v175, v60
	v_and_b32_e32 v60, v176, v5
	v_mbcnt_lo_u32_b32 v5, v60, 0
	v_mbcnt_hi_u32_b32 v175, v61, v5
	v_cmp_eq_u32_e32 vcc, 0, v175
	v_cmp_ne_u64_e64 s[36:37], 0, v[60:61]
	s_and_b64 s[38:39], s[36:37], vcc
	; wave barrier
	s_and_saveexec_b64 s[36:37], s[38:39]
	s_cbranch_execz .LBB529_446
; %bb.445:                              ;   in Loop: Header=BB529_400 Depth=2
	v_bcnt_u32_b32 v5, v60, 0
	v_bcnt_u32_b32 v5, v61, v5
	s_waitcnt lgkmcnt(0)
	v_add_u32_e32 v5, v171, v5
	ds_write_b32 v172, v5
.LBB529_446:                            ;   in Loop: Header=BB529_400 Depth=2
	s_or_b64 exec, exec, s[36:37]
	s_waitcnt vmcnt(9)
	v_xor_b32_e32 v174, 0x7fffffff, v174
	v_lshrrev_b32_e32 v5, s93, v174
	v_and_b32_e32 v60, s94, v5
	v_mul_u32_u24_e32 v5, 5, v60
	v_add_lshl_u32 v5, v5, v150, 2
	; wave barrier
	v_add_u32_e32 v178, 0x410, v5
	ds_read_b32 v176, v5 offset:1040
	v_and_b32_e32 v5, 1, v60
	v_add_co_u32_e32 v61, vcc, -1, v5
	v_addc_co_u32_e64 v180, s[36:37], 0, -1, vcc
	v_cmp_ne_u32_e32 vcc, 0, v5
	v_xor_b32_e32 v5, vcc_hi, v180
	v_and_b32_e32 v180, exec_hi, v5
	v_lshlrev_b32_e32 v5, 30, v60
	v_xor_b32_e32 v61, vcc_lo, v61
	v_cmp_gt_i64_e32 vcc, 0, v[4:5]
	v_not_b32_e32 v5, v5
	v_ashrrev_i32_e32 v5, 31, v5
	v_and_b32_e32 v61, exec_lo, v61
	v_xor_b32_e32 v181, vcc_hi, v5
	v_xor_b32_e32 v5, vcc_lo, v5
	v_and_b32_e32 v61, v61, v5
	v_lshlrev_b32_e32 v5, 29, v60
	v_cmp_gt_i64_e32 vcc, 0, v[4:5]
	v_not_b32_e32 v5, v5
	v_ashrrev_i32_e32 v5, 31, v5
	v_and_b32_e32 v180, v180, v181
	v_xor_b32_e32 v181, vcc_hi, v5
	v_xor_b32_e32 v5, vcc_lo, v5
	v_and_b32_e32 v61, v61, v5
	v_lshlrev_b32_e32 v5, 28, v60
	v_cmp_gt_i64_e32 vcc, 0, v[4:5]
	v_not_b32_e32 v5, v5
	v_ashrrev_i32_e32 v5, 31, v5
	v_and_b32_e32 v180, v180, v181
	;; [unrolled: 8-line block ×5, first 2 shown]
	v_xor_b32_e32 v181, vcc_hi, v5
	v_xor_b32_e32 v5, vcc_lo, v5
	v_and_b32_e32 v180, v180, v181
	v_and_b32_e32 v181, v61, v5
	v_lshlrev_b32_e32 v5, 24, v60
	v_cmp_gt_i64_e32 vcc, 0, v[4:5]
	v_not_b32_e32 v5, v5
	v_ashrrev_i32_e32 v5, 31, v5
	v_xor_b32_e32 v60, vcc_hi, v5
	v_xor_b32_e32 v5, vcc_lo, v5
	v_and_b32_e32 v61, v180, v60
	v_and_b32_e32 v60, v181, v5
	v_mbcnt_lo_u32_b32 v5, v60, 0
	v_mbcnt_hi_u32_b32 v180, v61, v5
	v_cmp_eq_u32_e32 vcc, 0, v180
	v_cmp_ne_u64_e64 s[36:37], 0, v[60:61]
	s_and_b64 s[38:39], s[36:37], vcc
	; wave barrier
	s_and_saveexec_b64 s[36:37], s[38:39]
	s_cbranch_execz .LBB529_448
; %bb.447:                              ;   in Loop: Header=BB529_400 Depth=2
	v_bcnt_u32_b32 v5, v60, 0
	v_bcnt_u32_b32 v5, v61, v5
	s_waitcnt lgkmcnt(0)
	v_add_u32_e32 v5, v176, v5
	ds_write_b32 v178, v5
.LBB529_448:                            ;   in Loop: Header=BB529_400 Depth=2
	s_or_b64 exec, exec, s[36:37]
	s_waitcnt vmcnt(8)
	v_xor_b32_e32 v179, 0x7fffffff, v179
	v_lshrrev_b32_e32 v5, s93, v179
	v_and_b32_e32 v60, s94, v5
	v_mul_u32_u24_e32 v5, 5, v60
	v_add_lshl_u32 v5, v5, v150, 2
	; wave barrier
	v_add_u32_e32 v183, 0x410, v5
	ds_read_b32 v181, v5 offset:1040
	v_and_b32_e32 v5, 1, v60
	v_add_co_u32_e32 v61, vcc, -1, v5
	v_addc_co_u32_e64 v185, s[36:37], 0, -1, vcc
	v_cmp_ne_u32_e32 vcc, 0, v5
	v_xor_b32_e32 v5, vcc_hi, v185
	v_and_b32_e32 v185, exec_hi, v5
	v_lshlrev_b32_e32 v5, 30, v60
	v_xor_b32_e32 v61, vcc_lo, v61
	v_cmp_gt_i64_e32 vcc, 0, v[4:5]
	v_not_b32_e32 v5, v5
	v_ashrrev_i32_e32 v5, 31, v5
	v_and_b32_e32 v61, exec_lo, v61
	v_xor_b32_e32 v186, vcc_hi, v5
	v_xor_b32_e32 v5, vcc_lo, v5
	v_and_b32_e32 v61, v61, v5
	v_lshlrev_b32_e32 v5, 29, v60
	v_cmp_gt_i64_e32 vcc, 0, v[4:5]
	v_not_b32_e32 v5, v5
	v_ashrrev_i32_e32 v5, 31, v5
	v_and_b32_e32 v185, v185, v186
	v_xor_b32_e32 v186, vcc_hi, v5
	v_xor_b32_e32 v5, vcc_lo, v5
	v_and_b32_e32 v61, v61, v5
	v_lshlrev_b32_e32 v5, 28, v60
	v_cmp_gt_i64_e32 vcc, 0, v[4:5]
	v_not_b32_e32 v5, v5
	v_ashrrev_i32_e32 v5, 31, v5
	v_and_b32_e32 v185, v185, v186
	;; [unrolled: 8-line block ×5, first 2 shown]
	v_xor_b32_e32 v186, vcc_hi, v5
	v_xor_b32_e32 v5, vcc_lo, v5
	v_and_b32_e32 v185, v185, v186
	v_and_b32_e32 v186, v61, v5
	v_lshlrev_b32_e32 v5, 24, v60
	v_cmp_gt_i64_e32 vcc, 0, v[4:5]
	v_not_b32_e32 v5, v5
	v_ashrrev_i32_e32 v5, 31, v5
	v_xor_b32_e32 v60, vcc_hi, v5
	v_xor_b32_e32 v5, vcc_lo, v5
	v_and_b32_e32 v61, v185, v60
	v_and_b32_e32 v60, v186, v5
	v_mbcnt_lo_u32_b32 v5, v60, 0
	v_mbcnt_hi_u32_b32 v185, v61, v5
	v_cmp_eq_u32_e32 vcc, 0, v185
	v_cmp_ne_u64_e64 s[36:37], 0, v[60:61]
	s_and_b64 s[38:39], s[36:37], vcc
	; wave barrier
	s_and_saveexec_b64 s[36:37], s[38:39]
	s_cbranch_execz .LBB529_450
; %bb.449:                              ;   in Loop: Header=BB529_400 Depth=2
	v_bcnt_u32_b32 v5, v60, 0
	v_bcnt_u32_b32 v5, v61, v5
	s_waitcnt lgkmcnt(0)
	v_add_u32_e32 v5, v181, v5
	ds_write_b32 v183, v5
.LBB529_450:                            ;   in Loop: Header=BB529_400 Depth=2
	s_or_b64 exec, exec, s[36:37]
	s_waitcnt vmcnt(7)
	v_xor_b32_e32 v184, 0x7fffffff, v184
	v_lshrrev_b32_e32 v5, s93, v184
	v_and_b32_e32 v60, s94, v5
	v_mul_u32_u24_e32 v5, 5, v60
	v_add_lshl_u32 v5, v5, v150, 2
	; wave barrier
	v_add_u32_e32 v187, 0x410, v5
	ds_read_b32 v186, v5 offset:1040
	v_and_b32_e32 v5, 1, v60
	v_add_co_u32_e32 v61, vcc, -1, v5
	v_addc_co_u32_e64 v188, s[36:37], 0, -1, vcc
	v_cmp_ne_u32_e32 vcc, 0, v5
	v_xor_b32_e32 v5, vcc_hi, v188
	v_and_b32_e32 v188, exec_hi, v5
	v_lshlrev_b32_e32 v5, 30, v60
	v_xor_b32_e32 v61, vcc_lo, v61
	v_cmp_gt_i64_e32 vcc, 0, v[4:5]
	v_not_b32_e32 v5, v5
	v_ashrrev_i32_e32 v5, 31, v5
	v_and_b32_e32 v61, exec_lo, v61
	v_xor_b32_e32 v189, vcc_hi, v5
	v_xor_b32_e32 v5, vcc_lo, v5
	v_and_b32_e32 v61, v61, v5
	v_lshlrev_b32_e32 v5, 29, v60
	v_cmp_gt_i64_e32 vcc, 0, v[4:5]
	v_not_b32_e32 v5, v5
	v_ashrrev_i32_e32 v5, 31, v5
	v_and_b32_e32 v188, v188, v189
	v_xor_b32_e32 v189, vcc_hi, v5
	v_xor_b32_e32 v5, vcc_lo, v5
	v_and_b32_e32 v61, v61, v5
	v_lshlrev_b32_e32 v5, 28, v60
	v_cmp_gt_i64_e32 vcc, 0, v[4:5]
	v_not_b32_e32 v5, v5
	v_ashrrev_i32_e32 v5, 31, v5
	v_and_b32_e32 v188, v188, v189
	;; [unrolled: 8-line block ×5, first 2 shown]
	v_xor_b32_e32 v189, vcc_hi, v5
	v_xor_b32_e32 v5, vcc_lo, v5
	v_and_b32_e32 v188, v188, v189
	v_and_b32_e32 v189, v61, v5
	v_lshlrev_b32_e32 v5, 24, v60
	v_cmp_gt_i64_e32 vcc, 0, v[4:5]
	v_not_b32_e32 v5, v5
	v_ashrrev_i32_e32 v5, 31, v5
	v_xor_b32_e32 v60, vcc_hi, v5
	v_xor_b32_e32 v5, vcc_lo, v5
	v_and_b32_e32 v61, v188, v60
	v_and_b32_e32 v60, v189, v5
	v_mbcnt_lo_u32_b32 v5, v60, 0
	v_mbcnt_hi_u32_b32 v188, v61, v5
	v_cmp_eq_u32_e32 vcc, 0, v188
	v_cmp_ne_u64_e64 s[36:37], 0, v[60:61]
	s_and_b64 s[38:39], s[36:37], vcc
	; wave barrier
	s_and_saveexec_b64 s[36:37], s[38:39]
	s_cbranch_execz .LBB529_452
; %bb.451:                              ;   in Loop: Header=BB529_400 Depth=2
	v_bcnt_u32_b32 v5, v60, 0
	v_bcnt_u32_b32 v5, v61, v5
	s_waitcnt lgkmcnt(0)
	v_add_u32_e32 v5, v186, v5
	ds_write_b32 v187, v5
.LBB529_452:                            ;   in Loop: Header=BB529_400 Depth=2
	s_or_b64 exec, exec, s[36:37]
	s_waitcnt vmcnt(6)
	v_xor_b32_e32 v182, 0x7fffffff, v182
	v_lshrrev_b32_e32 v5, s93, v182
	v_and_b32_e32 v60, s94, v5
	v_mul_u32_u24_e32 v5, 5, v60
	v_add_lshl_u32 v5, v5, v150, 2
	; wave barrier
	v_add_u32_e32 v190, 0x410, v5
	ds_read_b32 v189, v5 offset:1040
	v_and_b32_e32 v5, 1, v60
	v_add_co_u32_e32 v61, vcc, -1, v5
	v_addc_co_u32_e64 v191, s[36:37], 0, -1, vcc
	v_cmp_ne_u32_e32 vcc, 0, v5
	v_xor_b32_e32 v5, vcc_hi, v191
	v_and_b32_e32 v191, exec_hi, v5
	v_lshlrev_b32_e32 v5, 30, v60
	v_xor_b32_e32 v61, vcc_lo, v61
	v_cmp_gt_i64_e32 vcc, 0, v[4:5]
	v_not_b32_e32 v5, v5
	v_ashrrev_i32_e32 v5, 31, v5
	v_and_b32_e32 v61, exec_lo, v61
	v_xor_b32_e32 v192, vcc_hi, v5
	v_xor_b32_e32 v5, vcc_lo, v5
	v_and_b32_e32 v61, v61, v5
	v_lshlrev_b32_e32 v5, 29, v60
	v_cmp_gt_i64_e32 vcc, 0, v[4:5]
	v_not_b32_e32 v5, v5
	v_ashrrev_i32_e32 v5, 31, v5
	v_and_b32_e32 v191, v191, v192
	v_xor_b32_e32 v192, vcc_hi, v5
	v_xor_b32_e32 v5, vcc_lo, v5
	v_and_b32_e32 v61, v61, v5
	v_lshlrev_b32_e32 v5, 28, v60
	v_cmp_gt_i64_e32 vcc, 0, v[4:5]
	v_not_b32_e32 v5, v5
	v_ashrrev_i32_e32 v5, 31, v5
	v_and_b32_e32 v191, v191, v192
	;; [unrolled: 8-line block ×5, first 2 shown]
	v_xor_b32_e32 v192, vcc_hi, v5
	v_xor_b32_e32 v5, vcc_lo, v5
	v_and_b32_e32 v191, v191, v192
	v_and_b32_e32 v192, v61, v5
	v_lshlrev_b32_e32 v5, 24, v60
	v_cmp_gt_i64_e32 vcc, 0, v[4:5]
	v_not_b32_e32 v5, v5
	v_ashrrev_i32_e32 v5, 31, v5
	v_xor_b32_e32 v60, vcc_hi, v5
	v_xor_b32_e32 v5, vcc_lo, v5
	v_and_b32_e32 v61, v191, v60
	v_and_b32_e32 v60, v192, v5
	v_mbcnt_lo_u32_b32 v5, v60, 0
	v_mbcnt_hi_u32_b32 v191, v61, v5
	v_cmp_eq_u32_e32 vcc, 0, v191
	v_cmp_ne_u64_e64 s[36:37], 0, v[60:61]
	s_and_b64 s[38:39], s[36:37], vcc
	; wave barrier
	s_and_saveexec_b64 s[36:37], s[38:39]
	s_cbranch_execz .LBB529_454
; %bb.453:                              ;   in Loop: Header=BB529_400 Depth=2
	v_bcnt_u32_b32 v5, v60, 0
	v_bcnt_u32_b32 v5, v61, v5
	s_waitcnt lgkmcnt(0)
	v_add_u32_e32 v5, v189, v5
	ds_write_b32 v190, v5
.LBB529_454:                            ;   in Loop: Header=BB529_400 Depth=2
	s_or_b64 exec, exec, s[36:37]
	s_waitcnt vmcnt(5)
	v_xor_b32_e32 v177, 0x7fffffff, v177
	v_lshrrev_b32_e32 v5, s93, v177
	v_and_b32_e32 v60, s94, v5
	v_mul_u32_u24_e32 v5, 5, v60
	v_add_lshl_u32 v5, v5, v150, 2
	; wave barrier
	v_add_u32_e32 v193, 0x410, v5
	ds_read_b32 v192, v5 offset:1040
	v_and_b32_e32 v5, 1, v60
	v_add_co_u32_e32 v61, vcc, -1, v5
	v_addc_co_u32_e64 v194, s[36:37], 0, -1, vcc
	v_cmp_ne_u32_e32 vcc, 0, v5
	v_xor_b32_e32 v5, vcc_hi, v194
	v_and_b32_e32 v194, exec_hi, v5
	v_lshlrev_b32_e32 v5, 30, v60
	v_xor_b32_e32 v61, vcc_lo, v61
	v_cmp_gt_i64_e32 vcc, 0, v[4:5]
	v_not_b32_e32 v5, v5
	v_ashrrev_i32_e32 v5, 31, v5
	v_and_b32_e32 v61, exec_lo, v61
	v_xor_b32_e32 v195, vcc_hi, v5
	v_xor_b32_e32 v5, vcc_lo, v5
	v_and_b32_e32 v61, v61, v5
	v_lshlrev_b32_e32 v5, 29, v60
	v_cmp_gt_i64_e32 vcc, 0, v[4:5]
	v_not_b32_e32 v5, v5
	v_ashrrev_i32_e32 v5, 31, v5
	v_and_b32_e32 v194, v194, v195
	v_xor_b32_e32 v195, vcc_hi, v5
	v_xor_b32_e32 v5, vcc_lo, v5
	v_and_b32_e32 v61, v61, v5
	v_lshlrev_b32_e32 v5, 28, v60
	v_cmp_gt_i64_e32 vcc, 0, v[4:5]
	v_not_b32_e32 v5, v5
	v_ashrrev_i32_e32 v5, 31, v5
	v_and_b32_e32 v194, v194, v195
	;; [unrolled: 8-line block ×5, first 2 shown]
	v_xor_b32_e32 v195, vcc_hi, v5
	v_xor_b32_e32 v5, vcc_lo, v5
	v_and_b32_e32 v194, v194, v195
	v_and_b32_e32 v195, v61, v5
	v_lshlrev_b32_e32 v5, 24, v60
	v_cmp_gt_i64_e32 vcc, 0, v[4:5]
	v_not_b32_e32 v5, v5
	v_ashrrev_i32_e32 v5, 31, v5
	v_xor_b32_e32 v60, vcc_hi, v5
	v_xor_b32_e32 v5, vcc_lo, v5
	v_and_b32_e32 v61, v194, v60
	v_and_b32_e32 v60, v195, v5
	v_mbcnt_lo_u32_b32 v5, v60, 0
	v_mbcnt_hi_u32_b32 v194, v61, v5
	v_cmp_eq_u32_e32 vcc, 0, v194
	v_cmp_ne_u64_e64 s[36:37], 0, v[60:61]
	s_and_b64 s[38:39], s[36:37], vcc
	; wave barrier
	s_and_saveexec_b64 s[36:37], s[38:39]
	s_cbranch_execz .LBB529_456
; %bb.455:                              ;   in Loop: Header=BB529_400 Depth=2
	v_bcnt_u32_b32 v5, v60, 0
	v_bcnt_u32_b32 v5, v61, v5
	s_waitcnt lgkmcnt(0)
	v_add_u32_e32 v5, v192, v5
	ds_write_b32 v193, v5
.LBB529_456:                            ;   in Loop: Header=BB529_400 Depth=2
	s_or_b64 exec, exec, s[36:37]
	s_waitcnt vmcnt(4)
	v_xor_b32_e32 v173, 0x7fffffff, v173
	v_lshrrev_b32_e32 v5, s93, v173
	v_and_b32_e32 v60, s94, v5
	v_mul_u32_u24_e32 v5, 5, v60
	v_add_lshl_u32 v5, v5, v150, 2
	; wave barrier
	v_add_u32_e32 v196, 0x410, v5
	ds_read_b32 v195, v5 offset:1040
	v_and_b32_e32 v5, 1, v60
	v_add_co_u32_e32 v61, vcc, -1, v5
	v_addc_co_u32_e64 v197, s[36:37], 0, -1, vcc
	v_cmp_ne_u32_e32 vcc, 0, v5
	v_xor_b32_e32 v5, vcc_hi, v197
	v_and_b32_e32 v197, exec_hi, v5
	v_lshlrev_b32_e32 v5, 30, v60
	v_xor_b32_e32 v61, vcc_lo, v61
	v_cmp_gt_i64_e32 vcc, 0, v[4:5]
	v_not_b32_e32 v5, v5
	v_ashrrev_i32_e32 v5, 31, v5
	v_and_b32_e32 v61, exec_lo, v61
	v_xor_b32_e32 v198, vcc_hi, v5
	v_xor_b32_e32 v5, vcc_lo, v5
	v_and_b32_e32 v61, v61, v5
	v_lshlrev_b32_e32 v5, 29, v60
	v_cmp_gt_i64_e32 vcc, 0, v[4:5]
	v_not_b32_e32 v5, v5
	v_ashrrev_i32_e32 v5, 31, v5
	v_and_b32_e32 v197, v197, v198
	v_xor_b32_e32 v198, vcc_hi, v5
	v_xor_b32_e32 v5, vcc_lo, v5
	v_and_b32_e32 v61, v61, v5
	v_lshlrev_b32_e32 v5, 28, v60
	v_cmp_gt_i64_e32 vcc, 0, v[4:5]
	v_not_b32_e32 v5, v5
	v_ashrrev_i32_e32 v5, 31, v5
	v_and_b32_e32 v197, v197, v198
	;; [unrolled: 8-line block ×5, first 2 shown]
	v_xor_b32_e32 v198, vcc_hi, v5
	v_xor_b32_e32 v5, vcc_lo, v5
	v_and_b32_e32 v197, v197, v198
	v_and_b32_e32 v198, v61, v5
	v_lshlrev_b32_e32 v5, 24, v60
	v_cmp_gt_i64_e32 vcc, 0, v[4:5]
	v_not_b32_e32 v5, v5
	v_ashrrev_i32_e32 v5, 31, v5
	v_xor_b32_e32 v60, vcc_hi, v5
	v_xor_b32_e32 v5, vcc_lo, v5
	v_and_b32_e32 v61, v197, v60
	v_and_b32_e32 v60, v198, v5
	v_mbcnt_lo_u32_b32 v5, v60, 0
	v_mbcnt_hi_u32_b32 v198, v61, v5
	v_cmp_eq_u32_e32 vcc, 0, v198
	v_cmp_ne_u64_e64 s[36:37], 0, v[60:61]
	s_and_b64 s[38:39], s[36:37], vcc
	; wave barrier
	s_and_saveexec_b64 s[36:37], s[38:39]
	s_cbranch_execz .LBB529_458
; %bb.457:                              ;   in Loop: Header=BB529_400 Depth=2
	v_bcnt_u32_b32 v5, v60, 0
	v_bcnt_u32_b32 v5, v61, v5
	s_waitcnt lgkmcnt(0)
	v_add_u32_e32 v5, v195, v5
	ds_write_b32 v196, v5
.LBB529_458:                            ;   in Loop: Header=BB529_400 Depth=2
	s_or_b64 exec, exec, s[36:37]
	s_waitcnt vmcnt(3)
	v_xor_b32_e32 v197, 0x7fffffff, v168
	v_lshrrev_b32_e32 v5, s93, v197
	v_and_b32_e32 v60, s94, v5
	v_mul_u32_u24_e32 v5, 5, v60
	v_add_lshl_u32 v5, v5, v150, 2
	; wave barrier
	v_add_u32_e32 v168, 0x410, v5
	ds_read_b32 v199, v5 offset:1040
	v_and_b32_e32 v5, 1, v60
	v_add_co_u32_e32 v61, vcc, -1, v5
	v_addc_co_u32_e64 v200, s[36:37], 0, -1, vcc
	v_cmp_ne_u32_e32 vcc, 0, v5
	v_xor_b32_e32 v5, vcc_hi, v200
	v_and_b32_e32 v200, exec_hi, v5
	v_lshlrev_b32_e32 v5, 30, v60
	v_xor_b32_e32 v61, vcc_lo, v61
	v_cmp_gt_i64_e32 vcc, 0, v[4:5]
	v_not_b32_e32 v5, v5
	v_ashrrev_i32_e32 v5, 31, v5
	v_and_b32_e32 v61, exec_lo, v61
	v_xor_b32_e32 v201, vcc_hi, v5
	v_xor_b32_e32 v5, vcc_lo, v5
	v_and_b32_e32 v61, v61, v5
	v_lshlrev_b32_e32 v5, 29, v60
	v_cmp_gt_i64_e32 vcc, 0, v[4:5]
	v_not_b32_e32 v5, v5
	v_ashrrev_i32_e32 v5, 31, v5
	v_and_b32_e32 v200, v200, v201
	v_xor_b32_e32 v201, vcc_hi, v5
	v_xor_b32_e32 v5, vcc_lo, v5
	v_and_b32_e32 v61, v61, v5
	v_lshlrev_b32_e32 v5, 28, v60
	v_cmp_gt_i64_e32 vcc, 0, v[4:5]
	v_not_b32_e32 v5, v5
	v_ashrrev_i32_e32 v5, 31, v5
	v_and_b32_e32 v200, v200, v201
	;; [unrolled: 8-line block ×5, first 2 shown]
	v_xor_b32_e32 v201, vcc_hi, v5
	v_xor_b32_e32 v5, vcc_lo, v5
	v_and_b32_e32 v200, v200, v201
	v_and_b32_e32 v201, v61, v5
	v_lshlrev_b32_e32 v5, 24, v60
	v_cmp_gt_i64_e32 vcc, 0, v[4:5]
	v_not_b32_e32 v5, v5
	v_ashrrev_i32_e32 v5, 31, v5
	v_xor_b32_e32 v60, vcc_hi, v5
	v_xor_b32_e32 v5, vcc_lo, v5
	v_and_b32_e32 v61, v200, v60
	v_and_b32_e32 v60, v201, v5
	v_mbcnt_lo_u32_b32 v5, v60, 0
	v_mbcnt_hi_u32_b32 v201, v61, v5
	v_cmp_eq_u32_e32 vcc, 0, v201
	v_cmp_ne_u64_e64 s[36:37], 0, v[60:61]
	s_and_b64 s[38:39], s[36:37], vcc
	; wave barrier
	s_and_saveexec_b64 s[36:37], s[38:39]
	s_cbranch_execz .LBB529_460
; %bb.459:                              ;   in Loop: Header=BB529_400 Depth=2
	v_bcnt_u32_b32 v5, v60, 0
	v_bcnt_u32_b32 v5, v61, v5
	s_waitcnt lgkmcnt(0)
	v_add_u32_e32 v5, v199, v5
	ds_write_b32 v168, v5
.LBB529_460:                            ;   in Loop: Header=BB529_400 Depth=2
	s_or_b64 exec, exec, s[36:37]
	s_waitcnt vmcnt(2)
	v_xor_b32_e32 v200, 0x7fffffff, v163
	v_lshrrev_b32_e32 v5, s93, v200
	v_and_b32_e32 v60, s94, v5
	v_mul_u32_u24_e32 v5, 5, v60
	v_add_lshl_u32 v5, v5, v150, 2
	; wave barrier
	v_add_u32_e32 v163, 0x410, v5
	ds_read_b32 v202, v5 offset:1040
	v_and_b32_e32 v5, 1, v60
	v_add_co_u32_e32 v61, vcc, -1, v5
	v_addc_co_u32_e64 v203, s[36:37], 0, -1, vcc
	v_cmp_ne_u32_e32 vcc, 0, v5
	v_xor_b32_e32 v5, vcc_hi, v203
	v_and_b32_e32 v203, exec_hi, v5
	v_lshlrev_b32_e32 v5, 30, v60
	v_xor_b32_e32 v61, vcc_lo, v61
	v_cmp_gt_i64_e32 vcc, 0, v[4:5]
	v_not_b32_e32 v5, v5
	v_ashrrev_i32_e32 v5, 31, v5
	v_and_b32_e32 v61, exec_lo, v61
	v_xor_b32_e32 v204, vcc_hi, v5
	v_xor_b32_e32 v5, vcc_lo, v5
	v_and_b32_e32 v61, v61, v5
	v_lshlrev_b32_e32 v5, 29, v60
	v_cmp_gt_i64_e32 vcc, 0, v[4:5]
	v_not_b32_e32 v5, v5
	v_ashrrev_i32_e32 v5, 31, v5
	v_and_b32_e32 v203, v203, v204
	v_xor_b32_e32 v204, vcc_hi, v5
	v_xor_b32_e32 v5, vcc_lo, v5
	v_and_b32_e32 v61, v61, v5
	v_lshlrev_b32_e32 v5, 28, v60
	v_cmp_gt_i64_e32 vcc, 0, v[4:5]
	v_not_b32_e32 v5, v5
	v_ashrrev_i32_e32 v5, 31, v5
	v_and_b32_e32 v203, v203, v204
	;; [unrolled: 8-line block ×5, first 2 shown]
	v_xor_b32_e32 v204, vcc_hi, v5
	v_xor_b32_e32 v5, vcc_lo, v5
	v_and_b32_e32 v203, v203, v204
	v_and_b32_e32 v204, v61, v5
	v_lshlrev_b32_e32 v5, 24, v60
	v_cmp_gt_i64_e32 vcc, 0, v[4:5]
	v_not_b32_e32 v5, v5
	v_ashrrev_i32_e32 v5, 31, v5
	v_xor_b32_e32 v60, vcc_hi, v5
	v_xor_b32_e32 v5, vcc_lo, v5
	v_and_b32_e32 v61, v203, v60
	v_and_b32_e32 v60, v204, v5
	v_mbcnt_lo_u32_b32 v5, v60, 0
	v_mbcnt_hi_u32_b32 v204, v61, v5
	v_cmp_eq_u32_e32 vcc, 0, v204
	v_cmp_ne_u64_e64 s[36:37], 0, v[60:61]
	s_and_b64 s[38:39], s[36:37], vcc
	; wave barrier
	s_and_saveexec_b64 s[36:37], s[38:39]
	s_cbranch_execz .LBB529_462
; %bb.461:                              ;   in Loop: Header=BB529_400 Depth=2
	v_bcnt_u32_b32 v5, v60, 0
	v_bcnt_u32_b32 v5, v61, v5
	s_waitcnt lgkmcnt(0)
	v_add_u32_e32 v5, v202, v5
	ds_write_b32 v163, v5
.LBB529_462:                            ;   in Loop: Header=BB529_400 Depth=2
	s_or_b64 exec, exec, s[36:37]
	s_waitcnt vmcnt(1)
	v_xor_b32_e32 v203, 0x7fffffff, v158
	v_lshrrev_b32_e32 v5, s93, v203
	v_and_b32_e32 v60, s94, v5
	v_mul_u32_u24_e32 v5, 5, v60
	v_add_lshl_u32 v5, v5, v150, 2
	; wave barrier
	v_add_u32_e32 v158, 0x410, v5
	ds_read_b32 v205, v5 offset:1040
	v_and_b32_e32 v5, 1, v60
	v_add_co_u32_e32 v61, vcc, -1, v5
	v_addc_co_u32_e64 v206, s[36:37], 0, -1, vcc
	v_cmp_ne_u32_e32 vcc, 0, v5
	v_xor_b32_e32 v5, vcc_hi, v206
	v_and_b32_e32 v206, exec_hi, v5
	v_lshlrev_b32_e32 v5, 30, v60
	v_xor_b32_e32 v61, vcc_lo, v61
	v_cmp_gt_i64_e32 vcc, 0, v[4:5]
	v_not_b32_e32 v5, v5
	v_ashrrev_i32_e32 v5, 31, v5
	v_and_b32_e32 v61, exec_lo, v61
	v_xor_b32_e32 v207, vcc_hi, v5
	v_xor_b32_e32 v5, vcc_lo, v5
	v_and_b32_e32 v61, v61, v5
	v_lshlrev_b32_e32 v5, 29, v60
	v_cmp_gt_i64_e32 vcc, 0, v[4:5]
	v_not_b32_e32 v5, v5
	v_ashrrev_i32_e32 v5, 31, v5
	v_and_b32_e32 v206, v206, v207
	v_xor_b32_e32 v207, vcc_hi, v5
	v_xor_b32_e32 v5, vcc_lo, v5
	v_and_b32_e32 v61, v61, v5
	v_lshlrev_b32_e32 v5, 28, v60
	v_cmp_gt_i64_e32 vcc, 0, v[4:5]
	v_not_b32_e32 v5, v5
	v_ashrrev_i32_e32 v5, 31, v5
	v_and_b32_e32 v206, v206, v207
	;; [unrolled: 8-line block ×5, first 2 shown]
	v_xor_b32_e32 v207, vcc_hi, v5
	v_xor_b32_e32 v5, vcc_lo, v5
	v_and_b32_e32 v206, v206, v207
	v_and_b32_e32 v207, v61, v5
	v_lshlrev_b32_e32 v5, 24, v60
	v_cmp_gt_i64_e32 vcc, 0, v[4:5]
	v_not_b32_e32 v5, v5
	v_ashrrev_i32_e32 v5, 31, v5
	v_xor_b32_e32 v60, vcc_hi, v5
	v_xor_b32_e32 v5, vcc_lo, v5
	v_and_b32_e32 v61, v206, v60
	v_and_b32_e32 v60, v207, v5
	v_mbcnt_lo_u32_b32 v5, v60, 0
	v_mbcnt_hi_u32_b32 v207, v61, v5
	v_cmp_eq_u32_e32 vcc, 0, v207
	v_cmp_ne_u64_e64 s[36:37], 0, v[60:61]
	s_and_b64 s[38:39], s[36:37], vcc
	; wave barrier
	s_and_saveexec_b64 s[36:37], s[38:39]
	s_cbranch_execz .LBB529_464
; %bb.463:                              ;   in Loop: Header=BB529_400 Depth=2
	v_bcnt_u32_b32 v5, v60, 0
	v_bcnt_u32_b32 v5, v61, v5
	s_waitcnt lgkmcnt(0)
	v_add_u32_e32 v5, v205, v5
	ds_write_b32 v158, v5
.LBB529_464:                            ;   in Loop: Header=BB529_400 Depth=2
	s_or_b64 exec, exec, s[36:37]
	s_waitcnt vmcnt(0)
	v_xor_b32_e32 v206, 0x7fffffff, v62
	v_lshrrev_b32_e32 v5, s93, v206
	v_and_b32_e32 v60, s94, v5
	v_mul_u32_u24_e32 v5, 5, v60
	v_add_lshl_u32 v5, v5, v150, 2
	; wave barrier
	v_add_u32_e32 v209, 0x410, v5
	ds_read_b32 v208, v5 offset:1040
	v_and_b32_e32 v5, 1, v60
	v_add_co_u32_e32 v61, vcc, -1, v5
	v_addc_co_u32_e64 v62, s[36:37], 0, -1, vcc
	v_cmp_ne_u32_e32 vcc, 0, v5
	v_xor_b32_e32 v5, vcc_hi, v62
	v_and_b32_e32 v62, exec_hi, v5
	v_lshlrev_b32_e32 v5, 30, v60
	v_xor_b32_e32 v61, vcc_lo, v61
	v_cmp_gt_i64_e32 vcc, 0, v[4:5]
	v_not_b32_e32 v5, v5
	v_ashrrev_i32_e32 v5, 31, v5
	v_and_b32_e32 v61, exec_lo, v61
	v_xor_b32_e32 v210, vcc_hi, v5
	v_xor_b32_e32 v5, vcc_lo, v5
	v_and_b32_e32 v61, v61, v5
	v_lshlrev_b32_e32 v5, 29, v60
	v_cmp_gt_i64_e32 vcc, 0, v[4:5]
	v_not_b32_e32 v5, v5
	v_ashrrev_i32_e32 v5, 31, v5
	v_and_b32_e32 v62, v62, v210
	v_xor_b32_e32 v210, vcc_hi, v5
	v_xor_b32_e32 v5, vcc_lo, v5
	v_and_b32_e32 v61, v61, v5
	v_lshlrev_b32_e32 v5, 28, v60
	v_cmp_gt_i64_e32 vcc, 0, v[4:5]
	v_not_b32_e32 v5, v5
	v_ashrrev_i32_e32 v5, 31, v5
	v_and_b32_e32 v62, v62, v210
	;; [unrolled: 8-line block ×5, first 2 shown]
	v_xor_b32_e32 v210, vcc_hi, v5
	v_xor_b32_e32 v5, vcc_lo, v5
	v_and_b32_e32 v62, v62, v210
	v_and_b32_e32 v210, v61, v5
	v_lshlrev_b32_e32 v5, 24, v60
	v_cmp_gt_i64_e32 vcc, 0, v[4:5]
	v_not_b32_e32 v5, v5
	v_ashrrev_i32_e32 v5, 31, v5
	v_xor_b32_e32 v60, vcc_hi, v5
	v_xor_b32_e32 v5, vcc_lo, v5
	v_and_b32_e32 v61, v62, v60
	v_and_b32_e32 v60, v210, v5
	v_mbcnt_lo_u32_b32 v5, v60, 0
	v_mbcnt_hi_u32_b32 v211, v61, v5
	v_cmp_eq_u32_e32 vcc, 0, v211
	v_cmp_ne_u64_e64 s[36:37], 0, v[60:61]
	s_and_b64 s[38:39], s[36:37], vcc
	; wave barrier
	s_and_saveexec_b64 s[36:37], s[38:39]
	s_cbranch_execz .LBB529_466
; %bb.465:                              ;   in Loop: Header=BB529_400 Depth=2
	v_bcnt_u32_b32 v5, v60, 0
	v_bcnt_u32_b32 v5, v61, v5
	s_waitcnt lgkmcnt(0)
	v_add_u32_e32 v5, v208, v5
	ds_write_b32 v209, v5
.LBB529_466:                            ;   in Loop: Header=BB529_400 Depth=2
	s_or_b64 exec, exec, s[36:37]
	v_xor_b32_e32 v210, 0x7fffffff, v63
	v_lshrrev_b32_e32 v5, s93, v210
	v_and_b32_e32 v60, s94, v5
	v_mul_u32_u24_e32 v5, 5, v60
	v_add_lshl_u32 v5, v5, v150, 2
	; wave barrier
	v_add_u32_e32 v213, 0x410, v5
	ds_read_b32 v212, v5 offset:1040
	v_and_b32_e32 v5, 1, v60
	v_add_co_u32_e32 v61, vcc, -1, v5
	v_addc_co_u32_e64 v62, s[36:37], 0, -1, vcc
	v_cmp_ne_u32_e32 vcc, 0, v5
	v_xor_b32_e32 v5, vcc_hi, v62
	v_and_b32_e32 v62, exec_hi, v5
	v_lshlrev_b32_e32 v5, 30, v60
	v_xor_b32_e32 v61, vcc_lo, v61
	v_cmp_gt_i64_e32 vcc, 0, v[4:5]
	v_not_b32_e32 v5, v5
	v_ashrrev_i32_e32 v5, 31, v5
	v_and_b32_e32 v61, exec_lo, v61
	v_xor_b32_e32 v63, vcc_hi, v5
	v_xor_b32_e32 v5, vcc_lo, v5
	v_and_b32_e32 v61, v61, v5
	v_lshlrev_b32_e32 v5, 29, v60
	v_cmp_gt_i64_e32 vcc, 0, v[4:5]
	v_not_b32_e32 v5, v5
	v_ashrrev_i32_e32 v5, 31, v5
	v_and_b32_e32 v62, v62, v63
	v_xor_b32_e32 v63, vcc_hi, v5
	v_xor_b32_e32 v5, vcc_lo, v5
	v_and_b32_e32 v61, v61, v5
	v_lshlrev_b32_e32 v5, 28, v60
	v_cmp_gt_i64_e32 vcc, 0, v[4:5]
	v_not_b32_e32 v5, v5
	v_ashrrev_i32_e32 v5, 31, v5
	v_and_b32_e32 v62, v62, v63
	v_xor_b32_e32 v63, vcc_hi, v5
	v_xor_b32_e32 v5, vcc_lo, v5
	v_and_b32_e32 v61, v61, v5
	v_lshlrev_b32_e32 v5, 27, v60
	v_cmp_gt_i64_e32 vcc, 0, v[4:5]
	v_not_b32_e32 v5, v5
	v_ashrrev_i32_e32 v5, 31, v5
	v_and_b32_e32 v62, v62, v63
	v_xor_b32_e32 v63, vcc_hi, v5
	v_xor_b32_e32 v5, vcc_lo, v5
	v_and_b32_e32 v61, v61, v5
	v_lshlrev_b32_e32 v5, 26, v60
	v_cmp_gt_i64_e32 vcc, 0, v[4:5]
	v_not_b32_e32 v5, v5
	v_ashrrev_i32_e32 v5, 31, v5
	v_and_b32_e32 v62, v62, v63
	v_xor_b32_e32 v63, vcc_hi, v5
	v_xor_b32_e32 v5, vcc_lo, v5
	v_and_b32_e32 v61, v61, v5
	v_lshlrev_b32_e32 v5, 25, v60
	v_cmp_gt_i64_e32 vcc, 0, v[4:5]
	v_not_b32_e32 v5, v5
	v_ashrrev_i32_e32 v5, 31, v5
	v_and_b32_e32 v62, v62, v63
	v_xor_b32_e32 v63, vcc_hi, v5
	v_xor_b32_e32 v5, vcc_lo, v5
	v_and_b32_e32 v62, v62, v63
	v_and_b32_e32 v63, v61, v5
	v_lshlrev_b32_e32 v5, 24, v60
	v_cmp_gt_i64_e32 vcc, 0, v[4:5]
	v_not_b32_e32 v5, v5
	v_ashrrev_i32_e32 v5, 31, v5
	v_xor_b32_e32 v60, vcc_hi, v5
	v_xor_b32_e32 v5, vcc_lo, v5
	v_and_b32_e32 v61, v62, v60
	v_and_b32_e32 v60, v63, v5
	v_mbcnt_lo_u32_b32 v5, v60, 0
	v_mbcnt_hi_u32_b32 v214, v61, v5
	v_cmp_eq_u32_e32 vcc, 0, v214
	v_cmp_ne_u64_e64 s[36:37], 0, v[60:61]
	s_and_b64 s[38:39], s[36:37], vcc
	; wave barrier
	s_and_saveexec_b64 s[36:37], s[38:39]
	s_cbranch_execz .LBB529_468
; %bb.467:                              ;   in Loop: Header=BB529_400 Depth=2
	v_bcnt_u32_b32 v5, v60, 0
	v_bcnt_u32_b32 v5, v61, v5
	s_waitcnt lgkmcnt(0)
	v_add_u32_e32 v5, v212, v5
	ds_write_b32 v213, v5
.LBB529_468:                            ;   in Loop: Header=BB529_400 Depth=2
	s_or_b64 exec, exec, s[36:37]
	; wave barrier
	s_waitcnt lgkmcnt(0)
	s_barrier
	ds_read_b32 v5, v64 offset:1040
	ds_read2_b32 v[62:63], v66 offset0:1 offset1:2
	ds_read2_b32 v[60:61], v66 offset0:3 offset1:4
	s_waitcnt lgkmcnt(1)
	v_add3_u32 v215, v62, v5, v63
	s_waitcnt lgkmcnt(0)
	v_add3_u32 v61, v215, v60, v61
	s_nop 1
	v_mov_b32_dpp v215, v61 row_shr:1 row_mask:0xf bank_mask:0xf
	v_cndmask_b32_e64 v215, v215, 0, s[16:17]
	v_add_u32_e32 v61, v215, v61
	s_nop 1
	v_mov_b32_dpp v215, v61 row_shr:2 row_mask:0xf bank_mask:0xf
	v_cndmask_b32_e64 v215, 0, v215, s[18:19]
	v_add_u32_e32 v61, v61, v215
	;; [unrolled: 4-line block ×4, first 2 shown]
	s_nop 1
	v_mov_b32_dpp v215, v61 row_bcast:15 row_mask:0xf bank_mask:0xf
	v_cndmask_b32_e64 v215, v215, 0, s[24:25]
	v_add_u32_e32 v61, v61, v215
	s_nop 1
	v_mov_b32_dpp v215, v61 row_bcast:31 row_mask:0xf bank_mask:0xf
	v_cndmask_b32_e64 v215, 0, v215, s[26:27]
	v_add_u32_e32 v61, v61, v215
	s_and_saveexec_b64 s[36:37], s[6:7]
	s_cbranch_execz .LBB529_470
; %bb.469:                              ;   in Loop: Header=BB529_400 Depth=2
	ds_write_b32 v19, v61 offset:1024
.LBB529_470:                            ;   in Loop: Header=BB529_400 Depth=2
	s_or_b64 exec, exec, s[36:37]
	s_waitcnt lgkmcnt(0)
	s_barrier
	s_and_saveexec_b64 s[36:37], s[8:9]
	s_cbranch_execz .LBB529_472
; %bb.471:                              ;   in Loop: Header=BB529_400 Depth=2
	v_add_u32_e32 v215, v64, v67
	ds_read_b32 v216, v215 offset:1024
	s_waitcnt lgkmcnt(0)
	s_nop 0
	v_mov_b32_dpp v217, v216 row_shr:1 row_mask:0xf bank_mask:0xf
	v_cndmask_b32_e64 v217, v217, 0, s[30:31]
	v_add_u32_e32 v216, v217, v216
	s_nop 1
	v_mov_b32_dpp v217, v216 row_shr:2 row_mask:0xf bank_mask:0xf
	v_cndmask_b32_e64 v217, 0, v217, s[34:35]
	v_add_u32_e32 v216, v216, v217
	ds_write_b32 v215, v216 offset:1024
.LBB529_472:                            ;   in Loop: Header=BB529_400 Depth=2
	s_or_b64 exec, exec, s[36:37]
	v_mov_b32_e32 v215, 0
	s_waitcnt lgkmcnt(0)
	s_barrier
	s_and_saveexec_b64 s[36:37], s[10:11]
	s_cbranch_execz .LBB529_474
; %bb.473:                              ;   in Loop: Header=BB529_400 Depth=2
	ds_read_b32 v215, v19 offset:1020
.LBB529_474:                            ;   in Loop: Header=BB529_400 Depth=2
	s_or_b64 exec, exec, s[36:37]
	s_waitcnt lgkmcnt(0)
	v_add_u32_e32 v61, v215, v61
	ds_bpermute_b32 v61, v127, v61
	s_waitcnt lgkmcnt(0)
	v_cndmask_b32_e64 v61, v61, v215, s[28:29]
	v_cndmask_b32_e64 v61, v61, 0, s[12:13]
	v_add_u32_e32 v5, v61, v5
	ds_write_b32 v64, v61 offset:1040
	v_add_u32_e32 v61, v5, v62
	v_add_u32_e32 v62, v61, v63
	ds_write2_b32 v66, v5, v61 offset0:1 offset1:2
	v_add_u32_e32 v5, v62, v60
	ds_write2_b32 v66, v62, v5 offset0:3 offset1:4
	s_waitcnt lgkmcnt(0)
	s_barrier
	ds_read_b32 v60, v157
	ds_read_b32 v61, v162
	;; [unrolled: 1-line block ×16, first 2 shown]
	ds_read_b32 v158, v64 offset:1040
	v_mov_b32_e32 v5, 0x1000
	s_and_saveexec_b64 s[36:37], s[14:15]
	s_cbranch_execz .LBB529_476
; %bb.475:                              ;   in Loop: Header=BB529_400 Depth=2
	ds_read_b32 v5, v64 offset:1060
.LBB529_476:                            ;   in Loop: Header=BB529_400 Depth=2
	s_or_b64 exec, exec, s[36:37]
	s_waitcnt lgkmcnt(0)
	s_barrier
	s_and_saveexec_b64 s[36:37], s[4:5]
	s_cbranch_execz .LBB529_478
; %bb.477:                              ;   in Loop: Header=BB529_400 Depth=2
	ds_read_b32 v163, v3
	s_waitcnt lgkmcnt(0)
	v_sub_u32_e32 v158, v163, v158
	ds_write_b32 v3, v158
.LBB529_478:                            ;   in Loop: Header=BB529_400 Depth=2
	s_or_b64 exec, exec, s[36:37]
	v_add_u32_e32 v172, v153, v155
	v_add3_u32 v168, v160, v156, v60
	v_lshlrev_b32_e32 v60, 2, v172
	v_add3_u32 v167, v165, v161, v61
	ds_write_b32 v60, v152 offset:1024
	v_lshlrev_b32_e32 v60, 2, v168
	v_add3_u32 v166, v170, v166, v62
	ds_write_b32 v60, v154 offset:1024
	;; [unrolled: 3-line block ×14, first 2 shown]
	v_lshlrev_b32_e32 v60, 2, v63
	ds_write_b32 v60, v206 offset:1024
	v_lshlrev_b32_e32 v60, 2, v62
	v_cmp_lt_u32_e64 s[36:37], v2, v151
	ds_write_b32 v60, v210 offset:1024
	s_waitcnt lgkmcnt(0)
	s_barrier
	s_and_saveexec_b64 s[38:39], s[36:37]
	s_cbranch_execz .LBB529_494
; %bb.479:                              ;   in Loop: Header=BB529_400 Depth=2
	v_add_u32_e32 v60, v64, v67
	ds_read_b32 v60, v60 offset:1024
	v_mov_b32_e32 v154, s77
	s_waitcnt lgkmcnt(0)
	v_lshrrev_b32_e32 v61, s93, v60
	v_and_b32_e32 v61, s94, v61
	v_lshlrev_b32_e32 v61, 2, v61
	ds_read_b32 v152, v61
	v_mov_b32_e32 v61, v4
	v_xor_b32_e32 v159, 0x7fffffff, v60
	s_waitcnt lgkmcnt(0)
	v_add_u32_e32 v60, v152, v2
	v_lshlrev_b64 v[60:61], 2, v[60:61]
	v_add_co_u32_e32 v60, vcc, s76, v60
	v_addc_co_u32_e32 v61, vcc, v154, v61, vcc
	global_store_dword v[60:61], v159, off
	s_or_b64 exec, exec, s[38:39]
	v_cmp_lt_u32_e64 s[38:39], v7, v151
	s_and_saveexec_b64 s[40:41], s[38:39]
	s_cbranch_execnz .LBB529_495
.LBB529_480:                            ;   in Loop: Header=BB529_400 Depth=2
	s_or_b64 exec, exec, s[40:41]
	v_cmp_lt_u32_e64 s[40:41], v9, v151
	s_and_saveexec_b64 s[42:43], s[40:41]
	s_cbranch_execz .LBB529_496
.LBB529_481:                            ;   in Loop: Header=BB529_400 Depth=2
	ds_read_b32 v60, v72 offset:2048
	v_mov_b32_e32 v154, s77
	s_waitcnt lgkmcnt(0)
	v_lshrrev_b32_e32 v61, s93, v60
	v_and_b32_e32 v61, s94, v61
	v_lshlrev_b32_e32 v61, 2, v61
	ds_read_b32 v152, v61
	v_mov_b32_e32 v61, v4
	v_xor_b32_e32 v159, 0x7fffffff, v60
	s_waitcnt lgkmcnt(0)
	v_add_u32_e32 v60, v152, v9
	v_lshlrev_b64 v[60:61], 2, v[60:61]
	v_add_co_u32_e32 v60, vcc, s76, v60
	v_addc_co_u32_e32 v61, vcc, v154, v61, vcc
	global_store_dword v[60:61], v159, off
	s_or_b64 exec, exec, s[42:43]
	v_cmp_lt_u32_e64 s[42:43], v11, v151
	s_and_saveexec_b64 s[44:45], s[42:43]
	s_cbranch_execnz .LBB529_497
.LBB529_482:                            ;   in Loop: Header=BB529_400 Depth=2
	s_or_b64 exec, exec, s[44:45]
	v_cmp_lt_u32_e64 s[44:45], v6, v151
	s_and_saveexec_b64 s[46:47], s[44:45]
	s_cbranch_execz .LBB529_498
.LBB529_483:                            ;   in Loop: Header=BB529_400 Depth=2
	ds_read_b32 v60, v72 offset:4096
	v_mov_b32_e32 v154, s77
	s_waitcnt lgkmcnt(0)
	v_lshrrev_b32_e32 v61, s93, v60
	v_and_b32_e32 v61, s94, v61
	v_lshlrev_b32_e32 v61, 2, v61
	ds_read_b32 v152, v61
	v_mov_b32_e32 v61, v4
	v_xor_b32_e32 v159, 0x7fffffff, v60
	s_waitcnt lgkmcnt(0)
	v_add_u32_e32 v60, v152, v6
	v_lshlrev_b64 v[60:61], 2, v[60:61]
	v_add_co_u32_e32 v60, vcc, s76, v60
	v_addc_co_u32_e32 v61, vcc, v154, v61, vcc
	global_store_dword v[60:61], v159, off
	s_or_b64 exec, exec, s[46:47]
	v_cmp_lt_u32_e64 s[46:47], v8, v151
	s_and_saveexec_b64 s[48:49], s[46:47]
	s_cbranch_execnz .LBB529_499
.LBB529_484:                            ;   in Loop: Header=BB529_400 Depth=2
	s_or_b64 exec, exec, s[48:49]
	v_cmp_lt_u32_e64 s[48:49], v10, v151
	s_and_saveexec_b64 s[50:51], s[48:49]
	s_cbranch_execz .LBB529_500
.LBB529_485:                            ;   in Loop: Header=BB529_400 Depth=2
	ds_read_b32 v60, v72 offset:6144
	v_mov_b32_e32 v154, s77
	s_waitcnt lgkmcnt(0)
	v_lshrrev_b32_e32 v61, s93, v60
	v_and_b32_e32 v61, s94, v61
	v_lshlrev_b32_e32 v61, 2, v61
	ds_read_b32 v152, v61
	v_mov_b32_e32 v61, v4
	v_xor_b32_e32 v159, 0x7fffffff, v60
	s_waitcnt lgkmcnt(0)
	v_add_u32_e32 v60, v152, v10
	v_lshlrev_b64 v[60:61], 2, v[60:61]
	v_add_co_u32_e32 v60, vcc, s76, v60
	v_addc_co_u32_e32 v61, vcc, v154, v61, vcc
	global_store_dword v[60:61], v159, off
	s_or_b64 exec, exec, s[50:51]
	v_cmp_lt_u32_e64 s[50:51], v12, v151
	s_and_saveexec_b64 s[52:53], s[50:51]
	s_cbranch_execnz .LBB529_501
.LBB529_486:                            ;   in Loop: Header=BB529_400 Depth=2
	s_or_b64 exec, exec, s[52:53]
	v_cmp_lt_u32_e64 s[52:53], v14, v151
	s_and_saveexec_b64 s[54:55], s[52:53]
	s_cbranch_execz .LBB529_502
.LBB529_487:                            ;   in Loop: Header=BB529_400 Depth=2
	ds_read_b32 v60, v72 offset:8192
	v_mov_b32_e32 v154, s77
	s_waitcnt lgkmcnt(0)
	v_lshrrev_b32_e32 v61, s93, v60
	v_and_b32_e32 v61, s94, v61
	v_lshlrev_b32_e32 v61, 2, v61
	ds_read_b32 v152, v61
	v_mov_b32_e32 v61, v4
	v_xor_b32_e32 v159, 0x7fffffff, v60
	s_waitcnt lgkmcnt(0)
	v_add_u32_e32 v60, v152, v14
	v_lshlrev_b64 v[60:61], 2, v[60:61]
	v_add_co_u32_e32 v60, vcc, s76, v60
	v_addc_co_u32_e32 v61, vcc, v154, v61, vcc
	global_store_dword v[60:61], v159, off
	s_or_b64 exec, exec, s[54:55]
	v_cmp_lt_u32_e64 s[54:55], v16, v151
	s_and_saveexec_b64 s[56:57], s[54:55]
	s_cbranch_execnz .LBB529_503
.LBB529_488:                            ;   in Loop: Header=BB529_400 Depth=2
	s_or_b64 exec, exec, s[56:57]
	v_cmp_lt_u32_e64 s[56:57], v18, v151
	s_and_saveexec_b64 s[58:59], s[56:57]
	s_cbranch_execz .LBB529_504
.LBB529_489:                            ;   in Loop: Header=BB529_400 Depth=2
	ds_read_b32 v60, v72 offset:10240
	v_mov_b32_e32 v154, s77
	s_waitcnt lgkmcnt(0)
	v_lshrrev_b32_e32 v61, s93, v60
	v_and_b32_e32 v61, s94, v61
	v_lshlrev_b32_e32 v61, 2, v61
	ds_read_b32 v152, v61
	v_mov_b32_e32 v61, v4
	v_xor_b32_e32 v159, 0x7fffffff, v60
	s_waitcnt lgkmcnt(0)
	v_add_u32_e32 v60, v152, v18
	v_lshlrev_b64 v[60:61], 2, v[60:61]
	v_add_co_u32_e32 v60, vcc, s76, v60
	v_addc_co_u32_e32 v61, vcc, v154, v61, vcc
	global_store_dword v[60:61], v159, off
	s_or_b64 exec, exec, s[58:59]
	v_cmp_lt_u32_e64 s[58:59], v20, v151
	s_and_saveexec_b64 s[60:61], s[58:59]
	s_cbranch_execnz .LBB529_505
.LBB529_490:                            ;   in Loop: Header=BB529_400 Depth=2
	s_or_b64 exec, exec, s[60:61]
	v_cmp_lt_u32_e64 s[60:61], v22, v151
	s_and_saveexec_b64 s[62:63], s[60:61]
	s_cbranch_execz .LBB529_506
.LBB529_491:                            ;   in Loop: Header=BB529_400 Depth=2
	ds_read_b32 v60, v72 offset:12288
	v_mov_b32_e32 v154, s77
	s_waitcnt lgkmcnt(0)
	v_lshrrev_b32_e32 v61, s93, v60
	v_and_b32_e32 v61, s94, v61
	v_lshlrev_b32_e32 v61, 2, v61
	ds_read_b32 v152, v61
	v_mov_b32_e32 v61, v4
	v_xor_b32_e32 v159, 0x7fffffff, v60
	s_waitcnt lgkmcnt(0)
	v_add_u32_e32 v60, v152, v22
	v_lshlrev_b64 v[60:61], 2, v[60:61]
	v_add_co_u32_e32 v60, vcc, s76, v60
	v_addc_co_u32_e32 v61, vcc, v154, v61, vcc
	global_store_dword v[60:61], v159, off
	s_or_b64 exec, exec, s[62:63]
	v_cmp_lt_u32_e64 s[62:63], v24, v151
	s_and_saveexec_b64 s[64:65], s[62:63]
	s_cbranch_execnz .LBB529_507
.LBB529_492:                            ;   in Loop: Header=BB529_400 Depth=2
	s_or_b64 exec, exec, s[64:65]
	v_cmp_lt_u32_e64 s[64:65], v26, v151
	s_and_saveexec_b64 s[66:67], s[64:65]
	s_cbranch_execz .LBB529_508
.LBB529_493:                            ;   in Loop: Header=BB529_400 Depth=2
	ds_read_b32 v60, v72 offset:14336
	v_mov_b32_e32 v154, s77
	s_waitcnt lgkmcnt(0)
	v_lshrrev_b32_e32 v61, s93, v60
	v_and_b32_e32 v61, s94, v61
	v_lshlrev_b32_e32 v61, 2, v61
	ds_read_b32 v152, v61
	v_mov_b32_e32 v61, v4
	v_xor_b32_e32 v159, 0x7fffffff, v60
	s_waitcnt lgkmcnt(0)
	v_add_u32_e32 v60, v152, v26
	v_lshlrev_b64 v[60:61], 2, v[60:61]
	v_add_co_u32_e32 v60, vcc, s76, v60
	v_addc_co_u32_e32 v61, vcc, v154, v61, vcc
	global_store_dword v[60:61], v159, off
	s_or_b64 exec, exec, s[66:67]
	v_cmp_lt_u32_e64 s[66:67], v28, v151
	s_and_saveexec_b64 s[78:79], s[66:67]
	s_cbranch_execnz .LBB529_509
	s_branch .LBB529_510
.LBB529_494:                            ;   in Loop: Header=BB529_400 Depth=2
	s_or_b64 exec, exec, s[38:39]
	v_cmp_lt_u32_e64 s[38:39], v7, v151
	s_and_saveexec_b64 s[40:41], s[38:39]
	s_cbranch_execz .LBB529_480
.LBB529_495:                            ;   in Loop: Header=BB529_400 Depth=2
	ds_read_b32 v60, v72 offset:1024
	v_mov_b32_e32 v154, s77
	s_waitcnt lgkmcnt(0)
	v_lshrrev_b32_e32 v61, s93, v60
	v_and_b32_e32 v61, s94, v61
	v_lshlrev_b32_e32 v61, 2, v61
	ds_read_b32 v152, v61
	v_mov_b32_e32 v61, v4
	v_xor_b32_e32 v159, 0x7fffffff, v60
	s_waitcnt lgkmcnt(0)
	v_add_u32_e32 v60, v152, v7
	v_lshlrev_b64 v[60:61], 2, v[60:61]
	v_add_co_u32_e32 v60, vcc, s76, v60
	v_addc_co_u32_e32 v61, vcc, v154, v61, vcc
	global_store_dword v[60:61], v159, off
	s_or_b64 exec, exec, s[40:41]
	v_cmp_lt_u32_e64 s[40:41], v9, v151
	s_and_saveexec_b64 s[42:43], s[40:41]
	s_cbranch_execnz .LBB529_481
.LBB529_496:                            ;   in Loop: Header=BB529_400 Depth=2
	s_or_b64 exec, exec, s[42:43]
	v_cmp_lt_u32_e64 s[42:43], v11, v151
	s_and_saveexec_b64 s[44:45], s[42:43]
	s_cbranch_execz .LBB529_482
.LBB529_497:                            ;   in Loop: Header=BB529_400 Depth=2
	ds_read_b32 v60, v72 offset:3072
	v_mov_b32_e32 v154, s77
	s_waitcnt lgkmcnt(0)
	v_lshrrev_b32_e32 v61, s93, v60
	v_and_b32_e32 v61, s94, v61
	v_lshlrev_b32_e32 v61, 2, v61
	ds_read_b32 v152, v61
	v_mov_b32_e32 v61, v4
	v_xor_b32_e32 v159, 0x7fffffff, v60
	s_waitcnt lgkmcnt(0)
	v_add_u32_e32 v60, v152, v11
	v_lshlrev_b64 v[60:61], 2, v[60:61]
	v_add_co_u32_e32 v60, vcc, s76, v60
	v_addc_co_u32_e32 v61, vcc, v154, v61, vcc
	global_store_dword v[60:61], v159, off
	s_or_b64 exec, exec, s[44:45]
	v_cmp_lt_u32_e64 s[44:45], v6, v151
	s_and_saveexec_b64 s[46:47], s[44:45]
	s_cbranch_execnz .LBB529_483
.LBB529_498:                            ;   in Loop: Header=BB529_400 Depth=2
	s_or_b64 exec, exec, s[46:47]
	v_cmp_lt_u32_e64 s[46:47], v8, v151
	s_and_saveexec_b64 s[48:49], s[46:47]
	s_cbranch_execz .LBB529_484
.LBB529_499:                            ;   in Loop: Header=BB529_400 Depth=2
	ds_read_b32 v60, v72 offset:5120
	v_mov_b32_e32 v154, s77
	s_waitcnt lgkmcnt(0)
	v_lshrrev_b32_e32 v61, s93, v60
	v_and_b32_e32 v61, s94, v61
	v_lshlrev_b32_e32 v61, 2, v61
	ds_read_b32 v152, v61
	v_mov_b32_e32 v61, v4
	v_xor_b32_e32 v159, 0x7fffffff, v60
	s_waitcnt lgkmcnt(0)
	v_add_u32_e32 v60, v152, v8
	v_lshlrev_b64 v[60:61], 2, v[60:61]
	v_add_co_u32_e32 v60, vcc, s76, v60
	v_addc_co_u32_e32 v61, vcc, v154, v61, vcc
	global_store_dword v[60:61], v159, off
	s_or_b64 exec, exec, s[48:49]
	v_cmp_lt_u32_e64 s[48:49], v10, v151
	s_and_saveexec_b64 s[50:51], s[48:49]
	s_cbranch_execnz .LBB529_485
.LBB529_500:                            ;   in Loop: Header=BB529_400 Depth=2
	s_or_b64 exec, exec, s[50:51]
	v_cmp_lt_u32_e64 s[50:51], v12, v151
	s_and_saveexec_b64 s[52:53], s[50:51]
	s_cbranch_execz .LBB529_486
.LBB529_501:                            ;   in Loop: Header=BB529_400 Depth=2
	ds_read_b32 v60, v72 offset:7168
	v_mov_b32_e32 v154, s77
	s_waitcnt lgkmcnt(0)
	v_lshrrev_b32_e32 v61, s93, v60
	v_and_b32_e32 v61, s94, v61
	v_lshlrev_b32_e32 v61, 2, v61
	ds_read_b32 v152, v61
	v_mov_b32_e32 v61, v4
	v_xor_b32_e32 v159, 0x7fffffff, v60
	s_waitcnt lgkmcnt(0)
	v_add_u32_e32 v60, v152, v12
	v_lshlrev_b64 v[60:61], 2, v[60:61]
	v_add_co_u32_e32 v60, vcc, s76, v60
	v_addc_co_u32_e32 v61, vcc, v154, v61, vcc
	global_store_dword v[60:61], v159, off
	s_or_b64 exec, exec, s[52:53]
	v_cmp_lt_u32_e64 s[52:53], v14, v151
	s_and_saveexec_b64 s[54:55], s[52:53]
	s_cbranch_execnz .LBB529_487
.LBB529_502:                            ;   in Loop: Header=BB529_400 Depth=2
	s_or_b64 exec, exec, s[54:55]
	v_cmp_lt_u32_e64 s[54:55], v16, v151
	s_and_saveexec_b64 s[56:57], s[54:55]
	s_cbranch_execz .LBB529_488
.LBB529_503:                            ;   in Loop: Header=BB529_400 Depth=2
	ds_read_b32 v60, v72 offset:9216
	v_mov_b32_e32 v154, s77
	s_waitcnt lgkmcnt(0)
	v_lshrrev_b32_e32 v61, s93, v60
	v_and_b32_e32 v61, s94, v61
	v_lshlrev_b32_e32 v61, 2, v61
	ds_read_b32 v152, v61
	v_mov_b32_e32 v61, v4
	v_xor_b32_e32 v159, 0x7fffffff, v60
	s_waitcnt lgkmcnt(0)
	v_add_u32_e32 v60, v152, v16
	v_lshlrev_b64 v[60:61], 2, v[60:61]
	v_add_co_u32_e32 v60, vcc, s76, v60
	v_addc_co_u32_e32 v61, vcc, v154, v61, vcc
	global_store_dword v[60:61], v159, off
	s_or_b64 exec, exec, s[56:57]
	v_cmp_lt_u32_e64 s[56:57], v18, v151
	s_and_saveexec_b64 s[58:59], s[56:57]
	s_cbranch_execnz .LBB529_489
.LBB529_504:                            ;   in Loop: Header=BB529_400 Depth=2
	s_or_b64 exec, exec, s[58:59]
	v_cmp_lt_u32_e64 s[58:59], v20, v151
	s_and_saveexec_b64 s[60:61], s[58:59]
	s_cbranch_execz .LBB529_490
.LBB529_505:                            ;   in Loop: Header=BB529_400 Depth=2
	ds_read_b32 v60, v72 offset:11264
	v_mov_b32_e32 v154, s77
	s_waitcnt lgkmcnt(0)
	v_lshrrev_b32_e32 v61, s93, v60
	v_and_b32_e32 v61, s94, v61
	v_lshlrev_b32_e32 v61, 2, v61
	ds_read_b32 v152, v61
	v_mov_b32_e32 v61, v4
	v_xor_b32_e32 v159, 0x7fffffff, v60
	s_waitcnt lgkmcnt(0)
	v_add_u32_e32 v60, v152, v20
	v_lshlrev_b64 v[60:61], 2, v[60:61]
	v_add_co_u32_e32 v60, vcc, s76, v60
	v_addc_co_u32_e32 v61, vcc, v154, v61, vcc
	global_store_dword v[60:61], v159, off
	s_or_b64 exec, exec, s[60:61]
	v_cmp_lt_u32_e64 s[60:61], v22, v151
	s_and_saveexec_b64 s[62:63], s[60:61]
	s_cbranch_execnz .LBB529_491
.LBB529_506:                            ;   in Loop: Header=BB529_400 Depth=2
	s_or_b64 exec, exec, s[62:63]
	v_cmp_lt_u32_e64 s[62:63], v24, v151
	s_and_saveexec_b64 s[64:65], s[62:63]
	s_cbranch_execz .LBB529_492
.LBB529_507:                            ;   in Loop: Header=BB529_400 Depth=2
	ds_read_b32 v60, v72 offset:13312
	v_mov_b32_e32 v154, s77
	s_waitcnt lgkmcnt(0)
	v_lshrrev_b32_e32 v61, s93, v60
	v_and_b32_e32 v61, s94, v61
	v_lshlrev_b32_e32 v61, 2, v61
	ds_read_b32 v152, v61
	v_mov_b32_e32 v61, v4
	v_xor_b32_e32 v159, 0x7fffffff, v60
	s_waitcnt lgkmcnt(0)
	v_add_u32_e32 v60, v152, v24
	v_lshlrev_b64 v[60:61], 2, v[60:61]
	v_add_co_u32_e32 v60, vcc, s76, v60
	v_addc_co_u32_e32 v61, vcc, v154, v61, vcc
	global_store_dword v[60:61], v159, off
	s_or_b64 exec, exec, s[64:65]
	v_cmp_lt_u32_e64 s[64:65], v26, v151
	s_and_saveexec_b64 s[66:67], s[64:65]
	s_cbranch_execnz .LBB529_493
.LBB529_508:                            ;   in Loop: Header=BB529_400 Depth=2
	s_or_b64 exec, exec, s[66:67]
	v_cmp_lt_u32_e64 s[66:67], v28, v151
	s_and_saveexec_b64 s[78:79], s[66:67]
	s_cbranch_execz .LBB529_510
.LBB529_509:                            ;   in Loop: Header=BB529_400 Depth=2
	ds_read_b32 v60, v72 offset:15360
	v_mov_b32_e32 v154, s77
	s_waitcnt lgkmcnt(0)
	v_lshrrev_b32_e32 v61, s93, v60
	v_and_b32_e32 v61, s94, v61
	v_lshlrev_b32_e32 v61, 2, v61
	ds_read_b32 v152, v61
	v_mov_b32_e32 v61, v4
	v_xor_b32_e32 v159, 0x7fffffff, v60
	s_waitcnt lgkmcnt(0)
	v_add_u32_e32 v60, v152, v28
	v_lshlrev_b64 v[60:61], 2, v[60:61]
	v_add_co_u32_e32 v60, vcc, s76, v60
	v_addc_co_u32_e32 v61, vcc, v154, v61, vcc
	global_store_dword v[60:61], v159, off
.LBB529_510:                            ;   in Loop: Header=BB529_400 Depth=2
	s_or_b64 exec, exec, s[78:79]
	s_lshl_b64 s[78:79], s[88:89], 3
	v_mov_b32_e32 v61, s79
	v_add_co_u32_e32 v60, vcc, s78, v128
	v_addc_co_u32_e32 v61, vcc, v129, v61, vcc
	v_cmp_lt_u32_e32 vcc, v109, v151
	s_and_saveexec_b64 s[78:79], vcc
	s_xor_b64 s[78:79], exec, s[78:79]
	s_cbranch_execz .LBB529_542
; %bb.511:                              ;   in Loop: Header=BB529_400 Depth=2
	global_load_dwordx2 v[58:59], v[60:61], off
	s_or_b64 exec, exec, s[78:79]
	v_cmp_lt_u32_e32 vcc, v110, v151
	s_and_saveexec_b64 s[78:79], vcc
	s_cbranch_execnz .LBB529_543
.LBB529_512:                            ;   in Loop: Header=BB529_400 Depth=2
	s_or_b64 exec, exec, s[78:79]
	v_cmp_lt_u32_e32 vcc, v111, v151
	s_and_saveexec_b64 s[78:79], vcc
	s_cbranch_execz .LBB529_544
.LBB529_513:                            ;   in Loop: Header=BB529_400 Depth=2
	global_load_dwordx2 v[54:55], v[60:61], off offset:1024
	s_or_b64 exec, exec, s[78:79]
	v_cmp_lt_u32_e32 vcc, v112, v151
	s_and_saveexec_b64 s[78:79], vcc
	s_cbranch_execnz .LBB529_545
.LBB529_514:                            ;   in Loop: Header=BB529_400 Depth=2
	s_or_b64 exec, exec, s[78:79]
	v_cmp_lt_u32_e32 vcc, v113, v151
	s_and_saveexec_b64 s[78:79], vcc
	s_cbranch_execz .LBB529_546
.LBB529_515:                            ;   in Loop: Header=BB529_400 Depth=2
	global_load_dwordx2 v[46:47], v[60:61], off offset:2048
	s_or_b64 exec, exec, s[78:79]
	v_cmp_lt_u32_e32 vcc, v114, v151
	s_and_saveexec_b64 s[78:79], vcc
	s_cbranch_execnz .LBB529_547
.LBB529_516:                            ;   in Loop: Header=BB529_400 Depth=2
	s_or_b64 exec, exec, s[78:79]
	v_cmp_lt_u32_e32 vcc, v115, v151
	s_and_saveexec_b64 s[78:79], vcc
	s_cbranch_execz .LBB529_548
.LBB529_517:                            ;   in Loop: Header=BB529_400 Depth=2
	global_load_dwordx2 v[38:39], v[60:61], off offset:3072
	s_or_b64 exec, exec, s[78:79]
	v_cmp_lt_u32_e32 vcc, v116, v151
	s_and_saveexec_b64 s[78:79], vcc
	s_cbranch_execnz .LBB529_549
.LBB529_518:                            ;   in Loop: Header=BB529_400 Depth=2
	s_or_b64 exec, exec, s[78:79]
	v_cmp_lt_u32_e32 vcc, v117, v151
	s_and_saveexec_b64 s[78:79], vcc
	s_cbranch_execz .LBB529_550
.LBB529_519:                            ;   in Loop: Header=BB529_400 Depth=2
	v_add_co_u32_e32 v52, vcc, 0x1000, v60
	v_addc_co_u32_e32 v53, vcc, 0, v61, vcc
	global_load_dwordx2 v[52:53], v[52:53], off
	s_or_b64 exec, exec, s[78:79]
	v_cmp_lt_u32_e32 vcc, v118, v151
	s_and_saveexec_b64 s[78:79], vcc
	s_cbranch_execnz .LBB529_551
.LBB529_520:                            ;   in Loop: Header=BB529_400 Depth=2
	s_or_b64 exec, exec, s[78:79]
	v_cmp_lt_u32_e32 vcc, v119, v151
	s_and_saveexec_b64 s[78:79], vcc
	s_cbranch_execz .LBB529_552
.LBB529_521:                            ;   in Loop: Header=BB529_400 Depth=2
	v_add_co_u32_e32 v44, vcc, 0x1000, v60
	v_addc_co_u32_e32 v45, vcc, 0, v61, vcc
	global_load_dwordx2 v[44:45], v[44:45], off offset:1024
	s_or_b64 exec, exec, s[78:79]
	v_cmp_lt_u32_e32 vcc, v120, v151
	s_and_saveexec_b64 s[78:79], vcc
	s_cbranch_execnz .LBB529_553
.LBB529_522:                            ;   in Loop: Header=BB529_400 Depth=2
	s_or_b64 exec, exec, s[78:79]
	v_cmp_lt_u32_e32 vcc, v121, v151
	s_and_saveexec_b64 s[78:79], vcc
	s_cbranch_execz .LBB529_554
.LBB529_523:                            ;   in Loop: Header=BB529_400 Depth=2
	v_add_co_u32_e32 v36, vcc, 0x1000, v60
	v_addc_co_u32_e32 v37, vcc, 0, v61, vcc
	global_load_dwordx2 v[36:37], v[36:37], off offset:2048
	s_or_b64 exec, exec, s[78:79]
	v_cmp_lt_u32_e32 vcc, v122, v151
	s_and_saveexec_b64 s[78:79], vcc
	s_cbranch_execnz .LBB529_555
.LBB529_524:                            ;   in Loop: Header=BB529_400 Depth=2
	s_or_b64 exec, exec, s[78:79]
	v_cmp_lt_u32_e32 vcc, v123, v151
	s_and_saveexec_b64 s[78:79], vcc
	s_cbranch_execz .LBB529_556
.LBB529_525:                            ;   in Loop: Header=BB529_400 Depth=2
	v_add_co_u32_e32 v30, vcc, 0x1000, v60
	v_addc_co_u32_e32 v31, vcc, 0, v61, vcc
	global_load_dwordx2 v[30:31], v[30:31], off offset:3072
	s_or_b64 exec, exec, s[78:79]
	v_cmp_lt_u32_e32 vcc, v124, v151
	s_and_saveexec_b64 s[78:79], vcc
	s_cbranch_execnz .LBB529_557
.LBB529_526:                            ;   in Loop: Header=BB529_400 Depth=2
	s_or_b64 exec, exec, s[78:79]
	s_and_saveexec_b64 s[78:79], s[36:37]
	s_cbranch_execz .LBB529_558
.LBB529_527:                            ;   in Loop: Header=BB529_400 Depth=2
	v_add_u32_e32 v60, v64, v67
	ds_read_b32 v60, v60 offset:1024
	s_waitcnt lgkmcnt(0)
	v_lshrrev_b32_e32 v60, s93, v60
	v_and_b32_e32 v149, s94, v60
	s_or_b64 exec, exec, s[78:79]
	s_and_saveexec_b64 s[78:79], s[38:39]
	s_cbranch_execnz .LBB529_559
.LBB529_528:                            ;   in Loop: Header=BB529_400 Depth=2
	s_or_b64 exec, exec, s[78:79]
	s_and_saveexec_b64 s[78:79], s[40:41]
	s_cbranch_execz .LBB529_560
.LBB529_529:                            ;   in Loop: Header=BB529_400 Depth=2
	ds_read_b32 v60, v72 offset:2048
	s_waitcnt lgkmcnt(0)
	v_lshrrev_b32_e32 v60, s93, v60
	v_and_b32_e32 v146, s94, v60
	s_or_b64 exec, exec, s[78:79]
	s_and_saveexec_b64 s[78:79], s[42:43]
	s_cbranch_execnz .LBB529_561
.LBB529_530:                            ;   in Loop: Header=BB529_400 Depth=2
	s_or_b64 exec, exec, s[78:79]
	s_and_saveexec_b64 s[78:79], s[44:45]
	s_cbranch_execz .LBB529_562
.LBB529_531:                            ;   in Loop: Header=BB529_400 Depth=2
	ds_read_b32 v60, v72 offset:4096
	s_waitcnt lgkmcnt(0)
	v_lshrrev_b32_e32 v60, s93, v60
	v_and_b32_e32 v143, s94, v60
	s_or_b64 exec, exec, s[78:79]
	s_and_saveexec_b64 s[78:79], s[46:47]
	s_cbranch_execnz .LBB529_563
.LBB529_532:                            ;   in Loop: Header=BB529_400 Depth=2
	s_or_b64 exec, exec, s[78:79]
	s_and_saveexec_b64 s[78:79], s[48:49]
	s_cbranch_execz .LBB529_564
.LBB529_533:                            ;   in Loop: Header=BB529_400 Depth=2
	ds_read_b32 v60, v72 offset:6144
	s_waitcnt lgkmcnt(0)
	v_lshrrev_b32_e32 v60, s93, v60
	v_and_b32_e32 v141, s94, v60
	s_or_b64 exec, exec, s[78:79]
	s_and_saveexec_b64 s[78:79], s[50:51]
	s_cbranch_execnz .LBB529_565
.LBB529_534:                            ;   in Loop: Header=BB529_400 Depth=2
	s_or_b64 exec, exec, s[78:79]
	s_and_saveexec_b64 s[78:79], s[52:53]
	s_cbranch_execz .LBB529_566
.LBB529_535:                            ;   in Loop: Header=BB529_400 Depth=2
	ds_read_b32 v60, v72 offset:8192
	s_waitcnt lgkmcnt(0)
	v_lshrrev_b32_e32 v60, s93, v60
	v_and_b32_e32 v139, s94, v60
	s_or_b64 exec, exec, s[78:79]
	s_and_saveexec_b64 s[78:79], s[54:55]
	s_cbranch_execnz .LBB529_567
.LBB529_536:                            ;   in Loop: Header=BB529_400 Depth=2
	s_or_b64 exec, exec, s[78:79]
	s_and_saveexec_b64 s[78:79], s[56:57]
	s_cbranch_execz .LBB529_568
.LBB529_537:                            ;   in Loop: Header=BB529_400 Depth=2
	ds_read_b32 v60, v72 offset:10240
	s_waitcnt lgkmcnt(0)
	v_lshrrev_b32_e32 v60, s93, v60
	v_and_b32_e32 v137, s94, v60
	s_or_b64 exec, exec, s[78:79]
	s_and_saveexec_b64 s[78:79], s[58:59]
	s_cbranch_execnz .LBB529_569
.LBB529_538:                            ;   in Loop: Header=BB529_400 Depth=2
	s_or_b64 exec, exec, s[78:79]
	s_and_saveexec_b64 s[78:79], s[60:61]
	s_cbranch_execz .LBB529_570
.LBB529_539:                            ;   in Loop: Header=BB529_400 Depth=2
	ds_read_b32 v60, v72 offset:12288
	s_waitcnt lgkmcnt(0)
	v_lshrrev_b32_e32 v60, s93, v60
	v_and_b32_e32 v135, s94, v60
	s_or_b64 exec, exec, s[78:79]
	s_and_saveexec_b64 s[78:79], s[62:63]
	s_cbranch_execnz .LBB529_571
.LBB529_540:                            ;   in Loop: Header=BB529_400 Depth=2
	s_or_b64 exec, exec, s[78:79]
	s_and_saveexec_b64 s[78:79], s[64:65]
	s_cbranch_execz .LBB529_572
.LBB529_541:                            ;   in Loop: Header=BB529_400 Depth=2
	ds_read_b32 v60, v72 offset:14336
	s_waitcnt lgkmcnt(0)
	v_lshrrev_b32_e32 v60, s93, v60
	v_and_b32_e32 v133, s94, v60
	s_or_b64 exec, exec, s[78:79]
	s_and_saveexec_b64 s[78:79], s[66:67]
	s_cbranch_execnz .LBB529_573
	s_branch .LBB529_574
.LBB529_542:                            ;   in Loop: Header=BB529_400 Depth=2
	s_or_b64 exec, exec, s[78:79]
	v_cmp_lt_u32_e32 vcc, v110, v151
	s_and_saveexec_b64 s[78:79], vcc
	s_cbranch_execz .LBB529_512
.LBB529_543:                            ;   in Loop: Header=BB529_400 Depth=2
	global_load_dwordx2 v[56:57], v[60:61], off offset:512
	s_or_b64 exec, exec, s[78:79]
	v_cmp_lt_u32_e32 vcc, v111, v151
	s_and_saveexec_b64 s[78:79], vcc
	s_cbranch_execnz .LBB529_513
.LBB529_544:                            ;   in Loop: Header=BB529_400 Depth=2
	s_or_b64 exec, exec, s[78:79]
	v_cmp_lt_u32_e32 vcc, v112, v151
	s_and_saveexec_b64 s[78:79], vcc
	s_cbranch_execz .LBB529_514
.LBB529_545:                            ;   in Loop: Header=BB529_400 Depth=2
	global_load_dwordx2 v[50:51], v[60:61], off offset:1536
	s_or_b64 exec, exec, s[78:79]
	v_cmp_lt_u32_e32 vcc, v113, v151
	s_and_saveexec_b64 s[78:79], vcc
	s_cbranch_execnz .LBB529_515
.LBB529_546:                            ;   in Loop: Header=BB529_400 Depth=2
	s_or_b64 exec, exec, s[78:79]
	v_cmp_lt_u32_e32 vcc, v114, v151
	s_and_saveexec_b64 s[78:79], vcc
	s_cbranch_execz .LBB529_516
.LBB529_547:                            ;   in Loop: Header=BB529_400 Depth=2
	global_load_dwordx2 v[42:43], v[60:61], off offset:2560
	s_or_b64 exec, exec, s[78:79]
	v_cmp_lt_u32_e32 vcc, v115, v151
	s_and_saveexec_b64 s[78:79], vcc
	s_cbranch_execnz .LBB529_517
.LBB529_548:                            ;   in Loop: Header=BB529_400 Depth=2
	s_or_b64 exec, exec, s[78:79]
	v_cmp_lt_u32_e32 vcc, v116, v151
	s_and_saveexec_b64 s[78:79], vcc
	s_cbranch_execz .LBB529_518
.LBB529_549:                            ;   in Loop: Header=BB529_400 Depth=2
	global_load_dwordx2 v[34:35], v[60:61], off offset:3584
	s_or_b64 exec, exec, s[78:79]
	v_cmp_lt_u32_e32 vcc, v117, v151
	s_and_saveexec_b64 s[78:79], vcc
	s_cbranch_execnz .LBB529_519
.LBB529_550:                            ;   in Loop: Header=BB529_400 Depth=2
	s_or_b64 exec, exec, s[78:79]
	v_cmp_lt_u32_e32 vcc, v118, v151
	s_and_saveexec_b64 s[78:79], vcc
	s_cbranch_execz .LBB529_520
.LBB529_551:                            ;   in Loop: Header=BB529_400 Depth=2
	v_add_co_u32_e32 v48, vcc, 0x1000, v60
	v_addc_co_u32_e32 v49, vcc, 0, v61, vcc
	global_load_dwordx2 v[48:49], v[48:49], off offset:512
	s_or_b64 exec, exec, s[78:79]
	v_cmp_lt_u32_e32 vcc, v119, v151
	s_and_saveexec_b64 s[78:79], vcc
	s_cbranch_execnz .LBB529_521
.LBB529_552:                            ;   in Loop: Header=BB529_400 Depth=2
	s_or_b64 exec, exec, s[78:79]
	v_cmp_lt_u32_e32 vcc, v120, v151
	s_and_saveexec_b64 s[78:79], vcc
	s_cbranch_execz .LBB529_522
.LBB529_553:                            ;   in Loop: Header=BB529_400 Depth=2
	v_add_co_u32_e32 v40, vcc, 0x1000, v60
	v_addc_co_u32_e32 v41, vcc, 0, v61, vcc
	global_load_dwordx2 v[40:41], v[40:41], off offset:1536
	s_or_b64 exec, exec, s[78:79]
	v_cmp_lt_u32_e32 vcc, v121, v151
	s_and_saveexec_b64 s[78:79], vcc
	s_cbranch_execnz .LBB529_523
.LBB529_554:                            ;   in Loop: Header=BB529_400 Depth=2
	s_or_b64 exec, exec, s[78:79]
	v_cmp_lt_u32_e32 vcc, v122, v151
	s_and_saveexec_b64 s[78:79], vcc
	s_cbranch_execz .LBB529_524
.LBB529_555:                            ;   in Loop: Header=BB529_400 Depth=2
	v_add_co_u32_e32 v32, vcc, 0x1000, v60
	v_addc_co_u32_e32 v33, vcc, 0, v61, vcc
	global_load_dwordx2 v[32:33], v[32:33], off offset:2560
	s_or_b64 exec, exec, s[78:79]
	v_cmp_lt_u32_e32 vcc, v123, v151
	s_and_saveexec_b64 s[78:79], vcc
	s_cbranch_execnz .LBB529_525
.LBB529_556:                            ;   in Loop: Header=BB529_400 Depth=2
	s_or_b64 exec, exec, s[78:79]
	v_cmp_lt_u32_e32 vcc, v124, v151
	s_and_saveexec_b64 s[78:79], vcc
	s_cbranch_execz .LBB529_526
.LBB529_557:                            ;   in Loop: Header=BB529_400 Depth=2
	v_add_co_u32_e32 v0, vcc, 0x1000, v60
	v_addc_co_u32_e32 v1, vcc, 0, v61, vcc
	global_load_dwordx2 v[0:1], v[0:1], off offset:3584
	s_or_b64 exec, exec, s[78:79]
	s_and_saveexec_b64 s[78:79], s[36:37]
	s_cbranch_execnz .LBB529_527
.LBB529_558:                            ;   in Loop: Header=BB529_400 Depth=2
	s_or_b64 exec, exec, s[78:79]
	s_and_saveexec_b64 s[78:79], s[38:39]
	s_cbranch_execz .LBB529_528
.LBB529_559:                            ;   in Loop: Header=BB529_400 Depth=2
	ds_read_b32 v60, v72 offset:1024
	s_waitcnt lgkmcnt(0)
	v_lshrrev_b32_e32 v60, s93, v60
	v_and_b32_e32 v147, s94, v60
	s_or_b64 exec, exec, s[78:79]
	s_and_saveexec_b64 s[78:79], s[40:41]
	s_cbranch_execnz .LBB529_529
.LBB529_560:                            ;   in Loop: Header=BB529_400 Depth=2
	s_or_b64 exec, exec, s[78:79]
	s_and_saveexec_b64 s[78:79], s[42:43]
	s_cbranch_execz .LBB529_530
.LBB529_561:                            ;   in Loop: Header=BB529_400 Depth=2
	ds_read_b32 v60, v72 offset:3072
	s_waitcnt lgkmcnt(0)
	v_lshrrev_b32_e32 v60, s93, v60
	v_and_b32_e32 v144, s94, v60
	s_or_b64 exec, exec, s[78:79]
	s_and_saveexec_b64 s[78:79], s[44:45]
	s_cbranch_execnz .LBB529_531
.LBB529_562:                            ;   in Loop: Header=BB529_400 Depth=2
	s_or_b64 exec, exec, s[78:79]
	s_and_saveexec_b64 s[78:79], s[46:47]
	s_cbranch_execz .LBB529_532
.LBB529_563:                            ;   in Loop: Header=BB529_400 Depth=2
	ds_read_b32 v60, v72 offset:5120
	s_waitcnt lgkmcnt(0)
	v_lshrrev_b32_e32 v60, s93, v60
	v_and_b32_e32 v142, s94, v60
	s_or_b64 exec, exec, s[78:79]
	s_and_saveexec_b64 s[78:79], s[48:49]
	s_cbranch_execnz .LBB529_533
.LBB529_564:                            ;   in Loop: Header=BB529_400 Depth=2
	s_or_b64 exec, exec, s[78:79]
	s_and_saveexec_b64 s[78:79], s[50:51]
	s_cbranch_execz .LBB529_534
.LBB529_565:                            ;   in Loop: Header=BB529_400 Depth=2
	ds_read_b32 v60, v72 offset:7168
	s_waitcnt lgkmcnt(0)
	v_lshrrev_b32_e32 v60, s93, v60
	v_and_b32_e32 v140, s94, v60
	s_or_b64 exec, exec, s[78:79]
	s_and_saveexec_b64 s[78:79], s[52:53]
	s_cbranch_execnz .LBB529_535
.LBB529_566:                            ;   in Loop: Header=BB529_400 Depth=2
	s_or_b64 exec, exec, s[78:79]
	s_and_saveexec_b64 s[78:79], s[54:55]
	s_cbranch_execz .LBB529_536
.LBB529_567:                            ;   in Loop: Header=BB529_400 Depth=2
	ds_read_b32 v60, v72 offset:9216
	s_waitcnt lgkmcnt(0)
	v_lshrrev_b32_e32 v60, s93, v60
	v_and_b32_e32 v138, s94, v60
	s_or_b64 exec, exec, s[78:79]
	s_and_saveexec_b64 s[78:79], s[56:57]
	s_cbranch_execnz .LBB529_537
.LBB529_568:                            ;   in Loop: Header=BB529_400 Depth=2
	s_or_b64 exec, exec, s[78:79]
	s_and_saveexec_b64 s[78:79], s[58:59]
	s_cbranch_execz .LBB529_538
.LBB529_569:                            ;   in Loop: Header=BB529_400 Depth=2
	ds_read_b32 v60, v72 offset:11264
	s_waitcnt lgkmcnt(0)
	v_lshrrev_b32_e32 v60, s93, v60
	v_and_b32_e32 v136, s94, v60
	s_or_b64 exec, exec, s[78:79]
	s_and_saveexec_b64 s[78:79], s[60:61]
	s_cbranch_execnz .LBB529_539
.LBB529_570:                            ;   in Loop: Header=BB529_400 Depth=2
	s_or_b64 exec, exec, s[78:79]
	s_and_saveexec_b64 s[78:79], s[62:63]
	s_cbranch_execz .LBB529_540
.LBB529_571:                            ;   in Loop: Header=BB529_400 Depth=2
	ds_read_b32 v60, v72 offset:13312
	s_waitcnt lgkmcnt(0)
	v_lshrrev_b32_e32 v60, s93, v60
	v_and_b32_e32 v134, s94, v60
	s_or_b64 exec, exec, s[78:79]
	s_and_saveexec_b64 s[78:79], s[64:65]
	s_cbranch_execnz .LBB529_541
.LBB529_572:                            ;   in Loop: Header=BB529_400 Depth=2
	s_or_b64 exec, exec, s[78:79]
	s_and_saveexec_b64 s[78:79], s[66:67]
	s_cbranch_execz .LBB529_574
.LBB529_573:                            ;   in Loop: Header=BB529_400 Depth=2
	ds_read_b32 v60, v72 offset:15360
	s_waitcnt lgkmcnt(0)
	v_lshrrev_b32_e32 v60, s93, v60
	v_and_b32_e32 v132, s94, v60
.LBB529_574:                            ;   in Loop: Header=BB529_400 Depth=2
	s_or_b64 exec, exec, s[78:79]
	v_lshlrev_b32_e32 v60, 3, v172
	s_barrier
	s_waitcnt vmcnt(0)
	ds_write_b64 v60, v[58:59] offset:1024
	v_lshlrev_b32_e32 v60, 3, v168
	ds_write_b64 v60, v[56:57] offset:1024
	v_lshlrev_b32_e32 v60, 3, v167
	ds_write_b64 v60, v[54:55] offset:1024
	v_lshlrev_b32_e32 v60, 3, v166
	ds_write_b64 v60, v[50:51] offset:1024
	v_lshlrev_b32_e32 v60, 3, v165
	ds_write_b64 v60, v[46:47] offset:1024
	v_lshlrev_b32_e32 v60, 3, v163
	ds_write_b64 v60, v[42:43] offset:1024
	v_lshlrev_b32_e32 v60, 3, v162
	ds_write_b64 v60, v[38:39] offset:1024
	v_lshlrev_b32_e32 v60, 3, v161
	ds_write_b64 v60, v[34:35] offset:1024
	v_lshlrev_b32_e32 v60, 3, v160
	ds_write_b64 v60, v[52:53] offset:1024
	v_lshlrev_b32_e32 v60, 3, v158
	ds_write_b64 v60, v[48:49] offset:1024
	v_lshlrev_b32_e32 v60, 3, v157
	ds_write_b64 v60, v[44:45] offset:1024
	v_lshlrev_b32_e32 v60, 3, v156
	ds_write_b64 v60, v[40:41] offset:1024
	v_lshlrev_b32_e32 v60, 3, v155
	ds_write_b64 v60, v[36:37] offset:1024
	v_lshlrev_b32_e32 v60, 3, v153
	ds_write_b64 v60, v[32:33] offset:1024
	v_lshlrev_b32_e32 v60, 3, v63
	ds_write_b64 v60, v[30:31] offset:1024
	v_lshlrev_b32_e32 v60, 3, v62
	ds_write_b64 v60, v[0:1] offset:1024
	s_waitcnt lgkmcnt(0)
	s_barrier
	s_and_saveexec_b64 s[78:79], s[36:37]
	s_cbranch_execz .LBB529_590
; %bb.575:                              ;   in Loop: Header=BB529_400 Depth=2
	v_lshlrev_b32_e32 v60, 2, v149
	ds_read_b32 v62, v60
	ds_read_b64 v[60:61], v73 offset:1024
	v_mov_b32_e32 v63, v4
	v_mov_b32_e32 v151, s83
	s_waitcnt lgkmcnt(1)
	v_add_u32_e32 v62, v62, v2
	v_lshlrev_b64 v[62:63], 3, v[62:63]
	v_add_co_u32_e32 v62, vcc, s82, v62
	v_addc_co_u32_e32 v63, vcc, v151, v63, vcc
	s_waitcnt lgkmcnt(0)
	global_store_dwordx2 v[62:63], v[60:61], off
	s_or_b64 exec, exec, s[78:79]
	s_and_saveexec_b64 s[36:37], s[38:39]
	s_cbranch_execnz .LBB529_591
.LBB529_576:                            ;   in Loop: Header=BB529_400 Depth=2
	s_or_b64 exec, exec, s[36:37]
	s_and_saveexec_b64 s[36:37], s[40:41]
	s_cbranch_execz .LBB529_592
.LBB529_577:                            ;   in Loop: Header=BB529_400 Depth=2
	v_lshlrev_b32_e32 v60, 2, v146
	ds_read_b32 v62, v60
	v_add_u32_e32 v60, v72, v3
	ds_read_b64 v[60:61], v60 offset:4096
	v_mov_b32_e32 v63, v4
	v_mov_b32_e32 v151, s83
	s_waitcnt lgkmcnt(1)
	v_add_u32_e32 v62, v62, v9
	v_lshlrev_b64 v[62:63], 3, v[62:63]
	v_add_co_u32_e32 v62, vcc, s82, v62
	v_addc_co_u32_e32 v63, vcc, v151, v63, vcc
	s_waitcnt lgkmcnt(0)
	global_store_dwordx2 v[62:63], v[60:61], off
	s_or_b64 exec, exec, s[36:37]
	s_and_saveexec_b64 s[36:37], s[42:43]
	s_cbranch_execnz .LBB529_593
.LBB529_578:                            ;   in Loop: Header=BB529_400 Depth=2
	s_or_b64 exec, exec, s[36:37]
	s_and_saveexec_b64 s[36:37], s[44:45]
	s_cbranch_execz .LBB529_594
.LBB529_579:                            ;   in Loop: Header=BB529_400 Depth=2
	v_lshlrev_b32_e32 v60, 2, v143
	ds_read_b32 v62, v60
	v_add_u32_e32 v60, v72, v3
	ds_read_b64 v[60:61], v60 offset:8192
	v_mov_b32_e32 v63, v4
	v_mov_b32_e32 v151, s83
	s_waitcnt lgkmcnt(1)
	v_add_u32_e32 v62, v62, v6
	v_lshlrev_b64 v[62:63], 3, v[62:63]
	v_add_co_u32_e32 v62, vcc, s82, v62
	v_addc_co_u32_e32 v63, vcc, v151, v63, vcc
	s_waitcnt lgkmcnt(0)
	global_store_dwordx2 v[62:63], v[60:61], off
	s_or_b64 exec, exec, s[36:37]
	s_and_saveexec_b64 s[36:37], s[46:47]
	s_cbranch_execnz .LBB529_595
.LBB529_580:                            ;   in Loop: Header=BB529_400 Depth=2
	s_or_b64 exec, exec, s[36:37]
	s_and_saveexec_b64 s[36:37], s[48:49]
	s_cbranch_execz .LBB529_596
.LBB529_581:                            ;   in Loop: Header=BB529_400 Depth=2
	v_lshlrev_b32_e32 v60, 2, v141
	ds_read_b32 v62, v60
	v_add_u32_e32 v60, v72, v3
	ds_read_b64 v[60:61], v60 offset:12288
	v_mov_b32_e32 v63, v4
	v_mov_b32_e32 v151, s83
	s_waitcnt lgkmcnt(1)
	v_add_u32_e32 v62, v62, v10
	v_lshlrev_b64 v[62:63], 3, v[62:63]
	v_add_co_u32_e32 v62, vcc, s82, v62
	v_addc_co_u32_e32 v63, vcc, v151, v63, vcc
	s_waitcnt lgkmcnt(0)
	global_store_dwordx2 v[62:63], v[60:61], off
	s_or_b64 exec, exec, s[36:37]
	s_and_saveexec_b64 s[36:37], s[50:51]
	s_cbranch_execnz .LBB529_597
.LBB529_582:                            ;   in Loop: Header=BB529_400 Depth=2
	s_or_b64 exec, exec, s[36:37]
	s_and_saveexec_b64 s[36:37], s[52:53]
	s_cbranch_execz .LBB529_598
.LBB529_583:                            ;   in Loop: Header=BB529_400 Depth=2
	v_lshlrev_b32_e32 v60, 2, v139
	ds_read_b32 v62, v60
	v_add_u32_e32 v60, v72, v3
	ds_read_b64 v[60:61], v60 offset:16384
	v_mov_b32_e32 v63, v4
	v_mov_b32_e32 v151, s83
	s_waitcnt lgkmcnt(1)
	v_add_u32_e32 v62, v62, v14
	v_lshlrev_b64 v[62:63], 3, v[62:63]
	v_add_co_u32_e32 v62, vcc, s82, v62
	v_addc_co_u32_e32 v63, vcc, v151, v63, vcc
	s_waitcnt lgkmcnt(0)
	global_store_dwordx2 v[62:63], v[60:61], off
	s_or_b64 exec, exec, s[36:37]
	s_and_saveexec_b64 s[36:37], s[54:55]
	s_cbranch_execnz .LBB529_599
.LBB529_584:                            ;   in Loop: Header=BB529_400 Depth=2
	s_or_b64 exec, exec, s[36:37]
	s_and_saveexec_b64 s[36:37], s[56:57]
	s_cbranch_execz .LBB529_600
.LBB529_585:                            ;   in Loop: Header=BB529_400 Depth=2
	v_lshlrev_b32_e32 v60, 2, v137
	ds_read_b32 v62, v60
	v_add_u32_e32 v60, v72, v3
	ds_read_b64 v[60:61], v60 offset:20480
	v_mov_b32_e32 v63, v4
	v_mov_b32_e32 v151, s83
	s_waitcnt lgkmcnt(1)
	v_add_u32_e32 v62, v62, v18
	v_lshlrev_b64 v[62:63], 3, v[62:63]
	v_add_co_u32_e32 v62, vcc, s82, v62
	v_addc_co_u32_e32 v63, vcc, v151, v63, vcc
	s_waitcnt lgkmcnt(0)
	global_store_dwordx2 v[62:63], v[60:61], off
	s_or_b64 exec, exec, s[36:37]
	s_and_saveexec_b64 s[36:37], s[58:59]
	s_cbranch_execnz .LBB529_601
.LBB529_586:                            ;   in Loop: Header=BB529_400 Depth=2
	s_or_b64 exec, exec, s[36:37]
	s_and_saveexec_b64 s[36:37], s[60:61]
	s_cbranch_execz .LBB529_602
.LBB529_587:                            ;   in Loop: Header=BB529_400 Depth=2
	v_lshlrev_b32_e32 v60, 2, v135
	ds_read_b32 v62, v60
	v_add_u32_e32 v60, v72, v3
	ds_read_b64 v[60:61], v60 offset:24576
	v_mov_b32_e32 v63, v4
	v_mov_b32_e32 v151, s83
	s_waitcnt lgkmcnt(1)
	v_add_u32_e32 v62, v62, v22
	v_lshlrev_b64 v[62:63], 3, v[62:63]
	v_add_co_u32_e32 v62, vcc, s82, v62
	v_addc_co_u32_e32 v63, vcc, v151, v63, vcc
	s_waitcnt lgkmcnt(0)
	global_store_dwordx2 v[62:63], v[60:61], off
	s_or_b64 exec, exec, s[36:37]
	s_and_saveexec_b64 s[36:37], s[62:63]
	s_cbranch_execnz .LBB529_603
.LBB529_588:                            ;   in Loop: Header=BB529_400 Depth=2
	s_or_b64 exec, exec, s[36:37]
	s_and_saveexec_b64 s[36:37], s[64:65]
	s_cbranch_execz .LBB529_604
.LBB529_589:                            ;   in Loop: Header=BB529_400 Depth=2
	v_lshlrev_b32_e32 v60, 2, v133
	ds_read_b32 v62, v60
	v_add_u32_e32 v60, v72, v3
	ds_read_b64 v[60:61], v60 offset:28672
	v_mov_b32_e32 v63, v4
	v_mov_b32_e32 v151, s83
	s_waitcnt lgkmcnt(1)
	v_add_u32_e32 v62, v62, v26
	v_lshlrev_b64 v[62:63], 3, v[62:63]
	v_add_co_u32_e32 v62, vcc, s82, v62
	v_addc_co_u32_e32 v63, vcc, v151, v63, vcc
	s_waitcnt lgkmcnt(0)
	global_store_dwordx2 v[62:63], v[60:61], off
	s_or_b64 exec, exec, s[36:37]
	s_and_saveexec_b64 s[36:37], s[66:67]
	s_cbranch_execnz .LBB529_605
	s_branch .LBB529_606
.LBB529_590:                            ;   in Loop: Header=BB529_400 Depth=2
	s_or_b64 exec, exec, s[78:79]
	s_and_saveexec_b64 s[36:37], s[38:39]
	s_cbranch_execz .LBB529_576
.LBB529_591:                            ;   in Loop: Header=BB529_400 Depth=2
	v_lshlrev_b32_e32 v60, 2, v147
	ds_read_b32 v62, v60
	v_add_u32_e32 v60, v72, v3
	ds_read_b64 v[60:61], v60 offset:2048
	v_mov_b32_e32 v63, v4
	v_mov_b32_e32 v151, s83
	s_waitcnt lgkmcnt(1)
	v_add_u32_e32 v62, v62, v7
	v_lshlrev_b64 v[62:63], 3, v[62:63]
	v_add_co_u32_e32 v62, vcc, s82, v62
	v_addc_co_u32_e32 v63, vcc, v151, v63, vcc
	s_waitcnt lgkmcnt(0)
	global_store_dwordx2 v[62:63], v[60:61], off
	s_or_b64 exec, exec, s[36:37]
	s_and_saveexec_b64 s[36:37], s[40:41]
	s_cbranch_execnz .LBB529_577
.LBB529_592:                            ;   in Loop: Header=BB529_400 Depth=2
	s_or_b64 exec, exec, s[36:37]
	s_and_saveexec_b64 s[36:37], s[42:43]
	s_cbranch_execz .LBB529_578
.LBB529_593:                            ;   in Loop: Header=BB529_400 Depth=2
	v_lshlrev_b32_e32 v60, 2, v144
	ds_read_b32 v62, v60
	v_add_u32_e32 v60, v72, v3
	ds_read_b64 v[60:61], v60 offset:6144
	v_mov_b32_e32 v63, v4
	v_mov_b32_e32 v151, s83
	s_waitcnt lgkmcnt(1)
	v_add_u32_e32 v62, v62, v11
	v_lshlrev_b64 v[62:63], 3, v[62:63]
	v_add_co_u32_e32 v62, vcc, s82, v62
	v_addc_co_u32_e32 v63, vcc, v151, v63, vcc
	s_waitcnt lgkmcnt(0)
	global_store_dwordx2 v[62:63], v[60:61], off
	s_or_b64 exec, exec, s[36:37]
	s_and_saveexec_b64 s[36:37], s[44:45]
	s_cbranch_execnz .LBB529_579
.LBB529_594:                            ;   in Loop: Header=BB529_400 Depth=2
	s_or_b64 exec, exec, s[36:37]
	s_and_saveexec_b64 s[36:37], s[46:47]
	s_cbranch_execz .LBB529_580
.LBB529_595:                            ;   in Loop: Header=BB529_400 Depth=2
	v_lshlrev_b32_e32 v60, 2, v142
	ds_read_b32 v62, v60
	v_add_u32_e32 v60, v72, v3
	ds_read_b64 v[60:61], v60 offset:10240
	v_mov_b32_e32 v63, v4
	v_mov_b32_e32 v151, s83
	s_waitcnt lgkmcnt(1)
	v_add_u32_e32 v62, v62, v8
	v_lshlrev_b64 v[62:63], 3, v[62:63]
	v_add_co_u32_e32 v62, vcc, s82, v62
	v_addc_co_u32_e32 v63, vcc, v151, v63, vcc
	s_waitcnt lgkmcnt(0)
	global_store_dwordx2 v[62:63], v[60:61], off
	s_or_b64 exec, exec, s[36:37]
	s_and_saveexec_b64 s[36:37], s[48:49]
	s_cbranch_execnz .LBB529_581
.LBB529_596:                            ;   in Loop: Header=BB529_400 Depth=2
	s_or_b64 exec, exec, s[36:37]
	s_and_saveexec_b64 s[36:37], s[50:51]
	s_cbranch_execz .LBB529_582
.LBB529_597:                            ;   in Loop: Header=BB529_400 Depth=2
	v_lshlrev_b32_e32 v60, 2, v140
	ds_read_b32 v62, v60
	v_add_u32_e32 v60, v72, v3
	ds_read_b64 v[60:61], v60 offset:14336
	v_mov_b32_e32 v63, v4
	v_mov_b32_e32 v151, s83
	s_waitcnt lgkmcnt(1)
	v_add_u32_e32 v62, v62, v12
	v_lshlrev_b64 v[62:63], 3, v[62:63]
	v_add_co_u32_e32 v62, vcc, s82, v62
	v_addc_co_u32_e32 v63, vcc, v151, v63, vcc
	s_waitcnt lgkmcnt(0)
	global_store_dwordx2 v[62:63], v[60:61], off
	s_or_b64 exec, exec, s[36:37]
	s_and_saveexec_b64 s[36:37], s[52:53]
	s_cbranch_execnz .LBB529_583
.LBB529_598:                            ;   in Loop: Header=BB529_400 Depth=2
	s_or_b64 exec, exec, s[36:37]
	s_and_saveexec_b64 s[36:37], s[54:55]
	s_cbranch_execz .LBB529_584
.LBB529_599:                            ;   in Loop: Header=BB529_400 Depth=2
	v_lshlrev_b32_e32 v60, 2, v138
	ds_read_b32 v62, v60
	v_add_u32_e32 v60, v72, v3
	ds_read_b64 v[60:61], v60 offset:18432
	v_mov_b32_e32 v63, v4
	v_mov_b32_e32 v151, s83
	s_waitcnt lgkmcnt(1)
	v_add_u32_e32 v62, v62, v16
	v_lshlrev_b64 v[62:63], 3, v[62:63]
	v_add_co_u32_e32 v62, vcc, s82, v62
	v_addc_co_u32_e32 v63, vcc, v151, v63, vcc
	s_waitcnt lgkmcnt(0)
	global_store_dwordx2 v[62:63], v[60:61], off
	s_or_b64 exec, exec, s[36:37]
	s_and_saveexec_b64 s[36:37], s[56:57]
	s_cbranch_execnz .LBB529_585
.LBB529_600:                            ;   in Loop: Header=BB529_400 Depth=2
	s_or_b64 exec, exec, s[36:37]
	s_and_saveexec_b64 s[36:37], s[58:59]
	s_cbranch_execz .LBB529_586
.LBB529_601:                            ;   in Loop: Header=BB529_400 Depth=2
	v_lshlrev_b32_e32 v60, 2, v136
	ds_read_b32 v62, v60
	v_add_u32_e32 v60, v72, v3
	ds_read_b64 v[60:61], v60 offset:22528
	v_mov_b32_e32 v63, v4
	v_mov_b32_e32 v151, s83
	s_waitcnt lgkmcnt(1)
	v_add_u32_e32 v62, v62, v20
	v_lshlrev_b64 v[62:63], 3, v[62:63]
	v_add_co_u32_e32 v62, vcc, s82, v62
	v_addc_co_u32_e32 v63, vcc, v151, v63, vcc
	s_waitcnt lgkmcnt(0)
	global_store_dwordx2 v[62:63], v[60:61], off
	s_or_b64 exec, exec, s[36:37]
	s_and_saveexec_b64 s[36:37], s[60:61]
	s_cbranch_execnz .LBB529_587
.LBB529_602:                            ;   in Loop: Header=BB529_400 Depth=2
	s_or_b64 exec, exec, s[36:37]
	s_and_saveexec_b64 s[36:37], s[62:63]
	s_cbranch_execz .LBB529_588
.LBB529_603:                            ;   in Loop: Header=BB529_400 Depth=2
	v_lshlrev_b32_e32 v60, 2, v134
	ds_read_b32 v62, v60
	v_add_u32_e32 v60, v72, v3
	ds_read_b64 v[60:61], v60 offset:26624
	v_mov_b32_e32 v63, v4
	v_mov_b32_e32 v151, s83
	s_waitcnt lgkmcnt(1)
	v_add_u32_e32 v62, v62, v24
	v_lshlrev_b64 v[62:63], 3, v[62:63]
	v_add_co_u32_e32 v62, vcc, s82, v62
	v_addc_co_u32_e32 v63, vcc, v151, v63, vcc
	s_waitcnt lgkmcnt(0)
	global_store_dwordx2 v[62:63], v[60:61], off
	s_or_b64 exec, exec, s[36:37]
	s_and_saveexec_b64 s[36:37], s[64:65]
	s_cbranch_execnz .LBB529_589
.LBB529_604:                            ;   in Loop: Header=BB529_400 Depth=2
	s_or_b64 exec, exec, s[36:37]
	s_and_saveexec_b64 s[36:37], s[66:67]
	s_cbranch_execz .LBB529_606
.LBB529_605:                            ;   in Loop: Header=BB529_400 Depth=2
	v_lshlrev_b32_e32 v60, 2, v132
	ds_read_b32 v62, v60
	v_add_u32_e32 v60, v72, v3
	ds_read_b64 v[60:61], v60 offset:30720
	v_mov_b32_e32 v63, v4
	v_mov_b32_e32 v151, s83
	s_waitcnt lgkmcnt(1)
	v_add_u32_e32 v62, v62, v28
	v_lshlrev_b64 v[62:63], 3, v[62:63]
	v_add_co_u32_e32 v62, vcc, s82, v62
	v_addc_co_u32_e32 v63, vcc, v151, v63, vcc
	s_waitcnt lgkmcnt(0)
	global_store_dwordx2 v[62:63], v[60:61], off
.LBB529_606:                            ;   in Loop: Header=BB529_400 Depth=2
	s_or_b64 exec, exec, s[36:37]
	s_barrier
	s_and_saveexec_b64 s[36:37], s[4:5]
	s_cbranch_execz .LBB529_399
; %bb.607:                              ;   in Loop: Header=BB529_400 Depth=2
	ds_read_b32 v60, v3
	s_waitcnt lgkmcnt(0)
	v_add_u32_e32 v5, v60, v5
	ds_write_b32 v3, v5
	s_branch .LBB529_399
.LBB529_608:                            ;   in Loop: Header=BB529_20 Depth=1
	s_waitcnt lgkmcnt(0)
	s_barrier
.LBB529_609:                            ;   in Loop: Header=BB529_20 Depth=1
	s_mov_b64 s[16:17], 0
.LBB529_610:                            ;   in Loop: Header=BB529_20 Depth=1
	s_andn2_b64 vcc, exec, s[16:17]
	s_cbranch_vccnz .LBB529_19
; %bb.611:                              ;   in Loop: Header=BB529_20 Depth=1
	s_mov_b64 s[16:17], -1
	s_and_b64 vcc, exec, s[70:71]
	s_cbranch_vccz .LBB529_905
; %bb.612:                              ;   in Loop: Header=BB529_20 Depth=1
	s_mov_b32 s22, s87
	s_mov_b32 s88, s69
	s_barrier
	s_waitcnt lgkmcnt(0)
                                        ; implicit-def: $vgpr44
                                        ; implicit-def: $vgpr5
                                        ; implicit-def: $vgpr30
                                        ; implicit-def: $vgpr31
                                        ; implicit-def: $vgpr32
                                        ; implicit-def: $vgpr33
                                        ; implicit-def: $vgpr34
                                        ; implicit-def: $vgpr35
                                        ; implicit-def: $vgpr36
                                        ; implicit-def: $vgpr37
                                        ; implicit-def: $vgpr38
                                        ; implicit-def: $vgpr39
                                        ; implicit-def: $vgpr40
                                        ; implicit-def: $vgpr41
                                        ; implicit-def: $vgpr42
                                        ; implicit-def: $vgpr43
	s_branch .LBB529_614
.LBB529_613:                            ;   in Loop: Header=BB529_614 Depth=2
	s_or_b64 exec, exec, s[16:17]
	s_addk_i32 s22, 0xf000
	s_cmp_ge_u32 s23, s92
	s_mov_b32 s88, s23
	s_cbranch_scc1 .LBB529_684
.LBB529_614:                            ;   Parent Loop BB529_20 Depth=1
                                        ; =>  This Inner Loop Header: Depth=2
	s_add_i32 s23, s88, 0x1000
	s_cmp_gt_u32 s23, s92
	s_cbranch_scc1 .LBB529_617
; %bb.615:                              ;   in Loop: Header=BB529_614 Depth=2
	s_lshl_b64 s[16:17], s[88:89], 2
	v_mov_b32_e32 v1, s17
	v_add_co_u32_e32 v0, vcc, s16, v80
	v_addc_co_u32_e32 v1, vcc, v81, v1, vcc
	s_waitcnt vmcnt(6)
	v_add_co_u32_e32 v54, vcc, 0x1000, v0
	s_waitcnt vmcnt(5)
	v_addc_co_u32_e32 v55, vcc, 0, v1, vcc
	v_add_co_u32_e32 v62, vcc, s84, v0
	v_addc_co_u32_e32 v63, vcc, 0, v1, vcc
	global_load_dword v46, v[0:1], off
	global_load_dword v47, v[0:1], off offset:1024
	global_load_dword v48, v[0:1], off offset:2048
	;; [unrolled: 1-line block ×3, first 2 shown]
	global_load_dword v50, v[54:55], off
	global_load_dword v51, v[54:55], off offset:1024
	global_load_dword v52, v[54:55], off offset:2048
	;; [unrolled: 1-line block ×3, first 2 shown]
	v_add_co_u32_e32 v128, vcc, 0x3000, v0
	v_addc_co_u32_e32 v129, vcc, 0, v1, vcc
	global_load_dword v54, v[62:63], off
	global_load_dword v55, v[62:63], off offset:1024
	global_load_dword v56, v[62:63], off offset:2048
	;; [unrolled: 1-line block ×3, first 2 shown]
	global_load_dword v58, v[128:129], off
	global_load_dword v59, v[128:129], off offset:1024
	global_load_dword v60, v[128:129], off offset:2048
	v_add_co_u32_e32 v0, vcc, 0x3c00, v0
	s_movk_i32 s24, 0x1000
	v_addc_co_u32_e32 v1, vcc, 0, v1, vcc
	s_mov_b64 s[16:17], -1
	s_cbranch_execz .LBB529_618
; %bb.616:                              ;   in Loop: Header=BB529_614 Depth=2
                                        ; implicit-def: $vgpr43
                                        ; implicit-def: $vgpr42
                                        ; implicit-def: $vgpr41
                                        ; implicit-def: $vgpr40
                                        ; implicit-def: $vgpr39
                                        ; implicit-def: $vgpr38
                                        ; implicit-def: $vgpr37
                                        ; implicit-def: $vgpr36
                                        ; implicit-def: $vgpr35
                                        ; implicit-def: $vgpr34
                                        ; implicit-def: $vgpr33
                                        ; implicit-def: $vgpr32
                                        ; implicit-def: $vgpr31
                                        ; implicit-def: $vgpr30
                                        ; implicit-def: $vgpr5
                                        ; implicit-def: $vgpr44
	v_mov_b32_e32 v45, s22
	s_and_saveexec_b64 s[18:19], s[16:17]
	s_cbranch_execnz .LBB529_637
	s_branch .LBB529_638
.LBB529_617:                            ;   in Loop: Header=BB529_614 Depth=2
	s_mov_b64 s[16:17], 0
                                        ; implicit-def: $sgpr24
                                        ; implicit-def: $vgpr46
                                        ; implicit-def: $vgpr47
                                        ; implicit-def: $vgpr48
                                        ; implicit-def: $vgpr49
                                        ; implicit-def: $vgpr50
                                        ; implicit-def: $vgpr51
                                        ; implicit-def: $vgpr52
                                        ; implicit-def: $vgpr53
                                        ; implicit-def: $vgpr54
                                        ; implicit-def: $vgpr55
                                        ; implicit-def: $vgpr56
                                        ; implicit-def: $vgpr57
                                        ; implicit-def: $vgpr58
                                        ; implicit-def: $vgpr59
                                        ; implicit-def: $vgpr60
                                        ; implicit-def: $vgpr0_vgpr1
.LBB529_618:                            ;   in Loop: Header=BB529_614 Depth=2
	s_lshl_b64 s[18:19], s[88:89], 2
	s_add_u32 s18, s72, s18
	s_addc_u32 s19, s73, s19
	v_cmp_gt_u32_e32 vcc, s22, v2
	s_and_saveexec_b64 s[20:21], vcc
	s_cbranch_execz .LBB529_670
; %bb.619:                              ;   in Loop: Header=BB529_614 Depth=2
	global_load_dword v43, v88, s[18:19]
	s_or_b64 exec, exec, s[20:21]
	v_cmp_gt_u32_e32 vcc, s22, v7
	s_and_saveexec_b64 s[20:21], vcc
	s_cbranch_execnz .LBB529_671
.LBB529_620:                            ;   in Loop: Header=BB529_614 Depth=2
	s_or_b64 exec, exec, s[20:21]
	v_cmp_gt_u32_e32 vcc, s22, v9
	s_and_saveexec_b64 s[20:21], vcc
	s_cbranch_execz .LBB529_672
.LBB529_621:                            ;   in Loop: Header=BB529_614 Depth=2
	global_load_dword v41, v88, s[18:19] offset:2048
	s_or_b64 exec, exec, s[20:21]
	v_cmp_gt_u32_e32 vcc, s22, v11
	s_and_saveexec_b64 s[20:21], vcc
	s_cbranch_execnz .LBB529_673
.LBB529_622:                            ;   in Loop: Header=BB529_614 Depth=2
	s_or_b64 exec, exec, s[20:21]
	v_cmp_gt_u32_e32 vcc, s22, v6
	s_and_saveexec_b64 s[20:21], vcc
	s_cbranch_execz .LBB529_674
.LBB529_623:                            ;   in Loop: Header=BB529_614 Depth=2
	global_load_dword v39, v89, s[18:19]
	s_or_b64 exec, exec, s[20:21]
	v_cmp_gt_u32_e32 vcc, s22, v8
	s_and_saveexec_b64 s[20:21], vcc
	s_cbranch_execnz .LBB529_675
.LBB529_624:                            ;   in Loop: Header=BB529_614 Depth=2
	s_or_b64 exec, exec, s[20:21]
	v_cmp_gt_u32_e32 vcc, s22, v10
	s_and_saveexec_b64 s[20:21], vcc
	s_cbranch_execz .LBB529_676
.LBB529_625:                            ;   in Loop: Header=BB529_614 Depth=2
	global_load_dword v37, v91, s[18:19]
	s_or_b64 exec, exec, s[20:21]
	v_cmp_gt_u32_e32 vcc, s22, v12
	s_and_saveexec_b64 s[20:21], vcc
	s_cbranch_execnz .LBB529_677
.LBB529_626:                            ;   in Loop: Header=BB529_614 Depth=2
	s_or_b64 exec, exec, s[20:21]
	v_cmp_gt_u32_e32 vcc, s22, v14
	s_and_saveexec_b64 s[20:21], vcc
	s_cbranch_execz .LBB529_678
.LBB529_627:                            ;   in Loop: Header=BB529_614 Depth=2
	global_load_dword v35, v93, s[18:19]
	s_or_b64 exec, exec, s[20:21]
	v_cmp_gt_u32_e32 vcc, s22, v16
	s_and_saveexec_b64 s[20:21], vcc
	s_cbranch_execnz .LBB529_679
.LBB529_628:                            ;   in Loop: Header=BB529_614 Depth=2
	s_or_b64 exec, exec, s[20:21]
	v_cmp_gt_u32_e32 vcc, s22, v18
	s_and_saveexec_b64 s[20:21], vcc
	s_cbranch_execz .LBB529_680
.LBB529_629:                            ;   in Loop: Header=BB529_614 Depth=2
	global_load_dword v33, v95, s[18:19]
	s_or_b64 exec, exec, s[20:21]
	v_cmp_gt_u32_e32 vcc, s22, v20
	s_and_saveexec_b64 s[20:21], vcc
	s_cbranch_execnz .LBB529_681
.LBB529_630:                            ;   in Loop: Header=BB529_614 Depth=2
	s_or_b64 exec, exec, s[20:21]
	v_cmp_gt_u32_e32 vcc, s22, v22
	s_and_saveexec_b64 s[20:21], vcc
	s_cbranch_execz .LBB529_682
.LBB529_631:                            ;   in Loop: Header=BB529_614 Depth=2
	global_load_dword v31, v97, s[18:19]
	s_or_b64 exec, exec, s[20:21]
	v_cmp_gt_u32_e32 vcc, s22, v24
	s_and_saveexec_b64 s[20:21], vcc
	s_cbranch_execnz .LBB529_683
.LBB529_632:                            ;   in Loop: Header=BB529_614 Depth=2
	s_or_b64 exec, exec, s[20:21]
	v_cmp_gt_u32_e32 vcc, s22, v26
	s_and_saveexec_b64 s[20:21], vcc
	s_cbranch_execz .LBB529_634
.LBB529_633:                            ;   in Loop: Header=BB529_614 Depth=2
	global_load_dword v5, v99, s[18:19]
.LBB529_634:                            ;   in Loop: Header=BB529_614 Depth=2
	s_or_b64 exec, exec, s[20:21]
	v_cmp_gt_u32_e32 vcc, s22, v28
                                        ; implicit-def: $sgpr24
                                        ; implicit-def: $vgpr0_vgpr1
	s_and_saveexec_b64 s[20:21], vcc
; %bb.635:                              ;   in Loop: Header=BB529_614 Depth=2
	v_mov_b32_e32 v1, s19
	v_add_co_u32_e32 v0, vcc, s18, v100
	s_sub_i32 s24, s92, s88
	v_addc_co_u32_e32 v1, vcc, 0, v1, vcc
	s_or_b64 s[16:17], s[16:17], exec
                                        ; implicit-def: $vgpr44
; %bb.636:                              ;   in Loop: Header=BB529_614 Depth=2
	s_or_b64 exec, exec, s[20:21]
	s_waitcnt vmcnt(0)
	v_mov_b32_e32 v46, v43
	v_mov_b32_e32 v47, v42
	;; [unrolled: 1-line block ×16, first 2 shown]
	s_and_saveexec_b64 s[18:19], s[16:17]
	s_cbranch_execz .LBB529_638
.LBB529_637:                            ;   in Loop: Header=BB529_614 Depth=2
	global_load_dword v44, v[0:1], off
	v_mov_b32_e32 v45, s24
	s_waitcnt vmcnt(1)
	v_mov_b32_e32 v5, v60
	v_mov_b32_e32 v30, v59
	;; [unrolled: 1-line block ×15, first 2 shown]
.LBB529_638:                            ;   in Loop: Header=BB529_614 Depth=2
	s_or_b64 exec, exec, s[18:19]
	v_cmp_lt_u32_e32 vcc, v2, v45
	s_and_saveexec_b64 s[16:17], vcc
	s_cbranch_execz .LBB529_654
; %bb.639:                              ;   in Loop: Header=BB529_614 Depth=2
	v_xor_b32_e32 v0, 0x7fffffff, v43
	v_lshrrev_b32_e32 v0, s85, v0
	v_and_b32_e32 v0, s94, v0
	v_lshl_or_b32 v0, v0, 4, v86
	ds_add_u32 v0, v87
	s_or_b64 exec, exec, s[16:17]
	v_cmp_lt_u32_e32 vcc, v7, v45
	s_and_saveexec_b64 s[16:17], vcc
	s_cbranch_execnz .LBB529_655
.LBB529_640:                            ;   in Loop: Header=BB529_614 Depth=2
	s_or_b64 exec, exec, s[16:17]
	v_cmp_lt_u32_e32 vcc, v9, v45
	s_and_saveexec_b64 s[16:17], vcc
	s_cbranch_execz .LBB529_656
.LBB529_641:                            ;   in Loop: Header=BB529_614 Depth=2
	v_xor_b32_e32 v0, 0x7fffffff, v41
	v_lshrrev_b32_e32 v0, s85, v0
	v_and_b32_e32 v0, s94, v0
	v_lshl_or_b32 v0, v0, 4, v86
	ds_add_u32 v0, v87
	s_or_b64 exec, exec, s[16:17]
	v_cmp_lt_u32_e32 vcc, v11, v45
	s_and_saveexec_b64 s[16:17], vcc
	s_cbranch_execnz .LBB529_657
.LBB529_642:                            ;   in Loop: Header=BB529_614 Depth=2
	s_or_b64 exec, exec, s[16:17]
	v_cmp_lt_u32_e32 vcc, v6, v45
	s_and_saveexec_b64 s[16:17], vcc
	s_cbranch_execz .LBB529_658
.LBB529_643:                            ;   in Loop: Header=BB529_614 Depth=2
	v_xor_b32_e32 v0, 0x7fffffff, v39
	v_lshrrev_b32_e32 v0, s85, v0
	v_and_b32_e32 v0, s94, v0
	v_lshl_or_b32 v0, v0, 4, v86
	ds_add_u32 v0, v87
	s_or_b64 exec, exec, s[16:17]
	v_cmp_lt_u32_e32 vcc, v8, v45
	s_and_saveexec_b64 s[16:17], vcc
	s_cbranch_execnz .LBB529_659
.LBB529_644:                            ;   in Loop: Header=BB529_614 Depth=2
	s_or_b64 exec, exec, s[16:17]
	v_cmp_lt_u32_e32 vcc, v10, v45
	s_and_saveexec_b64 s[16:17], vcc
	s_cbranch_execz .LBB529_660
.LBB529_645:                            ;   in Loop: Header=BB529_614 Depth=2
	v_xor_b32_e32 v0, 0x7fffffff, v37
	v_lshrrev_b32_e32 v0, s85, v0
	v_and_b32_e32 v0, s94, v0
	v_lshl_or_b32 v0, v0, 4, v86
	ds_add_u32 v0, v87
	s_or_b64 exec, exec, s[16:17]
	v_cmp_lt_u32_e32 vcc, v12, v45
	s_and_saveexec_b64 s[16:17], vcc
	s_cbranch_execnz .LBB529_661
.LBB529_646:                            ;   in Loop: Header=BB529_614 Depth=2
	s_or_b64 exec, exec, s[16:17]
	v_cmp_lt_u32_e32 vcc, v14, v45
	s_and_saveexec_b64 s[16:17], vcc
	s_cbranch_execz .LBB529_662
.LBB529_647:                            ;   in Loop: Header=BB529_614 Depth=2
	v_xor_b32_e32 v0, 0x7fffffff, v35
	v_lshrrev_b32_e32 v0, s85, v0
	v_and_b32_e32 v0, s94, v0
	v_lshl_or_b32 v0, v0, 4, v86
	ds_add_u32 v0, v87
	s_or_b64 exec, exec, s[16:17]
	v_cmp_lt_u32_e32 vcc, v16, v45
	s_and_saveexec_b64 s[16:17], vcc
	s_cbranch_execnz .LBB529_663
.LBB529_648:                            ;   in Loop: Header=BB529_614 Depth=2
	s_or_b64 exec, exec, s[16:17]
	v_cmp_lt_u32_e32 vcc, v18, v45
	s_and_saveexec_b64 s[16:17], vcc
	s_cbranch_execz .LBB529_664
.LBB529_649:                            ;   in Loop: Header=BB529_614 Depth=2
	v_xor_b32_e32 v0, 0x7fffffff, v33
	v_lshrrev_b32_e32 v0, s85, v0
	v_and_b32_e32 v0, s94, v0
	v_lshl_or_b32 v0, v0, 4, v86
	ds_add_u32 v0, v87
	s_or_b64 exec, exec, s[16:17]
	v_cmp_lt_u32_e32 vcc, v20, v45
	s_and_saveexec_b64 s[16:17], vcc
	s_cbranch_execnz .LBB529_665
.LBB529_650:                            ;   in Loop: Header=BB529_614 Depth=2
	s_or_b64 exec, exec, s[16:17]
	v_cmp_lt_u32_e32 vcc, v22, v45
	s_and_saveexec_b64 s[16:17], vcc
	s_cbranch_execz .LBB529_666
.LBB529_651:                            ;   in Loop: Header=BB529_614 Depth=2
	v_xor_b32_e32 v0, 0x7fffffff, v31
	v_lshrrev_b32_e32 v0, s85, v0
	v_and_b32_e32 v0, s94, v0
	v_lshl_or_b32 v0, v0, 4, v86
	ds_add_u32 v0, v87
	s_or_b64 exec, exec, s[16:17]
	v_cmp_lt_u32_e32 vcc, v24, v45
	s_and_saveexec_b64 s[16:17], vcc
	s_cbranch_execnz .LBB529_667
.LBB529_652:                            ;   in Loop: Header=BB529_614 Depth=2
	s_or_b64 exec, exec, s[16:17]
	v_cmp_lt_u32_e32 vcc, v26, v45
	s_and_saveexec_b64 s[16:17], vcc
	s_cbranch_execz .LBB529_668
.LBB529_653:                            ;   in Loop: Header=BB529_614 Depth=2
	v_xor_b32_e32 v0, 0x7fffffff, v5
	v_lshrrev_b32_e32 v0, s85, v0
	v_and_b32_e32 v0, s94, v0
	v_lshl_or_b32 v0, v0, 4, v86
	ds_add_u32 v0, v87
	s_or_b64 exec, exec, s[16:17]
	v_cmp_lt_u32_e32 vcc, v28, v45
	s_and_saveexec_b64 s[16:17], vcc
	s_cbranch_execz .LBB529_613
	s_branch .LBB529_669
.LBB529_654:                            ;   in Loop: Header=BB529_614 Depth=2
	s_or_b64 exec, exec, s[16:17]
	v_cmp_lt_u32_e32 vcc, v7, v45
	s_and_saveexec_b64 s[16:17], vcc
	s_cbranch_execz .LBB529_640
.LBB529_655:                            ;   in Loop: Header=BB529_614 Depth=2
	v_xor_b32_e32 v0, 0x7fffffff, v42
	v_lshrrev_b32_e32 v0, s85, v0
	v_and_b32_e32 v0, s94, v0
	v_lshl_or_b32 v0, v0, 4, v86
	ds_add_u32 v0, v87
	s_or_b64 exec, exec, s[16:17]
	v_cmp_lt_u32_e32 vcc, v9, v45
	s_and_saveexec_b64 s[16:17], vcc
	s_cbranch_execnz .LBB529_641
.LBB529_656:                            ;   in Loop: Header=BB529_614 Depth=2
	s_or_b64 exec, exec, s[16:17]
	v_cmp_lt_u32_e32 vcc, v11, v45
	s_and_saveexec_b64 s[16:17], vcc
	s_cbranch_execz .LBB529_642
.LBB529_657:                            ;   in Loop: Header=BB529_614 Depth=2
	v_xor_b32_e32 v0, 0x7fffffff, v40
	v_lshrrev_b32_e32 v0, s85, v0
	v_and_b32_e32 v0, s94, v0
	v_lshl_or_b32 v0, v0, 4, v86
	ds_add_u32 v0, v87
	s_or_b64 exec, exec, s[16:17]
	v_cmp_lt_u32_e32 vcc, v6, v45
	s_and_saveexec_b64 s[16:17], vcc
	s_cbranch_execnz .LBB529_643
.LBB529_658:                            ;   in Loop: Header=BB529_614 Depth=2
	s_or_b64 exec, exec, s[16:17]
	v_cmp_lt_u32_e32 vcc, v8, v45
	s_and_saveexec_b64 s[16:17], vcc
	s_cbranch_execz .LBB529_644
.LBB529_659:                            ;   in Loop: Header=BB529_614 Depth=2
	v_xor_b32_e32 v0, 0x7fffffff, v38
	v_lshrrev_b32_e32 v0, s85, v0
	v_and_b32_e32 v0, s94, v0
	v_lshl_or_b32 v0, v0, 4, v86
	ds_add_u32 v0, v87
	s_or_b64 exec, exec, s[16:17]
	v_cmp_lt_u32_e32 vcc, v10, v45
	s_and_saveexec_b64 s[16:17], vcc
	s_cbranch_execnz .LBB529_645
.LBB529_660:                            ;   in Loop: Header=BB529_614 Depth=2
	s_or_b64 exec, exec, s[16:17]
	v_cmp_lt_u32_e32 vcc, v12, v45
	s_and_saveexec_b64 s[16:17], vcc
	s_cbranch_execz .LBB529_646
.LBB529_661:                            ;   in Loop: Header=BB529_614 Depth=2
	v_xor_b32_e32 v0, 0x7fffffff, v36
	v_lshrrev_b32_e32 v0, s85, v0
	v_and_b32_e32 v0, s94, v0
	v_lshl_or_b32 v0, v0, 4, v86
	ds_add_u32 v0, v87
	s_or_b64 exec, exec, s[16:17]
	v_cmp_lt_u32_e32 vcc, v14, v45
	s_and_saveexec_b64 s[16:17], vcc
	s_cbranch_execnz .LBB529_647
.LBB529_662:                            ;   in Loop: Header=BB529_614 Depth=2
	s_or_b64 exec, exec, s[16:17]
	v_cmp_lt_u32_e32 vcc, v16, v45
	s_and_saveexec_b64 s[16:17], vcc
	s_cbranch_execz .LBB529_648
.LBB529_663:                            ;   in Loop: Header=BB529_614 Depth=2
	v_xor_b32_e32 v0, 0x7fffffff, v34
	v_lshrrev_b32_e32 v0, s85, v0
	v_and_b32_e32 v0, s94, v0
	v_lshl_or_b32 v0, v0, 4, v86
	ds_add_u32 v0, v87
	s_or_b64 exec, exec, s[16:17]
	v_cmp_lt_u32_e32 vcc, v18, v45
	s_and_saveexec_b64 s[16:17], vcc
	s_cbranch_execnz .LBB529_649
.LBB529_664:                            ;   in Loop: Header=BB529_614 Depth=2
	s_or_b64 exec, exec, s[16:17]
	v_cmp_lt_u32_e32 vcc, v20, v45
	s_and_saveexec_b64 s[16:17], vcc
	s_cbranch_execz .LBB529_650
.LBB529_665:                            ;   in Loop: Header=BB529_614 Depth=2
	v_xor_b32_e32 v0, 0x7fffffff, v32
	v_lshrrev_b32_e32 v0, s85, v0
	v_and_b32_e32 v0, s94, v0
	v_lshl_or_b32 v0, v0, 4, v86
	ds_add_u32 v0, v87
	s_or_b64 exec, exec, s[16:17]
	v_cmp_lt_u32_e32 vcc, v22, v45
	s_and_saveexec_b64 s[16:17], vcc
	s_cbranch_execnz .LBB529_651
.LBB529_666:                            ;   in Loop: Header=BB529_614 Depth=2
	s_or_b64 exec, exec, s[16:17]
	v_cmp_lt_u32_e32 vcc, v24, v45
	s_and_saveexec_b64 s[16:17], vcc
	s_cbranch_execz .LBB529_652
.LBB529_667:                            ;   in Loop: Header=BB529_614 Depth=2
	v_xor_b32_e32 v0, 0x7fffffff, v30
	v_lshrrev_b32_e32 v0, s85, v0
	v_and_b32_e32 v0, s94, v0
	v_lshl_or_b32 v0, v0, 4, v86
	ds_add_u32 v0, v87
	s_or_b64 exec, exec, s[16:17]
	v_cmp_lt_u32_e32 vcc, v26, v45
	s_and_saveexec_b64 s[16:17], vcc
	s_cbranch_execnz .LBB529_653
.LBB529_668:                            ;   in Loop: Header=BB529_614 Depth=2
	s_or_b64 exec, exec, s[16:17]
	v_cmp_lt_u32_e32 vcc, v28, v45
	s_and_saveexec_b64 s[16:17], vcc
	s_cbranch_execz .LBB529_613
.LBB529_669:                            ;   in Loop: Header=BB529_614 Depth=2
	s_waitcnt vmcnt(0)
	v_xor_b32_e32 v0, 0x7fffffff, v44
	v_lshrrev_b32_e32 v0, s85, v0
	v_and_b32_e32 v0, s94, v0
	v_lshl_or_b32 v0, v0, 4, v86
	ds_add_u32 v0, v87
	s_branch .LBB529_613
.LBB529_670:                            ;   in Loop: Header=BB529_614 Depth=2
	s_or_b64 exec, exec, s[20:21]
	v_cmp_gt_u32_e32 vcc, s22, v7
	s_and_saveexec_b64 s[20:21], vcc
	s_cbranch_execz .LBB529_620
.LBB529_671:                            ;   in Loop: Header=BB529_614 Depth=2
	global_load_dword v42, v88, s[18:19] offset:1024
	s_or_b64 exec, exec, s[20:21]
	v_cmp_gt_u32_e32 vcc, s22, v9
	s_and_saveexec_b64 s[20:21], vcc
	s_cbranch_execnz .LBB529_621
.LBB529_672:                            ;   in Loop: Header=BB529_614 Depth=2
	s_or_b64 exec, exec, s[20:21]
	v_cmp_gt_u32_e32 vcc, s22, v11
	s_and_saveexec_b64 s[20:21], vcc
	s_cbranch_execz .LBB529_622
.LBB529_673:                            ;   in Loop: Header=BB529_614 Depth=2
	global_load_dword v40, v88, s[18:19] offset:3072
	s_or_b64 exec, exec, s[20:21]
	v_cmp_gt_u32_e32 vcc, s22, v6
	s_and_saveexec_b64 s[20:21], vcc
	s_cbranch_execnz .LBB529_623
.LBB529_674:                            ;   in Loop: Header=BB529_614 Depth=2
	s_or_b64 exec, exec, s[20:21]
	v_cmp_gt_u32_e32 vcc, s22, v8
	s_and_saveexec_b64 s[20:21], vcc
	s_cbranch_execz .LBB529_624
.LBB529_675:                            ;   in Loop: Header=BB529_614 Depth=2
	global_load_dword v38, v90, s[18:19]
	s_or_b64 exec, exec, s[20:21]
	v_cmp_gt_u32_e32 vcc, s22, v10
	s_and_saveexec_b64 s[20:21], vcc
	s_cbranch_execnz .LBB529_625
.LBB529_676:                            ;   in Loop: Header=BB529_614 Depth=2
	s_or_b64 exec, exec, s[20:21]
	v_cmp_gt_u32_e32 vcc, s22, v12
	s_and_saveexec_b64 s[20:21], vcc
	s_cbranch_execz .LBB529_626
.LBB529_677:                            ;   in Loop: Header=BB529_614 Depth=2
	global_load_dword v36, v92, s[18:19]
	s_or_b64 exec, exec, s[20:21]
	v_cmp_gt_u32_e32 vcc, s22, v14
	s_and_saveexec_b64 s[20:21], vcc
	s_cbranch_execnz .LBB529_627
.LBB529_678:                            ;   in Loop: Header=BB529_614 Depth=2
	s_or_b64 exec, exec, s[20:21]
	v_cmp_gt_u32_e32 vcc, s22, v16
	s_and_saveexec_b64 s[20:21], vcc
	s_cbranch_execz .LBB529_628
.LBB529_679:                            ;   in Loop: Header=BB529_614 Depth=2
	global_load_dword v34, v94, s[18:19]
	s_or_b64 exec, exec, s[20:21]
	v_cmp_gt_u32_e32 vcc, s22, v18
	s_and_saveexec_b64 s[20:21], vcc
	s_cbranch_execnz .LBB529_629
.LBB529_680:                            ;   in Loop: Header=BB529_614 Depth=2
	s_or_b64 exec, exec, s[20:21]
	v_cmp_gt_u32_e32 vcc, s22, v20
	s_and_saveexec_b64 s[20:21], vcc
	s_cbranch_execz .LBB529_630
.LBB529_681:                            ;   in Loop: Header=BB529_614 Depth=2
	global_load_dword v32, v96, s[18:19]
	s_or_b64 exec, exec, s[20:21]
	v_cmp_gt_u32_e32 vcc, s22, v22
	s_and_saveexec_b64 s[20:21], vcc
	s_cbranch_execnz .LBB529_631
.LBB529_682:                            ;   in Loop: Header=BB529_614 Depth=2
	s_or_b64 exec, exec, s[20:21]
	v_cmp_gt_u32_e32 vcc, s22, v24
	s_and_saveexec_b64 s[20:21], vcc
	s_cbranch_execz .LBB529_632
.LBB529_683:                            ;   in Loop: Header=BB529_614 Depth=2
	global_load_dword v30, v98, s[18:19]
	s_or_b64 exec, exec, s[20:21]
	v_cmp_gt_u32_e32 vcc, s22, v26
	s_and_saveexec_b64 s[20:21], vcc
	s_cbranch_execz .LBB529_634
	s_branch .LBB529_633
.LBB529_684:                            ;   in Loop: Header=BB529_20 Depth=1
	v_mov_b32_e32 v0, 0
	s_waitcnt lgkmcnt(0)
	s_barrier
	s_and_saveexec_b64 s[16:17], s[4:5]
	s_cbranch_execz .LBB529_686
; %bb.685:                              ;   in Loop: Header=BB529_20 Depth=1
	ds_read2_b64 v[30:33], v17 offset1:1
	s_waitcnt lgkmcnt(0)
	v_add_u32_e32 v0, v31, v30
	v_add3_u32 v0, v0, v32, v33
.LBB529_686:                            ;   in Loop: Header=BB529_20 Depth=1
	s_or_b64 exec, exec, s[16:17]
	s_nop 0
	v_mov_b32_dpp v1, v0 row_shr:1 row_mask:0xf bank_mask:0xf
	v_cmp_eq_u32_e64 s[16:17], 0, v102
	v_cndmask_b32_e64 v1, v1, 0, s[16:17]
	v_add_u32_e32 v0, v1, v0
	v_cmp_lt_u32_e64 s[18:19], 1, v102
	v_cmp_lt_u32_e64 s[20:21], 3, v102
	v_mov_b32_dpp v1, v0 row_shr:2 row_mask:0xf bank_mask:0xf
	v_cndmask_b32_e64 v1, 0, v1, s[18:19]
	v_add_u32_e32 v0, v0, v1
	v_cmp_lt_u32_e64 s[22:23], 7, v102
	v_cmp_lt_u32_e64 s[26:27], 31, v101
	v_mov_b32_dpp v1, v0 row_shr:4 row_mask:0xf bank_mask:0xf
	v_cndmask_b32_e64 v1, 0, v1, s[20:21]
	v_add_u32_e32 v0, v0, v1
	v_cmp_eq_u32_e64 s[24:25], 0, v104
	s_nop 0
	v_mov_b32_dpp v1, v0 row_shr:8 row_mask:0xf bank_mask:0xf
	v_cndmask_b32_e64 v1, 0, v1, s[22:23]
	v_add_u32_e32 v0, v0, v1
	s_nop 1
	v_mov_b32_dpp v1, v0 row_bcast:15 row_mask:0xf bank_mask:0xf
	v_and_b32_e32 v1, v103, v1
	v_add_u32_e32 v0, v0, v1
	s_nop 1
	v_mov_b32_dpp v1, v0 row_bcast:31 row_mask:0xf bank_mask:0xf
	v_cndmask_b32_e64 v1, 0, v1, s[26:27]
	v_add_u32_e32 v0, v0, v1
	s_and_saveexec_b64 s[28:29], s[6:7]
	s_cbranch_execz .LBB529_688
; %bb.687:                              ;   in Loop: Header=BB529_20 Depth=1
	ds_write_b32 v21, v0
.LBB529_688:                            ;   in Loop: Header=BB529_20 Depth=1
	s_or_b64 exec, exec, s[28:29]
	s_waitcnt lgkmcnt(0)
	s_barrier
	s_and_saveexec_b64 s[28:29], s[8:9]
	s_cbranch_execz .LBB529_690
; %bb.689:                              ;   in Loop: Header=BB529_20 Depth=1
	ds_read_b32 v1, v23
	v_cmp_ne_u32_e32 vcc, 0, v105
	s_waitcnt lgkmcnt(0)
	v_mov_b32_dpp v5, v1 row_shr:1 row_mask:0xf bank_mask:0xf
	v_cndmask_b32_e32 v5, 0, v5, vcc
	v_add_u32_e32 v1, v5, v1
	v_cmp_lt_u32_e32 vcc, 1, v105
	s_nop 0
	v_mov_b32_dpp v5, v1 row_shr:2 row_mask:0xf bank_mask:0xf
	v_cndmask_b32_e32 v5, 0, v5, vcc
	v_add_u32_e32 v1, v1, v5
	ds_write_b32 v23, v1
.LBB529_690:                            ;   in Loop: Header=BB529_20 Depth=1
	s_or_b64 exec, exec, s[28:29]
	v_mov_b32_e32 v1, 0
	s_waitcnt lgkmcnt(0)
	s_barrier
	s_and_saveexec_b64 s[28:29], s[10:11]
	s_cbranch_execz .LBB529_692
; %bb.691:                              ;   in Loop: Header=BB529_20 Depth=1
	ds_read_b32 v1, v25
.LBB529_692:                            ;   in Loop: Header=BB529_20 Depth=1
	s_or_b64 exec, exec, s[28:29]
	v_cmp_lt_i32_e32 vcc, v106, v107
	v_cndmask_b32_e32 v5, v106, v101, vcc
	s_waitcnt lgkmcnt(0)
	v_add_u32_e32 v0, v1, v0
	v_lshlrev_b32_e32 v127, 2, v5
	ds_bpermute_b32 v0, v127, v0
	v_cmp_eq_u32_e64 s[28:29], 0, v101
	s_waitcnt lgkmcnt(0)
	s_barrier
	s_and_saveexec_b64 s[30:31], s[4:5]
	s_cbranch_execz .LBB529_694
; %bb.693:                              ;   in Loop: Header=BB529_20 Depth=1
	v_cndmask_b32_e64 v0, v0, v1, s[28:29]
	v_add_u32_e32 v0, s69, v0
	ds_write_b32 v3, v0
.LBB529_694:                            ;   in Loop: Header=BB529_20 Depth=1
	s_or_b64 exec, exec, s[30:31]
	s_load_dwordx2 s[30:31], s[90:91], 0x0
	v_add_co_u32_e32 v128, vcc, v82, v108
	v_addc_co_u32_e32 v129, vcc, 0, v83, vcc
	s_waitcnt lgkmcnt(0)
	s_cmp_lt_u32 s68, s30
	s_cselect_b32 s34, 12, 18
	s_cmp_lt_u32 s33, s31
	s_cselect_b32 s30, 14, 20
	s_add_u32 s30, s90, s30
	s_addc_u32 s31, s91, 0
	s_add_u32 s34, s90, s34
	global_load_ushort v5, v4, s[30:31]
	s_addc_u32 s35, s91, 0
	global_load_ushort v60, v4, s[34:35]
	v_add_co_u32_e32 v130, vcc, v84, v125
	v_addc_co_u32_e32 v131, vcc, 0, v85, vcc
	v_add_co_u32_e32 v145, vcc, 0xf00, v130
	v_cmp_eq_u32_e64 s[30:31], 0, v105
	v_cmp_lt_u32_e64 s[34:35], 1, v105
	s_mov_b32 s95, s87
	v_addc_co_u32_e32 v148, vcc, 0, v131, vcc
	s_mov_b32 s88, s69
                                        ; implicit-def: $vgpr0_vgpr1
                                        ; implicit-def: $vgpr30_vgpr31
                                        ; implicit-def: $vgpr32_vgpr33
                                        ; implicit-def: $vgpr36_vgpr37
                                        ; implicit-def: $vgpr40_vgpr41
                                        ; implicit-def: $vgpr44_vgpr45
                                        ; implicit-def: $vgpr48_vgpr49
                                        ; implicit-def: $vgpr52_vgpr53
                                        ; implicit-def: $vgpr34_vgpr35
                                        ; implicit-def: $vgpr38_vgpr39
                                        ; implicit-def: $vgpr42_vgpr43
                                        ; implicit-def: $vgpr46_vgpr47
                                        ; implicit-def: $vgpr50_vgpr51
                                        ; implicit-def: $vgpr54_vgpr55
                                        ; implicit-def: $vgpr56_vgpr57
                                        ; implicit-def: $vgpr58_vgpr59
                                        ; implicit-def: $vgpr132
                                        ; implicit-def: $vgpr133
                                        ; implicit-def: $vgpr134
                                        ; implicit-def: $vgpr135
                                        ; implicit-def: $vgpr136
                                        ; implicit-def: $vgpr137
                                        ; implicit-def: $vgpr138
                                        ; implicit-def: $vgpr139
                                        ; implicit-def: $vgpr140
                                        ; implicit-def: $vgpr141
                                        ; implicit-def: $vgpr142
                                        ; implicit-def: $vgpr143
                                        ; implicit-def: $vgpr144
                                        ; implicit-def: $vgpr146
                                        ; implicit-def: $vgpr147
                                        ; implicit-def: $vgpr149
	s_waitcnt vmcnt(1)
	v_mad_u32_u24 v5, v27, v5, v29
	s_waitcnt vmcnt(0)
	v_mad_u64_u32 v[60:61], s[36:37], v5, v60, v[2:3]
	v_lshrrev_b32_e32 v150, 6, v60
	s_branch .LBB529_696
.LBB529_695:                            ;   in Loop: Header=BB529_696 Depth=2
	s_or_b64 exec, exec, s[36:37]
	s_addk_i32 s95, 0xf000
	s_cmp_lt_u32 s96, s92
	s_mov_b32 s88, s96
	s_cbranch_scc0 .LBB529_904
.LBB529_696:                            ;   Parent Loop BB529_20 Depth=1
                                        ; =>  This Inner Loop Header: Depth=2
	s_add_i32 s96, s88, 0x1000
	s_cmp_gt_u32 s96, s92
	s_cbranch_scc1 .LBB529_699
; %bb.697:                              ;   in Loop: Header=BB529_696 Depth=2
	s_lshl_b64 s[36:37], s[88:89], 2
	v_mov_b32_e32 v5, s37
	v_add_co_u32_e32 v60, vcc, s36, v130
	v_addc_co_u32_e32 v61, vcc, v131, v5, vcc
	global_load_dword v5, v[60:61], off
	global_load_dword v154, v[60:61], off offset:256
	global_load_dword v159, v[60:61], off offset:512
	;; [unrolled: 1-line block ×14, first 2 shown]
	s_mov_b64 s[36:37], -1
	s_movk_i32 s40, 0x1000
	s_cbranch_execz .LBB529_700
; %bb.698:                              ;   in Loop: Header=BB529_696 Depth=2
                                        ; implicit-def: $sgpr38
	v_mov_b32_e32 v63, s38
	v_mov_b32_e32 v151, s95
	s_and_saveexec_b64 s[38:39], s[36:37]
	s_cbranch_execnz .LBB529_731
	s_branch .LBB529_732
.LBB529_699:                            ;   in Loop: Header=BB529_696 Depth=2
	s_mov_b64 s[36:37], 0
                                        ; implicit-def: $sgpr40
                                        ; implicit-def: $vgpr5
                                        ; implicit-def: $vgpr154
                                        ; implicit-def: $vgpr159
                                        ; implicit-def: $vgpr164
                                        ; implicit-def: $vgpr169
                                        ; implicit-def: $vgpr174
                                        ; implicit-def: $vgpr179
                                        ; implicit-def: $vgpr184
                                        ; implicit-def: $vgpr182
                                        ; implicit-def: $vgpr177
                                        ; implicit-def: $vgpr173
                                        ; implicit-def: $vgpr168
                                        ; implicit-def: $vgpr163
                                        ; implicit-def: $vgpr158
                                        ; implicit-def: $vgpr62
.LBB529_700:                            ;   in Loop: Header=BB529_696 Depth=2
	s_lshl_b64 s[36:37], s[88:89], 2
	s_waitcnt vmcnt(14)
	v_mov_b32_e32 v5, s37
	v_add_co_u32_e32 v60, vcc, s36, v130
	v_addc_co_u32_e32 v61, vcc, v131, v5, vcc
	v_cmp_gt_u32_e32 vcc, s95, v109
	s_waitcnt vmcnt(13)
	v_bfrev_b32_e32 v154, 1
	v_bfrev_b32_e32 v5, 1
	s_and_saveexec_b64 s[36:37], vcc
	s_cbranch_execz .LBB529_702
; %bb.701:                              ;   in Loop: Header=BB529_696 Depth=2
	global_load_dword v5, v[60:61], off
.LBB529_702:                            ;   in Loop: Header=BB529_696 Depth=2
	s_or_b64 exec, exec, s[36:37]
	v_cmp_gt_u32_e32 vcc, s95, v110
	s_and_saveexec_b64 s[36:37], vcc
	s_cbranch_execz .LBB529_704
; %bb.703:                              ;   in Loop: Header=BB529_696 Depth=2
	global_load_dword v154, v[60:61], off offset:256
.LBB529_704:                            ;   in Loop: Header=BB529_696 Depth=2
	s_or_b64 exec, exec, s[36:37]
	v_cmp_gt_u32_e32 vcc, s95, v111
	s_waitcnt vmcnt(11)
	v_bfrev_b32_e32 v164, 1
	v_bfrev_b32_e32 v159, 1
	s_and_saveexec_b64 s[36:37], vcc
	s_cbranch_execz .LBB529_706
; %bb.705:                              ;   in Loop: Header=BB529_696 Depth=2
	global_load_dword v159, v[60:61], off offset:512
.LBB529_706:                            ;   in Loop: Header=BB529_696 Depth=2
	s_or_b64 exec, exec, s[36:37]
	v_cmp_gt_u32_e32 vcc, s95, v112
	s_and_saveexec_b64 s[36:37], vcc
	s_cbranch_execz .LBB529_708
; %bb.707:                              ;   in Loop: Header=BB529_696 Depth=2
	global_load_dword v164, v[60:61], off offset:768
.LBB529_708:                            ;   in Loop: Header=BB529_696 Depth=2
	s_or_b64 exec, exec, s[36:37]
	v_cmp_gt_u32_e32 vcc, s95, v113
	s_waitcnt vmcnt(9)
	v_bfrev_b32_e32 v174, 1
	v_bfrev_b32_e32 v169, 1
	s_and_saveexec_b64 s[36:37], vcc
	s_cbranch_execz .LBB529_710
; %bb.709:                              ;   in Loop: Header=BB529_696 Depth=2
	global_load_dword v169, v[60:61], off offset:1024
.LBB529_710:                            ;   in Loop: Header=BB529_696 Depth=2
	;; [unrolled: 17-line block ×6, first 2 shown]
	s_or_b64 exec, exec, s[36:37]
	v_cmp_gt_u32_e32 vcc, s95, v122
	s_and_saveexec_b64 s[36:37], vcc
	s_cbranch_execz .LBB529_728
; %bb.727:                              ;   in Loop: Header=BB529_696 Depth=2
	global_load_dword v158, v[60:61], off offset:3328
.LBB529_728:                            ;   in Loop: Header=BB529_696 Depth=2
	s_or_b64 exec, exec, s[36:37]
	v_cmp_gt_u32_e32 vcc, s95, v123
	s_waitcnt vmcnt(0)
	v_bfrev_b32_e32 v62, 1
	s_and_saveexec_b64 s[36:37], vcc
	s_cbranch_execz .LBB529_730
; %bb.729:                              ;   in Loop: Header=BB529_696 Depth=2
	global_load_dword v62, v[60:61], off offset:3584
.LBB529_730:                            ;   in Loop: Header=BB529_696 Depth=2
	s_or_b64 exec, exec, s[36:37]
	s_sub_i32 s40, s92, s88
	v_cmp_gt_u32_e64 s[36:37], s95, v124
	s_brev_b32 s38, 1
	v_mov_b32_e32 v63, s38
	v_mov_b32_e32 v151, s95
	s_and_saveexec_b64 s[38:39], s[36:37]
	s_cbranch_execz .LBB529_732
.LBB529_731:                            ;   in Loop: Header=BB529_696 Depth=2
	s_lshl_b64 s[36:37], s[88:89], 2
	v_mov_b32_e32 v61, s37
	v_add_co_u32_e32 v60, vcc, s36, v145
	v_addc_co_u32_e32 v61, vcc, v148, v61, vcc
	global_load_dword v63, v[60:61], off
	v_mov_b32_e32 v151, s40
.LBB529_732:                            ;   in Loop: Header=BB529_696 Depth=2
	s_or_b64 exec, exec, s[38:39]
	s_waitcnt vmcnt(14)
	v_xor_b32_e32 v152, 0x7fffffff, v5
	v_lshrrev_b32_e32 v5, s85, v152
	v_and_b32_e32 v60, s94, v5
	v_mad_u32_u24 v5, v60, 5, v150
	v_lshl_add_u32 v153, v5, 2, v65
	v_and_b32_e32 v5, 1, v60
	v_add_co_u32_e32 v61, vcc, -1, v5
	v_addc_co_u32_e64 v155, s[36:37], 0, -1, vcc
	v_cmp_ne_u32_e32 vcc, 0, v5
	v_xor_b32_e32 v5, vcc_hi, v155
	v_and_b32_e32 v155, exec_hi, v5
	v_lshlrev_b32_e32 v5, 30, v60
	v_xor_b32_e32 v61, vcc_lo, v61
	v_cmp_gt_i64_e32 vcc, 0, v[4:5]
	v_not_b32_e32 v5, v5
	v_ashrrev_i32_e32 v5, 31, v5
	v_and_b32_e32 v61, exec_lo, v61
	v_xor_b32_e32 v156, vcc_hi, v5
	v_xor_b32_e32 v5, vcc_lo, v5
	v_and_b32_e32 v61, v61, v5
	v_lshlrev_b32_e32 v5, 29, v60
	v_cmp_gt_i64_e32 vcc, 0, v[4:5]
	v_not_b32_e32 v5, v5
	v_ashrrev_i32_e32 v5, 31, v5
	v_and_b32_e32 v155, v155, v156
	v_xor_b32_e32 v156, vcc_hi, v5
	v_xor_b32_e32 v5, vcc_lo, v5
	v_and_b32_e32 v61, v61, v5
	v_lshlrev_b32_e32 v5, 28, v60
	v_cmp_gt_i64_e32 vcc, 0, v[4:5]
	v_not_b32_e32 v5, v5
	v_ashrrev_i32_e32 v5, 31, v5
	v_and_b32_e32 v155, v155, v156
	;; [unrolled: 8-line block ×5, first 2 shown]
	v_xor_b32_e32 v156, vcc_hi, v5
	v_xor_b32_e32 v5, vcc_lo, v5
	v_and_b32_e32 v155, v155, v156
	v_and_b32_e32 v156, v61, v5
	v_lshlrev_b32_e32 v5, 24, v60
	v_cmp_gt_i64_e32 vcc, 0, v[4:5]
	v_not_b32_e32 v5, v5
	v_ashrrev_i32_e32 v5, 31, v5
	v_xor_b32_e32 v60, vcc_hi, v5
	v_xor_b32_e32 v5, vcc_lo, v5
	v_and_b32_e32 v61, v155, v60
	v_and_b32_e32 v60, v156, v5
	v_mbcnt_lo_u32_b32 v5, v60, 0
	v_mbcnt_hi_u32_b32 v155, v61, v5
	v_cmp_eq_u32_e32 vcc, 0, v155
	v_cmp_ne_u64_e64 s[36:37], 0, v[60:61]
	s_and_b64 s[38:39], s[36:37], vcc
	ds_write2_b32 v126, v4, v4 offset1:1
	ds_write2_b32 v66, v4, v4 offset0:2 offset1:3
	ds_write_b32 v66, v4 offset:16
	s_waitcnt lgkmcnt(0)
	s_barrier
	s_waitcnt lgkmcnt(0)
	; wave barrier
	s_and_saveexec_b64 s[36:37], s[38:39]
	s_cbranch_execz .LBB529_734
; %bb.733:                              ;   in Loop: Header=BB529_696 Depth=2
	v_bcnt_u32_b32 v5, v60, 0
	v_bcnt_u32_b32 v5, v61, v5
	ds_write_b32 v153, v5
.LBB529_734:                            ;   in Loop: Header=BB529_696 Depth=2
	s_or_b64 exec, exec, s[36:37]
	s_waitcnt vmcnt(13)
	v_xor_b32_e32 v154, 0x7fffffff, v154
	v_lshrrev_b32_e32 v5, s85, v154
	v_and_b32_e32 v60, s94, v5
	v_mul_u32_u24_e32 v5, 5, v60
	v_add_lshl_u32 v5, v5, v150, 2
	; wave barrier
	v_add_u32_e32 v157, 0x410, v5
	ds_read_b32 v156, v5 offset:1040
	v_and_b32_e32 v5, 1, v60
	v_add_co_u32_e32 v61, vcc, -1, v5
	v_addc_co_u32_e64 v160, s[36:37], 0, -1, vcc
	v_cmp_ne_u32_e32 vcc, 0, v5
	v_xor_b32_e32 v5, vcc_hi, v160
	v_and_b32_e32 v160, exec_hi, v5
	v_lshlrev_b32_e32 v5, 30, v60
	v_xor_b32_e32 v61, vcc_lo, v61
	v_cmp_gt_i64_e32 vcc, 0, v[4:5]
	v_not_b32_e32 v5, v5
	v_ashrrev_i32_e32 v5, 31, v5
	v_and_b32_e32 v61, exec_lo, v61
	v_xor_b32_e32 v161, vcc_hi, v5
	v_xor_b32_e32 v5, vcc_lo, v5
	v_and_b32_e32 v61, v61, v5
	v_lshlrev_b32_e32 v5, 29, v60
	v_cmp_gt_i64_e32 vcc, 0, v[4:5]
	v_not_b32_e32 v5, v5
	v_ashrrev_i32_e32 v5, 31, v5
	v_and_b32_e32 v160, v160, v161
	v_xor_b32_e32 v161, vcc_hi, v5
	v_xor_b32_e32 v5, vcc_lo, v5
	v_and_b32_e32 v61, v61, v5
	v_lshlrev_b32_e32 v5, 28, v60
	v_cmp_gt_i64_e32 vcc, 0, v[4:5]
	v_not_b32_e32 v5, v5
	v_ashrrev_i32_e32 v5, 31, v5
	v_and_b32_e32 v160, v160, v161
	;; [unrolled: 8-line block ×5, first 2 shown]
	v_xor_b32_e32 v161, vcc_hi, v5
	v_xor_b32_e32 v5, vcc_lo, v5
	v_and_b32_e32 v160, v160, v161
	v_and_b32_e32 v161, v61, v5
	v_lshlrev_b32_e32 v5, 24, v60
	v_cmp_gt_i64_e32 vcc, 0, v[4:5]
	v_not_b32_e32 v5, v5
	v_ashrrev_i32_e32 v5, 31, v5
	v_xor_b32_e32 v60, vcc_hi, v5
	v_xor_b32_e32 v5, vcc_lo, v5
	v_and_b32_e32 v61, v160, v60
	v_and_b32_e32 v60, v161, v5
	v_mbcnt_lo_u32_b32 v5, v60, 0
	v_mbcnt_hi_u32_b32 v160, v61, v5
	v_cmp_eq_u32_e32 vcc, 0, v160
	v_cmp_ne_u64_e64 s[36:37], 0, v[60:61]
	s_and_b64 s[38:39], s[36:37], vcc
	; wave barrier
	s_and_saveexec_b64 s[36:37], s[38:39]
	s_cbranch_execz .LBB529_736
; %bb.735:                              ;   in Loop: Header=BB529_696 Depth=2
	v_bcnt_u32_b32 v5, v60, 0
	v_bcnt_u32_b32 v5, v61, v5
	s_waitcnt lgkmcnt(0)
	v_add_u32_e32 v5, v156, v5
	ds_write_b32 v157, v5
.LBB529_736:                            ;   in Loop: Header=BB529_696 Depth=2
	s_or_b64 exec, exec, s[36:37]
	s_waitcnt vmcnt(12)
	v_xor_b32_e32 v159, 0x7fffffff, v159
	v_lshrrev_b32_e32 v5, s85, v159
	v_and_b32_e32 v60, s94, v5
	v_mul_u32_u24_e32 v5, 5, v60
	v_add_lshl_u32 v5, v5, v150, 2
	; wave barrier
	v_add_u32_e32 v162, 0x410, v5
	ds_read_b32 v161, v5 offset:1040
	v_and_b32_e32 v5, 1, v60
	v_add_co_u32_e32 v61, vcc, -1, v5
	v_addc_co_u32_e64 v165, s[36:37], 0, -1, vcc
	v_cmp_ne_u32_e32 vcc, 0, v5
	v_xor_b32_e32 v5, vcc_hi, v165
	v_and_b32_e32 v165, exec_hi, v5
	v_lshlrev_b32_e32 v5, 30, v60
	v_xor_b32_e32 v61, vcc_lo, v61
	v_cmp_gt_i64_e32 vcc, 0, v[4:5]
	v_not_b32_e32 v5, v5
	v_ashrrev_i32_e32 v5, 31, v5
	v_and_b32_e32 v61, exec_lo, v61
	v_xor_b32_e32 v166, vcc_hi, v5
	v_xor_b32_e32 v5, vcc_lo, v5
	v_and_b32_e32 v61, v61, v5
	v_lshlrev_b32_e32 v5, 29, v60
	v_cmp_gt_i64_e32 vcc, 0, v[4:5]
	v_not_b32_e32 v5, v5
	v_ashrrev_i32_e32 v5, 31, v5
	v_and_b32_e32 v165, v165, v166
	v_xor_b32_e32 v166, vcc_hi, v5
	v_xor_b32_e32 v5, vcc_lo, v5
	v_and_b32_e32 v61, v61, v5
	v_lshlrev_b32_e32 v5, 28, v60
	v_cmp_gt_i64_e32 vcc, 0, v[4:5]
	v_not_b32_e32 v5, v5
	v_ashrrev_i32_e32 v5, 31, v5
	v_and_b32_e32 v165, v165, v166
	v_xor_b32_e32 v166, vcc_hi, v5
	v_xor_b32_e32 v5, vcc_lo, v5
	v_and_b32_e32 v61, v61, v5
	v_lshlrev_b32_e32 v5, 27, v60
	v_cmp_gt_i64_e32 vcc, 0, v[4:5]
	v_not_b32_e32 v5, v5
	v_ashrrev_i32_e32 v5, 31, v5
	v_and_b32_e32 v165, v165, v166
	v_xor_b32_e32 v166, vcc_hi, v5
	v_xor_b32_e32 v5, vcc_lo, v5
	v_and_b32_e32 v61, v61, v5
	v_lshlrev_b32_e32 v5, 26, v60
	v_cmp_gt_i64_e32 vcc, 0, v[4:5]
	v_not_b32_e32 v5, v5
	v_ashrrev_i32_e32 v5, 31, v5
	v_and_b32_e32 v165, v165, v166
	v_xor_b32_e32 v166, vcc_hi, v5
	v_xor_b32_e32 v5, vcc_lo, v5
	v_and_b32_e32 v61, v61, v5
	v_lshlrev_b32_e32 v5, 25, v60
	v_cmp_gt_i64_e32 vcc, 0, v[4:5]
	v_not_b32_e32 v5, v5
	v_ashrrev_i32_e32 v5, 31, v5
	v_and_b32_e32 v165, v165, v166
	v_xor_b32_e32 v166, vcc_hi, v5
	v_xor_b32_e32 v5, vcc_lo, v5
	v_and_b32_e32 v165, v165, v166
	v_and_b32_e32 v166, v61, v5
	v_lshlrev_b32_e32 v5, 24, v60
	v_cmp_gt_i64_e32 vcc, 0, v[4:5]
	v_not_b32_e32 v5, v5
	v_ashrrev_i32_e32 v5, 31, v5
	v_xor_b32_e32 v60, vcc_hi, v5
	v_xor_b32_e32 v5, vcc_lo, v5
	v_and_b32_e32 v61, v165, v60
	v_and_b32_e32 v60, v166, v5
	v_mbcnt_lo_u32_b32 v5, v60, 0
	v_mbcnt_hi_u32_b32 v165, v61, v5
	v_cmp_eq_u32_e32 vcc, 0, v165
	v_cmp_ne_u64_e64 s[36:37], 0, v[60:61]
	s_and_b64 s[38:39], s[36:37], vcc
	; wave barrier
	s_and_saveexec_b64 s[36:37], s[38:39]
	s_cbranch_execz .LBB529_738
; %bb.737:                              ;   in Loop: Header=BB529_696 Depth=2
	v_bcnt_u32_b32 v5, v60, 0
	v_bcnt_u32_b32 v5, v61, v5
	s_waitcnt lgkmcnt(0)
	v_add_u32_e32 v5, v161, v5
	ds_write_b32 v162, v5
.LBB529_738:                            ;   in Loop: Header=BB529_696 Depth=2
	s_or_b64 exec, exec, s[36:37]
	s_waitcnt vmcnt(11)
	v_xor_b32_e32 v164, 0x7fffffff, v164
	v_lshrrev_b32_e32 v5, s85, v164
	v_and_b32_e32 v60, s94, v5
	v_mul_u32_u24_e32 v5, 5, v60
	v_add_lshl_u32 v5, v5, v150, 2
	; wave barrier
	v_add_u32_e32 v167, 0x410, v5
	ds_read_b32 v166, v5 offset:1040
	v_and_b32_e32 v5, 1, v60
	v_add_co_u32_e32 v61, vcc, -1, v5
	v_addc_co_u32_e64 v170, s[36:37], 0, -1, vcc
	v_cmp_ne_u32_e32 vcc, 0, v5
	v_xor_b32_e32 v5, vcc_hi, v170
	v_and_b32_e32 v170, exec_hi, v5
	v_lshlrev_b32_e32 v5, 30, v60
	v_xor_b32_e32 v61, vcc_lo, v61
	v_cmp_gt_i64_e32 vcc, 0, v[4:5]
	v_not_b32_e32 v5, v5
	v_ashrrev_i32_e32 v5, 31, v5
	v_and_b32_e32 v61, exec_lo, v61
	v_xor_b32_e32 v171, vcc_hi, v5
	v_xor_b32_e32 v5, vcc_lo, v5
	v_and_b32_e32 v61, v61, v5
	v_lshlrev_b32_e32 v5, 29, v60
	v_cmp_gt_i64_e32 vcc, 0, v[4:5]
	v_not_b32_e32 v5, v5
	v_ashrrev_i32_e32 v5, 31, v5
	v_and_b32_e32 v170, v170, v171
	v_xor_b32_e32 v171, vcc_hi, v5
	v_xor_b32_e32 v5, vcc_lo, v5
	v_and_b32_e32 v61, v61, v5
	v_lshlrev_b32_e32 v5, 28, v60
	v_cmp_gt_i64_e32 vcc, 0, v[4:5]
	v_not_b32_e32 v5, v5
	v_ashrrev_i32_e32 v5, 31, v5
	v_and_b32_e32 v170, v170, v171
	;; [unrolled: 8-line block ×5, first 2 shown]
	v_xor_b32_e32 v171, vcc_hi, v5
	v_xor_b32_e32 v5, vcc_lo, v5
	v_and_b32_e32 v170, v170, v171
	v_and_b32_e32 v171, v61, v5
	v_lshlrev_b32_e32 v5, 24, v60
	v_cmp_gt_i64_e32 vcc, 0, v[4:5]
	v_not_b32_e32 v5, v5
	v_ashrrev_i32_e32 v5, 31, v5
	v_xor_b32_e32 v60, vcc_hi, v5
	v_xor_b32_e32 v5, vcc_lo, v5
	v_and_b32_e32 v61, v170, v60
	v_and_b32_e32 v60, v171, v5
	v_mbcnt_lo_u32_b32 v5, v60, 0
	v_mbcnt_hi_u32_b32 v170, v61, v5
	v_cmp_eq_u32_e32 vcc, 0, v170
	v_cmp_ne_u64_e64 s[36:37], 0, v[60:61]
	s_and_b64 s[38:39], s[36:37], vcc
	; wave barrier
	s_and_saveexec_b64 s[36:37], s[38:39]
	s_cbranch_execz .LBB529_740
; %bb.739:                              ;   in Loop: Header=BB529_696 Depth=2
	v_bcnt_u32_b32 v5, v60, 0
	v_bcnt_u32_b32 v5, v61, v5
	s_waitcnt lgkmcnt(0)
	v_add_u32_e32 v5, v166, v5
	ds_write_b32 v167, v5
.LBB529_740:                            ;   in Loop: Header=BB529_696 Depth=2
	s_or_b64 exec, exec, s[36:37]
	s_waitcnt vmcnt(10)
	v_xor_b32_e32 v169, 0x7fffffff, v169
	v_lshrrev_b32_e32 v5, s85, v169
	v_and_b32_e32 v60, s94, v5
	v_mul_u32_u24_e32 v5, 5, v60
	v_add_lshl_u32 v5, v5, v150, 2
	; wave barrier
	v_add_u32_e32 v172, 0x410, v5
	ds_read_b32 v171, v5 offset:1040
	v_and_b32_e32 v5, 1, v60
	v_add_co_u32_e32 v61, vcc, -1, v5
	v_addc_co_u32_e64 v175, s[36:37], 0, -1, vcc
	v_cmp_ne_u32_e32 vcc, 0, v5
	v_xor_b32_e32 v5, vcc_hi, v175
	v_and_b32_e32 v175, exec_hi, v5
	v_lshlrev_b32_e32 v5, 30, v60
	v_xor_b32_e32 v61, vcc_lo, v61
	v_cmp_gt_i64_e32 vcc, 0, v[4:5]
	v_not_b32_e32 v5, v5
	v_ashrrev_i32_e32 v5, 31, v5
	v_and_b32_e32 v61, exec_lo, v61
	v_xor_b32_e32 v176, vcc_hi, v5
	v_xor_b32_e32 v5, vcc_lo, v5
	v_and_b32_e32 v61, v61, v5
	v_lshlrev_b32_e32 v5, 29, v60
	v_cmp_gt_i64_e32 vcc, 0, v[4:5]
	v_not_b32_e32 v5, v5
	v_ashrrev_i32_e32 v5, 31, v5
	v_and_b32_e32 v175, v175, v176
	v_xor_b32_e32 v176, vcc_hi, v5
	v_xor_b32_e32 v5, vcc_lo, v5
	v_and_b32_e32 v61, v61, v5
	v_lshlrev_b32_e32 v5, 28, v60
	v_cmp_gt_i64_e32 vcc, 0, v[4:5]
	v_not_b32_e32 v5, v5
	v_ashrrev_i32_e32 v5, 31, v5
	v_and_b32_e32 v175, v175, v176
	;; [unrolled: 8-line block ×5, first 2 shown]
	v_xor_b32_e32 v176, vcc_hi, v5
	v_xor_b32_e32 v5, vcc_lo, v5
	v_and_b32_e32 v175, v175, v176
	v_and_b32_e32 v176, v61, v5
	v_lshlrev_b32_e32 v5, 24, v60
	v_cmp_gt_i64_e32 vcc, 0, v[4:5]
	v_not_b32_e32 v5, v5
	v_ashrrev_i32_e32 v5, 31, v5
	v_xor_b32_e32 v60, vcc_hi, v5
	v_xor_b32_e32 v5, vcc_lo, v5
	v_and_b32_e32 v61, v175, v60
	v_and_b32_e32 v60, v176, v5
	v_mbcnt_lo_u32_b32 v5, v60, 0
	v_mbcnt_hi_u32_b32 v175, v61, v5
	v_cmp_eq_u32_e32 vcc, 0, v175
	v_cmp_ne_u64_e64 s[36:37], 0, v[60:61]
	s_and_b64 s[38:39], s[36:37], vcc
	; wave barrier
	s_and_saveexec_b64 s[36:37], s[38:39]
	s_cbranch_execz .LBB529_742
; %bb.741:                              ;   in Loop: Header=BB529_696 Depth=2
	v_bcnt_u32_b32 v5, v60, 0
	v_bcnt_u32_b32 v5, v61, v5
	s_waitcnt lgkmcnt(0)
	v_add_u32_e32 v5, v171, v5
	ds_write_b32 v172, v5
.LBB529_742:                            ;   in Loop: Header=BB529_696 Depth=2
	s_or_b64 exec, exec, s[36:37]
	s_waitcnt vmcnt(9)
	v_xor_b32_e32 v174, 0x7fffffff, v174
	v_lshrrev_b32_e32 v5, s85, v174
	v_and_b32_e32 v60, s94, v5
	v_mul_u32_u24_e32 v5, 5, v60
	v_add_lshl_u32 v5, v5, v150, 2
	; wave barrier
	v_add_u32_e32 v178, 0x410, v5
	ds_read_b32 v176, v5 offset:1040
	v_and_b32_e32 v5, 1, v60
	v_add_co_u32_e32 v61, vcc, -1, v5
	v_addc_co_u32_e64 v180, s[36:37], 0, -1, vcc
	v_cmp_ne_u32_e32 vcc, 0, v5
	v_xor_b32_e32 v5, vcc_hi, v180
	v_and_b32_e32 v180, exec_hi, v5
	v_lshlrev_b32_e32 v5, 30, v60
	v_xor_b32_e32 v61, vcc_lo, v61
	v_cmp_gt_i64_e32 vcc, 0, v[4:5]
	v_not_b32_e32 v5, v5
	v_ashrrev_i32_e32 v5, 31, v5
	v_and_b32_e32 v61, exec_lo, v61
	v_xor_b32_e32 v181, vcc_hi, v5
	v_xor_b32_e32 v5, vcc_lo, v5
	v_and_b32_e32 v61, v61, v5
	v_lshlrev_b32_e32 v5, 29, v60
	v_cmp_gt_i64_e32 vcc, 0, v[4:5]
	v_not_b32_e32 v5, v5
	v_ashrrev_i32_e32 v5, 31, v5
	v_and_b32_e32 v180, v180, v181
	v_xor_b32_e32 v181, vcc_hi, v5
	v_xor_b32_e32 v5, vcc_lo, v5
	v_and_b32_e32 v61, v61, v5
	v_lshlrev_b32_e32 v5, 28, v60
	v_cmp_gt_i64_e32 vcc, 0, v[4:5]
	v_not_b32_e32 v5, v5
	v_ashrrev_i32_e32 v5, 31, v5
	v_and_b32_e32 v180, v180, v181
	;; [unrolled: 8-line block ×5, first 2 shown]
	v_xor_b32_e32 v181, vcc_hi, v5
	v_xor_b32_e32 v5, vcc_lo, v5
	v_and_b32_e32 v180, v180, v181
	v_and_b32_e32 v181, v61, v5
	v_lshlrev_b32_e32 v5, 24, v60
	v_cmp_gt_i64_e32 vcc, 0, v[4:5]
	v_not_b32_e32 v5, v5
	v_ashrrev_i32_e32 v5, 31, v5
	v_xor_b32_e32 v60, vcc_hi, v5
	v_xor_b32_e32 v5, vcc_lo, v5
	v_and_b32_e32 v61, v180, v60
	v_and_b32_e32 v60, v181, v5
	v_mbcnt_lo_u32_b32 v5, v60, 0
	v_mbcnt_hi_u32_b32 v180, v61, v5
	v_cmp_eq_u32_e32 vcc, 0, v180
	v_cmp_ne_u64_e64 s[36:37], 0, v[60:61]
	s_and_b64 s[38:39], s[36:37], vcc
	; wave barrier
	s_and_saveexec_b64 s[36:37], s[38:39]
	s_cbranch_execz .LBB529_744
; %bb.743:                              ;   in Loop: Header=BB529_696 Depth=2
	v_bcnt_u32_b32 v5, v60, 0
	v_bcnt_u32_b32 v5, v61, v5
	s_waitcnt lgkmcnt(0)
	v_add_u32_e32 v5, v176, v5
	ds_write_b32 v178, v5
.LBB529_744:                            ;   in Loop: Header=BB529_696 Depth=2
	s_or_b64 exec, exec, s[36:37]
	s_waitcnt vmcnt(8)
	v_xor_b32_e32 v179, 0x7fffffff, v179
	v_lshrrev_b32_e32 v5, s85, v179
	v_and_b32_e32 v60, s94, v5
	v_mul_u32_u24_e32 v5, 5, v60
	v_add_lshl_u32 v5, v5, v150, 2
	; wave barrier
	v_add_u32_e32 v183, 0x410, v5
	ds_read_b32 v181, v5 offset:1040
	v_and_b32_e32 v5, 1, v60
	v_add_co_u32_e32 v61, vcc, -1, v5
	v_addc_co_u32_e64 v185, s[36:37], 0, -1, vcc
	v_cmp_ne_u32_e32 vcc, 0, v5
	v_xor_b32_e32 v5, vcc_hi, v185
	v_and_b32_e32 v185, exec_hi, v5
	v_lshlrev_b32_e32 v5, 30, v60
	v_xor_b32_e32 v61, vcc_lo, v61
	v_cmp_gt_i64_e32 vcc, 0, v[4:5]
	v_not_b32_e32 v5, v5
	v_ashrrev_i32_e32 v5, 31, v5
	v_and_b32_e32 v61, exec_lo, v61
	v_xor_b32_e32 v186, vcc_hi, v5
	v_xor_b32_e32 v5, vcc_lo, v5
	v_and_b32_e32 v61, v61, v5
	v_lshlrev_b32_e32 v5, 29, v60
	v_cmp_gt_i64_e32 vcc, 0, v[4:5]
	v_not_b32_e32 v5, v5
	v_ashrrev_i32_e32 v5, 31, v5
	v_and_b32_e32 v185, v185, v186
	v_xor_b32_e32 v186, vcc_hi, v5
	v_xor_b32_e32 v5, vcc_lo, v5
	v_and_b32_e32 v61, v61, v5
	v_lshlrev_b32_e32 v5, 28, v60
	v_cmp_gt_i64_e32 vcc, 0, v[4:5]
	v_not_b32_e32 v5, v5
	v_ashrrev_i32_e32 v5, 31, v5
	v_and_b32_e32 v185, v185, v186
	;; [unrolled: 8-line block ×5, first 2 shown]
	v_xor_b32_e32 v186, vcc_hi, v5
	v_xor_b32_e32 v5, vcc_lo, v5
	v_and_b32_e32 v185, v185, v186
	v_and_b32_e32 v186, v61, v5
	v_lshlrev_b32_e32 v5, 24, v60
	v_cmp_gt_i64_e32 vcc, 0, v[4:5]
	v_not_b32_e32 v5, v5
	v_ashrrev_i32_e32 v5, 31, v5
	v_xor_b32_e32 v60, vcc_hi, v5
	v_xor_b32_e32 v5, vcc_lo, v5
	v_and_b32_e32 v61, v185, v60
	v_and_b32_e32 v60, v186, v5
	v_mbcnt_lo_u32_b32 v5, v60, 0
	v_mbcnt_hi_u32_b32 v185, v61, v5
	v_cmp_eq_u32_e32 vcc, 0, v185
	v_cmp_ne_u64_e64 s[36:37], 0, v[60:61]
	s_and_b64 s[38:39], s[36:37], vcc
	; wave barrier
	s_and_saveexec_b64 s[36:37], s[38:39]
	s_cbranch_execz .LBB529_746
; %bb.745:                              ;   in Loop: Header=BB529_696 Depth=2
	v_bcnt_u32_b32 v5, v60, 0
	v_bcnt_u32_b32 v5, v61, v5
	s_waitcnt lgkmcnt(0)
	v_add_u32_e32 v5, v181, v5
	ds_write_b32 v183, v5
.LBB529_746:                            ;   in Loop: Header=BB529_696 Depth=2
	s_or_b64 exec, exec, s[36:37]
	s_waitcnt vmcnt(7)
	v_xor_b32_e32 v184, 0x7fffffff, v184
	v_lshrrev_b32_e32 v5, s85, v184
	v_and_b32_e32 v60, s94, v5
	v_mul_u32_u24_e32 v5, 5, v60
	v_add_lshl_u32 v5, v5, v150, 2
	; wave barrier
	v_add_u32_e32 v187, 0x410, v5
	ds_read_b32 v186, v5 offset:1040
	v_and_b32_e32 v5, 1, v60
	v_add_co_u32_e32 v61, vcc, -1, v5
	v_addc_co_u32_e64 v188, s[36:37], 0, -1, vcc
	v_cmp_ne_u32_e32 vcc, 0, v5
	v_xor_b32_e32 v5, vcc_hi, v188
	v_and_b32_e32 v188, exec_hi, v5
	v_lshlrev_b32_e32 v5, 30, v60
	v_xor_b32_e32 v61, vcc_lo, v61
	v_cmp_gt_i64_e32 vcc, 0, v[4:5]
	v_not_b32_e32 v5, v5
	v_ashrrev_i32_e32 v5, 31, v5
	v_and_b32_e32 v61, exec_lo, v61
	v_xor_b32_e32 v189, vcc_hi, v5
	v_xor_b32_e32 v5, vcc_lo, v5
	v_and_b32_e32 v61, v61, v5
	v_lshlrev_b32_e32 v5, 29, v60
	v_cmp_gt_i64_e32 vcc, 0, v[4:5]
	v_not_b32_e32 v5, v5
	v_ashrrev_i32_e32 v5, 31, v5
	v_and_b32_e32 v188, v188, v189
	v_xor_b32_e32 v189, vcc_hi, v5
	v_xor_b32_e32 v5, vcc_lo, v5
	v_and_b32_e32 v61, v61, v5
	v_lshlrev_b32_e32 v5, 28, v60
	v_cmp_gt_i64_e32 vcc, 0, v[4:5]
	v_not_b32_e32 v5, v5
	v_ashrrev_i32_e32 v5, 31, v5
	v_and_b32_e32 v188, v188, v189
	;; [unrolled: 8-line block ×5, first 2 shown]
	v_xor_b32_e32 v189, vcc_hi, v5
	v_xor_b32_e32 v5, vcc_lo, v5
	v_and_b32_e32 v188, v188, v189
	v_and_b32_e32 v189, v61, v5
	v_lshlrev_b32_e32 v5, 24, v60
	v_cmp_gt_i64_e32 vcc, 0, v[4:5]
	v_not_b32_e32 v5, v5
	v_ashrrev_i32_e32 v5, 31, v5
	v_xor_b32_e32 v60, vcc_hi, v5
	v_xor_b32_e32 v5, vcc_lo, v5
	v_and_b32_e32 v61, v188, v60
	v_and_b32_e32 v60, v189, v5
	v_mbcnt_lo_u32_b32 v5, v60, 0
	v_mbcnt_hi_u32_b32 v188, v61, v5
	v_cmp_eq_u32_e32 vcc, 0, v188
	v_cmp_ne_u64_e64 s[36:37], 0, v[60:61]
	s_and_b64 s[38:39], s[36:37], vcc
	; wave barrier
	s_and_saveexec_b64 s[36:37], s[38:39]
	s_cbranch_execz .LBB529_748
; %bb.747:                              ;   in Loop: Header=BB529_696 Depth=2
	v_bcnt_u32_b32 v5, v60, 0
	v_bcnt_u32_b32 v5, v61, v5
	s_waitcnt lgkmcnt(0)
	v_add_u32_e32 v5, v186, v5
	ds_write_b32 v187, v5
.LBB529_748:                            ;   in Loop: Header=BB529_696 Depth=2
	s_or_b64 exec, exec, s[36:37]
	s_waitcnt vmcnt(6)
	v_xor_b32_e32 v182, 0x7fffffff, v182
	v_lshrrev_b32_e32 v5, s85, v182
	v_and_b32_e32 v60, s94, v5
	v_mul_u32_u24_e32 v5, 5, v60
	v_add_lshl_u32 v5, v5, v150, 2
	; wave barrier
	v_add_u32_e32 v190, 0x410, v5
	ds_read_b32 v189, v5 offset:1040
	v_and_b32_e32 v5, 1, v60
	v_add_co_u32_e32 v61, vcc, -1, v5
	v_addc_co_u32_e64 v191, s[36:37], 0, -1, vcc
	v_cmp_ne_u32_e32 vcc, 0, v5
	v_xor_b32_e32 v5, vcc_hi, v191
	v_and_b32_e32 v191, exec_hi, v5
	v_lshlrev_b32_e32 v5, 30, v60
	v_xor_b32_e32 v61, vcc_lo, v61
	v_cmp_gt_i64_e32 vcc, 0, v[4:5]
	v_not_b32_e32 v5, v5
	v_ashrrev_i32_e32 v5, 31, v5
	v_and_b32_e32 v61, exec_lo, v61
	v_xor_b32_e32 v192, vcc_hi, v5
	v_xor_b32_e32 v5, vcc_lo, v5
	v_and_b32_e32 v61, v61, v5
	v_lshlrev_b32_e32 v5, 29, v60
	v_cmp_gt_i64_e32 vcc, 0, v[4:5]
	v_not_b32_e32 v5, v5
	v_ashrrev_i32_e32 v5, 31, v5
	v_and_b32_e32 v191, v191, v192
	v_xor_b32_e32 v192, vcc_hi, v5
	v_xor_b32_e32 v5, vcc_lo, v5
	v_and_b32_e32 v61, v61, v5
	v_lshlrev_b32_e32 v5, 28, v60
	v_cmp_gt_i64_e32 vcc, 0, v[4:5]
	v_not_b32_e32 v5, v5
	v_ashrrev_i32_e32 v5, 31, v5
	v_and_b32_e32 v191, v191, v192
	;; [unrolled: 8-line block ×5, first 2 shown]
	v_xor_b32_e32 v192, vcc_hi, v5
	v_xor_b32_e32 v5, vcc_lo, v5
	v_and_b32_e32 v191, v191, v192
	v_and_b32_e32 v192, v61, v5
	v_lshlrev_b32_e32 v5, 24, v60
	v_cmp_gt_i64_e32 vcc, 0, v[4:5]
	v_not_b32_e32 v5, v5
	v_ashrrev_i32_e32 v5, 31, v5
	v_xor_b32_e32 v60, vcc_hi, v5
	v_xor_b32_e32 v5, vcc_lo, v5
	v_and_b32_e32 v61, v191, v60
	v_and_b32_e32 v60, v192, v5
	v_mbcnt_lo_u32_b32 v5, v60, 0
	v_mbcnt_hi_u32_b32 v191, v61, v5
	v_cmp_eq_u32_e32 vcc, 0, v191
	v_cmp_ne_u64_e64 s[36:37], 0, v[60:61]
	s_and_b64 s[38:39], s[36:37], vcc
	; wave barrier
	s_and_saveexec_b64 s[36:37], s[38:39]
	s_cbranch_execz .LBB529_750
; %bb.749:                              ;   in Loop: Header=BB529_696 Depth=2
	v_bcnt_u32_b32 v5, v60, 0
	v_bcnt_u32_b32 v5, v61, v5
	s_waitcnt lgkmcnt(0)
	v_add_u32_e32 v5, v189, v5
	ds_write_b32 v190, v5
.LBB529_750:                            ;   in Loop: Header=BB529_696 Depth=2
	s_or_b64 exec, exec, s[36:37]
	s_waitcnt vmcnt(5)
	v_xor_b32_e32 v177, 0x7fffffff, v177
	v_lshrrev_b32_e32 v5, s85, v177
	v_and_b32_e32 v60, s94, v5
	v_mul_u32_u24_e32 v5, 5, v60
	v_add_lshl_u32 v5, v5, v150, 2
	; wave barrier
	v_add_u32_e32 v193, 0x410, v5
	ds_read_b32 v192, v5 offset:1040
	v_and_b32_e32 v5, 1, v60
	v_add_co_u32_e32 v61, vcc, -1, v5
	v_addc_co_u32_e64 v194, s[36:37], 0, -1, vcc
	v_cmp_ne_u32_e32 vcc, 0, v5
	v_xor_b32_e32 v5, vcc_hi, v194
	v_and_b32_e32 v194, exec_hi, v5
	v_lshlrev_b32_e32 v5, 30, v60
	v_xor_b32_e32 v61, vcc_lo, v61
	v_cmp_gt_i64_e32 vcc, 0, v[4:5]
	v_not_b32_e32 v5, v5
	v_ashrrev_i32_e32 v5, 31, v5
	v_and_b32_e32 v61, exec_lo, v61
	v_xor_b32_e32 v195, vcc_hi, v5
	v_xor_b32_e32 v5, vcc_lo, v5
	v_and_b32_e32 v61, v61, v5
	v_lshlrev_b32_e32 v5, 29, v60
	v_cmp_gt_i64_e32 vcc, 0, v[4:5]
	v_not_b32_e32 v5, v5
	v_ashrrev_i32_e32 v5, 31, v5
	v_and_b32_e32 v194, v194, v195
	v_xor_b32_e32 v195, vcc_hi, v5
	v_xor_b32_e32 v5, vcc_lo, v5
	v_and_b32_e32 v61, v61, v5
	v_lshlrev_b32_e32 v5, 28, v60
	v_cmp_gt_i64_e32 vcc, 0, v[4:5]
	v_not_b32_e32 v5, v5
	v_ashrrev_i32_e32 v5, 31, v5
	v_and_b32_e32 v194, v194, v195
	;; [unrolled: 8-line block ×5, first 2 shown]
	v_xor_b32_e32 v195, vcc_hi, v5
	v_xor_b32_e32 v5, vcc_lo, v5
	v_and_b32_e32 v194, v194, v195
	v_and_b32_e32 v195, v61, v5
	v_lshlrev_b32_e32 v5, 24, v60
	v_cmp_gt_i64_e32 vcc, 0, v[4:5]
	v_not_b32_e32 v5, v5
	v_ashrrev_i32_e32 v5, 31, v5
	v_xor_b32_e32 v60, vcc_hi, v5
	v_xor_b32_e32 v5, vcc_lo, v5
	v_and_b32_e32 v61, v194, v60
	v_and_b32_e32 v60, v195, v5
	v_mbcnt_lo_u32_b32 v5, v60, 0
	v_mbcnt_hi_u32_b32 v194, v61, v5
	v_cmp_eq_u32_e32 vcc, 0, v194
	v_cmp_ne_u64_e64 s[36:37], 0, v[60:61]
	s_and_b64 s[38:39], s[36:37], vcc
	; wave barrier
	s_and_saveexec_b64 s[36:37], s[38:39]
	s_cbranch_execz .LBB529_752
; %bb.751:                              ;   in Loop: Header=BB529_696 Depth=2
	v_bcnt_u32_b32 v5, v60, 0
	v_bcnt_u32_b32 v5, v61, v5
	s_waitcnt lgkmcnt(0)
	v_add_u32_e32 v5, v192, v5
	ds_write_b32 v193, v5
.LBB529_752:                            ;   in Loop: Header=BB529_696 Depth=2
	s_or_b64 exec, exec, s[36:37]
	s_waitcnt vmcnt(4)
	v_xor_b32_e32 v173, 0x7fffffff, v173
	v_lshrrev_b32_e32 v5, s85, v173
	v_and_b32_e32 v60, s94, v5
	v_mul_u32_u24_e32 v5, 5, v60
	v_add_lshl_u32 v5, v5, v150, 2
	; wave barrier
	v_add_u32_e32 v196, 0x410, v5
	ds_read_b32 v195, v5 offset:1040
	v_and_b32_e32 v5, 1, v60
	v_add_co_u32_e32 v61, vcc, -1, v5
	v_addc_co_u32_e64 v197, s[36:37], 0, -1, vcc
	v_cmp_ne_u32_e32 vcc, 0, v5
	v_xor_b32_e32 v5, vcc_hi, v197
	v_and_b32_e32 v197, exec_hi, v5
	v_lshlrev_b32_e32 v5, 30, v60
	v_xor_b32_e32 v61, vcc_lo, v61
	v_cmp_gt_i64_e32 vcc, 0, v[4:5]
	v_not_b32_e32 v5, v5
	v_ashrrev_i32_e32 v5, 31, v5
	v_and_b32_e32 v61, exec_lo, v61
	v_xor_b32_e32 v198, vcc_hi, v5
	v_xor_b32_e32 v5, vcc_lo, v5
	v_and_b32_e32 v61, v61, v5
	v_lshlrev_b32_e32 v5, 29, v60
	v_cmp_gt_i64_e32 vcc, 0, v[4:5]
	v_not_b32_e32 v5, v5
	v_ashrrev_i32_e32 v5, 31, v5
	v_and_b32_e32 v197, v197, v198
	v_xor_b32_e32 v198, vcc_hi, v5
	v_xor_b32_e32 v5, vcc_lo, v5
	v_and_b32_e32 v61, v61, v5
	v_lshlrev_b32_e32 v5, 28, v60
	v_cmp_gt_i64_e32 vcc, 0, v[4:5]
	v_not_b32_e32 v5, v5
	v_ashrrev_i32_e32 v5, 31, v5
	v_and_b32_e32 v197, v197, v198
	;; [unrolled: 8-line block ×5, first 2 shown]
	v_xor_b32_e32 v198, vcc_hi, v5
	v_xor_b32_e32 v5, vcc_lo, v5
	v_and_b32_e32 v197, v197, v198
	v_and_b32_e32 v198, v61, v5
	v_lshlrev_b32_e32 v5, 24, v60
	v_cmp_gt_i64_e32 vcc, 0, v[4:5]
	v_not_b32_e32 v5, v5
	v_ashrrev_i32_e32 v5, 31, v5
	v_xor_b32_e32 v60, vcc_hi, v5
	v_xor_b32_e32 v5, vcc_lo, v5
	v_and_b32_e32 v61, v197, v60
	v_and_b32_e32 v60, v198, v5
	v_mbcnt_lo_u32_b32 v5, v60, 0
	v_mbcnt_hi_u32_b32 v198, v61, v5
	v_cmp_eq_u32_e32 vcc, 0, v198
	v_cmp_ne_u64_e64 s[36:37], 0, v[60:61]
	s_and_b64 s[38:39], s[36:37], vcc
	; wave barrier
	s_and_saveexec_b64 s[36:37], s[38:39]
	s_cbranch_execz .LBB529_754
; %bb.753:                              ;   in Loop: Header=BB529_696 Depth=2
	v_bcnt_u32_b32 v5, v60, 0
	v_bcnt_u32_b32 v5, v61, v5
	s_waitcnt lgkmcnt(0)
	v_add_u32_e32 v5, v195, v5
	ds_write_b32 v196, v5
.LBB529_754:                            ;   in Loop: Header=BB529_696 Depth=2
	s_or_b64 exec, exec, s[36:37]
	s_waitcnt vmcnt(3)
	v_xor_b32_e32 v197, 0x7fffffff, v168
	v_lshrrev_b32_e32 v5, s85, v197
	v_and_b32_e32 v60, s94, v5
	v_mul_u32_u24_e32 v5, 5, v60
	v_add_lshl_u32 v5, v5, v150, 2
	; wave barrier
	v_add_u32_e32 v168, 0x410, v5
	ds_read_b32 v199, v5 offset:1040
	v_and_b32_e32 v5, 1, v60
	v_add_co_u32_e32 v61, vcc, -1, v5
	v_addc_co_u32_e64 v200, s[36:37], 0, -1, vcc
	v_cmp_ne_u32_e32 vcc, 0, v5
	v_xor_b32_e32 v5, vcc_hi, v200
	v_and_b32_e32 v200, exec_hi, v5
	v_lshlrev_b32_e32 v5, 30, v60
	v_xor_b32_e32 v61, vcc_lo, v61
	v_cmp_gt_i64_e32 vcc, 0, v[4:5]
	v_not_b32_e32 v5, v5
	v_ashrrev_i32_e32 v5, 31, v5
	v_and_b32_e32 v61, exec_lo, v61
	v_xor_b32_e32 v201, vcc_hi, v5
	v_xor_b32_e32 v5, vcc_lo, v5
	v_and_b32_e32 v61, v61, v5
	v_lshlrev_b32_e32 v5, 29, v60
	v_cmp_gt_i64_e32 vcc, 0, v[4:5]
	v_not_b32_e32 v5, v5
	v_ashrrev_i32_e32 v5, 31, v5
	v_and_b32_e32 v200, v200, v201
	v_xor_b32_e32 v201, vcc_hi, v5
	v_xor_b32_e32 v5, vcc_lo, v5
	v_and_b32_e32 v61, v61, v5
	v_lshlrev_b32_e32 v5, 28, v60
	v_cmp_gt_i64_e32 vcc, 0, v[4:5]
	v_not_b32_e32 v5, v5
	v_ashrrev_i32_e32 v5, 31, v5
	v_and_b32_e32 v200, v200, v201
	;; [unrolled: 8-line block ×5, first 2 shown]
	v_xor_b32_e32 v201, vcc_hi, v5
	v_xor_b32_e32 v5, vcc_lo, v5
	v_and_b32_e32 v200, v200, v201
	v_and_b32_e32 v201, v61, v5
	v_lshlrev_b32_e32 v5, 24, v60
	v_cmp_gt_i64_e32 vcc, 0, v[4:5]
	v_not_b32_e32 v5, v5
	v_ashrrev_i32_e32 v5, 31, v5
	v_xor_b32_e32 v60, vcc_hi, v5
	v_xor_b32_e32 v5, vcc_lo, v5
	v_and_b32_e32 v61, v200, v60
	v_and_b32_e32 v60, v201, v5
	v_mbcnt_lo_u32_b32 v5, v60, 0
	v_mbcnt_hi_u32_b32 v201, v61, v5
	v_cmp_eq_u32_e32 vcc, 0, v201
	v_cmp_ne_u64_e64 s[36:37], 0, v[60:61]
	s_and_b64 s[38:39], s[36:37], vcc
	; wave barrier
	s_and_saveexec_b64 s[36:37], s[38:39]
	s_cbranch_execz .LBB529_756
; %bb.755:                              ;   in Loop: Header=BB529_696 Depth=2
	v_bcnt_u32_b32 v5, v60, 0
	v_bcnt_u32_b32 v5, v61, v5
	s_waitcnt lgkmcnt(0)
	v_add_u32_e32 v5, v199, v5
	ds_write_b32 v168, v5
.LBB529_756:                            ;   in Loop: Header=BB529_696 Depth=2
	s_or_b64 exec, exec, s[36:37]
	s_waitcnt vmcnt(2)
	v_xor_b32_e32 v200, 0x7fffffff, v163
	v_lshrrev_b32_e32 v5, s85, v200
	v_and_b32_e32 v60, s94, v5
	v_mul_u32_u24_e32 v5, 5, v60
	v_add_lshl_u32 v5, v5, v150, 2
	; wave barrier
	v_add_u32_e32 v163, 0x410, v5
	ds_read_b32 v202, v5 offset:1040
	v_and_b32_e32 v5, 1, v60
	v_add_co_u32_e32 v61, vcc, -1, v5
	v_addc_co_u32_e64 v203, s[36:37], 0, -1, vcc
	v_cmp_ne_u32_e32 vcc, 0, v5
	v_xor_b32_e32 v5, vcc_hi, v203
	v_and_b32_e32 v203, exec_hi, v5
	v_lshlrev_b32_e32 v5, 30, v60
	v_xor_b32_e32 v61, vcc_lo, v61
	v_cmp_gt_i64_e32 vcc, 0, v[4:5]
	v_not_b32_e32 v5, v5
	v_ashrrev_i32_e32 v5, 31, v5
	v_and_b32_e32 v61, exec_lo, v61
	v_xor_b32_e32 v204, vcc_hi, v5
	v_xor_b32_e32 v5, vcc_lo, v5
	v_and_b32_e32 v61, v61, v5
	v_lshlrev_b32_e32 v5, 29, v60
	v_cmp_gt_i64_e32 vcc, 0, v[4:5]
	v_not_b32_e32 v5, v5
	v_ashrrev_i32_e32 v5, 31, v5
	v_and_b32_e32 v203, v203, v204
	v_xor_b32_e32 v204, vcc_hi, v5
	v_xor_b32_e32 v5, vcc_lo, v5
	v_and_b32_e32 v61, v61, v5
	v_lshlrev_b32_e32 v5, 28, v60
	v_cmp_gt_i64_e32 vcc, 0, v[4:5]
	v_not_b32_e32 v5, v5
	v_ashrrev_i32_e32 v5, 31, v5
	v_and_b32_e32 v203, v203, v204
	;; [unrolled: 8-line block ×5, first 2 shown]
	v_xor_b32_e32 v204, vcc_hi, v5
	v_xor_b32_e32 v5, vcc_lo, v5
	v_and_b32_e32 v203, v203, v204
	v_and_b32_e32 v204, v61, v5
	v_lshlrev_b32_e32 v5, 24, v60
	v_cmp_gt_i64_e32 vcc, 0, v[4:5]
	v_not_b32_e32 v5, v5
	v_ashrrev_i32_e32 v5, 31, v5
	v_xor_b32_e32 v60, vcc_hi, v5
	v_xor_b32_e32 v5, vcc_lo, v5
	v_and_b32_e32 v61, v203, v60
	v_and_b32_e32 v60, v204, v5
	v_mbcnt_lo_u32_b32 v5, v60, 0
	v_mbcnt_hi_u32_b32 v204, v61, v5
	v_cmp_eq_u32_e32 vcc, 0, v204
	v_cmp_ne_u64_e64 s[36:37], 0, v[60:61]
	s_and_b64 s[38:39], s[36:37], vcc
	; wave barrier
	s_and_saveexec_b64 s[36:37], s[38:39]
	s_cbranch_execz .LBB529_758
; %bb.757:                              ;   in Loop: Header=BB529_696 Depth=2
	v_bcnt_u32_b32 v5, v60, 0
	v_bcnt_u32_b32 v5, v61, v5
	s_waitcnt lgkmcnt(0)
	v_add_u32_e32 v5, v202, v5
	ds_write_b32 v163, v5
.LBB529_758:                            ;   in Loop: Header=BB529_696 Depth=2
	s_or_b64 exec, exec, s[36:37]
	s_waitcnt vmcnt(1)
	v_xor_b32_e32 v203, 0x7fffffff, v158
	v_lshrrev_b32_e32 v5, s85, v203
	v_and_b32_e32 v60, s94, v5
	v_mul_u32_u24_e32 v5, 5, v60
	v_add_lshl_u32 v5, v5, v150, 2
	; wave barrier
	v_add_u32_e32 v158, 0x410, v5
	ds_read_b32 v205, v5 offset:1040
	v_and_b32_e32 v5, 1, v60
	v_add_co_u32_e32 v61, vcc, -1, v5
	v_addc_co_u32_e64 v206, s[36:37], 0, -1, vcc
	v_cmp_ne_u32_e32 vcc, 0, v5
	v_xor_b32_e32 v5, vcc_hi, v206
	v_and_b32_e32 v206, exec_hi, v5
	v_lshlrev_b32_e32 v5, 30, v60
	v_xor_b32_e32 v61, vcc_lo, v61
	v_cmp_gt_i64_e32 vcc, 0, v[4:5]
	v_not_b32_e32 v5, v5
	v_ashrrev_i32_e32 v5, 31, v5
	v_and_b32_e32 v61, exec_lo, v61
	v_xor_b32_e32 v207, vcc_hi, v5
	v_xor_b32_e32 v5, vcc_lo, v5
	v_and_b32_e32 v61, v61, v5
	v_lshlrev_b32_e32 v5, 29, v60
	v_cmp_gt_i64_e32 vcc, 0, v[4:5]
	v_not_b32_e32 v5, v5
	v_ashrrev_i32_e32 v5, 31, v5
	v_and_b32_e32 v206, v206, v207
	v_xor_b32_e32 v207, vcc_hi, v5
	v_xor_b32_e32 v5, vcc_lo, v5
	v_and_b32_e32 v61, v61, v5
	v_lshlrev_b32_e32 v5, 28, v60
	v_cmp_gt_i64_e32 vcc, 0, v[4:5]
	v_not_b32_e32 v5, v5
	v_ashrrev_i32_e32 v5, 31, v5
	v_and_b32_e32 v206, v206, v207
	;; [unrolled: 8-line block ×5, first 2 shown]
	v_xor_b32_e32 v207, vcc_hi, v5
	v_xor_b32_e32 v5, vcc_lo, v5
	v_and_b32_e32 v206, v206, v207
	v_and_b32_e32 v207, v61, v5
	v_lshlrev_b32_e32 v5, 24, v60
	v_cmp_gt_i64_e32 vcc, 0, v[4:5]
	v_not_b32_e32 v5, v5
	v_ashrrev_i32_e32 v5, 31, v5
	v_xor_b32_e32 v60, vcc_hi, v5
	v_xor_b32_e32 v5, vcc_lo, v5
	v_and_b32_e32 v61, v206, v60
	v_and_b32_e32 v60, v207, v5
	v_mbcnt_lo_u32_b32 v5, v60, 0
	v_mbcnt_hi_u32_b32 v207, v61, v5
	v_cmp_eq_u32_e32 vcc, 0, v207
	v_cmp_ne_u64_e64 s[36:37], 0, v[60:61]
	s_and_b64 s[38:39], s[36:37], vcc
	; wave barrier
	s_and_saveexec_b64 s[36:37], s[38:39]
	s_cbranch_execz .LBB529_760
; %bb.759:                              ;   in Loop: Header=BB529_696 Depth=2
	v_bcnt_u32_b32 v5, v60, 0
	v_bcnt_u32_b32 v5, v61, v5
	s_waitcnt lgkmcnt(0)
	v_add_u32_e32 v5, v205, v5
	ds_write_b32 v158, v5
.LBB529_760:                            ;   in Loop: Header=BB529_696 Depth=2
	s_or_b64 exec, exec, s[36:37]
	s_waitcnt vmcnt(0)
	v_xor_b32_e32 v206, 0x7fffffff, v62
	v_lshrrev_b32_e32 v5, s85, v206
	v_and_b32_e32 v60, s94, v5
	v_mul_u32_u24_e32 v5, 5, v60
	v_add_lshl_u32 v5, v5, v150, 2
	; wave barrier
	v_add_u32_e32 v209, 0x410, v5
	ds_read_b32 v208, v5 offset:1040
	v_and_b32_e32 v5, 1, v60
	v_add_co_u32_e32 v61, vcc, -1, v5
	v_addc_co_u32_e64 v62, s[36:37], 0, -1, vcc
	v_cmp_ne_u32_e32 vcc, 0, v5
	v_xor_b32_e32 v5, vcc_hi, v62
	v_and_b32_e32 v62, exec_hi, v5
	v_lshlrev_b32_e32 v5, 30, v60
	v_xor_b32_e32 v61, vcc_lo, v61
	v_cmp_gt_i64_e32 vcc, 0, v[4:5]
	v_not_b32_e32 v5, v5
	v_ashrrev_i32_e32 v5, 31, v5
	v_and_b32_e32 v61, exec_lo, v61
	v_xor_b32_e32 v210, vcc_hi, v5
	v_xor_b32_e32 v5, vcc_lo, v5
	v_and_b32_e32 v61, v61, v5
	v_lshlrev_b32_e32 v5, 29, v60
	v_cmp_gt_i64_e32 vcc, 0, v[4:5]
	v_not_b32_e32 v5, v5
	v_ashrrev_i32_e32 v5, 31, v5
	v_and_b32_e32 v62, v62, v210
	v_xor_b32_e32 v210, vcc_hi, v5
	v_xor_b32_e32 v5, vcc_lo, v5
	v_and_b32_e32 v61, v61, v5
	v_lshlrev_b32_e32 v5, 28, v60
	v_cmp_gt_i64_e32 vcc, 0, v[4:5]
	v_not_b32_e32 v5, v5
	v_ashrrev_i32_e32 v5, 31, v5
	v_and_b32_e32 v62, v62, v210
	;; [unrolled: 8-line block ×5, first 2 shown]
	v_xor_b32_e32 v210, vcc_hi, v5
	v_xor_b32_e32 v5, vcc_lo, v5
	v_and_b32_e32 v62, v62, v210
	v_and_b32_e32 v210, v61, v5
	v_lshlrev_b32_e32 v5, 24, v60
	v_cmp_gt_i64_e32 vcc, 0, v[4:5]
	v_not_b32_e32 v5, v5
	v_ashrrev_i32_e32 v5, 31, v5
	v_xor_b32_e32 v60, vcc_hi, v5
	v_xor_b32_e32 v5, vcc_lo, v5
	v_and_b32_e32 v61, v62, v60
	v_and_b32_e32 v60, v210, v5
	v_mbcnt_lo_u32_b32 v5, v60, 0
	v_mbcnt_hi_u32_b32 v211, v61, v5
	v_cmp_eq_u32_e32 vcc, 0, v211
	v_cmp_ne_u64_e64 s[36:37], 0, v[60:61]
	s_and_b64 s[38:39], s[36:37], vcc
	; wave barrier
	s_and_saveexec_b64 s[36:37], s[38:39]
	s_cbranch_execz .LBB529_762
; %bb.761:                              ;   in Loop: Header=BB529_696 Depth=2
	v_bcnt_u32_b32 v5, v60, 0
	v_bcnt_u32_b32 v5, v61, v5
	s_waitcnt lgkmcnt(0)
	v_add_u32_e32 v5, v208, v5
	ds_write_b32 v209, v5
.LBB529_762:                            ;   in Loop: Header=BB529_696 Depth=2
	s_or_b64 exec, exec, s[36:37]
	v_xor_b32_e32 v210, 0x7fffffff, v63
	v_lshrrev_b32_e32 v5, s85, v210
	v_and_b32_e32 v60, s94, v5
	v_mul_u32_u24_e32 v5, 5, v60
	v_add_lshl_u32 v5, v5, v150, 2
	; wave barrier
	v_add_u32_e32 v213, 0x410, v5
	ds_read_b32 v212, v5 offset:1040
	v_and_b32_e32 v5, 1, v60
	v_add_co_u32_e32 v61, vcc, -1, v5
	v_addc_co_u32_e64 v62, s[36:37], 0, -1, vcc
	v_cmp_ne_u32_e32 vcc, 0, v5
	v_xor_b32_e32 v5, vcc_hi, v62
	v_and_b32_e32 v62, exec_hi, v5
	v_lshlrev_b32_e32 v5, 30, v60
	v_xor_b32_e32 v61, vcc_lo, v61
	v_cmp_gt_i64_e32 vcc, 0, v[4:5]
	v_not_b32_e32 v5, v5
	v_ashrrev_i32_e32 v5, 31, v5
	v_and_b32_e32 v61, exec_lo, v61
	v_xor_b32_e32 v63, vcc_hi, v5
	v_xor_b32_e32 v5, vcc_lo, v5
	v_and_b32_e32 v61, v61, v5
	v_lshlrev_b32_e32 v5, 29, v60
	v_cmp_gt_i64_e32 vcc, 0, v[4:5]
	v_not_b32_e32 v5, v5
	v_ashrrev_i32_e32 v5, 31, v5
	v_and_b32_e32 v62, v62, v63
	v_xor_b32_e32 v63, vcc_hi, v5
	v_xor_b32_e32 v5, vcc_lo, v5
	v_and_b32_e32 v61, v61, v5
	v_lshlrev_b32_e32 v5, 28, v60
	v_cmp_gt_i64_e32 vcc, 0, v[4:5]
	v_not_b32_e32 v5, v5
	v_ashrrev_i32_e32 v5, 31, v5
	v_and_b32_e32 v62, v62, v63
	;; [unrolled: 8-line block ×5, first 2 shown]
	v_xor_b32_e32 v63, vcc_hi, v5
	v_xor_b32_e32 v5, vcc_lo, v5
	v_and_b32_e32 v62, v62, v63
	v_and_b32_e32 v63, v61, v5
	v_lshlrev_b32_e32 v5, 24, v60
	v_cmp_gt_i64_e32 vcc, 0, v[4:5]
	v_not_b32_e32 v5, v5
	v_ashrrev_i32_e32 v5, 31, v5
	v_xor_b32_e32 v60, vcc_hi, v5
	v_xor_b32_e32 v5, vcc_lo, v5
	v_and_b32_e32 v61, v62, v60
	v_and_b32_e32 v60, v63, v5
	v_mbcnt_lo_u32_b32 v5, v60, 0
	v_mbcnt_hi_u32_b32 v214, v61, v5
	v_cmp_eq_u32_e32 vcc, 0, v214
	v_cmp_ne_u64_e64 s[36:37], 0, v[60:61]
	s_and_b64 s[38:39], s[36:37], vcc
	; wave barrier
	s_and_saveexec_b64 s[36:37], s[38:39]
	s_cbranch_execz .LBB529_764
; %bb.763:                              ;   in Loop: Header=BB529_696 Depth=2
	v_bcnt_u32_b32 v5, v60, 0
	v_bcnt_u32_b32 v5, v61, v5
	s_waitcnt lgkmcnt(0)
	v_add_u32_e32 v5, v212, v5
	ds_write_b32 v213, v5
.LBB529_764:                            ;   in Loop: Header=BB529_696 Depth=2
	s_or_b64 exec, exec, s[36:37]
	; wave barrier
	s_waitcnt lgkmcnt(0)
	s_barrier
	ds_read_b32 v5, v64 offset:1040
	ds_read2_b32 v[62:63], v66 offset0:1 offset1:2
	ds_read2_b32 v[60:61], v66 offset0:3 offset1:4
	s_waitcnt lgkmcnt(1)
	v_add3_u32 v215, v62, v5, v63
	s_waitcnt lgkmcnt(0)
	v_add3_u32 v61, v215, v60, v61
	s_nop 1
	v_mov_b32_dpp v215, v61 row_shr:1 row_mask:0xf bank_mask:0xf
	v_cndmask_b32_e64 v215, v215, 0, s[16:17]
	v_add_u32_e32 v61, v215, v61
	s_nop 1
	v_mov_b32_dpp v215, v61 row_shr:2 row_mask:0xf bank_mask:0xf
	v_cndmask_b32_e64 v215, 0, v215, s[18:19]
	v_add_u32_e32 v61, v61, v215
	;; [unrolled: 4-line block ×4, first 2 shown]
	s_nop 1
	v_mov_b32_dpp v215, v61 row_bcast:15 row_mask:0xf bank_mask:0xf
	v_cndmask_b32_e64 v215, v215, 0, s[24:25]
	v_add_u32_e32 v61, v61, v215
	s_nop 1
	v_mov_b32_dpp v215, v61 row_bcast:31 row_mask:0xf bank_mask:0xf
	v_cndmask_b32_e64 v215, 0, v215, s[26:27]
	v_add_u32_e32 v61, v61, v215
	s_and_saveexec_b64 s[36:37], s[6:7]
	s_cbranch_execz .LBB529_766
; %bb.765:                              ;   in Loop: Header=BB529_696 Depth=2
	ds_write_b32 v19, v61 offset:1024
.LBB529_766:                            ;   in Loop: Header=BB529_696 Depth=2
	s_or_b64 exec, exec, s[36:37]
	s_waitcnt lgkmcnt(0)
	s_barrier
	s_and_saveexec_b64 s[36:37], s[8:9]
	s_cbranch_execz .LBB529_768
; %bb.767:                              ;   in Loop: Header=BB529_696 Depth=2
	v_add_u32_e32 v215, v64, v67
	ds_read_b32 v216, v215 offset:1024
	s_waitcnt lgkmcnt(0)
	s_nop 0
	v_mov_b32_dpp v217, v216 row_shr:1 row_mask:0xf bank_mask:0xf
	v_cndmask_b32_e64 v217, v217, 0, s[30:31]
	v_add_u32_e32 v216, v217, v216
	s_nop 1
	v_mov_b32_dpp v217, v216 row_shr:2 row_mask:0xf bank_mask:0xf
	v_cndmask_b32_e64 v217, 0, v217, s[34:35]
	v_add_u32_e32 v216, v216, v217
	ds_write_b32 v215, v216 offset:1024
.LBB529_768:                            ;   in Loop: Header=BB529_696 Depth=2
	s_or_b64 exec, exec, s[36:37]
	v_mov_b32_e32 v215, 0
	s_waitcnt lgkmcnt(0)
	s_barrier
	s_and_saveexec_b64 s[36:37], s[10:11]
	s_cbranch_execz .LBB529_770
; %bb.769:                              ;   in Loop: Header=BB529_696 Depth=2
	ds_read_b32 v215, v19 offset:1020
.LBB529_770:                            ;   in Loop: Header=BB529_696 Depth=2
	s_or_b64 exec, exec, s[36:37]
	s_waitcnt lgkmcnt(0)
	v_add_u32_e32 v61, v215, v61
	ds_bpermute_b32 v61, v127, v61
	s_waitcnt lgkmcnt(0)
	v_cndmask_b32_e64 v61, v61, v215, s[28:29]
	v_cndmask_b32_e64 v61, v61, 0, s[12:13]
	v_add_u32_e32 v5, v61, v5
	ds_write_b32 v64, v61 offset:1040
	v_add_u32_e32 v61, v5, v62
	v_add_u32_e32 v62, v61, v63
	ds_write2_b32 v66, v5, v61 offset0:1 offset1:2
	v_add_u32_e32 v5, v62, v60
	ds_write2_b32 v66, v62, v5 offset0:3 offset1:4
	s_waitcnt lgkmcnt(0)
	s_barrier
	ds_read_b32 v60, v157
	ds_read_b32 v61, v162
	;; [unrolled: 1-line block ×16, first 2 shown]
	ds_read_b32 v158, v64 offset:1040
	v_mov_b32_e32 v5, 0x1000
	s_and_saveexec_b64 s[36:37], s[14:15]
	s_cbranch_execz .LBB529_772
; %bb.771:                              ;   in Loop: Header=BB529_696 Depth=2
	ds_read_b32 v5, v64 offset:1060
.LBB529_772:                            ;   in Loop: Header=BB529_696 Depth=2
	s_or_b64 exec, exec, s[36:37]
	s_waitcnt lgkmcnt(0)
	s_barrier
	s_and_saveexec_b64 s[36:37], s[4:5]
	s_cbranch_execz .LBB529_774
; %bb.773:                              ;   in Loop: Header=BB529_696 Depth=2
	ds_read_b32 v163, v3
	s_waitcnt lgkmcnt(0)
	v_sub_u32_e32 v158, v163, v158
	ds_write_b32 v3, v158
.LBB529_774:                            ;   in Loop: Header=BB529_696 Depth=2
	s_or_b64 exec, exec, s[36:37]
	v_add_u32_e32 v172, v153, v155
	v_add3_u32 v168, v160, v156, v60
	v_lshlrev_b32_e32 v60, 2, v172
	v_add3_u32 v167, v165, v161, v61
	ds_write_b32 v60, v152 offset:1024
	v_lshlrev_b32_e32 v60, 2, v168
	v_add3_u32 v166, v170, v166, v62
	ds_write_b32 v60, v154 offset:1024
	;; [unrolled: 3-line block ×14, first 2 shown]
	v_lshlrev_b32_e32 v60, 2, v63
	ds_write_b32 v60, v206 offset:1024
	v_lshlrev_b32_e32 v60, 2, v62
	v_cmp_lt_u32_e64 s[36:37], v2, v151
	ds_write_b32 v60, v210 offset:1024
	s_waitcnt lgkmcnt(0)
	s_barrier
	s_and_saveexec_b64 s[38:39], s[36:37]
	s_cbranch_execz .LBB529_790
; %bb.775:                              ;   in Loop: Header=BB529_696 Depth=2
	v_add_u32_e32 v60, v64, v67
	ds_read_b32 v60, v60 offset:1024
	v_mov_b32_e32 v154, s75
	s_waitcnt lgkmcnt(0)
	v_lshrrev_b32_e32 v61, s85, v60
	v_and_b32_e32 v61, s94, v61
	v_lshlrev_b32_e32 v61, 2, v61
	ds_read_b32 v152, v61
	v_mov_b32_e32 v61, v4
	v_xor_b32_e32 v159, 0x7fffffff, v60
	s_waitcnt lgkmcnt(0)
	v_add_u32_e32 v60, v152, v2
	v_lshlrev_b64 v[60:61], 2, v[60:61]
	v_add_co_u32_e32 v60, vcc, s74, v60
	v_addc_co_u32_e32 v61, vcc, v154, v61, vcc
	global_store_dword v[60:61], v159, off
	s_or_b64 exec, exec, s[38:39]
	v_cmp_lt_u32_e64 s[38:39], v7, v151
	s_and_saveexec_b64 s[40:41], s[38:39]
	s_cbranch_execnz .LBB529_791
.LBB529_776:                            ;   in Loop: Header=BB529_696 Depth=2
	s_or_b64 exec, exec, s[40:41]
	v_cmp_lt_u32_e64 s[40:41], v9, v151
	s_and_saveexec_b64 s[42:43], s[40:41]
	s_cbranch_execz .LBB529_792
.LBB529_777:                            ;   in Loop: Header=BB529_696 Depth=2
	ds_read_b32 v60, v72 offset:2048
	v_mov_b32_e32 v154, s75
	s_waitcnt lgkmcnt(0)
	v_lshrrev_b32_e32 v61, s85, v60
	v_and_b32_e32 v61, s94, v61
	v_lshlrev_b32_e32 v61, 2, v61
	ds_read_b32 v152, v61
	v_mov_b32_e32 v61, v4
	v_xor_b32_e32 v159, 0x7fffffff, v60
	s_waitcnt lgkmcnt(0)
	v_add_u32_e32 v60, v152, v9
	v_lshlrev_b64 v[60:61], 2, v[60:61]
	v_add_co_u32_e32 v60, vcc, s74, v60
	v_addc_co_u32_e32 v61, vcc, v154, v61, vcc
	global_store_dword v[60:61], v159, off
	s_or_b64 exec, exec, s[42:43]
	v_cmp_lt_u32_e64 s[42:43], v11, v151
	s_and_saveexec_b64 s[44:45], s[42:43]
	s_cbranch_execnz .LBB529_793
.LBB529_778:                            ;   in Loop: Header=BB529_696 Depth=2
	s_or_b64 exec, exec, s[44:45]
	v_cmp_lt_u32_e64 s[44:45], v6, v151
	s_and_saveexec_b64 s[46:47], s[44:45]
	s_cbranch_execz .LBB529_794
.LBB529_779:                            ;   in Loop: Header=BB529_696 Depth=2
	ds_read_b32 v60, v72 offset:4096
	v_mov_b32_e32 v154, s75
	s_waitcnt lgkmcnt(0)
	v_lshrrev_b32_e32 v61, s85, v60
	v_and_b32_e32 v61, s94, v61
	v_lshlrev_b32_e32 v61, 2, v61
	ds_read_b32 v152, v61
	v_mov_b32_e32 v61, v4
	v_xor_b32_e32 v159, 0x7fffffff, v60
	s_waitcnt lgkmcnt(0)
	v_add_u32_e32 v60, v152, v6
	v_lshlrev_b64 v[60:61], 2, v[60:61]
	v_add_co_u32_e32 v60, vcc, s74, v60
	v_addc_co_u32_e32 v61, vcc, v154, v61, vcc
	global_store_dword v[60:61], v159, off
	s_or_b64 exec, exec, s[46:47]
	v_cmp_lt_u32_e64 s[46:47], v8, v151
	s_and_saveexec_b64 s[48:49], s[46:47]
	s_cbranch_execnz .LBB529_795
.LBB529_780:                            ;   in Loop: Header=BB529_696 Depth=2
	s_or_b64 exec, exec, s[48:49]
	v_cmp_lt_u32_e64 s[48:49], v10, v151
	s_and_saveexec_b64 s[50:51], s[48:49]
	s_cbranch_execz .LBB529_796
.LBB529_781:                            ;   in Loop: Header=BB529_696 Depth=2
	ds_read_b32 v60, v72 offset:6144
	v_mov_b32_e32 v154, s75
	s_waitcnt lgkmcnt(0)
	v_lshrrev_b32_e32 v61, s85, v60
	v_and_b32_e32 v61, s94, v61
	v_lshlrev_b32_e32 v61, 2, v61
	ds_read_b32 v152, v61
	v_mov_b32_e32 v61, v4
	v_xor_b32_e32 v159, 0x7fffffff, v60
	s_waitcnt lgkmcnt(0)
	v_add_u32_e32 v60, v152, v10
	v_lshlrev_b64 v[60:61], 2, v[60:61]
	v_add_co_u32_e32 v60, vcc, s74, v60
	v_addc_co_u32_e32 v61, vcc, v154, v61, vcc
	global_store_dword v[60:61], v159, off
	s_or_b64 exec, exec, s[50:51]
	v_cmp_lt_u32_e64 s[50:51], v12, v151
	s_and_saveexec_b64 s[52:53], s[50:51]
	s_cbranch_execnz .LBB529_797
.LBB529_782:                            ;   in Loop: Header=BB529_696 Depth=2
	s_or_b64 exec, exec, s[52:53]
	v_cmp_lt_u32_e64 s[52:53], v14, v151
	s_and_saveexec_b64 s[54:55], s[52:53]
	s_cbranch_execz .LBB529_798
.LBB529_783:                            ;   in Loop: Header=BB529_696 Depth=2
	ds_read_b32 v60, v72 offset:8192
	v_mov_b32_e32 v154, s75
	s_waitcnt lgkmcnt(0)
	v_lshrrev_b32_e32 v61, s85, v60
	v_and_b32_e32 v61, s94, v61
	v_lshlrev_b32_e32 v61, 2, v61
	ds_read_b32 v152, v61
	v_mov_b32_e32 v61, v4
	v_xor_b32_e32 v159, 0x7fffffff, v60
	s_waitcnt lgkmcnt(0)
	v_add_u32_e32 v60, v152, v14
	v_lshlrev_b64 v[60:61], 2, v[60:61]
	v_add_co_u32_e32 v60, vcc, s74, v60
	v_addc_co_u32_e32 v61, vcc, v154, v61, vcc
	global_store_dword v[60:61], v159, off
	s_or_b64 exec, exec, s[54:55]
	v_cmp_lt_u32_e64 s[54:55], v16, v151
	s_and_saveexec_b64 s[56:57], s[54:55]
	s_cbranch_execnz .LBB529_799
.LBB529_784:                            ;   in Loop: Header=BB529_696 Depth=2
	s_or_b64 exec, exec, s[56:57]
	v_cmp_lt_u32_e64 s[56:57], v18, v151
	s_and_saveexec_b64 s[58:59], s[56:57]
	s_cbranch_execz .LBB529_800
.LBB529_785:                            ;   in Loop: Header=BB529_696 Depth=2
	ds_read_b32 v60, v72 offset:10240
	v_mov_b32_e32 v154, s75
	s_waitcnt lgkmcnt(0)
	v_lshrrev_b32_e32 v61, s85, v60
	v_and_b32_e32 v61, s94, v61
	v_lshlrev_b32_e32 v61, 2, v61
	ds_read_b32 v152, v61
	v_mov_b32_e32 v61, v4
	v_xor_b32_e32 v159, 0x7fffffff, v60
	s_waitcnt lgkmcnt(0)
	v_add_u32_e32 v60, v152, v18
	v_lshlrev_b64 v[60:61], 2, v[60:61]
	v_add_co_u32_e32 v60, vcc, s74, v60
	v_addc_co_u32_e32 v61, vcc, v154, v61, vcc
	global_store_dword v[60:61], v159, off
	s_or_b64 exec, exec, s[58:59]
	v_cmp_lt_u32_e64 s[58:59], v20, v151
	s_and_saveexec_b64 s[60:61], s[58:59]
	s_cbranch_execnz .LBB529_801
.LBB529_786:                            ;   in Loop: Header=BB529_696 Depth=2
	s_or_b64 exec, exec, s[60:61]
	v_cmp_lt_u32_e64 s[60:61], v22, v151
	s_and_saveexec_b64 s[62:63], s[60:61]
	s_cbranch_execz .LBB529_802
.LBB529_787:                            ;   in Loop: Header=BB529_696 Depth=2
	ds_read_b32 v60, v72 offset:12288
	v_mov_b32_e32 v154, s75
	s_waitcnt lgkmcnt(0)
	v_lshrrev_b32_e32 v61, s85, v60
	v_and_b32_e32 v61, s94, v61
	v_lshlrev_b32_e32 v61, 2, v61
	ds_read_b32 v152, v61
	v_mov_b32_e32 v61, v4
	v_xor_b32_e32 v159, 0x7fffffff, v60
	s_waitcnt lgkmcnt(0)
	v_add_u32_e32 v60, v152, v22
	v_lshlrev_b64 v[60:61], 2, v[60:61]
	v_add_co_u32_e32 v60, vcc, s74, v60
	v_addc_co_u32_e32 v61, vcc, v154, v61, vcc
	global_store_dword v[60:61], v159, off
	s_or_b64 exec, exec, s[62:63]
	v_cmp_lt_u32_e64 s[62:63], v24, v151
	s_and_saveexec_b64 s[64:65], s[62:63]
	s_cbranch_execnz .LBB529_803
.LBB529_788:                            ;   in Loop: Header=BB529_696 Depth=2
	s_or_b64 exec, exec, s[64:65]
	v_cmp_lt_u32_e64 s[64:65], v26, v151
	s_and_saveexec_b64 s[66:67], s[64:65]
	s_cbranch_execz .LBB529_804
.LBB529_789:                            ;   in Loop: Header=BB529_696 Depth=2
	ds_read_b32 v60, v72 offset:14336
	v_mov_b32_e32 v154, s75
	s_waitcnt lgkmcnt(0)
	v_lshrrev_b32_e32 v61, s85, v60
	v_and_b32_e32 v61, s94, v61
	v_lshlrev_b32_e32 v61, 2, v61
	ds_read_b32 v152, v61
	v_mov_b32_e32 v61, v4
	v_xor_b32_e32 v159, 0x7fffffff, v60
	s_waitcnt lgkmcnt(0)
	v_add_u32_e32 v60, v152, v26
	v_lshlrev_b64 v[60:61], 2, v[60:61]
	v_add_co_u32_e32 v60, vcc, s74, v60
	v_addc_co_u32_e32 v61, vcc, v154, v61, vcc
	global_store_dword v[60:61], v159, off
	s_or_b64 exec, exec, s[66:67]
	v_cmp_lt_u32_e64 s[66:67], v28, v151
	s_and_saveexec_b64 s[78:79], s[66:67]
	s_cbranch_execnz .LBB529_805
	s_branch .LBB529_806
.LBB529_790:                            ;   in Loop: Header=BB529_696 Depth=2
	s_or_b64 exec, exec, s[38:39]
	v_cmp_lt_u32_e64 s[38:39], v7, v151
	s_and_saveexec_b64 s[40:41], s[38:39]
	s_cbranch_execz .LBB529_776
.LBB529_791:                            ;   in Loop: Header=BB529_696 Depth=2
	ds_read_b32 v60, v72 offset:1024
	v_mov_b32_e32 v154, s75
	s_waitcnt lgkmcnt(0)
	v_lshrrev_b32_e32 v61, s85, v60
	v_and_b32_e32 v61, s94, v61
	v_lshlrev_b32_e32 v61, 2, v61
	ds_read_b32 v152, v61
	v_mov_b32_e32 v61, v4
	v_xor_b32_e32 v159, 0x7fffffff, v60
	s_waitcnt lgkmcnt(0)
	v_add_u32_e32 v60, v152, v7
	v_lshlrev_b64 v[60:61], 2, v[60:61]
	v_add_co_u32_e32 v60, vcc, s74, v60
	v_addc_co_u32_e32 v61, vcc, v154, v61, vcc
	global_store_dword v[60:61], v159, off
	s_or_b64 exec, exec, s[40:41]
	v_cmp_lt_u32_e64 s[40:41], v9, v151
	s_and_saveexec_b64 s[42:43], s[40:41]
	s_cbranch_execnz .LBB529_777
.LBB529_792:                            ;   in Loop: Header=BB529_696 Depth=2
	s_or_b64 exec, exec, s[42:43]
	v_cmp_lt_u32_e64 s[42:43], v11, v151
	s_and_saveexec_b64 s[44:45], s[42:43]
	s_cbranch_execz .LBB529_778
.LBB529_793:                            ;   in Loop: Header=BB529_696 Depth=2
	ds_read_b32 v60, v72 offset:3072
	v_mov_b32_e32 v154, s75
	s_waitcnt lgkmcnt(0)
	v_lshrrev_b32_e32 v61, s85, v60
	v_and_b32_e32 v61, s94, v61
	v_lshlrev_b32_e32 v61, 2, v61
	ds_read_b32 v152, v61
	v_mov_b32_e32 v61, v4
	v_xor_b32_e32 v159, 0x7fffffff, v60
	s_waitcnt lgkmcnt(0)
	v_add_u32_e32 v60, v152, v11
	v_lshlrev_b64 v[60:61], 2, v[60:61]
	v_add_co_u32_e32 v60, vcc, s74, v60
	v_addc_co_u32_e32 v61, vcc, v154, v61, vcc
	global_store_dword v[60:61], v159, off
	s_or_b64 exec, exec, s[44:45]
	v_cmp_lt_u32_e64 s[44:45], v6, v151
	s_and_saveexec_b64 s[46:47], s[44:45]
	s_cbranch_execnz .LBB529_779
.LBB529_794:                            ;   in Loop: Header=BB529_696 Depth=2
	s_or_b64 exec, exec, s[46:47]
	v_cmp_lt_u32_e64 s[46:47], v8, v151
	s_and_saveexec_b64 s[48:49], s[46:47]
	s_cbranch_execz .LBB529_780
.LBB529_795:                            ;   in Loop: Header=BB529_696 Depth=2
	ds_read_b32 v60, v72 offset:5120
	v_mov_b32_e32 v154, s75
	s_waitcnt lgkmcnt(0)
	v_lshrrev_b32_e32 v61, s85, v60
	v_and_b32_e32 v61, s94, v61
	v_lshlrev_b32_e32 v61, 2, v61
	ds_read_b32 v152, v61
	v_mov_b32_e32 v61, v4
	v_xor_b32_e32 v159, 0x7fffffff, v60
	s_waitcnt lgkmcnt(0)
	v_add_u32_e32 v60, v152, v8
	v_lshlrev_b64 v[60:61], 2, v[60:61]
	v_add_co_u32_e32 v60, vcc, s74, v60
	v_addc_co_u32_e32 v61, vcc, v154, v61, vcc
	global_store_dword v[60:61], v159, off
	s_or_b64 exec, exec, s[48:49]
	v_cmp_lt_u32_e64 s[48:49], v10, v151
	s_and_saveexec_b64 s[50:51], s[48:49]
	s_cbranch_execnz .LBB529_781
.LBB529_796:                            ;   in Loop: Header=BB529_696 Depth=2
	s_or_b64 exec, exec, s[50:51]
	v_cmp_lt_u32_e64 s[50:51], v12, v151
	s_and_saveexec_b64 s[52:53], s[50:51]
	s_cbranch_execz .LBB529_782
.LBB529_797:                            ;   in Loop: Header=BB529_696 Depth=2
	ds_read_b32 v60, v72 offset:7168
	v_mov_b32_e32 v154, s75
	s_waitcnt lgkmcnt(0)
	v_lshrrev_b32_e32 v61, s85, v60
	v_and_b32_e32 v61, s94, v61
	v_lshlrev_b32_e32 v61, 2, v61
	ds_read_b32 v152, v61
	v_mov_b32_e32 v61, v4
	v_xor_b32_e32 v159, 0x7fffffff, v60
	s_waitcnt lgkmcnt(0)
	v_add_u32_e32 v60, v152, v12
	v_lshlrev_b64 v[60:61], 2, v[60:61]
	v_add_co_u32_e32 v60, vcc, s74, v60
	v_addc_co_u32_e32 v61, vcc, v154, v61, vcc
	global_store_dword v[60:61], v159, off
	s_or_b64 exec, exec, s[52:53]
	v_cmp_lt_u32_e64 s[52:53], v14, v151
	s_and_saveexec_b64 s[54:55], s[52:53]
	s_cbranch_execnz .LBB529_783
.LBB529_798:                            ;   in Loop: Header=BB529_696 Depth=2
	s_or_b64 exec, exec, s[54:55]
	v_cmp_lt_u32_e64 s[54:55], v16, v151
	s_and_saveexec_b64 s[56:57], s[54:55]
	s_cbranch_execz .LBB529_784
.LBB529_799:                            ;   in Loop: Header=BB529_696 Depth=2
	ds_read_b32 v60, v72 offset:9216
	v_mov_b32_e32 v154, s75
	s_waitcnt lgkmcnt(0)
	v_lshrrev_b32_e32 v61, s85, v60
	v_and_b32_e32 v61, s94, v61
	v_lshlrev_b32_e32 v61, 2, v61
	ds_read_b32 v152, v61
	v_mov_b32_e32 v61, v4
	v_xor_b32_e32 v159, 0x7fffffff, v60
	s_waitcnt lgkmcnt(0)
	v_add_u32_e32 v60, v152, v16
	v_lshlrev_b64 v[60:61], 2, v[60:61]
	v_add_co_u32_e32 v60, vcc, s74, v60
	v_addc_co_u32_e32 v61, vcc, v154, v61, vcc
	global_store_dword v[60:61], v159, off
	s_or_b64 exec, exec, s[56:57]
	v_cmp_lt_u32_e64 s[56:57], v18, v151
	s_and_saveexec_b64 s[58:59], s[56:57]
	s_cbranch_execnz .LBB529_785
.LBB529_800:                            ;   in Loop: Header=BB529_696 Depth=2
	s_or_b64 exec, exec, s[58:59]
	v_cmp_lt_u32_e64 s[58:59], v20, v151
	s_and_saveexec_b64 s[60:61], s[58:59]
	s_cbranch_execz .LBB529_786
.LBB529_801:                            ;   in Loop: Header=BB529_696 Depth=2
	ds_read_b32 v60, v72 offset:11264
	v_mov_b32_e32 v154, s75
	s_waitcnt lgkmcnt(0)
	v_lshrrev_b32_e32 v61, s85, v60
	v_and_b32_e32 v61, s94, v61
	v_lshlrev_b32_e32 v61, 2, v61
	ds_read_b32 v152, v61
	v_mov_b32_e32 v61, v4
	v_xor_b32_e32 v159, 0x7fffffff, v60
	s_waitcnt lgkmcnt(0)
	v_add_u32_e32 v60, v152, v20
	v_lshlrev_b64 v[60:61], 2, v[60:61]
	v_add_co_u32_e32 v60, vcc, s74, v60
	v_addc_co_u32_e32 v61, vcc, v154, v61, vcc
	global_store_dword v[60:61], v159, off
	s_or_b64 exec, exec, s[60:61]
	v_cmp_lt_u32_e64 s[60:61], v22, v151
	s_and_saveexec_b64 s[62:63], s[60:61]
	s_cbranch_execnz .LBB529_787
.LBB529_802:                            ;   in Loop: Header=BB529_696 Depth=2
	s_or_b64 exec, exec, s[62:63]
	v_cmp_lt_u32_e64 s[62:63], v24, v151
	s_and_saveexec_b64 s[64:65], s[62:63]
	s_cbranch_execz .LBB529_788
.LBB529_803:                            ;   in Loop: Header=BB529_696 Depth=2
	ds_read_b32 v60, v72 offset:13312
	v_mov_b32_e32 v154, s75
	s_waitcnt lgkmcnt(0)
	v_lshrrev_b32_e32 v61, s85, v60
	v_and_b32_e32 v61, s94, v61
	v_lshlrev_b32_e32 v61, 2, v61
	ds_read_b32 v152, v61
	v_mov_b32_e32 v61, v4
	v_xor_b32_e32 v159, 0x7fffffff, v60
	s_waitcnt lgkmcnt(0)
	v_add_u32_e32 v60, v152, v24
	v_lshlrev_b64 v[60:61], 2, v[60:61]
	v_add_co_u32_e32 v60, vcc, s74, v60
	v_addc_co_u32_e32 v61, vcc, v154, v61, vcc
	global_store_dword v[60:61], v159, off
	s_or_b64 exec, exec, s[64:65]
	v_cmp_lt_u32_e64 s[64:65], v26, v151
	s_and_saveexec_b64 s[66:67], s[64:65]
	s_cbranch_execnz .LBB529_789
.LBB529_804:                            ;   in Loop: Header=BB529_696 Depth=2
	s_or_b64 exec, exec, s[66:67]
	v_cmp_lt_u32_e64 s[66:67], v28, v151
	s_and_saveexec_b64 s[78:79], s[66:67]
	s_cbranch_execz .LBB529_806
.LBB529_805:                            ;   in Loop: Header=BB529_696 Depth=2
	ds_read_b32 v60, v72 offset:15360
	v_mov_b32_e32 v154, s75
	s_waitcnt lgkmcnt(0)
	v_lshrrev_b32_e32 v61, s85, v60
	v_and_b32_e32 v61, s94, v61
	v_lshlrev_b32_e32 v61, 2, v61
	ds_read_b32 v152, v61
	v_mov_b32_e32 v61, v4
	v_xor_b32_e32 v159, 0x7fffffff, v60
	s_waitcnt lgkmcnt(0)
	v_add_u32_e32 v60, v152, v28
	v_lshlrev_b64 v[60:61], 2, v[60:61]
	v_add_co_u32_e32 v60, vcc, s74, v60
	v_addc_co_u32_e32 v61, vcc, v154, v61, vcc
	global_store_dword v[60:61], v159, off
.LBB529_806:                            ;   in Loop: Header=BB529_696 Depth=2
	s_or_b64 exec, exec, s[78:79]
	s_lshl_b64 s[78:79], s[88:89], 3
	v_mov_b32_e32 v61, s79
	v_add_co_u32_e32 v60, vcc, s78, v128
	v_addc_co_u32_e32 v61, vcc, v129, v61, vcc
	v_cmp_lt_u32_e32 vcc, v109, v151
	s_and_saveexec_b64 s[78:79], vcc
	s_xor_b64 s[78:79], exec, s[78:79]
	s_cbranch_execz .LBB529_838
; %bb.807:                              ;   in Loop: Header=BB529_696 Depth=2
	global_load_dwordx2 v[58:59], v[60:61], off
	s_or_b64 exec, exec, s[78:79]
	v_cmp_lt_u32_e32 vcc, v110, v151
	s_and_saveexec_b64 s[78:79], vcc
	s_cbranch_execnz .LBB529_839
.LBB529_808:                            ;   in Loop: Header=BB529_696 Depth=2
	s_or_b64 exec, exec, s[78:79]
	v_cmp_lt_u32_e32 vcc, v111, v151
	s_and_saveexec_b64 s[78:79], vcc
	s_cbranch_execz .LBB529_840
.LBB529_809:                            ;   in Loop: Header=BB529_696 Depth=2
	global_load_dwordx2 v[54:55], v[60:61], off offset:1024
	s_or_b64 exec, exec, s[78:79]
	v_cmp_lt_u32_e32 vcc, v112, v151
	s_and_saveexec_b64 s[78:79], vcc
	s_cbranch_execnz .LBB529_841
.LBB529_810:                            ;   in Loop: Header=BB529_696 Depth=2
	s_or_b64 exec, exec, s[78:79]
	v_cmp_lt_u32_e32 vcc, v113, v151
	s_and_saveexec_b64 s[78:79], vcc
	s_cbranch_execz .LBB529_842
.LBB529_811:                            ;   in Loop: Header=BB529_696 Depth=2
	global_load_dwordx2 v[46:47], v[60:61], off offset:2048
	s_or_b64 exec, exec, s[78:79]
	v_cmp_lt_u32_e32 vcc, v114, v151
	s_and_saveexec_b64 s[78:79], vcc
	s_cbranch_execnz .LBB529_843
.LBB529_812:                            ;   in Loop: Header=BB529_696 Depth=2
	s_or_b64 exec, exec, s[78:79]
	v_cmp_lt_u32_e32 vcc, v115, v151
	s_and_saveexec_b64 s[78:79], vcc
	s_cbranch_execz .LBB529_844
.LBB529_813:                            ;   in Loop: Header=BB529_696 Depth=2
	global_load_dwordx2 v[38:39], v[60:61], off offset:3072
	s_or_b64 exec, exec, s[78:79]
	v_cmp_lt_u32_e32 vcc, v116, v151
	s_and_saveexec_b64 s[78:79], vcc
	s_cbranch_execnz .LBB529_845
.LBB529_814:                            ;   in Loop: Header=BB529_696 Depth=2
	s_or_b64 exec, exec, s[78:79]
	v_cmp_lt_u32_e32 vcc, v117, v151
	s_and_saveexec_b64 s[78:79], vcc
	s_cbranch_execz .LBB529_846
.LBB529_815:                            ;   in Loop: Header=BB529_696 Depth=2
	v_add_co_u32_e32 v52, vcc, 0x1000, v60
	v_addc_co_u32_e32 v53, vcc, 0, v61, vcc
	global_load_dwordx2 v[52:53], v[52:53], off
	s_or_b64 exec, exec, s[78:79]
	v_cmp_lt_u32_e32 vcc, v118, v151
	s_and_saveexec_b64 s[78:79], vcc
	s_cbranch_execnz .LBB529_847
.LBB529_816:                            ;   in Loop: Header=BB529_696 Depth=2
	s_or_b64 exec, exec, s[78:79]
	v_cmp_lt_u32_e32 vcc, v119, v151
	s_and_saveexec_b64 s[78:79], vcc
	s_cbranch_execz .LBB529_848
.LBB529_817:                            ;   in Loop: Header=BB529_696 Depth=2
	v_add_co_u32_e32 v44, vcc, 0x1000, v60
	v_addc_co_u32_e32 v45, vcc, 0, v61, vcc
	global_load_dwordx2 v[44:45], v[44:45], off offset:1024
	s_or_b64 exec, exec, s[78:79]
	v_cmp_lt_u32_e32 vcc, v120, v151
	s_and_saveexec_b64 s[78:79], vcc
	s_cbranch_execnz .LBB529_849
.LBB529_818:                            ;   in Loop: Header=BB529_696 Depth=2
	s_or_b64 exec, exec, s[78:79]
	v_cmp_lt_u32_e32 vcc, v121, v151
	s_and_saveexec_b64 s[78:79], vcc
	s_cbranch_execz .LBB529_850
.LBB529_819:                            ;   in Loop: Header=BB529_696 Depth=2
	v_add_co_u32_e32 v36, vcc, 0x1000, v60
	v_addc_co_u32_e32 v37, vcc, 0, v61, vcc
	global_load_dwordx2 v[36:37], v[36:37], off offset:2048
	s_or_b64 exec, exec, s[78:79]
	v_cmp_lt_u32_e32 vcc, v122, v151
	s_and_saveexec_b64 s[78:79], vcc
	s_cbranch_execnz .LBB529_851
.LBB529_820:                            ;   in Loop: Header=BB529_696 Depth=2
	s_or_b64 exec, exec, s[78:79]
	v_cmp_lt_u32_e32 vcc, v123, v151
	s_and_saveexec_b64 s[78:79], vcc
	s_cbranch_execz .LBB529_852
.LBB529_821:                            ;   in Loop: Header=BB529_696 Depth=2
	v_add_co_u32_e32 v30, vcc, 0x1000, v60
	v_addc_co_u32_e32 v31, vcc, 0, v61, vcc
	global_load_dwordx2 v[30:31], v[30:31], off offset:3072
	s_or_b64 exec, exec, s[78:79]
	v_cmp_lt_u32_e32 vcc, v124, v151
	s_and_saveexec_b64 s[78:79], vcc
	s_cbranch_execnz .LBB529_853
.LBB529_822:                            ;   in Loop: Header=BB529_696 Depth=2
	s_or_b64 exec, exec, s[78:79]
	s_and_saveexec_b64 s[78:79], s[36:37]
	s_cbranch_execz .LBB529_854
.LBB529_823:                            ;   in Loop: Header=BB529_696 Depth=2
	v_add_u32_e32 v60, v64, v67
	ds_read_b32 v60, v60 offset:1024
	s_waitcnt lgkmcnt(0)
	v_lshrrev_b32_e32 v60, s85, v60
	v_and_b32_e32 v149, s94, v60
	s_or_b64 exec, exec, s[78:79]
	s_and_saveexec_b64 s[78:79], s[38:39]
	s_cbranch_execnz .LBB529_855
.LBB529_824:                            ;   in Loop: Header=BB529_696 Depth=2
	s_or_b64 exec, exec, s[78:79]
	s_and_saveexec_b64 s[78:79], s[40:41]
	s_cbranch_execz .LBB529_856
.LBB529_825:                            ;   in Loop: Header=BB529_696 Depth=2
	ds_read_b32 v60, v72 offset:2048
	s_waitcnt lgkmcnt(0)
	v_lshrrev_b32_e32 v60, s85, v60
	v_and_b32_e32 v146, s94, v60
	s_or_b64 exec, exec, s[78:79]
	s_and_saveexec_b64 s[78:79], s[42:43]
	s_cbranch_execnz .LBB529_857
.LBB529_826:                            ;   in Loop: Header=BB529_696 Depth=2
	s_or_b64 exec, exec, s[78:79]
	s_and_saveexec_b64 s[78:79], s[44:45]
	s_cbranch_execz .LBB529_858
.LBB529_827:                            ;   in Loop: Header=BB529_696 Depth=2
	ds_read_b32 v60, v72 offset:4096
	s_waitcnt lgkmcnt(0)
	v_lshrrev_b32_e32 v60, s85, v60
	v_and_b32_e32 v143, s94, v60
	s_or_b64 exec, exec, s[78:79]
	s_and_saveexec_b64 s[78:79], s[46:47]
	s_cbranch_execnz .LBB529_859
.LBB529_828:                            ;   in Loop: Header=BB529_696 Depth=2
	s_or_b64 exec, exec, s[78:79]
	s_and_saveexec_b64 s[78:79], s[48:49]
	s_cbranch_execz .LBB529_860
.LBB529_829:                            ;   in Loop: Header=BB529_696 Depth=2
	ds_read_b32 v60, v72 offset:6144
	s_waitcnt lgkmcnt(0)
	v_lshrrev_b32_e32 v60, s85, v60
	v_and_b32_e32 v141, s94, v60
	s_or_b64 exec, exec, s[78:79]
	s_and_saveexec_b64 s[78:79], s[50:51]
	s_cbranch_execnz .LBB529_861
.LBB529_830:                            ;   in Loop: Header=BB529_696 Depth=2
	s_or_b64 exec, exec, s[78:79]
	s_and_saveexec_b64 s[78:79], s[52:53]
	s_cbranch_execz .LBB529_862
.LBB529_831:                            ;   in Loop: Header=BB529_696 Depth=2
	ds_read_b32 v60, v72 offset:8192
	s_waitcnt lgkmcnt(0)
	v_lshrrev_b32_e32 v60, s85, v60
	v_and_b32_e32 v139, s94, v60
	s_or_b64 exec, exec, s[78:79]
	s_and_saveexec_b64 s[78:79], s[54:55]
	s_cbranch_execnz .LBB529_863
.LBB529_832:                            ;   in Loop: Header=BB529_696 Depth=2
	s_or_b64 exec, exec, s[78:79]
	s_and_saveexec_b64 s[78:79], s[56:57]
	s_cbranch_execz .LBB529_864
.LBB529_833:                            ;   in Loop: Header=BB529_696 Depth=2
	ds_read_b32 v60, v72 offset:10240
	s_waitcnt lgkmcnt(0)
	v_lshrrev_b32_e32 v60, s85, v60
	v_and_b32_e32 v137, s94, v60
	s_or_b64 exec, exec, s[78:79]
	s_and_saveexec_b64 s[78:79], s[58:59]
	s_cbranch_execnz .LBB529_865
.LBB529_834:                            ;   in Loop: Header=BB529_696 Depth=2
	s_or_b64 exec, exec, s[78:79]
	s_and_saveexec_b64 s[78:79], s[60:61]
	s_cbranch_execz .LBB529_866
.LBB529_835:                            ;   in Loop: Header=BB529_696 Depth=2
	ds_read_b32 v60, v72 offset:12288
	s_waitcnt lgkmcnt(0)
	v_lshrrev_b32_e32 v60, s85, v60
	v_and_b32_e32 v135, s94, v60
	s_or_b64 exec, exec, s[78:79]
	s_and_saveexec_b64 s[78:79], s[62:63]
	s_cbranch_execnz .LBB529_867
.LBB529_836:                            ;   in Loop: Header=BB529_696 Depth=2
	s_or_b64 exec, exec, s[78:79]
	s_and_saveexec_b64 s[78:79], s[64:65]
	s_cbranch_execz .LBB529_868
.LBB529_837:                            ;   in Loop: Header=BB529_696 Depth=2
	ds_read_b32 v60, v72 offset:14336
	s_waitcnt lgkmcnt(0)
	v_lshrrev_b32_e32 v60, s85, v60
	v_and_b32_e32 v133, s94, v60
	s_or_b64 exec, exec, s[78:79]
	s_and_saveexec_b64 s[78:79], s[66:67]
	s_cbranch_execnz .LBB529_869
	s_branch .LBB529_870
.LBB529_838:                            ;   in Loop: Header=BB529_696 Depth=2
	s_or_b64 exec, exec, s[78:79]
	v_cmp_lt_u32_e32 vcc, v110, v151
	s_and_saveexec_b64 s[78:79], vcc
	s_cbranch_execz .LBB529_808
.LBB529_839:                            ;   in Loop: Header=BB529_696 Depth=2
	global_load_dwordx2 v[56:57], v[60:61], off offset:512
	s_or_b64 exec, exec, s[78:79]
	v_cmp_lt_u32_e32 vcc, v111, v151
	s_and_saveexec_b64 s[78:79], vcc
	s_cbranch_execnz .LBB529_809
.LBB529_840:                            ;   in Loop: Header=BB529_696 Depth=2
	s_or_b64 exec, exec, s[78:79]
	v_cmp_lt_u32_e32 vcc, v112, v151
	s_and_saveexec_b64 s[78:79], vcc
	s_cbranch_execz .LBB529_810
.LBB529_841:                            ;   in Loop: Header=BB529_696 Depth=2
	global_load_dwordx2 v[50:51], v[60:61], off offset:1536
	s_or_b64 exec, exec, s[78:79]
	v_cmp_lt_u32_e32 vcc, v113, v151
	s_and_saveexec_b64 s[78:79], vcc
	s_cbranch_execnz .LBB529_811
.LBB529_842:                            ;   in Loop: Header=BB529_696 Depth=2
	s_or_b64 exec, exec, s[78:79]
	v_cmp_lt_u32_e32 vcc, v114, v151
	s_and_saveexec_b64 s[78:79], vcc
	s_cbranch_execz .LBB529_812
.LBB529_843:                            ;   in Loop: Header=BB529_696 Depth=2
	global_load_dwordx2 v[42:43], v[60:61], off offset:2560
	s_or_b64 exec, exec, s[78:79]
	v_cmp_lt_u32_e32 vcc, v115, v151
	s_and_saveexec_b64 s[78:79], vcc
	s_cbranch_execnz .LBB529_813
.LBB529_844:                            ;   in Loop: Header=BB529_696 Depth=2
	s_or_b64 exec, exec, s[78:79]
	v_cmp_lt_u32_e32 vcc, v116, v151
	s_and_saveexec_b64 s[78:79], vcc
	s_cbranch_execz .LBB529_814
.LBB529_845:                            ;   in Loop: Header=BB529_696 Depth=2
	global_load_dwordx2 v[34:35], v[60:61], off offset:3584
	s_or_b64 exec, exec, s[78:79]
	v_cmp_lt_u32_e32 vcc, v117, v151
	s_and_saveexec_b64 s[78:79], vcc
	s_cbranch_execnz .LBB529_815
.LBB529_846:                            ;   in Loop: Header=BB529_696 Depth=2
	s_or_b64 exec, exec, s[78:79]
	v_cmp_lt_u32_e32 vcc, v118, v151
	s_and_saveexec_b64 s[78:79], vcc
	s_cbranch_execz .LBB529_816
.LBB529_847:                            ;   in Loop: Header=BB529_696 Depth=2
	v_add_co_u32_e32 v48, vcc, 0x1000, v60
	v_addc_co_u32_e32 v49, vcc, 0, v61, vcc
	global_load_dwordx2 v[48:49], v[48:49], off offset:512
	s_or_b64 exec, exec, s[78:79]
	v_cmp_lt_u32_e32 vcc, v119, v151
	s_and_saveexec_b64 s[78:79], vcc
	s_cbranch_execnz .LBB529_817
.LBB529_848:                            ;   in Loop: Header=BB529_696 Depth=2
	s_or_b64 exec, exec, s[78:79]
	v_cmp_lt_u32_e32 vcc, v120, v151
	s_and_saveexec_b64 s[78:79], vcc
	s_cbranch_execz .LBB529_818
.LBB529_849:                            ;   in Loop: Header=BB529_696 Depth=2
	v_add_co_u32_e32 v40, vcc, 0x1000, v60
	v_addc_co_u32_e32 v41, vcc, 0, v61, vcc
	global_load_dwordx2 v[40:41], v[40:41], off offset:1536
	s_or_b64 exec, exec, s[78:79]
	v_cmp_lt_u32_e32 vcc, v121, v151
	s_and_saveexec_b64 s[78:79], vcc
	s_cbranch_execnz .LBB529_819
.LBB529_850:                            ;   in Loop: Header=BB529_696 Depth=2
	s_or_b64 exec, exec, s[78:79]
	v_cmp_lt_u32_e32 vcc, v122, v151
	s_and_saveexec_b64 s[78:79], vcc
	s_cbranch_execz .LBB529_820
.LBB529_851:                            ;   in Loop: Header=BB529_696 Depth=2
	v_add_co_u32_e32 v32, vcc, 0x1000, v60
	v_addc_co_u32_e32 v33, vcc, 0, v61, vcc
	global_load_dwordx2 v[32:33], v[32:33], off offset:2560
	s_or_b64 exec, exec, s[78:79]
	v_cmp_lt_u32_e32 vcc, v123, v151
	s_and_saveexec_b64 s[78:79], vcc
	s_cbranch_execnz .LBB529_821
.LBB529_852:                            ;   in Loop: Header=BB529_696 Depth=2
	s_or_b64 exec, exec, s[78:79]
	v_cmp_lt_u32_e32 vcc, v124, v151
	s_and_saveexec_b64 s[78:79], vcc
	s_cbranch_execz .LBB529_822
.LBB529_853:                            ;   in Loop: Header=BB529_696 Depth=2
	v_add_co_u32_e32 v0, vcc, 0x1000, v60
	v_addc_co_u32_e32 v1, vcc, 0, v61, vcc
	global_load_dwordx2 v[0:1], v[0:1], off offset:3584
	s_or_b64 exec, exec, s[78:79]
	s_and_saveexec_b64 s[78:79], s[36:37]
	s_cbranch_execnz .LBB529_823
.LBB529_854:                            ;   in Loop: Header=BB529_696 Depth=2
	s_or_b64 exec, exec, s[78:79]
	s_and_saveexec_b64 s[78:79], s[38:39]
	s_cbranch_execz .LBB529_824
.LBB529_855:                            ;   in Loop: Header=BB529_696 Depth=2
	ds_read_b32 v60, v72 offset:1024
	s_waitcnt lgkmcnt(0)
	v_lshrrev_b32_e32 v60, s85, v60
	v_and_b32_e32 v147, s94, v60
	s_or_b64 exec, exec, s[78:79]
	s_and_saveexec_b64 s[78:79], s[40:41]
	s_cbranch_execnz .LBB529_825
.LBB529_856:                            ;   in Loop: Header=BB529_696 Depth=2
	s_or_b64 exec, exec, s[78:79]
	s_and_saveexec_b64 s[78:79], s[42:43]
	s_cbranch_execz .LBB529_826
.LBB529_857:                            ;   in Loop: Header=BB529_696 Depth=2
	ds_read_b32 v60, v72 offset:3072
	s_waitcnt lgkmcnt(0)
	v_lshrrev_b32_e32 v60, s85, v60
	v_and_b32_e32 v144, s94, v60
	s_or_b64 exec, exec, s[78:79]
	s_and_saveexec_b64 s[78:79], s[44:45]
	s_cbranch_execnz .LBB529_827
.LBB529_858:                            ;   in Loop: Header=BB529_696 Depth=2
	s_or_b64 exec, exec, s[78:79]
	s_and_saveexec_b64 s[78:79], s[46:47]
	s_cbranch_execz .LBB529_828
.LBB529_859:                            ;   in Loop: Header=BB529_696 Depth=2
	ds_read_b32 v60, v72 offset:5120
	s_waitcnt lgkmcnt(0)
	v_lshrrev_b32_e32 v60, s85, v60
	v_and_b32_e32 v142, s94, v60
	s_or_b64 exec, exec, s[78:79]
	s_and_saveexec_b64 s[78:79], s[48:49]
	s_cbranch_execnz .LBB529_829
.LBB529_860:                            ;   in Loop: Header=BB529_696 Depth=2
	s_or_b64 exec, exec, s[78:79]
	s_and_saveexec_b64 s[78:79], s[50:51]
	s_cbranch_execz .LBB529_830
.LBB529_861:                            ;   in Loop: Header=BB529_696 Depth=2
	ds_read_b32 v60, v72 offset:7168
	s_waitcnt lgkmcnt(0)
	v_lshrrev_b32_e32 v60, s85, v60
	v_and_b32_e32 v140, s94, v60
	s_or_b64 exec, exec, s[78:79]
	s_and_saveexec_b64 s[78:79], s[52:53]
	s_cbranch_execnz .LBB529_831
.LBB529_862:                            ;   in Loop: Header=BB529_696 Depth=2
	s_or_b64 exec, exec, s[78:79]
	s_and_saveexec_b64 s[78:79], s[54:55]
	s_cbranch_execz .LBB529_832
.LBB529_863:                            ;   in Loop: Header=BB529_696 Depth=2
	ds_read_b32 v60, v72 offset:9216
	s_waitcnt lgkmcnt(0)
	v_lshrrev_b32_e32 v60, s85, v60
	v_and_b32_e32 v138, s94, v60
	s_or_b64 exec, exec, s[78:79]
	s_and_saveexec_b64 s[78:79], s[56:57]
	s_cbranch_execnz .LBB529_833
.LBB529_864:                            ;   in Loop: Header=BB529_696 Depth=2
	s_or_b64 exec, exec, s[78:79]
	s_and_saveexec_b64 s[78:79], s[58:59]
	s_cbranch_execz .LBB529_834
.LBB529_865:                            ;   in Loop: Header=BB529_696 Depth=2
	ds_read_b32 v60, v72 offset:11264
	s_waitcnt lgkmcnt(0)
	v_lshrrev_b32_e32 v60, s85, v60
	v_and_b32_e32 v136, s94, v60
	s_or_b64 exec, exec, s[78:79]
	s_and_saveexec_b64 s[78:79], s[60:61]
	s_cbranch_execnz .LBB529_835
.LBB529_866:                            ;   in Loop: Header=BB529_696 Depth=2
	s_or_b64 exec, exec, s[78:79]
	s_and_saveexec_b64 s[78:79], s[62:63]
	s_cbranch_execz .LBB529_836
.LBB529_867:                            ;   in Loop: Header=BB529_696 Depth=2
	ds_read_b32 v60, v72 offset:13312
	s_waitcnt lgkmcnt(0)
	v_lshrrev_b32_e32 v60, s85, v60
	v_and_b32_e32 v134, s94, v60
	s_or_b64 exec, exec, s[78:79]
	s_and_saveexec_b64 s[78:79], s[64:65]
	s_cbranch_execnz .LBB529_837
.LBB529_868:                            ;   in Loop: Header=BB529_696 Depth=2
	s_or_b64 exec, exec, s[78:79]
	s_and_saveexec_b64 s[78:79], s[66:67]
	s_cbranch_execz .LBB529_870
.LBB529_869:                            ;   in Loop: Header=BB529_696 Depth=2
	ds_read_b32 v60, v72 offset:15360
	s_waitcnt lgkmcnt(0)
	v_lshrrev_b32_e32 v60, s85, v60
	v_and_b32_e32 v132, s94, v60
.LBB529_870:                            ;   in Loop: Header=BB529_696 Depth=2
	s_or_b64 exec, exec, s[78:79]
	v_lshlrev_b32_e32 v60, 3, v172
	s_barrier
	s_waitcnt vmcnt(0)
	ds_write_b64 v60, v[58:59] offset:1024
	v_lshlrev_b32_e32 v60, 3, v168
	ds_write_b64 v60, v[56:57] offset:1024
	v_lshlrev_b32_e32 v60, 3, v167
	;; [unrolled: 2-line block ×15, first 2 shown]
	ds_write_b64 v60, v[0:1] offset:1024
	s_waitcnt lgkmcnt(0)
	s_barrier
	s_and_saveexec_b64 s[78:79], s[36:37]
	s_cbranch_execz .LBB529_886
; %bb.871:                              ;   in Loop: Header=BB529_696 Depth=2
	v_lshlrev_b32_e32 v60, 2, v149
	ds_read_b32 v62, v60
	ds_read_b64 v[60:61], v73 offset:1024
	v_mov_b32_e32 v63, v4
	v_mov_b32_e32 v151, s81
	s_waitcnt lgkmcnt(1)
	v_add_u32_e32 v62, v62, v2
	v_lshlrev_b64 v[62:63], 3, v[62:63]
	v_add_co_u32_e32 v62, vcc, s80, v62
	v_addc_co_u32_e32 v63, vcc, v151, v63, vcc
	s_waitcnt lgkmcnt(0)
	global_store_dwordx2 v[62:63], v[60:61], off
	s_or_b64 exec, exec, s[78:79]
	s_and_saveexec_b64 s[36:37], s[38:39]
	s_cbranch_execnz .LBB529_887
.LBB529_872:                            ;   in Loop: Header=BB529_696 Depth=2
	s_or_b64 exec, exec, s[36:37]
	s_and_saveexec_b64 s[36:37], s[40:41]
	s_cbranch_execz .LBB529_888
.LBB529_873:                            ;   in Loop: Header=BB529_696 Depth=2
	v_lshlrev_b32_e32 v60, 2, v146
	ds_read_b32 v62, v60
	v_add_u32_e32 v60, v72, v3
	ds_read_b64 v[60:61], v60 offset:4096
	v_mov_b32_e32 v63, v4
	v_mov_b32_e32 v151, s81
	s_waitcnt lgkmcnt(1)
	v_add_u32_e32 v62, v62, v9
	v_lshlrev_b64 v[62:63], 3, v[62:63]
	v_add_co_u32_e32 v62, vcc, s80, v62
	v_addc_co_u32_e32 v63, vcc, v151, v63, vcc
	s_waitcnt lgkmcnt(0)
	global_store_dwordx2 v[62:63], v[60:61], off
	s_or_b64 exec, exec, s[36:37]
	s_and_saveexec_b64 s[36:37], s[42:43]
	s_cbranch_execnz .LBB529_889
.LBB529_874:                            ;   in Loop: Header=BB529_696 Depth=2
	s_or_b64 exec, exec, s[36:37]
	s_and_saveexec_b64 s[36:37], s[44:45]
	s_cbranch_execz .LBB529_890
.LBB529_875:                            ;   in Loop: Header=BB529_696 Depth=2
	v_lshlrev_b32_e32 v60, 2, v143
	ds_read_b32 v62, v60
	v_add_u32_e32 v60, v72, v3
	ds_read_b64 v[60:61], v60 offset:8192
	v_mov_b32_e32 v63, v4
	v_mov_b32_e32 v151, s81
	s_waitcnt lgkmcnt(1)
	v_add_u32_e32 v62, v62, v6
	v_lshlrev_b64 v[62:63], 3, v[62:63]
	v_add_co_u32_e32 v62, vcc, s80, v62
	v_addc_co_u32_e32 v63, vcc, v151, v63, vcc
	s_waitcnt lgkmcnt(0)
	global_store_dwordx2 v[62:63], v[60:61], off
	s_or_b64 exec, exec, s[36:37]
	s_and_saveexec_b64 s[36:37], s[46:47]
	s_cbranch_execnz .LBB529_891
.LBB529_876:                            ;   in Loop: Header=BB529_696 Depth=2
	s_or_b64 exec, exec, s[36:37]
	s_and_saveexec_b64 s[36:37], s[48:49]
	s_cbranch_execz .LBB529_892
.LBB529_877:                            ;   in Loop: Header=BB529_696 Depth=2
	v_lshlrev_b32_e32 v60, 2, v141
	ds_read_b32 v62, v60
	v_add_u32_e32 v60, v72, v3
	ds_read_b64 v[60:61], v60 offset:12288
	v_mov_b32_e32 v63, v4
	v_mov_b32_e32 v151, s81
	s_waitcnt lgkmcnt(1)
	v_add_u32_e32 v62, v62, v10
	v_lshlrev_b64 v[62:63], 3, v[62:63]
	v_add_co_u32_e32 v62, vcc, s80, v62
	v_addc_co_u32_e32 v63, vcc, v151, v63, vcc
	s_waitcnt lgkmcnt(0)
	global_store_dwordx2 v[62:63], v[60:61], off
	s_or_b64 exec, exec, s[36:37]
	s_and_saveexec_b64 s[36:37], s[50:51]
	s_cbranch_execnz .LBB529_893
.LBB529_878:                            ;   in Loop: Header=BB529_696 Depth=2
	s_or_b64 exec, exec, s[36:37]
	s_and_saveexec_b64 s[36:37], s[52:53]
	s_cbranch_execz .LBB529_894
.LBB529_879:                            ;   in Loop: Header=BB529_696 Depth=2
	v_lshlrev_b32_e32 v60, 2, v139
	ds_read_b32 v62, v60
	v_add_u32_e32 v60, v72, v3
	ds_read_b64 v[60:61], v60 offset:16384
	v_mov_b32_e32 v63, v4
	v_mov_b32_e32 v151, s81
	s_waitcnt lgkmcnt(1)
	v_add_u32_e32 v62, v62, v14
	v_lshlrev_b64 v[62:63], 3, v[62:63]
	v_add_co_u32_e32 v62, vcc, s80, v62
	v_addc_co_u32_e32 v63, vcc, v151, v63, vcc
	s_waitcnt lgkmcnt(0)
	global_store_dwordx2 v[62:63], v[60:61], off
	s_or_b64 exec, exec, s[36:37]
	s_and_saveexec_b64 s[36:37], s[54:55]
	s_cbranch_execnz .LBB529_895
.LBB529_880:                            ;   in Loop: Header=BB529_696 Depth=2
	s_or_b64 exec, exec, s[36:37]
	s_and_saveexec_b64 s[36:37], s[56:57]
	s_cbranch_execz .LBB529_896
.LBB529_881:                            ;   in Loop: Header=BB529_696 Depth=2
	v_lshlrev_b32_e32 v60, 2, v137
	ds_read_b32 v62, v60
	v_add_u32_e32 v60, v72, v3
	ds_read_b64 v[60:61], v60 offset:20480
	v_mov_b32_e32 v63, v4
	v_mov_b32_e32 v151, s81
	s_waitcnt lgkmcnt(1)
	v_add_u32_e32 v62, v62, v18
	v_lshlrev_b64 v[62:63], 3, v[62:63]
	v_add_co_u32_e32 v62, vcc, s80, v62
	v_addc_co_u32_e32 v63, vcc, v151, v63, vcc
	s_waitcnt lgkmcnt(0)
	global_store_dwordx2 v[62:63], v[60:61], off
	s_or_b64 exec, exec, s[36:37]
	s_and_saveexec_b64 s[36:37], s[58:59]
	s_cbranch_execnz .LBB529_897
.LBB529_882:                            ;   in Loop: Header=BB529_696 Depth=2
	s_or_b64 exec, exec, s[36:37]
	s_and_saveexec_b64 s[36:37], s[60:61]
	s_cbranch_execz .LBB529_898
.LBB529_883:                            ;   in Loop: Header=BB529_696 Depth=2
	v_lshlrev_b32_e32 v60, 2, v135
	ds_read_b32 v62, v60
	v_add_u32_e32 v60, v72, v3
	ds_read_b64 v[60:61], v60 offset:24576
	v_mov_b32_e32 v63, v4
	v_mov_b32_e32 v151, s81
	s_waitcnt lgkmcnt(1)
	v_add_u32_e32 v62, v62, v22
	v_lshlrev_b64 v[62:63], 3, v[62:63]
	v_add_co_u32_e32 v62, vcc, s80, v62
	v_addc_co_u32_e32 v63, vcc, v151, v63, vcc
	s_waitcnt lgkmcnt(0)
	global_store_dwordx2 v[62:63], v[60:61], off
	s_or_b64 exec, exec, s[36:37]
	s_and_saveexec_b64 s[36:37], s[62:63]
	s_cbranch_execnz .LBB529_899
.LBB529_884:                            ;   in Loop: Header=BB529_696 Depth=2
	s_or_b64 exec, exec, s[36:37]
	s_and_saveexec_b64 s[36:37], s[64:65]
	s_cbranch_execz .LBB529_900
.LBB529_885:                            ;   in Loop: Header=BB529_696 Depth=2
	v_lshlrev_b32_e32 v60, 2, v133
	ds_read_b32 v62, v60
	v_add_u32_e32 v60, v72, v3
	ds_read_b64 v[60:61], v60 offset:28672
	v_mov_b32_e32 v63, v4
	v_mov_b32_e32 v151, s81
	s_waitcnt lgkmcnt(1)
	v_add_u32_e32 v62, v62, v26
	v_lshlrev_b64 v[62:63], 3, v[62:63]
	v_add_co_u32_e32 v62, vcc, s80, v62
	v_addc_co_u32_e32 v63, vcc, v151, v63, vcc
	s_waitcnt lgkmcnt(0)
	global_store_dwordx2 v[62:63], v[60:61], off
	s_or_b64 exec, exec, s[36:37]
	s_and_saveexec_b64 s[36:37], s[66:67]
	s_cbranch_execnz .LBB529_901
	s_branch .LBB529_902
.LBB529_886:                            ;   in Loop: Header=BB529_696 Depth=2
	s_or_b64 exec, exec, s[78:79]
	s_and_saveexec_b64 s[36:37], s[38:39]
	s_cbranch_execz .LBB529_872
.LBB529_887:                            ;   in Loop: Header=BB529_696 Depth=2
	v_lshlrev_b32_e32 v60, 2, v147
	ds_read_b32 v62, v60
	v_add_u32_e32 v60, v72, v3
	ds_read_b64 v[60:61], v60 offset:2048
	v_mov_b32_e32 v63, v4
	v_mov_b32_e32 v151, s81
	s_waitcnt lgkmcnt(1)
	v_add_u32_e32 v62, v62, v7
	v_lshlrev_b64 v[62:63], 3, v[62:63]
	v_add_co_u32_e32 v62, vcc, s80, v62
	v_addc_co_u32_e32 v63, vcc, v151, v63, vcc
	s_waitcnt lgkmcnt(0)
	global_store_dwordx2 v[62:63], v[60:61], off
	s_or_b64 exec, exec, s[36:37]
	s_and_saveexec_b64 s[36:37], s[40:41]
	s_cbranch_execnz .LBB529_873
.LBB529_888:                            ;   in Loop: Header=BB529_696 Depth=2
	s_or_b64 exec, exec, s[36:37]
	s_and_saveexec_b64 s[36:37], s[42:43]
	s_cbranch_execz .LBB529_874
.LBB529_889:                            ;   in Loop: Header=BB529_696 Depth=2
	v_lshlrev_b32_e32 v60, 2, v144
	ds_read_b32 v62, v60
	v_add_u32_e32 v60, v72, v3
	ds_read_b64 v[60:61], v60 offset:6144
	v_mov_b32_e32 v63, v4
	v_mov_b32_e32 v151, s81
	s_waitcnt lgkmcnt(1)
	v_add_u32_e32 v62, v62, v11
	v_lshlrev_b64 v[62:63], 3, v[62:63]
	v_add_co_u32_e32 v62, vcc, s80, v62
	v_addc_co_u32_e32 v63, vcc, v151, v63, vcc
	s_waitcnt lgkmcnt(0)
	global_store_dwordx2 v[62:63], v[60:61], off
	s_or_b64 exec, exec, s[36:37]
	s_and_saveexec_b64 s[36:37], s[44:45]
	s_cbranch_execnz .LBB529_875
.LBB529_890:                            ;   in Loop: Header=BB529_696 Depth=2
	s_or_b64 exec, exec, s[36:37]
	s_and_saveexec_b64 s[36:37], s[46:47]
	s_cbranch_execz .LBB529_876
.LBB529_891:                            ;   in Loop: Header=BB529_696 Depth=2
	v_lshlrev_b32_e32 v60, 2, v142
	ds_read_b32 v62, v60
	v_add_u32_e32 v60, v72, v3
	ds_read_b64 v[60:61], v60 offset:10240
	v_mov_b32_e32 v63, v4
	v_mov_b32_e32 v151, s81
	s_waitcnt lgkmcnt(1)
	v_add_u32_e32 v62, v62, v8
	v_lshlrev_b64 v[62:63], 3, v[62:63]
	v_add_co_u32_e32 v62, vcc, s80, v62
	v_addc_co_u32_e32 v63, vcc, v151, v63, vcc
	s_waitcnt lgkmcnt(0)
	global_store_dwordx2 v[62:63], v[60:61], off
	s_or_b64 exec, exec, s[36:37]
	s_and_saveexec_b64 s[36:37], s[48:49]
	s_cbranch_execnz .LBB529_877
.LBB529_892:                            ;   in Loop: Header=BB529_696 Depth=2
	s_or_b64 exec, exec, s[36:37]
	s_and_saveexec_b64 s[36:37], s[50:51]
	s_cbranch_execz .LBB529_878
.LBB529_893:                            ;   in Loop: Header=BB529_696 Depth=2
	v_lshlrev_b32_e32 v60, 2, v140
	ds_read_b32 v62, v60
	v_add_u32_e32 v60, v72, v3
	ds_read_b64 v[60:61], v60 offset:14336
	v_mov_b32_e32 v63, v4
	v_mov_b32_e32 v151, s81
	s_waitcnt lgkmcnt(1)
	v_add_u32_e32 v62, v62, v12
	v_lshlrev_b64 v[62:63], 3, v[62:63]
	v_add_co_u32_e32 v62, vcc, s80, v62
	v_addc_co_u32_e32 v63, vcc, v151, v63, vcc
	s_waitcnt lgkmcnt(0)
	global_store_dwordx2 v[62:63], v[60:61], off
	s_or_b64 exec, exec, s[36:37]
	s_and_saveexec_b64 s[36:37], s[52:53]
	s_cbranch_execnz .LBB529_879
.LBB529_894:                            ;   in Loop: Header=BB529_696 Depth=2
	s_or_b64 exec, exec, s[36:37]
	s_and_saveexec_b64 s[36:37], s[54:55]
	s_cbranch_execz .LBB529_880
.LBB529_895:                            ;   in Loop: Header=BB529_696 Depth=2
	v_lshlrev_b32_e32 v60, 2, v138
	ds_read_b32 v62, v60
	v_add_u32_e32 v60, v72, v3
	ds_read_b64 v[60:61], v60 offset:18432
	v_mov_b32_e32 v63, v4
	v_mov_b32_e32 v151, s81
	s_waitcnt lgkmcnt(1)
	v_add_u32_e32 v62, v62, v16
	v_lshlrev_b64 v[62:63], 3, v[62:63]
	v_add_co_u32_e32 v62, vcc, s80, v62
	v_addc_co_u32_e32 v63, vcc, v151, v63, vcc
	s_waitcnt lgkmcnt(0)
	global_store_dwordx2 v[62:63], v[60:61], off
	s_or_b64 exec, exec, s[36:37]
	s_and_saveexec_b64 s[36:37], s[56:57]
	s_cbranch_execnz .LBB529_881
.LBB529_896:                            ;   in Loop: Header=BB529_696 Depth=2
	s_or_b64 exec, exec, s[36:37]
	s_and_saveexec_b64 s[36:37], s[58:59]
	s_cbranch_execz .LBB529_882
.LBB529_897:                            ;   in Loop: Header=BB529_696 Depth=2
	v_lshlrev_b32_e32 v60, 2, v136
	ds_read_b32 v62, v60
	v_add_u32_e32 v60, v72, v3
	ds_read_b64 v[60:61], v60 offset:22528
	v_mov_b32_e32 v63, v4
	v_mov_b32_e32 v151, s81
	s_waitcnt lgkmcnt(1)
	v_add_u32_e32 v62, v62, v20
	v_lshlrev_b64 v[62:63], 3, v[62:63]
	v_add_co_u32_e32 v62, vcc, s80, v62
	v_addc_co_u32_e32 v63, vcc, v151, v63, vcc
	s_waitcnt lgkmcnt(0)
	global_store_dwordx2 v[62:63], v[60:61], off
	s_or_b64 exec, exec, s[36:37]
	s_and_saveexec_b64 s[36:37], s[60:61]
	s_cbranch_execnz .LBB529_883
.LBB529_898:                            ;   in Loop: Header=BB529_696 Depth=2
	s_or_b64 exec, exec, s[36:37]
	s_and_saveexec_b64 s[36:37], s[62:63]
	s_cbranch_execz .LBB529_884
.LBB529_899:                            ;   in Loop: Header=BB529_696 Depth=2
	v_lshlrev_b32_e32 v60, 2, v134
	ds_read_b32 v62, v60
	v_add_u32_e32 v60, v72, v3
	ds_read_b64 v[60:61], v60 offset:26624
	v_mov_b32_e32 v63, v4
	v_mov_b32_e32 v151, s81
	s_waitcnt lgkmcnt(1)
	v_add_u32_e32 v62, v62, v24
	v_lshlrev_b64 v[62:63], 3, v[62:63]
	v_add_co_u32_e32 v62, vcc, s80, v62
	v_addc_co_u32_e32 v63, vcc, v151, v63, vcc
	s_waitcnt lgkmcnt(0)
	global_store_dwordx2 v[62:63], v[60:61], off
	s_or_b64 exec, exec, s[36:37]
	s_and_saveexec_b64 s[36:37], s[64:65]
	s_cbranch_execnz .LBB529_885
.LBB529_900:                            ;   in Loop: Header=BB529_696 Depth=2
	s_or_b64 exec, exec, s[36:37]
	s_and_saveexec_b64 s[36:37], s[66:67]
	s_cbranch_execz .LBB529_902
.LBB529_901:                            ;   in Loop: Header=BB529_696 Depth=2
	v_lshlrev_b32_e32 v60, 2, v132
	ds_read_b32 v62, v60
	v_add_u32_e32 v60, v72, v3
	ds_read_b64 v[60:61], v60 offset:30720
	v_mov_b32_e32 v63, v4
	v_mov_b32_e32 v151, s81
	s_waitcnt lgkmcnt(1)
	v_add_u32_e32 v62, v62, v28
	v_lshlrev_b64 v[62:63], 3, v[62:63]
	v_add_co_u32_e32 v62, vcc, s80, v62
	v_addc_co_u32_e32 v63, vcc, v151, v63, vcc
	s_waitcnt lgkmcnt(0)
	global_store_dwordx2 v[62:63], v[60:61], off
.LBB529_902:                            ;   in Loop: Header=BB529_696 Depth=2
	s_or_b64 exec, exec, s[36:37]
	s_barrier
	s_and_saveexec_b64 s[36:37], s[4:5]
	s_cbranch_execz .LBB529_695
; %bb.903:                              ;   in Loop: Header=BB529_696 Depth=2
	ds_read_b32 v60, v3
	s_waitcnt lgkmcnt(0)
	v_add_u32_e32 v5, v60, v5
	ds_write_b32 v3, v5
	s_branch .LBB529_695
.LBB529_904:                            ;   in Loop: Header=BB529_20 Depth=1
	s_waitcnt lgkmcnt(0)
	s_barrier
	s_mov_b64 s[16:17], 0
.LBB529_905:                            ;   in Loop: Header=BB529_20 Depth=1
	s_and_b64 vcc, exec, s[16:17]
	s_cbranch_vccz .LBB529_19
; %bb.906:                              ;   in Loop: Header=BB529_20 Depth=1
	s_mov_b32 s22, s87
	s_mov_b32 s88, s69
	s_barrier
	s_waitcnt lgkmcnt(0)
                                        ; implicit-def: $vgpr44
                                        ; implicit-def: $vgpr5
                                        ; implicit-def: $vgpr30
                                        ; implicit-def: $vgpr31
                                        ; implicit-def: $vgpr32
                                        ; implicit-def: $vgpr33
                                        ; implicit-def: $vgpr34
                                        ; implicit-def: $vgpr35
                                        ; implicit-def: $vgpr36
                                        ; implicit-def: $vgpr37
                                        ; implicit-def: $vgpr38
                                        ; implicit-def: $vgpr39
                                        ; implicit-def: $vgpr40
                                        ; implicit-def: $vgpr41
                                        ; implicit-def: $vgpr42
                                        ; implicit-def: $vgpr43
	s_branch .LBB529_908
.LBB529_907:                            ;   in Loop: Header=BB529_908 Depth=2
	s_or_b64 exec, exec, s[16:17]
	s_addk_i32 s22, 0xf000
	s_cmp_ge_u32 s23, s92
	s_mov_b32 s88, s23
	s_cbranch_scc1 .LBB529_978
.LBB529_908:                            ;   Parent Loop BB529_20 Depth=1
                                        ; =>  This Inner Loop Header: Depth=2
	s_add_i32 s23, s88, 0x1000
	s_cmp_gt_u32 s23, s92
	s_cbranch_scc1 .LBB529_911
; %bb.909:                              ;   in Loop: Header=BB529_908 Depth=2
	s_lshl_b64 s[16:17], s[88:89], 2
	v_mov_b32_e32 v1, s17
	v_add_co_u32_e32 v0, vcc, s16, v80
	v_addc_co_u32_e32 v1, vcc, v81, v1, vcc
	s_waitcnt vmcnt(6)
	v_add_co_u32_e32 v54, vcc, 0x1000, v0
	s_waitcnt vmcnt(5)
	v_addc_co_u32_e32 v55, vcc, 0, v1, vcc
	v_add_co_u32_e32 v62, vcc, s84, v0
	v_addc_co_u32_e32 v63, vcc, 0, v1, vcc
	global_load_dword v46, v[0:1], off
	global_load_dword v47, v[0:1], off offset:1024
	global_load_dword v48, v[0:1], off offset:2048
	;; [unrolled: 1-line block ×3, first 2 shown]
	global_load_dword v50, v[54:55], off
	global_load_dword v51, v[54:55], off offset:1024
	global_load_dword v52, v[54:55], off offset:2048
	;; [unrolled: 1-line block ×3, first 2 shown]
	v_add_co_u32_e32 v128, vcc, 0x3000, v0
	v_addc_co_u32_e32 v129, vcc, 0, v1, vcc
	global_load_dword v54, v[62:63], off
	global_load_dword v55, v[62:63], off offset:1024
	global_load_dword v56, v[62:63], off offset:2048
	;; [unrolled: 1-line block ×3, first 2 shown]
	global_load_dword v58, v[128:129], off
	global_load_dword v59, v[128:129], off offset:1024
	global_load_dword v60, v[128:129], off offset:2048
	v_add_co_u32_e32 v0, vcc, 0x3c00, v0
	s_movk_i32 s24, 0x1000
	v_addc_co_u32_e32 v1, vcc, 0, v1, vcc
	s_mov_b64 s[16:17], -1
	s_cbranch_execz .LBB529_912
; %bb.910:                              ;   in Loop: Header=BB529_908 Depth=2
                                        ; implicit-def: $vgpr43
                                        ; implicit-def: $vgpr42
                                        ; implicit-def: $vgpr41
                                        ; implicit-def: $vgpr40
                                        ; implicit-def: $vgpr39
                                        ; implicit-def: $vgpr38
                                        ; implicit-def: $vgpr37
                                        ; implicit-def: $vgpr36
                                        ; implicit-def: $vgpr35
                                        ; implicit-def: $vgpr34
                                        ; implicit-def: $vgpr33
                                        ; implicit-def: $vgpr32
                                        ; implicit-def: $vgpr31
                                        ; implicit-def: $vgpr30
                                        ; implicit-def: $vgpr5
                                        ; implicit-def: $vgpr44
	v_mov_b32_e32 v45, s22
	s_and_saveexec_b64 s[18:19], s[16:17]
	s_cbranch_execnz .LBB529_931
	s_branch .LBB529_932
.LBB529_911:                            ;   in Loop: Header=BB529_908 Depth=2
	s_mov_b64 s[16:17], 0
                                        ; implicit-def: $sgpr24
                                        ; implicit-def: $vgpr46
                                        ; implicit-def: $vgpr47
                                        ; implicit-def: $vgpr48
                                        ; implicit-def: $vgpr49
                                        ; implicit-def: $vgpr50
                                        ; implicit-def: $vgpr51
                                        ; implicit-def: $vgpr52
                                        ; implicit-def: $vgpr53
                                        ; implicit-def: $vgpr54
                                        ; implicit-def: $vgpr55
                                        ; implicit-def: $vgpr56
                                        ; implicit-def: $vgpr57
                                        ; implicit-def: $vgpr58
                                        ; implicit-def: $vgpr59
                                        ; implicit-def: $vgpr60
                                        ; implicit-def: $vgpr0_vgpr1
.LBB529_912:                            ;   in Loop: Header=BB529_908 Depth=2
	s_lshl_b64 s[18:19], s[88:89], 2
	s_add_u32 s18, s72, s18
	s_addc_u32 s19, s73, s19
	v_cmp_gt_u32_e32 vcc, s22, v2
	s_and_saveexec_b64 s[20:21], vcc
	s_cbranch_execz .LBB529_964
; %bb.913:                              ;   in Loop: Header=BB529_908 Depth=2
	global_load_dword v43, v88, s[18:19]
	s_or_b64 exec, exec, s[20:21]
	v_cmp_gt_u32_e32 vcc, s22, v7
	s_and_saveexec_b64 s[20:21], vcc
	s_cbranch_execnz .LBB529_965
.LBB529_914:                            ;   in Loop: Header=BB529_908 Depth=2
	s_or_b64 exec, exec, s[20:21]
	v_cmp_gt_u32_e32 vcc, s22, v9
	s_and_saveexec_b64 s[20:21], vcc
	s_cbranch_execz .LBB529_966
.LBB529_915:                            ;   in Loop: Header=BB529_908 Depth=2
	global_load_dword v41, v88, s[18:19] offset:2048
	s_or_b64 exec, exec, s[20:21]
	v_cmp_gt_u32_e32 vcc, s22, v11
	s_and_saveexec_b64 s[20:21], vcc
	s_cbranch_execnz .LBB529_967
.LBB529_916:                            ;   in Loop: Header=BB529_908 Depth=2
	s_or_b64 exec, exec, s[20:21]
	v_cmp_gt_u32_e32 vcc, s22, v6
	s_and_saveexec_b64 s[20:21], vcc
	s_cbranch_execz .LBB529_968
.LBB529_917:                            ;   in Loop: Header=BB529_908 Depth=2
	global_load_dword v39, v89, s[18:19]
	s_or_b64 exec, exec, s[20:21]
	v_cmp_gt_u32_e32 vcc, s22, v8
	s_and_saveexec_b64 s[20:21], vcc
	s_cbranch_execnz .LBB529_969
.LBB529_918:                            ;   in Loop: Header=BB529_908 Depth=2
	s_or_b64 exec, exec, s[20:21]
	v_cmp_gt_u32_e32 vcc, s22, v10
	s_and_saveexec_b64 s[20:21], vcc
	s_cbranch_execz .LBB529_970
.LBB529_919:                            ;   in Loop: Header=BB529_908 Depth=2
	global_load_dword v37, v91, s[18:19]
	s_or_b64 exec, exec, s[20:21]
	v_cmp_gt_u32_e32 vcc, s22, v12
	s_and_saveexec_b64 s[20:21], vcc
	s_cbranch_execnz .LBB529_971
.LBB529_920:                            ;   in Loop: Header=BB529_908 Depth=2
	s_or_b64 exec, exec, s[20:21]
	v_cmp_gt_u32_e32 vcc, s22, v14
	s_and_saveexec_b64 s[20:21], vcc
	s_cbranch_execz .LBB529_972
.LBB529_921:                            ;   in Loop: Header=BB529_908 Depth=2
	global_load_dword v35, v93, s[18:19]
	s_or_b64 exec, exec, s[20:21]
	v_cmp_gt_u32_e32 vcc, s22, v16
	s_and_saveexec_b64 s[20:21], vcc
	s_cbranch_execnz .LBB529_973
.LBB529_922:                            ;   in Loop: Header=BB529_908 Depth=2
	s_or_b64 exec, exec, s[20:21]
	v_cmp_gt_u32_e32 vcc, s22, v18
	s_and_saveexec_b64 s[20:21], vcc
	s_cbranch_execz .LBB529_974
.LBB529_923:                            ;   in Loop: Header=BB529_908 Depth=2
	global_load_dword v33, v95, s[18:19]
	s_or_b64 exec, exec, s[20:21]
	v_cmp_gt_u32_e32 vcc, s22, v20
	s_and_saveexec_b64 s[20:21], vcc
	s_cbranch_execnz .LBB529_975
.LBB529_924:                            ;   in Loop: Header=BB529_908 Depth=2
	s_or_b64 exec, exec, s[20:21]
	v_cmp_gt_u32_e32 vcc, s22, v22
	s_and_saveexec_b64 s[20:21], vcc
	s_cbranch_execz .LBB529_976
.LBB529_925:                            ;   in Loop: Header=BB529_908 Depth=2
	global_load_dword v31, v97, s[18:19]
	s_or_b64 exec, exec, s[20:21]
	v_cmp_gt_u32_e32 vcc, s22, v24
	s_and_saveexec_b64 s[20:21], vcc
	s_cbranch_execnz .LBB529_977
.LBB529_926:                            ;   in Loop: Header=BB529_908 Depth=2
	s_or_b64 exec, exec, s[20:21]
	v_cmp_gt_u32_e32 vcc, s22, v26
	s_and_saveexec_b64 s[20:21], vcc
	s_cbranch_execz .LBB529_928
.LBB529_927:                            ;   in Loop: Header=BB529_908 Depth=2
	global_load_dword v5, v99, s[18:19]
.LBB529_928:                            ;   in Loop: Header=BB529_908 Depth=2
	s_or_b64 exec, exec, s[20:21]
	v_cmp_gt_u32_e32 vcc, s22, v28
                                        ; implicit-def: $sgpr24
                                        ; implicit-def: $vgpr0_vgpr1
	s_and_saveexec_b64 s[20:21], vcc
; %bb.929:                              ;   in Loop: Header=BB529_908 Depth=2
	v_mov_b32_e32 v1, s19
	v_add_co_u32_e32 v0, vcc, s18, v100
	s_sub_i32 s24, s92, s88
	v_addc_co_u32_e32 v1, vcc, 0, v1, vcc
	s_or_b64 s[16:17], s[16:17], exec
                                        ; implicit-def: $vgpr44
; %bb.930:                              ;   in Loop: Header=BB529_908 Depth=2
	s_or_b64 exec, exec, s[20:21]
	s_waitcnt vmcnt(0)
	v_mov_b32_e32 v46, v43
	v_mov_b32_e32 v47, v42
	;; [unrolled: 1-line block ×16, first 2 shown]
	s_and_saveexec_b64 s[18:19], s[16:17]
	s_cbranch_execz .LBB529_932
.LBB529_931:                            ;   in Loop: Header=BB529_908 Depth=2
	global_load_dword v44, v[0:1], off
	v_mov_b32_e32 v45, s24
	s_waitcnt vmcnt(1)
	v_mov_b32_e32 v5, v60
	v_mov_b32_e32 v30, v59
	;; [unrolled: 1-line block ×15, first 2 shown]
.LBB529_932:                            ;   in Loop: Header=BB529_908 Depth=2
	s_or_b64 exec, exec, s[18:19]
	v_cmp_lt_u32_e32 vcc, v2, v45
	s_and_saveexec_b64 s[16:17], vcc
	s_cbranch_execz .LBB529_948
; %bb.933:                              ;   in Loop: Header=BB529_908 Depth=2
	v_xor_b32_e32 v0, 0x7fffffff, v43
	v_lshrrev_b32_e32 v0, s85, v0
	v_and_b32_e32 v0, s94, v0
	v_lshl_or_b32 v0, v0, 4, v86
	ds_add_u32 v0, v87
	s_or_b64 exec, exec, s[16:17]
	v_cmp_lt_u32_e32 vcc, v7, v45
	s_and_saveexec_b64 s[16:17], vcc
	s_cbranch_execnz .LBB529_949
.LBB529_934:                            ;   in Loop: Header=BB529_908 Depth=2
	s_or_b64 exec, exec, s[16:17]
	v_cmp_lt_u32_e32 vcc, v9, v45
	s_and_saveexec_b64 s[16:17], vcc
	s_cbranch_execz .LBB529_950
.LBB529_935:                            ;   in Loop: Header=BB529_908 Depth=2
	v_xor_b32_e32 v0, 0x7fffffff, v41
	v_lshrrev_b32_e32 v0, s85, v0
	v_and_b32_e32 v0, s94, v0
	v_lshl_or_b32 v0, v0, 4, v86
	ds_add_u32 v0, v87
	s_or_b64 exec, exec, s[16:17]
	v_cmp_lt_u32_e32 vcc, v11, v45
	s_and_saveexec_b64 s[16:17], vcc
	s_cbranch_execnz .LBB529_951
.LBB529_936:                            ;   in Loop: Header=BB529_908 Depth=2
	s_or_b64 exec, exec, s[16:17]
	v_cmp_lt_u32_e32 vcc, v6, v45
	s_and_saveexec_b64 s[16:17], vcc
	s_cbranch_execz .LBB529_952
.LBB529_937:                            ;   in Loop: Header=BB529_908 Depth=2
	v_xor_b32_e32 v0, 0x7fffffff, v39
	v_lshrrev_b32_e32 v0, s85, v0
	v_and_b32_e32 v0, s94, v0
	v_lshl_or_b32 v0, v0, 4, v86
	ds_add_u32 v0, v87
	s_or_b64 exec, exec, s[16:17]
	v_cmp_lt_u32_e32 vcc, v8, v45
	s_and_saveexec_b64 s[16:17], vcc
	s_cbranch_execnz .LBB529_953
.LBB529_938:                            ;   in Loop: Header=BB529_908 Depth=2
	s_or_b64 exec, exec, s[16:17]
	v_cmp_lt_u32_e32 vcc, v10, v45
	s_and_saveexec_b64 s[16:17], vcc
	s_cbranch_execz .LBB529_954
.LBB529_939:                            ;   in Loop: Header=BB529_908 Depth=2
	v_xor_b32_e32 v0, 0x7fffffff, v37
	v_lshrrev_b32_e32 v0, s85, v0
	v_and_b32_e32 v0, s94, v0
	v_lshl_or_b32 v0, v0, 4, v86
	ds_add_u32 v0, v87
	s_or_b64 exec, exec, s[16:17]
	v_cmp_lt_u32_e32 vcc, v12, v45
	s_and_saveexec_b64 s[16:17], vcc
	s_cbranch_execnz .LBB529_955
.LBB529_940:                            ;   in Loop: Header=BB529_908 Depth=2
	s_or_b64 exec, exec, s[16:17]
	v_cmp_lt_u32_e32 vcc, v14, v45
	s_and_saveexec_b64 s[16:17], vcc
	s_cbranch_execz .LBB529_956
.LBB529_941:                            ;   in Loop: Header=BB529_908 Depth=2
	v_xor_b32_e32 v0, 0x7fffffff, v35
	v_lshrrev_b32_e32 v0, s85, v0
	v_and_b32_e32 v0, s94, v0
	v_lshl_or_b32 v0, v0, 4, v86
	ds_add_u32 v0, v87
	s_or_b64 exec, exec, s[16:17]
	v_cmp_lt_u32_e32 vcc, v16, v45
	s_and_saveexec_b64 s[16:17], vcc
	s_cbranch_execnz .LBB529_957
.LBB529_942:                            ;   in Loop: Header=BB529_908 Depth=2
	s_or_b64 exec, exec, s[16:17]
	v_cmp_lt_u32_e32 vcc, v18, v45
	s_and_saveexec_b64 s[16:17], vcc
	s_cbranch_execz .LBB529_958
.LBB529_943:                            ;   in Loop: Header=BB529_908 Depth=2
	v_xor_b32_e32 v0, 0x7fffffff, v33
	v_lshrrev_b32_e32 v0, s85, v0
	v_and_b32_e32 v0, s94, v0
	v_lshl_or_b32 v0, v0, 4, v86
	ds_add_u32 v0, v87
	s_or_b64 exec, exec, s[16:17]
	v_cmp_lt_u32_e32 vcc, v20, v45
	s_and_saveexec_b64 s[16:17], vcc
	s_cbranch_execnz .LBB529_959
.LBB529_944:                            ;   in Loop: Header=BB529_908 Depth=2
	s_or_b64 exec, exec, s[16:17]
	v_cmp_lt_u32_e32 vcc, v22, v45
	s_and_saveexec_b64 s[16:17], vcc
	s_cbranch_execz .LBB529_960
.LBB529_945:                            ;   in Loop: Header=BB529_908 Depth=2
	v_xor_b32_e32 v0, 0x7fffffff, v31
	v_lshrrev_b32_e32 v0, s85, v0
	v_and_b32_e32 v0, s94, v0
	v_lshl_or_b32 v0, v0, 4, v86
	ds_add_u32 v0, v87
	s_or_b64 exec, exec, s[16:17]
	v_cmp_lt_u32_e32 vcc, v24, v45
	s_and_saveexec_b64 s[16:17], vcc
	s_cbranch_execnz .LBB529_961
.LBB529_946:                            ;   in Loop: Header=BB529_908 Depth=2
	s_or_b64 exec, exec, s[16:17]
	v_cmp_lt_u32_e32 vcc, v26, v45
	s_and_saveexec_b64 s[16:17], vcc
	s_cbranch_execz .LBB529_962
.LBB529_947:                            ;   in Loop: Header=BB529_908 Depth=2
	v_xor_b32_e32 v0, 0x7fffffff, v5
	v_lshrrev_b32_e32 v0, s85, v0
	v_and_b32_e32 v0, s94, v0
	v_lshl_or_b32 v0, v0, 4, v86
	ds_add_u32 v0, v87
	s_or_b64 exec, exec, s[16:17]
	v_cmp_lt_u32_e32 vcc, v28, v45
	s_and_saveexec_b64 s[16:17], vcc
	s_cbranch_execz .LBB529_907
	s_branch .LBB529_963
.LBB529_948:                            ;   in Loop: Header=BB529_908 Depth=2
	s_or_b64 exec, exec, s[16:17]
	v_cmp_lt_u32_e32 vcc, v7, v45
	s_and_saveexec_b64 s[16:17], vcc
	s_cbranch_execz .LBB529_934
.LBB529_949:                            ;   in Loop: Header=BB529_908 Depth=2
	v_xor_b32_e32 v0, 0x7fffffff, v42
	v_lshrrev_b32_e32 v0, s85, v0
	v_and_b32_e32 v0, s94, v0
	v_lshl_or_b32 v0, v0, 4, v86
	ds_add_u32 v0, v87
	s_or_b64 exec, exec, s[16:17]
	v_cmp_lt_u32_e32 vcc, v9, v45
	s_and_saveexec_b64 s[16:17], vcc
	s_cbranch_execnz .LBB529_935
.LBB529_950:                            ;   in Loop: Header=BB529_908 Depth=2
	s_or_b64 exec, exec, s[16:17]
	v_cmp_lt_u32_e32 vcc, v11, v45
	s_and_saveexec_b64 s[16:17], vcc
	s_cbranch_execz .LBB529_936
.LBB529_951:                            ;   in Loop: Header=BB529_908 Depth=2
	v_xor_b32_e32 v0, 0x7fffffff, v40
	v_lshrrev_b32_e32 v0, s85, v0
	v_and_b32_e32 v0, s94, v0
	v_lshl_or_b32 v0, v0, 4, v86
	ds_add_u32 v0, v87
	s_or_b64 exec, exec, s[16:17]
	v_cmp_lt_u32_e32 vcc, v6, v45
	s_and_saveexec_b64 s[16:17], vcc
	s_cbranch_execnz .LBB529_937
.LBB529_952:                            ;   in Loop: Header=BB529_908 Depth=2
	s_or_b64 exec, exec, s[16:17]
	v_cmp_lt_u32_e32 vcc, v8, v45
	s_and_saveexec_b64 s[16:17], vcc
	s_cbranch_execz .LBB529_938
.LBB529_953:                            ;   in Loop: Header=BB529_908 Depth=2
	v_xor_b32_e32 v0, 0x7fffffff, v38
	v_lshrrev_b32_e32 v0, s85, v0
	v_and_b32_e32 v0, s94, v0
	v_lshl_or_b32 v0, v0, 4, v86
	ds_add_u32 v0, v87
	s_or_b64 exec, exec, s[16:17]
	v_cmp_lt_u32_e32 vcc, v10, v45
	s_and_saveexec_b64 s[16:17], vcc
	s_cbranch_execnz .LBB529_939
.LBB529_954:                            ;   in Loop: Header=BB529_908 Depth=2
	s_or_b64 exec, exec, s[16:17]
	v_cmp_lt_u32_e32 vcc, v12, v45
	s_and_saveexec_b64 s[16:17], vcc
	s_cbranch_execz .LBB529_940
.LBB529_955:                            ;   in Loop: Header=BB529_908 Depth=2
	v_xor_b32_e32 v0, 0x7fffffff, v36
	v_lshrrev_b32_e32 v0, s85, v0
	v_and_b32_e32 v0, s94, v0
	v_lshl_or_b32 v0, v0, 4, v86
	ds_add_u32 v0, v87
	s_or_b64 exec, exec, s[16:17]
	v_cmp_lt_u32_e32 vcc, v14, v45
	s_and_saveexec_b64 s[16:17], vcc
	s_cbranch_execnz .LBB529_941
.LBB529_956:                            ;   in Loop: Header=BB529_908 Depth=2
	s_or_b64 exec, exec, s[16:17]
	v_cmp_lt_u32_e32 vcc, v16, v45
	s_and_saveexec_b64 s[16:17], vcc
	s_cbranch_execz .LBB529_942
.LBB529_957:                            ;   in Loop: Header=BB529_908 Depth=2
	v_xor_b32_e32 v0, 0x7fffffff, v34
	v_lshrrev_b32_e32 v0, s85, v0
	v_and_b32_e32 v0, s94, v0
	v_lshl_or_b32 v0, v0, 4, v86
	ds_add_u32 v0, v87
	s_or_b64 exec, exec, s[16:17]
	v_cmp_lt_u32_e32 vcc, v18, v45
	s_and_saveexec_b64 s[16:17], vcc
	s_cbranch_execnz .LBB529_943
.LBB529_958:                            ;   in Loop: Header=BB529_908 Depth=2
	s_or_b64 exec, exec, s[16:17]
	v_cmp_lt_u32_e32 vcc, v20, v45
	s_and_saveexec_b64 s[16:17], vcc
	s_cbranch_execz .LBB529_944
.LBB529_959:                            ;   in Loop: Header=BB529_908 Depth=2
	v_xor_b32_e32 v0, 0x7fffffff, v32
	v_lshrrev_b32_e32 v0, s85, v0
	v_and_b32_e32 v0, s94, v0
	v_lshl_or_b32 v0, v0, 4, v86
	ds_add_u32 v0, v87
	s_or_b64 exec, exec, s[16:17]
	v_cmp_lt_u32_e32 vcc, v22, v45
	s_and_saveexec_b64 s[16:17], vcc
	s_cbranch_execnz .LBB529_945
.LBB529_960:                            ;   in Loop: Header=BB529_908 Depth=2
	s_or_b64 exec, exec, s[16:17]
	v_cmp_lt_u32_e32 vcc, v24, v45
	s_and_saveexec_b64 s[16:17], vcc
	s_cbranch_execz .LBB529_946
.LBB529_961:                            ;   in Loop: Header=BB529_908 Depth=2
	v_xor_b32_e32 v0, 0x7fffffff, v30
	v_lshrrev_b32_e32 v0, s85, v0
	v_and_b32_e32 v0, s94, v0
	v_lshl_or_b32 v0, v0, 4, v86
	ds_add_u32 v0, v87
	s_or_b64 exec, exec, s[16:17]
	v_cmp_lt_u32_e32 vcc, v26, v45
	s_and_saveexec_b64 s[16:17], vcc
	s_cbranch_execnz .LBB529_947
.LBB529_962:                            ;   in Loop: Header=BB529_908 Depth=2
	s_or_b64 exec, exec, s[16:17]
	v_cmp_lt_u32_e32 vcc, v28, v45
	s_and_saveexec_b64 s[16:17], vcc
	s_cbranch_execz .LBB529_907
.LBB529_963:                            ;   in Loop: Header=BB529_908 Depth=2
	s_waitcnt vmcnt(0)
	v_xor_b32_e32 v0, 0x7fffffff, v44
	v_lshrrev_b32_e32 v0, s85, v0
	v_and_b32_e32 v0, s94, v0
	v_lshl_or_b32 v0, v0, 4, v86
	ds_add_u32 v0, v87
	s_branch .LBB529_907
.LBB529_964:                            ;   in Loop: Header=BB529_908 Depth=2
	s_or_b64 exec, exec, s[20:21]
	v_cmp_gt_u32_e32 vcc, s22, v7
	s_and_saveexec_b64 s[20:21], vcc
	s_cbranch_execz .LBB529_914
.LBB529_965:                            ;   in Loop: Header=BB529_908 Depth=2
	global_load_dword v42, v88, s[18:19] offset:1024
	s_or_b64 exec, exec, s[20:21]
	v_cmp_gt_u32_e32 vcc, s22, v9
	s_and_saveexec_b64 s[20:21], vcc
	s_cbranch_execnz .LBB529_915
.LBB529_966:                            ;   in Loop: Header=BB529_908 Depth=2
	s_or_b64 exec, exec, s[20:21]
	v_cmp_gt_u32_e32 vcc, s22, v11
	s_and_saveexec_b64 s[20:21], vcc
	s_cbranch_execz .LBB529_916
.LBB529_967:                            ;   in Loop: Header=BB529_908 Depth=2
	global_load_dword v40, v88, s[18:19] offset:3072
	s_or_b64 exec, exec, s[20:21]
	v_cmp_gt_u32_e32 vcc, s22, v6
	s_and_saveexec_b64 s[20:21], vcc
	s_cbranch_execnz .LBB529_917
.LBB529_968:                            ;   in Loop: Header=BB529_908 Depth=2
	s_or_b64 exec, exec, s[20:21]
	v_cmp_gt_u32_e32 vcc, s22, v8
	s_and_saveexec_b64 s[20:21], vcc
	s_cbranch_execz .LBB529_918
.LBB529_969:                            ;   in Loop: Header=BB529_908 Depth=2
	global_load_dword v38, v90, s[18:19]
	s_or_b64 exec, exec, s[20:21]
	v_cmp_gt_u32_e32 vcc, s22, v10
	s_and_saveexec_b64 s[20:21], vcc
	s_cbranch_execnz .LBB529_919
.LBB529_970:                            ;   in Loop: Header=BB529_908 Depth=2
	s_or_b64 exec, exec, s[20:21]
	v_cmp_gt_u32_e32 vcc, s22, v12
	s_and_saveexec_b64 s[20:21], vcc
	s_cbranch_execz .LBB529_920
.LBB529_971:                            ;   in Loop: Header=BB529_908 Depth=2
	global_load_dword v36, v92, s[18:19]
	s_or_b64 exec, exec, s[20:21]
	v_cmp_gt_u32_e32 vcc, s22, v14
	s_and_saveexec_b64 s[20:21], vcc
	s_cbranch_execnz .LBB529_921
.LBB529_972:                            ;   in Loop: Header=BB529_908 Depth=2
	s_or_b64 exec, exec, s[20:21]
	v_cmp_gt_u32_e32 vcc, s22, v16
	s_and_saveexec_b64 s[20:21], vcc
	s_cbranch_execz .LBB529_922
.LBB529_973:                            ;   in Loop: Header=BB529_908 Depth=2
	global_load_dword v34, v94, s[18:19]
	s_or_b64 exec, exec, s[20:21]
	v_cmp_gt_u32_e32 vcc, s22, v18
	s_and_saveexec_b64 s[20:21], vcc
	s_cbranch_execnz .LBB529_923
.LBB529_974:                            ;   in Loop: Header=BB529_908 Depth=2
	s_or_b64 exec, exec, s[20:21]
	v_cmp_gt_u32_e32 vcc, s22, v20
	s_and_saveexec_b64 s[20:21], vcc
	s_cbranch_execz .LBB529_924
.LBB529_975:                            ;   in Loop: Header=BB529_908 Depth=2
	global_load_dword v32, v96, s[18:19]
	s_or_b64 exec, exec, s[20:21]
	v_cmp_gt_u32_e32 vcc, s22, v22
	s_and_saveexec_b64 s[20:21], vcc
	s_cbranch_execnz .LBB529_925
.LBB529_976:                            ;   in Loop: Header=BB529_908 Depth=2
	s_or_b64 exec, exec, s[20:21]
	v_cmp_gt_u32_e32 vcc, s22, v24
	s_and_saveexec_b64 s[20:21], vcc
	s_cbranch_execz .LBB529_926
.LBB529_977:                            ;   in Loop: Header=BB529_908 Depth=2
	global_load_dword v30, v98, s[18:19]
	s_or_b64 exec, exec, s[20:21]
	v_cmp_gt_u32_e32 vcc, s22, v26
	s_and_saveexec_b64 s[20:21], vcc
	s_cbranch_execz .LBB529_928
	s_branch .LBB529_927
.LBB529_978:                            ;   in Loop: Header=BB529_20 Depth=1
	v_mov_b32_e32 v0, 0
	s_waitcnt lgkmcnt(0)
	s_barrier
	s_and_saveexec_b64 s[16:17], s[4:5]
	s_cbranch_execz .LBB529_980
; %bb.979:                              ;   in Loop: Header=BB529_20 Depth=1
	ds_read2_b64 v[30:33], v17 offset1:1
	s_waitcnt lgkmcnt(0)
	v_add_u32_e32 v0, v31, v30
	v_add3_u32 v0, v0, v32, v33
.LBB529_980:                            ;   in Loop: Header=BB529_20 Depth=1
	s_or_b64 exec, exec, s[16:17]
	s_nop 0
	v_mov_b32_dpp v1, v0 row_shr:1 row_mask:0xf bank_mask:0xf
	v_cmp_eq_u32_e64 s[16:17], 0, v102
	v_cndmask_b32_e64 v1, v1, 0, s[16:17]
	v_add_u32_e32 v0, v1, v0
	v_cmp_lt_u32_e64 s[18:19], 1, v102
	v_cmp_lt_u32_e64 s[20:21], 3, v102
	v_mov_b32_dpp v1, v0 row_shr:2 row_mask:0xf bank_mask:0xf
	v_cndmask_b32_e64 v1, 0, v1, s[18:19]
	v_add_u32_e32 v0, v0, v1
	v_cmp_lt_u32_e64 s[22:23], 7, v102
	v_cmp_lt_u32_e64 s[26:27], 31, v101
	v_mov_b32_dpp v1, v0 row_shr:4 row_mask:0xf bank_mask:0xf
	v_cndmask_b32_e64 v1, 0, v1, s[20:21]
	v_add_u32_e32 v0, v0, v1
	v_cmp_eq_u32_e64 s[24:25], 0, v104
	s_nop 0
	v_mov_b32_dpp v1, v0 row_shr:8 row_mask:0xf bank_mask:0xf
	v_cndmask_b32_e64 v1, 0, v1, s[22:23]
	v_add_u32_e32 v0, v0, v1
	s_nop 1
	v_mov_b32_dpp v1, v0 row_bcast:15 row_mask:0xf bank_mask:0xf
	v_and_b32_e32 v1, v103, v1
	v_add_u32_e32 v0, v0, v1
	s_nop 1
	v_mov_b32_dpp v1, v0 row_bcast:31 row_mask:0xf bank_mask:0xf
	v_cndmask_b32_e64 v1, 0, v1, s[26:27]
	v_add_u32_e32 v0, v0, v1
	s_and_saveexec_b64 s[28:29], s[6:7]
	s_cbranch_execz .LBB529_982
; %bb.981:                              ;   in Loop: Header=BB529_20 Depth=1
	ds_write_b32 v21, v0
.LBB529_982:                            ;   in Loop: Header=BB529_20 Depth=1
	s_or_b64 exec, exec, s[28:29]
	s_waitcnt lgkmcnt(0)
	s_barrier
	s_and_saveexec_b64 s[28:29], s[8:9]
	s_cbranch_execz .LBB529_984
; %bb.983:                              ;   in Loop: Header=BB529_20 Depth=1
	ds_read_b32 v1, v23
	v_cmp_ne_u32_e32 vcc, 0, v105
	s_waitcnt lgkmcnt(0)
	v_mov_b32_dpp v5, v1 row_shr:1 row_mask:0xf bank_mask:0xf
	v_cndmask_b32_e32 v5, 0, v5, vcc
	v_add_u32_e32 v1, v5, v1
	v_cmp_lt_u32_e32 vcc, 1, v105
	s_nop 0
	v_mov_b32_dpp v5, v1 row_shr:2 row_mask:0xf bank_mask:0xf
	v_cndmask_b32_e32 v5, 0, v5, vcc
	v_add_u32_e32 v1, v1, v5
	ds_write_b32 v23, v1
.LBB529_984:                            ;   in Loop: Header=BB529_20 Depth=1
	s_or_b64 exec, exec, s[28:29]
	v_mov_b32_e32 v1, 0
	s_waitcnt lgkmcnt(0)
	s_barrier
	s_and_saveexec_b64 s[28:29], s[10:11]
	s_cbranch_execz .LBB529_986
; %bb.985:                              ;   in Loop: Header=BB529_20 Depth=1
	ds_read_b32 v1, v25
.LBB529_986:                            ;   in Loop: Header=BB529_20 Depth=1
	s_or_b64 exec, exec, s[28:29]
	v_cmp_lt_i32_e32 vcc, v106, v107
	v_cndmask_b32_e32 v5, v106, v101, vcc
	s_waitcnt lgkmcnt(0)
	v_add_u32_e32 v0, v1, v0
	v_lshlrev_b32_e32 v127, 2, v5
	ds_bpermute_b32 v0, v127, v0
	v_cmp_eq_u32_e64 s[28:29], 0, v101
	s_waitcnt lgkmcnt(0)
	s_barrier
	s_and_saveexec_b64 s[30:31], s[4:5]
	s_cbranch_execz .LBB529_988
; %bb.987:                              ;   in Loop: Header=BB529_20 Depth=1
	v_cndmask_b32_e64 v0, v0, v1, s[28:29]
	v_add_u32_e32 v0, s69, v0
	ds_write_b32 v3, v0
.LBB529_988:                            ;   in Loop: Header=BB529_20 Depth=1
	s_or_b64 exec, exec, s[30:31]
	s_load_dwordx2 s[30:31], s[90:91], 0x0
	v_add_co_u32_e32 v128, vcc, v82, v108
	v_addc_co_u32_e32 v129, vcc, 0, v83, vcc
	s_waitcnt lgkmcnt(0)
	s_cmp_lt_u32 s68, s30
	s_cselect_b32 s34, 12, 18
	s_cmp_lt_u32 s33, s31
	s_cselect_b32 s30, 14, 20
	s_add_u32 s30, s90, s30
	s_addc_u32 s31, s91, 0
	s_add_u32 s34, s90, s34
	global_load_ushort v5, v4, s[30:31]
	s_addc_u32 s35, s91, 0
	global_load_ushort v60, v4, s[34:35]
	v_add_co_u32_e32 v130, vcc, v84, v125
	v_addc_co_u32_e32 v131, vcc, 0, v85, vcc
	v_add_co_u32_e32 v145, vcc, 0xf00, v130
	v_cmp_eq_u32_e64 s[30:31], 0, v105
	v_cmp_lt_u32_e64 s[34:35], 1, v105
	s_mov_b32 s95, s87
	v_addc_co_u32_e32 v148, vcc, 0, v131, vcc
	s_mov_b32 s88, s69
                                        ; implicit-def: $vgpr0_vgpr1
                                        ; implicit-def: $vgpr30_vgpr31
                                        ; implicit-def: $vgpr32_vgpr33
                                        ; implicit-def: $vgpr36_vgpr37
                                        ; implicit-def: $vgpr40_vgpr41
                                        ; implicit-def: $vgpr44_vgpr45
                                        ; implicit-def: $vgpr48_vgpr49
                                        ; implicit-def: $vgpr52_vgpr53
                                        ; implicit-def: $vgpr34_vgpr35
                                        ; implicit-def: $vgpr38_vgpr39
                                        ; implicit-def: $vgpr42_vgpr43
                                        ; implicit-def: $vgpr46_vgpr47
                                        ; implicit-def: $vgpr50_vgpr51
                                        ; implicit-def: $vgpr54_vgpr55
                                        ; implicit-def: $vgpr56_vgpr57
                                        ; implicit-def: $vgpr58_vgpr59
                                        ; implicit-def: $vgpr132
                                        ; implicit-def: $vgpr133
                                        ; implicit-def: $vgpr134
                                        ; implicit-def: $vgpr135
                                        ; implicit-def: $vgpr136
                                        ; implicit-def: $vgpr137
                                        ; implicit-def: $vgpr138
                                        ; implicit-def: $vgpr139
                                        ; implicit-def: $vgpr140
                                        ; implicit-def: $vgpr141
                                        ; implicit-def: $vgpr142
                                        ; implicit-def: $vgpr143
                                        ; implicit-def: $vgpr144
                                        ; implicit-def: $vgpr146
                                        ; implicit-def: $vgpr147
                                        ; implicit-def: $vgpr149
	s_waitcnt vmcnt(1)
	v_mad_u32_u24 v5, v27, v5, v29
	s_waitcnt vmcnt(0)
	v_mad_u64_u32 v[60:61], s[36:37], v5, v60, v[2:3]
	v_lshrrev_b32_e32 v150, 6, v60
	s_branch .LBB529_990
.LBB529_989:                            ;   in Loop: Header=BB529_990 Depth=2
	s_or_b64 exec, exec, s[36:37]
	s_addk_i32 s95, 0xf000
	s_cmp_lt_u32 s96, s92
	s_mov_b32 s88, s96
	s_cbranch_scc0 .LBB529_18
.LBB529_990:                            ;   Parent Loop BB529_20 Depth=1
                                        ; =>  This Inner Loop Header: Depth=2
	s_add_i32 s96, s88, 0x1000
	s_cmp_gt_u32 s96, s92
	s_cbranch_scc1 .LBB529_993
; %bb.991:                              ;   in Loop: Header=BB529_990 Depth=2
	s_lshl_b64 s[36:37], s[88:89], 2
	v_mov_b32_e32 v5, s37
	v_add_co_u32_e32 v60, vcc, s36, v130
	v_addc_co_u32_e32 v61, vcc, v131, v5, vcc
	global_load_dword v5, v[60:61], off
	global_load_dword v154, v[60:61], off offset:256
	global_load_dword v159, v[60:61], off offset:512
	;; [unrolled: 1-line block ×14, first 2 shown]
	s_mov_b64 s[36:37], -1
	s_movk_i32 s40, 0x1000
	s_cbranch_execz .LBB529_994
; %bb.992:                              ;   in Loop: Header=BB529_990 Depth=2
                                        ; implicit-def: $sgpr38
	v_mov_b32_e32 v63, s38
	v_mov_b32_e32 v151, s95
	s_and_saveexec_b64 s[38:39], s[36:37]
	s_cbranch_execnz .LBB529_1025
	s_branch .LBB529_1026
.LBB529_993:                            ;   in Loop: Header=BB529_990 Depth=2
	s_mov_b64 s[36:37], 0
                                        ; implicit-def: $sgpr40
                                        ; implicit-def: $vgpr5
                                        ; implicit-def: $vgpr154
                                        ; implicit-def: $vgpr159
                                        ; implicit-def: $vgpr164
                                        ; implicit-def: $vgpr169
                                        ; implicit-def: $vgpr174
                                        ; implicit-def: $vgpr179
                                        ; implicit-def: $vgpr184
                                        ; implicit-def: $vgpr182
                                        ; implicit-def: $vgpr177
                                        ; implicit-def: $vgpr173
                                        ; implicit-def: $vgpr168
                                        ; implicit-def: $vgpr163
                                        ; implicit-def: $vgpr158
                                        ; implicit-def: $vgpr62
.LBB529_994:                            ;   in Loop: Header=BB529_990 Depth=2
	s_lshl_b64 s[36:37], s[88:89], 2
	s_waitcnt vmcnt(14)
	v_mov_b32_e32 v5, s37
	v_add_co_u32_e32 v60, vcc, s36, v130
	v_addc_co_u32_e32 v61, vcc, v131, v5, vcc
	v_cmp_gt_u32_e32 vcc, s95, v109
	s_waitcnt vmcnt(13)
	v_bfrev_b32_e32 v154, 1
	v_bfrev_b32_e32 v5, 1
	s_and_saveexec_b64 s[36:37], vcc
	s_cbranch_execz .LBB529_996
; %bb.995:                              ;   in Loop: Header=BB529_990 Depth=2
	global_load_dword v5, v[60:61], off
.LBB529_996:                            ;   in Loop: Header=BB529_990 Depth=2
	s_or_b64 exec, exec, s[36:37]
	v_cmp_gt_u32_e32 vcc, s95, v110
	s_and_saveexec_b64 s[36:37], vcc
	s_cbranch_execz .LBB529_998
; %bb.997:                              ;   in Loop: Header=BB529_990 Depth=2
	global_load_dword v154, v[60:61], off offset:256
.LBB529_998:                            ;   in Loop: Header=BB529_990 Depth=2
	s_or_b64 exec, exec, s[36:37]
	v_cmp_gt_u32_e32 vcc, s95, v111
	s_waitcnt vmcnt(11)
	v_bfrev_b32_e32 v164, 1
	v_bfrev_b32_e32 v159, 1
	s_and_saveexec_b64 s[36:37], vcc
	s_cbranch_execz .LBB529_1000
; %bb.999:                              ;   in Loop: Header=BB529_990 Depth=2
	global_load_dword v159, v[60:61], off offset:512
.LBB529_1000:                           ;   in Loop: Header=BB529_990 Depth=2
	s_or_b64 exec, exec, s[36:37]
	v_cmp_gt_u32_e32 vcc, s95, v112
	s_and_saveexec_b64 s[36:37], vcc
	s_cbranch_execz .LBB529_1002
; %bb.1001:                             ;   in Loop: Header=BB529_990 Depth=2
	global_load_dword v164, v[60:61], off offset:768
.LBB529_1002:                           ;   in Loop: Header=BB529_990 Depth=2
	s_or_b64 exec, exec, s[36:37]
	v_cmp_gt_u32_e32 vcc, s95, v113
	s_waitcnt vmcnt(9)
	v_bfrev_b32_e32 v174, 1
	v_bfrev_b32_e32 v169, 1
	s_and_saveexec_b64 s[36:37], vcc
	s_cbranch_execz .LBB529_1004
; %bb.1003:                             ;   in Loop: Header=BB529_990 Depth=2
	global_load_dword v169, v[60:61], off offset:1024
.LBB529_1004:                           ;   in Loop: Header=BB529_990 Depth=2
	s_or_b64 exec, exec, s[36:37]
	v_cmp_gt_u32_e32 vcc, s95, v114
	s_and_saveexec_b64 s[36:37], vcc
	s_cbranch_execz .LBB529_1006
; %bb.1005:                             ;   in Loop: Header=BB529_990 Depth=2
	global_load_dword v174, v[60:61], off offset:1280
.LBB529_1006:                           ;   in Loop: Header=BB529_990 Depth=2
	s_or_b64 exec, exec, s[36:37]
	v_cmp_gt_u32_e32 vcc, s95, v115
	s_waitcnt vmcnt(7)
	v_bfrev_b32_e32 v184, 1
	v_bfrev_b32_e32 v179, 1
	s_and_saveexec_b64 s[36:37], vcc
	s_cbranch_execz .LBB529_1008
; %bb.1007:                             ;   in Loop: Header=BB529_990 Depth=2
	global_load_dword v179, v[60:61], off offset:1536
.LBB529_1008:                           ;   in Loop: Header=BB529_990 Depth=2
	;; [unrolled: 17-line block ×5, first 2 shown]
	s_or_b64 exec, exec, s[36:37]
	v_cmp_gt_u32_e32 vcc, s95, v122
	s_and_saveexec_b64 s[36:37], vcc
	s_cbranch_execz .LBB529_1022
; %bb.1021:                             ;   in Loop: Header=BB529_990 Depth=2
	global_load_dword v158, v[60:61], off offset:3328
.LBB529_1022:                           ;   in Loop: Header=BB529_990 Depth=2
	s_or_b64 exec, exec, s[36:37]
	v_cmp_gt_u32_e32 vcc, s95, v123
	s_waitcnt vmcnt(0)
	v_bfrev_b32_e32 v62, 1
	s_and_saveexec_b64 s[36:37], vcc
	s_cbranch_execz .LBB529_1024
; %bb.1023:                             ;   in Loop: Header=BB529_990 Depth=2
	global_load_dword v62, v[60:61], off offset:3584
.LBB529_1024:                           ;   in Loop: Header=BB529_990 Depth=2
	s_or_b64 exec, exec, s[36:37]
	s_sub_i32 s40, s92, s88
	v_cmp_gt_u32_e64 s[36:37], s95, v124
	s_brev_b32 s38, 1
	v_mov_b32_e32 v63, s38
	v_mov_b32_e32 v151, s95
	s_and_saveexec_b64 s[38:39], s[36:37]
	s_cbranch_execz .LBB529_1026
.LBB529_1025:                           ;   in Loop: Header=BB529_990 Depth=2
	s_lshl_b64 s[36:37], s[88:89], 2
	v_mov_b32_e32 v61, s37
	v_add_co_u32_e32 v60, vcc, s36, v145
	v_addc_co_u32_e32 v61, vcc, v148, v61, vcc
	global_load_dword v63, v[60:61], off
	v_mov_b32_e32 v151, s40
.LBB529_1026:                           ;   in Loop: Header=BB529_990 Depth=2
	s_or_b64 exec, exec, s[38:39]
	s_waitcnt vmcnt(14)
	v_xor_b32_e32 v152, 0x7fffffff, v5
	v_lshrrev_b32_e32 v5, s85, v152
	v_and_b32_e32 v60, s94, v5
	v_mad_u32_u24 v5, v60, 5, v150
	v_lshl_add_u32 v153, v5, 2, v65
	v_and_b32_e32 v5, 1, v60
	v_add_co_u32_e32 v61, vcc, -1, v5
	v_addc_co_u32_e64 v155, s[36:37], 0, -1, vcc
	v_cmp_ne_u32_e32 vcc, 0, v5
	v_xor_b32_e32 v5, vcc_hi, v155
	v_and_b32_e32 v155, exec_hi, v5
	v_lshlrev_b32_e32 v5, 30, v60
	v_xor_b32_e32 v61, vcc_lo, v61
	v_cmp_gt_i64_e32 vcc, 0, v[4:5]
	v_not_b32_e32 v5, v5
	v_ashrrev_i32_e32 v5, 31, v5
	v_and_b32_e32 v61, exec_lo, v61
	v_xor_b32_e32 v156, vcc_hi, v5
	v_xor_b32_e32 v5, vcc_lo, v5
	v_and_b32_e32 v61, v61, v5
	v_lshlrev_b32_e32 v5, 29, v60
	v_cmp_gt_i64_e32 vcc, 0, v[4:5]
	v_not_b32_e32 v5, v5
	v_ashrrev_i32_e32 v5, 31, v5
	v_and_b32_e32 v155, v155, v156
	v_xor_b32_e32 v156, vcc_hi, v5
	v_xor_b32_e32 v5, vcc_lo, v5
	v_and_b32_e32 v61, v61, v5
	v_lshlrev_b32_e32 v5, 28, v60
	v_cmp_gt_i64_e32 vcc, 0, v[4:5]
	v_not_b32_e32 v5, v5
	v_ashrrev_i32_e32 v5, 31, v5
	v_and_b32_e32 v155, v155, v156
	;; [unrolled: 8-line block ×5, first 2 shown]
	v_xor_b32_e32 v156, vcc_hi, v5
	v_xor_b32_e32 v5, vcc_lo, v5
	v_and_b32_e32 v155, v155, v156
	v_and_b32_e32 v156, v61, v5
	v_lshlrev_b32_e32 v5, 24, v60
	v_cmp_gt_i64_e32 vcc, 0, v[4:5]
	v_not_b32_e32 v5, v5
	v_ashrrev_i32_e32 v5, 31, v5
	v_xor_b32_e32 v60, vcc_hi, v5
	v_xor_b32_e32 v5, vcc_lo, v5
	v_and_b32_e32 v61, v155, v60
	v_and_b32_e32 v60, v156, v5
	v_mbcnt_lo_u32_b32 v5, v60, 0
	v_mbcnt_hi_u32_b32 v155, v61, v5
	v_cmp_eq_u32_e32 vcc, 0, v155
	v_cmp_ne_u64_e64 s[36:37], 0, v[60:61]
	s_and_b64 s[38:39], s[36:37], vcc
	ds_write2_b32 v126, v4, v4 offset1:1
	ds_write2_b32 v66, v4, v4 offset0:2 offset1:3
	ds_write_b32 v66, v4 offset:16
	s_waitcnt lgkmcnt(0)
	s_barrier
	s_waitcnt lgkmcnt(0)
	; wave barrier
	s_and_saveexec_b64 s[36:37], s[38:39]
	s_cbranch_execz .LBB529_1028
; %bb.1027:                             ;   in Loop: Header=BB529_990 Depth=2
	v_bcnt_u32_b32 v5, v60, 0
	v_bcnt_u32_b32 v5, v61, v5
	ds_write_b32 v153, v5
.LBB529_1028:                           ;   in Loop: Header=BB529_990 Depth=2
	s_or_b64 exec, exec, s[36:37]
	s_waitcnt vmcnt(13)
	v_xor_b32_e32 v154, 0x7fffffff, v154
	v_lshrrev_b32_e32 v5, s85, v154
	v_and_b32_e32 v60, s94, v5
	v_mul_u32_u24_e32 v5, 5, v60
	v_add_lshl_u32 v5, v5, v150, 2
	; wave barrier
	v_add_u32_e32 v157, 0x410, v5
	ds_read_b32 v156, v5 offset:1040
	v_and_b32_e32 v5, 1, v60
	v_add_co_u32_e32 v61, vcc, -1, v5
	v_addc_co_u32_e64 v160, s[36:37], 0, -1, vcc
	v_cmp_ne_u32_e32 vcc, 0, v5
	v_xor_b32_e32 v5, vcc_hi, v160
	v_and_b32_e32 v160, exec_hi, v5
	v_lshlrev_b32_e32 v5, 30, v60
	v_xor_b32_e32 v61, vcc_lo, v61
	v_cmp_gt_i64_e32 vcc, 0, v[4:5]
	v_not_b32_e32 v5, v5
	v_ashrrev_i32_e32 v5, 31, v5
	v_and_b32_e32 v61, exec_lo, v61
	v_xor_b32_e32 v161, vcc_hi, v5
	v_xor_b32_e32 v5, vcc_lo, v5
	v_and_b32_e32 v61, v61, v5
	v_lshlrev_b32_e32 v5, 29, v60
	v_cmp_gt_i64_e32 vcc, 0, v[4:5]
	v_not_b32_e32 v5, v5
	v_ashrrev_i32_e32 v5, 31, v5
	v_and_b32_e32 v160, v160, v161
	v_xor_b32_e32 v161, vcc_hi, v5
	v_xor_b32_e32 v5, vcc_lo, v5
	v_and_b32_e32 v61, v61, v5
	v_lshlrev_b32_e32 v5, 28, v60
	v_cmp_gt_i64_e32 vcc, 0, v[4:5]
	v_not_b32_e32 v5, v5
	v_ashrrev_i32_e32 v5, 31, v5
	v_and_b32_e32 v160, v160, v161
	;; [unrolled: 8-line block ×5, first 2 shown]
	v_xor_b32_e32 v161, vcc_hi, v5
	v_xor_b32_e32 v5, vcc_lo, v5
	v_and_b32_e32 v160, v160, v161
	v_and_b32_e32 v161, v61, v5
	v_lshlrev_b32_e32 v5, 24, v60
	v_cmp_gt_i64_e32 vcc, 0, v[4:5]
	v_not_b32_e32 v5, v5
	v_ashrrev_i32_e32 v5, 31, v5
	v_xor_b32_e32 v60, vcc_hi, v5
	v_xor_b32_e32 v5, vcc_lo, v5
	v_and_b32_e32 v61, v160, v60
	v_and_b32_e32 v60, v161, v5
	v_mbcnt_lo_u32_b32 v5, v60, 0
	v_mbcnt_hi_u32_b32 v160, v61, v5
	v_cmp_eq_u32_e32 vcc, 0, v160
	v_cmp_ne_u64_e64 s[36:37], 0, v[60:61]
	s_and_b64 s[38:39], s[36:37], vcc
	; wave barrier
	s_and_saveexec_b64 s[36:37], s[38:39]
	s_cbranch_execz .LBB529_1030
; %bb.1029:                             ;   in Loop: Header=BB529_990 Depth=2
	v_bcnt_u32_b32 v5, v60, 0
	v_bcnt_u32_b32 v5, v61, v5
	s_waitcnt lgkmcnt(0)
	v_add_u32_e32 v5, v156, v5
	ds_write_b32 v157, v5
.LBB529_1030:                           ;   in Loop: Header=BB529_990 Depth=2
	s_or_b64 exec, exec, s[36:37]
	s_waitcnt vmcnt(12)
	v_xor_b32_e32 v159, 0x7fffffff, v159
	v_lshrrev_b32_e32 v5, s85, v159
	v_and_b32_e32 v60, s94, v5
	v_mul_u32_u24_e32 v5, 5, v60
	v_add_lshl_u32 v5, v5, v150, 2
	; wave barrier
	v_add_u32_e32 v162, 0x410, v5
	ds_read_b32 v161, v5 offset:1040
	v_and_b32_e32 v5, 1, v60
	v_add_co_u32_e32 v61, vcc, -1, v5
	v_addc_co_u32_e64 v165, s[36:37], 0, -1, vcc
	v_cmp_ne_u32_e32 vcc, 0, v5
	v_xor_b32_e32 v5, vcc_hi, v165
	v_and_b32_e32 v165, exec_hi, v5
	v_lshlrev_b32_e32 v5, 30, v60
	v_xor_b32_e32 v61, vcc_lo, v61
	v_cmp_gt_i64_e32 vcc, 0, v[4:5]
	v_not_b32_e32 v5, v5
	v_ashrrev_i32_e32 v5, 31, v5
	v_and_b32_e32 v61, exec_lo, v61
	v_xor_b32_e32 v166, vcc_hi, v5
	v_xor_b32_e32 v5, vcc_lo, v5
	v_and_b32_e32 v61, v61, v5
	v_lshlrev_b32_e32 v5, 29, v60
	v_cmp_gt_i64_e32 vcc, 0, v[4:5]
	v_not_b32_e32 v5, v5
	v_ashrrev_i32_e32 v5, 31, v5
	v_and_b32_e32 v165, v165, v166
	v_xor_b32_e32 v166, vcc_hi, v5
	v_xor_b32_e32 v5, vcc_lo, v5
	v_and_b32_e32 v61, v61, v5
	v_lshlrev_b32_e32 v5, 28, v60
	v_cmp_gt_i64_e32 vcc, 0, v[4:5]
	v_not_b32_e32 v5, v5
	v_ashrrev_i32_e32 v5, 31, v5
	v_and_b32_e32 v165, v165, v166
	v_xor_b32_e32 v166, vcc_hi, v5
	v_xor_b32_e32 v5, vcc_lo, v5
	v_and_b32_e32 v61, v61, v5
	v_lshlrev_b32_e32 v5, 27, v60
	v_cmp_gt_i64_e32 vcc, 0, v[4:5]
	v_not_b32_e32 v5, v5
	v_ashrrev_i32_e32 v5, 31, v5
	v_and_b32_e32 v165, v165, v166
	v_xor_b32_e32 v166, vcc_hi, v5
	v_xor_b32_e32 v5, vcc_lo, v5
	v_and_b32_e32 v61, v61, v5
	v_lshlrev_b32_e32 v5, 26, v60
	v_cmp_gt_i64_e32 vcc, 0, v[4:5]
	v_not_b32_e32 v5, v5
	v_ashrrev_i32_e32 v5, 31, v5
	v_and_b32_e32 v165, v165, v166
	v_xor_b32_e32 v166, vcc_hi, v5
	v_xor_b32_e32 v5, vcc_lo, v5
	v_and_b32_e32 v61, v61, v5
	v_lshlrev_b32_e32 v5, 25, v60
	v_cmp_gt_i64_e32 vcc, 0, v[4:5]
	v_not_b32_e32 v5, v5
	v_ashrrev_i32_e32 v5, 31, v5
	v_and_b32_e32 v165, v165, v166
	v_xor_b32_e32 v166, vcc_hi, v5
	v_xor_b32_e32 v5, vcc_lo, v5
	v_and_b32_e32 v165, v165, v166
	v_and_b32_e32 v166, v61, v5
	v_lshlrev_b32_e32 v5, 24, v60
	v_cmp_gt_i64_e32 vcc, 0, v[4:5]
	v_not_b32_e32 v5, v5
	v_ashrrev_i32_e32 v5, 31, v5
	v_xor_b32_e32 v60, vcc_hi, v5
	v_xor_b32_e32 v5, vcc_lo, v5
	v_and_b32_e32 v61, v165, v60
	v_and_b32_e32 v60, v166, v5
	v_mbcnt_lo_u32_b32 v5, v60, 0
	v_mbcnt_hi_u32_b32 v165, v61, v5
	v_cmp_eq_u32_e32 vcc, 0, v165
	v_cmp_ne_u64_e64 s[36:37], 0, v[60:61]
	s_and_b64 s[38:39], s[36:37], vcc
	; wave barrier
	s_and_saveexec_b64 s[36:37], s[38:39]
	s_cbranch_execz .LBB529_1032
; %bb.1031:                             ;   in Loop: Header=BB529_990 Depth=2
	v_bcnt_u32_b32 v5, v60, 0
	v_bcnt_u32_b32 v5, v61, v5
	s_waitcnt lgkmcnt(0)
	v_add_u32_e32 v5, v161, v5
	ds_write_b32 v162, v5
.LBB529_1032:                           ;   in Loop: Header=BB529_990 Depth=2
	s_or_b64 exec, exec, s[36:37]
	s_waitcnt vmcnt(11)
	v_xor_b32_e32 v164, 0x7fffffff, v164
	v_lshrrev_b32_e32 v5, s85, v164
	v_and_b32_e32 v60, s94, v5
	v_mul_u32_u24_e32 v5, 5, v60
	v_add_lshl_u32 v5, v5, v150, 2
	; wave barrier
	v_add_u32_e32 v167, 0x410, v5
	ds_read_b32 v166, v5 offset:1040
	v_and_b32_e32 v5, 1, v60
	v_add_co_u32_e32 v61, vcc, -1, v5
	v_addc_co_u32_e64 v170, s[36:37], 0, -1, vcc
	v_cmp_ne_u32_e32 vcc, 0, v5
	v_xor_b32_e32 v5, vcc_hi, v170
	v_and_b32_e32 v170, exec_hi, v5
	v_lshlrev_b32_e32 v5, 30, v60
	v_xor_b32_e32 v61, vcc_lo, v61
	v_cmp_gt_i64_e32 vcc, 0, v[4:5]
	v_not_b32_e32 v5, v5
	v_ashrrev_i32_e32 v5, 31, v5
	v_and_b32_e32 v61, exec_lo, v61
	v_xor_b32_e32 v171, vcc_hi, v5
	v_xor_b32_e32 v5, vcc_lo, v5
	v_and_b32_e32 v61, v61, v5
	v_lshlrev_b32_e32 v5, 29, v60
	v_cmp_gt_i64_e32 vcc, 0, v[4:5]
	v_not_b32_e32 v5, v5
	v_ashrrev_i32_e32 v5, 31, v5
	v_and_b32_e32 v170, v170, v171
	v_xor_b32_e32 v171, vcc_hi, v5
	v_xor_b32_e32 v5, vcc_lo, v5
	v_and_b32_e32 v61, v61, v5
	v_lshlrev_b32_e32 v5, 28, v60
	v_cmp_gt_i64_e32 vcc, 0, v[4:5]
	v_not_b32_e32 v5, v5
	v_ashrrev_i32_e32 v5, 31, v5
	v_and_b32_e32 v170, v170, v171
	;; [unrolled: 8-line block ×5, first 2 shown]
	v_xor_b32_e32 v171, vcc_hi, v5
	v_xor_b32_e32 v5, vcc_lo, v5
	v_and_b32_e32 v170, v170, v171
	v_and_b32_e32 v171, v61, v5
	v_lshlrev_b32_e32 v5, 24, v60
	v_cmp_gt_i64_e32 vcc, 0, v[4:5]
	v_not_b32_e32 v5, v5
	v_ashrrev_i32_e32 v5, 31, v5
	v_xor_b32_e32 v60, vcc_hi, v5
	v_xor_b32_e32 v5, vcc_lo, v5
	v_and_b32_e32 v61, v170, v60
	v_and_b32_e32 v60, v171, v5
	v_mbcnt_lo_u32_b32 v5, v60, 0
	v_mbcnt_hi_u32_b32 v170, v61, v5
	v_cmp_eq_u32_e32 vcc, 0, v170
	v_cmp_ne_u64_e64 s[36:37], 0, v[60:61]
	s_and_b64 s[38:39], s[36:37], vcc
	; wave barrier
	s_and_saveexec_b64 s[36:37], s[38:39]
	s_cbranch_execz .LBB529_1034
; %bb.1033:                             ;   in Loop: Header=BB529_990 Depth=2
	v_bcnt_u32_b32 v5, v60, 0
	v_bcnt_u32_b32 v5, v61, v5
	s_waitcnt lgkmcnt(0)
	v_add_u32_e32 v5, v166, v5
	ds_write_b32 v167, v5
.LBB529_1034:                           ;   in Loop: Header=BB529_990 Depth=2
	s_or_b64 exec, exec, s[36:37]
	s_waitcnt vmcnt(10)
	v_xor_b32_e32 v169, 0x7fffffff, v169
	v_lshrrev_b32_e32 v5, s85, v169
	v_and_b32_e32 v60, s94, v5
	v_mul_u32_u24_e32 v5, 5, v60
	v_add_lshl_u32 v5, v5, v150, 2
	; wave barrier
	v_add_u32_e32 v172, 0x410, v5
	ds_read_b32 v171, v5 offset:1040
	v_and_b32_e32 v5, 1, v60
	v_add_co_u32_e32 v61, vcc, -1, v5
	v_addc_co_u32_e64 v175, s[36:37], 0, -1, vcc
	v_cmp_ne_u32_e32 vcc, 0, v5
	v_xor_b32_e32 v5, vcc_hi, v175
	v_and_b32_e32 v175, exec_hi, v5
	v_lshlrev_b32_e32 v5, 30, v60
	v_xor_b32_e32 v61, vcc_lo, v61
	v_cmp_gt_i64_e32 vcc, 0, v[4:5]
	v_not_b32_e32 v5, v5
	v_ashrrev_i32_e32 v5, 31, v5
	v_and_b32_e32 v61, exec_lo, v61
	v_xor_b32_e32 v176, vcc_hi, v5
	v_xor_b32_e32 v5, vcc_lo, v5
	v_and_b32_e32 v61, v61, v5
	v_lshlrev_b32_e32 v5, 29, v60
	v_cmp_gt_i64_e32 vcc, 0, v[4:5]
	v_not_b32_e32 v5, v5
	v_ashrrev_i32_e32 v5, 31, v5
	v_and_b32_e32 v175, v175, v176
	v_xor_b32_e32 v176, vcc_hi, v5
	v_xor_b32_e32 v5, vcc_lo, v5
	v_and_b32_e32 v61, v61, v5
	v_lshlrev_b32_e32 v5, 28, v60
	v_cmp_gt_i64_e32 vcc, 0, v[4:5]
	v_not_b32_e32 v5, v5
	v_ashrrev_i32_e32 v5, 31, v5
	v_and_b32_e32 v175, v175, v176
	;; [unrolled: 8-line block ×5, first 2 shown]
	v_xor_b32_e32 v176, vcc_hi, v5
	v_xor_b32_e32 v5, vcc_lo, v5
	v_and_b32_e32 v175, v175, v176
	v_and_b32_e32 v176, v61, v5
	v_lshlrev_b32_e32 v5, 24, v60
	v_cmp_gt_i64_e32 vcc, 0, v[4:5]
	v_not_b32_e32 v5, v5
	v_ashrrev_i32_e32 v5, 31, v5
	v_xor_b32_e32 v60, vcc_hi, v5
	v_xor_b32_e32 v5, vcc_lo, v5
	v_and_b32_e32 v61, v175, v60
	v_and_b32_e32 v60, v176, v5
	v_mbcnt_lo_u32_b32 v5, v60, 0
	v_mbcnt_hi_u32_b32 v175, v61, v5
	v_cmp_eq_u32_e32 vcc, 0, v175
	v_cmp_ne_u64_e64 s[36:37], 0, v[60:61]
	s_and_b64 s[38:39], s[36:37], vcc
	; wave barrier
	s_and_saveexec_b64 s[36:37], s[38:39]
	s_cbranch_execz .LBB529_1036
; %bb.1035:                             ;   in Loop: Header=BB529_990 Depth=2
	v_bcnt_u32_b32 v5, v60, 0
	v_bcnt_u32_b32 v5, v61, v5
	s_waitcnt lgkmcnt(0)
	v_add_u32_e32 v5, v171, v5
	ds_write_b32 v172, v5
.LBB529_1036:                           ;   in Loop: Header=BB529_990 Depth=2
	s_or_b64 exec, exec, s[36:37]
	s_waitcnt vmcnt(9)
	v_xor_b32_e32 v174, 0x7fffffff, v174
	v_lshrrev_b32_e32 v5, s85, v174
	v_and_b32_e32 v60, s94, v5
	v_mul_u32_u24_e32 v5, 5, v60
	v_add_lshl_u32 v5, v5, v150, 2
	; wave barrier
	v_add_u32_e32 v178, 0x410, v5
	ds_read_b32 v176, v5 offset:1040
	v_and_b32_e32 v5, 1, v60
	v_add_co_u32_e32 v61, vcc, -1, v5
	v_addc_co_u32_e64 v180, s[36:37], 0, -1, vcc
	v_cmp_ne_u32_e32 vcc, 0, v5
	v_xor_b32_e32 v5, vcc_hi, v180
	v_and_b32_e32 v180, exec_hi, v5
	v_lshlrev_b32_e32 v5, 30, v60
	v_xor_b32_e32 v61, vcc_lo, v61
	v_cmp_gt_i64_e32 vcc, 0, v[4:5]
	v_not_b32_e32 v5, v5
	v_ashrrev_i32_e32 v5, 31, v5
	v_and_b32_e32 v61, exec_lo, v61
	v_xor_b32_e32 v181, vcc_hi, v5
	v_xor_b32_e32 v5, vcc_lo, v5
	v_and_b32_e32 v61, v61, v5
	v_lshlrev_b32_e32 v5, 29, v60
	v_cmp_gt_i64_e32 vcc, 0, v[4:5]
	v_not_b32_e32 v5, v5
	v_ashrrev_i32_e32 v5, 31, v5
	v_and_b32_e32 v180, v180, v181
	v_xor_b32_e32 v181, vcc_hi, v5
	v_xor_b32_e32 v5, vcc_lo, v5
	v_and_b32_e32 v61, v61, v5
	v_lshlrev_b32_e32 v5, 28, v60
	v_cmp_gt_i64_e32 vcc, 0, v[4:5]
	v_not_b32_e32 v5, v5
	v_ashrrev_i32_e32 v5, 31, v5
	v_and_b32_e32 v180, v180, v181
	;; [unrolled: 8-line block ×5, first 2 shown]
	v_xor_b32_e32 v181, vcc_hi, v5
	v_xor_b32_e32 v5, vcc_lo, v5
	v_and_b32_e32 v180, v180, v181
	v_and_b32_e32 v181, v61, v5
	v_lshlrev_b32_e32 v5, 24, v60
	v_cmp_gt_i64_e32 vcc, 0, v[4:5]
	v_not_b32_e32 v5, v5
	v_ashrrev_i32_e32 v5, 31, v5
	v_xor_b32_e32 v60, vcc_hi, v5
	v_xor_b32_e32 v5, vcc_lo, v5
	v_and_b32_e32 v61, v180, v60
	v_and_b32_e32 v60, v181, v5
	v_mbcnt_lo_u32_b32 v5, v60, 0
	v_mbcnt_hi_u32_b32 v180, v61, v5
	v_cmp_eq_u32_e32 vcc, 0, v180
	v_cmp_ne_u64_e64 s[36:37], 0, v[60:61]
	s_and_b64 s[38:39], s[36:37], vcc
	; wave barrier
	s_and_saveexec_b64 s[36:37], s[38:39]
	s_cbranch_execz .LBB529_1038
; %bb.1037:                             ;   in Loop: Header=BB529_990 Depth=2
	v_bcnt_u32_b32 v5, v60, 0
	v_bcnt_u32_b32 v5, v61, v5
	s_waitcnt lgkmcnt(0)
	v_add_u32_e32 v5, v176, v5
	ds_write_b32 v178, v5
.LBB529_1038:                           ;   in Loop: Header=BB529_990 Depth=2
	s_or_b64 exec, exec, s[36:37]
	s_waitcnt vmcnt(8)
	v_xor_b32_e32 v179, 0x7fffffff, v179
	v_lshrrev_b32_e32 v5, s85, v179
	v_and_b32_e32 v60, s94, v5
	v_mul_u32_u24_e32 v5, 5, v60
	v_add_lshl_u32 v5, v5, v150, 2
	; wave barrier
	v_add_u32_e32 v183, 0x410, v5
	ds_read_b32 v181, v5 offset:1040
	v_and_b32_e32 v5, 1, v60
	v_add_co_u32_e32 v61, vcc, -1, v5
	v_addc_co_u32_e64 v185, s[36:37], 0, -1, vcc
	v_cmp_ne_u32_e32 vcc, 0, v5
	v_xor_b32_e32 v5, vcc_hi, v185
	v_and_b32_e32 v185, exec_hi, v5
	v_lshlrev_b32_e32 v5, 30, v60
	v_xor_b32_e32 v61, vcc_lo, v61
	v_cmp_gt_i64_e32 vcc, 0, v[4:5]
	v_not_b32_e32 v5, v5
	v_ashrrev_i32_e32 v5, 31, v5
	v_and_b32_e32 v61, exec_lo, v61
	v_xor_b32_e32 v186, vcc_hi, v5
	v_xor_b32_e32 v5, vcc_lo, v5
	v_and_b32_e32 v61, v61, v5
	v_lshlrev_b32_e32 v5, 29, v60
	v_cmp_gt_i64_e32 vcc, 0, v[4:5]
	v_not_b32_e32 v5, v5
	v_ashrrev_i32_e32 v5, 31, v5
	v_and_b32_e32 v185, v185, v186
	v_xor_b32_e32 v186, vcc_hi, v5
	v_xor_b32_e32 v5, vcc_lo, v5
	v_and_b32_e32 v61, v61, v5
	v_lshlrev_b32_e32 v5, 28, v60
	v_cmp_gt_i64_e32 vcc, 0, v[4:5]
	v_not_b32_e32 v5, v5
	v_ashrrev_i32_e32 v5, 31, v5
	v_and_b32_e32 v185, v185, v186
	;; [unrolled: 8-line block ×5, first 2 shown]
	v_xor_b32_e32 v186, vcc_hi, v5
	v_xor_b32_e32 v5, vcc_lo, v5
	v_and_b32_e32 v185, v185, v186
	v_and_b32_e32 v186, v61, v5
	v_lshlrev_b32_e32 v5, 24, v60
	v_cmp_gt_i64_e32 vcc, 0, v[4:5]
	v_not_b32_e32 v5, v5
	v_ashrrev_i32_e32 v5, 31, v5
	v_xor_b32_e32 v60, vcc_hi, v5
	v_xor_b32_e32 v5, vcc_lo, v5
	v_and_b32_e32 v61, v185, v60
	v_and_b32_e32 v60, v186, v5
	v_mbcnt_lo_u32_b32 v5, v60, 0
	v_mbcnt_hi_u32_b32 v185, v61, v5
	v_cmp_eq_u32_e32 vcc, 0, v185
	v_cmp_ne_u64_e64 s[36:37], 0, v[60:61]
	s_and_b64 s[38:39], s[36:37], vcc
	; wave barrier
	s_and_saveexec_b64 s[36:37], s[38:39]
	s_cbranch_execz .LBB529_1040
; %bb.1039:                             ;   in Loop: Header=BB529_990 Depth=2
	v_bcnt_u32_b32 v5, v60, 0
	v_bcnt_u32_b32 v5, v61, v5
	s_waitcnt lgkmcnt(0)
	v_add_u32_e32 v5, v181, v5
	ds_write_b32 v183, v5
.LBB529_1040:                           ;   in Loop: Header=BB529_990 Depth=2
	s_or_b64 exec, exec, s[36:37]
	s_waitcnt vmcnt(7)
	v_xor_b32_e32 v184, 0x7fffffff, v184
	v_lshrrev_b32_e32 v5, s85, v184
	v_and_b32_e32 v60, s94, v5
	v_mul_u32_u24_e32 v5, 5, v60
	v_add_lshl_u32 v5, v5, v150, 2
	; wave barrier
	v_add_u32_e32 v187, 0x410, v5
	ds_read_b32 v186, v5 offset:1040
	v_and_b32_e32 v5, 1, v60
	v_add_co_u32_e32 v61, vcc, -1, v5
	v_addc_co_u32_e64 v188, s[36:37], 0, -1, vcc
	v_cmp_ne_u32_e32 vcc, 0, v5
	v_xor_b32_e32 v5, vcc_hi, v188
	v_and_b32_e32 v188, exec_hi, v5
	v_lshlrev_b32_e32 v5, 30, v60
	v_xor_b32_e32 v61, vcc_lo, v61
	v_cmp_gt_i64_e32 vcc, 0, v[4:5]
	v_not_b32_e32 v5, v5
	v_ashrrev_i32_e32 v5, 31, v5
	v_and_b32_e32 v61, exec_lo, v61
	v_xor_b32_e32 v189, vcc_hi, v5
	v_xor_b32_e32 v5, vcc_lo, v5
	v_and_b32_e32 v61, v61, v5
	v_lshlrev_b32_e32 v5, 29, v60
	v_cmp_gt_i64_e32 vcc, 0, v[4:5]
	v_not_b32_e32 v5, v5
	v_ashrrev_i32_e32 v5, 31, v5
	v_and_b32_e32 v188, v188, v189
	v_xor_b32_e32 v189, vcc_hi, v5
	v_xor_b32_e32 v5, vcc_lo, v5
	v_and_b32_e32 v61, v61, v5
	v_lshlrev_b32_e32 v5, 28, v60
	v_cmp_gt_i64_e32 vcc, 0, v[4:5]
	v_not_b32_e32 v5, v5
	v_ashrrev_i32_e32 v5, 31, v5
	v_and_b32_e32 v188, v188, v189
	v_xor_b32_e32 v189, vcc_hi, v5
	v_xor_b32_e32 v5, vcc_lo, v5
	v_and_b32_e32 v61, v61, v5
	v_lshlrev_b32_e32 v5, 27, v60
	v_cmp_gt_i64_e32 vcc, 0, v[4:5]
	v_not_b32_e32 v5, v5
	v_ashrrev_i32_e32 v5, 31, v5
	v_and_b32_e32 v188, v188, v189
	v_xor_b32_e32 v189, vcc_hi, v5
	v_xor_b32_e32 v5, vcc_lo, v5
	v_and_b32_e32 v61, v61, v5
	v_lshlrev_b32_e32 v5, 26, v60
	v_cmp_gt_i64_e32 vcc, 0, v[4:5]
	v_not_b32_e32 v5, v5
	v_ashrrev_i32_e32 v5, 31, v5
	v_and_b32_e32 v188, v188, v189
	v_xor_b32_e32 v189, vcc_hi, v5
	v_xor_b32_e32 v5, vcc_lo, v5
	v_and_b32_e32 v61, v61, v5
	v_lshlrev_b32_e32 v5, 25, v60
	v_cmp_gt_i64_e32 vcc, 0, v[4:5]
	v_not_b32_e32 v5, v5
	v_ashrrev_i32_e32 v5, 31, v5
	v_and_b32_e32 v188, v188, v189
	v_xor_b32_e32 v189, vcc_hi, v5
	v_xor_b32_e32 v5, vcc_lo, v5
	v_and_b32_e32 v188, v188, v189
	v_and_b32_e32 v189, v61, v5
	v_lshlrev_b32_e32 v5, 24, v60
	v_cmp_gt_i64_e32 vcc, 0, v[4:5]
	v_not_b32_e32 v5, v5
	v_ashrrev_i32_e32 v5, 31, v5
	v_xor_b32_e32 v60, vcc_hi, v5
	v_xor_b32_e32 v5, vcc_lo, v5
	v_and_b32_e32 v61, v188, v60
	v_and_b32_e32 v60, v189, v5
	v_mbcnt_lo_u32_b32 v5, v60, 0
	v_mbcnt_hi_u32_b32 v188, v61, v5
	v_cmp_eq_u32_e32 vcc, 0, v188
	v_cmp_ne_u64_e64 s[36:37], 0, v[60:61]
	s_and_b64 s[38:39], s[36:37], vcc
	; wave barrier
	s_and_saveexec_b64 s[36:37], s[38:39]
	s_cbranch_execz .LBB529_1042
; %bb.1041:                             ;   in Loop: Header=BB529_990 Depth=2
	v_bcnt_u32_b32 v5, v60, 0
	v_bcnt_u32_b32 v5, v61, v5
	s_waitcnt lgkmcnt(0)
	v_add_u32_e32 v5, v186, v5
	ds_write_b32 v187, v5
.LBB529_1042:                           ;   in Loop: Header=BB529_990 Depth=2
	s_or_b64 exec, exec, s[36:37]
	s_waitcnt vmcnt(6)
	v_xor_b32_e32 v182, 0x7fffffff, v182
	v_lshrrev_b32_e32 v5, s85, v182
	v_and_b32_e32 v60, s94, v5
	v_mul_u32_u24_e32 v5, 5, v60
	v_add_lshl_u32 v5, v5, v150, 2
	; wave barrier
	v_add_u32_e32 v190, 0x410, v5
	ds_read_b32 v189, v5 offset:1040
	v_and_b32_e32 v5, 1, v60
	v_add_co_u32_e32 v61, vcc, -1, v5
	v_addc_co_u32_e64 v191, s[36:37], 0, -1, vcc
	v_cmp_ne_u32_e32 vcc, 0, v5
	v_xor_b32_e32 v5, vcc_hi, v191
	v_and_b32_e32 v191, exec_hi, v5
	v_lshlrev_b32_e32 v5, 30, v60
	v_xor_b32_e32 v61, vcc_lo, v61
	v_cmp_gt_i64_e32 vcc, 0, v[4:5]
	v_not_b32_e32 v5, v5
	v_ashrrev_i32_e32 v5, 31, v5
	v_and_b32_e32 v61, exec_lo, v61
	v_xor_b32_e32 v192, vcc_hi, v5
	v_xor_b32_e32 v5, vcc_lo, v5
	v_and_b32_e32 v61, v61, v5
	v_lshlrev_b32_e32 v5, 29, v60
	v_cmp_gt_i64_e32 vcc, 0, v[4:5]
	v_not_b32_e32 v5, v5
	v_ashrrev_i32_e32 v5, 31, v5
	v_and_b32_e32 v191, v191, v192
	v_xor_b32_e32 v192, vcc_hi, v5
	v_xor_b32_e32 v5, vcc_lo, v5
	v_and_b32_e32 v61, v61, v5
	v_lshlrev_b32_e32 v5, 28, v60
	v_cmp_gt_i64_e32 vcc, 0, v[4:5]
	v_not_b32_e32 v5, v5
	v_ashrrev_i32_e32 v5, 31, v5
	v_and_b32_e32 v191, v191, v192
	v_xor_b32_e32 v192, vcc_hi, v5
	v_xor_b32_e32 v5, vcc_lo, v5
	v_and_b32_e32 v61, v61, v5
	v_lshlrev_b32_e32 v5, 27, v60
	v_cmp_gt_i64_e32 vcc, 0, v[4:5]
	v_not_b32_e32 v5, v5
	v_ashrrev_i32_e32 v5, 31, v5
	v_and_b32_e32 v191, v191, v192
	v_xor_b32_e32 v192, vcc_hi, v5
	v_xor_b32_e32 v5, vcc_lo, v5
	v_and_b32_e32 v61, v61, v5
	v_lshlrev_b32_e32 v5, 26, v60
	v_cmp_gt_i64_e32 vcc, 0, v[4:5]
	v_not_b32_e32 v5, v5
	v_ashrrev_i32_e32 v5, 31, v5
	v_and_b32_e32 v191, v191, v192
	v_xor_b32_e32 v192, vcc_hi, v5
	v_xor_b32_e32 v5, vcc_lo, v5
	v_and_b32_e32 v61, v61, v5
	v_lshlrev_b32_e32 v5, 25, v60
	v_cmp_gt_i64_e32 vcc, 0, v[4:5]
	v_not_b32_e32 v5, v5
	v_ashrrev_i32_e32 v5, 31, v5
	v_and_b32_e32 v191, v191, v192
	v_xor_b32_e32 v192, vcc_hi, v5
	v_xor_b32_e32 v5, vcc_lo, v5
	v_and_b32_e32 v191, v191, v192
	v_and_b32_e32 v192, v61, v5
	v_lshlrev_b32_e32 v5, 24, v60
	v_cmp_gt_i64_e32 vcc, 0, v[4:5]
	v_not_b32_e32 v5, v5
	v_ashrrev_i32_e32 v5, 31, v5
	v_xor_b32_e32 v60, vcc_hi, v5
	v_xor_b32_e32 v5, vcc_lo, v5
	v_and_b32_e32 v61, v191, v60
	v_and_b32_e32 v60, v192, v5
	v_mbcnt_lo_u32_b32 v5, v60, 0
	v_mbcnt_hi_u32_b32 v191, v61, v5
	v_cmp_eq_u32_e32 vcc, 0, v191
	v_cmp_ne_u64_e64 s[36:37], 0, v[60:61]
	s_and_b64 s[38:39], s[36:37], vcc
	; wave barrier
	s_and_saveexec_b64 s[36:37], s[38:39]
	s_cbranch_execz .LBB529_1044
; %bb.1043:                             ;   in Loop: Header=BB529_990 Depth=2
	v_bcnt_u32_b32 v5, v60, 0
	v_bcnt_u32_b32 v5, v61, v5
	s_waitcnt lgkmcnt(0)
	v_add_u32_e32 v5, v189, v5
	ds_write_b32 v190, v5
.LBB529_1044:                           ;   in Loop: Header=BB529_990 Depth=2
	s_or_b64 exec, exec, s[36:37]
	s_waitcnt vmcnt(5)
	v_xor_b32_e32 v177, 0x7fffffff, v177
	v_lshrrev_b32_e32 v5, s85, v177
	v_and_b32_e32 v60, s94, v5
	v_mul_u32_u24_e32 v5, 5, v60
	v_add_lshl_u32 v5, v5, v150, 2
	; wave barrier
	v_add_u32_e32 v193, 0x410, v5
	ds_read_b32 v192, v5 offset:1040
	v_and_b32_e32 v5, 1, v60
	v_add_co_u32_e32 v61, vcc, -1, v5
	v_addc_co_u32_e64 v194, s[36:37], 0, -1, vcc
	v_cmp_ne_u32_e32 vcc, 0, v5
	v_xor_b32_e32 v5, vcc_hi, v194
	v_and_b32_e32 v194, exec_hi, v5
	v_lshlrev_b32_e32 v5, 30, v60
	v_xor_b32_e32 v61, vcc_lo, v61
	v_cmp_gt_i64_e32 vcc, 0, v[4:5]
	v_not_b32_e32 v5, v5
	v_ashrrev_i32_e32 v5, 31, v5
	v_and_b32_e32 v61, exec_lo, v61
	v_xor_b32_e32 v195, vcc_hi, v5
	v_xor_b32_e32 v5, vcc_lo, v5
	v_and_b32_e32 v61, v61, v5
	v_lshlrev_b32_e32 v5, 29, v60
	v_cmp_gt_i64_e32 vcc, 0, v[4:5]
	v_not_b32_e32 v5, v5
	v_ashrrev_i32_e32 v5, 31, v5
	v_and_b32_e32 v194, v194, v195
	v_xor_b32_e32 v195, vcc_hi, v5
	v_xor_b32_e32 v5, vcc_lo, v5
	v_and_b32_e32 v61, v61, v5
	v_lshlrev_b32_e32 v5, 28, v60
	v_cmp_gt_i64_e32 vcc, 0, v[4:5]
	v_not_b32_e32 v5, v5
	v_ashrrev_i32_e32 v5, 31, v5
	v_and_b32_e32 v194, v194, v195
	;; [unrolled: 8-line block ×5, first 2 shown]
	v_xor_b32_e32 v195, vcc_hi, v5
	v_xor_b32_e32 v5, vcc_lo, v5
	v_and_b32_e32 v194, v194, v195
	v_and_b32_e32 v195, v61, v5
	v_lshlrev_b32_e32 v5, 24, v60
	v_cmp_gt_i64_e32 vcc, 0, v[4:5]
	v_not_b32_e32 v5, v5
	v_ashrrev_i32_e32 v5, 31, v5
	v_xor_b32_e32 v60, vcc_hi, v5
	v_xor_b32_e32 v5, vcc_lo, v5
	v_and_b32_e32 v61, v194, v60
	v_and_b32_e32 v60, v195, v5
	v_mbcnt_lo_u32_b32 v5, v60, 0
	v_mbcnt_hi_u32_b32 v195, v61, v5
	v_cmp_eq_u32_e32 vcc, 0, v195
	v_cmp_ne_u64_e64 s[36:37], 0, v[60:61]
	s_and_b64 s[38:39], s[36:37], vcc
	; wave barrier
	s_and_saveexec_b64 s[36:37], s[38:39]
	s_cbranch_execz .LBB529_1046
; %bb.1045:                             ;   in Loop: Header=BB529_990 Depth=2
	v_bcnt_u32_b32 v5, v60, 0
	v_bcnt_u32_b32 v5, v61, v5
	s_waitcnt lgkmcnt(0)
	v_add_u32_e32 v5, v192, v5
	ds_write_b32 v193, v5
.LBB529_1046:                           ;   in Loop: Header=BB529_990 Depth=2
	s_or_b64 exec, exec, s[36:37]
	s_waitcnt vmcnt(4)
	v_xor_b32_e32 v194, 0x7fffffff, v173
	v_lshrrev_b32_e32 v5, s85, v194
	v_and_b32_e32 v60, s94, v5
	v_mul_u32_u24_e32 v5, 5, v60
	v_add_lshl_u32 v5, v5, v150, 2
	; wave barrier
	v_add_u32_e32 v197, 0x410, v5
	ds_read_b32 v196, v5 offset:1040
	v_and_b32_e32 v5, 1, v60
	v_add_co_u32_e32 v61, vcc, -1, v5
	v_addc_co_u32_e64 v173, s[36:37], 0, -1, vcc
	v_cmp_ne_u32_e32 vcc, 0, v5
	v_xor_b32_e32 v5, vcc_hi, v173
	v_and_b32_e32 v173, exec_hi, v5
	v_lshlrev_b32_e32 v5, 30, v60
	v_xor_b32_e32 v61, vcc_lo, v61
	v_cmp_gt_i64_e32 vcc, 0, v[4:5]
	v_not_b32_e32 v5, v5
	v_ashrrev_i32_e32 v5, 31, v5
	v_and_b32_e32 v61, exec_lo, v61
	v_xor_b32_e32 v198, vcc_hi, v5
	v_xor_b32_e32 v5, vcc_lo, v5
	v_and_b32_e32 v61, v61, v5
	v_lshlrev_b32_e32 v5, 29, v60
	v_cmp_gt_i64_e32 vcc, 0, v[4:5]
	v_not_b32_e32 v5, v5
	v_ashrrev_i32_e32 v5, 31, v5
	v_and_b32_e32 v173, v173, v198
	v_xor_b32_e32 v198, vcc_hi, v5
	v_xor_b32_e32 v5, vcc_lo, v5
	v_and_b32_e32 v61, v61, v5
	v_lshlrev_b32_e32 v5, 28, v60
	v_cmp_gt_i64_e32 vcc, 0, v[4:5]
	v_not_b32_e32 v5, v5
	v_ashrrev_i32_e32 v5, 31, v5
	v_and_b32_e32 v173, v173, v198
	v_xor_b32_e32 v198, vcc_hi, v5
	v_xor_b32_e32 v5, vcc_lo, v5
	v_and_b32_e32 v61, v61, v5
	v_lshlrev_b32_e32 v5, 27, v60
	v_cmp_gt_i64_e32 vcc, 0, v[4:5]
	v_not_b32_e32 v5, v5
	v_ashrrev_i32_e32 v5, 31, v5
	v_and_b32_e32 v173, v173, v198
	v_xor_b32_e32 v198, vcc_hi, v5
	v_xor_b32_e32 v5, vcc_lo, v5
	v_and_b32_e32 v61, v61, v5
	v_lshlrev_b32_e32 v5, 26, v60
	v_cmp_gt_i64_e32 vcc, 0, v[4:5]
	v_not_b32_e32 v5, v5
	v_ashrrev_i32_e32 v5, 31, v5
	v_and_b32_e32 v173, v173, v198
	v_xor_b32_e32 v198, vcc_hi, v5
	v_xor_b32_e32 v5, vcc_lo, v5
	v_and_b32_e32 v61, v61, v5
	v_lshlrev_b32_e32 v5, 25, v60
	v_cmp_gt_i64_e32 vcc, 0, v[4:5]
	v_not_b32_e32 v5, v5
	v_ashrrev_i32_e32 v5, 31, v5
	v_and_b32_e32 v173, v173, v198
	v_xor_b32_e32 v198, vcc_hi, v5
	v_xor_b32_e32 v5, vcc_lo, v5
	v_and_b32_e32 v173, v173, v198
	v_and_b32_e32 v198, v61, v5
	v_lshlrev_b32_e32 v5, 24, v60
	v_cmp_gt_i64_e32 vcc, 0, v[4:5]
	v_not_b32_e32 v5, v5
	v_ashrrev_i32_e32 v5, 31, v5
	v_xor_b32_e32 v60, vcc_hi, v5
	v_xor_b32_e32 v5, vcc_lo, v5
	v_and_b32_e32 v61, v173, v60
	v_and_b32_e32 v60, v198, v5
	v_mbcnt_lo_u32_b32 v5, v60, 0
	v_mbcnt_hi_u32_b32 v199, v61, v5
	v_cmp_eq_u32_e32 vcc, 0, v199
	v_cmp_ne_u64_e64 s[36:37], 0, v[60:61]
	s_and_b64 s[38:39], s[36:37], vcc
	; wave barrier
	s_and_saveexec_b64 s[36:37], s[38:39]
	s_cbranch_execz .LBB529_1048
; %bb.1047:                             ;   in Loop: Header=BB529_990 Depth=2
	v_bcnt_u32_b32 v5, v60, 0
	v_bcnt_u32_b32 v5, v61, v5
	s_waitcnt lgkmcnt(0)
	v_add_u32_e32 v5, v196, v5
	ds_write_b32 v197, v5
.LBB529_1048:                           ;   in Loop: Header=BB529_990 Depth=2
	s_or_b64 exec, exec, s[36:37]
	s_waitcnt vmcnt(3)
	v_xor_b32_e32 v198, 0x7fffffff, v168
	v_lshrrev_b32_e32 v5, s85, v198
	v_and_b32_e32 v60, s94, v5
	v_mul_u32_u24_e32 v5, 5, v60
	v_add_lshl_u32 v5, v5, v150, 2
	; wave barrier
	v_add_u32_e32 v168, 0x410, v5
	ds_read_b32 v200, v5 offset:1040
	v_and_b32_e32 v5, 1, v60
	v_add_co_u32_e32 v61, vcc, -1, v5
	v_addc_co_u32_e64 v173, s[36:37], 0, -1, vcc
	v_cmp_ne_u32_e32 vcc, 0, v5
	v_xor_b32_e32 v5, vcc_hi, v173
	v_and_b32_e32 v173, exec_hi, v5
	v_lshlrev_b32_e32 v5, 30, v60
	v_xor_b32_e32 v61, vcc_lo, v61
	v_cmp_gt_i64_e32 vcc, 0, v[4:5]
	v_not_b32_e32 v5, v5
	v_ashrrev_i32_e32 v5, 31, v5
	v_and_b32_e32 v61, exec_lo, v61
	v_xor_b32_e32 v201, vcc_hi, v5
	v_xor_b32_e32 v5, vcc_lo, v5
	v_and_b32_e32 v61, v61, v5
	v_lshlrev_b32_e32 v5, 29, v60
	v_cmp_gt_i64_e32 vcc, 0, v[4:5]
	v_not_b32_e32 v5, v5
	v_ashrrev_i32_e32 v5, 31, v5
	v_and_b32_e32 v173, v173, v201
	v_xor_b32_e32 v201, vcc_hi, v5
	v_xor_b32_e32 v5, vcc_lo, v5
	v_and_b32_e32 v61, v61, v5
	v_lshlrev_b32_e32 v5, 28, v60
	v_cmp_gt_i64_e32 vcc, 0, v[4:5]
	v_not_b32_e32 v5, v5
	v_ashrrev_i32_e32 v5, 31, v5
	v_and_b32_e32 v173, v173, v201
	;; [unrolled: 8-line block ×5, first 2 shown]
	v_xor_b32_e32 v201, vcc_hi, v5
	v_xor_b32_e32 v5, vcc_lo, v5
	v_and_b32_e32 v173, v173, v201
	v_and_b32_e32 v201, v61, v5
	v_lshlrev_b32_e32 v5, 24, v60
	v_cmp_gt_i64_e32 vcc, 0, v[4:5]
	v_not_b32_e32 v5, v5
	v_ashrrev_i32_e32 v5, 31, v5
	v_xor_b32_e32 v60, vcc_hi, v5
	v_xor_b32_e32 v5, vcc_lo, v5
	v_and_b32_e32 v61, v173, v60
	v_and_b32_e32 v60, v201, v5
	v_mbcnt_lo_u32_b32 v5, v60, 0
	v_mbcnt_hi_u32_b32 v202, v61, v5
	v_cmp_eq_u32_e32 vcc, 0, v202
	v_cmp_ne_u64_e64 s[36:37], 0, v[60:61]
	s_and_b64 s[38:39], s[36:37], vcc
	; wave barrier
	s_and_saveexec_b64 s[36:37], s[38:39]
	s_cbranch_execz .LBB529_1050
; %bb.1049:                             ;   in Loop: Header=BB529_990 Depth=2
	v_bcnt_u32_b32 v5, v60, 0
	v_bcnt_u32_b32 v5, v61, v5
	s_waitcnt lgkmcnt(0)
	v_add_u32_e32 v5, v200, v5
	ds_write_b32 v168, v5
.LBB529_1050:                           ;   in Loop: Header=BB529_990 Depth=2
	s_or_b64 exec, exec, s[36:37]
	s_waitcnt vmcnt(2)
	v_xor_b32_e32 v201, 0x7fffffff, v163
	v_lshrrev_b32_e32 v5, s85, v201
	v_and_b32_e32 v60, s94, v5
	v_mul_u32_u24_e32 v5, 5, v60
	v_add_lshl_u32 v5, v5, v150, 2
	; wave barrier
	v_add_u32_e32 v163, 0x410, v5
	ds_read_b32 v203, v5 offset:1040
	v_and_b32_e32 v5, 1, v60
	v_add_co_u32_e32 v61, vcc, -1, v5
	v_addc_co_u32_e64 v173, s[36:37], 0, -1, vcc
	v_cmp_ne_u32_e32 vcc, 0, v5
	v_xor_b32_e32 v5, vcc_hi, v173
	v_and_b32_e32 v173, exec_hi, v5
	v_lshlrev_b32_e32 v5, 30, v60
	v_xor_b32_e32 v61, vcc_lo, v61
	v_cmp_gt_i64_e32 vcc, 0, v[4:5]
	v_not_b32_e32 v5, v5
	v_ashrrev_i32_e32 v5, 31, v5
	v_and_b32_e32 v61, exec_lo, v61
	v_xor_b32_e32 v204, vcc_hi, v5
	v_xor_b32_e32 v5, vcc_lo, v5
	v_and_b32_e32 v61, v61, v5
	v_lshlrev_b32_e32 v5, 29, v60
	v_cmp_gt_i64_e32 vcc, 0, v[4:5]
	v_not_b32_e32 v5, v5
	v_ashrrev_i32_e32 v5, 31, v5
	v_and_b32_e32 v173, v173, v204
	v_xor_b32_e32 v204, vcc_hi, v5
	v_xor_b32_e32 v5, vcc_lo, v5
	v_and_b32_e32 v61, v61, v5
	v_lshlrev_b32_e32 v5, 28, v60
	v_cmp_gt_i64_e32 vcc, 0, v[4:5]
	v_not_b32_e32 v5, v5
	v_ashrrev_i32_e32 v5, 31, v5
	v_and_b32_e32 v173, v173, v204
	;; [unrolled: 8-line block ×5, first 2 shown]
	v_xor_b32_e32 v204, vcc_hi, v5
	v_xor_b32_e32 v5, vcc_lo, v5
	v_and_b32_e32 v173, v173, v204
	v_and_b32_e32 v204, v61, v5
	v_lshlrev_b32_e32 v5, 24, v60
	v_cmp_gt_i64_e32 vcc, 0, v[4:5]
	v_not_b32_e32 v5, v5
	v_ashrrev_i32_e32 v5, 31, v5
	v_xor_b32_e32 v60, vcc_hi, v5
	v_xor_b32_e32 v5, vcc_lo, v5
	v_and_b32_e32 v61, v173, v60
	v_and_b32_e32 v60, v204, v5
	v_mbcnt_lo_u32_b32 v5, v60, 0
	v_mbcnt_hi_u32_b32 v205, v61, v5
	v_cmp_eq_u32_e32 vcc, 0, v205
	v_cmp_ne_u64_e64 s[36:37], 0, v[60:61]
	s_and_b64 s[38:39], s[36:37], vcc
	; wave barrier
	s_and_saveexec_b64 s[36:37], s[38:39]
	s_cbranch_execz .LBB529_1052
; %bb.1051:                             ;   in Loop: Header=BB529_990 Depth=2
	v_bcnt_u32_b32 v5, v60, 0
	v_bcnt_u32_b32 v5, v61, v5
	s_waitcnt lgkmcnt(0)
	v_add_u32_e32 v5, v203, v5
	ds_write_b32 v163, v5
.LBB529_1052:                           ;   in Loop: Header=BB529_990 Depth=2
	s_or_b64 exec, exec, s[36:37]
	s_waitcnt vmcnt(1)
	v_xor_b32_e32 v204, 0x7fffffff, v158
	v_lshrrev_b32_e32 v5, s85, v204
	v_and_b32_e32 v60, s94, v5
	v_mul_u32_u24_e32 v5, 5, v60
	v_add_lshl_u32 v5, v5, v150, 2
	; wave barrier
	v_add_u32_e32 v158, 0x410, v5
	ds_read_b32 v206, v5 offset:1040
	v_and_b32_e32 v5, 1, v60
	v_add_co_u32_e32 v61, vcc, -1, v5
	v_addc_co_u32_e64 v173, s[36:37], 0, -1, vcc
	v_cmp_ne_u32_e32 vcc, 0, v5
	v_xor_b32_e32 v5, vcc_hi, v173
	v_and_b32_e32 v173, exec_hi, v5
	v_lshlrev_b32_e32 v5, 30, v60
	v_xor_b32_e32 v61, vcc_lo, v61
	v_cmp_gt_i64_e32 vcc, 0, v[4:5]
	v_not_b32_e32 v5, v5
	v_ashrrev_i32_e32 v5, 31, v5
	v_and_b32_e32 v61, exec_lo, v61
	v_xor_b32_e32 v207, vcc_hi, v5
	v_xor_b32_e32 v5, vcc_lo, v5
	v_and_b32_e32 v61, v61, v5
	v_lshlrev_b32_e32 v5, 29, v60
	v_cmp_gt_i64_e32 vcc, 0, v[4:5]
	v_not_b32_e32 v5, v5
	v_ashrrev_i32_e32 v5, 31, v5
	v_and_b32_e32 v173, v173, v207
	v_xor_b32_e32 v207, vcc_hi, v5
	v_xor_b32_e32 v5, vcc_lo, v5
	v_and_b32_e32 v61, v61, v5
	v_lshlrev_b32_e32 v5, 28, v60
	v_cmp_gt_i64_e32 vcc, 0, v[4:5]
	v_not_b32_e32 v5, v5
	v_ashrrev_i32_e32 v5, 31, v5
	v_and_b32_e32 v173, v173, v207
	;; [unrolled: 8-line block ×5, first 2 shown]
	v_xor_b32_e32 v207, vcc_hi, v5
	v_xor_b32_e32 v5, vcc_lo, v5
	v_and_b32_e32 v173, v173, v207
	v_and_b32_e32 v207, v61, v5
	v_lshlrev_b32_e32 v5, 24, v60
	v_cmp_gt_i64_e32 vcc, 0, v[4:5]
	v_not_b32_e32 v5, v5
	v_ashrrev_i32_e32 v5, 31, v5
	v_xor_b32_e32 v60, vcc_hi, v5
	v_xor_b32_e32 v5, vcc_lo, v5
	v_and_b32_e32 v61, v173, v60
	v_and_b32_e32 v60, v207, v5
	v_mbcnt_lo_u32_b32 v5, v60, 0
	v_mbcnt_hi_u32_b32 v208, v61, v5
	v_cmp_eq_u32_e32 vcc, 0, v208
	v_cmp_ne_u64_e64 s[36:37], 0, v[60:61]
	s_and_b64 s[38:39], s[36:37], vcc
	; wave barrier
	s_and_saveexec_b64 s[36:37], s[38:39]
	s_cbranch_execz .LBB529_1054
; %bb.1053:                             ;   in Loop: Header=BB529_990 Depth=2
	v_bcnt_u32_b32 v5, v60, 0
	v_bcnt_u32_b32 v5, v61, v5
	s_waitcnt lgkmcnt(0)
	v_add_u32_e32 v5, v206, v5
	ds_write_b32 v158, v5
.LBB529_1054:                           ;   in Loop: Header=BB529_990 Depth=2
	s_or_b64 exec, exec, s[36:37]
	s_waitcnt vmcnt(0)
	v_xor_b32_e32 v207, 0x7fffffff, v62
	v_lshrrev_b32_e32 v5, s85, v207
	v_and_b32_e32 v60, s94, v5
	v_mul_u32_u24_e32 v5, 5, v60
	v_add_lshl_u32 v5, v5, v150, 2
	; wave barrier
	v_add_u32_e32 v210, 0x410, v5
	ds_read_b32 v209, v5 offset:1040
	v_and_b32_e32 v5, 1, v60
	v_add_co_u32_e32 v61, vcc, -1, v5
	v_addc_co_u32_e64 v62, s[36:37], 0, -1, vcc
	v_cmp_ne_u32_e32 vcc, 0, v5
	v_xor_b32_e32 v5, vcc_hi, v62
	v_and_b32_e32 v62, exec_hi, v5
	v_lshlrev_b32_e32 v5, 30, v60
	v_xor_b32_e32 v61, vcc_lo, v61
	v_cmp_gt_i64_e32 vcc, 0, v[4:5]
	v_not_b32_e32 v5, v5
	v_ashrrev_i32_e32 v5, 31, v5
	v_and_b32_e32 v61, exec_lo, v61
	v_xor_b32_e32 v173, vcc_hi, v5
	v_xor_b32_e32 v5, vcc_lo, v5
	v_and_b32_e32 v61, v61, v5
	v_lshlrev_b32_e32 v5, 29, v60
	v_cmp_gt_i64_e32 vcc, 0, v[4:5]
	v_not_b32_e32 v5, v5
	v_ashrrev_i32_e32 v5, 31, v5
	v_and_b32_e32 v62, v62, v173
	v_xor_b32_e32 v173, vcc_hi, v5
	v_xor_b32_e32 v5, vcc_lo, v5
	v_and_b32_e32 v61, v61, v5
	v_lshlrev_b32_e32 v5, 28, v60
	v_cmp_gt_i64_e32 vcc, 0, v[4:5]
	v_not_b32_e32 v5, v5
	v_ashrrev_i32_e32 v5, 31, v5
	v_and_b32_e32 v62, v62, v173
	;; [unrolled: 8-line block ×5, first 2 shown]
	v_xor_b32_e32 v173, vcc_hi, v5
	v_xor_b32_e32 v5, vcc_lo, v5
	v_and_b32_e32 v62, v62, v173
	v_and_b32_e32 v173, v61, v5
	v_lshlrev_b32_e32 v5, 24, v60
	v_cmp_gt_i64_e32 vcc, 0, v[4:5]
	v_not_b32_e32 v5, v5
	v_ashrrev_i32_e32 v5, 31, v5
	v_xor_b32_e32 v60, vcc_hi, v5
	v_xor_b32_e32 v5, vcc_lo, v5
	v_and_b32_e32 v61, v62, v60
	v_and_b32_e32 v60, v173, v5
	v_mbcnt_lo_u32_b32 v5, v60, 0
	v_mbcnt_hi_u32_b32 v212, v61, v5
	v_cmp_eq_u32_e32 vcc, 0, v212
	v_cmp_ne_u64_e64 s[36:37], 0, v[60:61]
	s_and_b64 s[38:39], s[36:37], vcc
	; wave barrier
	s_and_saveexec_b64 s[36:37], s[38:39]
	s_cbranch_execz .LBB529_1056
; %bb.1055:                             ;   in Loop: Header=BB529_990 Depth=2
	v_bcnt_u32_b32 v5, v60, 0
	v_bcnt_u32_b32 v5, v61, v5
	s_waitcnt lgkmcnt(0)
	v_add_u32_e32 v5, v209, v5
	ds_write_b32 v210, v5
.LBB529_1056:                           ;   in Loop: Header=BB529_990 Depth=2
	s_or_b64 exec, exec, s[36:37]
	v_xor_b32_e32 v211, 0x7fffffff, v63
	v_lshrrev_b32_e32 v5, s85, v211
	v_and_b32_e32 v60, s94, v5
	v_mul_u32_u24_e32 v5, 5, v60
	v_add_lshl_u32 v5, v5, v150, 2
	; wave barrier
	v_add_u32_e32 v214, 0x410, v5
	ds_read_b32 v213, v5 offset:1040
	v_and_b32_e32 v5, 1, v60
	v_add_co_u32_e32 v61, vcc, -1, v5
	v_addc_co_u32_e64 v62, s[36:37], 0, -1, vcc
	v_cmp_ne_u32_e32 vcc, 0, v5
	v_xor_b32_e32 v5, vcc_hi, v62
	v_and_b32_e32 v62, exec_hi, v5
	v_lshlrev_b32_e32 v5, 30, v60
	v_xor_b32_e32 v61, vcc_lo, v61
	v_cmp_gt_i64_e32 vcc, 0, v[4:5]
	v_not_b32_e32 v5, v5
	v_ashrrev_i32_e32 v5, 31, v5
	v_and_b32_e32 v61, exec_lo, v61
	v_xor_b32_e32 v63, vcc_hi, v5
	v_xor_b32_e32 v5, vcc_lo, v5
	v_and_b32_e32 v61, v61, v5
	v_lshlrev_b32_e32 v5, 29, v60
	v_cmp_gt_i64_e32 vcc, 0, v[4:5]
	v_not_b32_e32 v5, v5
	v_ashrrev_i32_e32 v5, 31, v5
	v_and_b32_e32 v62, v62, v63
	v_xor_b32_e32 v63, vcc_hi, v5
	v_xor_b32_e32 v5, vcc_lo, v5
	v_and_b32_e32 v61, v61, v5
	v_lshlrev_b32_e32 v5, 28, v60
	v_cmp_gt_i64_e32 vcc, 0, v[4:5]
	v_not_b32_e32 v5, v5
	v_ashrrev_i32_e32 v5, 31, v5
	v_and_b32_e32 v62, v62, v63
	;; [unrolled: 8-line block ×5, first 2 shown]
	v_xor_b32_e32 v63, vcc_hi, v5
	v_xor_b32_e32 v5, vcc_lo, v5
	v_and_b32_e32 v62, v62, v63
	v_and_b32_e32 v63, v61, v5
	v_lshlrev_b32_e32 v5, 24, v60
	v_cmp_gt_i64_e32 vcc, 0, v[4:5]
	v_not_b32_e32 v5, v5
	v_ashrrev_i32_e32 v5, 31, v5
	v_xor_b32_e32 v60, vcc_hi, v5
	v_xor_b32_e32 v5, vcc_lo, v5
	v_and_b32_e32 v61, v62, v60
	v_and_b32_e32 v60, v63, v5
	v_mbcnt_lo_u32_b32 v5, v60, 0
	v_mbcnt_hi_u32_b32 v215, v61, v5
	v_cmp_eq_u32_e32 vcc, 0, v215
	v_cmp_ne_u64_e64 s[36:37], 0, v[60:61]
	s_and_b64 s[38:39], s[36:37], vcc
	; wave barrier
	s_and_saveexec_b64 s[36:37], s[38:39]
	s_cbranch_execz .LBB529_1058
; %bb.1057:                             ;   in Loop: Header=BB529_990 Depth=2
	v_bcnt_u32_b32 v5, v60, 0
	v_bcnt_u32_b32 v5, v61, v5
	s_waitcnt lgkmcnt(0)
	v_add_u32_e32 v5, v213, v5
	ds_write_b32 v214, v5
.LBB529_1058:                           ;   in Loop: Header=BB529_990 Depth=2
	s_or_b64 exec, exec, s[36:37]
	; wave barrier
	s_waitcnt lgkmcnt(0)
	s_barrier
	ds_read_b32 v5, v64 offset:1040
	ds_read2_b32 v[62:63], v66 offset0:1 offset1:2
	ds_read2_b32 v[60:61], v66 offset0:3 offset1:4
	s_waitcnt lgkmcnt(1)
	v_add3_u32 v173, v62, v5, v63
	s_waitcnt lgkmcnt(0)
	v_add3_u32 v61, v173, v60, v61
	s_nop 1
	v_mov_b32_dpp v173, v61 row_shr:1 row_mask:0xf bank_mask:0xf
	v_cndmask_b32_e64 v173, v173, 0, s[16:17]
	v_add_u32_e32 v61, v173, v61
	s_nop 1
	v_mov_b32_dpp v173, v61 row_shr:2 row_mask:0xf bank_mask:0xf
	v_cndmask_b32_e64 v173, 0, v173, s[18:19]
	v_add_u32_e32 v61, v61, v173
	s_nop 1
	v_mov_b32_dpp v173, v61 row_shr:4 row_mask:0xf bank_mask:0xf
	v_cndmask_b32_e64 v173, 0, v173, s[20:21]
	v_add_u32_e32 v61, v61, v173
	s_nop 1
	v_mov_b32_dpp v173, v61 row_shr:8 row_mask:0xf bank_mask:0xf
	v_cndmask_b32_e64 v173, 0, v173, s[22:23]
	v_add_u32_e32 v61, v61, v173
	s_nop 1
	v_mov_b32_dpp v173, v61 row_bcast:15 row_mask:0xf bank_mask:0xf
	v_cndmask_b32_e64 v173, v173, 0, s[24:25]
	v_add_u32_e32 v61, v61, v173
	s_nop 1
	v_mov_b32_dpp v173, v61 row_bcast:31 row_mask:0xf bank_mask:0xf
	v_cndmask_b32_e64 v173, 0, v173, s[26:27]
	v_add_u32_e32 v61, v61, v173
	s_and_saveexec_b64 s[36:37], s[6:7]
	s_cbranch_execz .LBB529_1060
; %bb.1059:                             ;   in Loop: Header=BB529_990 Depth=2
	ds_write_b32 v19, v61 offset:1024
.LBB529_1060:                           ;   in Loop: Header=BB529_990 Depth=2
	s_or_b64 exec, exec, s[36:37]
	v_add_u32_e32 v173, v64, v67
	s_waitcnt lgkmcnt(0)
	s_barrier
	s_and_saveexec_b64 s[36:37], s[8:9]
	s_cbranch_execz .LBB529_1062
; %bb.1061:                             ;   in Loop: Header=BB529_990 Depth=2
	ds_read_b32 v216, v173 offset:1024
	s_waitcnt lgkmcnt(0)
	s_nop 0
	v_mov_b32_dpp v217, v216 row_shr:1 row_mask:0xf bank_mask:0xf
	v_cndmask_b32_e64 v217, v217, 0, s[30:31]
	v_add_u32_e32 v216, v217, v216
	s_nop 1
	v_mov_b32_dpp v217, v216 row_shr:2 row_mask:0xf bank_mask:0xf
	v_cndmask_b32_e64 v217, 0, v217, s[34:35]
	v_add_u32_e32 v216, v216, v217
	ds_write_b32 v173, v216 offset:1024
.LBB529_1062:                           ;   in Loop: Header=BB529_990 Depth=2
	s_or_b64 exec, exec, s[36:37]
	v_mov_b32_e32 v216, 0
	s_waitcnt lgkmcnt(0)
	s_barrier
	s_and_saveexec_b64 s[36:37], s[10:11]
	s_cbranch_execz .LBB529_1064
; %bb.1063:                             ;   in Loop: Header=BB529_990 Depth=2
	ds_read_b32 v216, v19 offset:1020
.LBB529_1064:                           ;   in Loop: Header=BB529_990 Depth=2
	s_or_b64 exec, exec, s[36:37]
	s_waitcnt lgkmcnt(0)
	v_add_u32_e32 v61, v216, v61
	ds_bpermute_b32 v61, v127, v61
	s_waitcnt lgkmcnt(0)
	v_cndmask_b32_e64 v61, v61, v216, s[28:29]
	v_cndmask_b32_e64 v61, v61, 0, s[12:13]
	v_add_u32_e32 v5, v61, v5
	ds_write_b32 v64, v61 offset:1040
	v_add_u32_e32 v61, v5, v62
	v_add_u32_e32 v62, v61, v63
	ds_write2_b32 v66, v5, v61 offset0:1 offset1:2
	v_add_u32_e32 v5, v62, v60
	ds_write2_b32 v66, v62, v5 offset0:3 offset1:4
	s_waitcnt lgkmcnt(0)
	s_barrier
	ds_read_b32 v60, v157
	ds_read_b32 v61, v162
	;; [unrolled: 1-line block ×16, first 2 shown]
	ds_read_b32 v158, v64 offset:1040
	v_mov_b32_e32 v5, 0x1000
	s_and_saveexec_b64 s[36:37], s[14:15]
	s_cbranch_execz .LBB529_1066
; %bb.1065:                             ;   in Loop: Header=BB529_990 Depth=2
	ds_read_b32 v5, v64 offset:1060
.LBB529_1066:                           ;   in Loop: Header=BB529_990 Depth=2
	s_or_b64 exec, exec, s[36:37]
	s_waitcnt lgkmcnt(0)
	s_barrier
	s_and_saveexec_b64 s[36:37], s[4:5]
	s_cbranch_execz .LBB529_1068
; %bb.1067:                             ;   in Loop: Header=BB529_990 Depth=2
	ds_read_b32 v163, v3
	s_waitcnt lgkmcnt(0)
	v_sub_u32_e32 v158, v163, v158
	ds_write_b32 v3, v158
.LBB529_1068:                           ;   in Loop: Header=BB529_990 Depth=2
	s_or_b64 exec, exec, s[36:37]
	v_add_u32_e32 v172, v153, v155
	v_add3_u32 v168, v160, v156, v60
	v_lshlrev_b32_e32 v60, 2, v172
	v_add3_u32 v167, v165, v161, v61
	ds_write_b32 v60, v152 offset:1024
	v_lshlrev_b32_e32 v60, 2, v168
	v_add3_u32 v166, v170, v166, v62
	ds_write_b32 v60, v154 offset:1024
	;; [unrolled: 3-line block ×14, first 2 shown]
	v_lshlrev_b32_e32 v60, 2, v63
	ds_write_b32 v60, v207 offset:1024
	v_lshlrev_b32_e32 v60, 2, v62
	v_cmp_lt_u32_e64 s[36:37], v2, v151
	ds_write_b32 v60, v211 offset:1024
	s_waitcnt lgkmcnt(0)
	s_barrier
	s_and_saveexec_b64 s[38:39], s[36:37]
	s_cbranch_execz .LBB529_1084
; %bb.1069:                             ;   in Loop: Header=BB529_990 Depth=2
	ds_read_b32 v60, v173 offset:1024
	v_mov_b32_e32 v154, s77
	s_waitcnt lgkmcnt(0)
	v_lshrrev_b32_e32 v61, s85, v60
	v_and_b32_e32 v61, s94, v61
	v_lshlrev_b32_e32 v61, 2, v61
	ds_read_b32 v152, v61
	v_mov_b32_e32 v61, v4
	v_xor_b32_e32 v159, 0x7fffffff, v60
	s_waitcnt lgkmcnt(0)
	v_add_u32_e32 v60, v152, v2
	v_lshlrev_b64 v[60:61], 2, v[60:61]
	v_add_co_u32_e32 v60, vcc, s76, v60
	v_addc_co_u32_e32 v61, vcc, v154, v61, vcc
	global_store_dword v[60:61], v159, off
	s_or_b64 exec, exec, s[38:39]
	v_cmp_lt_u32_e64 s[38:39], v7, v151
	s_and_saveexec_b64 s[40:41], s[38:39]
	s_cbranch_execnz .LBB529_1085
.LBB529_1070:                           ;   in Loop: Header=BB529_990 Depth=2
	s_or_b64 exec, exec, s[40:41]
	v_cmp_lt_u32_e64 s[40:41], v9, v151
	s_and_saveexec_b64 s[42:43], s[40:41]
	s_cbranch_execz .LBB529_1086
.LBB529_1071:                           ;   in Loop: Header=BB529_990 Depth=2
	ds_read_b32 v60, v72 offset:2048
	v_mov_b32_e32 v154, s77
	s_waitcnt lgkmcnt(0)
	v_lshrrev_b32_e32 v61, s85, v60
	v_and_b32_e32 v61, s94, v61
	v_lshlrev_b32_e32 v61, 2, v61
	ds_read_b32 v152, v61
	v_mov_b32_e32 v61, v4
	v_xor_b32_e32 v159, 0x7fffffff, v60
	s_waitcnt lgkmcnt(0)
	v_add_u32_e32 v60, v152, v9
	v_lshlrev_b64 v[60:61], 2, v[60:61]
	v_add_co_u32_e32 v60, vcc, s76, v60
	v_addc_co_u32_e32 v61, vcc, v154, v61, vcc
	global_store_dword v[60:61], v159, off
	s_or_b64 exec, exec, s[42:43]
	v_cmp_lt_u32_e64 s[42:43], v11, v151
	s_and_saveexec_b64 s[44:45], s[42:43]
	s_cbranch_execnz .LBB529_1087
.LBB529_1072:                           ;   in Loop: Header=BB529_990 Depth=2
	s_or_b64 exec, exec, s[44:45]
	v_cmp_lt_u32_e64 s[44:45], v6, v151
	s_and_saveexec_b64 s[46:47], s[44:45]
	s_cbranch_execz .LBB529_1088
.LBB529_1073:                           ;   in Loop: Header=BB529_990 Depth=2
	ds_read_b32 v60, v72 offset:4096
	v_mov_b32_e32 v154, s77
	s_waitcnt lgkmcnt(0)
	v_lshrrev_b32_e32 v61, s85, v60
	v_and_b32_e32 v61, s94, v61
	v_lshlrev_b32_e32 v61, 2, v61
	ds_read_b32 v152, v61
	v_mov_b32_e32 v61, v4
	v_xor_b32_e32 v159, 0x7fffffff, v60
	s_waitcnt lgkmcnt(0)
	v_add_u32_e32 v60, v152, v6
	v_lshlrev_b64 v[60:61], 2, v[60:61]
	v_add_co_u32_e32 v60, vcc, s76, v60
	v_addc_co_u32_e32 v61, vcc, v154, v61, vcc
	global_store_dword v[60:61], v159, off
	s_or_b64 exec, exec, s[46:47]
	v_cmp_lt_u32_e64 s[46:47], v8, v151
	s_and_saveexec_b64 s[48:49], s[46:47]
	s_cbranch_execnz .LBB529_1089
.LBB529_1074:                           ;   in Loop: Header=BB529_990 Depth=2
	s_or_b64 exec, exec, s[48:49]
	v_cmp_lt_u32_e64 s[48:49], v10, v151
	s_and_saveexec_b64 s[50:51], s[48:49]
	s_cbranch_execz .LBB529_1090
.LBB529_1075:                           ;   in Loop: Header=BB529_990 Depth=2
	ds_read_b32 v60, v72 offset:6144
	v_mov_b32_e32 v154, s77
	s_waitcnt lgkmcnt(0)
	v_lshrrev_b32_e32 v61, s85, v60
	v_and_b32_e32 v61, s94, v61
	v_lshlrev_b32_e32 v61, 2, v61
	ds_read_b32 v152, v61
	v_mov_b32_e32 v61, v4
	v_xor_b32_e32 v159, 0x7fffffff, v60
	s_waitcnt lgkmcnt(0)
	v_add_u32_e32 v60, v152, v10
	v_lshlrev_b64 v[60:61], 2, v[60:61]
	v_add_co_u32_e32 v60, vcc, s76, v60
	v_addc_co_u32_e32 v61, vcc, v154, v61, vcc
	global_store_dword v[60:61], v159, off
	s_or_b64 exec, exec, s[50:51]
	v_cmp_lt_u32_e64 s[50:51], v12, v151
	s_and_saveexec_b64 s[52:53], s[50:51]
	s_cbranch_execnz .LBB529_1091
.LBB529_1076:                           ;   in Loop: Header=BB529_990 Depth=2
	s_or_b64 exec, exec, s[52:53]
	v_cmp_lt_u32_e64 s[52:53], v14, v151
	s_and_saveexec_b64 s[54:55], s[52:53]
	s_cbranch_execz .LBB529_1092
.LBB529_1077:                           ;   in Loop: Header=BB529_990 Depth=2
	ds_read_b32 v60, v72 offset:8192
	v_mov_b32_e32 v154, s77
	s_waitcnt lgkmcnt(0)
	v_lshrrev_b32_e32 v61, s85, v60
	v_and_b32_e32 v61, s94, v61
	v_lshlrev_b32_e32 v61, 2, v61
	ds_read_b32 v152, v61
	v_mov_b32_e32 v61, v4
	v_xor_b32_e32 v159, 0x7fffffff, v60
	s_waitcnt lgkmcnt(0)
	v_add_u32_e32 v60, v152, v14
	v_lshlrev_b64 v[60:61], 2, v[60:61]
	v_add_co_u32_e32 v60, vcc, s76, v60
	v_addc_co_u32_e32 v61, vcc, v154, v61, vcc
	global_store_dword v[60:61], v159, off
	s_or_b64 exec, exec, s[54:55]
	v_cmp_lt_u32_e64 s[54:55], v16, v151
	s_and_saveexec_b64 s[56:57], s[54:55]
	s_cbranch_execnz .LBB529_1093
.LBB529_1078:                           ;   in Loop: Header=BB529_990 Depth=2
	s_or_b64 exec, exec, s[56:57]
	v_cmp_lt_u32_e64 s[56:57], v18, v151
	s_and_saveexec_b64 s[58:59], s[56:57]
	s_cbranch_execz .LBB529_1094
.LBB529_1079:                           ;   in Loop: Header=BB529_990 Depth=2
	ds_read_b32 v60, v72 offset:10240
	v_mov_b32_e32 v154, s77
	s_waitcnt lgkmcnt(0)
	v_lshrrev_b32_e32 v61, s85, v60
	v_and_b32_e32 v61, s94, v61
	v_lshlrev_b32_e32 v61, 2, v61
	ds_read_b32 v152, v61
	v_mov_b32_e32 v61, v4
	v_xor_b32_e32 v159, 0x7fffffff, v60
	s_waitcnt lgkmcnt(0)
	v_add_u32_e32 v60, v152, v18
	v_lshlrev_b64 v[60:61], 2, v[60:61]
	v_add_co_u32_e32 v60, vcc, s76, v60
	v_addc_co_u32_e32 v61, vcc, v154, v61, vcc
	global_store_dword v[60:61], v159, off
	s_or_b64 exec, exec, s[58:59]
	v_cmp_lt_u32_e64 s[58:59], v20, v151
	s_and_saveexec_b64 s[60:61], s[58:59]
	s_cbranch_execnz .LBB529_1095
.LBB529_1080:                           ;   in Loop: Header=BB529_990 Depth=2
	s_or_b64 exec, exec, s[60:61]
	v_cmp_lt_u32_e64 s[60:61], v22, v151
	s_and_saveexec_b64 s[62:63], s[60:61]
	s_cbranch_execz .LBB529_1096
.LBB529_1081:                           ;   in Loop: Header=BB529_990 Depth=2
	ds_read_b32 v60, v72 offset:12288
	v_mov_b32_e32 v154, s77
	s_waitcnt lgkmcnt(0)
	v_lshrrev_b32_e32 v61, s85, v60
	v_and_b32_e32 v61, s94, v61
	v_lshlrev_b32_e32 v61, 2, v61
	ds_read_b32 v152, v61
	v_mov_b32_e32 v61, v4
	v_xor_b32_e32 v159, 0x7fffffff, v60
	s_waitcnt lgkmcnt(0)
	v_add_u32_e32 v60, v152, v22
	v_lshlrev_b64 v[60:61], 2, v[60:61]
	v_add_co_u32_e32 v60, vcc, s76, v60
	v_addc_co_u32_e32 v61, vcc, v154, v61, vcc
	global_store_dword v[60:61], v159, off
	s_or_b64 exec, exec, s[62:63]
	v_cmp_lt_u32_e64 s[62:63], v24, v151
	s_and_saveexec_b64 s[64:65], s[62:63]
	s_cbranch_execnz .LBB529_1097
.LBB529_1082:                           ;   in Loop: Header=BB529_990 Depth=2
	s_or_b64 exec, exec, s[64:65]
	v_cmp_lt_u32_e64 s[64:65], v26, v151
	s_and_saveexec_b64 s[66:67], s[64:65]
	s_cbranch_execz .LBB529_1098
.LBB529_1083:                           ;   in Loop: Header=BB529_990 Depth=2
	ds_read_b32 v60, v72 offset:14336
	v_mov_b32_e32 v154, s77
	s_waitcnt lgkmcnt(0)
	v_lshrrev_b32_e32 v61, s85, v60
	v_and_b32_e32 v61, s94, v61
	v_lshlrev_b32_e32 v61, 2, v61
	ds_read_b32 v152, v61
	v_mov_b32_e32 v61, v4
	v_xor_b32_e32 v159, 0x7fffffff, v60
	s_waitcnt lgkmcnt(0)
	v_add_u32_e32 v60, v152, v26
	v_lshlrev_b64 v[60:61], 2, v[60:61]
	v_add_co_u32_e32 v60, vcc, s76, v60
	v_addc_co_u32_e32 v61, vcc, v154, v61, vcc
	global_store_dword v[60:61], v159, off
	s_or_b64 exec, exec, s[66:67]
	v_cmp_lt_u32_e64 s[66:67], v28, v151
	s_and_saveexec_b64 s[78:79], s[66:67]
	s_cbranch_execnz .LBB529_1099
	s_branch .LBB529_1100
.LBB529_1084:                           ;   in Loop: Header=BB529_990 Depth=2
	s_or_b64 exec, exec, s[38:39]
	v_cmp_lt_u32_e64 s[38:39], v7, v151
	s_and_saveexec_b64 s[40:41], s[38:39]
	s_cbranch_execz .LBB529_1070
.LBB529_1085:                           ;   in Loop: Header=BB529_990 Depth=2
	ds_read_b32 v60, v72 offset:1024
	v_mov_b32_e32 v154, s77
	s_waitcnt lgkmcnt(0)
	v_lshrrev_b32_e32 v61, s85, v60
	v_and_b32_e32 v61, s94, v61
	v_lshlrev_b32_e32 v61, 2, v61
	ds_read_b32 v152, v61
	v_mov_b32_e32 v61, v4
	v_xor_b32_e32 v159, 0x7fffffff, v60
	s_waitcnt lgkmcnt(0)
	v_add_u32_e32 v60, v152, v7
	v_lshlrev_b64 v[60:61], 2, v[60:61]
	v_add_co_u32_e32 v60, vcc, s76, v60
	v_addc_co_u32_e32 v61, vcc, v154, v61, vcc
	global_store_dword v[60:61], v159, off
	s_or_b64 exec, exec, s[40:41]
	v_cmp_lt_u32_e64 s[40:41], v9, v151
	s_and_saveexec_b64 s[42:43], s[40:41]
	s_cbranch_execnz .LBB529_1071
.LBB529_1086:                           ;   in Loop: Header=BB529_990 Depth=2
	s_or_b64 exec, exec, s[42:43]
	v_cmp_lt_u32_e64 s[42:43], v11, v151
	s_and_saveexec_b64 s[44:45], s[42:43]
	s_cbranch_execz .LBB529_1072
.LBB529_1087:                           ;   in Loop: Header=BB529_990 Depth=2
	ds_read_b32 v60, v72 offset:3072
	v_mov_b32_e32 v154, s77
	s_waitcnt lgkmcnt(0)
	v_lshrrev_b32_e32 v61, s85, v60
	v_and_b32_e32 v61, s94, v61
	v_lshlrev_b32_e32 v61, 2, v61
	ds_read_b32 v152, v61
	v_mov_b32_e32 v61, v4
	v_xor_b32_e32 v159, 0x7fffffff, v60
	s_waitcnt lgkmcnt(0)
	v_add_u32_e32 v60, v152, v11
	v_lshlrev_b64 v[60:61], 2, v[60:61]
	v_add_co_u32_e32 v60, vcc, s76, v60
	v_addc_co_u32_e32 v61, vcc, v154, v61, vcc
	global_store_dword v[60:61], v159, off
	s_or_b64 exec, exec, s[44:45]
	v_cmp_lt_u32_e64 s[44:45], v6, v151
	s_and_saveexec_b64 s[46:47], s[44:45]
	s_cbranch_execnz .LBB529_1073
.LBB529_1088:                           ;   in Loop: Header=BB529_990 Depth=2
	s_or_b64 exec, exec, s[46:47]
	v_cmp_lt_u32_e64 s[46:47], v8, v151
	s_and_saveexec_b64 s[48:49], s[46:47]
	s_cbranch_execz .LBB529_1074
.LBB529_1089:                           ;   in Loop: Header=BB529_990 Depth=2
	ds_read_b32 v60, v72 offset:5120
	v_mov_b32_e32 v154, s77
	s_waitcnt lgkmcnt(0)
	v_lshrrev_b32_e32 v61, s85, v60
	v_and_b32_e32 v61, s94, v61
	v_lshlrev_b32_e32 v61, 2, v61
	ds_read_b32 v152, v61
	v_mov_b32_e32 v61, v4
	v_xor_b32_e32 v159, 0x7fffffff, v60
	s_waitcnt lgkmcnt(0)
	v_add_u32_e32 v60, v152, v8
	v_lshlrev_b64 v[60:61], 2, v[60:61]
	v_add_co_u32_e32 v60, vcc, s76, v60
	v_addc_co_u32_e32 v61, vcc, v154, v61, vcc
	global_store_dword v[60:61], v159, off
	s_or_b64 exec, exec, s[48:49]
	v_cmp_lt_u32_e64 s[48:49], v10, v151
	s_and_saveexec_b64 s[50:51], s[48:49]
	s_cbranch_execnz .LBB529_1075
.LBB529_1090:                           ;   in Loop: Header=BB529_990 Depth=2
	s_or_b64 exec, exec, s[50:51]
	v_cmp_lt_u32_e64 s[50:51], v12, v151
	s_and_saveexec_b64 s[52:53], s[50:51]
	s_cbranch_execz .LBB529_1076
.LBB529_1091:                           ;   in Loop: Header=BB529_990 Depth=2
	ds_read_b32 v60, v72 offset:7168
	v_mov_b32_e32 v154, s77
	s_waitcnt lgkmcnt(0)
	v_lshrrev_b32_e32 v61, s85, v60
	v_and_b32_e32 v61, s94, v61
	v_lshlrev_b32_e32 v61, 2, v61
	ds_read_b32 v152, v61
	v_mov_b32_e32 v61, v4
	v_xor_b32_e32 v159, 0x7fffffff, v60
	s_waitcnt lgkmcnt(0)
	v_add_u32_e32 v60, v152, v12
	v_lshlrev_b64 v[60:61], 2, v[60:61]
	v_add_co_u32_e32 v60, vcc, s76, v60
	v_addc_co_u32_e32 v61, vcc, v154, v61, vcc
	global_store_dword v[60:61], v159, off
	s_or_b64 exec, exec, s[52:53]
	v_cmp_lt_u32_e64 s[52:53], v14, v151
	s_and_saveexec_b64 s[54:55], s[52:53]
	s_cbranch_execnz .LBB529_1077
.LBB529_1092:                           ;   in Loop: Header=BB529_990 Depth=2
	s_or_b64 exec, exec, s[54:55]
	v_cmp_lt_u32_e64 s[54:55], v16, v151
	s_and_saveexec_b64 s[56:57], s[54:55]
	s_cbranch_execz .LBB529_1078
.LBB529_1093:                           ;   in Loop: Header=BB529_990 Depth=2
	ds_read_b32 v60, v72 offset:9216
	v_mov_b32_e32 v154, s77
	s_waitcnt lgkmcnt(0)
	v_lshrrev_b32_e32 v61, s85, v60
	v_and_b32_e32 v61, s94, v61
	v_lshlrev_b32_e32 v61, 2, v61
	ds_read_b32 v152, v61
	v_mov_b32_e32 v61, v4
	v_xor_b32_e32 v159, 0x7fffffff, v60
	s_waitcnt lgkmcnt(0)
	v_add_u32_e32 v60, v152, v16
	v_lshlrev_b64 v[60:61], 2, v[60:61]
	v_add_co_u32_e32 v60, vcc, s76, v60
	v_addc_co_u32_e32 v61, vcc, v154, v61, vcc
	global_store_dword v[60:61], v159, off
	s_or_b64 exec, exec, s[56:57]
	v_cmp_lt_u32_e64 s[56:57], v18, v151
	s_and_saveexec_b64 s[58:59], s[56:57]
	s_cbranch_execnz .LBB529_1079
.LBB529_1094:                           ;   in Loop: Header=BB529_990 Depth=2
	s_or_b64 exec, exec, s[58:59]
	v_cmp_lt_u32_e64 s[58:59], v20, v151
	s_and_saveexec_b64 s[60:61], s[58:59]
	s_cbranch_execz .LBB529_1080
.LBB529_1095:                           ;   in Loop: Header=BB529_990 Depth=2
	ds_read_b32 v60, v72 offset:11264
	v_mov_b32_e32 v154, s77
	s_waitcnt lgkmcnt(0)
	v_lshrrev_b32_e32 v61, s85, v60
	v_and_b32_e32 v61, s94, v61
	v_lshlrev_b32_e32 v61, 2, v61
	ds_read_b32 v152, v61
	v_mov_b32_e32 v61, v4
	v_xor_b32_e32 v159, 0x7fffffff, v60
	s_waitcnt lgkmcnt(0)
	v_add_u32_e32 v60, v152, v20
	v_lshlrev_b64 v[60:61], 2, v[60:61]
	v_add_co_u32_e32 v60, vcc, s76, v60
	v_addc_co_u32_e32 v61, vcc, v154, v61, vcc
	global_store_dword v[60:61], v159, off
	s_or_b64 exec, exec, s[60:61]
	v_cmp_lt_u32_e64 s[60:61], v22, v151
	s_and_saveexec_b64 s[62:63], s[60:61]
	s_cbranch_execnz .LBB529_1081
.LBB529_1096:                           ;   in Loop: Header=BB529_990 Depth=2
	s_or_b64 exec, exec, s[62:63]
	v_cmp_lt_u32_e64 s[62:63], v24, v151
	s_and_saveexec_b64 s[64:65], s[62:63]
	s_cbranch_execz .LBB529_1082
.LBB529_1097:                           ;   in Loop: Header=BB529_990 Depth=2
	ds_read_b32 v60, v72 offset:13312
	v_mov_b32_e32 v154, s77
	s_waitcnt lgkmcnt(0)
	v_lshrrev_b32_e32 v61, s85, v60
	v_and_b32_e32 v61, s94, v61
	v_lshlrev_b32_e32 v61, 2, v61
	ds_read_b32 v152, v61
	v_mov_b32_e32 v61, v4
	v_xor_b32_e32 v159, 0x7fffffff, v60
	s_waitcnt lgkmcnt(0)
	v_add_u32_e32 v60, v152, v24
	v_lshlrev_b64 v[60:61], 2, v[60:61]
	v_add_co_u32_e32 v60, vcc, s76, v60
	v_addc_co_u32_e32 v61, vcc, v154, v61, vcc
	global_store_dword v[60:61], v159, off
	s_or_b64 exec, exec, s[64:65]
	v_cmp_lt_u32_e64 s[64:65], v26, v151
	s_and_saveexec_b64 s[66:67], s[64:65]
	s_cbranch_execnz .LBB529_1083
.LBB529_1098:                           ;   in Loop: Header=BB529_990 Depth=2
	s_or_b64 exec, exec, s[66:67]
	v_cmp_lt_u32_e64 s[66:67], v28, v151
	s_and_saveexec_b64 s[78:79], s[66:67]
	s_cbranch_execz .LBB529_1100
.LBB529_1099:                           ;   in Loop: Header=BB529_990 Depth=2
	ds_read_b32 v60, v72 offset:15360
	v_mov_b32_e32 v154, s77
	s_waitcnt lgkmcnt(0)
	v_lshrrev_b32_e32 v61, s85, v60
	v_and_b32_e32 v61, s94, v61
	v_lshlrev_b32_e32 v61, 2, v61
	ds_read_b32 v152, v61
	v_mov_b32_e32 v61, v4
	v_xor_b32_e32 v159, 0x7fffffff, v60
	s_waitcnt lgkmcnt(0)
	v_add_u32_e32 v60, v152, v28
	v_lshlrev_b64 v[60:61], 2, v[60:61]
	v_add_co_u32_e32 v60, vcc, s76, v60
	v_addc_co_u32_e32 v61, vcc, v154, v61, vcc
	global_store_dword v[60:61], v159, off
.LBB529_1100:                           ;   in Loop: Header=BB529_990 Depth=2
	s_or_b64 exec, exec, s[78:79]
	s_lshl_b64 s[78:79], s[88:89], 3
	v_mov_b32_e32 v61, s79
	v_add_co_u32_e32 v60, vcc, s78, v128
	v_addc_co_u32_e32 v61, vcc, v129, v61, vcc
	v_cmp_lt_u32_e32 vcc, v109, v151
	s_and_saveexec_b64 s[78:79], vcc
	s_xor_b64 s[78:79], exec, s[78:79]
	s_cbranch_execz .LBB529_1132
; %bb.1101:                             ;   in Loop: Header=BB529_990 Depth=2
	global_load_dwordx2 v[58:59], v[60:61], off
	s_or_b64 exec, exec, s[78:79]
	v_cmp_lt_u32_e32 vcc, v110, v151
	s_and_saveexec_b64 s[78:79], vcc
	s_cbranch_execnz .LBB529_1133
.LBB529_1102:                           ;   in Loop: Header=BB529_990 Depth=2
	s_or_b64 exec, exec, s[78:79]
	v_cmp_lt_u32_e32 vcc, v111, v151
	s_and_saveexec_b64 s[78:79], vcc
	s_cbranch_execz .LBB529_1134
.LBB529_1103:                           ;   in Loop: Header=BB529_990 Depth=2
	global_load_dwordx2 v[54:55], v[60:61], off offset:1024
	s_or_b64 exec, exec, s[78:79]
	v_cmp_lt_u32_e32 vcc, v112, v151
	s_and_saveexec_b64 s[78:79], vcc
	s_cbranch_execnz .LBB529_1135
.LBB529_1104:                           ;   in Loop: Header=BB529_990 Depth=2
	s_or_b64 exec, exec, s[78:79]
	v_cmp_lt_u32_e32 vcc, v113, v151
	s_and_saveexec_b64 s[78:79], vcc
	s_cbranch_execz .LBB529_1136
.LBB529_1105:                           ;   in Loop: Header=BB529_990 Depth=2
	global_load_dwordx2 v[46:47], v[60:61], off offset:2048
	s_or_b64 exec, exec, s[78:79]
	v_cmp_lt_u32_e32 vcc, v114, v151
	s_and_saveexec_b64 s[78:79], vcc
	s_cbranch_execnz .LBB529_1137
.LBB529_1106:                           ;   in Loop: Header=BB529_990 Depth=2
	s_or_b64 exec, exec, s[78:79]
	v_cmp_lt_u32_e32 vcc, v115, v151
	s_and_saveexec_b64 s[78:79], vcc
	s_cbranch_execz .LBB529_1138
.LBB529_1107:                           ;   in Loop: Header=BB529_990 Depth=2
	global_load_dwordx2 v[38:39], v[60:61], off offset:3072
	s_or_b64 exec, exec, s[78:79]
	v_cmp_lt_u32_e32 vcc, v116, v151
	s_and_saveexec_b64 s[78:79], vcc
	s_cbranch_execnz .LBB529_1139
.LBB529_1108:                           ;   in Loop: Header=BB529_990 Depth=2
	s_or_b64 exec, exec, s[78:79]
	v_cmp_lt_u32_e32 vcc, v117, v151
	s_and_saveexec_b64 s[78:79], vcc
	s_cbranch_execz .LBB529_1140
.LBB529_1109:                           ;   in Loop: Header=BB529_990 Depth=2
	v_add_co_u32_e32 v52, vcc, 0x1000, v60
	v_addc_co_u32_e32 v53, vcc, 0, v61, vcc
	global_load_dwordx2 v[52:53], v[52:53], off
	s_or_b64 exec, exec, s[78:79]
	v_cmp_lt_u32_e32 vcc, v118, v151
	s_and_saveexec_b64 s[78:79], vcc
	s_cbranch_execnz .LBB529_1141
.LBB529_1110:                           ;   in Loop: Header=BB529_990 Depth=2
	s_or_b64 exec, exec, s[78:79]
	v_cmp_lt_u32_e32 vcc, v119, v151
	s_and_saveexec_b64 s[78:79], vcc
	s_cbranch_execz .LBB529_1142
.LBB529_1111:                           ;   in Loop: Header=BB529_990 Depth=2
	v_add_co_u32_e32 v44, vcc, 0x1000, v60
	v_addc_co_u32_e32 v45, vcc, 0, v61, vcc
	global_load_dwordx2 v[44:45], v[44:45], off offset:1024
	s_or_b64 exec, exec, s[78:79]
	v_cmp_lt_u32_e32 vcc, v120, v151
	s_and_saveexec_b64 s[78:79], vcc
	s_cbranch_execnz .LBB529_1143
.LBB529_1112:                           ;   in Loop: Header=BB529_990 Depth=2
	s_or_b64 exec, exec, s[78:79]
	v_cmp_lt_u32_e32 vcc, v121, v151
	s_and_saveexec_b64 s[78:79], vcc
	s_cbranch_execz .LBB529_1144
.LBB529_1113:                           ;   in Loop: Header=BB529_990 Depth=2
	v_add_co_u32_e32 v36, vcc, 0x1000, v60
	v_addc_co_u32_e32 v37, vcc, 0, v61, vcc
	global_load_dwordx2 v[36:37], v[36:37], off offset:2048
	s_or_b64 exec, exec, s[78:79]
	v_cmp_lt_u32_e32 vcc, v122, v151
	s_and_saveexec_b64 s[78:79], vcc
	s_cbranch_execnz .LBB529_1145
.LBB529_1114:                           ;   in Loop: Header=BB529_990 Depth=2
	s_or_b64 exec, exec, s[78:79]
	v_cmp_lt_u32_e32 vcc, v123, v151
	s_and_saveexec_b64 s[78:79], vcc
	s_cbranch_execz .LBB529_1146
.LBB529_1115:                           ;   in Loop: Header=BB529_990 Depth=2
	v_add_co_u32_e32 v30, vcc, 0x1000, v60
	v_addc_co_u32_e32 v31, vcc, 0, v61, vcc
	global_load_dwordx2 v[30:31], v[30:31], off offset:3072
	s_or_b64 exec, exec, s[78:79]
	v_cmp_lt_u32_e32 vcc, v124, v151
	s_and_saveexec_b64 s[78:79], vcc
	s_cbranch_execnz .LBB529_1147
.LBB529_1116:                           ;   in Loop: Header=BB529_990 Depth=2
	s_or_b64 exec, exec, s[78:79]
	s_and_saveexec_b64 s[78:79], s[36:37]
	s_cbranch_execz .LBB529_1148
.LBB529_1117:                           ;   in Loop: Header=BB529_990 Depth=2
	ds_read_b32 v60, v173 offset:1024
	s_waitcnt lgkmcnt(0)
	v_lshrrev_b32_e32 v60, s85, v60
	v_and_b32_e32 v149, s94, v60
	s_or_b64 exec, exec, s[78:79]
	s_and_saveexec_b64 s[78:79], s[38:39]
	s_cbranch_execnz .LBB529_1149
.LBB529_1118:                           ;   in Loop: Header=BB529_990 Depth=2
	s_or_b64 exec, exec, s[78:79]
	s_and_saveexec_b64 s[78:79], s[40:41]
	s_cbranch_execz .LBB529_1150
.LBB529_1119:                           ;   in Loop: Header=BB529_990 Depth=2
	ds_read_b32 v60, v72 offset:2048
	s_waitcnt lgkmcnt(0)
	v_lshrrev_b32_e32 v60, s85, v60
	v_and_b32_e32 v146, s94, v60
	s_or_b64 exec, exec, s[78:79]
	s_and_saveexec_b64 s[78:79], s[42:43]
	s_cbranch_execnz .LBB529_1151
.LBB529_1120:                           ;   in Loop: Header=BB529_990 Depth=2
	s_or_b64 exec, exec, s[78:79]
	s_and_saveexec_b64 s[78:79], s[44:45]
	s_cbranch_execz .LBB529_1152
.LBB529_1121:                           ;   in Loop: Header=BB529_990 Depth=2
	ds_read_b32 v60, v72 offset:4096
	s_waitcnt lgkmcnt(0)
	v_lshrrev_b32_e32 v60, s85, v60
	v_and_b32_e32 v143, s94, v60
	s_or_b64 exec, exec, s[78:79]
	s_and_saveexec_b64 s[78:79], s[46:47]
	s_cbranch_execnz .LBB529_1153
.LBB529_1122:                           ;   in Loop: Header=BB529_990 Depth=2
	s_or_b64 exec, exec, s[78:79]
	s_and_saveexec_b64 s[78:79], s[48:49]
	s_cbranch_execz .LBB529_1154
.LBB529_1123:                           ;   in Loop: Header=BB529_990 Depth=2
	ds_read_b32 v60, v72 offset:6144
	s_waitcnt lgkmcnt(0)
	v_lshrrev_b32_e32 v60, s85, v60
	v_and_b32_e32 v141, s94, v60
	s_or_b64 exec, exec, s[78:79]
	s_and_saveexec_b64 s[78:79], s[50:51]
	s_cbranch_execnz .LBB529_1155
.LBB529_1124:                           ;   in Loop: Header=BB529_990 Depth=2
	s_or_b64 exec, exec, s[78:79]
	s_and_saveexec_b64 s[78:79], s[52:53]
	s_cbranch_execz .LBB529_1156
.LBB529_1125:                           ;   in Loop: Header=BB529_990 Depth=2
	ds_read_b32 v60, v72 offset:8192
	s_waitcnt lgkmcnt(0)
	v_lshrrev_b32_e32 v60, s85, v60
	v_and_b32_e32 v139, s94, v60
	s_or_b64 exec, exec, s[78:79]
	s_and_saveexec_b64 s[78:79], s[54:55]
	s_cbranch_execnz .LBB529_1157
.LBB529_1126:                           ;   in Loop: Header=BB529_990 Depth=2
	s_or_b64 exec, exec, s[78:79]
	s_and_saveexec_b64 s[78:79], s[56:57]
	s_cbranch_execz .LBB529_1158
.LBB529_1127:                           ;   in Loop: Header=BB529_990 Depth=2
	ds_read_b32 v60, v72 offset:10240
	s_waitcnt lgkmcnt(0)
	v_lshrrev_b32_e32 v60, s85, v60
	v_and_b32_e32 v137, s94, v60
	s_or_b64 exec, exec, s[78:79]
	s_and_saveexec_b64 s[78:79], s[58:59]
	s_cbranch_execnz .LBB529_1159
.LBB529_1128:                           ;   in Loop: Header=BB529_990 Depth=2
	s_or_b64 exec, exec, s[78:79]
	s_and_saveexec_b64 s[78:79], s[60:61]
	s_cbranch_execz .LBB529_1160
.LBB529_1129:                           ;   in Loop: Header=BB529_990 Depth=2
	ds_read_b32 v60, v72 offset:12288
	s_waitcnt lgkmcnt(0)
	v_lshrrev_b32_e32 v60, s85, v60
	v_and_b32_e32 v135, s94, v60
	s_or_b64 exec, exec, s[78:79]
	s_and_saveexec_b64 s[78:79], s[62:63]
	s_cbranch_execnz .LBB529_1161
.LBB529_1130:                           ;   in Loop: Header=BB529_990 Depth=2
	s_or_b64 exec, exec, s[78:79]
	s_and_saveexec_b64 s[78:79], s[64:65]
	s_cbranch_execz .LBB529_1162
.LBB529_1131:                           ;   in Loop: Header=BB529_990 Depth=2
	ds_read_b32 v60, v72 offset:14336
	s_waitcnt lgkmcnt(0)
	v_lshrrev_b32_e32 v60, s85, v60
	v_and_b32_e32 v133, s94, v60
	s_or_b64 exec, exec, s[78:79]
	s_and_saveexec_b64 s[78:79], s[66:67]
	s_cbranch_execnz .LBB529_1163
	s_branch .LBB529_1164
.LBB529_1132:                           ;   in Loop: Header=BB529_990 Depth=2
	s_or_b64 exec, exec, s[78:79]
	v_cmp_lt_u32_e32 vcc, v110, v151
	s_and_saveexec_b64 s[78:79], vcc
	s_cbranch_execz .LBB529_1102
.LBB529_1133:                           ;   in Loop: Header=BB529_990 Depth=2
	global_load_dwordx2 v[56:57], v[60:61], off offset:512
	s_or_b64 exec, exec, s[78:79]
	v_cmp_lt_u32_e32 vcc, v111, v151
	s_and_saveexec_b64 s[78:79], vcc
	s_cbranch_execnz .LBB529_1103
.LBB529_1134:                           ;   in Loop: Header=BB529_990 Depth=2
	s_or_b64 exec, exec, s[78:79]
	v_cmp_lt_u32_e32 vcc, v112, v151
	s_and_saveexec_b64 s[78:79], vcc
	s_cbranch_execz .LBB529_1104
.LBB529_1135:                           ;   in Loop: Header=BB529_990 Depth=2
	global_load_dwordx2 v[50:51], v[60:61], off offset:1536
	s_or_b64 exec, exec, s[78:79]
	v_cmp_lt_u32_e32 vcc, v113, v151
	s_and_saveexec_b64 s[78:79], vcc
	s_cbranch_execnz .LBB529_1105
.LBB529_1136:                           ;   in Loop: Header=BB529_990 Depth=2
	s_or_b64 exec, exec, s[78:79]
	v_cmp_lt_u32_e32 vcc, v114, v151
	s_and_saveexec_b64 s[78:79], vcc
	s_cbranch_execz .LBB529_1106
.LBB529_1137:                           ;   in Loop: Header=BB529_990 Depth=2
	global_load_dwordx2 v[42:43], v[60:61], off offset:2560
	s_or_b64 exec, exec, s[78:79]
	v_cmp_lt_u32_e32 vcc, v115, v151
	s_and_saveexec_b64 s[78:79], vcc
	s_cbranch_execnz .LBB529_1107
.LBB529_1138:                           ;   in Loop: Header=BB529_990 Depth=2
	s_or_b64 exec, exec, s[78:79]
	v_cmp_lt_u32_e32 vcc, v116, v151
	s_and_saveexec_b64 s[78:79], vcc
	s_cbranch_execz .LBB529_1108
.LBB529_1139:                           ;   in Loop: Header=BB529_990 Depth=2
	global_load_dwordx2 v[34:35], v[60:61], off offset:3584
	s_or_b64 exec, exec, s[78:79]
	v_cmp_lt_u32_e32 vcc, v117, v151
	s_and_saveexec_b64 s[78:79], vcc
	s_cbranch_execnz .LBB529_1109
.LBB529_1140:                           ;   in Loop: Header=BB529_990 Depth=2
	s_or_b64 exec, exec, s[78:79]
	v_cmp_lt_u32_e32 vcc, v118, v151
	s_and_saveexec_b64 s[78:79], vcc
	s_cbranch_execz .LBB529_1110
.LBB529_1141:                           ;   in Loop: Header=BB529_990 Depth=2
	v_add_co_u32_e32 v48, vcc, 0x1000, v60
	v_addc_co_u32_e32 v49, vcc, 0, v61, vcc
	global_load_dwordx2 v[48:49], v[48:49], off offset:512
	s_or_b64 exec, exec, s[78:79]
	v_cmp_lt_u32_e32 vcc, v119, v151
	s_and_saveexec_b64 s[78:79], vcc
	s_cbranch_execnz .LBB529_1111
.LBB529_1142:                           ;   in Loop: Header=BB529_990 Depth=2
	s_or_b64 exec, exec, s[78:79]
	v_cmp_lt_u32_e32 vcc, v120, v151
	s_and_saveexec_b64 s[78:79], vcc
	s_cbranch_execz .LBB529_1112
.LBB529_1143:                           ;   in Loop: Header=BB529_990 Depth=2
	v_add_co_u32_e32 v40, vcc, 0x1000, v60
	v_addc_co_u32_e32 v41, vcc, 0, v61, vcc
	global_load_dwordx2 v[40:41], v[40:41], off offset:1536
	s_or_b64 exec, exec, s[78:79]
	v_cmp_lt_u32_e32 vcc, v121, v151
	s_and_saveexec_b64 s[78:79], vcc
	s_cbranch_execnz .LBB529_1113
.LBB529_1144:                           ;   in Loop: Header=BB529_990 Depth=2
	s_or_b64 exec, exec, s[78:79]
	v_cmp_lt_u32_e32 vcc, v122, v151
	s_and_saveexec_b64 s[78:79], vcc
	s_cbranch_execz .LBB529_1114
.LBB529_1145:                           ;   in Loop: Header=BB529_990 Depth=2
	v_add_co_u32_e32 v32, vcc, 0x1000, v60
	v_addc_co_u32_e32 v33, vcc, 0, v61, vcc
	global_load_dwordx2 v[32:33], v[32:33], off offset:2560
	s_or_b64 exec, exec, s[78:79]
	v_cmp_lt_u32_e32 vcc, v123, v151
	s_and_saveexec_b64 s[78:79], vcc
	s_cbranch_execnz .LBB529_1115
.LBB529_1146:                           ;   in Loop: Header=BB529_990 Depth=2
	s_or_b64 exec, exec, s[78:79]
	v_cmp_lt_u32_e32 vcc, v124, v151
	s_and_saveexec_b64 s[78:79], vcc
	s_cbranch_execz .LBB529_1116
.LBB529_1147:                           ;   in Loop: Header=BB529_990 Depth=2
	v_add_co_u32_e32 v0, vcc, 0x1000, v60
	v_addc_co_u32_e32 v1, vcc, 0, v61, vcc
	global_load_dwordx2 v[0:1], v[0:1], off offset:3584
	s_or_b64 exec, exec, s[78:79]
	s_and_saveexec_b64 s[78:79], s[36:37]
	s_cbranch_execnz .LBB529_1117
.LBB529_1148:                           ;   in Loop: Header=BB529_990 Depth=2
	s_or_b64 exec, exec, s[78:79]
	s_and_saveexec_b64 s[78:79], s[38:39]
	s_cbranch_execz .LBB529_1118
.LBB529_1149:                           ;   in Loop: Header=BB529_990 Depth=2
	ds_read_b32 v60, v72 offset:1024
	s_waitcnt lgkmcnt(0)
	v_lshrrev_b32_e32 v60, s85, v60
	v_and_b32_e32 v147, s94, v60
	s_or_b64 exec, exec, s[78:79]
	s_and_saveexec_b64 s[78:79], s[40:41]
	s_cbranch_execnz .LBB529_1119
.LBB529_1150:                           ;   in Loop: Header=BB529_990 Depth=2
	s_or_b64 exec, exec, s[78:79]
	s_and_saveexec_b64 s[78:79], s[42:43]
	s_cbranch_execz .LBB529_1120
.LBB529_1151:                           ;   in Loop: Header=BB529_990 Depth=2
	ds_read_b32 v60, v72 offset:3072
	s_waitcnt lgkmcnt(0)
	v_lshrrev_b32_e32 v60, s85, v60
	v_and_b32_e32 v144, s94, v60
	s_or_b64 exec, exec, s[78:79]
	s_and_saveexec_b64 s[78:79], s[44:45]
	s_cbranch_execnz .LBB529_1121
.LBB529_1152:                           ;   in Loop: Header=BB529_990 Depth=2
	s_or_b64 exec, exec, s[78:79]
	s_and_saveexec_b64 s[78:79], s[46:47]
	s_cbranch_execz .LBB529_1122
.LBB529_1153:                           ;   in Loop: Header=BB529_990 Depth=2
	ds_read_b32 v60, v72 offset:5120
	s_waitcnt lgkmcnt(0)
	v_lshrrev_b32_e32 v60, s85, v60
	v_and_b32_e32 v142, s94, v60
	s_or_b64 exec, exec, s[78:79]
	s_and_saveexec_b64 s[78:79], s[48:49]
	s_cbranch_execnz .LBB529_1123
.LBB529_1154:                           ;   in Loop: Header=BB529_990 Depth=2
	s_or_b64 exec, exec, s[78:79]
	s_and_saveexec_b64 s[78:79], s[50:51]
	s_cbranch_execz .LBB529_1124
.LBB529_1155:                           ;   in Loop: Header=BB529_990 Depth=2
	ds_read_b32 v60, v72 offset:7168
	s_waitcnt lgkmcnt(0)
	v_lshrrev_b32_e32 v60, s85, v60
	v_and_b32_e32 v140, s94, v60
	s_or_b64 exec, exec, s[78:79]
	s_and_saveexec_b64 s[78:79], s[52:53]
	s_cbranch_execnz .LBB529_1125
.LBB529_1156:                           ;   in Loop: Header=BB529_990 Depth=2
	s_or_b64 exec, exec, s[78:79]
	s_and_saveexec_b64 s[78:79], s[54:55]
	s_cbranch_execz .LBB529_1126
.LBB529_1157:                           ;   in Loop: Header=BB529_990 Depth=2
	ds_read_b32 v60, v72 offset:9216
	s_waitcnt lgkmcnt(0)
	v_lshrrev_b32_e32 v60, s85, v60
	v_and_b32_e32 v138, s94, v60
	s_or_b64 exec, exec, s[78:79]
	s_and_saveexec_b64 s[78:79], s[56:57]
	s_cbranch_execnz .LBB529_1127
.LBB529_1158:                           ;   in Loop: Header=BB529_990 Depth=2
	s_or_b64 exec, exec, s[78:79]
	s_and_saveexec_b64 s[78:79], s[58:59]
	s_cbranch_execz .LBB529_1128
.LBB529_1159:                           ;   in Loop: Header=BB529_990 Depth=2
	ds_read_b32 v60, v72 offset:11264
	s_waitcnt lgkmcnt(0)
	v_lshrrev_b32_e32 v60, s85, v60
	v_and_b32_e32 v136, s94, v60
	s_or_b64 exec, exec, s[78:79]
	s_and_saveexec_b64 s[78:79], s[60:61]
	s_cbranch_execnz .LBB529_1129
.LBB529_1160:                           ;   in Loop: Header=BB529_990 Depth=2
	s_or_b64 exec, exec, s[78:79]
	s_and_saveexec_b64 s[78:79], s[62:63]
	s_cbranch_execz .LBB529_1130
.LBB529_1161:                           ;   in Loop: Header=BB529_990 Depth=2
	ds_read_b32 v60, v72 offset:13312
	s_waitcnt lgkmcnt(0)
	v_lshrrev_b32_e32 v60, s85, v60
	v_and_b32_e32 v134, s94, v60
	s_or_b64 exec, exec, s[78:79]
	s_and_saveexec_b64 s[78:79], s[64:65]
	s_cbranch_execnz .LBB529_1131
.LBB529_1162:                           ;   in Loop: Header=BB529_990 Depth=2
	s_or_b64 exec, exec, s[78:79]
	s_and_saveexec_b64 s[78:79], s[66:67]
	s_cbranch_execz .LBB529_1164
.LBB529_1163:                           ;   in Loop: Header=BB529_990 Depth=2
	ds_read_b32 v60, v72 offset:15360
	s_waitcnt lgkmcnt(0)
	v_lshrrev_b32_e32 v60, s85, v60
	v_and_b32_e32 v132, s94, v60
.LBB529_1164:                           ;   in Loop: Header=BB529_990 Depth=2
	s_or_b64 exec, exec, s[78:79]
	v_lshlrev_b32_e32 v60, 3, v172
	s_barrier
	s_waitcnt vmcnt(0)
	ds_write_b64 v60, v[58:59] offset:1024
	v_lshlrev_b32_e32 v60, 3, v168
	ds_write_b64 v60, v[56:57] offset:1024
	v_lshlrev_b32_e32 v60, 3, v167
	;; [unrolled: 2-line block ×15, first 2 shown]
	ds_write_b64 v60, v[0:1] offset:1024
	s_waitcnt lgkmcnt(0)
	s_barrier
	s_and_saveexec_b64 s[78:79], s[36:37]
	s_cbranch_execz .LBB529_1180
; %bb.1165:                             ;   in Loop: Header=BB529_990 Depth=2
	v_lshlrev_b32_e32 v60, 2, v149
	ds_read_b32 v62, v60
	ds_read_b64 v[60:61], v73 offset:1024
	v_mov_b32_e32 v63, v4
	v_mov_b32_e32 v151, s83
	s_waitcnt lgkmcnt(1)
	v_add_u32_e32 v62, v62, v2
	v_lshlrev_b64 v[62:63], 3, v[62:63]
	v_add_co_u32_e32 v62, vcc, s82, v62
	v_addc_co_u32_e32 v63, vcc, v151, v63, vcc
	s_waitcnt lgkmcnt(0)
	global_store_dwordx2 v[62:63], v[60:61], off
	s_or_b64 exec, exec, s[78:79]
	v_add_u32_e32 v60, v72, v3
	s_and_saveexec_b64 s[36:37], s[38:39]
	s_cbranch_execnz .LBB529_1181
.LBB529_1166:                           ;   in Loop: Header=BB529_990 Depth=2
	s_or_b64 exec, exec, s[36:37]
	s_and_saveexec_b64 s[36:37], s[40:41]
	s_cbranch_execz .LBB529_1182
.LBB529_1167:                           ;   in Loop: Header=BB529_990 Depth=2
	v_lshlrev_b32_e32 v61, 2, v146
	ds_read_b32 v61, v61
	ds_read_b64 v[62:63], v60 offset:4096
	v_mov_b32_e32 v153, v4
	v_mov_b32_e32 v151, s83
	s_waitcnt lgkmcnt(1)
	v_add_u32_e32 v152, v61, v9
	v_lshlrev_b64 v[152:153], 3, v[152:153]
	v_add_co_u32_e32 v152, vcc, s82, v152
	v_addc_co_u32_e32 v153, vcc, v151, v153, vcc
	s_waitcnt lgkmcnt(0)
	global_store_dwordx2 v[152:153], v[62:63], off
	s_or_b64 exec, exec, s[36:37]
	s_and_saveexec_b64 s[36:37], s[42:43]
	s_cbranch_execnz .LBB529_1183
.LBB529_1168:                           ;   in Loop: Header=BB529_990 Depth=2
	s_or_b64 exec, exec, s[36:37]
	s_and_saveexec_b64 s[36:37], s[44:45]
	s_cbranch_execz .LBB529_1184
.LBB529_1169:                           ;   in Loop: Header=BB529_990 Depth=2
	v_lshlrev_b32_e32 v61, 2, v143
	ds_read_b32 v61, v61
	ds_read_b64 v[62:63], v60 offset:8192
	v_mov_b32_e32 v153, v4
	v_mov_b32_e32 v151, s83
	s_waitcnt lgkmcnt(1)
	v_add_u32_e32 v152, v61, v6
	v_lshlrev_b64 v[152:153], 3, v[152:153]
	v_add_co_u32_e32 v152, vcc, s82, v152
	v_addc_co_u32_e32 v153, vcc, v151, v153, vcc
	s_waitcnt lgkmcnt(0)
	global_store_dwordx2 v[152:153], v[62:63], off
	s_or_b64 exec, exec, s[36:37]
	s_and_saveexec_b64 s[36:37], s[46:47]
	s_cbranch_execnz .LBB529_1185
.LBB529_1170:                           ;   in Loop: Header=BB529_990 Depth=2
	s_or_b64 exec, exec, s[36:37]
	s_and_saveexec_b64 s[36:37], s[48:49]
	s_cbranch_execz .LBB529_1186
.LBB529_1171:                           ;   in Loop: Header=BB529_990 Depth=2
	v_lshlrev_b32_e32 v61, 2, v141
	ds_read_b32 v61, v61
	ds_read_b64 v[62:63], v60 offset:12288
	v_mov_b32_e32 v153, v4
	v_mov_b32_e32 v151, s83
	s_waitcnt lgkmcnt(1)
	v_add_u32_e32 v152, v61, v10
	v_lshlrev_b64 v[152:153], 3, v[152:153]
	v_add_co_u32_e32 v152, vcc, s82, v152
	v_addc_co_u32_e32 v153, vcc, v151, v153, vcc
	s_waitcnt lgkmcnt(0)
	global_store_dwordx2 v[152:153], v[62:63], off
	s_or_b64 exec, exec, s[36:37]
	s_and_saveexec_b64 s[36:37], s[50:51]
	s_cbranch_execnz .LBB529_1187
.LBB529_1172:                           ;   in Loop: Header=BB529_990 Depth=2
	s_or_b64 exec, exec, s[36:37]
	s_and_saveexec_b64 s[36:37], s[52:53]
	s_cbranch_execz .LBB529_1188
.LBB529_1173:                           ;   in Loop: Header=BB529_990 Depth=2
	v_lshlrev_b32_e32 v61, 2, v139
	ds_read_b32 v61, v61
	ds_read_b64 v[62:63], v60 offset:16384
	v_mov_b32_e32 v153, v4
	v_mov_b32_e32 v151, s83
	s_waitcnt lgkmcnt(1)
	v_add_u32_e32 v152, v61, v14
	v_lshlrev_b64 v[152:153], 3, v[152:153]
	v_add_co_u32_e32 v152, vcc, s82, v152
	v_addc_co_u32_e32 v153, vcc, v151, v153, vcc
	s_waitcnt lgkmcnt(0)
	global_store_dwordx2 v[152:153], v[62:63], off
	s_or_b64 exec, exec, s[36:37]
	s_and_saveexec_b64 s[36:37], s[54:55]
	s_cbranch_execnz .LBB529_1189
.LBB529_1174:                           ;   in Loop: Header=BB529_990 Depth=2
	s_or_b64 exec, exec, s[36:37]
	s_and_saveexec_b64 s[36:37], s[56:57]
	s_cbranch_execz .LBB529_1190
.LBB529_1175:                           ;   in Loop: Header=BB529_990 Depth=2
	v_lshlrev_b32_e32 v61, 2, v137
	ds_read_b32 v61, v61
	ds_read_b64 v[62:63], v60 offset:20480
	v_mov_b32_e32 v153, v4
	v_mov_b32_e32 v151, s83
	s_waitcnt lgkmcnt(1)
	v_add_u32_e32 v152, v61, v18
	v_lshlrev_b64 v[152:153], 3, v[152:153]
	v_add_co_u32_e32 v152, vcc, s82, v152
	v_addc_co_u32_e32 v153, vcc, v151, v153, vcc
	s_waitcnt lgkmcnt(0)
	global_store_dwordx2 v[152:153], v[62:63], off
	s_or_b64 exec, exec, s[36:37]
	s_and_saveexec_b64 s[36:37], s[58:59]
	s_cbranch_execnz .LBB529_1191
.LBB529_1176:                           ;   in Loop: Header=BB529_990 Depth=2
	s_or_b64 exec, exec, s[36:37]
	s_and_saveexec_b64 s[36:37], s[60:61]
	s_cbranch_execz .LBB529_1192
.LBB529_1177:                           ;   in Loop: Header=BB529_990 Depth=2
	v_lshlrev_b32_e32 v61, 2, v135
	ds_read_b32 v61, v61
	ds_read_b64 v[62:63], v60 offset:24576
	v_mov_b32_e32 v153, v4
	v_mov_b32_e32 v151, s83
	s_waitcnt lgkmcnt(1)
	v_add_u32_e32 v152, v61, v22
	v_lshlrev_b64 v[152:153], 3, v[152:153]
	v_add_co_u32_e32 v152, vcc, s82, v152
	v_addc_co_u32_e32 v153, vcc, v151, v153, vcc
	s_waitcnt lgkmcnt(0)
	global_store_dwordx2 v[152:153], v[62:63], off
	s_or_b64 exec, exec, s[36:37]
	s_and_saveexec_b64 s[36:37], s[62:63]
	s_cbranch_execnz .LBB529_1193
.LBB529_1178:                           ;   in Loop: Header=BB529_990 Depth=2
	s_or_b64 exec, exec, s[36:37]
	s_and_saveexec_b64 s[36:37], s[64:65]
	s_cbranch_execz .LBB529_1194
.LBB529_1179:                           ;   in Loop: Header=BB529_990 Depth=2
	v_lshlrev_b32_e32 v61, 2, v133
	ds_read_b32 v61, v61
	ds_read_b64 v[62:63], v60 offset:28672
	v_mov_b32_e32 v153, v4
	v_mov_b32_e32 v151, s83
	s_waitcnt lgkmcnt(1)
	v_add_u32_e32 v152, v61, v26
	v_lshlrev_b64 v[152:153], 3, v[152:153]
	v_add_co_u32_e32 v152, vcc, s82, v152
	v_addc_co_u32_e32 v153, vcc, v151, v153, vcc
	s_waitcnt lgkmcnt(0)
	global_store_dwordx2 v[152:153], v[62:63], off
	s_or_b64 exec, exec, s[36:37]
	s_and_saveexec_b64 s[36:37], s[66:67]
	s_cbranch_execnz .LBB529_1195
	s_branch .LBB529_1196
.LBB529_1180:                           ;   in Loop: Header=BB529_990 Depth=2
	s_or_b64 exec, exec, s[78:79]
	v_add_u32_e32 v60, v72, v3
	s_and_saveexec_b64 s[36:37], s[38:39]
	s_cbranch_execz .LBB529_1166
.LBB529_1181:                           ;   in Loop: Header=BB529_990 Depth=2
	v_lshlrev_b32_e32 v61, 2, v147
	ds_read_b32 v61, v61
	ds_read_b64 v[62:63], v60 offset:2048
	v_mov_b32_e32 v153, v4
	v_mov_b32_e32 v151, s83
	s_waitcnt lgkmcnt(1)
	v_add_u32_e32 v152, v61, v7
	v_lshlrev_b64 v[152:153], 3, v[152:153]
	v_add_co_u32_e32 v152, vcc, s82, v152
	v_addc_co_u32_e32 v153, vcc, v151, v153, vcc
	s_waitcnt lgkmcnt(0)
	global_store_dwordx2 v[152:153], v[62:63], off
	s_or_b64 exec, exec, s[36:37]
	s_and_saveexec_b64 s[36:37], s[40:41]
	s_cbranch_execnz .LBB529_1167
.LBB529_1182:                           ;   in Loop: Header=BB529_990 Depth=2
	s_or_b64 exec, exec, s[36:37]
	s_and_saveexec_b64 s[36:37], s[42:43]
	s_cbranch_execz .LBB529_1168
.LBB529_1183:                           ;   in Loop: Header=BB529_990 Depth=2
	v_lshlrev_b32_e32 v61, 2, v144
	ds_read_b32 v61, v61
	ds_read_b64 v[62:63], v60 offset:6144
	v_mov_b32_e32 v153, v4
	v_mov_b32_e32 v151, s83
	s_waitcnt lgkmcnt(1)
	v_add_u32_e32 v152, v61, v11
	v_lshlrev_b64 v[152:153], 3, v[152:153]
	v_add_co_u32_e32 v152, vcc, s82, v152
	v_addc_co_u32_e32 v153, vcc, v151, v153, vcc
	s_waitcnt lgkmcnt(0)
	global_store_dwordx2 v[152:153], v[62:63], off
	s_or_b64 exec, exec, s[36:37]
	s_and_saveexec_b64 s[36:37], s[44:45]
	s_cbranch_execnz .LBB529_1169
.LBB529_1184:                           ;   in Loop: Header=BB529_990 Depth=2
	s_or_b64 exec, exec, s[36:37]
	s_and_saveexec_b64 s[36:37], s[46:47]
	s_cbranch_execz .LBB529_1170
.LBB529_1185:                           ;   in Loop: Header=BB529_990 Depth=2
	v_lshlrev_b32_e32 v61, 2, v142
	ds_read_b32 v61, v61
	ds_read_b64 v[62:63], v60 offset:10240
	v_mov_b32_e32 v153, v4
	v_mov_b32_e32 v151, s83
	s_waitcnt lgkmcnt(1)
	v_add_u32_e32 v152, v61, v8
	v_lshlrev_b64 v[152:153], 3, v[152:153]
	v_add_co_u32_e32 v152, vcc, s82, v152
	v_addc_co_u32_e32 v153, vcc, v151, v153, vcc
	s_waitcnt lgkmcnt(0)
	global_store_dwordx2 v[152:153], v[62:63], off
	s_or_b64 exec, exec, s[36:37]
	s_and_saveexec_b64 s[36:37], s[48:49]
	s_cbranch_execnz .LBB529_1171
.LBB529_1186:                           ;   in Loop: Header=BB529_990 Depth=2
	s_or_b64 exec, exec, s[36:37]
	s_and_saveexec_b64 s[36:37], s[50:51]
	s_cbranch_execz .LBB529_1172
.LBB529_1187:                           ;   in Loop: Header=BB529_990 Depth=2
	v_lshlrev_b32_e32 v61, 2, v140
	ds_read_b32 v61, v61
	ds_read_b64 v[62:63], v60 offset:14336
	v_mov_b32_e32 v153, v4
	v_mov_b32_e32 v151, s83
	s_waitcnt lgkmcnt(1)
	v_add_u32_e32 v152, v61, v12
	v_lshlrev_b64 v[152:153], 3, v[152:153]
	v_add_co_u32_e32 v152, vcc, s82, v152
	v_addc_co_u32_e32 v153, vcc, v151, v153, vcc
	s_waitcnt lgkmcnt(0)
	global_store_dwordx2 v[152:153], v[62:63], off
	s_or_b64 exec, exec, s[36:37]
	s_and_saveexec_b64 s[36:37], s[52:53]
	s_cbranch_execnz .LBB529_1173
.LBB529_1188:                           ;   in Loop: Header=BB529_990 Depth=2
	s_or_b64 exec, exec, s[36:37]
	s_and_saveexec_b64 s[36:37], s[54:55]
	s_cbranch_execz .LBB529_1174
.LBB529_1189:                           ;   in Loop: Header=BB529_990 Depth=2
	v_lshlrev_b32_e32 v61, 2, v138
	ds_read_b32 v61, v61
	ds_read_b64 v[62:63], v60 offset:18432
	v_mov_b32_e32 v153, v4
	v_mov_b32_e32 v151, s83
	s_waitcnt lgkmcnt(1)
	v_add_u32_e32 v152, v61, v16
	v_lshlrev_b64 v[152:153], 3, v[152:153]
	v_add_co_u32_e32 v152, vcc, s82, v152
	v_addc_co_u32_e32 v153, vcc, v151, v153, vcc
	s_waitcnt lgkmcnt(0)
	global_store_dwordx2 v[152:153], v[62:63], off
	s_or_b64 exec, exec, s[36:37]
	s_and_saveexec_b64 s[36:37], s[56:57]
	s_cbranch_execnz .LBB529_1175
.LBB529_1190:                           ;   in Loop: Header=BB529_990 Depth=2
	s_or_b64 exec, exec, s[36:37]
	s_and_saveexec_b64 s[36:37], s[58:59]
	s_cbranch_execz .LBB529_1176
.LBB529_1191:                           ;   in Loop: Header=BB529_990 Depth=2
	v_lshlrev_b32_e32 v61, 2, v136
	ds_read_b32 v61, v61
	ds_read_b64 v[62:63], v60 offset:22528
	v_mov_b32_e32 v153, v4
	v_mov_b32_e32 v151, s83
	s_waitcnt lgkmcnt(1)
	v_add_u32_e32 v152, v61, v20
	v_lshlrev_b64 v[152:153], 3, v[152:153]
	v_add_co_u32_e32 v152, vcc, s82, v152
	v_addc_co_u32_e32 v153, vcc, v151, v153, vcc
	s_waitcnt lgkmcnt(0)
	global_store_dwordx2 v[152:153], v[62:63], off
	s_or_b64 exec, exec, s[36:37]
	s_and_saveexec_b64 s[36:37], s[60:61]
	s_cbranch_execnz .LBB529_1177
.LBB529_1192:                           ;   in Loop: Header=BB529_990 Depth=2
	s_or_b64 exec, exec, s[36:37]
	s_and_saveexec_b64 s[36:37], s[62:63]
	s_cbranch_execz .LBB529_1178
.LBB529_1193:                           ;   in Loop: Header=BB529_990 Depth=2
	v_lshlrev_b32_e32 v61, 2, v134
	ds_read_b32 v61, v61
	ds_read_b64 v[62:63], v60 offset:26624
	v_mov_b32_e32 v153, v4
	v_mov_b32_e32 v151, s83
	s_waitcnt lgkmcnt(1)
	v_add_u32_e32 v152, v61, v24
	v_lshlrev_b64 v[152:153], 3, v[152:153]
	v_add_co_u32_e32 v152, vcc, s82, v152
	v_addc_co_u32_e32 v153, vcc, v151, v153, vcc
	s_waitcnt lgkmcnt(0)
	global_store_dwordx2 v[152:153], v[62:63], off
	s_or_b64 exec, exec, s[36:37]
	s_and_saveexec_b64 s[36:37], s[64:65]
	s_cbranch_execnz .LBB529_1179
.LBB529_1194:                           ;   in Loop: Header=BB529_990 Depth=2
	s_or_b64 exec, exec, s[36:37]
	s_and_saveexec_b64 s[36:37], s[66:67]
	s_cbranch_execz .LBB529_1196
.LBB529_1195:                           ;   in Loop: Header=BB529_990 Depth=2
	v_lshlrev_b32_e32 v61, 2, v132
	ds_read_b32 v62, v61
	ds_read_b64 v[60:61], v60 offset:30720
	v_mov_b32_e32 v63, v4
	v_mov_b32_e32 v151, s83
	s_waitcnt lgkmcnt(1)
	v_add_u32_e32 v62, v62, v28
	v_lshlrev_b64 v[62:63], 3, v[62:63]
	v_add_co_u32_e32 v62, vcc, s82, v62
	v_addc_co_u32_e32 v63, vcc, v151, v63, vcc
	s_waitcnt lgkmcnt(0)
	global_store_dwordx2 v[62:63], v[60:61], off
.LBB529_1196:                           ;   in Loop: Header=BB529_990 Depth=2
	s_or_b64 exec, exec, s[36:37]
	s_barrier
	s_and_saveexec_b64 s[36:37], s[4:5]
	s_cbranch_execz .LBB529_989
; %bb.1197:                             ;   in Loop: Header=BB529_990 Depth=2
	ds_read_b32 v60, v3
	s_waitcnt lgkmcnt(0)
	v_add_u32_e32 v5, v60, v5
	ds_write_b32 v3, v5
	s_branch .LBB529_989
.LBB529_1198:
	s_endpgm
	.section	.rodata,"a",@progbits
	.p2align	6, 0x0
	.amdhsa_kernel _ZN7rocprim17ROCPRIM_400000_NS6detail17trampoline_kernelINS0_14default_configENS1_36segmented_radix_sort_config_selectorIilEEZNS1_25segmented_radix_sort_implIS3_Lb1EPKiPiPKlPlN2at6native12_GLOBAL__N_18offset_tEEE10hipError_tPvRmT1_PNSt15iterator_traitsISK_E10value_typeET2_T3_PNSL_ISQ_E10value_typeET4_jRbjT5_SW_jjP12ihipStream_tbEUlT_E2_NS1_11comp_targetILNS1_3genE4ELNS1_11target_archE910ELNS1_3gpuE8ELNS1_3repE0EEENS1_30default_config_static_selectorELNS0_4arch9wavefront6targetE1EEEvSK_
		.amdhsa_group_segment_fixed_size 33808
		.amdhsa_private_segment_fixed_size 264
		.amdhsa_kernarg_size 336
		.amdhsa_user_sgpr_count 8
		.amdhsa_user_sgpr_private_segment_buffer 1
		.amdhsa_user_sgpr_dispatch_ptr 0
		.amdhsa_user_sgpr_queue_ptr 0
		.amdhsa_user_sgpr_kernarg_segment_ptr 1
		.amdhsa_user_sgpr_dispatch_id 0
		.amdhsa_user_sgpr_flat_scratch_init 1
		.amdhsa_user_sgpr_kernarg_preload_length 0
		.amdhsa_user_sgpr_kernarg_preload_offset 0
		.amdhsa_user_sgpr_private_segment_size 0
		.amdhsa_uses_dynamic_stack 0
		.amdhsa_system_sgpr_private_segment_wavefront_offset 1
		.amdhsa_system_sgpr_workgroup_id_x 1
		.amdhsa_system_sgpr_workgroup_id_y 1
		.amdhsa_system_sgpr_workgroup_id_z 0
		.amdhsa_system_sgpr_workgroup_info 0
		.amdhsa_system_vgpr_workitem_id 2
		.amdhsa_next_free_vgpr 280
		.amdhsa_next_free_sgpr 97
		.amdhsa_accum_offset 248
		.amdhsa_reserve_vcc 1
		.amdhsa_reserve_flat_scratch 1
		.amdhsa_float_round_mode_32 0
		.amdhsa_float_round_mode_16_64 0
		.amdhsa_float_denorm_mode_32 3
		.amdhsa_float_denorm_mode_16_64 3
		.amdhsa_dx10_clamp 1
		.amdhsa_ieee_mode 1
		.amdhsa_fp16_overflow 0
		.amdhsa_tg_split 0
		.amdhsa_exception_fp_ieee_invalid_op 0
		.amdhsa_exception_fp_denorm_src 0
		.amdhsa_exception_fp_ieee_div_zero 0
		.amdhsa_exception_fp_ieee_overflow 0
		.amdhsa_exception_fp_ieee_underflow 0
		.amdhsa_exception_fp_ieee_inexact 0
		.amdhsa_exception_int_div_zero 0
	.end_amdhsa_kernel
	.section	.text._ZN7rocprim17ROCPRIM_400000_NS6detail17trampoline_kernelINS0_14default_configENS1_36segmented_radix_sort_config_selectorIilEEZNS1_25segmented_radix_sort_implIS3_Lb1EPKiPiPKlPlN2at6native12_GLOBAL__N_18offset_tEEE10hipError_tPvRmT1_PNSt15iterator_traitsISK_E10value_typeET2_T3_PNSL_ISQ_E10value_typeET4_jRbjT5_SW_jjP12ihipStream_tbEUlT_E2_NS1_11comp_targetILNS1_3genE4ELNS1_11target_archE910ELNS1_3gpuE8ELNS1_3repE0EEENS1_30default_config_static_selectorELNS0_4arch9wavefront6targetE1EEEvSK_,"axG",@progbits,_ZN7rocprim17ROCPRIM_400000_NS6detail17trampoline_kernelINS0_14default_configENS1_36segmented_radix_sort_config_selectorIilEEZNS1_25segmented_radix_sort_implIS3_Lb1EPKiPiPKlPlN2at6native12_GLOBAL__N_18offset_tEEE10hipError_tPvRmT1_PNSt15iterator_traitsISK_E10value_typeET2_T3_PNSL_ISQ_E10value_typeET4_jRbjT5_SW_jjP12ihipStream_tbEUlT_E2_NS1_11comp_targetILNS1_3genE4ELNS1_11target_archE910ELNS1_3gpuE8ELNS1_3repE0EEENS1_30default_config_static_selectorELNS0_4arch9wavefront6targetE1EEEvSK_,comdat
.Lfunc_end529:
	.size	_ZN7rocprim17ROCPRIM_400000_NS6detail17trampoline_kernelINS0_14default_configENS1_36segmented_radix_sort_config_selectorIilEEZNS1_25segmented_radix_sort_implIS3_Lb1EPKiPiPKlPlN2at6native12_GLOBAL__N_18offset_tEEE10hipError_tPvRmT1_PNSt15iterator_traitsISK_E10value_typeET2_T3_PNSL_ISQ_E10value_typeET4_jRbjT5_SW_jjP12ihipStream_tbEUlT_E2_NS1_11comp_targetILNS1_3genE4ELNS1_11target_archE910ELNS1_3gpuE8ELNS1_3repE0EEENS1_30default_config_static_selectorELNS0_4arch9wavefront6targetE1EEEvSK_, .Lfunc_end529-_ZN7rocprim17ROCPRIM_400000_NS6detail17trampoline_kernelINS0_14default_configENS1_36segmented_radix_sort_config_selectorIilEEZNS1_25segmented_radix_sort_implIS3_Lb1EPKiPiPKlPlN2at6native12_GLOBAL__N_18offset_tEEE10hipError_tPvRmT1_PNSt15iterator_traitsISK_E10value_typeET2_T3_PNSL_ISQ_E10value_typeET4_jRbjT5_SW_jjP12ihipStream_tbEUlT_E2_NS1_11comp_targetILNS1_3genE4ELNS1_11target_archE910ELNS1_3gpuE8ELNS1_3repE0EEENS1_30default_config_static_selectorELNS0_4arch9wavefront6targetE1EEEvSK_
                                        ; -- End function
	.section	.AMDGPU.csdata,"",@progbits
; Kernel info:
; codeLenInByte = 63964
; NumSgprs: 103
; NumVgprs: 248
; NumAgprs: 32
; TotalNumVgprs: 280
; ScratchSize: 264
; MemoryBound: 0
; FloatMode: 240
; IeeeMode: 1
; LDSByteSize: 33808 bytes/workgroup (compile time only)
; SGPRBlocks: 12
; VGPRBlocks: 34
; NumSGPRsForWavesPerEU: 103
; NumVGPRsForWavesPerEU: 280
; AccumOffset: 248
; Occupancy: 1
; WaveLimiterHint : 1
; COMPUTE_PGM_RSRC2:SCRATCH_EN: 1
; COMPUTE_PGM_RSRC2:USER_SGPR: 8
; COMPUTE_PGM_RSRC2:TRAP_HANDLER: 0
; COMPUTE_PGM_RSRC2:TGID_X_EN: 1
; COMPUTE_PGM_RSRC2:TGID_Y_EN: 1
; COMPUTE_PGM_RSRC2:TGID_Z_EN: 0
; COMPUTE_PGM_RSRC2:TIDIG_COMP_CNT: 2
; COMPUTE_PGM_RSRC3_GFX90A:ACCUM_OFFSET: 61
; COMPUTE_PGM_RSRC3_GFX90A:TG_SPLIT: 0
	.section	.text._ZN7rocprim17ROCPRIM_400000_NS6detail17trampoline_kernelINS0_14default_configENS1_36segmented_radix_sort_config_selectorIilEEZNS1_25segmented_radix_sort_implIS3_Lb1EPKiPiPKlPlN2at6native12_GLOBAL__N_18offset_tEEE10hipError_tPvRmT1_PNSt15iterator_traitsISK_E10value_typeET2_T3_PNSL_ISQ_E10value_typeET4_jRbjT5_SW_jjP12ihipStream_tbEUlT_E2_NS1_11comp_targetILNS1_3genE3ELNS1_11target_archE908ELNS1_3gpuE7ELNS1_3repE0EEENS1_30default_config_static_selectorELNS0_4arch9wavefront6targetE1EEEvSK_,"axG",@progbits,_ZN7rocprim17ROCPRIM_400000_NS6detail17trampoline_kernelINS0_14default_configENS1_36segmented_radix_sort_config_selectorIilEEZNS1_25segmented_radix_sort_implIS3_Lb1EPKiPiPKlPlN2at6native12_GLOBAL__N_18offset_tEEE10hipError_tPvRmT1_PNSt15iterator_traitsISK_E10value_typeET2_T3_PNSL_ISQ_E10value_typeET4_jRbjT5_SW_jjP12ihipStream_tbEUlT_E2_NS1_11comp_targetILNS1_3genE3ELNS1_11target_archE908ELNS1_3gpuE7ELNS1_3repE0EEENS1_30default_config_static_selectorELNS0_4arch9wavefront6targetE1EEEvSK_,comdat
	.globl	_ZN7rocprim17ROCPRIM_400000_NS6detail17trampoline_kernelINS0_14default_configENS1_36segmented_radix_sort_config_selectorIilEEZNS1_25segmented_radix_sort_implIS3_Lb1EPKiPiPKlPlN2at6native12_GLOBAL__N_18offset_tEEE10hipError_tPvRmT1_PNSt15iterator_traitsISK_E10value_typeET2_T3_PNSL_ISQ_E10value_typeET4_jRbjT5_SW_jjP12ihipStream_tbEUlT_E2_NS1_11comp_targetILNS1_3genE3ELNS1_11target_archE908ELNS1_3gpuE7ELNS1_3repE0EEENS1_30default_config_static_selectorELNS0_4arch9wavefront6targetE1EEEvSK_ ; -- Begin function _ZN7rocprim17ROCPRIM_400000_NS6detail17trampoline_kernelINS0_14default_configENS1_36segmented_radix_sort_config_selectorIilEEZNS1_25segmented_radix_sort_implIS3_Lb1EPKiPiPKlPlN2at6native12_GLOBAL__N_18offset_tEEE10hipError_tPvRmT1_PNSt15iterator_traitsISK_E10value_typeET2_T3_PNSL_ISQ_E10value_typeET4_jRbjT5_SW_jjP12ihipStream_tbEUlT_E2_NS1_11comp_targetILNS1_3genE3ELNS1_11target_archE908ELNS1_3gpuE7ELNS1_3repE0EEENS1_30default_config_static_selectorELNS0_4arch9wavefront6targetE1EEEvSK_
	.p2align	8
	.type	_ZN7rocprim17ROCPRIM_400000_NS6detail17trampoline_kernelINS0_14default_configENS1_36segmented_radix_sort_config_selectorIilEEZNS1_25segmented_radix_sort_implIS3_Lb1EPKiPiPKlPlN2at6native12_GLOBAL__N_18offset_tEEE10hipError_tPvRmT1_PNSt15iterator_traitsISK_E10value_typeET2_T3_PNSL_ISQ_E10value_typeET4_jRbjT5_SW_jjP12ihipStream_tbEUlT_E2_NS1_11comp_targetILNS1_3genE3ELNS1_11target_archE908ELNS1_3gpuE7ELNS1_3repE0EEENS1_30default_config_static_selectorELNS0_4arch9wavefront6targetE1EEEvSK_,@function
_ZN7rocprim17ROCPRIM_400000_NS6detail17trampoline_kernelINS0_14default_configENS1_36segmented_radix_sort_config_selectorIilEEZNS1_25segmented_radix_sort_implIS3_Lb1EPKiPiPKlPlN2at6native12_GLOBAL__N_18offset_tEEE10hipError_tPvRmT1_PNSt15iterator_traitsISK_E10value_typeET2_T3_PNSL_ISQ_E10value_typeET4_jRbjT5_SW_jjP12ihipStream_tbEUlT_E2_NS1_11comp_targetILNS1_3genE3ELNS1_11target_archE908ELNS1_3gpuE7ELNS1_3repE0EEENS1_30default_config_static_selectorELNS0_4arch9wavefront6targetE1EEEvSK_: ; @_ZN7rocprim17ROCPRIM_400000_NS6detail17trampoline_kernelINS0_14default_configENS1_36segmented_radix_sort_config_selectorIilEEZNS1_25segmented_radix_sort_implIS3_Lb1EPKiPiPKlPlN2at6native12_GLOBAL__N_18offset_tEEE10hipError_tPvRmT1_PNSt15iterator_traitsISK_E10value_typeET2_T3_PNSL_ISQ_E10value_typeET4_jRbjT5_SW_jjP12ihipStream_tbEUlT_E2_NS1_11comp_targetILNS1_3genE3ELNS1_11target_archE908ELNS1_3gpuE7ELNS1_3repE0EEENS1_30default_config_static_selectorELNS0_4arch9wavefront6targetE1EEEvSK_
; %bb.0:
	.section	.rodata,"a",@progbits
	.p2align	6, 0x0
	.amdhsa_kernel _ZN7rocprim17ROCPRIM_400000_NS6detail17trampoline_kernelINS0_14default_configENS1_36segmented_radix_sort_config_selectorIilEEZNS1_25segmented_radix_sort_implIS3_Lb1EPKiPiPKlPlN2at6native12_GLOBAL__N_18offset_tEEE10hipError_tPvRmT1_PNSt15iterator_traitsISK_E10value_typeET2_T3_PNSL_ISQ_E10value_typeET4_jRbjT5_SW_jjP12ihipStream_tbEUlT_E2_NS1_11comp_targetILNS1_3genE3ELNS1_11target_archE908ELNS1_3gpuE7ELNS1_3repE0EEENS1_30default_config_static_selectorELNS0_4arch9wavefront6targetE1EEEvSK_
		.amdhsa_group_segment_fixed_size 0
		.amdhsa_private_segment_fixed_size 0
		.amdhsa_kernarg_size 80
		.amdhsa_user_sgpr_count 6
		.amdhsa_user_sgpr_private_segment_buffer 1
		.amdhsa_user_sgpr_dispatch_ptr 0
		.amdhsa_user_sgpr_queue_ptr 0
		.amdhsa_user_sgpr_kernarg_segment_ptr 1
		.amdhsa_user_sgpr_dispatch_id 0
		.amdhsa_user_sgpr_flat_scratch_init 0
		.amdhsa_user_sgpr_kernarg_preload_length 0
		.amdhsa_user_sgpr_kernarg_preload_offset 0
		.amdhsa_user_sgpr_private_segment_size 0
		.amdhsa_uses_dynamic_stack 0
		.amdhsa_system_sgpr_private_segment_wavefront_offset 0
		.amdhsa_system_sgpr_workgroup_id_x 1
		.amdhsa_system_sgpr_workgroup_id_y 0
		.amdhsa_system_sgpr_workgroup_id_z 0
		.amdhsa_system_sgpr_workgroup_info 0
		.amdhsa_system_vgpr_workitem_id 0
		.amdhsa_next_free_vgpr 1
		.amdhsa_next_free_sgpr 0
		.amdhsa_accum_offset 4
		.amdhsa_reserve_vcc 0
		.amdhsa_reserve_flat_scratch 0
		.amdhsa_float_round_mode_32 0
		.amdhsa_float_round_mode_16_64 0
		.amdhsa_float_denorm_mode_32 3
		.amdhsa_float_denorm_mode_16_64 3
		.amdhsa_dx10_clamp 1
		.amdhsa_ieee_mode 1
		.amdhsa_fp16_overflow 0
		.amdhsa_tg_split 0
		.amdhsa_exception_fp_ieee_invalid_op 0
		.amdhsa_exception_fp_denorm_src 0
		.amdhsa_exception_fp_ieee_div_zero 0
		.amdhsa_exception_fp_ieee_overflow 0
		.amdhsa_exception_fp_ieee_underflow 0
		.amdhsa_exception_fp_ieee_inexact 0
		.amdhsa_exception_int_div_zero 0
	.end_amdhsa_kernel
	.section	.text._ZN7rocprim17ROCPRIM_400000_NS6detail17trampoline_kernelINS0_14default_configENS1_36segmented_radix_sort_config_selectorIilEEZNS1_25segmented_radix_sort_implIS3_Lb1EPKiPiPKlPlN2at6native12_GLOBAL__N_18offset_tEEE10hipError_tPvRmT1_PNSt15iterator_traitsISK_E10value_typeET2_T3_PNSL_ISQ_E10value_typeET4_jRbjT5_SW_jjP12ihipStream_tbEUlT_E2_NS1_11comp_targetILNS1_3genE3ELNS1_11target_archE908ELNS1_3gpuE7ELNS1_3repE0EEENS1_30default_config_static_selectorELNS0_4arch9wavefront6targetE1EEEvSK_,"axG",@progbits,_ZN7rocprim17ROCPRIM_400000_NS6detail17trampoline_kernelINS0_14default_configENS1_36segmented_radix_sort_config_selectorIilEEZNS1_25segmented_radix_sort_implIS3_Lb1EPKiPiPKlPlN2at6native12_GLOBAL__N_18offset_tEEE10hipError_tPvRmT1_PNSt15iterator_traitsISK_E10value_typeET2_T3_PNSL_ISQ_E10value_typeET4_jRbjT5_SW_jjP12ihipStream_tbEUlT_E2_NS1_11comp_targetILNS1_3genE3ELNS1_11target_archE908ELNS1_3gpuE7ELNS1_3repE0EEENS1_30default_config_static_selectorELNS0_4arch9wavefront6targetE1EEEvSK_,comdat
.Lfunc_end530:
	.size	_ZN7rocprim17ROCPRIM_400000_NS6detail17trampoline_kernelINS0_14default_configENS1_36segmented_radix_sort_config_selectorIilEEZNS1_25segmented_radix_sort_implIS3_Lb1EPKiPiPKlPlN2at6native12_GLOBAL__N_18offset_tEEE10hipError_tPvRmT1_PNSt15iterator_traitsISK_E10value_typeET2_T3_PNSL_ISQ_E10value_typeET4_jRbjT5_SW_jjP12ihipStream_tbEUlT_E2_NS1_11comp_targetILNS1_3genE3ELNS1_11target_archE908ELNS1_3gpuE7ELNS1_3repE0EEENS1_30default_config_static_selectorELNS0_4arch9wavefront6targetE1EEEvSK_, .Lfunc_end530-_ZN7rocprim17ROCPRIM_400000_NS6detail17trampoline_kernelINS0_14default_configENS1_36segmented_radix_sort_config_selectorIilEEZNS1_25segmented_radix_sort_implIS3_Lb1EPKiPiPKlPlN2at6native12_GLOBAL__N_18offset_tEEE10hipError_tPvRmT1_PNSt15iterator_traitsISK_E10value_typeET2_T3_PNSL_ISQ_E10value_typeET4_jRbjT5_SW_jjP12ihipStream_tbEUlT_E2_NS1_11comp_targetILNS1_3genE3ELNS1_11target_archE908ELNS1_3gpuE7ELNS1_3repE0EEENS1_30default_config_static_selectorELNS0_4arch9wavefront6targetE1EEEvSK_
                                        ; -- End function
	.section	.AMDGPU.csdata,"",@progbits
; Kernel info:
; codeLenInByte = 0
; NumSgprs: 4
; NumVgprs: 0
; NumAgprs: 0
; TotalNumVgprs: 0
; ScratchSize: 0
; MemoryBound: 0
; FloatMode: 240
; IeeeMode: 1
; LDSByteSize: 0 bytes/workgroup (compile time only)
; SGPRBlocks: 0
; VGPRBlocks: 0
; NumSGPRsForWavesPerEU: 4
; NumVGPRsForWavesPerEU: 1
; AccumOffset: 4
; Occupancy: 8
; WaveLimiterHint : 0
; COMPUTE_PGM_RSRC2:SCRATCH_EN: 0
; COMPUTE_PGM_RSRC2:USER_SGPR: 6
; COMPUTE_PGM_RSRC2:TRAP_HANDLER: 0
; COMPUTE_PGM_RSRC2:TGID_X_EN: 1
; COMPUTE_PGM_RSRC2:TGID_Y_EN: 0
; COMPUTE_PGM_RSRC2:TGID_Z_EN: 0
; COMPUTE_PGM_RSRC2:TIDIG_COMP_CNT: 0
; COMPUTE_PGM_RSRC3_GFX90A:ACCUM_OFFSET: 0
; COMPUTE_PGM_RSRC3_GFX90A:TG_SPLIT: 0
	.section	.text._ZN7rocprim17ROCPRIM_400000_NS6detail17trampoline_kernelINS0_14default_configENS1_36segmented_radix_sort_config_selectorIilEEZNS1_25segmented_radix_sort_implIS3_Lb1EPKiPiPKlPlN2at6native12_GLOBAL__N_18offset_tEEE10hipError_tPvRmT1_PNSt15iterator_traitsISK_E10value_typeET2_T3_PNSL_ISQ_E10value_typeET4_jRbjT5_SW_jjP12ihipStream_tbEUlT_E2_NS1_11comp_targetILNS1_3genE2ELNS1_11target_archE906ELNS1_3gpuE6ELNS1_3repE0EEENS1_30default_config_static_selectorELNS0_4arch9wavefront6targetE1EEEvSK_,"axG",@progbits,_ZN7rocprim17ROCPRIM_400000_NS6detail17trampoline_kernelINS0_14default_configENS1_36segmented_radix_sort_config_selectorIilEEZNS1_25segmented_radix_sort_implIS3_Lb1EPKiPiPKlPlN2at6native12_GLOBAL__N_18offset_tEEE10hipError_tPvRmT1_PNSt15iterator_traitsISK_E10value_typeET2_T3_PNSL_ISQ_E10value_typeET4_jRbjT5_SW_jjP12ihipStream_tbEUlT_E2_NS1_11comp_targetILNS1_3genE2ELNS1_11target_archE906ELNS1_3gpuE6ELNS1_3repE0EEENS1_30default_config_static_selectorELNS0_4arch9wavefront6targetE1EEEvSK_,comdat
	.globl	_ZN7rocprim17ROCPRIM_400000_NS6detail17trampoline_kernelINS0_14default_configENS1_36segmented_radix_sort_config_selectorIilEEZNS1_25segmented_radix_sort_implIS3_Lb1EPKiPiPKlPlN2at6native12_GLOBAL__N_18offset_tEEE10hipError_tPvRmT1_PNSt15iterator_traitsISK_E10value_typeET2_T3_PNSL_ISQ_E10value_typeET4_jRbjT5_SW_jjP12ihipStream_tbEUlT_E2_NS1_11comp_targetILNS1_3genE2ELNS1_11target_archE906ELNS1_3gpuE6ELNS1_3repE0EEENS1_30default_config_static_selectorELNS0_4arch9wavefront6targetE1EEEvSK_ ; -- Begin function _ZN7rocprim17ROCPRIM_400000_NS6detail17trampoline_kernelINS0_14default_configENS1_36segmented_radix_sort_config_selectorIilEEZNS1_25segmented_radix_sort_implIS3_Lb1EPKiPiPKlPlN2at6native12_GLOBAL__N_18offset_tEEE10hipError_tPvRmT1_PNSt15iterator_traitsISK_E10value_typeET2_T3_PNSL_ISQ_E10value_typeET4_jRbjT5_SW_jjP12ihipStream_tbEUlT_E2_NS1_11comp_targetILNS1_3genE2ELNS1_11target_archE906ELNS1_3gpuE6ELNS1_3repE0EEENS1_30default_config_static_selectorELNS0_4arch9wavefront6targetE1EEEvSK_
	.p2align	8
	.type	_ZN7rocprim17ROCPRIM_400000_NS6detail17trampoline_kernelINS0_14default_configENS1_36segmented_radix_sort_config_selectorIilEEZNS1_25segmented_radix_sort_implIS3_Lb1EPKiPiPKlPlN2at6native12_GLOBAL__N_18offset_tEEE10hipError_tPvRmT1_PNSt15iterator_traitsISK_E10value_typeET2_T3_PNSL_ISQ_E10value_typeET4_jRbjT5_SW_jjP12ihipStream_tbEUlT_E2_NS1_11comp_targetILNS1_3genE2ELNS1_11target_archE906ELNS1_3gpuE6ELNS1_3repE0EEENS1_30default_config_static_selectorELNS0_4arch9wavefront6targetE1EEEvSK_,@function
_ZN7rocprim17ROCPRIM_400000_NS6detail17trampoline_kernelINS0_14default_configENS1_36segmented_radix_sort_config_selectorIilEEZNS1_25segmented_radix_sort_implIS3_Lb1EPKiPiPKlPlN2at6native12_GLOBAL__N_18offset_tEEE10hipError_tPvRmT1_PNSt15iterator_traitsISK_E10value_typeET2_T3_PNSL_ISQ_E10value_typeET4_jRbjT5_SW_jjP12ihipStream_tbEUlT_E2_NS1_11comp_targetILNS1_3genE2ELNS1_11target_archE906ELNS1_3gpuE6ELNS1_3repE0EEENS1_30default_config_static_selectorELNS0_4arch9wavefront6targetE1EEEvSK_: ; @_ZN7rocprim17ROCPRIM_400000_NS6detail17trampoline_kernelINS0_14default_configENS1_36segmented_radix_sort_config_selectorIilEEZNS1_25segmented_radix_sort_implIS3_Lb1EPKiPiPKlPlN2at6native12_GLOBAL__N_18offset_tEEE10hipError_tPvRmT1_PNSt15iterator_traitsISK_E10value_typeET2_T3_PNSL_ISQ_E10value_typeET4_jRbjT5_SW_jjP12ihipStream_tbEUlT_E2_NS1_11comp_targetILNS1_3genE2ELNS1_11target_archE906ELNS1_3gpuE6ELNS1_3repE0EEENS1_30default_config_static_selectorELNS0_4arch9wavefront6targetE1EEEvSK_
; %bb.0:
	.section	.rodata,"a",@progbits
	.p2align	6, 0x0
	.amdhsa_kernel _ZN7rocprim17ROCPRIM_400000_NS6detail17trampoline_kernelINS0_14default_configENS1_36segmented_radix_sort_config_selectorIilEEZNS1_25segmented_radix_sort_implIS3_Lb1EPKiPiPKlPlN2at6native12_GLOBAL__N_18offset_tEEE10hipError_tPvRmT1_PNSt15iterator_traitsISK_E10value_typeET2_T3_PNSL_ISQ_E10value_typeET4_jRbjT5_SW_jjP12ihipStream_tbEUlT_E2_NS1_11comp_targetILNS1_3genE2ELNS1_11target_archE906ELNS1_3gpuE6ELNS1_3repE0EEENS1_30default_config_static_selectorELNS0_4arch9wavefront6targetE1EEEvSK_
		.amdhsa_group_segment_fixed_size 0
		.amdhsa_private_segment_fixed_size 0
		.amdhsa_kernarg_size 80
		.amdhsa_user_sgpr_count 6
		.amdhsa_user_sgpr_private_segment_buffer 1
		.amdhsa_user_sgpr_dispatch_ptr 0
		.amdhsa_user_sgpr_queue_ptr 0
		.amdhsa_user_sgpr_kernarg_segment_ptr 1
		.amdhsa_user_sgpr_dispatch_id 0
		.amdhsa_user_sgpr_flat_scratch_init 0
		.amdhsa_user_sgpr_kernarg_preload_length 0
		.amdhsa_user_sgpr_kernarg_preload_offset 0
		.amdhsa_user_sgpr_private_segment_size 0
		.amdhsa_uses_dynamic_stack 0
		.amdhsa_system_sgpr_private_segment_wavefront_offset 0
		.amdhsa_system_sgpr_workgroup_id_x 1
		.amdhsa_system_sgpr_workgroup_id_y 0
		.amdhsa_system_sgpr_workgroup_id_z 0
		.amdhsa_system_sgpr_workgroup_info 0
		.amdhsa_system_vgpr_workitem_id 0
		.amdhsa_next_free_vgpr 1
		.amdhsa_next_free_sgpr 0
		.amdhsa_accum_offset 4
		.amdhsa_reserve_vcc 0
		.amdhsa_reserve_flat_scratch 0
		.amdhsa_float_round_mode_32 0
		.amdhsa_float_round_mode_16_64 0
		.amdhsa_float_denorm_mode_32 3
		.amdhsa_float_denorm_mode_16_64 3
		.amdhsa_dx10_clamp 1
		.amdhsa_ieee_mode 1
		.amdhsa_fp16_overflow 0
		.amdhsa_tg_split 0
		.amdhsa_exception_fp_ieee_invalid_op 0
		.amdhsa_exception_fp_denorm_src 0
		.amdhsa_exception_fp_ieee_div_zero 0
		.amdhsa_exception_fp_ieee_overflow 0
		.amdhsa_exception_fp_ieee_underflow 0
		.amdhsa_exception_fp_ieee_inexact 0
		.amdhsa_exception_int_div_zero 0
	.end_amdhsa_kernel
	.section	.text._ZN7rocprim17ROCPRIM_400000_NS6detail17trampoline_kernelINS0_14default_configENS1_36segmented_radix_sort_config_selectorIilEEZNS1_25segmented_radix_sort_implIS3_Lb1EPKiPiPKlPlN2at6native12_GLOBAL__N_18offset_tEEE10hipError_tPvRmT1_PNSt15iterator_traitsISK_E10value_typeET2_T3_PNSL_ISQ_E10value_typeET4_jRbjT5_SW_jjP12ihipStream_tbEUlT_E2_NS1_11comp_targetILNS1_3genE2ELNS1_11target_archE906ELNS1_3gpuE6ELNS1_3repE0EEENS1_30default_config_static_selectorELNS0_4arch9wavefront6targetE1EEEvSK_,"axG",@progbits,_ZN7rocprim17ROCPRIM_400000_NS6detail17trampoline_kernelINS0_14default_configENS1_36segmented_radix_sort_config_selectorIilEEZNS1_25segmented_radix_sort_implIS3_Lb1EPKiPiPKlPlN2at6native12_GLOBAL__N_18offset_tEEE10hipError_tPvRmT1_PNSt15iterator_traitsISK_E10value_typeET2_T3_PNSL_ISQ_E10value_typeET4_jRbjT5_SW_jjP12ihipStream_tbEUlT_E2_NS1_11comp_targetILNS1_3genE2ELNS1_11target_archE906ELNS1_3gpuE6ELNS1_3repE0EEENS1_30default_config_static_selectorELNS0_4arch9wavefront6targetE1EEEvSK_,comdat
.Lfunc_end531:
	.size	_ZN7rocprim17ROCPRIM_400000_NS6detail17trampoline_kernelINS0_14default_configENS1_36segmented_radix_sort_config_selectorIilEEZNS1_25segmented_radix_sort_implIS3_Lb1EPKiPiPKlPlN2at6native12_GLOBAL__N_18offset_tEEE10hipError_tPvRmT1_PNSt15iterator_traitsISK_E10value_typeET2_T3_PNSL_ISQ_E10value_typeET4_jRbjT5_SW_jjP12ihipStream_tbEUlT_E2_NS1_11comp_targetILNS1_3genE2ELNS1_11target_archE906ELNS1_3gpuE6ELNS1_3repE0EEENS1_30default_config_static_selectorELNS0_4arch9wavefront6targetE1EEEvSK_, .Lfunc_end531-_ZN7rocprim17ROCPRIM_400000_NS6detail17trampoline_kernelINS0_14default_configENS1_36segmented_radix_sort_config_selectorIilEEZNS1_25segmented_radix_sort_implIS3_Lb1EPKiPiPKlPlN2at6native12_GLOBAL__N_18offset_tEEE10hipError_tPvRmT1_PNSt15iterator_traitsISK_E10value_typeET2_T3_PNSL_ISQ_E10value_typeET4_jRbjT5_SW_jjP12ihipStream_tbEUlT_E2_NS1_11comp_targetILNS1_3genE2ELNS1_11target_archE906ELNS1_3gpuE6ELNS1_3repE0EEENS1_30default_config_static_selectorELNS0_4arch9wavefront6targetE1EEEvSK_
                                        ; -- End function
	.section	.AMDGPU.csdata,"",@progbits
; Kernel info:
; codeLenInByte = 0
; NumSgprs: 4
; NumVgprs: 0
; NumAgprs: 0
; TotalNumVgprs: 0
; ScratchSize: 0
; MemoryBound: 0
; FloatMode: 240
; IeeeMode: 1
; LDSByteSize: 0 bytes/workgroup (compile time only)
; SGPRBlocks: 0
; VGPRBlocks: 0
; NumSGPRsForWavesPerEU: 4
; NumVGPRsForWavesPerEU: 1
; AccumOffset: 4
; Occupancy: 8
; WaveLimiterHint : 0
; COMPUTE_PGM_RSRC2:SCRATCH_EN: 0
; COMPUTE_PGM_RSRC2:USER_SGPR: 6
; COMPUTE_PGM_RSRC2:TRAP_HANDLER: 0
; COMPUTE_PGM_RSRC2:TGID_X_EN: 1
; COMPUTE_PGM_RSRC2:TGID_Y_EN: 0
; COMPUTE_PGM_RSRC2:TGID_Z_EN: 0
; COMPUTE_PGM_RSRC2:TIDIG_COMP_CNT: 0
; COMPUTE_PGM_RSRC3_GFX90A:ACCUM_OFFSET: 0
; COMPUTE_PGM_RSRC3_GFX90A:TG_SPLIT: 0
	.section	.text._ZN7rocprim17ROCPRIM_400000_NS6detail17trampoline_kernelINS0_14default_configENS1_36segmented_radix_sort_config_selectorIilEEZNS1_25segmented_radix_sort_implIS3_Lb1EPKiPiPKlPlN2at6native12_GLOBAL__N_18offset_tEEE10hipError_tPvRmT1_PNSt15iterator_traitsISK_E10value_typeET2_T3_PNSL_ISQ_E10value_typeET4_jRbjT5_SW_jjP12ihipStream_tbEUlT_E2_NS1_11comp_targetILNS1_3genE10ELNS1_11target_archE1201ELNS1_3gpuE5ELNS1_3repE0EEENS1_30default_config_static_selectorELNS0_4arch9wavefront6targetE1EEEvSK_,"axG",@progbits,_ZN7rocprim17ROCPRIM_400000_NS6detail17trampoline_kernelINS0_14default_configENS1_36segmented_radix_sort_config_selectorIilEEZNS1_25segmented_radix_sort_implIS3_Lb1EPKiPiPKlPlN2at6native12_GLOBAL__N_18offset_tEEE10hipError_tPvRmT1_PNSt15iterator_traitsISK_E10value_typeET2_T3_PNSL_ISQ_E10value_typeET4_jRbjT5_SW_jjP12ihipStream_tbEUlT_E2_NS1_11comp_targetILNS1_3genE10ELNS1_11target_archE1201ELNS1_3gpuE5ELNS1_3repE0EEENS1_30default_config_static_selectorELNS0_4arch9wavefront6targetE1EEEvSK_,comdat
	.globl	_ZN7rocprim17ROCPRIM_400000_NS6detail17trampoline_kernelINS0_14default_configENS1_36segmented_radix_sort_config_selectorIilEEZNS1_25segmented_radix_sort_implIS3_Lb1EPKiPiPKlPlN2at6native12_GLOBAL__N_18offset_tEEE10hipError_tPvRmT1_PNSt15iterator_traitsISK_E10value_typeET2_T3_PNSL_ISQ_E10value_typeET4_jRbjT5_SW_jjP12ihipStream_tbEUlT_E2_NS1_11comp_targetILNS1_3genE10ELNS1_11target_archE1201ELNS1_3gpuE5ELNS1_3repE0EEENS1_30default_config_static_selectorELNS0_4arch9wavefront6targetE1EEEvSK_ ; -- Begin function _ZN7rocprim17ROCPRIM_400000_NS6detail17trampoline_kernelINS0_14default_configENS1_36segmented_radix_sort_config_selectorIilEEZNS1_25segmented_radix_sort_implIS3_Lb1EPKiPiPKlPlN2at6native12_GLOBAL__N_18offset_tEEE10hipError_tPvRmT1_PNSt15iterator_traitsISK_E10value_typeET2_T3_PNSL_ISQ_E10value_typeET4_jRbjT5_SW_jjP12ihipStream_tbEUlT_E2_NS1_11comp_targetILNS1_3genE10ELNS1_11target_archE1201ELNS1_3gpuE5ELNS1_3repE0EEENS1_30default_config_static_selectorELNS0_4arch9wavefront6targetE1EEEvSK_
	.p2align	8
	.type	_ZN7rocprim17ROCPRIM_400000_NS6detail17trampoline_kernelINS0_14default_configENS1_36segmented_radix_sort_config_selectorIilEEZNS1_25segmented_radix_sort_implIS3_Lb1EPKiPiPKlPlN2at6native12_GLOBAL__N_18offset_tEEE10hipError_tPvRmT1_PNSt15iterator_traitsISK_E10value_typeET2_T3_PNSL_ISQ_E10value_typeET4_jRbjT5_SW_jjP12ihipStream_tbEUlT_E2_NS1_11comp_targetILNS1_3genE10ELNS1_11target_archE1201ELNS1_3gpuE5ELNS1_3repE0EEENS1_30default_config_static_selectorELNS0_4arch9wavefront6targetE1EEEvSK_,@function
_ZN7rocprim17ROCPRIM_400000_NS6detail17trampoline_kernelINS0_14default_configENS1_36segmented_radix_sort_config_selectorIilEEZNS1_25segmented_radix_sort_implIS3_Lb1EPKiPiPKlPlN2at6native12_GLOBAL__N_18offset_tEEE10hipError_tPvRmT1_PNSt15iterator_traitsISK_E10value_typeET2_T3_PNSL_ISQ_E10value_typeET4_jRbjT5_SW_jjP12ihipStream_tbEUlT_E2_NS1_11comp_targetILNS1_3genE10ELNS1_11target_archE1201ELNS1_3gpuE5ELNS1_3repE0EEENS1_30default_config_static_selectorELNS0_4arch9wavefront6targetE1EEEvSK_: ; @_ZN7rocprim17ROCPRIM_400000_NS6detail17trampoline_kernelINS0_14default_configENS1_36segmented_radix_sort_config_selectorIilEEZNS1_25segmented_radix_sort_implIS3_Lb1EPKiPiPKlPlN2at6native12_GLOBAL__N_18offset_tEEE10hipError_tPvRmT1_PNSt15iterator_traitsISK_E10value_typeET2_T3_PNSL_ISQ_E10value_typeET4_jRbjT5_SW_jjP12ihipStream_tbEUlT_E2_NS1_11comp_targetILNS1_3genE10ELNS1_11target_archE1201ELNS1_3gpuE5ELNS1_3repE0EEENS1_30default_config_static_selectorELNS0_4arch9wavefront6targetE1EEEvSK_
; %bb.0:
	.section	.rodata,"a",@progbits
	.p2align	6, 0x0
	.amdhsa_kernel _ZN7rocprim17ROCPRIM_400000_NS6detail17trampoline_kernelINS0_14default_configENS1_36segmented_radix_sort_config_selectorIilEEZNS1_25segmented_radix_sort_implIS3_Lb1EPKiPiPKlPlN2at6native12_GLOBAL__N_18offset_tEEE10hipError_tPvRmT1_PNSt15iterator_traitsISK_E10value_typeET2_T3_PNSL_ISQ_E10value_typeET4_jRbjT5_SW_jjP12ihipStream_tbEUlT_E2_NS1_11comp_targetILNS1_3genE10ELNS1_11target_archE1201ELNS1_3gpuE5ELNS1_3repE0EEENS1_30default_config_static_selectorELNS0_4arch9wavefront6targetE1EEEvSK_
		.amdhsa_group_segment_fixed_size 0
		.amdhsa_private_segment_fixed_size 0
		.amdhsa_kernarg_size 80
		.amdhsa_user_sgpr_count 6
		.amdhsa_user_sgpr_private_segment_buffer 1
		.amdhsa_user_sgpr_dispatch_ptr 0
		.amdhsa_user_sgpr_queue_ptr 0
		.amdhsa_user_sgpr_kernarg_segment_ptr 1
		.amdhsa_user_sgpr_dispatch_id 0
		.amdhsa_user_sgpr_flat_scratch_init 0
		.amdhsa_user_sgpr_kernarg_preload_length 0
		.amdhsa_user_sgpr_kernarg_preload_offset 0
		.amdhsa_user_sgpr_private_segment_size 0
		.amdhsa_uses_dynamic_stack 0
		.amdhsa_system_sgpr_private_segment_wavefront_offset 0
		.amdhsa_system_sgpr_workgroup_id_x 1
		.amdhsa_system_sgpr_workgroup_id_y 0
		.amdhsa_system_sgpr_workgroup_id_z 0
		.amdhsa_system_sgpr_workgroup_info 0
		.amdhsa_system_vgpr_workitem_id 0
		.amdhsa_next_free_vgpr 1
		.amdhsa_next_free_sgpr 0
		.amdhsa_accum_offset 4
		.amdhsa_reserve_vcc 0
		.amdhsa_reserve_flat_scratch 0
		.amdhsa_float_round_mode_32 0
		.amdhsa_float_round_mode_16_64 0
		.amdhsa_float_denorm_mode_32 3
		.amdhsa_float_denorm_mode_16_64 3
		.amdhsa_dx10_clamp 1
		.amdhsa_ieee_mode 1
		.amdhsa_fp16_overflow 0
		.amdhsa_tg_split 0
		.amdhsa_exception_fp_ieee_invalid_op 0
		.amdhsa_exception_fp_denorm_src 0
		.amdhsa_exception_fp_ieee_div_zero 0
		.amdhsa_exception_fp_ieee_overflow 0
		.amdhsa_exception_fp_ieee_underflow 0
		.amdhsa_exception_fp_ieee_inexact 0
		.amdhsa_exception_int_div_zero 0
	.end_amdhsa_kernel
	.section	.text._ZN7rocprim17ROCPRIM_400000_NS6detail17trampoline_kernelINS0_14default_configENS1_36segmented_radix_sort_config_selectorIilEEZNS1_25segmented_radix_sort_implIS3_Lb1EPKiPiPKlPlN2at6native12_GLOBAL__N_18offset_tEEE10hipError_tPvRmT1_PNSt15iterator_traitsISK_E10value_typeET2_T3_PNSL_ISQ_E10value_typeET4_jRbjT5_SW_jjP12ihipStream_tbEUlT_E2_NS1_11comp_targetILNS1_3genE10ELNS1_11target_archE1201ELNS1_3gpuE5ELNS1_3repE0EEENS1_30default_config_static_selectorELNS0_4arch9wavefront6targetE1EEEvSK_,"axG",@progbits,_ZN7rocprim17ROCPRIM_400000_NS6detail17trampoline_kernelINS0_14default_configENS1_36segmented_radix_sort_config_selectorIilEEZNS1_25segmented_radix_sort_implIS3_Lb1EPKiPiPKlPlN2at6native12_GLOBAL__N_18offset_tEEE10hipError_tPvRmT1_PNSt15iterator_traitsISK_E10value_typeET2_T3_PNSL_ISQ_E10value_typeET4_jRbjT5_SW_jjP12ihipStream_tbEUlT_E2_NS1_11comp_targetILNS1_3genE10ELNS1_11target_archE1201ELNS1_3gpuE5ELNS1_3repE0EEENS1_30default_config_static_selectorELNS0_4arch9wavefront6targetE1EEEvSK_,comdat
.Lfunc_end532:
	.size	_ZN7rocprim17ROCPRIM_400000_NS6detail17trampoline_kernelINS0_14default_configENS1_36segmented_radix_sort_config_selectorIilEEZNS1_25segmented_radix_sort_implIS3_Lb1EPKiPiPKlPlN2at6native12_GLOBAL__N_18offset_tEEE10hipError_tPvRmT1_PNSt15iterator_traitsISK_E10value_typeET2_T3_PNSL_ISQ_E10value_typeET4_jRbjT5_SW_jjP12ihipStream_tbEUlT_E2_NS1_11comp_targetILNS1_3genE10ELNS1_11target_archE1201ELNS1_3gpuE5ELNS1_3repE0EEENS1_30default_config_static_selectorELNS0_4arch9wavefront6targetE1EEEvSK_, .Lfunc_end532-_ZN7rocprim17ROCPRIM_400000_NS6detail17trampoline_kernelINS0_14default_configENS1_36segmented_radix_sort_config_selectorIilEEZNS1_25segmented_radix_sort_implIS3_Lb1EPKiPiPKlPlN2at6native12_GLOBAL__N_18offset_tEEE10hipError_tPvRmT1_PNSt15iterator_traitsISK_E10value_typeET2_T3_PNSL_ISQ_E10value_typeET4_jRbjT5_SW_jjP12ihipStream_tbEUlT_E2_NS1_11comp_targetILNS1_3genE10ELNS1_11target_archE1201ELNS1_3gpuE5ELNS1_3repE0EEENS1_30default_config_static_selectorELNS0_4arch9wavefront6targetE1EEEvSK_
                                        ; -- End function
	.section	.AMDGPU.csdata,"",@progbits
; Kernel info:
; codeLenInByte = 0
; NumSgprs: 4
; NumVgprs: 0
; NumAgprs: 0
; TotalNumVgprs: 0
; ScratchSize: 0
; MemoryBound: 0
; FloatMode: 240
; IeeeMode: 1
; LDSByteSize: 0 bytes/workgroup (compile time only)
; SGPRBlocks: 0
; VGPRBlocks: 0
; NumSGPRsForWavesPerEU: 4
; NumVGPRsForWavesPerEU: 1
; AccumOffset: 4
; Occupancy: 8
; WaveLimiterHint : 0
; COMPUTE_PGM_RSRC2:SCRATCH_EN: 0
; COMPUTE_PGM_RSRC2:USER_SGPR: 6
; COMPUTE_PGM_RSRC2:TRAP_HANDLER: 0
; COMPUTE_PGM_RSRC2:TGID_X_EN: 1
; COMPUTE_PGM_RSRC2:TGID_Y_EN: 0
; COMPUTE_PGM_RSRC2:TGID_Z_EN: 0
; COMPUTE_PGM_RSRC2:TIDIG_COMP_CNT: 0
; COMPUTE_PGM_RSRC3_GFX90A:ACCUM_OFFSET: 0
; COMPUTE_PGM_RSRC3_GFX90A:TG_SPLIT: 0
	.section	.text._ZN7rocprim17ROCPRIM_400000_NS6detail17trampoline_kernelINS0_14default_configENS1_36segmented_radix_sort_config_selectorIilEEZNS1_25segmented_radix_sort_implIS3_Lb1EPKiPiPKlPlN2at6native12_GLOBAL__N_18offset_tEEE10hipError_tPvRmT1_PNSt15iterator_traitsISK_E10value_typeET2_T3_PNSL_ISQ_E10value_typeET4_jRbjT5_SW_jjP12ihipStream_tbEUlT_E2_NS1_11comp_targetILNS1_3genE10ELNS1_11target_archE1200ELNS1_3gpuE4ELNS1_3repE0EEENS1_30default_config_static_selectorELNS0_4arch9wavefront6targetE1EEEvSK_,"axG",@progbits,_ZN7rocprim17ROCPRIM_400000_NS6detail17trampoline_kernelINS0_14default_configENS1_36segmented_radix_sort_config_selectorIilEEZNS1_25segmented_radix_sort_implIS3_Lb1EPKiPiPKlPlN2at6native12_GLOBAL__N_18offset_tEEE10hipError_tPvRmT1_PNSt15iterator_traitsISK_E10value_typeET2_T3_PNSL_ISQ_E10value_typeET4_jRbjT5_SW_jjP12ihipStream_tbEUlT_E2_NS1_11comp_targetILNS1_3genE10ELNS1_11target_archE1200ELNS1_3gpuE4ELNS1_3repE0EEENS1_30default_config_static_selectorELNS0_4arch9wavefront6targetE1EEEvSK_,comdat
	.globl	_ZN7rocprim17ROCPRIM_400000_NS6detail17trampoline_kernelINS0_14default_configENS1_36segmented_radix_sort_config_selectorIilEEZNS1_25segmented_radix_sort_implIS3_Lb1EPKiPiPKlPlN2at6native12_GLOBAL__N_18offset_tEEE10hipError_tPvRmT1_PNSt15iterator_traitsISK_E10value_typeET2_T3_PNSL_ISQ_E10value_typeET4_jRbjT5_SW_jjP12ihipStream_tbEUlT_E2_NS1_11comp_targetILNS1_3genE10ELNS1_11target_archE1200ELNS1_3gpuE4ELNS1_3repE0EEENS1_30default_config_static_selectorELNS0_4arch9wavefront6targetE1EEEvSK_ ; -- Begin function _ZN7rocprim17ROCPRIM_400000_NS6detail17trampoline_kernelINS0_14default_configENS1_36segmented_radix_sort_config_selectorIilEEZNS1_25segmented_radix_sort_implIS3_Lb1EPKiPiPKlPlN2at6native12_GLOBAL__N_18offset_tEEE10hipError_tPvRmT1_PNSt15iterator_traitsISK_E10value_typeET2_T3_PNSL_ISQ_E10value_typeET4_jRbjT5_SW_jjP12ihipStream_tbEUlT_E2_NS1_11comp_targetILNS1_3genE10ELNS1_11target_archE1200ELNS1_3gpuE4ELNS1_3repE0EEENS1_30default_config_static_selectorELNS0_4arch9wavefront6targetE1EEEvSK_
	.p2align	8
	.type	_ZN7rocprim17ROCPRIM_400000_NS6detail17trampoline_kernelINS0_14default_configENS1_36segmented_radix_sort_config_selectorIilEEZNS1_25segmented_radix_sort_implIS3_Lb1EPKiPiPKlPlN2at6native12_GLOBAL__N_18offset_tEEE10hipError_tPvRmT1_PNSt15iterator_traitsISK_E10value_typeET2_T3_PNSL_ISQ_E10value_typeET4_jRbjT5_SW_jjP12ihipStream_tbEUlT_E2_NS1_11comp_targetILNS1_3genE10ELNS1_11target_archE1200ELNS1_3gpuE4ELNS1_3repE0EEENS1_30default_config_static_selectorELNS0_4arch9wavefront6targetE1EEEvSK_,@function
_ZN7rocprim17ROCPRIM_400000_NS6detail17trampoline_kernelINS0_14default_configENS1_36segmented_radix_sort_config_selectorIilEEZNS1_25segmented_radix_sort_implIS3_Lb1EPKiPiPKlPlN2at6native12_GLOBAL__N_18offset_tEEE10hipError_tPvRmT1_PNSt15iterator_traitsISK_E10value_typeET2_T3_PNSL_ISQ_E10value_typeET4_jRbjT5_SW_jjP12ihipStream_tbEUlT_E2_NS1_11comp_targetILNS1_3genE10ELNS1_11target_archE1200ELNS1_3gpuE4ELNS1_3repE0EEENS1_30default_config_static_selectorELNS0_4arch9wavefront6targetE1EEEvSK_: ; @_ZN7rocprim17ROCPRIM_400000_NS6detail17trampoline_kernelINS0_14default_configENS1_36segmented_radix_sort_config_selectorIilEEZNS1_25segmented_radix_sort_implIS3_Lb1EPKiPiPKlPlN2at6native12_GLOBAL__N_18offset_tEEE10hipError_tPvRmT1_PNSt15iterator_traitsISK_E10value_typeET2_T3_PNSL_ISQ_E10value_typeET4_jRbjT5_SW_jjP12ihipStream_tbEUlT_E2_NS1_11comp_targetILNS1_3genE10ELNS1_11target_archE1200ELNS1_3gpuE4ELNS1_3repE0EEENS1_30default_config_static_selectorELNS0_4arch9wavefront6targetE1EEEvSK_
; %bb.0:
	.section	.rodata,"a",@progbits
	.p2align	6, 0x0
	.amdhsa_kernel _ZN7rocprim17ROCPRIM_400000_NS6detail17trampoline_kernelINS0_14default_configENS1_36segmented_radix_sort_config_selectorIilEEZNS1_25segmented_radix_sort_implIS3_Lb1EPKiPiPKlPlN2at6native12_GLOBAL__N_18offset_tEEE10hipError_tPvRmT1_PNSt15iterator_traitsISK_E10value_typeET2_T3_PNSL_ISQ_E10value_typeET4_jRbjT5_SW_jjP12ihipStream_tbEUlT_E2_NS1_11comp_targetILNS1_3genE10ELNS1_11target_archE1200ELNS1_3gpuE4ELNS1_3repE0EEENS1_30default_config_static_selectorELNS0_4arch9wavefront6targetE1EEEvSK_
		.amdhsa_group_segment_fixed_size 0
		.amdhsa_private_segment_fixed_size 0
		.amdhsa_kernarg_size 80
		.amdhsa_user_sgpr_count 6
		.amdhsa_user_sgpr_private_segment_buffer 1
		.amdhsa_user_sgpr_dispatch_ptr 0
		.amdhsa_user_sgpr_queue_ptr 0
		.amdhsa_user_sgpr_kernarg_segment_ptr 1
		.amdhsa_user_sgpr_dispatch_id 0
		.amdhsa_user_sgpr_flat_scratch_init 0
		.amdhsa_user_sgpr_kernarg_preload_length 0
		.amdhsa_user_sgpr_kernarg_preload_offset 0
		.amdhsa_user_sgpr_private_segment_size 0
		.amdhsa_uses_dynamic_stack 0
		.amdhsa_system_sgpr_private_segment_wavefront_offset 0
		.amdhsa_system_sgpr_workgroup_id_x 1
		.amdhsa_system_sgpr_workgroup_id_y 0
		.amdhsa_system_sgpr_workgroup_id_z 0
		.amdhsa_system_sgpr_workgroup_info 0
		.amdhsa_system_vgpr_workitem_id 0
		.amdhsa_next_free_vgpr 1
		.amdhsa_next_free_sgpr 0
		.amdhsa_accum_offset 4
		.amdhsa_reserve_vcc 0
		.amdhsa_reserve_flat_scratch 0
		.amdhsa_float_round_mode_32 0
		.amdhsa_float_round_mode_16_64 0
		.amdhsa_float_denorm_mode_32 3
		.amdhsa_float_denorm_mode_16_64 3
		.amdhsa_dx10_clamp 1
		.amdhsa_ieee_mode 1
		.amdhsa_fp16_overflow 0
		.amdhsa_tg_split 0
		.amdhsa_exception_fp_ieee_invalid_op 0
		.amdhsa_exception_fp_denorm_src 0
		.amdhsa_exception_fp_ieee_div_zero 0
		.amdhsa_exception_fp_ieee_overflow 0
		.amdhsa_exception_fp_ieee_underflow 0
		.amdhsa_exception_fp_ieee_inexact 0
		.amdhsa_exception_int_div_zero 0
	.end_amdhsa_kernel
	.section	.text._ZN7rocprim17ROCPRIM_400000_NS6detail17trampoline_kernelINS0_14default_configENS1_36segmented_radix_sort_config_selectorIilEEZNS1_25segmented_radix_sort_implIS3_Lb1EPKiPiPKlPlN2at6native12_GLOBAL__N_18offset_tEEE10hipError_tPvRmT1_PNSt15iterator_traitsISK_E10value_typeET2_T3_PNSL_ISQ_E10value_typeET4_jRbjT5_SW_jjP12ihipStream_tbEUlT_E2_NS1_11comp_targetILNS1_3genE10ELNS1_11target_archE1200ELNS1_3gpuE4ELNS1_3repE0EEENS1_30default_config_static_selectorELNS0_4arch9wavefront6targetE1EEEvSK_,"axG",@progbits,_ZN7rocprim17ROCPRIM_400000_NS6detail17trampoline_kernelINS0_14default_configENS1_36segmented_radix_sort_config_selectorIilEEZNS1_25segmented_radix_sort_implIS3_Lb1EPKiPiPKlPlN2at6native12_GLOBAL__N_18offset_tEEE10hipError_tPvRmT1_PNSt15iterator_traitsISK_E10value_typeET2_T3_PNSL_ISQ_E10value_typeET4_jRbjT5_SW_jjP12ihipStream_tbEUlT_E2_NS1_11comp_targetILNS1_3genE10ELNS1_11target_archE1200ELNS1_3gpuE4ELNS1_3repE0EEENS1_30default_config_static_selectorELNS0_4arch9wavefront6targetE1EEEvSK_,comdat
.Lfunc_end533:
	.size	_ZN7rocprim17ROCPRIM_400000_NS6detail17trampoline_kernelINS0_14default_configENS1_36segmented_radix_sort_config_selectorIilEEZNS1_25segmented_radix_sort_implIS3_Lb1EPKiPiPKlPlN2at6native12_GLOBAL__N_18offset_tEEE10hipError_tPvRmT1_PNSt15iterator_traitsISK_E10value_typeET2_T3_PNSL_ISQ_E10value_typeET4_jRbjT5_SW_jjP12ihipStream_tbEUlT_E2_NS1_11comp_targetILNS1_3genE10ELNS1_11target_archE1200ELNS1_3gpuE4ELNS1_3repE0EEENS1_30default_config_static_selectorELNS0_4arch9wavefront6targetE1EEEvSK_, .Lfunc_end533-_ZN7rocprim17ROCPRIM_400000_NS6detail17trampoline_kernelINS0_14default_configENS1_36segmented_radix_sort_config_selectorIilEEZNS1_25segmented_radix_sort_implIS3_Lb1EPKiPiPKlPlN2at6native12_GLOBAL__N_18offset_tEEE10hipError_tPvRmT1_PNSt15iterator_traitsISK_E10value_typeET2_T3_PNSL_ISQ_E10value_typeET4_jRbjT5_SW_jjP12ihipStream_tbEUlT_E2_NS1_11comp_targetILNS1_3genE10ELNS1_11target_archE1200ELNS1_3gpuE4ELNS1_3repE0EEENS1_30default_config_static_selectorELNS0_4arch9wavefront6targetE1EEEvSK_
                                        ; -- End function
	.section	.AMDGPU.csdata,"",@progbits
; Kernel info:
; codeLenInByte = 0
; NumSgprs: 4
; NumVgprs: 0
; NumAgprs: 0
; TotalNumVgprs: 0
; ScratchSize: 0
; MemoryBound: 0
; FloatMode: 240
; IeeeMode: 1
; LDSByteSize: 0 bytes/workgroup (compile time only)
; SGPRBlocks: 0
; VGPRBlocks: 0
; NumSGPRsForWavesPerEU: 4
; NumVGPRsForWavesPerEU: 1
; AccumOffset: 4
; Occupancy: 8
; WaveLimiterHint : 0
; COMPUTE_PGM_RSRC2:SCRATCH_EN: 0
; COMPUTE_PGM_RSRC2:USER_SGPR: 6
; COMPUTE_PGM_RSRC2:TRAP_HANDLER: 0
; COMPUTE_PGM_RSRC2:TGID_X_EN: 1
; COMPUTE_PGM_RSRC2:TGID_Y_EN: 0
; COMPUTE_PGM_RSRC2:TGID_Z_EN: 0
; COMPUTE_PGM_RSRC2:TIDIG_COMP_CNT: 0
; COMPUTE_PGM_RSRC3_GFX90A:ACCUM_OFFSET: 0
; COMPUTE_PGM_RSRC3_GFX90A:TG_SPLIT: 0
	.section	.text._ZN7rocprim17ROCPRIM_400000_NS6detail17trampoline_kernelINS0_14default_configENS1_36segmented_radix_sort_config_selectorIilEEZNS1_25segmented_radix_sort_implIS3_Lb1EPKiPiPKlPlN2at6native12_GLOBAL__N_18offset_tEEE10hipError_tPvRmT1_PNSt15iterator_traitsISK_E10value_typeET2_T3_PNSL_ISQ_E10value_typeET4_jRbjT5_SW_jjP12ihipStream_tbEUlT_E2_NS1_11comp_targetILNS1_3genE9ELNS1_11target_archE1100ELNS1_3gpuE3ELNS1_3repE0EEENS1_30default_config_static_selectorELNS0_4arch9wavefront6targetE1EEEvSK_,"axG",@progbits,_ZN7rocprim17ROCPRIM_400000_NS6detail17trampoline_kernelINS0_14default_configENS1_36segmented_radix_sort_config_selectorIilEEZNS1_25segmented_radix_sort_implIS3_Lb1EPKiPiPKlPlN2at6native12_GLOBAL__N_18offset_tEEE10hipError_tPvRmT1_PNSt15iterator_traitsISK_E10value_typeET2_T3_PNSL_ISQ_E10value_typeET4_jRbjT5_SW_jjP12ihipStream_tbEUlT_E2_NS1_11comp_targetILNS1_3genE9ELNS1_11target_archE1100ELNS1_3gpuE3ELNS1_3repE0EEENS1_30default_config_static_selectorELNS0_4arch9wavefront6targetE1EEEvSK_,comdat
	.globl	_ZN7rocprim17ROCPRIM_400000_NS6detail17trampoline_kernelINS0_14default_configENS1_36segmented_radix_sort_config_selectorIilEEZNS1_25segmented_radix_sort_implIS3_Lb1EPKiPiPKlPlN2at6native12_GLOBAL__N_18offset_tEEE10hipError_tPvRmT1_PNSt15iterator_traitsISK_E10value_typeET2_T3_PNSL_ISQ_E10value_typeET4_jRbjT5_SW_jjP12ihipStream_tbEUlT_E2_NS1_11comp_targetILNS1_3genE9ELNS1_11target_archE1100ELNS1_3gpuE3ELNS1_3repE0EEENS1_30default_config_static_selectorELNS0_4arch9wavefront6targetE1EEEvSK_ ; -- Begin function _ZN7rocprim17ROCPRIM_400000_NS6detail17trampoline_kernelINS0_14default_configENS1_36segmented_radix_sort_config_selectorIilEEZNS1_25segmented_radix_sort_implIS3_Lb1EPKiPiPKlPlN2at6native12_GLOBAL__N_18offset_tEEE10hipError_tPvRmT1_PNSt15iterator_traitsISK_E10value_typeET2_T3_PNSL_ISQ_E10value_typeET4_jRbjT5_SW_jjP12ihipStream_tbEUlT_E2_NS1_11comp_targetILNS1_3genE9ELNS1_11target_archE1100ELNS1_3gpuE3ELNS1_3repE0EEENS1_30default_config_static_selectorELNS0_4arch9wavefront6targetE1EEEvSK_
	.p2align	8
	.type	_ZN7rocprim17ROCPRIM_400000_NS6detail17trampoline_kernelINS0_14default_configENS1_36segmented_radix_sort_config_selectorIilEEZNS1_25segmented_radix_sort_implIS3_Lb1EPKiPiPKlPlN2at6native12_GLOBAL__N_18offset_tEEE10hipError_tPvRmT1_PNSt15iterator_traitsISK_E10value_typeET2_T3_PNSL_ISQ_E10value_typeET4_jRbjT5_SW_jjP12ihipStream_tbEUlT_E2_NS1_11comp_targetILNS1_3genE9ELNS1_11target_archE1100ELNS1_3gpuE3ELNS1_3repE0EEENS1_30default_config_static_selectorELNS0_4arch9wavefront6targetE1EEEvSK_,@function
_ZN7rocprim17ROCPRIM_400000_NS6detail17trampoline_kernelINS0_14default_configENS1_36segmented_radix_sort_config_selectorIilEEZNS1_25segmented_radix_sort_implIS3_Lb1EPKiPiPKlPlN2at6native12_GLOBAL__N_18offset_tEEE10hipError_tPvRmT1_PNSt15iterator_traitsISK_E10value_typeET2_T3_PNSL_ISQ_E10value_typeET4_jRbjT5_SW_jjP12ihipStream_tbEUlT_E2_NS1_11comp_targetILNS1_3genE9ELNS1_11target_archE1100ELNS1_3gpuE3ELNS1_3repE0EEENS1_30default_config_static_selectorELNS0_4arch9wavefront6targetE1EEEvSK_: ; @_ZN7rocprim17ROCPRIM_400000_NS6detail17trampoline_kernelINS0_14default_configENS1_36segmented_radix_sort_config_selectorIilEEZNS1_25segmented_radix_sort_implIS3_Lb1EPKiPiPKlPlN2at6native12_GLOBAL__N_18offset_tEEE10hipError_tPvRmT1_PNSt15iterator_traitsISK_E10value_typeET2_T3_PNSL_ISQ_E10value_typeET4_jRbjT5_SW_jjP12ihipStream_tbEUlT_E2_NS1_11comp_targetILNS1_3genE9ELNS1_11target_archE1100ELNS1_3gpuE3ELNS1_3repE0EEENS1_30default_config_static_selectorELNS0_4arch9wavefront6targetE1EEEvSK_
; %bb.0:
	.section	.rodata,"a",@progbits
	.p2align	6, 0x0
	.amdhsa_kernel _ZN7rocprim17ROCPRIM_400000_NS6detail17trampoline_kernelINS0_14default_configENS1_36segmented_radix_sort_config_selectorIilEEZNS1_25segmented_radix_sort_implIS3_Lb1EPKiPiPKlPlN2at6native12_GLOBAL__N_18offset_tEEE10hipError_tPvRmT1_PNSt15iterator_traitsISK_E10value_typeET2_T3_PNSL_ISQ_E10value_typeET4_jRbjT5_SW_jjP12ihipStream_tbEUlT_E2_NS1_11comp_targetILNS1_3genE9ELNS1_11target_archE1100ELNS1_3gpuE3ELNS1_3repE0EEENS1_30default_config_static_selectorELNS0_4arch9wavefront6targetE1EEEvSK_
		.amdhsa_group_segment_fixed_size 0
		.amdhsa_private_segment_fixed_size 0
		.amdhsa_kernarg_size 80
		.amdhsa_user_sgpr_count 6
		.amdhsa_user_sgpr_private_segment_buffer 1
		.amdhsa_user_sgpr_dispatch_ptr 0
		.amdhsa_user_sgpr_queue_ptr 0
		.amdhsa_user_sgpr_kernarg_segment_ptr 1
		.amdhsa_user_sgpr_dispatch_id 0
		.amdhsa_user_sgpr_flat_scratch_init 0
		.amdhsa_user_sgpr_kernarg_preload_length 0
		.amdhsa_user_sgpr_kernarg_preload_offset 0
		.amdhsa_user_sgpr_private_segment_size 0
		.amdhsa_uses_dynamic_stack 0
		.amdhsa_system_sgpr_private_segment_wavefront_offset 0
		.amdhsa_system_sgpr_workgroup_id_x 1
		.amdhsa_system_sgpr_workgroup_id_y 0
		.amdhsa_system_sgpr_workgroup_id_z 0
		.amdhsa_system_sgpr_workgroup_info 0
		.amdhsa_system_vgpr_workitem_id 0
		.amdhsa_next_free_vgpr 1
		.amdhsa_next_free_sgpr 0
		.amdhsa_accum_offset 4
		.amdhsa_reserve_vcc 0
		.amdhsa_reserve_flat_scratch 0
		.amdhsa_float_round_mode_32 0
		.amdhsa_float_round_mode_16_64 0
		.amdhsa_float_denorm_mode_32 3
		.amdhsa_float_denorm_mode_16_64 3
		.amdhsa_dx10_clamp 1
		.amdhsa_ieee_mode 1
		.amdhsa_fp16_overflow 0
		.amdhsa_tg_split 0
		.amdhsa_exception_fp_ieee_invalid_op 0
		.amdhsa_exception_fp_denorm_src 0
		.amdhsa_exception_fp_ieee_div_zero 0
		.amdhsa_exception_fp_ieee_overflow 0
		.amdhsa_exception_fp_ieee_underflow 0
		.amdhsa_exception_fp_ieee_inexact 0
		.amdhsa_exception_int_div_zero 0
	.end_amdhsa_kernel
	.section	.text._ZN7rocprim17ROCPRIM_400000_NS6detail17trampoline_kernelINS0_14default_configENS1_36segmented_radix_sort_config_selectorIilEEZNS1_25segmented_radix_sort_implIS3_Lb1EPKiPiPKlPlN2at6native12_GLOBAL__N_18offset_tEEE10hipError_tPvRmT1_PNSt15iterator_traitsISK_E10value_typeET2_T3_PNSL_ISQ_E10value_typeET4_jRbjT5_SW_jjP12ihipStream_tbEUlT_E2_NS1_11comp_targetILNS1_3genE9ELNS1_11target_archE1100ELNS1_3gpuE3ELNS1_3repE0EEENS1_30default_config_static_selectorELNS0_4arch9wavefront6targetE1EEEvSK_,"axG",@progbits,_ZN7rocprim17ROCPRIM_400000_NS6detail17trampoline_kernelINS0_14default_configENS1_36segmented_radix_sort_config_selectorIilEEZNS1_25segmented_radix_sort_implIS3_Lb1EPKiPiPKlPlN2at6native12_GLOBAL__N_18offset_tEEE10hipError_tPvRmT1_PNSt15iterator_traitsISK_E10value_typeET2_T3_PNSL_ISQ_E10value_typeET4_jRbjT5_SW_jjP12ihipStream_tbEUlT_E2_NS1_11comp_targetILNS1_3genE9ELNS1_11target_archE1100ELNS1_3gpuE3ELNS1_3repE0EEENS1_30default_config_static_selectorELNS0_4arch9wavefront6targetE1EEEvSK_,comdat
.Lfunc_end534:
	.size	_ZN7rocprim17ROCPRIM_400000_NS6detail17trampoline_kernelINS0_14default_configENS1_36segmented_radix_sort_config_selectorIilEEZNS1_25segmented_radix_sort_implIS3_Lb1EPKiPiPKlPlN2at6native12_GLOBAL__N_18offset_tEEE10hipError_tPvRmT1_PNSt15iterator_traitsISK_E10value_typeET2_T3_PNSL_ISQ_E10value_typeET4_jRbjT5_SW_jjP12ihipStream_tbEUlT_E2_NS1_11comp_targetILNS1_3genE9ELNS1_11target_archE1100ELNS1_3gpuE3ELNS1_3repE0EEENS1_30default_config_static_selectorELNS0_4arch9wavefront6targetE1EEEvSK_, .Lfunc_end534-_ZN7rocprim17ROCPRIM_400000_NS6detail17trampoline_kernelINS0_14default_configENS1_36segmented_radix_sort_config_selectorIilEEZNS1_25segmented_radix_sort_implIS3_Lb1EPKiPiPKlPlN2at6native12_GLOBAL__N_18offset_tEEE10hipError_tPvRmT1_PNSt15iterator_traitsISK_E10value_typeET2_T3_PNSL_ISQ_E10value_typeET4_jRbjT5_SW_jjP12ihipStream_tbEUlT_E2_NS1_11comp_targetILNS1_3genE9ELNS1_11target_archE1100ELNS1_3gpuE3ELNS1_3repE0EEENS1_30default_config_static_selectorELNS0_4arch9wavefront6targetE1EEEvSK_
                                        ; -- End function
	.section	.AMDGPU.csdata,"",@progbits
; Kernel info:
; codeLenInByte = 0
; NumSgprs: 4
; NumVgprs: 0
; NumAgprs: 0
; TotalNumVgprs: 0
; ScratchSize: 0
; MemoryBound: 0
; FloatMode: 240
; IeeeMode: 1
; LDSByteSize: 0 bytes/workgroup (compile time only)
; SGPRBlocks: 0
; VGPRBlocks: 0
; NumSGPRsForWavesPerEU: 4
; NumVGPRsForWavesPerEU: 1
; AccumOffset: 4
; Occupancy: 8
; WaveLimiterHint : 0
; COMPUTE_PGM_RSRC2:SCRATCH_EN: 0
; COMPUTE_PGM_RSRC2:USER_SGPR: 6
; COMPUTE_PGM_RSRC2:TRAP_HANDLER: 0
; COMPUTE_PGM_RSRC2:TGID_X_EN: 1
; COMPUTE_PGM_RSRC2:TGID_Y_EN: 0
; COMPUTE_PGM_RSRC2:TGID_Z_EN: 0
; COMPUTE_PGM_RSRC2:TIDIG_COMP_CNT: 0
; COMPUTE_PGM_RSRC3_GFX90A:ACCUM_OFFSET: 0
; COMPUTE_PGM_RSRC3_GFX90A:TG_SPLIT: 0
	.section	.text._ZN7rocprim17ROCPRIM_400000_NS6detail17trampoline_kernelINS0_14default_configENS1_36segmented_radix_sort_config_selectorIilEEZNS1_25segmented_radix_sort_implIS3_Lb1EPKiPiPKlPlN2at6native12_GLOBAL__N_18offset_tEEE10hipError_tPvRmT1_PNSt15iterator_traitsISK_E10value_typeET2_T3_PNSL_ISQ_E10value_typeET4_jRbjT5_SW_jjP12ihipStream_tbEUlT_E2_NS1_11comp_targetILNS1_3genE8ELNS1_11target_archE1030ELNS1_3gpuE2ELNS1_3repE0EEENS1_30default_config_static_selectorELNS0_4arch9wavefront6targetE1EEEvSK_,"axG",@progbits,_ZN7rocprim17ROCPRIM_400000_NS6detail17trampoline_kernelINS0_14default_configENS1_36segmented_radix_sort_config_selectorIilEEZNS1_25segmented_radix_sort_implIS3_Lb1EPKiPiPKlPlN2at6native12_GLOBAL__N_18offset_tEEE10hipError_tPvRmT1_PNSt15iterator_traitsISK_E10value_typeET2_T3_PNSL_ISQ_E10value_typeET4_jRbjT5_SW_jjP12ihipStream_tbEUlT_E2_NS1_11comp_targetILNS1_3genE8ELNS1_11target_archE1030ELNS1_3gpuE2ELNS1_3repE0EEENS1_30default_config_static_selectorELNS0_4arch9wavefront6targetE1EEEvSK_,comdat
	.globl	_ZN7rocprim17ROCPRIM_400000_NS6detail17trampoline_kernelINS0_14default_configENS1_36segmented_radix_sort_config_selectorIilEEZNS1_25segmented_radix_sort_implIS3_Lb1EPKiPiPKlPlN2at6native12_GLOBAL__N_18offset_tEEE10hipError_tPvRmT1_PNSt15iterator_traitsISK_E10value_typeET2_T3_PNSL_ISQ_E10value_typeET4_jRbjT5_SW_jjP12ihipStream_tbEUlT_E2_NS1_11comp_targetILNS1_3genE8ELNS1_11target_archE1030ELNS1_3gpuE2ELNS1_3repE0EEENS1_30default_config_static_selectorELNS0_4arch9wavefront6targetE1EEEvSK_ ; -- Begin function _ZN7rocprim17ROCPRIM_400000_NS6detail17trampoline_kernelINS0_14default_configENS1_36segmented_radix_sort_config_selectorIilEEZNS1_25segmented_radix_sort_implIS3_Lb1EPKiPiPKlPlN2at6native12_GLOBAL__N_18offset_tEEE10hipError_tPvRmT1_PNSt15iterator_traitsISK_E10value_typeET2_T3_PNSL_ISQ_E10value_typeET4_jRbjT5_SW_jjP12ihipStream_tbEUlT_E2_NS1_11comp_targetILNS1_3genE8ELNS1_11target_archE1030ELNS1_3gpuE2ELNS1_3repE0EEENS1_30default_config_static_selectorELNS0_4arch9wavefront6targetE1EEEvSK_
	.p2align	8
	.type	_ZN7rocprim17ROCPRIM_400000_NS6detail17trampoline_kernelINS0_14default_configENS1_36segmented_radix_sort_config_selectorIilEEZNS1_25segmented_radix_sort_implIS3_Lb1EPKiPiPKlPlN2at6native12_GLOBAL__N_18offset_tEEE10hipError_tPvRmT1_PNSt15iterator_traitsISK_E10value_typeET2_T3_PNSL_ISQ_E10value_typeET4_jRbjT5_SW_jjP12ihipStream_tbEUlT_E2_NS1_11comp_targetILNS1_3genE8ELNS1_11target_archE1030ELNS1_3gpuE2ELNS1_3repE0EEENS1_30default_config_static_selectorELNS0_4arch9wavefront6targetE1EEEvSK_,@function
_ZN7rocprim17ROCPRIM_400000_NS6detail17trampoline_kernelINS0_14default_configENS1_36segmented_radix_sort_config_selectorIilEEZNS1_25segmented_radix_sort_implIS3_Lb1EPKiPiPKlPlN2at6native12_GLOBAL__N_18offset_tEEE10hipError_tPvRmT1_PNSt15iterator_traitsISK_E10value_typeET2_T3_PNSL_ISQ_E10value_typeET4_jRbjT5_SW_jjP12ihipStream_tbEUlT_E2_NS1_11comp_targetILNS1_3genE8ELNS1_11target_archE1030ELNS1_3gpuE2ELNS1_3repE0EEENS1_30default_config_static_selectorELNS0_4arch9wavefront6targetE1EEEvSK_: ; @_ZN7rocprim17ROCPRIM_400000_NS6detail17trampoline_kernelINS0_14default_configENS1_36segmented_radix_sort_config_selectorIilEEZNS1_25segmented_radix_sort_implIS3_Lb1EPKiPiPKlPlN2at6native12_GLOBAL__N_18offset_tEEE10hipError_tPvRmT1_PNSt15iterator_traitsISK_E10value_typeET2_T3_PNSL_ISQ_E10value_typeET4_jRbjT5_SW_jjP12ihipStream_tbEUlT_E2_NS1_11comp_targetILNS1_3genE8ELNS1_11target_archE1030ELNS1_3gpuE2ELNS1_3repE0EEENS1_30default_config_static_selectorELNS0_4arch9wavefront6targetE1EEEvSK_
; %bb.0:
	.section	.rodata,"a",@progbits
	.p2align	6, 0x0
	.amdhsa_kernel _ZN7rocprim17ROCPRIM_400000_NS6detail17trampoline_kernelINS0_14default_configENS1_36segmented_radix_sort_config_selectorIilEEZNS1_25segmented_radix_sort_implIS3_Lb1EPKiPiPKlPlN2at6native12_GLOBAL__N_18offset_tEEE10hipError_tPvRmT1_PNSt15iterator_traitsISK_E10value_typeET2_T3_PNSL_ISQ_E10value_typeET4_jRbjT5_SW_jjP12ihipStream_tbEUlT_E2_NS1_11comp_targetILNS1_3genE8ELNS1_11target_archE1030ELNS1_3gpuE2ELNS1_3repE0EEENS1_30default_config_static_selectorELNS0_4arch9wavefront6targetE1EEEvSK_
		.amdhsa_group_segment_fixed_size 0
		.amdhsa_private_segment_fixed_size 0
		.amdhsa_kernarg_size 80
		.amdhsa_user_sgpr_count 6
		.amdhsa_user_sgpr_private_segment_buffer 1
		.amdhsa_user_sgpr_dispatch_ptr 0
		.amdhsa_user_sgpr_queue_ptr 0
		.amdhsa_user_sgpr_kernarg_segment_ptr 1
		.amdhsa_user_sgpr_dispatch_id 0
		.amdhsa_user_sgpr_flat_scratch_init 0
		.amdhsa_user_sgpr_kernarg_preload_length 0
		.amdhsa_user_sgpr_kernarg_preload_offset 0
		.amdhsa_user_sgpr_private_segment_size 0
		.amdhsa_uses_dynamic_stack 0
		.amdhsa_system_sgpr_private_segment_wavefront_offset 0
		.amdhsa_system_sgpr_workgroup_id_x 1
		.amdhsa_system_sgpr_workgroup_id_y 0
		.amdhsa_system_sgpr_workgroup_id_z 0
		.amdhsa_system_sgpr_workgroup_info 0
		.amdhsa_system_vgpr_workitem_id 0
		.amdhsa_next_free_vgpr 1
		.amdhsa_next_free_sgpr 0
		.amdhsa_accum_offset 4
		.amdhsa_reserve_vcc 0
		.amdhsa_reserve_flat_scratch 0
		.amdhsa_float_round_mode_32 0
		.amdhsa_float_round_mode_16_64 0
		.amdhsa_float_denorm_mode_32 3
		.amdhsa_float_denorm_mode_16_64 3
		.amdhsa_dx10_clamp 1
		.amdhsa_ieee_mode 1
		.amdhsa_fp16_overflow 0
		.amdhsa_tg_split 0
		.amdhsa_exception_fp_ieee_invalid_op 0
		.amdhsa_exception_fp_denorm_src 0
		.amdhsa_exception_fp_ieee_div_zero 0
		.amdhsa_exception_fp_ieee_overflow 0
		.amdhsa_exception_fp_ieee_underflow 0
		.amdhsa_exception_fp_ieee_inexact 0
		.amdhsa_exception_int_div_zero 0
	.end_amdhsa_kernel
	.section	.text._ZN7rocprim17ROCPRIM_400000_NS6detail17trampoline_kernelINS0_14default_configENS1_36segmented_radix_sort_config_selectorIilEEZNS1_25segmented_radix_sort_implIS3_Lb1EPKiPiPKlPlN2at6native12_GLOBAL__N_18offset_tEEE10hipError_tPvRmT1_PNSt15iterator_traitsISK_E10value_typeET2_T3_PNSL_ISQ_E10value_typeET4_jRbjT5_SW_jjP12ihipStream_tbEUlT_E2_NS1_11comp_targetILNS1_3genE8ELNS1_11target_archE1030ELNS1_3gpuE2ELNS1_3repE0EEENS1_30default_config_static_selectorELNS0_4arch9wavefront6targetE1EEEvSK_,"axG",@progbits,_ZN7rocprim17ROCPRIM_400000_NS6detail17trampoline_kernelINS0_14default_configENS1_36segmented_radix_sort_config_selectorIilEEZNS1_25segmented_radix_sort_implIS3_Lb1EPKiPiPKlPlN2at6native12_GLOBAL__N_18offset_tEEE10hipError_tPvRmT1_PNSt15iterator_traitsISK_E10value_typeET2_T3_PNSL_ISQ_E10value_typeET4_jRbjT5_SW_jjP12ihipStream_tbEUlT_E2_NS1_11comp_targetILNS1_3genE8ELNS1_11target_archE1030ELNS1_3gpuE2ELNS1_3repE0EEENS1_30default_config_static_selectorELNS0_4arch9wavefront6targetE1EEEvSK_,comdat
.Lfunc_end535:
	.size	_ZN7rocprim17ROCPRIM_400000_NS6detail17trampoline_kernelINS0_14default_configENS1_36segmented_radix_sort_config_selectorIilEEZNS1_25segmented_radix_sort_implIS3_Lb1EPKiPiPKlPlN2at6native12_GLOBAL__N_18offset_tEEE10hipError_tPvRmT1_PNSt15iterator_traitsISK_E10value_typeET2_T3_PNSL_ISQ_E10value_typeET4_jRbjT5_SW_jjP12ihipStream_tbEUlT_E2_NS1_11comp_targetILNS1_3genE8ELNS1_11target_archE1030ELNS1_3gpuE2ELNS1_3repE0EEENS1_30default_config_static_selectorELNS0_4arch9wavefront6targetE1EEEvSK_, .Lfunc_end535-_ZN7rocprim17ROCPRIM_400000_NS6detail17trampoline_kernelINS0_14default_configENS1_36segmented_radix_sort_config_selectorIilEEZNS1_25segmented_radix_sort_implIS3_Lb1EPKiPiPKlPlN2at6native12_GLOBAL__N_18offset_tEEE10hipError_tPvRmT1_PNSt15iterator_traitsISK_E10value_typeET2_T3_PNSL_ISQ_E10value_typeET4_jRbjT5_SW_jjP12ihipStream_tbEUlT_E2_NS1_11comp_targetILNS1_3genE8ELNS1_11target_archE1030ELNS1_3gpuE2ELNS1_3repE0EEENS1_30default_config_static_selectorELNS0_4arch9wavefront6targetE1EEEvSK_
                                        ; -- End function
	.section	.AMDGPU.csdata,"",@progbits
; Kernel info:
; codeLenInByte = 0
; NumSgprs: 4
; NumVgprs: 0
; NumAgprs: 0
; TotalNumVgprs: 0
; ScratchSize: 0
; MemoryBound: 0
; FloatMode: 240
; IeeeMode: 1
; LDSByteSize: 0 bytes/workgroup (compile time only)
; SGPRBlocks: 0
; VGPRBlocks: 0
; NumSGPRsForWavesPerEU: 4
; NumVGPRsForWavesPerEU: 1
; AccumOffset: 4
; Occupancy: 8
; WaveLimiterHint : 0
; COMPUTE_PGM_RSRC2:SCRATCH_EN: 0
; COMPUTE_PGM_RSRC2:USER_SGPR: 6
; COMPUTE_PGM_RSRC2:TRAP_HANDLER: 0
; COMPUTE_PGM_RSRC2:TGID_X_EN: 1
; COMPUTE_PGM_RSRC2:TGID_Y_EN: 0
; COMPUTE_PGM_RSRC2:TGID_Z_EN: 0
; COMPUTE_PGM_RSRC2:TIDIG_COMP_CNT: 0
; COMPUTE_PGM_RSRC3_GFX90A:ACCUM_OFFSET: 0
; COMPUTE_PGM_RSRC3_GFX90A:TG_SPLIT: 0
	.section	.text._ZN7rocprim17ROCPRIM_400000_NS6detail17trampoline_kernelINS0_13select_configILj256ELj13ELNS0_17block_load_methodE3ELS4_3ELS4_3ELNS0_20block_scan_algorithmE0ELj4294967295EEENS1_25partition_config_selectorILNS1_17partition_subalgoE4EjNS0_10empty_typeEbEEZZNS1_14partition_implILS8_4ELb0ES6_15HIP_vector_typeIjLj2EENS0_17counting_iteratorIjlEEPS9_SG_NS0_5tupleIJPjSI_NS0_16reverse_iteratorISI_EEEEENSH_IJSG_SG_SG_EEES9_SI_JZNS1_25segmented_radix_sort_implINS0_14default_configELb0EPKiPiPKlPlN2at6native12_GLOBAL__N_18offset_tEEE10hipError_tPvRmT1_PNSt15iterator_traitsIS12_E10value_typeET2_T3_PNS13_IS18_E10value_typeET4_jRbjT5_S1E_jjP12ihipStream_tbEUljE_ZNSN_ISO_Lb0ESQ_SR_ST_SU_SY_EESZ_S10_S11_S12_S16_S17_S18_S1B_S1C_jS1D_jS1E_S1E_jjS1G_bEUljE0_EEESZ_S10_S11_S18_S1C_S1E_T6_T7_T9_mT8_S1G_bDpT10_ENKUlT_T0_E_clISt17integral_constantIbLb0EES1U_EEDaS1P_S1Q_EUlS1P_E_NS1_11comp_targetILNS1_3genE0ELNS1_11target_archE4294967295ELNS1_3gpuE0ELNS1_3repE0EEENS1_30default_config_static_selectorELNS0_4arch9wavefront6targetE1EEEvS12_,"axG",@progbits,_ZN7rocprim17ROCPRIM_400000_NS6detail17trampoline_kernelINS0_13select_configILj256ELj13ELNS0_17block_load_methodE3ELS4_3ELS4_3ELNS0_20block_scan_algorithmE0ELj4294967295EEENS1_25partition_config_selectorILNS1_17partition_subalgoE4EjNS0_10empty_typeEbEEZZNS1_14partition_implILS8_4ELb0ES6_15HIP_vector_typeIjLj2EENS0_17counting_iteratorIjlEEPS9_SG_NS0_5tupleIJPjSI_NS0_16reverse_iteratorISI_EEEEENSH_IJSG_SG_SG_EEES9_SI_JZNS1_25segmented_radix_sort_implINS0_14default_configELb0EPKiPiPKlPlN2at6native12_GLOBAL__N_18offset_tEEE10hipError_tPvRmT1_PNSt15iterator_traitsIS12_E10value_typeET2_T3_PNS13_IS18_E10value_typeET4_jRbjT5_S1E_jjP12ihipStream_tbEUljE_ZNSN_ISO_Lb0ESQ_SR_ST_SU_SY_EESZ_S10_S11_S12_S16_S17_S18_S1B_S1C_jS1D_jS1E_S1E_jjS1G_bEUljE0_EEESZ_S10_S11_S18_S1C_S1E_T6_T7_T9_mT8_S1G_bDpT10_ENKUlT_T0_E_clISt17integral_constantIbLb0EES1U_EEDaS1P_S1Q_EUlS1P_E_NS1_11comp_targetILNS1_3genE0ELNS1_11target_archE4294967295ELNS1_3gpuE0ELNS1_3repE0EEENS1_30default_config_static_selectorELNS0_4arch9wavefront6targetE1EEEvS12_,comdat
	.globl	_ZN7rocprim17ROCPRIM_400000_NS6detail17trampoline_kernelINS0_13select_configILj256ELj13ELNS0_17block_load_methodE3ELS4_3ELS4_3ELNS0_20block_scan_algorithmE0ELj4294967295EEENS1_25partition_config_selectorILNS1_17partition_subalgoE4EjNS0_10empty_typeEbEEZZNS1_14partition_implILS8_4ELb0ES6_15HIP_vector_typeIjLj2EENS0_17counting_iteratorIjlEEPS9_SG_NS0_5tupleIJPjSI_NS0_16reverse_iteratorISI_EEEEENSH_IJSG_SG_SG_EEES9_SI_JZNS1_25segmented_radix_sort_implINS0_14default_configELb0EPKiPiPKlPlN2at6native12_GLOBAL__N_18offset_tEEE10hipError_tPvRmT1_PNSt15iterator_traitsIS12_E10value_typeET2_T3_PNS13_IS18_E10value_typeET4_jRbjT5_S1E_jjP12ihipStream_tbEUljE_ZNSN_ISO_Lb0ESQ_SR_ST_SU_SY_EESZ_S10_S11_S12_S16_S17_S18_S1B_S1C_jS1D_jS1E_S1E_jjS1G_bEUljE0_EEESZ_S10_S11_S18_S1C_S1E_T6_T7_T9_mT8_S1G_bDpT10_ENKUlT_T0_E_clISt17integral_constantIbLb0EES1U_EEDaS1P_S1Q_EUlS1P_E_NS1_11comp_targetILNS1_3genE0ELNS1_11target_archE4294967295ELNS1_3gpuE0ELNS1_3repE0EEENS1_30default_config_static_selectorELNS0_4arch9wavefront6targetE1EEEvS12_ ; -- Begin function _ZN7rocprim17ROCPRIM_400000_NS6detail17trampoline_kernelINS0_13select_configILj256ELj13ELNS0_17block_load_methodE3ELS4_3ELS4_3ELNS0_20block_scan_algorithmE0ELj4294967295EEENS1_25partition_config_selectorILNS1_17partition_subalgoE4EjNS0_10empty_typeEbEEZZNS1_14partition_implILS8_4ELb0ES6_15HIP_vector_typeIjLj2EENS0_17counting_iteratorIjlEEPS9_SG_NS0_5tupleIJPjSI_NS0_16reverse_iteratorISI_EEEEENSH_IJSG_SG_SG_EEES9_SI_JZNS1_25segmented_radix_sort_implINS0_14default_configELb0EPKiPiPKlPlN2at6native12_GLOBAL__N_18offset_tEEE10hipError_tPvRmT1_PNSt15iterator_traitsIS12_E10value_typeET2_T3_PNS13_IS18_E10value_typeET4_jRbjT5_S1E_jjP12ihipStream_tbEUljE_ZNSN_ISO_Lb0ESQ_SR_ST_SU_SY_EESZ_S10_S11_S12_S16_S17_S18_S1B_S1C_jS1D_jS1E_S1E_jjS1G_bEUljE0_EEESZ_S10_S11_S18_S1C_S1E_T6_T7_T9_mT8_S1G_bDpT10_ENKUlT_T0_E_clISt17integral_constantIbLb0EES1U_EEDaS1P_S1Q_EUlS1P_E_NS1_11comp_targetILNS1_3genE0ELNS1_11target_archE4294967295ELNS1_3gpuE0ELNS1_3repE0EEENS1_30default_config_static_selectorELNS0_4arch9wavefront6targetE1EEEvS12_
	.p2align	8
	.type	_ZN7rocprim17ROCPRIM_400000_NS6detail17trampoline_kernelINS0_13select_configILj256ELj13ELNS0_17block_load_methodE3ELS4_3ELS4_3ELNS0_20block_scan_algorithmE0ELj4294967295EEENS1_25partition_config_selectorILNS1_17partition_subalgoE4EjNS0_10empty_typeEbEEZZNS1_14partition_implILS8_4ELb0ES6_15HIP_vector_typeIjLj2EENS0_17counting_iteratorIjlEEPS9_SG_NS0_5tupleIJPjSI_NS0_16reverse_iteratorISI_EEEEENSH_IJSG_SG_SG_EEES9_SI_JZNS1_25segmented_radix_sort_implINS0_14default_configELb0EPKiPiPKlPlN2at6native12_GLOBAL__N_18offset_tEEE10hipError_tPvRmT1_PNSt15iterator_traitsIS12_E10value_typeET2_T3_PNS13_IS18_E10value_typeET4_jRbjT5_S1E_jjP12ihipStream_tbEUljE_ZNSN_ISO_Lb0ESQ_SR_ST_SU_SY_EESZ_S10_S11_S12_S16_S17_S18_S1B_S1C_jS1D_jS1E_S1E_jjS1G_bEUljE0_EEESZ_S10_S11_S18_S1C_S1E_T6_T7_T9_mT8_S1G_bDpT10_ENKUlT_T0_E_clISt17integral_constantIbLb0EES1U_EEDaS1P_S1Q_EUlS1P_E_NS1_11comp_targetILNS1_3genE0ELNS1_11target_archE4294967295ELNS1_3gpuE0ELNS1_3repE0EEENS1_30default_config_static_selectorELNS0_4arch9wavefront6targetE1EEEvS12_,@function
_ZN7rocprim17ROCPRIM_400000_NS6detail17trampoline_kernelINS0_13select_configILj256ELj13ELNS0_17block_load_methodE3ELS4_3ELS4_3ELNS0_20block_scan_algorithmE0ELj4294967295EEENS1_25partition_config_selectorILNS1_17partition_subalgoE4EjNS0_10empty_typeEbEEZZNS1_14partition_implILS8_4ELb0ES6_15HIP_vector_typeIjLj2EENS0_17counting_iteratorIjlEEPS9_SG_NS0_5tupleIJPjSI_NS0_16reverse_iteratorISI_EEEEENSH_IJSG_SG_SG_EEES9_SI_JZNS1_25segmented_radix_sort_implINS0_14default_configELb0EPKiPiPKlPlN2at6native12_GLOBAL__N_18offset_tEEE10hipError_tPvRmT1_PNSt15iterator_traitsIS12_E10value_typeET2_T3_PNS13_IS18_E10value_typeET4_jRbjT5_S1E_jjP12ihipStream_tbEUljE_ZNSN_ISO_Lb0ESQ_SR_ST_SU_SY_EESZ_S10_S11_S12_S16_S17_S18_S1B_S1C_jS1D_jS1E_S1E_jjS1G_bEUljE0_EEESZ_S10_S11_S18_S1C_S1E_T6_T7_T9_mT8_S1G_bDpT10_ENKUlT_T0_E_clISt17integral_constantIbLb0EES1U_EEDaS1P_S1Q_EUlS1P_E_NS1_11comp_targetILNS1_3genE0ELNS1_11target_archE4294967295ELNS1_3gpuE0ELNS1_3repE0EEENS1_30default_config_static_selectorELNS0_4arch9wavefront6targetE1EEEvS12_: ; @_ZN7rocprim17ROCPRIM_400000_NS6detail17trampoline_kernelINS0_13select_configILj256ELj13ELNS0_17block_load_methodE3ELS4_3ELS4_3ELNS0_20block_scan_algorithmE0ELj4294967295EEENS1_25partition_config_selectorILNS1_17partition_subalgoE4EjNS0_10empty_typeEbEEZZNS1_14partition_implILS8_4ELb0ES6_15HIP_vector_typeIjLj2EENS0_17counting_iteratorIjlEEPS9_SG_NS0_5tupleIJPjSI_NS0_16reverse_iteratorISI_EEEEENSH_IJSG_SG_SG_EEES9_SI_JZNS1_25segmented_radix_sort_implINS0_14default_configELb0EPKiPiPKlPlN2at6native12_GLOBAL__N_18offset_tEEE10hipError_tPvRmT1_PNSt15iterator_traitsIS12_E10value_typeET2_T3_PNS13_IS18_E10value_typeET4_jRbjT5_S1E_jjP12ihipStream_tbEUljE_ZNSN_ISO_Lb0ESQ_SR_ST_SU_SY_EESZ_S10_S11_S12_S16_S17_S18_S1B_S1C_jS1D_jS1E_S1E_jjS1G_bEUljE0_EEESZ_S10_S11_S18_S1C_S1E_T6_T7_T9_mT8_S1G_bDpT10_ENKUlT_T0_E_clISt17integral_constantIbLb0EES1U_EEDaS1P_S1Q_EUlS1P_E_NS1_11comp_targetILNS1_3genE0ELNS1_11target_archE4294967295ELNS1_3gpuE0ELNS1_3repE0EEENS1_30default_config_static_selectorELNS0_4arch9wavefront6targetE1EEEvS12_
; %bb.0:
	.section	.rodata,"a",@progbits
	.p2align	6, 0x0
	.amdhsa_kernel _ZN7rocprim17ROCPRIM_400000_NS6detail17trampoline_kernelINS0_13select_configILj256ELj13ELNS0_17block_load_methodE3ELS4_3ELS4_3ELNS0_20block_scan_algorithmE0ELj4294967295EEENS1_25partition_config_selectorILNS1_17partition_subalgoE4EjNS0_10empty_typeEbEEZZNS1_14partition_implILS8_4ELb0ES6_15HIP_vector_typeIjLj2EENS0_17counting_iteratorIjlEEPS9_SG_NS0_5tupleIJPjSI_NS0_16reverse_iteratorISI_EEEEENSH_IJSG_SG_SG_EEES9_SI_JZNS1_25segmented_radix_sort_implINS0_14default_configELb0EPKiPiPKlPlN2at6native12_GLOBAL__N_18offset_tEEE10hipError_tPvRmT1_PNSt15iterator_traitsIS12_E10value_typeET2_T3_PNS13_IS18_E10value_typeET4_jRbjT5_S1E_jjP12ihipStream_tbEUljE_ZNSN_ISO_Lb0ESQ_SR_ST_SU_SY_EESZ_S10_S11_S12_S16_S17_S18_S1B_S1C_jS1D_jS1E_S1E_jjS1G_bEUljE0_EEESZ_S10_S11_S18_S1C_S1E_T6_T7_T9_mT8_S1G_bDpT10_ENKUlT_T0_E_clISt17integral_constantIbLb0EES1U_EEDaS1P_S1Q_EUlS1P_E_NS1_11comp_targetILNS1_3genE0ELNS1_11target_archE4294967295ELNS1_3gpuE0ELNS1_3repE0EEENS1_30default_config_static_selectorELNS0_4arch9wavefront6targetE1EEEvS12_
		.amdhsa_group_segment_fixed_size 0
		.amdhsa_private_segment_fixed_size 0
		.amdhsa_kernarg_size 176
		.amdhsa_user_sgpr_count 6
		.amdhsa_user_sgpr_private_segment_buffer 1
		.amdhsa_user_sgpr_dispatch_ptr 0
		.amdhsa_user_sgpr_queue_ptr 0
		.amdhsa_user_sgpr_kernarg_segment_ptr 1
		.amdhsa_user_sgpr_dispatch_id 0
		.amdhsa_user_sgpr_flat_scratch_init 0
		.amdhsa_user_sgpr_kernarg_preload_length 0
		.amdhsa_user_sgpr_kernarg_preload_offset 0
		.amdhsa_user_sgpr_private_segment_size 0
		.amdhsa_uses_dynamic_stack 0
		.amdhsa_system_sgpr_private_segment_wavefront_offset 0
		.amdhsa_system_sgpr_workgroup_id_x 1
		.amdhsa_system_sgpr_workgroup_id_y 0
		.amdhsa_system_sgpr_workgroup_id_z 0
		.amdhsa_system_sgpr_workgroup_info 0
		.amdhsa_system_vgpr_workitem_id 0
		.amdhsa_next_free_vgpr 1
		.amdhsa_next_free_sgpr 0
		.amdhsa_accum_offset 4
		.amdhsa_reserve_vcc 0
		.amdhsa_reserve_flat_scratch 0
		.amdhsa_float_round_mode_32 0
		.amdhsa_float_round_mode_16_64 0
		.amdhsa_float_denorm_mode_32 3
		.amdhsa_float_denorm_mode_16_64 3
		.amdhsa_dx10_clamp 1
		.amdhsa_ieee_mode 1
		.amdhsa_fp16_overflow 0
		.amdhsa_tg_split 0
		.amdhsa_exception_fp_ieee_invalid_op 0
		.amdhsa_exception_fp_denorm_src 0
		.amdhsa_exception_fp_ieee_div_zero 0
		.amdhsa_exception_fp_ieee_overflow 0
		.amdhsa_exception_fp_ieee_underflow 0
		.amdhsa_exception_fp_ieee_inexact 0
		.amdhsa_exception_int_div_zero 0
	.end_amdhsa_kernel
	.section	.text._ZN7rocprim17ROCPRIM_400000_NS6detail17trampoline_kernelINS0_13select_configILj256ELj13ELNS0_17block_load_methodE3ELS4_3ELS4_3ELNS0_20block_scan_algorithmE0ELj4294967295EEENS1_25partition_config_selectorILNS1_17partition_subalgoE4EjNS0_10empty_typeEbEEZZNS1_14partition_implILS8_4ELb0ES6_15HIP_vector_typeIjLj2EENS0_17counting_iteratorIjlEEPS9_SG_NS0_5tupleIJPjSI_NS0_16reverse_iteratorISI_EEEEENSH_IJSG_SG_SG_EEES9_SI_JZNS1_25segmented_radix_sort_implINS0_14default_configELb0EPKiPiPKlPlN2at6native12_GLOBAL__N_18offset_tEEE10hipError_tPvRmT1_PNSt15iterator_traitsIS12_E10value_typeET2_T3_PNS13_IS18_E10value_typeET4_jRbjT5_S1E_jjP12ihipStream_tbEUljE_ZNSN_ISO_Lb0ESQ_SR_ST_SU_SY_EESZ_S10_S11_S12_S16_S17_S18_S1B_S1C_jS1D_jS1E_S1E_jjS1G_bEUljE0_EEESZ_S10_S11_S18_S1C_S1E_T6_T7_T9_mT8_S1G_bDpT10_ENKUlT_T0_E_clISt17integral_constantIbLb0EES1U_EEDaS1P_S1Q_EUlS1P_E_NS1_11comp_targetILNS1_3genE0ELNS1_11target_archE4294967295ELNS1_3gpuE0ELNS1_3repE0EEENS1_30default_config_static_selectorELNS0_4arch9wavefront6targetE1EEEvS12_,"axG",@progbits,_ZN7rocprim17ROCPRIM_400000_NS6detail17trampoline_kernelINS0_13select_configILj256ELj13ELNS0_17block_load_methodE3ELS4_3ELS4_3ELNS0_20block_scan_algorithmE0ELj4294967295EEENS1_25partition_config_selectorILNS1_17partition_subalgoE4EjNS0_10empty_typeEbEEZZNS1_14partition_implILS8_4ELb0ES6_15HIP_vector_typeIjLj2EENS0_17counting_iteratorIjlEEPS9_SG_NS0_5tupleIJPjSI_NS0_16reverse_iteratorISI_EEEEENSH_IJSG_SG_SG_EEES9_SI_JZNS1_25segmented_radix_sort_implINS0_14default_configELb0EPKiPiPKlPlN2at6native12_GLOBAL__N_18offset_tEEE10hipError_tPvRmT1_PNSt15iterator_traitsIS12_E10value_typeET2_T3_PNS13_IS18_E10value_typeET4_jRbjT5_S1E_jjP12ihipStream_tbEUljE_ZNSN_ISO_Lb0ESQ_SR_ST_SU_SY_EESZ_S10_S11_S12_S16_S17_S18_S1B_S1C_jS1D_jS1E_S1E_jjS1G_bEUljE0_EEESZ_S10_S11_S18_S1C_S1E_T6_T7_T9_mT8_S1G_bDpT10_ENKUlT_T0_E_clISt17integral_constantIbLb0EES1U_EEDaS1P_S1Q_EUlS1P_E_NS1_11comp_targetILNS1_3genE0ELNS1_11target_archE4294967295ELNS1_3gpuE0ELNS1_3repE0EEENS1_30default_config_static_selectorELNS0_4arch9wavefront6targetE1EEEvS12_,comdat
.Lfunc_end536:
	.size	_ZN7rocprim17ROCPRIM_400000_NS6detail17trampoline_kernelINS0_13select_configILj256ELj13ELNS0_17block_load_methodE3ELS4_3ELS4_3ELNS0_20block_scan_algorithmE0ELj4294967295EEENS1_25partition_config_selectorILNS1_17partition_subalgoE4EjNS0_10empty_typeEbEEZZNS1_14partition_implILS8_4ELb0ES6_15HIP_vector_typeIjLj2EENS0_17counting_iteratorIjlEEPS9_SG_NS0_5tupleIJPjSI_NS0_16reverse_iteratorISI_EEEEENSH_IJSG_SG_SG_EEES9_SI_JZNS1_25segmented_radix_sort_implINS0_14default_configELb0EPKiPiPKlPlN2at6native12_GLOBAL__N_18offset_tEEE10hipError_tPvRmT1_PNSt15iterator_traitsIS12_E10value_typeET2_T3_PNS13_IS18_E10value_typeET4_jRbjT5_S1E_jjP12ihipStream_tbEUljE_ZNSN_ISO_Lb0ESQ_SR_ST_SU_SY_EESZ_S10_S11_S12_S16_S17_S18_S1B_S1C_jS1D_jS1E_S1E_jjS1G_bEUljE0_EEESZ_S10_S11_S18_S1C_S1E_T6_T7_T9_mT8_S1G_bDpT10_ENKUlT_T0_E_clISt17integral_constantIbLb0EES1U_EEDaS1P_S1Q_EUlS1P_E_NS1_11comp_targetILNS1_3genE0ELNS1_11target_archE4294967295ELNS1_3gpuE0ELNS1_3repE0EEENS1_30default_config_static_selectorELNS0_4arch9wavefront6targetE1EEEvS12_, .Lfunc_end536-_ZN7rocprim17ROCPRIM_400000_NS6detail17trampoline_kernelINS0_13select_configILj256ELj13ELNS0_17block_load_methodE3ELS4_3ELS4_3ELNS0_20block_scan_algorithmE0ELj4294967295EEENS1_25partition_config_selectorILNS1_17partition_subalgoE4EjNS0_10empty_typeEbEEZZNS1_14partition_implILS8_4ELb0ES6_15HIP_vector_typeIjLj2EENS0_17counting_iteratorIjlEEPS9_SG_NS0_5tupleIJPjSI_NS0_16reverse_iteratorISI_EEEEENSH_IJSG_SG_SG_EEES9_SI_JZNS1_25segmented_radix_sort_implINS0_14default_configELb0EPKiPiPKlPlN2at6native12_GLOBAL__N_18offset_tEEE10hipError_tPvRmT1_PNSt15iterator_traitsIS12_E10value_typeET2_T3_PNS13_IS18_E10value_typeET4_jRbjT5_S1E_jjP12ihipStream_tbEUljE_ZNSN_ISO_Lb0ESQ_SR_ST_SU_SY_EESZ_S10_S11_S12_S16_S17_S18_S1B_S1C_jS1D_jS1E_S1E_jjS1G_bEUljE0_EEESZ_S10_S11_S18_S1C_S1E_T6_T7_T9_mT8_S1G_bDpT10_ENKUlT_T0_E_clISt17integral_constantIbLb0EES1U_EEDaS1P_S1Q_EUlS1P_E_NS1_11comp_targetILNS1_3genE0ELNS1_11target_archE4294967295ELNS1_3gpuE0ELNS1_3repE0EEENS1_30default_config_static_selectorELNS0_4arch9wavefront6targetE1EEEvS12_
                                        ; -- End function
	.section	.AMDGPU.csdata,"",@progbits
; Kernel info:
; codeLenInByte = 0
; NumSgprs: 4
; NumVgprs: 0
; NumAgprs: 0
; TotalNumVgprs: 0
; ScratchSize: 0
; MemoryBound: 0
; FloatMode: 240
; IeeeMode: 1
; LDSByteSize: 0 bytes/workgroup (compile time only)
; SGPRBlocks: 0
; VGPRBlocks: 0
; NumSGPRsForWavesPerEU: 4
; NumVGPRsForWavesPerEU: 1
; AccumOffset: 4
; Occupancy: 8
; WaveLimiterHint : 0
; COMPUTE_PGM_RSRC2:SCRATCH_EN: 0
; COMPUTE_PGM_RSRC2:USER_SGPR: 6
; COMPUTE_PGM_RSRC2:TRAP_HANDLER: 0
; COMPUTE_PGM_RSRC2:TGID_X_EN: 1
; COMPUTE_PGM_RSRC2:TGID_Y_EN: 0
; COMPUTE_PGM_RSRC2:TGID_Z_EN: 0
; COMPUTE_PGM_RSRC2:TIDIG_COMP_CNT: 0
; COMPUTE_PGM_RSRC3_GFX90A:ACCUM_OFFSET: 0
; COMPUTE_PGM_RSRC3_GFX90A:TG_SPLIT: 0
	.section	.text._ZN7rocprim17ROCPRIM_400000_NS6detail17trampoline_kernelINS0_13select_configILj256ELj13ELNS0_17block_load_methodE3ELS4_3ELS4_3ELNS0_20block_scan_algorithmE0ELj4294967295EEENS1_25partition_config_selectorILNS1_17partition_subalgoE4EjNS0_10empty_typeEbEEZZNS1_14partition_implILS8_4ELb0ES6_15HIP_vector_typeIjLj2EENS0_17counting_iteratorIjlEEPS9_SG_NS0_5tupleIJPjSI_NS0_16reverse_iteratorISI_EEEEENSH_IJSG_SG_SG_EEES9_SI_JZNS1_25segmented_radix_sort_implINS0_14default_configELb0EPKiPiPKlPlN2at6native12_GLOBAL__N_18offset_tEEE10hipError_tPvRmT1_PNSt15iterator_traitsIS12_E10value_typeET2_T3_PNS13_IS18_E10value_typeET4_jRbjT5_S1E_jjP12ihipStream_tbEUljE_ZNSN_ISO_Lb0ESQ_SR_ST_SU_SY_EESZ_S10_S11_S12_S16_S17_S18_S1B_S1C_jS1D_jS1E_S1E_jjS1G_bEUljE0_EEESZ_S10_S11_S18_S1C_S1E_T6_T7_T9_mT8_S1G_bDpT10_ENKUlT_T0_E_clISt17integral_constantIbLb0EES1U_EEDaS1P_S1Q_EUlS1P_E_NS1_11comp_targetILNS1_3genE5ELNS1_11target_archE942ELNS1_3gpuE9ELNS1_3repE0EEENS1_30default_config_static_selectorELNS0_4arch9wavefront6targetE1EEEvS12_,"axG",@progbits,_ZN7rocprim17ROCPRIM_400000_NS6detail17trampoline_kernelINS0_13select_configILj256ELj13ELNS0_17block_load_methodE3ELS4_3ELS4_3ELNS0_20block_scan_algorithmE0ELj4294967295EEENS1_25partition_config_selectorILNS1_17partition_subalgoE4EjNS0_10empty_typeEbEEZZNS1_14partition_implILS8_4ELb0ES6_15HIP_vector_typeIjLj2EENS0_17counting_iteratorIjlEEPS9_SG_NS0_5tupleIJPjSI_NS0_16reverse_iteratorISI_EEEEENSH_IJSG_SG_SG_EEES9_SI_JZNS1_25segmented_radix_sort_implINS0_14default_configELb0EPKiPiPKlPlN2at6native12_GLOBAL__N_18offset_tEEE10hipError_tPvRmT1_PNSt15iterator_traitsIS12_E10value_typeET2_T3_PNS13_IS18_E10value_typeET4_jRbjT5_S1E_jjP12ihipStream_tbEUljE_ZNSN_ISO_Lb0ESQ_SR_ST_SU_SY_EESZ_S10_S11_S12_S16_S17_S18_S1B_S1C_jS1D_jS1E_S1E_jjS1G_bEUljE0_EEESZ_S10_S11_S18_S1C_S1E_T6_T7_T9_mT8_S1G_bDpT10_ENKUlT_T0_E_clISt17integral_constantIbLb0EES1U_EEDaS1P_S1Q_EUlS1P_E_NS1_11comp_targetILNS1_3genE5ELNS1_11target_archE942ELNS1_3gpuE9ELNS1_3repE0EEENS1_30default_config_static_selectorELNS0_4arch9wavefront6targetE1EEEvS12_,comdat
	.globl	_ZN7rocprim17ROCPRIM_400000_NS6detail17trampoline_kernelINS0_13select_configILj256ELj13ELNS0_17block_load_methodE3ELS4_3ELS4_3ELNS0_20block_scan_algorithmE0ELj4294967295EEENS1_25partition_config_selectorILNS1_17partition_subalgoE4EjNS0_10empty_typeEbEEZZNS1_14partition_implILS8_4ELb0ES6_15HIP_vector_typeIjLj2EENS0_17counting_iteratorIjlEEPS9_SG_NS0_5tupleIJPjSI_NS0_16reverse_iteratorISI_EEEEENSH_IJSG_SG_SG_EEES9_SI_JZNS1_25segmented_radix_sort_implINS0_14default_configELb0EPKiPiPKlPlN2at6native12_GLOBAL__N_18offset_tEEE10hipError_tPvRmT1_PNSt15iterator_traitsIS12_E10value_typeET2_T3_PNS13_IS18_E10value_typeET4_jRbjT5_S1E_jjP12ihipStream_tbEUljE_ZNSN_ISO_Lb0ESQ_SR_ST_SU_SY_EESZ_S10_S11_S12_S16_S17_S18_S1B_S1C_jS1D_jS1E_S1E_jjS1G_bEUljE0_EEESZ_S10_S11_S18_S1C_S1E_T6_T7_T9_mT8_S1G_bDpT10_ENKUlT_T0_E_clISt17integral_constantIbLb0EES1U_EEDaS1P_S1Q_EUlS1P_E_NS1_11comp_targetILNS1_3genE5ELNS1_11target_archE942ELNS1_3gpuE9ELNS1_3repE0EEENS1_30default_config_static_selectorELNS0_4arch9wavefront6targetE1EEEvS12_ ; -- Begin function _ZN7rocprim17ROCPRIM_400000_NS6detail17trampoline_kernelINS0_13select_configILj256ELj13ELNS0_17block_load_methodE3ELS4_3ELS4_3ELNS0_20block_scan_algorithmE0ELj4294967295EEENS1_25partition_config_selectorILNS1_17partition_subalgoE4EjNS0_10empty_typeEbEEZZNS1_14partition_implILS8_4ELb0ES6_15HIP_vector_typeIjLj2EENS0_17counting_iteratorIjlEEPS9_SG_NS0_5tupleIJPjSI_NS0_16reverse_iteratorISI_EEEEENSH_IJSG_SG_SG_EEES9_SI_JZNS1_25segmented_radix_sort_implINS0_14default_configELb0EPKiPiPKlPlN2at6native12_GLOBAL__N_18offset_tEEE10hipError_tPvRmT1_PNSt15iterator_traitsIS12_E10value_typeET2_T3_PNS13_IS18_E10value_typeET4_jRbjT5_S1E_jjP12ihipStream_tbEUljE_ZNSN_ISO_Lb0ESQ_SR_ST_SU_SY_EESZ_S10_S11_S12_S16_S17_S18_S1B_S1C_jS1D_jS1E_S1E_jjS1G_bEUljE0_EEESZ_S10_S11_S18_S1C_S1E_T6_T7_T9_mT8_S1G_bDpT10_ENKUlT_T0_E_clISt17integral_constantIbLb0EES1U_EEDaS1P_S1Q_EUlS1P_E_NS1_11comp_targetILNS1_3genE5ELNS1_11target_archE942ELNS1_3gpuE9ELNS1_3repE0EEENS1_30default_config_static_selectorELNS0_4arch9wavefront6targetE1EEEvS12_
	.p2align	8
	.type	_ZN7rocprim17ROCPRIM_400000_NS6detail17trampoline_kernelINS0_13select_configILj256ELj13ELNS0_17block_load_methodE3ELS4_3ELS4_3ELNS0_20block_scan_algorithmE0ELj4294967295EEENS1_25partition_config_selectorILNS1_17partition_subalgoE4EjNS0_10empty_typeEbEEZZNS1_14partition_implILS8_4ELb0ES6_15HIP_vector_typeIjLj2EENS0_17counting_iteratorIjlEEPS9_SG_NS0_5tupleIJPjSI_NS0_16reverse_iteratorISI_EEEEENSH_IJSG_SG_SG_EEES9_SI_JZNS1_25segmented_radix_sort_implINS0_14default_configELb0EPKiPiPKlPlN2at6native12_GLOBAL__N_18offset_tEEE10hipError_tPvRmT1_PNSt15iterator_traitsIS12_E10value_typeET2_T3_PNS13_IS18_E10value_typeET4_jRbjT5_S1E_jjP12ihipStream_tbEUljE_ZNSN_ISO_Lb0ESQ_SR_ST_SU_SY_EESZ_S10_S11_S12_S16_S17_S18_S1B_S1C_jS1D_jS1E_S1E_jjS1G_bEUljE0_EEESZ_S10_S11_S18_S1C_S1E_T6_T7_T9_mT8_S1G_bDpT10_ENKUlT_T0_E_clISt17integral_constantIbLb0EES1U_EEDaS1P_S1Q_EUlS1P_E_NS1_11comp_targetILNS1_3genE5ELNS1_11target_archE942ELNS1_3gpuE9ELNS1_3repE0EEENS1_30default_config_static_selectorELNS0_4arch9wavefront6targetE1EEEvS12_,@function
_ZN7rocprim17ROCPRIM_400000_NS6detail17trampoline_kernelINS0_13select_configILj256ELj13ELNS0_17block_load_methodE3ELS4_3ELS4_3ELNS0_20block_scan_algorithmE0ELj4294967295EEENS1_25partition_config_selectorILNS1_17partition_subalgoE4EjNS0_10empty_typeEbEEZZNS1_14partition_implILS8_4ELb0ES6_15HIP_vector_typeIjLj2EENS0_17counting_iteratorIjlEEPS9_SG_NS0_5tupleIJPjSI_NS0_16reverse_iteratorISI_EEEEENSH_IJSG_SG_SG_EEES9_SI_JZNS1_25segmented_radix_sort_implINS0_14default_configELb0EPKiPiPKlPlN2at6native12_GLOBAL__N_18offset_tEEE10hipError_tPvRmT1_PNSt15iterator_traitsIS12_E10value_typeET2_T3_PNS13_IS18_E10value_typeET4_jRbjT5_S1E_jjP12ihipStream_tbEUljE_ZNSN_ISO_Lb0ESQ_SR_ST_SU_SY_EESZ_S10_S11_S12_S16_S17_S18_S1B_S1C_jS1D_jS1E_S1E_jjS1G_bEUljE0_EEESZ_S10_S11_S18_S1C_S1E_T6_T7_T9_mT8_S1G_bDpT10_ENKUlT_T0_E_clISt17integral_constantIbLb0EES1U_EEDaS1P_S1Q_EUlS1P_E_NS1_11comp_targetILNS1_3genE5ELNS1_11target_archE942ELNS1_3gpuE9ELNS1_3repE0EEENS1_30default_config_static_selectorELNS0_4arch9wavefront6targetE1EEEvS12_: ; @_ZN7rocprim17ROCPRIM_400000_NS6detail17trampoline_kernelINS0_13select_configILj256ELj13ELNS0_17block_load_methodE3ELS4_3ELS4_3ELNS0_20block_scan_algorithmE0ELj4294967295EEENS1_25partition_config_selectorILNS1_17partition_subalgoE4EjNS0_10empty_typeEbEEZZNS1_14partition_implILS8_4ELb0ES6_15HIP_vector_typeIjLj2EENS0_17counting_iteratorIjlEEPS9_SG_NS0_5tupleIJPjSI_NS0_16reverse_iteratorISI_EEEEENSH_IJSG_SG_SG_EEES9_SI_JZNS1_25segmented_radix_sort_implINS0_14default_configELb0EPKiPiPKlPlN2at6native12_GLOBAL__N_18offset_tEEE10hipError_tPvRmT1_PNSt15iterator_traitsIS12_E10value_typeET2_T3_PNS13_IS18_E10value_typeET4_jRbjT5_S1E_jjP12ihipStream_tbEUljE_ZNSN_ISO_Lb0ESQ_SR_ST_SU_SY_EESZ_S10_S11_S12_S16_S17_S18_S1B_S1C_jS1D_jS1E_S1E_jjS1G_bEUljE0_EEESZ_S10_S11_S18_S1C_S1E_T6_T7_T9_mT8_S1G_bDpT10_ENKUlT_T0_E_clISt17integral_constantIbLb0EES1U_EEDaS1P_S1Q_EUlS1P_E_NS1_11comp_targetILNS1_3genE5ELNS1_11target_archE942ELNS1_3gpuE9ELNS1_3repE0EEENS1_30default_config_static_selectorELNS0_4arch9wavefront6targetE1EEEvS12_
; %bb.0:
	.section	.rodata,"a",@progbits
	.p2align	6, 0x0
	.amdhsa_kernel _ZN7rocprim17ROCPRIM_400000_NS6detail17trampoline_kernelINS0_13select_configILj256ELj13ELNS0_17block_load_methodE3ELS4_3ELS4_3ELNS0_20block_scan_algorithmE0ELj4294967295EEENS1_25partition_config_selectorILNS1_17partition_subalgoE4EjNS0_10empty_typeEbEEZZNS1_14partition_implILS8_4ELb0ES6_15HIP_vector_typeIjLj2EENS0_17counting_iteratorIjlEEPS9_SG_NS0_5tupleIJPjSI_NS0_16reverse_iteratorISI_EEEEENSH_IJSG_SG_SG_EEES9_SI_JZNS1_25segmented_radix_sort_implINS0_14default_configELb0EPKiPiPKlPlN2at6native12_GLOBAL__N_18offset_tEEE10hipError_tPvRmT1_PNSt15iterator_traitsIS12_E10value_typeET2_T3_PNS13_IS18_E10value_typeET4_jRbjT5_S1E_jjP12ihipStream_tbEUljE_ZNSN_ISO_Lb0ESQ_SR_ST_SU_SY_EESZ_S10_S11_S12_S16_S17_S18_S1B_S1C_jS1D_jS1E_S1E_jjS1G_bEUljE0_EEESZ_S10_S11_S18_S1C_S1E_T6_T7_T9_mT8_S1G_bDpT10_ENKUlT_T0_E_clISt17integral_constantIbLb0EES1U_EEDaS1P_S1Q_EUlS1P_E_NS1_11comp_targetILNS1_3genE5ELNS1_11target_archE942ELNS1_3gpuE9ELNS1_3repE0EEENS1_30default_config_static_selectorELNS0_4arch9wavefront6targetE1EEEvS12_
		.amdhsa_group_segment_fixed_size 0
		.amdhsa_private_segment_fixed_size 0
		.amdhsa_kernarg_size 176
		.amdhsa_user_sgpr_count 6
		.amdhsa_user_sgpr_private_segment_buffer 1
		.amdhsa_user_sgpr_dispatch_ptr 0
		.amdhsa_user_sgpr_queue_ptr 0
		.amdhsa_user_sgpr_kernarg_segment_ptr 1
		.amdhsa_user_sgpr_dispatch_id 0
		.amdhsa_user_sgpr_flat_scratch_init 0
		.amdhsa_user_sgpr_kernarg_preload_length 0
		.amdhsa_user_sgpr_kernarg_preload_offset 0
		.amdhsa_user_sgpr_private_segment_size 0
		.amdhsa_uses_dynamic_stack 0
		.amdhsa_system_sgpr_private_segment_wavefront_offset 0
		.amdhsa_system_sgpr_workgroup_id_x 1
		.amdhsa_system_sgpr_workgroup_id_y 0
		.amdhsa_system_sgpr_workgroup_id_z 0
		.amdhsa_system_sgpr_workgroup_info 0
		.amdhsa_system_vgpr_workitem_id 0
		.amdhsa_next_free_vgpr 1
		.amdhsa_next_free_sgpr 0
		.amdhsa_accum_offset 4
		.amdhsa_reserve_vcc 0
		.amdhsa_reserve_flat_scratch 0
		.amdhsa_float_round_mode_32 0
		.amdhsa_float_round_mode_16_64 0
		.amdhsa_float_denorm_mode_32 3
		.amdhsa_float_denorm_mode_16_64 3
		.amdhsa_dx10_clamp 1
		.amdhsa_ieee_mode 1
		.amdhsa_fp16_overflow 0
		.amdhsa_tg_split 0
		.amdhsa_exception_fp_ieee_invalid_op 0
		.amdhsa_exception_fp_denorm_src 0
		.amdhsa_exception_fp_ieee_div_zero 0
		.amdhsa_exception_fp_ieee_overflow 0
		.amdhsa_exception_fp_ieee_underflow 0
		.amdhsa_exception_fp_ieee_inexact 0
		.amdhsa_exception_int_div_zero 0
	.end_amdhsa_kernel
	.section	.text._ZN7rocprim17ROCPRIM_400000_NS6detail17trampoline_kernelINS0_13select_configILj256ELj13ELNS0_17block_load_methodE3ELS4_3ELS4_3ELNS0_20block_scan_algorithmE0ELj4294967295EEENS1_25partition_config_selectorILNS1_17partition_subalgoE4EjNS0_10empty_typeEbEEZZNS1_14partition_implILS8_4ELb0ES6_15HIP_vector_typeIjLj2EENS0_17counting_iteratorIjlEEPS9_SG_NS0_5tupleIJPjSI_NS0_16reverse_iteratorISI_EEEEENSH_IJSG_SG_SG_EEES9_SI_JZNS1_25segmented_radix_sort_implINS0_14default_configELb0EPKiPiPKlPlN2at6native12_GLOBAL__N_18offset_tEEE10hipError_tPvRmT1_PNSt15iterator_traitsIS12_E10value_typeET2_T3_PNS13_IS18_E10value_typeET4_jRbjT5_S1E_jjP12ihipStream_tbEUljE_ZNSN_ISO_Lb0ESQ_SR_ST_SU_SY_EESZ_S10_S11_S12_S16_S17_S18_S1B_S1C_jS1D_jS1E_S1E_jjS1G_bEUljE0_EEESZ_S10_S11_S18_S1C_S1E_T6_T7_T9_mT8_S1G_bDpT10_ENKUlT_T0_E_clISt17integral_constantIbLb0EES1U_EEDaS1P_S1Q_EUlS1P_E_NS1_11comp_targetILNS1_3genE5ELNS1_11target_archE942ELNS1_3gpuE9ELNS1_3repE0EEENS1_30default_config_static_selectorELNS0_4arch9wavefront6targetE1EEEvS12_,"axG",@progbits,_ZN7rocprim17ROCPRIM_400000_NS6detail17trampoline_kernelINS0_13select_configILj256ELj13ELNS0_17block_load_methodE3ELS4_3ELS4_3ELNS0_20block_scan_algorithmE0ELj4294967295EEENS1_25partition_config_selectorILNS1_17partition_subalgoE4EjNS0_10empty_typeEbEEZZNS1_14partition_implILS8_4ELb0ES6_15HIP_vector_typeIjLj2EENS0_17counting_iteratorIjlEEPS9_SG_NS0_5tupleIJPjSI_NS0_16reverse_iteratorISI_EEEEENSH_IJSG_SG_SG_EEES9_SI_JZNS1_25segmented_radix_sort_implINS0_14default_configELb0EPKiPiPKlPlN2at6native12_GLOBAL__N_18offset_tEEE10hipError_tPvRmT1_PNSt15iterator_traitsIS12_E10value_typeET2_T3_PNS13_IS18_E10value_typeET4_jRbjT5_S1E_jjP12ihipStream_tbEUljE_ZNSN_ISO_Lb0ESQ_SR_ST_SU_SY_EESZ_S10_S11_S12_S16_S17_S18_S1B_S1C_jS1D_jS1E_S1E_jjS1G_bEUljE0_EEESZ_S10_S11_S18_S1C_S1E_T6_T7_T9_mT8_S1G_bDpT10_ENKUlT_T0_E_clISt17integral_constantIbLb0EES1U_EEDaS1P_S1Q_EUlS1P_E_NS1_11comp_targetILNS1_3genE5ELNS1_11target_archE942ELNS1_3gpuE9ELNS1_3repE0EEENS1_30default_config_static_selectorELNS0_4arch9wavefront6targetE1EEEvS12_,comdat
.Lfunc_end537:
	.size	_ZN7rocprim17ROCPRIM_400000_NS6detail17trampoline_kernelINS0_13select_configILj256ELj13ELNS0_17block_load_methodE3ELS4_3ELS4_3ELNS0_20block_scan_algorithmE0ELj4294967295EEENS1_25partition_config_selectorILNS1_17partition_subalgoE4EjNS0_10empty_typeEbEEZZNS1_14partition_implILS8_4ELb0ES6_15HIP_vector_typeIjLj2EENS0_17counting_iteratorIjlEEPS9_SG_NS0_5tupleIJPjSI_NS0_16reverse_iteratorISI_EEEEENSH_IJSG_SG_SG_EEES9_SI_JZNS1_25segmented_radix_sort_implINS0_14default_configELb0EPKiPiPKlPlN2at6native12_GLOBAL__N_18offset_tEEE10hipError_tPvRmT1_PNSt15iterator_traitsIS12_E10value_typeET2_T3_PNS13_IS18_E10value_typeET4_jRbjT5_S1E_jjP12ihipStream_tbEUljE_ZNSN_ISO_Lb0ESQ_SR_ST_SU_SY_EESZ_S10_S11_S12_S16_S17_S18_S1B_S1C_jS1D_jS1E_S1E_jjS1G_bEUljE0_EEESZ_S10_S11_S18_S1C_S1E_T6_T7_T9_mT8_S1G_bDpT10_ENKUlT_T0_E_clISt17integral_constantIbLb0EES1U_EEDaS1P_S1Q_EUlS1P_E_NS1_11comp_targetILNS1_3genE5ELNS1_11target_archE942ELNS1_3gpuE9ELNS1_3repE0EEENS1_30default_config_static_selectorELNS0_4arch9wavefront6targetE1EEEvS12_, .Lfunc_end537-_ZN7rocprim17ROCPRIM_400000_NS6detail17trampoline_kernelINS0_13select_configILj256ELj13ELNS0_17block_load_methodE3ELS4_3ELS4_3ELNS0_20block_scan_algorithmE0ELj4294967295EEENS1_25partition_config_selectorILNS1_17partition_subalgoE4EjNS0_10empty_typeEbEEZZNS1_14partition_implILS8_4ELb0ES6_15HIP_vector_typeIjLj2EENS0_17counting_iteratorIjlEEPS9_SG_NS0_5tupleIJPjSI_NS0_16reverse_iteratorISI_EEEEENSH_IJSG_SG_SG_EEES9_SI_JZNS1_25segmented_radix_sort_implINS0_14default_configELb0EPKiPiPKlPlN2at6native12_GLOBAL__N_18offset_tEEE10hipError_tPvRmT1_PNSt15iterator_traitsIS12_E10value_typeET2_T3_PNS13_IS18_E10value_typeET4_jRbjT5_S1E_jjP12ihipStream_tbEUljE_ZNSN_ISO_Lb0ESQ_SR_ST_SU_SY_EESZ_S10_S11_S12_S16_S17_S18_S1B_S1C_jS1D_jS1E_S1E_jjS1G_bEUljE0_EEESZ_S10_S11_S18_S1C_S1E_T6_T7_T9_mT8_S1G_bDpT10_ENKUlT_T0_E_clISt17integral_constantIbLb0EES1U_EEDaS1P_S1Q_EUlS1P_E_NS1_11comp_targetILNS1_3genE5ELNS1_11target_archE942ELNS1_3gpuE9ELNS1_3repE0EEENS1_30default_config_static_selectorELNS0_4arch9wavefront6targetE1EEEvS12_
                                        ; -- End function
	.section	.AMDGPU.csdata,"",@progbits
; Kernel info:
; codeLenInByte = 0
; NumSgprs: 4
; NumVgprs: 0
; NumAgprs: 0
; TotalNumVgprs: 0
; ScratchSize: 0
; MemoryBound: 0
; FloatMode: 240
; IeeeMode: 1
; LDSByteSize: 0 bytes/workgroup (compile time only)
; SGPRBlocks: 0
; VGPRBlocks: 0
; NumSGPRsForWavesPerEU: 4
; NumVGPRsForWavesPerEU: 1
; AccumOffset: 4
; Occupancy: 8
; WaveLimiterHint : 0
; COMPUTE_PGM_RSRC2:SCRATCH_EN: 0
; COMPUTE_PGM_RSRC2:USER_SGPR: 6
; COMPUTE_PGM_RSRC2:TRAP_HANDLER: 0
; COMPUTE_PGM_RSRC2:TGID_X_EN: 1
; COMPUTE_PGM_RSRC2:TGID_Y_EN: 0
; COMPUTE_PGM_RSRC2:TGID_Z_EN: 0
; COMPUTE_PGM_RSRC2:TIDIG_COMP_CNT: 0
; COMPUTE_PGM_RSRC3_GFX90A:ACCUM_OFFSET: 0
; COMPUTE_PGM_RSRC3_GFX90A:TG_SPLIT: 0
	.section	.text._ZN7rocprim17ROCPRIM_400000_NS6detail17trampoline_kernelINS0_13select_configILj256ELj13ELNS0_17block_load_methodE3ELS4_3ELS4_3ELNS0_20block_scan_algorithmE0ELj4294967295EEENS1_25partition_config_selectorILNS1_17partition_subalgoE4EjNS0_10empty_typeEbEEZZNS1_14partition_implILS8_4ELb0ES6_15HIP_vector_typeIjLj2EENS0_17counting_iteratorIjlEEPS9_SG_NS0_5tupleIJPjSI_NS0_16reverse_iteratorISI_EEEEENSH_IJSG_SG_SG_EEES9_SI_JZNS1_25segmented_radix_sort_implINS0_14default_configELb0EPKiPiPKlPlN2at6native12_GLOBAL__N_18offset_tEEE10hipError_tPvRmT1_PNSt15iterator_traitsIS12_E10value_typeET2_T3_PNS13_IS18_E10value_typeET4_jRbjT5_S1E_jjP12ihipStream_tbEUljE_ZNSN_ISO_Lb0ESQ_SR_ST_SU_SY_EESZ_S10_S11_S12_S16_S17_S18_S1B_S1C_jS1D_jS1E_S1E_jjS1G_bEUljE0_EEESZ_S10_S11_S18_S1C_S1E_T6_T7_T9_mT8_S1G_bDpT10_ENKUlT_T0_E_clISt17integral_constantIbLb0EES1U_EEDaS1P_S1Q_EUlS1P_E_NS1_11comp_targetILNS1_3genE4ELNS1_11target_archE910ELNS1_3gpuE8ELNS1_3repE0EEENS1_30default_config_static_selectorELNS0_4arch9wavefront6targetE1EEEvS12_,"axG",@progbits,_ZN7rocprim17ROCPRIM_400000_NS6detail17trampoline_kernelINS0_13select_configILj256ELj13ELNS0_17block_load_methodE3ELS4_3ELS4_3ELNS0_20block_scan_algorithmE0ELj4294967295EEENS1_25partition_config_selectorILNS1_17partition_subalgoE4EjNS0_10empty_typeEbEEZZNS1_14partition_implILS8_4ELb0ES6_15HIP_vector_typeIjLj2EENS0_17counting_iteratorIjlEEPS9_SG_NS0_5tupleIJPjSI_NS0_16reverse_iteratorISI_EEEEENSH_IJSG_SG_SG_EEES9_SI_JZNS1_25segmented_radix_sort_implINS0_14default_configELb0EPKiPiPKlPlN2at6native12_GLOBAL__N_18offset_tEEE10hipError_tPvRmT1_PNSt15iterator_traitsIS12_E10value_typeET2_T3_PNS13_IS18_E10value_typeET4_jRbjT5_S1E_jjP12ihipStream_tbEUljE_ZNSN_ISO_Lb0ESQ_SR_ST_SU_SY_EESZ_S10_S11_S12_S16_S17_S18_S1B_S1C_jS1D_jS1E_S1E_jjS1G_bEUljE0_EEESZ_S10_S11_S18_S1C_S1E_T6_T7_T9_mT8_S1G_bDpT10_ENKUlT_T0_E_clISt17integral_constantIbLb0EES1U_EEDaS1P_S1Q_EUlS1P_E_NS1_11comp_targetILNS1_3genE4ELNS1_11target_archE910ELNS1_3gpuE8ELNS1_3repE0EEENS1_30default_config_static_selectorELNS0_4arch9wavefront6targetE1EEEvS12_,comdat
	.globl	_ZN7rocprim17ROCPRIM_400000_NS6detail17trampoline_kernelINS0_13select_configILj256ELj13ELNS0_17block_load_methodE3ELS4_3ELS4_3ELNS0_20block_scan_algorithmE0ELj4294967295EEENS1_25partition_config_selectorILNS1_17partition_subalgoE4EjNS0_10empty_typeEbEEZZNS1_14partition_implILS8_4ELb0ES6_15HIP_vector_typeIjLj2EENS0_17counting_iteratorIjlEEPS9_SG_NS0_5tupleIJPjSI_NS0_16reverse_iteratorISI_EEEEENSH_IJSG_SG_SG_EEES9_SI_JZNS1_25segmented_radix_sort_implINS0_14default_configELb0EPKiPiPKlPlN2at6native12_GLOBAL__N_18offset_tEEE10hipError_tPvRmT1_PNSt15iterator_traitsIS12_E10value_typeET2_T3_PNS13_IS18_E10value_typeET4_jRbjT5_S1E_jjP12ihipStream_tbEUljE_ZNSN_ISO_Lb0ESQ_SR_ST_SU_SY_EESZ_S10_S11_S12_S16_S17_S18_S1B_S1C_jS1D_jS1E_S1E_jjS1G_bEUljE0_EEESZ_S10_S11_S18_S1C_S1E_T6_T7_T9_mT8_S1G_bDpT10_ENKUlT_T0_E_clISt17integral_constantIbLb0EES1U_EEDaS1P_S1Q_EUlS1P_E_NS1_11comp_targetILNS1_3genE4ELNS1_11target_archE910ELNS1_3gpuE8ELNS1_3repE0EEENS1_30default_config_static_selectorELNS0_4arch9wavefront6targetE1EEEvS12_ ; -- Begin function _ZN7rocprim17ROCPRIM_400000_NS6detail17trampoline_kernelINS0_13select_configILj256ELj13ELNS0_17block_load_methodE3ELS4_3ELS4_3ELNS0_20block_scan_algorithmE0ELj4294967295EEENS1_25partition_config_selectorILNS1_17partition_subalgoE4EjNS0_10empty_typeEbEEZZNS1_14partition_implILS8_4ELb0ES6_15HIP_vector_typeIjLj2EENS0_17counting_iteratorIjlEEPS9_SG_NS0_5tupleIJPjSI_NS0_16reverse_iteratorISI_EEEEENSH_IJSG_SG_SG_EEES9_SI_JZNS1_25segmented_radix_sort_implINS0_14default_configELb0EPKiPiPKlPlN2at6native12_GLOBAL__N_18offset_tEEE10hipError_tPvRmT1_PNSt15iterator_traitsIS12_E10value_typeET2_T3_PNS13_IS18_E10value_typeET4_jRbjT5_S1E_jjP12ihipStream_tbEUljE_ZNSN_ISO_Lb0ESQ_SR_ST_SU_SY_EESZ_S10_S11_S12_S16_S17_S18_S1B_S1C_jS1D_jS1E_S1E_jjS1G_bEUljE0_EEESZ_S10_S11_S18_S1C_S1E_T6_T7_T9_mT8_S1G_bDpT10_ENKUlT_T0_E_clISt17integral_constantIbLb0EES1U_EEDaS1P_S1Q_EUlS1P_E_NS1_11comp_targetILNS1_3genE4ELNS1_11target_archE910ELNS1_3gpuE8ELNS1_3repE0EEENS1_30default_config_static_selectorELNS0_4arch9wavefront6targetE1EEEvS12_
	.p2align	8
	.type	_ZN7rocprim17ROCPRIM_400000_NS6detail17trampoline_kernelINS0_13select_configILj256ELj13ELNS0_17block_load_methodE3ELS4_3ELS4_3ELNS0_20block_scan_algorithmE0ELj4294967295EEENS1_25partition_config_selectorILNS1_17partition_subalgoE4EjNS0_10empty_typeEbEEZZNS1_14partition_implILS8_4ELb0ES6_15HIP_vector_typeIjLj2EENS0_17counting_iteratorIjlEEPS9_SG_NS0_5tupleIJPjSI_NS0_16reverse_iteratorISI_EEEEENSH_IJSG_SG_SG_EEES9_SI_JZNS1_25segmented_radix_sort_implINS0_14default_configELb0EPKiPiPKlPlN2at6native12_GLOBAL__N_18offset_tEEE10hipError_tPvRmT1_PNSt15iterator_traitsIS12_E10value_typeET2_T3_PNS13_IS18_E10value_typeET4_jRbjT5_S1E_jjP12ihipStream_tbEUljE_ZNSN_ISO_Lb0ESQ_SR_ST_SU_SY_EESZ_S10_S11_S12_S16_S17_S18_S1B_S1C_jS1D_jS1E_S1E_jjS1G_bEUljE0_EEESZ_S10_S11_S18_S1C_S1E_T6_T7_T9_mT8_S1G_bDpT10_ENKUlT_T0_E_clISt17integral_constantIbLb0EES1U_EEDaS1P_S1Q_EUlS1P_E_NS1_11comp_targetILNS1_3genE4ELNS1_11target_archE910ELNS1_3gpuE8ELNS1_3repE0EEENS1_30default_config_static_selectorELNS0_4arch9wavefront6targetE1EEEvS12_,@function
_ZN7rocprim17ROCPRIM_400000_NS6detail17trampoline_kernelINS0_13select_configILj256ELj13ELNS0_17block_load_methodE3ELS4_3ELS4_3ELNS0_20block_scan_algorithmE0ELj4294967295EEENS1_25partition_config_selectorILNS1_17partition_subalgoE4EjNS0_10empty_typeEbEEZZNS1_14partition_implILS8_4ELb0ES6_15HIP_vector_typeIjLj2EENS0_17counting_iteratorIjlEEPS9_SG_NS0_5tupleIJPjSI_NS0_16reverse_iteratorISI_EEEEENSH_IJSG_SG_SG_EEES9_SI_JZNS1_25segmented_radix_sort_implINS0_14default_configELb0EPKiPiPKlPlN2at6native12_GLOBAL__N_18offset_tEEE10hipError_tPvRmT1_PNSt15iterator_traitsIS12_E10value_typeET2_T3_PNS13_IS18_E10value_typeET4_jRbjT5_S1E_jjP12ihipStream_tbEUljE_ZNSN_ISO_Lb0ESQ_SR_ST_SU_SY_EESZ_S10_S11_S12_S16_S17_S18_S1B_S1C_jS1D_jS1E_S1E_jjS1G_bEUljE0_EEESZ_S10_S11_S18_S1C_S1E_T6_T7_T9_mT8_S1G_bDpT10_ENKUlT_T0_E_clISt17integral_constantIbLb0EES1U_EEDaS1P_S1Q_EUlS1P_E_NS1_11comp_targetILNS1_3genE4ELNS1_11target_archE910ELNS1_3gpuE8ELNS1_3repE0EEENS1_30default_config_static_selectorELNS0_4arch9wavefront6targetE1EEEvS12_: ; @_ZN7rocprim17ROCPRIM_400000_NS6detail17trampoline_kernelINS0_13select_configILj256ELj13ELNS0_17block_load_methodE3ELS4_3ELS4_3ELNS0_20block_scan_algorithmE0ELj4294967295EEENS1_25partition_config_selectorILNS1_17partition_subalgoE4EjNS0_10empty_typeEbEEZZNS1_14partition_implILS8_4ELb0ES6_15HIP_vector_typeIjLj2EENS0_17counting_iteratorIjlEEPS9_SG_NS0_5tupleIJPjSI_NS0_16reverse_iteratorISI_EEEEENSH_IJSG_SG_SG_EEES9_SI_JZNS1_25segmented_radix_sort_implINS0_14default_configELb0EPKiPiPKlPlN2at6native12_GLOBAL__N_18offset_tEEE10hipError_tPvRmT1_PNSt15iterator_traitsIS12_E10value_typeET2_T3_PNS13_IS18_E10value_typeET4_jRbjT5_S1E_jjP12ihipStream_tbEUljE_ZNSN_ISO_Lb0ESQ_SR_ST_SU_SY_EESZ_S10_S11_S12_S16_S17_S18_S1B_S1C_jS1D_jS1E_S1E_jjS1G_bEUljE0_EEESZ_S10_S11_S18_S1C_S1E_T6_T7_T9_mT8_S1G_bDpT10_ENKUlT_T0_E_clISt17integral_constantIbLb0EES1U_EEDaS1P_S1Q_EUlS1P_E_NS1_11comp_targetILNS1_3genE4ELNS1_11target_archE910ELNS1_3gpuE8ELNS1_3repE0EEENS1_30default_config_static_selectorELNS0_4arch9wavefront6targetE1EEEvS12_
; %bb.0:
	s_load_dwordx2 s[0:1], s[4:5], 0x68
	s_load_dword s7, s[4:5], 0x8
	s_load_dwordx2 s[56:57], s[4:5], 0x10
	s_load_dwordx4 s[44:47], s[4:5], 0x58
	s_mul_i32 s33, s6, 0xd00
	s_waitcnt lgkmcnt(0)
	v_mov_b32_e32 v3, s1
	v_mov_b32_e32 v2, s0
	s_load_dword s1, s[4:5], 0x80
	s_load_dwordx2 s[60:61], s[4:5], 0xa8
	s_load_dwordx8 s[36:43], s[4:5], 0x88
	s_load_dwordx4 s[48:51], s[46:47], 0x0
	s_waitcnt lgkmcnt(0)
	s_add_i32 s8, s1, -1
	s_mulk_i32 s1, 0xd00
	s_add_u32 s2, s56, s1
	s_addc_u32 s3, s57, 0
	s_cmp_eq_u32 s6, s8
	s_cselect_b64 s[30:31], -1, 0
	s_cmp_lg_u32 s6, s8
	v_cmp_lt_u64_e32 vcc, s[2:3], v[2:3]
	s_cselect_b64 s[2:3], -1, 0
	s_add_i32 s7, s7, s33
	s_or_b64 s[2:3], s[2:3], vcc
	s_add_i32 s7, s7, s56
	v_add_u32_e32 v1, s7, v0
	s_mov_b64 s[8:9], -1
	s_and_b64 vcc, exec, s[2:3]
	s_cbranch_vccz .LBB538_2
; %bb.1:
	v_add_u32_e32 v2, 0x100, v1
	v_lshlrev_b32_e32 v14, 2, v0
	v_add_u32_e32 v3, 0x200, v1
	v_add_u32_e32 v4, 0x300, v1
	;; [unrolled: 1-line block ×11, first 2 shown]
	ds_write2st64_b32 v14, v1, v2 offset1:4
	ds_write2st64_b32 v14, v3, v4 offset0:8 offset1:12
	ds_write2st64_b32 v14, v5, v6 offset0:16 offset1:20
	;; [unrolled: 1-line block ×5, first 2 shown]
	ds_write_b32 v14, v13 offset:12288
	s_waitcnt lgkmcnt(0)
	s_barrier
	s_mov_b64 s[8:9], 0
.LBB538_2:
	s_andn2_b64 vcc, exec, s[8:9]
	s_add_i32 s1, s1, s56
	s_cbranch_vccnz .LBB538_4
; %bb.3:
	v_add_u32_e32 v2, 0x100, v1
	v_lshlrev_b32_e32 v14, 2, v0
	v_add_u32_e32 v3, 0x200, v1
	v_add_u32_e32 v4, 0x300, v1
	;; [unrolled: 1-line block ×11, first 2 shown]
	ds_write2st64_b32 v14, v1, v2 offset1:4
	ds_write2st64_b32 v14, v3, v4 offset0:8 offset1:12
	ds_write2st64_b32 v14, v5, v6 offset0:16 offset1:20
	;; [unrolled: 1-line block ×5, first 2 shown]
	ds_write_b32 v14, v13 offset:12288
	s_waitcnt lgkmcnt(0)
	s_barrier
.LBB538_4:
	v_mul_u32_u24_e32 v31, 13, v0
	v_lshlrev_b32_e32 v1, 2, v31
	s_load_dwordx4 s[52:55], s[4:5], 0x28
	s_load_dwordx2 s[34:35], s[4:5], 0x38
	s_waitcnt lgkmcnt(0)
	ds_read2_b32 v[18:19], v1 offset1:1
	ds_read2_b32 v[16:17], v1 offset0:2 offset1:3
	ds_read2_b32 v[14:15], v1 offset0:4 offset1:5
	;; [unrolled: 1-line block ×5, first 2 shown]
	ds_read_b32 v30, v1 offset:48
	v_cndmask_b32_e64 v1, 0, 1, s[2:3]
	s_sub_i32 s7, s0, s1
	v_cmp_ne_u32_e64 s[0:1], 1, v1
	s_andn2_b64 vcc, exec, s[2:3]
	s_waitcnt lgkmcnt(0)
	s_barrier
	s_cbranch_vccnz .LBB538_32
; %bb.5:
	v_add_u32_e32 v1, s37, v18
	v_add_u32_e32 v2, s39, v18
	v_mul_lo_u32 v1, v1, s36
	v_mul_lo_u32 v2, v2, s38
	v_sub_u32_e32 v1, v1, v2
	v_cmp_lt_u32_e32 vcc, s40, v1
	v_cmp_ge_u32_e64 s[2:3], s40, v1
	s_mov_b64 s[64:65], 0
	s_mov_b64 s[62:63], 0
	s_and_saveexec_b64 s[8:9], s[2:3]
; %bb.6:
	v_add_u32_e32 v1, s42, v18
	v_add_u32_e32 v2, s60, v18
	v_mul_lo_u32 v1, v1, s41
	v_mul_lo_u32 v2, v2, s43
	v_sub_u32_e32 v1, v1, v2
	v_cmp_lt_u32_e64 s[2:3], s61, v1
	s_and_b64 s[62:63], s[2:3], exec
; %bb.7:
	s_or_b64 exec, exec, s[8:9]
	v_add_u32_e32 v1, s37, v19
	v_add_u32_e32 v2, s39, v19
	v_mul_lo_u32 v1, v1, s36
	v_mul_lo_u32 v2, v2, s38
	v_sub_u32_e32 v1, v1, v2
	v_cmp_lt_u32_e64 s[2:3], s40, v1
	v_cmp_ge_u32_e64 s[8:9], s40, v1
	s_and_saveexec_b64 s[10:11], s[8:9]
; %bb.8:
	v_add_u32_e32 v1, s42, v19
	v_add_u32_e32 v2, s60, v19
	v_mul_lo_u32 v1, v1, s41
	v_mul_lo_u32 v2, v2, s43
	v_sub_u32_e32 v1, v1, v2
	v_cmp_lt_u32_e64 s[8:9], s61, v1
	s_and_b64 s[64:65], s[8:9], exec
; %bb.9:
	s_or_b64 exec, exec, s[10:11]
	v_add_u32_e32 v1, s37, v16
	v_add_u32_e32 v2, s39, v16
	v_mul_lo_u32 v1, v1, s36
	v_mul_lo_u32 v2, v2, s38
	v_sub_u32_e32 v1, v1, v2
	v_cmp_lt_u32_e64 s[26:27], s40, v1
	v_cmp_ge_u32_e64 s[8:9], s40, v1
	s_mov_b64 s[68:69], 0
	s_mov_b64 s[66:67], 0
	s_and_saveexec_b64 s[10:11], s[8:9]
; %bb.10:
	v_add_u32_e32 v1, s42, v16
	v_add_u32_e32 v2, s60, v16
	v_mul_lo_u32 v1, v1, s41
	v_mul_lo_u32 v2, v2, s43
	v_sub_u32_e32 v1, v1, v2
	v_cmp_lt_u32_e64 s[8:9], s61, v1
	s_and_b64 s[66:67], s[8:9], exec
; %bb.11:
	s_or_b64 exec, exec, s[10:11]
	v_add_u32_e32 v1, s37, v17
	v_add_u32_e32 v2, s39, v17
	v_mul_lo_u32 v1, v1, s36
	v_mul_lo_u32 v2, v2, s38
	v_sub_u32_e32 v1, v1, v2
	v_cmp_lt_u32_e64 s[8:9], s40, v1
	v_cmp_ge_u32_e64 s[10:11], s40, v1
	s_and_saveexec_b64 s[12:13], s[10:11]
; %bb.12:
	v_add_u32_e32 v1, s42, v17
	v_add_u32_e32 v2, s60, v17
	v_mul_lo_u32 v1, v1, s41
	v_mul_lo_u32 v2, v2, s43
	v_sub_u32_e32 v1, v1, v2
	v_cmp_lt_u32_e64 s[10:11], s61, v1
	s_and_b64 s[68:69], s[10:11], exec
; %bb.13:
	s_or_b64 exec, exec, s[12:13]
	v_add_u32_e32 v1, s37, v14
	v_add_u32_e32 v2, s39, v14
	v_mul_lo_u32 v1, v1, s36
	v_mul_lo_u32 v2, v2, s38
	v_sub_u32_e32 v1, v1, v2
	v_cmp_lt_u32_e64 s[10:11], s40, v1
	;; [unrolled: 38-line block ×5, first 2 shown]
	v_cmp_ge_u32_e64 s[24:25], s40, v1
	s_mov_b64 s[84:85], 0
	s_mov_b64 s[86:87], 0
	s_and_saveexec_b64 s[28:29], s[24:25]
; %bb.26:
	v_add_u32_e32 v1, s42, v8
	v_add_u32_e32 v2, s60, v8
	v_mul_lo_u32 v1, v1, s41
	v_mul_lo_u32 v2, v2, s43
	v_sub_u32_e32 v1, v1, v2
	v_cmp_lt_u32_e64 s[24:25], s61, v1
	s_and_b64 s[86:87], s[24:25], exec
; %bb.27:
	s_or_b64 exec, exec, s[28:29]
	v_add_u32_e32 v1, s37, v9
	v_add_u32_e32 v2, s39, v9
	v_mul_lo_u32 v1, v1, s36
	v_mul_lo_u32 v2, v2, s38
	v_sub_u32_e32 v1, v1, v2
	v_cmp_lt_u32_e64 s[24:25], s40, v1
	v_cmp_ge_u32_e64 s[28:29], s40, v1
	s_and_saveexec_b64 s[46:47], s[28:29]
; %bb.28:
	v_add_u32_e32 v1, s42, v9
	v_add_u32_e32 v2, s60, v9
	v_mul_lo_u32 v1, v1, s41
	v_mul_lo_u32 v2, v2, s43
	v_sub_u32_e32 v1, v1, v2
	v_cmp_lt_u32_e64 s[28:29], s61, v1
	s_and_b64 s[84:85], s[28:29], exec
; %bb.29:
	s_or_b64 exec, exec, s[46:47]
	v_add_u32_e32 v1, s37, v30
	v_add_u32_e32 v2, s39, v30
	v_mul_lo_u32 v1, v1, s36
	v_mul_lo_u32 v2, v2, s38
	v_sub_u32_e32 v1, v1, v2
	v_cmp_ge_u32_e64 s[28:29], s40, v1
	s_mov_b64 s[46:47], -1
	s_mov_b64 s[78:79], 0
	s_mov_b64 s[58:59], 0
	s_and_saveexec_b64 s[88:89], s[28:29]
; %bb.30:
	v_add_u32_e32 v1, s42, v30
	v_add_u32_e32 v2, s60, v30
	v_mul_lo_u32 v1, v1, s41
	v_mul_lo_u32 v2, v2, s43
	v_sub_u32_e32 v1, v1, v2
	v_cmp_lt_u32_e64 s[28:29], s61, v1
	s_and_b64 s[58:59], s[28:29], exec
	s_xor_b64 s[46:47], exec, -1
; %bb.31:
	s_or_b64 exec, exec, s[88:89]
	v_cndmask_b32_e64 v52, 0, 1, s[86:87]
	v_cndmask_b32_e64 v55, 0, 1, s[24:25]
	;; [unrolled: 1-line block ×22, first 2 shown]
	v_cndmask_b32_e64 v32, 0, 1, vcc
	v_cndmask_b32_e64 v54, 0, 1, s[84:85]
	s_load_dwordx2 s[12:13], s[4:5], 0x78
	s_add_i32 s18, s7, 0xd00
	s_and_b64 vcc, exec, s[78:79]
	s_cbranch_vccnz .LBB538_33
	s_branch .LBB538_86
.LBB538_32:
                                        ; implicit-def: $sgpr46_sgpr47
                                        ; implicit-def: $sgpr58_sgpr59
                                        ; implicit-def: $vgpr54
                                        ; implicit-def: $vgpr52
                                        ; implicit-def: $vgpr50
                                        ; implicit-def: $vgpr48
                                        ; implicit-def: $vgpr46
                                        ; implicit-def: $vgpr44
                                        ; implicit-def: $vgpr42
                                        ; implicit-def: $vgpr40
                                        ; implicit-def: $vgpr38
                                        ; implicit-def: $vgpr32
                                        ; implicit-def: $vgpr34
                                        ; implicit-def: $vgpr36
                                        ; implicit-def: $vgpr39
                                        ; implicit-def: $vgpr41
                                        ; implicit-def: $vgpr43
                                        ; implicit-def: $vgpr45
                                        ; implicit-def: $vgpr47
                                        ; implicit-def: $vgpr49
                                        ; implicit-def: $vgpr51
                                        ; implicit-def: $vgpr53
                                        ; implicit-def: $vgpr55
                                        ; implicit-def: $vgpr33
                                        ; implicit-def: $vgpr35
                                        ; implicit-def: $vgpr37
	s_load_dwordx2 s[12:13], s[4:5], 0x78
	s_add_i32 s18, s7, 0xd00
	s_cbranch_execz .LBB538_86
.LBB538_33:
	v_cmp_gt_u32_e32 vcc, s18, v31
	v_mov_b32_e32 v33, 0
	v_mov_b32_e32 v32, 0
	s_and_saveexec_b64 s[4:5], vcc
	s_cbranch_execz .LBB538_37
; %bb.34:
	v_add_u32_e32 v1, s37, v18
	v_add_u32_e32 v2, s39, v18
	v_mul_lo_u32 v1, v1, s36
	v_mul_lo_u32 v2, v2, s38
	v_sub_u32_e32 v1, v1, v2
	v_cmp_lt_u32_e32 vcc, s40, v1
	v_cmp_ge_u32_e64 s[2:3], s40, v1
	s_mov_b64 s[10:11], 0
	s_and_saveexec_b64 s[8:9], s[2:3]
; %bb.35:
	v_add_u32_e32 v1, s42, v18
	v_add_u32_e32 v2, s60, v18
	v_mul_lo_u32 v1, v1, s41
	v_mul_lo_u32 v2, v2, s43
	v_sub_u32_e32 v1, v1, v2
	v_cmp_lt_u32_e64 s[2:3], s61, v1
	s_and_b64 s[10:11], s[2:3], exec
; %bb.36:
	s_or_b64 exec, exec, s[8:9]
	v_cndmask_b32_e64 v32, 0, 1, vcc
	v_cndmask_b32_e64 v33, 0, 1, s[10:11]
.LBB538_37:
	s_or_b64 exec, exec, s[4:5]
	v_add_u32_e32 v1, 1, v31
	v_cmp_gt_u32_e32 vcc, s18, v1
	v_mov_b32_e32 v34, 0
	v_mov_b32_e32 v35, 0
	s_and_saveexec_b64 s[4:5], vcc
	s_cbranch_execz .LBB538_41
; %bb.38:
	v_add_u32_e32 v1, s37, v19
	v_add_u32_e32 v2, s39, v19
	v_mul_lo_u32 v1, v1, s36
	v_mul_lo_u32 v2, v2, s38
	v_sub_u32_e32 v1, v1, v2
	v_cmp_lt_u32_e32 vcc, s40, v1
	v_cmp_ge_u32_e64 s[2:3], s40, v1
	s_mov_b64 s[10:11], 0
	s_and_saveexec_b64 s[8:9], s[2:3]
; %bb.39:
	v_add_u32_e32 v1, s42, v19
	v_add_u32_e32 v2, s60, v19
	v_mul_lo_u32 v1, v1, s41
	v_mul_lo_u32 v2, v2, s43
	v_sub_u32_e32 v1, v1, v2
	v_cmp_lt_u32_e64 s[2:3], s61, v1
	s_and_b64 s[10:11], s[2:3], exec
; %bb.40:
	s_or_b64 exec, exec, s[8:9]
	v_cndmask_b32_e64 v34, 0, 1, vcc
	v_cndmask_b32_e64 v35, 0, 1, s[10:11]
.LBB538_41:
	s_or_b64 exec, exec, s[4:5]
	v_add_u32_e32 v1, 2, v31
	v_cmp_gt_u32_e32 vcc, s18, v1
	v_mov_b32_e32 v36, 0
	v_mov_b32_e32 v37, 0
	s_and_saveexec_b64 s[4:5], vcc
	s_cbranch_execz .LBB538_45
; %bb.42:
	v_add_u32_e32 v1, s37, v16
	v_add_u32_e32 v2, s39, v16
	v_mul_lo_u32 v1, v1, s36
	v_mul_lo_u32 v2, v2, s38
	v_sub_u32_e32 v1, v1, v2
	v_cmp_lt_u32_e32 vcc, s40, v1
	v_cmp_ge_u32_e64 s[2:3], s40, v1
	s_mov_b64 s[10:11], 0
	s_and_saveexec_b64 s[8:9], s[2:3]
; %bb.43:
	v_add_u32_e32 v1, s42, v16
	v_add_u32_e32 v2, s60, v16
	v_mul_lo_u32 v1, v1, s41
	v_mul_lo_u32 v2, v2, s43
	v_sub_u32_e32 v1, v1, v2
	v_cmp_lt_u32_e64 s[2:3], s61, v1
	s_and_b64 s[10:11], s[2:3], exec
; %bb.44:
	s_or_b64 exec, exec, s[8:9]
	v_cndmask_b32_e64 v36, 0, 1, vcc
	v_cndmask_b32_e64 v37, 0, 1, s[10:11]
.LBB538_45:
	s_or_b64 exec, exec, s[4:5]
	v_add_u32_e32 v1, 3, v31
	v_cmp_gt_u32_e32 vcc, s18, v1
	v_mov_b32_e32 v38, 0
	v_mov_b32_e32 v39, 0
	s_and_saveexec_b64 s[4:5], vcc
	s_cbranch_execz .LBB538_49
; %bb.46:
	v_add_u32_e32 v1, s37, v17
	v_add_u32_e32 v2, s39, v17
	v_mul_lo_u32 v1, v1, s36
	v_mul_lo_u32 v2, v2, s38
	v_sub_u32_e32 v1, v1, v2
	v_cmp_lt_u32_e32 vcc, s40, v1
	v_cmp_ge_u32_e64 s[2:3], s40, v1
	s_mov_b64 s[10:11], 0
	s_and_saveexec_b64 s[8:9], s[2:3]
; %bb.47:
	v_add_u32_e32 v1, s42, v17
	v_add_u32_e32 v2, s60, v17
	v_mul_lo_u32 v1, v1, s41
	v_mul_lo_u32 v2, v2, s43
	v_sub_u32_e32 v1, v1, v2
	v_cmp_lt_u32_e64 s[2:3], s61, v1
	s_and_b64 s[10:11], s[2:3], exec
; %bb.48:
	s_or_b64 exec, exec, s[8:9]
	v_cndmask_b32_e64 v39, 0, 1, vcc
	v_cndmask_b32_e64 v38, 0, 1, s[10:11]
.LBB538_49:
	s_or_b64 exec, exec, s[4:5]
	v_add_u32_e32 v1, 4, v31
	v_cmp_gt_u32_e32 vcc, s18, v1
	v_mov_b32_e32 v40, 0
	v_mov_b32_e32 v41, 0
	s_and_saveexec_b64 s[4:5], vcc
	s_cbranch_execz .LBB538_53
; %bb.50:
	v_add_u32_e32 v1, s37, v14
	v_add_u32_e32 v2, s39, v14
	v_mul_lo_u32 v1, v1, s36
	v_mul_lo_u32 v2, v2, s38
	v_sub_u32_e32 v1, v1, v2
	v_cmp_lt_u32_e32 vcc, s40, v1
	v_cmp_ge_u32_e64 s[2:3], s40, v1
	s_mov_b64 s[10:11], 0
	s_and_saveexec_b64 s[8:9], s[2:3]
; %bb.51:
	v_add_u32_e32 v1, s42, v14
	v_add_u32_e32 v2, s60, v14
	v_mul_lo_u32 v1, v1, s41
	v_mul_lo_u32 v2, v2, s43
	v_sub_u32_e32 v1, v1, v2
	v_cmp_lt_u32_e64 s[2:3], s61, v1
	s_and_b64 s[10:11], s[2:3], exec
; %bb.52:
	s_or_b64 exec, exec, s[8:9]
	v_cndmask_b32_e64 v41, 0, 1, vcc
	v_cndmask_b32_e64 v40, 0, 1, s[10:11]
.LBB538_53:
	s_or_b64 exec, exec, s[4:5]
	v_add_u32_e32 v1, 5, v31
	v_cmp_gt_u32_e32 vcc, s18, v1
	v_mov_b32_e32 v42, 0
	v_mov_b32_e32 v43, 0
	s_and_saveexec_b64 s[4:5], vcc
	s_cbranch_execz .LBB538_57
; %bb.54:
	v_add_u32_e32 v1, s37, v15
	v_add_u32_e32 v2, s39, v15
	v_mul_lo_u32 v1, v1, s36
	v_mul_lo_u32 v2, v2, s38
	v_sub_u32_e32 v1, v1, v2
	v_cmp_lt_u32_e32 vcc, s40, v1
	v_cmp_ge_u32_e64 s[2:3], s40, v1
	s_mov_b64 s[10:11], 0
	s_and_saveexec_b64 s[8:9], s[2:3]
; %bb.55:
	v_add_u32_e32 v1, s42, v15
	v_add_u32_e32 v2, s60, v15
	v_mul_lo_u32 v1, v1, s41
	v_mul_lo_u32 v2, v2, s43
	v_sub_u32_e32 v1, v1, v2
	v_cmp_lt_u32_e64 s[2:3], s61, v1
	s_and_b64 s[10:11], s[2:3], exec
; %bb.56:
	s_or_b64 exec, exec, s[8:9]
	v_cndmask_b32_e64 v43, 0, 1, vcc
	v_cndmask_b32_e64 v42, 0, 1, s[10:11]
.LBB538_57:
	s_or_b64 exec, exec, s[4:5]
	v_add_u32_e32 v1, 6, v31
	v_cmp_gt_u32_e32 vcc, s18, v1
	v_mov_b32_e32 v44, 0
	v_mov_b32_e32 v45, 0
	s_and_saveexec_b64 s[4:5], vcc
	s_cbranch_execz .LBB538_61
; %bb.58:
	v_add_u32_e32 v1, s37, v12
	v_add_u32_e32 v2, s39, v12
	v_mul_lo_u32 v1, v1, s36
	v_mul_lo_u32 v2, v2, s38
	v_sub_u32_e32 v1, v1, v2
	v_cmp_lt_u32_e32 vcc, s40, v1
	v_cmp_ge_u32_e64 s[2:3], s40, v1
	s_mov_b64 s[10:11], 0
	s_and_saveexec_b64 s[8:9], s[2:3]
; %bb.59:
	v_add_u32_e32 v1, s42, v12
	v_add_u32_e32 v2, s60, v12
	v_mul_lo_u32 v1, v1, s41
	v_mul_lo_u32 v2, v2, s43
	v_sub_u32_e32 v1, v1, v2
	v_cmp_lt_u32_e64 s[2:3], s61, v1
	s_and_b64 s[10:11], s[2:3], exec
; %bb.60:
	s_or_b64 exec, exec, s[8:9]
	v_cndmask_b32_e64 v45, 0, 1, vcc
	v_cndmask_b32_e64 v44, 0, 1, s[10:11]
.LBB538_61:
	s_or_b64 exec, exec, s[4:5]
	v_add_u32_e32 v1, 7, v31
	v_cmp_gt_u32_e32 vcc, s18, v1
	v_mov_b32_e32 v46, 0
	v_mov_b32_e32 v47, 0
	s_and_saveexec_b64 s[4:5], vcc
	s_cbranch_execz .LBB538_65
; %bb.62:
	v_add_u32_e32 v1, s37, v13
	v_add_u32_e32 v2, s39, v13
	v_mul_lo_u32 v1, v1, s36
	v_mul_lo_u32 v2, v2, s38
	v_sub_u32_e32 v1, v1, v2
	v_cmp_lt_u32_e32 vcc, s40, v1
	v_cmp_ge_u32_e64 s[2:3], s40, v1
	s_mov_b64 s[10:11], 0
	s_and_saveexec_b64 s[8:9], s[2:3]
; %bb.63:
	v_add_u32_e32 v1, s42, v13
	v_add_u32_e32 v2, s60, v13
	v_mul_lo_u32 v1, v1, s41
	v_mul_lo_u32 v2, v2, s43
	v_sub_u32_e32 v1, v1, v2
	v_cmp_lt_u32_e64 s[2:3], s61, v1
	s_and_b64 s[10:11], s[2:3], exec
; %bb.64:
	s_or_b64 exec, exec, s[8:9]
	v_cndmask_b32_e64 v47, 0, 1, vcc
	v_cndmask_b32_e64 v46, 0, 1, s[10:11]
.LBB538_65:
	s_or_b64 exec, exec, s[4:5]
	v_add_u32_e32 v1, 8, v31
	v_cmp_gt_u32_e32 vcc, s18, v1
	v_mov_b32_e32 v48, 0
	v_mov_b32_e32 v49, 0
	s_and_saveexec_b64 s[4:5], vcc
	s_cbranch_execz .LBB538_69
; %bb.66:
	v_add_u32_e32 v1, s37, v10
	v_add_u32_e32 v2, s39, v10
	v_mul_lo_u32 v1, v1, s36
	v_mul_lo_u32 v2, v2, s38
	v_sub_u32_e32 v1, v1, v2
	v_cmp_lt_u32_e32 vcc, s40, v1
	v_cmp_ge_u32_e64 s[2:3], s40, v1
	s_mov_b64 s[10:11], 0
	s_and_saveexec_b64 s[8:9], s[2:3]
; %bb.67:
	v_add_u32_e32 v1, s42, v10
	v_add_u32_e32 v2, s60, v10
	v_mul_lo_u32 v1, v1, s41
	v_mul_lo_u32 v2, v2, s43
	v_sub_u32_e32 v1, v1, v2
	v_cmp_lt_u32_e64 s[2:3], s61, v1
	s_and_b64 s[10:11], s[2:3], exec
; %bb.68:
	s_or_b64 exec, exec, s[8:9]
	v_cndmask_b32_e64 v49, 0, 1, vcc
	v_cndmask_b32_e64 v48, 0, 1, s[10:11]
.LBB538_69:
	s_or_b64 exec, exec, s[4:5]
	v_add_u32_e32 v1, 9, v31
	v_cmp_gt_u32_e32 vcc, s18, v1
	v_mov_b32_e32 v50, 0
	v_mov_b32_e32 v51, 0
	s_and_saveexec_b64 s[4:5], vcc
	s_cbranch_execz .LBB538_73
; %bb.70:
	v_add_u32_e32 v1, s37, v11
	v_add_u32_e32 v2, s39, v11
	v_mul_lo_u32 v1, v1, s36
	v_mul_lo_u32 v2, v2, s38
	v_sub_u32_e32 v1, v1, v2
	v_cmp_lt_u32_e32 vcc, s40, v1
	v_cmp_ge_u32_e64 s[2:3], s40, v1
	s_mov_b64 s[10:11], 0
	s_and_saveexec_b64 s[8:9], s[2:3]
; %bb.71:
	v_add_u32_e32 v1, s42, v11
	v_add_u32_e32 v2, s60, v11
	v_mul_lo_u32 v1, v1, s41
	v_mul_lo_u32 v2, v2, s43
	v_sub_u32_e32 v1, v1, v2
	v_cmp_lt_u32_e64 s[2:3], s61, v1
	s_and_b64 s[10:11], s[2:3], exec
; %bb.72:
	s_or_b64 exec, exec, s[8:9]
	v_cndmask_b32_e64 v51, 0, 1, vcc
	v_cndmask_b32_e64 v50, 0, 1, s[10:11]
.LBB538_73:
	s_or_b64 exec, exec, s[4:5]
	v_add_u32_e32 v1, 10, v31
	v_cmp_gt_u32_e32 vcc, s18, v1
	v_mov_b32_e32 v52, 0
	v_mov_b32_e32 v53, 0
	s_and_saveexec_b64 s[4:5], vcc
	s_cbranch_execz .LBB538_77
; %bb.74:
	v_add_u32_e32 v1, s37, v8
	v_add_u32_e32 v2, s39, v8
	v_mul_lo_u32 v1, v1, s36
	v_mul_lo_u32 v2, v2, s38
	v_sub_u32_e32 v1, v1, v2
	v_cmp_lt_u32_e32 vcc, s40, v1
	v_cmp_ge_u32_e64 s[2:3], s40, v1
	s_mov_b64 s[10:11], 0
	s_and_saveexec_b64 s[8:9], s[2:3]
; %bb.75:
	v_add_u32_e32 v1, s42, v8
	v_add_u32_e32 v2, s60, v8
	v_mul_lo_u32 v1, v1, s41
	v_mul_lo_u32 v2, v2, s43
	v_sub_u32_e32 v1, v1, v2
	v_cmp_lt_u32_e64 s[2:3], s61, v1
	s_and_b64 s[10:11], s[2:3], exec
; %bb.76:
	s_or_b64 exec, exec, s[8:9]
	v_cndmask_b32_e64 v53, 0, 1, vcc
	v_cndmask_b32_e64 v52, 0, 1, s[10:11]
.LBB538_77:
	s_or_b64 exec, exec, s[4:5]
	v_add_u32_e32 v1, 11, v31
	v_cmp_gt_u32_e32 vcc, s18, v1
	v_mov_b32_e32 v54, 0
	v_mov_b32_e32 v55, 0
	s_and_saveexec_b64 s[4:5], vcc
	s_cbranch_execz .LBB538_81
; %bb.78:
	v_add_u32_e32 v1, s37, v9
	v_add_u32_e32 v2, s39, v9
	v_mul_lo_u32 v1, v1, s36
	v_mul_lo_u32 v2, v2, s38
	v_sub_u32_e32 v1, v1, v2
	v_cmp_lt_u32_e32 vcc, s40, v1
	v_cmp_ge_u32_e64 s[2:3], s40, v1
	s_mov_b64 s[10:11], 0
	s_and_saveexec_b64 s[8:9], s[2:3]
; %bb.79:
	v_add_u32_e32 v1, s42, v9
	v_add_u32_e32 v2, s60, v9
	v_mul_lo_u32 v1, v1, s41
	v_mul_lo_u32 v2, v2, s43
	v_sub_u32_e32 v1, v1, v2
	v_cmp_lt_u32_e64 s[2:3], s61, v1
	s_and_b64 s[10:11], s[2:3], exec
; %bb.80:
	s_or_b64 exec, exec, s[8:9]
	v_cndmask_b32_e64 v55, 0, 1, vcc
	v_cndmask_b32_e64 v54, 0, 1, s[10:11]
.LBB538_81:
	s_or_b64 exec, exec, s[4:5]
	v_add_u32_e32 v1, 12, v31
	v_cmp_gt_u32_e32 vcc, s18, v1
	s_mov_b64 s[46:47], 0
	s_mov_b64 s[58:59], 0
	s_and_saveexec_b64 s[2:3], vcc
	s_cbranch_execz .LBB538_85
; %bb.82:
	v_add_u32_e32 v1, s37, v30
	v_add_u32_e32 v2, s39, v30
	v_mul_lo_u32 v1, v1, s36
	v_mul_lo_u32 v2, v2, s38
	v_sub_u32_e32 v1, v1, v2
	v_cmp_ge_u32_e32 vcc, s40, v1
	s_mov_b64 s[8:9], -1
	s_mov_b64 s[10:11], 0
	s_and_saveexec_b64 s[4:5], vcc
; %bb.83:
	v_add_u32_e32 v1, s42, v30
	v_add_u32_e32 v2, s60, v30
	v_mul_lo_u32 v1, v1, s41
	v_mul_lo_u32 v2, v2, s43
	v_sub_u32_e32 v1, v1, v2
	v_cmp_lt_u32_e32 vcc, s61, v1
	s_and_b64 s[10:11], vcc, exec
	s_xor_b64 s[8:9], exec, -1
; %bb.84:
	s_or_b64 exec, exec, s[4:5]
	s_and_b64 s[58:59], s[10:11], exec
	s_and_b64 s[46:47], s[8:9], exec
.LBB538_85:
	s_or_b64 exec, exec, s[2:3]
.LBB538_86:
	v_and_b32_e32 v63, 0xff, v33
	v_and_b32_e32 v74, 0xff, v35
	;; [unrolled: 1-line block ×5, first 2 shown]
	v_add3_u32 v2, v74, v65, v63
	v_and_b32_e32 v76, 0xff, v42
	v_and_b32_e32 v69, 0xff, v44
	v_add3_u32 v2, v2, v75, v67
	v_and_b32_e32 v62, 0xff, v32
	v_and_b32_e32 v56, 0xff, v34
	;; [unrolled: 1-line block ×5, first 2 shown]
	v_add3_u32 v2, v2, v76, v69
	v_and_b32_e32 v57, 0xff, v39
	v_and_b32_e32 v66, 0xff, v41
	;; [unrolled: 1-line block ×4, first 2 shown]
	v_add3_u32 v3, v56, v64, v62
	v_add3_u32 v2, v2, v77, v71
	v_and_b32_e32 v58, 0xff, v43
	v_and_b32_e32 v68, 0xff, v45
	;; [unrolled: 1-line block ×3, first 2 shown]
	v_cndmask_b32_e64 v1, 0, 1, s[58:59]
	v_add3_u32 v3, v3, v57, v66
	v_add3_u32 v2, v2, v78, v73
	v_and_b32_e32 v59, 0xff, v47
	v_and_b32_e32 v70, 0xff, v49
	v_add3_u32 v3, v3, v58, v68
	v_add3_u32 v86, v2, v79, v1
	v_mbcnt_lo_u32_b32 v1, -1, 0
	v_and_b32_e32 v60, 0xff, v51
	v_and_b32_e32 v72, 0xff, v53
	v_add3_u32 v3, v3, v59, v70
	v_mbcnt_hi_u32_b32 v80, -1, v1
	v_and_b32_e32 v61, 0xff, v55
	v_add3_u32 v3, v3, v60, v72
	v_cndmask_b32_e64 v4, 0, 1, s[46:47]
	v_and_b32_e32 v84, 15, v80
	s_cmp_lg_u32 s6, 0
	v_add3_u32 v85, v3, v61, v4
	v_cmp_eq_u32_e64 s[4:5], 0, v84
	v_cmp_lt_u32_e64 s[2:3], 1, v84
	v_cmp_lt_u32_e64 s[8:9], 3, v84
	;; [unrolled: 1-line block ×3, first 2 shown]
	v_and_b32_e32 v83, 16, v80
	v_cmp_lt_u32_e32 vcc, 31, v80
	v_lshrrev_b32_e32 v81, 6, v0
	v_or_b32_e32 v82, 63, v0
	s_cbranch_scc0 .LBB538_115
; %bb.87:
	v_mov_b32_dpp v1, v85 row_shr:1 row_mask:0xf bank_mask:0xf
	v_mov_b32_dpp v2, v86 row_shr:1 row_mask:0xf bank_mask:0xf
	v_add_u32_e32 v1, v1, v85
	v_add_u32_e32 v2, v2, v86
	v_cndmask_b32_e64 v2, v2, v86, s[4:5]
	v_cndmask_b32_e64 v1, v1, v85, s[4:5]
	s_nop 0
	v_mov_b32_dpp v4, v2 row_shr:2 row_mask:0xf bank_mask:0xf
	v_mov_b32_dpp v3, v1 row_shr:2 row_mask:0xf bank_mask:0xf
	v_add_u32_e32 v3, v1, v3
	v_add_u32_e32 v4, v2, v4
	v_cndmask_b32_e64 v2, v2, v4, s[2:3]
	v_cndmask_b32_e64 v1, v1, v3, s[2:3]
	s_nop 0
	v_mov_b32_dpp v4, v2 row_shr:4 row_mask:0xf bank_mask:0xf
	v_mov_b32_dpp v3, v1 row_shr:4 row_mask:0xf bank_mask:0xf
	v_add_u32_e32 v3, v1, v3
	v_add_u32_e32 v4, v2, v4
	v_cndmask_b32_e64 v2, v2, v4, s[8:9]
	v_cndmask_b32_e64 v1, v1, v3, s[8:9]
	v_cmp_eq_u32_e64 s[8:9], 0, v83
	v_mov_b32_dpp v4, v2 row_shr:8 row_mask:0xf bank_mask:0xf
	v_mov_b32_dpp v3, v1 row_shr:8 row_mask:0xf bank_mask:0xf
	v_add_u32_e32 v3, v1, v3
	v_add_u32_e32 v4, v2, v4
	v_cndmask_b32_e64 v2, v2, v4, s[10:11]
	v_cndmask_b32_e64 v1, v1, v3, s[10:11]
	s_nop 0
	v_mov_b32_dpp v4, v2 row_bcast:15 row_mask:0xf bank_mask:0xf
	v_mov_b32_dpp v3, v1 row_bcast:15 row_mask:0xf bank_mask:0xf
	v_add_u32_e32 v3, v1, v3
	v_add_u32_e32 v4, v2, v4
	v_cndmask_b32_e64 v2, v4, v2, s[8:9]
	v_cndmask_b32_e64 v1, v3, v1, s[8:9]
	s_nop 0
	v_mov_b32_dpp v4, v2 row_bcast:31 row_mask:0xf bank_mask:0xf
	v_mov_b32_dpp v3, v1 row_bcast:31 row_mask:0xf bank_mask:0xf
	v_add_u32_e32 v4, v2, v4
	v_add_u32_e32 v5, v1, v3
	v_cndmask_b32_e32 v3, v2, v4, vcc
	v_cndmask_b32_e32 v2, v1, v5, vcc
	v_cmp_eq_u32_e32 vcc, v82, v0
	s_and_saveexec_b64 s[8:9], vcc
	s_cbranch_execz .LBB538_89
; %bb.88:
	v_lshlrev_b32_e32 v1, 3, v81
	ds_write_b64 v1, v[2:3]
.LBB538_89:
	s_or_b64 exec, exec, s[8:9]
	v_cmp_gt_u32_e32 vcc, 4, v0
	s_waitcnt lgkmcnt(0)
	s_barrier
	s_and_saveexec_b64 s[8:9], vcc
	s_cbranch_execz .LBB538_91
; %bb.90:
	v_lshlrev_b32_e32 v1, 3, v0
	ds_read_b64 v[4:5], v1
	v_and_b32_e32 v6, 3, v80
	v_cmp_eq_u32_e32 vcc, 0, v6
	s_waitcnt lgkmcnt(0)
	v_mov_b32_dpp v7, v4 row_shr:1 row_mask:0xf bank_mask:0xf
	v_mov_b32_dpp v20, v5 row_shr:1 row_mask:0xf bank_mask:0xf
	v_add_u32_e32 v7, v7, v4
	v_add_u32_e32 v20, v20, v5
	v_cndmask_b32_e32 v5, v20, v5, vcc
	v_cndmask_b32_e32 v4, v7, v4, vcc
	v_cmp_lt_u32_e32 vcc, 1, v6
	v_mov_b32_dpp v20, v5 row_shr:2 row_mask:0xf bank_mask:0xf
	v_mov_b32_dpp v7, v4 row_shr:2 row_mask:0xf bank_mask:0xf
	v_cndmask_b32_e32 v6, 0, v7, vcc
	v_cndmask_b32_e32 v7, 0, v20, vcc
	v_add_u32_e32 v5, v7, v5
	v_add_u32_e32 v4, v6, v4
	ds_write_b64 v1, v[4:5]
.LBB538_91:
	s_or_b64 exec, exec, s[8:9]
	v_cmp_gt_u32_e32 vcc, 64, v0
	v_cmp_lt_u32_e64 s[8:9], 63, v0
	s_waitcnt lgkmcnt(0)
	s_barrier
	s_waitcnt lgkmcnt(0)
                                        ; implicit-def: $vgpr21
	s_and_saveexec_b64 s[10:11], s[8:9]
	s_xor_b64 s[8:9], exec, s[10:11]
	s_cbranch_execz .LBB538_93
; %bb.92:
	v_lshl_add_u32 v1, v81, 3, -8
	ds_read_b64 v[20:21], v1
	s_waitcnt lgkmcnt(0)
	v_add_u32_e32 v3, v21, v3
	v_add_u32_e32 v2, v20, v2
.LBB538_93:
	s_andn2_saveexec_b64 s[8:9], s[8:9]
; %bb.94:
                                        ; implicit-def: $vgpr20
; %bb.95:
	s_or_b64 exec, exec, s[8:9]
	v_add_u32_e32 v1, -1, v80
	v_and_b32_e32 v4, 64, v80
	v_cmp_lt_i32_e64 s[8:9], v1, v4
	v_cndmask_b32_e64 v1, v1, v80, s[8:9]
	v_lshlrev_b32_e32 v4, 2, v1
	ds_bpermute_b32 v1, v4, v2
	ds_bpermute_b32 v87, v4, v3
	v_cmp_eq_u32_e64 s[8:9], 0, v80
	s_and_saveexec_b64 s[10:11], vcc
	s_cbranch_execz .LBB538_114
; %bb.96:
	v_mov_b32_e32 v7, 0
	ds_read_b64 v[22:23], v7 offset:24
	s_and_saveexec_b64 s[14:15], s[8:9]
	s_cbranch_execz .LBB538_98
; %bb.97:
	s_add_i32 s16, s6, 64
	s_mov_b32 s17, 0
	s_lshl_b64 s[16:17], s[16:17], 4
	s_waitcnt lgkmcnt(0)
	v_and_b32_e32 v2, 0xff000000, v23
	v_and_b32_e32 v3, 0xff0000, v23
	s_add_u32 s16, s12, s16
	v_or_b32_e32 v2, v3, v2
	v_and_b32_e32 v3, 0xff00, v23
	s_addc_u32 s17, s13, s17
	v_or_b32_e32 v2, v2, v3
	v_or_b32_sdwa v5, v2, v23 dst_sel:DWORD dst_unused:UNUSED_PAD src0_sel:DWORD src1_sel:BYTE_0
	v_mov_b32_e32 v6, 1
	v_mov_b32_e32 v4, v22
	v_pk_mov_b32 v[2:3], s[16:17], s[16:17] op_sel:[0,1]
	;;#ASMSTART
	global_store_dwordx4 v[2:3], v[4:7] off	
s_waitcnt vmcnt(0)
	;;#ASMEND
.LBB538_98:
	s_or_b64 exec, exec, s[14:15]
	v_xad_u32 v24, v80, -1, s6
	v_add_u32_e32 v6, 64, v24
	v_lshlrev_b64 v[2:3], 4, v[6:7]
	v_mov_b32_e32 v4, s13
	v_add_co_u32_e32 v26, vcc, s12, v2
	v_addc_co_u32_e32 v27, vcc, v4, v3, vcc
	;;#ASMSTART
	global_load_dwordx4 v[2:5], v[26:27] off glc	
s_waitcnt vmcnt(0)
	;;#ASMEND
	v_and_b32_e32 v5, 0xff, v3
	v_and_b32_e32 v6, 0xff00, v3
	v_or3_b32 v5, 0, v5, v6
	v_or3_b32 v2, v2, 0, 0
	v_and_b32_e32 v6, 0xff000000, v3
	v_and_b32_e32 v3, 0xff0000, v3
	v_or3_b32 v3, v5, v3, v6
	v_or3_b32 v2, v2, 0, 0
	v_cmp_eq_u16_sdwa s[16:17], v4, v7 src0_sel:BYTE_0 src1_sel:DWORD
	s_and_saveexec_b64 s[14:15], s[16:17]
	s_cbranch_execz .LBB538_102
; %bb.99:
	s_mov_b64 s[16:17], 0
	v_mov_b32_e32 v6, 0
.LBB538_100:                            ; =>This Inner Loop Header: Depth=1
	;;#ASMSTART
	global_load_dwordx4 v[2:5], v[26:27] off glc	
s_waitcnt vmcnt(0)
	;;#ASMEND
	v_cmp_ne_u16_sdwa s[20:21], v4, v6 src0_sel:BYTE_0 src1_sel:DWORD
	s_or_b64 s[16:17], s[20:21], s[16:17]
	s_andn2_b64 exec, exec, s[16:17]
	s_cbranch_execnz .LBB538_100
; %bb.101:
	s_or_b64 exec, exec, s[16:17]
.LBB538_102:
	s_or_b64 exec, exec, s[14:15]
	v_and_b32_e32 v89, 63, v80
	v_cmp_ne_u32_e32 vcc, 63, v89
	v_mov_b32_e32 v88, 2
	v_addc_co_u32_e32 v26, vcc, 0, v80, vcc
	v_cmp_eq_u16_sdwa s[14:15], v4, v88 src0_sel:BYTE_0 src1_sel:DWORD
	v_lshlrev_b64 v[6:7], v80, -1
	v_lshlrev_b32_e32 v90, 2, v26
	v_and_b32_e32 v5, s15, v7
	ds_bpermute_b32 v26, v90, v2
	ds_bpermute_b32 v27, v90, v3
	v_or_b32_e32 v5, 0x80000000, v5
	v_and_b32_e32 v25, s14, v6
	v_ffbl_b32_e32 v5, v5
	v_add_u32_e32 v5, 32, v5
	v_ffbl_b32_e32 v25, v25
	v_min_u32_e32 v5, v25, v5
	s_waitcnt lgkmcnt(1)
	v_add_u32_e32 v25, v26, v2
	s_waitcnt lgkmcnt(0)
	v_add_u32_e32 v26, v27, v3
	v_cmp_lt_u32_e32 vcc, v89, v5
	v_cndmask_b32_e32 v3, v3, v26, vcc
	v_cndmask_b32_e32 v2, v2, v25, vcc
	v_cmp_gt_u32_e32 vcc, 62, v89
	v_cndmask_b32_e64 v25, 0, 1, vcc
	v_lshlrev_b32_e32 v25, 1, v25
	v_add_lshl_u32 v91, v25, v80, 2
	ds_bpermute_b32 v25, v91, v2
	ds_bpermute_b32 v26, v91, v3
	v_add_u32_e32 v92, 2, v89
	v_cmp_gt_u32_e32 vcc, v92, v5
	v_add_u32_e32 v94, 4, v89
	s_waitcnt lgkmcnt(1)
	v_add_u32_e32 v25, v2, v25
	s_waitcnt lgkmcnt(0)
	v_add_u32_e32 v26, v3, v26
	v_cndmask_b32_e32 v3, v26, v3, vcc
	v_cndmask_b32_e32 v2, v25, v2, vcc
	v_cmp_gt_u32_e32 vcc, 60, v89
	v_cndmask_b32_e64 v25, 0, 1, vcc
	v_lshlrev_b32_e32 v25, 2, v25
	v_add_lshl_u32 v93, v25, v80, 2
	ds_bpermute_b32 v25, v93, v2
	ds_bpermute_b32 v26, v93, v3
	v_cmp_gt_u32_e32 vcc, v94, v5
	v_add_u32_e32 v96, 8, v89
	v_add_u32_e32 v98, 16, v89
	s_waitcnt lgkmcnt(1)
	v_add_u32_e32 v25, v2, v25
	s_waitcnt lgkmcnt(0)
	v_add_u32_e32 v26, v3, v26
	v_cndmask_b32_e32 v3, v26, v3, vcc
	v_cndmask_b32_e32 v2, v25, v2, vcc
	v_cmp_gt_u32_e32 vcc, 56, v89
	v_cndmask_b32_e64 v25, 0, 1, vcc
	v_lshlrev_b32_e32 v25, 3, v25
	v_add_lshl_u32 v95, v25, v80, 2
	ds_bpermute_b32 v25, v95, v2
	ds_bpermute_b32 v26, v95, v3
	v_cmp_gt_u32_e32 vcc, v96, v5
	v_add_u32_e32 v100, 32, v89
	s_waitcnt lgkmcnt(1)
	v_add_u32_e32 v25, v2, v25
	s_waitcnt lgkmcnt(0)
	v_add_u32_e32 v26, v3, v26
	v_cndmask_b32_e32 v3, v26, v3, vcc
	v_cndmask_b32_e32 v2, v25, v2, vcc
	v_cmp_gt_u32_e32 vcc, 48, v89
	v_cndmask_b32_e64 v25, 0, 1, vcc
	v_lshlrev_b32_e32 v25, 4, v25
	v_add_lshl_u32 v97, v25, v80, 2
	ds_bpermute_b32 v25, v97, v2
	ds_bpermute_b32 v26, v97, v3
	v_cmp_gt_u32_e32 vcc, v98, v5
	s_waitcnt lgkmcnt(1)
	v_add_u32_e32 v25, v2, v25
	s_waitcnt lgkmcnt(0)
	v_add_u32_e32 v26, v3, v26
	v_cndmask_b32_e32 v3, v26, v3, vcc
	v_cndmask_b32_e32 v2, v25, v2, vcc
	v_cmp_gt_u32_e32 vcc, 32, v89
	v_cndmask_b32_e64 v25, 0, 1, vcc
	v_lshlrev_b32_e32 v25, 5, v25
	v_add_lshl_u32 v99, v25, v80, 2
	ds_bpermute_b32 v25, v99, v2
	ds_bpermute_b32 v26, v99, v3
	v_cmp_le_u32_e32 vcc, v100, v5
	s_waitcnt lgkmcnt(1)
	v_cndmask_b32_e32 v5, 0, v25, vcc
	s_waitcnt lgkmcnt(0)
	v_cndmask_b32_e32 v25, 0, v26, vcc
	v_add_u32_e32 v3, v3, v25
	v_add_u32_e32 v2, v2, v5
	v_mov_b32_e32 v25, 0
	s_branch .LBB538_104
.LBB538_103:                            ;   in Loop: Header=BB538_104 Depth=1
	s_or_b64 exec, exec, s[14:15]
	v_cmp_eq_u16_sdwa s[14:15], v4, v88 src0_sel:BYTE_0 src1_sel:DWORD
	v_and_b32_e32 v5, s15, v7
	ds_bpermute_b32 v29, v90, v2
	ds_bpermute_b32 v101, v90, v3
	v_or_b32_e32 v5, 0x80000000, v5
	v_and_b32_e32 v28, s14, v6
	v_ffbl_b32_e32 v5, v5
	v_add_u32_e32 v5, 32, v5
	v_ffbl_b32_e32 v28, v28
	v_min_u32_e32 v5, v28, v5
	s_waitcnt lgkmcnt(1)
	v_add_u32_e32 v28, v29, v2
	s_waitcnt lgkmcnt(0)
	v_add_u32_e32 v29, v101, v3
	v_cmp_lt_u32_e32 vcc, v89, v5
	v_cndmask_b32_e32 v3, v3, v29, vcc
	v_cndmask_b32_e32 v2, v2, v28, vcc
	ds_bpermute_b32 v28, v91, v2
	ds_bpermute_b32 v29, v91, v3
	v_cmp_gt_u32_e32 vcc, v92, v5
	v_subrev_u32_e32 v24, 64, v24
	s_waitcnt lgkmcnt(1)
	v_add_u32_e32 v28, v2, v28
	s_waitcnt lgkmcnt(0)
	v_add_u32_e32 v29, v3, v29
	v_cndmask_b32_e32 v3, v29, v3, vcc
	v_cndmask_b32_e32 v2, v28, v2, vcc
	ds_bpermute_b32 v28, v93, v2
	ds_bpermute_b32 v29, v93, v3
	v_cmp_gt_u32_e32 vcc, v94, v5
	s_waitcnt lgkmcnt(1)
	v_add_u32_e32 v28, v2, v28
	s_waitcnt lgkmcnt(0)
	v_add_u32_e32 v29, v3, v29
	v_cndmask_b32_e32 v3, v29, v3, vcc
	v_cndmask_b32_e32 v2, v28, v2, vcc
	ds_bpermute_b32 v28, v95, v2
	ds_bpermute_b32 v29, v95, v3
	v_cmp_gt_u32_e32 vcc, v96, v5
	;; [unrolled: 9-line block ×3, first 2 shown]
	s_waitcnt lgkmcnt(1)
	v_add_u32_e32 v28, v2, v28
	s_waitcnt lgkmcnt(0)
	v_add_u32_e32 v29, v3, v29
	v_cndmask_b32_e32 v3, v29, v3, vcc
	v_cndmask_b32_e32 v2, v28, v2, vcc
	ds_bpermute_b32 v28, v99, v2
	ds_bpermute_b32 v29, v99, v3
	v_cmp_le_u32_e32 vcc, v100, v5
	s_waitcnt lgkmcnt(1)
	v_cndmask_b32_e32 v5, 0, v28, vcc
	s_waitcnt lgkmcnt(0)
	v_cndmask_b32_e32 v28, 0, v29, vcc
	v_add3_u32 v3, v28, v27, v3
	v_add3_u32 v2, v5, v26, v2
.LBB538_104:                            ; =>This Loop Header: Depth=1
                                        ;     Child Loop BB538_107 Depth 2
	v_cmp_ne_u16_sdwa s[14:15], v4, v88 src0_sel:BYTE_0 src1_sel:DWORD
	v_cndmask_b32_e64 v4, 0, 1, s[14:15]
	;;#ASMSTART
	;;#ASMEND
	v_cmp_ne_u32_e32 vcc, 0, v4
	s_cmp_lg_u64 vcc, exec
	v_pk_mov_b32 v[26:27], v[2:3], v[2:3] op_sel:[0,1]
	s_cbranch_scc1 .LBB538_109
; %bb.105:                              ;   in Loop: Header=BB538_104 Depth=1
	v_lshlrev_b64 v[2:3], 4, v[24:25]
	v_mov_b32_e32 v4, s13
	v_add_co_u32_e32 v28, vcc, s12, v2
	v_addc_co_u32_e32 v29, vcc, v4, v3, vcc
	;;#ASMSTART
	global_load_dwordx4 v[2:5], v[28:29] off glc	
s_waitcnt vmcnt(0)
	;;#ASMEND
	v_and_b32_e32 v5, 0xff, v3
	v_and_b32_e32 v101, 0xff00, v3
	v_or3_b32 v5, 0, v5, v101
	v_or3_b32 v2, v2, 0, 0
	v_and_b32_e32 v101, 0xff000000, v3
	v_and_b32_e32 v3, 0xff0000, v3
	v_or3_b32 v3, v5, v3, v101
	v_or3_b32 v2, v2, 0, 0
	v_cmp_eq_u16_sdwa s[16:17], v4, v25 src0_sel:BYTE_0 src1_sel:DWORD
	s_and_saveexec_b64 s[14:15], s[16:17]
	s_cbranch_execz .LBB538_103
; %bb.106:                              ;   in Loop: Header=BB538_104 Depth=1
	s_mov_b64 s[16:17], 0
.LBB538_107:                            ;   Parent Loop BB538_104 Depth=1
                                        ; =>  This Inner Loop Header: Depth=2
	;;#ASMSTART
	global_load_dwordx4 v[2:5], v[28:29] off glc	
s_waitcnt vmcnt(0)
	;;#ASMEND
	v_cmp_ne_u16_sdwa s[20:21], v4, v25 src0_sel:BYTE_0 src1_sel:DWORD
	s_or_b64 s[16:17], s[20:21], s[16:17]
	s_andn2_b64 exec, exec, s[16:17]
	s_cbranch_execnz .LBB538_107
; %bb.108:                              ;   in Loop: Header=BB538_104 Depth=1
	s_or_b64 exec, exec, s[16:17]
	s_branch .LBB538_103
.LBB538_109:                            ;   in Loop: Header=BB538_104 Depth=1
                                        ; implicit-def: $vgpr4
                                        ; implicit-def: $vgpr2_vgpr3
	s_cbranch_execz .LBB538_104
; %bb.110:
	s_and_saveexec_b64 s[14:15], s[8:9]
	s_cbranch_execz .LBB538_112
; %bb.111:
	s_add_i32 s6, s6, 64
	s_mov_b32 s7, 0
	v_add_u32_e32 v3, v27, v23
	s_lshl_b64 s[6:7], s[6:7], 4
	s_add_u32 s6, s12, s6
	v_and_b32_e32 v4, 0xff000000, v3
	v_and_b32_e32 v6, 0xff0000, v3
	s_addc_u32 s7, s13, s7
	v_or_b32_e32 v4, v6, v4
	v_and_b32_e32 v6, 0xff00, v3
	v_and_b32_e32 v3, 0xff, v3
	v_add_u32_e32 v2, v26, v22
	v_mov_b32_e32 v5, 0
	v_or3_b32 v3, v4, v6, v3
	v_mov_b32_e32 v4, 2
	v_pk_mov_b32 v[6:7], s[6:7], s[6:7] op_sel:[0,1]
	;;#ASMSTART
	global_store_dwordx4 v[6:7], v[2:5] off	
s_waitcnt vmcnt(0)
	;;#ASMEND
	s_movk_i32 s6, 0x3400
	v_add_u32_e64 v2, s6, 0
	ds_write2_b32 v2, v22, v23 offset1:2
	ds_write2_b32 v2, v26, v27 offset0:4 offset1:6
.LBB538_112:
	s_or_b64 exec, exec, s[14:15]
	v_cmp_eq_u32_e32 vcc, 0, v0
	s_and_b64 exec, exec, vcc
	s_cbranch_execz .LBB538_114
; %bb.113:
	v_mov_b32_e32 v2, 0
	ds_write_b64 v2, v[26:27] offset:24
.LBB538_114:
	s_or_b64 exec, exec, s[10:11]
	v_mov_b32_e32 v2, 0
	s_waitcnt lgkmcnt(0)
	s_barrier
	ds_read_b64 v[6:7], v2 offset:24
	s_movk_i32 s6, 0x3400
	v_cndmask_b32_e64 v2, v87, v21, s[8:9]
	v_cndmask_b32_e64 v1, v1, v20, s[8:9]
	v_add_u32_e64 v4, s6, 0
	s_waitcnt lgkmcnt(0)
	v_add_u32_e32 v20, v6, v1
	v_add_u32_e32 v1, v7, v2
	s_barrier
	ds_read2_b32 v[2:3], v4 offset1:2
	ds_read2_b32 v[4:5], v4 offset0:4 offset1:6
	v_cmp_eq_u32_e32 vcc, 0, v0
	v_cndmask_b32_e32 v1, v1, v7, vcc
	v_cndmask_b32_e32 v20, v20, v6, vcc
	s_branch .LBB538_125
.LBB538_115:
                                        ; implicit-def: $vgpr1
                                        ; implicit-def: $vgpr4
                                        ; implicit-def: $vgpr2
                                        ; implicit-def: $vgpr20_vgpr21
	s_cbranch_execz .LBB538_125
; %bb.116:
	s_nop 0
	v_mov_b32_dpp v1, v85 row_shr:1 row_mask:0xf bank_mask:0xf
	s_waitcnt lgkmcnt(0)
	v_mov_b32_dpp v2, v86 row_shr:1 row_mask:0xf bank_mask:0xf
	v_add_u32_e32 v1, v1, v85
	v_add_u32_e32 v2, v2, v86
	v_cndmask_b32_e64 v2, v2, v86, s[4:5]
	v_cndmask_b32_e64 v1, v1, v85, s[4:5]
	v_cmp_lt_u32_e32 vcc, 3, v84
	v_mov_b32_dpp v4, v2 row_shr:2 row_mask:0xf bank_mask:0xf
	v_mov_b32_dpp v3, v1 row_shr:2 row_mask:0xf bank_mask:0xf
	v_add_u32_e32 v3, v1, v3
	v_add_u32_e32 v4, v2, v4
	v_cndmask_b32_e64 v2, v2, v4, s[2:3]
	v_cndmask_b32_e64 v1, v1, v3, s[2:3]
	s_nop 0
	v_mov_b32_dpp v4, v2 row_shr:4 row_mask:0xf bank_mask:0xf
	v_mov_b32_dpp v3, v1 row_shr:4 row_mask:0xf bank_mask:0xf
	v_add_u32_e32 v3, v1, v3
	v_add_u32_e32 v4, v2, v4
	v_cndmask_b32_e32 v2, v2, v4, vcc
	v_cndmask_b32_e32 v1, v1, v3, vcc
	v_cmp_lt_u32_e32 vcc, 7, v84
	v_mov_b32_dpp v4, v2 row_shr:8 row_mask:0xf bank_mask:0xf
	v_mov_b32_dpp v3, v1 row_shr:8 row_mask:0xf bank_mask:0xf
	v_add_u32_e32 v3, v1, v3
	v_add_u32_e32 v4, v2, v4
	v_cndmask_b32_e32 v2, v2, v4, vcc
	v_cndmask_b32_e32 v1, v1, v3, vcc
	v_cmp_eq_u32_e32 vcc, 0, v83
	v_mov_b32_dpp v4, v2 row_bcast:15 row_mask:0xf bank_mask:0xf
	v_mov_b32_dpp v3, v1 row_bcast:15 row_mask:0xf bank_mask:0xf
	v_add_u32_e32 v3, v1, v3
	v_add_u32_e32 v4, v2, v4
	v_cndmask_b32_e32 v2, v4, v2, vcc
	v_cndmask_b32_e32 v1, v3, v1, vcc
	v_cmp_lt_u32_e32 vcc, 31, v80
	v_mov_b32_dpp v4, v2 row_bcast:31 row_mask:0xf bank_mask:0xf
	v_mov_b32_dpp v3, v1 row_bcast:31 row_mask:0xf bank_mask:0xf
	v_add_u32_e32 v4, v2, v4
	v_add_u32_e32 v5, v1, v3
	v_cndmask_b32_e32 v3, v2, v4, vcc
	v_cndmask_b32_e32 v2, v1, v5, vcc
	v_cmp_eq_u32_e32 vcc, v82, v0
	s_and_saveexec_b64 s[2:3], vcc
	s_cbranch_execz .LBB538_118
; %bb.117:
	v_lshlrev_b32_e32 v1, 3, v81
	ds_write_b64 v1, v[2:3]
.LBB538_118:
	s_or_b64 exec, exec, s[2:3]
	v_cmp_gt_u32_e32 vcc, 4, v0
	s_waitcnt lgkmcnt(0)
	s_barrier
	s_and_saveexec_b64 s[2:3], vcc
	s_cbranch_execz .LBB538_120
; %bb.119:
	v_lshlrev_b32_e32 v1, 3, v0
	ds_read_b64 v[4:5], v1
	v_and_b32_e32 v6, 3, v80
	v_cmp_eq_u32_e32 vcc, 0, v6
	s_waitcnt lgkmcnt(0)
	v_mov_b32_dpp v7, v4 row_shr:1 row_mask:0xf bank_mask:0xf
	v_mov_b32_dpp v20, v5 row_shr:1 row_mask:0xf bank_mask:0xf
	v_add_u32_e32 v7, v7, v4
	v_add_u32_e32 v20, v20, v5
	v_cndmask_b32_e32 v5, v20, v5, vcc
	v_cndmask_b32_e32 v4, v7, v4, vcc
	v_cmp_lt_u32_e32 vcc, 1, v6
	v_mov_b32_dpp v20, v5 row_shr:2 row_mask:0xf bank_mask:0xf
	v_mov_b32_dpp v7, v4 row_shr:2 row_mask:0xf bank_mask:0xf
	v_cndmask_b32_e32 v6, 0, v7, vcc
	v_cndmask_b32_e32 v7, 0, v20, vcc
	v_add_u32_e32 v5, v7, v5
	v_add_u32_e32 v4, v6, v4
	ds_write_b64 v1, v[4:5]
.LBB538_120:
	s_or_b64 exec, exec, s[2:3]
	v_cmp_lt_u32_e32 vcc, 63, v0
	v_mov_b32_e32 v4, 0
	v_mov_b32_e32 v6, 0
	;; [unrolled: 1-line block ×3, first 2 shown]
	s_waitcnt lgkmcnt(0)
	s_barrier
	s_and_saveexec_b64 s[2:3], vcc
	s_cbranch_execz .LBB538_122
; %bb.121:
	v_lshl_add_u32 v1, v81, 3, -8
	ds_read_b64 v[6:7], v1
.LBB538_122:
	s_or_b64 exec, exec, s[2:3]
	s_waitcnt lgkmcnt(0)
	v_add_u32_e32 v5, v7, v3
	v_add_u32_e32 v1, v6, v2
	v_add_u32_e32 v2, -1, v80
	v_and_b32_e32 v3, 64, v80
	v_cmp_lt_i32_e32 vcc, v2, v3
	v_cndmask_b32_e32 v2, v2, v80, vcc
	v_lshlrev_b32_e32 v20, 2, v2
	ds_read_b64 v[2:3], v4 offset:24
	ds_bpermute_b32 v1, v20, v1
	ds_bpermute_b32 v20, v20, v5
	v_cmp_eq_u32_e32 vcc, 0, v0
	s_waitcnt lgkmcnt(2)
	v_readfirstlane_b32 s4, v3
	s_and_saveexec_b64 s[2:3], vcc
	s_cbranch_execz .LBB538_124
; %bb.123:
	s_add_u32 s6, s12, 0x400
	s_mov_b32 s8, 0
	s_addc_u32 s7, s13, 0
	s_and_b32 s9, s4, 0xff000000
	s_and_b32 s11, s4, 0xff0000
	s_mov_b32 s10, s8
	s_or_b64 s[10:11], s[10:11], s[8:9]
	s_and_b32 s9, s4, 0xff00
	s_or_b64 s[10:11], s[10:11], s[8:9]
	s_and_b32 s9, s4, 0xff
	s_or_b64 s[8:9], s[10:11], s[8:9]
	v_mov_b32_e32 v3, s9
	v_mov_b32_e32 v4, 2
	;; [unrolled: 1-line block ×3, first 2 shown]
	v_pk_mov_b32 v[22:23], s[6:7], s[6:7] op_sel:[0,1]
	;;#ASMSTART
	global_store_dwordx4 v[22:23], v[2:5] off	
s_waitcnt vmcnt(0)
	;;#ASMEND
.LBB538_124:
	s_or_b64 exec, exec, s[2:3]
	v_cmp_eq_u32_e64 s[2:3], 0, v80
	s_waitcnt lgkmcnt(1)
	v_cndmask_b32_e64 v3, v1, v6, s[2:3]
	s_waitcnt lgkmcnt(0)
	v_cndmask_b32_e64 v1, v20, v7, s[2:3]
	v_mov_b32_e32 v4, 0
	v_cndmask_b32_e64 v1, v1, 0, vcc
	v_cndmask_b32_e64 v20, v3, 0, vcc
	s_barrier
	v_mov_b32_e32 v3, s4
	v_mov_b32_e32 v5, 0
.LBB538_125:
	v_add_u32_e32 v24, v1, v63
	v_add_u32_e32 v25, v24, v74
	;; [unrolled: 1-line block ×14, first 2 shown]
	v_mov_b32_e32 v7, s49
	s_waitcnt lgkmcnt(0)
	v_add_co_u32_e32 v6, vcc, s48, v4
	v_add_u32_e32 v64, v58, v68
	v_add_u32_e32 v68, v66, v71
	v_addc_co_u32_e32 v7, vcc, 0, v7, vcc
	v_add_u32_e32 v69, v68, v78
	v_mov_b32_e32 v22, s51
	v_sub_co_u32_e32 v23, vcc, s50, v2
	v_add_u32_e32 v71, v69, v73
	v_subbrev_co_u32_e32 v73, vcc, 0, v22, vcc
	v_add_co_u32_e32 v22, vcc, v23, v5
	v_addc_co_u32_e32 v23, vcc, 0, v73, vcc
	v_lshlrev_b32_e32 v73, 1, v2
	v_sub_u32_e32 v1, v1, v5
	v_add_u32_e32 v74, v73, v3
	v_sub_u32_e32 v20, v20, v4
	v_add_u32_e32 v1, v1, v2
	v_add_u32_e32 v31, v74, v31
	v_and_b32_e32 v33, 1, v33
	v_add_u32_e32 v74, v20, v1
	v_and_b32_e32 v32, 1, v32
	v_sub_u32_e32 v74, v31, v74
	v_cmp_eq_u32_e32 vcc, 1, v33
	v_cndmask_b32_e32 v1, v74, v1, vcc
	v_cmp_eq_u32_e32 vcc, 1, v32
	v_cndmask_b32_e32 v1, v1, v20, vcc
	v_lshlrev_b32_e32 v1, 2, v1
	v_sub_u32_e32 v20, v24, v5
	ds_write_b32 v1, v18
	v_sub_u32_e32 v1, v21, v4
	v_add_u32_e32 v20, v20, v2
	v_add_u32_e32 v24, v20, v1
	v_and_b32_e32 v21, 1, v35
	v_sub_u32_e32 v24, v31, v24
	v_and_b32_e32 v18, 1, v34
	v_add_u32_e32 v24, 1, v24
	v_cmp_eq_u32_e32 vcc, 1, v21
	v_cndmask_b32_e32 v20, v24, v20, vcc
	v_cmp_eq_u32_e32 vcc, 1, v18
	v_cndmask_b32_e32 v1, v20, v1, vcc
	v_lshlrev_b32_e32 v1, 2, v1
	ds_write_b32 v1, v19
	v_sub_u32_e32 v19, v25, v5
	v_sub_u32_e32 v1, v26, v4
	v_add_u32_e32 v19, v19, v2
	v_add_u32_e32 v21, v19, v1
	v_and_b32_e32 v20, 1, v37
	v_sub_u32_e32 v21, v31, v21
	v_and_b32_e32 v18, 1, v36
	v_add_u32_e32 v21, 2, v21
	v_cmp_eq_u32_e32 vcc, 1, v20
	v_cndmask_b32_e32 v19, v21, v19, vcc
	v_cmp_eq_u32_e32 vcc, 1, v18
	v_cndmask_b32_e32 v1, v19, v1, vcc
	v_lshlrev_b32_e32 v1, 2, v1
	v_sub_u32_e32 v18, v28, v5
	ds_write_b32 v1, v16
	v_sub_u32_e32 v1, v27, v4
	v_add_u32_e32 v18, v18, v2
	v_add_u32_e32 v20, v1, v18
	v_and_b32_e32 v19, 1, v38
	v_sub_u32_e32 v20, v31, v20
	v_and_b32_e32 v16, 1, v39
	v_add_u32_e32 v20, 3, v20
	v_cmp_eq_u32_e32 vcc, 1, v19
	v_cndmask_b32_e32 v18, v20, v18, vcc
	v_cmp_eq_u32_e32 vcc, 1, v16
	v_cndmask_b32_e32 v1, v18, v1, vcc
	v_lshlrev_b32_e32 v1, 2, v1
	ds_write_b32 v1, v17
	v_sub_u32_e32 v17, v29, v5
	v_sub_u32_e32 v1, v56, v4
	v_add_u32_e32 v17, v17, v2
	v_add_u32_e32 v19, v1, v17
	v_and_b32_e32 v18, 1, v40
	v_sub_u32_e32 v19, v31, v19
	v_and_b32_e32 v16, 1, v41
	v_add_u32_e32 v19, 4, v19
	;; [unrolled: 28-line block ×3, first 2 shown]
	v_cmp_eq_u32_e32 vcc, 1, v16
	v_cndmask_b32_e32 v15, v17, v15, vcc
	v_cmp_eq_u32_e32 vcc, 1, v14
	v_cndmask_b32_e32 v1, v15, v1, vcc
	v_lshlrev_b32_e32 v1, 2, v1
	v_sub_u32_e32 v14, v65, v5
	ds_write_b32 v1, v12
	v_sub_u32_e32 v1, v64, v4
	v_add_u32_e32 v14, v14, v2
	v_add_u32_e32 v16, v1, v14
	v_and_b32_e32 v15, 1, v46
	v_sub_u32_e32 v16, v31, v16
	v_and_b32_e32 v12, 1, v47
	v_add_u32_e32 v16, 7, v16
	v_cmp_eq_u32_e32 vcc, 1, v15
	v_cndmask_b32_e32 v14, v16, v14, vcc
	v_cmp_eq_u32_e32 vcc, 1, v12
	v_cndmask_b32_e32 v1, v14, v1, vcc
	v_lshlrev_b32_e32 v1, 2, v1
	v_add_u32_e32 v59, v64, v59
	ds_write_b32 v1, v13
	v_sub_u32_e32 v13, v66, v5
	v_sub_u32_e32 v1, v59, v4
	v_add_u32_e32 v13, v13, v2
	v_add_u32_e32 v15, v1, v13
	v_and_b32_e32 v14, 1, v48
	v_sub_u32_e32 v15, v31, v15
	v_and_b32_e32 v12, 1, v49
	v_add_u32_e32 v15, 8, v15
	v_cmp_eq_u32_e32 vcc, 1, v14
	v_cndmask_b32_e32 v13, v15, v13, vcc
	v_cmp_eq_u32_e32 vcc, 1, v12
	v_cndmask_b32_e32 v1, v13, v1, vcc
	v_add_u32_e32 v67, v59, v70
	v_lshlrev_b32_e32 v1, 2, v1
	v_sub_u32_e32 v12, v68, v5
	ds_write_b32 v1, v10
	v_sub_u32_e32 v1, v67, v4
	v_add_u32_e32 v12, v12, v2
	v_add_u32_e32 v14, v1, v12
	v_and_b32_e32 v13, 1, v50
	v_sub_u32_e32 v14, v31, v14
	v_and_b32_e32 v10, 1, v51
	v_add_u32_e32 v14, 9, v14
	v_cmp_eq_u32_e32 vcc, 1, v13
	v_cndmask_b32_e32 v12, v14, v12, vcc
	v_cmp_eq_u32_e32 vcc, 1, v10
	v_cndmask_b32_e32 v1, v12, v1, vcc
	v_lshlrev_b32_e32 v1, 2, v1
	v_add_u32_e32 v60, v67, v60
	ds_write_b32 v1, v11
	v_sub_u32_e32 v11, v69, v5
	v_sub_u32_e32 v1, v60, v4
	v_add_u32_e32 v11, v11, v2
	v_add_u32_e32 v13, v1, v11
	v_and_b32_e32 v12, 1, v52
	v_sub_u32_e32 v13, v31, v13
	v_and_b32_e32 v10, 1, v53
	v_add_u32_e32 v13, 10, v13
	v_cmp_eq_u32_e32 vcc, 1, v12
	v_cndmask_b32_e32 v11, v13, v11, vcc
	v_cmp_eq_u32_e32 vcc, 1, v10
	v_cndmask_b32_e32 v1, v11, v1, vcc
	v_add_u32_e32 v70, v60, v72
	v_lshlrev_b32_e32 v1, 2, v1
	v_sub_u32_e32 v10, v71, v5
	ds_write_b32 v1, v8
	v_sub_u32_e32 v1, v70, v4
	v_add_u32_e32 v10, v10, v2
	v_add_u32_e32 v12, v1, v10
	v_and_b32_e32 v11, 1, v54
	v_sub_u32_e32 v12, v31, v12
	v_and_b32_e32 v8, 1, v55
	v_add_u32_e32 v12, 11, v12
	v_cmp_eq_u32_e32 vcc, 1, v11
	v_cndmask_b32_e32 v10, v12, v10, vcc
	v_cmp_eq_u32_e32 vcc, 1, v8
	v_cndmask_b32_e32 v1, v10, v1, vcc
	v_add_u32_e32 v72, v71, v79
	v_add_u32_e32 v61, v70, v61
	v_lshlrev_b32_e32 v1, 2, v1
	ds_write_b32 v1, v9
	v_sub_u32_e32 v1, v61, v4
	v_sub_u32_e32 v4, v72, v5
	v_add_u32_e32 v4, v4, v2
	v_add_u32_e32 v8, v1, v4
	v_sub_u32_e32 v8, v31, v8
	v_add_u32_e32 v8, 12, v8
	v_cndmask_b32_e64 v4, v8, v4, s[58:59]
	v_cndmask_b32_e64 v1, v4, v1, s[46:47]
	v_lshlrev_b32_e32 v1, 2, v1
	ds_write_b32 v1, v30
	v_add_co_u32_e32 v1, vcc, v3, v73
	v_addc_co_u32_e64 v4, s[2:3], 0, 0, vcc
	v_add_co_u32_e32 v1, vcc, v1, v22
	v_addc_co_u32_e32 v4, vcc, v4, v23, vcc
	s_add_u32 s4, s56, s33
	v_add_co_u32_e32 v1, vcc, v1, v6
	s_addc_u32 s5, s57, 0
	v_addc_co_u32_e32 v4, vcc, v4, v7, vcc
	v_mov_b32_e32 v8, s5
	v_sub_co_u32_e32 v1, vcc, s4, v1
	v_subb_co_u32_e32 v4, vcc, v8, v4, vcc
	v_lshlrev_b64 v[8:9], 2, v[22:23]
	v_mov_b32_e32 v10, s55
	v_add_co_u32_e32 v8, vcc, s54, v8
	v_addc_co_u32_e32 v9, vcc, v10, v9, vcc
	v_lshlrev_b64 v[10:11], 2, v[6:7]
	v_mov_b32_e32 v13, s53
	v_add_co_u32_e32 v10, vcc, s52, v10
	s_add_u32 s6, s34, -4
	v_addc_co_u32_e32 v11, vcc, v13, v11, vcc
	s_addc_u32 s7, s35, -1
	v_add_u32_e32 v12, v2, v3
	s_and_b64 vcc, exec, s[0:1]
	s_mov_b64 s[0:1], -1
	s_waitcnt lgkmcnt(0)
	s_barrier
	s_cbranch_vccz .LBB538_129
; %bb.126:
	s_and_b64 vcc, exec, s[0:1]
	s_cbranch_vccnz .LBB538_234
.LBB538_127:
	v_cmp_eq_u32_e32 vcc, 0, v0
	s_and_b64 s[0:1], vcc, s[30:31]
	s_and_saveexec_b64 s[2:3], s[0:1]
	s_cbranch_execnz .LBB538_352
.LBB538_128:
	s_endpgm
.LBB538_129:
	v_cmp_le_u32_e32 vcc, v2, v0
	s_and_saveexec_b64 s[0:1], vcc
	s_xor_b64 s[0:1], exec, s[0:1]
	s_cbranch_execz .LBB538_135
; %bb.130:
	v_cmp_le_u32_e32 vcc, v12, v0
	s_and_saveexec_b64 s[2:3], vcc
	s_xor_b64 s[2:3], exec, s[2:3]
	s_cbranch_execz .LBB538_132
; %bb.131:
	v_lshlrev_b32_e32 v13, 2, v0
	v_add_co_u32_e32 v14, vcc, v1, v0
	ds_read_b32 v13, v13
	v_addc_co_u32_e32 v15, vcc, 0, v4, vcc
	v_lshlrev_b64 v[14:15], 2, v[14:15]
	v_mov_b32_e32 v16, s35
	v_sub_co_u32_e32 v14, vcc, s34, v14
	v_subb_co_u32_e32 v15, vcc, v16, v15, vcc
	s_waitcnt lgkmcnt(0)
	global_store_dword v[14:15], v13, off offset:-4
.LBB538_132:
	s_andn2_saveexec_b64 s[2:3], s[2:3]
	s_cbranch_execz .LBB538_134
; %bb.133:
	v_lshlrev_b32_e32 v13, 2, v0
	ds_read_b32 v14, v13
	v_readfirstlane_b32 s4, v8
	v_readfirstlane_b32 s5, v9
	s_waitcnt lgkmcnt(0)
	s_nop 3
	global_store_dword v13, v14, s[4:5]
.LBB538_134:
	s_or_b64 exec, exec, s[2:3]
.LBB538_135:
	s_andn2_saveexec_b64 s[0:1], s[0:1]
	s_cbranch_execz .LBB538_137
; %bb.136:
	v_lshlrev_b32_e32 v13, 2, v0
	ds_read_b32 v14, v13
	v_readfirstlane_b32 s2, v10
	v_readfirstlane_b32 s3, v11
	s_waitcnt lgkmcnt(0)
	s_nop 3
	global_store_dword v13, v14, s[2:3]
.LBB538_137:
	s_or_b64 exec, exec, s[0:1]
	v_or_b32_e32 v13, 0x100, v0
	v_cmp_le_u32_e32 vcc, v2, v13
	s_and_saveexec_b64 s[0:1], vcc
	s_xor_b64 s[0:1], exec, s[0:1]
	s_cbranch_execz .LBB538_143
; %bb.138:
	v_cmp_le_u32_e32 vcc, v12, v13
	s_and_saveexec_b64 s[2:3], vcc
	s_xor_b64 s[2:3], exec, s[2:3]
	s_cbranch_execz .LBB538_140
; %bb.139:
	v_lshlrev_b32_e32 v13, 2, v0
	ds_read_b32 v13, v13 offset:1024
	v_add_co_u32_e32 v14, vcc, v1, v0
	v_addc_co_u32_e32 v15, vcc, 0, v4, vcc
	v_lshlrev_b64 v[14:15], 2, v[14:15]
	v_mov_b32_e32 v16, s7
	v_sub_co_u32_e32 v14, vcc, s6, v14
	v_subb_co_u32_e32 v15, vcc, v16, v15, vcc
	s_waitcnt lgkmcnt(0)
	global_store_dword v[14:15], v13, off offset:-1024
.LBB538_140:
	s_andn2_saveexec_b64 s[2:3], s[2:3]
	s_cbranch_execz .LBB538_142
; %bb.141:
	v_lshlrev_b32_e32 v13, 2, v0
	ds_read_b32 v14, v13 offset:1024
	v_readfirstlane_b32 s4, v8
	v_readfirstlane_b32 s5, v9
	s_waitcnt lgkmcnt(0)
	s_nop 3
	global_store_dword v13, v14, s[4:5] offset:1024
.LBB538_142:
	s_or_b64 exec, exec, s[2:3]
.LBB538_143:
	s_andn2_saveexec_b64 s[0:1], s[0:1]
	s_cbranch_execz .LBB538_145
; %bb.144:
	v_lshlrev_b32_e32 v13, 2, v0
	ds_read_b32 v14, v13 offset:1024
	v_readfirstlane_b32 s2, v10
	v_readfirstlane_b32 s3, v11
	s_waitcnt lgkmcnt(0)
	s_nop 3
	global_store_dword v13, v14, s[2:3] offset:1024
.LBB538_145:
	s_or_b64 exec, exec, s[0:1]
	v_or_b32_e32 v13, 0x200, v0
	v_cmp_le_u32_e32 vcc, v2, v13
	s_and_saveexec_b64 s[0:1], vcc
	s_xor_b64 s[0:1], exec, s[0:1]
	s_cbranch_execz .LBB538_151
; %bb.146:
	v_cmp_le_u32_e32 vcc, v12, v13
	s_and_saveexec_b64 s[2:3], vcc
	s_xor_b64 s[2:3], exec, s[2:3]
	s_cbranch_execz .LBB538_148
; %bb.147:
	v_lshlrev_b32_e32 v13, 2, v0
	ds_read_b32 v13, v13 offset:2048
	v_add_co_u32_e32 v14, vcc, v1, v0
	v_addc_co_u32_e32 v15, vcc, 0, v4, vcc
	v_lshlrev_b64 v[14:15], 2, v[14:15]
	v_mov_b32_e32 v16, s7
	v_sub_co_u32_e32 v14, vcc, s6, v14
	v_subb_co_u32_e32 v15, vcc, v16, v15, vcc
	s_waitcnt lgkmcnt(0)
	global_store_dword v[14:15], v13, off offset:-2048
.LBB538_148:
	s_andn2_saveexec_b64 s[2:3], s[2:3]
	s_cbranch_execz .LBB538_150
; %bb.149:
	v_lshlrev_b32_e32 v13, 2, v0
	ds_read_b32 v14, v13 offset:2048
	v_readfirstlane_b32 s4, v8
	v_readfirstlane_b32 s5, v9
	s_waitcnt lgkmcnt(0)
	s_nop 3
	global_store_dword v13, v14, s[4:5] offset:2048
.LBB538_150:
	s_or_b64 exec, exec, s[2:3]
.LBB538_151:
	s_andn2_saveexec_b64 s[0:1], s[0:1]
	s_cbranch_execz .LBB538_153
; %bb.152:
	v_lshlrev_b32_e32 v13, 2, v0
	ds_read_b32 v14, v13 offset:2048
	v_readfirstlane_b32 s2, v10
	v_readfirstlane_b32 s3, v11
	s_waitcnt lgkmcnt(0)
	s_nop 3
	global_store_dword v13, v14, s[2:3] offset:2048
.LBB538_153:
	;; [unrolled: 47-line block ×3, first 2 shown]
	s_or_b64 exec, exec, s[0:1]
	v_or_b32_e32 v13, 0x400, v0
	v_cmp_le_u32_e32 vcc, v2, v13
	s_and_saveexec_b64 s[0:1], vcc
	s_xor_b64 s[0:1], exec, s[0:1]
	s_cbranch_execz .LBB538_167
; %bb.162:
	v_cmp_le_u32_e32 vcc, v12, v13
	s_and_saveexec_b64 s[2:3], vcc
	s_xor_b64 s[2:3], exec, s[2:3]
	s_cbranch_execz .LBB538_164
; %bb.163:
	v_lshlrev_b32_e32 v13, 2, v0
	ds_read_b32 v13, v13 offset:4096
	v_add_co_u32_e32 v14, vcc, v1, v0
	v_addc_co_u32_e32 v15, vcc, 0, v4, vcc
	v_lshlrev_b64 v[14:15], 2, v[14:15]
	v_mov_b32_e32 v16, s7
	v_sub_co_u32_e32 v14, vcc, s6, v14
	v_subb_co_u32_e32 v15, vcc, v16, v15, vcc
	s_waitcnt lgkmcnt(0)
	global_store_dword v[14:15], v13, off offset:-4096
                                        ; implicit-def: $vgpr13
.LBB538_164:
	s_andn2_saveexec_b64 s[2:3], s[2:3]
	s_cbranch_execz .LBB538_166
; %bb.165:
	v_lshlrev_b32_e32 v14, 2, v0
	ds_read_b32 v14, v14 offset:4096
	v_lshlrev_b32_e32 v13, 2, v13
	v_readfirstlane_b32 s4, v8
	v_readfirstlane_b32 s5, v9
	s_waitcnt lgkmcnt(0)
	s_nop 3
	global_store_dword v13, v14, s[4:5]
.LBB538_166:
	s_or_b64 exec, exec, s[2:3]
                                        ; implicit-def: $vgpr13
.LBB538_167:
	s_andn2_saveexec_b64 s[0:1], s[0:1]
	s_cbranch_execz .LBB538_169
; %bb.168:
	v_lshlrev_b32_e32 v14, 2, v0
	ds_read_b32 v14, v14 offset:4096
	v_lshlrev_b32_e32 v13, 2, v13
	v_readfirstlane_b32 s2, v10
	v_readfirstlane_b32 s3, v11
	s_waitcnt lgkmcnt(0)
	s_nop 3
	global_store_dword v13, v14, s[2:3]
.LBB538_169:
	s_or_b64 exec, exec, s[0:1]
	v_or_b32_e32 v13, 0x500, v0
	v_cmp_le_u32_e32 vcc, v2, v13
	s_and_saveexec_b64 s[0:1], vcc
	s_xor_b64 s[0:1], exec, s[0:1]
	s_cbranch_execz .LBB538_175
; %bb.170:
	v_cmp_le_u32_e32 vcc, v12, v13
	s_and_saveexec_b64 s[2:3], vcc
	s_xor_b64 s[2:3], exec, s[2:3]
	s_cbranch_execz .LBB538_172
; %bb.171:
	v_add_co_u32_e32 v14, vcc, v1, v13
	v_lshlrev_b32_e32 v13, 2, v0
	ds_read_b32 v13, v13 offset:5120
	v_addc_co_u32_e32 v15, vcc, 0, v4, vcc
	v_lshlrev_b64 v[14:15], 2, v[14:15]
	v_mov_b32_e32 v16, s7
	v_sub_co_u32_e32 v14, vcc, s6, v14
	v_subb_co_u32_e32 v15, vcc, v16, v15, vcc
	s_waitcnt lgkmcnt(0)
	global_store_dword v[14:15], v13, off
                                        ; implicit-def: $vgpr13
.LBB538_172:
	s_andn2_saveexec_b64 s[2:3], s[2:3]
	s_cbranch_execz .LBB538_174
; %bb.173:
	v_lshlrev_b32_e32 v14, 2, v0
	ds_read_b32 v14, v14 offset:5120
	v_lshlrev_b32_e32 v13, 2, v13
	v_readfirstlane_b32 s4, v8
	v_readfirstlane_b32 s5, v9
	s_waitcnt lgkmcnt(0)
	s_nop 3
	global_store_dword v13, v14, s[4:5]
.LBB538_174:
	s_or_b64 exec, exec, s[2:3]
                                        ; implicit-def: $vgpr13
.LBB538_175:
	s_andn2_saveexec_b64 s[0:1], s[0:1]
	s_cbranch_execz .LBB538_177
; %bb.176:
	v_lshlrev_b32_e32 v14, 2, v0
	ds_read_b32 v14, v14 offset:5120
	v_lshlrev_b32_e32 v13, 2, v13
	v_readfirstlane_b32 s2, v10
	v_readfirstlane_b32 s3, v11
	s_waitcnt lgkmcnt(0)
	s_nop 3
	global_store_dword v13, v14, s[2:3]
.LBB538_177:
	s_or_b64 exec, exec, s[0:1]
	v_or_b32_e32 v13, 0x600, v0
	v_cmp_le_u32_e32 vcc, v2, v13
	s_and_saveexec_b64 s[0:1], vcc
	s_xor_b64 s[0:1], exec, s[0:1]
	s_cbranch_execz .LBB538_183
; %bb.178:
	v_cmp_le_u32_e32 vcc, v12, v13
	s_and_saveexec_b64 s[2:3], vcc
	s_xor_b64 s[2:3], exec, s[2:3]
	s_cbranch_execz .LBB538_180
; %bb.179:
	v_add_co_u32_e32 v14, vcc, v1, v13
	v_lshlrev_b32_e32 v13, 2, v0
	ds_read_b32 v13, v13 offset:6144
	v_addc_co_u32_e32 v15, vcc, 0, v4, vcc
	v_lshlrev_b64 v[14:15], 2, v[14:15]
	v_mov_b32_e32 v16, s7
	v_sub_co_u32_e32 v14, vcc, s6, v14
	v_subb_co_u32_e32 v15, vcc, v16, v15, vcc
	s_waitcnt lgkmcnt(0)
	global_store_dword v[14:15], v13, off
                                        ; implicit-def: $vgpr13
.LBB538_180:
	s_andn2_saveexec_b64 s[2:3], s[2:3]
	s_cbranch_execz .LBB538_182
; %bb.181:
	v_lshlrev_b32_e32 v14, 2, v0
	ds_read_b32 v14, v14 offset:6144
	v_lshlrev_b32_e32 v13, 2, v13
	v_readfirstlane_b32 s4, v8
	v_readfirstlane_b32 s5, v9
	s_waitcnt lgkmcnt(0)
	s_nop 3
	global_store_dword v13, v14, s[4:5]
.LBB538_182:
	s_or_b64 exec, exec, s[2:3]
                                        ; implicit-def: $vgpr13
.LBB538_183:
	s_andn2_saveexec_b64 s[0:1], s[0:1]
	s_cbranch_execz .LBB538_185
; %bb.184:
	v_lshlrev_b32_e32 v14, 2, v0
	ds_read_b32 v14, v14 offset:6144
	v_lshlrev_b32_e32 v13, 2, v13
	v_readfirstlane_b32 s2, v10
	v_readfirstlane_b32 s3, v11
	s_waitcnt lgkmcnt(0)
	s_nop 3
	global_store_dword v13, v14, s[2:3]
.LBB538_185:
	s_or_b64 exec, exec, s[0:1]
	v_or_b32_e32 v13, 0x700, v0
	v_cmp_le_u32_e32 vcc, v2, v13
	s_and_saveexec_b64 s[0:1], vcc
	s_xor_b64 s[0:1], exec, s[0:1]
	s_cbranch_execz .LBB538_191
; %bb.186:
	v_cmp_le_u32_e32 vcc, v12, v13
	s_and_saveexec_b64 s[2:3], vcc
	s_xor_b64 s[2:3], exec, s[2:3]
	s_cbranch_execz .LBB538_188
; %bb.187:
	v_add_co_u32_e32 v14, vcc, v1, v13
	v_lshlrev_b32_e32 v13, 2, v0
	ds_read_b32 v13, v13 offset:7168
	v_addc_co_u32_e32 v15, vcc, 0, v4, vcc
	v_lshlrev_b64 v[14:15], 2, v[14:15]
	v_mov_b32_e32 v16, s7
	v_sub_co_u32_e32 v14, vcc, s6, v14
	v_subb_co_u32_e32 v15, vcc, v16, v15, vcc
	s_waitcnt lgkmcnt(0)
	global_store_dword v[14:15], v13, off
                                        ; implicit-def: $vgpr13
.LBB538_188:
	s_andn2_saveexec_b64 s[2:3], s[2:3]
	s_cbranch_execz .LBB538_190
; %bb.189:
	v_lshlrev_b32_e32 v14, 2, v0
	ds_read_b32 v14, v14 offset:7168
	v_lshlrev_b32_e32 v13, 2, v13
	v_readfirstlane_b32 s4, v8
	v_readfirstlane_b32 s5, v9
	s_waitcnt lgkmcnt(0)
	s_nop 3
	global_store_dword v13, v14, s[4:5]
.LBB538_190:
	s_or_b64 exec, exec, s[2:3]
                                        ; implicit-def: $vgpr13
.LBB538_191:
	s_andn2_saveexec_b64 s[0:1], s[0:1]
	s_cbranch_execz .LBB538_193
; %bb.192:
	v_lshlrev_b32_e32 v14, 2, v0
	ds_read_b32 v14, v14 offset:7168
	v_lshlrev_b32_e32 v13, 2, v13
	v_readfirstlane_b32 s2, v10
	v_readfirstlane_b32 s3, v11
	s_waitcnt lgkmcnt(0)
	s_nop 3
	global_store_dword v13, v14, s[2:3]
.LBB538_193:
	s_or_b64 exec, exec, s[0:1]
	v_or_b32_e32 v13, 0x800, v0
	v_cmp_le_u32_e32 vcc, v2, v13
	s_and_saveexec_b64 s[0:1], vcc
	s_xor_b64 s[0:1], exec, s[0:1]
	s_cbranch_execz .LBB538_199
; %bb.194:
	v_cmp_le_u32_e32 vcc, v12, v13
	s_and_saveexec_b64 s[2:3], vcc
	s_xor_b64 s[2:3], exec, s[2:3]
	s_cbranch_execz .LBB538_196
; %bb.195:
	v_add_co_u32_e32 v14, vcc, v1, v13
	v_lshlrev_b32_e32 v13, 2, v0
	ds_read_b32 v13, v13 offset:8192
	v_addc_co_u32_e32 v15, vcc, 0, v4, vcc
	v_lshlrev_b64 v[14:15], 2, v[14:15]
	v_mov_b32_e32 v16, s7
	v_sub_co_u32_e32 v14, vcc, s6, v14
	v_subb_co_u32_e32 v15, vcc, v16, v15, vcc
	s_waitcnt lgkmcnt(0)
	global_store_dword v[14:15], v13, off
                                        ; implicit-def: $vgpr13
.LBB538_196:
	s_andn2_saveexec_b64 s[2:3], s[2:3]
	s_cbranch_execz .LBB538_198
; %bb.197:
	v_lshlrev_b32_e32 v14, 2, v0
	ds_read_b32 v14, v14 offset:8192
	v_lshlrev_b32_e32 v13, 2, v13
	v_readfirstlane_b32 s4, v8
	v_readfirstlane_b32 s5, v9
	s_waitcnt lgkmcnt(0)
	s_nop 3
	global_store_dword v13, v14, s[4:5]
.LBB538_198:
	s_or_b64 exec, exec, s[2:3]
                                        ; implicit-def: $vgpr13
.LBB538_199:
	s_andn2_saveexec_b64 s[0:1], s[0:1]
	s_cbranch_execz .LBB538_201
; %bb.200:
	v_lshlrev_b32_e32 v14, 2, v0
	ds_read_b32 v14, v14 offset:8192
	v_lshlrev_b32_e32 v13, 2, v13
	v_readfirstlane_b32 s2, v10
	v_readfirstlane_b32 s3, v11
	s_waitcnt lgkmcnt(0)
	s_nop 3
	global_store_dword v13, v14, s[2:3]
.LBB538_201:
	s_or_b64 exec, exec, s[0:1]
	v_or_b32_e32 v13, 0x900, v0
	v_cmp_le_u32_e32 vcc, v2, v13
	s_and_saveexec_b64 s[0:1], vcc
	s_xor_b64 s[0:1], exec, s[0:1]
	s_cbranch_execz .LBB538_207
; %bb.202:
	v_cmp_le_u32_e32 vcc, v12, v13
	s_and_saveexec_b64 s[2:3], vcc
	s_xor_b64 s[2:3], exec, s[2:3]
	s_cbranch_execz .LBB538_204
; %bb.203:
	v_add_co_u32_e32 v14, vcc, v1, v13
	v_lshlrev_b32_e32 v13, 2, v0
	ds_read_b32 v13, v13 offset:9216
	v_addc_co_u32_e32 v15, vcc, 0, v4, vcc
	v_lshlrev_b64 v[14:15], 2, v[14:15]
	v_mov_b32_e32 v16, s7
	v_sub_co_u32_e32 v14, vcc, s6, v14
	v_subb_co_u32_e32 v15, vcc, v16, v15, vcc
	s_waitcnt lgkmcnt(0)
	global_store_dword v[14:15], v13, off
                                        ; implicit-def: $vgpr13
.LBB538_204:
	s_andn2_saveexec_b64 s[2:3], s[2:3]
	s_cbranch_execz .LBB538_206
; %bb.205:
	v_lshlrev_b32_e32 v14, 2, v0
	ds_read_b32 v14, v14 offset:9216
	v_lshlrev_b32_e32 v13, 2, v13
	v_readfirstlane_b32 s4, v8
	v_readfirstlane_b32 s5, v9
	s_waitcnt lgkmcnt(0)
	s_nop 3
	global_store_dword v13, v14, s[4:5]
.LBB538_206:
	s_or_b64 exec, exec, s[2:3]
                                        ; implicit-def: $vgpr13
.LBB538_207:
	s_andn2_saveexec_b64 s[0:1], s[0:1]
	s_cbranch_execz .LBB538_209
; %bb.208:
	v_lshlrev_b32_e32 v14, 2, v0
	ds_read_b32 v14, v14 offset:9216
	v_lshlrev_b32_e32 v13, 2, v13
	v_readfirstlane_b32 s2, v10
	v_readfirstlane_b32 s3, v11
	s_waitcnt lgkmcnt(0)
	s_nop 3
	global_store_dword v13, v14, s[2:3]
.LBB538_209:
	s_or_b64 exec, exec, s[0:1]
	v_or_b32_e32 v13, 0xa00, v0
	v_cmp_le_u32_e32 vcc, v2, v13
	s_and_saveexec_b64 s[0:1], vcc
	s_xor_b64 s[0:1], exec, s[0:1]
	s_cbranch_execz .LBB538_215
; %bb.210:
	v_cmp_le_u32_e32 vcc, v12, v13
	s_and_saveexec_b64 s[2:3], vcc
	s_xor_b64 s[2:3], exec, s[2:3]
	s_cbranch_execz .LBB538_212
; %bb.211:
	v_add_co_u32_e32 v14, vcc, v1, v13
	v_lshlrev_b32_e32 v13, 2, v0
	ds_read_b32 v13, v13 offset:10240
	v_addc_co_u32_e32 v15, vcc, 0, v4, vcc
	v_lshlrev_b64 v[14:15], 2, v[14:15]
	v_mov_b32_e32 v16, s7
	v_sub_co_u32_e32 v14, vcc, s6, v14
	v_subb_co_u32_e32 v15, vcc, v16, v15, vcc
	s_waitcnt lgkmcnt(0)
	global_store_dword v[14:15], v13, off
                                        ; implicit-def: $vgpr13
.LBB538_212:
	s_andn2_saveexec_b64 s[2:3], s[2:3]
	s_cbranch_execz .LBB538_214
; %bb.213:
	v_lshlrev_b32_e32 v14, 2, v0
	ds_read_b32 v14, v14 offset:10240
	v_lshlrev_b32_e32 v13, 2, v13
	v_readfirstlane_b32 s4, v8
	v_readfirstlane_b32 s5, v9
	s_waitcnt lgkmcnt(0)
	s_nop 3
	global_store_dword v13, v14, s[4:5]
.LBB538_214:
	s_or_b64 exec, exec, s[2:3]
                                        ; implicit-def: $vgpr13
.LBB538_215:
	s_andn2_saveexec_b64 s[0:1], s[0:1]
	s_cbranch_execz .LBB538_217
; %bb.216:
	v_lshlrev_b32_e32 v14, 2, v0
	ds_read_b32 v14, v14 offset:10240
	v_lshlrev_b32_e32 v13, 2, v13
	v_readfirstlane_b32 s2, v10
	v_readfirstlane_b32 s3, v11
	s_waitcnt lgkmcnt(0)
	s_nop 3
	global_store_dword v13, v14, s[2:3]
.LBB538_217:
	s_or_b64 exec, exec, s[0:1]
	v_or_b32_e32 v13, 0xb00, v0
	v_cmp_le_u32_e32 vcc, v2, v13
	s_and_saveexec_b64 s[0:1], vcc
	s_xor_b64 s[0:1], exec, s[0:1]
	s_cbranch_execz .LBB538_223
; %bb.218:
	v_cmp_le_u32_e32 vcc, v12, v13
	s_and_saveexec_b64 s[2:3], vcc
	s_xor_b64 s[2:3], exec, s[2:3]
	s_cbranch_execz .LBB538_220
; %bb.219:
	v_add_co_u32_e32 v14, vcc, v1, v13
	v_lshlrev_b32_e32 v13, 2, v0
	ds_read_b32 v13, v13 offset:11264
	v_addc_co_u32_e32 v15, vcc, 0, v4, vcc
	v_lshlrev_b64 v[14:15], 2, v[14:15]
	v_mov_b32_e32 v16, s7
	v_sub_co_u32_e32 v14, vcc, s6, v14
	v_subb_co_u32_e32 v15, vcc, v16, v15, vcc
	s_waitcnt lgkmcnt(0)
	global_store_dword v[14:15], v13, off
                                        ; implicit-def: $vgpr13
.LBB538_220:
	s_andn2_saveexec_b64 s[2:3], s[2:3]
	s_cbranch_execz .LBB538_222
; %bb.221:
	v_lshlrev_b32_e32 v14, 2, v0
	ds_read_b32 v14, v14 offset:11264
	v_lshlrev_b32_e32 v13, 2, v13
	v_readfirstlane_b32 s4, v8
	v_readfirstlane_b32 s5, v9
	s_waitcnt lgkmcnt(0)
	s_nop 3
	global_store_dword v13, v14, s[4:5]
.LBB538_222:
	s_or_b64 exec, exec, s[2:3]
                                        ; implicit-def: $vgpr13
.LBB538_223:
	s_andn2_saveexec_b64 s[0:1], s[0:1]
	s_cbranch_execz .LBB538_225
; %bb.224:
	v_lshlrev_b32_e32 v14, 2, v0
	ds_read_b32 v14, v14 offset:11264
	v_lshlrev_b32_e32 v13, 2, v13
	v_readfirstlane_b32 s2, v10
	v_readfirstlane_b32 s3, v11
	s_waitcnt lgkmcnt(0)
	s_nop 3
	global_store_dword v13, v14, s[2:3]
.LBB538_225:
	s_or_b64 exec, exec, s[0:1]
	v_or_b32_e32 v13, 0xc00, v0
	v_cmp_le_u32_e32 vcc, v2, v13
	s_and_saveexec_b64 s[0:1], vcc
	s_xor_b64 s[0:1], exec, s[0:1]
	s_cbranch_execz .LBB538_231
; %bb.226:
	v_cmp_le_u32_e32 vcc, v12, v13
	s_and_saveexec_b64 s[2:3], vcc
	s_xor_b64 s[2:3], exec, s[2:3]
	s_cbranch_execz .LBB538_228
; %bb.227:
	v_add_co_u32_e32 v14, vcc, v1, v13
	v_lshlrev_b32_e32 v13, 2, v0
	ds_read_b32 v13, v13 offset:12288
	v_addc_co_u32_e32 v15, vcc, 0, v4, vcc
	v_lshlrev_b64 v[14:15], 2, v[14:15]
	v_mov_b32_e32 v16, s7
	v_sub_co_u32_e32 v14, vcc, s6, v14
	v_subb_co_u32_e32 v15, vcc, v16, v15, vcc
	s_waitcnt lgkmcnt(0)
	global_store_dword v[14:15], v13, off
                                        ; implicit-def: $vgpr13
.LBB538_228:
	s_andn2_saveexec_b64 s[2:3], s[2:3]
	s_cbranch_execz .LBB538_230
; %bb.229:
	v_lshlrev_b32_e32 v14, 2, v0
	ds_read_b32 v14, v14 offset:12288
	v_lshlrev_b32_e32 v13, 2, v13
	v_readfirstlane_b32 s4, v8
	v_readfirstlane_b32 s5, v9
	s_waitcnt lgkmcnt(0)
	s_nop 3
	global_store_dword v13, v14, s[4:5]
.LBB538_230:
	s_or_b64 exec, exec, s[2:3]
                                        ; implicit-def: $vgpr13
.LBB538_231:
	s_andn2_saveexec_b64 s[0:1], s[0:1]
	s_cbranch_execz .LBB538_233
; %bb.232:
	v_lshlrev_b32_e32 v14, 2, v0
	ds_read_b32 v14, v14 offset:12288
	v_lshlrev_b32_e32 v13, 2, v13
	v_readfirstlane_b32 s2, v10
	v_readfirstlane_b32 s3, v11
	s_waitcnt lgkmcnt(0)
	s_nop 3
	global_store_dword v13, v14, s[2:3]
.LBB538_233:
	s_or_b64 exec, exec, s[0:1]
	s_branch .LBB538_127
.LBB538_234:
	v_cmp_gt_u32_e32 vcc, s18, v0
	s_and_saveexec_b64 s[0:1], vcc
	s_cbranch_execz .LBB538_243
; %bb.235:
	v_cmp_le_u32_e32 vcc, v2, v0
	s_and_saveexec_b64 s[2:3], vcc
	s_xor_b64 s[2:3], exec, s[2:3]
	s_cbranch_execz .LBB538_241
; %bb.236:
	v_cmp_le_u32_e32 vcc, v12, v0
	s_and_saveexec_b64 s[4:5], vcc
	s_xor_b64 s[4:5], exec, s[4:5]
	s_cbranch_execz .LBB538_238
; %bb.237:
	v_lshlrev_b32_e32 v13, 2, v0
	v_add_co_u32_e32 v14, vcc, v1, v0
	ds_read_b32 v13, v13
	v_addc_co_u32_e32 v15, vcc, 0, v4, vcc
	v_lshlrev_b64 v[14:15], 2, v[14:15]
	v_mov_b32_e32 v16, s35
	v_sub_co_u32_e32 v14, vcc, s34, v14
	v_subb_co_u32_e32 v15, vcc, v16, v15, vcc
	s_waitcnt lgkmcnt(0)
	global_store_dword v[14:15], v13, off offset:-4
.LBB538_238:
	s_andn2_saveexec_b64 s[4:5], s[4:5]
	s_cbranch_execz .LBB538_240
; %bb.239:
	v_lshlrev_b32_e32 v13, 2, v0
	ds_read_b32 v14, v13
	v_readfirstlane_b32 s8, v8
	v_readfirstlane_b32 s9, v9
	s_waitcnt lgkmcnt(0)
	s_nop 3
	global_store_dword v13, v14, s[8:9]
.LBB538_240:
	s_or_b64 exec, exec, s[4:5]
.LBB538_241:
	s_andn2_saveexec_b64 s[2:3], s[2:3]
	s_cbranch_execz .LBB538_243
; %bb.242:
	v_lshlrev_b32_e32 v13, 2, v0
	ds_read_b32 v14, v13
	v_readfirstlane_b32 s2, v10
	v_readfirstlane_b32 s3, v11
	s_waitcnt lgkmcnt(0)
	s_nop 3
	global_store_dword v13, v14, s[2:3]
.LBB538_243:
	s_or_b64 exec, exec, s[0:1]
	v_or_b32_e32 v13, 0x100, v0
	v_cmp_gt_u32_e32 vcc, s18, v13
	s_and_saveexec_b64 s[0:1], vcc
	s_cbranch_execz .LBB538_252
; %bb.244:
	v_cmp_le_u32_e32 vcc, v2, v13
	s_and_saveexec_b64 s[2:3], vcc
	s_xor_b64 s[2:3], exec, s[2:3]
	s_cbranch_execz .LBB538_250
; %bb.245:
	v_cmp_le_u32_e32 vcc, v12, v13
	s_and_saveexec_b64 s[4:5], vcc
	s_xor_b64 s[4:5], exec, s[4:5]
	s_cbranch_execz .LBB538_247
; %bb.246:
	v_lshlrev_b32_e32 v13, 2, v0
	ds_read_b32 v13, v13 offset:1024
	v_add_co_u32_e32 v14, vcc, v1, v0
	v_addc_co_u32_e32 v15, vcc, 0, v4, vcc
	v_lshlrev_b64 v[14:15], 2, v[14:15]
	v_mov_b32_e32 v16, s7
	v_sub_co_u32_e32 v14, vcc, s6, v14
	v_subb_co_u32_e32 v15, vcc, v16, v15, vcc
	s_waitcnt lgkmcnt(0)
	global_store_dword v[14:15], v13, off offset:-1024
.LBB538_247:
	s_andn2_saveexec_b64 s[4:5], s[4:5]
	s_cbranch_execz .LBB538_249
; %bb.248:
	v_lshlrev_b32_e32 v13, 2, v0
	ds_read_b32 v14, v13 offset:1024
	v_readfirstlane_b32 s8, v8
	v_readfirstlane_b32 s9, v9
	s_waitcnt lgkmcnt(0)
	s_nop 3
	global_store_dword v13, v14, s[8:9] offset:1024
.LBB538_249:
	s_or_b64 exec, exec, s[4:5]
.LBB538_250:
	s_andn2_saveexec_b64 s[2:3], s[2:3]
	s_cbranch_execz .LBB538_252
; %bb.251:
	v_lshlrev_b32_e32 v13, 2, v0
	ds_read_b32 v14, v13 offset:1024
	v_readfirstlane_b32 s2, v10
	v_readfirstlane_b32 s3, v11
	s_waitcnt lgkmcnt(0)
	s_nop 3
	global_store_dword v13, v14, s[2:3] offset:1024
.LBB538_252:
	s_or_b64 exec, exec, s[0:1]
	v_or_b32_e32 v13, 0x200, v0
	v_cmp_gt_u32_e32 vcc, s18, v13
	s_and_saveexec_b64 s[0:1], vcc
	s_cbranch_execz .LBB538_261
; %bb.253:
	v_cmp_le_u32_e32 vcc, v2, v13
	s_and_saveexec_b64 s[2:3], vcc
	s_xor_b64 s[2:3], exec, s[2:3]
	s_cbranch_execz .LBB538_259
; %bb.254:
	v_cmp_le_u32_e32 vcc, v12, v13
	s_and_saveexec_b64 s[4:5], vcc
	s_xor_b64 s[4:5], exec, s[4:5]
	s_cbranch_execz .LBB538_256
; %bb.255:
	v_lshlrev_b32_e32 v13, 2, v0
	ds_read_b32 v13, v13 offset:2048
	v_add_co_u32_e32 v14, vcc, v1, v0
	v_addc_co_u32_e32 v15, vcc, 0, v4, vcc
	v_lshlrev_b64 v[14:15], 2, v[14:15]
	v_mov_b32_e32 v16, s7
	v_sub_co_u32_e32 v14, vcc, s6, v14
	v_subb_co_u32_e32 v15, vcc, v16, v15, vcc
	s_waitcnt lgkmcnt(0)
	global_store_dword v[14:15], v13, off offset:-2048
.LBB538_256:
	s_andn2_saveexec_b64 s[4:5], s[4:5]
	s_cbranch_execz .LBB538_258
; %bb.257:
	v_lshlrev_b32_e32 v13, 2, v0
	ds_read_b32 v14, v13 offset:2048
	v_readfirstlane_b32 s8, v8
	v_readfirstlane_b32 s9, v9
	s_waitcnt lgkmcnt(0)
	s_nop 3
	global_store_dword v13, v14, s[8:9] offset:2048
.LBB538_258:
	s_or_b64 exec, exec, s[4:5]
.LBB538_259:
	s_andn2_saveexec_b64 s[2:3], s[2:3]
	s_cbranch_execz .LBB538_261
; %bb.260:
	v_lshlrev_b32_e32 v13, 2, v0
	ds_read_b32 v14, v13 offset:2048
	v_readfirstlane_b32 s2, v10
	v_readfirstlane_b32 s3, v11
	s_waitcnt lgkmcnt(0)
	s_nop 3
	global_store_dword v13, v14, s[2:3] offset:2048
.LBB538_261:
	;; [unrolled: 51-line block ×3, first 2 shown]
	s_or_b64 exec, exec, s[0:1]
	v_or_b32_e32 v13, 0x400, v0
	v_cmp_gt_u32_e32 vcc, s18, v13
	s_and_saveexec_b64 s[0:1], vcc
	s_cbranch_execz .LBB538_279
; %bb.271:
	v_cmp_le_u32_e32 vcc, v2, v13
	s_and_saveexec_b64 s[2:3], vcc
	s_xor_b64 s[2:3], exec, s[2:3]
	s_cbranch_execz .LBB538_277
; %bb.272:
	v_cmp_le_u32_e32 vcc, v12, v13
	s_and_saveexec_b64 s[4:5], vcc
	s_xor_b64 s[4:5], exec, s[4:5]
	s_cbranch_execz .LBB538_274
; %bb.273:
	v_lshlrev_b32_e32 v13, 2, v0
	ds_read_b32 v13, v13 offset:4096
	v_add_co_u32_e32 v14, vcc, v1, v0
	v_addc_co_u32_e32 v15, vcc, 0, v4, vcc
	v_lshlrev_b64 v[14:15], 2, v[14:15]
	v_mov_b32_e32 v16, s7
	v_sub_co_u32_e32 v14, vcc, s6, v14
	v_subb_co_u32_e32 v15, vcc, v16, v15, vcc
	s_waitcnt lgkmcnt(0)
	global_store_dword v[14:15], v13, off offset:-4096
                                        ; implicit-def: $vgpr13
.LBB538_274:
	s_andn2_saveexec_b64 s[4:5], s[4:5]
	s_cbranch_execz .LBB538_276
; %bb.275:
	v_lshlrev_b32_e32 v14, 2, v0
	ds_read_b32 v14, v14 offset:4096
	v_lshlrev_b32_e32 v13, 2, v13
	v_readfirstlane_b32 s8, v8
	v_readfirstlane_b32 s9, v9
	s_waitcnt lgkmcnt(0)
	s_nop 3
	global_store_dword v13, v14, s[8:9]
.LBB538_276:
	s_or_b64 exec, exec, s[4:5]
                                        ; implicit-def: $vgpr13
.LBB538_277:
	s_andn2_saveexec_b64 s[2:3], s[2:3]
	s_cbranch_execz .LBB538_279
; %bb.278:
	v_lshlrev_b32_e32 v14, 2, v0
	ds_read_b32 v14, v14 offset:4096
	v_lshlrev_b32_e32 v13, 2, v13
	v_readfirstlane_b32 s2, v10
	v_readfirstlane_b32 s3, v11
	s_waitcnt lgkmcnt(0)
	s_nop 3
	global_store_dword v13, v14, s[2:3]
.LBB538_279:
	s_or_b64 exec, exec, s[0:1]
	v_or_b32_e32 v13, 0x500, v0
	v_cmp_gt_u32_e32 vcc, s18, v13
	s_and_saveexec_b64 s[0:1], vcc
	s_cbranch_execz .LBB538_288
; %bb.280:
	v_cmp_le_u32_e32 vcc, v2, v13
	s_and_saveexec_b64 s[2:3], vcc
	s_xor_b64 s[2:3], exec, s[2:3]
	s_cbranch_execz .LBB538_286
; %bb.281:
	v_cmp_le_u32_e32 vcc, v12, v13
	s_and_saveexec_b64 s[4:5], vcc
	s_xor_b64 s[4:5], exec, s[4:5]
	s_cbranch_execz .LBB538_283
; %bb.282:
	v_add_co_u32_e32 v14, vcc, v1, v13
	v_lshlrev_b32_e32 v13, 2, v0
	ds_read_b32 v13, v13 offset:5120
	v_addc_co_u32_e32 v15, vcc, 0, v4, vcc
	v_lshlrev_b64 v[14:15], 2, v[14:15]
	v_mov_b32_e32 v16, s7
	v_sub_co_u32_e32 v14, vcc, s6, v14
	v_subb_co_u32_e32 v15, vcc, v16, v15, vcc
	s_waitcnt lgkmcnt(0)
	global_store_dword v[14:15], v13, off
                                        ; implicit-def: $vgpr13
.LBB538_283:
	s_andn2_saveexec_b64 s[4:5], s[4:5]
	s_cbranch_execz .LBB538_285
; %bb.284:
	v_lshlrev_b32_e32 v14, 2, v0
	ds_read_b32 v14, v14 offset:5120
	v_lshlrev_b32_e32 v13, 2, v13
	v_readfirstlane_b32 s8, v8
	v_readfirstlane_b32 s9, v9
	s_waitcnt lgkmcnt(0)
	s_nop 3
	global_store_dword v13, v14, s[8:9]
.LBB538_285:
	s_or_b64 exec, exec, s[4:5]
                                        ; implicit-def: $vgpr13
.LBB538_286:
	s_andn2_saveexec_b64 s[2:3], s[2:3]
	s_cbranch_execz .LBB538_288
; %bb.287:
	v_lshlrev_b32_e32 v14, 2, v0
	ds_read_b32 v14, v14 offset:5120
	v_lshlrev_b32_e32 v13, 2, v13
	v_readfirstlane_b32 s2, v10
	v_readfirstlane_b32 s3, v11
	s_waitcnt lgkmcnt(0)
	s_nop 3
	global_store_dword v13, v14, s[2:3]
.LBB538_288:
	s_or_b64 exec, exec, s[0:1]
	v_or_b32_e32 v13, 0x600, v0
	v_cmp_gt_u32_e32 vcc, s18, v13
	s_and_saveexec_b64 s[0:1], vcc
	s_cbranch_execz .LBB538_297
; %bb.289:
	v_cmp_le_u32_e32 vcc, v2, v13
	s_and_saveexec_b64 s[2:3], vcc
	s_xor_b64 s[2:3], exec, s[2:3]
	s_cbranch_execz .LBB538_295
; %bb.290:
	v_cmp_le_u32_e32 vcc, v12, v13
	s_and_saveexec_b64 s[4:5], vcc
	s_xor_b64 s[4:5], exec, s[4:5]
	s_cbranch_execz .LBB538_292
; %bb.291:
	v_add_co_u32_e32 v14, vcc, v1, v13
	v_lshlrev_b32_e32 v13, 2, v0
	ds_read_b32 v13, v13 offset:6144
	v_addc_co_u32_e32 v15, vcc, 0, v4, vcc
	v_lshlrev_b64 v[14:15], 2, v[14:15]
	v_mov_b32_e32 v16, s7
	v_sub_co_u32_e32 v14, vcc, s6, v14
	v_subb_co_u32_e32 v15, vcc, v16, v15, vcc
	s_waitcnt lgkmcnt(0)
	global_store_dword v[14:15], v13, off
                                        ; implicit-def: $vgpr13
.LBB538_292:
	s_andn2_saveexec_b64 s[4:5], s[4:5]
	s_cbranch_execz .LBB538_294
; %bb.293:
	v_lshlrev_b32_e32 v14, 2, v0
	ds_read_b32 v14, v14 offset:6144
	v_lshlrev_b32_e32 v13, 2, v13
	v_readfirstlane_b32 s8, v8
	v_readfirstlane_b32 s9, v9
	s_waitcnt lgkmcnt(0)
	s_nop 3
	global_store_dword v13, v14, s[8:9]
.LBB538_294:
	s_or_b64 exec, exec, s[4:5]
                                        ; implicit-def: $vgpr13
.LBB538_295:
	s_andn2_saveexec_b64 s[2:3], s[2:3]
	s_cbranch_execz .LBB538_297
; %bb.296:
	v_lshlrev_b32_e32 v14, 2, v0
	ds_read_b32 v14, v14 offset:6144
	v_lshlrev_b32_e32 v13, 2, v13
	v_readfirstlane_b32 s2, v10
	v_readfirstlane_b32 s3, v11
	s_waitcnt lgkmcnt(0)
	s_nop 3
	global_store_dword v13, v14, s[2:3]
.LBB538_297:
	;; [unrolled: 55-line block ×7, first 2 shown]
	s_or_b64 exec, exec, s[0:1]
	v_or_b32_e32 v13, 0xc00, v0
	v_cmp_gt_u32_e32 vcc, s18, v13
	s_and_saveexec_b64 s[0:1], vcc
	s_cbranch_execz .LBB538_351
; %bb.343:
	v_cmp_le_u32_e32 vcc, v2, v13
	s_and_saveexec_b64 s[2:3], vcc
	s_xor_b64 s[2:3], exec, s[2:3]
	s_cbranch_execz .LBB538_349
; %bb.344:
	v_cmp_le_u32_e32 vcc, v12, v13
	s_and_saveexec_b64 s[4:5], vcc
	s_xor_b64 s[4:5], exec, s[4:5]
	s_cbranch_execz .LBB538_346
; %bb.345:
	v_add_co_u32_e32 v8, vcc, v1, v13
	v_lshlrev_b32_e32 v1, 2, v0
	ds_read_b32 v1, v1 offset:12288
	v_addc_co_u32_e32 v9, vcc, 0, v4, vcc
	v_lshlrev_b64 v[8:9], 2, v[8:9]
	v_mov_b32_e32 v4, s7
	v_sub_co_u32_e32 v8, vcc, s6, v8
	v_subb_co_u32_e32 v9, vcc, v4, v9, vcc
	s_waitcnt lgkmcnt(0)
	global_store_dword v[8:9], v1, off
                                        ; implicit-def: $vgpr13
                                        ; implicit-def: $vgpr8_vgpr9
.LBB538_346:
	s_andn2_saveexec_b64 s[4:5], s[4:5]
	s_cbranch_execz .LBB538_348
; %bb.347:
	v_lshlrev_b32_e32 v1, 2, v0
	ds_read_b32 v1, v1 offset:12288
	v_lshlrev_b32_e32 v4, 2, v13
	v_readfirstlane_b32 s6, v8
	v_readfirstlane_b32 s7, v9
	s_waitcnt lgkmcnt(0)
	s_nop 3
	global_store_dword v4, v1, s[6:7]
.LBB538_348:
	s_or_b64 exec, exec, s[4:5]
                                        ; implicit-def: $vgpr13
                                        ; implicit-def: $vgpr10_vgpr11
.LBB538_349:
	s_andn2_saveexec_b64 s[2:3], s[2:3]
	s_cbranch_execz .LBB538_351
; %bb.350:
	v_lshlrev_b32_e32 v1, 2, v0
	ds_read_b32 v1, v1 offset:12288
	v_lshlrev_b32_e32 v4, 2, v13
	v_readfirstlane_b32 s2, v10
	v_readfirstlane_b32 s3, v11
	s_waitcnt lgkmcnt(0)
	s_nop 3
	global_store_dword v4, v1, s[2:3]
.LBB538_351:
	s_or_b64 exec, exec, s[0:1]
	v_cmp_eq_u32_e32 vcc, 0, v0
	s_and_b64 s[0:1], vcc, s[30:31]
	s_and_saveexec_b64 s[2:3], s[0:1]
	s_cbranch_execz .LBB538_128
.LBB538_352:
	v_add_co_u32_e32 v0, vcc, v6, v2
	v_addc_co_u32_e32 v1, vcc, 0, v7, vcc
	v_mov_b32_e32 v2, s51
	v_add_co_u32_e32 v3, vcc, s50, v3
	v_addc_co_u32_e32 v6, vcc, 0, v2, vcc
	v_add_co_u32_e32 v2, vcc, v3, v5
	v_mov_b32_e32 v4, 0
	v_addc_co_u32_e32 v3, vcc, 0, v6, vcc
	global_store_dwordx4 v4, v[0:3], s[44:45]
	s_endpgm
	.section	.rodata,"a",@progbits
	.p2align	6, 0x0
	.amdhsa_kernel _ZN7rocprim17ROCPRIM_400000_NS6detail17trampoline_kernelINS0_13select_configILj256ELj13ELNS0_17block_load_methodE3ELS4_3ELS4_3ELNS0_20block_scan_algorithmE0ELj4294967295EEENS1_25partition_config_selectorILNS1_17partition_subalgoE4EjNS0_10empty_typeEbEEZZNS1_14partition_implILS8_4ELb0ES6_15HIP_vector_typeIjLj2EENS0_17counting_iteratorIjlEEPS9_SG_NS0_5tupleIJPjSI_NS0_16reverse_iteratorISI_EEEEENSH_IJSG_SG_SG_EEES9_SI_JZNS1_25segmented_radix_sort_implINS0_14default_configELb0EPKiPiPKlPlN2at6native12_GLOBAL__N_18offset_tEEE10hipError_tPvRmT1_PNSt15iterator_traitsIS12_E10value_typeET2_T3_PNS13_IS18_E10value_typeET4_jRbjT5_S1E_jjP12ihipStream_tbEUljE_ZNSN_ISO_Lb0ESQ_SR_ST_SU_SY_EESZ_S10_S11_S12_S16_S17_S18_S1B_S1C_jS1D_jS1E_S1E_jjS1G_bEUljE0_EEESZ_S10_S11_S18_S1C_S1E_T6_T7_T9_mT8_S1G_bDpT10_ENKUlT_T0_E_clISt17integral_constantIbLb0EES1U_EEDaS1P_S1Q_EUlS1P_E_NS1_11comp_targetILNS1_3genE4ELNS1_11target_archE910ELNS1_3gpuE8ELNS1_3repE0EEENS1_30default_config_static_selectorELNS0_4arch9wavefront6targetE1EEEvS12_
		.amdhsa_group_segment_fixed_size 13340
		.amdhsa_private_segment_fixed_size 0
		.amdhsa_kernarg_size 176
		.amdhsa_user_sgpr_count 6
		.amdhsa_user_sgpr_private_segment_buffer 1
		.amdhsa_user_sgpr_dispatch_ptr 0
		.amdhsa_user_sgpr_queue_ptr 0
		.amdhsa_user_sgpr_kernarg_segment_ptr 1
		.amdhsa_user_sgpr_dispatch_id 0
		.amdhsa_user_sgpr_flat_scratch_init 0
		.amdhsa_user_sgpr_kernarg_preload_length 0
		.amdhsa_user_sgpr_kernarg_preload_offset 0
		.amdhsa_user_sgpr_private_segment_size 0
		.amdhsa_uses_dynamic_stack 0
		.amdhsa_system_sgpr_private_segment_wavefront_offset 0
		.amdhsa_system_sgpr_workgroup_id_x 1
		.amdhsa_system_sgpr_workgroup_id_y 0
		.amdhsa_system_sgpr_workgroup_id_z 0
		.amdhsa_system_sgpr_workgroup_info 0
		.amdhsa_system_vgpr_workitem_id 0
		.amdhsa_next_free_vgpr 102
		.amdhsa_next_free_sgpr 90
		.amdhsa_accum_offset 104
		.amdhsa_reserve_vcc 1
		.amdhsa_reserve_flat_scratch 0
		.amdhsa_float_round_mode_32 0
		.amdhsa_float_round_mode_16_64 0
		.amdhsa_float_denorm_mode_32 3
		.amdhsa_float_denorm_mode_16_64 3
		.amdhsa_dx10_clamp 1
		.amdhsa_ieee_mode 1
		.amdhsa_fp16_overflow 0
		.amdhsa_tg_split 0
		.amdhsa_exception_fp_ieee_invalid_op 0
		.amdhsa_exception_fp_denorm_src 0
		.amdhsa_exception_fp_ieee_div_zero 0
		.amdhsa_exception_fp_ieee_overflow 0
		.amdhsa_exception_fp_ieee_underflow 0
		.amdhsa_exception_fp_ieee_inexact 0
		.amdhsa_exception_int_div_zero 0
	.end_amdhsa_kernel
	.section	.text._ZN7rocprim17ROCPRIM_400000_NS6detail17trampoline_kernelINS0_13select_configILj256ELj13ELNS0_17block_load_methodE3ELS4_3ELS4_3ELNS0_20block_scan_algorithmE0ELj4294967295EEENS1_25partition_config_selectorILNS1_17partition_subalgoE4EjNS0_10empty_typeEbEEZZNS1_14partition_implILS8_4ELb0ES6_15HIP_vector_typeIjLj2EENS0_17counting_iteratorIjlEEPS9_SG_NS0_5tupleIJPjSI_NS0_16reverse_iteratorISI_EEEEENSH_IJSG_SG_SG_EEES9_SI_JZNS1_25segmented_radix_sort_implINS0_14default_configELb0EPKiPiPKlPlN2at6native12_GLOBAL__N_18offset_tEEE10hipError_tPvRmT1_PNSt15iterator_traitsIS12_E10value_typeET2_T3_PNS13_IS18_E10value_typeET4_jRbjT5_S1E_jjP12ihipStream_tbEUljE_ZNSN_ISO_Lb0ESQ_SR_ST_SU_SY_EESZ_S10_S11_S12_S16_S17_S18_S1B_S1C_jS1D_jS1E_S1E_jjS1G_bEUljE0_EEESZ_S10_S11_S18_S1C_S1E_T6_T7_T9_mT8_S1G_bDpT10_ENKUlT_T0_E_clISt17integral_constantIbLb0EES1U_EEDaS1P_S1Q_EUlS1P_E_NS1_11comp_targetILNS1_3genE4ELNS1_11target_archE910ELNS1_3gpuE8ELNS1_3repE0EEENS1_30default_config_static_selectorELNS0_4arch9wavefront6targetE1EEEvS12_,"axG",@progbits,_ZN7rocprim17ROCPRIM_400000_NS6detail17trampoline_kernelINS0_13select_configILj256ELj13ELNS0_17block_load_methodE3ELS4_3ELS4_3ELNS0_20block_scan_algorithmE0ELj4294967295EEENS1_25partition_config_selectorILNS1_17partition_subalgoE4EjNS0_10empty_typeEbEEZZNS1_14partition_implILS8_4ELb0ES6_15HIP_vector_typeIjLj2EENS0_17counting_iteratorIjlEEPS9_SG_NS0_5tupleIJPjSI_NS0_16reverse_iteratorISI_EEEEENSH_IJSG_SG_SG_EEES9_SI_JZNS1_25segmented_radix_sort_implINS0_14default_configELb0EPKiPiPKlPlN2at6native12_GLOBAL__N_18offset_tEEE10hipError_tPvRmT1_PNSt15iterator_traitsIS12_E10value_typeET2_T3_PNS13_IS18_E10value_typeET4_jRbjT5_S1E_jjP12ihipStream_tbEUljE_ZNSN_ISO_Lb0ESQ_SR_ST_SU_SY_EESZ_S10_S11_S12_S16_S17_S18_S1B_S1C_jS1D_jS1E_S1E_jjS1G_bEUljE0_EEESZ_S10_S11_S18_S1C_S1E_T6_T7_T9_mT8_S1G_bDpT10_ENKUlT_T0_E_clISt17integral_constantIbLb0EES1U_EEDaS1P_S1Q_EUlS1P_E_NS1_11comp_targetILNS1_3genE4ELNS1_11target_archE910ELNS1_3gpuE8ELNS1_3repE0EEENS1_30default_config_static_selectorELNS0_4arch9wavefront6targetE1EEEvS12_,comdat
.Lfunc_end538:
	.size	_ZN7rocprim17ROCPRIM_400000_NS6detail17trampoline_kernelINS0_13select_configILj256ELj13ELNS0_17block_load_methodE3ELS4_3ELS4_3ELNS0_20block_scan_algorithmE0ELj4294967295EEENS1_25partition_config_selectorILNS1_17partition_subalgoE4EjNS0_10empty_typeEbEEZZNS1_14partition_implILS8_4ELb0ES6_15HIP_vector_typeIjLj2EENS0_17counting_iteratorIjlEEPS9_SG_NS0_5tupleIJPjSI_NS0_16reverse_iteratorISI_EEEEENSH_IJSG_SG_SG_EEES9_SI_JZNS1_25segmented_radix_sort_implINS0_14default_configELb0EPKiPiPKlPlN2at6native12_GLOBAL__N_18offset_tEEE10hipError_tPvRmT1_PNSt15iterator_traitsIS12_E10value_typeET2_T3_PNS13_IS18_E10value_typeET4_jRbjT5_S1E_jjP12ihipStream_tbEUljE_ZNSN_ISO_Lb0ESQ_SR_ST_SU_SY_EESZ_S10_S11_S12_S16_S17_S18_S1B_S1C_jS1D_jS1E_S1E_jjS1G_bEUljE0_EEESZ_S10_S11_S18_S1C_S1E_T6_T7_T9_mT8_S1G_bDpT10_ENKUlT_T0_E_clISt17integral_constantIbLb0EES1U_EEDaS1P_S1Q_EUlS1P_E_NS1_11comp_targetILNS1_3genE4ELNS1_11target_archE910ELNS1_3gpuE8ELNS1_3repE0EEENS1_30default_config_static_selectorELNS0_4arch9wavefront6targetE1EEEvS12_, .Lfunc_end538-_ZN7rocprim17ROCPRIM_400000_NS6detail17trampoline_kernelINS0_13select_configILj256ELj13ELNS0_17block_load_methodE3ELS4_3ELS4_3ELNS0_20block_scan_algorithmE0ELj4294967295EEENS1_25partition_config_selectorILNS1_17partition_subalgoE4EjNS0_10empty_typeEbEEZZNS1_14partition_implILS8_4ELb0ES6_15HIP_vector_typeIjLj2EENS0_17counting_iteratorIjlEEPS9_SG_NS0_5tupleIJPjSI_NS0_16reverse_iteratorISI_EEEEENSH_IJSG_SG_SG_EEES9_SI_JZNS1_25segmented_radix_sort_implINS0_14default_configELb0EPKiPiPKlPlN2at6native12_GLOBAL__N_18offset_tEEE10hipError_tPvRmT1_PNSt15iterator_traitsIS12_E10value_typeET2_T3_PNS13_IS18_E10value_typeET4_jRbjT5_S1E_jjP12ihipStream_tbEUljE_ZNSN_ISO_Lb0ESQ_SR_ST_SU_SY_EESZ_S10_S11_S12_S16_S17_S18_S1B_S1C_jS1D_jS1E_S1E_jjS1G_bEUljE0_EEESZ_S10_S11_S18_S1C_S1E_T6_T7_T9_mT8_S1G_bDpT10_ENKUlT_T0_E_clISt17integral_constantIbLb0EES1U_EEDaS1P_S1Q_EUlS1P_E_NS1_11comp_targetILNS1_3genE4ELNS1_11target_archE910ELNS1_3gpuE8ELNS1_3repE0EEENS1_30default_config_static_selectorELNS0_4arch9wavefront6targetE1EEEvS12_
                                        ; -- End function
	.section	.AMDGPU.csdata,"",@progbits
; Kernel info:
; codeLenInByte = 13332
; NumSgprs: 94
; NumVgprs: 102
; NumAgprs: 0
; TotalNumVgprs: 102
; ScratchSize: 0
; MemoryBound: 0
; FloatMode: 240
; IeeeMode: 1
; LDSByteSize: 13340 bytes/workgroup (compile time only)
; SGPRBlocks: 11
; VGPRBlocks: 12
; NumSGPRsForWavesPerEU: 94
; NumVGPRsForWavesPerEU: 102
; AccumOffset: 104
; Occupancy: 4
; WaveLimiterHint : 1
; COMPUTE_PGM_RSRC2:SCRATCH_EN: 0
; COMPUTE_PGM_RSRC2:USER_SGPR: 6
; COMPUTE_PGM_RSRC2:TRAP_HANDLER: 0
; COMPUTE_PGM_RSRC2:TGID_X_EN: 1
; COMPUTE_PGM_RSRC2:TGID_Y_EN: 0
; COMPUTE_PGM_RSRC2:TGID_Z_EN: 0
; COMPUTE_PGM_RSRC2:TIDIG_COMP_CNT: 0
; COMPUTE_PGM_RSRC3_GFX90A:ACCUM_OFFSET: 25
; COMPUTE_PGM_RSRC3_GFX90A:TG_SPLIT: 0
	.section	.text._ZN7rocprim17ROCPRIM_400000_NS6detail17trampoline_kernelINS0_13select_configILj256ELj13ELNS0_17block_load_methodE3ELS4_3ELS4_3ELNS0_20block_scan_algorithmE0ELj4294967295EEENS1_25partition_config_selectorILNS1_17partition_subalgoE4EjNS0_10empty_typeEbEEZZNS1_14partition_implILS8_4ELb0ES6_15HIP_vector_typeIjLj2EENS0_17counting_iteratorIjlEEPS9_SG_NS0_5tupleIJPjSI_NS0_16reverse_iteratorISI_EEEEENSH_IJSG_SG_SG_EEES9_SI_JZNS1_25segmented_radix_sort_implINS0_14default_configELb0EPKiPiPKlPlN2at6native12_GLOBAL__N_18offset_tEEE10hipError_tPvRmT1_PNSt15iterator_traitsIS12_E10value_typeET2_T3_PNS13_IS18_E10value_typeET4_jRbjT5_S1E_jjP12ihipStream_tbEUljE_ZNSN_ISO_Lb0ESQ_SR_ST_SU_SY_EESZ_S10_S11_S12_S16_S17_S18_S1B_S1C_jS1D_jS1E_S1E_jjS1G_bEUljE0_EEESZ_S10_S11_S18_S1C_S1E_T6_T7_T9_mT8_S1G_bDpT10_ENKUlT_T0_E_clISt17integral_constantIbLb0EES1U_EEDaS1P_S1Q_EUlS1P_E_NS1_11comp_targetILNS1_3genE3ELNS1_11target_archE908ELNS1_3gpuE7ELNS1_3repE0EEENS1_30default_config_static_selectorELNS0_4arch9wavefront6targetE1EEEvS12_,"axG",@progbits,_ZN7rocprim17ROCPRIM_400000_NS6detail17trampoline_kernelINS0_13select_configILj256ELj13ELNS0_17block_load_methodE3ELS4_3ELS4_3ELNS0_20block_scan_algorithmE0ELj4294967295EEENS1_25partition_config_selectorILNS1_17partition_subalgoE4EjNS0_10empty_typeEbEEZZNS1_14partition_implILS8_4ELb0ES6_15HIP_vector_typeIjLj2EENS0_17counting_iteratorIjlEEPS9_SG_NS0_5tupleIJPjSI_NS0_16reverse_iteratorISI_EEEEENSH_IJSG_SG_SG_EEES9_SI_JZNS1_25segmented_radix_sort_implINS0_14default_configELb0EPKiPiPKlPlN2at6native12_GLOBAL__N_18offset_tEEE10hipError_tPvRmT1_PNSt15iterator_traitsIS12_E10value_typeET2_T3_PNS13_IS18_E10value_typeET4_jRbjT5_S1E_jjP12ihipStream_tbEUljE_ZNSN_ISO_Lb0ESQ_SR_ST_SU_SY_EESZ_S10_S11_S12_S16_S17_S18_S1B_S1C_jS1D_jS1E_S1E_jjS1G_bEUljE0_EEESZ_S10_S11_S18_S1C_S1E_T6_T7_T9_mT8_S1G_bDpT10_ENKUlT_T0_E_clISt17integral_constantIbLb0EES1U_EEDaS1P_S1Q_EUlS1P_E_NS1_11comp_targetILNS1_3genE3ELNS1_11target_archE908ELNS1_3gpuE7ELNS1_3repE0EEENS1_30default_config_static_selectorELNS0_4arch9wavefront6targetE1EEEvS12_,comdat
	.globl	_ZN7rocprim17ROCPRIM_400000_NS6detail17trampoline_kernelINS0_13select_configILj256ELj13ELNS0_17block_load_methodE3ELS4_3ELS4_3ELNS0_20block_scan_algorithmE0ELj4294967295EEENS1_25partition_config_selectorILNS1_17partition_subalgoE4EjNS0_10empty_typeEbEEZZNS1_14partition_implILS8_4ELb0ES6_15HIP_vector_typeIjLj2EENS0_17counting_iteratorIjlEEPS9_SG_NS0_5tupleIJPjSI_NS0_16reverse_iteratorISI_EEEEENSH_IJSG_SG_SG_EEES9_SI_JZNS1_25segmented_radix_sort_implINS0_14default_configELb0EPKiPiPKlPlN2at6native12_GLOBAL__N_18offset_tEEE10hipError_tPvRmT1_PNSt15iterator_traitsIS12_E10value_typeET2_T3_PNS13_IS18_E10value_typeET4_jRbjT5_S1E_jjP12ihipStream_tbEUljE_ZNSN_ISO_Lb0ESQ_SR_ST_SU_SY_EESZ_S10_S11_S12_S16_S17_S18_S1B_S1C_jS1D_jS1E_S1E_jjS1G_bEUljE0_EEESZ_S10_S11_S18_S1C_S1E_T6_T7_T9_mT8_S1G_bDpT10_ENKUlT_T0_E_clISt17integral_constantIbLb0EES1U_EEDaS1P_S1Q_EUlS1P_E_NS1_11comp_targetILNS1_3genE3ELNS1_11target_archE908ELNS1_3gpuE7ELNS1_3repE0EEENS1_30default_config_static_selectorELNS0_4arch9wavefront6targetE1EEEvS12_ ; -- Begin function _ZN7rocprim17ROCPRIM_400000_NS6detail17trampoline_kernelINS0_13select_configILj256ELj13ELNS0_17block_load_methodE3ELS4_3ELS4_3ELNS0_20block_scan_algorithmE0ELj4294967295EEENS1_25partition_config_selectorILNS1_17partition_subalgoE4EjNS0_10empty_typeEbEEZZNS1_14partition_implILS8_4ELb0ES6_15HIP_vector_typeIjLj2EENS0_17counting_iteratorIjlEEPS9_SG_NS0_5tupleIJPjSI_NS0_16reverse_iteratorISI_EEEEENSH_IJSG_SG_SG_EEES9_SI_JZNS1_25segmented_radix_sort_implINS0_14default_configELb0EPKiPiPKlPlN2at6native12_GLOBAL__N_18offset_tEEE10hipError_tPvRmT1_PNSt15iterator_traitsIS12_E10value_typeET2_T3_PNS13_IS18_E10value_typeET4_jRbjT5_S1E_jjP12ihipStream_tbEUljE_ZNSN_ISO_Lb0ESQ_SR_ST_SU_SY_EESZ_S10_S11_S12_S16_S17_S18_S1B_S1C_jS1D_jS1E_S1E_jjS1G_bEUljE0_EEESZ_S10_S11_S18_S1C_S1E_T6_T7_T9_mT8_S1G_bDpT10_ENKUlT_T0_E_clISt17integral_constantIbLb0EES1U_EEDaS1P_S1Q_EUlS1P_E_NS1_11comp_targetILNS1_3genE3ELNS1_11target_archE908ELNS1_3gpuE7ELNS1_3repE0EEENS1_30default_config_static_selectorELNS0_4arch9wavefront6targetE1EEEvS12_
	.p2align	8
	.type	_ZN7rocprim17ROCPRIM_400000_NS6detail17trampoline_kernelINS0_13select_configILj256ELj13ELNS0_17block_load_methodE3ELS4_3ELS4_3ELNS0_20block_scan_algorithmE0ELj4294967295EEENS1_25partition_config_selectorILNS1_17partition_subalgoE4EjNS0_10empty_typeEbEEZZNS1_14partition_implILS8_4ELb0ES6_15HIP_vector_typeIjLj2EENS0_17counting_iteratorIjlEEPS9_SG_NS0_5tupleIJPjSI_NS0_16reverse_iteratorISI_EEEEENSH_IJSG_SG_SG_EEES9_SI_JZNS1_25segmented_radix_sort_implINS0_14default_configELb0EPKiPiPKlPlN2at6native12_GLOBAL__N_18offset_tEEE10hipError_tPvRmT1_PNSt15iterator_traitsIS12_E10value_typeET2_T3_PNS13_IS18_E10value_typeET4_jRbjT5_S1E_jjP12ihipStream_tbEUljE_ZNSN_ISO_Lb0ESQ_SR_ST_SU_SY_EESZ_S10_S11_S12_S16_S17_S18_S1B_S1C_jS1D_jS1E_S1E_jjS1G_bEUljE0_EEESZ_S10_S11_S18_S1C_S1E_T6_T7_T9_mT8_S1G_bDpT10_ENKUlT_T0_E_clISt17integral_constantIbLb0EES1U_EEDaS1P_S1Q_EUlS1P_E_NS1_11comp_targetILNS1_3genE3ELNS1_11target_archE908ELNS1_3gpuE7ELNS1_3repE0EEENS1_30default_config_static_selectorELNS0_4arch9wavefront6targetE1EEEvS12_,@function
_ZN7rocprim17ROCPRIM_400000_NS6detail17trampoline_kernelINS0_13select_configILj256ELj13ELNS0_17block_load_methodE3ELS4_3ELS4_3ELNS0_20block_scan_algorithmE0ELj4294967295EEENS1_25partition_config_selectorILNS1_17partition_subalgoE4EjNS0_10empty_typeEbEEZZNS1_14partition_implILS8_4ELb0ES6_15HIP_vector_typeIjLj2EENS0_17counting_iteratorIjlEEPS9_SG_NS0_5tupleIJPjSI_NS0_16reverse_iteratorISI_EEEEENSH_IJSG_SG_SG_EEES9_SI_JZNS1_25segmented_radix_sort_implINS0_14default_configELb0EPKiPiPKlPlN2at6native12_GLOBAL__N_18offset_tEEE10hipError_tPvRmT1_PNSt15iterator_traitsIS12_E10value_typeET2_T3_PNS13_IS18_E10value_typeET4_jRbjT5_S1E_jjP12ihipStream_tbEUljE_ZNSN_ISO_Lb0ESQ_SR_ST_SU_SY_EESZ_S10_S11_S12_S16_S17_S18_S1B_S1C_jS1D_jS1E_S1E_jjS1G_bEUljE0_EEESZ_S10_S11_S18_S1C_S1E_T6_T7_T9_mT8_S1G_bDpT10_ENKUlT_T0_E_clISt17integral_constantIbLb0EES1U_EEDaS1P_S1Q_EUlS1P_E_NS1_11comp_targetILNS1_3genE3ELNS1_11target_archE908ELNS1_3gpuE7ELNS1_3repE0EEENS1_30default_config_static_selectorELNS0_4arch9wavefront6targetE1EEEvS12_: ; @_ZN7rocprim17ROCPRIM_400000_NS6detail17trampoline_kernelINS0_13select_configILj256ELj13ELNS0_17block_load_methodE3ELS4_3ELS4_3ELNS0_20block_scan_algorithmE0ELj4294967295EEENS1_25partition_config_selectorILNS1_17partition_subalgoE4EjNS0_10empty_typeEbEEZZNS1_14partition_implILS8_4ELb0ES6_15HIP_vector_typeIjLj2EENS0_17counting_iteratorIjlEEPS9_SG_NS0_5tupleIJPjSI_NS0_16reverse_iteratorISI_EEEEENSH_IJSG_SG_SG_EEES9_SI_JZNS1_25segmented_radix_sort_implINS0_14default_configELb0EPKiPiPKlPlN2at6native12_GLOBAL__N_18offset_tEEE10hipError_tPvRmT1_PNSt15iterator_traitsIS12_E10value_typeET2_T3_PNS13_IS18_E10value_typeET4_jRbjT5_S1E_jjP12ihipStream_tbEUljE_ZNSN_ISO_Lb0ESQ_SR_ST_SU_SY_EESZ_S10_S11_S12_S16_S17_S18_S1B_S1C_jS1D_jS1E_S1E_jjS1G_bEUljE0_EEESZ_S10_S11_S18_S1C_S1E_T6_T7_T9_mT8_S1G_bDpT10_ENKUlT_T0_E_clISt17integral_constantIbLb0EES1U_EEDaS1P_S1Q_EUlS1P_E_NS1_11comp_targetILNS1_3genE3ELNS1_11target_archE908ELNS1_3gpuE7ELNS1_3repE0EEENS1_30default_config_static_selectorELNS0_4arch9wavefront6targetE1EEEvS12_
; %bb.0:
	.section	.rodata,"a",@progbits
	.p2align	6, 0x0
	.amdhsa_kernel _ZN7rocprim17ROCPRIM_400000_NS6detail17trampoline_kernelINS0_13select_configILj256ELj13ELNS0_17block_load_methodE3ELS4_3ELS4_3ELNS0_20block_scan_algorithmE0ELj4294967295EEENS1_25partition_config_selectorILNS1_17partition_subalgoE4EjNS0_10empty_typeEbEEZZNS1_14partition_implILS8_4ELb0ES6_15HIP_vector_typeIjLj2EENS0_17counting_iteratorIjlEEPS9_SG_NS0_5tupleIJPjSI_NS0_16reverse_iteratorISI_EEEEENSH_IJSG_SG_SG_EEES9_SI_JZNS1_25segmented_radix_sort_implINS0_14default_configELb0EPKiPiPKlPlN2at6native12_GLOBAL__N_18offset_tEEE10hipError_tPvRmT1_PNSt15iterator_traitsIS12_E10value_typeET2_T3_PNS13_IS18_E10value_typeET4_jRbjT5_S1E_jjP12ihipStream_tbEUljE_ZNSN_ISO_Lb0ESQ_SR_ST_SU_SY_EESZ_S10_S11_S12_S16_S17_S18_S1B_S1C_jS1D_jS1E_S1E_jjS1G_bEUljE0_EEESZ_S10_S11_S18_S1C_S1E_T6_T7_T9_mT8_S1G_bDpT10_ENKUlT_T0_E_clISt17integral_constantIbLb0EES1U_EEDaS1P_S1Q_EUlS1P_E_NS1_11comp_targetILNS1_3genE3ELNS1_11target_archE908ELNS1_3gpuE7ELNS1_3repE0EEENS1_30default_config_static_selectorELNS0_4arch9wavefront6targetE1EEEvS12_
		.amdhsa_group_segment_fixed_size 0
		.amdhsa_private_segment_fixed_size 0
		.amdhsa_kernarg_size 176
		.amdhsa_user_sgpr_count 6
		.amdhsa_user_sgpr_private_segment_buffer 1
		.amdhsa_user_sgpr_dispatch_ptr 0
		.amdhsa_user_sgpr_queue_ptr 0
		.amdhsa_user_sgpr_kernarg_segment_ptr 1
		.amdhsa_user_sgpr_dispatch_id 0
		.amdhsa_user_sgpr_flat_scratch_init 0
		.amdhsa_user_sgpr_kernarg_preload_length 0
		.amdhsa_user_sgpr_kernarg_preload_offset 0
		.amdhsa_user_sgpr_private_segment_size 0
		.amdhsa_uses_dynamic_stack 0
		.amdhsa_system_sgpr_private_segment_wavefront_offset 0
		.amdhsa_system_sgpr_workgroup_id_x 1
		.amdhsa_system_sgpr_workgroup_id_y 0
		.amdhsa_system_sgpr_workgroup_id_z 0
		.amdhsa_system_sgpr_workgroup_info 0
		.amdhsa_system_vgpr_workitem_id 0
		.amdhsa_next_free_vgpr 1
		.amdhsa_next_free_sgpr 0
		.amdhsa_accum_offset 4
		.amdhsa_reserve_vcc 0
		.amdhsa_reserve_flat_scratch 0
		.amdhsa_float_round_mode_32 0
		.amdhsa_float_round_mode_16_64 0
		.amdhsa_float_denorm_mode_32 3
		.amdhsa_float_denorm_mode_16_64 3
		.amdhsa_dx10_clamp 1
		.amdhsa_ieee_mode 1
		.amdhsa_fp16_overflow 0
		.amdhsa_tg_split 0
		.amdhsa_exception_fp_ieee_invalid_op 0
		.amdhsa_exception_fp_denorm_src 0
		.amdhsa_exception_fp_ieee_div_zero 0
		.amdhsa_exception_fp_ieee_overflow 0
		.amdhsa_exception_fp_ieee_underflow 0
		.amdhsa_exception_fp_ieee_inexact 0
		.amdhsa_exception_int_div_zero 0
	.end_amdhsa_kernel
	.section	.text._ZN7rocprim17ROCPRIM_400000_NS6detail17trampoline_kernelINS0_13select_configILj256ELj13ELNS0_17block_load_methodE3ELS4_3ELS4_3ELNS0_20block_scan_algorithmE0ELj4294967295EEENS1_25partition_config_selectorILNS1_17partition_subalgoE4EjNS0_10empty_typeEbEEZZNS1_14partition_implILS8_4ELb0ES6_15HIP_vector_typeIjLj2EENS0_17counting_iteratorIjlEEPS9_SG_NS0_5tupleIJPjSI_NS0_16reverse_iteratorISI_EEEEENSH_IJSG_SG_SG_EEES9_SI_JZNS1_25segmented_radix_sort_implINS0_14default_configELb0EPKiPiPKlPlN2at6native12_GLOBAL__N_18offset_tEEE10hipError_tPvRmT1_PNSt15iterator_traitsIS12_E10value_typeET2_T3_PNS13_IS18_E10value_typeET4_jRbjT5_S1E_jjP12ihipStream_tbEUljE_ZNSN_ISO_Lb0ESQ_SR_ST_SU_SY_EESZ_S10_S11_S12_S16_S17_S18_S1B_S1C_jS1D_jS1E_S1E_jjS1G_bEUljE0_EEESZ_S10_S11_S18_S1C_S1E_T6_T7_T9_mT8_S1G_bDpT10_ENKUlT_T0_E_clISt17integral_constantIbLb0EES1U_EEDaS1P_S1Q_EUlS1P_E_NS1_11comp_targetILNS1_3genE3ELNS1_11target_archE908ELNS1_3gpuE7ELNS1_3repE0EEENS1_30default_config_static_selectorELNS0_4arch9wavefront6targetE1EEEvS12_,"axG",@progbits,_ZN7rocprim17ROCPRIM_400000_NS6detail17trampoline_kernelINS0_13select_configILj256ELj13ELNS0_17block_load_methodE3ELS4_3ELS4_3ELNS0_20block_scan_algorithmE0ELj4294967295EEENS1_25partition_config_selectorILNS1_17partition_subalgoE4EjNS0_10empty_typeEbEEZZNS1_14partition_implILS8_4ELb0ES6_15HIP_vector_typeIjLj2EENS0_17counting_iteratorIjlEEPS9_SG_NS0_5tupleIJPjSI_NS0_16reverse_iteratorISI_EEEEENSH_IJSG_SG_SG_EEES9_SI_JZNS1_25segmented_radix_sort_implINS0_14default_configELb0EPKiPiPKlPlN2at6native12_GLOBAL__N_18offset_tEEE10hipError_tPvRmT1_PNSt15iterator_traitsIS12_E10value_typeET2_T3_PNS13_IS18_E10value_typeET4_jRbjT5_S1E_jjP12ihipStream_tbEUljE_ZNSN_ISO_Lb0ESQ_SR_ST_SU_SY_EESZ_S10_S11_S12_S16_S17_S18_S1B_S1C_jS1D_jS1E_S1E_jjS1G_bEUljE0_EEESZ_S10_S11_S18_S1C_S1E_T6_T7_T9_mT8_S1G_bDpT10_ENKUlT_T0_E_clISt17integral_constantIbLb0EES1U_EEDaS1P_S1Q_EUlS1P_E_NS1_11comp_targetILNS1_3genE3ELNS1_11target_archE908ELNS1_3gpuE7ELNS1_3repE0EEENS1_30default_config_static_selectorELNS0_4arch9wavefront6targetE1EEEvS12_,comdat
.Lfunc_end539:
	.size	_ZN7rocprim17ROCPRIM_400000_NS6detail17trampoline_kernelINS0_13select_configILj256ELj13ELNS0_17block_load_methodE3ELS4_3ELS4_3ELNS0_20block_scan_algorithmE0ELj4294967295EEENS1_25partition_config_selectorILNS1_17partition_subalgoE4EjNS0_10empty_typeEbEEZZNS1_14partition_implILS8_4ELb0ES6_15HIP_vector_typeIjLj2EENS0_17counting_iteratorIjlEEPS9_SG_NS0_5tupleIJPjSI_NS0_16reverse_iteratorISI_EEEEENSH_IJSG_SG_SG_EEES9_SI_JZNS1_25segmented_radix_sort_implINS0_14default_configELb0EPKiPiPKlPlN2at6native12_GLOBAL__N_18offset_tEEE10hipError_tPvRmT1_PNSt15iterator_traitsIS12_E10value_typeET2_T3_PNS13_IS18_E10value_typeET4_jRbjT5_S1E_jjP12ihipStream_tbEUljE_ZNSN_ISO_Lb0ESQ_SR_ST_SU_SY_EESZ_S10_S11_S12_S16_S17_S18_S1B_S1C_jS1D_jS1E_S1E_jjS1G_bEUljE0_EEESZ_S10_S11_S18_S1C_S1E_T6_T7_T9_mT8_S1G_bDpT10_ENKUlT_T0_E_clISt17integral_constantIbLb0EES1U_EEDaS1P_S1Q_EUlS1P_E_NS1_11comp_targetILNS1_3genE3ELNS1_11target_archE908ELNS1_3gpuE7ELNS1_3repE0EEENS1_30default_config_static_selectorELNS0_4arch9wavefront6targetE1EEEvS12_, .Lfunc_end539-_ZN7rocprim17ROCPRIM_400000_NS6detail17trampoline_kernelINS0_13select_configILj256ELj13ELNS0_17block_load_methodE3ELS4_3ELS4_3ELNS0_20block_scan_algorithmE0ELj4294967295EEENS1_25partition_config_selectorILNS1_17partition_subalgoE4EjNS0_10empty_typeEbEEZZNS1_14partition_implILS8_4ELb0ES6_15HIP_vector_typeIjLj2EENS0_17counting_iteratorIjlEEPS9_SG_NS0_5tupleIJPjSI_NS0_16reverse_iteratorISI_EEEEENSH_IJSG_SG_SG_EEES9_SI_JZNS1_25segmented_radix_sort_implINS0_14default_configELb0EPKiPiPKlPlN2at6native12_GLOBAL__N_18offset_tEEE10hipError_tPvRmT1_PNSt15iterator_traitsIS12_E10value_typeET2_T3_PNS13_IS18_E10value_typeET4_jRbjT5_S1E_jjP12ihipStream_tbEUljE_ZNSN_ISO_Lb0ESQ_SR_ST_SU_SY_EESZ_S10_S11_S12_S16_S17_S18_S1B_S1C_jS1D_jS1E_S1E_jjS1G_bEUljE0_EEESZ_S10_S11_S18_S1C_S1E_T6_T7_T9_mT8_S1G_bDpT10_ENKUlT_T0_E_clISt17integral_constantIbLb0EES1U_EEDaS1P_S1Q_EUlS1P_E_NS1_11comp_targetILNS1_3genE3ELNS1_11target_archE908ELNS1_3gpuE7ELNS1_3repE0EEENS1_30default_config_static_selectorELNS0_4arch9wavefront6targetE1EEEvS12_
                                        ; -- End function
	.section	.AMDGPU.csdata,"",@progbits
; Kernel info:
; codeLenInByte = 0
; NumSgprs: 4
; NumVgprs: 0
; NumAgprs: 0
; TotalNumVgprs: 0
; ScratchSize: 0
; MemoryBound: 0
; FloatMode: 240
; IeeeMode: 1
; LDSByteSize: 0 bytes/workgroup (compile time only)
; SGPRBlocks: 0
; VGPRBlocks: 0
; NumSGPRsForWavesPerEU: 4
; NumVGPRsForWavesPerEU: 1
; AccumOffset: 4
; Occupancy: 8
; WaveLimiterHint : 0
; COMPUTE_PGM_RSRC2:SCRATCH_EN: 0
; COMPUTE_PGM_RSRC2:USER_SGPR: 6
; COMPUTE_PGM_RSRC2:TRAP_HANDLER: 0
; COMPUTE_PGM_RSRC2:TGID_X_EN: 1
; COMPUTE_PGM_RSRC2:TGID_Y_EN: 0
; COMPUTE_PGM_RSRC2:TGID_Z_EN: 0
; COMPUTE_PGM_RSRC2:TIDIG_COMP_CNT: 0
; COMPUTE_PGM_RSRC3_GFX90A:ACCUM_OFFSET: 0
; COMPUTE_PGM_RSRC3_GFX90A:TG_SPLIT: 0
	.section	.text._ZN7rocprim17ROCPRIM_400000_NS6detail17trampoline_kernelINS0_13select_configILj256ELj13ELNS0_17block_load_methodE3ELS4_3ELS4_3ELNS0_20block_scan_algorithmE0ELj4294967295EEENS1_25partition_config_selectorILNS1_17partition_subalgoE4EjNS0_10empty_typeEbEEZZNS1_14partition_implILS8_4ELb0ES6_15HIP_vector_typeIjLj2EENS0_17counting_iteratorIjlEEPS9_SG_NS0_5tupleIJPjSI_NS0_16reverse_iteratorISI_EEEEENSH_IJSG_SG_SG_EEES9_SI_JZNS1_25segmented_radix_sort_implINS0_14default_configELb0EPKiPiPKlPlN2at6native12_GLOBAL__N_18offset_tEEE10hipError_tPvRmT1_PNSt15iterator_traitsIS12_E10value_typeET2_T3_PNS13_IS18_E10value_typeET4_jRbjT5_S1E_jjP12ihipStream_tbEUljE_ZNSN_ISO_Lb0ESQ_SR_ST_SU_SY_EESZ_S10_S11_S12_S16_S17_S18_S1B_S1C_jS1D_jS1E_S1E_jjS1G_bEUljE0_EEESZ_S10_S11_S18_S1C_S1E_T6_T7_T9_mT8_S1G_bDpT10_ENKUlT_T0_E_clISt17integral_constantIbLb0EES1U_EEDaS1P_S1Q_EUlS1P_E_NS1_11comp_targetILNS1_3genE2ELNS1_11target_archE906ELNS1_3gpuE6ELNS1_3repE0EEENS1_30default_config_static_selectorELNS0_4arch9wavefront6targetE1EEEvS12_,"axG",@progbits,_ZN7rocprim17ROCPRIM_400000_NS6detail17trampoline_kernelINS0_13select_configILj256ELj13ELNS0_17block_load_methodE3ELS4_3ELS4_3ELNS0_20block_scan_algorithmE0ELj4294967295EEENS1_25partition_config_selectorILNS1_17partition_subalgoE4EjNS0_10empty_typeEbEEZZNS1_14partition_implILS8_4ELb0ES6_15HIP_vector_typeIjLj2EENS0_17counting_iteratorIjlEEPS9_SG_NS0_5tupleIJPjSI_NS0_16reverse_iteratorISI_EEEEENSH_IJSG_SG_SG_EEES9_SI_JZNS1_25segmented_radix_sort_implINS0_14default_configELb0EPKiPiPKlPlN2at6native12_GLOBAL__N_18offset_tEEE10hipError_tPvRmT1_PNSt15iterator_traitsIS12_E10value_typeET2_T3_PNS13_IS18_E10value_typeET4_jRbjT5_S1E_jjP12ihipStream_tbEUljE_ZNSN_ISO_Lb0ESQ_SR_ST_SU_SY_EESZ_S10_S11_S12_S16_S17_S18_S1B_S1C_jS1D_jS1E_S1E_jjS1G_bEUljE0_EEESZ_S10_S11_S18_S1C_S1E_T6_T7_T9_mT8_S1G_bDpT10_ENKUlT_T0_E_clISt17integral_constantIbLb0EES1U_EEDaS1P_S1Q_EUlS1P_E_NS1_11comp_targetILNS1_3genE2ELNS1_11target_archE906ELNS1_3gpuE6ELNS1_3repE0EEENS1_30default_config_static_selectorELNS0_4arch9wavefront6targetE1EEEvS12_,comdat
	.globl	_ZN7rocprim17ROCPRIM_400000_NS6detail17trampoline_kernelINS0_13select_configILj256ELj13ELNS0_17block_load_methodE3ELS4_3ELS4_3ELNS0_20block_scan_algorithmE0ELj4294967295EEENS1_25partition_config_selectorILNS1_17partition_subalgoE4EjNS0_10empty_typeEbEEZZNS1_14partition_implILS8_4ELb0ES6_15HIP_vector_typeIjLj2EENS0_17counting_iteratorIjlEEPS9_SG_NS0_5tupleIJPjSI_NS0_16reverse_iteratorISI_EEEEENSH_IJSG_SG_SG_EEES9_SI_JZNS1_25segmented_radix_sort_implINS0_14default_configELb0EPKiPiPKlPlN2at6native12_GLOBAL__N_18offset_tEEE10hipError_tPvRmT1_PNSt15iterator_traitsIS12_E10value_typeET2_T3_PNS13_IS18_E10value_typeET4_jRbjT5_S1E_jjP12ihipStream_tbEUljE_ZNSN_ISO_Lb0ESQ_SR_ST_SU_SY_EESZ_S10_S11_S12_S16_S17_S18_S1B_S1C_jS1D_jS1E_S1E_jjS1G_bEUljE0_EEESZ_S10_S11_S18_S1C_S1E_T6_T7_T9_mT8_S1G_bDpT10_ENKUlT_T0_E_clISt17integral_constantIbLb0EES1U_EEDaS1P_S1Q_EUlS1P_E_NS1_11comp_targetILNS1_3genE2ELNS1_11target_archE906ELNS1_3gpuE6ELNS1_3repE0EEENS1_30default_config_static_selectorELNS0_4arch9wavefront6targetE1EEEvS12_ ; -- Begin function _ZN7rocprim17ROCPRIM_400000_NS6detail17trampoline_kernelINS0_13select_configILj256ELj13ELNS0_17block_load_methodE3ELS4_3ELS4_3ELNS0_20block_scan_algorithmE0ELj4294967295EEENS1_25partition_config_selectorILNS1_17partition_subalgoE4EjNS0_10empty_typeEbEEZZNS1_14partition_implILS8_4ELb0ES6_15HIP_vector_typeIjLj2EENS0_17counting_iteratorIjlEEPS9_SG_NS0_5tupleIJPjSI_NS0_16reverse_iteratorISI_EEEEENSH_IJSG_SG_SG_EEES9_SI_JZNS1_25segmented_radix_sort_implINS0_14default_configELb0EPKiPiPKlPlN2at6native12_GLOBAL__N_18offset_tEEE10hipError_tPvRmT1_PNSt15iterator_traitsIS12_E10value_typeET2_T3_PNS13_IS18_E10value_typeET4_jRbjT5_S1E_jjP12ihipStream_tbEUljE_ZNSN_ISO_Lb0ESQ_SR_ST_SU_SY_EESZ_S10_S11_S12_S16_S17_S18_S1B_S1C_jS1D_jS1E_S1E_jjS1G_bEUljE0_EEESZ_S10_S11_S18_S1C_S1E_T6_T7_T9_mT8_S1G_bDpT10_ENKUlT_T0_E_clISt17integral_constantIbLb0EES1U_EEDaS1P_S1Q_EUlS1P_E_NS1_11comp_targetILNS1_3genE2ELNS1_11target_archE906ELNS1_3gpuE6ELNS1_3repE0EEENS1_30default_config_static_selectorELNS0_4arch9wavefront6targetE1EEEvS12_
	.p2align	8
	.type	_ZN7rocprim17ROCPRIM_400000_NS6detail17trampoline_kernelINS0_13select_configILj256ELj13ELNS0_17block_load_methodE3ELS4_3ELS4_3ELNS0_20block_scan_algorithmE0ELj4294967295EEENS1_25partition_config_selectorILNS1_17partition_subalgoE4EjNS0_10empty_typeEbEEZZNS1_14partition_implILS8_4ELb0ES6_15HIP_vector_typeIjLj2EENS0_17counting_iteratorIjlEEPS9_SG_NS0_5tupleIJPjSI_NS0_16reverse_iteratorISI_EEEEENSH_IJSG_SG_SG_EEES9_SI_JZNS1_25segmented_radix_sort_implINS0_14default_configELb0EPKiPiPKlPlN2at6native12_GLOBAL__N_18offset_tEEE10hipError_tPvRmT1_PNSt15iterator_traitsIS12_E10value_typeET2_T3_PNS13_IS18_E10value_typeET4_jRbjT5_S1E_jjP12ihipStream_tbEUljE_ZNSN_ISO_Lb0ESQ_SR_ST_SU_SY_EESZ_S10_S11_S12_S16_S17_S18_S1B_S1C_jS1D_jS1E_S1E_jjS1G_bEUljE0_EEESZ_S10_S11_S18_S1C_S1E_T6_T7_T9_mT8_S1G_bDpT10_ENKUlT_T0_E_clISt17integral_constantIbLb0EES1U_EEDaS1P_S1Q_EUlS1P_E_NS1_11comp_targetILNS1_3genE2ELNS1_11target_archE906ELNS1_3gpuE6ELNS1_3repE0EEENS1_30default_config_static_selectorELNS0_4arch9wavefront6targetE1EEEvS12_,@function
_ZN7rocprim17ROCPRIM_400000_NS6detail17trampoline_kernelINS0_13select_configILj256ELj13ELNS0_17block_load_methodE3ELS4_3ELS4_3ELNS0_20block_scan_algorithmE0ELj4294967295EEENS1_25partition_config_selectorILNS1_17partition_subalgoE4EjNS0_10empty_typeEbEEZZNS1_14partition_implILS8_4ELb0ES6_15HIP_vector_typeIjLj2EENS0_17counting_iteratorIjlEEPS9_SG_NS0_5tupleIJPjSI_NS0_16reverse_iteratorISI_EEEEENSH_IJSG_SG_SG_EEES9_SI_JZNS1_25segmented_radix_sort_implINS0_14default_configELb0EPKiPiPKlPlN2at6native12_GLOBAL__N_18offset_tEEE10hipError_tPvRmT1_PNSt15iterator_traitsIS12_E10value_typeET2_T3_PNS13_IS18_E10value_typeET4_jRbjT5_S1E_jjP12ihipStream_tbEUljE_ZNSN_ISO_Lb0ESQ_SR_ST_SU_SY_EESZ_S10_S11_S12_S16_S17_S18_S1B_S1C_jS1D_jS1E_S1E_jjS1G_bEUljE0_EEESZ_S10_S11_S18_S1C_S1E_T6_T7_T9_mT8_S1G_bDpT10_ENKUlT_T0_E_clISt17integral_constantIbLb0EES1U_EEDaS1P_S1Q_EUlS1P_E_NS1_11comp_targetILNS1_3genE2ELNS1_11target_archE906ELNS1_3gpuE6ELNS1_3repE0EEENS1_30default_config_static_selectorELNS0_4arch9wavefront6targetE1EEEvS12_: ; @_ZN7rocprim17ROCPRIM_400000_NS6detail17trampoline_kernelINS0_13select_configILj256ELj13ELNS0_17block_load_methodE3ELS4_3ELS4_3ELNS0_20block_scan_algorithmE0ELj4294967295EEENS1_25partition_config_selectorILNS1_17partition_subalgoE4EjNS0_10empty_typeEbEEZZNS1_14partition_implILS8_4ELb0ES6_15HIP_vector_typeIjLj2EENS0_17counting_iteratorIjlEEPS9_SG_NS0_5tupleIJPjSI_NS0_16reverse_iteratorISI_EEEEENSH_IJSG_SG_SG_EEES9_SI_JZNS1_25segmented_radix_sort_implINS0_14default_configELb0EPKiPiPKlPlN2at6native12_GLOBAL__N_18offset_tEEE10hipError_tPvRmT1_PNSt15iterator_traitsIS12_E10value_typeET2_T3_PNS13_IS18_E10value_typeET4_jRbjT5_S1E_jjP12ihipStream_tbEUljE_ZNSN_ISO_Lb0ESQ_SR_ST_SU_SY_EESZ_S10_S11_S12_S16_S17_S18_S1B_S1C_jS1D_jS1E_S1E_jjS1G_bEUljE0_EEESZ_S10_S11_S18_S1C_S1E_T6_T7_T9_mT8_S1G_bDpT10_ENKUlT_T0_E_clISt17integral_constantIbLb0EES1U_EEDaS1P_S1Q_EUlS1P_E_NS1_11comp_targetILNS1_3genE2ELNS1_11target_archE906ELNS1_3gpuE6ELNS1_3repE0EEENS1_30default_config_static_selectorELNS0_4arch9wavefront6targetE1EEEvS12_
; %bb.0:
	.section	.rodata,"a",@progbits
	.p2align	6, 0x0
	.amdhsa_kernel _ZN7rocprim17ROCPRIM_400000_NS6detail17trampoline_kernelINS0_13select_configILj256ELj13ELNS0_17block_load_methodE3ELS4_3ELS4_3ELNS0_20block_scan_algorithmE0ELj4294967295EEENS1_25partition_config_selectorILNS1_17partition_subalgoE4EjNS0_10empty_typeEbEEZZNS1_14partition_implILS8_4ELb0ES6_15HIP_vector_typeIjLj2EENS0_17counting_iteratorIjlEEPS9_SG_NS0_5tupleIJPjSI_NS0_16reverse_iteratorISI_EEEEENSH_IJSG_SG_SG_EEES9_SI_JZNS1_25segmented_radix_sort_implINS0_14default_configELb0EPKiPiPKlPlN2at6native12_GLOBAL__N_18offset_tEEE10hipError_tPvRmT1_PNSt15iterator_traitsIS12_E10value_typeET2_T3_PNS13_IS18_E10value_typeET4_jRbjT5_S1E_jjP12ihipStream_tbEUljE_ZNSN_ISO_Lb0ESQ_SR_ST_SU_SY_EESZ_S10_S11_S12_S16_S17_S18_S1B_S1C_jS1D_jS1E_S1E_jjS1G_bEUljE0_EEESZ_S10_S11_S18_S1C_S1E_T6_T7_T9_mT8_S1G_bDpT10_ENKUlT_T0_E_clISt17integral_constantIbLb0EES1U_EEDaS1P_S1Q_EUlS1P_E_NS1_11comp_targetILNS1_3genE2ELNS1_11target_archE906ELNS1_3gpuE6ELNS1_3repE0EEENS1_30default_config_static_selectorELNS0_4arch9wavefront6targetE1EEEvS12_
		.amdhsa_group_segment_fixed_size 0
		.amdhsa_private_segment_fixed_size 0
		.amdhsa_kernarg_size 176
		.amdhsa_user_sgpr_count 6
		.amdhsa_user_sgpr_private_segment_buffer 1
		.amdhsa_user_sgpr_dispatch_ptr 0
		.amdhsa_user_sgpr_queue_ptr 0
		.amdhsa_user_sgpr_kernarg_segment_ptr 1
		.amdhsa_user_sgpr_dispatch_id 0
		.amdhsa_user_sgpr_flat_scratch_init 0
		.amdhsa_user_sgpr_kernarg_preload_length 0
		.amdhsa_user_sgpr_kernarg_preload_offset 0
		.amdhsa_user_sgpr_private_segment_size 0
		.amdhsa_uses_dynamic_stack 0
		.amdhsa_system_sgpr_private_segment_wavefront_offset 0
		.amdhsa_system_sgpr_workgroup_id_x 1
		.amdhsa_system_sgpr_workgroup_id_y 0
		.amdhsa_system_sgpr_workgroup_id_z 0
		.amdhsa_system_sgpr_workgroup_info 0
		.amdhsa_system_vgpr_workitem_id 0
		.amdhsa_next_free_vgpr 1
		.amdhsa_next_free_sgpr 0
		.amdhsa_accum_offset 4
		.amdhsa_reserve_vcc 0
		.amdhsa_reserve_flat_scratch 0
		.amdhsa_float_round_mode_32 0
		.amdhsa_float_round_mode_16_64 0
		.amdhsa_float_denorm_mode_32 3
		.amdhsa_float_denorm_mode_16_64 3
		.amdhsa_dx10_clamp 1
		.amdhsa_ieee_mode 1
		.amdhsa_fp16_overflow 0
		.amdhsa_tg_split 0
		.amdhsa_exception_fp_ieee_invalid_op 0
		.amdhsa_exception_fp_denorm_src 0
		.amdhsa_exception_fp_ieee_div_zero 0
		.amdhsa_exception_fp_ieee_overflow 0
		.amdhsa_exception_fp_ieee_underflow 0
		.amdhsa_exception_fp_ieee_inexact 0
		.amdhsa_exception_int_div_zero 0
	.end_amdhsa_kernel
	.section	.text._ZN7rocprim17ROCPRIM_400000_NS6detail17trampoline_kernelINS0_13select_configILj256ELj13ELNS0_17block_load_methodE3ELS4_3ELS4_3ELNS0_20block_scan_algorithmE0ELj4294967295EEENS1_25partition_config_selectorILNS1_17partition_subalgoE4EjNS0_10empty_typeEbEEZZNS1_14partition_implILS8_4ELb0ES6_15HIP_vector_typeIjLj2EENS0_17counting_iteratorIjlEEPS9_SG_NS0_5tupleIJPjSI_NS0_16reverse_iteratorISI_EEEEENSH_IJSG_SG_SG_EEES9_SI_JZNS1_25segmented_radix_sort_implINS0_14default_configELb0EPKiPiPKlPlN2at6native12_GLOBAL__N_18offset_tEEE10hipError_tPvRmT1_PNSt15iterator_traitsIS12_E10value_typeET2_T3_PNS13_IS18_E10value_typeET4_jRbjT5_S1E_jjP12ihipStream_tbEUljE_ZNSN_ISO_Lb0ESQ_SR_ST_SU_SY_EESZ_S10_S11_S12_S16_S17_S18_S1B_S1C_jS1D_jS1E_S1E_jjS1G_bEUljE0_EEESZ_S10_S11_S18_S1C_S1E_T6_T7_T9_mT8_S1G_bDpT10_ENKUlT_T0_E_clISt17integral_constantIbLb0EES1U_EEDaS1P_S1Q_EUlS1P_E_NS1_11comp_targetILNS1_3genE2ELNS1_11target_archE906ELNS1_3gpuE6ELNS1_3repE0EEENS1_30default_config_static_selectorELNS0_4arch9wavefront6targetE1EEEvS12_,"axG",@progbits,_ZN7rocprim17ROCPRIM_400000_NS6detail17trampoline_kernelINS0_13select_configILj256ELj13ELNS0_17block_load_methodE3ELS4_3ELS4_3ELNS0_20block_scan_algorithmE0ELj4294967295EEENS1_25partition_config_selectorILNS1_17partition_subalgoE4EjNS0_10empty_typeEbEEZZNS1_14partition_implILS8_4ELb0ES6_15HIP_vector_typeIjLj2EENS0_17counting_iteratorIjlEEPS9_SG_NS0_5tupleIJPjSI_NS0_16reverse_iteratorISI_EEEEENSH_IJSG_SG_SG_EEES9_SI_JZNS1_25segmented_radix_sort_implINS0_14default_configELb0EPKiPiPKlPlN2at6native12_GLOBAL__N_18offset_tEEE10hipError_tPvRmT1_PNSt15iterator_traitsIS12_E10value_typeET2_T3_PNS13_IS18_E10value_typeET4_jRbjT5_S1E_jjP12ihipStream_tbEUljE_ZNSN_ISO_Lb0ESQ_SR_ST_SU_SY_EESZ_S10_S11_S12_S16_S17_S18_S1B_S1C_jS1D_jS1E_S1E_jjS1G_bEUljE0_EEESZ_S10_S11_S18_S1C_S1E_T6_T7_T9_mT8_S1G_bDpT10_ENKUlT_T0_E_clISt17integral_constantIbLb0EES1U_EEDaS1P_S1Q_EUlS1P_E_NS1_11comp_targetILNS1_3genE2ELNS1_11target_archE906ELNS1_3gpuE6ELNS1_3repE0EEENS1_30default_config_static_selectorELNS0_4arch9wavefront6targetE1EEEvS12_,comdat
.Lfunc_end540:
	.size	_ZN7rocprim17ROCPRIM_400000_NS6detail17trampoline_kernelINS0_13select_configILj256ELj13ELNS0_17block_load_methodE3ELS4_3ELS4_3ELNS0_20block_scan_algorithmE0ELj4294967295EEENS1_25partition_config_selectorILNS1_17partition_subalgoE4EjNS0_10empty_typeEbEEZZNS1_14partition_implILS8_4ELb0ES6_15HIP_vector_typeIjLj2EENS0_17counting_iteratorIjlEEPS9_SG_NS0_5tupleIJPjSI_NS0_16reverse_iteratorISI_EEEEENSH_IJSG_SG_SG_EEES9_SI_JZNS1_25segmented_radix_sort_implINS0_14default_configELb0EPKiPiPKlPlN2at6native12_GLOBAL__N_18offset_tEEE10hipError_tPvRmT1_PNSt15iterator_traitsIS12_E10value_typeET2_T3_PNS13_IS18_E10value_typeET4_jRbjT5_S1E_jjP12ihipStream_tbEUljE_ZNSN_ISO_Lb0ESQ_SR_ST_SU_SY_EESZ_S10_S11_S12_S16_S17_S18_S1B_S1C_jS1D_jS1E_S1E_jjS1G_bEUljE0_EEESZ_S10_S11_S18_S1C_S1E_T6_T7_T9_mT8_S1G_bDpT10_ENKUlT_T0_E_clISt17integral_constantIbLb0EES1U_EEDaS1P_S1Q_EUlS1P_E_NS1_11comp_targetILNS1_3genE2ELNS1_11target_archE906ELNS1_3gpuE6ELNS1_3repE0EEENS1_30default_config_static_selectorELNS0_4arch9wavefront6targetE1EEEvS12_, .Lfunc_end540-_ZN7rocprim17ROCPRIM_400000_NS6detail17trampoline_kernelINS0_13select_configILj256ELj13ELNS0_17block_load_methodE3ELS4_3ELS4_3ELNS0_20block_scan_algorithmE0ELj4294967295EEENS1_25partition_config_selectorILNS1_17partition_subalgoE4EjNS0_10empty_typeEbEEZZNS1_14partition_implILS8_4ELb0ES6_15HIP_vector_typeIjLj2EENS0_17counting_iteratorIjlEEPS9_SG_NS0_5tupleIJPjSI_NS0_16reverse_iteratorISI_EEEEENSH_IJSG_SG_SG_EEES9_SI_JZNS1_25segmented_radix_sort_implINS0_14default_configELb0EPKiPiPKlPlN2at6native12_GLOBAL__N_18offset_tEEE10hipError_tPvRmT1_PNSt15iterator_traitsIS12_E10value_typeET2_T3_PNS13_IS18_E10value_typeET4_jRbjT5_S1E_jjP12ihipStream_tbEUljE_ZNSN_ISO_Lb0ESQ_SR_ST_SU_SY_EESZ_S10_S11_S12_S16_S17_S18_S1B_S1C_jS1D_jS1E_S1E_jjS1G_bEUljE0_EEESZ_S10_S11_S18_S1C_S1E_T6_T7_T9_mT8_S1G_bDpT10_ENKUlT_T0_E_clISt17integral_constantIbLb0EES1U_EEDaS1P_S1Q_EUlS1P_E_NS1_11comp_targetILNS1_3genE2ELNS1_11target_archE906ELNS1_3gpuE6ELNS1_3repE0EEENS1_30default_config_static_selectorELNS0_4arch9wavefront6targetE1EEEvS12_
                                        ; -- End function
	.section	.AMDGPU.csdata,"",@progbits
; Kernel info:
; codeLenInByte = 0
; NumSgprs: 4
; NumVgprs: 0
; NumAgprs: 0
; TotalNumVgprs: 0
; ScratchSize: 0
; MemoryBound: 0
; FloatMode: 240
; IeeeMode: 1
; LDSByteSize: 0 bytes/workgroup (compile time only)
; SGPRBlocks: 0
; VGPRBlocks: 0
; NumSGPRsForWavesPerEU: 4
; NumVGPRsForWavesPerEU: 1
; AccumOffset: 4
; Occupancy: 8
; WaveLimiterHint : 0
; COMPUTE_PGM_RSRC2:SCRATCH_EN: 0
; COMPUTE_PGM_RSRC2:USER_SGPR: 6
; COMPUTE_PGM_RSRC2:TRAP_HANDLER: 0
; COMPUTE_PGM_RSRC2:TGID_X_EN: 1
; COMPUTE_PGM_RSRC2:TGID_Y_EN: 0
; COMPUTE_PGM_RSRC2:TGID_Z_EN: 0
; COMPUTE_PGM_RSRC2:TIDIG_COMP_CNT: 0
; COMPUTE_PGM_RSRC3_GFX90A:ACCUM_OFFSET: 0
; COMPUTE_PGM_RSRC3_GFX90A:TG_SPLIT: 0
	.section	.text._ZN7rocprim17ROCPRIM_400000_NS6detail17trampoline_kernelINS0_13select_configILj256ELj13ELNS0_17block_load_methodE3ELS4_3ELS4_3ELNS0_20block_scan_algorithmE0ELj4294967295EEENS1_25partition_config_selectorILNS1_17partition_subalgoE4EjNS0_10empty_typeEbEEZZNS1_14partition_implILS8_4ELb0ES6_15HIP_vector_typeIjLj2EENS0_17counting_iteratorIjlEEPS9_SG_NS0_5tupleIJPjSI_NS0_16reverse_iteratorISI_EEEEENSH_IJSG_SG_SG_EEES9_SI_JZNS1_25segmented_radix_sort_implINS0_14default_configELb0EPKiPiPKlPlN2at6native12_GLOBAL__N_18offset_tEEE10hipError_tPvRmT1_PNSt15iterator_traitsIS12_E10value_typeET2_T3_PNS13_IS18_E10value_typeET4_jRbjT5_S1E_jjP12ihipStream_tbEUljE_ZNSN_ISO_Lb0ESQ_SR_ST_SU_SY_EESZ_S10_S11_S12_S16_S17_S18_S1B_S1C_jS1D_jS1E_S1E_jjS1G_bEUljE0_EEESZ_S10_S11_S18_S1C_S1E_T6_T7_T9_mT8_S1G_bDpT10_ENKUlT_T0_E_clISt17integral_constantIbLb0EES1U_EEDaS1P_S1Q_EUlS1P_E_NS1_11comp_targetILNS1_3genE10ELNS1_11target_archE1200ELNS1_3gpuE4ELNS1_3repE0EEENS1_30default_config_static_selectorELNS0_4arch9wavefront6targetE1EEEvS12_,"axG",@progbits,_ZN7rocprim17ROCPRIM_400000_NS6detail17trampoline_kernelINS0_13select_configILj256ELj13ELNS0_17block_load_methodE3ELS4_3ELS4_3ELNS0_20block_scan_algorithmE0ELj4294967295EEENS1_25partition_config_selectorILNS1_17partition_subalgoE4EjNS0_10empty_typeEbEEZZNS1_14partition_implILS8_4ELb0ES6_15HIP_vector_typeIjLj2EENS0_17counting_iteratorIjlEEPS9_SG_NS0_5tupleIJPjSI_NS0_16reverse_iteratorISI_EEEEENSH_IJSG_SG_SG_EEES9_SI_JZNS1_25segmented_radix_sort_implINS0_14default_configELb0EPKiPiPKlPlN2at6native12_GLOBAL__N_18offset_tEEE10hipError_tPvRmT1_PNSt15iterator_traitsIS12_E10value_typeET2_T3_PNS13_IS18_E10value_typeET4_jRbjT5_S1E_jjP12ihipStream_tbEUljE_ZNSN_ISO_Lb0ESQ_SR_ST_SU_SY_EESZ_S10_S11_S12_S16_S17_S18_S1B_S1C_jS1D_jS1E_S1E_jjS1G_bEUljE0_EEESZ_S10_S11_S18_S1C_S1E_T6_T7_T9_mT8_S1G_bDpT10_ENKUlT_T0_E_clISt17integral_constantIbLb0EES1U_EEDaS1P_S1Q_EUlS1P_E_NS1_11comp_targetILNS1_3genE10ELNS1_11target_archE1200ELNS1_3gpuE4ELNS1_3repE0EEENS1_30default_config_static_selectorELNS0_4arch9wavefront6targetE1EEEvS12_,comdat
	.globl	_ZN7rocprim17ROCPRIM_400000_NS6detail17trampoline_kernelINS0_13select_configILj256ELj13ELNS0_17block_load_methodE3ELS4_3ELS4_3ELNS0_20block_scan_algorithmE0ELj4294967295EEENS1_25partition_config_selectorILNS1_17partition_subalgoE4EjNS0_10empty_typeEbEEZZNS1_14partition_implILS8_4ELb0ES6_15HIP_vector_typeIjLj2EENS0_17counting_iteratorIjlEEPS9_SG_NS0_5tupleIJPjSI_NS0_16reverse_iteratorISI_EEEEENSH_IJSG_SG_SG_EEES9_SI_JZNS1_25segmented_radix_sort_implINS0_14default_configELb0EPKiPiPKlPlN2at6native12_GLOBAL__N_18offset_tEEE10hipError_tPvRmT1_PNSt15iterator_traitsIS12_E10value_typeET2_T3_PNS13_IS18_E10value_typeET4_jRbjT5_S1E_jjP12ihipStream_tbEUljE_ZNSN_ISO_Lb0ESQ_SR_ST_SU_SY_EESZ_S10_S11_S12_S16_S17_S18_S1B_S1C_jS1D_jS1E_S1E_jjS1G_bEUljE0_EEESZ_S10_S11_S18_S1C_S1E_T6_T7_T9_mT8_S1G_bDpT10_ENKUlT_T0_E_clISt17integral_constantIbLb0EES1U_EEDaS1P_S1Q_EUlS1P_E_NS1_11comp_targetILNS1_3genE10ELNS1_11target_archE1200ELNS1_3gpuE4ELNS1_3repE0EEENS1_30default_config_static_selectorELNS0_4arch9wavefront6targetE1EEEvS12_ ; -- Begin function _ZN7rocprim17ROCPRIM_400000_NS6detail17trampoline_kernelINS0_13select_configILj256ELj13ELNS0_17block_load_methodE3ELS4_3ELS4_3ELNS0_20block_scan_algorithmE0ELj4294967295EEENS1_25partition_config_selectorILNS1_17partition_subalgoE4EjNS0_10empty_typeEbEEZZNS1_14partition_implILS8_4ELb0ES6_15HIP_vector_typeIjLj2EENS0_17counting_iteratorIjlEEPS9_SG_NS0_5tupleIJPjSI_NS0_16reverse_iteratorISI_EEEEENSH_IJSG_SG_SG_EEES9_SI_JZNS1_25segmented_radix_sort_implINS0_14default_configELb0EPKiPiPKlPlN2at6native12_GLOBAL__N_18offset_tEEE10hipError_tPvRmT1_PNSt15iterator_traitsIS12_E10value_typeET2_T3_PNS13_IS18_E10value_typeET4_jRbjT5_S1E_jjP12ihipStream_tbEUljE_ZNSN_ISO_Lb0ESQ_SR_ST_SU_SY_EESZ_S10_S11_S12_S16_S17_S18_S1B_S1C_jS1D_jS1E_S1E_jjS1G_bEUljE0_EEESZ_S10_S11_S18_S1C_S1E_T6_T7_T9_mT8_S1G_bDpT10_ENKUlT_T0_E_clISt17integral_constantIbLb0EES1U_EEDaS1P_S1Q_EUlS1P_E_NS1_11comp_targetILNS1_3genE10ELNS1_11target_archE1200ELNS1_3gpuE4ELNS1_3repE0EEENS1_30default_config_static_selectorELNS0_4arch9wavefront6targetE1EEEvS12_
	.p2align	8
	.type	_ZN7rocprim17ROCPRIM_400000_NS6detail17trampoline_kernelINS0_13select_configILj256ELj13ELNS0_17block_load_methodE3ELS4_3ELS4_3ELNS0_20block_scan_algorithmE0ELj4294967295EEENS1_25partition_config_selectorILNS1_17partition_subalgoE4EjNS0_10empty_typeEbEEZZNS1_14partition_implILS8_4ELb0ES6_15HIP_vector_typeIjLj2EENS0_17counting_iteratorIjlEEPS9_SG_NS0_5tupleIJPjSI_NS0_16reverse_iteratorISI_EEEEENSH_IJSG_SG_SG_EEES9_SI_JZNS1_25segmented_radix_sort_implINS0_14default_configELb0EPKiPiPKlPlN2at6native12_GLOBAL__N_18offset_tEEE10hipError_tPvRmT1_PNSt15iterator_traitsIS12_E10value_typeET2_T3_PNS13_IS18_E10value_typeET4_jRbjT5_S1E_jjP12ihipStream_tbEUljE_ZNSN_ISO_Lb0ESQ_SR_ST_SU_SY_EESZ_S10_S11_S12_S16_S17_S18_S1B_S1C_jS1D_jS1E_S1E_jjS1G_bEUljE0_EEESZ_S10_S11_S18_S1C_S1E_T6_T7_T9_mT8_S1G_bDpT10_ENKUlT_T0_E_clISt17integral_constantIbLb0EES1U_EEDaS1P_S1Q_EUlS1P_E_NS1_11comp_targetILNS1_3genE10ELNS1_11target_archE1200ELNS1_3gpuE4ELNS1_3repE0EEENS1_30default_config_static_selectorELNS0_4arch9wavefront6targetE1EEEvS12_,@function
_ZN7rocprim17ROCPRIM_400000_NS6detail17trampoline_kernelINS0_13select_configILj256ELj13ELNS0_17block_load_methodE3ELS4_3ELS4_3ELNS0_20block_scan_algorithmE0ELj4294967295EEENS1_25partition_config_selectorILNS1_17partition_subalgoE4EjNS0_10empty_typeEbEEZZNS1_14partition_implILS8_4ELb0ES6_15HIP_vector_typeIjLj2EENS0_17counting_iteratorIjlEEPS9_SG_NS0_5tupleIJPjSI_NS0_16reverse_iteratorISI_EEEEENSH_IJSG_SG_SG_EEES9_SI_JZNS1_25segmented_radix_sort_implINS0_14default_configELb0EPKiPiPKlPlN2at6native12_GLOBAL__N_18offset_tEEE10hipError_tPvRmT1_PNSt15iterator_traitsIS12_E10value_typeET2_T3_PNS13_IS18_E10value_typeET4_jRbjT5_S1E_jjP12ihipStream_tbEUljE_ZNSN_ISO_Lb0ESQ_SR_ST_SU_SY_EESZ_S10_S11_S12_S16_S17_S18_S1B_S1C_jS1D_jS1E_S1E_jjS1G_bEUljE0_EEESZ_S10_S11_S18_S1C_S1E_T6_T7_T9_mT8_S1G_bDpT10_ENKUlT_T0_E_clISt17integral_constantIbLb0EES1U_EEDaS1P_S1Q_EUlS1P_E_NS1_11comp_targetILNS1_3genE10ELNS1_11target_archE1200ELNS1_3gpuE4ELNS1_3repE0EEENS1_30default_config_static_selectorELNS0_4arch9wavefront6targetE1EEEvS12_: ; @_ZN7rocprim17ROCPRIM_400000_NS6detail17trampoline_kernelINS0_13select_configILj256ELj13ELNS0_17block_load_methodE3ELS4_3ELS4_3ELNS0_20block_scan_algorithmE0ELj4294967295EEENS1_25partition_config_selectorILNS1_17partition_subalgoE4EjNS0_10empty_typeEbEEZZNS1_14partition_implILS8_4ELb0ES6_15HIP_vector_typeIjLj2EENS0_17counting_iteratorIjlEEPS9_SG_NS0_5tupleIJPjSI_NS0_16reverse_iteratorISI_EEEEENSH_IJSG_SG_SG_EEES9_SI_JZNS1_25segmented_radix_sort_implINS0_14default_configELb0EPKiPiPKlPlN2at6native12_GLOBAL__N_18offset_tEEE10hipError_tPvRmT1_PNSt15iterator_traitsIS12_E10value_typeET2_T3_PNS13_IS18_E10value_typeET4_jRbjT5_S1E_jjP12ihipStream_tbEUljE_ZNSN_ISO_Lb0ESQ_SR_ST_SU_SY_EESZ_S10_S11_S12_S16_S17_S18_S1B_S1C_jS1D_jS1E_S1E_jjS1G_bEUljE0_EEESZ_S10_S11_S18_S1C_S1E_T6_T7_T9_mT8_S1G_bDpT10_ENKUlT_T0_E_clISt17integral_constantIbLb0EES1U_EEDaS1P_S1Q_EUlS1P_E_NS1_11comp_targetILNS1_3genE10ELNS1_11target_archE1200ELNS1_3gpuE4ELNS1_3repE0EEENS1_30default_config_static_selectorELNS0_4arch9wavefront6targetE1EEEvS12_
; %bb.0:
	.section	.rodata,"a",@progbits
	.p2align	6, 0x0
	.amdhsa_kernel _ZN7rocprim17ROCPRIM_400000_NS6detail17trampoline_kernelINS0_13select_configILj256ELj13ELNS0_17block_load_methodE3ELS4_3ELS4_3ELNS0_20block_scan_algorithmE0ELj4294967295EEENS1_25partition_config_selectorILNS1_17partition_subalgoE4EjNS0_10empty_typeEbEEZZNS1_14partition_implILS8_4ELb0ES6_15HIP_vector_typeIjLj2EENS0_17counting_iteratorIjlEEPS9_SG_NS0_5tupleIJPjSI_NS0_16reverse_iteratorISI_EEEEENSH_IJSG_SG_SG_EEES9_SI_JZNS1_25segmented_radix_sort_implINS0_14default_configELb0EPKiPiPKlPlN2at6native12_GLOBAL__N_18offset_tEEE10hipError_tPvRmT1_PNSt15iterator_traitsIS12_E10value_typeET2_T3_PNS13_IS18_E10value_typeET4_jRbjT5_S1E_jjP12ihipStream_tbEUljE_ZNSN_ISO_Lb0ESQ_SR_ST_SU_SY_EESZ_S10_S11_S12_S16_S17_S18_S1B_S1C_jS1D_jS1E_S1E_jjS1G_bEUljE0_EEESZ_S10_S11_S18_S1C_S1E_T6_T7_T9_mT8_S1G_bDpT10_ENKUlT_T0_E_clISt17integral_constantIbLb0EES1U_EEDaS1P_S1Q_EUlS1P_E_NS1_11comp_targetILNS1_3genE10ELNS1_11target_archE1200ELNS1_3gpuE4ELNS1_3repE0EEENS1_30default_config_static_selectorELNS0_4arch9wavefront6targetE1EEEvS12_
		.amdhsa_group_segment_fixed_size 0
		.amdhsa_private_segment_fixed_size 0
		.amdhsa_kernarg_size 176
		.amdhsa_user_sgpr_count 6
		.amdhsa_user_sgpr_private_segment_buffer 1
		.amdhsa_user_sgpr_dispatch_ptr 0
		.amdhsa_user_sgpr_queue_ptr 0
		.amdhsa_user_sgpr_kernarg_segment_ptr 1
		.amdhsa_user_sgpr_dispatch_id 0
		.amdhsa_user_sgpr_flat_scratch_init 0
		.amdhsa_user_sgpr_kernarg_preload_length 0
		.amdhsa_user_sgpr_kernarg_preload_offset 0
		.amdhsa_user_sgpr_private_segment_size 0
		.amdhsa_uses_dynamic_stack 0
		.amdhsa_system_sgpr_private_segment_wavefront_offset 0
		.amdhsa_system_sgpr_workgroup_id_x 1
		.amdhsa_system_sgpr_workgroup_id_y 0
		.amdhsa_system_sgpr_workgroup_id_z 0
		.amdhsa_system_sgpr_workgroup_info 0
		.amdhsa_system_vgpr_workitem_id 0
		.amdhsa_next_free_vgpr 1
		.amdhsa_next_free_sgpr 0
		.amdhsa_accum_offset 4
		.amdhsa_reserve_vcc 0
		.amdhsa_reserve_flat_scratch 0
		.amdhsa_float_round_mode_32 0
		.amdhsa_float_round_mode_16_64 0
		.amdhsa_float_denorm_mode_32 3
		.amdhsa_float_denorm_mode_16_64 3
		.amdhsa_dx10_clamp 1
		.amdhsa_ieee_mode 1
		.amdhsa_fp16_overflow 0
		.amdhsa_tg_split 0
		.amdhsa_exception_fp_ieee_invalid_op 0
		.amdhsa_exception_fp_denorm_src 0
		.amdhsa_exception_fp_ieee_div_zero 0
		.amdhsa_exception_fp_ieee_overflow 0
		.amdhsa_exception_fp_ieee_underflow 0
		.amdhsa_exception_fp_ieee_inexact 0
		.amdhsa_exception_int_div_zero 0
	.end_amdhsa_kernel
	.section	.text._ZN7rocprim17ROCPRIM_400000_NS6detail17trampoline_kernelINS0_13select_configILj256ELj13ELNS0_17block_load_methodE3ELS4_3ELS4_3ELNS0_20block_scan_algorithmE0ELj4294967295EEENS1_25partition_config_selectorILNS1_17partition_subalgoE4EjNS0_10empty_typeEbEEZZNS1_14partition_implILS8_4ELb0ES6_15HIP_vector_typeIjLj2EENS0_17counting_iteratorIjlEEPS9_SG_NS0_5tupleIJPjSI_NS0_16reverse_iteratorISI_EEEEENSH_IJSG_SG_SG_EEES9_SI_JZNS1_25segmented_radix_sort_implINS0_14default_configELb0EPKiPiPKlPlN2at6native12_GLOBAL__N_18offset_tEEE10hipError_tPvRmT1_PNSt15iterator_traitsIS12_E10value_typeET2_T3_PNS13_IS18_E10value_typeET4_jRbjT5_S1E_jjP12ihipStream_tbEUljE_ZNSN_ISO_Lb0ESQ_SR_ST_SU_SY_EESZ_S10_S11_S12_S16_S17_S18_S1B_S1C_jS1D_jS1E_S1E_jjS1G_bEUljE0_EEESZ_S10_S11_S18_S1C_S1E_T6_T7_T9_mT8_S1G_bDpT10_ENKUlT_T0_E_clISt17integral_constantIbLb0EES1U_EEDaS1P_S1Q_EUlS1P_E_NS1_11comp_targetILNS1_3genE10ELNS1_11target_archE1200ELNS1_3gpuE4ELNS1_3repE0EEENS1_30default_config_static_selectorELNS0_4arch9wavefront6targetE1EEEvS12_,"axG",@progbits,_ZN7rocprim17ROCPRIM_400000_NS6detail17trampoline_kernelINS0_13select_configILj256ELj13ELNS0_17block_load_methodE3ELS4_3ELS4_3ELNS0_20block_scan_algorithmE0ELj4294967295EEENS1_25partition_config_selectorILNS1_17partition_subalgoE4EjNS0_10empty_typeEbEEZZNS1_14partition_implILS8_4ELb0ES6_15HIP_vector_typeIjLj2EENS0_17counting_iteratorIjlEEPS9_SG_NS0_5tupleIJPjSI_NS0_16reverse_iteratorISI_EEEEENSH_IJSG_SG_SG_EEES9_SI_JZNS1_25segmented_radix_sort_implINS0_14default_configELb0EPKiPiPKlPlN2at6native12_GLOBAL__N_18offset_tEEE10hipError_tPvRmT1_PNSt15iterator_traitsIS12_E10value_typeET2_T3_PNS13_IS18_E10value_typeET4_jRbjT5_S1E_jjP12ihipStream_tbEUljE_ZNSN_ISO_Lb0ESQ_SR_ST_SU_SY_EESZ_S10_S11_S12_S16_S17_S18_S1B_S1C_jS1D_jS1E_S1E_jjS1G_bEUljE0_EEESZ_S10_S11_S18_S1C_S1E_T6_T7_T9_mT8_S1G_bDpT10_ENKUlT_T0_E_clISt17integral_constantIbLb0EES1U_EEDaS1P_S1Q_EUlS1P_E_NS1_11comp_targetILNS1_3genE10ELNS1_11target_archE1200ELNS1_3gpuE4ELNS1_3repE0EEENS1_30default_config_static_selectorELNS0_4arch9wavefront6targetE1EEEvS12_,comdat
.Lfunc_end541:
	.size	_ZN7rocprim17ROCPRIM_400000_NS6detail17trampoline_kernelINS0_13select_configILj256ELj13ELNS0_17block_load_methodE3ELS4_3ELS4_3ELNS0_20block_scan_algorithmE0ELj4294967295EEENS1_25partition_config_selectorILNS1_17partition_subalgoE4EjNS0_10empty_typeEbEEZZNS1_14partition_implILS8_4ELb0ES6_15HIP_vector_typeIjLj2EENS0_17counting_iteratorIjlEEPS9_SG_NS0_5tupleIJPjSI_NS0_16reverse_iteratorISI_EEEEENSH_IJSG_SG_SG_EEES9_SI_JZNS1_25segmented_radix_sort_implINS0_14default_configELb0EPKiPiPKlPlN2at6native12_GLOBAL__N_18offset_tEEE10hipError_tPvRmT1_PNSt15iterator_traitsIS12_E10value_typeET2_T3_PNS13_IS18_E10value_typeET4_jRbjT5_S1E_jjP12ihipStream_tbEUljE_ZNSN_ISO_Lb0ESQ_SR_ST_SU_SY_EESZ_S10_S11_S12_S16_S17_S18_S1B_S1C_jS1D_jS1E_S1E_jjS1G_bEUljE0_EEESZ_S10_S11_S18_S1C_S1E_T6_T7_T9_mT8_S1G_bDpT10_ENKUlT_T0_E_clISt17integral_constantIbLb0EES1U_EEDaS1P_S1Q_EUlS1P_E_NS1_11comp_targetILNS1_3genE10ELNS1_11target_archE1200ELNS1_3gpuE4ELNS1_3repE0EEENS1_30default_config_static_selectorELNS0_4arch9wavefront6targetE1EEEvS12_, .Lfunc_end541-_ZN7rocprim17ROCPRIM_400000_NS6detail17trampoline_kernelINS0_13select_configILj256ELj13ELNS0_17block_load_methodE3ELS4_3ELS4_3ELNS0_20block_scan_algorithmE0ELj4294967295EEENS1_25partition_config_selectorILNS1_17partition_subalgoE4EjNS0_10empty_typeEbEEZZNS1_14partition_implILS8_4ELb0ES6_15HIP_vector_typeIjLj2EENS0_17counting_iteratorIjlEEPS9_SG_NS0_5tupleIJPjSI_NS0_16reverse_iteratorISI_EEEEENSH_IJSG_SG_SG_EEES9_SI_JZNS1_25segmented_radix_sort_implINS0_14default_configELb0EPKiPiPKlPlN2at6native12_GLOBAL__N_18offset_tEEE10hipError_tPvRmT1_PNSt15iterator_traitsIS12_E10value_typeET2_T3_PNS13_IS18_E10value_typeET4_jRbjT5_S1E_jjP12ihipStream_tbEUljE_ZNSN_ISO_Lb0ESQ_SR_ST_SU_SY_EESZ_S10_S11_S12_S16_S17_S18_S1B_S1C_jS1D_jS1E_S1E_jjS1G_bEUljE0_EEESZ_S10_S11_S18_S1C_S1E_T6_T7_T9_mT8_S1G_bDpT10_ENKUlT_T0_E_clISt17integral_constantIbLb0EES1U_EEDaS1P_S1Q_EUlS1P_E_NS1_11comp_targetILNS1_3genE10ELNS1_11target_archE1200ELNS1_3gpuE4ELNS1_3repE0EEENS1_30default_config_static_selectorELNS0_4arch9wavefront6targetE1EEEvS12_
                                        ; -- End function
	.section	.AMDGPU.csdata,"",@progbits
; Kernel info:
; codeLenInByte = 0
; NumSgprs: 4
; NumVgprs: 0
; NumAgprs: 0
; TotalNumVgprs: 0
; ScratchSize: 0
; MemoryBound: 0
; FloatMode: 240
; IeeeMode: 1
; LDSByteSize: 0 bytes/workgroup (compile time only)
; SGPRBlocks: 0
; VGPRBlocks: 0
; NumSGPRsForWavesPerEU: 4
; NumVGPRsForWavesPerEU: 1
; AccumOffset: 4
; Occupancy: 8
; WaveLimiterHint : 0
; COMPUTE_PGM_RSRC2:SCRATCH_EN: 0
; COMPUTE_PGM_RSRC2:USER_SGPR: 6
; COMPUTE_PGM_RSRC2:TRAP_HANDLER: 0
; COMPUTE_PGM_RSRC2:TGID_X_EN: 1
; COMPUTE_PGM_RSRC2:TGID_Y_EN: 0
; COMPUTE_PGM_RSRC2:TGID_Z_EN: 0
; COMPUTE_PGM_RSRC2:TIDIG_COMP_CNT: 0
; COMPUTE_PGM_RSRC3_GFX90A:ACCUM_OFFSET: 0
; COMPUTE_PGM_RSRC3_GFX90A:TG_SPLIT: 0
	.section	.text._ZN7rocprim17ROCPRIM_400000_NS6detail17trampoline_kernelINS0_13select_configILj256ELj13ELNS0_17block_load_methodE3ELS4_3ELS4_3ELNS0_20block_scan_algorithmE0ELj4294967295EEENS1_25partition_config_selectorILNS1_17partition_subalgoE4EjNS0_10empty_typeEbEEZZNS1_14partition_implILS8_4ELb0ES6_15HIP_vector_typeIjLj2EENS0_17counting_iteratorIjlEEPS9_SG_NS0_5tupleIJPjSI_NS0_16reverse_iteratorISI_EEEEENSH_IJSG_SG_SG_EEES9_SI_JZNS1_25segmented_radix_sort_implINS0_14default_configELb0EPKiPiPKlPlN2at6native12_GLOBAL__N_18offset_tEEE10hipError_tPvRmT1_PNSt15iterator_traitsIS12_E10value_typeET2_T3_PNS13_IS18_E10value_typeET4_jRbjT5_S1E_jjP12ihipStream_tbEUljE_ZNSN_ISO_Lb0ESQ_SR_ST_SU_SY_EESZ_S10_S11_S12_S16_S17_S18_S1B_S1C_jS1D_jS1E_S1E_jjS1G_bEUljE0_EEESZ_S10_S11_S18_S1C_S1E_T6_T7_T9_mT8_S1G_bDpT10_ENKUlT_T0_E_clISt17integral_constantIbLb0EES1U_EEDaS1P_S1Q_EUlS1P_E_NS1_11comp_targetILNS1_3genE9ELNS1_11target_archE1100ELNS1_3gpuE3ELNS1_3repE0EEENS1_30default_config_static_selectorELNS0_4arch9wavefront6targetE1EEEvS12_,"axG",@progbits,_ZN7rocprim17ROCPRIM_400000_NS6detail17trampoline_kernelINS0_13select_configILj256ELj13ELNS0_17block_load_methodE3ELS4_3ELS4_3ELNS0_20block_scan_algorithmE0ELj4294967295EEENS1_25partition_config_selectorILNS1_17partition_subalgoE4EjNS0_10empty_typeEbEEZZNS1_14partition_implILS8_4ELb0ES6_15HIP_vector_typeIjLj2EENS0_17counting_iteratorIjlEEPS9_SG_NS0_5tupleIJPjSI_NS0_16reverse_iteratorISI_EEEEENSH_IJSG_SG_SG_EEES9_SI_JZNS1_25segmented_radix_sort_implINS0_14default_configELb0EPKiPiPKlPlN2at6native12_GLOBAL__N_18offset_tEEE10hipError_tPvRmT1_PNSt15iterator_traitsIS12_E10value_typeET2_T3_PNS13_IS18_E10value_typeET4_jRbjT5_S1E_jjP12ihipStream_tbEUljE_ZNSN_ISO_Lb0ESQ_SR_ST_SU_SY_EESZ_S10_S11_S12_S16_S17_S18_S1B_S1C_jS1D_jS1E_S1E_jjS1G_bEUljE0_EEESZ_S10_S11_S18_S1C_S1E_T6_T7_T9_mT8_S1G_bDpT10_ENKUlT_T0_E_clISt17integral_constantIbLb0EES1U_EEDaS1P_S1Q_EUlS1P_E_NS1_11comp_targetILNS1_3genE9ELNS1_11target_archE1100ELNS1_3gpuE3ELNS1_3repE0EEENS1_30default_config_static_selectorELNS0_4arch9wavefront6targetE1EEEvS12_,comdat
	.globl	_ZN7rocprim17ROCPRIM_400000_NS6detail17trampoline_kernelINS0_13select_configILj256ELj13ELNS0_17block_load_methodE3ELS4_3ELS4_3ELNS0_20block_scan_algorithmE0ELj4294967295EEENS1_25partition_config_selectorILNS1_17partition_subalgoE4EjNS0_10empty_typeEbEEZZNS1_14partition_implILS8_4ELb0ES6_15HIP_vector_typeIjLj2EENS0_17counting_iteratorIjlEEPS9_SG_NS0_5tupleIJPjSI_NS0_16reverse_iteratorISI_EEEEENSH_IJSG_SG_SG_EEES9_SI_JZNS1_25segmented_radix_sort_implINS0_14default_configELb0EPKiPiPKlPlN2at6native12_GLOBAL__N_18offset_tEEE10hipError_tPvRmT1_PNSt15iterator_traitsIS12_E10value_typeET2_T3_PNS13_IS18_E10value_typeET4_jRbjT5_S1E_jjP12ihipStream_tbEUljE_ZNSN_ISO_Lb0ESQ_SR_ST_SU_SY_EESZ_S10_S11_S12_S16_S17_S18_S1B_S1C_jS1D_jS1E_S1E_jjS1G_bEUljE0_EEESZ_S10_S11_S18_S1C_S1E_T6_T7_T9_mT8_S1G_bDpT10_ENKUlT_T0_E_clISt17integral_constantIbLb0EES1U_EEDaS1P_S1Q_EUlS1P_E_NS1_11comp_targetILNS1_3genE9ELNS1_11target_archE1100ELNS1_3gpuE3ELNS1_3repE0EEENS1_30default_config_static_selectorELNS0_4arch9wavefront6targetE1EEEvS12_ ; -- Begin function _ZN7rocprim17ROCPRIM_400000_NS6detail17trampoline_kernelINS0_13select_configILj256ELj13ELNS0_17block_load_methodE3ELS4_3ELS4_3ELNS0_20block_scan_algorithmE0ELj4294967295EEENS1_25partition_config_selectorILNS1_17partition_subalgoE4EjNS0_10empty_typeEbEEZZNS1_14partition_implILS8_4ELb0ES6_15HIP_vector_typeIjLj2EENS0_17counting_iteratorIjlEEPS9_SG_NS0_5tupleIJPjSI_NS0_16reverse_iteratorISI_EEEEENSH_IJSG_SG_SG_EEES9_SI_JZNS1_25segmented_radix_sort_implINS0_14default_configELb0EPKiPiPKlPlN2at6native12_GLOBAL__N_18offset_tEEE10hipError_tPvRmT1_PNSt15iterator_traitsIS12_E10value_typeET2_T3_PNS13_IS18_E10value_typeET4_jRbjT5_S1E_jjP12ihipStream_tbEUljE_ZNSN_ISO_Lb0ESQ_SR_ST_SU_SY_EESZ_S10_S11_S12_S16_S17_S18_S1B_S1C_jS1D_jS1E_S1E_jjS1G_bEUljE0_EEESZ_S10_S11_S18_S1C_S1E_T6_T7_T9_mT8_S1G_bDpT10_ENKUlT_T0_E_clISt17integral_constantIbLb0EES1U_EEDaS1P_S1Q_EUlS1P_E_NS1_11comp_targetILNS1_3genE9ELNS1_11target_archE1100ELNS1_3gpuE3ELNS1_3repE0EEENS1_30default_config_static_selectorELNS0_4arch9wavefront6targetE1EEEvS12_
	.p2align	8
	.type	_ZN7rocprim17ROCPRIM_400000_NS6detail17trampoline_kernelINS0_13select_configILj256ELj13ELNS0_17block_load_methodE3ELS4_3ELS4_3ELNS0_20block_scan_algorithmE0ELj4294967295EEENS1_25partition_config_selectorILNS1_17partition_subalgoE4EjNS0_10empty_typeEbEEZZNS1_14partition_implILS8_4ELb0ES6_15HIP_vector_typeIjLj2EENS0_17counting_iteratorIjlEEPS9_SG_NS0_5tupleIJPjSI_NS0_16reverse_iteratorISI_EEEEENSH_IJSG_SG_SG_EEES9_SI_JZNS1_25segmented_radix_sort_implINS0_14default_configELb0EPKiPiPKlPlN2at6native12_GLOBAL__N_18offset_tEEE10hipError_tPvRmT1_PNSt15iterator_traitsIS12_E10value_typeET2_T3_PNS13_IS18_E10value_typeET4_jRbjT5_S1E_jjP12ihipStream_tbEUljE_ZNSN_ISO_Lb0ESQ_SR_ST_SU_SY_EESZ_S10_S11_S12_S16_S17_S18_S1B_S1C_jS1D_jS1E_S1E_jjS1G_bEUljE0_EEESZ_S10_S11_S18_S1C_S1E_T6_T7_T9_mT8_S1G_bDpT10_ENKUlT_T0_E_clISt17integral_constantIbLb0EES1U_EEDaS1P_S1Q_EUlS1P_E_NS1_11comp_targetILNS1_3genE9ELNS1_11target_archE1100ELNS1_3gpuE3ELNS1_3repE0EEENS1_30default_config_static_selectorELNS0_4arch9wavefront6targetE1EEEvS12_,@function
_ZN7rocprim17ROCPRIM_400000_NS6detail17trampoline_kernelINS0_13select_configILj256ELj13ELNS0_17block_load_methodE3ELS4_3ELS4_3ELNS0_20block_scan_algorithmE0ELj4294967295EEENS1_25partition_config_selectorILNS1_17partition_subalgoE4EjNS0_10empty_typeEbEEZZNS1_14partition_implILS8_4ELb0ES6_15HIP_vector_typeIjLj2EENS0_17counting_iteratorIjlEEPS9_SG_NS0_5tupleIJPjSI_NS0_16reverse_iteratorISI_EEEEENSH_IJSG_SG_SG_EEES9_SI_JZNS1_25segmented_radix_sort_implINS0_14default_configELb0EPKiPiPKlPlN2at6native12_GLOBAL__N_18offset_tEEE10hipError_tPvRmT1_PNSt15iterator_traitsIS12_E10value_typeET2_T3_PNS13_IS18_E10value_typeET4_jRbjT5_S1E_jjP12ihipStream_tbEUljE_ZNSN_ISO_Lb0ESQ_SR_ST_SU_SY_EESZ_S10_S11_S12_S16_S17_S18_S1B_S1C_jS1D_jS1E_S1E_jjS1G_bEUljE0_EEESZ_S10_S11_S18_S1C_S1E_T6_T7_T9_mT8_S1G_bDpT10_ENKUlT_T0_E_clISt17integral_constantIbLb0EES1U_EEDaS1P_S1Q_EUlS1P_E_NS1_11comp_targetILNS1_3genE9ELNS1_11target_archE1100ELNS1_3gpuE3ELNS1_3repE0EEENS1_30default_config_static_selectorELNS0_4arch9wavefront6targetE1EEEvS12_: ; @_ZN7rocprim17ROCPRIM_400000_NS6detail17trampoline_kernelINS0_13select_configILj256ELj13ELNS0_17block_load_methodE3ELS4_3ELS4_3ELNS0_20block_scan_algorithmE0ELj4294967295EEENS1_25partition_config_selectorILNS1_17partition_subalgoE4EjNS0_10empty_typeEbEEZZNS1_14partition_implILS8_4ELb0ES6_15HIP_vector_typeIjLj2EENS0_17counting_iteratorIjlEEPS9_SG_NS0_5tupleIJPjSI_NS0_16reverse_iteratorISI_EEEEENSH_IJSG_SG_SG_EEES9_SI_JZNS1_25segmented_radix_sort_implINS0_14default_configELb0EPKiPiPKlPlN2at6native12_GLOBAL__N_18offset_tEEE10hipError_tPvRmT1_PNSt15iterator_traitsIS12_E10value_typeET2_T3_PNS13_IS18_E10value_typeET4_jRbjT5_S1E_jjP12ihipStream_tbEUljE_ZNSN_ISO_Lb0ESQ_SR_ST_SU_SY_EESZ_S10_S11_S12_S16_S17_S18_S1B_S1C_jS1D_jS1E_S1E_jjS1G_bEUljE0_EEESZ_S10_S11_S18_S1C_S1E_T6_T7_T9_mT8_S1G_bDpT10_ENKUlT_T0_E_clISt17integral_constantIbLb0EES1U_EEDaS1P_S1Q_EUlS1P_E_NS1_11comp_targetILNS1_3genE9ELNS1_11target_archE1100ELNS1_3gpuE3ELNS1_3repE0EEENS1_30default_config_static_selectorELNS0_4arch9wavefront6targetE1EEEvS12_
; %bb.0:
	.section	.rodata,"a",@progbits
	.p2align	6, 0x0
	.amdhsa_kernel _ZN7rocprim17ROCPRIM_400000_NS6detail17trampoline_kernelINS0_13select_configILj256ELj13ELNS0_17block_load_methodE3ELS4_3ELS4_3ELNS0_20block_scan_algorithmE0ELj4294967295EEENS1_25partition_config_selectorILNS1_17partition_subalgoE4EjNS0_10empty_typeEbEEZZNS1_14partition_implILS8_4ELb0ES6_15HIP_vector_typeIjLj2EENS0_17counting_iteratorIjlEEPS9_SG_NS0_5tupleIJPjSI_NS0_16reverse_iteratorISI_EEEEENSH_IJSG_SG_SG_EEES9_SI_JZNS1_25segmented_radix_sort_implINS0_14default_configELb0EPKiPiPKlPlN2at6native12_GLOBAL__N_18offset_tEEE10hipError_tPvRmT1_PNSt15iterator_traitsIS12_E10value_typeET2_T3_PNS13_IS18_E10value_typeET4_jRbjT5_S1E_jjP12ihipStream_tbEUljE_ZNSN_ISO_Lb0ESQ_SR_ST_SU_SY_EESZ_S10_S11_S12_S16_S17_S18_S1B_S1C_jS1D_jS1E_S1E_jjS1G_bEUljE0_EEESZ_S10_S11_S18_S1C_S1E_T6_T7_T9_mT8_S1G_bDpT10_ENKUlT_T0_E_clISt17integral_constantIbLb0EES1U_EEDaS1P_S1Q_EUlS1P_E_NS1_11comp_targetILNS1_3genE9ELNS1_11target_archE1100ELNS1_3gpuE3ELNS1_3repE0EEENS1_30default_config_static_selectorELNS0_4arch9wavefront6targetE1EEEvS12_
		.amdhsa_group_segment_fixed_size 0
		.amdhsa_private_segment_fixed_size 0
		.amdhsa_kernarg_size 176
		.amdhsa_user_sgpr_count 6
		.amdhsa_user_sgpr_private_segment_buffer 1
		.amdhsa_user_sgpr_dispatch_ptr 0
		.amdhsa_user_sgpr_queue_ptr 0
		.amdhsa_user_sgpr_kernarg_segment_ptr 1
		.amdhsa_user_sgpr_dispatch_id 0
		.amdhsa_user_sgpr_flat_scratch_init 0
		.amdhsa_user_sgpr_kernarg_preload_length 0
		.amdhsa_user_sgpr_kernarg_preload_offset 0
		.amdhsa_user_sgpr_private_segment_size 0
		.amdhsa_uses_dynamic_stack 0
		.amdhsa_system_sgpr_private_segment_wavefront_offset 0
		.amdhsa_system_sgpr_workgroup_id_x 1
		.amdhsa_system_sgpr_workgroup_id_y 0
		.amdhsa_system_sgpr_workgroup_id_z 0
		.amdhsa_system_sgpr_workgroup_info 0
		.amdhsa_system_vgpr_workitem_id 0
		.amdhsa_next_free_vgpr 1
		.amdhsa_next_free_sgpr 0
		.amdhsa_accum_offset 4
		.amdhsa_reserve_vcc 0
		.amdhsa_reserve_flat_scratch 0
		.amdhsa_float_round_mode_32 0
		.amdhsa_float_round_mode_16_64 0
		.amdhsa_float_denorm_mode_32 3
		.amdhsa_float_denorm_mode_16_64 3
		.amdhsa_dx10_clamp 1
		.amdhsa_ieee_mode 1
		.amdhsa_fp16_overflow 0
		.amdhsa_tg_split 0
		.amdhsa_exception_fp_ieee_invalid_op 0
		.amdhsa_exception_fp_denorm_src 0
		.amdhsa_exception_fp_ieee_div_zero 0
		.amdhsa_exception_fp_ieee_overflow 0
		.amdhsa_exception_fp_ieee_underflow 0
		.amdhsa_exception_fp_ieee_inexact 0
		.amdhsa_exception_int_div_zero 0
	.end_amdhsa_kernel
	.section	.text._ZN7rocprim17ROCPRIM_400000_NS6detail17trampoline_kernelINS0_13select_configILj256ELj13ELNS0_17block_load_methodE3ELS4_3ELS4_3ELNS0_20block_scan_algorithmE0ELj4294967295EEENS1_25partition_config_selectorILNS1_17partition_subalgoE4EjNS0_10empty_typeEbEEZZNS1_14partition_implILS8_4ELb0ES6_15HIP_vector_typeIjLj2EENS0_17counting_iteratorIjlEEPS9_SG_NS0_5tupleIJPjSI_NS0_16reverse_iteratorISI_EEEEENSH_IJSG_SG_SG_EEES9_SI_JZNS1_25segmented_radix_sort_implINS0_14default_configELb0EPKiPiPKlPlN2at6native12_GLOBAL__N_18offset_tEEE10hipError_tPvRmT1_PNSt15iterator_traitsIS12_E10value_typeET2_T3_PNS13_IS18_E10value_typeET4_jRbjT5_S1E_jjP12ihipStream_tbEUljE_ZNSN_ISO_Lb0ESQ_SR_ST_SU_SY_EESZ_S10_S11_S12_S16_S17_S18_S1B_S1C_jS1D_jS1E_S1E_jjS1G_bEUljE0_EEESZ_S10_S11_S18_S1C_S1E_T6_T7_T9_mT8_S1G_bDpT10_ENKUlT_T0_E_clISt17integral_constantIbLb0EES1U_EEDaS1P_S1Q_EUlS1P_E_NS1_11comp_targetILNS1_3genE9ELNS1_11target_archE1100ELNS1_3gpuE3ELNS1_3repE0EEENS1_30default_config_static_selectorELNS0_4arch9wavefront6targetE1EEEvS12_,"axG",@progbits,_ZN7rocprim17ROCPRIM_400000_NS6detail17trampoline_kernelINS0_13select_configILj256ELj13ELNS0_17block_load_methodE3ELS4_3ELS4_3ELNS0_20block_scan_algorithmE0ELj4294967295EEENS1_25partition_config_selectorILNS1_17partition_subalgoE4EjNS0_10empty_typeEbEEZZNS1_14partition_implILS8_4ELb0ES6_15HIP_vector_typeIjLj2EENS0_17counting_iteratorIjlEEPS9_SG_NS0_5tupleIJPjSI_NS0_16reverse_iteratorISI_EEEEENSH_IJSG_SG_SG_EEES9_SI_JZNS1_25segmented_radix_sort_implINS0_14default_configELb0EPKiPiPKlPlN2at6native12_GLOBAL__N_18offset_tEEE10hipError_tPvRmT1_PNSt15iterator_traitsIS12_E10value_typeET2_T3_PNS13_IS18_E10value_typeET4_jRbjT5_S1E_jjP12ihipStream_tbEUljE_ZNSN_ISO_Lb0ESQ_SR_ST_SU_SY_EESZ_S10_S11_S12_S16_S17_S18_S1B_S1C_jS1D_jS1E_S1E_jjS1G_bEUljE0_EEESZ_S10_S11_S18_S1C_S1E_T6_T7_T9_mT8_S1G_bDpT10_ENKUlT_T0_E_clISt17integral_constantIbLb0EES1U_EEDaS1P_S1Q_EUlS1P_E_NS1_11comp_targetILNS1_3genE9ELNS1_11target_archE1100ELNS1_3gpuE3ELNS1_3repE0EEENS1_30default_config_static_selectorELNS0_4arch9wavefront6targetE1EEEvS12_,comdat
.Lfunc_end542:
	.size	_ZN7rocprim17ROCPRIM_400000_NS6detail17trampoline_kernelINS0_13select_configILj256ELj13ELNS0_17block_load_methodE3ELS4_3ELS4_3ELNS0_20block_scan_algorithmE0ELj4294967295EEENS1_25partition_config_selectorILNS1_17partition_subalgoE4EjNS0_10empty_typeEbEEZZNS1_14partition_implILS8_4ELb0ES6_15HIP_vector_typeIjLj2EENS0_17counting_iteratorIjlEEPS9_SG_NS0_5tupleIJPjSI_NS0_16reverse_iteratorISI_EEEEENSH_IJSG_SG_SG_EEES9_SI_JZNS1_25segmented_radix_sort_implINS0_14default_configELb0EPKiPiPKlPlN2at6native12_GLOBAL__N_18offset_tEEE10hipError_tPvRmT1_PNSt15iterator_traitsIS12_E10value_typeET2_T3_PNS13_IS18_E10value_typeET4_jRbjT5_S1E_jjP12ihipStream_tbEUljE_ZNSN_ISO_Lb0ESQ_SR_ST_SU_SY_EESZ_S10_S11_S12_S16_S17_S18_S1B_S1C_jS1D_jS1E_S1E_jjS1G_bEUljE0_EEESZ_S10_S11_S18_S1C_S1E_T6_T7_T9_mT8_S1G_bDpT10_ENKUlT_T0_E_clISt17integral_constantIbLb0EES1U_EEDaS1P_S1Q_EUlS1P_E_NS1_11comp_targetILNS1_3genE9ELNS1_11target_archE1100ELNS1_3gpuE3ELNS1_3repE0EEENS1_30default_config_static_selectorELNS0_4arch9wavefront6targetE1EEEvS12_, .Lfunc_end542-_ZN7rocprim17ROCPRIM_400000_NS6detail17trampoline_kernelINS0_13select_configILj256ELj13ELNS0_17block_load_methodE3ELS4_3ELS4_3ELNS0_20block_scan_algorithmE0ELj4294967295EEENS1_25partition_config_selectorILNS1_17partition_subalgoE4EjNS0_10empty_typeEbEEZZNS1_14partition_implILS8_4ELb0ES6_15HIP_vector_typeIjLj2EENS0_17counting_iteratorIjlEEPS9_SG_NS0_5tupleIJPjSI_NS0_16reverse_iteratorISI_EEEEENSH_IJSG_SG_SG_EEES9_SI_JZNS1_25segmented_radix_sort_implINS0_14default_configELb0EPKiPiPKlPlN2at6native12_GLOBAL__N_18offset_tEEE10hipError_tPvRmT1_PNSt15iterator_traitsIS12_E10value_typeET2_T3_PNS13_IS18_E10value_typeET4_jRbjT5_S1E_jjP12ihipStream_tbEUljE_ZNSN_ISO_Lb0ESQ_SR_ST_SU_SY_EESZ_S10_S11_S12_S16_S17_S18_S1B_S1C_jS1D_jS1E_S1E_jjS1G_bEUljE0_EEESZ_S10_S11_S18_S1C_S1E_T6_T7_T9_mT8_S1G_bDpT10_ENKUlT_T0_E_clISt17integral_constantIbLb0EES1U_EEDaS1P_S1Q_EUlS1P_E_NS1_11comp_targetILNS1_3genE9ELNS1_11target_archE1100ELNS1_3gpuE3ELNS1_3repE0EEENS1_30default_config_static_selectorELNS0_4arch9wavefront6targetE1EEEvS12_
                                        ; -- End function
	.section	.AMDGPU.csdata,"",@progbits
; Kernel info:
; codeLenInByte = 0
; NumSgprs: 4
; NumVgprs: 0
; NumAgprs: 0
; TotalNumVgprs: 0
; ScratchSize: 0
; MemoryBound: 0
; FloatMode: 240
; IeeeMode: 1
; LDSByteSize: 0 bytes/workgroup (compile time only)
; SGPRBlocks: 0
; VGPRBlocks: 0
; NumSGPRsForWavesPerEU: 4
; NumVGPRsForWavesPerEU: 1
; AccumOffset: 4
; Occupancy: 8
; WaveLimiterHint : 0
; COMPUTE_PGM_RSRC2:SCRATCH_EN: 0
; COMPUTE_PGM_RSRC2:USER_SGPR: 6
; COMPUTE_PGM_RSRC2:TRAP_HANDLER: 0
; COMPUTE_PGM_RSRC2:TGID_X_EN: 1
; COMPUTE_PGM_RSRC2:TGID_Y_EN: 0
; COMPUTE_PGM_RSRC2:TGID_Z_EN: 0
; COMPUTE_PGM_RSRC2:TIDIG_COMP_CNT: 0
; COMPUTE_PGM_RSRC3_GFX90A:ACCUM_OFFSET: 0
; COMPUTE_PGM_RSRC3_GFX90A:TG_SPLIT: 0
	.section	.text._ZN7rocprim17ROCPRIM_400000_NS6detail17trampoline_kernelINS0_13select_configILj256ELj13ELNS0_17block_load_methodE3ELS4_3ELS4_3ELNS0_20block_scan_algorithmE0ELj4294967295EEENS1_25partition_config_selectorILNS1_17partition_subalgoE4EjNS0_10empty_typeEbEEZZNS1_14partition_implILS8_4ELb0ES6_15HIP_vector_typeIjLj2EENS0_17counting_iteratorIjlEEPS9_SG_NS0_5tupleIJPjSI_NS0_16reverse_iteratorISI_EEEEENSH_IJSG_SG_SG_EEES9_SI_JZNS1_25segmented_radix_sort_implINS0_14default_configELb0EPKiPiPKlPlN2at6native12_GLOBAL__N_18offset_tEEE10hipError_tPvRmT1_PNSt15iterator_traitsIS12_E10value_typeET2_T3_PNS13_IS18_E10value_typeET4_jRbjT5_S1E_jjP12ihipStream_tbEUljE_ZNSN_ISO_Lb0ESQ_SR_ST_SU_SY_EESZ_S10_S11_S12_S16_S17_S18_S1B_S1C_jS1D_jS1E_S1E_jjS1G_bEUljE0_EEESZ_S10_S11_S18_S1C_S1E_T6_T7_T9_mT8_S1G_bDpT10_ENKUlT_T0_E_clISt17integral_constantIbLb0EES1U_EEDaS1P_S1Q_EUlS1P_E_NS1_11comp_targetILNS1_3genE8ELNS1_11target_archE1030ELNS1_3gpuE2ELNS1_3repE0EEENS1_30default_config_static_selectorELNS0_4arch9wavefront6targetE1EEEvS12_,"axG",@progbits,_ZN7rocprim17ROCPRIM_400000_NS6detail17trampoline_kernelINS0_13select_configILj256ELj13ELNS0_17block_load_methodE3ELS4_3ELS4_3ELNS0_20block_scan_algorithmE0ELj4294967295EEENS1_25partition_config_selectorILNS1_17partition_subalgoE4EjNS0_10empty_typeEbEEZZNS1_14partition_implILS8_4ELb0ES6_15HIP_vector_typeIjLj2EENS0_17counting_iteratorIjlEEPS9_SG_NS0_5tupleIJPjSI_NS0_16reverse_iteratorISI_EEEEENSH_IJSG_SG_SG_EEES9_SI_JZNS1_25segmented_radix_sort_implINS0_14default_configELb0EPKiPiPKlPlN2at6native12_GLOBAL__N_18offset_tEEE10hipError_tPvRmT1_PNSt15iterator_traitsIS12_E10value_typeET2_T3_PNS13_IS18_E10value_typeET4_jRbjT5_S1E_jjP12ihipStream_tbEUljE_ZNSN_ISO_Lb0ESQ_SR_ST_SU_SY_EESZ_S10_S11_S12_S16_S17_S18_S1B_S1C_jS1D_jS1E_S1E_jjS1G_bEUljE0_EEESZ_S10_S11_S18_S1C_S1E_T6_T7_T9_mT8_S1G_bDpT10_ENKUlT_T0_E_clISt17integral_constantIbLb0EES1U_EEDaS1P_S1Q_EUlS1P_E_NS1_11comp_targetILNS1_3genE8ELNS1_11target_archE1030ELNS1_3gpuE2ELNS1_3repE0EEENS1_30default_config_static_selectorELNS0_4arch9wavefront6targetE1EEEvS12_,comdat
	.globl	_ZN7rocprim17ROCPRIM_400000_NS6detail17trampoline_kernelINS0_13select_configILj256ELj13ELNS0_17block_load_methodE3ELS4_3ELS4_3ELNS0_20block_scan_algorithmE0ELj4294967295EEENS1_25partition_config_selectorILNS1_17partition_subalgoE4EjNS0_10empty_typeEbEEZZNS1_14partition_implILS8_4ELb0ES6_15HIP_vector_typeIjLj2EENS0_17counting_iteratorIjlEEPS9_SG_NS0_5tupleIJPjSI_NS0_16reverse_iteratorISI_EEEEENSH_IJSG_SG_SG_EEES9_SI_JZNS1_25segmented_radix_sort_implINS0_14default_configELb0EPKiPiPKlPlN2at6native12_GLOBAL__N_18offset_tEEE10hipError_tPvRmT1_PNSt15iterator_traitsIS12_E10value_typeET2_T3_PNS13_IS18_E10value_typeET4_jRbjT5_S1E_jjP12ihipStream_tbEUljE_ZNSN_ISO_Lb0ESQ_SR_ST_SU_SY_EESZ_S10_S11_S12_S16_S17_S18_S1B_S1C_jS1D_jS1E_S1E_jjS1G_bEUljE0_EEESZ_S10_S11_S18_S1C_S1E_T6_T7_T9_mT8_S1G_bDpT10_ENKUlT_T0_E_clISt17integral_constantIbLb0EES1U_EEDaS1P_S1Q_EUlS1P_E_NS1_11comp_targetILNS1_3genE8ELNS1_11target_archE1030ELNS1_3gpuE2ELNS1_3repE0EEENS1_30default_config_static_selectorELNS0_4arch9wavefront6targetE1EEEvS12_ ; -- Begin function _ZN7rocprim17ROCPRIM_400000_NS6detail17trampoline_kernelINS0_13select_configILj256ELj13ELNS0_17block_load_methodE3ELS4_3ELS4_3ELNS0_20block_scan_algorithmE0ELj4294967295EEENS1_25partition_config_selectorILNS1_17partition_subalgoE4EjNS0_10empty_typeEbEEZZNS1_14partition_implILS8_4ELb0ES6_15HIP_vector_typeIjLj2EENS0_17counting_iteratorIjlEEPS9_SG_NS0_5tupleIJPjSI_NS0_16reverse_iteratorISI_EEEEENSH_IJSG_SG_SG_EEES9_SI_JZNS1_25segmented_radix_sort_implINS0_14default_configELb0EPKiPiPKlPlN2at6native12_GLOBAL__N_18offset_tEEE10hipError_tPvRmT1_PNSt15iterator_traitsIS12_E10value_typeET2_T3_PNS13_IS18_E10value_typeET4_jRbjT5_S1E_jjP12ihipStream_tbEUljE_ZNSN_ISO_Lb0ESQ_SR_ST_SU_SY_EESZ_S10_S11_S12_S16_S17_S18_S1B_S1C_jS1D_jS1E_S1E_jjS1G_bEUljE0_EEESZ_S10_S11_S18_S1C_S1E_T6_T7_T9_mT8_S1G_bDpT10_ENKUlT_T0_E_clISt17integral_constantIbLb0EES1U_EEDaS1P_S1Q_EUlS1P_E_NS1_11comp_targetILNS1_3genE8ELNS1_11target_archE1030ELNS1_3gpuE2ELNS1_3repE0EEENS1_30default_config_static_selectorELNS0_4arch9wavefront6targetE1EEEvS12_
	.p2align	8
	.type	_ZN7rocprim17ROCPRIM_400000_NS6detail17trampoline_kernelINS0_13select_configILj256ELj13ELNS0_17block_load_methodE3ELS4_3ELS4_3ELNS0_20block_scan_algorithmE0ELj4294967295EEENS1_25partition_config_selectorILNS1_17partition_subalgoE4EjNS0_10empty_typeEbEEZZNS1_14partition_implILS8_4ELb0ES6_15HIP_vector_typeIjLj2EENS0_17counting_iteratorIjlEEPS9_SG_NS0_5tupleIJPjSI_NS0_16reverse_iteratorISI_EEEEENSH_IJSG_SG_SG_EEES9_SI_JZNS1_25segmented_radix_sort_implINS0_14default_configELb0EPKiPiPKlPlN2at6native12_GLOBAL__N_18offset_tEEE10hipError_tPvRmT1_PNSt15iterator_traitsIS12_E10value_typeET2_T3_PNS13_IS18_E10value_typeET4_jRbjT5_S1E_jjP12ihipStream_tbEUljE_ZNSN_ISO_Lb0ESQ_SR_ST_SU_SY_EESZ_S10_S11_S12_S16_S17_S18_S1B_S1C_jS1D_jS1E_S1E_jjS1G_bEUljE0_EEESZ_S10_S11_S18_S1C_S1E_T6_T7_T9_mT8_S1G_bDpT10_ENKUlT_T0_E_clISt17integral_constantIbLb0EES1U_EEDaS1P_S1Q_EUlS1P_E_NS1_11comp_targetILNS1_3genE8ELNS1_11target_archE1030ELNS1_3gpuE2ELNS1_3repE0EEENS1_30default_config_static_selectorELNS0_4arch9wavefront6targetE1EEEvS12_,@function
_ZN7rocprim17ROCPRIM_400000_NS6detail17trampoline_kernelINS0_13select_configILj256ELj13ELNS0_17block_load_methodE3ELS4_3ELS4_3ELNS0_20block_scan_algorithmE0ELj4294967295EEENS1_25partition_config_selectorILNS1_17partition_subalgoE4EjNS0_10empty_typeEbEEZZNS1_14partition_implILS8_4ELb0ES6_15HIP_vector_typeIjLj2EENS0_17counting_iteratorIjlEEPS9_SG_NS0_5tupleIJPjSI_NS0_16reverse_iteratorISI_EEEEENSH_IJSG_SG_SG_EEES9_SI_JZNS1_25segmented_radix_sort_implINS0_14default_configELb0EPKiPiPKlPlN2at6native12_GLOBAL__N_18offset_tEEE10hipError_tPvRmT1_PNSt15iterator_traitsIS12_E10value_typeET2_T3_PNS13_IS18_E10value_typeET4_jRbjT5_S1E_jjP12ihipStream_tbEUljE_ZNSN_ISO_Lb0ESQ_SR_ST_SU_SY_EESZ_S10_S11_S12_S16_S17_S18_S1B_S1C_jS1D_jS1E_S1E_jjS1G_bEUljE0_EEESZ_S10_S11_S18_S1C_S1E_T6_T7_T9_mT8_S1G_bDpT10_ENKUlT_T0_E_clISt17integral_constantIbLb0EES1U_EEDaS1P_S1Q_EUlS1P_E_NS1_11comp_targetILNS1_3genE8ELNS1_11target_archE1030ELNS1_3gpuE2ELNS1_3repE0EEENS1_30default_config_static_selectorELNS0_4arch9wavefront6targetE1EEEvS12_: ; @_ZN7rocprim17ROCPRIM_400000_NS6detail17trampoline_kernelINS0_13select_configILj256ELj13ELNS0_17block_load_methodE3ELS4_3ELS4_3ELNS0_20block_scan_algorithmE0ELj4294967295EEENS1_25partition_config_selectorILNS1_17partition_subalgoE4EjNS0_10empty_typeEbEEZZNS1_14partition_implILS8_4ELb0ES6_15HIP_vector_typeIjLj2EENS0_17counting_iteratorIjlEEPS9_SG_NS0_5tupleIJPjSI_NS0_16reverse_iteratorISI_EEEEENSH_IJSG_SG_SG_EEES9_SI_JZNS1_25segmented_radix_sort_implINS0_14default_configELb0EPKiPiPKlPlN2at6native12_GLOBAL__N_18offset_tEEE10hipError_tPvRmT1_PNSt15iterator_traitsIS12_E10value_typeET2_T3_PNS13_IS18_E10value_typeET4_jRbjT5_S1E_jjP12ihipStream_tbEUljE_ZNSN_ISO_Lb0ESQ_SR_ST_SU_SY_EESZ_S10_S11_S12_S16_S17_S18_S1B_S1C_jS1D_jS1E_S1E_jjS1G_bEUljE0_EEESZ_S10_S11_S18_S1C_S1E_T6_T7_T9_mT8_S1G_bDpT10_ENKUlT_T0_E_clISt17integral_constantIbLb0EES1U_EEDaS1P_S1Q_EUlS1P_E_NS1_11comp_targetILNS1_3genE8ELNS1_11target_archE1030ELNS1_3gpuE2ELNS1_3repE0EEENS1_30default_config_static_selectorELNS0_4arch9wavefront6targetE1EEEvS12_
; %bb.0:
	.section	.rodata,"a",@progbits
	.p2align	6, 0x0
	.amdhsa_kernel _ZN7rocprim17ROCPRIM_400000_NS6detail17trampoline_kernelINS0_13select_configILj256ELj13ELNS0_17block_load_methodE3ELS4_3ELS4_3ELNS0_20block_scan_algorithmE0ELj4294967295EEENS1_25partition_config_selectorILNS1_17partition_subalgoE4EjNS0_10empty_typeEbEEZZNS1_14partition_implILS8_4ELb0ES6_15HIP_vector_typeIjLj2EENS0_17counting_iteratorIjlEEPS9_SG_NS0_5tupleIJPjSI_NS0_16reverse_iteratorISI_EEEEENSH_IJSG_SG_SG_EEES9_SI_JZNS1_25segmented_radix_sort_implINS0_14default_configELb0EPKiPiPKlPlN2at6native12_GLOBAL__N_18offset_tEEE10hipError_tPvRmT1_PNSt15iterator_traitsIS12_E10value_typeET2_T3_PNS13_IS18_E10value_typeET4_jRbjT5_S1E_jjP12ihipStream_tbEUljE_ZNSN_ISO_Lb0ESQ_SR_ST_SU_SY_EESZ_S10_S11_S12_S16_S17_S18_S1B_S1C_jS1D_jS1E_S1E_jjS1G_bEUljE0_EEESZ_S10_S11_S18_S1C_S1E_T6_T7_T9_mT8_S1G_bDpT10_ENKUlT_T0_E_clISt17integral_constantIbLb0EES1U_EEDaS1P_S1Q_EUlS1P_E_NS1_11comp_targetILNS1_3genE8ELNS1_11target_archE1030ELNS1_3gpuE2ELNS1_3repE0EEENS1_30default_config_static_selectorELNS0_4arch9wavefront6targetE1EEEvS12_
		.amdhsa_group_segment_fixed_size 0
		.amdhsa_private_segment_fixed_size 0
		.amdhsa_kernarg_size 176
		.amdhsa_user_sgpr_count 6
		.amdhsa_user_sgpr_private_segment_buffer 1
		.amdhsa_user_sgpr_dispatch_ptr 0
		.amdhsa_user_sgpr_queue_ptr 0
		.amdhsa_user_sgpr_kernarg_segment_ptr 1
		.amdhsa_user_sgpr_dispatch_id 0
		.amdhsa_user_sgpr_flat_scratch_init 0
		.amdhsa_user_sgpr_kernarg_preload_length 0
		.amdhsa_user_sgpr_kernarg_preload_offset 0
		.amdhsa_user_sgpr_private_segment_size 0
		.amdhsa_uses_dynamic_stack 0
		.amdhsa_system_sgpr_private_segment_wavefront_offset 0
		.amdhsa_system_sgpr_workgroup_id_x 1
		.amdhsa_system_sgpr_workgroup_id_y 0
		.amdhsa_system_sgpr_workgroup_id_z 0
		.amdhsa_system_sgpr_workgroup_info 0
		.amdhsa_system_vgpr_workitem_id 0
		.amdhsa_next_free_vgpr 1
		.amdhsa_next_free_sgpr 0
		.amdhsa_accum_offset 4
		.amdhsa_reserve_vcc 0
		.amdhsa_reserve_flat_scratch 0
		.amdhsa_float_round_mode_32 0
		.amdhsa_float_round_mode_16_64 0
		.amdhsa_float_denorm_mode_32 3
		.amdhsa_float_denorm_mode_16_64 3
		.amdhsa_dx10_clamp 1
		.amdhsa_ieee_mode 1
		.amdhsa_fp16_overflow 0
		.amdhsa_tg_split 0
		.amdhsa_exception_fp_ieee_invalid_op 0
		.amdhsa_exception_fp_denorm_src 0
		.amdhsa_exception_fp_ieee_div_zero 0
		.amdhsa_exception_fp_ieee_overflow 0
		.amdhsa_exception_fp_ieee_underflow 0
		.amdhsa_exception_fp_ieee_inexact 0
		.amdhsa_exception_int_div_zero 0
	.end_amdhsa_kernel
	.section	.text._ZN7rocprim17ROCPRIM_400000_NS6detail17trampoline_kernelINS0_13select_configILj256ELj13ELNS0_17block_load_methodE3ELS4_3ELS4_3ELNS0_20block_scan_algorithmE0ELj4294967295EEENS1_25partition_config_selectorILNS1_17partition_subalgoE4EjNS0_10empty_typeEbEEZZNS1_14partition_implILS8_4ELb0ES6_15HIP_vector_typeIjLj2EENS0_17counting_iteratorIjlEEPS9_SG_NS0_5tupleIJPjSI_NS0_16reverse_iteratorISI_EEEEENSH_IJSG_SG_SG_EEES9_SI_JZNS1_25segmented_radix_sort_implINS0_14default_configELb0EPKiPiPKlPlN2at6native12_GLOBAL__N_18offset_tEEE10hipError_tPvRmT1_PNSt15iterator_traitsIS12_E10value_typeET2_T3_PNS13_IS18_E10value_typeET4_jRbjT5_S1E_jjP12ihipStream_tbEUljE_ZNSN_ISO_Lb0ESQ_SR_ST_SU_SY_EESZ_S10_S11_S12_S16_S17_S18_S1B_S1C_jS1D_jS1E_S1E_jjS1G_bEUljE0_EEESZ_S10_S11_S18_S1C_S1E_T6_T7_T9_mT8_S1G_bDpT10_ENKUlT_T0_E_clISt17integral_constantIbLb0EES1U_EEDaS1P_S1Q_EUlS1P_E_NS1_11comp_targetILNS1_3genE8ELNS1_11target_archE1030ELNS1_3gpuE2ELNS1_3repE0EEENS1_30default_config_static_selectorELNS0_4arch9wavefront6targetE1EEEvS12_,"axG",@progbits,_ZN7rocprim17ROCPRIM_400000_NS6detail17trampoline_kernelINS0_13select_configILj256ELj13ELNS0_17block_load_methodE3ELS4_3ELS4_3ELNS0_20block_scan_algorithmE0ELj4294967295EEENS1_25partition_config_selectorILNS1_17partition_subalgoE4EjNS0_10empty_typeEbEEZZNS1_14partition_implILS8_4ELb0ES6_15HIP_vector_typeIjLj2EENS0_17counting_iteratorIjlEEPS9_SG_NS0_5tupleIJPjSI_NS0_16reverse_iteratorISI_EEEEENSH_IJSG_SG_SG_EEES9_SI_JZNS1_25segmented_radix_sort_implINS0_14default_configELb0EPKiPiPKlPlN2at6native12_GLOBAL__N_18offset_tEEE10hipError_tPvRmT1_PNSt15iterator_traitsIS12_E10value_typeET2_T3_PNS13_IS18_E10value_typeET4_jRbjT5_S1E_jjP12ihipStream_tbEUljE_ZNSN_ISO_Lb0ESQ_SR_ST_SU_SY_EESZ_S10_S11_S12_S16_S17_S18_S1B_S1C_jS1D_jS1E_S1E_jjS1G_bEUljE0_EEESZ_S10_S11_S18_S1C_S1E_T6_T7_T9_mT8_S1G_bDpT10_ENKUlT_T0_E_clISt17integral_constantIbLb0EES1U_EEDaS1P_S1Q_EUlS1P_E_NS1_11comp_targetILNS1_3genE8ELNS1_11target_archE1030ELNS1_3gpuE2ELNS1_3repE0EEENS1_30default_config_static_selectorELNS0_4arch9wavefront6targetE1EEEvS12_,comdat
.Lfunc_end543:
	.size	_ZN7rocprim17ROCPRIM_400000_NS6detail17trampoline_kernelINS0_13select_configILj256ELj13ELNS0_17block_load_methodE3ELS4_3ELS4_3ELNS0_20block_scan_algorithmE0ELj4294967295EEENS1_25partition_config_selectorILNS1_17partition_subalgoE4EjNS0_10empty_typeEbEEZZNS1_14partition_implILS8_4ELb0ES6_15HIP_vector_typeIjLj2EENS0_17counting_iteratorIjlEEPS9_SG_NS0_5tupleIJPjSI_NS0_16reverse_iteratorISI_EEEEENSH_IJSG_SG_SG_EEES9_SI_JZNS1_25segmented_radix_sort_implINS0_14default_configELb0EPKiPiPKlPlN2at6native12_GLOBAL__N_18offset_tEEE10hipError_tPvRmT1_PNSt15iterator_traitsIS12_E10value_typeET2_T3_PNS13_IS18_E10value_typeET4_jRbjT5_S1E_jjP12ihipStream_tbEUljE_ZNSN_ISO_Lb0ESQ_SR_ST_SU_SY_EESZ_S10_S11_S12_S16_S17_S18_S1B_S1C_jS1D_jS1E_S1E_jjS1G_bEUljE0_EEESZ_S10_S11_S18_S1C_S1E_T6_T7_T9_mT8_S1G_bDpT10_ENKUlT_T0_E_clISt17integral_constantIbLb0EES1U_EEDaS1P_S1Q_EUlS1P_E_NS1_11comp_targetILNS1_3genE8ELNS1_11target_archE1030ELNS1_3gpuE2ELNS1_3repE0EEENS1_30default_config_static_selectorELNS0_4arch9wavefront6targetE1EEEvS12_, .Lfunc_end543-_ZN7rocprim17ROCPRIM_400000_NS6detail17trampoline_kernelINS0_13select_configILj256ELj13ELNS0_17block_load_methodE3ELS4_3ELS4_3ELNS0_20block_scan_algorithmE0ELj4294967295EEENS1_25partition_config_selectorILNS1_17partition_subalgoE4EjNS0_10empty_typeEbEEZZNS1_14partition_implILS8_4ELb0ES6_15HIP_vector_typeIjLj2EENS0_17counting_iteratorIjlEEPS9_SG_NS0_5tupleIJPjSI_NS0_16reverse_iteratorISI_EEEEENSH_IJSG_SG_SG_EEES9_SI_JZNS1_25segmented_radix_sort_implINS0_14default_configELb0EPKiPiPKlPlN2at6native12_GLOBAL__N_18offset_tEEE10hipError_tPvRmT1_PNSt15iterator_traitsIS12_E10value_typeET2_T3_PNS13_IS18_E10value_typeET4_jRbjT5_S1E_jjP12ihipStream_tbEUljE_ZNSN_ISO_Lb0ESQ_SR_ST_SU_SY_EESZ_S10_S11_S12_S16_S17_S18_S1B_S1C_jS1D_jS1E_S1E_jjS1G_bEUljE0_EEESZ_S10_S11_S18_S1C_S1E_T6_T7_T9_mT8_S1G_bDpT10_ENKUlT_T0_E_clISt17integral_constantIbLb0EES1U_EEDaS1P_S1Q_EUlS1P_E_NS1_11comp_targetILNS1_3genE8ELNS1_11target_archE1030ELNS1_3gpuE2ELNS1_3repE0EEENS1_30default_config_static_selectorELNS0_4arch9wavefront6targetE1EEEvS12_
                                        ; -- End function
	.section	.AMDGPU.csdata,"",@progbits
; Kernel info:
; codeLenInByte = 0
; NumSgprs: 4
; NumVgprs: 0
; NumAgprs: 0
; TotalNumVgprs: 0
; ScratchSize: 0
; MemoryBound: 0
; FloatMode: 240
; IeeeMode: 1
; LDSByteSize: 0 bytes/workgroup (compile time only)
; SGPRBlocks: 0
; VGPRBlocks: 0
; NumSGPRsForWavesPerEU: 4
; NumVGPRsForWavesPerEU: 1
; AccumOffset: 4
; Occupancy: 8
; WaveLimiterHint : 0
; COMPUTE_PGM_RSRC2:SCRATCH_EN: 0
; COMPUTE_PGM_RSRC2:USER_SGPR: 6
; COMPUTE_PGM_RSRC2:TRAP_HANDLER: 0
; COMPUTE_PGM_RSRC2:TGID_X_EN: 1
; COMPUTE_PGM_RSRC2:TGID_Y_EN: 0
; COMPUTE_PGM_RSRC2:TGID_Z_EN: 0
; COMPUTE_PGM_RSRC2:TIDIG_COMP_CNT: 0
; COMPUTE_PGM_RSRC3_GFX90A:ACCUM_OFFSET: 0
; COMPUTE_PGM_RSRC3_GFX90A:TG_SPLIT: 0
	.section	.text._ZN7rocprim17ROCPRIM_400000_NS6detail17trampoline_kernelINS0_13select_configILj256ELj13ELNS0_17block_load_methodE3ELS4_3ELS4_3ELNS0_20block_scan_algorithmE0ELj4294967295EEENS1_25partition_config_selectorILNS1_17partition_subalgoE4EjNS0_10empty_typeEbEEZZNS1_14partition_implILS8_4ELb0ES6_15HIP_vector_typeIjLj2EENS0_17counting_iteratorIjlEEPS9_SG_NS0_5tupleIJPjSI_NS0_16reverse_iteratorISI_EEEEENSH_IJSG_SG_SG_EEES9_SI_JZNS1_25segmented_radix_sort_implINS0_14default_configELb0EPKiPiPKlPlN2at6native12_GLOBAL__N_18offset_tEEE10hipError_tPvRmT1_PNSt15iterator_traitsIS12_E10value_typeET2_T3_PNS13_IS18_E10value_typeET4_jRbjT5_S1E_jjP12ihipStream_tbEUljE_ZNSN_ISO_Lb0ESQ_SR_ST_SU_SY_EESZ_S10_S11_S12_S16_S17_S18_S1B_S1C_jS1D_jS1E_S1E_jjS1G_bEUljE0_EEESZ_S10_S11_S18_S1C_S1E_T6_T7_T9_mT8_S1G_bDpT10_ENKUlT_T0_E_clISt17integral_constantIbLb1EES1U_EEDaS1P_S1Q_EUlS1P_E_NS1_11comp_targetILNS1_3genE0ELNS1_11target_archE4294967295ELNS1_3gpuE0ELNS1_3repE0EEENS1_30default_config_static_selectorELNS0_4arch9wavefront6targetE1EEEvS12_,"axG",@progbits,_ZN7rocprim17ROCPRIM_400000_NS6detail17trampoline_kernelINS0_13select_configILj256ELj13ELNS0_17block_load_methodE3ELS4_3ELS4_3ELNS0_20block_scan_algorithmE0ELj4294967295EEENS1_25partition_config_selectorILNS1_17partition_subalgoE4EjNS0_10empty_typeEbEEZZNS1_14partition_implILS8_4ELb0ES6_15HIP_vector_typeIjLj2EENS0_17counting_iteratorIjlEEPS9_SG_NS0_5tupleIJPjSI_NS0_16reverse_iteratorISI_EEEEENSH_IJSG_SG_SG_EEES9_SI_JZNS1_25segmented_radix_sort_implINS0_14default_configELb0EPKiPiPKlPlN2at6native12_GLOBAL__N_18offset_tEEE10hipError_tPvRmT1_PNSt15iterator_traitsIS12_E10value_typeET2_T3_PNS13_IS18_E10value_typeET4_jRbjT5_S1E_jjP12ihipStream_tbEUljE_ZNSN_ISO_Lb0ESQ_SR_ST_SU_SY_EESZ_S10_S11_S12_S16_S17_S18_S1B_S1C_jS1D_jS1E_S1E_jjS1G_bEUljE0_EEESZ_S10_S11_S18_S1C_S1E_T6_T7_T9_mT8_S1G_bDpT10_ENKUlT_T0_E_clISt17integral_constantIbLb1EES1U_EEDaS1P_S1Q_EUlS1P_E_NS1_11comp_targetILNS1_3genE0ELNS1_11target_archE4294967295ELNS1_3gpuE0ELNS1_3repE0EEENS1_30default_config_static_selectorELNS0_4arch9wavefront6targetE1EEEvS12_,comdat
	.globl	_ZN7rocprim17ROCPRIM_400000_NS6detail17trampoline_kernelINS0_13select_configILj256ELj13ELNS0_17block_load_methodE3ELS4_3ELS4_3ELNS0_20block_scan_algorithmE0ELj4294967295EEENS1_25partition_config_selectorILNS1_17partition_subalgoE4EjNS0_10empty_typeEbEEZZNS1_14partition_implILS8_4ELb0ES6_15HIP_vector_typeIjLj2EENS0_17counting_iteratorIjlEEPS9_SG_NS0_5tupleIJPjSI_NS0_16reverse_iteratorISI_EEEEENSH_IJSG_SG_SG_EEES9_SI_JZNS1_25segmented_radix_sort_implINS0_14default_configELb0EPKiPiPKlPlN2at6native12_GLOBAL__N_18offset_tEEE10hipError_tPvRmT1_PNSt15iterator_traitsIS12_E10value_typeET2_T3_PNS13_IS18_E10value_typeET4_jRbjT5_S1E_jjP12ihipStream_tbEUljE_ZNSN_ISO_Lb0ESQ_SR_ST_SU_SY_EESZ_S10_S11_S12_S16_S17_S18_S1B_S1C_jS1D_jS1E_S1E_jjS1G_bEUljE0_EEESZ_S10_S11_S18_S1C_S1E_T6_T7_T9_mT8_S1G_bDpT10_ENKUlT_T0_E_clISt17integral_constantIbLb1EES1U_EEDaS1P_S1Q_EUlS1P_E_NS1_11comp_targetILNS1_3genE0ELNS1_11target_archE4294967295ELNS1_3gpuE0ELNS1_3repE0EEENS1_30default_config_static_selectorELNS0_4arch9wavefront6targetE1EEEvS12_ ; -- Begin function _ZN7rocprim17ROCPRIM_400000_NS6detail17trampoline_kernelINS0_13select_configILj256ELj13ELNS0_17block_load_methodE3ELS4_3ELS4_3ELNS0_20block_scan_algorithmE0ELj4294967295EEENS1_25partition_config_selectorILNS1_17partition_subalgoE4EjNS0_10empty_typeEbEEZZNS1_14partition_implILS8_4ELb0ES6_15HIP_vector_typeIjLj2EENS0_17counting_iteratorIjlEEPS9_SG_NS0_5tupleIJPjSI_NS0_16reverse_iteratorISI_EEEEENSH_IJSG_SG_SG_EEES9_SI_JZNS1_25segmented_radix_sort_implINS0_14default_configELb0EPKiPiPKlPlN2at6native12_GLOBAL__N_18offset_tEEE10hipError_tPvRmT1_PNSt15iterator_traitsIS12_E10value_typeET2_T3_PNS13_IS18_E10value_typeET4_jRbjT5_S1E_jjP12ihipStream_tbEUljE_ZNSN_ISO_Lb0ESQ_SR_ST_SU_SY_EESZ_S10_S11_S12_S16_S17_S18_S1B_S1C_jS1D_jS1E_S1E_jjS1G_bEUljE0_EEESZ_S10_S11_S18_S1C_S1E_T6_T7_T9_mT8_S1G_bDpT10_ENKUlT_T0_E_clISt17integral_constantIbLb1EES1U_EEDaS1P_S1Q_EUlS1P_E_NS1_11comp_targetILNS1_3genE0ELNS1_11target_archE4294967295ELNS1_3gpuE0ELNS1_3repE0EEENS1_30default_config_static_selectorELNS0_4arch9wavefront6targetE1EEEvS12_
	.p2align	8
	.type	_ZN7rocprim17ROCPRIM_400000_NS6detail17trampoline_kernelINS0_13select_configILj256ELj13ELNS0_17block_load_methodE3ELS4_3ELS4_3ELNS0_20block_scan_algorithmE0ELj4294967295EEENS1_25partition_config_selectorILNS1_17partition_subalgoE4EjNS0_10empty_typeEbEEZZNS1_14partition_implILS8_4ELb0ES6_15HIP_vector_typeIjLj2EENS0_17counting_iteratorIjlEEPS9_SG_NS0_5tupleIJPjSI_NS0_16reverse_iteratorISI_EEEEENSH_IJSG_SG_SG_EEES9_SI_JZNS1_25segmented_radix_sort_implINS0_14default_configELb0EPKiPiPKlPlN2at6native12_GLOBAL__N_18offset_tEEE10hipError_tPvRmT1_PNSt15iterator_traitsIS12_E10value_typeET2_T3_PNS13_IS18_E10value_typeET4_jRbjT5_S1E_jjP12ihipStream_tbEUljE_ZNSN_ISO_Lb0ESQ_SR_ST_SU_SY_EESZ_S10_S11_S12_S16_S17_S18_S1B_S1C_jS1D_jS1E_S1E_jjS1G_bEUljE0_EEESZ_S10_S11_S18_S1C_S1E_T6_T7_T9_mT8_S1G_bDpT10_ENKUlT_T0_E_clISt17integral_constantIbLb1EES1U_EEDaS1P_S1Q_EUlS1P_E_NS1_11comp_targetILNS1_3genE0ELNS1_11target_archE4294967295ELNS1_3gpuE0ELNS1_3repE0EEENS1_30default_config_static_selectorELNS0_4arch9wavefront6targetE1EEEvS12_,@function
_ZN7rocprim17ROCPRIM_400000_NS6detail17trampoline_kernelINS0_13select_configILj256ELj13ELNS0_17block_load_methodE3ELS4_3ELS4_3ELNS0_20block_scan_algorithmE0ELj4294967295EEENS1_25partition_config_selectorILNS1_17partition_subalgoE4EjNS0_10empty_typeEbEEZZNS1_14partition_implILS8_4ELb0ES6_15HIP_vector_typeIjLj2EENS0_17counting_iteratorIjlEEPS9_SG_NS0_5tupleIJPjSI_NS0_16reverse_iteratorISI_EEEEENSH_IJSG_SG_SG_EEES9_SI_JZNS1_25segmented_radix_sort_implINS0_14default_configELb0EPKiPiPKlPlN2at6native12_GLOBAL__N_18offset_tEEE10hipError_tPvRmT1_PNSt15iterator_traitsIS12_E10value_typeET2_T3_PNS13_IS18_E10value_typeET4_jRbjT5_S1E_jjP12ihipStream_tbEUljE_ZNSN_ISO_Lb0ESQ_SR_ST_SU_SY_EESZ_S10_S11_S12_S16_S17_S18_S1B_S1C_jS1D_jS1E_S1E_jjS1G_bEUljE0_EEESZ_S10_S11_S18_S1C_S1E_T6_T7_T9_mT8_S1G_bDpT10_ENKUlT_T0_E_clISt17integral_constantIbLb1EES1U_EEDaS1P_S1Q_EUlS1P_E_NS1_11comp_targetILNS1_3genE0ELNS1_11target_archE4294967295ELNS1_3gpuE0ELNS1_3repE0EEENS1_30default_config_static_selectorELNS0_4arch9wavefront6targetE1EEEvS12_: ; @_ZN7rocprim17ROCPRIM_400000_NS6detail17trampoline_kernelINS0_13select_configILj256ELj13ELNS0_17block_load_methodE3ELS4_3ELS4_3ELNS0_20block_scan_algorithmE0ELj4294967295EEENS1_25partition_config_selectorILNS1_17partition_subalgoE4EjNS0_10empty_typeEbEEZZNS1_14partition_implILS8_4ELb0ES6_15HIP_vector_typeIjLj2EENS0_17counting_iteratorIjlEEPS9_SG_NS0_5tupleIJPjSI_NS0_16reverse_iteratorISI_EEEEENSH_IJSG_SG_SG_EEES9_SI_JZNS1_25segmented_radix_sort_implINS0_14default_configELb0EPKiPiPKlPlN2at6native12_GLOBAL__N_18offset_tEEE10hipError_tPvRmT1_PNSt15iterator_traitsIS12_E10value_typeET2_T3_PNS13_IS18_E10value_typeET4_jRbjT5_S1E_jjP12ihipStream_tbEUljE_ZNSN_ISO_Lb0ESQ_SR_ST_SU_SY_EESZ_S10_S11_S12_S16_S17_S18_S1B_S1C_jS1D_jS1E_S1E_jjS1G_bEUljE0_EEESZ_S10_S11_S18_S1C_S1E_T6_T7_T9_mT8_S1G_bDpT10_ENKUlT_T0_E_clISt17integral_constantIbLb1EES1U_EEDaS1P_S1Q_EUlS1P_E_NS1_11comp_targetILNS1_3genE0ELNS1_11target_archE4294967295ELNS1_3gpuE0ELNS1_3repE0EEENS1_30default_config_static_selectorELNS0_4arch9wavefront6targetE1EEEvS12_
; %bb.0:
	.section	.rodata,"a",@progbits
	.p2align	6, 0x0
	.amdhsa_kernel _ZN7rocprim17ROCPRIM_400000_NS6detail17trampoline_kernelINS0_13select_configILj256ELj13ELNS0_17block_load_methodE3ELS4_3ELS4_3ELNS0_20block_scan_algorithmE0ELj4294967295EEENS1_25partition_config_selectorILNS1_17partition_subalgoE4EjNS0_10empty_typeEbEEZZNS1_14partition_implILS8_4ELb0ES6_15HIP_vector_typeIjLj2EENS0_17counting_iteratorIjlEEPS9_SG_NS0_5tupleIJPjSI_NS0_16reverse_iteratorISI_EEEEENSH_IJSG_SG_SG_EEES9_SI_JZNS1_25segmented_radix_sort_implINS0_14default_configELb0EPKiPiPKlPlN2at6native12_GLOBAL__N_18offset_tEEE10hipError_tPvRmT1_PNSt15iterator_traitsIS12_E10value_typeET2_T3_PNS13_IS18_E10value_typeET4_jRbjT5_S1E_jjP12ihipStream_tbEUljE_ZNSN_ISO_Lb0ESQ_SR_ST_SU_SY_EESZ_S10_S11_S12_S16_S17_S18_S1B_S1C_jS1D_jS1E_S1E_jjS1G_bEUljE0_EEESZ_S10_S11_S18_S1C_S1E_T6_T7_T9_mT8_S1G_bDpT10_ENKUlT_T0_E_clISt17integral_constantIbLb1EES1U_EEDaS1P_S1Q_EUlS1P_E_NS1_11comp_targetILNS1_3genE0ELNS1_11target_archE4294967295ELNS1_3gpuE0ELNS1_3repE0EEENS1_30default_config_static_selectorELNS0_4arch9wavefront6targetE1EEEvS12_
		.amdhsa_group_segment_fixed_size 0
		.amdhsa_private_segment_fixed_size 0
		.amdhsa_kernarg_size 184
		.amdhsa_user_sgpr_count 6
		.amdhsa_user_sgpr_private_segment_buffer 1
		.amdhsa_user_sgpr_dispatch_ptr 0
		.amdhsa_user_sgpr_queue_ptr 0
		.amdhsa_user_sgpr_kernarg_segment_ptr 1
		.amdhsa_user_sgpr_dispatch_id 0
		.amdhsa_user_sgpr_flat_scratch_init 0
		.amdhsa_user_sgpr_kernarg_preload_length 0
		.amdhsa_user_sgpr_kernarg_preload_offset 0
		.amdhsa_user_sgpr_private_segment_size 0
		.amdhsa_uses_dynamic_stack 0
		.amdhsa_system_sgpr_private_segment_wavefront_offset 0
		.amdhsa_system_sgpr_workgroup_id_x 1
		.amdhsa_system_sgpr_workgroup_id_y 0
		.amdhsa_system_sgpr_workgroup_id_z 0
		.amdhsa_system_sgpr_workgroup_info 0
		.amdhsa_system_vgpr_workitem_id 0
		.amdhsa_next_free_vgpr 1
		.amdhsa_next_free_sgpr 0
		.amdhsa_accum_offset 4
		.amdhsa_reserve_vcc 0
		.amdhsa_reserve_flat_scratch 0
		.amdhsa_float_round_mode_32 0
		.amdhsa_float_round_mode_16_64 0
		.amdhsa_float_denorm_mode_32 3
		.amdhsa_float_denorm_mode_16_64 3
		.amdhsa_dx10_clamp 1
		.amdhsa_ieee_mode 1
		.amdhsa_fp16_overflow 0
		.amdhsa_tg_split 0
		.amdhsa_exception_fp_ieee_invalid_op 0
		.amdhsa_exception_fp_denorm_src 0
		.amdhsa_exception_fp_ieee_div_zero 0
		.amdhsa_exception_fp_ieee_overflow 0
		.amdhsa_exception_fp_ieee_underflow 0
		.amdhsa_exception_fp_ieee_inexact 0
		.amdhsa_exception_int_div_zero 0
	.end_amdhsa_kernel
	.section	.text._ZN7rocprim17ROCPRIM_400000_NS6detail17trampoline_kernelINS0_13select_configILj256ELj13ELNS0_17block_load_methodE3ELS4_3ELS4_3ELNS0_20block_scan_algorithmE0ELj4294967295EEENS1_25partition_config_selectorILNS1_17partition_subalgoE4EjNS0_10empty_typeEbEEZZNS1_14partition_implILS8_4ELb0ES6_15HIP_vector_typeIjLj2EENS0_17counting_iteratorIjlEEPS9_SG_NS0_5tupleIJPjSI_NS0_16reverse_iteratorISI_EEEEENSH_IJSG_SG_SG_EEES9_SI_JZNS1_25segmented_radix_sort_implINS0_14default_configELb0EPKiPiPKlPlN2at6native12_GLOBAL__N_18offset_tEEE10hipError_tPvRmT1_PNSt15iterator_traitsIS12_E10value_typeET2_T3_PNS13_IS18_E10value_typeET4_jRbjT5_S1E_jjP12ihipStream_tbEUljE_ZNSN_ISO_Lb0ESQ_SR_ST_SU_SY_EESZ_S10_S11_S12_S16_S17_S18_S1B_S1C_jS1D_jS1E_S1E_jjS1G_bEUljE0_EEESZ_S10_S11_S18_S1C_S1E_T6_T7_T9_mT8_S1G_bDpT10_ENKUlT_T0_E_clISt17integral_constantIbLb1EES1U_EEDaS1P_S1Q_EUlS1P_E_NS1_11comp_targetILNS1_3genE0ELNS1_11target_archE4294967295ELNS1_3gpuE0ELNS1_3repE0EEENS1_30default_config_static_selectorELNS0_4arch9wavefront6targetE1EEEvS12_,"axG",@progbits,_ZN7rocprim17ROCPRIM_400000_NS6detail17trampoline_kernelINS0_13select_configILj256ELj13ELNS0_17block_load_methodE3ELS4_3ELS4_3ELNS0_20block_scan_algorithmE0ELj4294967295EEENS1_25partition_config_selectorILNS1_17partition_subalgoE4EjNS0_10empty_typeEbEEZZNS1_14partition_implILS8_4ELb0ES6_15HIP_vector_typeIjLj2EENS0_17counting_iteratorIjlEEPS9_SG_NS0_5tupleIJPjSI_NS0_16reverse_iteratorISI_EEEEENSH_IJSG_SG_SG_EEES9_SI_JZNS1_25segmented_radix_sort_implINS0_14default_configELb0EPKiPiPKlPlN2at6native12_GLOBAL__N_18offset_tEEE10hipError_tPvRmT1_PNSt15iterator_traitsIS12_E10value_typeET2_T3_PNS13_IS18_E10value_typeET4_jRbjT5_S1E_jjP12ihipStream_tbEUljE_ZNSN_ISO_Lb0ESQ_SR_ST_SU_SY_EESZ_S10_S11_S12_S16_S17_S18_S1B_S1C_jS1D_jS1E_S1E_jjS1G_bEUljE0_EEESZ_S10_S11_S18_S1C_S1E_T6_T7_T9_mT8_S1G_bDpT10_ENKUlT_T0_E_clISt17integral_constantIbLb1EES1U_EEDaS1P_S1Q_EUlS1P_E_NS1_11comp_targetILNS1_3genE0ELNS1_11target_archE4294967295ELNS1_3gpuE0ELNS1_3repE0EEENS1_30default_config_static_selectorELNS0_4arch9wavefront6targetE1EEEvS12_,comdat
.Lfunc_end544:
	.size	_ZN7rocprim17ROCPRIM_400000_NS6detail17trampoline_kernelINS0_13select_configILj256ELj13ELNS0_17block_load_methodE3ELS4_3ELS4_3ELNS0_20block_scan_algorithmE0ELj4294967295EEENS1_25partition_config_selectorILNS1_17partition_subalgoE4EjNS0_10empty_typeEbEEZZNS1_14partition_implILS8_4ELb0ES6_15HIP_vector_typeIjLj2EENS0_17counting_iteratorIjlEEPS9_SG_NS0_5tupleIJPjSI_NS0_16reverse_iteratorISI_EEEEENSH_IJSG_SG_SG_EEES9_SI_JZNS1_25segmented_radix_sort_implINS0_14default_configELb0EPKiPiPKlPlN2at6native12_GLOBAL__N_18offset_tEEE10hipError_tPvRmT1_PNSt15iterator_traitsIS12_E10value_typeET2_T3_PNS13_IS18_E10value_typeET4_jRbjT5_S1E_jjP12ihipStream_tbEUljE_ZNSN_ISO_Lb0ESQ_SR_ST_SU_SY_EESZ_S10_S11_S12_S16_S17_S18_S1B_S1C_jS1D_jS1E_S1E_jjS1G_bEUljE0_EEESZ_S10_S11_S18_S1C_S1E_T6_T7_T9_mT8_S1G_bDpT10_ENKUlT_T0_E_clISt17integral_constantIbLb1EES1U_EEDaS1P_S1Q_EUlS1P_E_NS1_11comp_targetILNS1_3genE0ELNS1_11target_archE4294967295ELNS1_3gpuE0ELNS1_3repE0EEENS1_30default_config_static_selectorELNS0_4arch9wavefront6targetE1EEEvS12_, .Lfunc_end544-_ZN7rocprim17ROCPRIM_400000_NS6detail17trampoline_kernelINS0_13select_configILj256ELj13ELNS0_17block_load_methodE3ELS4_3ELS4_3ELNS0_20block_scan_algorithmE0ELj4294967295EEENS1_25partition_config_selectorILNS1_17partition_subalgoE4EjNS0_10empty_typeEbEEZZNS1_14partition_implILS8_4ELb0ES6_15HIP_vector_typeIjLj2EENS0_17counting_iteratorIjlEEPS9_SG_NS0_5tupleIJPjSI_NS0_16reverse_iteratorISI_EEEEENSH_IJSG_SG_SG_EEES9_SI_JZNS1_25segmented_radix_sort_implINS0_14default_configELb0EPKiPiPKlPlN2at6native12_GLOBAL__N_18offset_tEEE10hipError_tPvRmT1_PNSt15iterator_traitsIS12_E10value_typeET2_T3_PNS13_IS18_E10value_typeET4_jRbjT5_S1E_jjP12ihipStream_tbEUljE_ZNSN_ISO_Lb0ESQ_SR_ST_SU_SY_EESZ_S10_S11_S12_S16_S17_S18_S1B_S1C_jS1D_jS1E_S1E_jjS1G_bEUljE0_EEESZ_S10_S11_S18_S1C_S1E_T6_T7_T9_mT8_S1G_bDpT10_ENKUlT_T0_E_clISt17integral_constantIbLb1EES1U_EEDaS1P_S1Q_EUlS1P_E_NS1_11comp_targetILNS1_3genE0ELNS1_11target_archE4294967295ELNS1_3gpuE0ELNS1_3repE0EEENS1_30default_config_static_selectorELNS0_4arch9wavefront6targetE1EEEvS12_
                                        ; -- End function
	.section	.AMDGPU.csdata,"",@progbits
; Kernel info:
; codeLenInByte = 0
; NumSgprs: 4
; NumVgprs: 0
; NumAgprs: 0
; TotalNumVgprs: 0
; ScratchSize: 0
; MemoryBound: 0
; FloatMode: 240
; IeeeMode: 1
; LDSByteSize: 0 bytes/workgroup (compile time only)
; SGPRBlocks: 0
; VGPRBlocks: 0
; NumSGPRsForWavesPerEU: 4
; NumVGPRsForWavesPerEU: 1
; AccumOffset: 4
; Occupancy: 8
; WaveLimiterHint : 0
; COMPUTE_PGM_RSRC2:SCRATCH_EN: 0
; COMPUTE_PGM_RSRC2:USER_SGPR: 6
; COMPUTE_PGM_RSRC2:TRAP_HANDLER: 0
; COMPUTE_PGM_RSRC2:TGID_X_EN: 1
; COMPUTE_PGM_RSRC2:TGID_Y_EN: 0
; COMPUTE_PGM_RSRC2:TGID_Z_EN: 0
; COMPUTE_PGM_RSRC2:TIDIG_COMP_CNT: 0
; COMPUTE_PGM_RSRC3_GFX90A:ACCUM_OFFSET: 0
; COMPUTE_PGM_RSRC3_GFX90A:TG_SPLIT: 0
	.section	.text._ZN7rocprim17ROCPRIM_400000_NS6detail17trampoline_kernelINS0_13select_configILj256ELj13ELNS0_17block_load_methodE3ELS4_3ELS4_3ELNS0_20block_scan_algorithmE0ELj4294967295EEENS1_25partition_config_selectorILNS1_17partition_subalgoE4EjNS0_10empty_typeEbEEZZNS1_14partition_implILS8_4ELb0ES6_15HIP_vector_typeIjLj2EENS0_17counting_iteratorIjlEEPS9_SG_NS0_5tupleIJPjSI_NS0_16reverse_iteratorISI_EEEEENSH_IJSG_SG_SG_EEES9_SI_JZNS1_25segmented_radix_sort_implINS0_14default_configELb0EPKiPiPKlPlN2at6native12_GLOBAL__N_18offset_tEEE10hipError_tPvRmT1_PNSt15iterator_traitsIS12_E10value_typeET2_T3_PNS13_IS18_E10value_typeET4_jRbjT5_S1E_jjP12ihipStream_tbEUljE_ZNSN_ISO_Lb0ESQ_SR_ST_SU_SY_EESZ_S10_S11_S12_S16_S17_S18_S1B_S1C_jS1D_jS1E_S1E_jjS1G_bEUljE0_EEESZ_S10_S11_S18_S1C_S1E_T6_T7_T9_mT8_S1G_bDpT10_ENKUlT_T0_E_clISt17integral_constantIbLb1EES1U_EEDaS1P_S1Q_EUlS1P_E_NS1_11comp_targetILNS1_3genE5ELNS1_11target_archE942ELNS1_3gpuE9ELNS1_3repE0EEENS1_30default_config_static_selectorELNS0_4arch9wavefront6targetE1EEEvS12_,"axG",@progbits,_ZN7rocprim17ROCPRIM_400000_NS6detail17trampoline_kernelINS0_13select_configILj256ELj13ELNS0_17block_load_methodE3ELS4_3ELS4_3ELNS0_20block_scan_algorithmE0ELj4294967295EEENS1_25partition_config_selectorILNS1_17partition_subalgoE4EjNS0_10empty_typeEbEEZZNS1_14partition_implILS8_4ELb0ES6_15HIP_vector_typeIjLj2EENS0_17counting_iteratorIjlEEPS9_SG_NS0_5tupleIJPjSI_NS0_16reverse_iteratorISI_EEEEENSH_IJSG_SG_SG_EEES9_SI_JZNS1_25segmented_radix_sort_implINS0_14default_configELb0EPKiPiPKlPlN2at6native12_GLOBAL__N_18offset_tEEE10hipError_tPvRmT1_PNSt15iterator_traitsIS12_E10value_typeET2_T3_PNS13_IS18_E10value_typeET4_jRbjT5_S1E_jjP12ihipStream_tbEUljE_ZNSN_ISO_Lb0ESQ_SR_ST_SU_SY_EESZ_S10_S11_S12_S16_S17_S18_S1B_S1C_jS1D_jS1E_S1E_jjS1G_bEUljE0_EEESZ_S10_S11_S18_S1C_S1E_T6_T7_T9_mT8_S1G_bDpT10_ENKUlT_T0_E_clISt17integral_constantIbLb1EES1U_EEDaS1P_S1Q_EUlS1P_E_NS1_11comp_targetILNS1_3genE5ELNS1_11target_archE942ELNS1_3gpuE9ELNS1_3repE0EEENS1_30default_config_static_selectorELNS0_4arch9wavefront6targetE1EEEvS12_,comdat
	.globl	_ZN7rocprim17ROCPRIM_400000_NS6detail17trampoline_kernelINS0_13select_configILj256ELj13ELNS0_17block_load_methodE3ELS4_3ELS4_3ELNS0_20block_scan_algorithmE0ELj4294967295EEENS1_25partition_config_selectorILNS1_17partition_subalgoE4EjNS0_10empty_typeEbEEZZNS1_14partition_implILS8_4ELb0ES6_15HIP_vector_typeIjLj2EENS0_17counting_iteratorIjlEEPS9_SG_NS0_5tupleIJPjSI_NS0_16reverse_iteratorISI_EEEEENSH_IJSG_SG_SG_EEES9_SI_JZNS1_25segmented_radix_sort_implINS0_14default_configELb0EPKiPiPKlPlN2at6native12_GLOBAL__N_18offset_tEEE10hipError_tPvRmT1_PNSt15iterator_traitsIS12_E10value_typeET2_T3_PNS13_IS18_E10value_typeET4_jRbjT5_S1E_jjP12ihipStream_tbEUljE_ZNSN_ISO_Lb0ESQ_SR_ST_SU_SY_EESZ_S10_S11_S12_S16_S17_S18_S1B_S1C_jS1D_jS1E_S1E_jjS1G_bEUljE0_EEESZ_S10_S11_S18_S1C_S1E_T6_T7_T9_mT8_S1G_bDpT10_ENKUlT_T0_E_clISt17integral_constantIbLb1EES1U_EEDaS1P_S1Q_EUlS1P_E_NS1_11comp_targetILNS1_3genE5ELNS1_11target_archE942ELNS1_3gpuE9ELNS1_3repE0EEENS1_30default_config_static_selectorELNS0_4arch9wavefront6targetE1EEEvS12_ ; -- Begin function _ZN7rocprim17ROCPRIM_400000_NS6detail17trampoline_kernelINS0_13select_configILj256ELj13ELNS0_17block_load_methodE3ELS4_3ELS4_3ELNS0_20block_scan_algorithmE0ELj4294967295EEENS1_25partition_config_selectorILNS1_17partition_subalgoE4EjNS0_10empty_typeEbEEZZNS1_14partition_implILS8_4ELb0ES6_15HIP_vector_typeIjLj2EENS0_17counting_iteratorIjlEEPS9_SG_NS0_5tupleIJPjSI_NS0_16reverse_iteratorISI_EEEEENSH_IJSG_SG_SG_EEES9_SI_JZNS1_25segmented_radix_sort_implINS0_14default_configELb0EPKiPiPKlPlN2at6native12_GLOBAL__N_18offset_tEEE10hipError_tPvRmT1_PNSt15iterator_traitsIS12_E10value_typeET2_T3_PNS13_IS18_E10value_typeET4_jRbjT5_S1E_jjP12ihipStream_tbEUljE_ZNSN_ISO_Lb0ESQ_SR_ST_SU_SY_EESZ_S10_S11_S12_S16_S17_S18_S1B_S1C_jS1D_jS1E_S1E_jjS1G_bEUljE0_EEESZ_S10_S11_S18_S1C_S1E_T6_T7_T9_mT8_S1G_bDpT10_ENKUlT_T0_E_clISt17integral_constantIbLb1EES1U_EEDaS1P_S1Q_EUlS1P_E_NS1_11comp_targetILNS1_3genE5ELNS1_11target_archE942ELNS1_3gpuE9ELNS1_3repE0EEENS1_30default_config_static_selectorELNS0_4arch9wavefront6targetE1EEEvS12_
	.p2align	8
	.type	_ZN7rocprim17ROCPRIM_400000_NS6detail17trampoline_kernelINS0_13select_configILj256ELj13ELNS0_17block_load_methodE3ELS4_3ELS4_3ELNS0_20block_scan_algorithmE0ELj4294967295EEENS1_25partition_config_selectorILNS1_17partition_subalgoE4EjNS0_10empty_typeEbEEZZNS1_14partition_implILS8_4ELb0ES6_15HIP_vector_typeIjLj2EENS0_17counting_iteratorIjlEEPS9_SG_NS0_5tupleIJPjSI_NS0_16reverse_iteratorISI_EEEEENSH_IJSG_SG_SG_EEES9_SI_JZNS1_25segmented_radix_sort_implINS0_14default_configELb0EPKiPiPKlPlN2at6native12_GLOBAL__N_18offset_tEEE10hipError_tPvRmT1_PNSt15iterator_traitsIS12_E10value_typeET2_T3_PNS13_IS18_E10value_typeET4_jRbjT5_S1E_jjP12ihipStream_tbEUljE_ZNSN_ISO_Lb0ESQ_SR_ST_SU_SY_EESZ_S10_S11_S12_S16_S17_S18_S1B_S1C_jS1D_jS1E_S1E_jjS1G_bEUljE0_EEESZ_S10_S11_S18_S1C_S1E_T6_T7_T9_mT8_S1G_bDpT10_ENKUlT_T0_E_clISt17integral_constantIbLb1EES1U_EEDaS1P_S1Q_EUlS1P_E_NS1_11comp_targetILNS1_3genE5ELNS1_11target_archE942ELNS1_3gpuE9ELNS1_3repE0EEENS1_30default_config_static_selectorELNS0_4arch9wavefront6targetE1EEEvS12_,@function
_ZN7rocprim17ROCPRIM_400000_NS6detail17trampoline_kernelINS0_13select_configILj256ELj13ELNS0_17block_load_methodE3ELS4_3ELS4_3ELNS0_20block_scan_algorithmE0ELj4294967295EEENS1_25partition_config_selectorILNS1_17partition_subalgoE4EjNS0_10empty_typeEbEEZZNS1_14partition_implILS8_4ELb0ES6_15HIP_vector_typeIjLj2EENS0_17counting_iteratorIjlEEPS9_SG_NS0_5tupleIJPjSI_NS0_16reverse_iteratorISI_EEEEENSH_IJSG_SG_SG_EEES9_SI_JZNS1_25segmented_radix_sort_implINS0_14default_configELb0EPKiPiPKlPlN2at6native12_GLOBAL__N_18offset_tEEE10hipError_tPvRmT1_PNSt15iterator_traitsIS12_E10value_typeET2_T3_PNS13_IS18_E10value_typeET4_jRbjT5_S1E_jjP12ihipStream_tbEUljE_ZNSN_ISO_Lb0ESQ_SR_ST_SU_SY_EESZ_S10_S11_S12_S16_S17_S18_S1B_S1C_jS1D_jS1E_S1E_jjS1G_bEUljE0_EEESZ_S10_S11_S18_S1C_S1E_T6_T7_T9_mT8_S1G_bDpT10_ENKUlT_T0_E_clISt17integral_constantIbLb1EES1U_EEDaS1P_S1Q_EUlS1P_E_NS1_11comp_targetILNS1_3genE5ELNS1_11target_archE942ELNS1_3gpuE9ELNS1_3repE0EEENS1_30default_config_static_selectorELNS0_4arch9wavefront6targetE1EEEvS12_: ; @_ZN7rocprim17ROCPRIM_400000_NS6detail17trampoline_kernelINS0_13select_configILj256ELj13ELNS0_17block_load_methodE3ELS4_3ELS4_3ELNS0_20block_scan_algorithmE0ELj4294967295EEENS1_25partition_config_selectorILNS1_17partition_subalgoE4EjNS0_10empty_typeEbEEZZNS1_14partition_implILS8_4ELb0ES6_15HIP_vector_typeIjLj2EENS0_17counting_iteratorIjlEEPS9_SG_NS0_5tupleIJPjSI_NS0_16reverse_iteratorISI_EEEEENSH_IJSG_SG_SG_EEES9_SI_JZNS1_25segmented_radix_sort_implINS0_14default_configELb0EPKiPiPKlPlN2at6native12_GLOBAL__N_18offset_tEEE10hipError_tPvRmT1_PNSt15iterator_traitsIS12_E10value_typeET2_T3_PNS13_IS18_E10value_typeET4_jRbjT5_S1E_jjP12ihipStream_tbEUljE_ZNSN_ISO_Lb0ESQ_SR_ST_SU_SY_EESZ_S10_S11_S12_S16_S17_S18_S1B_S1C_jS1D_jS1E_S1E_jjS1G_bEUljE0_EEESZ_S10_S11_S18_S1C_S1E_T6_T7_T9_mT8_S1G_bDpT10_ENKUlT_T0_E_clISt17integral_constantIbLb1EES1U_EEDaS1P_S1Q_EUlS1P_E_NS1_11comp_targetILNS1_3genE5ELNS1_11target_archE942ELNS1_3gpuE9ELNS1_3repE0EEENS1_30default_config_static_selectorELNS0_4arch9wavefront6targetE1EEEvS12_
; %bb.0:
	.section	.rodata,"a",@progbits
	.p2align	6, 0x0
	.amdhsa_kernel _ZN7rocprim17ROCPRIM_400000_NS6detail17trampoline_kernelINS0_13select_configILj256ELj13ELNS0_17block_load_methodE3ELS4_3ELS4_3ELNS0_20block_scan_algorithmE0ELj4294967295EEENS1_25partition_config_selectorILNS1_17partition_subalgoE4EjNS0_10empty_typeEbEEZZNS1_14partition_implILS8_4ELb0ES6_15HIP_vector_typeIjLj2EENS0_17counting_iteratorIjlEEPS9_SG_NS0_5tupleIJPjSI_NS0_16reverse_iteratorISI_EEEEENSH_IJSG_SG_SG_EEES9_SI_JZNS1_25segmented_radix_sort_implINS0_14default_configELb0EPKiPiPKlPlN2at6native12_GLOBAL__N_18offset_tEEE10hipError_tPvRmT1_PNSt15iterator_traitsIS12_E10value_typeET2_T3_PNS13_IS18_E10value_typeET4_jRbjT5_S1E_jjP12ihipStream_tbEUljE_ZNSN_ISO_Lb0ESQ_SR_ST_SU_SY_EESZ_S10_S11_S12_S16_S17_S18_S1B_S1C_jS1D_jS1E_S1E_jjS1G_bEUljE0_EEESZ_S10_S11_S18_S1C_S1E_T6_T7_T9_mT8_S1G_bDpT10_ENKUlT_T0_E_clISt17integral_constantIbLb1EES1U_EEDaS1P_S1Q_EUlS1P_E_NS1_11comp_targetILNS1_3genE5ELNS1_11target_archE942ELNS1_3gpuE9ELNS1_3repE0EEENS1_30default_config_static_selectorELNS0_4arch9wavefront6targetE1EEEvS12_
		.amdhsa_group_segment_fixed_size 0
		.amdhsa_private_segment_fixed_size 0
		.amdhsa_kernarg_size 184
		.amdhsa_user_sgpr_count 6
		.amdhsa_user_sgpr_private_segment_buffer 1
		.amdhsa_user_sgpr_dispatch_ptr 0
		.amdhsa_user_sgpr_queue_ptr 0
		.amdhsa_user_sgpr_kernarg_segment_ptr 1
		.amdhsa_user_sgpr_dispatch_id 0
		.amdhsa_user_sgpr_flat_scratch_init 0
		.amdhsa_user_sgpr_kernarg_preload_length 0
		.amdhsa_user_sgpr_kernarg_preload_offset 0
		.amdhsa_user_sgpr_private_segment_size 0
		.amdhsa_uses_dynamic_stack 0
		.amdhsa_system_sgpr_private_segment_wavefront_offset 0
		.amdhsa_system_sgpr_workgroup_id_x 1
		.amdhsa_system_sgpr_workgroup_id_y 0
		.amdhsa_system_sgpr_workgroup_id_z 0
		.amdhsa_system_sgpr_workgroup_info 0
		.amdhsa_system_vgpr_workitem_id 0
		.amdhsa_next_free_vgpr 1
		.amdhsa_next_free_sgpr 0
		.amdhsa_accum_offset 4
		.amdhsa_reserve_vcc 0
		.amdhsa_reserve_flat_scratch 0
		.amdhsa_float_round_mode_32 0
		.amdhsa_float_round_mode_16_64 0
		.amdhsa_float_denorm_mode_32 3
		.amdhsa_float_denorm_mode_16_64 3
		.amdhsa_dx10_clamp 1
		.amdhsa_ieee_mode 1
		.amdhsa_fp16_overflow 0
		.amdhsa_tg_split 0
		.amdhsa_exception_fp_ieee_invalid_op 0
		.amdhsa_exception_fp_denorm_src 0
		.amdhsa_exception_fp_ieee_div_zero 0
		.amdhsa_exception_fp_ieee_overflow 0
		.amdhsa_exception_fp_ieee_underflow 0
		.amdhsa_exception_fp_ieee_inexact 0
		.amdhsa_exception_int_div_zero 0
	.end_amdhsa_kernel
	.section	.text._ZN7rocprim17ROCPRIM_400000_NS6detail17trampoline_kernelINS0_13select_configILj256ELj13ELNS0_17block_load_methodE3ELS4_3ELS4_3ELNS0_20block_scan_algorithmE0ELj4294967295EEENS1_25partition_config_selectorILNS1_17partition_subalgoE4EjNS0_10empty_typeEbEEZZNS1_14partition_implILS8_4ELb0ES6_15HIP_vector_typeIjLj2EENS0_17counting_iteratorIjlEEPS9_SG_NS0_5tupleIJPjSI_NS0_16reverse_iteratorISI_EEEEENSH_IJSG_SG_SG_EEES9_SI_JZNS1_25segmented_radix_sort_implINS0_14default_configELb0EPKiPiPKlPlN2at6native12_GLOBAL__N_18offset_tEEE10hipError_tPvRmT1_PNSt15iterator_traitsIS12_E10value_typeET2_T3_PNS13_IS18_E10value_typeET4_jRbjT5_S1E_jjP12ihipStream_tbEUljE_ZNSN_ISO_Lb0ESQ_SR_ST_SU_SY_EESZ_S10_S11_S12_S16_S17_S18_S1B_S1C_jS1D_jS1E_S1E_jjS1G_bEUljE0_EEESZ_S10_S11_S18_S1C_S1E_T6_T7_T9_mT8_S1G_bDpT10_ENKUlT_T0_E_clISt17integral_constantIbLb1EES1U_EEDaS1P_S1Q_EUlS1P_E_NS1_11comp_targetILNS1_3genE5ELNS1_11target_archE942ELNS1_3gpuE9ELNS1_3repE0EEENS1_30default_config_static_selectorELNS0_4arch9wavefront6targetE1EEEvS12_,"axG",@progbits,_ZN7rocprim17ROCPRIM_400000_NS6detail17trampoline_kernelINS0_13select_configILj256ELj13ELNS0_17block_load_methodE3ELS4_3ELS4_3ELNS0_20block_scan_algorithmE0ELj4294967295EEENS1_25partition_config_selectorILNS1_17partition_subalgoE4EjNS0_10empty_typeEbEEZZNS1_14partition_implILS8_4ELb0ES6_15HIP_vector_typeIjLj2EENS0_17counting_iteratorIjlEEPS9_SG_NS0_5tupleIJPjSI_NS0_16reverse_iteratorISI_EEEEENSH_IJSG_SG_SG_EEES9_SI_JZNS1_25segmented_radix_sort_implINS0_14default_configELb0EPKiPiPKlPlN2at6native12_GLOBAL__N_18offset_tEEE10hipError_tPvRmT1_PNSt15iterator_traitsIS12_E10value_typeET2_T3_PNS13_IS18_E10value_typeET4_jRbjT5_S1E_jjP12ihipStream_tbEUljE_ZNSN_ISO_Lb0ESQ_SR_ST_SU_SY_EESZ_S10_S11_S12_S16_S17_S18_S1B_S1C_jS1D_jS1E_S1E_jjS1G_bEUljE0_EEESZ_S10_S11_S18_S1C_S1E_T6_T7_T9_mT8_S1G_bDpT10_ENKUlT_T0_E_clISt17integral_constantIbLb1EES1U_EEDaS1P_S1Q_EUlS1P_E_NS1_11comp_targetILNS1_3genE5ELNS1_11target_archE942ELNS1_3gpuE9ELNS1_3repE0EEENS1_30default_config_static_selectorELNS0_4arch9wavefront6targetE1EEEvS12_,comdat
.Lfunc_end545:
	.size	_ZN7rocprim17ROCPRIM_400000_NS6detail17trampoline_kernelINS0_13select_configILj256ELj13ELNS0_17block_load_methodE3ELS4_3ELS4_3ELNS0_20block_scan_algorithmE0ELj4294967295EEENS1_25partition_config_selectorILNS1_17partition_subalgoE4EjNS0_10empty_typeEbEEZZNS1_14partition_implILS8_4ELb0ES6_15HIP_vector_typeIjLj2EENS0_17counting_iteratorIjlEEPS9_SG_NS0_5tupleIJPjSI_NS0_16reverse_iteratorISI_EEEEENSH_IJSG_SG_SG_EEES9_SI_JZNS1_25segmented_radix_sort_implINS0_14default_configELb0EPKiPiPKlPlN2at6native12_GLOBAL__N_18offset_tEEE10hipError_tPvRmT1_PNSt15iterator_traitsIS12_E10value_typeET2_T3_PNS13_IS18_E10value_typeET4_jRbjT5_S1E_jjP12ihipStream_tbEUljE_ZNSN_ISO_Lb0ESQ_SR_ST_SU_SY_EESZ_S10_S11_S12_S16_S17_S18_S1B_S1C_jS1D_jS1E_S1E_jjS1G_bEUljE0_EEESZ_S10_S11_S18_S1C_S1E_T6_T7_T9_mT8_S1G_bDpT10_ENKUlT_T0_E_clISt17integral_constantIbLb1EES1U_EEDaS1P_S1Q_EUlS1P_E_NS1_11comp_targetILNS1_3genE5ELNS1_11target_archE942ELNS1_3gpuE9ELNS1_3repE0EEENS1_30default_config_static_selectorELNS0_4arch9wavefront6targetE1EEEvS12_, .Lfunc_end545-_ZN7rocprim17ROCPRIM_400000_NS6detail17trampoline_kernelINS0_13select_configILj256ELj13ELNS0_17block_load_methodE3ELS4_3ELS4_3ELNS0_20block_scan_algorithmE0ELj4294967295EEENS1_25partition_config_selectorILNS1_17partition_subalgoE4EjNS0_10empty_typeEbEEZZNS1_14partition_implILS8_4ELb0ES6_15HIP_vector_typeIjLj2EENS0_17counting_iteratorIjlEEPS9_SG_NS0_5tupleIJPjSI_NS0_16reverse_iteratorISI_EEEEENSH_IJSG_SG_SG_EEES9_SI_JZNS1_25segmented_radix_sort_implINS0_14default_configELb0EPKiPiPKlPlN2at6native12_GLOBAL__N_18offset_tEEE10hipError_tPvRmT1_PNSt15iterator_traitsIS12_E10value_typeET2_T3_PNS13_IS18_E10value_typeET4_jRbjT5_S1E_jjP12ihipStream_tbEUljE_ZNSN_ISO_Lb0ESQ_SR_ST_SU_SY_EESZ_S10_S11_S12_S16_S17_S18_S1B_S1C_jS1D_jS1E_S1E_jjS1G_bEUljE0_EEESZ_S10_S11_S18_S1C_S1E_T6_T7_T9_mT8_S1G_bDpT10_ENKUlT_T0_E_clISt17integral_constantIbLb1EES1U_EEDaS1P_S1Q_EUlS1P_E_NS1_11comp_targetILNS1_3genE5ELNS1_11target_archE942ELNS1_3gpuE9ELNS1_3repE0EEENS1_30default_config_static_selectorELNS0_4arch9wavefront6targetE1EEEvS12_
                                        ; -- End function
	.section	.AMDGPU.csdata,"",@progbits
; Kernel info:
; codeLenInByte = 0
; NumSgprs: 4
; NumVgprs: 0
; NumAgprs: 0
; TotalNumVgprs: 0
; ScratchSize: 0
; MemoryBound: 0
; FloatMode: 240
; IeeeMode: 1
; LDSByteSize: 0 bytes/workgroup (compile time only)
; SGPRBlocks: 0
; VGPRBlocks: 0
; NumSGPRsForWavesPerEU: 4
; NumVGPRsForWavesPerEU: 1
; AccumOffset: 4
; Occupancy: 8
; WaveLimiterHint : 0
; COMPUTE_PGM_RSRC2:SCRATCH_EN: 0
; COMPUTE_PGM_RSRC2:USER_SGPR: 6
; COMPUTE_PGM_RSRC2:TRAP_HANDLER: 0
; COMPUTE_PGM_RSRC2:TGID_X_EN: 1
; COMPUTE_PGM_RSRC2:TGID_Y_EN: 0
; COMPUTE_PGM_RSRC2:TGID_Z_EN: 0
; COMPUTE_PGM_RSRC2:TIDIG_COMP_CNT: 0
; COMPUTE_PGM_RSRC3_GFX90A:ACCUM_OFFSET: 0
; COMPUTE_PGM_RSRC3_GFX90A:TG_SPLIT: 0
	.section	.text._ZN7rocprim17ROCPRIM_400000_NS6detail17trampoline_kernelINS0_13select_configILj256ELj13ELNS0_17block_load_methodE3ELS4_3ELS4_3ELNS0_20block_scan_algorithmE0ELj4294967295EEENS1_25partition_config_selectorILNS1_17partition_subalgoE4EjNS0_10empty_typeEbEEZZNS1_14partition_implILS8_4ELb0ES6_15HIP_vector_typeIjLj2EENS0_17counting_iteratorIjlEEPS9_SG_NS0_5tupleIJPjSI_NS0_16reverse_iteratorISI_EEEEENSH_IJSG_SG_SG_EEES9_SI_JZNS1_25segmented_radix_sort_implINS0_14default_configELb0EPKiPiPKlPlN2at6native12_GLOBAL__N_18offset_tEEE10hipError_tPvRmT1_PNSt15iterator_traitsIS12_E10value_typeET2_T3_PNS13_IS18_E10value_typeET4_jRbjT5_S1E_jjP12ihipStream_tbEUljE_ZNSN_ISO_Lb0ESQ_SR_ST_SU_SY_EESZ_S10_S11_S12_S16_S17_S18_S1B_S1C_jS1D_jS1E_S1E_jjS1G_bEUljE0_EEESZ_S10_S11_S18_S1C_S1E_T6_T7_T9_mT8_S1G_bDpT10_ENKUlT_T0_E_clISt17integral_constantIbLb1EES1U_EEDaS1P_S1Q_EUlS1P_E_NS1_11comp_targetILNS1_3genE4ELNS1_11target_archE910ELNS1_3gpuE8ELNS1_3repE0EEENS1_30default_config_static_selectorELNS0_4arch9wavefront6targetE1EEEvS12_,"axG",@progbits,_ZN7rocprim17ROCPRIM_400000_NS6detail17trampoline_kernelINS0_13select_configILj256ELj13ELNS0_17block_load_methodE3ELS4_3ELS4_3ELNS0_20block_scan_algorithmE0ELj4294967295EEENS1_25partition_config_selectorILNS1_17partition_subalgoE4EjNS0_10empty_typeEbEEZZNS1_14partition_implILS8_4ELb0ES6_15HIP_vector_typeIjLj2EENS0_17counting_iteratorIjlEEPS9_SG_NS0_5tupleIJPjSI_NS0_16reverse_iteratorISI_EEEEENSH_IJSG_SG_SG_EEES9_SI_JZNS1_25segmented_radix_sort_implINS0_14default_configELb0EPKiPiPKlPlN2at6native12_GLOBAL__N_18offset_tEEE10hipError_tPvRmT1_PNSt15iterator_traitsIS12_E10value_typeET2_T3_PNS13_IS18_E10value_typeET4_jRbjT5_S1E_jjP12ihipStream_tbEUljE_ZNSN_ISO_Lb0ESQ_SR_ST_SU_SY_EESZ_S10_S11_S12_S16_S17_S18_S1B_S1C_jS1D_jS1E_S1E_jjS1G_bEUljE0_EEESZ_S10_S11_S18_S1C_S1E_T6_T7_T9_mT8_S1G_bDpT10_ENKUlT_T0_E_clISt17integral_constantIbLb1EES1U_EEDaS1P_S1Q_EUlS1P_E_NS1_11comp_targetILNS1_3genE4ELNS1_11target_archE910ELNS1_3gpuE8ELNS1_3repE0EEENS1_30default_config_static_selectorELNS0_4arch9wavefront6targetE1EEEvS12_,comdat
	.globl	_ZN7rocprim17ROCPRIM_400000_NS6detail17trampoline_kernelINS0_13select_configILj256ELj13ELNS0_17block_load_methodE3ELS4_3ELS4_3ELNS0_20block_scan_algorithmE0ELj4294967295EEENS1_25partition_config_selectorILNS1_17partition_subalgoE4EjNS0_10empty_typeEbEEZZNS1_14partition_implILS8_4ELb0ES6_15HIP_vector_typeIjLj2EENS0_17counting_iteratorIjlEEPS9_SG_NS0_5tupleIJPjSI_NS0_16reverse_iteratorISI_EEEEENSH_IJSG_SG_SG_EEES9_SI_JZNS1_25segmented_radix_sort_implINS0_14default_configELb0EPKiPiPKlPlN2at6native12_GLOBAL__N_18offset_tEEE10hipError_tPvRmT1_PNSt15iterator_traitsIS12_E10value_typeET2_T3_PNS13_IS18_E10value_typeET4_jRbjT5_S1E_jjP12ihipStream_tbEUljE_ZNSN_ISO_Lb0ESQ_SR_ST_SU_SY_EESZ_S10_S11_S12_S16_S17_S18_S1B_S1C_jS1D_jS1E_S1E_jjS1G_bEUljE0_EEESZ_S10_S11_S18_S1C_S1E_T6_T7_T9_mT8_S1G_bDpT10_ENKUlT_T0_E_clISt17integral_constantIbLb1EES1U_EEDaS1P_S1Q_EUlS1P_E_NS1_11comp_targetILNS1_3genE4ELNS1_11target_archE910ELNS1_3gpuE8ELNS1_3repE0EEENS1_30default_config_static_selectorELNS0_4arch9wavefront6targetE1EEEvS12_ ; -- Begin function _ZN7rocprim17ROCPRIM_400000_NS6detail17trampoline_kernelINS0_13select_configILj256ELj13ELNS0_17block_load_methodE3ELS4_3ELS4_3ELNS0_20block_scan_algorithmE0ELj4294967295EEENS1_25partition_config_selectorILNS1_17partition_subalgoE4EjNS0_10empty_typeEbEEZZNS1_14partition_implILS8_4ELb0ES6_15HIP_vector_typeIjLj2EENS0_17counting_iteratorIjlEEPS9_SG_NS0_5tupleIJPjSI_NS0_16reverse_iteratorISI_EEEEENSH_IJSG_SG_SG_EEES9_SI_JZNS1_25segmented_radix_sort_implINS0_14default_configELb0EPKiPiPKlPlN2at6native12_GLOBAL__N_18offset_tEEE10hipError_tPvRmT1_PNSt15iterator_traitsIS12_E10value_typeET2_T3_PNS13_IS18_E10value_typeET4_jRbjT5_S1E_jjP12ihipStream_tbEUljE_ZNSN_ISO_Lb0ESQ_SR_ST_SU_SY_EESZ_S10_S11_S12_S16_S17_S18_S1B_S1C_jS1D_jS1E_S1E_jjS1G_bEUljE0_EEESZ_S10_S11_S18_S1C_S1E_T6_T7_T9_mT8_S1G_bDpT10_ENKUlT_T0_E_clISt17integral_constantIbLb1EES1U_EEDaS1P_S1Q_EUlS1P_E_NS1_11comp_targetILNS1_3genE4ELNS1_11target_archE910ELNS1_3gpuE8ELNS1_3repE0EEENS1_30default_config_static_selectorELNS0_4arch9wavefront6targetE1EEEvS12_
	.p2align	8
	.type	_ZN7rocprim17ROCPRIM_400000_NS6detail17trampoline_kernelINS0_13select_configILj256ELj13ELNS0_17block_load_methodE3ELS4_3ELS4_3ELNS0_20block_scan_algorithmE0ELj4294967295EEENS1_25partition_config_selectorILNS1_17partition_subalgoE4EjNS0_10empty_typeEbEEZZNS1_14partition_implILS8_4ELb0ES6_15HIP_vector_typeIjLj2EENS0_17counting_iteratorIjlEEPS9_SG_NS0_5tupleIJPjSI_NS0_16reverse_iteratorISI_EEEEENSH_IJSG_SG_SG_EEES9_SI_JZNS1_25segmented_radix_sort_implINS0_14default_configELb0EPKiPiPKlPlN2at6native12_GLOBAL__N_18offset_tEEE10hipError_tPvRmT1_PNSt15iterator_traitsIS12_E10value_typeET2_T3_PNS13_IS18_E10value_typeET4_jRbjT5_S1E_jjP12ihipStream_tbEUljE_ZNSN_ISO_Lb0ESQ_SR_ST_SU_SY_EESZ_S10_S11_S12_S16_S17_S18_S1B_S1C_jS1D_jS1E_S1E_jjS1G_bEUljE0_EEESZ_S10_S11_S18_S1C_S1E_T6_T7_T9_mT8_S1G_bDpT10_ENKUlT_T0_E_clISt17integral_constantIbLb1EES1U_EEDaS1P_S1Q_EUlS1P_E_NS1_11comp_targetILNS1_3genE4ELNS1_11target_archE910ELNS1_3gpuE8ELNS1_3repE0EEENS1_30default_config_static_selectorELNS0_4arch9wavefront6targetE1EEEvS12_,@function
_ZN7rocprim17ROCPRIM_400000_NS6detail17trampoline_kernelINS0_13select_configILj256ELj13ELNS0_17block_load_methodE3ELS4_3ELS4_3ELNS0_20block_scan_algorithmE0ELj4294967295EEENS1_25partition_config_selectorILNS1_17partition_subalgoE4EjNS0_10empty_typeEbEEZZNS1_14partition_implILS8_4ELb0ES6_15HIP_vector_typeIjLj2EENS0_17counting_iteratorIjlEEPS9_SG_NS0_5tupleIJPjSI_NS0_16reverse_iteratorISI_EEEEENSH_IJSG_SG_SG_EEES9_SI_JZNS1_25segmented_radix_sort_implINS0_14default_configELb0EPKiPiPKlPlN2at6native12_GLOBAL__N_18offset_tEEE10hipError_tPvRmT1_PNSt15iterator_traitsIS12_E10value_typeET2_T3_PNS13_IS18_E10value_typeET4_jRbjT5_S1E_jjP12ihipStream_tbEUljE_ZNSN_ISO_Lb0ESQ_SR_ST_SU_SY_EESZ_S10_S11_S12_S16_S17_S18_S1B_S1C_jS1D_jS1E_S1E_jjS1G_bEUljE0_EEESZ_S10_S11_S18_S1C_S1E_T6_T7_T9_mT8_S1G_bDpT10_ENKUlT_T0_E_clISt17integral_constantIbLb1EES1U_EEDaS1P_S1Q_EUlS1P_E_NS1_11comp_targetILNS1_3genE4ELNS1_11target_archE910ELNS1_3gpuE8ELNS1_3repE0EEENS1_30default_config_static_selectorELNS0_4arch9wavefront6targetE1EEEvS12_: ; @_ZN7rocprim17ROCPRIM_400000_NS6detail17trampoline_kernelINS0_13select_configILj256ELj13ELNS0_17block_load_methodE3ELS4_3ELS4_3ELNS0_20block_scan_algorithmE0ELj4294967295EEENS1_25partition_config_selectorILNS1_17partition_subalgoE4EjNS0_10empty_typeEbEEZZNS1_14partition_implILS8_4ELb0ES6_15HIP_vector_typeIjLj2EENS0_17counting_iteratorIjlEEPS9_SG_NS0_5tupleIJPjSI_NS0_16reverse_iteratorISI_EEEEENSH_IJSG_SG_SG_EEES9_SI_JZNS1_25segmented_radix_sort_implINS0_14default_configELb0EPKiPiPKlPlN2at6native12_GLOBAL__N_18offset_tEEE10hipError_tPvRmT1_PNSt15iterator_traitsIS12_E10value_typeET2_T3_PNS13_IS18_E10value_typeET4_jRbjT5_S1E_jjP12ihipStream_tbEUljE_ZNSN_ISO_Lb0ESQ_SR_ST_SU_SY_EESZ_S10_S11_S12_S16_S17_S18_S1B_S1C_jS1D_jS1E_S1E_jjS1G_bEUljE0_EEESZ_S10_S11_S18_S1C_S1E_T6_T7_T9_mT8_S1G_bDpT10_ENKUlT_T0_E_clISt17integral_constantIbLb1EES1U_EEDaS1P_S1Q_EUlS1P_E_NS1_11comp_targetILNS1_3genE4ELNS1_11target_archE910ELNS1_3gpuE8ELNS1_3repE0EEENS1_30default_config_static_selectorELNS0_4arch9wavefront6targetE1EEEvS12_
; %bb.0:
	s_load_dwordx2 s[48:49], s[4:5], 0x10
	s_load_dwordx4 s[44:47], s[4:5], 0x28
	s_load_dwordx2 s[34:35], s[4:5], 0x38
	s_load_dwordx4 s[28:31], s[4:5], 0x58
	s_load_dwordx2 s[2:3], s[4:5], 0x68
	s_load_dwordx2 s[50:51], s[4:5], 0x78
	;; [unrolled: 1-line block ×3, first 2 shown]
	s_load_dwordx8 s[36:43], s[4:5], 0x90
	v_cmp_eq_u32_e64 s[0:1], 0, v0
	s_and_saveexec_b64 s[6:7], s[0:1]
	s_cbranch_execz .LBB546_4
; %bb.1:
	s_mov_b64 s[10:11], exec
	v_mbcnt_lo_u32_b32 v1, s10, 0
	v_mbcnt_hi_u32_b32 v1, s11, v1
	v_cmp_eq_u32_e32 vcc, 0, v1
                                        ; implicit-def: $vgpr2
	s_and_saveexec_b64 s[8:9], vcc
	s_cbranch_execz .LBB546_3
; %bb.2:
	s_load_dwordx2 s[12:13], s[4:5], 0x88
	s_bcnt1_i32_b64 s10, s[10:11]
	v_mov_b32_e32 v2, 0
	v_mov_b32_e32 v3, s10
	s_waitcnt lgkmcnt(0)
	global_atomic_add v2, v2, v3, s[12:13] glc
.LBB546_3:
	s_or_b64 exec, exec, s[8:9]
	s_waitcnt vmcnt(0)
	v_readfirstlane_b32 s8, v2
	v_add_u32_e32 v1, s8, v1
	v_mov_b32_e32 v2, 0
	ds_write_b32 v2, v1
.LBB546_4:
	s_or_b64 exec, exec, s[6:7]
	v_mov_b32_e32 v1, 0
	s_load_dword s7, s[4:5], 0x8
	s_load_dword s6, s[4:5], 0x80
	s_waitcnt lgkmcnt(0)
	s_barrier
	ds_read_b32 v8, v1
	s_waitcnt lgkmcnt(0)
	s_barrier
	global_load_dwordx4 v[2:5], v1, s[30:31]
	v_mov_b32_e32 v7, s3
	s_movk_i32 s3, 0xd00
	s_add_i32 s8, s7, s48
	v_mul_lo_u32 v34, v8, s3
	s_add_i32 s7, s6, -1
	s_mul_i32 s3, s6, 0xd00
	s_add_u32 s4, s48, s3
	v_readfirstlane_b32 s33, v8
	s_addc_u32 s5, s49, 0
	s_cmp_eq_u32 s33, s7
	v_mov_b32_e32 v6, s2
	s_cselect_b64 s[30:31], -1, 0
	s_cmp_lg_u32 s33, s7
	v_cmp_lt_u64_e32 vcc, s[4:5], v[6:7]
	s_cselect_b64 s[4:5], -1, 0
	s_or_b64 s[4:5], vcc, s[4:5]
	v_add_u32_e32 v1, s8, v34
	s_mov_b64 s[6:7], -1
	s_and_b64 vcc, exec, s[4:5]
	v_add_u32_e32 v1, v1, v0
	s_cbranch_vccz .LBB546_6
; %bb.5:
	v_add_u32_e32 v6, 0x100, v1
	v_lshlrev_b32_e32 v18, 2, v0
	v_add_u32_e32 v7, 0x200, v1
	v_add_u32_e32 v8, 0x300, v1
	;; [unrolled: 1-line block ×11, first 2 shown]
	ds_write2st64_b32 v18, v1, v6 offset1:4
	ds_write2st64_b32 v18, v7, v8 offset0:8 offset1:12
	ds_write2st64_b32 v18, v9, v10 offset0:16 offset1:20
	;; [unrolled: 1-line block ×5, first 2 shown]
	ds_write_b32 v18, v17 offset:12288
	s_waitcnt lgkmcnt(0)
	s_barrier
	s_mov_b64 s[6:7], 0
.LBB546_6:
	s_andn2_b64 vcc, exec, s[6:7]
	s_add_i32 s3, s3, s48
	s_cbranch_vccnz .LBB546_8
; %bb.7:
	v_add_u32_e32 v6, 0x100, v1
	v_lshlrev_b32_e32 v18, 2, v0
	v_add_u32_e32 v7, 0x200, v1
	v_add_u32_e32 v8, 0x300, v1
	;; [unrolled: 1-line block ×11, first 2 shown]
	ds_write2st64_b32 v18, v1, v6 offset1:4
	ds_write2st64_b32 v18, v7, v8 offset0:8 offset1:12
	ds_write2st64_b32 v18, v9, v10 offset0:16 offset1:20
	ds_write2st64_b32 v18, v11, v12 offset0:24 offset1:28
	ds_write2st64_b32 v18, v13, v14 offset0:32 offset1:36
	ds_write2st64_b32 v18, v15, v16 offset0:40 offset1:44
	ds_write_b32 v18, v17 offset:12288
	s_waitcnt lgkmcnt(0)
	s_barrier
.LBB546_8:
	v_mul_u32_u24_e32 v36, 13, v0
	v_lshlrev_b32_e32 v1, 2, v36
	ds_read2_b32 v[22:23], v1 offset1:1
	ds_read2_b32 v[20:21], v1 offset0:2 offset1:3
	ds_read2_b32 v[18:19], v1 offset0:4 offset1:5
	;; [unrolled: 1-line block ×5, first 2 shown]
	ds_read_b32 v35, v1 offset:48
	v_cndmask_b32_e64 v1, 0, 1, s[4:5]
	s_sub_i32 s86, s2, s3
	v_cmp_ne_u32_e64 s[2:3], 1, v1
	s_andn2_b64 vcc, exec, s[4:5]
	s_waitcnt lgkmcnt(0)
	s_barrier
	s_cbranch_vccnz .LBB546_36
; %bb.9:
	v_add_u32_e32 v1, s37, v22
	v_add_u32_e32 v6, s39, v22
	v_mul_lo_u32 v1, v1, s36
	v_mul_lo_u32 v6, v6, s38
	v_sub_u32_e32 v1, v1, v6
	v_cmp_lt_u32_e32 vcc, s40, v1
	v_cmp_ge_u32_e64 s[4:5], s40, v1
	s_mov_b64 s[60:61], 0
	s_mov_b64 s[58:59], 0
	s_and_saveexec_b64 s[6:7], s[4:5]
; %bb.10:
	v_add_u32_e32 v1, s42, v22
	v_add_u32_e32 v6, s56, v22
	v_mul_lo_u32 v1, v1, s41
	v_mul_lo_u32 v6, v6, s43
	v_sub_u32_e32 v1, v1, v6
	v_cmp_lt_u32_e64 s[4:5], s57, v1
	s_and_b64 s[58:59], s[4:5], exec
; %bb.11:
	s_or_b64 exec, exec, s[6:7]
	v_add_u32_e32 v1, s37, v23
	v_add_u32_e32 v6, s39, v23
	v_mul_lo_u32 v1, v1, s36
	v_mul_lo_u32 v6, v6, s38
	v_sub_u32_e32 v1, v1, v6
	v_cmp_lt_u32_e64 s[4:5], s40, v1
	v_cmp_ge_u32_e64 s[6:7], s40, v1
	s_and_saveexec_b64 s[8:9], s[6:7]
; %bb.12:
	v_add_u32_e32 v1, s42, v23
	v_add_u32_e32 v6, s56, v23
	v_mul_lo_u32 v1, v1, s41
	v_mul_lo_u32 v6, v6, s43
	v_sub_u32_e32 v1, v1, v6
	v_cmp_lt_u32_e64 s[6:7], s57, v1
	s_and_b64 s[60:61], s[6:7], exec
; %bb.13:
	s_or_b64 exec, exec, s[8:9]
	v_add_u32_e32 v1, s37, v20
	v_add_u32_e32 v6, s39, v20
	v_mul_lo_u32 v1, v1, s36
	v_mul_lo_u32 v6, v6, s38
	v_sub_u32_e32 v1, v1, v6
	v_cmp_lt_u32_e64 s[6:7], s40, v1
	v_cmp_ge_u32_e64 s[8:9], s40, v1
	s_mov_b64 s[64:65], 0
	s_mov_b64 s[62:63], 0
	s_and_saveexec_b64 s[10:11], s[8:9]
; %bb.14:
	v_add_u32_e32 v1, s42, v20
	v_add_u32_e32 v6, s56, v20
	v_mul_lo_u32 v1, v1, s41
	v_mul_lo_u32 v6, v6, s43
	v_sub_u32_e32 v1, v1, v6
	v_cmp_lt_u32_e64 s[8:9], s57, v1
	s_and_b64 s[62:63], s[8:9], exec
; %bb.15:
	s_or_b64 exec, exec, s[10:11]
	v_add_u32_e32 v1, s37, v21
	v_add_u32_e32 v6, s39, v21
	v_mul_lo_u32 v1, v1, s36
	v_mul_lo_u32 v6, v6, s38
	v_sub_u32_e32 v1, v1, v6
	v_cmp_lt_u32_e64 s[8:9], s40, v1
	v_cmp_ge_u32_e64 s[10:11], s40, v1
	s_and_saveexec_b64 s[12:13], s[10:11]
; %bb.16:
	v_add_u32_e32 v1, s42, v21
	v_add_u32_e32 v6, s56, v21
	v_mul_lo_u32 v1, v1, s41
	v_mul_lo_u32 v6, v6, s43
	v_sub_u32_e32 v1, v1, v6
	v_cmp_lt_u32_e64 s[10:11], s57, v1
	s_and_b64 s[64:65], s[10:11], exec
; %bb.17:
	s_or_b64 exec, exec, s[12:13]
	v_add_u32_e32 v1, s37, v18
	v_add_u32_e32 v6, s39, v18
	v_mul_lo_u32 v1, v1, s36
	v_mul_lo_u32 v6, v6, s38
	v_sub_u32_e32 v1, v1, v6
	v_cmp_lt_u32_e64 s[10:11], s40, v1
	;; [unrolled: 38-line block ×5, first 2 shown]
	v_cmp_ge_u32_e64 s[24:25], s40, v1
	s_mov_b64 s[80:81], 0
	s_mov_b64 s[82:83], 0
	s_and_saveexec_b64 s[26:27], s[24:25]
; %bb.30:
	v_add_u32_e32 v1, s42, v12
	v_add_u32_e32 v6, s56, v12
	v_mul_lo_u32 v1, v1, s41
	v_mul_lo_u32 v6, v6, s43
	v_sub_u32_e32 v1, v1, v6
	v_cmp_lt_u32_e64 s[24:25], s57, v1
	s_and_b64 s[82:83], s[24:25], exec
; %bb.31:
	s_or_b64 exec, exec, s[26:27]
	v_add_u32_e32 v1, s37, v13
	v_add_u32_e32 v6, s39, v13
	v_mul_lo_u32 v1, v1, s36
	v_mul_lo_u32 v6, v6, s38
	v_sub_u32_e32 v1, v1, v6
	v_cmp_lt_u32_e64 s[24:25], s40, v1
	v_cmp_ge_u32_e64 s[26:27], s40, v1
	s_and_saveexec_b64 s[52:53], s[26:27]
; %bb.32:
	v_add_u32_e32 v1, s42, v13
	v_add_u32_e32 v6, s56, v13
	v_mul_lo_u32 v1, v1, s41
	v_mul_lo_u32 v6, v6, s43
	v_sub_u32_e32 v1, v1, v6
	v_cmp_lt_u32_e64 s[26:27], s57, v1
	s_and_b64 s[80:81], s[26:27], exec
; %bb.33:
	s_or_b64 exec, exec, s[52:53]
	v_add_u32_e32 v1, s37, v35
	v_add_u32_e32 v6, s39, v35
	v_mul_lo_u32 v1, v1, s36
	v_mul_lo_u32 v6, v6, s38
	v_sub_u32_e32 v1, v1, v6
	v_cmp_ge_u32_e64 s[26:27], s40, v1
	s_mov_b64 s[52:53], -1
	s_mov_b64 s[74:75], 0
	s_mov_b64 s[54:55], 0
	s_and_saveexec_b64 s[84:85], s[26:27]
; %bb.34:
	v_add_u32_e32 v1, s42, v35
	v_add_u32_e32 v6, s56, v35
	v_mul_lo_u32 v1, v1, s41
	v_mul_lo_u32 v6, v6, s43
	v_sub_u32_e32 v1, v1, v6
	v_cmp_lt_u32_e64 s[26:27], s57, v1
	s_and_b64 s[54:55], s[26:27], exec
	s_xor_b64 s[52:53], exec, -1
; %bb.35:
	s_or_b64 exec, exec, s[84:85]
	v_cndmask_b32_e64 v57, 0, 1, s[82:83]
	v_cndmask_b32_e64 v60, 0, 1, s[24:25]
	;; [unrolled: 1-line block ×22, first 2 shown]
	v_cndmask_b32_e64 v37, 0, 1, vcc
	v_cndmask_b32_e64 v59, 0, 1, s[80:81]
	s_add_i32 s16, s86, 0xd00
	s_and_b64 vcc, exec, s[74:75]
	s_cbranch_vccnz .LBB546_37
	s_branch .LBB546_90
.LBB546_36:
                                        ; implicit-def: $sgpr52_sgpr53
                                        ; implicit-def: $sgpr54_sgpr55
                                        ; implicit-def: $vgpr59
                                        ; implicit-def: $vgpr57
                                        ; implicit-def: $vgpr55
                                        ; implicit-def: $vgpr53
                                        ; implicit-def: $vgpr51
                                        ; implicit-def: $vgpr49
                                        ; implicit-def: $vgpr47
                                        ; implicit-def: $vgpr45
                                        ; implicit-def: $vgpr43
                                        ; implicit-def: $vgpr37
                                        ; implicit-def: $vgpr39
                                        ; implicit-def: $vgpr41
                                        ; implicit-def: $vgpr44
                                        ; implicit-def: $vgpr46
                                        ; implicit-def: $vgpr48
                                        ; implicit-def: $vgpr50
                                        ; implicit-def: $vgpr52
                                        ; implicit-def: $vgpr54
                                        ; implicit-def: $vgpr56
                                        ; implicit-def: $vgpr58
                                        ; implicit-def: $vgpr60
                                        ; implicit-def: $vgpr38
                                        ; implicit-def: $vgpr40
                                        ; implicit-def: $vgpr42
	s_add_i32 s16, s86, 0xd00
	s_cbranch_execz .LBB546_90
.LBB546_37:
	v_cmp_gt_u32_e32 vcc, s16, v36
	v_mov_b32_e32 v38, 0
	v_mov_b32_e32 v37, 0
	s_and_saveexec_b64 s[6:7], vcc
	s_cbranch_execz .LBB546_41
; %bb.38:
	v_add_u32_e32 v1, s37, v22
	v_add_u32_e32 v6, s39, v22
	v_mul_lo_u32 v1, v1, s36
	v_mul_lo_u32 v6, v6, s38
	v_sub_u32_e32 v1, v1, v6
	v_cmp_lt_u32_e32 vcc, s40, v1
	v_cmp_ge_u32_e64 s[4:5], s40, v1
	s_mov_b64 s[10:11], 0
	s_and_saveexec_b64 s[8:9], s[4:5]
; %bb.39:
	v_add_u32_e32 v1, s42, v22
	v_add_u32_e32 v6, s56, v22
	v_mul_lo_u32 v1, v1, s41
	v_mul_lo_u32 v6, v6, s43
	v_sub_u32_e32 v1, v1, v6
	v_cmp_lt_u32_e64 s[4:5], s57, v1
	s_and_b64 s[10:11], s[4:5], exec
; %bb.40:
	s_or_b64 exec, exec, s[8:9]
	v_cndmask_b32_e64 v37, 0, 1, vcc
	v_cndmask_b32_e64 v38, 0, 1, s[10:11]
.LBB546_41:
	s_or_b64 exec, exec, s[6:7]
	v_add_u32_e32 v1, 1, v36
	v_cmp_gt_u32_e32 vcc, s16, v1
	v_mov_b32_e32 v39, 0
	v_mov_b32_e32 v40, 0
	s_and_saveexec_b64 s[6:7], vcc
	s_cbranch_execz .LBB546_45
; %bb.42:
	v_add_u32_e32 v1, s37, v23
	v_add_u32_e32 v6, s39, v23
	v_mul_lo_u32 v1, v1, s36
	v_mul_lo_u32 v6, v6, s38
	v_sub_u32_e32 v1, v1, v6
	v_cmp_lt_u32_e32 vcc, s40, v1
	v_cmp_ge_u32_e64 s[4:5], s40, v1
	s_mov_b64 s[10:11], 0
	s_and_saveexec_b64 s[8:9], s[4:5]
; %bb.43:
	v_add_u32_e32 v1, s42, v23
	v_add_u32_e32 v6, s56, v23
	v_mul_lo_u32 v1, v1, s41
	v_mul_lo_u32 v6, v6, s43
	v_sub_u32_e32 v1, v1, v6
	v_cmp_lt_u32_e64 s[4:5], s57, v1
	s_and_b64 s[10:11], s[4:5], exec
; %bb.44:
	s_or_b64 exec, exec, s[8:9]
	v_cndmask_b32_e64 v39, 0, 1, vcc
	v_cndmask_b32_e64 v40, 0, 1, s[10:11]
.LBB546_45:
	s_or_b64 exec, exec, s[6:7]
	v_add_u32_e32 v1, 2, v36
	;; [unrolled: 30-line block ×12, first 2 shown]
	v_cmp_gt_u32_e32 vcc, s16, v1
	s_mov_b64 s[52:53], 0
	s_mov_b64 s[54:55], 0
	s_and_saveexec_b64 s[4:5], vcc
	s_cbranch_execz .LBB546_89
; %bb.86:
	v_add_u32_e32 v1, s37, v35
	v_add_u32_e32 v6, s39, v35
	v_mul_lo_u32 v1, v1, s36
	v_mul_lo_u32 v6, v6, s38
	v_sub_u32_e32 v1, v1, v6
	v_cmp_ge_u32_e32 vcc, s40, v1
	s_mov_b64 s[8:9], -1
	s_mov_b64 s[10:11], 0
	s_and_saveexec_b64 s[6:7], vcc
; %bb.87:
	v_add_u32_e32 v1, s42, v35
	v_add_u32_e32 v6, s56, v35
	v_mul_lo_u32 v1, v1, s41
	v_mul_lo_u32 v6, v6, s43
	v_sub_u32_e32 v1, v1, v6
	v_cmp_lt_u32_e32 vcc, s57, v1
	s_and_b64 s[10:11], vcc, exec
	s_xor_b64 s[8:9], exec, -1
; %bb.88:
	s_or_b64 exec, exec, s[6:7]
	s_and_b64 s[54:55], s[10:11], exec
	s_and_b64 s[52:53], s[8:9], exec
.LBB546_89:
	s_or_b64 exec, exec, s[4:5]
.LBB546_90:
	v_and_b32_e32 v68, 0xff, v38
	v_and_b32_e32 v79, 0xff, v40
	;; [unrolled: 1-line block ×5, first 2 shown]
	v_add3_u32 v6, v79, v70, v68
	v_and_b32_e32 v81, 0xff, v47
	v_and_b32_e32 v74, 0xff, v49
	v_add3_u32 v6, v6, v80, v72
	v_and_b32_e32 v67, 0xff, v37
	v_and_b32_e32 v61, 0xff, v39
	;; [unrolled: 1-line block ×5, first 2 shown]
	v_add3_u32 v6, v6, v81, v74
	v_and_b32_e32 v62, 0xff, v44
	v_and_b32_e32 v71, 0xff, v46
	;; [unrolled: 1-line block ×4, first 2 shown]
	v_add3_u32 v7, v61, v69, v67
	v_add3_u32 v6, v6, v82, v76
	v_and_b32_e32 v63, 0xff, v48
	v_and_b32_e32 v73, 0xff, v50
	;; [unrolled: 1-line block ×3, first 2 shown]
	v_cndmask_b32_e64 v1, 0, 1, s[54:55]
	v_add3_u32 v7, v7, v62, v71
	v_add3_u32 v6, v6, v83, v78
	v_and_b32_e32 v64, 0xff, v52
	v_and_b32_e32 v75, 0xff, v54
	v_add3_u32 v7, v7, v63, v73
	v_add3_u32 v91, v6, v84, v1
	v_mbcnt_lo_u32_b32 v1, -1, 0
	v_and_b32_e32 v65, 0xff, v56
	v_and_b32_e32 v77, 0xff, v58
	v_add3_u32 v7, v7, v64, v75
	v_mbcnt_hi_u32_b32 v85, -1, v1
	v_and_b32_e32 v66, 0xff, v60
	v_add3_u32 v7, v7, v65, v77
	v_cndmask_b32_e64 v8, 0, 1, s[52:53]
	v_and_b32_e32 v89, 15, v85
	s_cmp_lg_u32 s33, 0
	v_add3_u32 v90, v7, v66, v8
	v_cmp_eq_u32_e64 s[6:7], 0, v89
	v_cmp_lt_u32_e64 s[4:5], 1, v89
	v_cmp_lt_u32_e64 s[10:11], 3, v89
	;; [unrolled: 1-line block ×3, first 2 shown]
	v_and_b32_e32 v88, 16, v85
	v_cmp_lt_u32_e32 vcc, 31, v85
	v_lshrrev_b32_e32 v86, 6, v0
	v_or_b32_e32 v87, 63, v0
	s_cbranch_scc0 .LBB546_123
; %bb.91:
	v_mov_b32_dpp v1, v90 row_shr:1 row_mask:0xf bank_mask:0xf
	v_mov_b32_dpp v6, v91 row_shr:1 row_mask:0xf bank_mask:0xf
	v_add_u32_e32 v1, v1, v90
	v_add_u32_e32 v6, v6, v91
	v_cndmask_b32_e64 v6, v6, v91, s[6:7]
	v_cndmask_b32_e64 v1, v1, v90, s[6:7]
	s_nop 0
	v_mov_b32_dpp v8, v6 row_shr:2 row_mask:0xf bank_mask:0xf
	v_mov_b32_dpp v7, v1 row_shr:2 row_mask:0xf bank_mask:0xf
	v_add_u32_e32 v7, v1, v7
	v_add_u32_e32 v8, v6, v8
	v_cndmask_b32_e64 v6, v6, v8, s[4:5]
	v_cndmask_b32_e64 v1, v1, v7, s[4:5]
	s_nop 0
	;; [unrolled: 7-line block ×3, first 2 shown]
	v_mov_b32_dpp v8, v6 row_shr:8 row_mask:0xf bank_mask:0xf
	v_mov_b32_dpp v7, v1 row_shr:8 row_mask:0xf bank_mask:0xf
	v_add_u32_e32 v7, v1, v7
	v_add_u32_e32 v8, v6, v8
	v_cndmask_b32_e64 v6, v6, v8, s[8:9]
	v_cndmask_b32_e64 v1, v1, v7, s[8:9]
	v_cmp_eq_u32_e64 s[8:9], 0, v88
	v_mov_b32_dpp v8, v6 row_bcast:15 row_mask:0xf bank_mask:0xf
	v_mov_b32_dpp v7, v1 row_bcast:15 row_mask:0xf bank_mask:0xf
	v_add_u32_e32 v7, v1, v7
	v_add_u32_e32 v8, v6, v8
	v_cndmask_b32_e64 v6, v8, v6, s[8:9]
	v_cndmask_b32_e64 v1, v7, v1, s[8:9]
	s_nop 0
	v_mov_b32_dpp v8, v6 row_bcast:31 row_mask:0xf bank_mask:0xf
	v_mov_b32_dpp v7, v1 row_bcast:31 row_mask:0xf bank_mask:0xf
	v_add_u32_e32 v8, v6, v8
	v_add_u32_e32 v9, v1, v7
	v_cndmask_b32_e32 v7, v6, v8, vcc
	v_cndmask_b32_e32 v6, v1, v9, vcc
	v_cmp_eq_u32_e32 vcc, v87, v0
	s_and_saveexec_b64 s[8:9], vcc
	s_cbranch_execz .LBB546_93
; %bb.92:
	v_lshlrev_b32_e32 v1, 3, v86
	ds_write_b64 v1, v[6:7]
.LBB546_93:
	s_or_b64 exec, exec, s[8:9]
	v_cmp_gt_u32_e32 vcc, 4, v0
	s_waitcnt lgkmcnt(0)
	s_barrier
	s_and_saveexec_b64 s[8:9], vcc
	s_cbranch_execz .LBB546_95
; %bb.94:
	v_lshlrev_b32_e32 v1, 3, v0
	ds_read_b64 v[8:9], v1
	v_and_b32_e32 v10, 3, v85
	v_cmp_eq_u32_e32 vcc, 0, v10
	s_waitcnt lgkmcnt(0)
	v_mov_b32_dpp v11, v8 row_shr:1 row_mask:0xf bank_mask:0xf
	v_mov_b32_dpp v24, v9 row_shr:1 row_mask:0xf bank_mask:0xf
	v_add_u32_e32 v11, v11, v8
	v_add_u32_e32 v24, v24, v9
	v_cndmask_b32_e32 v9, v24, v9, vcc
	v_cndmask_b32_e32 v8, v11, v8, vcc
	v_cmp_lt_u32_e32 vcc, 1, v10
	v_mov_b32_dpp v24, v9 row_shr:2 row_mask:0xf bank_mask:0xf
	v_mov_b32_dpp v11, v8 row_shr:2 row_mask:0xf bank_mask:0xf
	v_cndmask_b32_e32 v10, 0, v11, vcc
	v_cndmask_b32_e32 v11, 0, v24, vcc
	v_add_u32_e32 v9, v11, v9
	v_add_u32_e32 v8, v10, v8
	ds_write_b64 v1, v[8:9]
.LBB546_95:
	s_or_b64 exec, exec, s[8:9]
	v_cmp_gt_u32_e32 vcc, 64, v0
	v_cmp_lt_u32_e64 s[8:9], 63, v0
	s_waitcnt lgkmcnt(0)
	s_barrier
	s_waitcnt lgkmcnt(0)
                                        ; implicit-def: $vgpr25
	s_and_saveexec_b64 s[10:11], s[8:9]
	s_xor_b64 s[8:9], exec, s[10:11]
	s_cbranch_execz .LBB546_97
; %bb.96:
	v_lshl_add_u32 v1, v86, 3, -8
	ds_read_b64 v[24:25], v1
	s_waitcnt lgkmcnt(0)
	v_add_u32_e32 v7, v25, v7
	v_add_u32_e32 v6, v24, v6
.LBB546_97:
	s_andn2_saveexec_b64 s[8:9], s[8:9]
; %bb.98:
                                        ; implicit-def: $vgpr24
; %bb.99:
	s_or_b64 exec, exec, s[8:9]
	v_add_u32_e32 v1, -1, v85
	v_and_b32_e32 v8, 64, v85
	v_cmp_lt_i32_e64 s[8:9], v1, v8
	v_cndmask_b32_e64 v1, v1, v85, s[8:9]
	v_lshlrev_b32_e32 v8, 2, v1
	ds_bpermute_b32 v1, v8, v6
	ds_bpermute_b32 v92, v8, v7
	v_cmp_eq_u32_e64 s[8:9], 0, v85
	s_and_saveexec_b64 s[10:11], vcc
	s_cbranch_execz .LBB546_122
; %bb.100:
	v_mov_b32_e32 v11, 0
	ds_read_b64 v[26:27], v11 offset:24
	s_and_saveexec_b64 s[12:13], s[8:9]
	s_cbranch_execz .LBB546_102
; %bb.101:
	s_add_i32 s14, s33, 64
	s_mov_b32 s15, 0
	s_lshl_b64 s[14:15], s[14:15], 4
	s_waitcnt lgkmcnt(0)
	v_and_b32_e32 v6, 0xff000000, v27
	v_and_b32_e32 v7, 0xff0000, v27
	s_add_u32 s14, s50, s14
	v_or_b32_e32 v6, v7, v6
	v_and_b32_e32 v7, 0xff00, v27
	s_addc_u32 s15, s51, s15
	v_or_b32_e32 v6, v6, v7
	v_or_b32_sdwa v9, v6, v27 dst_sel:DWORD dst_unused:UNUSED_PAD src0_sel:DWORD src1_sel:BYTE_0
	v_mov_b32_e32 v10, 1
	v_mov_b32_e32 v8, v26
	v_pk_mov_b32 v[6:7], s[14:15], s[14:15] op_sel:[0,1]
	;;#ASMSTART
	global_store_dwordx4 v[6:7], v[8:11] off	
s_waitcnt vmcnt(0)
	;;#ASMEND
.LBB546_102:
	s_or_b64 exec, exec, s[12:13]
	v_xad_u32 v28, v85, -1, s33
	v_add_u32_e32 v10, 64, v28
	v_lshlrev_b64 v[6:7], 4, v[10:11]
	v_mov_b32_e32 v8, s51
	v_add_co_u32_e32 v30, vcc, s50, v6
	v_addc_co_u32_e32 v31, vcc, v8, v7, vcc
	;;#ASMSTART
	global_load_dwordx4 v[6:9], v[30:31] off glc	
s_waitcnt vmcnt(0)
	;;#ASMEND
	v_and_b32_e32 v9, 0xff, v7
	v_and_b32_e32 v10, 0xff00, v7
	v_or3_b32 v9, 0, v9, v10
	v_or3_b32 v6, v6, 0, 0
	v_and_b32_e32 v10, 0xff000000, v7
	v_and_b32_e32 v7, 0xff0000, v7
	v_or3_b32 v7, v9, v7, v10
	v_or3_b32 v6, v6, 0, 0
	v_cmp_eq_u16_sdwa s[14:15], v8, v11 src0_sel:BYTE_0 src1_sel:DWORD
	s_and_saveexec_b64 s[12:13], s[14:15]
	s_cbranch_execz .LBB546_108
; %bb.103:
	s_mov_b32 s17, 1
	s_mov_b64 s[14:15], 0
	v_mov_b32_e32 v10, 0
.LBB546_104:                            ; =>This Loop Header: Depth=1
                                        ;     Child Loop BB546_105 Depth 2
	s_max_u32 s18, s17, 1
.LBB546_105:                            ;   Parent Loop BB546_104 Depth=1
                                        ; =>  This Inner Loop Header: Depth=2
	s_add_i32 s18, s18, -1
	s_cmp_eq_u32 s18, 0
	s_sleep 1
	s_cbranch_scc0 .LBB546_105
; %bb.106:                              ;   in Loop: Header=BB546_104 Depth=1
	s_cmp_lt_u32 s17, 32
	s_cselect_b64 s[18:19], -1, 0
	s_cmp_lg_u64 s[18:19], 0
	s_addc_u32 s17, s17, 0
	;;#ASMSTART
	global_load_dwordx4 v[6:9], v[30:31] off glc	
s_waitcnt vmcnt(0)
	;;#ASMEND
	v_cmp_ne_u16_sdwa s[18:19], v8, v10 src0_sel:BYTE_0 src1_sel:DWORD
	s_or_b64 s[14:15], s[18:19], s[14:15]
	s_andn2_b64 exec, exec, s[14:15]
	s_cbranch_execnz .LBB546_104
; %bb.107:
	s_or_b64 exec, exec, s[14:15]
.LBB546_108:
	s_or_b64 exec, exec, s[12:13]
	v_and_b32_e32 v94, 63, v85
	v_cmp_ne_u32_e32 vcc, 63, v94
	v_mov_b32_e32 v93, 2
	v_addc_co_u32_e32 v30, vcc, 0, v85, vcc
	v_cmp_eq_u16_sdwa s[12:13], v8, v93 src0_sel:BYTE_0 src1_sel:DWORD
	v_lshlrev_b64 v[10:11], v85, -1
	v_lshlrev_b32_e32 v95, 2, v30
	v_and_b32_e32 v9, s13, v11
	ds_bpermute_b32 v30, v95, v6
	ds_bpermute_b32 v31, v95, v7
	v_or_b32_e32 v9, 0x80000000, v9
	v_and_b32_e32 v29, s12, v10
	v_ffbl_b32_e32 v9, v9
	v_add_u32_e32 v9, 32, v9
	v_ffbl_b32_e32 v29, v29
	v_min_u32_e32 v9, v29, v9
	s_waitcnt lgkmcnt(1)
	v_add_u32_e32 v29, v30, v6
	s_waitcnt lgkmcnt(0)
	v_add_u32_e32 v30, v31, v7
	v_cmp_lt_u32_e32 vcc, v94, v9
	v_cndmask_b32_e32 v7, v7, v30, vcc
	v_cndmask_b32_e32 v6, v6, v29, vcc
	v_cmp_gt_u32_e32 vcc, 62, v94
	v_cndmask_b32_e64 v29, 0, 1, vcc
	v_lshlrev_b32_e32 v29, 1, v29
	v_add_lshl_u32 v96, v29, v85, 2
	ds_bpermute_b32 v29, v96, v6
	ds_bpermute_b32 v30, v96, v7
	v_add_u32_e32 v97, 2, v94
	v_cmp_gt_u32_e32 vcc, v97, v9
	v_add_u32_e32 v99, 4, v94
	s_waitcnt lgkmcnt(1)
	v_add_u32_e32 v29, v6, v29
	s_waitcnt lgkmcnt(0)
	v_add_u32_e32 v30, v7, v30
	v_cndmask_b32_e32 v7, v30, v7, vcc
	v_cndmask_b32_e32 v6, v29, v6, vcc
	v_cmp_gt_u32_e32 vcc, 60, v94
	v_cndmask_b32_e64 v29, 0, 1, vcc
	v_lshlrev_b32_e32 v29, 2, v29
	v_add_lshl_u32 v98, v29, v85, 2
	ds_bpermute_b32 v29, v98, v6
	ds_bpermute_b32 v30, v98, v7
	v_cmp_gt_u32_e32 vcc, v99, v9
	v_add_u32_e32 v101, 8, v94
	v_add_u32_e32 v103, 16, v94
	s_waitcnt lgkmcnt(1)
	v_add_u32_e32 v29, v6, v29
	s_waitcnt lgkmcnt(0)
	v_add_u32_e32 v30, v7, v30
	v_cndmask_b32_e32 v7, v30, v7, vcc
	v_cndmask_b32_e32 v6, v29, v6, vcc
	v_cmp_gt_u32_e32 vcc, 56, v94
	v_cndmask_b32_e64 v29, 0, 1, vcc
	v_lshlrev_b32_e32 v29, 3, v29
	v_add_lshl_u32 v100, v29, v85, 2
	ds_bpermute_b32 v29, v100, v6
	ds_bpermute_b32 v30, v100, v7
	v_cmp_gt_u32_e32 vcc, v101, v9
	v_add_u32_e32 v105, 32, v94
	s_waitcnt lgkmcnt(1)
	v_add_u32_e32 v29, v6, v29
	s_waitcnt lgkmcnt(0)
	v_add_u32_e32 v30, v7, v30
	v_cndmask_b32_e32 v7, v30, v7, vcc
	v_cndmask_b32_e32 v6, v29, v6, vcc
	v_cmp_gt_u32_e32 vcc, 48, v94
	v_cndmask_b32_e64 v29, 0, 1, vcc
	v_lshlrev_b32_e32 v29, 4, v29
	v_add_lshl_u32 v102, v29, v85, 2
	ds_bpermute_b32 v29, v102, v6
	ds_bpermute_b32 v30, v102, v7
	v_cmp_gt_u32_e32 vcc, v103, v9
	s_waitcnt lgkmcnt(1)
	v_add_u32_e32 v29, v6, v29
	s_waitcnt lgkmcnt(0)
	v_add_u32_e32 v30, v7, v30
	v_cndmask_b32_e32 v7, v30, v7, vcc
	v_cndmask_b32_e32 v6, v29, v6, vcc
	v_cmp_gt_u32_e32 vcc, 32, v94
	v_cndmask_b32_e64 v29, 0, 1, vcc
	v_lshlrev_b32_e32 v29, 5, v29
	v_add_lshl_u32 v104, v29, v85, 2
	ds_bpermute_b32 v29, v104, v6
	ds_bpermute_b32 v30, v104, v7
	v_cmp_le_u32_e32 vcc, v105, v9
	s_waitcnt lgkmcnt(1)
	v_cndmask_b32_e32 v9, 0, v29, vcc
	s_waitcnt lgkmcnt(0)
	v_cndmask_b32_e32 v29, 0, v30, vcc
	v_add_u32_e32 v7, v7, v29
	v_add_u32_e32 v6, v6, v9
	v_mov_b32_e32 v29, 0
	s_branch .LBB546_110
.LBB546_109:                            ;   in Loop: Header=BB546_110 Depth=1
	s_or_b64 exec, exec, s[12:13]
	v_cmp_eq_u16_sdwa s[12:13], v8, v93 src0_sel:BYTE_0 src1_sel:DWORD
	v_and_b32_e32 v9, s13, v11
	ds_bpermute_b32 v33, v95, v6
	ds_bpermute_b32 v106, v95, v7
	v_or_b32_e32 v9, 0x80000000, v9
	v_and_b32_e32 v32, s12, v10
	v_ffbl_b32_e32 v9, v9
	v_add_u32_e32 v9, 32, v9
	v_ffbl_b32_e32 v32, v32
	v_min_u32_e32 v9, v32, v9
	s_waitcnt lgkmcnt(1)
	v_add_u32_e32 v32, v33, v6
	s_waitcnt lgkmcnt(0)
	v_add_u32_e32 v33, v106, v7
	v_cmp_lt_u32_e32 vcc, v94, v9
	v_cndmask_b32_e32 v7, v7, v33, vcc
	v_cndmask_b32_e32 v6, v6, v32, vcc
	ds_bpermute_b32 v32, v96, v6
	ds_bpermute_b32 v33, v96, v7
	v_cmp_gt_u32_e32 vcc, v97, v9
	v_subrev_u32_e32 v28, 64, v28
	s_waitcnt lgkmcnt(1)
	v_add_u32_e32 v32, v6, v32
	s_waitcnt lgkmcnt(0)
	v_add_u32_e32 v33, v7, v33
	v_cndmask_b32_e32 v7, v33, v7, vcc
	v_cndmask_b32_e32 v6, v32, v6, vcc
	ds_bpermute_b32 v32, v98, v6
	ds_bpermute_b32 v33, v98, v7
	v_cmp_gt_u32_e32 vcc, v99, v9
	s_waitcnt lgkmcnt(1)
	v_add_u32_e32 v32, v6, v32
	s_waitcnt lgkmcnt(0)
	v_add_u32_e32 v33, v7, v33
	v_cndmask_b32_e32 v7, v33, v7, vcc
	v_cndmask_b32_e32 v6, v32, v6, vcc
	ds_bpermute_b32 v32, v100, v6
	ds_bpermute_b32 v33, v100, v7
	v_cmp_gt_u32_e32 vcc, v101, v9
	;; [unrolled: 9-line block ×3, first 2 shown]
	s_waitcnt lgkmcnt(1)
	v_add_u32_e32 v32, v6, v32
	s_waitcnt lgkmcnt(0)
	v_add_u32_e32 v33, v7, v33
	v_cndmask_b32_e32 v7, v33, v7, vcc
	v_cndmask_b32_e32 v6, v32, v6, vcc
	ds_bpermute_b32 v32, v104, v6
	ds_bpermute_b32 v33, v104, v7
	v_cmp_le_u32_e32 vcc, v105, v9
	s_waitcnt lgkmcnt(1)
	v_cndmask_b32_e32 v9, 0, v32, vcc
	s_waitcnt lgkmcnt(0)
	v_cndmask_b32_e32 v32, 0, v33, vcc
	v_add3_u32 v7, v32, v31, v7
	v_add3_u32 v6, v9, v30, v6
.LBB546_110:                            ; =>This Loop Header: Depth=1
                                        ;     Child Loop BB546_113 Depth 2
                                        ;       Child Loop BB546_114 Depth 3
	v_cmp_ne_u16_sdwa s[12:13], v8, v93 src0_sel:BYTE_0 src1_sel:DWORD
	v_cndmask_b32_e64 v8, 0, 1, s[12:13]
	;;#ASMSTART
	;;#ASMEND
	v_cmp_ne_u32_e32 vcc, 0, v8
	s_cmp_lg_u64 vcc, exec
	v_pk_mov_b32 v[30:31], v[6:7], v[6:7] op_sel:[0,1]
	s_cbranch_scc1 .LBB546_117
; %bb.111:                              ;   in Loop: Header=BB546_110 Depth=1
	v_lshlrev_b64 v[6:7], 4, v[28:29]
	v_mov_b32_e32 v8, s51
	v_add_co_u32_e32 v32, vcc, s50, v6
	v_addc_co_u32_e32 v33, vcc, v8, v7, vcc
	;;#ASMSTART
	global_load_dwordx4 v[6:9], v[32:33] off glc	
s_waitcnt vmcnt(0)
	;;#ASMEND
	v_and_b32_e32 v9, 0xff, v7
	v_and_b32_e32 v106, 0xff00, v7
	v_or3_b32 v9, 0, v9, v106
	v_or3_b32 v6, v6, 0, 0
	v_and_b32_e32 v106, 0xff000000, v7
	v_and_b32_e32 v7, 0xff0000, v7
	v_or3_b32 v7, v9, v7, v106
	v_or3_b32 v6, v6, 0, 0
	v_cmp_eq_u16_sdwa s[14:15], v8, v29 src0_sel:BYTE_0 src1_sel:DWORD
	s_and_saveexec_b64 s[12:13], s[14:15]
	s_cbranch_execz .LBB546_109
; %bb.112:                              ;   in Loop: Header=BB546_110 Depth=1
	s_mov_b32 s17, 1
	s_mov_b64 s[14:15], 0
.LBB546_113:                            ;   Parent Loop BB546_110 Depth=1
                                        ; =>  This Loop Header: Depth=2
                                        ;       Child Loop BB546_114 Depth 3
	s_max_u32 s18, s17, 1
.LBB546_114:                            ;   Parent Loop BB546_110 Depth=1
                                        ;     Parent Loop BB546_113 Depth=2
                                        ; =>    This Inner Loop Header: Depth=3
	s_add_i32 s18, s18, -1
	s_cmp_eq_u32 s18, 0
	s_sleep 1
	s_cbranch_scc0 .LBB546_114
; %bb.115:                              ;   in Loop: Header=BB546_113 Depth=2
	s_cmp_lt_u32 s17, 32
	s_cselect_b64 s[18:19], -1, 0
	s_cmp_lg_u64 s[18:19], 0
	s_addc_u32 s17, s17, 0
	;;#ASMSTART
	global_load_dwordx4 v[6:9], v[32:33] off glc	
s_waitcnt vmcnt(0)
	;;#ASMEND
	v_cmp_ne_u16_sdwa s[18:19], v8, v29 src0_sel:BYTE_0 src1_sel:DWORD
	s_or_b64 s[14:15], s[18:19], s[14:15]
	s_andn2_b64 exec, exec, s[14:15]
	s_cbranch_execnz .LBB546_113
; %bb.116:                              ;   in Loop: Header=BB546_110 Depth=1
	s_or_b64 exec, exec, s[14:15]
	s_branch .LBB546_109
.LBB546_117:                            ;   in Loop: Header=BB546_110 Depth=1
                                        ; implicit-def: $vgpr8
                                        ; implicit-def: $vgpr6_vgpr7
	s_cbranch_execz .LBB546_110
; %bb.118:
	s_and_saveexec_b64 s[12:13], s[8:9]
	s_cbranch_execz .LBB546_120
; %bb.119:
	s_add_i32 s14, s33, 64
	s_mov_b32 s15, 0
	v_add_u32_e32 v7, v31, v27
	s_lshl_b64 s[14:15], s[14:15], 4
	s_add_u32 s14, s50, s14
	v_and_b32_e32 v8, 0xff000000, v7
	v_and_b32_e32 v10, 0xff0000, v7
	s_addc_u32 s15, s51, s15
	v_or_b32_e32 v8, v10, v8
	v_and_b32_e32 v10, 0xff00, v7
	v_and_b32_e32 v7, 0xff, v7
	v_add_u32_e32 v6, v30, v26
	v_mov_b32_e32 v9, 0
	v_or3_b32 v7, v8, v10, v7
	v_mov_b32_e32 v8, 2
	v_pk_mov_b32 v[10:11], s[14:15], s[14:15] op_sel:[0,1]
	;;#ASMSTART
	global_store_dwordx4 v[10:11], v[6:9] off	
s_waitcnt vmcnt(0)
	;;#ASMEND
	s_movk_i32 s14, 0x3400
	v_add_u32_e64 v6, s14, 0
	ds_write2_b32 v6, v26, v27 offset1:2
	ds_write2_b32 v6, v30, v31 offset0:4 offset1:6
.LBB546_120:
	s_or_b64 exec, exec, s[12:13]
	s_and_b64 exec, exec, s[0:1]
	s_cbranch_execz .LBB546_122
; %bb.121:
	v_mov_b32_e32 v6, 0
	ds_write_b64 v6, v[30:31] offset:24
.LBB546_122:
	s_or_b64 exec, exec, s[10:11]
	v_mov_b32_e32 v6, 0
	s_waitcnt lgkmcnt(0)
	s_barrier
	ds_read_b64 v[10:11], v6 offset:24
	v_cndmask_b32_e64 v25, v92, v25, s[8:9]
	v_cndmask_b32_e64 v1, v1, v24, s[8:9]
	s_movk_i32 s8, 0x3400
	s_waitcnt lgkmcnt(0)
	v_add_u32_e32 v24, v10, v1
	v_add_u32_e64 v1, s8, 0
	s_barrier
	ds_read2_b32 v[6:7], v1 offset1:2
	ds_read2_b32 v[8:9], v1 offset0:4 offset1:6
	v_add_u32_e32 v1, v11, v25
	v_cndmask_b32_e64 v1, v1, v11, s[0:1]
	v_cndmask_b32_e64 v10, v24, v10, s[0:1]
	s_branch .LBB546_133
.LBB546_123:
                                        ; implicit-def: $vgpr1
                                        ; implicit-def: $vgpr8
                                        ; implicit-def: $vgpr6
                                        ; implicit-def: $vgpr10_vgpr11
	s_cbranch_execz .LBB546_133
; %bb.124:
	s_nop 0
	v_mov_b32_dpp v1, v90 row_shr:1 row_mask:0xf bank_mask:0xf
	s_waitcnt lgkmcnt(1)
	v_mov_b32_dpp v6, v91 row_shr:1 row_mask:0xf bank_mask:0xf
	v_add_u32_e32 v1, v1, v90
	v_add_u32_e32 v6, v6, v91
	v_cndmask_b32_e64 v6, v6, v91, s[6:7]
	v_cndmask_b32_e64 v1, v1, v90, s[6:7]
	v_cmp_lt_u32_e32 vcc, 3, v89
	s_waitcnt lgkmcnt(0)
	v_mov_b32_dpp v8, v6 row_shr:2 row_mask:0xf bank_mask:0xf
	v_mov_b32_dpp v7, v1 row_shr:2 row_mask:0xf bank_mask:0xf
	v_add_u32_e32 v7, v1, v7
	v_add_u32_e32 v8, v6, v8
	v_cndmask_b32_e64 v6, v6, v8, s[4:5]
	v_cndmask_b32_e64 v1, v1, v7, s[4:5]
	s_nop 0
	v_mov_b32_dpp v8, v6 row_shr:4 row_mask:0xf bank_mask:0xf
	v_mov_b32_dpp v7, v1 row_shr:4 row_mask:0xf bank_mask:0xf
	v_add_u32_e32 v7, v1, v7
	v_add_u32_e32 v8, v6, v8
	v_cndmask_b32_e32 v6, v6, v8, vcc
	v_cndmask_b32_e32 v1, v1, v7, vcc
	v_cmp_lt_u32_e32 vcc, 7, v89
	v_mov_b32_dpp v8, v6 row_shr:8 row_mask:0xf bank_mask:0xf
	v_mov_b32_dpp v7, v1 row_shr:8 row_mask:0xf bank_mask:0xf
	v_add_u32_e32 v7, v1, v7
	v_add_u32_e32 v8, v6, v8
	v_cndmask_b32_e32 v6, v6, v8, vcc
	v_cndmask_b32_e32 v1, v1, v7, vcc
	v_cmp_eq_u32_e32 vcc, 0, v88
	v_mov_b32_dpp v8, v6 row_bcast:15 row_mask:0xf bank_mask:0xf
	v_mov_b32_dpp v7, v1 row_bcast:15 row_mask:0xf bank_mask:0xf
	v_add_u32_e32 v7, v1, v7
	v_add_u32_e32 v8, v6, v8
	v_cndmask_b32_e32 v6, v8, v6, vcc
	v_cndmask_b32_e32 v1, v7, v1, vcc
	v_cmp_lt_u32_e32 vcc, 31, v85
	v_mov_b32_dpp v8, v6 row_bcast:31 row_mask:0xf bank_mask:0xf
	v_mov_b32_dpp v7, v1 row_bcast:31 row_mask:0xf bank_mask:0xf
	v_add_u32_e32 v8, v6, v8
	v_add_u32_e32 v9, v1, v7
	v_cndmask_b32_e32 v7, v6, v8, vcc
	v_cndmask_b32_e32 v6, v1, v9, vcc
	v_cmp_eq_u32_e32 vcc, v87, v0
	s_and_saveexec_b64 s[4:5], vcc
	s_cbranch_execz .LBB546_126
; %bb.125:
	v_lshlrev_b32_e32 v1, 3, v86
	ds_write_b64 v1, v[6:7]
.LBB546_126:
	s_or_b64 exec, exec, s[4:5]
	v_cmp_gt_u32_e32 vcc, 4, v0
	s_waitcnt lgkmcnt(0)
	s_barrier
	s_and_saveexec_b64 s[4:5], vcc
	s_cbranch_execz .LBB546_128
; %bb.127:
	v_lshlrev_b32_e32 v1, 3, v0
	ds_read_b64 v[8:9], v1
	v_and_b32_e32 v10, 3, v85
	v_cmp_eq_u32_e32 vcc, 0, v10
	s_waitcnt lgkmcnt(0)
	v_mov_b32_dpp v11, v8 row_shr:1 row_mask:0xf bank_mask:0xf
	v_mov_b32_dpp v24, v9 row_shr:1 row_mask:0xf bank_mask:0xf
	v_add_u32_e32 v11, v11, v8
	v_add_u32_e32 v24, v24, v9
	v_cndmask_b32_e32 v9, v24, v9, vcc
	v_cndmask_b32_e32 v8, v11, v8, vcc
	v_cmp_lt_u32_e32 vcc, 1, v10
	v_mov_b32_dpp v24, v9 row_shr:2 row_mask:0xf bank_mask:0xf
	v_mov_b32_dpp v11, v8 row_shr:2 row_mask:0xf bank_mask:0xf
	v_cndmask_b32_e32 v10, 0, v11, vcc
	v_cndmask_b32_e32 v11, 0, v24, vcc
	v_add_u32_e32 v9, v11, v9
	v_add_u32_e32 v8, v10, v8
	ds_write_b64 v1, v[8:9]
.LBB546_128:
	s_or_b64 exec, exec, s[4:5]
	v_cmp_lt_u32_e32 vcc, 63, v0
	v_mov_b32_e32 v8, 0
	v_mov_b32_e32 v10, 0
	;; [unrolled: 1-line block ×3, first 2 shown]
	s_waitcnt lgkmcnt(0)
	s_barrier
	s_and_saveexec_b64 s[4:5], vcc
	s_cbranch_execz .LBB546_130
; %bb.129:
	v_lshl_add_u32 v1, v86, 3, -8
	ds_read_b64 v[10:11], v1
.LBB546_130:
	s_or_b64 exec, exec, s[4:5]
	s_waitcnt lgkmcnt(0)
	v_add_u32_e32 v9, v11, v7
	v_add_u32_e32 v1, v10, v6
	v_add_u32_e32 v6, -1, v85
	v_and_b32_e32 v7, 64, v85
	v_cmp_lt_i32_e32 vcc, v6, v7
	v_cndmask_b32_e32 v6, v6, v85, vcc
	v_lshlrev_b32_e32 v24, 2, v6
	ds_read_b64 v[6:7], v8 offset:24
	ds_bpermute_b32 v1, v24, v1
	ds_bpermute_b32 v24, v24, v9
	s_waitcnt lgkmcnt(2)
	v_readfirstlane_b32 s6, v7
	s_and_saveexec_b64 s[4:5], s[0:1]
	s_cbranch_execz .LBB546_132
; %bb.131:
	s_add_u32 s8, s50, 0x400
	s_mov_b32 s10, 0
	s_addc_u32 s9, s51, 0
	s_and_b32 s11, s6, 0xff000000
	s_and_b32 s13, s6, 0xff0000
	s_mov_b32 s12, s10
	s_or_b64 s[12:13], s[12:13], s[10:11]
	s_and_b32 s11, s6, 0xff00
	s_or_b64 s[12:13], s[12:13], s[10:11]
	s_and_b32 s11, s6, 0xff
	s_or_b64 s[10:11], s[12:13], s[10:11]
	v_mov_b32_e32 v7, s11
	v_mov_b32_e32 v8, 2
	;; [unrolled: 1-line block ×3, first 2 shown]
	v_pk_mov_b32 v[26:27], s[8:9], s[8:9] op_sel:[0,1]
	;;#ASMSTART
	global_store_dwordx4 v[26:27], v[6:9] off	
s_waitcnt vmcnt(0)
	;;#ASMEND
.LBB546_132:
	s_or_b64 exec, exec, s[4:5]
	v_cmp_eq_u32_e32 vcc, 0, v85
	s_waitcnt lgkmcnt(1)
	v_cndmask_b32_e32 v7, v1, v10, vcc
	s_waitcnt lgkmcnt(0)
	v_cndmask_b32_e32 v1, v24, v11, vcc
	v_mov_b32_e32 v8, 0
	v_cndmask_b32_e64 v1, v1, 0, s[0:1]
	v_cndmask_b32_e64 v10, v7, 0, s[0:1]
	s_barrier
	v_mov_b32_e32 v7, s6
	v_mov_b32_e32 v9, 0
.LBB546_133:
	v_add_u32_e32 v11, v10, v67
	v_add_u32_e32 v26, v1, v68
	;; [unrolled: 1-line block ×13, first 2 shown]
	s_waitcnt vmcnt(0) lgkmcnt(0)
	v_add_co_u32_e32 v2, vcc, v2, v8
	v_add_u32_e32 v68, v62, v74
	v_add_u32_e32 v64, v67, v64
	v_addc_co_u32_e32 v3, vcc, 0, v3, vcc
	v_add_u32_e32 v69, v68, v82
	v_add_u32_e32 v70, v64, v75
	v_sub_co_u32_e32 v24, vcc, v4, v6
	v_add_u32_e32 v71, v69, v76
	v_add_u32_e32 v65, v70, v65
	v_subbrev_co_u32_e32 v25, vcc, 0, v5, vcc
	v_lshlrev_b32_e32 v76, 1, v6
	v_sub_u32_e32 v1, v1, v9
	v_add_u32_e32 v73, v65, v77
	v_add_co_u32_e32 v24, vcc, v24, v9
	v_add_u32_e32 v77, v76, v7
	v_sub_u32_e32 v10, v10, v8
	v_add_u32_e32 v1, v1, v6
	v_addc_co_u32_e32 v25, vcc, 0, v25, vcc
	v_add_u32_e32 v36, v77, v36
	v_and_b32_e32 v38, 1, v38
	v_add_u32_e32 v77, v10, v1
	v_and_b32_e32 v37, 1, v37
	v_sub_u32_e32 v77, v36, v77
	v_cmp_eq_u32_e32 vcc, 1, v38
	v_cndmask_b32_e32 v1, v77, v1, vcc
	v_cmp_eq_u32_e32 vcc, 1, v37
	v_cndmask_b32_e32 v1, v1, v10, vcc
	v_lshlrev_b32_e32 v1, 2, v1
	ds_write_b32 v1, v22
	v_sub_u32_e32 v1, v11, v8
	v_sub_u32_e32 v11, v26, v9
	v_add_u32_e32 v11, v11, v6
	v_add_u32_e32 v26, v11, v1
	v_and_b32_e32 v22, 1, v40
	v_sub_u32_e32 v26, v36, v26
	v_and_b32_e32 v10, 1, v39
	v_add_u32_e32 v26, 1, v26
	v_cmp_eq_u32_e32 vcc, 1, v22
	v_cndmask_b32_e32 v11, v26, v11, vcc
	v_cmp_eq_u32_e32 vcc, 1, v10
	v_cndmask_b32_e32 v1, v11, v1, vcc
	v_lshlrev_b32_e32 v1, 2, v1
	v_sub_u32_e32 v11, v27, v9
	ds_write_b32 v1, v23
	v_sub_u32_e32 v1, v28, v8
	v_add_u32_e32 v11, v11, v6
	v_add_u32_e32 v23, v11, v1
	v_and_b32_e32 v22, 1, v42
	v_sub_u32_e32 v23, v36, v23
	v_and_b32_e32 v10, 1, v41
	v_add_u32_e32 v23, 2, v23
	v_cmp_eq_u32_e32 vcc, 1, v22
	v_cndmask_b32_e32 v11, v23, v11, vcc
	v_cmp_eq_u32_e32 vcc, 1, v10
	v_cndmask_b32_e32 v1, v11, v1, vcc
	v_lshlrev_b32_e32 v1, 2, v1
	v_sub_u32_e32 v11, v30, v9
	ds_write_b32 v1, v20
	;; [unrolled: 14-line block ×8, first 2 shown]
	v_sub_u32_e32 v1, v70, v8
	v_add_u32_e32 v11, v11, v6
	v_add_u32_e32 v16, v1, v11
	v_and_b32_e32 v14, 1, v55
	v_sub_u32_e32 v16, v36, v16
	v_and_b32_e32 v10, 1, v56
	v_add_u32_e32 v16, 9, v16
	v_cmp_eq_u32_e32 vcc, 1, v14
	v_cndmask_b32_e32 v11, v16, v11, vcc
	v_cmp_eq_u32_e32 vcc, 1, v10
	v_add_u32_e32 v72, v71, v83
	v_cndmask_b32_e32 v1, v11, v1, vcc
	v_lshlrev_b32_e32 v1, 2, v1
	v_sub_u32_e32 v11, v72, v9
	ds_write_b32 v1, v15
	v_sub_u32_e32 v1, v65, v8
	v_add_u32_e32 v11, v11, v6
	v_add_u32_e32 v15, v1, v11
	v_and_b32_e32 v14, 1, v57
	v_sub_u32_e32 v15, v36, v15
	v_and_b32_e32 v10, 1, v58
	v_add_u32_e32 v15, 10, v15
	v_cmp_eq_u32_e32 vcc, 1, v14
	v_cndmask_b32_e32 v11, v15, v11, vcc
	v_cmp_eq_u32_e32 vcc, 1, v10
	v_add_u32_e32 v74, v72, v78
	v_cndmask_b32_e32 v1, v11, v1, vcc
	v_lshlrev_b32_e32 v1, 2, v1
	v_sub_u32_e32 v11, v74, v9
	ds_write_b32 v1, v12
	v_sub_u32_e32 v1, v73, v8
	v_add_u32_e32 v11, v11, v6
	v_add_u32_e32 v14, v1, v11
	v_and_b32_e32 v12, 1, v59
	v_sub_u32_e32 v14, v36, v14
	v_and_b32_e32 v10, 1, v60
	v_add_u32_e32 v14, 11, v14
	v_cmp_eq_u32_e32 vcc, 1, v12
	v_cndmask_b32_e32 v11, v14, v11, vcc
	v_cmp_eq_u32_e32 vcc, 1, v10
	v_cndmask_b32_e32 v1, v11, v1, vcc
	v_add_u32_e32 v75, v74, v84
	v_add_u32_e32 v66, v73, v66
	v_lshlrev_b32_e32 v1, 2, v1
	ds_write_b32 v1, v13
	v_sub_u32_e32 v1, v66, v8
	v_sub_u32_e32 v8, v75, v9
	v_add_u32_e32 v8, v8, v6
	v_add_u32_e32 v10, v1, v8
	v_sub_u32_e32 v10, v36, v10
	v_add_u32_e32 v10, 12, v10
	v_cndmask_b32_e64 v8, v10, v8, s[54:55]
	v_cndmask_b32_e64 v1, v8, v1, s[52:53]
	v_lshlrev_b32_e32 v1, 2, v1
	ds_write_b32 v1, v35
	v_mov_b32_e32 v1, s49
	v_add_co_u32_e32 v8, vcc, s48, v34
	v_addc_co_u32_e32 v10, vcc, 0, v1, vcc
	v_add_co_u32_e32 v1, vcc, v7, v76
	v_addc_co_u32_e64 v11, s[4:5], 0, 0, vcc
	v_add_co_u32_e32 v1, vcc, v1, v24
	v_addc_co_u32_e32 v11, vcc, v11, v25, vcc
	v_add_co_u32_e32 v1, vcc, v1, v2
	v_addc_co_u32_e32 v11, vcc, v11, v3, vcc
	v_sub_co_u32_e32 v1, vcc, v8, v1
	v_subb_co_u32_e32 v8, vcc, v10, v11, vcc
	v_lshlrev_b64 v[10:11], 2, v[24:25]
	v_mov_b32_e32 v12, s47
	v_add_co_u32_e32 v10, vcc, s46, v10
	v_addc_co_u32_e32 v11, vcc, v12, v11, vcc
	v_lshlrev_b64 v[12:13], 2, v[2:3]
	v_mov_b32_e32 v15, s45
	v_add_co_u32_e32 v12, vcc, s44, v12
	s_add_u32 s8, s34, -4
	v_addc_co_u32_e32 v13, vcc, v15, v13, vcc
	s_addc_u32 s9, s35, -1
	v_add_u32_e32 v14, v6, v7
	s_and_b64 vcc, exec, s[2:3]
	s_mov_b64 s[2:3], -1
	s_waitcnt lgkmcnt(0)
	s_barrier
	s_cbranch_vccz .LBB546_137
; %bb.134:
	s_and_b64 vcc, exec, s[2:3]
	s_cbranch_vccnz .LBB546_242
.LBB546_135:
	s_and_b64 s[0:1], s[0:1], s[30:31]
	s_and_saveexec_b64 s[2:3], s[0:1]
	s_cbranch_execnz .LBB546_360
.LBB546_136:
	s_endpgm
.LBB546_137:
	v_cmp_le_u32_e32 vcc, v6, v0
	s_and_saveexec_b64 s[2:3], vcc
	s_xor_b64 s[2:3], exec, s[2:3]
	s_cbranch_execz .LBB546_143
; %bb.138:
	v_cmp_le_u32_e32 vcc, v14, v0
	s_and_saveexec_b64 s[4:5], vcc
	s_xor_b64 s[4:5], exec, s[4:5]
	s_cbranch_execz .LBB546_140
; %bb.139:
	v_lshlrev_b32_e32 v15, 2, v0
	v_add_co_u32_e32 v16, vcc, v1, v0
	ds_read_b32 v15, v15
	v_addc_co_u32_e32 v17, vcc, 0, v8, vcc
	v_lshlrev_b64 v[16:17], 2, v[16:17]
	v_mov_b32_e32 v18, s35
	v_sub_co_u32_e32 v16, vcc, s34, v16
	v_subb_co_u32_e32 v17, vcc, v18, v17, vcc
	s_waitcnt lgkmcnt(0)
	global_store_dword v[16:17], v15, off offset:-4
.LBB546_140:
	s_andn2_saveexec_b64 s[4:5], s[4:5]
	s_cbranch_execz .LBB546_142
; %bb.141:
	v_lshlrev_b32_e32 v15, 2, v0
	ds_read_b32 v16, v15
	v_readfirstlane_b32 s6, v10
	v_readfirstlane_b32 s7, v11
	s_waitcnt lgkmcnt(0)
	s_nop 3
	global_store_dword v15, v16, s[6:7]
.LBB546_142:
	s_or_b64 exec, exec, s[4:5]
.LBB546_143:
	s_andn2_saveexec_b64 s[2:3], s[2:3]
	s_cbranch_execz .LBB546_145
; %bb.144:
	v_lshlrev_b32_e32 v15, 2, v0
	ds_read_b32 v16, v15
	v_readfirstlane_b32 s4, v12
	v_readfirstlane_b32 s5, v13
	s_waitcnt lgkmcnt(0)
	s_nop 3
	global_store_dword v15, v16, s[4:5]
.LBB546_145:
	s_or_b64 exec, exec, s[2:3]
	v_or_b32_e32 v15, 0x100, v0
	v_cmp_le_u32_e32 vcc, v6, v15
	s_and_saveexec_b64 s[2:3], vcc
	s_xor_b64 s[2:3], exec, s[2:3]
	s_cbranch_execz .LBB546_151
; %bb.146:
	v_cmp_le_u32_e32 vcc, v14, v15
	s_and_saveexec_b64 s[4:5], vcc
	s_xor_b64 s[4:5], exec, s[4:5]
	s_cbranch_execz .LBB546_148
; %bb.147:
	v_lshlrev_b32_e32 v15, 2, v0
	ds_read_b32 v15, v15 offset:1024
	v_add_co_u32_e32 v16, vcc, v1, v0
	v_addc_co_u32_e32 v17, vcc, 0, v8, vcc
	v_lshlrev_b64 v[16:17], 2, v[16:17]
	v_mov_b32_e32 v18, s9
	v_sub_co_u32_e32 v16, vcc, s8, v16
	v_subb_co_u32_e32 v17, vcc, v18, v17, vcc
	s_waitcnt lgkmcnt(0)
	global_store_dword v[16:17], v15, off offset:-1024
.LBB546_148:
	s_andn2_saveexec_b64 s[4:5], s[4:5]
	s_cbranch_execz .LBB546_150
; %bb.149:
	v_lshlrev_b32_e32 v15, 2, v0
	ds_read_b32 v16, v15 offset:1024
	v_readfirstlane_b32 s6, v10
	v_readfirstlane_b32 s7, v11
	s_waitcnt lgkmcnt(0)
	s_nop 3
	global_store_dword v15, v16, s[6:7] offset:1024
.LBB546_150:
	s_or_b64 exec, exec, s[4:5]
.LBB546_151:
	s_andn2_saveexec_b64 s[2:3], s[2:3]
	s_cbranch_execz .LBB546_153
; %bb.152:
	v_lshlrev_b32_e32 v15, 2, v0
	ds_read_b32 v16, v15 offset:1024
	v_readfirstlane_b32 s4, v12
	v_readfirstlane_b32 s5, v13
	s_waitcnt lgkmcnt(0)
	s_nop 3
	global_store_dword v15, v16, s[4:5] offset:1024
.LBB546_153:
	s_or_b64 exec, exec, s[2:3]
	v_or_b32_e32 v15, 0x200, v0
	v_cmp_le_u32_e32 vcc, v6, v15
	s_and_saveexec_b64 s[2:3], vcc
	s_xor_b64 s[2:3], exec, s[2:3]
	s_cbranch_execz .LBB546_159
; %bb.154:
	v_cmp_le_u32_e32 vcc, v14, v15
	s_and_saveexec_b64 s[4:5], vcc
	s_xor_b64 s[4:5], exec, s[4:5]
	s_cbranch_execz .LBB546_156
; %bb.155:
	v_lshlrev_b32_e32 v15, 2, v0
	ds_read_b32 v15, v15 offset:2048
	v_add_co_u32_e32 v16, vcc, v1, v0
	v_addc_co_u32_e32 v17, vcc, 0, v8, vcc
	v_lshlrev_b64 v[16:17], 2, v[16:17]
	v_mov_b32_e32 v18, s9
	v_sub_co_u32_e32 v16, vcc, s8, v16
	v_subb_co_u32_e32 v17, vcc, v18, v17, vcc
	s_waitcnt lgkmcnt(0)
	global_store_dword v[16:17], v15, off offset:-2048
.LBB546_156:
	s_andn2_saveexec_b64 s[4:5], s[4:5]
	s_cbranch_execz .LBB546_158
; %bb.157:
	v_lshlrev_b32_e32 v15, 2, v0
	ds_read_b32 v16, v15 offset:2048
	v_readfirstlane_b32 s6, v10
	v_readfirstlane_b32 s7, v11
	s_waitcnt lgkmcnt(0)
	s_nop 3
	global_store_dword v15, v16, s[6:7] offset:2048
.LBB546_158:
	s_or_b64 exec, exec, s[4:5]
.LBB546_159:
	s_andn2_saveexec_b64 s[2:3], s[2:3]
	s_cbranch_execz .LBB546_161
; %bb.160:
	v_lshlrev_b32_e32 v15, 2, v0
	ds_read_b32 v16, v15 offset:2048
	v_readfirstlane_b32 s4, v12
	v_readfirstlane_b32 s5, v13
	s_waitcnt lgkmcnt(0)
	s_nop 3
	global_store_dword v15, v16, s[4:5] offset:2048
.LBB546_161:
	;; [unrolled: 47-line block ×3, first 2 shown]
	s_or_b64 exec, exec, s[2:3]
	v_or_b32_e32 v15, 0x400, v0
	v_cmp_le_u32_e32 vcc, v6, v15
	s_and_saveexec_b64 s[2:3], vcc
	s_xor_b64 s[2:3], exec, s[2:3]
	s_cbranch_execz .LBB546_175
; %bb.170:
	v_cmp_le_u32_e32 vcc, v14, v15
	s_and_saveexec_b64 s[4:5], vcc
	s_xor_b64 s[4:5], exec, s[4:5]
	s_cbranch_execz .LBB546_172
; %bb.171:
	v_lshlrev_b32_e32 v15, 2, v0
	ds_read_b32 v15, v15 offset:4096
	v_add_co_u32_e32 v16, vcc, v1, v0
	v_addc_co_u32_e32 v17, vcc, 0, v8, vcc
	v_lshlrev_b64 v[16:17], 2, v[16:17]
	v_mov_b32_e32 v18, s9
	v_sub_co_u32_e32 v16, vcc, s8, v16
	v_subb_co_u32_e32 v17, vcc, v18, v17, vcc
	s_waitcnt lgkmcnt(0)
	global_store_dword v[16:17], v15, off offset:-4096
                                        ; implicit-def: $vgpr15
.LBB546_172:
	s_andn2_saveexec_b64 s[4:5], s[4:5]
	s_cbranch_execz .LBB546_174
; %bb.173:
	v_lshlrev_b32_e32 v16, 2, v0
	ds_read_b32 v16, v16 offset:4096
	v_lshlrev_b32_e32 v15, 2, v15
	v_readfirstlane_b32 s6, v10
	v_readfirstlane_b32 s7, v11
	s_waitcnt lgkmcnt(0)
	s_nop 3
	global_store_dword v15, v16, s[6:7]
.LBB546_174:
	s_or_b64 exec, exec, s[4:5]
                                        ; implicit-def: $vgpr15
.LBB546_175:
	s_andn2_saveexec_b64 s[2:3], s[2:3]
	s_cbranch_execz .LBB546_177
; %bb.176:
	v_lshlrev_b32_e32 v16, 2, v0
	ds_read_b32 v16, v16 offset:4096
	v_lshlrev_b32_e32 v15, 2, v15
	v_readfirstlane_b32 s4, v12
	v_readfirstlane_b32 s5, v13
	s_waitcnt lgkmcnt(0)
	s_nop 3
	global_store_dword v15, v16, s[4:5]
.LBB546_177:
	s_or_b64 exec, exec, s[2:3]
	v_or_b32_e32 v15, 0x500, v0
	v_cmp_le_u32_e32 vcc, v6, v15
	s_and_saveexec_b64 s[2:3], vcc
	s_xor_b64 s[2:3], exec, s[2:3]
	s_cbranch_execz .LBB546_183
; %bb.178:
	v_cmp_le_u32_e32 vcc, v14, v15
	s_and_saveexec_b64 s[4:5], vcc
	s_xor_b64 s[4:5], exec, s[4:5]
	s_cbranch_execz .LBB546_180
; %bb.179:
	v_add_co_u32_e32 v16, vcc, v1, v15
	v_lshlrev_b32_e32 v15, 2, v0
	ds_read_b32 v15, v15 offset:5120
	v_addc_co_u32_e32 v17, vcc, 0, v8, vcc
	v_lshlrev_b64 v[16:17], 2, v[16:17]
	v_mov_b32_e32 v18, s9
	v_sub_co_u32_e32 v16, vcc, s8, v16
	v_subb_co_u32_e32 v17, vcc, v18, v17, vcc
	s_waitcnt lgkmcnt(0)
	global_store_dword v[16:17], v15, off
                                        ; implicit-def: $vgpr15
.LBB546_180:
	s_andn2_saveexec_b64 s[4:5], s[4:5]
	s_cbranch_execz .LBB546_182
; %bb.181:
	v_lshlrev_b32_e32 v16, 2, v0
	ds_read_b32 v16, v16 offset:5120
	v_lshlrev_b32_e32 v15, 2, v15
	v_readfirstlane_b32 s6, v10
	v_readfirstlane_b32 s7, v11
	s_waitcnt lgkmcnt(0)
	s_nop 3
	global_store_dword v15, v16, s[6:7]
.LBB546_182:
	s_or_b64 exec, exec, s[4:5]
                                        ; implicit-def: $vgpr15
.LBB546_183:
	s_andn2_saveexec_b64 s[2:3], s[2:3]
	s_cbranch_execz .LBB546_185
; %bb.184:
	v_lshlrev_b32_e32 v16, 2, v0
	ds_read_b32 v16, v16 offset:5120
	v_lshlrev_b32_e32 v15, 2, v15
	v_readfirstlane_b32 s4, v12
	v_readfirstlane_b32 s5, v13
	s_waitcnt lgkmcnt(0)
	s_nop 3
	global_store_dword v15, v16, s[4:5]
.LBB546_185:
	s_or_b64 exec, exec, s[2:3]
	v_or_b32_e32 v15, 0x600, v0
	v_cmp_le_u32_e32 vcc, v6, v15
	s_and_saveexec_b64 s[2:3], vcc
	s_xor_b64 s[2:3], exec, s[2:3]
	s_cbranch_execz .LBB546_191
; %bb.186:
	v_cmp_le_u32_e32 vcc, v14, v15
	s_and_saveexec_b64 s[4:5], vcc
	s_xor_b64 s[4:5], exec, s[4:5]
	s_cbranch_execz .LBB546_188
; %bb.187:
	v_add_co_u32_e32 v16, vcc, v1, v15
	v_lshlrev_b32_e32 v15, 2, v0
	ds_read_b32 v15, v15 offset:6144
	v_addc_co_u32_e32 v17, vcc, 0, v8, vcc
	v_lshlrev_b64 v[16:17], 2, v[16:17]
	v_mov_b32_e32 v18, s9
	v_sub_co_u32_e32 v16, vcc, s8, v16
	v_subb_co_u32_e32 v17, vcc, v18, v17, vcc
	s_waitcnt lgkmcnt(0)
	global_store_dword v[16:17], v15, off
                                        ; implicit-def: $vgpr15
.LBB546_188:
	s_andn2_saveexec_b64 s[4:5], s[4:5]
	s_cbranch_execz .LBB546_190
; %bb.189:
	v_lshlrev_b32_e32 v16, 2, v0
	ds_read_b32 v16, v16 offset:6144
	v_lshlrev_b32_e32 v15, 2, v15
	v_readfirstlane_b32 s6, v10
	v_readfirstlane_b32 s7, v11
	s_waitcnt lgkmcnt(0)
	s_nop 3
	global_store_dword v15, v16, s[6:7]
.LBB546_190:
	s_or_b64 exec, exec, s[4:5]
                                        ; implicit-def: $vgpr15
.LBB546_191:
	;; [unrolled: 51-line block ×8, first 2 shown]
	s_andn2_saveexec_b64 s[2:3], s[2:3]
	s_cbranch_execz .LBB546_241
; %bb.240:
	v_lshlrev_b32_e32 v16, 2, v0
	ds_read_b32 v16, v16 offset:12288
	v_lshlrev_b32_e32 v15, 2, v15
	v_readfirstlane_b32 s4, v12
	v_readfirstlane_b32 s5, v13
	s_waitcnt lgkmcnt(0)
	s_nop 3
	global_store_dword v15, v16, s[4:5]
.LBB546_241:
	s_or_b64 exec, exec, s[2:3]
	s_branch .LBB546_135
.LBB546_242:
	v_cmp_gt_u32_e32 vcc, s16, v0
	s_and_saveexec_b64 s[2:3], vcc
	s_cbranch_execz .LBB546_251
; %bb.243:
	v_cmp_le_u32_e32 vcc, v6, v0
	s_and_saveexec_b64 s[4:5], vcc
	s_xor_b64 s[4:5], exec, s[4:5]
	s_cbranch_execz .LBB546_249
; %bb.244:
	v_cmp_le_u32_e32 vcc, v14, v0
	s_and_saveexec_b64 s[6:7], vcc
	s_xor_b64 s[6:7], exec, s[6:7]
	s_cbranch_execz .LBB546_246
; %bb.245:
	v_lshlrev_b32_e32 v15, 2, v0
	v_add_co_u32_e32 v16, vcc, v1, v0
	ds_read_b32 v15, v15
	v_addc_co_u32_e32 v17, vcc, 0, v8, vcc
	v_lshlrev_b64 v[16:17], 2, v[16:17]
	v_mov_b32_e32 v18, s35
	v_sub_co_u32_e32 v16, vcc, s34, v16
	v_subb_co_u32_e32 v17, vcc, v18, v17, vcc
	s_waitcnt lgkmcnt(0)
	global_store_dword v[16:17], v15, off offset:-4
.LBB546_246:
	s_andn2_saveexec_b64 s[6:7], s[6:7]
	s_cbranch_execz .LBB546_248
; %bb.247:
	v_lshlrev_b32_e32 v15, 2, v0
	ds_read_b32 v16, v15
	v_readfirstlane_b32 s10, v10
	v_readfirstlane_b32 s11, v11
	s_waitcnt lgkmcnt(0)
	s_nop 3
	global_store_dword v15, v16, s[10:11]
.LBB546_248:
	s_or_b64 exec, exec, s[6:7]
.LBB546_249:
	s_andn2_saveexec_b64 s[4:5], s[4:5]
	s_cbranch_execz .LBB546_251
; %bb.250:
	v_lshlrev_b32_e32 v15, 2, v0
	ds_read_b32 v16, v15
	v_readfirstlane_b32 s4, v12
	v_readfirstlane_b32 s5, v13
	s_waitcnt lgkmcnt(0)
	s_nop 3
	global_store_dword v15, v16, s[4:5]
.LBB546_251:
	s_or_b64 exec, exec, s[2:3]
	v_or_b32_e32 v15, 0x100, v0
	v_cmp_gt_u32_e32 vcc, s16, v15
	s_and_saveexec_b64 s[2:3], vcc
	s_cbranch_execz .LBB546_260
; %bb.252:
	v_cmp_le_u32_e32 vcc, v6, v15
	s_and_saveexec_b64 s[4:5], vcc
	s_xor_b64 s[4:5], exec, s[4:5]
	s_cbranch_execz .LBB546_258
; %bb.253:
	v_cmp_le_u32_e32 vcc, v14, v15
	s_and_saveexec_b64 s[6:7], vcc
	s_xor_b64 s[6:7], exec, s[6:7]
	s_cbranch_execz .LBB546_255
; %bb.254:
	v_lshlrev_b32_e32 v15, 2, v0
	ds_read_b32 v15, v15 offset:1024
	v_add_co_u32_e32 v16, vcc, v1, v0
	v_addc_co_u32_e32 v17, vcc, 0, v8, vcc
	v_lshlrev_b64 v[16:17], 2, v[16:17]
	v_mov_b32_e32 v18, s9
	v_sub_co_u32_e32 v16, vcc, s8, v16
	v_subb_co_u32_e32 v17, vcc, v18, v17, vcc
	s_waitcnt lgkmcnt(0)
	global_store_dword v[16:17], v15, off offset:-1024
.LBB546_255:
	s_andn2_saveexec_b64 s[6:7], s[6:7]
	s_cbranch_execz .LBB546_257
; %bb.256:
	v_lshlrev_b32_e32 v15, 2, v0
	ds_read_b32 v16, v15 offset:1024
	v_readfirstlane_b32 s10, v10
	v_readfirstlane_b32 s11, v11
	s_waitcnt lgkmcnt(0)
	s_nop 3
	global_store_dword v15, v16, s[10:11] offset:1024
.LBB546_257:
	s_or_b64 exec, exec, s[6:7]
.LBB546_258:
	s_andn2_saveexec_b64 s[4:5], s[4:5]
	s_cbranch_execz .LBB546_260
; %bb.259:
	v_lshlrev_b32_e32 v15, 2, v0
	ds_read_b32 v16, v15 offset:1024
	v_readfirstlane_b32 s4, v12
	v_readfirstlane_b32 s5, v13
	s_waitcnt lgkmcnt(0)
	s_nop 3
	global_store_dword v15, v16, s[4:5] offset:1024
.LBB546_260:
	s_or_b64 exec, exec, s[2:3]
	v_or_b32_e32 v15, 0x200, v0
	v_cmp_gt_u32_e32 vcc, s16, v15
	s_and_saveexec_b64 s[2:3], vcc
	s_cbranch_execz .LBB546_269
; %bb.261:
	v_cmp_le_u32_e32 vcc, v6, v15
	s_and_saveexec_b64 s[4:5], vcc
	s_xor_b64 s[4:5], exec, s[4:5]
	s_cbranch_execz .LBB546_267
; %bb.262:
	v_cmp_le_u32_e32 vcc, v14, v15
	s_and_saveexec_b64 s[6:7], vcc
	s_xor_b64 s[6:7], exec, s[6:7]
	s_cbranch_execz .LBB546_264
; %bb.263:
	v_lshlrev_b32_e32 v15, 2, v0
	ds_read_b32 v15, v15 offset:2048
	v_add_co_u32_e32 v16, vcc, v1, v0
	v_addc_co_u32_e32 v17, vcc, 0, v8, vcc
	v_lshlrev_b64 v[16:17], 2, v[16:17]
	v_mov_b32_e32 v18, s9
	v_sub_co_u32_e32 v16, vcc, s8, v16
	v_subb_co_u32_e32 v17, vcc, v18, v17, vcc
	s_waitcnt lgkmcnt(0)
	global_store_dword v[16:17], v15, off offset:-2048
.LBB546_264:
	s_andn2_saveexec_b64 s[6:7], s[6:7]
	s_cbranch_execz .LBB546_266
; %bb.265:
	v_lshlrev_b32_e32 v15, 2, v0
	ds_read_b32 v16, v15 offset:2048
	v_readfirstlane_b32 s10, v10
	v_readfirstlane_b32 s11, v11
	s_waitcnt lgkmcnt(0)
	s_nop 3
	global_store_dword v15, v16, s[10:11] offset:2048
.LBB546_266:
	s_or_b64 exec, exec, s[6:7]
.LBB546_267:
	s_andn2_saveexec_b64 s[4:5], s[4:5]
	s_cbranch_execz .LBB546_269
; %bb.268:
	v_lshlrev_b32_e32 v15, 2, v0
	ds_read_b32 v16, v15 offset:2048
	v_readfirstlane_b32 s4, v12
	v_readfirstlane_b32 s5, v13
	s_waitcnt lgkmcnt(0)
	s_nop 3
	global_store_dword v15, v16, s[4:5] offset:2048
.LBB546_269:
	;; [unrolled: 51-line block ×3, first 2 shown]
	s_or_b64 exec, exec, s[2:3]
	v_or_b32_e32 v15, 0x400, v0
	v_cmp_gt_u32_e32 vcc, s16, v15
	s_and_saveexec_b64 s[2:3], vcc
	s_cbranch_execz .LBB546_287
; %bb.279:
	v_cmp_le_u32_e32 vcc, v6, v15
	s_and_saveexec_b64 s[4:5], vcc
	s_xor_b64 s[4:5], exec, s[4:5]
	s_cbranch_execz .LBB546_285
; %bb.280:
	v_cmp_le_u32_e32 vcc, v14, v15
	s_and_saveexec_b64 s[6:7], vcc
	s_xor_b64 s[6:7], exec, s[6:7]
	s_cbranch_execz .LBB546_282
; %bb.281:
	v_lshlrev_b32_e32 v15, 2, v0
	ds_read_b32 v15, v15 offset:4096
	v_add_co_u32_e32 v16, vcc, v1, v0
	v_addc_co_u32_e32 v17, vcc, 0, v8, vcc
	v_lshlrev_b64 v[16:17], 2, v[16:17]
	v_mov_b32_e32 v18, s9
	v_sub_co_u32_e32 v16, vcc, s8, v16
	v_subb_co_u32_e32 v17, vcc, v18, v17, vcc
	s_waitcnt lgkmcnt(0)
	global_store_dword v[16:17], v15, off offset:-4096
                                        ; implicit-def: $vgpr15
.LBB546_282:
	s_andn2_saveexec_b64 s[6:7], s[6:7]
	s_cbranch_execz .LBB546_284
; %bb.283:
	v_lshlrev_b32_e32 v16, 2, v0
	ds_read_b32 v16, v16 offset:4096
	v_lshlrev_b32_e32 v15, 2, v15
	v_readfirstlane_b32 s10, v10
	v_readfirstlane_b32 s11, v11
	s_waitcnt lgkmcnt(0)
	s_nop 3
	global_store_dword v15, v16, s[10:11]
.LBB546_284:
	s_or_b64 exec, exec, s[6:7]
                                        ; implicit-def: $vgpr15
.LBB546_285:
	s_andn2_saveexec_b64 s[4:5], s[4:5]
	s_cbranch_execz .LBB546_287
; %bb.286:
	v_lshlrev_b32_e32 v16, 2, v0
	ds_read_b32 v16, v16 offset:4096
	v_lshlrev_b32_e32 v15, 2, v15
	v_readfirstlane_b32 s4, v12
	v_readfirstlane_b32 s5, v13
	s_waitcnt lgkmcnt(0)
	s_nop 3
	global_store_dword v15, v16, s[4:5]
.LBB546_287:
	s_or_b64 exec, exec, s[2:3]
	v_or_b32_e32 v15, 0x500, v0
	v_cmp_gt_u32_e32 vcc, s16, v15
	s_and_saveexec_b64 s[2:3], vcc
	s_cbranch_execz .LBB546_296
; %bb.288:
	v_cmp_le_u32_e32 vcc, v6, v15
	s_and_saveexec_b64 s[4:5], vcc
	s_xor_b64 s[4:5], exec, s[4:5]
	s_cbranch_execz .LBB546_294
; %bb.289:
	v_cmp_le_u32_e32 vcc, v14, v15
	s_and_saveexec_b64 s[6:7], vcc
	s_xor_b64 s[6:7], exec, s[6:7]
	s_cbranch_execz .LBB546_291
; %bb.290:
	v_add_co_u32_e32 v16, vcc, v1, v15
	v_lshlrev_b32_e32 v15, 2, v0
	ds_read_b32 v15, v15 offset:5120
	v_addc_co_u32_e32 v17, vcc, 0, v8, vcc
	v_lshlrev_b64 v[16:17], 2, v[16:17]
	v_mov_b32_e32 v18, s9
	v_sub_co_u32_e32 v16, vcc, s8, v16
	v_subb_co_u32_e32 v17, vcc, v18, v17, vcc
	s_waitcnt lgkmcnt(0)
	global_store_dword v[16:17], v15, off
                                        ; implicit-def: $vgpr15
.LBB546_291:
	s_andn2_saveexec_b64 s[6:7], s[6:7]
	s_cbranch_execz .LBB546_293
; %bb.292:
	v_lshlrev_b32_e32 v16, 2, v0
	ds_read_b32 v16, v16 offset:5120
	v_lshlrev_b32_e32 v15, 2, v15
	v_readfirstlane_b32 s10, v10
	v_readfirstlane_b32 s11, v11
	s_waitcnt lgkmcnt(0)
	s_nop 3
	global_store_dword v15, v16, s[10:11]
.LBB546_293:
	s_or_b64 exec, exec, s[6:7]
                                        ; implicit-def: $vgpr15
.LBB546_294:
	s_andn2_saveexec_b64 s[4:5], s[4:5]
	s_cbranch_execz .LBB546_296
; %bb.295:
	v_lshlrev_b32_e32 v16, 2, v0
	ds_read_b32 v16, v16 offset:5120
	v_lshlrev_b32_e32 v15, 2, v15
	v_readfirstlane_b32 s4, v12
	v_readfirstlane_b32 s5, v13
	s_waitcnt lgkmcnt(0)
	s_nop 3
	global_store_dword v15, v16, s[4:5]
.LBB546_296:
	s_or_b64 exec, exec, s[2:3]
	v_or_b32_e32 v15, 0x600, v0
	v_cmp_gt_u32_e32 vcc, s16, v15
	s_and_saveexec_b64 s[2:3], vcc
	s_cbranch_execz .LBB546_305
; %bb.297:
	v_cmp_le_u32_e32 vcc, v6, v15
	s_and_saveexec_b64 s[4:5], vcc
	s_xor_b64 s[4:5], exec, s[4:5]
	s_cbranch_execz .LBB546_303
; %bb.298:
	v_cmp_le_u32_e32 vcc, v14, v15
	s_and_saveexec_b64 s[6:7], vcc
	s_xor_b64 s[6:7], exec, s[6:7]
	s_cbranch_execz .LBB546_300
; %bb.299:
	v_add_co_u32_e32 v16, vcc, v1, v15
	v_lshlrev_b32_e32 v15, 2, v0
	ds_read_b32 v15, v15 offset:6144
	v_addc_co_u32_e32 v17, vcc, 0, v8, vcc
	v_lshlrev_b64 v[16:17], 2, v[16:17]
	v_mov_b32_e32 v18, s9
	v_sub_co_u32_e32 v16, vcc, s8, v16
	v_subb_co_u32_e32 v17, vcc, v18, v17, vcc
	s_waitcnt lgkmcnt(0)
	global_store_dword v[16:17], v15, off
                                        ; implicit-def: $vgpr15
.LBB546_300:
	s_andn2_saveexec_b64 s[6:7], s[6:7]
	s_cbranch_execz .LBB546_302
; %bb.301:
	v_lshlrev_b32_e32 v16, 2, v0
	ds_read_b32 v16, v16 offset:6144
	v_lshlrev_b32_e32 v15, 2, v15
	v_readfirstlane_b32 s10, v10
	v_readfirstlane_b32 s11, v11
	s_waitcnt lgkmcnt(0)
	s_nop 3
	global_store_dword v15, v16, s[10:11]
.LBB546_302:
	s_or_b64 exec, exec, s[6:7]
                                        ; implicit-def: $vgpr15
.LBB546_303:
	s_andn2_saveexec_b64 s[4:5], s[4:5]
	s_cbranch_execz .LBB546_305
; %bb.304:
	v_lshlrev_b32_e32 v16, 2, v0
	ds_read_b32 v16, v16 offset:6144
	v_lshlrev_b32_e32 v15, 2, v15
	v_readfirstlane_b32 s4, v12
	v_readfirstlane_b32 s5, v13
	s_waitcnt lgkmcnt(0)
	s_nop 3
	global_store_dword v15, v16, s[4:5]
.LBB546_305:
	;; [unrolled: 55-line block ×7, first 2 shown]
	s_or_b64 exec, exec, s[2:3]
	v_or_b32_e32 v15, 0xc00, v0
	v_cmp_gt_u32_e32 vcc, s16, v15
	s_and_saveexec_b64 s[2:3], vcc
	s_cbranch_execz .LBB546_359
; %bb.351:
	v_cmp_le_u32_e32 vcc, v6, v15
	s_and_saveexec_b64 s[4:5], vcc
	s_xor_b64 s[4:5], exec, s[4:5]
	s_cbranch_execz .LBB546_357
; %bb.352:
	v_cmp_le_u32_e32 vcc, v14, v15
	s_and_saveexec_b64 s[6:7], vcc
	s_xor_b64 s[6:7], exec, s[6:7]
	s_cbranch_execz .LBB546_354
; %bb.353:
	v_add_co_u32_e32 v10, vcc, v1, v15
	v_lshlrev_b32_e32 v0, 2, v0
	v_addc_co_u32_e32 v11, vcc, 0, v8, vcc
	ds_read_b32 v8, v0 offset:12288
	v_lshlrev_b64 v[0:1], 2, v[10:11]
	v_mov_b32_e32 v10, s9
	v_sub_co_u32_e32 v0, vcc, s8, v0
	v_subb_co_u32_e32 v1, vcc, v10, v1, vcc
	s_waitcnt lgkmcnt(0)
	global_store_dword v[0:1], v8, off
                                        ; implicit-def: $vgpr0
                                        ; implicit-def: $vgpr15
                                        ; implicit-def: $vgpr10_vgpr11
.LBB546_354:
	s_andn2_saveexec_b64 s[6:7], s[6:7]
	s_cbranch_execz .LBB546_356
; %bb.355:
	v_lshlrev_b32_e32 v0, 2, v0
	ds_read_b32 v0, v0 offset:12288
	v_lshlrev_b32_e32 v1, 2, v15
	v_readfirstlane_b32 s8, v10
	v_readfirstlane_b32 s9, v11
	s_waitcnt lgkmcnt(0)
	s_nop 3
	global_store_dword v1, v0, s[8:9]
.LBB546_356:
	s_or_b64 exec, exec, s[6:7]
                                        ; implicit-def: $vgpr0
                                        ; implicit-def: $vgpr15
                                        ; implicit-def: $vgpr12_vgpr13
.LBB546_357:
	s_andn2_saveexec_b64 s[4:5], s[4:5]
	s_cbranch_execz .LBB546_359
; %bb.358:
	v_lshlrev_b32_e32 v0, 2, v0
	ds_read_b32 v0, v0 offset:12288
	v_lshlrev_b32_e32 v1, 2, v15
	v_readfirstlane_b32 s4, v12
	v_readfirstlane_b32 s5, v13
	s_waitcnt lgkmcnt(0)
	s_nop 3
	global_store_dword v1, v0, s[4:5]
.LBB546_359:
	s_or_b64 exec, exec, s[2:3]
	s_and_b64 s[0:1], s[0:1], s[30:31]
	s_and_saveexec_b64 s[2:3], s[0:1]
	s_cbranch_execz .LBB546_136
.LBB546_360:
	v_add_co_u32_e32 v0, vcc, v2, v6
	v_addc_co_u32_e32 v1, vcc, 0, v3, vcc
	v_add_co_u32_e32 v2, vcc, v4, v7
	v_addc_co_u32_e32 v3, vcc, 0, v5, vcc
	v_add_co_u32_e32 v2, vcc, v2, v9
	v_mov_b32_e32 v8, 0
	v_addc_co_u32_e32 v3, vcc, 0, v3, vcc
	global_store_dwordx4 v8, v[0:3], s[28:29]
	s_endpgm
	.section	.rodata,"a",@progbits
	.p2align	6, 0x0
	.amdhsa_kernel _ZN7rocprim17ROCPRIM_400000_NS6detail17trampoline_kernelINS0_13select_configILj256ELj13ELNS0_17block_load_methodE3ELS4_3ELS4_3ELNS0_20block_scan_algorithmE0ELj4294967295EEENS1_25partition_config_selectorILNS1_17partition_subalgoE4EjNS0_10empty_typeEbEEZZNS1_14partition_implILS8_4ELb0ES6_15HIP_vector_typeIjLj2EENS0_17counting_iteratorIjlEEPS9_SG_NS0_5tupleIJPjSI_NS0_16reverse_iteratorISI_EEEEENSH_IJSG_SG_SG_EEES9_SI_JZNS1_25segmented_radix_sort_implINS0_14default_configELb0EPKiPiPKlPlN2at6native12_GLOBAL__N_18offset_tEEE10hipError_tPvRmT1_PNSt15iterator_traitsIS12_E10value_typeET2_T3_PNS13_IS18_E10value_typeET4_jRbjT5_S1E_jjP12ihipStream_tbEUljE_ZNSN_ISO_Lb0ESQ_SR_ST_SU_SY_EESZ_S10_S11_S12_S16_S17_S18_S1B_S1C_jS1D_jS1E_S1E_jjS1G_bEUljE0_EEESZ_S10_S11_S18_S1C_S1E_T6_T7_T9_mT8_S1G_bDpT10_ENKUlT_T0_E_clISt17integral_constantIbLb1EES1U_EEDaS1P_S1Q_EUlS1P_E_NS1_11comp_targetILNS1_3genE4ELNS1_11target_archE910ELNS1_3gpuE8ELNS1_3repE0EEENS1_30default_config_static_selectorELNS0_4arch9wavefront6targetE1EEEvS12_
		.amdhsa_group_segment_fixed_size 13340
		.amdhsa_private_segment_fixed_size 0
		.amdhsa_kernarg_size 184
		.amdhsa_user_sgpr_count 6
		.amdhsa_user_sgpr_private_segment_buffer 1
		.amdhsa_user_sgpr_dispatch_ptr 0
		.amdhsa_user_sgpr_queue_ptr 0
		.amdhsa_user_sgpr_kernarg_segment_ptr 1
		.amdhsa_user_sgpr_dispatch_id 0
		.amdhsa_user_sgpr_flat_scratch_init 0
		.amdhsa_user_sgpr_kernarg_preload_length 0
		.amdhsa_user_sgpr_kernarg_preload_offset 0
		.amdhsa_user_sgpr_private_segment_size 0
		.amdhsa_uses_dynamic_stack 0
		.amdhsa_system_sgpr_private_segment_wavefront_offset 0
		.amdhsa_system_sgpr_workgroup_id_x 1
		.amdhsa_system_sgpr_workgroup_id_y 0
		.amdhsa_system_sgpr_workgroup_id_z 0
		.amdhsa_system_sgpr_workgroup_info 0
		.amdhsa_system_vgpr_workitem_id 0
		.amdhsa_next_free_vgpr 107
		.amdhsa_next_free_sgpr 87
		.amdhsa_accum_offset 108
		.amdhsa_reserve_vcc 1
		.amdhsa_reserve_flat_scratch 0
		.amdhsa_float_round_mode_32 0
		.amdhsa_float_round_mode_16_64 0
		.amdhsa_float_denorm_mode_32 3
		.amdhsa_float_denorm_mode_16_64 3
		.amdhsa_dx10_clamp 1
		.amdhsa_ieee_mode 1
		.amdhsa_fp16_overflow 0
		.amdhsa_tg_split 0
		.amdhsa_exception_fp_ieee_invalid_op 0
		.amdhsa_exception_fp_denorm_src 0
		.amdhsa_exception_fp_ieee_div_zero 0
		.amdhsa_exception_fp_ieee_overflow 0
		.amdhsa_exception_fp_ieee_underflow 0
		.amdhsa_exception_fp_ieee_inexact 0
		.amdhsa_exception_int_div_zero 0
	.end_amdhsa_kernel
	.section	.text._ZN7rocprim17ROCPRIM_400000_NS6detail17trampoline_kernelINS0_13select_configILj256ELj13ELNS0_17block_load_methodE3ELS4_3ELS4_3ELNS0_20block_scan_algorithmE0ELj4294967295EEENS1_25partition_config_selectorILNS1_17partition_subalgoE4EjNS0_10empty_typeEbEEZZNS1_14partition_implILS8_4ELb0ES6_15HIP_vector_typeIjLj2EENS0_17counting_iteratorIjlEEPS9_SG_NS0_5tupleIJPjSI_NS0_16reverse_iteratorISI_EEEEENSH_IJSG_SG_SG_EEES9_SI_JZNS1_25segmented_radix_sort_implINS0_14default_configELb0EPKiPiPKlPlN2at6native12_GLOBAL__N_18offset_tEEE10hipError_tPvRmT1_PNSt15iterator_traitsIS12_E10value_typeET2_T3_PNS13_IS18_E10value_typeET4_jRbjT5_S1E_jjP12ihipStream_tbEUljE_ZNSN_ISO_Lb0ESQ_SR_ST_SU_SY_EESZ_S10_S11_S12_S16_S17_S18_S1B_S1C_jS1D_jS1E_S1E_jjS1G_bEUljE0_EEESZ_S10_S11_S18_S1C_S1E_T6_T7_T9_mT8_S1G_bDpT10_ENKUlT_T0_E_clISt17integral_constantIbLb1EES1U_EEDaS1P_S1Q_EUlS1P_E_NS1_11comp_targetILNS1_3genE4ELNS1_11target_archE910ELNS1_3gpuE8ELNS1_3repE0EEENS1_30default_config_static_selectorELNS0_4arch9wavefront6targetE1EEEvS12_,"axG",@progbits,_ZN7rocprim17ROCPRIM_400000_NS6detail17trampoline_kernelINS0_13select_configILj256ELj13ELNS0_17block_load_methodE3ELS4_3ELS4_3ELNS0_20block_scan_algorithmE0ELj4294967295EEENS1_25partition_config_selectorILNS1_17partition_subalgoE4EjNS0_10empty_typeEbEEZZNS1_14partition_implILS8_4ELb0ES6_15HIP_vector_typeIjLj2EENS0_17counting_iteratorIjlEEPS9_SG_NS0_5tupleIJPjSI_NS0_16reverse_iteratorISI_EEEEENSH_IJSG_SG_SG_EEES9_SI_JZNS1_25segmented_radix_sort_implINS0_14default_configELb0EPKiPiPKlPlN2at6native12_GLOBAL__N_18offset_tEEE10hipError_tPvRmT1_PNSt15iterator_traitsIS12_E10value_typeET2_T3_PNS13_IS18_E10value_typeET4_jRbjT5_S1E_jjP12ihipStream_tbEUljE_ZNSN_ISO_Lb0ESQ_SR_ST_SU_SY_EESZ_S10_S11_S12_S16_S17_S18_S1B_S1C_jS1D_jS1E_S1E_jjS1G_bEUljE0_EEESZ_S10_S11_S18_S1C_S1E_T6_T7_T9_mT8_S1G_bDpT10_ENKUlT_T0_E_clISt17integral_constantIbLb1EES1U_EEDaS1P_S1Q_EUlS1P_E_NS1_11comp_targetILNS1_3genE4ELNS1_11target_archE910ELNS1_3gpuE8ELNS1_3repE0EEENS1_30default_config_static_selectorELNS0_4arch9wavefront6targetE1EEEvS12_,comdat
.Lfunc_end546:
	.size	_ZN7rocprim17ROCPRIM_400000_NS6detail17trampoline_kernelINS0_13select_configILj256ELj13ELNS0_17block_load_methodE3ELS4_3ELS4_3ELNS0_20block_scan_algorithmE0ELj4294967295EEENS1_25partition_config_selectorILNS1_17partition_subalgoE4EjNS0_10empty_typeEbEEZZNS1_14partition_implILS8_4ELb0ES6_15HIP_vector_typeIjLj2EENS0_17counting_iteratorIjlEEPS9_SG_NS0_5tupleIJPjSI_NS0_16reverse_iteratorISI_EEEEENSH_IJSG_SG_SG_EEES9_SI_JZNS1_25segmented_radix_sort_implINS0_14default_configELb0EPKiPiPKlPlN2at6native12_GLOBAL__N_18offset_tEEE10hipError_tPvRmT1_PNSt15iterator_traitsIS12_E10value_typeET2_T3_PNS13_IS18_E10value_typeET4_jRbjT5_S1E_jjP12ihipStream_tbEUljE_ZNSN_ISO_Lb0ESQ_SR_ST_SU_SY_EESZ_S10_S11_S12_S16_S17_S18_S1B_S1C_jS1D_jS1E_S1E_jjS1G_bEUljE0_EEESZ_S10_S11_S18_S1C_S1E_T6_T7_T9_mT8_S1G_bDpT10_ENKUlT_T0_E_clISt17integral_constantIbLb1EES1U_EEDaS1P_S1Q_EUlS1P_E_NS1_11comp_targetILNS1_3genE4ELNS1_11target_archE910ELNS1_3gpuE8ELNS1_3repE0EEENS1_30default_config_static_selectorELNS0_4arch9wavefront6targetE1EEEvS12_, .Lfunc_end546-_ZN7rocprim17ROCPRIM_400000_NS6detail17trampoline_kernelINS0_13select_configILj256ELj13ELNS0_17block_load_methodE3ELS4_3ELS4_3ELNS0_20block_scan_algorithmE0ELj4294967295EEENS1_25partition_config_selectorILNS1_17partition_subalgoE4EjNS0_10empty_typeEbEEZZNS1_14partition_implILS8_4ELb0ES6_15HIP_vector_typeIjLj2EENS0_17counting_iteratorIjlEEPS9_SG_NS0_5tupleIJPjSI_NS0_16reverse_iteratorISI_EEEEENSH_IJSG_SG_SG_EEES9_SI_JZNS1_25segmented_radix_sort_implINS0_14default_configELb0EPKiPiPKlPlN2at6native12_GLOBAL__N_18offset_tEEE10hipError_tPvRmT1_PNSt15iterator_traitsIS12_E10value_typeET2_T3_PNS13_IS18_E10value_typeET4_jRbjT5_S1E_jjP12ihipStream_tbEUljE_ZNSN_ISO_Lb0ESQ_SR_ST_SU_SY_EESZ_S10_S11_S12_S16_S17_S18_S1B_S1C_jS1D_jS1E_S1E_jjS1G_bEUljE0_EEESZ_S10_S11_S18_S1C_S1E_T6_T7_T9_mT8_S1G_bDpT10_ENKUlT_T0_E_clISt17integral_constantIbLb1EES1U_EEDaS1P_S1Q_EUlS1P_E_NS1_11comp_targetILNS1_3genE4ELNS1_11target_archE910ELNS1_3gpuE8ELNS1_3repE0EEENS1_30default_config_static_selectorELNS0_4arch9wavefront6targetE1EEEvS12_
                                        ; -- End function
	.section	.AMDGPU.csdata,"",@progbits
; Kernel info:
; codeLenInByte = 13512
; NumSgprs: 91
; NumVgprs: 107
; NumAgprs: 0
; TotalNumVgprs: 107
; ScratchSize: 0
; MemoryBound: 0
; FloatMode: 240
; IeeeMode: 1
; LDSByteSize: 13340 bytes/workgroup (compile time only)
; SGPRBlocks: 11
; VGPRBlocks: 13
; NumSGPRsForWavesPerEU: 91
; NumVGPRsForWavesPerEU: 107
; AccumOffset: 108
; Occupancy: 4
; WaveLimiterHint : 1
; COMPUTE_PGM_RSRC2:SCRATCH_EN: 0
; COMPUTE_PGM_RSRC2:USER_SGPR: 6
; COMPUTE_PGM_RSRC2:TRAP_HANDLER: 0
; COMPUTE_PGM_RSRC2:TGID_X_EN: 1
; COMPUTE_PGM_RSRC2:TGID_Y_EN: 0
; COMPUTE_PGM_RSRC2:TGID_Z_EN: 0
; COMPUTE_PGM_RSRC2:TIDIG_COMP_CNT: 0
; COMPUTE_PGM_RSRC3_GFX90A:ACCUM_OFFSET: 26
; COMPUTE_PGM_RSRC3_GFX90A:TG_SPLIT: 0
	.section	.text._ZN7rocprim17ROCPRIM_400000_NS6detail17trampoline_kernelINS0_13select_configILj256ELj13ELNS0_17block_load_methodE3ELS4_3ELS4_3ELNS0_20block_scan_algorithmE0ELj4294967295EEENS1_25partition_config_selectorILNS1_17partition_subalgoE4EjNS0_10empty_typeEbEEZZNS1_14partition_implILS8_4ELb0ES6_15HIP_vector_typeIjLj2EENS0_17counting_iteratorIjlEEPS9_SG_NS0_5tupleIJPjSI_NS0_16reverse_iteratorISI_EEEEENSH_IJSG_SG_SG_EEES9_SI_JZNS1_25segmented_radix_sort_implINS0_14default_configELb0EPKiPiPKlPlN2at6native12_GLOBAL__N_18offset_tEEE10hipError_tPvRmT1_PNSt15iterator_traitsIS12_E10value_typeET2_T3_PNS13_IS18_E10value_typeET4_jRbjT5_S1E_jjP12ihipStream_tbEUljE_ZNSN_ISO_Lb0ESQ_SR_ST_SU_SY_EESZ_S10_S11_S12_S16_S17_S18_S1B_S1C_jS1D_jS1E_S1E_jjS1G_bEUljE0_EEESZ_S10_S11_S18_S1C_S1E_T6_T7_T9_mT8_S1G_bDpT10_ENKUlT_T0_E_clISt17integral_constantIbLb1EES1U_EEDaS1P_S1Q_EUlS1P_E_NS1_11comp_targetILNS1_3genE3ELNS1_11target_archE908ELNS1_3gpuE7ELNS1_3repE0EEENS1_30default_config_static_selectorELNS0_4arch9wavefront6targetE1EEEvS12_,"axG",@progbits,_ZN7rocprim17ROCPRIM_400000_NS6detail17trampoline_kernelINS0_13select_configILj256ELj13ELNS0_17block_load_methodE3ELS4_3ELS4_3ELNS0_20block_scan_algorithmE0ELj4294967295EEENS1_25partition_config_selectorILNS1_17partition_subalgoE4EjNS0_10empty_typeEbEEZZNS1_14partition_implILS8_4ELb0ES6_15HIP_vector_typeIjLj2EENS0_17counting_iteratorIjlEEPS9_SG_NS0_5tupleIJPjSI_NS0_16reverse_iteratorISI_EEEEENSH_IJSG_SG_SG_EEES9_SI_JZNS1_25segmented_radix_sort_implINS0_14default_configELb0EPKiPiPKlPlN2at6native12_GLOBAL__N_18offset_tEEE10hipError_tPvRmT1_PNSt15iterator_traitsIS12_E10value_typeET2_T3_PNS13_IS18_E10value_typeET4_jRbjT5_S1E_jjP12ihipStream_tbEUljE_ZNSN_ISO_Lb0ESQ_SR_ST_SU_SY_EESZ_S10_S11_S12_S16_S17_S18_S1B_S1C_jS1D_jS1E_S1E_jjS1G_bEUljE0_EEESZ_S10_S11_S18_S1C_S1E_T6_T7_T9_mT8_S1G_bDpT10_ENKUlT_T0_E_clISt17integral_constantIbLb1EES1U_EEDaS1P_S1Q_EUlS1P_E_NS1_11comp_targetILNS1_3genE3ELNS1_11target_archE908ELNS1_3gpuE7ELNS1_3repE0EEENS1_30default_config_static_selectorELNS0_4arch9wavefront6targetE1EEEvS12_,comdat
	.globl	_ZN7rocprim17ROCPRIM_400000_NS6detail17trampoline_kernelINS0_13select_configILj256ELj13ELNS0_17block_load_methodE3ELS4_3ELS4_3ELNS0_20block_scan_algorithmE0ELj4294967295EEENS1_25partition_config_selectorILNS1_17partition_subalgoE4EjNS0_10empty_typeEbEEZZNS1_14partition_implILS8_4ELb0ES6_15HIP_vector_typeIjLj2EENS0_17counting_iteratorIjlEEPS9_SG_NS0_5tupleIJPjSI_NS0_16reverse_iteratorISI_EEEEENSH_IJSG_SG_SG_EEES9_SI_JZNS1_25segmented_radix_sort_implINS0_14default_configELb0EPKiPiPKlPlN2at6native12_GLOBAL__N_18offset_tEEE10hipError_tPvRmT1_PNSt15iterator_traitsIS12_E10value_typeET2_T3_PNS13_IS18_E10value_typeET4_jRbjT5_S1E_jjP12ihipStream_tbEUljE_ZNSN_ISO_Lb0ESQ_SR_ST_SU_SY_EESZ_S10_S11_S12_S16_S17_S18_S1B_S1C_jS1D_jS1E_S1E_jjS1G_bEUljE0_EEESZ_S10_S11_S18_S1C_S1E_T6_T7_T9_mT8_S1G_bDpT10_ENKUlT_T0_E_clISt17integral_constantIbLb1EES1U_EEDaS1P_S1Q_EUlS1P_E_NS1_11comp_targetILNS1_3genE3ELNS1_11target_archE908ELNS1_3gpuE7ELNS1_3repE0EEENS1_30default_config_static_selectorELNS0_4arch9wavefront6targetE1EEEvS12_ ; -- Begin function _ZN7rocprim17ROCPRIM_400000_NS6detail17trampoline_kernelINS0_13select_configILj256ELj13ELNS0_17block_load_methodE3ELS4_3ELS4_3ELNS0_20block_scan_algorithmE0ELj4294967295EEENS1_25partition_config_selectorILNS1_17partition_subalgoE4EjNS0_10empty_typeEbEEZZNS1_14partition_implILS8_4ELb0ES6_15HIP_vector_typeIjLj2EENS0_17counting_iteratorIjlEEPS9_SG_NS0_5tupleIJPjSI_NS0_16reverse_iteratorISI_EEEEENSH_IJSG_SG_SG_EEES9_SI_JZNS1_25segmented_radix_sort_implINS0_14default_configELb0EPKiPiPKlPlN2at6native12_GLOBAL__N_18offset_tEEE10hipError_tPvRmT1_PNSt15iterator_traitsIS12_E10value_typeET2_T3_PNS13_IS18_E10value_typeET4_jRbjT5_S1E_jjP12ihipStream_tbEUljE_ZNSN_ISO_Lb0ESQ_SR_ST_SU_SY_EESZ_S10_S11_S12_S16_S17_S18_S1B_S1C_jS1D_jS1E_S1E_jjS1G_bEUljE0_EEESZ_S10_S11_S18_S1C_S1E_T6_T7_T9_mT8_S1G_bDpT10_ENKUlT_T0_E_clISt17integral_constantIbLb1EES1U_EEDaS1P_S1Q_EUlS1P_E_NS1_11comp_targetILNS1_3genE3ELNS1_11target_archE908ELNS1_3gpuE7ELNS1_3repE0EEENS1_30default_config_static_selectorELNS0_4arch9wavefront6targetE1EEEvS12_
	.p2align	8
	.type	_ZN7rocprim17ROCPRIM_400000_NS6detail17trampoline_kernelINS0_13select_configILj256ELj13ELNS0_17block_load_methodE3ELS4_3ELS4_3ELNS0_20block_scan_algorithmE0ELj4294967295EEENS1_25partition_config_selectorILNS1_17partition_subalgoE4EjNS0_10empty_typeEbEEZZNS1_14partition_implILS8_4ELb0ES6_15HIP_vector_typeIjLj2EENS0_17counting_iteratorIjlEEPS9_SG_NS0_5tupleIJPjSI_NS0_16reverse_iteratorISI_EEEEENSH_IJSG_SG_SG_EEES9_SI_JZNS1_25segmented_radix_sort_implINS0_14default_configELb0EPKiPiPKlPlN2at6native12_GLOBAL__N_18offset_tEEE10hipError_tPvRmT1_PNSt15iterator_traitsIS12_E10value_typeET2_T3_PNS13_IS18_E10value_typeET4_jRbjT5_S1E_jjP12ihipStream_tbEUljE_ZNSN_ISO_Lb0ESQ_SR_ST_SU_SY_EESZ_S10_S11_S12_S16_S17_S18_S1B_S1C_jS1D_jS1E_S1E_jjS1G_bEUljE0_EEESZ_S10_S11_S18_S1C_S1E_T6_T7_T9_mT8_S1G_bDpT10_ENKUlT_T0_E_clISt17integral_constantIbLb1EES1U_EEDaS1P_S1Q_EUlS1P_E_NS1_11comp_targetILNS1_3genE3ELNS1_11target_archE908ELNS1_3gpuE7ELNS1_3repE0EEENS1_30default_config_static_selectorELNS0_4arch9wavefront6targetE1EEEvS12_,@function
_ZN7rocprim17ROCPRIM_400000_NS6detail17trampoline_kernelINS0_13select_configILj256ELj13ELNS0_17block_load_methodE3ELS4_3ELS4_3ELNS0_20block_scan_algorithmE0ELj4294967295EEENS1_25partition_config_selectorILNS1_17partition_subalgoE4EjNS0_10empty_typeEbEEZZNS1_14partition_implILS8_4ELb0ES6_15HIP_vector_typeIjLj2EENS0_17counting_iteratorIjlEEPS9_SG_NS0_5tupleIJPjSI_NS0_16reverse_iteratorISI_EEEEENSH_IJSG_SG_SG_EEES9_SI_JZNS1_25segmented_radix_sort_implINS0_14default_configELb0EPKiPiPKlPlN2at6native12_GLOBAL__N_18offset_tEEE10hipError_tPvRmT1_PNSt15iterator_traitsIS12_E10value_typeET2_T3_PNS13_IS18_E10value_typeET4_jRbjT5_S1E_jjP12ihipStream_tbEUljE_ZNSN_ISO_Lb0ESQ_SR_ST_SU_SY_EESZ_S10_S11_S12_S16_S17_S18_S1B_S1C_jS1D_jS1E_S1E_jjS1G_bEUljE0_EEESZ_S10_S11_S18_S1C_S1E_T6_T7_T9_mT8_S1G_bDpT10_ENKUlT_T0_E_clISt17integral_constantIbLb1EES1U_EEDaS1P_S1Q_EUlS1P_E_NS1_11comp_targetILNS1_3genE3ELNS1_11target_archE908ELNS1_3gpuE7ELNS1_3repE0EEENS1_30default_config_static_selectorELNS0_4arch9wavefront6targetE1EEEvS12_: ; @_ZN7rocprim17ROCPRIM_400000_NS6detail17trampoline_kernelINS0_13select_configILj256ELj13ELNS0_17block_load_methodE3ELS4_3ELS4_3ELNS0_20block_scan_algorithmE0ELj4294967295EEENS1_25partition_config_selectorILNS1_17partition_subalgoE4EjNS0_10empty_typeEbEEZZNS1_14partition_implILS8_4ELb0ES6_15HIP_vector_typeIjLj2EENS0_17counting_iteratorIjlEEPS9_SG_NS0_5tupleIJPjSI_NS0_16reverse_iteratorISI_EEEEENSH_IJSG_SG_SG_EEES9_SI_JZNS1_25segmented_radix_sort_implINS0_14default_configELb0EPKiPiPKlPlN2at6native12_GLOBAL__N_18offset_tEEE10hipError_tPvRmT1_PNSt15iterator_traitsIS12_E10value_typeET2_T3_PNS13_IS18_E10value_typeET4_jRbjT5_S1E_jjP12ihipStream_tbEUljE_ZNSN_ISO_Lb0ESQ_SR_ST_SU_SY_EESZ_S10_S11_S12_S16_S17_S18_S1B_S1C_jS1D_jS1E_S1E_jjS1G_bEUljE0_EEESZ_S10_S11_S18_S1C_S1E_T6_T7_T9_mT8_S1G_bDpT10_ENKUlT_T0_E_clISt17integral_constantIbLb1EES1U_EEDaS1P_S1Q_EUlS1P_E_NS1_11comp_targetILNS1_3genE3ELNS1_11target_archE908ELNS1_3gpuE7ELNS1_3repE0EEENS1_30default_config_static_selectorELNS0_4arch9wavefront6targetE1EEEvS12_
; %bb.0:
	.section	.rodata,"a",@progbits
	.p2align	6, 0x0
	.amdhsa_kernel _ZN7rocprim17ROCPRIM_400000_NS6detail17trampoline_kernelINS0_13select_configILj256ELj13ELNS0_17block_load_methodE3ELS4_3ELS4_3ELNS0_20block_scan_algorithmE0ELj4294967295EEENS1_25partition_config_selectorILNS1_17partition_subalgoE4EjNS0_10empty_typeEbEEZZNS1_14partition_implILS8_4ELb0ES6_15HIP_vector_typeIjLj2EENS0_17counting_iteratorIjlEEPS9_SG_NS0_5tupleIJPjSI_NS0_16reverse_iteratorISI_EEEEENSH_IJSG_SG_SG_EEES9_SI_JZNS1_25segmented_radix_sort_implINS0_14default_configELb0EPKiPiPKlPlN2at6native12_GLOBAL__N_18offset_tEEE10hipError_tPvRmT1_PNSt15iterator_traitsIS12_E10value_typeET2_T3_PNS13_IS18_E10value_typeET4_jRbjT5_S1E_jjP12ihipStream_tbEUljE_ZNSN_ISO_Lb0ESQ_SR_ST_SU_SY_EESZ_S10_S11_S12_S16_S17_S18_S1B_S1C_jS1D_jS1E_S1E_jjS1G_bEUljE0_EEESZ_S10_S11_S18_S1C_S1E_T6_T7_T9_mT8_S1G_bDpT10_ENKUlT_T0_E_clISt17integral_constantIbLb1EES1U_EEDaS1P_S1Q_EUlS1P_E_NS1_11comp_targetILNS1_3genE3ELNS1_11target_archE908ELNS1_3gpuE7ELNS1_3repE0EEENS1_30default_config_static_selectorELNS0_4arch9wavefront6targetE1EEEvS12_
		.amdhsa_group_segment_fixed_size 0
		.amdhsa_private_segment_fixed_size 0
		.amdhsa_kernarg_size 184
		.amdhsa_user_sgpr_count 6
		.amdhsa_user_sgpr_private_segment_buffer 1
		.amdhsa_user_sgpr_dispatch_ptr 0
		.amdhsa_user_sgpr_queue_ptr 0
		.amdhsa_user_sgpr_kernarg_segment_ptr 1
		.amdhsa_user_sgpr_dispatch_id 0
		.amdhsa_user_sgpr_flat_scratch_init 0
		.amdhsa_user_sgpr_kernarg_preload_length 0
		.amdhsa_user_sgpr_kernarg_preload_offset 0
		.amdhsa_user_sgpr_private_segment_size 0
		.amdhsa_uses_dynamic_stack 0
		.amdhsa_system_sgpr_private_segment_wavefront_offset 0
		.amdhsa_system_sgpr_workgroup_id_x 1
		.amdhsa_system_sgpr_workgroup_id_y 0
		.amdhsa_system_sgpr_workgroup_id_z 0
		.amdhsa_system_sgpr_workgroup_info 0
		.amdhsa_system_vgpr_workitem_id 0
		.amdhsa_next_free_vgpr 1
		.amdhsa_next_free_sgpr 0
		.amdhsa_accum_offset 4
		.amdhsa_reserve_vcc 0
		.amdhsa_reserve_flat_scratch 0
		.amdhsa_float_round_mode_32 0
		.amdhsa_float_round_mode_16_64 0
		.amdhsa_float_denorm_mode_32 3
		.amdhsa_float_denorm_mode_16_64 3
		.amdhsa_dx10_clamp 1
		.amdhsa_ieee_mode 1
		.amdhsa_fp16_overflow 0
		.amdhsa_tg_split 0
		.amdhsa_exception_fp_ieee_invalid_op 0
		.amdhsa_exception_fp_denorm_src 0
		.amdhsa_exception_fp_ieee_div_zero 0
		.amdhsa_exception_fp_ieee_overflow 0
		.amdhsa_exception_fp_ieee_underflow 0
		.amdhsa_exception_fp_ieee_inexact 0
		.amdhsa_exception_int_div_zero 0
	.end_amdhsa_kernel
	.section	.text._ZN7rocprim17ROCPRIM_400000_NS6detail17trampoline_kernelINS0_13select_configILj256ELj13ELNS0_17block_load_methodE3ELS4_3ELS4_3ELNS0_20block_scan_algorithmE0ELj4294967295EEENS1_25partition_config_selectorILNS1_17partition_subalgoE4EjNS0_10empty_typeEbEEZZNS1_14partition_implILS8_4ELb0ES6_15HIP_vector_typeIjLj2EENS0_17counting_iteratorIjlEEPS9_SG_NS0_5tupleIJPjSI_NS0_16reverse_iteratorISI_EEEEENSH_IJSG_SG_SG_EEES9_SI_JZNS1_25segmented_radix_sort_implINS0_14default_configELb0EPKiPiPKlPlN2at6native12_GLOBAL__N_18offset_tEEE10hipError_tPvRmT1_PNSt15iterator_traitsIS12_E10value_typeET2_T3_PNS13_IS18_E10value_typeET4_jRbjT5_S1E_jjP12ihipStream_tbEUljE_ZNSN_ISO_Lb0ESQ_SR_ST_SU_SY_EESZ_S10_S11_S12_S16_S17_S18_S1B_S1C_jS1D_jS1E_S1E_jjS1G_bEUljE0_EEESZ_S10_S11_S18_S1C_S1E_T6_T7_T9_mT8_S1G_bDpT10_ENKUlT_T0_E_clISt17integral_constantIbLb1EES1U_EEDaS1P_S1Q_EUlS1P_E_NS1_11comp_targetILNS1_3genE3ELNS1_11target_archE908ELNS1_3gpuE7ELNS1_3repE0EEENS1_30default_config_static_selectorELNS0_4arch9wavefront6targetE1EEEvS12_,"axG",@progbits,_ZN7rocprim17ROCPRIM_400000_NS6detail17trampoline_kernelINS0_13select_configILj256ELj13ELNS0_17block_load_methodE3ELS4_3ELS4_3ELNS0_20block_scan_algorithmE0ELj4294967295EEENS1_25partition_config_selectorILNS1_17partition_subalgoE4EjNS0_10empty_typeEbEEZZNS1_14partition_implILS8_4ELb0ES6_15HIP_vector_typeIjLj2EENS0_17counting_iteratorIjlEEPS9_SG_NS0_5tupleIJPjSI_NS0_16reverse_iteratorISI_EEEEENSH_IJSG_SG_SG_EEES9_SI_JZNS1_25segmented_radix_sort_implINS0_14default_configELb0EPKiPiPKlPlN2at6native12_GLOBAL__N_18offset_tEEE10hipError_tPvRmT1_PNSt15iterator_traitsIS12_E10value_typeET2_T3_PNS13_IS18_E10value_typeET4_jRbjT5_S1E_jjP12ihipStream_tbEUljE_ZNSN_ISO_Lb0ESQ_SR_ST_SU_SY_EESZ_S10_S11_S12_S16_S17_S18_S1B_S1C_jS1D_jS1E_S1E_jjS1G_bEUljE0_EEESZ_S10_S11_S18_S1C_S1E_T6_T7_T9_mT8_S1G_bDpT10_ENKUlT_T0_E_clISt17integral_constantIbLb1EES1U_EEDaS1P_S1Q_EUlS1P_E_NS1_11comp_targetILNS1_3genE3ELNS1_11target_archE908ELNS1_3gpuE7ELNS1_3repE0EEENS1_30default_config_static_selectorELNS0_4arch9wavefront6targetE1EEEvS12_,comdat
.Lfunc_end547:
	.size	_ZN7rocprim17ROCPRIM_400000_NS6detail17trampoline_kernelINS0_13select_configILj256ELj13ELNS0_17block_load_methodE3ELS4_3ELS4_3ELNS0_20block_scan_algorithmE0ELj4294967295EEENS1_25partition_config_selectorILNS1_17partition_subalgoE4EjNS0_10empty_typeEbEEZZNS1_14partition_implILS8_4ELb0ES6_15HIP_vector_typeIjLj2EENS0_17counting_iteratorIjlEEPS9_SG_NS0_5tupleIJPjSI_NS0_16reverse_iteratorISI_EEEEENSH_IJSG_SG_SG_EEES9_SI_JZNS1_25segmented_radix_sort_implINS0_14default_configELb0EPKiPiPKlPlN2at6native12_GLOBAL__N_18offset_tEEE10hipError_tPvRmT1_PNSt15iterator_traitsIS12_E10value_typeET2_T3_PNS13_IS18_E10value_typeET4_jRbjT5_S1E_jjP12ihipStream_tbEUljE_ZNSN_ISO_Lb0ESQ_SR_ST_SU_SY_EESZ_S10_S11_S12_S16_S17_S18_S1B_S1C_jS1D_jS1E_S1E_jjS1G_bEUljE0_EEESZ_S10_S11_S18_S1C_S1E_T6_T7_T9_mT8_S1G_bDpT10_ENKUlT_T0_E_clISt17integral_constantIbLb1EES1U_EEDaS1P_S1Q_EUlS1P_E_NS1_11comp_targetILNS1_3genE3ELNS1_11target_archE908ELNS1_3gpuE7ELNS1_3repE0EEENS1_30default_config_static_selectorELNS0_4arch9wavefront6targetE1EEEvS12_, .Lfunc_end547-_ZN7rocprim17ROCPRIM_400000_NS6detail17trampoline_kernelINS0_13select_configILj256ELj13ELNS0_17block_load_methodE3ELS4_3ELS4_3ELNS0_20block_scan_algorithmE0ELj4294967295EEENS1_25partition_config_selectorILNS1_17partition_subalgoE4EjNS0_10empty_typeEbEEZZNS1_14partition_implILS8_4ELb0ES6_15HIP_vector_typeIjLj2EENS0_17counting_iteratorIjlEEPS9_SG_NS0_5tupleIJPjSI_NS0_16reverse_iteratorISI_EEEEENSH_IJSG_SG_SG_EEES9_SI_JZNS1_25segmented_radix_sort_implINS0_14default_configELb0EPKiPiPKlPlN2at6native12_GLOBAL__N_18offset_tEEE10hipError_tPvRmT1_PNSt15iterator_traitsIS12_E10value_typeET2_T3_PNS13_IS18_E10value_typeET4_jRbjT5_S1E_jjP12ihipStream_tbEUljE_ZNSN_ISO_Lb0ESQ_SR_ST_SU_SY_EESZ_S10_S11_S12_S16_S17_S18_S1B_S1C_jS1D_jS1E_S1E_jjS1G_bEUljE0_EEESZ_S10_S11_S18_S1C_S1E_T6_T7_T9_mT8_S1G_bDpT10_ENKUlT_T0_E_clISt17integral_constantIbLb1EES1U_EEDaS1P_S1Q_EUlS1P_E_NS1_11comp_targetILNS1_3genE3ELNS1_11target_archE908ELNS1_3gpuE7ELNS1_3repE0EEENS1_30default_config_static_selectorELNS0_4arch9wavefront6targetE1EEEvS12_
                                        ; -- End function
	.section	.AMDGPU.csdata,"",@progbits
; Kernel info:
; codeLenInByte = 0
; NumSgprs: 4
; NumVgprs: 0
; NumAgprs: 0
; TotalNumVgprs: 0
; ScratchSize: 0
; MemoryBound: 0
; FloatMode: 240
; IeeeMode: 1
; LDSByteSize: 0 bytes/workgroup (compile time only)
; SGPRBlocks: 0
; VGPRBlocks: 0
; NumSGPRsForWavesPerEU: 4
; NumVGPRsForWavesPerEU: 1
; AccumOffset: 4
; Occupancy: 8
; WaveLimiterHint : 0
; COMPUTE_PGM_RSRC2:SCRATCH_EN: 0
; COMPUTE_PGM_RSRC2:USER_SGPR: 6
; COMPUTE_PGM_RSRC2:TRAP_HANDLER: 0
; COMPUTE_PGM_RSRC2:TGID_X_EN: 1
; COMPUTE_PGM_RSRC2:TGID_Y_EN: 0
; COMPUTE_PGM_RSRC2:TGID_Z_EN: 0
; COMPUTE_PGM_RSRC2:TIDIG_COMP_CNT: 0
; COMPUTE_PGM_RSRC3_GFX90A:ACCUM_OFFSET: 0
; COMPUTE_PGM_RSRC3_GFX90A:TG_SPLIT: 0
	.section	.text._ZN7rocprim17ROCPRIM_400000_NS6detail17trampoline_kernelINS0_13select_configILj256ELj13ELNS0_17block_load_methodE3ELS4_3ELS4_3ELNS0_20block_scan_algorithmE0ELj4294967295EEENS1_25partition_config_selectorILNS1_17partition_subalgoE4EjNS0_10empty_typeEbEEZZNS1_14partition_implILS8_4ELb0ES6_15HIP_vector_typeIjLj2EENS0_17counting_iteratorIjlEEPS9_SG_NS0_5tupleIJPjSI_NS0_16reverse_iteratorISI_EEEEENSH_IJSG_SG_SG_EEES9_SI_JZNS1_25segmented_radix_sort_implINS0_14default_configELb0EPKiPiPKlPlN2at6native12_GLOBAL__N_18offset_tEEE10hipError_tPvRmT1_PNSt15iterator_traitsIS12_E10value_typeET2_T3_PNS13_IS18_E10value_typeET4_jRbjT5_S1E_jjP12ihipStream_tbEUljE_ZNSN_ISO_Lb0ESQ_SR_ST_SU_SY_EESZ_S10_S11_S12_S16_S17_S18_S1B_S1C_jS1D_jS1E_S1E_jjS1G_bEUljE0_EEESZ_S10_S11_S18_S1C_S1E_T6_T7_T9_mT8_S1G_bDpT10_ENKUlT_T0_E_clISt17integral_constantIbLb1EES1U_EEDaS1P_S1Q_EUlS1P_E_NS1_11comp_targetILNS1_3genE2ELNS1_11target_archE906ELNS1_3gpuE6ELNS1_3repE0EEENS1_30default_config_static_selectorELNS0_4arch9wavefront6targetE1EEEvS12_,"axG",@progbits,_ZN7rocprim17ROCPRIM_400000_NS6detail17trampoline_kernelINS0_13select_configILj256ELj13ELNS0_17block_load_methodE3ELS4_3ELS4_3ELNS0_20block_scan_algorithmE0ELj4294967295EEENS1_25partition_config_selectorILNS1_17partition_subalgoE4EjNS0_10empty_typeEbEEZZNS1_14partition_implILS8_4ELb0ES6_15HIP_vector_typeIjLj2EENS0_17counting_iteratorIjlEEPS9_SG_NS0_5tupleIJPjSI_NS0_16reverse_iteratorISI_EEEEENSH_IJSG_SG_SG_EEES9_SI_JZNS1_25segmented_radix_sort_implINS0_14default_configELb0EPKiPiPKlPlN2at6native12_GLOBAL__N_18offset_tEEE10hipError_tPvRmT1_PNSt15iterator_traitsIS12_E10value_typeET2_T3_PNS13_IS18_E10value_typeET4_jRbjT5_S1E_jjP12ihipStream_tbEUljE_ZNSN_ISO_Lb0ESQ_SR_ST_SU_SY_EESZ_S10_S11_S12_S16_S17_S18_S1B_S1C_jS1D_jS1E_S1E_jjS1G_bEUljE0_EEESZ_S10_S11_S18_S1C_S1E_T6_T7_T9_mT8_S1G_bDpT10_ENKUlT_T0_E_clISt17integral_constantIbLb1EES1U_EEDaS1P_S1Q_EUlS1P_E_NS1_11comp_targetILNS1_3genE2ELNS1_11target_archE906ELNS1_3gpuE6ELNS1_3repE0EEENS1_30default_config_static_selectorELNS0_4arch9wavefront6targetE1EEEvS12_,comdat
	.globl	_ZN7rocprim17ROCPRIM_400000_NS6detail17trampoline_kernelINS0_13select_configILj256ELj13ELNS0_17block_load_methodE3ELS4_3ELS4_3ELNS0_20block_scan_algorithmE0ELj4294967295EEENS1_25partition_config_selectorILNS1_17partition_subalgoE4EjNS0_10empty_typeEbEEZZNS1_14partition_implILS8_4ELb0ES6_15HIP_vector_typeIjLj2EENS0_17counting_iteratorIjlEEPS9_SG_NS0_5tupleIJPjSI_NS0_16reverse_iteratorISI_EEEEENSH_IJSG_SG_SG_EEES9_SI_JZNS1_25segmented_radix_sort_implINS0_14default_configELb0EPKiPiPKlPlN2at6native12_GLOBAL__N_18offset_tEEE10hipError_tPvRmT1_PNSt15iterator_traitsIS12_E10value_typeET2_T3_PNS13_IS18_E10value_typeET4_jRbjT5_S1E_jjP12ihipStream_tbEUljE_ZNSN_ISO_Lb0ESQ_SR_ST_SU_SY_EESZ_S10_S11_S12_S16_S17_S18_S1B_S1C_jS1D_jS1E_S1E_jjS1G_bEUljE0_EEESZ_S10_S11_S18_S1C_S1E_T6_T7_T9_mT8_S1G_bDpT10_ENKUlT_T0_E_clISt17integral_constantIbLb1EES1U_EEDaS1P_S1Q_EUlS1P_E_NS1_11comp_targetILNS1_3genE2ELNS1_11target_archE906ELNS1_3gpuE6ELNS1_3repE0EEENS1_30default_config_static_selectorELNS0_4arch9wavefront6targetE1EEEvS12_ ; -- Begin function _ZN7rocprim17ROCPRIM_400000_NS6detail17trampoline_kernelINS0_13select_configILj256ELj13ELNS0_17block_load_methodE3ELS4_3ELS4_3ELNS0_20block_scan_algorithmE0ELj4294967295EEENS1_25partition_config_selectorILNS1_17partition_subalgoE4EjNS0_10empty_typeEbEEZZNS1_14partition_implILS8_4ELb0ES6_15HIP_vector_typeIjLj2EENS0_17counting_iteratorIjlEEPS9_SG_NS0_5tupleIJPjSI_NS0_16reverse_iteratorISI_EEEEENSH_IJSG_SG_SG_EEES9_SI_JZNS1_25segmented_radix_sort_implINS0_14default_configELb0EPKiPiPKlPlN2at6native12_GLOBAL__N_18offset_tEEE10hipError_tPvRmT1_PNSt15iterator_traitsIS12_E10value_typeET2_T3_PNS13_IS18_E10value_typeET4_jRbjT5_S1E_jjP12ihipStream_tbEUljE_ZNSN_ISO_Lb0ESQ_SR_ST_SU_SY_EESZ_S10_S11_S12_S16_S17_S18_S1B_S1C_jS1D_jS1E_S1E_jjS1G_bEUljE0_EEESZ_S10_S11_S18_S1C_S1E_T6_T7_T9_mT8_S1G_bDpT10_ENKUlT_T0_E_clISt17integral_constantIbLb1EES1U_EEDaS1P_S1Q_EUlS1P_E_NS1_11comp_targetILNS1_3genE2ELNS1_11target_archE906ELNS1_3gpuE6ELNS1_3repE0EEENS1_30default_config_static_selectorELNS0_4arch9wavefront6targetE1EEEvS12_
	.p2align	8
	.type	_ZN7rocprim17ROCPRIM_400000_NS6detail17trampoline_kernelINS0_13select_configILj256ELj13ELNS0_17block_load_methodE3ELS4_3ELS4_3ELNS0_20block_scan_algorithmE0ELj4294967295EEENS1_25partition_config_selectorILNS1_17partition_subalgoE4EjNS0_10empty_typeEbEEZZNS1_14partition_implILS8_4ELb0ES6_15HIP_vector_typeIjLj2EENS0_17counting_iteratorIjlEEPS9_SG_NS0_5tupleIJPjSI_NS0_16reverse_iteratorISI_EEEEENSH_IJSG_SG_SG_EEES9_SI_JZNS1_25segmented_radix_sort_implINS0_14default_configELb0EPKiPiPKlPlN2at6native12_GLOBAL__N_18offset_tEEE10hipError_tPvRmT1_PNSt15iterator_traitsIS12_E10value_typeET2_T3_PNS13_IS18_E10value_typeET4_jRbjT5_S1E_jjP12ihipStream_tbEUljE_ZNSN_ISO_Lb0ESQ_SR_ST_SU_SY_EESZ_S10_S11_S12_S16_S17_S18_S1B_S1C_jS1D_jS1E_S1E_jjS1G_bEUljE0_EEESZ_S10_S11_S18_S1C_S1E_T6_T7_T9_mT8_S1G_bDpT10_ENKUlT_T0_E_clISt17integral_constantIbLb1EES1U_EEDaS1P_S1Q_EUlS1P_E_NS1_11comp_targetILNS1_3genE2ELNS1_11target_archE906ELNS1_3gpuE6ELNS1_3repE0EEENS1_30default_config_static_selectorELNS0_4arch9wavefront6targetE1EEEvS12_,@function
_ZN7rocprim17ROCPRIM_400000_NS6detail17trampoline_kernelINS0_13select_configILj256ELj13ELNS0_17block_load_methodE3ELS4_3ELS4_3ELNS0_20block_scan_algorithmE0ELj4294967295EEENS1_25partition_config_selectorILNS1_17partition_subalgoE4EjNS0_10empty_typeEbEEZZNS1_14partition_implILS8_4ELb0ES6_15HIP_vector_typeIjLj2EENS0_17counting_iteratorIjlEEPS9_SG_NS0_5tupleIJPjSI_NS0_16reverse_iteratorISI_EEEEENSH_IJSG_SG_SG_EEES9_SI_JZNS1_25segmented_radix_sort_implINS0_14default_configELb0EPKiPiPKlPlN2at6native12_GLOBAL__N_18offset_tEEE10hipError_tPvRmT1_PNSt15iterator_traitsIS12_E10value_typeET2_T3_PNS13_IS18_E10value_typeET4_jRbjT5_S1E_jjP12ihipStream_tbEUljE_ZNSN_ISO_Lb0ESQ_SR_ST_SU_SY_EESZ_S10_S11_S12_S16_S17_S18_S1B_S1C_jS1D_jS1E_S1E_jjS1G_bEUljE0_EEESZ_S10_S11_S18_S1C_S1E_T6_T7_T9_mT8_S1G_bDpT10_ENKUlT_T0_E_clISt17integral_constantIbLb1EES1U_EEDaS1P_S1Q_EUlS1P_E_NS1_11comp_targetILNS1_3genE2ELNS1_11target_archE906ELNS1_3gpuE6ELNS1_3repE0EEENS1_30default_config_static_selectorELNS0_4arch9wavefront6targetE1EEEvS12_: ; @_ZN7rocprim17ROCPRIM_400000_NS6detail17trampoline_kernelINS0_13select_configILj256ELj13ELNS0_17block_load_methodE3ELS4_3ELS4_3ELNS0_20block_scan_algorithmE0ELj4294967295EEENS1_25partition_config_selectorILNS1_17partition_subalgoE4EjNS0_10empty_typeEbEEZZNS1_14partition_implILS8_4ELb0ES6_15HIP_vector_typeIjLj2EENS0_17counting_iteratorIjlEEPS9_SG_NS0_5tupleIJPjSI_NS0_16reverse_iteratorISI_EEEEENSH_IJSG_SG_SG_EEES9_SI_JZNS1_25segmented_radix_sort_implINS0_14default_configELb0EPKiPiPKlPlN2at6native12_GLOBAL__N_18offset_tEEE10hipError_tPvRmT1_PNSt15iterator_traitsIS12_E10value_typeET2_T3_PNS13_IS18_E10value_typeET4_jRbjT5_S1E_jjP12ihipStream_tbEUljE_ZNSN_ISO_Lb0ESQ_SR_ST_SU_SY_EESZ_S10_S11_S12_S16_S17_S18_S1B_S1C_jS1D_jS1E_S1E_jjS1G_bEUljE0_EEESZ_S10_S11_S18_S1C_S1E_T6_T7_T9_mT8_S1G_bDpT10_ENKUlT_T0_E_clISt17integral_constantIbLb1EES1U_EEDaS1P_S1Q_EUlS1P_E_NS1_11comp_targetILNS1_3genE2ELNS1_11target_archE906ELNS1_3gpuE6ELNS1_3repE0EEENS1_30default_config_static_selectorELNS0_4arch9wavefront6targetE1EEEvS12_
; %bb.0:
	.section	.rodata,"a",@progbits
	.p2align	6, 0x0
	.amdhsa_kernel _ZN7rocprim17ROCPRIM_400000_NS6detail17trampoline_kernelINS0_13select_configILj256ELj13ELNS0_17block_load_methodE3ELS4_3ELS4_3ELNS0_20block_scan_algorithmE0ELj4294967295EEENS1_25partition_config_selectorILNS1_17partition_subalgoE4EjNS0_10empty_typeEbEEZZNS1_14partition_implILS8_4ELb0ES6_15HIP_vector_typeIjLj2EENS0_17counting_iteratorIjlEEPS9_SG_NS0_5tupleIJPjSI_NS0_16reverse_iteratorISI_EEEEENSH_IJSG_SG_SG_EEES9_SI_JZNS1_25segmented_radix_sort_implINS0_14default_configELb0EPKiPiPKlPlN2at6native12_GLOBAL__N_18offset_tEEE10hipError_tPvRmT1_PNSt15iterator_traitsIS12_E10value_typeET2_T3_PNS13_IS18_E10value_typeET4_jRbjT5_S1E_jjP12ihipStream_tbEUljE_ZNSN_ISO_Lb0ESQ_SR_ST_SU_SY_EESZ_S10_S11_S12_S16_S17_S18_S1B_S1C_jS1D_jS1E_S1E_jjS1G_bEUljE0_EEESZ_S10_S11_S18_S1C_S1E_T6_T7_T9_mT8_S1G_bDpT10_ENKUlT_T0_E_clISt17integral_constantIbLb1EES1U_EEDaS1P_S1Q_EUlS1P_E_NS1_11comp_targetILNS1_3genE2ELNS1_11target_archE906ELNS1_3gpuE6ELNS1_3repE0EEENS1_30default_config_static_selectorELNS0_4arch9wavefront6targetE1EEEvS12_
		.amdhsa_group_segment_fixed_size 0
		.amdhsa_private_segment_fixed_size 0
		.amdhsa_kernarg_size 184
		.amdhsa_user_sgpr_count 6
		.amdhsa_user_sgpr_private_segment_buffer 1
		.amdhsa_user_sgpr_dispatch_ptr 0
		.amdhsa_user_sgpr_queue_ptr 0
		.amdhsa_user_sgpr_kernarg_segment_ptr 1
		.amdhsa_user_sgpr_dispatch_id 0
		.amdhsa_user_sgpr_flat_scratch_init 0
		.amdhsa_user_sgpr_kernarg_preload_length 0
		.amdhsa_user_sgpr_kernarg_preload_offset 0
		.amdhsa_user_sgpr_private_segment_size 0
		.amdhsa_uses_dynamic_stack 0
		.amdhsa_system_sgpr_private_segment_wavefront_offset 0
		.amdhsa_system_sgpr_workgroup_id_x 1
		.amdhsa_system_sgpr_workgroup_id_y 0
		.amdhsa_system_sgpr_workgroup_id_z 0
		.amdhsa_system_sgpr_workgroup_info 0
		.amdhsa_system_vgpr_workitem_id 0
		.amdhsa_next_free_vgpr 1
		.amdhsa_next_free_sgpr 0
		.amdhsa_accum_offset 4
		.amdhsa_reserve_vcc 0
		.amdhsa_reserve_flat_scratch 0
		.amdhsa_float_round_mode_32 0
		.amdhsa_float_round_mode_16_64 0
		.amdhsa_float_denorm_mode_32 3
		.amdhsa_float_denorm_mode_16_64 3
		.amdhsa_dx10_clamp 1
		.amdhsa_ieee_mode 1
		.amdhsa_fp16_overflow 0
		.amdhsa_tg_split 0
		.amdhsa_exception_fp_ieee_invalid_op 0
		.amdhsa_exception_fp_denorm_src 0
		.amdhsa_exception_fp_ieee_div_zero 0
		.amdhsa_exception_fp_ieee_overflow 0
		.amdhsa_exception_fp_ieee_underflow 0
		.amdhsa_exception_fp_ieee_inexact 0
		.amdhsa_exception_int_div_zero 0
	.end_amdhsa_kernel
	.section	.text._ZN7rocprim17ROCPRIM_400000_NS6detail17trampoline_kernelINS0_13select_configILj256ELj13ELNS0_17block_load_methodE3ELS4_3ELS4_3ELNS0_20block_scan_algorithmE0ELj4294967295EEENS1_25partition_config_selectorILNS1_17partition_subalgoE4EjNS0_10empty_typeEbEEZZNS1_14partition_implILS8_4ELb0ES6_15HIP_vector_typeIjLj2EENS0_17counting_iteratorIjlEEPS9_SG_NS0_5tupleIJPjSI_NS0_16reverse_iteratorISI_EEEEENSH_IJSG_SG_SG_EEES9_SI_JZNS1_25segmented_radix_sort_implINS0_14default_configELb0EPKiPiPKlPlN2at6native12_GLOBAL__N_18offset_tEEE10hipError_tPvRmT1_PNSt15iterator_traitsIS12_E10value_typeET2_T3_PNS13_IS18_E10value_typeET4_jRbjT5_S1E_jjP12ihipStream_tbEUljE_ZNSN_ISO_Lb0ESQ_SR_ST_SU_SY_EESZ_S10_S11_S12_S16_S17_S18_S1B_S1C_jS1D_jS1E_S1E_jjS1G_bEUljE0_EEESZ_S10_S11_S18_S1C_S1E_T6_T7_T9_mT8_S1G_bDpT10_ENKUlT_T0_E_clISt17integral_constantIbLb1EES1U_EEDaS1P_S1Q_EUlS1P_E_NS1_11comp_targetILNS1_3genE2ELNS1_11target_archE906ELNS1_3gpuE6ELNS1_3repE0EEENS1_30default_config_static_selectorELNS0_4arch9wavefront6targetE1EEEvS12_,"axG",@progbits,_ZN7rocprim17ROCPRIM_400000_NS6detail17trampoline_kernelINS0_13select_configILj256ELj13ELNS0_17block_load_methodE3ELS4_3ELS4_3ELNS0_20block_scan_algorithmE0ELj4294967295EEENS1_25partition_config_selectorILNS1_17partition_subalgoE4EjNS0_10empty_typeEbEEZZNS1_14partition_implILS8_4ELb0ES6_15HIP_vector_typeIjLj2EENS0_17counting_iteratorIjlEEPS9_SG_NS0_5tupleIJPjSI_NS0_16reverse_iteratorISI_EEEEENSH_IJSG_SG_SG_EEES9_SI_JZNS1_25segmented_radix_sort_implINS0_14default_configELb0EPKiPiPKlPlN2at6native12_GLOBAL__N_18offset_tEEE10hipError_tPvRmT1_PNSt15iterator_traitsIS12_E10value_typeET2_T3_PNS13_IS18_E10value_typeET4_jRbjT5_S1E_jjP12ihipStream_tbEUljE_ZNSN_ISO_Lb0ESQ_SR_ST_SU_SY_EESZ_S10_S11_S12_S16_S17_S18_S1B_S1C_jS1D_jS1E_S1E_jjS1G_bEUljE0_EEESZ_S10_S11_S18_S1C_S1E_T6_T7_T9_mT8_S1G_bDpT10_ENKUlT_T0_E_clISt17integral_constantIbLb1EES1U_EEDaS1P_S1Q_EUlS1P_E_NS1_11comp_targetILNS1_3genE2ELNS1_11target_archE906ELNS1_3gpuE6ELNS1_3repE0EEENS1_30default_config_static_selectorELNS0_4arch9wavefront6targetE1EEEvS12_,comdat
.Lfunc_end548:
	.size	_ZN7rocprim17ROCPRIM_400000_NS6detail17trampoline_kernelINS0_13select_configILj256ELj13ELNS0_17block_load_methodE3ELS4_3ELS4_3ELNS0_20block_scan_algorithmE0ELj4294967295EEENS1_25partition_config_selectorILNS1_17partition_subalgoE4EjNS0_10empty_typeEbEEZZNS1_14partition_implILS8_4ELb0ES6_15HIP_vector_typeIjLj2EENS0_17counting_iteratorIjlEEPS9_SG_NS0_5tupleIJPjSI_NS0_16reverse_iteratorISI_EEEEENSH_IJSG_SG_SG_EEES9_SI_JZNS1_25segmented_radix_sort_implINS0_14default_configELb0EPKiPiPKlPlN2at6native12_GLOBAL__N_18offset_tEEE10hipError_tPvRmT1_PNSt15iterator_traitsIS12_E10value_typeET2_T3_PNS13_IS18_E10value_typeET4_jRbjT5_S1E_jjP12ihipStream_tbEUljE_ZNSN_ISO_Lb0ESQ_SR_ST_SU_SY_EESZ_S10_S11_S12_S16_S17_S18_S1B_S1C_jS1D_jS1E_S1E_jjS1G_bEUljE0_EEESZ_S10_S11_S18_S1C_S1E_T6_T7_T9_mT8_S1G_bDpT10_ENKUlT_T0_E_clISt17integral_constantIbLb1EES1U_EEDaS1P_S1Q_EUlS1P_E_NS1_11comp_targetILNS1_3genE2ELNS1_11target_archE906ELNS1_3gpuE6ELNS1_3repE0EEENS1_30default_config_static_selectorELNS0_4arch9wavefront6targetE1EEEvS12_, .Lfunc_end548-_ZN7rocprim17ROCPRIM_400000_NS6detail17trampoline_kernelINS0_13select_configILj256ELj13ELNS0_17block_load_methodE3ELS4_3ELS4_3ELNS0_20block_scan_algorithmE0ELj4294967295EEENS1_25partition_config_selectorILNS1_17partition_subalgoE4EjNS0_10empty_typeEbEEZZNS1_14partition_implILS8_4ELb0ES6_15HIP_vector_typeIjLj2EENS0_17counting_iteratorIjlEEPS9_SG_NS0_5tupleIJPjSI_NS0_16reverse_iteratorISI_EEEEENSH_IJSG_SG_SG_EEES9_SI_JZNS1_25segmented_radix_sort_implINS0_14default_configELb0EPKiPiPKlPlN2at6native12_GLOBAL__N_18offset_tEEE10hipError_tPvRmT1_PNSt15iterator_traitsIS12_E10value_typeET2_T3_PNS13_IS18_E10value_typeET4_jRbjT5_S1E_jjP12ihipStream_tbEUljE_ZNSN_ISO_Lb0ESQ_SR_ST_SU_SY_EESZ_S10_S11_S12_S16_S17_S18_S1B_S1C_jS1D_jS1E_S1E_jjS1G_bEUljE0_EEESZ_S10_S11_S18_S1C_S1E_T6_T7_T9_mT8_S1G_bDpT10_ENKUlT_T0_E_clISt17integral_constantIbLb1EES1U_EEDaS1P_S1Q_EUlS1P_E_NS1_11comp_targetILNS1_3genE2ELNS1_11target_archE906ELNS1_3gpuE6ELNS1_3repE0EEENS1_30default_config_static_selectorELNS0_4arch9wavefront6targetE1EEEvS12_
                                        ; -- End function
	.section	.AMDGPU.csdata,"",@progbits
; Kernel info:
; codeLenInByte = 0
; NumSgprs: 4
; NumVgprs: 0
; NumAgprs: 0
; TotalNumVgprs: 0
; ScratchSize: 0
; MemoryBound: 0
; FloatMode: 240
; IeeeMode: 1
; LDSByteSize: 0 bytes/workgroup (compile time only)
; SGPRBlocks: 0
; VGPRBlocks: 0
; NumSGPRsForWavesPerEU: 4
; NumVGPRsForWavesPerEU: 1
; AccumOffset: 4
; Occupancy: 8
; WaveLimiterHint : 0
; COMPUTE_PGM_RSRC2:SCRATCH_EN: 0
; COMPUTE_PGM_RSRC2:USER_SGPR: 6
; COMPUTE_PGM_RSRC2:TRAP_HANDLER: 0
; COMPUTE_PGM_RSRC2:TGID_X_EN: 1
; COMPUTE_PGM_RSRC2:TGID_Y_EN: 0
; COMPUTE_PGM_RSRC2:TGID_Z_EN: 0
; COMPUTE_PGM_RSRC2:TIDIG_COMP_CNT: 0
; COMPUTE_PGM_RSRC3_GFX90A:ACCUM_OFFSET: 0
; COMPUTE_PGM_RSRC3_GFX90A:TG_SPLIT: 0
	.section	.text._ZN7rocprim17ROCPRIM_400000_NS6detail17trampoline_kernelINS0_13select_configILj256ELj13ELNS0_17block_load_methodE3ELS4_3ELS4_3ELNS0_20block_scan_algorithmE0ELj4294967295EEENS1_25partition_config_selectorILNS1_17partition_subalgoE4EjNS0_10empty_typeEbEEZZNS1_14partition_implILS8_4ELb0ES6_15HIP_vector_typeIjLj2EENS0_17counting_iteratorIjlEEPS9_SG_NS0_5tupleIJPjSI_NS0_16reverse_iteratorISI_EEEEENSH_IJSG_SG_SG_EEES9_SI_JZNS1_25segmented_radix_sort_implINS0_14default_configELb0EPKiPiPKlPlN2at6native12_GLOBAL__N_18offset_tEEE10hipError_tPvRmT1_PNSt15iterator_traitsIS12_E10value_typeET2_T3_PNS13_IS18_E10value_typeET4_jRbjT5_S1E_jjP12ihipStream_tbEUljE_ZNSN_ISO_Lb0ESQ_SR_ST_SU_SY_EESZ_S10_S11_S12_S16_S17_S18_S1B_S1C_jS1D_jS1E_S1E_jjS1G_bEUljE0_EEESZ_S10_S11_S18_S1C_S1E_T6_T7_T9_mT8_S1G_bDpT10_ENKUlT_T0_E_clISt17integral_constantIbLb1EES1U_EEDaS1P_S1Q_EUlS1P_E_NS1_11comp_targetILNS1_3genE10ELNS1_11target_archE1200ELNS1_3gpuE4ELNS1_3repE0EEENS1_30default_config_static_selectorELNS0_4arch9wavefront6targetE1EEEvS12_,"axG",@progbits,_ZN7rocprim17ROCPRIM_400000_NS6detail17trampoline_kernelINS0_13select_configILj256ELj13ELNS0_17block_load_methodE3ELS4_3ELS4_3ELNS0_20block_scan_algorithmE0ELj4294967295EEENS1_25partition_config_selectorILNS1_17partition_subalgoE4EjNS0_10empty_typeEbEEZZNS1_14partition_implILS8_4ELb0ES6_15HIP_vector_typeIjLj2EENS0_17counting_iteratorIjlEEPS9_SG_NS0_5tupleIJPjSI_NS0_16reverse_iteratorISI_EEEEENSH_IJSG_SG_SG_EEES9_SI_JZNS1_25segmented_radix_sort_implINS0_14default_configELb0EPKiPiPKlPlN2at6native12_GLOBAL__N_18offset_tEEE10hipError_tPvRmT1_PNSt15iterator_traitsIS12_E10value_typeET2_T3_PNS13_IS18_E10value_typeET4_jRbjT5_S1E_jjP12ihipStream_tbEUljE_ZNSN_ISO_Lb0ESQ_SR_ST_SU_SY_EESZ_S10_S11_S12_S16_S17_S18_S1B_S1C_jS1D_jS1E_S1E_jjS1G_bEUljE0_EEESZ_S10_S11_S18_S1C_S1E_T6_T7_T9_mT8_S1G_bDpT10_ENKUlT_T0_E_clISt17integral_constantIbLb1EES1U_EEDaS1P_S1Q_EUlS1P_E_NS1_11comp_targetILNS1_3genE10ELNS1_11target_archE1200ELNS1_3gpuE4ELNS1_3repE0EEENS1_30default_config_static_selectorELNS0_4arch9wavefront6targetE1EEEvS12_,comdat
	.globl	_ZN7rocprim17ROCPRIM_400000_NS6detail17trampoline_kernelINS0_13select_configILj256ELj13ELNS0_17block_load_methodE3ELS4_3ELS4_3ELNS0_20block_scan_algorithmE0ELj4294967295EEENS1_25partition_config_selectorILNS1_17partition_subalgoE4EjNS0_10empty_typeEbEEZZNS1_14partition_implILS8_4ELb0ES6_15HIP_vector_typeIjLj2EENS0_17counting_iteratorIjlEEPS9_SG_NS0_5tupleIJPjSI_NS0_16reverse_iteratorISI_EEEEENSH_IJSG_SG_SG_EEES9_SI_JZNS1_25segmented_radix_sort_implINS0_14default_configELb0EPKiPiPKlPlN2at6native12_GLOBAL__N_18offset_tEEE10hipError_tPvRmT1_PNSt15iterator_traitsIS12_E10value_typeET2_T3_PNS13_IS18_E10value_typeET4_jRbjT5_S1E_jjP12ihipStream_tbEUljE_ZNSN_ISO_Lb0ESQ_SR_ST_SU_SY_EESZ_S10_S11_S12_S16_S17_S18_S1B_S1C_jS1D_jS1E_S1E_jjS1G_bEUljE0_EEESZ_S10_S11_S18_S1C_S1E_T6_T7_T9_mT8_S1G_bDpT10_ENKUlT_T0_E_clISt17integral_constantIbLb1EES1U_EEDaS1P_S1Q_EUlS1P_E_NS1_11comp_targetILNS1_3genE10ELNS1_11target_archE1200ELNS1_3gpuE4ELNS1_3repE0EEENS1_30default_config_static_selectorELNS0_4arch9wavefront6targetE1EEEvS12_ ; -- Begin function _ZN7rocprim17ROCPRIM_400000_NS6detail17trampoline_kernelINS0_13select_configILj256ELj13ELNS0_17block_load_methodE3ELS4_3ELS4_3ELNS0_20block_scan_algorithmE0ELj4294967295EEENS1_25partition_config_selectorILNS1_17partition_subalgoE4EjNS0_10empty_typeEbEEZZNS1_14partition_implILS8_4ELb0ES6_15HIP_vector_typeIjLj2EENS0_17counting_iteratorIjlEEPS9_SG_NS0_5tupleIJPjSI_NS0_16reverse_iteratorISI_EEEEENSH_IJSG_SG_SG_EEES9_SI_JZNS1_25segmented_radix_sort_implINS0_14default_configELb0EPKiPiPKlPlN2at6native12_GLOBAL__N_18offset_tEEE10hipError_tPvRmT1_PNSt15iterator_traitsIS12_E10value_typeET2_T3_PNS13_IS18_E10value_typeET4_jRbjT5_S1E_jjP12ihipStream_tbEUljE_ZNSN_ISO_Lb0ESQ_SR_ST_SU_SY_EESZ_S10_S11_S12_S16_S17_S18_S1B_S1C_jS1D_jS1E_S1E_jjS1G_bEUljE0_EEESZ_S10_S11_S18_S1C_S1E_T6_T7_T9_mT8_S1G_bDpT10_ENKUlT_T0_E_clISt17integral_constantIbLb1EES1U_EEDaS1P_S1Q_EUlS1P_E_NS1_11comp_targetILNS1_3genE10ELNS1_11target_archE1200ELNS1_3gpuE4ELNS1_3repE0EEENS1_30default_config_static_selectorELNS0_4arch9wavefront6targetE1EEEvS12_
	.p2align	8
	.type	_ZN7rocprim17ROCPRIM_400000_NS6detail17trampoline_kernelINS0_13select_configILj256ELj13ELNS0_17block_load_methodE3ELS4_3ELS4_3ELNS0_20block_scan_algorithmE0ELj4294967295EEENS1_25partition_config_selectorILNS1_17partition_subalgoE4EjNS0_10empty_typeEbEEZZNS1_14partition_implILS8_4ELb0ES6_15HIP_vector_typeIjLj2EENS0_17counting_iteratorIjlEEPS9_SG_NS0_5tupleIJPjSI_NS0_16reverse_iteratorISI_EEEEENSH_IJSG_SG_SG_EEES9_SI_JZNS1_25segmented_radix_sort_implINS0_14default_configELb0EPKiPiPKlPlN2at6native12_GLOBAL__N_18offset_tEEE10hipError_tPvRmT1_PNSt15iterator_traitsIS12_E10value_typeET2_T3_PNS13_IS18_E10value_typeET4_jRbjT5_S1E_jjP12ihipStream_tbEUljE_ZNSN_ISO_Lb0ESQ_SR_ST_SU_SY_EESZ_S10_S11_S12_S16_S17_S18_S1B_S1C_jS1D_jS1E_S1E_jjS1G_bEUljE0_EEESZ_S10_S11_S18_S1C_S1E_T6_T7_T9_mT8_S1G_bDpT10_ENKUlT_T0_E_clISt17integral_constantIbLb1EES1U_EEDaS1P_S1Q_EUlS1P_E_NS1_11comp_targetILNS1_3genE10ELNS1_11target_archE1200ELNS1_3gpuE4ELNS1_3repE0EEENS1_30default_config_static_selectorELNS0_4arch9wavefront6targetE1EEEvS12_,@function
_ZN7rocprim17ROCPRIM_400000_NS6detail17trampoline_kernelINS0_13select_configILj256ELj13ELNS0_17block_load_methodE3ELS4_3ELS4_3ELNS0_20block_scan_algorithmE0ELj4294967295EEENS1_25partition_config_selectorILNS1_17partition_subalgoE4EjNS0_10empty_typeEbEEZZNS1_14partition_implILS8_4ELb0ES6_15HIP_vector_typeIjLj2EENS0_17counting_iteratorIjlEEPS9_SG_NS0_5tupleIJPjSI_NS0_16reverse_iteratorISI_EEEEENSH_IJSG_SG_SG_EEES9_SI_JZNS1_25segmented_radix_sort_implINS0_14default_configELb0EPKiPiPKlPlN2at6native12_GLOBAL__N_18offset_tEEE10hipError_tPvRmT1_PNSt15iterator_traitsIS12_E10value_typeET2_T3_PNS13_IS18_E10value_typeET4_jRbjT5_S1E_jjP12ihipStream_tbEUljE_ZNSN_ISO_Lb0ESQ_SR_ST_SU_SY_EESZ_S10_S11_S12_S16_S17_S18_S1B_S1C_jS1D_jS1E_S1E_jjS1G_bEUljE0_EEESZ_S10_S11_S18_S1C_S1E_T6_T7_T9_mT8_S1G_bDpT10_ENKUlT_T0_E_clISt17integral_constantIbLb1EES1U_EEDaS1P_S1Q_EUlS1P_E_NS1_11comp_targetILNS1_3genE10ELNS1_11target_archE1200ELNS1_3gpuE4ELNS1_3repE0EEENS1_30default_config_static_selectorELNS0_4arch9wavefront6targetE1EEEvS12_: ; @_ZN7rocprim17ROCPRIM_400000_NS6detail17trampoline_kernelINS0_13select_configILj256ELj13ELNS0_17block_load_methodE3ELS4_3ELS4_3ELNS0_20block_scan_algorithmE0ELj4294967295EEENS1_25partition_config_selectorILNS1_17partition_subalgoE4EjNS0_10empty_typeEbEEZZNS1_14partition_implILS8_4ELb0ES6_15HIP_vector_typeIjLj2EENS0_17counting_iteratorIjlEEPS9_SG_NS0_5tupleIJPjSI_NS0_16reverse_iteratorISI_EEEEENSH_IJSG_SG_SG_EEES9_SI_JZNS1_25segmented_radix_sort_implINS0_14default_configELb0EPKiPiPKlPlN2at6native12_GLOBAL__N_18offset_tEEE10hipError_tPvRmT1_PNSt15iterator_traitsIS12_E10value_typeET2_T3_PNS13_IS18_E10value_typeET4_jRbjT5_S1E_jjP12ihipStream_tbEUljE_ZNSN_ISO_Lb0ESQ_SR_ST_SU_SY_EESZ_S10_S11_S12_S16_S17_S18_S1B_S1C_jS1D_jS1E_S1E_jjS1G_bEUljE0_EEESZ_S10_S11_S18_S1C_S1E_T6_T7_T9_mT8_S1G_bDpT10_ENKUlT_T0_E_clISt17integral_constantIbLb1EES1U_EEDaS1P_S1Q_EUlS1P_E_NS1_11comp_targetILNS1_3genE10ELNS1_11target_archE1200ELNS1_3gpuE4ELNS1_3repE0EEENS1_30default_config_static_selectorELNS0_4arch9wavefront6targetE1EEEvS12_
; %bb.0:
	.section	.rodata,"a",@progbits
	.p2align	6, 0x0
	.amdhsa_kernel _ZN7rocprim17ROCPRIM_400000_NS6detail17trampoline_kernelINS0_13select_configILj256ELj13ELNS0_17block_load_methodE3ELS4_3ELS4_3ELNS0_20block_scan_algorithmE0ELj4294967295EEENS1_25partition_config_selectorILNS1_17partition_subalgoE4EjNS0_10empty_typeEbEEZZNS1_14partition_implILS8_4ELb0ES6_15HIP_vector_typeIjLj2EENS0_17counting_iteratorIjlEEPS9_SG_NS0_5tupleIJPjSI_NS0_16reverse_iteratorISI_EEEEENSH_IJSG_SG_SG_EEES9_SI_JZNS1_25segmented_radix_sort_implINS0_14default_configELb0EPKiPiPKlPlN2at6native12_GLOBAL__N_18offset_tEEE10hipError_tPvRmT1_PNSt15iterator_traitsIS12_E10value_typeET2_T3_PNS13_IS18_E10value_typeET4_jRbjT5_S1E_jjP12ihipStream_tbEUljE_ZNSN_ISO_Lb0ESQ_SR_ST_SU_SY_EESZ_S10_S11_S12_S16_S17_S18_S1B_S1C_jS1D_jS1E_S1E_jjS1G_bEUljE0_EEESZ_S10_S11_S18_S1C_S1E_T6_T7_T9_mT8_S1G_bDpT10_ENKUlT_T0_E_clISt17integral_constantIbLb1EES1U_EEDaS1P_S1Q_EUlS1P_E_NS1_11comp_targetILNS1_3genE10ELNS1_11target_archE1200ELNS1_3gpuE4ELNS1_3repE0EEENS1_30default_config_static_selectorELNS0_4arch9wavefront6targetE1EEEvS12_
		.amdhsa_group_segment_fixed_size 0
		.amdhsa_private_segment_fixed_size 0
		.amdhsa_kernarg_size 184
		.amdhsa_user_sgpr_count 6
		.amdhsa_user_sgpr_private_segment_buffer 1
		.amdhsa_user_sgpr_dispatch_ptr 0
		.amdhsa_user_sgpr_queue_ptr 0
		.amdhsa_user_sgpr_kernarg_segment_ptr 1
		.amdhsa_user_sgpr_dispatch_id 0
		.amdhsa_user_sgpr_flat_scratch_init 0
		.amdhsa_user_sgpr_kernarg_preload_length 0
		.amdhsa_user_sgpr_kernarg_preload_offset 0
		.amdhsa_user_sgpr_private_segment_size 0
		.amdhsa_uses_dynamic_stack 0
		.amdhsa_system_sgpr_private_segment_wavefront_offset 0
		.amdhsa_system_sgpr_workgroup_id_x 1
		.amdhsa_system_sgpr_workgroup_id_y 0
		.amdhsa_system_sgpr_workgroup_id_z 0
		.amdhsa_system_sgpr_workgroup_info 0
		.amdhsa_system_vgpr_workitem_id 0
		.amdhsa_next_free_vgpr 1
		.amdhsa_next_free_sgpr 0
		.amdhsa_accum_offset 4
		.amdhsa_reserve_vcc 0
		.amdhsa_reserve_flat_scratch 0
		.amdhsa_float_round_mode_32 0
		.amdhsa_float_round_mode_16_64 0
		.amdhsa_float_denorm_mode_32 3
		.amdhsa_float_denorm_mode_16_64 3
		.amdhsa_dx10_clamp 1
		.amdhsa_ieee_mode 1
		.amdhsa_fp16_overflow 0
		.amdhsa_tg_split 0
		.amdhsa_exception_fp_ieee_invalid_op 0
		.amdhsa_exception_fp_denorm_src 0
		.amdhsa_exception_fp_ieee_div_zero 0
		.amdhsa_exception_fp_ieee_overflow 0
		.amdhsa_exception_fp_ieee_underflow 0
		.amdhsa_exception_fp_ieee_inexact 0
		.amdhsa_exception_int_div_zero 0
	.end_amdhsa_kernel
	.section	.text._ZN7rocprim17ROCPRIM_400000_NS6detail17trampoline_kernelINS0_13select_configILj256ELj13ELNS0_17block_load_methodE3ELS4_3ELS4_3ELNS0_20block_scan_algorithmE0ELj4294967295EEENS1_25partition_config_selectorILNS1_17partition_subalgoE4EjNS0_10empty_typeEbEEZZNS1_14partition_implILS8_4ELb0ES6_15HIP_vector_typeIjLj2EENS0_17counting_iteratorIjlEEPS9_SG_NS0_5tupleIJPjSI_NS0_16reverse_iteratorISI_EEEEENSH_IJSG_SG_SG_EEES9_SI_JZNS1_25segmented_radix_sort_implINS0_14default_configELb0EPKiPiPKlPlN2at6native12_GLOBAL__N_18offset_tEEE10hipError_tPvRmT1_PNSt15iterator_traitsIS12_E10value_typeET2_T3_PNS13_IS18_E10value_typeET4_jRbjT5_S1E_jjP12ihipStream_tbEUljE_ZNSN_ISO_Lb0ESQ_SR_ST_SU_SY_EESZ_S10_S11_S12_S16_S17_S18_S1B_S1C_jS1D_jS1E_S1E_jjS1G_bEUljE0_EEESZ_S10_S11_S18_S1C_S1E_T6_T7_T9_mT8_S1G_bDpT10_ENKUlT_T0_E_clISt17integral_constantIbLb1EES1U_EEDaS1P_S1Q_EUlS1P_E_NS1_11comp_targetILNS1_3genE10ELNS1_11target_archE1200ELNS1_3gpuE4ELNS1_3repE0EEENS1_30default_config_static_selectorELNS0_4arch9wavefront6targetE1EEEvS12_,"axG",@progbits,_ZN7rocprim17ROCPRIM_400000_NS6detail17trampoline_kernelINS0_13select_configILj256ELj13ELNS0_17block_load_methodE3ELS4_3ELS4_3ELNS0_20block_scan_algorithmE0ELj4294967295EEENS1_25partition_config_selectorILNS1_17partition_subalgoE4EjNS0_10empty_typeEbEEZZNS1_14partition_implILS8_4ELb0ES6_15HIP_vector_typeIjLj2EENS0_17counting_iteratorIjlEEPS9_SG_NS0_5tupleIJPjSI_NS0_16reverse_iteratorISI_EEEEENSH_IJSG_SG_SG_EEES9_SI_JZNS1_25segmented_radix_sort_implINS0_14default_configELb0EPKiPiPKlPlN2at6native12_GLOBAL__N_18offset_tEEE10hipError_tPvRmT1_PNSt15iterator_traitsIS12_E10value_typeET2_T3_PNS13_IS18_E10value_typeET4_jRbjT5_S1E_jjP12ihipStream_tbEUljE_ZNSN_ISO_Lb0ESQ_SR_ST_SU_SY_EESZ_S10_S11_S12_S16_S17_S18_S1B_S1C_jS1D_jS1E_S1E_jjS1G_bEUljE0_EEESZ_S10_S11_S18_S1C_S1E_T6_T7_T9_mT8_S1G_bDpT10_ENKUlT_T0_E_clISt17integral_constantIbLb1EES1U_EEDaS1P_S1Q_EUlS1P_E_NS1_11comp_targetILNS1_3genE10ELNS1_11target_archE1200ELNS1_3gpuE4ELNS1_3repE0EEENS1_30default_config_static_selectorELNS0_4arch9wavefront6targetE1EEEvS12_,comdat
.Lfunc_end549:
	.size	_ZN7rocprim17ROCPRIM_400000_NS6detail17trampoline_kernelINS0_13select_configILj256ELj13ELNS0_17block_load_methodE3ELS4_3ELS4_3ELNS0_20block_scan_algorithmE0ELj4294967295EEENS1_25partition_config_selectorILNS1_17partition_subalgoE4EjNS0_10empty_typeEbEEZZNS1_14partition_implILS8_4ELb0ES6_15HIP_vector_typeIjLj2EENS0_17counting_iteratorIjlEEPS9_SG_NS0_5tupleIJPjSI_NS0_16reverse_iteratorISI_EEEEENSH_IJSG_SG_SG_EEES9_SI_JZNS1_25segmented_radix_sort_implINS0_14default_configELb0EPKiPiPKlPlN2at6native12_GLOBAL__N_18offset_tEEE10hipError_tPvRmT1_PNSt15iterator_traitsIS12_E10value_typeET2_T3_PNS13_IS18_E10value_typeET4_jRbjT5_S1E_jjP12ihipStream_tbEUljE_ZNSN_ISO_Lb0ESQ_SR_ST_SU_SY_EESZ_S10_S11_S12_S16_S17_S18_S1B_S1C_jS1D_jS1E_S1E_jjS1G_bEUljE0_EEESZ_S10_S11_S18_S1C_S1E_T6_T7_T9_mT8_S1G_bDpT10_ENKUlT_T0_E_clISt17integral_constantIbLb1EES1U_EEDaS1P_S1Q_EUlS1P_E_NS1_11comp_targetILNS1_3genE10ELNS1_11target_archE1200ELNS1_3gpuE4ELNS1_3repE0EEENS1_30default_config_static_selectorELNS0_4arch9wavefront6targetE1EEEvS12_, .Lfunc_end549-_ZN7rocprim17ROCPRIM_400000_NS6detail17trampoline_kernelINS0_13select_configILj256ELj13ELNS0_17block_load_methodE3ELS4_3ELS4_3ELNS0_20block_scan_algorithmE0ELj4294967295EEENS1_25partition_config_selectorILNS1_17partition_subalgoE4EjNS0_10empty_typeEbEEZZNS1_14partition_implILS8_4ELb0ES6_15HIP_vector_typeIjLj2EENS0_17counting_iteratorIjlEEPS9_SG_NS0_5tupleIJPjSI_NS0_16reverse_iteratorISI_EEEEENSH_IJSG_SG_SG_EEES9_SI_JZNS1_25segmented_radix_sort_implINS0_14default_configELb0EPKiPiPKlPlN2at6native12_GLOBAL__N_18offset_tEEE10hipError_tPvRmT1_PNSt15iterator_traitsIS12_E10value_typeET2_T3_PNS13_IS18_E10value_typeET4_jRbjT5_S1E_jjP12ihipStream_tbEUljE_ZNSN_ISO_Lb0ESQ_SR_ST_SU_SY_EESZ_S10_S11_S12_S16_S17_S18_S1B_S1C_jS1D_jS1E_S1E_jjS1G_bEUljE0_EEESZ_S10_S11_S18_S1C_S1E_T6_T7_T9_mT8_S1G_bDpT10_ENKUlT_T0_E_clISt17integral_constantIbLb1EES1U_EEDaS1P_S1Q_EUlS1P_E_NS1_11comp_targetILNS1_3genE10ELNS1_11target_archE1200ELNS1_3gpuE4ELNS1_3repE0EEENS1_30default_config_static_selectorELNS0_4arch9wavefront6targetE1EEEvS12_
                                        ; -- End function
	.section	.AMDGPU.csdata,"",@progbits
; Kernel info:
; codeLenInByte = 0
; NumSgprs: 4
; NumVgprs: 0
; NumAgprs: 0
; TotalNumVgprs: 0
; ScratchSize: 0
; MemoryBound: 0
; FloatMode: 240
; IeeeMode: 1
; LDSByteSize: 0 bytes/workgroup (compile time only)
; SGPRBlocks: 0
; VGPRBlocks: 0
; NumSGPRsForWavesPerEU: 4
; NumVGPRsForWavesPerEU: 1
; AccumOffset: 4
; Occupancy: 8
; WaveLimiterHint : 0
; COMPUTE_PGM_RSRC2:SCRATCH_EN: 0
; COMPUTE_PGM_RSRC2:USER_SGPR: 6
; COMPUTE_PGM_RSRC2:TRAP_HANDLER: 0
; COMPUTE_PGM_RSRC2:TGID_X_EN: 1
; COMPUTE_PGM_RSRC2:TGID_Y_EN: 0
; COMPUTE_PGM_RSRC2:TGID_Z_EN: 0
; COMPUTE_PGM_RSRC2:TIDIG_COMP_CNT: 0
; COMPUTE_PGM_RSRC3_GFX90A:ACCUM_OFFSET: 0
; COMPUTE_PGM_RSRC3_GFX90A:TG_SPLIT: 0
	.section	.text._ZN7rocprim17ROCPRIM_400000_NS6detail17trampoline_kernelINS0_13select_configILj256ELj13ELNS0_17block_load_methodE3ELS4_3ELS4_3ELNS0_20block_scan_algorithmE0ELj4294967295EEENS1_25partition_config_selectorILNS1_17partition_subalgoE4EjNS0_10empty_typeEbEEZZNS1_14partition_implILS8_4ELb0ES6_15HIP_vector_typeIjLj2EENS0_17counting_iteratorIjlEEPS9_SG_NS0_5tupleIJPjSI_NS0_16reverse_iteratorISI_EEEEENSH_IJSG_SG_SG_EEES9_SI_JZNS1_25segmented_radix_sort_implINS0_14default_configELb0EPKiPiPKlPlN2at6native12_GLOBAL__N_18offset_tEEE10hipError_tPvRmT1_PNSt15iterator_traitsIS12_E10value_typeET2_T3_PNS13_IS18_E10value_typeET4_jRbjT5_S1E_jjP12ihipStream_tbEUljE_ZNSN_ISO_Lb0ESQ_SR_ST_SU_SY_EESZ_S10_S11_S12_S16_S17_S18_S1B_S1C_jS1D_jS1E_S1E_jjS1G_bEUljE0_EEESZ_S10_S11_S18_S1C_S1E_T6_T7_T9_mT8_S1G_bDpT10_ENKUlT_T0_E_clISt17integral_constantIbLb1EES1U_EEDaS1P_S1Q_EUlS1P_E_NS1_11comp_targetILNS1_3genE9ELNS1_11target_archE1100ELNS1_3gpuE3ELNS1_3repE0EEENS1_30default_config_static_selectorELNS0_4arch9wavefront6targetE1EEEvS12_,"axG",@progbits,_ZN7rocprim17ROCPRIM_400000_NS6detail17trampoline_kernelINS0_13select_configILj256ELj13ELNS0_17block_load_methodE3ELS4_3ELS4_3ELNS0_20block_scan_algorithmE0ELj4294967295EEENS1_25partition_config_selectorILNS1_17partition_subalgoE4EjNS0_10empty_typeEbEEZZNS1_14partition_implILS8_4ELb0ES6_15HIP_vector_typeIjLj2EENS0_17counting_iteratorIjlEEPS9_SG_NS0_5tupleIJPjSI_NS0_16reverse_iteratorISI_EEEEENSH_IJSG_SG_SG_EEES9_SI_JZNS1_25segmented_radix_sort_implINS0_14default_configELb0EPKiPiPKlPlN2at6native12_GLOBAL__N_18offset_tEEE10hipError_tPvRmT1_PNSt15iterator_traitsIS12_E10value_typeET2_T3_PNS13_IS18_E10value_typeET4_jRbjT5_S1E_jjP12ihipStream_tbEUljE_ZNSN_ISO_Lb0ESQ_SR_ST_SU_SY_EESZ_S10_S11_S12_S16_S17_S18_S1B_S1C_jS1D_jS1E_S1E_jjS1G_bEUljE0_EEESZ_S10_S11_S18_S1C_S1E_T6_T7_T9_mT8_S1G_bDpT10_ENKUlT_T0_E_clISt17integral_constantIbLb1EES1U_EEDaS1P_S1Q_EUlS1P_E_NS1_11comp_targetILNS1_3genE9ELNS1_11target_archE1100ELNS1_3gpuE3ELNS1_3repE0EEENS1_30default_config_static_selectorELNS0_4arch9wavefront6targetE1EEEvS12_,comdat
	.globl	_ZN7rocprim17ROCPRIM_400000_NS6detail17trampoline_kernelINS0_13select_configILj256ELj13ELNS0_17block_load_methodE3ELS4_3ELS4_3ELNS0_20block_scan_algorithmE0ELj4294967295EEENS1_25partition_config_selectorILNS1_17partition_subalgoE4EjNS0_10empty_typeEbEEZZNS1_14partition_implILS8_4ELb0ES6_15HIP_vector_typeIjLj2EENS0_17counting_iteratorIjlEEPS9_SG_NS0_5tupleIJPjSI_NS0_16reverse_iteratorISI_EEEEENSH_IJSG_SG_SG_EEES9_SI_JZNS1_25segmented_radix_sort_implINS0_14default_configELb0EPKiPiPKlPlN2at6native12_GLOBAL__N_18offset_tEEE10hipError_tPvRmT1_PNSt15iterator_traitsIS12_E10value_typeET2_T3_PNS13_IS18_E10value_typeET4_jRbjT5_S1E_jjP12ihipStream_tbEUljE_ZNSN_ISO_Lb0ESQ_SR_ST_SU_SY_EESZ_S10_S11_S12_S16_S17_S18_S1B_S1C_jS1D_jS1E_S1E_jjS1G_bEUljE0_EEESZ_S10_S11_S18_S1C_S1E_T6_T7_T9_mT8_S1G_bDpT10_ENKUlT_T0_E_clISt17integral_constantIbLb1EES1U_EEDaS1P_S1Q_EUlS1P_E_NS1_11comp_targetILNS1_3genE9ELNS1_11target_archE1100ELNS1_3gpuE3ELNS1_3repE0EEENS1_30default_config_static_selectorELNS0_4arch9wavefront6targetE1EEEvS12_ ; -- Begin function _ZN7rocprim17ROCPRIM_400000_NS6detail17trampoline_kernelINS0_13select_configILj256ELj13ELNS0_17block_load_methodE3ELS4_3ELS4_3ELNS0_20block_scan_algorithmE0ELj4294967295EEENS1_25partition_config_selectorILNS1_17partition_subalgoE4EjNS0_10empty_typeEbEEZZNS1_14partition_implILS8_4ELb0ES6_15HIP_vector_typeIjLj2EENS0_17counting_iteratorIjlEEPS9_SG_NS0_5tupleIJPjSI_NS0_16reverse_iteratorISI_EEEEENSH_IJSG_SG_SG_EEES9_SI_JZNS1_25segmented_radix_sort_implINS0_14default_configELb0EPKiPiPKlPlN2at6native12_GLOBAL__N_18offset_tEEE10hipError_tPvRmT1_PNSt15iterator_traitsIS12_E10value_typeET2_T3_PNS13_IS18_E10value_typeET4_jRbjT5_S1E_jjP12ihipStream_tbEUljE_ZNSN_ISO_Lb0ESQ_SR_ST_SU_SY_EESZ_S10_S11_S12_S16_S17_S18_S1B_S1C_jS1D_jS1E_S1E_jjS1G_bEUljE0_EEESZ_S10_S11_S18_S1C_S1E_T6_T7_T9_mT8_S1G_bDpT10_ENKUlT_T0_E_clISt17integral_constantIbLb1EES1U_EEDaS1P_S1Q_EUlS1P_E_NS1_11comp_targetILNS1_3genE9ELNS1_11target_archE1100ELNS1_3gpuE3ELNS1_3repE0EEENS1_30default_config_static_selectorELNS0_4arch9wavefront6targetE1EEEvS12_
	.p2align	8
	.type	_ZN7rocprim17ROCPRIM_400000_NS6detail17trampoline_kernelINS0_13select_configILj256ELj13ELNS0_17block_load_methodE3ELS4_3ELS4_3ELNS0_20block_scan_algorithmE0ELj4294967295EEENS1_25partition_config_selectorILNS1_17partition_subalgoE4EjNS0_10empty_typeEbEEZZNS1_14partition_implILS8_4ELb0ES6_15HIP_vector_typeIjLj2EENS0_17counting_iteratorIjlEEPS9_SG_NS0_5tupleIJPjSI_NS0_16reverse_iteratorISI_EEEEENSH_IJSG_SG_SG_EEES9_SI_JZNS1_25segmented_radix_sort_implINS0_14default_configELb0EPKiPiPKlPlN2at6native12_GLOBAL__N_18offset_tEEE10hipError_tPvRmT1_PNSt15iterator_traitsIS12_E10value_typeET2_T3_PNS13_IS18_E10value_typeET4_jRbjT5_S1E_jjP12ihipStream_tbEUljE_ZNSN_ISO_Lb0ESQ_SR_ST_SU_SY_EESZ_S10_S11_S12_S16_S17_S18_S1B_S1C_jS1D_jS1E_S1E_jjS1G_bEUljE0_EEESZ_S10_S11_S18_S1C_S1E_T6_T7_T9_mT8_S1G_bDpT10_ENKUlT_T0_E_clISt17integral_constantIbLb1EES1U_EEDaS1P_S1Q_EUlS1P_E_NS1_11comp_targetILNS1_3genE9ELNS1_11target_archE1100ELNS1_3gpuE3ELNS1_3repE0EEENS1_30default_config_static_selectorELNS0_4arch9wavefront6targetE1EEEvS12_,@function
_ZN7rocprim17ROCPRIM_400000_NS6detail17trampoline_kernelINS0_13select_configILj256ELj13ELNS0_17block_load_methodE3ELS4_3ELS4_3ELNS0_20block_scan_algorithmE0ELj4294967295EEENS1_25partition_config_selectorILNS1_17partition_subalgoE4EjNS0_10empty_typeEbEEZZNS1_14partition_implILS8_4ELb0ES6_15HIP_vector_typeIjLj2EENS0_17counting_iteratorIjlEEPS9_SG_NS0_5tupleIJPjSI_NS0_16reverse_iteratorISI_EEEEENSH_IJSG_SG_SG_EEES9_SI_JZNS1_25segmented_radix_sort_implINS0_14default_configELb0EPKiPiPKlPlN2at6native12_GLOBAL__N_18offset_tEEE10hipError_tPvRmT1_PNSt15iterator_traitsIS12_E10value_typeET2_T3_PNS13_IS18_E10value_typeET4_jRbjT5_S1E_jjP12ihipStream_tbEUljE_ZNSN_ISO_Lb0ESQ_SR_ST_SU_SY_EESZ_S10_S11_S12_S16_S17_S18_S1B_S1C_jS1D_jS1E_S1E_jjS1G_bEUljE0_EEESZ_S10_S11_S18_S1C_S1E_T6_T7_T9_mT8_S1G_bDpT10_ENKUlT_T0_E_clISt17integral_constantIbLb1EES1U_EEDaS1P_S1Q_EUlS1P_E_NS1_11comp_targetILNS1_3genE9ELNS1_11target_archE1100ELNS1_3gpuE3ELNS1_3repE0EEENS1_30default_config_static_selectorELNS0_4arch9wavefront6targetE1EEEvS12_: ; @_ZN7rocprim17ROCPRIM_400000_NS6detail17trampoline_kernelINS0_13select_configILj256ELj13ELNS0_17block_load_methodE3ELS4_3ELS4_3ELNS0_20block_scan_algorithmE0ELj4294967295EEENS1_25partition_config_selectorILNS1_17partition_subalgoE4EjNS0_10empty_typeEbEEZZNS1_14partition_implILS8_4ELb0ES6_15HIP_vector_typeIjLj2EENS0_17counting_iteratorIjlEEPS9_SG_NS0_5tupleIJPjSI_NS0_16reverse_iteratorISI_EEEEENSH_IJSG_SG_SG_EEES9_SI_JZNS1_25segmented_radix_sort_implINS0_14default_configELb0EPKiPiPKlPlN2at6native12_GLOBAL__N_18offset_tEEE10hipError_tPvRmT1_PNSt15iterator_traitsIS12_E10value_typeET2_T3_PNS13_IS18_E10value_typeET4_jRbjT5_S1E_jjP12ihipStream_tbEUljE_ZNSN_ISO_Lb0ESQ_SR_ST_SU_SY_EESZ_S10_S11_S12_S16_S17_S18_S1B_S1C_jS1D_jS1E_S1E_jjS1G_bEUljE0_EEESZ_S10_S11_S18_S1C_S1E_T6_T7_T9_mT8_S1G_bDpT10_ENKUlT_T0_E_clISt17integral_constantIbLb1EES1U_EEDaS1P_S1Q_EUlS1P_E_NS1_11comp_targetILNS1_3genE9ELNS1_11target_archE1100ELNS1_3gpuE3ELNS1_3repE0EEENS1_30default_config_static_selectorELNS0_4arch9wavefront6targetE1EEEvS12_
; %bb.0:
	.section	.rodata,"a",@progbits
	.p2align	6, 0x0
	.amdhsa_kernel _ZN7rocprim17ROCPRIM_400000_NS6detail17trampoline_kernelINS0_13select_configILj256ELj13ELNS0_17block_load_methodE3ELS4_3ELS4_3ELNS0_20block_scan_algorithmE0ELj4294967295EEENS1_25partition_config_selectorILNS1_17partition_subalgoE4EjNS0_10empty_typeEbEEZZNS1_14partition_implILS8_4ELb0ES6_15HIP_vector_typeIjLj2EENS0_17counting_iteratorIjlEEPS9_SG_NS0_5tupleIJPjSI_NS0_16reverse_iteratorISI_EEEEENSH_IJSG_SG_SG_EEES9_SI_JZNS1_25segmented_radix_sort_implINS0_14default_configELb0EPKiPiPKlPlN2at6native12_GLOBAL__N_18offset_tEEE10hipError_tPvRmT1_PNSt15iterator_traitsIS12_E10value_typeET2_T3_PNS13_IS18_E10value_typeET4_jRbjT5_S1E_jjP12ihipStream_tbEUljE_ZNSN_ISO_Lb0ESQ_SR_ST_SU_SY_EESZ_S10_S11_S12_S16_S17_S18_S1B_S1C_jS1D_jS1E_S1E_jjS1G_bEUljE0_EEESZ_S10_S11_S18_S1C_S1E_T6_T7_T9_mT8_S1G_bDpT10_ENKUlT_T0_E_clISt17integral_constantIbLb1EES1U_EEDaS1P_S1Q_EUlS1P_E_NS1_11comp_targetILNS1_3genE9ELNS1_11target_archE1100ELNS1_3gpuE3ELNS1_3repE0EEENS1_30default_config_static_selectorELNS0_4arch9wavefront6targetE1EEEvS12_
		.amdhsa_group_segment_fixed_size 0
		.amdhsa_private_segment_fixed_size 0
		.amdhsa_kernarg_size 184
		.amdhsa_user_sgpr_count 6
		.amdhsa_user_sgpr_private_segment_buffer 1
		.amdhsa_user_sgpr_dispatch_ptr 0
		.amdhsa_user_sgpr_queue_ptr 0
		.amdhsa_user_sgpr_kernarg_segment_ptr 1
		.amdhsa_user_sgpr_dispatch_id 0
		.amdhsa_user_sgpr_flat_scratch_init 0
		.amdhsa_user_sgpr_kernarg_preload_length 0
		.amdhsa_user_sgpr_kernarg_preload_offset 0
		.amdhsa_user_sgpr_private_segment_size 0
		.amdhsa_uses_dynamic_stack 0
		.amdhsa_system_sgpr_private_segment_wavefront_offset 0
		.amdhsa_system_sgpr_workgroup_id_x 1
		.amdhsa_system_sgpr_workgroup_id_y 0
		.amdhsa_system_sgpr_workgroup_id_z 0
		.amdhsa_system_sgpr_workgroup_info 0
		.amdhsa_system_vgpr_workitem_id 0
		.amdhsa_next_free_vgpr 1
		.amdhsa_next_free_sgpr 0
		.amdhsa_accum_offset 4
		.amdhsa_reserve_vcc 0
		.amdhsa_reserve_flat_scratch 0
		.amdhsa_float_round_mode_32 0
		.amdhsa_float_round_mode_16_64 0
		.amdhsa_float_denorm_mode_32 3
		.amdhsa_float_denorm_mode_16_64 3
		.amdhsa_dx10_clamp 1
		.amdhsa_ieee_mode 1
		.amdhsa_fp16_overflow 0
		.amdhsa_tg_split 0
		.amdhsa_exception_fp_ieee_invalid_op 0
		.amdhsa_exception_fp_denorm_src 0
		.amdhsa_exception_fp_ieee_div_zero 0
		.amdhsa_exception_fp_ieee_overflow 0
		.amdhsa_exception_fp_ieee_underflow 0
		.amdhsa_exception_fp_ieee_inexact 0
		.amdhsa_exception_int_div_zero 0
	.end_amdhsa_kernel
	.section	.text._ZN7rocprim17ROCPRIM_400000_NS6detail17trampoline_kernelINS0_13select_configILj256ELj13ELNS0_17block_load_methodE3ELS4_3ELS4_3ELNS0_20block_scan_algorithmE0ELj4294967295EEENS1_25partition_config_selectorILNS1_17partition_subalgoE4EjNS0_10empty_typeEbEEZZNS1_14partition_implILS8_4ELb0ES6_15HIP_vector_typeIjLj2EENS0_17counting_iteratorIjlEEPS9_SG_NS0_5tupleIJPjSI_NS0_16reverse_iteratorISI_EEEEENSH_IJSG_SG_SG_EEES9_SI_JZNS1_25segmented_radix_sort_implINS0_14default_configELb0EPKiPiPKlPlN2at6native12_GLOBAL__N_18offset_tEEE10hipError_tPvRmT1_PNSt15iterator_traitsIS12_E10value_typeET2_T3_PNS13_IS18_E10value_typeET4_jRbjT5_S1E_jjP12ihipStream_tbEUljE_ZNSN_ISO_Lb0ESQ_SR_ST_SU_SY_EESZ_S10_S11_S12_S16_S17_S18_S1B_S1C_jS1D_jS1E_S1E_jjS1G_bEUljE0_EEESZ_S10_S11_S18_S1C_S1E_T6_T7_T9_mT8_S1G_bDpT10_ENKUlT_T0_E_clISt17integral_constantIbLb1EES1U_EEDaS1P_S1Q_EUlS1P_E_NS1_11comp_targetILNS1_3genE9ELNS1_11target_archE1100ELNS1_3gpuE3ELNS1_3repE0EEENS1_30default_config_static_selectorELNS0_4arch9wavefront6targetE1EEEvS12_,"axG",@progbits,_ZN7rocprim17ROCPRIM_400000_NS6detail17trampoline_kernelINS0_13select_configILj256ELj13ELNS0_17block_load_methodE3ELS4_3ELS4_3ELNS0_20block_scan_algorithmE0ELj4294967295EEENS1_25partition_config_selectorILNS1_17partition_subalgoE4EjNS0_10empty_typeEbEEZZNS1_14partition_implILS8_4ELb0ES6_15HIP_vector_typeIjLj2EENS0_17counting_iteratorIjlEEPS9_SG_NS0_5tupleIJPjSI_NS0_16reverse_iteratorISI_EEEEENSH_IJSG_SG_SG_EEES9_SI_JZNS1_25segmented_radix_sort_implINS0_14default_configELb0EPKiPiPKlPlN2at6native12_GLOBAL__N_18offset_tEEE10hipError_tPvRmT1_PNSt15iterator_traitsIS12_E10value_typeET2_T3_PNS13_IS18_E10value_typeET4_jRbjT5_S1E_jjP12ihipStream_tbEUljE_ZNSN_ISO_Lb0ESQ_SR_ST_SU_SY_EESZ_S10_S11_S12_S16_S17_S18_S1B_S1C_jS1D_jS1E_S1E_jjS1G_bEUljE0_EEESZ_S10_S11_S18_S1C_S1E_T6_T7_T9_mT8_S1G_bDpT10_ENKUlT_T0_E_clISt17integral_constantIbLb1EES1U_EEDaS1P_S1Q_EUlS1P_E_NS1_11comp_targetILNS1_3genE9ELNS1_11target_archE1100ELNS1_3gpuE3ELNS1_3repE0EEENS1_30default_config_static_selectorELNS0_4arch9wavefront6targetE1EEEvS12_,comdat
.Lfunc_end550:
	.size	_ZN7rocprim17ROCPRIM_400000_NS6detail17trampoline_kernelINS0_13select_configILj256ELj13ELNS0_17block_load_methodE3ELS4_3ELS4_3ELNS0_20block_scan_algorithmE0ELj4294967295EEENS1_25partition_config_selectorILNS1_17partition_subalgoE4EjNS0_10empty_typeEbEEZZNS1_14partition_implILS8_4ELb0ES6_15HIP_vector_typeIjLj2EENS0_17counting_iteratorIjlEEPS9_SG_NS0_5tupleIJPjSI_NS0_16reverse_iteratorISI_EEEEENSH_IJSG_SG_SG_EEES9_SI_JZNS1_25segmented_radix_sort_implINS0_14default_configELb0EPKiPiPKlPlN2at6native12_GLOBAL__N_18offset_tEEE10hipError_tPvRmT1_PNSt15iterator_traitsIS12_E10value_typeET2_T3_PNS13_IS18_E10value_typeET4_jRbjT5_S1E_jjP12ihipStream_tbEUljE_ZNSN_ISO_Lb0ESQ_SR_ST_SU_SY_EESZ_S10_S11_S12_S16_S17_S18_S1B_S1C_jS1D_jS1E_S1E_jjS1G_bEUljE0_EEESZ_S10_S11_S18_S1C_S1E_T6_T7_T9_mT8_S1G_bDpT10_ENKUlT_T0_E_clISt17integral_constantIbLb1EES1U_EEDaS1P_S1Q_EUlS1P_E_NS1_11comp_targetILNS1_3genE9ELNS1_11target_archE1100ELNS1_3gpuE3ELNS1_3repE0EEENS1_30default_config_static_selectorELNS0_4arch9wavefront6targetE1EEEvS12_, .Lfunc_end550-_ZN7rocprim17ROCPRIM_400000_NS6detail17trampoline_kernelINS0_13select_configILj256ELj13ELNS0_17block_load_methodE3ELS4_3ELS4_3ELNS0_20block_scan_algorithmE0ELj4294967295EEENS1_25partition_config_selectorILNS1_17partition_subalgoE4EjNS0_10empty_typeEbEEZZNS1_14partition_implILS8_4ELb0ES6_15HIP_vector_typeIjLj2EENS0_17counting_iteratorIjlEEPS9_SG_NS0_5tupleIJPjSI_NS0_16reverse_iteratorISI_EEEEENSH_IJSG_SG_SG_EEES9_SI_JZNS1_25segmented_radix_sort_implINS0_14default_configELb0EPKiPiPKlPlN2at6native12_GLOBAL__N_18offset_tEEE10hipError_tPvRmT1_PNSt15iterator_traitsIS12_E10value_typeET2_T3_PNS13_IS18_E10value_typeET4_jRbjT5_S1E_jjP12ihipStream_tbEUljE_ZNSN_ISO_Lb0ESQ_SR_ST_SU_SY_EESZ_S10_S11_S12_S16_S17_S18_S1B_S1C_jS1D_jS1E_S1E_jjS1G_bEUljE0_EEESZ_S10_S11_S18_S1C_S1E_T6_T7_T9_mT8_S1G_bDpT10_ENKUlT_T0_E_clISt17integral_constantIbLb1EES1U_EEDaS1P_S1Q_EUlS1P_E_NS1_11comp_targetILNS1_3genE9ELNS1_11target_archE1100ELNS1_3gpuE3ELNS1_3repE0EEENS1_30default_config_static_selectorELNS0_4arch9wavefront6targetE1EEEvS12_
                                        ; -- End function
	.section	.AMDGPU.csdata,"",@progbits
; Kernel info:
; codeLenInByte = 0
; NumSgprs: 4
; NumVgprs: 0
; NumAgprs: 0
; TotalNumVgprs: 0
; ScratchSize: 0
; MemoryBound: 0
; FloatMode: 240
; IeeeMode: 1
; LDSByteSize: 0 bytes/workgroup (compile time only)
; SGPRBlocks: 0
; VGPRBlocks: 0
; NumSGPRsForWavesPerEU: 4
; NumVGPRsForWavesPerEU: 1
; AccumOffset: 4
; Occupancy: 8
; WaveLimiterHint : 0
; COMPUTE_PGM_RSRC2:SCRATCH_EN: 0
; COMPUTE_PGM_RSRC2:USER_SGPR: 6
; COMPUTE_PGM_RSRC2:TRAP_HANDLER: 0
; COMPUTE_PGM_RSRC2:TGID_X_EN: 1
; COMPUTE_PGM_RSRC2:TGID_Y_EN: 0
; COMPUTE_PGM_RSRC2:TGID_Z_EN: 0
; COMPUTE_PGM_RSRC2:TIDIG_COMP_CNT: 0
; COMPUTE_PGM_RSRC3_GFX90A:ACCUM_OFFSET: 0
; COMPUTE_PGM_RSRC3_GFX90A:TG_SPLIT: 0
	.section	.text._ZN7rocprim17ROCPRIM_400000_NS6detail17trampoline_kernelINS0_13select_configILj256ELj13ELNS0_17block_load_methodE3ELS4_3ELS4_3ELNS0_20block_scan_algorithmE0ELj4294967295EEENS1_25partition_config_selectorILNS1_17partition_subalgoE4EjNS0_10empty_typeEbEEZZNS1_14partition_implILS8_4ELb0ES6_15HIP_vector_typeIjLj2EENS0_17counting_iteratorIjlEEPS9_SG_NS0_5tupleIJPjSI_NS0_16reverse_iteratorISI_EEEEENSH_IJSG_SG_SG_EEES9_SI_JZNS1_25segmented_radix_sort_implINS0_14default_configELb0EPKiPiPKlPlN2at6native12_GLOBAL__N_18offset_tEEE10hipError_tPvRmT1_PNSt15iterator_traitsIS12_E10value_typeET2_T3_PNS13_IS18_E10value_typeET4_jRbjT5_S1E_jjP12ihipStream_tbEUljE_ZNSN_ISO_Lb0ESQ_SR_ST_SU_SY_EESZ_S10_S11_S12_S16_S17_S18_S1B_S1C_jS1D_jS1E_S1E_jjS1G_bEUljE0_EEESZ_S10_S11_S18_S1C_S1E_T6_T7_T9_mT8_S1G_bDpT10_ENKUlT_T0_E_clISt17integral_constantIbLb1EES1U_EEDaS1P_S1Q_EUlS1P_E_NS1_11comp_targetILNS1_3genE8ELNS1_11target_archE1030ELNS1_3gpuE2ELNS1_3repE0EEENS1_30default_config_static_selectorELNS0_4arch9wavefront6targetE1EEEvS12_,"axG",@progbits,_ZN7rocprim17ROCPRIM_400000_NS6detail17trampoline_kernelINS0_13select_configILj256ELj13ELNS0_17block_load_methodE3ELS4_3ELS4_3ELNS0_20block_scan_algorithmE0ELj4294967295EEENS1_25partition_config_selectorILNS1_17partition_subalgoE4EjNS0_10empty_typeEbEEZZNS1_14partition_implILS8_4ELb0ES6_15HIP_vector_typeIjLj2EENS0_17counting_iteratorIjlEEPS9_SG_NS0_5tupleIJPjSI_NS0_16reverse_iteratorISI_EEEEENSH_IJSG_SG_SG_EEES9_SI_JZNS1_25segmented_radix_sort_implINS0_14default_configELb0EPKiPiPKlPlN2at6native12_GLOBAL__N_18offset_tEEE10hipError_tPvRmT1_PNSt15iterator_traitsIS12_E10value_typeET2_T3_PNS13_IS18_E10value_typeET4_jRbjT5_S1E_jjP12ihipStream_tbEUljE_ZNSN_ISO_Lb0ESQ_SR_ST_SU_SY_EESZ_S10_S11_S12_S16_S17_S18_S1B_S1C_jS1D_jS1E_S1E_jjS1G_bEUljE0_EEESZ_S10_S11_S18_S1C_S1E_T6_T7_T9_mT8_S1G_bDpT10_ENKUlT_T0_E_clISt17integral_constantIbLb1EES1U_EEDaS1P_S1Q_EUlS1P_E_NS1_11comp_targetILNS1_3genE8ELNS1_11target_archE1030ELNS1_3gpuE2ELNS1_3repE0EEENS1_30default_config_static_selectorELNS0_4arch9wavefront6targetE1EEEvS12_,comdat
	.globl	_ZN7rocprim17ROCPRIM_400000_NS6detail17trampoline_kernelINS0_13select_configILj256ELj13ELNS0_17block_load_methodE3ELS4_3ELS4_3ELNS0_20block_scan_algorithmE0ELj4294967295EEENS1_25partition_config_selectorILNS1_17partition_subalgoE4EjNS0_10empty_typeEbEEZZNS1_14partition_implILS8_4ELb0ES6_15HIP_vector_typeIjLj2EENS0_17counting_iteratorIjlEEPS9_SG_NS0_5tupleIJPjSI_NS0_16reverse_iteratorISI_EEEEENSH_IJSG_SG_SG_EEES9_SI_JZNS1_25segmented_radix_sort_implINS0_14default_configELb0EPKiPiPKlPlN2at6native12_GLOBAL__N_18offset_tEEE10hipError_tPvRmT1_PNSt15iterator_traitsIS12_E10value_typeET2_T3_PNS13_IS18_E10value_typeET4_jRbjT5_S1E_jjP12ihipStream_tbEUljE_ZNSN_ISO_Lb0ESQ_SR_ST_SU_SY_EESZ_S10_S11_S12_S16_S17_S18_S1B_S1C_jS1D_jS1E_S1E_jjS1G_bEUljE0_EEESZ_S10_S11_S18_S1C_S1E_T6_T7_T9_mT8_S1G_bDpT10_ENKUlT_T0_E_clISt17integral_constantIbLb1EES1U_EEDaS1P_S1Q_EUlS1P_E_NS1_11comp_targetILNS1_3genE8ELNS1_11target_archE1030ELNS1_3gpuE2ELNS1_3repE0EEENS1_30default_config_static_selectorELNS0_4arch9wavefront6targetE1EEEvS12_ ; -- Begin function _ZN7rocprim17ROCPRIM_400000_NS6detail17trampoline_kernelINS0_13select_configILj256ELj13ELNS0_17block_load_methodE3ELS4_3ELS4_3ELNS0_20block_scan_algorithmE0ELj4294967295EEENS1_25partition_config_selectorILNS1_17partition_subalgoE4EjNS0_10empty_typeEbEEZZNS1_14partition_implILS8_4ELb0ES6_15HIP_vector_typeIjLj2EENS0_17counting_iteratorIjlEEPS9_SG_NS0_5tupleIJPjSI_NS0_16reverse_iteratorISI_EEEEENSH_IJSG_SG_SG_EEES9_SI_JZNS1_25segmented_radix_sort_implINS0_14default_configELb0EPKiPiPKlPlN2at6native12_GLOBAL__N_18offset_tEEE10hipError_tPvRmT1_PNSt15iterator_traitsIS12_E10value_typeET2_T3_PNS13_IS18_E10value_typeET4_jRbjT5_S1E_jjP12ihipStream_tbEUljE_ZNSN_ISO_Lb0ESQ_SR_ST_SU_SY_EESZ_S10_S11_S12_S16_S17_S18_S1B_S1C_jS1D_jS1E_S1E_jjS1G_bEUljE0_EEESZ_S10_S11_S18_S1C_S1E_T6_T7_T9_mT8_S1G_bDpT10_ENKUlT_T0_E_clISt17integral_constantIbLb1EES1U_EEDaS1P_S1Q_EUlS1P_E_NS1_11comp_targetILNS1_3genE8ELNS1_11target_archE1030ELNS1_3gpuE2ELNS1_3repE0EEENS1_30default_config_static_selectorELNS0_4arch9wavefront6targetE1EEEvS12_
	.p2align	8
	.type	_ZN7rocprim17ROCPRIM_400000_NS6detail17trampoline_kernelINS0_13select_configILj256ELj13ELNS0_17block_load_methodE3ELS4_3ELS4_3ELNS0_20block_scan_algorithmE0ELj4294967295EEENS1_25partition_config_selectorILNS1_17partition_subalgoE4EjNS0_10empty_typeEbEEZZNS1_14partition_implILS8_4ELb0ES6_15HIP_vector_typeIjLj2EENS0_17counting_iteratorIjlEEPS9_SG_NS0_5tupleIJPjSI_NS0_16reverse_iteratorISI_EEEEENSH_IJSG_SG_SG_EEES9_SI_JZNS1_25segmented_radix_sort_implINS0_14default_configELb0EPKiPiPKlPlN2at6native12_GLOBAL__N_18offset_tEEE10hipError_tPvRmT1_PNSt15iterator_traitsIS12_E10value_typeET2_T3_PNS13_IS18_E10value_typeET4_jRbjT5_S1E_jjP12ihipStream_tbEUljE_ZNSN_ISO_Lb0ESQ_SR_ST_SU_SY_EESZ_S10_S11_S12_S16_S17_S18_S1B_S1C_jS1D_jS1E_S1E_jjS1G_bEUljE0_EEESZ_S10_S11_S18_S1C_S1E_T6_T7_T9_mT8_S1G_bDpT10_ENKUlT_T0_E_clISt17integral_constantIbLb1EES1U_EEDaS1P_S1Q_EUlS1P_E_NS1_11comp_targetILNS1_3genE8ELNS1_11target_archE1030ELNS1_3gpuE2ELNS1_3repE0EEENS1_30default_config_static_selectorELNS0_4arch9wavefront6targetE1EEEvS12_,@function
_ZN7rocprim17ROCPRIM_400000_NS6detail17trampoline_kernelINS0_13select_configILj256ELj13ELNS0_17block_load_methodE3ELS4_3ELS4_3ELNS0_20block_scan_algorithmE0ELj4294967295EEENS1_25partition_config_selectorILNS1_17partition_subalgoE4EjNS0_10empty_typeEbEEZZNS1_14partition_implILS8_4ELb0ES6_15HIP_vector_typeIjLj2EENS0_17counting_iteratorIjlEEPS9_SG_NS0_5tupleIJPjSI_NS0_16reverse_iteratorISI_EEEEENSH_IJSG_SG_SG_EEES9_SI_JZNS1_25segmented_radix_sort_implINS0_14default_configELb0EPKiPiPKlPlN2at6native12_GLOBAL__N_18offset_tEEE10hipError_tPvRmT1_PNSt15iterator_traitsIS12_E10value_typeET2_T3_PNS13_IS18_E10value_typeET4_jRbjT5_S1E_jjP12ihipStream_tbEUljE_ZNSN_ISO_Lb0ESQ_SR_ST_SU_SY_EESZ_S10_S11_S12_S16_S17_S18_S1B_S1C_jS1D_jS1E_S1E_jjS1G_bEUljE0_EEESZ_S10_S11_S18_S1C_S1E_T6_T7_T9_mT8_S1G_bDpT10_ENKUlT_T0_E_clISt17integral_constantIbLb1EES1U_EEDaS1P_S1Q_EUlS1P_E_NS1_11comp_targetILNS1_3genE8ELNS1_11target_archE1030ELNS1_3gpuE2ELNS1_3repE0EEENS1_30default_config_static_selectorELNS0_4arch9wavefront6targetE1EEEvS12_: ; @_ZN7rocprim17ROCPRIM_400000_NS6detail17trampoline_kernelINS0_13select_configILj256ELj13ELNS0_17block_load_methodE3ELS4_3ELS4_3ELNS0_20block_scan_algorithmE0ELj4294967295EEENS1_25partition_config_selectorILNS1_17partition_subalgoE4EjNS0_10empty_typeEbEEZZNS1_14partition_implILS8_4ELb0ES6_15HIP_vector_typeIjLj2EENS0_17counting_iteratorIjlEEPS9_SG_NS0_5tupleIJPjSI_NS0_16reverse_iteratorISI_EEEEENSH_IJSG_SG_SG_EEES9_SI_JZNS1_25segmented_radix_sort_implINS0_14default_configELb0EPKiPiPKlPlN2at6native12_GLOBAL__N_18offset_tEEE10hipError_tPvRmT1_PNSt15iterator_traitsIS12_E10value_typeET2_T3_PNS13_IS18_E10value_typeET4_jRbjT5_S1E_jjP12ihipStream_tbEUljE_ZNSN_ISO_Lb0ESQ_SR_ST_SU_SY_EESZ_S10_S11_S12_S16_S17_S18_S1B_S1C_jS1D_jS1E_S1E_jjS1G_bEUljE0_EEESZ_S10_S11_S18_S1C_S1E_T6_T7_T9_mT8_S1G_bDpT10_ENKUlT_T0_E_clISt17integral_constantIbLb1EES1U_EEDaS1P_S1Q_EUlS1P_E_NS1_11comp_targetILNS1_3genE8ELNS1_11target_archE1030ELNS1_3gpuE2ELNS1_3repE0EEENS1_30default_config_static_selectorELNS0_4arch9wavefront6targetE1EEEvS12_
; %bb.0:
	.section	.rodata,"a",@progbits
	.p2align	6, 0x0
	.amdhsa_kernel _ZN7rocprim17ROCPRIM_400000_NS6detail17trampoline_kernelINS0_13select_configILj256ELj13ELNS0_17block_load_methodE3ELS4_3ELS4_3ELNS0_20block_scan_algorithmE0ELj4294967295EEENS1_25partition_config_selectorILNS1_17partition_subalgoE4EjNS0_10empty_typeEbEEZZNS1_14partition_implILS8_4ELb0ES6_15HIP_vector_typeIjLj2EENS0_17counting_iteratorIjlEEPS9_SG_NS0_5tupleIJPjSI_NS0_16reverse_iteratorISI_EEEEENSH_IJSG_SG_SG_EEES9_SI_JZNS1_25segmented_radix_sort_implINS0_14default_configELb0EPKiPiPKlPlN2at6native12_GLOBAL__N_18offset_tEEE10hipError_tPvRmT1_PNSt15iterator_traitsIS12_E10value_typeET2_T3_PNS13_IS18_E10value_typeET4_jRbjT5_S1E_jjP12ihipStream_tbEUljE_ZNSN_ISO_Lb0ESQ_SR_ST_SU_SY_EESZ_S10_S11_S12_S16_S17_S18_S1B_S1C_jS1D_jS1E_S1E_jjS1G_bEUljE0_EEESZ_S10_S11_S18_S1C_S1E_T6_T7_T9_mT8_S1G_bDpT10_ENKUlT_T0_E_clISt17integral_constantIbLb1EES1U_EEDaS1P_S1Q_EUlS1P_E_NS1_11comp_targetILNS1_3genE8ELNS1_11target_archE1030ELNS1_3gpuE2ELNS1_3repE0EEENS1_30default_config_static_selectorELNS0_4arch9wavefront6targetE1EEEvS12_
		.amdhsa_group_segment_fixed_size 0
		.amdhsa_private_segment_fixed_size 0
		.amdhsa_kernarg_size 184
		.amdhsa_user_sgpr_count 6
		.amdhsa_user_sgpr_private_segment_buffer 1
		.amdhsa_user_sgpr_dispatch_ptr 0
		.amdhsa_user_sgpr_queue_ptr 0
		.amdhsa_user_sgpr_kernarg_segment_ptr 1
		.amdhsa_user_sgpr_dispatch_id 0
		.amdhsa_user_sgpr_flat_scratch_init 0
		.amdhsa_user_sgpr_kernarg_preload_length 0
		.amdhsa_user_sgpr_kernarg_preload_offset 0
		.amdhsa_user_sgpr_private_segment_size 0
		.amdhsa_uses_dynamic_stack 0
		.amdhsa_system_sgpr_private_segment_wavefront_offset 0
		.amdhsa_system_sgpr_workgroup_id_x 1
		.amdhsa_system_sgpr_workgroup_id_y 0
		.amdhsa_system_sgpr_workgroup_id_z 0
		.amdhsa_system_sgpr_workgroup_info 0
		.amdhsa_system_vgpr_workitem_id 0
		.amdhsa_next_free_vgpr 1
		.amdhsa_next_free_sgpr 0
		.amdhsa_accum_offset 4
		.amdhsa_reserve_vcc 0
		.amdhsa_reserve_flat_scratch 0
		.amdhsa_float_round_mode_32 0
		.amdhsa_float_round_mode_16_64 0
		.amdhsa_float_denorm_mode_32 3
		.amdhsa_float_denorm_mode_16_64 3
		.amdhsa_dx10_clamp 1
		.amdhsa_ieee_mode 1
		.amdhsa_fp16_overflow 0
		.amdhsa_tg_split 0
		.amdhsa_exception_fp_ieee_invalid_op 0
		.amdhsa_exception_fp_denorm_src 0
		.amdhsa_exception_fp_ieee_div_zero 0
		.amdhsa_exception_fp_ieee_overflow 0
		.amdhsa_exception_fp_ieee_underflow 0
		.amdhsa_exception_fp_ieee_inexact 0
		.amdhsa_exception_int_div_zero 0
	.end_amdhsa_kernel
	.section	.text._ZN7rocprim17ROCPRIM_400000_NS6detail17trampoline_kernelINS0_13select_configILj256ELj13ELNS0_17block_load_methodE3ELS4_3ELS4_3ELNS0_20block_scan_algorithmE0ELj4294967295EEENS1_25partition_config_selectorILNS1_17partition_subalgoE4EjNS0_10empty_typeEbEEZZNS1_14partition_implILS8_4ELb0ES6_15HIP_vector_typeIjLj2EENS0_17counting_iteratorIjlEEPS9_SG_NS0_5tupleIJPjSI_NS0_16reverse_iteratorISI_EEEEENSH_IJSG_SG_SG_EEES9_SI_JZNS1_25segmented_radix_sort_implINS0_14default_configELb0EPKiPiPKlPlN2at6native12_GLOBAL__N_18offset_tEEE10hipError_tPvRmT1_PNSt15iterator_traitsIS12_E10value_typeET2_T3_PNS13_IS18_E10value_typeET4_jRbjT5_S1E_jjP12ihipStream_tbEUljE_ZNSN_ISO_Lb0ESQ_SR_ST_SU_SY_EESZ_S10_S11_S12_S16_S17_S18_S1B_S1C_jS1D_jS1E_S1E_jjS1G_bEUljE0_EEESZ_S10_S11_S18_S1C_S1E_T6_T7_T9_mT8_S1G_bDpT10_ENKUlT_T0_E_clISt17integral_constantIbLb1EES1U_EEDaS1P_S1Q_EUlS1P_E_NS1_11comp_targetILNS1_3genE8ELNS1_11target_archE1030ELNS1_3gpuE2ELNS1_3repE0EEENS1_30default_config_static_selectorELNS0_4arch9wavefront6targetE1EEEvS12_,"axG",@progbits,_ZN7rocprim17ROCPRIM_400000_NS6detail17trampoline_kernelINS0_13select_configILj256ELj13ELNS0_17block_load_methodE3ELS4_3ELS4_3ELNS0_20block_scan_algorithmE0ELj4294967295EEENS1_25partition_config_selectorILNS1_17partition_subalgoE4EjNS0_10empty_typeEbEEZZNS1_14partition_implILS8_4ELb0ES6_15HIP_vector_typeIjLj2EENS0_17counting_iteratorIjlEEPS9_SG_NS0_5tupleIJPjSI_NS0_16reverse_iteratorISI_EEEEENSH_IJSG_SG_SG_EEES9_SI_JZNS1_25segmented_radix_sort_implINS0_14default_configELb0EPKiPiPKlPlN2at6native12_GLOBAL__N_18offset_tEEE10hipError_tPvRmT1_PNSt15iterator_traitsIS12_E10value_typeET2_T3_PNS13_IS18_E10value_typeET4_jRbjT5_S1E_jjP12ihipStream_tbEUljE_ZNSN_ISO_Lb0ESQ_SR_ST_SU_SY_EESZ_S10_S11_S12_S16_S17_S18_S1B_S1C_jS1D_jS1E_S1E_jjS1G_bEUljE0_EEESZ_S10_S11_S18_S1C_S1E_T6_T7_T9_mT8_S1G_bDpT10_ENKUlT_T0_E_clISt17integral_constantIbLb1EES1U_EEDaS1P_S1Q_EUlS1P_E_NS1_11comp_targetILNS1_3genE8ELNS1_11target_archE1030ELNS1_3gpuE2ELNS1_3repE0EEENS1_30default_config_static_selectorELNS0_4arch9wavefront6targetE1EEEvS12_,comdat
.Lfunc_end551:
	.size	_ZN7rocprim17ROCPRIM_400000_NS6detail17trampoline_kernelINS0_13select_configILj256ELj13ELNS0_17block_load_methodE3ELS4_3ELS4_3ELNS0_20block_scan_algorithmE0ELj4294967295EEENS1_25partition_config_selectorILNS1_17partition_subalgoE4EjNS0_10empty_typeEbEEZZNS1_14partition_implILS8_4ELb0ES6_15HIP_vector_typeIjLj2EENS0_17counting_iteratorIjlEEPS9_SG_NS0_5tupleIJPjSI_NS0_16reverse_iteratorISI_EEEEENSH_IJSG_SG_SG_EEES9_SI_JZNS1_25segmented_radix_sort_implINS0_14default_configELb0EPKiPiPKlPlN2at6native12_GLOBAL__N_18offset_tEEE10hipError_tPvRmT1_PNSt15iterator_traitsIS12_E10value_typeET2_T3_PNS13_IS18_E10value_typeET4_jRbjT5_S1E_jjP12ihipStream_tbEUljE_ZNSN_ISO_Lb0ESQ_SR_ST_SU_SY_EESZ_S10_S11_S12_S16_S17_S18_S1B_S1C_jS1D_jS1E_S1E_jjS1G_bEUljE0_EEESZ_S10_S11_S18_S1C_S1E_T6_T7_T9_mT8_S1G_bDpT10_ENKUlT_T0_E_clISt17integral_constantIbLb1EES1U_EEDaS1P_S1Q_EUlS1P_E_NS1_11comp_targetILNS1_3genE8ELNS1_11target_archE1030ELNS1_3gpuE2ELNS1_3repE0EEENS1_30default_config_static_selectorELNS0_4arch9wavefront6targetE1EEEvS12_, .Lfunc_end551-_ZN7rocprim17ROCPRIM_400000_NS6detail17trampoline_kernelINS0_13select_configILj256ELj13ELNS0_17block_load_methodE3ELS4_3ELS4_3ELNS0_20block_scan_algorithmE0ELj4294967295EEENS1_25partition_config_selectorILNS1_17partition_subalgoE4EjNS0_10empty_typeEbEEZZNS1_14partition_implILS8_4ELb0ES6_15HIP_vector_typeIjLj2EENS0_17counting_iteratorIjlEEPS9_SG_NS0_5tupleIJPjSI_NS0_16reverse_iteratorISI_EEEEENSH_IJSG_SG_SG_EEES9_SI_JZNS1_25segmented_radix_sort_implINS0_14default_configELb0EPKiPiPKlPlN2at6native12_GLOBAL__N_18offset_tEEE10hipError_tPvRmT1_PNSt15iterator_traitsIS12_E10value_typeET2_T3_PNS13_IS18_E10value_typeET4_jRbjT5_S1E_jjP12ihipStream_tbEUljE_ZNSN_ISO_Lb0ESQ_SR_ST_SU_SY_EESZ_S10_S11_S12_S16_S17_S18_S1B_S1C_jS1D_jS1E_S1E_jjS1G_bEUljE0_EEESZ_S10_S11_S18_S1C_S1E_T6_T7_T9_mT8_S1G_bDpT10_ENKUlT_T0_E_clISt17integral_constantIbLb1EES1U_EEDaS1P_S1Q_EUlS1P_E_NS1_11comp_targetILNS1_3genE8ELNS1_11target_archE1030ELNS1_3gpuE2ELNS1_3repE0EEENS1_30default_config_static_selectorELNS0_4arch9wavefront6targetE1EEEvS12_
                                        ; -- End function
	.section	.AMDGPU.csdata,"",@progbits
; Kernel info:
; codeLenInByte = 0
; NumSgprs: 4
; NumVgprs: 0
; NumAgprs: 0
; TotalNumVgprs: 0
; ScratchSize: 0
; MemoryBound: 0
; FloatMode: 240
; IeeeMode: 1
; LDSByteSize: 0 bytes/workgroup (compile time only)
; SGPRBlocks: 0
; VGPRBlocks: 0
; NumSGPRsForWavesPerEU: 4
; NumVGPRsForWavesPerEU: 1
; AccumOffset: 4
; Occupancy: 8
; WaveLimiterHint : 0
; COMPUTE_PGM_RSRC2:SCRATCH_EN: 0
; COMPUTE_PGM_RSRC2:USER_SGPR: 6
; COMPUTE_PGM_RSRC2:TRAP_HANDLER: 0
; COMPUTE_PGM_RSRC2:TGID_X_EN: 1
; COMPUTE_PGM_RSRC2:TGID_Y_EN: 0
; COMPUTE_PGM_RSRC2:TGID_Z_EN: 0
; COMPUTE_PGM_RSRC2:TIDIG_COMP_CNT: 0
; COMPUTE_PGM_RSRC3_GFX90A:ACCUM_OFFSET: 0
; COMPUTE_PGM_RSRC3_GFX90A:TG_SPLIT: 0
	.section	.text._ZN7rocprim17ROCPRIM_400000_NS6detail17trampoline_kernelINS0_13select_configILj256ELj13ELNS0_17block_load_methodE3ELS4_3ELS4_3ELNS0_20block_scan_algorithmE0ELj4294967295EEENS1_25partition_config_selectorILNS1_17partition_subalgoE4EjNS0_10empty_typeEbEEZZNS1_14partition_implILS8_4ELb0ES6_15HIP_vector_typeIjLj2EENS0_17counting_iteratorIjlEEPS9_SG_NS0_5tupleIJPjSI_NS0_16reverse_iteratorISI_EEEEENSH_IJSG_SG_SG_EEES9_SI_JZNS1_25segmented_radix_sort_implINS0_14default_configELb0EPKiPiPKlPlN2at6native12_GLOBAL__N_18offset_tEEE10hipError_tPvRmT1_PNSt15iterator_traitsIS12_E10value_typeET2_T3_PNS13_IS18_E10value_typeET4_jRbjT5_S1E_jjP12ihipStream_tbEUljE_ZNSN_ISO_Lb0ESQ_SR_ST_SU_SY_EESZ_S10_S11_S12_S16_S17_S18_S1B_S1C_jS1D_jS1E_S1E_jjS1G_bEUljE0_EEESZ_S10_S11_S18_S1C_S1E_T6_T7_T9_mT8_S1G_bDpT10_ENKUlT_T0_E_clISt17integral_constantIbLb1EES1T_IbLb0EEEEDaS1P_S1Q_EUlS1P_E_NS1_11comp_targetILNS1_3genE0ELNS1_11target_archE4294967295ELNS1_3gpuE0ELNS1_3repE0EEENS1_30default_config_static_selectorELNS0_4arch9wavefront6targetE1EEEvS12_,"axG",@progbits,_ZN7rocprim17ROCPRIM_400000_NS6detail17trampoline_kernelINS0_13select_configILj256ELj13ELNS0_17block_load_methodE3ELS4_3ELS4_3ELNS0_20block_scan_algorithmE0ELj4294967295EEENS1_25partition_config_selectorILNS1_17partition_subalgoE4EjNS0_10empty_typeEbEEZZNS1_14partition_implILS8_4ELb0ES6_15HIP_vector_typeIjLj2EENS0_17counting_iteratorIjlEEPS9_SG_NS0_5tupleIJPjSI_NS0_16reverse_iteratorISI_EEEEENSH_IJSG_SG_SG_EEES9_SI_JZNS1_25segmented_radix_sort_implINS0_14default_configELb0EPKiPiPKlPlN2at6native12_GLOBAL__N_18offset_tEEE10hipError_tPvRmT1_PNSt15iterator_traitsIS12_E10value_typeET2_T3_PNS13_IS18_E10value_typeET4_jRbjT5_S1E_jjP12ihipStream_tbEUljE_ZNSN_ISO_Lb0ESQ_SR_ST_SU_SY_EESZ_S10_S11_S12_S16_S17_S18_S1B_S1C_jS1D_jS1E_S1E_jjS1G_bEUljE0_EEESZ_S10_S11_S18_S1C_S1E_T6_T7_T9_mT8_S1G_bDpT10_ENKUlT_T0_E_clISt17integral_constantIbLb1EES1T_IbLb0EEEEDaS1P_S1Q_EUlS1P_E_NS1_11comp_targetILNS1_3genE0ELNS1_11target_archE4294967295ELNS1_3gpuE0ELNS1_3repE0EEENS1_30default_config_static_selectorELNS0_4arch9wavefront6targetE1EEEvS12_,comdat
	.globl	_ZN7rocprim17ROCPRIM_400000_NS6detail17trampoline_kernelINS0_13select_configILj256ELj13ELNS0_17block_load_methodE3ELS4_3ELS4_3ELNS0_20block_scan_algorithmE0ELj4294967295EEENS1_25partition_config_selectorILNS1_17partition_subalgoE4EjNS0_10empty_typeEbEEZZNS1_14partition_implILS8_4ELb0ES6_15HIP_vector_typeIjLj2EENS0_17counting_iteratorIjlEEPS9_SG_NS0_5tupleIJPjSI_NS0_16reverse_iteratorISI_EEEEENSH_IJSG_SG_SG_EEES9_SI_JZNS1_25segmented_radix_sort_implINS0_14default_configELb0EPKiPiPKlPlN2at6native12_GLOBAL__N_18offset_tEEE10hipError_tPvRmT1_PNSt15iterator_traitsIS12_E10value_typeET2_T3_PNS13_IS18_E10value_typeET4_jRbjT5_S1E_jjP12ihipStream_tbEUljE_ZNSN_ISO_Lb0ESQ_SR_ST_SU_SY_EESZ_S10_S11_S12_S16_S17_S18_S1B_S1C_jS1D_jS1E_S1E_jjS1G_bEUljE0_EEESZ_S10_S11_S18_S1C_S1E_T6_T7_T9_mT8_S1G_bDpT10_ENKUlT_T0_E_clISt17integral_constantIbLb1EES1T_IbLb0EEEEDaS1P_S1Q_EUlS1P_E_NS1_11comp_targetILNS1_3genE0ELNS1_11target_archE4294967295ELNS1_3gpuE0ELNS1_3repE0EEENS1_30default_config_static_selectorELNS0_4arch9wavefront6targetE1EEEvS12_ ; -- Begin function _ZN7rocprim17ROCPRIM_400000_NS6detail17trampoline_kernelINS0_13select_configILj256ELj13ELNS0_17block_load_methodE3ELS4_3ELS4_3ELNS0_20block_scan_algorithmE0ELj4294967295EEENS1_25partition_config_selectorILNS1_17partition_subalgoE4EjNS0_10empty_typeEbEEZZNS1_14partition_implILS8_4ELb0ES6_15HIP_vector_typeIjLj2EENS0_17counting_iteratorIjlEEPS9_SG_NS0_5tupleIJPjSI_NS0_16reverse_iteratorISI_EEEEENSH_IJSG_SG_SG_EEES9_SI_JZNS1_25segmented_radix_sort_implINS0_14default_configELb0EPKiPiPKlPlN2at6native12_GLOBAL__N_18offset_tEEE10hipError_tPvRmT1_PNSt15iterator_traitsIS12_E10value_typeET2_T3_PNS13_IS18_E10value_typeET4_jRbjT5_S1E_jjP12ihipStream_tbEUljE_ZNSN_ISO_Lb0ESQ_SR_ST_SU_SY_EESZ_S10_S11_S12_S16_S17_S18_S1B_S1C_jS1D_jS1E_S1E_jjS1G_bEUljE0_EEESZ_S10_S11_S18_S1C_S1E_T6_T7_T9_mT8_S1G_bDpT10_ENKUlT_T0_E_clISt17integral_constantIbLb1EES1T_IbLb0EEEEDaS1P_S1Q_EUlS1P_E_NS1_11comp_targetILNS1_3genE0ELNS1_11target_archE4294967295ELNS1_3gpuE0ELNS1_3repE0EEENS1_30default_config_static_selectorELNS0_4arch9wavefront6targetE1EEEvS12_
	.p2align	8
	.type	_ZN7rocprim17ROCPRIM_400000_NS6detail17trampoline_kernelINS0_13select_configILj256ELj13ELNS0_17block_load_methodE3ELS4_3ELS4_3ELNS0_20block_scan_algorithmE0ELj4294967295EEENS1_25partition_config_selectorILNS1_17partition_subalgoE4EjNS0_10empty_typeEbEEZZNS1_14partition_implILS8_4ELb0ES6_15HIP_vector_typeIjLj2EENS0_17counting_iteratorIjlEEPS9_SG_NS0_5tupleIJPjSI_NS0_16reverse_iteratorISI_EEEEENSH_IJSG_SG_SG_EEES9_SI_JZNS1_25segmented_radix_sort_implINS0_14default_configELb0EPKiPiPKlPlN2at6native12_GLOBAL__N_18offset_tEEE10hipError_tPvRmT1_PNSt15iterator_traitsIS12_E10value_typeET2_T3_PNS13_IS18_E10value_typeET4_jRbjT5_S1E_jjP12ihipStream_tbEUljE_ZNSN_ISO_Lb0ESQ_SR_ST_SU_SY_EESZ_S10_S11_S12_S16_S17_S18_S1B_S1C_jS1D_jS1E_S1E_jjS1G_bEUljE0_EEESZ_S10_S11_S18_S1C_S1E_T6_T7_T9_mT8_S1G_bDpT10_ENKUlT_T0_E_clISt17integral_constantIbLb1EES1T_IbLb0EEEEDaS1P_S1Q_EUlS1P_E_NS1_11comp_targetILNS1_3genE0ELNS1_11target_archE4294967295ELNS1_3gpuE0ELNS1_3repE0EEENS1_30default_config_static_selectorELNS0_4arch9wavefront6targetE1EEEvS12_,@function
_ZN7rocprim17ROCPRIM_400000_NS6detail17trampoline_kernelINS0_13select_configILj256ELj13ELNS0_17block_load_methodE3ELS4_3ELS4_3ELNS0_20block_scan_algorithmE0ELj4294967295EEENS1_25partition_config_selectorILNS1_17partition_subalgoE4EjNS0_10empty_typeEbEEZZNS1_14partition_implILS8_4ELb0ES6_15HIP_vector_typeIjLj2EENS0_17counting_iteratorIjlEEPS9_SG_NS0_5tupleIJPjSI_NS0_16reverse_iteratorISI_EEEEENSH_IJSG_SG_SG_EEES9_SI_JZNS1_25segmented_radix_sort_implINS0_14default_configELb0EPKiPiPKlPlN2at6native12_GLOBAL__N_18offset_tEEE10hipError_tPvRmT1_PNSt15iterator_traitsIS12_E10value_typeET2_T3_PNS13_IS18_E10value_typeET4_jRbjT5_S1E_jjP12ihipStream_tbEUljE_ZNSN_ISO_Lb0ESQ_SR_ST_SU_SY_EESZ_S10_S11_S12_S16_S17_S18_S1B_S1C_jS1D_jS1E_S1E_jjS1G_bEUljE0_EEESZ_S10_S11_S18_S1C_S1E_T6_T7_T9_mT8_S1G_bDpT10_ENKUlT_T0_E_clISt17integral_constantIbLb1EES1T_IbLb0EEEEDaS1P_S1Q_EUlS1P_E_NS1_11comp_targetILNS1_3genE0ELNS1_11target_archE4294967295ELNS1_3gpuE0ELNS1_3repE0EEENS1_30default_config_static_selectorELNS0_4arch9wavefront6targetE1EEEvS12_: ; @_ZN7rocprim17ROCPRIM_400000_NS6detail17trampoline_kernelINS0_13select_configILj256ELj13ELNS0_17block_load_methodE3ELS4_3ELS4_3ELNS0_20block_scan_algorithmE0ELj4294967295EEENS1_25partition_config_selectorILNS1_17partition_subalgoE4EjNS0_10empty_typeEbEEZZNS1_14partition_implILS8_4ELb0ES6_15HIP_vector_typeIjLj2EENS0_17counting_iteratorIjlEEPS9_SG_NS0_5tupleIJPjSI_NS0_16reverse_iteratorISI_EEEEENSH_IJSG_SG_SG_EEES9_SI_JZNS1_25segmented_radix_sort_implINS0_14default_configELb0EPKiPiPKlPlN2at6native12_GLOBAL__N_18offset_tEEE10hipError_tPvRmT1_PNSt15iterator_traitsIS12_E10value_typeET2_T3_PNS13_IS18_E10value_typeET4_jRbjT5_S1E_jjP12ihipStream_tbEUljE_ZNSN_ISO_Lb0ESQ_SR_ST_SU_SY_EESZ_S10_S11_S12_S16_S17_S18_S1B_S1C_jS1D_jS1E_S1E_jjS1G_bEUljE0_EEESZ_S10_S11_S18_S1C_S1E_T6_T7_T9_mT8_S1G_bDpT10_ENKUlT_T0_E_clISt17integral_constantIbLb1EES1T_IbLb0EEEEDaS1P_S1Q_EUlS1P_E_NS1_11comp_targetILNS1_3genE0ELNS1_11target_archE4294967295ELNS1_3gpuE0ELNS1_3repE0EEENS1_30default_config_static_selectorELNS0_4arch9wavefront6targetE1EEEvS12_
; %bb.0:
	.section	.rodata,"a",@progbits
	.p2align	6, 0x0
	.amdhsa_kernel _ZN7rocprim17ROCPRIM_400000_NS6detail17trampoline_kernelINS0_13select_configILj256ELj13ELNS0_17block_load_methodE3ELS4_3ELS4_3ELNS0_20block_scan_algorithmE0ELj4294967295EEENS1_25partition_config_selectorILNS1_17partition_subalgoE4EjNS0_10empty_typeEbEEZZNS1_14partition_implILS8_4ELb0ES6_15HIP_vector_typeIjLj2EENS0_17counting_iteratorIjlEEPS9_SG_NS0_5tupleIJPjSI_NS0_16reverse_iteratorISI_EEEEENSH_IJSG_SG_SG_EEES9_SI_JZNS1_25segmented_radix_sort_implINS0_14default_configELb0EPKiPiPKlPlN2at6native12_GLOBAL__N_18offset_tEEE10hipError_tPvRmT1_PNSt15iterator_traitsIS12_E10value_typeET2_T3_PNS13_IS18_E10value_typeET4_jRbjT5_S1E_jjP12ihipStream_tbEUljE_ZNSN_ISO_Lb0ESQ_SR_ST_SU_SY_EESZ_S10_S11_S12_S16_S17_S18_S1B_S1C_jS1D_jS1E_S1E_jjS1G_bEUljE0_EEESZ_S10_S11_S18_S1C_S1E_T6_T7_T9_mT8_S1G_bDpT10_ENKUlT_T0_E_clISt17integral_constantIbLb1EES1T_IbLb0EEEEDaS1P_S1Q_EUlS1P_E_NS1_11comp_targetILNS1_3genE0ELNS1_11target_archE4294967295ELNS1_3gpuE0ELNS1_3repE0EEENS1_30default_config_static_selectorELNS0_4arch9wavefront6targetE1EEEvS12_
		.amdhsa_group_segment_fixed_size 0
		.amdhsa_private_segment_fixed_size 0
		.amdhsa_kernarg_size 176
		.amdhsa_user_sgpr_count 6
		.amdhsa_user_sgpr_private_segment_buffer 1
		.amdhsa_user_sgpr_dispatch_ptr 0
		.amdhsa_user_sgpr_queue_ptr 0
		.amdhsa_user_sgpr_kernarg_segment_ptr 1
		.amdhsa_user_sgpr_dispatch_id 0
		.amdhsa_user_sgpr_flat_scratch_init 0
		.amdhsa_user_sgpr_kernarg_preload_length 0
		.amdhsa_user_sgpr_kernarg_preload_offset 0
		.amdhsa_user_sgpr_private_segment_size 0
		.amdhsa_uses_dynamic_stack 0
		.amdhsa_system_sgpr_private_segment_wavefront_offset 0
		.amdhsa_system_sgpr_workgroup_id_x 1
		.amdhsa_system_sgpr_workgroup_id_y 0
		.amdhsa_system_sgpr_workgroup_id_z 0
		.amdhsa_system_sgpr_workgroup_info 0
		.amdhsa_system_vgpr_workitem_id 0
		.amdhsa_next_free_vgpr 1
		.amdhsa_next_free_sgpr 0
		.amdhsa_accum_offset 4
		.amdhsa_reserve_vcc 0
		.amdhsa_reserve_flat_scratch 0
		.amdhsa_float_round_mode_32 0
		.amdhsa_float_round_mode_16_64 0
		.amdhsa_float_denorm_mode_32 3
		.amdhsa_float_denorm_mode_16_64 3
		.amdhsa_dx10_clamp 1
		.amdhsa_ieee_mode 1
		.amdhsa_fp16_overflow 0
		.amdhsa_tg_split 0
		.amdhsa_exception_fp_ieee_invalid_op 0
		.amdhsa_exception_fp_denorm_src 0
		.amdhsa_exception_fp_ieee_div_zero 0
		.amdhsa_exception_fp_ieee_overflow 0
		.amdhsa_exception_fp_ieee_underflow 0
		.amdhsa_exception_fp_ieee_inexact 0
		.amdhsa_exception_int_div_zero 0
	.end_amdhsa_kernel
	.section	.text._ZN7rocprim17ROCPRIM_400000_NS6detail17trampoline_kernelINS0_13select_configILj256ELj13ELNS0_17block_load_methodE3ELS4_3ELS4_3ELNS0_20block_scan_algorithmE0ELj4294967295EEENS1_25partition_config_selectorILNS1_17partition_subalgoE4EjNS0_10empty_typeEbEEZZNS1_14partition_implILS8_4ELb0ES6_15HIP_vector_typeIjLj2EENS0_17counting_iteratorIjlEEPS9_SG_NS0_5tupleIJPjSI_NS0_16reverse_iteratorISI_EEEEENSH_IJSG_SG_SG_EEES9_SI_JZNS1_25segmented_radix_sort_implINS0_14default_configELb0EPKiPiPKlPlN2at6native12_GLOBAL__N_18offset_tEEE10hipError_tPvRmT1_PNSt15iterator_traitsIS12_E10value_typeET2_T3_PNS13_IS18_E10value_typeET4_jRbjT5_S1E_jjP12ihipStream_tbEUljE_ZNSN_ISO_Lb0ESQ_SR_ST_SU_SY_EESZ_S10_S11_S12_S16_S17_S18_S1B_S1C_jS1D_jS1E_S1E_jjS1G_bEUljE0_EEESZ_S10_S11_S18_S1C_S1E_T6_T7_T9_mT8_S1G_bDpT10_ENKUlT_T0_E_clISt17integral_constantIbLb1EES1T_IbLb0EEEEDaS1P_S1Q_EUlS1P_E_NS1_11comp_targetILNS1_3genE0ELNS1_11target_archE4294967295ELNS1_3gpuE0ELNS1_3repE0EEENS1_30default_config_static_selectorELNS0_4arch9wavefront6targetE1EEEvS12_,"axG",@progbits,_ZN7rocprim17ROCPRIM_400000_NS6detail17trampoline_kernelINS0_13select_configILj256ELj13ELNS0_17block_load_methodE3ELS4_3ELS4_3ELNS0_20block_scan_algorithmE0ELj4294967295EEENS1_25partition_config_selectorILNS1_17partition_subalgoE4EjNS0_10empty_typeEbEEZZNS1_14partition_implILS8_4ELb0ES6_15HIP_vector_typeIjLj2EENS0_17counting_iteratorIjlEEPS9_SG_NS0_5tupleIJPjSI_NS0_16reverse_iteratorISI_EEEEENSH_IJSG_SG_SG_EEES9_SI_JZNS1_25segmented_radix_sort_implINS0_14default_configELb0EPKiPiPKlPlN2at6native12_GLOBAL__N_18offset_tEEE10hipError_tPvRmT1_PNSt15iterator_traitsIS12_E10value_typeET2_T3_PNS13_IS18_E10value_typeET4_jRbjT5_S1E_jjP12ihipStream_tbEUljE_ZNSN_ISO_Lb0ESQ_SR_ST_SU_SY_EESZ_S10_S11_S12_S16_S17_S18_S1B_S1C_jS1D_jS1E_S1E_jjS1G_bEUljE0_EEESZ_S10_S11_S18_S1C_S1E_T6_T7_T9_mT8_S1G_bDpT10_ENKUlT_T0_E_clISt17integral_constantIbLb1EES1T_IbLb0EEEEDaS1P_S1Q_EUlS1P_E_NS1_11comp_targetILNS1_3genE0ELNS1_11target_archE4294967295ELNS1_3gpuE0ELNS1_3repE0EEENS1_30default_config_static_selectorELNS0_4arch9wavefront6targetE1EEEvS12_,comdat
.Lfunc_end552:
	.size	_ZN7rocprim17ROCPRIM_400000_NS6detail17trampoline_kernelINS0_13select_configILj256ELj13ELNS0_17block_load_methodE3ELS4_3ELS4_3ELNS0_20block_scan_algorithmE0ELj4294967295EEENS1_25partition_config_selectorILNS1_17partition_subalgoE4EjNS0_10empty_typeEbEEZZNS1_14partition_implILS8_4ELb0ES6_15HIP_vector_typeIjLj2EENS0_17counting_iteratorIjlEEPS9_SG_NS0_5tupleIJPjSI_NS0_16reverse_iteratorISI_EEEEENSH_IJSG_SG_SG_EEES9_SI_JZNS1_25segmented_radix_sort_implINS0_14default_configELb0EPKiPiPKlPlN2at6native12_GLOBAL__N_18offset_tEEE10hipError_tPvRmT1_PNSt15iterator_traitsIS12_E10value_typeET2_T3_PNS13_IS18_E10value_typeET4_jRbjT5_S1E_jjP12ihipStream_tbEUljE_ZNSN_ISO_Lb0ESQ_SR_ST_SU_SY_EESZ_S10_S11_S12_S16_S17_S18_S1B_S1C_jS1D_jS1E_S1E_jjS1G_bEUljE0_EEESZ_S10_S11_S18_S1C_S1E_T6_T7_T9_mT8_S1G_bDpT10_ENKUlT_T0_E_clISt17integral_constantIbLb1EES1T_IbLb0EEEEDaS1P_S1Q_EUlS1P_E_NS1_11comp_targetILNS1_3genE0ELNS1_11target_archE4294967295ELNS1_3gpuE0ELNS1_3repE0EEENS1_30default_config_static_selectorELNS0_4arch9wavefront6targetE1EEEvS12_, .Lfunc_end552-_ZN7rocprim17ROCPRIM_400000_NS6detail17trampoline_kernelINS0_13select_configILj256ELj13ELNS0_17block_load_methodE3ELS4_3ELS4_3ELNS0_20block_scan_algorithmE0ELj4294967295EEENS1_25partition_config_selectorILNS1_17partition_subalgoE4EjNS0_10empty_typeEbEEZZNS1_14partition_implILS8_4ELb0ES6_15HIP_vector_typeIjLj2EENS0_17counting_iteratorIjlEEPS9_SG_NS0_5tupleIJPjSI_NS0_16reverse_iteratorISI_EEEEENSH_IJSG_SG_SG_EEES9_SI_JZNS1_25segmented_radix_sort_implINS0_14default_configELb0EPKiPiPKlPlN2at6native12_GLOBAL__N_18offset_tEEE10hipError_tPvRmT1_PNSt15iterator_traitsIS12_E10value_typeET2_T3_PNS13_IS18_E10value_typeET4_jRbjT5_S1E_jjP12ihipStream_tbEUljE_ZNSN_ISO_Lb0ESQ_SR_ST_SU_SY_EESZ_S10_S11_S12_S16_S17_S18_S1B_S1C_jS1D_jS1E_S1E_jjS1G_bEUljE0_EEESZ_S10_S11_S18_S1C_S1E_T6_T7_T9_mT8_S1G_bDpT10_ENKUlT_T0_E_clISt17integral_constantIbLb1EES1T_IbLb0EEEEDaS1P_S1Q_EUlS1P_E_NS1_11comp_targetILNS1_3genE0ELNS1_11target_archE4294967295ELNS1_3gpuE0ELNS1_3repE0EEENS1_30default_config_static_selectorELNS0_4arch9wavefront6targetE1EEEvS12_
                                        ; -- End function
	.section	.AMDGPU.csdata,"",@progbits
; Kernel info:
; codeLenInByte = 0
; NumSgprs: 4
; NumVgprs: 0
; NumAgprs: 0
; TotalNumVgprs: 0
; ScratchSize: 0
; MemoryBound: 0
; FloatMode: 240
; IeeeMode: 1
; LDSByteSize: 0 bytes/workgroup (compile time only)
; SGPRBlocks: 0
; VGPRBlocks: 0
; NumSGPRsForWavesPerEU: 4
; NumVGPRsForWavesPerEU: 1
; AccumOffset: 4
; Occupancy: 8
; WaveLimiterHint : 0
; COMPUTE_PGM_RSRC2:SCRATCH_EN: 0
; COMPUTE_PGM_RSRC2:USER_SGPR: 6
; COMPUTE_PGM_RSRC2:TRAP_HANDLER: 0
; COMPUTE_PGM_RSRC2:TGID_X_EN: 1
; COMPUTE_PGM_RSRC2:TGID_Y_EN: 0
; COMPUTE_PGM_RSRC2:TGID_Z_EN: 0
; COMPUTE_PGM_RSRC2:TIDIG_COMP_CNT: 0
; COMPUTE_PGM_RSRC3_GFX90A:ACCUM_OFFSET: 0
; COMPUTE_PGM_RSRC3_GFX90A:TG_SPLIT: 0
	.section	.text._ZN7rocprim17ROCPRIM_400000_NS6detail17trampoline_kernelINS0_13select_configILj256ELj13ELNS0_17block_load_methodE3ELS4_3ELS4_3ELNS0_20block_scan_algorithmE0ELj4294967295EEENS1_25partition_config_selectorILNS1_17partition_subalgoE4EjNS0_10empty_typeEbEEZZNS1_14partition_implILS8_4ELb0ES6_15HIP_vector_typeIjLj2EENS0_17counting_iteratorIjlEEPS9_SG_NS0_5tupleIJPjSI_NS0_16reverse_iteratorISI_EEEEENSH_IJSG_SG_SG_EEES9_SI_JZNS1_25segmented_radix_sort_implINS0_14default_configELb0EPKiPiPKlPlN2at6native12_GLOBAL__N_18offset_tEEE10hipError_tPvRmT1_PNSt15iterator_traitsIS12_E10value_typeET2_T3_PNS13_IS18_E10value_typeET4_jRbjT5_S1E_jjP12ihipStream_tbEUljE_ZNSN_ISO_Lb0ESQ_SR_ST_SU_SY_EESZ_S10_S11_S12_S16_S17_S18_S1B_S1C_jS1D_jS1E_S1E_jjS1G_bEUljE0_EEESZ_S10_S11_S18_S1C_S1E_T6_T7_T9_mT8_S1G_bDpT10_ENKUlT_T0_E_clISt17integral_constantIbLb1EES1T_IbLb0EEEEDaS1P_S1Q_EUlS1P_E_NS1_11comp_targetILNS1_3genE5ELNS1_11target_archE942ELNS1_3gpuE9ELNS1_3repE0EEENS1_30default_config_static_selectorELNS0_4arch9wavefront6targetE1EEEvS12_,"axG",@progbits,_ZN7rocprim17ROCPRIM_400000_NS6detail17trampoline_kernelINS0_13select_configILj256ELj13ELNS0_17block_load_methodE3ELS4_3ELS4_3ELNS0_20block_scan_algorithmE0ELj4294967295EEENS1_25partition_config_selectorILNS1_17partition_subalgoE4EjNS0_10empty_typeEbEEZZNS1_14partition_implILS8_4ELb0ES6_15HIP_vector_typeIjLj2EENS0_17counting_iteratorIjlEEPS9_SG_NS0_5tupleIJPjSI_NS0_16reverse_iteratorISI_EEEEENSH_IJSG_SG_SG_EEES9_SI_JZNS1_25segmented_radix_sort_implINS0_14default_configELb0EPKiPiPKlPlN2at6native12_GLOBAL__N_18offset_tEEE10hipError_tPvRmT1_PNSt15iterator_traitsIS12_E10value_typeET2_T3_PNS13_IS18_E10value_typeET4_jRbjT5_S1E_jjP12ihipStream_tbEUljE_ZNSN_ISO_Lb0ESQ_SR_ST_SU_SY_EESZ_S10_S11_S12_S16_S17_S18_S1B_S1C_jS1D_jS1E_S1E_jjS1G_bEUljE0_EEESZ_S10_S11_S18_S1C_S1E_T6_T7_T9_mT8_S1G_bDpT10_ENKUlT_T0_E_clISt17integral_constantIbLb1EES1T_IbLb0EEEEDaS1P_S1Q_EUlS1P_E_NS1_11comp_targetILNS1_3genE5ELNS1_11target_archE942ELNS1_3gpuE9ELNS1_3repE0EEENS1_30default_config_static_selectorELNS0_4arch9wavefront6targetE1EEEvS12_,comdat
	.globl	_ZN7rocprim17ROCPRIM_400000_NS6detail17trampoline_kernelINS0_13select_configILj256ELj13ELNS0_17block_load_methodE3ELS4_3ELS4_3ELNS0_20block_scan_algorithmE0ELj4294967295EEENS1_25partition_config_selectorILNS1_17partition_subalgoE4EjNS0_10empty_typeEbEEZZNS1_14partition_implILS8_4ELb0ES6_15HIP_vector_typeIjLj2EENS0_17counting_iteratorIjlEEPS9_SG_NS0_5tupleIJPjSI_NS0_16reverse_iteratorISI_EEEEENSH_IJSG_SG_SG_EEES9_SI_JZNS1_25segmented_radix_sort_implINS0_14default_configELb0EPKiPiPKlPlN2at6native12_GLOBAL__N_18offset_tEEE10hipError_tPvRmT1_PNSt15iterator_traitsIS12_E10value_typeET2_T3_PNS13_IS18_E10value_typeET4_jRbjT5_S1E_jjP12ihipStream_tbEUljE_ZNSN_ISO_Lb0ESQ_SR_ST_SU_SY_EESZ_S10_S11_S12_S16_S17_S18_S1B_S1C_jS1D_jS1E_S1E_jjS1G_bEUljE0_EEESZ_S10_S11_S18_S1C_S1E_T6_T7_T9_mT8_S1G_bDpT10_ENKUlT_T0_E_clISt17integral_constantIbLb1EES1T_IbLb0EEEEDaS1P_S1Q_EUlS1P_E_NS1_11comp_targetILNS1_3genE5ELNS1_11target_archE942ELNS1_3gpuE9ELNS1_3repE0EEENS1_30default_config_static_selectorELNS0_4arch9wavefront6targetE1EEEvS12_ ; -- Begin function _ZN7rocprim17ROCPRIM_400000_NS6detail17trampoline_kernelINS0_13select_configILj256ELj13ELNS0_17block_load_methodE3ELS4_3ELS4_3ELNS0_20block_scan_algorithmE0ELj4294967295EEENS1_25partition_config_selectorILNS1_17partition_subalgoE4EjNS0_10empty_typeEbEEZZNS1_14partition_implILS8_4ELb0ES6_15HIP_vector_typeIjLj2EENS0_17counting_iteratorIjlEEPS9_SG_NS0_5tupleIJPjSI_NS0_16reverse_iteratorISI_EEEEENSH_IJSG_SG_SG_EEES9_SI_JZNS1_25segmented_radix_sort_implINS0_14default_configELb0EPKiPiPKlPlN2at6native12_GLOBAL__N_18offset_tEEE10hipError_tPvRmT1_PNSt15iterator_traitsIS12_E10value_typeET2_T3_PNS13_IS18_E10value_typeET4_jRbjT5_S1E_jjP12ihipStream_tbEUljE_ZNSN_ISO_Lb0ESQ_SR_ST_SU_SY_EESZ_S10_S11_S12_S16_S17_S18_S1B_S1C_jS1D_jS1E_S1E_jjS1G_bEUljE0_EEESZ_S10_S11_S18_S1C_S1E_T6_T7_T9_mT8_S1G_bDpT10_ENKUlT_T0_E_clISt17integral_constantIbLb1EES1T_IbLb0EEEEDaS1P_S1Q_EUlS1P_E_NS1_11comp_targetILNS1_3genE5ELNS1_11target_archE942ELNS1_3gpuE9ELNS1_3repE0EEENS1_30default_config_static_selectorELNS0_4arch9wavefront6targetE1EEEvS12_
	.p2align	8
	.type	_ZN7rocprim17ROCPRIM_400000_NS6detail17trampoline_kernelINS0_13select_configILj256ELj13ELNS0_17block_load_methodE3ELS4_3ELS4_3ELNS0_20block_scan_algorithmE0ELj4294967295EEENS1_25partition_config_selectorILNS1_17partition_subalgoE4EjNS0_10empty_typeEbEEZZNS1_14partition_implILS8_4ELb0ES6_15HIP_vector_typeIjLj2EENS0_17counting_iteratorIjlEEPS9_SG_NS0_5tupleIJPjSI_NS0_16reverse_iteratorISI_EEEEENSH_IJSG_SG_SG_EEES9_SI_JZNS1_25segmented_radix_sort_implINS0_14default_configELb0EPKiPiPKlPlN2at6native12_GLOBAL__N_18offset_tEEE10hipError_tPvRmT1_PNSt15iterator_traitsIS12_E10value_typeET2_T3_PNS13_IS18_E10value_typeET4_jRbjT5_S1E_jjP12ihipStream_tbEUljE_ZNSN_ISO_Lb0ESQ_SR_ST_SU_SY_EESZ_S10_S11_S12_S16_S17_S18_S1B_S1C_jS1D_jS1E_S1E_jjS1G_bEUljE0_EEESZ_S10_S11_S18_S1C_S1E_T6_T7_T9_mT8_S1G_bDpT10_ENKUlT_T0_E_clISt17integral_constantIbLb1EES1T_IbLb0EEEEDaS1P_S1Q_EUlS1P_E_NS1_11comp_targetILNS1_3genE5ELNS1_11target_archE942ELNS1_3gpuE9ELNS1_3repE0EEENS1_30default_config_static_selectorELNS0_4arch9wavefront6targetE1EEEvS12_,@function
_ZN7rocprim17ROCPRIM_400000_NS6detail17trampoline_kernelINS0_13select_configILj256ELj13ELNS0_17block_load_methodE3ELS4_3ELS4_3ELNS0_20block_scan_algorithmE0ELj4294967295EEENS1_25partition_config_selectorILNS1_17partition_subalgoE4EjNS0_10empty_typeEbEEZZNS1_14partition_implILS8_4ELb0ES6_15HIP_vector_typeIjLj2EENS0_17counting_iteratorIjlEEPS9_SG_NS0_5tupleIJPjSI_NS0_16reverse_iteratorISI_EEEEENSH_IJSG_SG_SG_EEES9_SI_JZNS1_25segmented_radix_sort_implINS0_14default_configELb0EPKiPiPKlPlN2at6native12_GLOBAL__N_18offset_tEEE10hipError_tPvRmT1_PNSt15iterator_traitsIS12_E10value_typeET2_T3_PNS13_IS18_E10value_typeET4_jRbjT5_S1E_jjP12ihipStream_tbEUljE_ZNSN_ISO_Lb0ESQ_SR_ST_SU_SY_EESZ_S10_S11_S12_S16_S17_S18_S1B_S1C_jS1D_jS1E_S1E_jjS1G_bEUljE0_EEESZ_S10_S11_S18_S1C_S1E_T6_T7_T9_mT8_S1G_bDpT10_ENKUlT_T0_E_clISt17integral_constantIbLb1EES1T_IbLb0EEEEDaS1P_S1Q_EUlS1P_E_NS1_11comp_targetILNS1_3genE5ELNS1_11target_archE942ELNS1_3gpuE9ELNS1_3repE0EEENS1_30default_config_static_selectorELNS0_4arch9wavefront6targetE1EEEvS12_: ; @_ZN7rocprim17ROCPRIM_400000_NS6detail17trampoline_kernelINS0_13select_configILj256ELj13ELNS0_17block_load_methodE3ELS4_3ELS4_3ELNS0_20block_scan_algorithmE0ELj4294967295EEENS1_25partition_config_selectorILNS1_17partition_subalgoE4EjNS0_10empty_typeEbEEZZNS1_14partition_implILS8_4ELb0ES6_15HIP_vector_typeIjLj2EENS0_17counting_iteratorIjlEEPS9_SG_NS0_5tupleIJPjSI_NS0_16reverse_iteratorISI_EEEEENSH_IJSG_SG_SG_EEES9_SI_JZNS1_25segmented_radix_sort_implINS0_14default_configELb0EPKiPiPKlPlN2at6native12_GLOBAL__N_18offset_tEEE10hipError_tPvRmT1_PNSt15iterator_traitsIS12_E10value_typeET2_T3_PNS13_IS18_E10value_typeET4_jRbjT5_S1E_jjP12ihipStream_tbEUljE_ZNSN_ISO_Lb0ESQ_SR_ST_SU_SY_EESZ_S10_S11_S12_S16_S17_S18_S1B_S1C_jS1D_jS1E_S1E_jjS1G_bEUljE0_EEESZ_S10_S11_S18_S1C_S1E_T6_T7_T9_mT8_S1G_bDpT10_ENKUlT_T0_E_clISt17integral_constantIbLb1EES1T_IbLb0EEEEDaS1P_S1Q_EUlS1P_E_NS1_11comp_targetILNS1_3genE5ELNS1_11target_archE942ELNS1_3gpuE9ELNS1_3repE0EEENS1_30default_config_static_selectorELNS0_4arch9wavefront6targetE1EEEvS12_
; %bb.0:
	.section	.rodata,"a",@progbits
	.p2align	6, 0x0
	.amdhsa_kernel _ZN7rocprim17ROCPRIM_400000_NS6detail17trampoline_kernelINS0_13select_configILj256ELj13ELNS0_17block_load_methodE3ELS4_3ELS4_3ELNS0_20block_scan_algorithmE0ELj4294967295EEENS1_25partition_config_selectorILNS1_17partition_subalgoE4EjNS0_10empty_typeEbEEZZNS1_14partition_implILS8_4ELb0ES6_15HIP_vector_typeIjLj2EENS0_17counting_iteratorIjlEEPS9_SG_NS0_5tupleIJPjSI_NS0_16reverse_iteratorISI_EEEEENSH_IJSG_SG_SG_EEES9_SI_JZNS1_25segmented_radix_sort_implINS0_14default_configELb0EPKiPiPKlPlN2at6native12_GLOBAL__N_18offset_tEEE10hipError_tPvRmT1_PNSt15iterator_traitsIS12_E10value_typeET2_T3_PNS13_IS18_E10value_typeET4_jRbjT5_S1E_jjP12ihipStream_tbEUljE_ZNSN_ISO_Lb0ESQ_SR_ST_SU_SY_EESZ_S10_S11_S12_S16_S17_S18_S1B_S1C_jS1D_jS1E_S1E_jjS1G_bEUljE0_EEESZ_S10_S11_S18_S1C_S1E_T6_T7_T9_mT8_S1G_bDpT10_ENKUlT_T0_E_clISt17integral_constantIbLb1EES1T_IbLb0EEEEDaS1P_S1Q_EUlS1P_E_NS1_11comp_targetILNS1_3genE5ELNS1_11target_archE942ELNS1_3gpuE9ELNS1_3repE0EEENS1_30default_config_static_selectorELNS0_4arch9wavefront6targetE1EEEvS12_
		.amdhsa_group_segment_fixed_size 0
		.amdhsa_private_segment_fixed_size 0
		.amdhsa_kernarg_size 176
		.amdhsa_user_sgpr_count 6
		.amdhsa_user_sgpr_private_segment_buffer 1
		.amdhsa_user_sgpr_dispatch_ptr 0
		.amdhsa_user_sgpr_queue_ptr 0
		.amdhsa_user_sgpr_kernarg_segment_ptr 1
		.amdhsa_user_sgpr_dispatch_id 0
		.amdhsa_user_sgpr_flat_scratch_init 0
		.amdhsa_user_sgpr_kernarg_preload_length 0
		.amdhsa_user_sgpr_kernarg_preload_offset 0
		.amdhsa_user_sgpr_private_segment_size 0
		.amdhsa_uses_dynamic_stack 0
		.amdhsa_system_sgpr_private_segment_wavefront_offset 0
		.amdhsa_system_sgpr_workgroup_id_x 1
		.amdhsa_system_sgpr_workgroup_id_y 0
		.amdhsa_system_sgpr_workgroup_id_z 0
		.amdhsa_system_sgpr_workgroup_info 0
		.amdhsa_system_vgpr_workitem_id 0
		.amdhsa_next_free_vgpr 1
		.amdhsa_next_free_sgpr 0
		.amdhsa_accum_offset 4
		.amdhsa_reserve_vcc 0
		.amdhsa_reserve_flat_scratch 0
		.amdhsa_float_round_mode_32 0
		.amdhsa_float_round_mode_16_64 0
		.amdhsa_float_denorm_mode_32 3
		.amdhsa_float_denorm_mode_16_64 3
		.amdhsa_dx10_clamp 1
		.amdhsa_ieee_mode 1
		.amdhsa_fp16_overflow 0
		.amdhsa_tg_split 0
		.amdhsa_exception_fp_ieee_invalid_op 0
		.amdhsa_exception_fp_denorm_src 0
		.amdhsa_exception_fp_ieee_div_zero 0
		.amdhsa_exception_fp_ieee_overflow 0
		.amdhsa_exception_fp_ieee_underflow 0
		.amdhsa_exception_fp_ieee_inexact 0
		.amdhsa_exception_int_div_zero 0
	.end_amdhsa_kernel
	.section	.text._ZN7rocprim17ROCPRIM_400000_NS6detail17trampoline_kernelINS0_13select_configILj256ELj13ELNS0_17block_load_methodE3ELS4_3ELS4_3ELNS0_20block_scan_algorithmE0ELj4294967295EEENS1_25partition_config_selectorILNS1_17partition_subalgoE4EjNS0_10empty_typeEbEEZZNS1_14partition_implILS8_4ELb0ES6_15HIP_vector_typeIjLj2EENS0_17counting_iteratorIjlEEPS9_SG_NS0_5tupleIJPjSI_NS0_16reverse_iteratorISI_EEEEENSH_IJSG_SG_SG_EEES9_SI_JZNS1_25segmented_radix_sort_implINS0_14default_configELb0EPKiPiPKlPlN2at6native12_GLOBAL__N_18offset_tEEE10hipError_tPvRmT1_PNSt15iterator_traitsIS12_E10value_typeET2_T3_PNS13_IS18_E10value_typeET4_jRbjT5_S1E_jjP12ihipStream_tbEUljE_ZNSN_ISO_Lb0ESQ_SR_ST_SU_SY_EESZ_S10_S11_S12_S16_S17_S18_S1B_S1C_jS1D_jS1E_S1E_jjS1G_bEUljE0_EEESZ_S10_S11_S18_S1C_S1E_T6_T7_T9_mT8_S1G_bDpT10_ENKUlT_T0_E_clISt17integral_constantIbLb1EES1T_IbLb0EEEEDaS1P_S1Q_EUlS1P_E_NS1_11comp_targetILNS1_3genE5ELNS1_11target_archE942ELNS1_3gpuE9ELNS1_3repE0EEENS1_30default_config_static_selectorELNS0_4arch9wavefront6targetE1EEEvS12_,"axG",@progbits,_ZN7rocprim17ROCPRIM_400000_NS6detail17trampoline_kernelINS0_13select_configILj256ELj13ELNS0_17block_load_methodE3ELS4_3ELS4_3ELNS0_20block_scan_algorithmE0ELj4294967295EEENS1_25partition_config_selectorILNS1_17partition_subalgoE4EjNS0_10empty_typeEbEEZZNS1_14partition_implILS8_4ELb0ES6_15HIP_vector_typeIjLj2EENS0_17counting_iteratorIjlEEPS9_SG_NS0_5tupleIJPjSI_NS0_16reverse_iteratorISI_EEEEENSH_IJSG_SG_SG_EEES9_SI_JZNS1_25segmented_radix_sort_implINS0_14default_configELb0EPKiPiPKlPlN2at6native12_GLOBAL__N_18offset_tEEE10hipError_tPvRmT1_PNSt15iterator_traitsIS12_E10value_typeET2_T3_PNS13_IS18_E10value_typeET4_jRbjT5_S1E_jjP12ihipStream_tbEUljE_ZNSN_ISO_Lb0ESQ_SR_ST_SU_SY_EESZ_S10_S11_S12_S16_S17_S18_S1B_S1C_jS1D_jS1E_S1E_jjS1G_bEUljE0_EEESZ_S10_S11_S18_S1C_S1E_T6_T7_T9_mT8_S1G_bDpT10_ENKUlT_T0_E_clISt17integral_constantIbLb1EES1T_IbLb0EEEEDaS1P_S1Q_EUlS1P_E_NS1_11comp_targetILNS1_3genE5ELNS1_11target_archE942ELNS1_3gpuE9ELNS1_3repE0EEENS1_30default_config_static_selectorELNS0_4arch9wavefront6targetE1EEEvS12_,comdat
.Lfunc_end553:
	.size	_ZN7rocprim17ROCPRIM_400000_NS6detail17trampoline_kernelINS0_13select_configILj256ELj13ELNS0_17block_load_methodE3ELS4_3ELS4_3ELNS0_20block_scan_algorithmE0ELj4294967295EEENS1_25partition_config_selectorILNS1_17partition_subalgoE4EjNS0_10empty_typeEbEEZZNS1_14partition_implILS8_4ELb0ES6_15HIP_vector_typeIjLj2EENS0_17counting_iteratorIjlEEPS9_SG_NS0_5tupleIJPjSI_NS0_16reverse_iteratorISI_EEEEENSH_IJSG_SG_SG_EEES9_SI_JZNS1_25segmented_radix_sort_implINS0_14default_configELb0EPKiPiPKlPlN2at6native12_GLOBAL__N_18offset_tEEE10hipError_tPvRmT1_PNSt15iterator_traitsIS12_E10value_typeET2_T3_PNS13_IS18_E10value_typeET4_jRbjT5_S1E_jjP12ihipStream_tbEUljE_ZNSN_ISO_Lb0ESQ_SR_ST_SU_SY_EESZ_S10_S11_S12_S16_S17_S18_S1B_S1C_jS1D_jS1E_S1E_jjS1G_bEUljE0_EEESZ_S10_S11_S18_S1C_S1E_T6_T7_T9_mT8_S1G_bDpT10_ENKUlT_T0_E_clISt17integral_constantIbLb1EES1T_IbLb0EEEEDaS1P_S1Q_EUlS1P_E_NS1_11comp_targetILNS1_3genE5ELNS1_11target_archE942ELNS1_3gpuE9ELNS1_3repE0EEENS1_30default_config_static_selectorELNS0_4arch9wavefront6targetE1EEEvS12_, .Lfunc_end553-_ZN7rocprim17ROCPRIM_400000_NS6detail17trampoline_kernelINS0_13select_configILj256ELj13ELNS0_17block_load_methodE3ELS4_3ELS4_3ELNS0_20block_scan_algorithmE0ELj4294967295EEENS1_25partition_config_selectorILNS1_17partition_subalgoE4EjNS0_10empty_typeEbEEZZNS1_14partition_implILS8_4ELb0ES6_15HIP_vector_typeIjLj2EENS0_17counting_iteratorIjlEEPS9_SG_NS0_5tupleIJPjSI_NS0_16reverse_iteratorISI_EEEEENSH_IJSG_SG_SG_EEES9_SI_JZNS1_25segmented_radix_sort_implINS0_14default_configELb0EPKiPiPKlPlN2at6native12_GLOBAL__N_18offset_tEEE10hipError_tPvRmT1_PNSt15iterator_traitsIS12_E10value_typeET2_T3_PNS13_IS18_E10value_typeET4_jRbjT5_S1E_jjP12ihipStream_tbEUljE_ZNSN_ISO_Lb0ESQ_SR_ST_SU_SY_EESZ_S10_S11_S12_S16_S17_S18_S1B_S1C_jS1D_jS1E_S1E_jjS1G_bEUljE0_EEESZ_S10_S11_S18_S1C_S1E_T6_T7_T9_mT8_S1G_bDpT10_ENKUlT_T0_E_clISt17integral_constantIbLb1EES1T_IbLb0EEEEDaS1P_S1Q_EUlS1P_E_NS1_11comp_targetILNS1_3genE5ELNS1_11target_archE942ELNS1_3gpuE9ELNS1_3repE0EEENS1_30default_config_static_selectorELNS0_4arch9wavefront6targetE1EEEvS12_
                                        ; -- End function
	.section	.AMDGPU.csdata,"",@progbits
; Kernel info:
; codeLenInByte = 0
; NumSgprs: 4
; NumVgprs: 0
; NumAgprs: 0
; TotalNumVgprs: 0
; ScratchSize: 0
; MemoryBound: 0
; FloatMode: 240
; IeeeMode: 1
; LDSByteSize: 0 bytes/workgroup (compile time only)
; SGPRBlocks: 0
; VGPRBlocks: 0
; NumSGPRsForWavesPerEU: 4
; NumVGPRsForWavesPerEU: 1
; AccumOffset: 4
; Occupancy: 8
; WaveLimiterHint : 0
; COMPUTE_PGM_RSRC2:SCRATCH_EN: 0
; COMPUTE_PGM_RSRC2:USER_SGPR: 6
; COMPUTE_PGM_RSRC2:TRAP_HANDLER: 0
; COMPUTE_PGM_RSRC2:TGID_X_EN: 1
; COMPUTE_PGM_RSRC2:TGID_Y_EN: 0
; COMPUTE_PGM_RSRC2:TGID_Z_EN: 0
; COMPUTE_PGM_RSRC2:TIDIG_COMP_CNT: 0
; COMPUTE_PGM_RSRC3_GFX90A:ACCUM_OFFSET: 0
; COMPUTE_PGM_RSRC3_GFX90A:TG_SPLIT: 0
	.section	.text._ZN7rocprim17ROCPRIM_400000_NS6detail17trampoline_kernelINS0_13select_configILj256ELj13ELNS0_17block_load_methodE3ELS4_3ELS4_3ELNS0_20block_scan_algorithmE0ELj4294967295EEENS1_25partition_config_selectorILNS1_17partition_subalgoE4EjNS0_10empty_typeEbEEZZNS1_14partition_implILS8_4ELb0ES6_15HIP_vector_typeIjLj2EENS0_17counting_iteratorIjlEEPS9_SG_NS0_5tupleIJPjSI_NS0_16reverse_iteratorISI_EEEEENSH_IJSG_SG_SG_EEES9_SI_JZNS1_25segmented_radix_sort_implINS0_14default_configELb0EPKiPiPKlPlN2at6native12_GLOBAL__N_18offset_tEEE10hipError_tPvRmT1_PNSt15iterator_traitsIS12_E10value_typeET2_T3_PNS13_IS18_E10value_typeET4_jRbjT5_S1E_jjP12ihipStream_tbEUljE_ZNSN_ISO_Lb0ESQ_SR_ST_SU_SY_EESZ_S10_S11_S12_S16_S17_S18_S1B_S1C_jS1D_jS1E_S1E_jjS1G_bEUljE0_EEESZ_S10_S11_S18_S1C_S1E_T6_T7_T9_mT8_S1G_bDpT10_ENKUlT_T0_E_clISt17integral_constantIbLb1EES1T_IbLb0EEEEDaS1P_S1Q_EUlS1P_E_NS1_11comp_targetILNS1_3genE4ELNS1_11target_archE910ELNS1_3gpuE8ELNS1_3repE0EEENS1_30default_config_static_selectorELNS0_4arch9wavefront6targetE1EEEvS12_,"axG",@progbits,_ZN7rocprim17ROCPRIM_400000_NS6detail17trampoline_kernelINS0_13select_configILj256ELj13ELNS0_17block_load_methodE3ELS4_3ELS4_3ELNS0_20block_scan_algorithmE0ELj4294967295EEENS1_25partition_config_selectorILNS1_17partition_subalgoE4EjNS0_10empty_typeEbEEZZNS1_14partition_implILS8_4ELb0ES6_15HIP_vector_typeIjLj2EENS0_17counting_iteratorIjlEEPS9_SG_NS0_5tupleIJPjSI_NS0_16reverse_iteratorISI_EEEEENSH_IJSG_SG_SG_EEES9_SI_JZNS1_25segmented_radix_sort_implINS0_14default_configELb0EPKiPiPKlPlN2at6native12_GLOBAL__N_18offset_tEEE10hipError_tPvRmT1_PNSt15iterator_traitsIS12_E10value_typeET2_T3_PNS13_IS18_E10value_typeET4_jRbjT5_S1E_jjP12ihipStream_tbEUljE_ZNSN_ISO_Lb0ESQ_SR_ST_SU_SY_EESZ_S10_S11_S12_S16_S17_S18_S1B_S1C_jS1D_jS1E_S1E_jjS1G_bEUljE0_EEESZ_S10_S11_S18_S1C_S1E_T6_T7_T9_mT8_S1G_bDpT10_ENKUlT_T0_E_clISt17integral_constantIbLb1EES1T_IbLb0EEEEDaS1P_S1Q_EUlS1P_E_NS1_11comp_targetILNS1_3genE4ELNS1_11target_archE910ELNS1_3gpuE8ELNS1_3repE0EEENS1_30default_config_static_selectorELNS0_4arch9wavefront6targetE1EEEvS12_,comdat
	.globl	_ZN7rocprim17ROCPRIM_400000_NS6detail17trampoline_kernelINS0_13select_configILj256ELj13ELNS0_17block_load_methodE3ELS4_3ELS4_3ELNS0_20block_scan_algorithmE0ELj4294967295EEENS1_25partition_config_selectorILNS1_17partition_subalgoE4EjNS0_10empty_typeEbEEZZNS1_14partition_implILS8_4ELb0ES6_15HIP_vector_typeIjLj2EENS0_17counting_iteratorIjlEEPS9_SG_NS0_5tupleIJPjSI_NS0_16reverse_iteratorISI_EEEEENSH_IJSG_SG_SG_EEES9_SI_JZNS1_25segmented_radix_sort_implINS0_14default_configELb0EPKiPiPKlPlN2at6native12_GLOBAL__N_18offset_tEEE10hipError_tPvRmT1_PNSt15iterator_traitsIS12_E10value_typeET2_T3_PNS13_IS18_E10value_typeET4_jRbjT5_S1E_jjP12ihipStream_tbEUljE_ZNSN_ISO_Lb0ESQ_SR_ST_SU_SY_EESZ_S10_S11_S12_S16_S17_S18_S1B_S1C_jS1D_jS1E_S1E_jjS1G_bEUljE0_EEESZ_S10_S11_S18_S1C_S1E_T6_T7_T9_mT8_S1G_bDpT10_ENKUlT_T0_E_clISt17integral_constantIbLb1EES1T_IbLb0EEEEDaS1P_S1Q_EUlS1P_E_NS1_11comp_targetILNS1_3genE4ELNS1_11target_archE910ELNS1_3gpuE8ELNS1_3repE0EEENS1_30default_config_static_selectorELNS0_4arch9wavefront6targetE1EEEvS12_ ; -- Begin function _ZN7rocprim17ROCPRIM_400000_NS6detail17trampoline_kernelINS0_13select_configILj256ELj13ELNS0_17block_load_methodE3ELS4_3ELS4_3ELNS0_20block_scan_algorithmE0ELj4294967295EEENS1_25partition_config_selectorILNS1_17partition_subalgoE4EjNS0_10empty_typeEbEEZZNS1_14partition_implILS8_4ELb0ES6_15HIP_vector_typeIjLj2EENS0_17counting_iteratorIjlEEPS9_SG_NS0_5tupleIJPjSI_NS0_16reverse_iteratorISI_EEEEENSH_IJSG_SG_SG_EEES9_SI_JZNS1_25segmented_radix_sort_implINS0_14default_configELb0EPKiPiPKlPlN2at6native12_GLOBAL__N_18offset_tEEE10hipError_tPvRmT1_PNSt15iterator_traitsIS12_E10value_typeET2_T3_PNS13_IS18_E10value_typeET4_jRbjT5_S1E_jjP12ihipStream_tbEUljE_ZNSN_ISO_Lb0ESQ_SR_ST_SU_SY_EESZ_S10_S11_S12_S16_S17_S18_S1B_S1C_jS1D_jS1E_S1E_jjS1G_bEUljE0_EEESZ_S10_S11_S18_S1C_S1E_T6_T7_T9_mT8_S1G_bDpT10_ENKUlT_T0_E_clISt17integral_constantIbLb1EES1T_IbLb0EEEEDaS1P_S1Q_EUlS1P_E_NS1_11comp_targetILNS1_3genE4ELNS1_11target_archE910ELNS1_3gpuE8ELNS1_3repE0EEENS1_30default_config_static_selectorELNS0_4arch9wavefront6targetE1EEEvS12_
	.p2align	8
	.type	_ZN7rocprim17ROCPRIM_400000_NS6detail17trampoline_kernelINS0_13select_configILj256ELj13ELNS0_17block_load_methodE3ELS4_3ELS4_3ELNS0_20block_scan_algorithmE0ELj4294967295EEENS1_25partition_config_selectorILNS1_17partition_subalgoE4EjNS0_10empty_typeEbEEZZNS1_14partition_implILS8_4ELb0ES6_15HIP_vector_typeIjLj2EENS0_17counting_iteratorIjlEEPS9_SG_NS0_5tupleIJPjSI_NS0_16reverse_iteratorISI_EEEEENSH_IJSG_SG_SG_EEES9_SI_JZNS1_25segmented_radix_sort_implINS0_14default_configELb0EPKiPiPKlPlN2at6native12_GLOBAL__N_18offset_tEEE10hipError_tPvRmT1_PNSt15iterator_traitsIS12_E10value_typeET2_T3_PNS13_IS18_E10value_typeET4_jRbjT5_S1E_jjP12ihipStream_tbEUljE_ZNSN_ISO_Lb0ESQ_SR_ST_SU_SY_EESZ_S10_S11_S12_S16_S17_S18_S1B_S1C_jS1D_jS1E_S1E_jjS1G_bEUljE0_EEESZ_S10_S11_S18_S1C_S1E_T6_T7_T9_mT8_S1G_bDpT10_ENKUlT_T0_E_clISt17integral_constantIbLb1EES1T_IbLb0EEEEDaS1P_S1Q_EUlS1P_E_NS1_11comp_targetILNS1_3genE4ELNS1_11target_archE910ELNS1_3gpuE8ELNS1_3repE0EEENS1_30default_config_static_selectorELNS0_4arch9wavefront6targetE1EEEvS12_,@function
_ZN7rocprim17ROCPRIM_400000_NS6detail17trampoline_kernelINS0_13select_configILj256ELj13ELNS0_17block_load_methodE3ELS4_3ELS4_3ELNS0_20block_scan_algorithmE0ELj4294967295EEENS1_25partition_config_selectorILNS1_17partition_subalgoE4EjNS0_10empty_typeEbEEZZNS1_14partition_implILS8_4ELb0ES6_15HIP_vector_typeIjLj2EENS0_17counting_iteratorIjlEEPS9_SG_NS0_5tupleIJPjSI_NS0_16reverse_iteratorISI_EEEEENSH_IJSG_SG_SG_EEES9_SI_JZNS1_25segmented_radix_sort_implINS0_14default_configELb0EPKiPiPKlPlN2at6native12_GLOBAL__N_18offset_tEEE10hipError_tPvRmT1_PNSt15iterator_traitsIS12_E10value_typeET2_T3_PNS13_IS18_E10value_typeET4_jRbjT5_S1E_jjP12ihipStream_tbEUljE_ZNSN_ISO_Lb0ESQ_SR_ST_SU_SY_EESZ_S10_S11_S12_S16_S17_S18_S1B_S1C_jS1D_jS1E_S1E_jjS1G_bEUljE0_EEESZ_S10_S11_S18_S1C_S1E_T6_T7_T9_mT8_S1G_bDpT10_ENKUlT_T0_E_clISt17integral_constantIbLb1EES1T_IbLb0EEEEDaS1P_S1Q_EUlS1P_E_NS1_11comp_targetILNS1_3genE4ELNS1_11target_archE910ELNS1_3gpuE8ELNS1_3repE0EEENS1_30default_config_static_selectorELNS0_4arch9wavefront6targetE1EEEvS12_: ; @_ZN7rocprim17ROCPRIM_400000_NS6detail17trampoline_kernelINS0_13select_configILj256ELj13ELNS0_17block_load_methodE3ELS4_3ELS4_3ELNS0_20block_scan_algorithmE0ELj4294967295EEENS1_25partition_config_selectorILNS1_17partition_subalgoE4EjNS0_10empty_typeEbEEZZNS1_14partition_implILS8_4ELb0ES6_15HIP_vector_typeIjLj2EENS0_17counting_iteratorIjlEEPS9_SG_NS0_5tupleIJPjSI_NS0_16reverse_iteratorISI_EEEEENSH_IJSG_SG_SG_EEES9_SI_JZNS1_25segmented_radix_sort_implINS0_14default_configELb0EPKiPiPKlPlN2at6native12_GLOBAL__N_18offset_tEEE10hipError_tPvRmT1_PNSt15iterator_traitsIS12_E10value_typeET2_T3_PNS13_IS18_E10value_typeET4_jRbjT5_S1E_jjP12ihipStream_tbEUljE_ZNSN_ISO_Lb0ESQ_SR_ST_SU_SY_EESZ_S10_S11_S12_S16_S17_S18_S1B_S1C_jS1D_jS1E_S1E_jjS1G_bEUljE0_EEESZ_S10_S11_S18_S1C_S1E_T6_T7_T9_mT8_S1G_bDpT10_ENKUlT_T0_E_clISt17integral_constantIbLb1EES1T_IbLb0EEEEDaS1P_S1Q_EUlS1P_E_NS1_11comp_targetILNS1_3genE4ELNS1_11target_archE910ELNS1_3gpuE8ELNS1_3repE0EEENS1_30default_config_static_selectorELNS0_4arch9wavefront6targetE1EEEvS12_
; %bb.0:
	s_load_dwordx2 s[0:1], s[4:5], 0x68
	s_load_dword s7, s[4:5], 0x8
	s_load_dwordx2 s[56:57], s[4:5], 0x10
	s_load_dwordx4 s[44:47], s[4:5], 0x58
	s_mul_i32 s33, s6, 0xd00
	s_waitcnt lgkmcnt(0)
	v_mov_b32_e32 v3, s1
	v_mov_b32_e32 v2, s0
	s_load_dword s1, s[4:5], 0x80
	s_load_dwordx2 s[60:61], s[4:5], 0xa8
	s_load_dwordx8 s[36:43], s[4:5], 0x88
	s_load_dwordx4 s[48:51], s[46:47], 0x0
	s_waitcnt lgkmcnt(0)
	s_add_i32 s8, s1, -1
	s_mulk_i32 s1, 0xd00
	s_add_u32 s2, s56, s1
	s_addc_u32 s3, s57, 0
	s_cmp_eq_u32 s6, s8
	s_cselect_b64 s[30:31], -1, 0
	s_cmp_lg_u32 s6, s8
	v_cmp_lt_u64_e32 vcc, s[2:3], v[2:3]
	s_cselect_b64 s[2:3], -1, 0
	s_add_i32 s7, s7, s33
	s_or_b64 s[2:3], s[2:3], vcc
	s_add_i32 s7, s7, s56
	v_add_u32_e32 v1, s7, v0
	s_mov_b64 s[8:9], -1
	s_and_b64 vcc, exec, s[2:3]
	s_cbranch_vccz .LBB554_2
; %bb.1:
	v_add_u32_e32 v2, 0x100, v1
	v_lshlrev_b32_e32 v14, 2, v0
	v_add_u32_e32 v3, 0x200, v1
	v_add_u32_e32 v4, 0x300, v1
	;; [unrolled: 1-line block ×11, first 2 shown]
	ds_write2st64_b32 v14, v1, v2 offset1:4
	ds_write2st64_b32 v14, v3, v4 offset0:8 offset1:12
	ds_write2st64_b32 v14, v5, v6 offset0:16 offset1:20
	;; [unrolled: 1-line block ×5, first 2 shown]
	ds_write_b32 v14, v13 offset:12288
	s_waitcnt lgkmcnt(0)
	s_barrier
	s_mov_b64 s[8:9], 0
.LBB554_2:
	s_andn2_b64 vcc, exec, s[8:9]
	s_add_i32 s1, s1, s56
	s_cbranch_vccnz .LBB554_4
; %bb.3:
	v_add_u32_e32 v2, 0x100, v1
	v_lshlrev_b32_e32 v14, 2, v0
	v_add_u32_e32 v3, 0x200, v1
	v_add_u32_e32 v4, 0x300, v1
	;; [unrolled: 1-line block ×11, first 2 shown]
	ds_write2st64_b32 v14, v1, v2 offset1:4
	ds_write2st64_b32 v14, v3, v4 offset0:8 offset1:12
	ds_write2st64_b32 v14, v5, v6 offset0:16 offset1:20
	;; [unrolled: 1-line block ×5, first 2 shown]
	ds_write_b32 v14, v13 offset:12288
	s_waitcnt lgkmcnt(0)
	s_barrier
.LBB554_4:
	v_mul_u32_u24_e32 v31, 13, v0
	v_lshlrev_b32_e32 v1, 2, v31
	s_load_dwordx4 s[52:55], s[4:5], 0x28
	s_load_dwordx2 s[34:35], s[4:5], 0x38
	s_waitcnt lgkmcnt(0)
	ds_read2_b32 v[18:19], v1 offset1:1
	ds_read2_b32 v[16:17], v1 offset0:2 offset1:3
	ds_read2_b32 v[14:15], v1 offset0:4 offset1:5
	;; [unrolled: 1-line block ×5, first 2 shown]
	ds_read_b32 v30, v1 offset:48
	v_cndmask_b32_e64 v1, 0, 1, s[2:3]
	s_sub_i32 s7, s0, s1
	v_cmp_ne_u32_e64 s[0:1], 1, v1
	s_andn2_b64 vcc, exec, s[2:3]
	s_waitcnt lgkmcnt(0)
	s_barrier
	s_cbranch_vccnz .LBB554_32
; %bb.5:
	v_add_u32_e32 v1, s37, v18
	v_add_u32_e32 v2, s39, v18
	v_mul_lo_u32 v1, v1, s36
	v_mul_lo_u32 v2, v2, s38
	v_sub_u32_e32 v1, v1, v2
	v_cmp_lt_u32_e32 vcc, s40, v1
	v_cmp_ge_u32_e64 s[2:3], s40, v1
	s_mov_b64 s[64:65], 0
	s_mov_b64 s[62:63], 0
	s_and_saveexec_b64 s[8:9], s[2:3]
; %bb.6:
	v_add_u32_e32 v1, s42, v18
	v_add_u32_e32 v2, s60, v18
	v_mul_lo_u32 v1, v1, s41
	v_mul_lo_u32 v2, v2, s43
	v_sub_u32_e32 v1, v1, v2
	v_cmp_lt_u32_e64 s[2:3], s61, v1
	s_and_b64 s[62:63], s[2:3], exec
; %bb.7:
	s_or_b64 exec, exec, s[8:9]
	v_add_u32_e32 v1, s37, v19
	v_add_u32_e32 v2, s39, v19
	v_mul_lo_u32 v1, v1, s36
	v_mul_lo_u32 v2, v2, s38
	v_sub_u32_e32 v1, v1, v2
	v_cmp_lt_u32_e64 s[2:3], s40, v1
	v_cmp_ge_u32_e64 s[8:9], s40, v1
	s_and_saveexec_b64 s[10:11], s[8:9]
; %bb.8:
	v_add_u32_e32 v1, s42, v19
	v_add_u32_e32 v2, s60, v19
	v_mul_lo_u32 v1, v1, s41
	v_mul_lo_u32 v2, v2, s43
	v_sub_u32_e32 v1, v1, v2
	v_cmp_lt_u32_e64 s[8:9], s61, v1
	s_and_b64 s[64:65], s[8:9], exec
; %bb.9:
	s_or_b64 exec, exec, s[10:11]
	v_add_u32_e32 v1, s37, v16
	v_add_u32_e32 v2, s39, v16
	v_mul_lo_u32 v1, v1, s36
	v_mul_lo_u32 v2, v2, s38
	v_sub_u32_e32 v1, v1, v2
	v_cmp_lt_u32_e64 s[26:27], s40, v1
	v_cmp_ge_u32_e64 s[8:9], s40, v1
	s_mov_b64 s[68:69], 0
	s_mov_b64 s[66:67], 0
	s_and_saveexec_b64 s[10:11], s[8:9]
; %bb.10:
	v_add_u32_e32 v1, s42, v16
	v_add_u32_e32 v2, s60, v16
	v_mul_lo_u32 v1, v1, s41
	v_mul_lo_u32 v2, v2, s43
	v_sub_u32_e32 v1, v1, v2
	v_cmp_lt_u32_e64 s[8:9], s61, v1
	s_and_b64 s[66:67], s[8:9], exec
; %bb.11:
	s_or_b64 exec, exec, s[10:11]
	v_add_u32_e32 v1, s37, v17
	v_add_u32_e32 v2, s39, v17
	v_mul_lo_u32 v1, v1, s36
	v_mul_lo_u32 v2, v2, s38
	v_sub_u32_e32 v1, v1, v2
	v_cmp_lt_u32_e64 s[8:9], s40, v1
	v_cmp_ge_u32_e64 s[10:11], s40, v1
	s_and_saveexec_b64 s[12:13], s[10:11]
; %bb.12:
	v_add_u32_e32 v1, s42, v17
	v_add_u32_e32 v2, s60, v17
	v_mul_lo_u32 v1, v1, s41
	v_mul_lo_u32 v2, v2, s43
	v_sub_u32_e32 v1, v1, v2
	v_cmp_lt_u32_e64 s[10:11], s61, v1
	s_and_b64 s[68:69], s[10:11], exec
; %bb.13:
	s_or_b64 exec, exec, s[12:13]
	v_add_u32_e32 v1, s37, v14
	v_add_u32_e32 v2, s39, v14
	v_mul_lo_u32 v1, v1, s36
	v_mul_lo_u32 v2, v2, s38
	v_sub_u32_e32 v1, v1, v2
	v_cmp_lt_u32_e64 s[10:11], s40, v1
	;; [unrolled: 38-line block ×5, first 2 shown]
	v_cmp_ge_u32_e64 s[24:25], s40, v1
	s_mov_b64 s[84:85], 0
	s_mov_b64 s[86:87], 0
	s_and_saveexec_b64 s[28:29], s[24:25]
; %bb.26:
	v_add_u32_e32 v1, s42, v8
	v_add_u32_e32 v2, s60, v8
	v_mul_lo_u32 v1, v1, s41
	v_mul_lo_u32 v2, v2, s43
	v_sub_u32_e32 v1, v1, v2
	v_cmp_lt_u32_e64 s[24:25], s61, v1
	s_and_b64 s[86:87], s[24:25], exec
; %bb.27:
	s_or_b64 exec, exec, s[28:29]
	v_add_u32_e32 v1, s37, v9
	v_add_u32_e32 v2, s39, v9
	v_mul_lo_u32 v1, v1, s36
	v_mul_lo_u32 v2, v2, s38
	v_sub_u32_e32 v1, v1, v2
	v_cmp_lt_u32_e64 s[24:25], s40, v1
	v_cmp_ge_u32_e64 s[28:29], s40, v1
	s_and_saveexec_b64 s[46:47], s[28:29]
; %bb.28:
	v_add_u32_e32 v1, s42, v9
	v_add_u32_e32 v2, s60, v9
	v_mul_lo_u32 v1, v1, s41
	v_mul_lo_u32 v2, v2, s43
	v_sub_u32_e32 v1, v1, v2
	v_cmp_lt_u32_e64 s[28:29], s61, v1
	s_and_b64 s[84:85], s[28:29], exec
; %bb.29:
	s_or_b64 exec, exec, s[46:47]
	v_add_u32_e32 v1, s37, v30
	v_add_u32_e32 v2, s39, v30
	v_mul_lo_u32 v1, v1, s36
	v_mul_lo_u32 v2, v2, s38
	v_sub_u32_e32 v1, v1, v2
	v_cmp_ge_u32_e64 s[28:29], s40, v1
	s_mov_b64 s[46:47], -1
	s_mov_b64 s[78:79], 0
	s_mov_b64 s[58:59], 0
	s_and_saveexec_b64 s[88:89], s[28:29]
; %bb.30:
	v_add_u32_e32 v1, s42, v30
	v_add_u32_e32 v2, s60, v30
	v_mul_lo_u32 v1, v1, s41
	v_mul_lo_u32 v2, v2, s43
	v_sub_u32_e32 v1, v1, v2
	v_cmp_lt_u32_e64 s[28:29], s61, v1
	s_and_b64 s[58:59], s[28:29], exec
	s_xor_b64 s[46:47], exec, -1
; %bb.31:
	s_or_b64 exec, exec, s[88:89]
	v_cndmask_b32_e64 v52, 0, 1, s[86:87]
	v_cndmask_b32_e64 v55, 0, 1, s[24:25]
	;; [unrolled: 1-line block ×22, first 2 shown]
	v_cndmask_b32_e64 v32, 0, 1, vcc
	v_cndmask_b32_e64 v54, 0, 1, s[84:85]
	s_load_dwordx2 s[12:13], s[4:5], 0x78
	s_add_i32 s18, s7, 0xd00
	s_and_b64 vcc, exec, s[78:79]
	s_cbranch_vccnz .LBB554_33
	s_branch .LBB554_86
.LBB554_32:
                                        ; implicit-def: $sgpr46_sgpr47
                                        ; implicit-def: $sgpr58_sgpr59
                                        ; implicit-def: $vgpr54
                                        ; implicit-def: $vgpr52
                                        ; implicit-def: $vgpr50
                                        ; implicit-def: $vgpr48
                                        ; implicit-def: $vgpr46
                                        ; implicit-def: $vgpr44
                                        ; implicit-def: $vgpr42
                                        ; implicit-def: $vgpr40
                                        ; implicit-def: $vgpr38
                                        ; implicit-def: $vgpr32
                                        ; implicit-def: $vgpr34
                                        ; implicit-def: $vgpr36
                                        ; implicit-def: $vgpr39
                                        ; implicit-def: $vgpr41
                                        ; implicit-def: $vgpr43
                                        ; implicit-def: $vgpr45
                                        ; implicit-def: $vgpr47
                                        ; implicit-def: $vgpr49
                                        ; implicit-def: $vgpr51
                                        ; implicit-def: $vgpr53
                                        ; implicit-def: $vgpr55
                                        ; implicit-def: $vgpr33
                                        ; implicit-def: $vgpr35
                                        ; implicit-def: $vgpr37
	s_load_dwordx2 s[12:13], s[4:5], 0x78
	s_add_i32 s18, s7, 0xd00
	s_cbranch_execz .LBB554_86
.LBB554_33:
	v_cmp_gt_u32_e32 vcc, s18, v31
	v_mov_b32_e32 v33, 0
	v_mov_b32_e32 v32, 0
	s_and_saveexec_b64 s[4:5], vcc
	s_cbranch_execz .LBB554_37
; %bb.34:
	v_add_u32_e32 v1, s37, v18
	v_add_u32_e32 v2, s39, v18
	v_mul_lo_u32 v1, v1, s36
	v_mul_lo_u32 v2, v2, s38
	v_sub_u32_e32 v1, v1, v2
	v_cmp_lt_u32_e32 vcc, s40, v1
	v_cmp_ge_u32_e64 s[2:3], s40, v1
	s_mov_b64 s[10:11], 0
	s_and_saveexec_b64 s[8:9], s[2:3]
; %bb.35:
	v_add_u32_e32 v1, s42, v18
	v_add_u32_e32 v2, s60, v18
	v_mul_lo_u32 v1, v1, s41
	v_mul_lo_u32 v2, v2, s43
	v_sub_u32_e32 v1, v1, v2
	v_cmp_lt_u32_e64 s[2:3], s61, v1
	s_and_b64 s[10:11], s[2:3], exec
; %bb.36:
	s_or_b64 exec, exec, s[8:9]
	v_cndmask_b32_e64 v32, 0, 1, vcc
	v_cndmask_b32_e64 v33, 0, 1, s[10:11]
.LBB554_37:
	s_or_b64 exec, exec, s[4:5]
	v_add_u32_e32 v1, 1, v31
	v_cmp_gt_u32_e32 vcc, s18, v1
	v_mov_b32_e32 v34, 0
	v_mov_b32_e32 v35, 0
	s_and_saveexec_b64 s[4:5], vcc
	s_cbranch_execz .LBB554_41
; %bb.38:
	v_add_u32_e32 v1, s37, v19
	v_add_u32_e32 v2, s39, v19
	v_mul_lo_u32 v1, v1, s36
	v_mul_lo_u32 v2, v2, s38
	v_sub_u32_e32 v1, v1, v2
	v_cmp_lt_u32_e32 vcc, s40, v1
	v_cmp_ge_u32_e64 s[2:3], s40, v1
	s_mov_b64 s[10:11], 0
	s_and_saveexec_b64 s[8:9], s[2:3]
; %bb.39:
	v_add_u32_e32 v1, s42, v19
	v_add_u32_e32 v2, s60, v19
	v_mul_lo_u32 v1, v1, s41
	v_mul_lo_u32 v2, v2, s43
	v_sub_u32_e32 v1, v1, v2
	v_cmp_lt_u32_e64 s[2:3], s61, v1
	s_and_b64 s[10:11], s[2:3], exec
; %bb.40:
	s_or_b64 exec, exec, s[8:9]
	v_cndmask_b32_e64 v34, 0, 1, vcc
	v_cndmask_b32_e64 v35, 0, 1, s[10:11]
.LBB554_41:
	s_or_b64 exec, exec, s[4:5]
	v_add_u32_e32 v1, 2, v31
	;; [unrolled: 30-line block ×12, first 2 shown]
	v_cmp_gt_u32_e32 vcc, s18, v1
	s_mov_b64 s[46:47], 0
	s_mov_b64 s[58:59], 0
	s_and_saveexec_b64 s[2:3], vcc
	s_cbranch_execz .LBB554_85
; %bb.82:
	v_add_u32_e32 v1, s37, v30
	v_add_u32_e32 v2, s39, v30
	v_mul_lo_u32 v1, v1, s36
	v_mul_lo_u32 v2, v2, s38
	v_sub_u32_e32 v1, v1, v2
	v_cmp_ge_u32_e32 vcc, s40, v1
	s_mov_b64 s[8:9], -1
	s_mov_b64 s[10:11], 0
	s_and_saveexec_b64 s[4:5], vcc
; %bb.83:
	v_add_u32_e32 v1, s42, v30
	v_add_u32_e32 v2, s60, v30
	v_mul_lo_u32 v1, v1, s41
	v_mul_lo_u32 v2, v2, s43
	v_sub_u32_e32 v1, v1, v2
	v_cmp_lt_u32_e32 vcc, s61, v1
	s_and_b64 s[10:11], vcc, exec
	s_xor_b64 s[8:9], exec, -1
; %bb.84:
	s_or_b64 exec, exec, s[4:5]
	s_and_b64 s[58:59], s[10:11], exec
	s_and_b64 s[46:47], s[8:9], exec
.LBB554_85:
	s_or_b64 exec, exec, s[2:3]
.LBB554_86:
	v_and_b32_e32 v63, 0xff, v33
	v_and_b32_e32 v74, 0xff, v35
	;; [unrolled: 1-line block ×5, first 2 shown]
	v_add3_u32 v2, v74, v65, v63
	v_and_b32_e32 v76, 0xff, v42
	v_and_b32_e32 v69, 0xff, v44
	v_add3_u32 v2, v2, v75, v67
	v_and_b32_e32 v62, 0xff, v32
	v_and_b32_e32 v56, 0xff, v34
	;; [unrolled: 1-line block ×5, first 2 shown]
	v_add3_u32 v2, v2, v76, v69
	v_and_b32_e32 v57, 0xff, v39
	v_and_b32_e32 v66, 0xff, v41
	;; [unrolled: 1-line block ×4, first 2 shown]
	v_add3_u32 v3, v56, v64, v62
	v_add3_u32 v2, v2, v77, v71
	v_and_b32_e32 v58, 0xff, v43
	v_and_b32_e32 v68, 0xff, v45
	v_and_b32_e32 v79, 0xff, v54
	v_cndmask_b32_e64 v1, 0, 1, s[58:59]
	v_add3_u32 v3, v3, v57, v66
	v_add3_u32 v2, v2, v78, v73
	v_and_b32_e32 v59, 0xff, v47
	v_and_b32_e32 v70, 0xff, v49
	v_add3_u32 v3, v3, v58, v68
	v_add3_u32 v86, v2, v79, v1
	v_mbcnt_lo_u32_b32 v1, -1, 0
	v_and_b32_e32 v60, 0xff, v51
	v_and_b32_e32 v72, 0xff, v53
	v_add3_u32 v3, v3, v59, v70
	v_mbcnt_hi_u32_b32 v80, -1, v1
	v_and_b32_e32 v61, 0xff, v55
	v_add3_u32 v3, v3, v60, v72
	v_cndmask_b32_e64 v4, 0, 1, s[46:47]
	v_and_b32_e32 v84, 15, v80
	s_cmp_lg_u32 s6, 0
	v_add3_u32 v85, v3, v61, v4
	v_cmp_eq_u32_e64 s[4:5], 0, v84
	v_cmp_lt_u32_e64 s[2:3], 1, v84
	v_cmp_lt_u32_e64 s[8:9], 3, v84
	;; [unrolled: 1-line block ×3, first 2 shown]
	v_and_b32_e32 v83, 16, v80
	v_cmp_lt_u32_e32 vcc, 31, v80
	v_lshrrev_b32_e32 v81, 6, v0
	v_or_b32_e32 v82, 63, v0
	s_cbranch_scc0 .LBB554_119
; %bb.87:
	v_mov_b32_dpp v1, v85 row_shr:1 row_mask:0xf bank_mask:0xf
	v_mov_b32_dpp v2, v86 row_shr:1 row_mask:0xf bank_mask:0xf
	v_add_u32_e32 v1, v1, v85
	v_add_u32_e32 v2, v2, v86
	v_cndmask_b32_e64 v2, v2, v86, s[4:5]
	v_cndmask_b32_e64 v1, v1, v85, s[4:5]
	s_nop 0
	v_mov_b32_dpp v4, v2 row_shr:2 row_mask:0xf bank_mask:0xf
	v_mov_b32_dpp v3, v1 row_shr:2 row_mask:0xf bank_mask:0xf
	v_add_u32_e32 v3, v1, v3
	v_add_u32_e32 v4, v2, v4
	v_cndmask_b32_e64 v2, v2, v4, s[2:3]
	v_cndmask_b32_e64 v1, v1, v3, s[2:3]
	s_nop 0
	v_mov_b32_dpp v4, v2 row_shr:4 row_mask:0xf bank_mask:0xf
	v_mov_b32_dpp v3, v1 row_shr:4 row_mask:0xf bank_mask:0xf
	v_add_u32_e32 v3, v1, v3
	v_add_u32_e32 v4, v2, v4
	v_cndmask_b32_e64 v2, v2, v4, s[8:9]
	v_cndmask_b32_e64 v1, v1, v3, s[8:9]
	v_cmp_eq_u32_e64 s[8:9], 0, v83
	v_mov_b32_dpp v4, v2 row_shr:8 row_mask:0xf bank_mask:0xf
	v_mov_b32_dpp v3, v1 row_shr:8 row_mask:0xf bank_mask:0xf
	v_add_u32_e32 v3, v1, v3
	v_add_u32_e32 v4, v2, v4
	v_cndmask_b32_e64 v2, v2, v4, s[10:11]
	v_cndmask_b32_e64 v1, v1, v3, s[10:11]
	s_nop 0
	v_mov_b32_dpp v4, v2 row_bcast:15 row_mask:0xf bank_mask:0xf
	v_mov_b32_dpp v3, v1 row_bcast:15 row_mask:0xf bank_mask:0xf
	v_add_u32_e32 v3, v1, v3
	v_add_u32_e32 v4, v2, v4
	v_cndmask_b32_e64 v2, v4, v2, s[8:9]
	v_cndmask_b32_e64 v1, v3, v1, s[8:9]
	s_nop 0
	v_mov_b32_dpp v4, v2 row_bcast:31 row_mask:0xf bank_mask:0xf
	v_mov_b32_dpp v3, v1 row_bcast:31 row_mask:0xf bank_mask:0xf
	v_add_u32_e32 v4, v2, v4
	v_add_u32_e32 v5, v1, v3
	v_cndmask_b32_e32 v3, v2, v4, vcc
	v_cndmask_b32_e32 v2, v1, v5, vcc
	v_cmp_eq_u32_e32 vcc, v82, v0
	s_and_saveexec_b64 s[8:9], vcc
	s_cbranch_execz .LBB554_89
; %bb.88:
	v_lshlrev_b32_e32 v1, 3, v81
	ds_write_b64 v1, v[2:3]
.LBB554_89:
	s_or_b64 exec, exec, s[8:9]
	v_cmp_gt_u32_e32 vcc, 4, v0
	s_waitcnt lgkmcnt(0)
	s_barrier
	s_and_saveexec_b64 s[8:9], vcc
	s_cbranch_execz .LBB554_91
; %bb.90:
	v_lshlrev_b32_e32 v1, 3, v0
	ds_read_b64 v[4:5], v1
	v_and_b32_e32 v6, 3, v80
	v_cmp_eq_u32_e32 vcc, 0, v6
	s_waitcnt lgkmcnt(0)
	v_mov_b32_dpp v7, v4 row_shr:1 row_mask:0xf bank_mask:0xf
	v_mov_b32_dpp v20, v5 row_shr:1 row_mask:0xf bank_mask:0xf
	v_add_u32_e32 v7, v7, v4
	v_add_u32_e32 v20, v20, v5
	v_cndmask_b32_e32 v5, v20, v5, vcc
	v_cndmask_b32_e32 v4, v7, v4, vcc
	v_cmp_lt_u32_e32 vcc, 1, v6
	v_mov_b32_dpp v20, v5 row_shr:2 row_mask:0xf bank_mask:0xf
	v_mov_b32_dpp v7, v4 row_shr:2 row_mask:0xf bank_mask:0xf
	v_cndmask_b32_e32 v6, 0, v7, vcc
	v_cndmask_b32_e32 v7, 0, v20, vcc
	v_add_u32_e32 v5, v7, v5
	v_add_u32_e32 v4, v6, v4
	ds_write_b64 v1, v[4:5]
.LBB554_91:
	s_or_b64 exec, exec, s[8:9]
	v_cmp_gt_u32_e32 vcc, 64, v0
	v_cmp_lt_u32_e64 s[8:9], 63, v0
	s_waitcnt lgkmcnt(0)
	s_barrier
	s_waitcnt lgkmcnt(0)
                                        ; implicit-def: $vgpr21
	s_and_saveexec_b64 s[10:11], s[8:9]
	s_xor_b64 s[8:9], exec, s[10:11]
	s_cbranch_execz .LBB554_93
; %bb.92:
	v_lshl_add_u32 v1, v81, 3, -8
	ds_read_b64 v[20:21], v1
	s_waitcnt lgkmcnt(0)
	v_add_u32_e32 v3, v21, v3
	v_add_u32_e32 v2, v20, v2
.LBB554_93:
	s_andn2_saveexec_b64 s[8:9], s[8:9]
; %bb.94:
                                        ; implicit-def: $vgpr20
; %bb.95:
	s_or_b64 exec, exec, s[8:9]
	v_add_u32_e32 v1, -1, v80
	v_and_b32_e32 v4, 64, v80
	v_cmp_lt_i32_e64 s[8:9], v1, v4
	v_cndmask_b32_e64 v1, v1, v80, s[8:9]
	v_lshlrev_b32_e32 v4, 2, v1
	ds_bpermute_b32 v1, v4, v2
	ds_bpermute_b32 v87, v4, v3
	v_cmp_eq_u32_e64 s[8:9], 0, v80
	s_and_saveexec_b64 s[10:11], vcc
	s_cbranch_execz .LBB554_118
; %bb.96:
	v_mov_b32_e32 v7, 0
	ds_read_b64 v[22:23], v7 offset:24
	s_and_saveexec_b64 s[14:15], s[8:9]
	s_cbranch_execz .LBB554_98
; %bb.97:
	s_add_i32 s16, s6, 64
	s_mov_b32 s17, 0
	s_lshl_b64 s[16:17], s[16:17], 4
	s_waitcnt lgkmcnt(0)
	v_and_b32_e32 v2, 0xff000000, v23
	v_and_b32_e32 v3, 0xff0000, v23
	s_add_u32 s16, s12, s16
	v_or_b32_e32 v2, v3, v2
	v_and_b32_e32 v3, 0xff00, v23
	s_addc_u32 s17, s13, s17
	v_or_b32_e32 v2, v2, v3
	v_or_b32_sdwa v5, v2, v23 dst_sel:DWORD dst_unused:UNUSED_PAD src0_sel:DWORD src1_sel:BYTE_0
	v_mov_b32_e32 v6, 1
	v_mov_b32_e32 v4, v22
	v_pk_mov_b32 v[2:3], s[16:17], s[16:17] op_sel:[0,1]
	;;#ASMSTART
	global_store_dwordx4 v[2:3], v[4:7] off	
s_waitcnt vmcnt(0)
	;;#ASMEND
.LBB554_98:
	s_or_b64 exec, exec, s[14:15]
	v_xad_u32 v24, v80, -1, s6
	v_add_u32_e32 v6, 64, v24
	v_lshlrev_b64 v[2:3], 4, v[6:7]
	v_mov_b32_e32 v4, s13
	v_add_co_u32_e32 v26, vcc, s12, v2
	v_addc_co_u32_e32 v27, vcc, v4, v3, vcc
	;;#ASMSTART
	global_load_dwordx4 v[2:5], v[26:27] off glc	
s_waitcnt vmcnt(0)
	;;#ASMEND
	v_and_b32_e32 v5, 0xff, v3
	v_and_b32_e32 v6, 0xff00, v3
	v_or3_b32 v5, 0, v5, v6
	v_or3_b32 v2, v2, 0, 0
	v_and_b32_e32 v6, 0xff000000, v3
	v_and_b32_e32 v3, 0xff0000, v3
	v_or3_b32 v3, v5, v3, v6
	v_or3_b32 v2, v2, 0, 0
	v_cmp_eq_u16_sdwa s[16:17], v4, v7 src0_sel:BYTE_0 src1_sel:DWORD
	s_and_saveexec_b64 s[14:15], s[16:17]
	s_cbranch_execz .LBB554_104
; %bb.99:
	s_mov_b32 s7, 1
	s_mov_b64 s[16:17], 0
	v_mov_b32_e32 v6, 0
.LBB554_100:                            ; =>This Loop Header: Depth=1
                                        ;     Child Loop BB554_101 Depth 2
	s_max_u32 s19, s7, 1
.LBB554_101:                            ;   Parent Loop BB554_100 Depth=1
                                        ; =>  This Inner Loop Header: Depth=2
	s_add_i32 s19, s19, -1
	s_cmp_eq_u32 s19, 0
	s_sleep 1
	s_cbranch_scc0 .LBB554_101
; %bb.102:                              ;   in Loop: Header=BB554_100 Depth=1
	s_cmp_lt_u32 s7, 32
	s_cselect_b64 s[20:21], -1, 0
	s_cmp_lg_u64 s[20:21], 0
	s_addc_u32 s7, s7, 0
	;;#ASMSTART
	global_load_dwordx4 v[2:5], v[26:27] off glc	
s_waitcnt vmcnt(0)
	;;#ASMEND
	v_cmp_ne_u16_sdwa s[20:21], v4, v6 src0_sel:BYTE_0 src1_sel:DWORD
	s_or_b64 s[16:17], s[20:21], s[16:17]
	s_andn2_b64 exec, exec, s[16:17]
	s_cbranch_execnz .LBB554_100
; %bb.103:
	s_or_b64 exec, exec, s[16:17]
.LBB554_104:
	s_or_b64 exec, exec, s[14:15]
	v_and_b32_e32 v89, 63, v80
	v_cmp_ne_u32_e32 vcc, 63, v89
	v_mov_b32_e32 v88, 2
	v_addc_co_u32_e32 v26, vcc, 0, v80, vcc
	v_cmp_eq_u16_sdwa s[14:15], v4, v88 src0_sel:BYTE_0 src1_sel:DWORD
	v_lshlrev_b64 v[6:7], v80, -1
	v_lshlrev_b32_e32 v90, 2, v26
	v_and_b32_e32 v5, s15, v7
	ds_bpermute_b32 v26, v90, v2
	ds_bpermute_b32 v27, v90, v3
	v_or_b32_e32 v5, 0x80000000, v5
	v_and_b32_e32 v25, s14, v6
	v_ffbl_b32_e32 v5, v5
	v_add_u32_e32 v5, 32, v5
	v_ffbl_b32_e32 v25, v25
	v_min_u32_e32 v5, v25, v5
	s_waitcnt lgkmcnt(1)
	v_add_u32_e32 v25, v26, v2
	s_waitcnt lgkmcnt(0)
	v_add_u32_e32 v26, v27, v3
	v_cmp_lt_u32_e32 vcc, v89, v5
	v_cndmask_b32_e32 v3, v3, v26, vcc
	v_cndmask_b32_e32 v2, v2, v25, vcc
	v_cmp_gt_u32_e32 vcc, 62, v89
	v_cndmask_b32_e64 v25, 0, 1, vcc
	v_lshlrev_b32_e32 v25, 1, v25
	v_add_lshl_u32 v91, v25, v80, 2
	ds_bpermute_b32 v25, v91, v2
	ds_bpermute_b32 v26, v91, v3
	v_add_u32_e32 v92, 2, v89
	v_cmp_gt_u32_e32 vcc, v92, v5
	v_add_u32_e32 v94, 4, v89
	s_waitcnt lgkmcnt(1)
	v_add_u32_e32 v25, v2, v25
	s_waitcnt lgkmcnt(0)
	v_add_u32_e32 v26, v3, v26
	v_cndmask_b32_e32 v3, v26, v3, vcc
	v_cndmask_b32_e32 v2, v25, v2, vcc
	v_cmp_gt_u32_e32 vcc, 60, v89
	v_cndmask_b32_e64 v25, 0, 1, vcc
	v_lshlrev_b32_e32 v25, 2, v25
	v_add_lshl_u32 v93, v25, v80, 2
	ds_bpermute_b32 v25, v93, v2
	ds_bpermute_b32 v26, v93, v3
	v_cmp_gt_u32_e32 vcc, v94, v5
	v_add_u32_e32 v96, 8, v89
	v_add_u32_e32 v98, 16, v89
	s_waitcnt lgkmcnt(1)
	v_add_u32_e32 v25, v2, v25
	s_waitcnt lgkmcnt(0)
	v_add_u32_e32 v26, v3, v26
	v_cndmask_b32_e32 v3, v26, v3, vcc
	v_cndmask_b32_e32 v2, v25, v2, vcc
	v_cmp_gt_u32_e32 vcc, 56, v89
	v_cndmask_b32_e64 v25, 0, 1, vcc
	v_lshlrev_b32_e32 v25, 3, v25
	v_add_lshl_u32 v95, v25, v80, 2
	ds_bpermute_b32 v25, v95, v2
	ds_bpermute_b32 v26, v95, v3
	v_cmp_gt_u32_e32 vcc, v96, v5
	v_add_u32_e32 v100, 32, v89
	s_waitcnt lgkmcnt(1)
	v_add_u32_e32 v25, v2, v25
	s_waitcnt lgkmcnt(0)
	v_add_u32_e32 v26, v3, v26
	v_cndmask_b32_e32 v3, v26, v3, vcc
	v_cndmask_b32_e32 v2, v25, v2, vcc
	v_cmp_gt_u32_e32 vcc, 48, v89
	v_cndmask_b32_e64 v25, 0, 1, vcc
	v_lshlrev_b32_e32 v25, 4, v25
	v_add_lshl_u32 v97, v25, v80, 2
	ds_bpermute_b32 v25, v97, v2
	ds_bpermute_b32 v26, v97, v3
	v_cmp_gt_u32_e32 vcc, v98, v5
	s_waitcnt lgkmcnt(1)
	v_add_u32_e32 v25, v2, v25
	s_waitcnt lgkmcnt(0)
	v_add_u32_e32 v26, v3, v26
	v_cndmask_b32_e32 v3, v26, v3, vcc
	v_cndmask_b32_e32 v2, v25, v2, vcc
	v_cmp_gt_u32_e32 vcc, 32, v89
	v_cndmask_b32_e64 v25, 0, 1, vcc
	v_lshlrev_b32_e32 v25, 5, v25
	v_add_lshl_u32 v99, v25, v80, 2
	ds_bpermute_b32 v25, v99, v2
	ds_bpermute_b32 v26, v99, v3
	v_cmp_le_u32_e32 vcc, v100, v5
	s_waitcnt lgkmcnt(1)
	v_cndmask_b32_e32 v5, 0, v25, vcc
	s_waitcnt lgkmcnt(0)
	v_cndmask_b32_e32 v25, 0, v26, vcc
	v_add_u32_e32 v3, v3, v25
	v_add_u32_e32 v2, v2, v5
	v_mov_b32_e32 v25, 0
	s_branch .LBB554_106
.LBB554_105:                            ;   in Loop: Header=BB554_106 Depth=1
	s_or_b64 exec, exec, s[14:15]
	v_cmp_eq_u16_sdwa s[14:15], v4, v88 src0_sel:BYTE_0 src1_sel:DWORD
	v_and_b32_e32 v5, s15, v7
	ds_bpermute_b32 v29, v90, v2
	ds_bpermute_b32 v101, v90, v3
	v_or_b32_e32 v5, 0x80000000, v5
	v_and_b32_e32 v28, s14, v6
	v_ffbl_b32_e32 v5, v5
	v_add_u32_e32 v5, 32, v5
	v_ffbl_b32_e32 v28, v28
	v_min_u32_e32 v5, v28, v5
	s_waitcnt lgkmcnt(1)
	v_add_u32_e32 v28, v29, v2
	s_waitcnt lgkmcnt(0)
	v_add_u32_e32 v29, v101, v3
	v_cmp_lt_u32_e32 vcc, v89, v5
	v_cndmask_b32_e32 v3, v3, v29, vcc
	v_cndmask_b32_e32 v2, v2, v28, vcc
	ds_bpermute_b32 v28, v91, v2
	ds_bpermute_b32 v29, v91, v3
	v_cmp_gt_u32_e32 vcc, v92, v5
	v_subrev_u32_e32 v24, 64, v24
	s_waitcnt lgkmcnt(1)
	v_add_u32_e32 v28, v2, v28
	s_waitcnt lgkmcnt(0)
	v_add_u32_e32 v29, v3, v29
	v_cndmask_b32_e32 v3, v29, v3, vcc
	v_cndmask_b32_e32 v2, v28, v2, vcc
	ds_bpermute_b32 v28, v93, v2
	ds_bpermute_b32 v29, v93, v3
	v_cmp_gt_u32_e32 vcc, v94, v5
	s_waitcnt lgkmcnt(1)
	v_add_u32_e32 v28, v2, v28
	s_waitcnt lgkmcnt(0)
	v_add_u32_e32 v29, v3, v29
	v_cndmask_b32_e32 v3, v29, v3, vcc
	v_cndmask_b32_e32 v2, v28, v2, vcc
	ds_bpermute_b32 v28, v95, v2
	ds_bpermute_b32 v29, v95, v3
	v_cmp_gt_u32_e32 vcc, v96, v5
	;; [unrolled: 9-line block ×3, first 2 shown]
	s_waitcnt lgkmcnt(1)
	v_add_u32_e32 v28, v2, v28
	s_waitcnt lgkmcnt(0)
	v_add_u32_e32 v29, v3, v29
	v_cndmask_b32_e32 v3, v29, v3, vcc
	v_cndmask_b32_e32 v2, v28, v2, vcc
	ds_bpermute_b32 v28, v99, v2
	ds_bpermute_b32 v29, v99, v3
	v_cmp_le_u32_e32 vcc, v100, v5
	s_waitcnt lgkmcnt(1)
	v_cndmask_b32_e32 v5, 0, v28, vcc
	s_waitcnt lgkmcnt(0)
	v_cndmask_b32_e32 v28, 0, v29, vcc
	v_add3_u32 v3, v28, v27, v3
	v_add3_u32 v2, v5, v26, v2
.LBB554_106:                            ; =>This Loop Header: Depth=1
                                        ;     Child Loop BB554_109 Depth 2
                                        ;       Child Loop BB554_110 Depth 3
	v_cmp_ne_u16_sdwa s[14:15], v4, v88 src0_sel:BYTE_0 src1_sel:DWORD
	v_cndmask_b32_e64 v4, 0, 1, s[14:15]
	;;#ASMSTART
	;;#ASMEND
	v_cmp_ne_u32_e32 vcc, 0, v4
	s_cmp_lg_u64 vcc, exec
	v_pk_mov_b32 v[26:27], v[2:3], v[2:3] op_sel:[0,1]
	s_cbranch_scc1 .LBB554_113
; %bb.107:                              ;   in Loop: Header=BB554_106 Depth=1
	v_lshlrev_b64 v[2:3], 4, v[24:25]
	v_mov_b32_e32 v4, s13
	v_add_co_u32_e32 v28, vcc, s12, v2
	v_addc_co_u32_e32 v29, vcc, v4, v3, vcc
	;;#ASMSTART
	global_load_dwordx4 v[2:5], v[28:29] off glc	
s_waitcnt vmcnt(0)
	;;#ASMEND
	v_and_b32_e32 v5, 0xff, v3
	v_and_b32_e32 v101, 0xff00, v3
	v_or3_b32 v5, 0, v5, v101
	v_or3_b32 v2, v2, 0, 0
	v_and_b32_e32 v101, 0xff000000, v3
	v_and_b32_e32 v3, 0xff0000, v3
	v_or3_b32 v3, v5, v3, v101
	v_or3_b32 v2, v2, 0, 0
	v_cmp_eq_u16_sdwa s[16:17], v4, v25 src0_sel:BYTE_0 src1_sel:DWORD
	s_and_saveexec_b64 s[14:15], s[16:17]
	s_cbranch_execz .LBB554_105
; %bb.108:                              ;   in Loop: Header=BB554_106 Depth=1
	s_mov_b32 s7, 1
	s_mov_b64 s[16:17], 0
.LBB554_109:                            ;   Parent Loop BB554_106 Depth=1
                                        ; =>  This Loop Header: Depth=2
                                        ;       Child Loop BB554_110 Depth 3
	s_max_u32 s19, s7, 1
.LBB554_110:                            ;   Parent Loop BB554_106 Depth=1
                                        ;     Parent Loop BB554_109 Depth=2
                                        ; =>    This Inner Loop Header: Depth=3
	s_add_i32 s19, s19, -1
	s_cmp_eq_u32 s19, 0
	s_sleep 1
	s_cbranch_scc0 .LBB554_110
; %bb.111:                              ;   in Loop: Header=BB554_109 Depth=2
	s_cmp_lt_u32 s7, 32
	s_cselect_b64 s[20:21], -1, 0
	s_cmp_lg_u64 s[20:21], 0
	s_addc_u32 s7, s7, 0
	;;#ASMSTART
	global_load_dwordx4 v[2:5], v[28:29] off glc	
s_waitcnt vmcnt(0)
	;;#ASMEND
	v_cmp_ne_u16_sdwa s[20:21], v4, v25 src0_sel:BYTE_0 src1_sel:DWORD
	s_or_b64 s[16:17], s[20:21], s[16:17]
	s_andn2_b64 exec, exec, s[16:17]
	s_cbranch_execnz .LBB554_109
; %bb.112:                              ;   in Loop: Header=BB554_106 Depth=1
	s_or_b64 exec, exec, s[16:17]
	s_branch .LBB554_105
.LBB554_113:                            ;   in Loop: Header=BB554_106 Depth=1
                                        ; implicit-def: $vgpr4
                                        ; implicit-def: $vgpr2_vgpr3
	s_cbranch_execz .LBB554_106
; %bb.114:
	s_and_saveexec_b64 s[14:15], s[8:9]
	s_cbranch_execz .LBB554_116
; %bb.115:
	s_add_i32 s6, s6, 64
	s_mov_b32 s7, 0
	v_add_u32_e32 v3, v27, v23
	s_lshl_b64 s[6:7], s[6:7], 4
	s_add_u32 s6, s12, s6
	v_and_b32_e32 v4, 0xff000000, v3
	v_and_b32_e32 v6, 0xff0000, v3
	s_addc_u32 s7, s13, s7
	v_or_b32_e32 v4, v6, v4
	v_and_b32_e32 v6, 0xff00, v3
	v_and_b32_e32 v3, 0xff, v3
	v_add_u32_e32 v2, v26, v22
	v_mov_b32_e32 v5, 0
	v_or3_b32 v3, v4, v6, v3
	v_mov_b32_e32 v4, 2
	v_pk_mov_b32 v[6:7], s[6:7], s[6:7] op_sel:[0,1]
	;;#ASMSTART
	global_store_dwordx4 v[6:7], v[2:5] off	
s_waitcnt vmcnt(0)
	;;#ASMEND
	s_movk_i32 s6, 0x3400
	v_add_u32_e64 v2, s6, 0
	ds_write2_b32 v2, v22, v23 offset1:2
	ds_write2_b32 v2, v26, v27 offset0:4 offset1:6
.LBB554_116:
	s_or_b64 exec, exec, s[14:15]
	v_cmp_eq_u32_e32 vcc, 0, v0
	s_and_b64 exec, exec, vcc
	s_cbranch_execz .LBB554_118
; %bb.117:
	v_mov_b32_e32 v2, 0
	ds_write_b64 v2, v[26:27] offset:24
.LBB554_118:
	s_or_b64 exec, exec, s[10:11]
	v_mov_b32_e32 v2, 0
	s_waitcnt lgkmcnt(0)
	s_barrier
	ds_read_b64 v[6:7], v2 offset:24
	s_movk_i32 s6, 0x3400
	v_cndmask_b32_e64 v2, v87, v21, s[8:9]
	v_cndmask_b32_e64 v1, v1, v20, s[8:9]
	v_add_u32_e64 v4, s6, 0
	s_waitcnt lgkmcnt(0)
	v_add_u32_e32 v20, v6, v1
	v_add_u32_e32 v1, v7, v2
	s_barrier
	ds_read2_b32 v[2:3], v4 offset1:2
	ds_read2_b32 v[4:5], v4 offset0:4 offset1:6
	v_cmp_eq_u32_e32 vcc, 0, v0
	v_cndmask_b32_e32 v1, v1, v7, vcc
	v_cndmask_b32_e32 v20, v20, v6, vcc
	s_branch .LBB554_129
.LBB554_119:
                                        ; implicit-def: $vgpr1
                                        ; implicit-def: $vgpr4
                                        ; implicit-def: $vgpr2
                                        ; implicit-def: $vgpr20_vgpr21
	s_cbranch_execz .LBB554_129
; %bb.120:
	s_nop 0
	v_mov_b32_dpp v1, v85 row_shr:1 row_mask:0xf bank_mask:0xf
	s_waitcnt lgkmcnt(0)
	v_mov_b32_dpp v2, v86 row_shr:1 row_mask:0xf bank_mask:0xf
	v_add_u32_e32 v1, v1, v85
	v_add_u32_e32 v2, v2, v86
	v_cndmask_b32_e64 v2, v2, v86, s[4:5]
	v_cndmask_b32_e64 v1, v1, v85, s[4:5]
	v_cmp_lt_u32_e32 vcc, 3, v84
	v_mov_b32_dpp v4, v2 row_shr:2 row_mask:0xf bank_mask:0xf
	v_mov_b32_dpp v3, v1 row_shr:2 row_mask:0xf bank_mask:0xf
	v_add_u32_e32 v3, v1, v3
	v_add_u32_e32 v4, v2, v4
	v_cndmask_b32_e64 v2, v2, v4, s[2:3]
	v_cndmask_b32_e64 v1, v1, v3, s[2:3]
	s_nop 0
	v_mov_b32_dpp v4, v2 row_shr:4 row_mask:0xf bank_mask:0xf
	v_mov_b32_dpp v3, v1 row_shr:4 row_mask:0xf bank_mask:0xf
	v_add_u32_e32 v3, v1, v3
	v_add_u32_e32 v4, v2, v4
	v_cndmask_b32_e32 v2, v2, v4, vcc
	v_cndmask_b32_e32 v1, v1, v3, vcc
	v_cmp_lt_u32_e32 vcc, 7, v84
	v_mov_b32_dpp v4, v2 row_shr:8 row_mask:0xf bank_mask:0xf
	v_mov_b32_dpp v3, v1 row_shr:8 row_mask:0xf bank_mask:0xf
	v_add_u32_e32 v3, v1, v3
	v_add_u32_e32 v4, v2, v4
	v_cndmask_b32_e32 v2, v2, v4, vcc
	v_cndmask_b32_e32 v1, v1, v3, vcc
	v_cmp_eq_u32_e32 vcc, 0, v83
	v_mov_b32_dpp v4, v2 row_bcast:15 row_mask:0xf bank_mask:0xf
	v_mov_b32_dpp v3, v1 row_bcast:15 row_mask:0xf bank_mask:0xf
	v_add_u32_e32 v3, v1, v3
	v_add_u32_e32 v4, v2, v4
	v_cndmask_b32_e32 v2, v4, v2, vcc
	v_cndmask_b32_e32 v1, v3, v1, vcc
	v_cmp_lt_u32_e32 vcc, 31, v80
	v_mov_b32_dpp v4, v2 row_bcast:31 row_mask:0xf bank_mask:0xf
	v_mov_b32_dpp v3, v1 row_bcast:31 row_mask:0xf bank_mask:0xf
	v_add_u32_e32 v4, v2, v4
	v_add_u32_e32 v5, v1, v3
	v_cndmask_b32_e32 v3, v2, v4, vcc
	v_cndmask_b32_e32 v2, v1, v5, vcc
	v_cmp_eq_u32_e32 vcc, v82, v0
	s_and_saveexec_b64 s[2:3], vcc
	s_cbranch_execz .LBB554_122
; %bb.121:
	v_lshlrev_b32_e32 v1, 3, v81
	ds_write_b64 v1, v[2:3]
.LBB554_122:
	s_or_b64 exec, exec, s[2:3]
	v_cmp_gt_u32_e32 vcc, 4, v0
	s_waitcnt lgkmcnt(0)
	s_barrier
	s_and_saveexec_b64 s[2:3], vcc
	s_cbranch_execz .LBB554_124
; %bb.123:
	v_lshlrev_b32_e32 v1, 3, v0
	ds_read_b64 v[4:5], v1
	v_and_b32_e32 v6, 3, v80
	v_cmp_eq_u32_e32 vcc, 0, v6
	s_waitcnt lgkmcnt(0)
	v_mov_b32_dpp v7, v4 row_shr:1 row_mask:0xf bank_mask:0xf
	v_mov_b32_dpp v20, v5 row_shr:1 row_mask:0xf bank_mask:0xf
	v_add_u32_e32 v7, v7, v4
	v_add_u32_e32 v20, v20, v5
	v_cndmask_b32_e32 v5, v20, v5, vcc
	v_cndmask_b32_e32 v4, v7, v4, vcc
	v_cmp_lt_u32_e32 vcc, 1, v6
	v_mov_b32_dpp v20, v5 row_shr:2 row_mask:0xf bank_mask:0xf
	v_mov_b32_dpp v7, v4 row_shr:2 row_mask:0xf bank_mask:0xf
	v_cndmask_b32_e32 v6, 0, v7, vcc
	v_cndmask_b32_e32 v7, 0, v20, vcc
	v_add_u32_e32 v5, v7, v5
	v_add_u32_e32 v4, v6, v4
	ds_write_b64 v1, v[4:5]
.LBB554_124:
	s_or_b64 exec, exec, s[2:3]
	v_cmp_lt_u32_e32 vcc, 63, v0
	v_mov_b32_e32 v4, 0
	v_mov_b32_e32 v6, 0
	;; [unrolled: 1-line block ×3, first 2 shown]
	s_waitcnt lgkmcnt(0)
	s_barrier
	s_and_saveexec_b64 s[2:3], vcc
	s_cbranch_execz .LBB554_126
; %bb.125:
	v_lshl_add_u32 v1, v81, 3, -8
	ds_read_b64 v[6:7], v1
.LBB554_126:
	s_or_b64 exec, exec, s[2:3]
	s_waitcnt lgkmcnt(0)
	v_add_u32_e32 v5, v7, v3
	v_add_u32_e32 v1, v6, v2
	v_add_u32_e32 v2, -1, v80
	v_and_b32_e32 v3, 64, v80
	v_cmp_lt_i32_e32 vcc, v2, v3
	v_cndmask_b32_e32 v2, v2, v80, vcc
	v_lshlrev_b32_e32 v20, 2, v2
	ds_read_b64 v[2:3], v4 offset:24
	ds_bpermute_b32 v1, v20, v1
	ds_bpermute_b32 v20, v20, v5
	v_cmp_eq_u32_e32 vcc, 0, v0
	s_waitcnt lgkmcnt(2)
	v_readfirstlane_b32 s4, v3
	s_and_saveexec_b64 s[2:3], vcc
	s_cbranch_execz .LBB554_128
; %bb.127:
	s_add_u32 s6, s12, 0x400
	s_mov_b32 s8, 0
	s_addc_u32 s7, s13, 0
	s_and_b32 s9, s4, 0xff000000
	s_and_b32 s11, s4, 0xff0000
	s_mov_b32 s10, s8
	s_or_b64 s[10:11], s[10:11], s[8:9]
	s_and_b32 s9, s4, 0xff00
	s_or_b64 s[10:11], s[10:11], s[8:9]
	s_and_b32 s9, s4, 0xff
	s_or_b64 s[8:9], s[10:11], s[8:9]
	v_mov_b32_e32 v3, s9
	v_mov_b32_e32 v4, 2
	;; [unrolled: 1-line block ×3, first 2 shown]
	v_pk_mov_b32 v[22:23], s[6:7], s[6:7] op_sel:[0,1]
	;;#ASMSTART
	global_store_dwordx4 v[22:23], v[2:5] off	
s_waitcnt vmcnt(0)
	;;#ASMEND
.LBB554_128:
	s_or_b64 exec, exec, s[2:3]
	v_cmp_eq_u32_e64 s[2:3], 0, v80
	s_waitcnt lgkmcnt(1)
	v_cndmask_b32_e64 v3, v1, v6, s[2:3]
	s_waitcnt lgkmcnt(0)
	v_cndmask_b32_e64 v1, v20, v7, s[2:3]
	v_mov_b32_e32 v4, 0
	v_cndmask_b32_e64 v1, v1, 0, vcc
	v_cndmask_b32_e64 v20, v3, 0, vcc
	s_barrier
	v_mov_b32_e32 v3, s4
	v_mov_b32_e32 v5, 0
.LBB554_129:
	v_add_u32_e32 v24, v1, v63
	v_add_u32_e32 v25, v24, v74
	;; [unrolled: 1-line block ×14, first 2 shown]
	v_mov_b32_e32 v7, s49
	s_waitcnt lgkmcnt(0)
	v_add_co_u32_e32 v6, vcc, s48, v4
	v_add_u32_e32 v64, v58, v68
	v_add_u32_e32 v68, v66, v71
	v_addc_co_u32_e32 v7, vcc, 0, v7, vcc
	v_add_u32_e32 v69, v68, v78
	v_mov_b32_e32 v22, s51
	v_sub_co_u32_e32 v23, vcc, s50, v2
	v_add_u32_e32 v71, v69, v73
	v_subbrev_co_u32_e32 v73, vcc, 0, v22, vcc
	v_add_co_u32_e32 v22, vcc, v23, v5
	v_addc_co_u32_e32 v23, vcc, 0, v73, vcc
	v_lshlrev_b32_e32 v73, 1, v2
	v_sub_u32_e32 v1, v1, v5
	v_add_u32_e32 v74, v73, v3
	v_sub_u32_e32 v20, v20, v4
	v_add_u32_e32 v1, v1, v2
	v_add_u32_e32 v31, v74, v31
	v_and_b32_e32 v33, 1, v33
	v_add_u32_e32 v74, v20, v1
	v_and_b32_e32 v32, 1, v32
	v_sub_u32_e32 v74, v31, v74
	v_cmp_eq_u32_e32 vcc, 1, v33
	v_cndmask_b32_e32 v1, v74, v1, vcc
	v_cmp_eq_u32_e32 vcc, 1, v32
	v_cndmask_b32_e32 v1, v1, v20, vcc
	v_lshlrev_b32_e32 v1, 2, v1
	v_sub_u32_e32 v20, v24, v5
	ds_write_b32 v1, v18
	v_sub_u32_e32 v1, v21, v4
	v_add_u32_e32 v20, v20, v2
	v_add_u32_e32 v24, v20, v1
	v_and_b32_e32 v21, 1, v35
	v_sub_u32_e32 v24, v31, v24
	v_and_b32_e32 v18, 1, v34
	v_add_u32_e32 v24, 1, v24
	v_cmp_eq_u32_e32 vcc, 1, v21
	v_cndmask_b32_e32 v20, v24, v20, vcc
	v_cmp_eq_u32_e32 vcc, 1, v18
	v_cndmask_b32_e32 v1, v20, v1, vcc
	v_lshlrev_b32_e32 v1, 2, v1
	ds_write_b32 v1, v19
	v_sub_u32_e32 v19, v25, v5
	v_sub_u32_e32 v1, v26, v4
	v_add_u32_e32 v19, v19, v2
	v_add_u32_e32 v21, v19, v1
	v_and_b32_e32 v20, 1, v37
	v_sub_u32_e32 v21, v31, v21
	v_and_b32_e32 v18, 1, v36
	v_add_u32_e32 v21, 2, v21
	v_cmp_eq_u32_e32 vcc, 1, v20
	v_cndmask_b32_e32 v19, v21, v19, vcc
	v_cmp_eq_u32_e32 vcc, 1, v18
	v_cndmask_b32_e32 v1, v19, v1, vcc
	v_lshlrev_b32_e32 v1, 2, v1
	v_sub_u32_e32 v18, v28, v5
	ds_write_b32 v1, v16
	v_sub_u32_e32 v1, v27, v4
	v_add_u32_e32 v18, v18, v2
	v_add_u32_e32 v20, v1, v18
	v_and_b32_e32 v19, 1, v38
	v_sub_u32_e32 v20, v31, v20
	v_and_b32_e32 v16, 1, v39
	v_add_u32_e32 v20, 3, v20
	v_cmp_eq_u32_e32 vcc, 1, v19
	v_cndmask_b32_e32 v18, v20, v18, vcc
	v_cmp_eq_u32_e32 vcc, 1, v16
	v_cndmask_b32_e32 v1, v18, v1, vcc
	v_lshlrev_b32_e32 v1, 2, v1
	ds_write_b32 v1, v17
	v_sub_u32_e32 v17, v29, v5
	v_sub_u32_e32 v1, v56, v4
	v_add_u32_e32 v17, v17, v2
	v_add_u32_e32 v19, v1, v17
	v_and_b32_e32 v18, 1, v40
	v_sub_u32_e32 v19, v31, v19
	v_and_b32_e32 v16, 1, v41
	v_add_u32_e32 v19, 4, v19
	v_cmp_eq_u32_e32 vcc, 1, v18
	v_cndmask_b32_e32 v17, v19, v17, vcc
	v_cmp_eq_u32_e32 vcc, 1, v16
	v_cndmask_b32_e32 v1, v17, v1, vcc
	v_lshlrev_b32_e32 v1, 2, v1
	v_sub_u32_e32 v16, v62, v5
	ds_write_b32 v1, v14
	v_sub_u32_e32 v1, v57, v4
	v_add_u32_e32 v16, v16, v2
	v_add_u32_e32 v18, v1, v16
	v_and_b32_e32 v17, 1, v42
	v_sub_u32_e32 v18, v31, v18
	v_and_b32_e32 v14, 1, v43
	v_add_u32_e32 v18, 5, v18
	v_cmp_eq_u32_e32 vcc, 1, v17
	v_cndmask_b32_e32 v16, v18, v16, vcc
	v_cmp_eq_u32_e32 vcc, 1, v14
	v_cndmask_b32_e32 v1, v16, v1, vcc
	v_lshlrev_b32_e32 v1, 2, v1
	ds_write_b32 v1, v15
	v_sub_u32_e32 v15, v63, v5
	v_sub_u32_e32 v1, v58, v4
	v_add_u32_e32 v15, v15, v2
	v_add_u32_e32 v17, v1, v15
	v_and_b32_e32 v16, 1, v44
	v_sub_u32_e32 v17, v31, v17
	v_and_b32_e32 v14, 1, v45
	v_add_u32_e32 v17, 6, v17
	v_cmp_eq_u32_e32 vcc, 1, v16
	v_cndmask_b32_e32 v15, v17, v15, vcc
	v_cmp_eq_u32_e32 vcc, 1, v14
	v_cndmask_b32_e32 v1, v15, v1, vcc
	v_lshlrev_b32_e32 v1, 2, v1
	v_sub_u32_e32 v14, v65, v5
	ds_write_b32 v1, v12
	v_sub_u32_e32 v1, v64, v4
	v_add_u32_e32 v14, v14, v2
	v_add_u32_e32 v16, v1, v14
	v_and_b32_e32 v15, 1, v46
	v_sub_u32_e32 v16, v31, v16
	v_and_b32_e32 v12, 1, v47
	v_add_u32_e32 v16, 7, v16
	v_cmp_eq_u32_e32 vcc, 1, v15
	v_cndmask_b32_e32 v14, v16, v14, vcc
	v_cmp_eq_u32_e32 vcc, 1, v12
	v_cndmask_b32_e32 v1, v14, v1, vcc
	v_lshlrev_b32_e32 v1, 2, v1
	v_add_u32_e32 v59, v64, v59
	ds_write_b32 v1, v13
	v_sub_u32_e32 v13, v66, v5
	v_sub_u32_e32 v1, v59, v4
	v_add_u32_e32 v13, v13, v2
	v_add_u32_e32 v15, v1, v13
	v_and_b32_e32 v14, 1, v48
	v_sub_u32_e32 v15, v31, v15
	v_and_b32_e32 v12, 1, v49
	v_add_u32_e32 v15, 8, v15
	v_cmp_eq_u32_e32 vcc, 1, v14
	v_cndmask_b32_e32 v13, v15, v13, vcc
	v_cmp_eq_u32_e32 vcc, 1, v12
	v_cndmask_b32_e32 v1, v13, v1, vcc
	v_add_u32_e32 v67, v59, v70
	v_lshlrev_b32_e32 v1, 2, v1
	v_sub_u32_e32 v12, v68, v5
	ds_write_b32 v1, v10
	v_sub_u32_e32 v1, v67, v4
	v_add_u32_e32 v12, v12, v2
	v_add_u32_e32 v14, v1, v12
	v_and_b32_e32 v13, 1, v50
	v_sub_u32_e32 v14, v31, v14
	v_and_b32_e32 v10, 1, v51
	v_add_u32_e32 v14, 9, v14
	v_cmp_eq_u32_e32 vcc, 1, v13
	v_cndmask_b32_e32 v12, v14, v12, vcc
	v_cmp_eq_u32_e32 vcc, 1, v10
	v_cndmask_b32_e32 v1, v12, v1, vcc
	v_lshlrev_b32_e32 v1, 2, v1
	v_add_u32_e32 v60, v67, v60
	ds_write_b32 v1, v11
	v_sub_u32_e32 v11, v69, v5
	v_sub_u32_e32 v1, v60, v4
	v_add_u32_e32 v11, v11, v2
	v_add_u32_e32 v13, v1, v11
	v_and_b32_e32 v12, 1, v52
	v_sub_u32_e32 v13, v31, v13
	v_and_b32_e32 v10, 1, v53
	v_add_u32_e32 v13, 10, v13
	v_cmp_eq_u32_e32 vcc, 1, v12
	v_cndmask_b32_e32 v11, v13, v11, vcc
	v_cmp_eq_u32_e32 vcc, 1, v10
	v_cndmask_b32_e32 v1, v11, v1, vcc
	v_add_u32_e32 v70, v60, v72
	v_lshlrev_b32_e32 v1, 2, v1
	v_sub_u32_e32 v10, v71, v5
	ds_write_b32 v1, v8
	v_sub_u32_e32 v1, v70, v4
	v_add_u32_e32 v10, v10, v2
	v_add_u32_e32 v12, v1, v10
	v_and_b32_e32 v11, 1, v54
	v_sub_u32_e32 v12, v31, v12
	v_and_b32_e32 v8, 1, v55
	v_add_u32_e32 v12, 11, v12
	v_cmp_eq_u32_e32 vcc, 1, v11
	v_cndmask_b32_e32 v10, v12, v10, vcc
	v_cmp_eq_u32_e32 vcc, 1, v8
	v_cndmask_b32_e32 v1, v10, v1, vcc
	v_add_u32_e32 v72, v71, v79
	v_add_u32_e32 v61, v70, v61
	v_lshlrev_b32_e32 v1, 2, v1
	ds_write_b32 v1, v9
	v_sub_u32_e32 v1, v61, v4
	v_sub_u32_e32 v4, v72, v5
	v_add_u32_e32 v4, v4, v2
	v_add_u32_e32 v8, v1, v4
	v_sub_u32_e32 v8, v31, v8
	v_add_u32_e32 v8, 12, v8
	v_cndmask_b32_e64 v4, v8, v4, s[58:59]
	v_cndmask_b32_e64 v1, v4, v1, s[46:47]
	v_lshlrev_b32_e32 v1, 2, v1
	ds_write_b32 v1, v30
	v_add_co_u32_e32 v1, vcc, v3, v73
	v_addc_co_u32_e64 v4, s[2:3], 0, 0, vcc
	v_add_co_u32_e32 v1, vcc, v1, v22
	v_addc_co_u32_e32 v4, vcc, v4, v23, vcc
	s_add_u32 s4, s56, s33
	v_add_co_u32_e32 v1, vcc, v1, v6
	s_addc_u32 s5, s57, 0
	v_addc_co_u32_e32 v4, vcc, v4, v7, vcc
	v_mov_b32_e32 v8, s5
	v_sub_co_u32_e32 v1, vcc, s4, v1
	v_subb_co_u32_e32 v4, vcc, v8, v4, vcc
	v_lshlrev_b64 v[8:9], 2, v[22:23]
	v_mov_b32_e32 v10, s55
	v_add_co_u32_e32 v8, vcc, s54, v8
	v_addc_co_u32_e32 v9, vcc, v10, v9, vcc
	v_lshlrev_b64 v[10:11], 2, v[6:7]
	v_mov_b32_e32 v13, s53
	v_add_co_u32_e32 v10, vcc, s52, v10
	s_add_u32 s6, s34, -4
	v_addc_co_u32_e32 v11, vcc, v13, v11, vcc
	s_addc_u32 s7, s35, -1
	v_add_u32_e32 v12, v2, v3
	s_and_b64 vcc, exec, s[0:1]
	s_mov_b64 s[0:1], -1
	s_waitcnt lgkmcnt(0)
	s_barrier
	s_cbranch_vccz .LBB554_133
; %bb.130:
	s_and_b64 vcc, exec, s[0:1]
	s_cbranch_vccnz .LBB554_238
.LBB554_131:
	v_cmp_eq_u32_e32 vcc, 0, v0
	s_and_b64 s[0:1], vcc, s[30:31]
	s_and_saveexec_b64 s[2:3], s[0:1]
	s_cbranch_execnz .LBB554_356
.LBB554_132:
	s_endpgm
.LBB554_133:
	v_cmp_le_u32_e32 vcc, v2, v0
	s_and_saveexec_b64 s[0:1], vcc
	s_xor_b64 s[0:1], exec, s[0:1]
	s_cbranch_execz .LBB554_139
; %bb.134:
	v_cmp_le_u32_e32 vcc, v12, v0
	s_and_saveexec_b64 s[2:3], vcc
	s_xor_b64 s[2:3], exec, s[2:3]
	s_cbranch_execz .LBB554_136
; %bb.135:
	v_lshlrev_b32_e32 v13, 2, v0
	v_add_co_u32_e32 v14, vcc, v1, v0
	ds_read_b32 v13, v13
	v_addc_co_u32_e32 v15, vcc, 0, v4, vcc
	v_lshlrev_b64 v[14:15], 2, v[14:15]
	v_mov_b32_e32 v16, s35
	v_sub_co_u32_e32 v14, vcc, s34, v14
	v_subb_co_u32_e32 v15, vcc, v16, v15, vcc
	s_waitcnt lgkmcnt(0)
	global_store_dword v[14:15], v13, off offset:-4
.LBB554_136:
	s_andn2_saveexec_b64 s[2:3], s[2:3]
	s_cbranch_execz .LBB554_138
; %bb.137:
	v_lshlrev_b32_e32 v13, 2, v0
	ds_read_b32 v14, v13
	v_readfirstlane_b32 s4, v8
	v_readfirstlane_b32 s5, v9
	s_waitcnt lgkmcnt(0)
	s_nop 3
	global_store_dword v13, v14, s[4:5]
.LBB554_138:
	s_or_b64 exec, exec, s[2:3]
.LBB554_139:
	s_andn2_saveexec_b64 s[0:1], s[0:1]
	s_cbranch_execz .LBB554_141
; %bb.140:
	v_lshlrev_b32_e32 v13, 2, v0
	ds_read_b32 v14, v13
	v_readfirstlane_b32 s2, v10
	v_readfirstlane_b32 s3, v11
	s_waitcnt lgkmcnt(0)
	s_nop 3
	global_store_dword v13, v14, s[2:3]
.LBB554_141:
	s_or_b64 exec, exec, s[0:1]
	v_or_b32_e32 v13, 0x100, v0
	v_cmp_le_u32_e32 vcc, v2, v13
	s_and_saveexec_b64 s[0:1], vcc
	s_xor_b64 s[0:1], exec, s[0:1]
	s_cbranch_execz .LBB554_147
; %bb.142:
	v_cmp_le_u32_e32 vcc, v12, v13
	s_and_saveexec_b64 s[2:3], vcc
	s_xor_b64 s[2:3], exec, s[2:3]
	s_cbranch_execz .LBB554_144
; %bb.143:
	v_lshlrev_b32_e32 v13, 2, v0
	ds_read_b32 v13, v13 offset:1024
	v_add_co_u32_e32 v14, vcc, v1, v0
	v_addc_co_u32_e32 v15, vcc, 0, v4, vcc
	v_lshlrev_b64 v[14:15], 2, v[14:15]
	v_mov_b32_e32 v16, s7
	v_sub_co_u32_e32 v14, vcc, s6, v14
	v_subb_co_u32_e32 v15, vcc, v16, v15, vcc
	s_waitcnt lgkmcnt(0)
	global_store_dword v[14:15], v13, off offset:-1024
.LBB554_144:
	s_andn2_saveexec_b64 s[2:3], s[2:3]
	s_cbranch_execz .LBB554_146
; %bb.145:
	v_lshlrev_b32_e32 v13, 2, v0
	ds_read_b32 v14, v13 offset:1024
	v_readfirstlane_b32 s4, v8
	v_readfirstlane_b32 s5, v9
	s_waitcnt lgkmcnt(0)
	s_nop 3
	global_store_dword v13, v14, s[4:5] offset:1024
.LBB554_146:
	s_or_b64 exec, exec, s[2:3]
.LBB554_147:
	s_andn2_saveexec_b64 s[0:1], s[0:1]
	s_cbranch_execz .LBB554_149
; %bb.148:
	v_lshlrev_b32_e32 v13, 2, v0
	ds_read_b32 v14, v13 offset:1024
	v_readfirstlane_b32 s2, v10
	v_readfirstlane_b32 s3, v11
	s_waitcnt lgkmcnt(0)
	s_nop 3
	global_store_dword v13, v14, s[2:3] offset:1024
.LBB554_149:
	s_or_b64 exec, exec, s[0:1]
	v_or_b32_e32 v13, 0x200, v0
	v_cmp_le_u32_e32 vcc, v2, v13
	s_and_saveexec_b64 s[0:1], vcc
	s_xor_b64 s[0:1], exec, s[0:1]
	s_cbranch_execz .LBB554_155
; %bb.150:
	v_cmp_le_u32_e32 vcc, v12, v13
	s_and_saveexec_b64 s[2:3], vcc
	s_xor_b64 s[2:3], exec, s[2:3]
	s_cbranch_execz .LBB554_152
; %bb.151:
	v_lshlrev_b32_e32 v13, 2, v0
	ds_read_b32 v13, v13 offset:2048
	v_add_co_u32_e32 v14, vcc, v1, v0
	v_addc_co_u32_e32 v15, vcc, 0, v4, vcc
	v_lshlrev_b64 v[14:15], 2, v[14:15]
	v_mov_b32_e32 v16, s7
	v_sub_co_u32_e32 v14, vcc, s6, v14
	v_subb_co_u32_e32 v15, vcc, v16, v15, vcc
	s_waitcnt lgkmcnt(0)
	global_store_dword v[14:15], v13, off offset:-2048
.LBB554_152:
	s_andn2_saveexec_b64 s[2:3], s[2:3]
	s_cbranch_execz .LBB554_154
; %bb.153:
	v_lshlrev_b32_e32 v13, 2, v0
	ds_read_b32 v14, v13 offset:2048
	v_readfirstlane_b32 s4, v8
	v_readfirstlane_b32 s5, v9
	s_waitcnt lgkmcnt(0)
	s_nop 3
	global_store_dword v13, v14, s[4:5] offset:2048
.LBB554_154:
	s_or_b64 exec, exec, s[2:3]
.LBB554_155:
	s_andn2_saveexec_b64 s[0:1], s[0:1]
	s_cbranch_execz .LBB554_157
; %bb.156:
	v_lshlrev_b32_e32 v13, 2, v0
	ds_read_b32 v14, v13 offset:2048
	v_readfirstlane_b32 s2, v10
	v_readfirstlane_b32 s3, v11
	s_waitcnt lgkmcnt(0)
	s_nop 3
	global_store_dword v13, v14, s[2:3] offset:2048
.LBB554_157:
	;; [unrolled: 47-line block ×3, first 2 shown]
	s_or_b64 exec, exec, s[0:1]
	v_or_b32_e32 v13, 0x400, v0
	v_cmp_le_u32_e32 vcc, v2, v13
	s_and_saveexec_b64 s[0:1], vcc
	s_xor_b64 s[0:1], exec, s[0:1]
	s_cbranch_execz .LBB554_171
; %bb.166:
	v_cmp_le_u32_e32 vcc, v12, v13
	s_and_saveexec_b64 s[2:3], vcc
	s_xor_b64 s[2:3], exec, s[2:3]
	s_cbranch_execz .LBB554_168
; %bb.167:
	v_lshlrev_b32_e32 v13, 2, v0
	ds_read_b32 v13, v13 offset:4096
	v_add_co_u32_e32 v14, vcc, v1, v0
	v_addc_co_u32_e32 v15, vcc, 0, v4, vcc
	v_lshlrev_b64 v[14:15], 2, v[14:15]
	v_mov_b32_e32 v16, s7
	v_sub_co_u32_e32 v14, vcc, s6, v14
	v_subb_co_u32_e32 v15, vcc, v16, v15, vcc
	s_waitcnt lgkmcnt(0)
	global_store_dword v[14:15], v13, off offset:-4096
                                        ; implicit-def: $vgpr13
.LBB554_168:
	s_andn2_saveexec_b64 s[2:3], s[2:3]
	s_cbranch_execz .LBB554_170
; %bb.169:
	v_lshlrev_b32_e32 v14, 2, v0
	ds_read_b32 v14, v14 offset:4096
	v_lshlrev_b32_e32 v13, 2, v13
	v_readfirstlane_b32 s4, v8
	v_readfirstlane_b32 s5, v9
	s_waitcnt lgkmcnt(0)
	s_nop 3
	global_store_dword v13, v14, s[4:5]
.LBB554_170:
	s_or_b64 exec, exec, s[2:3]
                                        ; implicit-def: $vgpr13
.LBB554_171:
	s_andn2_saveexec_b64 s[0:1], s[0:1]
	s_cbranch_execz .LBB554_173
; %bb.172:
	v_lshlrev_b32_e32 v14, 2, v0
	ds_read_b32 v14, v14 offset:4096
	v_lshlrev_b32_e32 v13, 2, v13
	v_readfirstlane_b32 s2, v10
	v_readfirstlane_b32 s3, v11
	s_waitcnt lgkmcnt(0)
	s_nop 3
	global_store_dword v13, v14, s[2:3]
.LBB554_173:
	s_or_b64 exec, exec, s[0:1]
	v_or_b32_e32 v13, 0x500, v0
	v_cmp_le_u32_e32 vcc, v2, v13
	s_and_saveexec_b64 s[0:1], vcc
	s_xor_b64 s[0:1], exec, s[0:1]
	s_cbranch_execz .LBB554_179
; %bb.174:
	v_cmp_le_u32_e32 vcc, v12, v13
	s_and_saveexec_b64 s[2:3], vcc
	s_xor_b64 s[2:3], exec, s[2:3]
	s_cbranch_execz .LBB554_176
; %bb.175:
	v_add_co_u32_e32 v14, vcc, v1, v13
	v_lshlrev_b32_e32 v13, 2, v0
	ds_read_b32 v13, v13 offset:5120
	v_addc_co_u32_e32 v15, vcc, 0, v4, vcc
	v_lshlrev_b64 v[14:15], 2, v[14:15]
	v_mov_b32_e32 v16, s7
	v_sub_co_u32_e32 v14, vcc, s6, v14
	v_subb_co_u32_e32 v15, vcc, v16, v15, vcc
	s_waitcnt lgkmcnt(0)
	global_store_dword v[14:15], v13, off
                                        ; implicit-def: $vgpr13
.LBB554_176:
	s_andn2_saveexec_b64 s[2:3], s[2:3]
	s_cbranch_execz .LBB554_178
; %bb.177:
	v_lshlrev_b32_e32 v14, 2, v0
	ds_read_b32 v14, v14 offset:5120
	v_lshlrev_b32_e32 v13, 2, v13
	v_readfirstlane_b32 s4, v8
	v_readfirstlane_b32 s5, v9
	s_waitcnt lgkmcnt(0)
	s_nop 3
	global_store_dword v13, v14, s[4:5]
.LBB554_178:
	s_or_b64 exec, exec, s[2:3]
                                        ; implicit-def: $vgpr13
.LBB554_179:
	s_andn2_saveexec_b64 s[0:1], s[0:1]
	s_cbranch_execz .LBB554_181
; %bb.180:
	v_lshlrev_b32_e32 v14, 2, v0
	ds_read_b32 v14, v14 offset:5120
	v_lshlrev_b32_e32 v13, 2, v13
	v_readfirstlane_b32 s2, v10
	v_readfirstlane_b32 s3, v11
	s_waitcnt lgkmcnt(0)
	s_nop 3
	global_store_dword v13, v14, s[2:3]
.LBB554_181:
	s_or_b64 exec, exec, s[0:1]
	v_or_b32_e32 v13, 0x600, v0
	v_cmp_le_u32_e32 vcc, v2, v13
	s_and_saveexec_b64 s[0:1], vcc
	s_xor_b64 s[0:1], exec, s[0:1]
	s_cbranch_execz .LBB554_187
; %bb.182:
	v_cmp_le_u32_e32 vcc, v12, v13
	s_and_saveexec_b64 s[2:3], vcc
	s_xor_b64 s[2:3], exec, s[2:3]
	s_cbranch_execz .LBB554_184
; %bb.183:
	v_add_co_u32_e32 v14, vcc, v1, v13
	v_lshlrev_b32_e32 v13, 2, v0
	ds_read_b32 v13, v13 offset:6144
	v_addc_co_u32_e32 v15, vcc, 0, v4, vcc
	v_lshlrev_b64 v[14:15], 2, v[14:15]
	v_mov_b32_e32 v16, s7
	v_sub_co_u32_e32 v14, vcc, s6, v14
	v_subb_co_u32_e32 v15, vcc, v16, v15, vcc
	s_waitcnt lgkmcnt(0)
	global_store_dword v[14:15], v13, off
                                        ; implicit-def: $vgpr13
.LBB554_184:
	s_andn2_saveexec_b64 s[2:3], s[2:3]
	s_cbranch_execz .LBB554_186
; %bb.185:
	v_lshlrev_b32_e32 v14, 2, v0
	ds_read_b32 v14, v14 offset:6144
	v_lshlrev_b32_e32 v13, 2, v13
	v_readfirstlane_b32 s4, v8
	v_readfirstlane_b32 s5, v9
	s_waitcnt lgkmcnt(0)
	s_nop 3
	global_store_dword v13, v14, s[4:5]
.LBB554_186:
	s_or_b64 exec, exec, s[2:3]
                                        ; implicit-def: $vgpr13
.LBB554_187:
	s_andn2_saveexec_b64 s[0:1], s[0:1]
	s_cbranch_execz .LBB554_189
; %bb.188:
	v_lshlrev_b32_e32 v14, 2, v0
	ds_read_b32 v14, v14 offset:6144
	v_lshlrev_b32_e32 v13, 2, v13
	v_readfirstlane_b32 s2, v10
	v_readfirstlane_b32 s3, v11
	s_waitcnt lgkmcnt(0)
	s_nop 3
	global_store_dword v13, v14, s[2:3]
.LBB554_189:
	s_or_b64 exec, exec, s[0:1]
	v_or_b32_e32 v13, 0x700, v0
	v_cmp_le_u32_e32 vcc, v2, v13
	s_and_saveexec_b64 s[0:1], vcc
	s_xor_b64 s[0:1], exec, s[0:1]
	s_cbranch_execz .LBB554_195
; %bb.190:
	v_cmp_le_u32_e32 vcc, v12, v13
	s_and_saveexec_b64 s[2:3], vcc
	s_xor_b64 s[2:3], exec, s[2:3]
	s_cbranch_execz .LBB554_192
; %bb.191:
	v_add_co_u32_e32 v14, vcc, v1, v13
	v_lshlrev_b32_e32 v13, 2, v0
	ds_read_b32 v13, v13 offset:7168
	v_addc_co_u32_e32 v15, vcc, 0, v4, vcc
	v_lshlrev_b64 v[14:15], 2, v[14:15]
	v_mov_b32_e32 v16, s7
	v_sub_co_u32_e32 v14, vcc, s6, v14
	v_subb_co_u32_e32 v15, vcc, v16, v15, vcc
	s_waitcnt lgkmcnt(0)
	global_store_dword v[14:15], v13, off
                                        ; implicit-def: $vgpr13
.LBB554_192:
	s_andn2_saveexec_b64 s[2:3], s[2:3]
	s_cbranch_execz .LBB554_194
; %bb.193:
	v_lshlrev_b32_e32 v14, 2, v0
	ds_read_b32 v14, v14 offset:7168
	v_lshlrev_b32_e32 v13, 2, v13
	v_readfirstlane_b32 s4, v8
	v_readfirstlane_b32 s5, v9
	s_waitcnt lgkmcnt(0)
	s_nop 3
	global_store_dword v13, v14, s[4:5]
.LBB554_194:
	s_or_b64 exec, exec, s[2:3]
                                        ; implicit-def: $vgpr13
.LBB554_195:
	s_andn2_saveexec_b64 s[0:1], s[0:1]
	s_cbranch_execz .LBB554_197
; %bb.196:
	v_lshlrev_b32_e32 v14, 2, v0
	ds_read_b32 v14, v14 offset:7168
	v_lshlrev_b32_e32 v13, 2, v13
	v_readfirstlane_b32 s2, v10
	v_readfirstlane_b32 s3, v11
	s_waitcnt lgkmcnt(0)
	s_nop 3
	global_store_dword v13, v14, s[2:3]
.LBB554_197:
	s_or_b64 exec, exec, s[0:1]
	v_or_b32_e32 v13, 0x800, v0
	v_cmp_le_u32_e32 vcc, v2, v13
	s_and_saveexec_b64 s[0:1], vcc
	s_xor_b64 s[0:1], exec, s[0:1]
	s_cbranch_execz .LBB554_203
; %bb.198:
	v_cmp_le_u32_e32 vcc, v12, v13
	s_and_saveexec_b64 s[2:3], vcc
	s_xor_b64 s[2:3], exec, s[2:3]
	s_cbranch_execz .LBB554_200
; %bb.199:
	v_add_co_u32_e32 v14, vcc, v1, v13
	v_lshlrev_b32_e32 v13, 2, v0
	ds_read_b32 v13, v13 offset:8192
	v_addc_co_u32_e32 v15, vcc, 0, v4, vcc
	v_lshlrev_b64 v[14:15], 2, v[14:15]
	v_mov_b32_e32 v16, s7
	v_sub_co_u32_e32 v14, vcc, s6, v14
	v_subb_co_u32_e32 v15, vcc, v16, v15, vcc
	s_waitcnt lgkmcnt(0)
	global_store_dword v[14:15], v13, off
                                        ; implicit-def: $vgpr13
.LBB554_200:
	s_andn2_saveexec_b64 s[2:3], s[2:3]
	s_cbranch_execz .LBB554_202
; %bb.201:
	v_lshlrev_b32_e32 v14, 2, v0
	ds_read_b32 v14, v14 offset:8192
	v_lshlrev_b32_e32 v13, 2, v13
	v_readfirstlane_b32 s4, v8
	v_readfirstlane_b32 s5, v9
	s_waitcnt lgkmcnt(0)
	s_nop 3
	global_store_dword v13, v14, s[4:5]
.LBB554_202:
	s_or_b64 exec, exec, s[2:3]
                                        ; implicit-def: $vgpr13
.LBB554_203:
	s_andn2_saveexec_b64 s[0:1], s[0:1]
	s_cbranch_execz .LBB554_205
; %bb.204:
	v_lshlrev_b32_e32 v14, 2, v0
	ds_read_b32 v14, v14 offset:8192
	v_lshlrev_b32_e32 v13, 2, v13
	v_readfirstlane_b32 s2, v10
	v_readfirstlane_b32 s3, v11
	s_waitcnt lgkmcnt(0)
	s_nop 3
	global_store_dword v13, v14, s[2:3]
.LBB554_205:
	s_or_b64 exec, exec, s[0:1]
	v_or_b32_e32 v13, 0x900, v0
	v_cmp_le_u32_e32 vcc, v2, v13
	s_and_saveexec_b64 s[0:1], vcc
	s_xor_b64 s[0:1], exec, s[0:1]
	s_cbranch_execz .LBB554_211
; %bb.206:
	v_cmp_le_u32_e32 vcc, v12, v13
	s_and_saveexec_b64 s[2:3], vcc
	s_xor_b64 s[2:3], exec, s[2:3]
	s_cbranch_execz .LBB554_208
; %bb.207:
	v_add_co_u32_e32 v14, vcc, v1, v13
	v_lshlrev_b32_e32 v13, 2, v0
	ds_read_b32 v13, v13 offset:9216
	v_addc_co_u32_e32 v15, vcc, 0, v4, vcc
	v_lshlrev_b64 v[14:15], 2, v[14:15]
	v_mov_b32_e32 v16, s7
	v_sub_co_u32_e32 v14, vcc, s6, v14
	v_subb_co_u32_e32 v15, vcc, v16, v15, vcc
	s_waitcnt lgkmcnt(0)
	global_store_dword v[14:15], v13, off
                                        ; implicit-def: $vgpr13
.LBB554_208:
	s_andn2_saveexec_b64 s[2:3], s[2:3]
	s_cbranch_execz .LBB554_210
; %bb.209:
	v_lshlrev_b32_e32 v14, 2, v0
	ds_read_b32 v14, v14 offset:9216
	v_lshlrev_b32_e32 v13, 2, v13
	v_readfirstlane_b32 s4, v8
	v_readfirstlane_b32 s5, v9
	s_waitcnt lgkmcnt(0)
	s_nop 3
	global_store_dword v13, v14, s[4:5]
.LBB554_210:
	s_or_b64 exec, exec, s[2:3]
                                        ; implicit-def: $vgpr13
.LBB554_211:
	s_andn2_saveexec_b64 s[0:1], s[0:1]
	s_cbranch_execz .LBB554_213
; %bb.212:
	v_lshlrev_b32_e32 v14, 2, v0
	ds_read_b32 v14, v14 offset:9216
	v_lshlrev_b32_e32 v13, 2, v13
	v_readfirstlane_b32 s2, v10
	v_readfirstlane_b32 s3, v11
	s_waitcnt lgkmcnt(0)
	s_nop 3
	global_store_dword v13, v14, s[2:3]
.LBB554_213:
	s_or_b64 exec, exec, s[0:1]
	v_or_b32_e32 v13, 0xa00, v0
	v_cmp_le_u32_e32 vcc, v2, v13
	s_and_saveexec_b64 s[0:1], vcc
	s_xor_b64 s[0:1], exec, s[0:1]
	s_cbranch_execz .LBB554_219
; %bb.214:
	v_cmp_le_u32_e32 vcc, v12, v13
	s_and_saveexec_b64 s[2:3], vcc
	s_xor_b64 s[2:3], exec, s[2:3]
	s_cbranch_execz .LBB554_216
; %bb.215:
	v_add_co_u32_e32 v14, vcc, v1, v13
	v_lshlrev_b32_e32 v13, 2, v0
	ds_read_b32 v13, v13 offset:10240
	v_addc_co_u32_e32 v15, vcc, 0, v4, vcc
	v_lshlrev_b64 v[14:15], 2, v[14:15]
	v_mov_b32_e32 v16, s7
	v_sub_co_u32_e32 v14, vcc, s6, v14
	v_subb_co_u32_e32 v15, vcc, v16, v15, vcc
	s_waitcnt lgkmcnt(0)
	global_store_dword v[14:15], v13, off
                                        ; implicit-def: $vgpr13
.LBB554_216:
	s_andn2_saveexec_b64 s[2:3], s[2:3]
	s_cbranch_execz .LBB554_218
; %bb.217:
	v_lshlrev_b32_e32 v14, 2, v0
	ds_read_b32 v14, v14 offset:10240
	v_lshlrev_b32_e32 v13, 2, v13
	v_readfirstlane_b32 s4, v8
	v_readfirstlane_b32 s5, v9
	s_waitcnt lgkmcnt(0)
	s_nop 3
	global_store_dword v13, v14, s[4:5]
.LBB554_218:
	s_or_b64 exec, exec, s[2:3]
                                        ; implicit-def: $vgpr13
.LBB554_219:
	s_andn2_saveexec_b64 s[0:1], s[0:1]
	s_cbranch_execz .LBB554_221
; %bb.220:
	v_lshlrev_b32_e32 v14, 2, v0
	ds_read_b32 v14, v14 offset:10240
	v_lshlrev_b32_e32 v13, 2, v13
	v_readfirstlane_b32 s2, v10
	v_readfirstlane_b32 s3, v11
	s_waitcnt lgkmcnt(0)
	s_nop 3
	global_store_dword v13, v14, s[2:3]
.LBB554_221:
	s_or_b64 exec, exec, s[0:1]
	v_or_b32_e32 v13, 0xb00, v0
	v_cmp_le_u32_e32 vcc, v2, v13
	s_and_saveexec_b64 s[0:1], vcc
	s_xor_b64 s[0:1], exec, s[0:1]
	s_cbranch_execz .LBB554_227
; %bb.222:
	v_cmp_le_u32_e32 vcc, v12, v13
	s_and_saveexec_b64 s[2:3], vcc
	s_xor_b64 s[2:3], exec, s[2:3]
	s_cbranch_execz .LBB554_224
; %bb.223:
	v_add_co_u32_e32 v14, vcc, v1, v13
	v_lshlrev_b32_e32 v13, 2, v0
	ds_read_b32 v13, v13 offset:11264
	v_addc_co_u32_e32 v15, vcc, 0, v4, vcc
	v_lshlrev_b64 v[14:15], 2, v[14:15]
	v_mov_b32_e32 v16, s7
	v_sub_co_u32_e32 v14, vcc, s6, v14
	v_subb_co_u32_e32 v15, vcc, v16, v15, vcc
	s_waitcnt lgkmcnt(0)
	global_store_dword v[14:15], v13, off
                                        ; implicit-def: $vgpr13
.LBB554_224:
	s_andn2_saveexec_b64 s[2:3], s[2:3]
	s_cbranch_execz .LBB554_226
; %bb.225:
	v_lshlrev_b32_e32 v14, 2, v0
	ds_read_b32 v14, v14 offset:11264
	v_lshlrev_b32_e32 v13, 2, v13
	v_readfirstlane_b32 s4, v8
	v_readfirstlane_b32 s5, v9
	s_waitcnt lgkmcnt(0)
	s_nop 3
	global_store_dword v13, v14, s[4:5]
.LBB554_226:
	s_or_b64 exec, exec, s[2:3]
                                        ; implicit-def: $vgpr13
.LBB554_227:
	s_andn2_saveexec_b64 s[0:1], s[0:1]
	s_cbranch_execz .LBB554_229
; %bb.228:
	v_lshlrev_b32_e32 v14, 2, v0
	ds_read_b32 v14, v14 offset:11264
	v_lshlrev_b32_e32 v13, 2, v13
	v_readfirstlane_b32 s2, v10
	v_readfirstlane_b32 s3, v11
	s_waitcnt lgkmcnt(0)
	s_nop 3
	global_store_dword v13, v14, s[2:3]
.LBB554_229:
	s_or_b64 exec, exec, s[0:1]
	v_or_b32_e32 v13, 0xc00, v0
	v_cmp_le_u32_e32 vcc, v2, v13
	s_and_saveexec_b64 s[0:1], vcc
	s_xor_b64 s[0:1], exec, s[0:1]
	s_cbranch_execz .LBB554_235
; %bb.230:
	v_cmp_le_u32_e32 vcc, v12, v13
	s_and_saveexec_b64 s[2:3], vcc
	s_xor_b64 s[2:3], exec, s[2:3]
	s_cbranch_execz .LBB554_232
; %bb.231:
	v_add_co_u32_e32 v14, vcc, v1, v13
	v_lshlrev_b32_e32 v13, 2, v0
	ds_read_b32 v13, v13 offset:12288
	v_addc_co_u32_e32 v15, vcc, 0, v4, vcc
	v_lshlrev_b64 v[14:15], 2, v[14:15]
	v_mov_b32_e32 v16, s7
	v_sub_co_u32_e32 v14, vcc, s6, v14
	v_subb_co_u32_e32 v15, vcc, v16, v15, vcc
	s_waitcnt lgkmcnt(0)
	global_store_dword v[14:15], v13, off
                                        ; implicit-def: $vgpr13
.LBB554_232:
	s_andn2_saveexec_b64 s[2:3], s[2:3]
	s_cbranch_execz .LBB554_234
; %bb.233:
	v_lshlrev_b32_e32 v14, 2, v0
	ds_read_b32 v14, v14 offset:12288
	v_lshlrev_b32_e32 v13, 2, v13
	v_readfirstlane_b32 s4, v8
	v_readfirstlane_b32 s5, v9
	s_waitcnt lgkmcnt(0)
	s_nop 3
	global_store_dword v13, v14, s[4:5]
.LBB554_234:
	s_or_b64 exec, exec, s[2:3]
                                        ; implicit-def: $vgpr13
.LBB554_235:
	s_andn2_saveexec_b64 s[0:1], s[0:1]
	s_cbranch_execz .LBB554_237
; %bb.236:
	v_lshlrev_b32_e32 v14, 2, v0
	ds_read_b32 v14, v14 offset:12288
	v_lshlrev_b32_e32 v13, 2, v13
	v_readfirstlane_b32 s2, v10
	v_readfirstlane_b32 s3, v11
	s_waitcnt lgkmcnt(0)
	s_nop 3
	global_store_dword v13, v14, s[2:3]
.LBB554_237:
	s_or_b64 exec, exec, s[0:1]
	s_branch .LBB554_131
.LBB554_238:
	v_cmp_gt_u32_e32 vcc, s18, v0
	s_and_saveexec_b64 s[0:1], vcc
	s_cbranch_execz .LBB554_247
; %bb.239:
	v_cmp_le_u32_e32 vcc, v2, v0
	s_and_saveexec_b64 s[2:3], vcc
	s_xor_b64 s[2:3], exec, s[2:3]
	s_cbranch_execz .LBB554_245
; %bb.240:
	v_cmp_le_u32_e32 vcc, v12, v0
	s_and_saveexec_b64 s[4:5], vcc
	s_xor_b64 s[4:5], exec, s[4:5]
	s_cbranch_execz .LBB554_242
; %bb.241:
	v_lshlrev_b32_e32 v13, 2, v0
	v_add_co_u32_e32 v14, vcc, v1, v0
	ds_read_b32 v13, v13
	v_addc_co_u32_e32 v15, vcc, 0, v4, vcc
	v_lshlrev_b64 v[14:15], 2, v[14:15]
	v_mov_b32_e32 v16, s35
	v_sub_co_u32_e32 v14, vcc, s34, v14
	v_subb_co_u32_e32 v15, vcc, v16, v15, vcc
	s_waitcnt lgkmcnt(0)
	global_store_dword v[14:15], v13, off offset:-4
.LBB554_242:
	s_andn2_saveexec_b64 s[4:5], s[4:5]
	s_cbranch_execz .LBB554_244
; %bb.243:
	v_lshlrev_b32_e32 v13, 2, v0
	ds_read_b32 v14, v13
	v_readfirstlane_b32 s8, v8
	v_readfirstlane_b32 s9, v9
	s_waitcnt lgkmcnt(0)
	s_nop 3
	global_store_dword v13, v14, s[8:9]
.LBB554_244:
	s_or_b64 exec, exec, s[4:5]
.LBB554_245:
	s_andn2_saveexec_b64 s[2:3], s[2:3]
	s_cbranch_execz .LBB554_247
; %bb.246:
	v_lshlrev_b32_e32 v13, 2, v0
	ds_read_b32 v14, v13
	v_readfirstlane_b32 s2, v10
	v_readfirstlane_b32 s3, v11
	s_waitcnt lgkmcnt(0)
	s_nop 3
	global_store_dword v13, v14, s[2:3]
.LBB554_247:
	s_or_b64 exec, exec, s[0:1]
	v_or_b32_e32 v13, 0x100, v0
	v_cmp_gt_u32_e32 vcc, s18, v13
	s_and_saveexec_b64 s[0:1], vcc
	s_cbranch_execz .LBB554_256
; %bb.248:
	v_cmp_le_u32_e32 vcc, v2, v13
	s_and_saveexec_b64 s[2:3], vcc
	s_xor_b64 s[2:3], exec, s[2:3]
	s_cbranch_execz .LBB554_254
; %bb.249:
	v_cmp_le_u32_e32 vcc, v12, v13
	s_and_saveexec_b64 s[4:5], vcc
	s_xor_b64 s[4:5], exec, s[4:5]
	s_cbranch_execz .LBB554_251
; %bb.250:
	v_lshlrev_b32_e32 v13, 2, v0
	ds_read_b32 v13, v13 offset:1024
	v_add_co_u32_e32 v14, vcc, v1, v0
	v_addc_co_u32_e32 v15, vcc, 0, v4, vcc
	v_lshlrev_b64 v[14:15], 2, v[14:15]
	v_mov_b32_e32 v16, s7
	v_sub_co_u32_e32 v14, vcc, s6, v14
	v_subb_co_u32_e32 v15, vcc, v16, v15, vcc
	s_waitcnt lgkmcnt(0)
	global_store_dword v[14:15], v13, off offset:-1024
.LBB554_251:
	s_andn2_saveexec_b64 s[4:5], s[4:5]
	s_cbranch_execz .LBB554_253
; %bb.252:
	v_lshlrev_b32_e32 v13, 2, v0
	ds_read_b32 v14, v13 offset:1024
	v_readfirstlane_b32 s8, v8
	v_readfirstlane_b32 s9, v9
	s_waitcnt lgkmcnt(0)
	s_nop 3
	global_store_dword v13, v14, s[8:9] offset:1024
.LBB554_253:
	s_or_b64 exec, exec, s[4:5]
.LBB554_254:
	s_andn2_saveexec_b64 s[2:3], s[2:3]
	s_cbranch_execz .LBB554_256
; %bb.255:
	v_lshlrev_b32_e32 v13, 2, v0
	ds_read_b32 v14, v13 offset:1024
	v_readfirstlane_b32 s2, v10
	v_readfirstlane_b32 s3, v11
	s_waitcnt lgkmcnt(0)
	s_nop 3
	global_store_dword v13, v14, s[2:3] offset:1024
.LBB554_256:
	s_or_b64 exec, exec, s[0:1]
	v_or_b32_e32 v13, 0x200, v0
	v_cmp_gt_u32_e32 vcc, s18, v13
	s_and_saveexec_b64 s[0:1], vcc
	s_cbranch_execz .LBB554_265
; %bb.257:
	v_cmp_le_u32_e32 vcc, v2, v13
	s_and_saveexec_b64 s[2:3], vcc
	s_xor_b64 s[2:3], exec, s[2:3]
	s_cbranch_execz .LBB554_263
; %bb.258:
	v_cmp_le_u32_e32 vcc, v12, v13
	s_and_saveexec_b64 s[4:5], vcc
	s_xor_b64 s[4:5], exec, s[4:5]
	s_cbranch_execz .LBB554_260
; %bb.259:
	v_lshlrev_b32_e32 v13, 2, v0
	ds_read_b32 v13, v13 offset:2048
	v_add_co_u32_e32 v14, vcc, v1, v0
	v_addc_co_u32_e32 v15, vcc, 0, v4, vcc
	v_lshlrev_b64 v[14:15], 2, v[14:15]
	v_mov_b32_e32 v16, s7
	v_sub_co_u32_e32 v14, vcc, s6, v14
	v_subb_co_u32_e32 v15, vcc, v16, v15, vcc
	s_waitcnt lgkmcnt(0)
	global_store_dword v[14:15], v13, off offset:-2048
.LBB554_260:
	s_andn2_saveexec_b64 s[4:5], s[4:5]
	s_cbranch_execz .LBB554_262
; %bb.261:
	v_lshlrev_b32_e32 v13, 2, v0
	ds_read_b32 v14, v13 offset:2048
	v_readfirstlane_b32 s8, v8
	v_readfirstlane_b32 s9, v9
	s_waitcnt lgkmcnt(0)
	s_nop 3
	global_store_dword v13, v14, s[8:9] offset:2048
.LBB554_262:
	s_or_b64 exec, exec, s[4:5]
.LBB554_263:
	s_andn2_saveexec_b64 s[2:3], s[2:3]
	s_cbranch_execz .LBB554_265
; %bb.264:
	v_lshlrev_b32_e32 v13, 2, v0
	ds_read_b32 v14, v13 offset:2048
	v_readfirstlane_b32 s2, v10
	v_readfirstlane_b32 s3, v11
	s_waitcnt lgkmcnt(0)
	s_nop 3
	global_store_dword v13, v14, s[2:3] offset:2048
.LBB554_265:
	;; [unrolled: 51-line block ×3, first 2 shown]
	s_or_b64 exec, exec, s[0:1]
	v_or_b32_e32 v13, 0x400, v0
	v_cmp_gt_u32_e32 vcc, s18, v13
	s_and_saveexec_b64 s[0:1], vcc
	s_cbranch_execz .LBB554_283
; %bb.275:
	v_cmp_le_u32_e32 vcc, v2, v13
	s_and_saveexec_b64 s[2:3], vcc
	s_xor_b64 s[2:3], exec, s[2:3]
	s_cbranch_execz .LBB554_281
; %bb.276:
	v_cmp_le_u32_e32 vcc, v12, v13
	s_and_saveexec_b64 s[4:5], vcc
	s_xor_b64 s[4:5], exec, s[4:5]
	s_cbranch_execz .LBB554_278
; %bb.277:
	v_lshlrev_b32_e32 v13, 2, v0
	ds_read_b32 v13, v13 offset:4096
	v_add_co_u32_e32 v14, vcc, v1, v0
	v_addc_co_u32_e32 v15, vcc, 0, v4, vcc
	v_lshlrev_b64 v[14:15], 2, v[14:15]
	v_mov_b32_e32 v16, s7
	v_sub_co_u32_e32 v14, vcc, s6, v14
	v_subb_co_u32_e32 v15, vcc, v16, v15, vcc
	s_waitcnt lgkmcnt(0)
	global_store_dword v[14:15], v13, off offset:-4096
                                        ; implicit-def: $vgpr13
.LBB554_278:
	s_andn2_saveexec_b64 s[4:5], s[4:5]
	s_cbranch_execz .LBB554_280
; %bb.279:
	v_lshlrev_b32_e32 v14, 2, v0
	ds_read_b32 v14, v14 offset:4096
	v_lshlrev_b32_e32 v13, 2, v13
	v_readfirstlane_b32 s8, v8
	v_readfirstlane_b32 s9, v9
	s_waitcnt lgkmcnt(0)
	s_nop 3
	global_store_dword v13, v14, s[8:9]
.LBB554_280:
	s_or_b64 exec, exec, s[4:5]
                                        ; implicit-def: $vgpr13
.LBB554_281:
	s_andn2_saveexec_b64 s[2:3], s[2:3]
	s_cbranch_execz .LBB554_283
; %bb.282:
	v_lshlrev_b32_e32 v14, 2, v0
	ds_read_b32 v14, v14 offset:4096
	v_lshlrev_b32_e32 v13, 2, v13
	v_readfirstlane_b32 s2, v10
	v_readfirstlane_b32 s3, v11
	s_waitcnt lgkmcnt(0)
	s_nop 3
	global_store_dword v13, v14, s[2:3]
.LBB554_283:
	s_or_b64 exec, exec, s[0:1]
	v_or_b32_e32 v13, 0x500, v0
	v_cmp_gt_u32_e32 vcc, s18, v13
	s_and_saveexec_b64 s[0:1], vcc
	s_cbranch_execz .LBB554_292
; %bb.284:
	v_cmp_le_u32_e32 vcc, v2, v13
	s_and_saveexec_b64 s[2:3], vcc
	s_xor_b64 s[2:3], exec, s[2:3]
	s_cbranch_execz .LBB554_290
; %bb.285:
	v_cmp_le_u32_e32 vcc, v12, v13
	s_and_saveexec_b64 s[4:5], vcc
	s_xor_b64 s[4:5], exec, s[4:5]
	s_cbranch_execz .LBB554_287
; %bb.286:
	v_add_co_u32_e32 v14, vcc, v1, v13
	v_lshlrev_b32_e32 v13, 2, v0
	ds_read_b32 v13, v13 offset:5120
	v_addc_co_u32_e32 v15, vcc, 0, v4, vcc
	v_lshlrev_b64 v[14:15], 2, v[14:15]
	v_mov_b32_e32 v16, s7
	v_sub_co_u32_e32 v14, vcc, s6, v14
	v_subb_co_u32_e32 v15, vcc, v16, v15, vcc
	s_waitcnt lgkmcnt(0)
	global_store_dword v[14:15], v13, off
                                        ; implicit-def: $vgpr13
.LBB554_287:
	s_andn2_saveexec_b64 s[4:5], s[4:5]
	s_cbranch_execz .LBB554_289
; %bb.288:
	v_lshlrev_b32_e32 v14, 2, v0
	ds_read_b32 v14, v14 offset:5120
	v_lshlrev_b32_e32 v13, 2, v13
	v_readfirstlane_b32 s8, v8
	v_readfirstlane_b32 s9, v9
	s_waitcnt lgkmcnt(0)
	s_nop 3
	global_store_dword v13, v14, s[8:9]
.LBB554_289:
	s_or_b64 exec, exec, s[4:5]
                                        ; implicit-def: $vgpr13
.LBB554_290:
	s_andn2_saveexec_b64 s[2:3], s[2:3]
	s_cbranch_execz .LBB554_292
; %bb.291:
	v_lshlrev_b32_e32 v14, 2, v0
	ds_read_b32 v14, v14 offset:5120
	v_lshlrev_b32_e32 v13, 2, v13
	v_readfirstlane_b32 s2, v10
	v_readfirstlane_b32 s3, v11
	s_waitcnt lgkmcnt(0)
	s_nop 3
	global_store_dword v13, v14, s[2:3]
.LBB554_292:
	s_or_b64 exec, exec, s[0:1]
	v_or_b32_e32 v13, 0x600, v0
	v_cmp_gt_u32_e32 vcc, s18, v13
	s_and_saveexec_b64 s[0:1], vcc
	s_cbranch_execz .LBB554_301
; %bb.293:
	v_cmp_le_u32_e32 vcc, v2, v13
	s_and_saveexec_b64 s[2:3], vcc
	s_xor_b64 s[2:3], exec, s[2:3]
	s_cbranch_execz .LBB554_299
; %bb.294:
	v_cmp_le_u32_e32 vcc, v12, v13
	s_and_saveexec_b64 s[4:5], vcc
	s_xor_b64 s[4:5], exec, s[4:5]
	s_cbranch_execz .LBB554_296
; %bb.295:
	v_add_co_u32_e32 v14, vcc, v1, v13
	v_lshlrev_b32_e32 v13, 2, v0
	ds_read_b32 v13, v13 offset:6144
	v_addc_co_u32_e32 v15, vcc, 0, v4, vcc
	v_lshlrev_b64 v[14:15], 2, v[14:15]
	v_mov_b32_e32 v16, s7
	v_sub_co_u32_e32 v14, vcc, s6, v14
	v_subb_co_u32_e32 v15, vcc, v16, v15, vcc
	s_waitcnt lgkmcnt(0)
	global_store_dword v[14:15], v13, off
                                        ; implicit-def: $vgpr13
.LBB554_296:
	s_andn2_saveexec_b64 s[4:5], s[4:5]
	s_cbranch_execz .LBB554_298
; %bb.297:
	v_lshlrev_b32_e32 v14, 2, v0
	ds_read_b32 v14, v14 offset:6144
	v_lshlrev_b32_e32 v13, 2, v13
	v_readfirstlane_b32 s8, v8
	v_readfirstlane_b32 s9, v9
	s_waitcnt lgkmcnt(0)
	s_nop 3
	global_store_dword v13, v14, s[8:9]
.LBB554_298:
	s_or_b64 exec, exec, s[4:5]
                                        ; implicit-def: $vgpr13
.LBB554_299:
	s_andn2_saveexec_b64 s[2:3], s[2:3]
	s_cbranch_execz .LBB554_301
; %bb.300:
	v_lshlrev_b32_e32 v14, 2, v0
	ds_read_b32 v14, v14 offset:6144
	v_lshlrev_b32_e32 v13, 2, v13
	v_readfirstlane_b32 s2, v10
	v_readfirstlane_b32 s3, v11
	s_waitcnt lgkmcnt(0)
	s_nop 3
	global_store_dword v13, v14, s[2:3]
.LBB554_301:
	;; [unrolled: 55-line block ×7, first 2 shown]
	s_or_b64 exec, exec, s[0:1]
	v_or_b32_e32 v13, 0xc00, v0
	v_cmp_gt_u32_e32 vcc, s18, v13
	s_and_saveexec_b64 s[0:1], vcc
	s_cbranch_execz .LBB554_355
; %bb.347:
	v_cmp_le_u32_e32 vcc, v2, v13
	s_and_saveexec_b64 s[2:3], vcc
	s_xor_b64 s[2:3], exec, s[2:3]
	s_cbranch_execz .LBB554_353
; %bb.348:
	v_cmp_le_u32_e32 vcc, v12, v13
	s_and_saveexec_b64 s[4:5], vcc
	s_xor_b64 s[4:5], exec, s[4:5]
	s_cbranch_execz .LBB554_350
; %bb.349:
	v_add_co_u32_e32 v8, vcc, v1, v13
	v_lshlrev_b32_e32 v1, 2, v0
	ds_read_b32 v1, v1 offset:12288
	v_addc_co_u32_e32 v9, vcc, 0, v4, vcc
	v_lshlrev_b64 v[8:9], 2, v[8:9]
	v_mov_b32_e32 v4, s7
	v_sub_co_u32_e32 v8, vcc, s6, v8
	v_subb_co_u32_e32 v9, vcc, v4, v9, vcc
	s_waitcnt lgkmcnt(0)
	global_store_dword v[8:9], v1, off
                                        ; implicit-def: $vgpr13
                                        ; implicit-def: $vgpr8_vgpr9
.LBB554_350:
	s_andn2_saveexec_b64 s[4:5], s[4:5]
	s_cbranch_execz .LBB554_352
; %bb.351:
	v_lshlrev_b32_e32 v1, 2, v0
	ds_read_b32 v1, v1 offset:12288
	v_lshlrev_b32_e32 v4, 2, v13
	v_readfirstlane_b32 s6, v8
	v_readfirstlane_b32 s7, v9
	s_waitcnt lgkmcnt(0)
	s_nop 3
	global_store_dword v4, v1, s[6:7]
.LBB554_352:
	s_or_b64 exec, exec, s[4:5]
                                        ; implicit-def: $vgpr13
                                        ; implicit-def: $vgpr10_vgpr11
.LBB554_353:
	s_andn2_saveexec_b64 s[2:3], s[2:3]
	s_cbranch_execz .LBB554_355
; %bb.354:
	v_lshlrev_b32_e32 v1, 2, v0
	ds_read_b32 v1, v1 offset:12288
	v_lshlrev_b32_e32 v4, 2, v13
	v_readfirstlane_b32 s2, v10
	v_readfirstlane_b32 s3, v11
	s_waitcnt lgkmcnt(0)
	s_nop 3
	global_store_dword v4, v1, s[2:3]
.LBB554_355:
	s_or_b64 exec, exec, s[0:1]
	v_cmp_eq_u32_e32 vcc, 0, v0
	s_and_b64 s[0:1], vcc, s[30:31]
	s_and_saveexec_b64 s[2:3], s[0:1]
	s_cbranch_execz .LBB554_132
.LBB554_356:
	v_add_co_u32_e32 v0, vcc, v6, v2
	v_addc_co_u32_e32 v1, vcc, 0, v7, vcc
	v_mov_b32_e32 v2, s51
	v_add_co_u32_e32 v3, vcc, s50, v3
	v_addc_co_u32_e32 v6, vcc, 0, v2, vcc
	v_add_co_u32_e32 v2, vcc, v3, v5
	v_mov_b32_e32 v4, 0
	v_addc_co_u32_e32 v3, vcc, 0, v6, vcc
	global_store_dwordx4 v4, v[0:3], s[44:45]
	s_endpgm
	.section	.rodata,"a",@progbits
	.p2align	6, 0x0
	.amdhsa_kernel _ZN7rocprim17ROCPRIM_400000_NS6detail17trampoline_kernelINS0_13select_configILj256ELj13ELNS0_17block_load_methodE3ELS4_3ELS4_3ELNS0_20block_scan_algorithmE0ELj4294967295EEENS1_25partition_config_selectorILNS1_17partition_subalgoE4EjNS0_10empty_typeEbEEZZNS1_14partition_implILS8_4ELb0ES6_15HIP_vector_typeIjLj2EENS0_17counting_iteratorIjlEEPS9_SG_NS0_5tupleIJPjSI_NS0_16reverse_iteratorISI_EEEEENSH_IJSG_SG_SG_EEES9_SI_JZNS1_25segmented_radix_sort_implINS0_14default_configELb0EPKiPiPKlPlN2at6native12_GLOBAL__N_18offset_tEEE10hipError_tPvRmT1_PNSt15iterator_traitsIS12_E10value_typeET2_T3_PNS13_IS18_E10value_typeET4_jRbjT5_S1E_jjP12ihipStream_tbEUljE_ZNSN_ISO_Lb0ESQ_SR_ST_SU_SY_EESZ_S10_S11_S12_S16_S17_S18_S1B_S1C_jS1D_jS1E_S1E_jjS1G_bEUljE0_EEESZ_S10_S11_S18_S1C_S1E_T6_T7_T9_mT8_S1G_bDpT10_ENKUlT_T0_E_clISt17integral_constantIbLb1EES1T_IbLb0EEEEDaS1P_S1Q_EUlS1P_E_NS1_11comp_targetILNS1_3genE4ELNS1_11target_archE910ELNS1_3gpuE8ELNS1_3repE0EEENS1_30default_config_static_selectorELNS0_4arch9wavefront6targetE1EEEvS12_
		.amdhsa_group_segment_fixed_size 13340
		.amdhsa_private_segment_fixed_size 0
		.amdhsa_kernarg_size 176
		.amdhsa_user_sgpr_count 6
		.amdhsa_user_sgpr_private_segment_buffer 1
		.amdhsa_user_sgpr_dispatch_ptr 0
		.amdhsa_user_sgpr_queue_ptr 0
		.amdhsa_user_sgpr_kernarg_segment_ptr 1
		.amdhsa_user_sgpr_dispatch_id 0
		.amdhsa_user_sgpr_flat_scratch_init 0
		.amdhsa_user_sgpr_kernarg_preload_length 0
		.amdhsa_user_sgpr_kernarg_preload_offset 0
		.amdhsa_user_sgpr_private_segment_size 0
		.amdhsa_uses_dynamic_stack 0
		.amdhsa_system_sgpr_private_segment_wavefront_offset 0
		.amdhsa_system_sgpr_workgroup_id_x 1
		.amdhsa_system_sgpr_workgroup_id_y 0
		.amdhsa_system_sgpr_workgroup_id_z 0
		.amdhsa_system_sgpr_workgroup_info 0
		.amdhsa_system_vgpr_workitem_id 0
		.amdhsa_next_free_vgpr 102
		.amdhsa_next_free_sgpr 90
		.amdhsa_accum_offset 104
		.amdhsa_reserve_vcc 1
		.amdhsa_reserve_flat_scratch 0
		.amdhsa_float_round_mode_32 0
		.amdhsa_float_round_mode_16_64 0
		.amdhsa_float_denorm_mode_32 3
		.amdhsa_float_denorm_mode_16_64 3
		.amdhsa_dx10_clamp 1
		.amdhsa_ieee_mode 1
		.amdhsa_fp16_overflow 0
		.amdhsa_tg_split 0
		.amdhsa_exception_fp_ieee_invalid_op 0
		.amdhsa_exception_fp_denorm_src 0
		.amdhsa_exception_fp_ieee_div_zero 0
		.amdhsa_exception_fp_ieee_overflow 0
		.amdhsa_exception_fp_ieee_underflow 0
		.amdhsa_exception_fp_ieee_inexact 0
		.amdhsa_exception_int_div_zero 0
	.end_amdhsa_kernel
	.section	.text._ZN7rocprim17ROCPRIM_400000_NS6detail17trampoline_kernelINS0_13select_configILj256ELj13ELNS0_17block_load_methodE3ELS4_3ELS4_3ELNS0_20block_scan_algorithmE0ELj4294967295EEENS1_25partition_config_selectorILNS1_17partition_subalgoE4EjNS0_10empty_typeEbEEZZNS1_14partition_implILS8_4ELb0ES6_15HIP_vector_typeIjLj2EENS0_17counting_iteratorIjlEEPS9_SG_NS0_5tupleIJPjSI_NS0_16reverse_iteratorISI_EEEEENSH_IJSG_SG_SG_EEES9_SI_JZNS1_25segmented_radix_sort_implINS0_14default_configELb0EPKiPiPKlPlN2at6native12_GLOBAL__N_18offset_tEEE10hipError_tPvRmT1_PNSt15iterator_traitsIS12_E10value_typeET2_T3_PNS13_IS18_E10value_typeET4_jRbjT5_S1E_jjP12ihipStream_tbEUljE_ZNSN_ISO_Lb0ESQ_SR_ST_SU_SY_EESZ_S10_S11_S12_S16_S17_S18_S1B_S1C_jS1D_jS1E_S1E_jjS1G_bEUljE0_EEESZ_S10_S11_S18_S1C_S1E_T6_T7_T9_mT8_S1G_bDpT10_ENKUlT_T0_E_clISt17integral_constantIbLb1EES1T_IbLb0EEEEDaS1P_S1Q_EUlS1P_E_NS1_11comp_targetILNS1_3genE4ELNS1_11target_archE910ELNS1_3gpuE8ELNS1_3repE0EEENS1_30default_config_static_selectorELNS0_4arch9wavefront6targetE1EEEvS12_,"axG",@progbits,_ZN7rocprim17ROCPRIM_400000_NS6detail17trampoline_kernelINS0_13select_configILj256ELj13ELNS0_17block_load_methodE3ELS4_3ELS4_3ELNS0_20block_scan_algorithmE0ELj4294967295EEENS1_25partition_config_selectorILNS1_17partition_subalgoE4EjNS0_10empty_typeEbEEZZNS1_14partition_implILS8_4ELb0ES6_15HIP_vector_typeIjLj2EENS0_17counting_iteratorIjlEEPS9_SG_NS0_5tupleIJPjSI_NS0_16reverse_iteratorISI_EEEEENSH_IJSG_SG_SG_EEES9_SI_JZNS1_25segmented_radix_sort_implINS0_14default_configELb0EPKiPiPKlPlN2at6native12_GLOBAL__N_18offset_tEEE10hipError_tPvRmT1_PNSt15iterator_traitsIS12_E10value_typeET2_T3_PNS13_IS18_E10value_typeET4_jRbjT5_S1E_jjP12ihipStream_tbEUljE_ZNSN_ISO_Lb0ESQ_SR_ST_SU_SY_EESZ_S10_S11_S12_S16_S17_S18_S1B_S1C_jS1D_jS1E_S1E_jjS1G_bEUljE0_EEESZ_S10_S11_S18_S1C_S1E_T6_T7_T9_mT8_S1G_bDpT10_ENKUlT_T0_E_clISt17integral_constantIbLb1EES1T_IbLb0EEEEDaS1P_S1Q_EUlS1P_E_NS1_11comp_targetILNS1_3genE4ELNS1_11target_archE910ELNS1_3gpuE8ELNS1_3repE0EEENS1_30default_config_static_selectorELNS0_4arch9wavefront6targetE1EEEvS12_,comdat
.Lfunc_end554:
	.size	_ZN7rocprim17ROCPRIM_400000_NS6detail17trampoline_kernelINS0_13select_configILj256ELj13ELNS0_17block_load_methodE3ELS4_3ELS4_3ELNS0_20block_scan_algorithmE0ELj4294967295EEENS1_25partition_config_selectorILNS1_17partition_subalgoE4EjNS0_10empty_typeEbEEZZNS1_14partition_implILS8_4ELb0ES6_15HIP_vector_typeIjLj2EENS0_17counting_iteratorIjlEEPS9_SG_NS0_5tupleIJPjSI_NS0_16reverse_iteratorISI_EEEEENSH_IJSG_SG_SG_EEES9_SI_JZNS1_25segmented_radix_sort_implINS0_14default_configELb0EPKiPiPKlPlN2at6native12_GLOBAL__N_18offset_tEEE10hipError_tPvRmT1_PNSt15iterator_traitsIS12_E10value_typeET2_T3_PNS13_IS18_E10value_typeET4_jRbjT5_S1E_jjP12ihipStream_tbEUljE_ZNSN_ISO_Lb0ESQ_SR_ST_SU_SY_EESZ_S10_S11_S12_S16_S17_S18_S1B_S1C_jS1D_jS1E_S1E_jjS1G_bEUljE0_EEESZ_S10_S11_S18_S1C_S1E_T6_T7_T9_mT8_S1G_bDpT10_ENKUlT_T0_E_clISt17integral_constantIbLb1EES1T_IbLb0EEEEDaS1P_S1Q_EUlS1P_E_NS1_11comp_targetILNS1_3genE4ELNS1_11target_archE910ELNS1_3gpuE8ELNS1_3repE0EEENS1_30default_config_static_selectorELNS0_4arch9wavefront6targetE1EEEvS12_, .Lfunc_end554-_ZN7rocprim17ROCPRIM_400000_NS6detail17trampoline_kernelINS0_13select_configILj256ELj13ELNS0_17block_load_methodE3ELS4_3ELS4_3ELNS0_20block_scan_algorithmE0ELj4294967295EEENS1_25partition_config_selectorILNS1_17partition_subalgoE4EjNS0_10empty_typeEbEEZZNS1_14partition_implILS8_4ELb0ES6_15HIP_vector_typeIjLj2EENS0_17counting_iteratorIjlEEPS9_SG_NS0_5tupleIJPjSI_NS0_16reverse_iteratorISI_EEEEENSH_IJSG_SG_SG_EEES9_SI_JZNS1_25segmented_radix_sort_implINS0_14default_configELb0EPKiPiPKlPlN2at6native12_GLOBAL__N_18offset_tEEE10hipError_tPvRmT1_PNSt15iterator_traitsIS12_E10value_typeET2_T3_PNS13_IS18_E10value_typeET4_jRbjT5_S1E_jjP12ihipStream_tbEUljE_ZNSN_ISO_Lb0ESQ_SR_ST_SU_SY_EESZ_S10_S11_S12_S16_S17_S18_S1B_S1C_jS1D_jS1E_S1E_jjS1G_bEUljE0_EEESZ_S10_S11_S18_S1C_S1E_T6_T7_T9_mT8_S1G_bDpT10_ENKUlT_T0_E_clISt17integral_constantIbLb1EES1T_IbLb0EEEEDaS1P_S1Q_EUlS1P_E_NS1_11comp_targetILNS1_3genE4ELNS1_11target_archE910ELNS1_3gpuE8ELNS1_3repE0EEENS1_30default_config_static_selectorELNS0_4arch9wavefront6targetE1EEEvS12_
                                        ; -- End function
	.section	.AMDGPU.csdata,"",@progbits
; Kernel info:
; codeLenInByte = 13412
; NumSgprs: 94
; NumVgprs: 102
; NumAgprs: 0
; TotalNumVgprs: 102
; ScratchSize: 0
; MemoryBound: 0
; FloatMode: 240
; IeeeMode: 1
; LDSByteSize: 13340 bytes/workgroup (compile time only)
; SGPRBlocks: 11
; VGPRBlocks: 12
; NumSGPRsForWavesPerEU: 94
; NumVGPRsForWavesPerEU: 102
; AccumOffset: 104
; Occupancy: 4
; WaveLimiterHint : 1
; COMPUTE_PGM_RSRC2:SCRATCH_EN: 0
; COMPUTE_PGM_RSRC2:USER_SGPR: 6
; COMPUTE_PGM_RSRC2:TRAP_HANDLER: 0
; COMPUTE_PGM_RSRC2:TGID_X_EN: 1
; COMPUTE_PGM_RSRC2:TGID_Y_EN: 0
; COMPUTE_PGM_RSRC2:TGID_Z_EN: 0
; COMPUTE_PGM_RSRC2:TIDIG_COMP_CNT: 0
; COMPUTE_PGM_RSRC3_GFX90A:ACCUM_OFFSET: 25
; COMPUTE_PGM_RSRC3_GFX90A:TG_SPLIT: 0
	.section	.text._ZN7rocprim17ROCPRIM_400000_NS6detail17trampoline_kernelINS0_13select_configILj256ELj13ELNS0_17block_load_methodE3ELS4_3ELS4_3ELNS0_20block_scan_algorithmE0ELj4294967295EEENS1_25partition_config_selectorILNS1_17partition_subalgoE4EjNS0_10empty_typeEbEEZZNS1_14partition_implILS8_4ELb0ES6_15HIP_vector_typeIjLj2EENS0_17counting_iteratorIjlEEPS9_SG_NS0_5tupleIJPjSI_NS0_16reverse_iteratorISI_EEEEENSH_IJSG_SG_SG_EEES9_SI_JZNS1_25segmented_radix_sort_implINS0_14default_configELb0EPKiPiPKlPlN2at6native12_GLOBAL__N_18offset_tEEE10hipError_tPvRmT1_PNSt15iterator_traitsIS12_E10value_typeET2_T3_PNS13_IS18_E10value_typeET4_jRbjT5_S1E_jjP12ihipStream_tbEUljE_ZNSN_ISO_Lb0ESQ_SR_ST_SU_SY_EESZ_S10_S11_S12_S16_S17_S18_S1B_S1C_jS1D_jS1E_S1E_jjS1G_bEUljE0_EEESZ_S10_S11_S18_S1C_S1E_T6_T7_T9_mT8_S1G_bDpT10_ENKUlT_T0_E_clISt17integral_constantIbLb1EES1T_IbLb0EEEEDaS1P_S1Q_EUlS1P_E_NS1_11comp_targetILNS1_3genE3ELNS1_11target_archE908ELNS1_3gpuE7ELNS1_3repE0EEENS1_30default_config_static_selectorELNS0_4arch9wavefront6targetE1EEEvS12_,"axG",@progbits,_ZN7rocprim17ROCPRIM_400000_NS6detail17trampoline_kernelINS0_13select_configILj256ELj13ELNS0_17block_load_methodE3ELS4_3ELS4_3ELNS0_20block_scan_algorithmE0ELj4294967295EEENS1_25partition_config_selectorILNS1_17partition_subalgoE4EjNS0_10empty_typeEbEEZZNS1_14partition_implILS8_4ELb0ES6_15HIP_vector_typeIjLj2EENS0_17counting_iteratorIjlEEPS9_SG_NS0_5tupleIJPjSI_NS0_16reverse_iteratorISI_EEEEENSH_IJSG_SG_SG_EEES9_SI_JZNS1_25segmented_radix_sort_implINS0_14default_configELb0EPKiPiPKlPlN2at6native12_GLOBAL__N_18offset_tEEE10hipError_tPvRmT1_PNSt15iterator_traitsIS12_E10value_typeET2_T3_PNS13_IS18_E10value_typeET4_jRbjT5_S1E_jjP12ihipStream_tbEUljE_ZNSN_ISO_Lb0ESQ_SR_ST_SU_SY_EESZ_S10_S11_S12_S16_S17_S18_S1B_S1C_jS1D_jS1E_S1E_jjS1G_bEUljE0_EEESZ_S10_S11_S18_S1C_S1E_T6_T7_T9_mT8_S1G_bDpT10_ENKUlT_T0_E_clISt17integral_constantIbLb1EES1T_IbLb0EEEEDaS1P_S1Q_EUlS1P_E_NS1_11comp_targetILNS1_3genE3ELNS1_11target_archE908ELNS1_3gpuE7ELNS1_3repE0EEENS1_30default_config_static_selectorELNS0_4arch9wavefront6targetE1EEEvS12_,comdat
	.globl	_ZN7rocprim17ROCPRIM_400000_NS6detail17trampoline_kernelINS0_13select_configILj256ELj13ELNS0_17block_load_methodE3ELS4_3ELS4_3ELNS0_20block_scan_algorithmE0ELj4294967295EEENS1_25partition_config_selectorILNS1_17partition_subalgoE4EjNS0_10empty_typeEbEEZZNS1_14partition_implILS8_4ELb0ES6_15HIP_vector_typeIjLj2EENS0_17counting_iteratorIjlEEPS9_SG_NS0_5tupleIJPjSI_NS0_16reverse_iteratorISI_EEEEENSH_IJSG_SG_SG_EEES9_SI_JZNS1_25segmented_radix_sort_implINS0_14default_configELb0EPKiPiPKlPlN2at6native12_GLOBAL__N_18offset_tEEE10hipError_tPvRmT1_PNSt15iterator_traitsIS12_E10value_typeET2_T3_PNS13_IS18_E10value_typeET4_jRbjT5_S1E_jjP12ihipStream_tbEUljE_ZNSN_ISO_Lb0ESQ_SR_ST_SU_SY_EESZ_S10_S11_S12_S16_S17_S18_S1B_S1C_jS1D_jS1E_S1E_jjS1G_bEUljE0_EEESZ_S10_S11_S18_S1C_S1E_T6_T7_T9_mT8_S1G_bDpT10_ENKUlT_T0_E_clISt17integral_constantIbLb1EES1T_IbLb0EEEEDaS1P_S1Q_EUlS1P_E_NS1_11comp_targetILNS1_3genE3ELNS1_11target_archE908ELNS1_3gpuE7ELNS1_3repE0EEENS1_30default_config_static_selectorELNS0_4arch9wavefront6targetE1EEEvS12_ ; -- Begin function _ZN7rocprim17ROCPRIM_400000_NS6detail17trampoline_kernelINS0_13select_configILj256ELj13ELNS0_17block_load_methodE3ELS4_3ELS4_3ELNS0_20block_scan_algorithmE0ELj4294967295EEENS1_25partition_config_selectorILNS1_17partition_subalgoE4EjNS0_10empty_typeEbEEZZNS1_14partition_implILS8_4ELb0ES6_15HIP_vector_typeIjLj2EENS0_17counting_iteratorIjlEEPS9_SG_NS0_5tupleIJPjSI_NS0_16reverse_iteratorISI_EEEEENSH_IJSG_SG_SG_EEES9_SI_JZNS1_25segmented_radix_sort_implINS0_14default_configELb0EPKiPiPKlPlN2at6native12_GLOBAL__N_18offset_tEEE10hipError_tPvRmT1_PNSt15iterator_traitsIS12_E10value_typeET2_T3_PNS13_IS18_E10value_typeET4_jRbjT5_S1E_jjP12ihipStream_tbEUljE_ZNSN_ISO_Lb0ESQ_SR_ST_SU_SY_EESZ_S10_S11_S12_S16_S17_S18_S1B_S1C_jS1D_jS1E_S1E_jjS1G_bEUljE0_EEESZ_S10_S11_S18_S1C_S1E_T6_T7_T9_mT8_S1G_bDpT10_ENKUlT_T0_E_clISt17integral_constantIbLb1EES1T_IbLb0EEEEDaS1P_S1Q_EUlS1P_E_NS1_11comp_targetILNS1_3genE3ELNS1_11target_archE908ELNS1_3gpuE7ELNS1_3repE0EEENS1_30default_config_static_selectorELNS0_4arch9wavefront6targetE1EEEvS12_
	.p2align	8
	.type	_ZN7rocprim17ROCPRIM_400000_NS6detail17trampoline_kernelINS0_13select_configILj256ELj13ELNS0_17block_load_methodE3ELS4_3ELS4_3ELNS0_20block_scan_algorithmE0ELj4294967295EEENS1_25partition_config_selectorILNS1_17partition_subalgoE4EjNS0_10empty_typeEbEEZZNS1_14partition_implILS8_4ELb0ES6_15HIP_vector_typeIjLj2EENS0_17counting_iteratorIjlEEPS9_SG_NS0_5tupleIJPjSI_NS0_16reverse_iteratorISI_EEEEENSH_IJSG_SG_SG_EEES9_SI_JZNS1_25segmented_radix_sort_implINS0_14default_configELb0EPKiPiPKlPlN2at6native12_GLOBAL__N_18offset_tEEE10hipError_tPvRmT1_PNSt15iterator_traitsIS12_E10value_typeET2_T3_PNS13_IS18_E10value_typeET4_jRbjT5_S1E_jjP12ihipStream_tbEUljE_ZNSN_ISO_Lb0ESQ_SR_ST_SU_SY_EESZ_S10_S11_S12_S16_S17_S18_S1B_S1C_jS1D_jS1E_S1E_jjS1G_bEUljE0_EEESZ_S10_S11_S18_S1C_S1E_T6_T7_T9_mT8_S1G_bDpT10_ENKUlT_T0_E_clISt17integral_constantIbLb1EES1T_IbLb0EEEEDaS1P_S1Q_EUlS1P_E_NS1_11comp_targetILNS1_3genE3ELNS1_11target_archE908ELNS1_3gpuE7ELNS1_3repE0EEENS1_30default_config_static_selectorELNS0_4arch9wavefront6targetE1EEEvS12_,@function
_ZN7rocprim17ROCPRIM_400000_NS6detail17trampoline_kernelINS0_13select_configILj256ELj13ELNS0_17block_load_methodE3ELS4_3ELS4_3ELNS0_20block_scan_algorithmE0ELj4294967295EEENS1_25partition_config_selectorILNS1_17partition_subalgoE4EjNS0_10empty_typeEbEEZZNS1_14partition_implILS8_4ELb0ES6_15HIP_vector_typeIjLj2EENS0_17counting_iteratorIjlEEPS9_SG_NS0_5tupleIJPjSI_NS0_16reverse_iteratorISI_EEEEENSH_IJSG_SG_SG_EEES9_SI_JZNS1_25segmented_radix_sort_implINS0_14default_configELb0EPKiPiPKlPlN2at6native12_GLOBAL__N_18offset_tEEE10hipError_tPvRmT1_PNSt15iterator_traitsIS12_E10value_typeET2_T3_PNS13_IS18_E10value_typeET4_jRbjT5_S1E_jjP12ihipStream_tbEUljE_ZNSN_ISO_Lb0ESQ_SR_ST_SU_SY_EESZ_S10_S11_S12_S16_S17_S18_S1B_S1C_jS1D_jS1E_S1E_jjS1G_bEUljE0_EEESZ_S10_S11_S18_S1C_S1E_T6_T7_T9_mT8_S1G_bDpT10_ENKUlT_T0_E_clISt17integral_constantIbLb1EES1T_IbLb0EEEEDaS1P_S1Q_EUlS1P_E_NS1_11comp_targetILNS1_3genE3ELNS1_11target_archE908ELNS1_3gpuE7ELNS1_3repE0EEENS1_30default_config_static_selectorELNS0_4arch9wavefront6targetE1EEEvS12_: ; @_ZN7rocprim17ROCPRIM_400000_NS6detail17trampoline_kernelINS0_13select_configILj256ELj13ELNS0_17block_load_methodE3ELS4_3ELS4_3ELNS0_20block_scan_algorithmE0ELj4294967295EEENS1_25partition_config_selectorILNS1_17partition_subalgoE4EjNS0_10empty_typeEbEEZZNS1_14partition_implILS8_4ELb0ES6_15HIP_vector_typeIjLj2EENS0_17counting_iteratorIjlEEPS9_SG_NS0_5tupleIJPjSI_NS0_16reverse_iteratorISI_EEEEENSH_IJSG_SG_SG_EEES9_SI_JZNS1_25segmented_radix_sort_implINS0_14default_configELb0EPKiPiPKlPlN2at6native12_GLOBAL__N_18offset_tEEE10hipError_tPvRmT1_PNSt15iterator_traitsIS12_E10value_typeET2_T3_PNS13_IS18_E10value_typeET4_jRbjT5_S1E_jjP12ihipStream_tbEUljE_ZNSN_ISO_Lb0ESQ_SR_ST_SU_SY_EESZ_S10_S11_S12_S16_S17_S18_S1B_S1C_jS1D_jS1E_S1E_jjS1G_bEUljE0_EEESZ_S10_S11_S18_S1C_S1E_T6_T7_T9_mT8_S1G_bDpT10_ENKUlT_T0_E_clISt17integral_constantIbLb1EES1T_IbLb0EEEEDaS1P_S1Q_EUlS1P_E_NS1_11comp_targetILNS1_3genE3ELNS1_11target_archE908ELNS1_3gpuE7ELNS1_3repE0EEENS1_30default_config_static_selectorELNS0_4arch9wavefront6targetE1EEEvS12_
; %bb.0:
	.section	.rodata,"a",@progbits
	.p2align	6, 0x0
	.amdhsa_kernel _ZN7rocprim17ROCPRIM_400000_NS6detail17trampoline_kernelINS0_13select_configILj256ELj13ELNS0_17block_load_methodE3ELS4_3ELS4_3ELNS0_20block_scan_algorithmE0ELj4294967295EEENS1_25partition_config_selectorILNS1_17partition_subalgoE4EjNS0_10empty_typeEbEEZZNS1_14partition_implILS8_4ELb0ES6_15HIP_vector_typeIjLj2EENS0_17counting_iteratorIjlEEPS9_SG_NS0_5tupleIJPjSI_NS0_16reverse_iteratorISI_EEEEENSH_IJSG_SG_SG_EEES9_SI_JZNS1_25segmented_radix_sort_implINS0_14default_configELb0EPKiPiPKlPlN2at6native12_GLOBAL__N_18offset_tEEE10hipError_tPvRmT1_PNSt15iterator_traitsIS12_E10value_typeET2_T3_PNS13_IS18_E10value_typeET4_jRbjT5_S1E_jjP12ihipStream_tbEUljE_ZNSN_ISO_Lb0ESQ_SR_ST_SU_SY_EESZ_S10_S11_S12_S16_S17_S18_S1B_S1C_jS1D_jS1E_S1E_jjS1G_bEUljE0_EEESZ_S10_S11_S18_S1C_S1E_T6_T7_T9_mT8_S1G_bDpT10_ENKUlT_T0_E_clISt17integral_constantIbLb1EES1T_IbLb0EEEEDaS1P_S1Q_EUlS1P_E_NS1_11comp_targetILNS1_3genE3ELNS1_11target_archE908ELNS1_3gpuE7ELNS1_3repE0EEENS1_30default_config_static_selectorELNS0_4arch9wavefront6targetE1EEEvS12_
		.amdhsa_group_segment_fixed_size 0
		.amdhsa_private_segment_fixed_size 0
		.amdhsa_kernarg_size 176
		.amdhsa_user_sgpr_count 6
		.amdhsa_user_sgpr_private_segment_buffer 1
		.amdhsa_user_sgpr_dispatch_ptr 0
		.amdhsa_user_sgpr_queue_ptr 0
		.amdhsa_user_sgpr_kernarg_segment_ptr 1
		.amdhsa_user_sgpr_dispatch_id 0
		.amdhsa_user_sgpr_flat_scratch_init 0
		.amdhsa_user_sgpr_kernarg_preload_length 0
		.amdhsa_user_sgpr_kernarg_preload_offset 0
		.amdhsa_user_sgpr_private_segment_size 0
		.amdhsa_uses_dynamic_stack 0
		.amdhsa_system_sgpr_private_segment_wavefront_offset 0
		.amdhsa_system_sgpr_workgroup_id_x 1
		.amdhsa_system_sgpr_workgroup_id_y 0
		.amdhsa_system_sgpr_workgroup_id_z 0
		.amdhsa_system_sgpr_workgroup_info 0
		.amdhsa_system_vgpr_workitem_id 0
		.amdhsa_next_free_vgpr 1
		.amdhsa_next_free_sgpr 0
		.amdhsa_accum_offset 4
		.amdhsa_reserve_vcc 0
		.amdhsa_reserve_flat_scratch 0
		.amdhsa_float_round_mode_32 0
		.amdhsa_float_round_mode_16_64 0
		.amdhsa_float_denorm_mode_32 3
		.amdhsa_float_denorm_mode_16_64 3
		.amdhsa_dx10_clamp 1
		.amdhsa_ieee_mode 1
		.amdhsa_fp16_overflow 0
		.amdhsa_tg_split 0
		.amdhsa_exception_fp_ieee_invalid_op 0
		.amdhsa_exception_fp_denorm_src 0
		.amdhsa_exception_fp_ieee_div_zero 0
		.amdhsa_exception_fp_ieee_overflow 0
		.amdhsa_exception_fp_ieee_underflow 0
		.amdhsa_exception_fp_ieee_inexact 0
		.amdhsa_exception_int_div_zero 0
	.end_amdhsa_kernel
	.section	.text._ZN7rocprim17ROCPRIM_400000_NS6detail17trampoline_kernelINS0_13select_configILj256ELj13ELNS0_17block_load_methodE3ELS4_3ELS4_3ELNS0_20block_scan_algorithmE0ELj4294967295EEENS1_25partition_config_selectorILNS1_17partition_subalgoE4EjNS0_10empty_typeEbEEZZNS1_14partition_implILS8_4ELb0ES6_15HIP_vector_typeIjLj2EENS0_17counting_iteratorIjlEEPS9_SG_NS0_5tupleIJPjSI_NS0_16reverse_iteratorISI_EEEEENSH_IJSG_SG_SG_EEES9_SI_JZNS1_25segmented_radix_sort_implINS0_14default_configELb0EPKiPiPKlPlN2at6native12_GLOBAL__N_18offset_tEEE10hipError_tPvRmT1_PNSt15iterator_traitsIS12_E10value_typeET2_T3_PNS13_IS18_E10value_typeET4_jRbjT5_S1E_jjP12ihipStream_tbEUljE_ZNSN_ISO_Lb0ESQ_SR_ST_SU_SY_EESZ_S10_S11_S12_S16_S17_S18_S1B_S1C_jS1D_jS1E_S1E_jjS1G_bEUljE0_EEESZ_S10_S11_S18_S1C_S1E_T6_T7_T9_mT8_S1G_bDpT10_ENKUlT_T0_E_clISt17integral_constantIbLb1EES1T_IbLb0EEEEDaS1P_S1Q_EUlS1P_E_NS1_11comp_targetILNS1_3genE3ELNS1_11target_archE908ELNS1_3gpuE7ELNS1_3repE0EEENS1_30default_config_static_selectorELNS0_4arch9wavefront6targetE1EEEvS12_,"axG",@progbits,_ZN7rocprim17ROCPRIM_400000_NS6detail17trampoline_kernelINS0_13select_configILj256ELj13ELNS0_17block_load_methodE3ELS4_3ELS4_3ELNS0_20block_scan_algorithmE0ELj4294967295EEENS1_25partition_config_selectorILNS1_17partition_subalgoE4EjNS0_10empty_typeEbEEZZNS1_14partition_implILS8_4ELb0ES6_15HIP_vector_typeIjLj2EENS0_17counting_iteratorIjlEEPS9_SG_NS0_5tupleIJPjSI_NS0_16reverse_iteratorISI_EEEEENSH_IJSG_SG_SG_EEES9_SI_JZNS1_25segmented_radix_sort_implINS0_14default_configELb0EPKiPiPKlPlN2at6native12_GLOBAL__N_18offset_tEEE10hipError_tPvRmT1_PNSt15iterator_traitsIS12_E10value_typeET2_T3_PNS13_IS18_E10value_typeET4_jRbjT5_S1E_jjP12ihipStream_tbEUljE_ZNSN_ISO_Lb0ESQ_SR_ST_SU_SY_EESZ_S10_S11_S12_S16_S17_S18_S1B_S1C_jS1D_jS1E_S1E_jjS1G_bEUljE0_EEESZ_S10_S11_S18_S1C_S1E_T6_T7_T9_mT8_S1G_bDpT10_ENKUlT_T0_E_clISt17integral_constantIbLb1EES1T_IbLb0EEEEDaS1P_S1Q_EUlS1P_E_NS1_11comp_targetILNS1_3genE3ELNS1_11target_archE908ELNS1_3gpuE7ELNS1_3repE0EEENS1_30default_config_static_selectorELNS0_4arch9wavefront6targetE1EEEvS12_,comdat
.Lfunc_end555:
	.size	_ZN7rocprim17ROCPRIM_400000_NS6detail17trampoline_kernelINS0_13select_configILj256ELj13ELNS0_17block_load_methodE3ELS4_3ELS4_3ELNS0_20block_scan_algorithmE0ELj4294967295EEENS1_25partition_config_selectorILNS1_17partition_subalgoE4EjNS0_10empty_typeEbEEZZNS1_14partition_implILS8_4ELb0ES6_15HIP_vector_typeIjLj2EENS0_17counting_iteratorIjlEEPS9_SG_NS0_5tupleIJPjSI_NS0_16reverse_iteratorISI_EEEEENSH_IJSG_SG_SG_EEES9_SI_JZNS1_25segmented_radix_sort_implINS0_14default_configELb0EPKiPiPKlPlN2at6native12_GLOBAL__N_18offset_tEEE10hipError_tPvRmT1_PNSt15iterator_traitsIS12_E10value_typeET2_T3_PNS13_IS18_E10value_typeET4_jRbjT5_S1E_jjP12ihipStream_tbEUljE_ZNSN_ISO_Lb0ESQ_SR_ST_SU_SY_EESZ_S10_S11_S12_S16_S17_S18_S1B_S1C_jS1D_jS1E_S1E_jjS1G_bEUljE0_EEESZ_S10_S11_S18_S1C_S1E_T6_T7_T9_mT8_S1G_bDpT10_ENKUlT_T0_E_clISt17integral_constantIbLb1EES1T_IbLb0EEEEDaS1P_S1Q_EUlS1P_E_NS1_11comp_targetILNS1_3genE3ELNS1_11target_archE908ELNS1_3gpuE7ELNS1_3repE0EEENS1_30default_config_static_selectorELNS0_4arch9wavefront6targetE1EEEvS12_, .Lfunc_end555-_ZN7rocprim17ROCPRIM_400000_NS6detail17trampoline_kernelINS0_13select_configILj256ELj13ELNS0_17block_load_methodE3ELS4_3ELS4_3ELNS0_20block_scan_algorithmE0ELj4294967295EEENS1_25partition_config_selectorILNS1_17partition_subalgoE4EjNS0_10empty_typeEbEEZZNS1_14partition_implILS8_4ELb0ES6_15HIP_vector_typeIjLj2EENS0_17counting_iteratorIjlEEPS9_SG_NS0_5tupleIJPjSI_NS0_16reverse_iteratorISI_EEEEENSH_IJSG_SG_SG_EEES9_SI_JZNS1_25segmented_radix_sort_implINS0_14default_configELb0EPKiPiPKlPlN2at6native12_GLOBAL__N_18offset_tEEE10hipError_tPvRmT1_PNSt15iterator_traitsIS12_E10value_typeET2_T3_PNS13_IS18_E10value_typeET4_jRbjT5_S1E_jjP12ihipStream_tbEUljE_ZNSN_ISO_Lb0ESQ_SR_ST_SU_SY_EESZ_S10_S11_S12_S16_S17_S18_S1B_S1C_jS1D_jS1E_S1E_jjS1G_bEUljE0_EEESZ_S10_S11_S18_S1C_S1E_T6_T7_T9_mT8_S1G_bDpT10_ENKUlT_T0_E_clISt17integral_constantIbLb1EES1T_IbLb0EEEEDaS1P_S1Q_EUlS1P_E_NS1_11comp_targetILNS1_3genE3ELNS1_11target_archE908ELNS1_3gpuE7ELNS1_3repE0EEENS1_30default_config_static_selectorELNS0_4arch9wavefront6targetE1EEEvS12_
                                        ; -- End function
	.section	.AMDGPU.csdata,"",@progbits
; Kernel info:
; codeLenInByte = 0
; NumSgprs: 4
; NumVgprs: 0
; NumAgprs: 0
; TotalNumVgprs: 0
; ScratchSize: 0
; MemoryBound: 0
; FloatMode: 240
; IeeeMode: 1
; LDSByteSize: 0 bytes/workgroup (compile time only)
; SGPRBlocks: 0
; VGPRBlocks: 0
; NumSGPRsForWavesPerEU: 4
; NumVGPRsForWavesPerEU: 1
; AccumOffset: 4
; Occupancy: 8
; WaveLimiterHint : 0
; COMPUTE_PGM_RSRC2:SCRATCH_EN: 0
; COMPUTE_PGM_RSRC2:USER_SGPR: 6
; COMPUTE_PGM_RSRC2:TRAP_HANDLER: 0
; COMPUTE_PGM_RSRC2:TGID_X_EN: 1
; COMPUTE_PGM_RSRC2:TGID_Y_EN: 0
; COMPUTE_PGM_RSRC2:TGID_Z_EN: 0
; COMPUTE_PGM_RSRC2:TIDIG_COMP_CNT: 0
; COMPUTE_PGM_RSRC3_GFX90A:ACCUM_OFFSET: 0
; COMPUTE_PGM_RSRC3_GFX90A:TG_SPLIT: 0
	.section	.text._ZN7rocprim17ROCPRIM_400000_NS6detail17trampoline_kernelINS0_13select_configILj256ELj13ELNS0_17block_load_methodE3ELS4_3ELS4_3ELNS0_20block_scan_algorithmE0ELj4294967295EEENS1_25partition_config_selectorILNS1_17partition_subalgoE4EjNS0_10empty_typeEbEEZZNS1_14partition_implILS8_4ELb0ES6_15HIP_vector_typeIjLj2EENS0_17counting_iteratorIjlEEPS9_SG_NS0_5tupleIJPjSI_NS0_16reverse_iteratorISI_EEEEENSH_IJSG_SG_SG_EEES9_SI_JZNS1_25segmented_radix_sort_implINS0_14default_configELb0EPKiPiPKlPlN2at6native12_GLOBAL__N_18offset_tEEE10hipError_tPvRmT1_PNSt15iterator_traitsIS12_E10value_typeET2_T3_PNS13_IS18_E10value_typeET4_jRbjT5_S1E_jjP12ihipStream_tbEUljE_ZNSN_ISO_Lb0ESQ_SR_ST_SU_SY_EESZ_S10_S11_S12_S16_S17_S18_S1B_S1C_jS1D_jS1E_S1E_jjS1G_bEUljE0_EEESZ_S10_S11_S18_S1C_S1E_T6_T7_T9_mT8_S1G_bDpT10_ENKUlT_T0_E_clISt17integral_constantIbLb1EES1T_IbLb0EEEEDaS1P_S1Q_EUlS1P_E_NS1_11comp_targetILNS1_3genE2ELNS1_11target_archE906ELNS1_3gpuE6ELNS1_3repE0EEENS1_30default_config_static_selectorELNS0_4arch9wavefront6targetE1EEEvS12_,"axG",@progbits,_ZN7rocprim17ROCPRIM_400000_NS6detail17trampoline_kernelINS0_13select_configILj256ELj13ELNS0_17block_load_methodE3ELS4_3ELS4_3ELNS0_20block_scan_algorithmE0ELj4294967295EEENS1_25partition_config_selectorILNS1_17partition_subalgoE4EjNS0_10empty_typeEbEEZZNS1_14partition_implILS8_4ELb0ES6_15HIP_vector_typeIjLj2EENS0_17counting_iteratorIjlEEPS9_SG_NS0_5tupleIJPjSI_NS0_16reverse_iteratorISI_EEEEENSH_IJSG_SG_SG_EEES9_SI_JZNS1_25segmented_radix_sort_implINS0_14default_configELb0EPKiPiPKlPlN2at6native12_GLOBAL__N_18offset_tEEE10hipError_tPvRmT1_PNSt15iterator_traitsIS12_E10value_typeET2_T3_PNS13_IS18_E10value_typeET4_jRbjT5_S1E_jjP12ihipStream_tbEUljE_ZNSN_ISO_Lb0ESQ_SR_ST_SU_SY_EESZ_S10_S11_S12_S16_S17_S18_S1B_S1C_jS1D_jS1E_S1E_jjS1G_bEUljE0_EEESZ_S10_S11_S18_S1C_S1E_T6_T7_T9_mT8_S1G_bDpT10_ENKUlT_T0_E_clISt17integral_constantIbLb1EES1T_IbLb0EEEEDaS1P_S1Q_EUlS1P_E_NS1_11comp_targetILNS1_3genE2ELNS1_11target_archE906ELNS1_3gpuE6ELNS1_3repE0EEENS1_30default_config_static_selectorELNS0_4arch9wavefront6targetE1EEEvS12_,comdat
	.globl	_ZN7rocprim17ROCPRIM_400000_NS6detail17trampoline_kernelINS0_13select_configILj256ELj13ELNS0_17block_load_methodE3ELS4_3ELS4_3ELNS0_20block_scan_algorithmE0ELj4294967295EEENS1_25partition_config_selectorILNS1_17partition_subalgoE4EjNS0_10empty_typeEbEEZZNS1_14partition_implILS8_4ELb0ES6_15HIP_vector_typeIjLj2EENS0_17counting_iteratorIjlEEPS9_SG_NS0_5tupleIJPjSI_NS0_16reverse_iteratorISI_EEEEENSH_IJSG_SG_SG_EEES9_SI_JZNS1_25segmented_radix_sort_implINS0_14default_configELb0EPKiPiPKlPlN2at6native12_GLOBAL__N_18offset_tEEE10hipError_tPvRmT1_PNSt15iterator_traitsIS12_E10value_typeET2_T3_PNS13_IS18_E10value_typeET4_jRbjT5_S1E_jjP12ihipStream_tbEUljE_ZNSN_ISO_Lb0ESQ_SR_ST_SU_SY_EESZ_S10_S11_S12_S16_S17_S18_S1B_S1C_jS1D_jS1E_S1E_jjS1G_bEUljE0_EEESZ_S10_S11_S18_S1C_S1E_T6_T7_T9_mT8_S1G_bDpT10_ENKUlT_T0_E_clISt17integral_constantIbLb1EES1T_IbLb0EEEEDaS1P_S1Q_EUlS1P_E_NS1_11comp_targetILNS1_3genE2ELNS1_11target_archE906ELNS1_3gpuE6ELNS1_3repE0EEENS1_30default_config_static_selectorELNS0_4arch9wavefront6targetE1EEEvS12_ ; -- Begin function _ZN7rocprim17ROCPRIM_400000_NS6detail17trampoline_kernelINS0_13select_configILj256ELj13ELNS0_17block_load_methodE3ELS4_3ELS4_3ELNS0_20block_scan_algorithmE0ELj4294967295EEENS1_25partition_config_selectorILNS1_17partition_subalgoE4EjNS0_10empty_typeEbEEZZNS1_14partition_implILS8_4ELb0ES6_15HIP_vector_typeIjLj2EENS0_17counting_iteratorIjlEEPS9_SG_NS0_5tupleIJPjSI_NS0_16reverse_iteratorISI_EEEEENSH_IJSG_SG_SG_EEES9_SI_JZNS1_25segmented_radix_sort_implINS0_14default_configELb0EPKiPiPKlPlN2at6native12_GLOBAL__N_18offset_tEEE10hipError_tPvRmT1_PNSt15iterator_traitsIS12_E10value_typeET2_T3_PNS13_IS18_E10value_typeET4_jRbjT5_S1E_jjP12ihipStream_tbEUljE_ZNSN_ISO_Lb0ESQ_SR_ST_SU_SY_EESZ_S10_S11_S12_S16_S17_S18_S1B_S1C_jS1D_jS1E_S1E_jjS1G_bEUljE0_EEESZ_S10_S11_S18_S1C_S1E_T6_T7_T9_mT8_S1G_bDpT10_ENKUlT_T0_E_clISt17integral_constantIbLb1EES1T_IbLb0EEEEDaS1P_S1Q_EUlS1P_E_NS1_11comp_targetILNS1_3genE2ELNS1_11target_archE906ELNS1_3gpuE6ELNS1_3repE0EEENS1_30default_config_static_selectorELNS0_4arch9wavefront6targetE1EEEvS12_
	.p2align	8
	.type	_ZN7rocprim17ROCPRIM_400000_NS6detail17trampoline_kernelINS0_13select_configILj256ELj13ELNS0_17block_load_methodE3ELS4_3ELS4_3ELNS0_20block_scan_algorithmE0ELj4294967295EEENS1_25partition_config_selectorILNS1_17partition_subalgoE4EjNS0_10empty_typeEbEEZZNS1_14partition_implILS8_4ELb0ES6_15HIP_vector_typeIjLj2EENS0_17counting_iteratorIjlEEPS9_SG_NS0_5tupleIJPjSI_NS0_16reverse_iteratorISI_EEEEENSH_IJSG_SG_SG_EEES9_SI_JZNS1_25segmented_radix_sort_implINS0_14default_configELb0EPKiPiPKlPlN2at6native12_GLOBAL__N_18offset_tEEE10hipError_tPvRmT1_PNSt15iterator_traitsIS12_E10value_typeET2_T3_PNS13_IS18_E10value_typeET4_jRbjT5_S1E_jjP12ihipStream_tbEUljE_ZNSN_ISO_Lb0ESQ_SR_ST_SU_SY_EESZ_S10_S11_S12_S16_S17_S18_S1B_S1C_jS1D_jS1E_S1E_jjS1G_bEUljE0_EEESZ_S10_S11_S18_S1C_S1E_T6_T7_T9_mT8_S1G_bDpT10_ENKUlT_T0_E_clISt17integral_constantIbLb1EES1T_IbLb0EEEEDaS1P_S1Q_EUlS1P_E_NS1_11comp_targetILNS1_3genE2ELNS1_11target_archE906ELNS1_3gpuE6ELNS1_3repE0EEENS1_30default_config_static_selectorELNS0_4arch9wavefront6targetE1EEEvS12_,@function
_ZN7rocprim17ROCPRIM_400000_NS6detail17trampoline_kernelINS0_13select_configILj256ELj13ELNS0_17block_load_methodE3ELS4_3ELS4_3ELNS0_20block_scan_algorithmE0ELj4294967295EEENS1_25partition_config_selectorILNS1_17partition_subalgoE4EjNS0_10empty_typeEbEEZZNS1_14partition_implILS8_4ELb0ES6_15HIP_vector_typeIjLj2EENS0_17counting_iteratorIjlEEPS9_SG_NS0_5tupleIJPjSI_NS0_16reverse_iteratorISI_EEEEENSH_IJSG_SG_SG_EEES9_SI_JZNS1_25segmented_radix_sort_implINS0_14default_configELb0EPKiPiPKlPlN2at6native12_GLOBAL__N_18offset_tEEE10hipError_tPvRmT1_PNSt15iterator_traitsIS12_E10value_typeET2_T3_PNS13_IS18_E10value_typeET4_jRbjT5_S1E_jjP12ihipStream_tbEUljE_ZNSN_ISO_Lb0ESQ_SR_ST_SU_SY_EESZ_S10_S11_S12_S16_S17_S18_S1B_S1C_jS1D_jS1E_S1E_jjS1G_bEUljE0_EEESZ_S10_S11_S18_S1C_S1E_T6_T7_T9_mT8_S1G_bDpT10_ENKUlT_T0_E_clISt17integral_constantIbLb1EES1T_IbLb0EEEEDaS1P_S1Q_EUlS1P_E_NS1_11comp_targetILNS1_3genE2ELNS1_11target_archE906ELNS1_3gpuE6ELNS1_3repE0EEENS1_30default_config_static_selectorELNS0_4arch9wavefront6targetE1EEEvS12_: ; @_ZN7rocprim17ROCPRIM_400000_NS6detail17trampoline_kernelINS0_13select_configILj256ELj13ELNS0_17block_load_methodE3ELS4_3ELS4_3ELNS0_20block_scan_algorithmE0ELj4294967295EEENS1_25partition_config_selectorILNS1_17partition_subalgoE4EjNS0_10empty_typeEbEEZZNS1_14partition_implILS8_4ELb0ES6_15HIP_vector_typeIjLj2EENS0_17counting_iteratorIjlEEPS9_SG_NS0_5tupleIJPjSI_NS0_16reverse_iteratorISI_EEEEENSH_IJSG_SG_SG_EEES9_SI_JZNS1_25segmented_radix_sort_implINS0_14default_configELb0EPKiPiPKlPlN2at6native12_GLOBAL__N_18offset_tEEE10hipError_tPvRmT1_PNSt15iterator_traitsIS12_E10value_typeET2_T3_PNS13_IS18_E10value_typeET4_jRbjT5_S1E_jjP12ihipStream_tbEUljE_ZNSN_ISO_Lb0ESQ_SR_ST_SU_SY_EESZ_S10_S11_S12_S16_S17_S18_S1B_S1C_jS1D_jS1E_S1E_jjS1G_bEUljE0_EEESZ_S10_S11_S18_S1C_S1E_T6_T7_T9_mT8_S1G_bDpT10_ENKUlT_T0_E_clISt17integral_constantIbLb1EES1T_IbLb0EEEEDaS1P_S1Q_EUlS1P_E_NS1_11comp_targetILNS1_3genE2ELNS1_11target_archE906ELNS1_3gpuE6ELNS1_3repE0EEENS1_30default_config_static_selectorELNS0_4arch9wavefront6targetE1EEEvS12_
; %bb.0:
	.section	.rodata,"a",@progbits
	.p2align	6, 0x0
	.amdhsa_kernel _ZN7rocprim17ROCPRIM_400000_NS6detail17trampoline_kernelINS0_13select_configILj256ELj13ELNS0_17block_load_methodE3ELS4_3ELS4_3ELNS0_20block_scan_algorithmE0ELj4294967295EEENS1_25partition_config_selectorILNS1_17partition_subalgoE4EjNS0_10empty_typeEbEEZZNS1_14partition_implILS8_4ELb0ES6_15HIP_vector_typeIjLj2EENS0_17counting_iteratorIjlEEPS9_SG_NS0_5tupleIJPjSI_NS0_16reverse_iteratorISI_EEEEENSH_IJSG_SG_SG_EEES9_SI_JZNS1_25segmented_radix_sort_implINS0_14default_configELb0EPKiPiPKlPlN2at6native12_GLOBAL__N_18offset_tEEE10hipError_tPvRmT1_PNSt15iterator_traitsIS12_E10value_typeET2_T3_PNS13_IS18_E10value_typeET4_jRbjT5_S1E_jjP12ihipStream_tbEUljE_ZNSN_ISO_Lb0ESQ_SR_ST_SU_SY_EESZ_S10_S11_S12_S16_S17_S18_S1B_S1C_jS1D_jS1E_S1E_jjS1G_bEUljE0_EEESZ_S10_S11_S18_S1C_S1E_T6_T7_T9_mT8_S1G_bDpT10_ENKUlT_T0_E_clISt17integral_constantIbLb1EES1T_IbLb0EEEEDaS1P_S1Q_EUlS1P_E_NS1_11comp_targetILNS1_3genE2ELNS1_11target_archE906ELNS1_3gpuE6ELNS1_3repE0EEENS1_30default_config_static_selectorELNS0_4arch9wavefront6targetE1EEEvS12_
		.amdhsa_group_segment_fixed_size 0
		.amdhsa_private_segment_fixed_size 0
		.amdhsa_kernarg_size 176
		.amdhsa_user_sgpr_count 6
		.amdhsa_user_sgpr_private_segment_buffer 1
		.amdhsa_user_sgpr_dispatch_ptr 0
		.amdhsa_user_sgpr_queue_ptr 0
		.amdhsa_user_sgpr_kernarg_segment_ptr 1
		.amdhsa_user_sgpr_dispatch_id 0
		.amdhsa_user_sgpr_flat_scratch_init 0
		.amdhsa_user_sgpr_kernarg_preload_length 0
		.amdhsa_user_sgpr_kernarg_preload_offset 0
		.amdhsa_user_sgpr_private_segment_size 0
		.amdhsa_uses_dynamic_stack 0
		.amdhsa_system_sgpr_private_segment_wavefront_offset 0
		.amdhsa_system_sgpr_workgroup_id_x 1
		.amdhsa_system_sgpr_workgroup_id_y 0
		.amdhsa_system_sgpr_workgroup_id_z 0
		.amdhsa_system_sgpr_workgroup_info 0
		.amdhsa_system_vgpr_workitem_id 0
		.amdhsa_next_free_vgpr 1
		.amdhsa_next_free_sgpr 0
		.amdhsa_accum_offset 4
		.amdhsa_reserve_vcc 0
		.amdhsa_reserve_flat_scratch 0
		.amdhsa_float_round_mode_32 0
		.amdhsa_float_round_mode_16_64 0
		.amdhsa_float_denorm_mode_32 3
		.amdhsa_float_denorm_mode_16_64 3
		.amdhsa_dx10_clamp 1
		.amdhsa_ieee_mode 1
		.amdhsa_fp16_overflow 0
		.amdhsa_tg_split 0
		.amdhsa_exception_fp_ieee_invalid_op 0
		.amdhsa_exception_fp_denorm_src 0
		.amdhsa_exception_fp_ieee_div_zero 0
		.amdhsa_exception_fp_ieee_overflow 0
		.amdhsa_exception_fp_ieee_underflow 0
		.amdhsa_exception_fp_ieee_inexact 0
		.amdhsa_exception_int_div_zero 0
	.end_amdhsa_kernel
	.section	.text._ZN7rocprim17ROCPRIM_400000_NS6detail17trampoline_kernelINS0_13select_configILj256ELj13ELNS0_17block_load_methodE3ELS4_3ELS4_3ELNS0_20block_scan_algorithmE0ELj4294967295EEENS1_25partition_config_selectorILNS1_17partition_subalgoE4EjNS0_10empty_typeEbEEZZNS1_14partition_implILS8_4ELb0ES6_15HIP_vector_typeIjLj2EENS0_17counting_iteratorIjlEEPS9_SG_NS0_5tupleIJPjSI_NS0_16reverse_iteratorISI_EEEEENSH_IJSG_SG_SG_EEES9_SI_JZNS1_25segmented_radix_sort_implINS0_14default_configELb0EPKiPiPKlPlN2at6native12_GLOBAL__N_18offset_tEEE10hipError_tPvRmT1_PNSt15iterator_traitsIS12_E10value_typeET2_T3_PNS13_IS18_E10value_typeET4_jRbjT5_S1E_jjP12ihipStream_tbEUljE_ZNSN_ISO_Lb0ESQ_SR_ST_SU_SY_EESZ_S10_S11_S12_S16_S17_S18_S1B_S1C_jS1D_jS1E_S1E_jjS1G_bEUljE0_EEESZ_S10_S11_S18_S1C_S1E_T6_T7_T9_mT8_S1G_bDpT10_ENKUlT_T0_E_clISt17integral_constantIbLb1EES1T_IbLb0EEEEDaS1P_S1Q_EUlS1P_E_NS1_11comp_targetILNS1_3genE2ELNS1_11target_archE906ELNS1_3gpuE6ELNS1_3repE0EEENS1_30default_config_static_selectorELNS0_4arch9wavefront6targetE1EEEvS12_,"axG",@progbits,_ZN7rocprim17ROCPRIM_400000_NS6detail17trampoline_kernelINS0_13select_configILj256ELj13ELNS0_17block_load_methodE3ELS4_3ELS4_3ELNS0_20block_scan_algorithmE0ELj4294967295EEENS1_25partition_config_selectorILNS1_17partition_subalgoE4EjNS0_10empty_typeEbEEZZNS1_14partition_implILS8_4ELb0ES6_15HIP_vector_typeIjLj2EENS0_17counting_iteratorIjlEEPS9_SG_NS0_5tupleIJPjSI_NS0_16reverse_iteratorISI_EEEEENSH_IJSG_SG_SG_EEES9_SI_JZNS1_25segmented_radix_sort_implINS0_14default_configELb0EPKiPiPKlPlN2at6native12_GLOBAL__N_18offset_tEEE10hipError_tPvRmT1_PNSt15iterator_traitsIS12_E10value_typeET2_T3_PNS13_IS18_E10value_typeET4_jRbjT5_S1E_jjP12ihipStream_tbEUljE_ZNSN_ISO_Lb0ESQ_SR_ST_SU_SY_EESZ_S10_S11_S12_S16_S17_S18_S1B_S1C_jS1D_jS1E_S1E_jjS1G_bEUljE0_EEESZ_S10_S11_S18_S1C_S1E_T6_T7_T9_mT8_S1G_bDpT10_ENKUlT_T0_E_clISt17integral_constantIbLb1EES1T_IbLb0EEEEDaS1P_S1Q_EUlS1P_E_NS1_11comp_targetILNS1_3genE2ELNS1_11target_archE906ELNS1_3gpuE6ELNS1_3repE0EEENS1_30default_config_static_selectorELNS0_4arch9wavefront6targetE1EEEvS12_,comdat
.Lfunc_end556:
	.size	_ZN7rocprim17ROCPRIM_400000_NS6detail17trampoline_kernelINS0_13select_configILj256ELj13ELNS0_17block_load_methodE3ELS4_3ELS4_3ELNS0_20block_scan_algorithmE0ELj4294967295EEENS1_25partition_config_selectorILNS1_17partition_subalgoE4EjNS0_10empty_typeEbEEZZNS1_14partition_implILS8_4ELb0ES6_15HIP_vector_typeIjLj2EENS0_17counting_iteratorIjlEEPS9_SG_NS0_5tupleIJPjSI_NS0_16reverse_iteratorISI_EEEEENSH_IJSG_SG_SG_EEES9_SI_JZNS1_25segmented_radix_sort_implINS0_14default_configELb0EPKiPiPKlPlN2at6native12_GLOBAL__N_18offset_tEEE10hipError_tPvRmT1_PNSt15iterator_traitsIS12_E10value_typeET2_T3_PNS13_IS18_E10value_typeET4_jRbjT5_S1E_jjP12ihipStream_tbEUljE_ZNSN_ISO_Lb0ESQ_SR_ST_SU_SY_EESZ_S10_S11_S12_S16_S17_S18_S1B_S1C_jS1D_jS1E_S1E_jjS1G_bEUljE0_EEESZ_S10_S11_S18_S1C_S1E_T6_T7_T9_mT8_S1G_bDpT10_ENKUlT_T0_E_clISt17integral_constantIbLb1EES1T_IbLb0EEEEDaS1P_S1Q_EUlS1P_E_NS1_11comp_targetILNS1_3genE2ELNS1_11target_archE906ELNS1_3gpuE6ELNS1_3repE0EEENS1_30default_config_static_selectorELNS0_4arch9wavefront6targetE1EEEvS12_, .Lfunc_end556-_ZN7rocprim17ROCPRIM_400000_NS6detail17trampoline_kernelINS0_13select_configILj256ELj13ELNS0_17block_load_methodE3ELS4_3ELS4_3ELNS0_20block_scan_algorithmE0ELj4294967295EEENS1_25partition_config_selectorILNS1_17partition_subalgoE4EjNS0_10empty_typeEbEEZZNS1_14partition_implILS8_4ELb0ES6_15HIP_vector_typeIjLj2EENS0_17counting_iteratorIjlEEPS9_SG_NS0_5tupleIJPjSI_NS0_16reverse_iteratorISI_EEEEENSH_IJSG_SG_SG_EEES9_SI_JZNS1_25segmented_radix_sort_implINS0_14default_configELb0EPKiPiPKlPlN2at6native12_GLOBAL__N_18offset_tEEE10hipError_tPvRmT1_PNSt15iterator_traitsIS12_E10value_typeET2_T3_PNS13_IS18_E10value_typeET4_jRbjT5_S1E_jjP12ihipStream_tbEUljE_ZNSN_ISO_Lb0ESQ_SR_ST_SU_SY_EESZ_S10_S11_S12_S16_S17_S18_S1B_S1C_jS1D_jS1E_S1E_jjS1G_bEUljE0_EEESZ_S10_S11_S18_S1C_S1E_T6_T7_T9_mT8_S1G_bDpT10_ENKUlT_T0_E_clISt17integral_constantIbLb1EES1T_IbLb0EEEEDaS1P_S1Q_EUlS1P_E_NS1_11comp_targetILNS1_3genE2ELNS1_11target_archE906ELNS1_3gpuE6ELNS1_3repE0EEENS1_30default_config_static_selectorELNS0_4arch9wavefront6targetE1EEEvS12_
                                        ; -- End function
	.section	.AMDGPU.csdata,"",@progbits
; Kernel info:
; codeLenInByte = 0
; NumSgprs: 4
; NumVgprs: 0
; NumAgprs: 0
; TotalNumVgprs: 0
; ScratchSize: 0
; MemoryBound: 0
; FloatMode: 240
; IeeeMode: 1
; LDSByteSize: 0 bytes/workgroup (compile time only)
; SGPRBlocks: 0
; VGPRBlocks: 0
; NumSGPRsForWavesPerEU: 4
; NumVGPRsForWavesPerEU: 1
; AccumOffset: 4
; Occupancy: 8
; WaveLimiterHint : 0
; COMPUTE_PGM_RSRC2:SCRATCH_EN: 0
; COMPUTE_PGM_RSRC2:USER_SGPR: 6
; COMPUTE_PGM_RSRC2:TRAP_HANDLER: 0
; COMPUTE_PGM_RSRC2:TGID_X_EN: 1
; COMPUTE_PGM_RSRC2:TGID_Y_EN: 0
; COMPUTE_PGM_RSRC2:TGID_Z_EN: 0
; COMPUTE_PGM_RSRC2:TIDIG_COMP_CNT: 0
; COMPUTE_PGM_RSRC3_GFX90A:ACCUM_OFFSET: 0
; COMPUTE_PGM_RSRC3_GFX90A:TG_SPLIT: 0
	.section	.text._ZN7rocprim17ROCPRIM_400000_NS6detail17trampoline_kernelINS0_13select_configILj256ELj13ELNS0_17block_load_methodE3ELS4_3ELS4_3ELNS0_20block_scan_algorithmE0ELj4294967295EEENS1_25partition_config_selectorILNS1_17partition_subalgoE4EjNS0_10empty_typeEbEEZZNS1_14partition_implILS8_4ELb0ES6_15HIP_vector_typeIjLj2EENS0_17counting_iteratorIjlEEPS9_SG_NS0_5tupleIJPjSI_NS0_16reverse_iteratorISI_EEEEENSH_IJSG_SG_SG_EEES9_SI_JZNS1_25segmented_radix_sort_implINS0_14default_configELb0EPKiPiPKlPlN2at6native12_GLOBAL__N_18offset_tEEE10hipError_tPvRmT1_PNSt15iterator_traitsIS12_E10value_typeET2_T3_PNS13_IS18_E10value_typeET4_jRbjT5_S1E_jjP12ihipStream_tbEUljE_ZNSN_ISO_Lb0ESQ_SR_ST_SU_SY_EESZ_S10_S11_S12_S16_S17_S18_S1B_S1C_jS1D_jS1E_S1E_jjS1G_bEUljE0_EEESZ_S10_S11_S18_S1C_S1E_T6_T7_T9_mT8_S1G_bDpT10_ENKUlT_T0_E_clISt17integral_constantIbLb1EES1T_IbLb0EEEEDaS1P_S1Q_EUlS1P_E_NS1_11comp_targetILNS1_3genE10ELNS1_11target_archE1200ELNS1_3gpuE4ELNS1_3repE0EEENS1_30default_config_static_selectorELNS0_4arch9wavefront6targetE1EEEvS12_,"axG",@progbits,_ZN7rocprim17ROCPRIM_400000_NS6detail17trampoline_kernelINS0_13select_configILj256ELj13ELNS0_17block_load_methodE3ELS4_3ELS4_3ELNS0_20block_scan_algorithmE0ELj4294967295EEENS1_25partition_config_selectorILNS1_17partition_subalgoE4EjNS0_10empty_typeEbEEZZNS1_14partition_implILS8_4ELb0ES6_15HIP_vector_typeIjLj2EENS0_17counting_iteratorIjlEEPS9_SG_NS0_5tupleIJPjSI_NS0_16reverse_iteratorISI_EEEEENSH_IJSG_SG_SG_EEES9_SI_JZNS1_25segmented_radix_sort_implINS0_14default_configELb0EPKiPiPKlPlN2at6native12_GLOBAL__N_18offset_tEEE10hipError_tPvRmT1_PNSt15iterator_traitsIS12_E10value_typeET2_T3_PNS13_IS18_E10value_typeET4_jRbjT5_S1E_jjP12ihipStream_tbEUljE_ZNSN_ISO_Lb0ESQ_SR_ST_SU_SY_EESZ_S10_S11_S12_S16_S17_S18_S1B_S1C_jS1D_jS1E_S1E_jjS1G_bEUljE0_EEESZ_S10_S11_S18_S1C_S1E_T6_T7_T9_mT8_S1G_bDpT10_ENKUlT_T0_E_clISt17integral_constantIbLb1EES1T_IbLb0EEEEDaS1P_S1Q_EUlS1P_E_NS1_11comp_targetILNS1_3genE10ELNS1_11target_archE1200ELNS1_3gpuE4ELNS1_3repE0EEENS1_30default_config_static_selectorELNS0_4arch9wavefront6targetE1EEEvS12_,comdat
	.globl	_ZN7rocprim17ROCPRIM_400000_NS6detail17trampoline_kernelINS0_13select_configILj256ELj13ELNS0_17block_load_methodE3ELS4_3ELS4_3ELNS0_20block_scan_algorithmE0ELj4294967295EEENS1_25partition_config_selectorILNS1_17partition_subalgoE4EjNS0_10empty_typeEbEEZZNS1_14partition_implILS8_4ELb0ES6_15HIP_vector_typeIjLj2EENS0_17counting_iteratorIjlEEPS9_SG_NS0_5tupleIJPjSI_NS0_16reverse_iteratorISI_EEEEENSH_IJSG_SG_SG_EEES9_SI_JZNS1_25segmented_radix_sort_implINS0_14default_configELb0EPKiPiPKlPlN2at6native12_GLOBAL__N_18offset_tEEE10hipError_tPvRmT1_PNSt15iterator_traitsIS12_E10value_typeET2_T3_PNS13_IS18_E10value_typeET4_jRbjT5_S1E_jjP12ihipStream_tbEUljE_ZNSN_ISO_Lb0ESQ_SR_ST_SU_SY_EESZ_S10_S11_S12_S16_S17_S18_S1B_S1C_jS1D_jS1E_S1E_jjS1G_bEUljE0_EEESZ_S10_S11_S18_S1C_S1E_T6_T7_T9_mT8_S1G_bDpT10_ENKUlT_T0_E_clISt17integral_constantIbLb1EES1T_IbLb0EEEEDaS1P_S1Q_EUlS1P_E_NS1_11comp_targetILNS1_3genE10ELNS1_11target_archE1200ELNS1_3gpuE4ELNS1_3repE0EEENS1_30default_config_static_selectorELNS0_4arch9wavefront6targetE1EEEvS12_ ; -- Begin function _ZN7rocprim17ROCPRIM_400000_NS6detail17trampoline_kernelINS0_13select_configILj256ELj13ELNS0_17block_load_methodE3ELS4_3ELS4_3ELNS0_20block_scan_algorithmE0ELj4294967295EEENS1_25partition_config_selectorILNS1_17partition_subalgoE4EjNS0_10empty_typeEbEEZZNS1_14partition_implILS8_4ELb0ES6_15HIP_vector_typeIjLj2EENS0_17counting_iteratorIjlEEPS9_SG_NS0_5tupleIJPjSI_NS0_16reverse_iteratorISI_EEEEENSH_IJSG_SG_SG_EEES9_SI_JZNS1_25segmented_radix_sort_implINS0_14default_configELb0EPKiPiPKlPlN2at6native12_GLOBAL__N_18offset_tEEE10hipError_tPvRmT1_PNSt15iterator_traitsIS12_E10value_typeET2_T3_PNS13_IS18_E10value_typeET4_jRbjT5_S1E_jjP12ihipStream_tbEUljE_ZNSN_ISO_Lb0ESQ_SR_ST_SU_SY_EESZ_S10_S11_S12_S16_S17_S18_S1B_S1C_jS1D_jS1E_S1E_jjS1G_bEUljE0_EEESZ_S10_S11_S18_S1C_S1E_T6_T7_T9_mT8_S1G_bDpT10_ENKUlT_T0_E_clISt17integral_constantIbLb1EES1T_IbLb0EEEEDaS1P_S1Q_EUlS1P_E_NS1_11comp_targetILNS1_3genE10ELNS1_11target_archE1200ELNS1_3gpuE4ELNS1_3repE0EEENS1_30default_config_static_selectorELNS0_4arch9wavefront6targetE1EEEvS12_
	.p2align	8
	.type	_ZN7rocprim17ROCPRIM_400000_NS6detail17trampoline_kernelINS0_13select_configILj256ELj13ELNS0_17block_load_methodE3ELS4_3ELS4_3ELNS0_20block_scan_algorithmE0ELj4294967295EEENS1_25partition_config_selectorILNS1_17partition_subalgoE4EjNS0_10empty_typeEbEEZZNS1_14partition_implILS8_4ELb0ES6_15HIP_vector_typeIjLj2EENS0_17counting_iteratorIjlEEPS9_SG_NS0_5tupleIJPjSI_NS0_16reverse_iteratorISI_EEEEENSH_IJSG_SG_SG_EEES9_SI_JZNS1_25segmented_radix_sort_implINS0_14default_configELb0EPKiPiPKlPlN2at6native12_GLOBAL__N_18offset_tEEE10hipError_tPvRmT1_PNSt15iterator_traitsIS12_E10value_typeET2_T3_PNS13_IS18_E10value_typeET4_jRbjT5_S1E_jjP12ihipStream_tbEUljE_ZNSN_ISO_Lb0ESQ_SR_ST_SU_SY_EESZ_S10_S11_S12_S16_S17_S18_S1B_S1C_jS1D_jS1E_S1E_jjS1G_bEUljE0_EEESZ_S10_S11_S18_S1C_S1E_T6_T7_T9_mT8_S1G_bDpT10_ENKUlT_T0_E_clISt17integral_constantIbLb1EES1T_IbLb0EEEEDaS1P_S1Q_EUlS1P_E_NS1_11comp_targetILNS1_3genE10ELNS1_11target_archE1200ELNS1_3gpuE4ELNS1_3repE0EEENS1_30default_config_static_selectorELNS0_4arch9wavefront6targetE1EEEvS12_,@function
_ZN7rocprim17ROCPRIM_400000_NS6detail17trampoline_kernelINS0_13select_configILj256ELj13ELNS0_17block_load_methodE3ELS4_3ELS4_3ELNS0_20block_scan_algorithmE0ELj4294967295EEENS1_25partition_config_selectorILNS1_17partition_subalgoE4EjNS0_10empty_typeEbEEZZNS1_14partition_implILS8_4ELb0ES6_15HIP_vector_typeIjLj2EENS0_17counting_iteratorIjlEEPS9_SG_NS0_5tupleIJPjSI_NS0_16reverse_iteratorISI_EEEEENSH_IJSG_SG_SG_EEES9_SI_JZNS1_25segmented_radix_sort_implINS0_14default_configELb0EPKiPiPKlPlN2at6native12_GLOBAL__N_18offset_tEEE10hipError_tPvRmT1_PNSt15iterator_traitsIS12_E10value_typeET2_T3_PNS13_IS18_E10value_typeET4_jRbjT5_S1E_jjP12ihipStream_tbEUljE_ZNSN_ISO_Lb0ESQ_SR_ST_SU_SY_EESZ_S10_S11_S12_S16_S17_S18_S1B_S1C_jS1D_jS1E_S1E_jjS1G_bEUljE0_EEESZ_S10_S11_S18_S1C_S1E_T6_T7_T9_mT8_S1G_bDpT10_ENKUlT_T0_E_clISt17integral_constantIbLb1EES1T_IbLb0EEEEDaS1P_S1Q_EUlS1P_E_NS1_11comp_targetILNS1_3genE10ELNS1_11target_archE1200ELNS1_3gpuE4ELNS1_3repE0EEENS1_30default_config_static_selectorELNS0_4arch9wavefront6targetE1EEEvS12_: ; @_ZN7rocprim17ROCPRIM_400000_NS6detail17trampoline_kernelINS0_13select_configILj256ELj13ELNS0_17block_load_methodE3ELS4_3ELS4_3ELNS0_20block_scan_algorithmE0ELj4294967295EEENS1_25partition_config_selectorILNS1_17partition_subalgoE4EjNS0_10empty_typeEbEEZZNS1_14partition_implILS8_4ELb0ES6_15HIP_vector_typeIjLj2EENS0_17counting_iteratorIjlEEPS9_SG_NS0_5tupleIJPjSI_NS0_16reverse_iteratorISI_EEEEENSH_IJSG_SG_SG_EEES9_SI_JZNS1_25segmented_radix_sort_implINS0_14default_configELb0EPKiPiPKlPlN2at6native12_GLOBAL__N_18offset_tEEE10hipError_tPvRmT1_PNSt15iterator_traitsIS12_E10value_typeET2_T3_PNS13_IS18_E10value_typeET4_jRbjT5_S1E_jjP12ihipStream_tbEUljE_ZNSN_ISO_Lb0ESQ_SR_ST_SU_SY_EESZ_S10_S11_S12_S16_S17_S18_S1B_S1C_jS1D_jS1E_S1E_jjS1G_bEUljE0_EEESZ_S10_S11_S18_S1C_S1E_T6_T7_T9_mT8_S1G_bDpT10_ENKUlT_T0_E_clISt17integral_constantIbLb1EES1T_IbLb0EEEEDaS1P_S1Q_EUlS1P_E_NS1_11comp_targetILNS1_3genE10ELNS1_11target_archE1200ELNS1_3gpuE4ELNS1_3repE0EEENS1_30default_config_static_selectorELNS0_4arch9wavefront6targetE1EEEvS12_
; %bb.0:
	.section	.rodata,"a",@progbits
	.p2align	6, 0x0
	.amdhsa_kernel _ZN7rocprim17ROCPRIM_400000_NS6detail17trampoline_kernelINS0_13select_configILj256ELj13ELNS0_17block_load_methodE3ELS4_3ELS4_3ELNS0_20block_scan_algorithmE0ELj4294967295EEENS1_25partition_config_selectorILNS1_17partition_subalgoE4EjNS0_10empty_typeEbEEZZNS1_14partition_implILS8_4ELb0ES6_15HIP_vector_typeIjLj2EENS0_17counting_iteratorIjlEEPS9_SG_NS0_5tupleIJPjSI_NS0_16reverse_iteratorISI_EEEEENSH_IJSG_SG_SG_EEES9_SI_JZNS1_25segmented_radix_sort_implINS0_14default_configELb0EPKiPiPKlPlN2at6native12_GLOBAL__N_18offset_tEEE10hipError_tPvRmT1_PNSt15iterator_traitsIS12_E10value_typeET2_T3_PNS13_IS18_E10value_typeET4_jRbjT5_S1E_jjP12ihipStream_tbEUljE_ZNSN_ISO_Lb0ESQ_SR_ST_SU_SY_EESZ_S10_S11_S12_S16_S17_S18_S1B_S1C_jS1D_jS1E_S1E_jjS1G_bEUljE0_EEESZ_S10_S11_S18_S1C_S1E_T6_T7_T9_mT8_S1G_bDpT10_ENKUlT_T0_E_clISt17integral_constantIbLb1EES1T_IbLb0EEEEDaS1P_S1Q_EUlS1P_E_NS1_11comp_targetILNS1_3genE10ELNS1_11target_archE1200ELNS1_3gpuE4ELNS1_3repE0EEENS1_30default_config_static_selectorELNS0_4arch9wavefront6targetE1EEEvS12_
		.amdhsa_group_segment_fixed_size 0
		.amdhsa_private_segment_fixed_size 0
		.amdhsa_kernarg_size 176
		.amdhsa_user_sgpr_count 6
		.amdhsa_user_sgpr_private_segment_buffer 1
		.amdhsa_user_sgpr_dispatch_ptr 0
		.amdhsa_user_sgpr_queue_ptr 0
		.amdhsa_user_sgpr_kernarg_segment_ptr 1
		.amdhsa_user_sgpr_dispatch_id 0
		.amdhsa_user_sgpr_flat_scratch_init 0
		.amdhsa_user_sgpr_kernarg_preload_length 0
		.amdhsa_user_sgpr_kernarg_preload_offset 0
		.amdhsa_user_sgpr_private_segment_size 0
		.amdhsa_uses_dynamic_stack 0
		.amdhsa_system_sgpr_private_segment_wavefront_offset 0
		.amdhsa_system_sgpr_workgroup_id_x 1
		.amdhsa_system_sgpr_workgroup_id_y 0
		.amdhsa_system_sgpr_workgroup_id_z 0
		.amdhsa_system_sgpr_workgroup_info 0
		.amdhsa_system_vgpr_workitem_id 0
		.amdhsa_next_free_vgpr 1
		.amdhsa_next_free_sgpr 0
		.amdhsa_accum_offset 4
		.amdhsa_reserve_vcc 0
		.amdhsa_reserve_flat_scratch 0
		.amdhsa_float_round_mode_32 0
		.amdhsa_float_round_mode_16_64 0
		.amdhsa_float_denorm_mode_32 3
		.amdhsa_float_denorm_mode_16_64 3
		.amdhsa_dx10_clamp 1
		.amdhsa_ieee_mode 1
		.amdhsa_fp16_overflow 0
		.amdhsa_tg_split 0
		.amdhsa_exception_fp_ieee_invalid_op 0
		.amdhsa_exception_fp_denorm_src 0
		.amdhsa_exception_fp_ieee_div_zero 0
		.amdhsa_exception_fp_ieee_overflow 0
		.amdhsa_exception_fp_ieee_underflow 0
		.amdhsa_exception_fp_ieee_inexact 0
		.amdhsa_exception_int_div_zero 0
	.end_amdhsa_kernel
	.section	.text._ZN7rocprim17ROCPRIM_400000_NS6detail17trampoline_kernelINS0_13select_configILj256ELj13ELNS0_17block_load_methodE3ELS4_3ELS4_3ELNS0_20block_scan_algorithmE0ELj4294967295EEENS1_25partition_config_selectorILNS1_17partition_subalgoE4EjNS0_10empty_typeEbEEZZNS1_14partition_implILS8_4ELb0ES6_15HIP_vector_typeIjLj2EENS0_17counting_iteratorIjlEEPS9_SG_NS0_5tupleIJPjSI_NS0_16reverse_iteratorISI_EEEEENSH_IJSG_SG_SG_EEES9_SI_JZNS1_25segmented_radix_sort_implINS0_14default_configELb0EPKiPiPKlPlN2at6native12_GLOBAL__N_18offset_tEEE10hipError_tPvRmT1_PNSt15iterator_traitsIS12_E10value_typeET2_T3_PNS13_IS18_E10value_typeET4_jRbjT5_S1E_jjP12ihipStream_tbEUljE_ZNSN_ISO_Lb0ESQ_SR_ST_SU_SY_EESZ_S10_S11_S12_S16_S17_S18_S1B_S1C_jS1D_jS1E_S1E_jjS1G_bEUljE0_EEESZ_S10_S11_S18_S1C_S1E_T6_T7_T9_mT8_S1G_bDpT10_ENKUlT_T0_E_clISt17integral_constantIbLb1EES1T_IbLb0EEEEDaS1P_S1Q_EUlS1P_E_NS1_11comp_targetILNS1_3genE10ELNS1_11target_archE1200ELNS1_3gpuE4ELNS1_3repE0EEENS1_30default_config_static_selectorELNS0_4arch9wavefront6targetE1EEEvS12_,"axG",@progbits,_ZN7rocprim17ROCPRIM_400000_NS6detail17trampoline_kernelINS0_13select_configILj256ELj13ELNS0_17block_load_methodE3ELS4_3ELS4_3ELNS0_20block_scan_algorithmE0ELj4294967295EEENS1_25partition_config_selectorILNS1_17partition_subalgoE4EjNS0_10empty_typeEbEEZZNS1_14partition_implILS8_4ELb0ES6_15HIP_vector_typeIjLj2EENS0_17counting_iteratorIjlEEPS9_SG_NS0_5tupleIJPjSI_NS0_16reverse_iteratorISI_EEEEENSH_IJSG_SG_SG_EEES9_SI_JZNS1_25segmented_radix_sort_implINS0_14default_configELb0EPKiPiPKlPlN2at6native12_GLOBAL__N_18offset_tEEE10hipError_tPvRmT1_PNSt15iterator_traitsIS12_E10value_typeET2_T3_PNS13_IS18_E10value_typeET4_jRbjT5_S1E_jjP12ihipStream_tbEUljE_ZNSN_ISO_Lb0ESQ_SR_ST_SU_SY_EESZ_S10_S11_S12_S16_S17_S18_S1B_S1C_jS1D_jS1E_S1E_jjS1G_bEUljE0_EEESZ_S10_S11_S18_S1C_S1E_T6_T7_T9_mT8_S1G_bDpT10_ENKUlT_T0_E_clISt17integral_constantIbLb1EES1T_IbLb0EEEEDaS1P_S1Q_EUlS1P_E_NS1_11comp_targetILNS1_3genE10ELNS1_11target_archE1200ELNS1_3gpuE4ELNS1_3repE0EEENS1_30default_config_static_selectorELNS0_4arch9wavefront6targetE1EEEvS12_,comdat
.Lfunc_end557:
	.size	_ZN7rocprim17ROCPRIM_400000_NS6detail17trampoline_kernelINS0_13select_configILj256ELj13ELNS0_17block_load_methodE3ELS4_3ELS4_3ELNS0_20block_scan_algorithmE0ELj4294967295EEENS1_25partition_config_selectorILNS1_17partition_subalgoE4EjNS0_10empty_typeEbEEZZNS1_14partition_implILS8_4ELb0ES6_15HIP_vector_typeIjLj2EENS0_17counting_iteratorIjlEEPS9_SG_NS0_5tupleIJPjSI_NS0_16reverse_iteratorISI_EEEEENSH_IJSG_SG_SG_EEES9_SI_JZNS1_25segmented_radix_sort_implINS0_14default_configELb0EPKiPiPKlPlN2at6native12_GLOBAL__N_18offset_tEEE10hipError_tPvRmT1_PNSt15iterator_traitsIS12_E10value_typeET2_T3_PNS13_IS18_E10value_typeET4_jRbjT5_S1E_jjP12ihipStream_tbEUljE_ZNSN_ISO_Lb0ESQ_SR_ST_SU_SY_EESZ_S10_S11_S12_S16_S17_S18_S1B_S1C_jS1D_jS1E_S1E_jjS1G_bEUljE0_EEESZ_S10_S11_S18_S1C_S1E_T6_T7_T9_mT8_S1G_bDpT10_ENKUlT_T0_E_clISt17integral_constantIbLb1EES1T_IbLb0EEEEDaS1P_S1Q_EUlS1P_E_NS1_11comp_targetILNS1_3genE10ELNS1_11target_archE1200ELNS1_3gpuE4ELNS1_3repE0EEENS1_30default_config_static_selectorELNS0_4arch9wavefront6targetE1EEEvS12_, .Lfunc_end557-_ZN7rocprim17ROCPRIM_400000_NS6detail17trampoline_kernelINS0_13select_configILj256ELj13ELNS0_17block_load_methodE3ELS4_3ELS4_3ELNS0_20block_scan_algorithmE0ELj4294967295EEENS1_25partition_config_selectorILNS1_17partition_subalgoE4EjNS0_10empty_typeEbEEZZNS1_14partition_implILS8_4ELb0ES6_15HIP_vector_typeIjLj2EENS0_17counting_iteratorIjlEEPS9_SG_NS0_5tupleIJPjSI_NS0_16reverse_iteratorISI_EEEEENSH_IJSG_SG_SG_EEES9_SI_JZNS1_25segmented_radix_sort_implINS0_14default_configELb0EPKiPiPKlPlN2at6native12_GLOBAL__N_18offset_tEEE10hipError_tPvRmT1_PNSt15iterator_traitsIS12_E10value_typeET2_T3_PNS13_IS18_E10value_typeET4_jRbjT5_S1E_jjP12ihipStream_tbEUljE_ZNSN_ISO_Lb0ESQ_SR_ST_SU_SY_EESZ_S10_S11_S12_S16_S17_S18_S1B_S1C_jS1D_jS1E_S1E_jjS1G_bEUljE0_EEESZ_S10_S11_S18_S1C_S1E_T6_T7_T9_mT8_S1G_bDpT10_ENKUlT_T0_E_clISt17integral_constantIbLb1EES1T_IbLb0EEEEDaS1P_S1Q_EUlS1P_E_NS1_11comp_targetILNS1_3genE10ELNS1_11target_archE1200ELNS1_3gpuE4ELNS1_3repE0EEENS1_30default_config_static_selectorELNS0_4arch9wavefront6targetE1EEEvS12_
                                        ; -- End function
	.section	.AMDGPU.csdata,"",@progbits
; Kernel info:
; codeLenInByte = 0
; NumSgprs: 4
; NumVgprs: 0
; NumAgprs: 0
; TotalNumVgprs: 0
; ScratchSize: 0
; MemoryBound: 0
; FloatMode: 240
; IeeeMode: 1
; LDSByteSize: 0 bytes/workgroup (compile time only)
; SGPRBlocks: 0
; VGPRBlocks: 0
; NumSGPRsForWavesPerEU: 4
; NumVGPRsForWavesPerEU: 1
; AccumOffset: 4
; Occupancy: 8
; WaveLimiterHint : 0
; COMPUTE_PGM_RSRC2:SCRATCH_EN: 0
; COMPUTE_PGM_RSRC2:USER_SGPR: 6
; COMPUTE_PGM_RSRC2:TRAP_HANDLER: 0
; COMPUTE_PGM_RSRC2:TGID_X_EN: 1
; COMPUTE_PGM_RSRC2:TGID_Y_EN: 0
; COMPUTE_PGM_RSRC2:TGID_Z_EN: 0
; COMPUTE_PGM_RSRC2:TIDIG_COMP_CNT: 0
; COMPUTE_PGM_RSRC3_GFX90A:ACCUM_OFFSET: 0
; COMPUTE_PGM_RSRC3_GFX90A:TG_SPLIT: 0
	.section	.text._ZN7rocprim17ROCPRIM_400000_NS6detail17trampoline_kernelINS0_13select_configILj256ELj13ELNS0_17block_load_methodE3ELS4_3ELS4_3ELNS0_20block_scan_algorithmE0ELj4294967295EEENS1_25partition_config_selectorILNS1_17partition_subalgoE4EjNS0_10empty_typeEbEEZZNS1_14partition_implILS8_4ELb0ES6_15HIP_vector_typeIjLj2EENS0_17counting_iteratorIjlEEPS9_SG_NS0_5tupleIJPjSI_NS0_16reverse_iteratorISI_EEEEENSH_IJSG_SG_SG_EEES9_SI_JZNS1_25segmented_radix_sort_implINS0_14default_configELb0EPKiPiPKlPlN2at6native12_GLOBAL__N_18offset_tEEE10hipError_tPvRmT1_PNSt15iterator_traitsIS12_E10value_typeET2_T3_PNS13_IS18_E10value_typeET4_jRbjT5_S1E_jjP12ihipStream_tbEUljE_ZNSN_ISO_Lb0ESQ_SR_ST_SU_SY_EESZ_S10_S11_S12_S16_S17_S18_S1B_S1C_jS1D_jS1E_S1E_jjS1G_bEUljE0_EEESZ_S10_S11_S18_S1C_S1E_T6_T7_T9_mT8_S1G_bDpT10_ENKUlT_T0_E_clISt17integral_constantIbLb1EES1T_IbLb0EEEEDaS1P_S1Q_EUlS1P_E_NS1_11comp_targetILNS1_3genE9ELNS1_11target_archE1100ELNS1_3gpuE3ELNS1_3repE0EEENS1_30default_config_static_selectorELNS0_4arch9wavefront6targetE1EEEvS12_,"axG",@progbits,_ZN7rocprim17ROCPRIM_400000_NS6detail17trampoline_kernelINS0_13select_configILj256ELj13ELNS0_17block_load_methodE3ELS4_3ELS4_3ELNS0_20block_scan_algorithmE0ELj4294967295EEENS1_25partition_config_selectorILNS1_17partition_subalgoE4EjNS0_10empty_typeEbEEZZNS1_14partition_implILS8_4ELb0ES6_15HIP_vector_typeIjLj2EENS0_17counting_iteratorIjlEEPS9_SG_NS0_5tupleIJPjSI_NS0_16reverse_iteratorISI_EEEEENSH_IJSG_SG_SG_EEES9_SI_JZNS1_25segmented_radix_sort_implINS0_14default_configELb0EPKiPiPKlPlN2at6native12_GLOBAL__N_18offset_tEEE10hipError_tPvRmT1_PNSt15iterator_traitsIS12_E10value_typeET2_T3_PNS13_IS18_E10value_typeET4_jRbjT5_S1E_jjP12ihipStream_tbEUljE_ZNSN_ISO_Lb0ESQ_SR_ST_SU_SY_EESZ_S10_S11_S12_S16_S17_S18_S1B_S1C_jS1D_jS1E_S1E_jjS1G_bEUljE0_EEESZ_S10_S11_S18_S1C_S1E_T6_T7_T9_mT8_S1G_bDpT10_ENKUlT_T0_E_clISt17integral_constantIbLb1EES1T_IbLb0EEEEDaS1P_S1Q_EUlS1P_E_NS1_11comp_targetILNS1_3genE9ELNS1_11target_archE1100ELNS1_3gpuE3ELNS1_3repE0EEENS1_30default_config_static_selectorELNS0_4arch9wavefront6targetE1EEEvS12_,comdat
	.globl	_ZN7rocprim17ROCPRIM_400000_NS6detail17trampoline_kernelINS0_13select_configILj256ELj13ELNS0_17block_load_methodE3ELS4_3ELS4_3ELNS0_20block_scan_algorithmE0ELj4294967295EEENS1_25partition_config_selectorILNS1_17partition_subalgoE4EjNS0_10empty_typeEbEEZZNS1_14partition_implILS8_4ELb0ES6_15HIP_vector_typeIjLj2EENS0_17counting_iteratorIjlEEPS9_SG_NS0_5tupleIJPjSI_NS0_16reverse_iteratorISI_EEEEENSH_IJSG_SG_SG_EEES9_SI_JZNS1_25segmented_radix_sort_implINS0_14default_configELb0EPKiPiPKlPlN2at6native12_GLOBAL__N_18offset_tEEE10hipError_tPvRmT1_PNSt15iterator_traitsIS12_E10value_typeET2_T3_PNS13_IS18_E10value_typeET4_jRbjT5_S1E_jjP12ihipStream_tbEUljE_ZNSN_ISO_Lb0ESQ_SR_ST_SU_SY_EESZ_S10_S11_S12_S16_S17_S18_S1B_S1C_jS1D_jS1E_S1E_jjS1G_bEUljE0_EEESZ_S10_S11_S18_S1C_S1E_T6_T7_T9_mT8_S1G_bDpT10_ENKUlT_T0_E_clISt17integral_constantIbLb1EES1T_IbLb0EEEEDaS1P_S1Q_EUlS1P_E_NS1_11comp_targetILNS1_3genE9ELNS1_11target_archE1100ELNS1_3gpuE3ELNS1_3repE0EEENS1_30default_config_static_selectorELNS0_4arch9wavefront6targetE1EEEvS12_ ; -- Begin function _ZN7rocprim17ROCPRIM_400000_NS6detail17trampoline_kernelINS0_13select_configILj256ELj13ELNS0_17block_load_methodE3ELS4_3ELS4_3ELNS0_20block_scan_algorithmE0ELj4294967295EEENS1_25partition_config_selectorILNS1_17partition_subalgoE4EjNS0_10empty_typeEbEEZZNS1_14partition_implILS8_4ELb0ES6_15HIP_vector_typeIjLj2EENS0_17counting_iteratorIjlEEPS9_SG_NS0_5tupleIJPjSI_NS0_16reverse_iteratorISI_EEEEENSH_IJSG_SG_SG_EEES9_SI_JZNS1_25segmented_radix_sort_implINS0_14default_configELb0EPKiPiPKlPlN2at6native12_GLOBAL__N_18offset_tEEE10hipError_tPvRmT1_PNSt15iterator_traitsIS12_E10value_typeET2_T3_PNS13_IS18_E10value_typeET4_jRbjT5_S1E_jjP12ihipStream_tbEUljE_ZNSN_ISO_Lb0ESQ_SR_ST_SU_SY_EESZ_S10_S11_S12_S16_S17_S18_S1B_S1C_jS1D_jS1E_S1E_jjS1G_bEUljE0_EEESZ_S10_S11_S18_S1C_S1E_T6_T7_T9_mT8_S1G_bDpT10_ENKUlT_T0_E_clISt17integral_constantIbLb1EES1T_IbLb0EEEEDaS1P_S1Q_EUlS1P_E_NS1_11comp_targetILNS1_3genE9ELNS1_11target_archE1100ELNS1_3gpuE3ELNS1_3repE0EEENS1_30default_config_static_selectorELNS0_4arch9wavefront6targetE1EEEvS12_
	.p2align	8
	.type	_ZN7rocprim17ROCPRIM_400000_NS6detail17trampoline_kernelINS0_13select_configILj256ELj13ELNS0_17block_load_methodE3ELS4_3ELS4_3ELNS0_20block_scan_algorithmE0ELj4294967295EEENS1_25partition_config_selectorILNS1_17partition_subalgoE4EjNS0_10empty_typeEbEEZZNS1_14partition_implILS8_4ELb0ES6_15HIP_vector_typeIjLj2EENS0_17counting_iteratorIjlEEPS9_SG_NS0_5tupleIJPjSI_NS0_16reverse_iteratorISI_EEEEENSH_IJSG_SG_SG_EEES9_SI_JZNS1_25segmented_radix_sort_implINS0_14default_configELb0EPKiPiPKlPlN2at6native12_GLOBAL__N_18offset_tEEE10hipError_tPvRmT1_PNSt15iterator_traitsIS12_E10value_typeET2_T3_PNS13_IS18_E10value_typeET4_jRbjT5_S1E_jjP12ihipStream_tbEUljE_ZNSN_ISO_Lb0ESQ_SR_ST_SU_SY_EESZ_S10_S11_S12_S16_S17_S18_S1B_S1C_jS1D_jS1E_S1E_jjS1G_bEUljE0_EEESZ_S10_S11_S18_S1C_S1E_T6_T7_T9_mT8_S1G_bDpT10_ENKUlT_T0_E_clISt17integral_constantIbLb1EES1T_IbLb0EEEEDaS1P_S1Q_EUlS1P_E_NS1_11comp_targetILNS1_3genE9ELNS1_11target_archE1100ELNS1_3gpuE3ELNS1_3repE0EEENS1_30default_config_static_selectorELNS0_4arch9wavefront6targetE1EEEvS12_,@function
_ZN7rocprim17ROCPRIM_400000_NS6detail17trampoline_kernelINS0_13select_configILj256ELj13ELNS0_17block_load_methodE3ELS4_3ELS4_3ELNS0_20block_scan_algorithmE0ELj4294967295EEENS1_25partition_config_selectorILNS1_17partition_subalgoE4EjNS0_10empty_typeEbEEZZNS1_14partition_implILS8_4ELb0ES6_15HIP_vector_typeIjLj2EENS0_17counting_iteratorIjlEEPS9_SG_NS0_5tupleIJPjSI_NS0_16reverse_iteratorISI_EEEEENSH_IJSG_SG_SG_EEES9_SI_JZNS1_25segmented_radix_sort_implINS0_14default_configELb0EPKiPiPKlPlN2at6native12_GLOBAL__N_18offset_tEEE10hipError_tPvRmT1_PNSt15iterator_traitsIS12_E10value_typeET2_T3_PNS13_IS18_E10value_typeET4_jRbjT5_S1E_jjP12ihipStream_tbEUljE_ZNSN_ISO_Lb0ESQ_SR_ST_SU_SY_EESZ_S10_S11_S12_S16_S17_S18_S1B_S1C_jS1D_jS1E_S1E_jjS1G_bEUljE0_EEESZ_S10_S11_S18_S1C_S1E_T6_T7_T9_mT8_S1G_bDpT10_ENKUlT_T0_E_clISt17integral_constantIbLb1EES1T_IbLb0EEEEDaS1P_S1Q_EUlS1P_E_NS1_11comp_targetILNS1_3genE9ELNS1_11target_archE1100ELNS1_3gpuE3ELNS1_3repE0EEENS1_30default_config_static_selectorELNS0_4arch9wavefront6targetE1EEEvS12_: ; @_ZN7rocprim17ROCPRIM_400000_NS6detail17trampoline_kernelINS0_13select_configILj256ELj13ELNS0_17block_load_methodE3ELS4_3ELS4_3ELNS0_20block_scan_algorithmE0ELj4294967295EEENS1_25partition_config_selectorILNS1_17partition_subalgoE4EjNS0_10empty_typeEbEEZZNS1_14partition_implILS8_4ELb0ES6_15HIP_vector_typeIjLj2EENS0_17counting_iteratorIjlEEPS9_SG_NS0_5tupleIJPjSI_NS0_16reverse_iteratorISI_EEEEENSH_IJSG_SG_SG_EEES9_SI_JZNS1_25segmented_radix_sort_implINS0_14default_configELb0EPKiPiPKlPlN2at6native12_GLOBAL__N_18offset_tEEE10hipError_tPvRmT1_PNSt15iterator_traitsIS12_E10value_typeET2_T3_PNS13_IS18_E10value_typeET4_jRbjT5_S1E_jjP12ihipStream_tbEUljE_ZNSN_ISO_Lb0ESQ_SR_ST_SU_SY_EESZ_S10_S11_S12_S16_S17_S18_S1B_S1C_jS1D_jS1E_S1E_jjS1G_bEUljE0_EEESZ_S10_S11_S18_S1C_S1E_T6_T7_T9_mT8_S1G_bDpT10_ENKUlT_T0_E_clISt17integral_constantIbLb1EES1T_IbLb0EEEEDaS1P_S1Q_EUlS1P_E_NS1_11comp_targetILNS1_3genE9ELNS1_11target_archE1100ELNS1_3gpuE3ELNS1_3repE0EEENS1_30default_config_static_selectorELNS0_4arch9wavefront6targetE1EEEvS12_
; %bb.0:
	.section	.rodata,"a",@progbits
	.p2align	6, 0x0
	.amdhsa_kernel _ZN7rocprim17ROCPRIM_400000_NS6detail17trampoline_kernelINS0_13select_configILj256ELj13ELNS0_17block_load_methodE3ELS4_3ELS4_3ELNS0_20block_scan_algorithmE0ELj4294967295EEENS1_25partition_config_selectorILNS1_17partition_subalgoE4EjNS0_10empty_typeEbEEZZNS1_14partition_implILS8_4ELb0ES6_15HIP_vector_typeIjLj2EENS0_17counting_iteratorIjlEEPS9_SG_NS0_5tupleIJPjSI_NS0_16reverse_iteratorISI_EEEEENSH_IJSG_SG_SG_EEES9_SI_JZNS1_25segmented_radix_sort_implINS0_14default_configELb0EPKiPiPKlPlN2at6native12_GLOBAL__N_18offset_tEEE10hipError_tPvRmT1_PNSt15iterator_traitsIS12_E10value_typeET2_T3_PNS13_IS18_E10value_typeET4_jRbjT5_S1E_jjP12ihipStream_tbEUljE_ZNSN_ISO_Lb0ESQ_SR_ST_SU_SY_EESZ_S10_S11_S12_S16_S17_S18_S1B_S1C_jS1D_jS1E_S1E_jjS1G_bEUljE0_EEESZ_S10_S11_S18_S1C_S1E_T6_T7_T9_mT8_S1G_bDpT10_ENKUlT_T0_E_clISt17integral_constantIbLb1EES1T_IbLb0EEEEDaS1P_S1Q_EUlS1P_E_NS1_11comp_targetILNS1_3genE9ELNS1_11target_archE1100ELNS1_3gpuE3ELNS1_3repE0EEENS1_30default_config_static_selectorELNS0_4arch9wavefront6targetE1EEEvS12_
		.amdhsa_group_segment_fixed_size 0
		.amdhsa_private_segment_fixed_size 0
		.amdhsa_kernarg_size 176
		.amdhsa_user_sgpr_count 6
		.amdhsa_user_sgpr_private_segment_buffer 1
		.amdhsa_user_sgpr_dispatch_ptr 0
		.amdhsa_user_sgpr_queue_ptr 0
		.amdhsa_user_sgpr_kernarg_segment_ptr 1
		.amdhsa_user_sgpr_dispatch_id 0
		.amdhsa_user_sgpr_flat_scratch_init 0
		.amdhsa_user_sgpr_kernarg_preload_length 0
		.amdhsa_user_sgpr_kernarg_preload_offset 0
		.amdhsa_user_sgpr_private_segment_size 0
		.amdhsa_uses_dynamic_stack 0
		.amdhsa_system_sgpr_private_segment_wavefront_offset 0
		.amdhsa_system_sgpr_workgroup_id_x 1
		.amdhsa_system_sgpr_workgroup_id_y 0
		.amdhsa_system_sgpr_workgroup_id_z 0
		.amdhsa_system_sgpr_workgroup_info 0
		.amdhsa_system_vgpr_workitem_id 0
		.amdhsa_next_free_vgpr 1
		.amdhsa_next_free_sgpr 0
		.amdhsa_accum_offset 4
		.amdhsa_reserve_vcc 0
		.amdhsa_reserve_flat_scratch 0
		.amdhsa_float_round_mode_32 0
		.amdhsa_float_round_mode_16_64 0
		.amdhsa_float_denorm_mode_32 3
		.amdhsa_float_denorm_mode_16_64 3
		.amdhsa_dx10_clamp 1
		.amdhsa_ieee_mode 1
		.amdhsa_fp16_overflow 0
		.amdhsa_tg_split 0
		.amdhsa_exception_fp_ieee_invalid_op 0
		.amdhsa_exception_fp_denorm_src 0
		.amdhsa_exception_fp_ieee_div_zero 0
		.amdhsa_exception_fp_ieee_overflow 0
		.amdhsa_exception_fp_ieee_underflow 0
		.amdhsa_exception_fp_ieee_inexact 0
		.amdhsa_exception_int_div_zero 0
	.end_amdhsa_kernel
	.section	.text._ZN7rocprim17ROCPRIM_400000_NS6detail17trampoline_kernelINS0_13select_configILj256ELj13ELNS0_17block_load_methodE3ELS4_3ELS4_3ELNS0_20block_scan_algorithmE0ELj4294967295EEENS1_25partition_config_selectorILNS1_17partition_subalgoE4EjNS0_10empty_typeEbEEZZNS1_14partition_implILS8_4ELb0ES6_15HIP_vector_typeIjLj2EENS0_17counting_iteratorIjlEEPS9_SG_NS0_5tupleIJPjSI_NS0_16reverse_iteratorISI_EEEEENSH_IJSG_SG_SG_EEES9_SI_JZNS1_25segmented_radix_sort_implINS0_14default_configELb0EPKiPiPKlPlN2at6native12_GLOBAL__N_18offset_tEEE10hipError_tPvRmT1_PNSt15iterator_traitsIS12_E10value_typeET2_T3_PNS13_IS18_E10value_typeET4_jRbjT5_S1E_jjP12ihipStream_tbEUljE_ZNSN_ISO_Lb0ESQ_SR_ST_SU_SY_EESZ_S10_S11_S12_S16_S17_S18_S1B_S1C_jS1D_jS1E_S1E_jjS1G_bEUljE0_EEESZ_S10_S11_S18_S1C_S1E_T6_T7_T9_mT8_S1G_bDpT10_ENKUlT_T0_E_clISt17integral_constantIbLb1EES1T_IbLb0EEEEDaS1P_S1Q_EUlS1P_E_NS1_11comp_targetILNS1_3genE9ELNS1_11target_archE1100ELNS1_3gpuE3ELNS1_3repE0EEENS1_30default_config_static_selectorELNS0_4arch9wavefront6targetE1EEEvS12_,"axG",@progbits,_ZN7rocprim17ROCPRIM_400000_NS6detail17trampoline_kernelINS0_13select_configILj256ELj13ELNS0_17block_load_methodE3ELS4_3ELS4_3ELNS0_20block_scan_algorithmE0ELj4294967295EEENS1_25partition_config_selectorILNS1_17partition_subalgoE4EjNS0_10empty_typeEbEEZZNS1_14partition_implILS8_4ELb0ES6_15HIP_vector_typeIjLj2EENS0_17counting_iteratorIjlEEPS9_SG_NS0_5tupleIJPjSI_NS0_16reverse_iteratorISI_EEEEENSH_IJSG_SG_SG_EEES9_SI_JZNS1_25segmented_radix_sort_implINS0_14default_configELb0EPKiPiPKlPlN2at6native12_GLOBAL__N_18offset_tEEE10hipError_tPvRmT1_PNSt15iterator_traitsIS12_E10value_typeET2_T3_PNS13_IS18_E10value_typeET4_jRbjT5_S1E_jjP12ihipStream_tbEUljE_ZNSN_ISO_Lb0ESQ_SR_ST_SU_SY_EESZ_S10_S11_S12_S16_S17_S18_S1B_S1C_jS1D_jS1E_S1E_jjS1G_bEUljE0_EEESZ_S10_S11_S18_S1C_S1E_T6_T7_T9_mT8_S1G_bDpT10_ENKUlT_T0_E_clISt17integral_constantIbLb1EES1T_IbLb0EEEEDaS1P_S1Q_EUlS1P_E_NS1_11comp_targetILNS1_3genE9ELNS1_11target_archE1100ELNS1_3gpuE3ELNS1_3repE0EEENS1_30default_config_static_selectorELNS0_4arch9wavefront6targetE1EEEvS12_,comdat
.Lfunc_end558:
	.size	_ZN7rocprim17ROCPRIM_400000_NS6detail17trampoline_kernelINS0_13select_configILj256ELj13ELNS0_17block_load_methodE3ELS4_3ELS4_3ELNS0_20block_scan_algorithmE0ELj4294967295EEENS1_25partition_config_selectorILNS1_17partition_subalgoE4EjNS0_10empty_typeEbEEZZNS1_14partition_implILS8_4ELb0ES6_15HIP_vector_typeIjLj2EENS0_17counting_iteratorIjlEEPS9_SG_NS0_5tupleIJPjSI_NS0_16reverse_iteratorISI_EEEEENSH_IJSG_SG_SG_EEES9_SI_JZNS1_25segmented_radix_sort_implINS0_14default_configELb0EPKiPiPKlPlN2at6native12_GLOBAL__N_18offset_tEEE10hipError_tPvRmT1_PNSt15iterator_traitsIS12_E10value_typeET2_T3_PNS13_IS18_E10value_typeET4_jRbjT5_S1E_jjP12ihipStream_tbEUljE_ZNSN_ISO_Lb0ESQ_SR_ST_SU_SY_EESZ_S10_S11_S12_S16_S17_S18_S1B_S1C_jS1D_jS1E_S1E_jjS1G_bEUljE0_EEESZ_S10_S11_S18_S1C_S1E_T6_T7_T9_mT8_S1G_bDpT10_ENKUlT_T0_E_clISt17integral_constantIbLb1EES1T_IbLb0EEEEDaS1P_S1Q_EUlS1P_E_NS1_11comp_targetILNS1_3genE9ELNS1_11target_archE1100ELNS1_3gpuE3ELNS1_3repE0EEENS1_30default_config_static_selectorELNS0_4arch9wavefront6targetE1EEEvS12_, .Lfunc_end558-_ZN7rocprim17ROCPRIM_400000_NS6detail17trampoline_kernelINS0_13select_configILj256ELj13ELNS0_17block_load_methodE3ELS4_3ELS4_3ELNS0_20block_scan_algorithmE0ELj4294967295EEENS1_25partition_config_selectorILNS1_17partition_subalgoE4EjNS0_10empty_typeEbEEZZNS1_14partition_implILS8_4ELb0ES6_15HIP_vector_typeIjLj2EENS0_17counting_iteratorIjlEEPS9_SG_NS0_5tupleIJPjSI_NS0_16reverse_iteratorISI_EEEEENSH_IJSG_SG_SG_EEES9_SI_JZNS1_25segmented_radix_sort_implINS0_14default_configELb0EPKiPiPKlPlN2at6native12_GLOBAL__N_18offset_tEEE10hipError_tPvRmT1_PNSt15iterator_traitsIS12_E10value_typeET2_T3_PNS13_IS18_E10value_typeET4_jRbjT5_S1E_jjP12ihipStream_tbEUljE_ZNSN_ISO_Lb0ESQ_SR_ST_SU_SY_EESZ_S10_S11_S12_S16_S17_S18_S1B_S1C_jS1D_jS1E_S1E_jjS1G_bEUljE0_EEESZ_S10_S11_S18_S1C_S1E_T6_T7_T9_mT8_S1G_bDpT10_ENKUlT_T0_E_clISt17integral_constantIbLb1EES1T_IbLb0EEEEDaS1P_S1Q_EUlS1P_E_NS1_11comp_targetILNS1_3genE9ELNS1_11target_archE1100ELNS1_3gpuE3ELNS1_3repE0EEENS1_30default_config_static_selectorELNS0_4arch9wavefront6targetE1EEEvS12_
                                        ; -- End function
	.section	.AMDGPU.csdata,"",@progbits
; Kernel info:
; codeLenInByte = 0
; NumSgprs: 4
; NumVgprs: 0
; NumAgprs: 0
; TotalNumVgprs: 0
; ScratchSize: 0
; MemoryBound: 0
; FloatMode: 240
; IeeeMode: 1
; LDSByteSize: 0 bytes/workgroup (compile time only)
; SGPRBlocks: 0
; VGPRBlocks: 0
; NumSGPRsForWavesPerEU: 4
; NumVGPRsForWavesPerEU: 1
; AccumOffset: 4
; Occupancy: 8
; WaveLimiterHint : 0
; COMPUTE_PGM_RSRC2:SCRATCH_EN: 0
; COMPUTE_PGM_RSRC2:USER_SGPR: 6
; COMPUTE_PGM_RSRC2:TRAP_HANDLER: 0
; COMPUTE_PGM_RSRC2:TGID_X_EN: 1
; COMPUTE_PGM_RSRC2:TGID_Y_EN: 0
; COMPUTE_PGM_RSRC2:TGID_Z_EN: 0
; COMPUTE_PGM_RSRC2:TIDIG_COMP_CNT: 0
; COMPUTE_PGM_RSRC3_GFX90A:ACCUM_OFFSET: 0
; COMPUTE_PGM_RSRC3_GFX90A:TG_SPLIT: 0
	.section	.text._ZN7rocprim17ROCPRIM_400000_NS6detail17trampoline_kernelINS0_13select_configILj256ELj13ELNS0_17block_load_methodE3ELS4_3ELS4_3ELNS0_20block_scan_algorithmE0ELj4294967295EEENS1_25partition_config_selectorILNS1_17partition_subalgoE4EjNS0_10empty_typeEbEEZZNS1_14partition_implILS8_4ELb0ES6_15HIP_vector_typeIjLj2EENS0_17counting_iteratorIjlEEPS9_SG_NS0_5tupleIJPjSI_NS0_16reverse_iteratorISI_EEEEENSH_IJSG_SG_SG_EEES9_SI_JZNS1_25segmented_radix_sort_implINS0_14default_configELb0EPKiPiPKlPlN2at6native12_GLOBAL__N_18offset_tEEE10hipError_tPvRmT1_PNSt15iterator_traitsIS12_E10value_typeET2_T3_PNS13_IS18_E10value_typeET4_jRbjT5_S1E_jjP12ihipStream_tbEUljE_ZNSN_ISO_Lb0ESQ_SR_ST_SU_SY_EESZ_S10_S11_S12_S16_S17_S18_S1B_S1C_jS1D_jS1E_S1E_jjS1G_bEUljE0_EEESZ_S10_S11_S18_S1C_S1E_T6_T7_T9_mT8_S1G_bDpT10_ENKUlT_T0_E_clISt17integral_constantIbLb1EES1T_IbLb0EEEEDaS1P_S1Q_EUlS1P_E_NS1_11comp_targetILNS1_3genE8ELNS1_11target_archE1030ELNS1_3gpuE2ELNS1_3repE0EEENS1_30default_config_static_selectorELNS0_4arch9wavefront6targetE1EEEvS12_,"axG",@progbits,_ZN7rocprim17ROCPRIM_400000_NS6detail17trampoline_kernelINS0_13select_configILj256ELj13ELNS0_17block_load_methodE3ELS4_3ELS4_3ELNS0_20block_scan_algorithmE0ELj4294967295EEENS1_25partition_config_selectorILNS1_17partition_subalgoE4EjNS0_10empty_typeEbEEZZNS1_14partition_implILS8_4ELb0ES6_15HIP_vector_typeIjLj2EENS0_17counting_iteratorIjlEEPS9_SG_NS0_5tupleIJPjSI_NS0_16reverse_iteratorISI_EEEEENSH_IJSG_SG_SG_EEES9_SI_JZNS1_25segmented_radix_sort_implINS0_14default_configELb0EPKiPiPKlPlN2at6native12_GLOBAL__N_18offset_tEEE10hipError_tPvRmT1_PNSt15iterator_traitsIS12_E10value_typeET2_T3_PNS13_IS18_E10value_typeET4_jRbjT5_S1E_jjP12ihipStream_tbEUljE_ZNSN_ISO_Lb0ESQ_SR_ST_SU_SY_EESZ_S10_S11_S12_S16_S17_S18_S1B_S1C_jS1D_jS1E_S1E_jjS1G_bEUljE0_EEESZ_S10_S11_S18_S1C_S1E_T6_T7_T9_mT8_S1G_bDpT10_ENKUlT_T0_E_clISt17integral_constantIbLb1EES1T_IbLb0EEEEDaS1P_S1Q_EUlS1P_E_NS1_11comp_targetILNS1_3genE8ELNS1_11target_archE1030ELNS1_3gpuE2ELNS1_3repE0EEENS1_30default_config_static_selectorELNS0_4arch9wavefront6targetE1EEEvS12_,comdat
	.globl	_ZN7rocprim17ROCPRIM_400000_NS6detail17trampoline_kernelINS0_13select_configILj256ELj13ELNS0_17block_load_methodE3ELS4_3ELS4_3ELNS0_20block_scan_algorithmE0ELj4294967295EEENS1_25partition_config_selectorILNS1_17partition_subalgoE4EjNS0_10empty_typeEbEEZZNS1_14partition_implILS8_4ELb0ES6_15HIP_vector_typeIjLj2EENS0_17counting_iteratorIjlEEPS9_SG_NS0_5tupleIJPjSI_NS0_16reverse_iteratorISI_EEEEENSH_IJSG_SG_SG_EEES9_SI_JZNS1_25segmented_radix_sort_implINS0_14default_configELb0EPKiPiPKlPlN2at6native12_GLOBAL__N_18offset_tEEE10hipError_tPvRmT1_PNSt15iterator_traitsIS12_E10value_typeET2_T3_PNS13_IS18_E10value_typeET4_jRbjT5_S1E_jjP12ihipStream_tbEUljE_ZNSN_ISO_Lb0ESQ_SR_ST_SU_SY_EESZ_S10_S11_S12_S16_S17_S18_S1B_S1C_jS1D_jS1E_S1E_jjS1G_bEUljE0_EEESZ_S10_S11_S18_S1C_S1E_T6_T7_T9_mT8_S1G_bDpT10_ENKUlT_T0_E_clISt17integral_constantIbLb1EES1T_IbLb0EEEEDaS1P_S1Q_EUlS1P_E_NS1_11comp_targetILNS1_3genE8ELNS1_11target_archE1030ELNS1_3gpuE2ELNS1_3repE0EEENS1_30default_config_static_selectorELNS0_4arch9wavefront6targetE1EEEvS12_ ; -- Begin function _ZN7rocprim17ROCPRIM_400000_NS6detail17trampoline_kernelINS0_13select_configILj256ELj13ELNS0_17block_load_methodE3ELS4_3ELS4_3ELNS0_20block_scan_algorithmE0ELj4294967295EEENS1_25partition_config_selectorILNS1_17partition_subalgoE4EjNS0_10empty_typeEbEEZZNS1_14partition_implILS8_4ELb0ES6_15HIP_vector_typeIjLj2EENS0_17counting_iteratorIjlEEPS9_SG_NS0_5tupleIJPjSI_NS0_16reverse_iteratorISI_EEEEENSH_IJSG_SG_SG_EEES9_SI_JZNS1_25segmented_radix_sort_implINS0_14default_configELb0EPKiPiPKlPlN2at6native12_GLOBAL__N_18offset_tEEE10hipError_tPvRmT1_PNSt15iterator_traitsIS12_E10value_typeET2_T3_PNS13_IS18_E10value_typeET4_jRbjT5_S1E_jjP12ihipStream_tbEUljE_ZNSN_ISO_Lb0ESQ_SR_ST_SU_SY_EESZ_S10_S11_S12_S16_S17_S18_S1B_S1C_jS1D_jS1E_S1E_jjS1G_bEUljE0_EEESZ_S10_S11_S18_S1C_S1E_T6_T7_T9_mT8_S1G_bDpT10_ENKUlT_T0_E_clISt17integral_constantIbLb1EES1T_IbLb0EEEEDaS1P_S1Q_EUlS1P_E_NS1_11comp_targetILNS1_3genE8ELNS1_11target_archE1030ELNS1_3gpuE2ELNS1_3repE0EEENS1_30default_config_static_selectorELNS0_4arch9wavefront6targetE1EEEvS12_
	.p2align	8
	.type	_ZN7rocprim17ROCPRIM_400000_NS6detail17trampoline_kernelINS0_13select_configILj256ELj13ELNS0_17block_load_methodE3ELS4_3ELS4_3ELNS0_20block_scan_algorithmE0ELj4294967295EEENS1_25partition_config_selectorILNS1_17partition_subalgoE4EjNS0_10empty_typeEbEEZZNS1_14partition_implILS8_4ELb0ES6_15HIP_vector_typeIjLj2EENS0_17counting_iteratorIjlEEPS9_SG_NS0_5tupleIJPjSI_NS0_16reverse_iteratorISI_EEEEENSH_IJSG_SG_SG_EEES9_SI_JZNS1_25segmented_radix_sort_implINS0_14default_configELb0EPKiPiPKlPlN2at6native12_GLOBAL__N_18offset_tEEE10hipError_tPvRmT1_PNSt15iterator_traitsIS12_E10value_typeET2_T3_PNS13_IS18_E10value_typeET4_jRbjT5_S1E_jjP12ihipStream_tbEUljE_ZNSN_ISO_Lb0ESQ_SR_ST_SU_SY_EESZ_S10_S11_S12_S16_S17_S18_S1B_S1C_jS1D_jS1E_S1E_jjS1G_bEUljE0_EEESZ_S10_S11_S18_S1C_S1E_T6_T7_T9_mT8_S1G_bDpT10_ENKUlT_T0_E_clISt17integral_constantIbLb1EES1T_IbLb0EEEEDaS1P_S1Q_EUlS1P_E_NS1_11comp_targetILNS1_3genE8ELNS1_11target_archE1030ELNS1_3gpuE2ELNS1_3repE0EEENS1_30default_config_static_selectorELNS0_4arch9wavefront6targetE1EEEvS12_,@function
_ZN7rocprim17ROCPRIM_400000_NS6detail17trampoline_kernelINS0_13select_configILj256ELj13ELNS0_17block_load_methodE3ELS4_3ELS4_3ELNS0_20block_scan_algorithmE0ELj4294967295EEENS1_25partition_config_selectorILNS1_17partition_subalgoE4EjNS0_10empty_typeEbEEZZNS1_14partition_implILS8_4ELb0ES6_15HIP_vector_typeIjLj2EENS0_17counting_iteratorIjlEEPS9_SG_NS0_5tupleIJPjSI_NS0_16reverse_iteratorISI_EEEEENSH_IJSG_SG_SG_EEES9_SI_JZNS1_25segmented_radix_sort_implINS0_14default_configELb0EPKiPiPKlPlN2at6native12_GLOBAL__N_18offset_tEEE10hipError_tPvRmT1_PNSt15iterator_traitsIS12_E10value_typeET2_T3_PNS13_IS18_E10value_typeET4_jRbjT5_S1E_jjP12ihipStream_tbEUljE_ZNSN_ISO_Lb0ESQ_SR_ST_SU_SY_EESZ_S10_S11_S12_S16_S17_S18_S1B_S1C_jS1D_jS1E_S1E_jjS1G_bEUljE0_EEESZ_S10_S11_S18_S1C_S1E_T6_T7_T9_mT8_S1G_bDpT10_ENKUlT_T0_E_clISt17integral_constantIbLb1EES1T_IbLb0EEEEDaS1P_S1Q_EUlS1P_E_NS1_11comp_targetILNS1_3genE8ELNS1_11target_archE1030ELNS1_3gpuE2ELNS1_3repE0EEENS1_30default_config_static_selectorELNS0_4arch9wavefront6targetE1EEEvS12_: ; @_ZN7rocprim17ROCPRIM_400000_NS6detail17trampoline_kernelINS0_13select_configILj256ELj13ELNS0_17block_load_methodE3ELS4_3ELS4_3ELNS0_20block_scan_algorithmE0ELj4294967295EEENS1_25partition_config_selectorILNS1_17partition_subalgoE4EjNS0_10empty_typeEbEEZZNS1_14partition_implILS8_4ELb0ES6_15HIP_vector_typeIjLj2EENS0_17counting_iteratorIjlEEPS9_SG_NS0_5tupleIJPjSI_NS0_16reverse_iteratorISI_EEEEENSH_IJSG_SG_SG_EEES9_SI_JZNS1_25segmented_radix_sort_implINS0_14default_configELb0EPKiPiPKlPlN2at6native12_GLOBAL__N_18offset_tEEE10hipError_tPvRmT1_PNSt15iterator_traitsIS12_E10value_typeET2_T3_PNS13_IS18_E10value_typeET4_jRbjT5_S1E_jjP12ihipStream_tbEUljE_ZNSN_ISO_Lb0ESQ_SR_ST_SU_SY_EESZ_S10_S11_S12_S16_S17_S18_S1B_S1C_jS1D_jS1E_S1E_jjS1G_bEUljE0_EEESZ_S10_S11_S18_S1C_S1E_T6_T7_T9_mT8_S1G_bDpT10_ENKUlT_T0_E_clISt17integral_constantIbLb1EES1T_IbLb0EEEEDaS1P_S1Q_EUlS1P_E_NS1_11comp_targetILNS1_3genE8ELNS1_11target_archE1030ELNS1_3gpuE2ELNS1_3repE0EEENS1_30default_config_static_selectorELNS0_4arch9wavefront6targetE1EEEvS12_
; %bb.0:
	.section	.rodata,"a",@progbits
	.p2align	6, 0x0
	.amdhsa_kernel _ZN7rocprim17ROCPRIM_400000_NS6detail17trampoline_kernelINS0_13select_configILj256ELj13ELNS0_17block_load_methodE3ELS4_3ELS4_3ELNS0_20block_scan_algorithmE0ELj4294967295EEENS1_25partition_config_selectorILNS1_17partition_subalgoE4EjNS0_10empty_typeEbEEZZNS1_14partition_implILS8_4ELb0ES6_15HIP_vector_typeIjLj2EENS0_17counting_iteratorIjlEEPS9_SG_NS0_5tupleIJPjSI_NS0_16reverse_iteratorISI_EEEEENSH_IJSG_SG_SG_EEES9_SI_JZNS1_25segmented_radix_sort_implINS0_14default_configELb0EPKiPiPKlPlN2at6native12_GLOBAL__N_18offset_tEEE10hipError_tPvRmT1_PNSt15iterator_traitsIS12_E10value_typeET2_T3_PNS13_IS18_E10value_typeET4_jRbjT5_S1E_jjP12ihipStream_tbEUljE_ZNSN_ISO_Lb0ESQ_SR_ST_SU_SY_EESZ_S10_S11_S12_S16_S17_S18_S1B_S1C_jS1D_jS1E_S1E_jjS1G_bEUljE0_EEESZ_S10_S11_S18_S1C_S1E_T6_T7_T9_mT8_S1G_bDpT10_ENKUlT_T0_E_clISt17integral_constantIbLb1EES1T_IbLb0EEEEDaS1P_S1Q_EUlS1P_E_NS1_11comp_targetILNS1_3genE8ELNS1_11target_archE1030ELNS1_3gpuE2ELNS1_3repE0EEENS1_30default_config_static_selectorELNS0_4arch9wavefront6targetE1EEEvS12_
		.amdhsa_group_segment_fixed_size 0
		.amdhsa_private_segment_fixed_size 0
		.amdhsa_kernarg_size 176
		.amdhsa_user_sgpr_count 6
		.amdhsa_user_sgpr_private_segment_buffer 1
		.amdhsa_user_sgpr_dispatch_ptr 0
		.amdhsa_user_sgpr_queue_ptr 0
		.amdhsa_user_sgpr_kernarg_segment_ptr 1
		.amdhsa_user_sgpr_dispatch_id 0
		.amdhsa_user_sgpr_flat_scratch_init 0
		.amdhsa_user_sgpr_kernarg_preload_length 0
		.amdhsa_user_sgpr_kernarg_preload_offset 0
		.amdhsa_user_sgpr_private_segment_size 0
		.amdhsa_uses_dynamic_stack 0
		.amdhsa_system_sgpr_private_segment_wavefront_offset 0
		.amdhsa_system_sgpr_workgroup_id_x 1
		.amdhsa_system_sgpr_workgroup_id_y 0
		.amdhsa_system_sgpr_workgroup_id_z 0
		.amdhsa_system_sgpr_workgroup_info 0
		.amdhsa_system_vgpr_workitem_id 0
		.amdhsa_next_free_vgpr 1
		.amdhsa_next_free_sgpr 0
		.amdhsa_accum_offset 4
		.amdhsa_reserve_vcc 0
		.amdhsa_reserve_flat_scratch 0
		.amdhsa_float_round_mode_32 0
		.amdhsa_float_round_mode_16_64 0
		.amdhsa_float_denorm_mode_32 3
		.amdhsa_float_denorm_mode_16_64 3
		.amdhsa_dx10_clamp 1
		.amdhsa_ieee_mode 1
		.amdhsa_fp16_overflow 0
		.amdhsa_tg_split 0
		.amdhsa_exception_fp_ieee_invalid_op 0
		.amdhsa_exception_fp_denorm_src 0
		.amdhsa_exception_fp_ieee_div_zero 0
		.amdhsa_exception_fp_ieee_overflow 0
		.amdhsa_exception_fp_ieee_underflow 0
		.amdhsa_exception_fp_ieee_inexact 0
		.amdhsa_exception_int_div_zero 0
	.end_amdhsa_kernel
	.section	.text._ZN7rocprim17ROCPRIM_400000_NS6detail17trampoline_kernelINS0_13select_configILj256ELj13ELNS0_17block_load_methodE3ELS4_3ELS4_3ELNS0_20block_scan_algorithmE0ELj4294967295EEENS1_25partition_config_selectorILNS1_17partition_subalgoE4EjNS0_10empty_typeEbEEZZNS1_14partition_implILS8_4ELb0ES6_15HIP_vector_typeIjLj2EENS0_17counting_iteratorIjlEEPS9_SG_NS0_5tupleIJPjSI_NS0_16reverse_iteratorISI_EEEEENSH_IJSG_SG_SG_EEES9_SI_JZNS1_25segmented_radix_sort_implINS0_14default_configELb0EPKiPiPKlPlN2at6native12_GLOBAL__N_18offset_tEEE10hipError_tPvRmT1_PNSt15iterator_traitsIS12_E10value_typeET2_T3_PNS13_IS18_E10value_typeET4_jRbjT5_S1E_jjP12ihipStream_tbEUljE_ZNSN_ISO_Lb0ESQ_SR_ST_SU_SY_EESZ_S10_S11_S12_S16_S17_S18_S1B_S1C_jS1D_jS1E_S1E_jjS1G_bEUljE0_EEESZ_S10_S11_S18_S1C_S1E_T6_T7_T9_mT8_S1G_bDpT10_ENKUlT_T0_E_clISt17integral_constantIbLb1EES1T_IbLb0EEEEDaS1P_S1Q_EUlS1P_E_NS1_11comp_targetILNS1_3genE8ELNS1_11target_archE1030ELNS1_3gpuE2ELNS1_3repE0EEENS1_30default_config_static_selectorELNS0_4arch9wavefront6targetE1EEEvS12_,"axG",@progbits,_ZN7rocprim17ROCPRIM_400000_NS6detail17trampoline_kernelINS0_13select_configILj256ELj13ELNS0_17block_load_methodE3ELS4_3ELS4_3ELNS0_20block_scan_algorithmE0ELj4294967295EEENS1_25partition_config_selectorILNS1_17partition_subalgoE4EjNS0_10empty_typeEbEEZZNS1_14partition_implILS8_4ELb0ES6_15HIP_vector_typeIjLj2EENS0_17counting_iteratorIjlEEPS9_SG_NS0_5tupleIJPjSI_NS0_16reverse_iteratorISI_EEEEENSH_IJSG_SG_SG_EEES9_SI_JZNS1_25segmented_radix_sort_implINS0_14default_configELb0EPKiPiPKlPlN2at6native12_GLOBAL__N_18offset_tEEE10hipError_tPvRmT1_PNSt15iterator_traitsIS12_E10value_typeET2_T3_PNS13_IS18_E10value_typeET4_jRbjT5_S1E_jjP12ihipStream_tbEUljE_ZNSN_ISO_Lb0ESQ_SR_ST_SU_SY_EESZ_S10_S11_S12_S16_S17_S18_S1B_S1C_jS1D_jS1E_S1E_jjS1G_bEUljE0_EEESZ_S10_S11_S18_S1C_S1E_T6_T7_T9_mT8_S1G_bDpT10_ENKUlT_T0_E_clISt17integral_constantIbLb1EES1T_IbLb0EEEEDaS1P_S1Q_EUlS1P_E_NS1_11comp_targetILNS1_3genE8ELNS1_11target_archE1030ELNS1_3gpuE2ELNS1_3repE0EEENS1_30default_config_static_selectorELNS0_4arch9wavefront6targetE1EEEvS12_,comdat
.Lfunc_end559:
	.size	_ZN7rocprim17ROCPRIM_400000_NS6detail17trampoline_kernelINS0_13select_configILj256ELj13ELNS0_17block_load_methodE3ELS4_3ELS4_3ELNS0_20block_scan_algorithmE0ELj4294967295EEENS1_25partition_config_selectorILNS1_17partition_subalgoE4EjNS0_10empty_typeEbEEZZNS1_14partition_implILS8_4ELb0ES6_15HIP_vector_typeIjLj2EENS0_17counting_iteratorIjlEEPS9_SG_NS0_5tupleIJPjSI_NS0_16reverse_iteratorISI_EEEEENSH_IJSG_SG_SG_EEES9_SI_JZNS1_25segmented_radix_sort_implINS0_14default_configELb0EPKiPiPKlPlN2at6native12_GLOBAL__N_18offset_tEEE10hipError_tPvRmT1_PNSt15iterator_traitsIS12_E10value_typeET2_T3_PNS13_IS18_E10value_typeET4_jRbjT5_S1E_jjP12ihipStream_tbEUljE_ZNSN_ISO_Lb0ESQ_SR_ST_SU_SY_EESZ_S10_S11_S12_S16_S17_S18_S1B_S1C_jS1D_jS1E_S1E_jjS1G_bEUljE0_EEESZ_S10_S11_S18_S1C_S1E_T6_T7_T9_mT8_S1G_bDpT10_ENKUlT_T0_E_clISt17integral_constantIbLb1EES1T_IbLb0EEEEDaS1P_S1Q_EUlS1P_E_NS1_11comp_targetILNS1_3genE8ELNS1_11target_archE1030ELNS1_3gpuE2ELNS1_3repE0EEENS1_30default_config_static_selectorELNS0_4arch9wavefront6targetE1EEEvS12_, .Lfunc_end559-_ZN7rocprim17ROCPRIM_400000_NS6detail17trampoline_kernelINS0_13select_configILj256ELj13ELNS0_17block_load_methodE3ELS4_3ELS4_3ELNS0_20block_scan_algorithmE0ELj4294967295EEENS1_25partition_config_selectorILNS1_17partition_subalgoE4EjNS0_10empty_typeEbEEZZNS1_14partition_implILS8_4ELb0ES6_15HIP_vector_typeIjLj2EENS0_17counting_iteratorIjlEEPS9_SG_NS0_5tupleIJPjSI_NS0_16reverse_iteratorISI_EEEEENSH_IJSG_SG_SG_EEES9_SI_JZNS1_25segmented_radix_sort_implINS0_14default_configELb0EPKiPiPKlPlN2at6native12_GLOBAL__N_18offset_tEEE10hipError_tPvRmT1_PNSt15iterator_traitsIS12_E10value_typeET2_T3_PNS13_IS18_E10value_typeET4_jRbjT5_S1E_jjP12ihipStream_tbEUljE_ZNSN_ISO_Lb0ESQ_SR_ST_SU_SY_EESZ_S10_S11_S12_S16_S17_S18_S1B_S1C_jS1D_jS1E_S1E_jjS1G_bEUljE0_EEESZ_S10_S11_S18_S1C_S1E_T6_T7_T9_mT8_S1G_bDpT10_ENKUlT_T0_E_clISt17integral_constantIbLb1EES1T_IbLb0EEEEDaS1P_S1Q_EUlS1P_E_NS1_11comp_targetILNS1_3genE8ELNS1_11target_archE1030ELNS1_3gpuE2ELNS1_3repE0EEENS1_30default_config_static_selectorELNS0_4arch9wavefront6targetE1EEEvS12_
                                        ; -- End function
	.section	.AMDGPU.csdata,"",@progbits
; Kernel info:
; codeLenInByte = 0
; NumSgprs: 4
; NumVgprs: 0
; NumAgprs: 0
; TotalNumVgprs: 0
; ScratchSize: 0
; MemoryBound: 0
; FloatMode: 240
; IeeeMode: 1
; LDSByteSize: 0 bytes/workgroup (compile time only)
; SGPRBlocks: 0
; VGPRBlocks: 0
; NumSGPRsForWavesPerEU: 4
; NumVGPRsForWavesPerEU: 1
; AccumOffset: 4
; Occupancy: 8
; WaveLimiterHint : 0
; COMPUTE_PGM_RSRC2:SCRATCH_EN: 0
; COMPUTE_PGM_RSRC2:USER_SGPR: 6
; COMPUTE_PGM_RSRC2:TRAP_HANDLER: 0
; COMPUTE_PGM_RSRC2:TGID_X_EN: 1
; COMPUTE_PGM_RSRC2:TGID_Y_EN: 0
; COMPUTE_PGM_RSRC2:TGID_Z_EN: 0
; COMPUTE_PGM_RSRC2:TIDIG_COMP_CNT: 0
; COMPUTE_PGM_RSRC3_GFX90A:ACCUM_OFFSET: 0
; COMPUTE_PGM_RSRC3_GFX90A:TG_SPLIT: 0
	.section	.text._ZN7rocprim17ROCPRIM_400000_NS6detail17trampoline_kernelINS0_13select_configILj256ELj13ELNS0_17block_load_methodE3ELS4_3ELS4_3ELNS0_20block_scan_algorithmE0ELj4294967295EEENS1_25partition_config_selectorILNS1_17partition_subalgoE4EjNS0_10empty_typeEbEEZZNS1_14partition_implILS8_4ELb0ES6_15HIP_vector_typeIjLj2EENS0_17counting_iteratorIjlEEPS9_SG_NS0_5tupleIJPjSI_NS0_16reverse_iteratorISI_EEEEENSH_IJSG_SG_SG_EEES9_SI_JZNS1_25segmented_radix_sort_implINS0_14default_configELb0EPKiPiPKlPlN2at6native12_GLOBAL__N_18offset_tEEE10hipError_tPvRmT1_PNSt15iterator_traitsIS12_E10value_typeET2_T3_PNS13_IS18_E10value_typeET4_jRbjT5_S1E_jjP12ihipStream_tbEUljE_ZNSN_ISO_Lb0ESQ_SR_ST_SU_SY_EESZ_S10_S11_S12_S16_S17_S18_S1B_S1C_jS1D_jS1E_S1E_jjS1G_bEUljE0_EEESZ_S10_S11_S18_S1C_S1E_T6_T7_T9_mT8_S1G_bDpT10_ENKUlT_T0_E_clISt17integral_constantIbLb0EES1T_IbLb1EEEEDaS1P_S1Q_EUlS1P_E_NS1_11comp_targetILNS1_3genE0ELNS1_11target_archE4294967295ELNS1_3gpuE0ELNS1_3repE0EEENS1_30default_config_static_selectorELNS0_4arch9wavefront6targetE1EEEvS12_,"axG",@progbits,_ZN7rocprim17ROCPRIM_400000_NS6detail17trampoline_kernelINS0_13select_configILj256ELj13ELNS0_17block_load_methodE3ELS4_3ELS4_3ELNS0_20block_scan_algorithmE0ELj4294967295EEENS1_25partition_config_selectorILNS1_17partition_subalgoE4EjNS0_10empty_typeEbEEZZNS1_14partition_implILS8_4ELb0ES6_15HIP_vector_typeIjLj2EENS0_17counting_iteratorIjlEEPS9_SG_NS0_5tupleIJPjSI_NS0_16reverse_iteratorISI_EEEEENSH_IJSG_SG_SG_EEES9_SI_JZNS1_25segmented_radix_sort_implINS0_14default_configELb0EPKiPiPKlPlN2at6native12_GLOBAL__N_18offset_tEEE10hipError_tPvRmT1_PNSt15iterator_traitsIS12_E10value_typeET2_T3_PNS13_IS18_E10value_typeET4_jRbjT5_S1E_jjP12ihipStream_tbEUljE_ZNSN_ISO_Lb0ESQ_SR_ST_SU_SY_EESZ_S10_S11_S12_S16_S17_S18_S1B_S1C_jS1D_jS1E_S1E_jjS1G_bEUljE0_EEESZ_S10_S11_S18_S1C_S1E_T6_T7_T9_mT8_S1G_bDpT10_ENKUlT_T0_E_clISt17integral_constantIbLb0EES1T_IbLb1EEEEDaS1P_S1Q_EUlS1P_E_NS1_11comp_targetILNS1_3genE0ELNS1_11target_archE4294967295ELNS1_3gpuE0ELNS1_3repE0EEENS1_30default_config_static_selectorELNS0_4arch9wavefront6targetE1EEEvS12_,comdat
	.globl	_ZN7rocprim17ROCPRIM_400000_NS6detail17trampoline_kernelINS0_13select_configILj256ELj13ELNS0_17block_load_methodE3ELS4_3ELS4_3ELNS0_20block_scan_algorithmE0ELj4294967295EEENS1_25partition_config_selectorILNS1_17partition_subalgoE4EjNS0_10empty_typeEbEEZZNS1_14partition_implILS8_4ELb0ES6_15HIP_vector_typeIjLj2EENS0_17counting_iteratorIjlEEPS9_SG_NS0_5tupleIJPjSI_NS0_16reverse_iteratorISI_EEEEENSH_IJSG_SG_SG_EEES9_SI_JZNS1_25segmented_radix_sort_implINS0_14default_configELb0EPKiPiPKlPlN2at6native12_GLOBAL__N_18offset_tEEE10hipError_tPvRmT1_PNSt15iterator_traitsIS12_E10value_typeET2_T3_PNS13_IS18_E10value_typeET4_jRbjT5_S1E_jjP12ihipStream_tbEUljE_ZNSN_ISO_Lb0ESQ_SR_ST_SU_SY_EESZ_S10_S11_S12_S16_S17_S18_S1B_S1C_jS1D_jS1E_S1E_jjS1G_bEUljE0_EEESZ_S10_S11_S18_S1C_S1E_T6_T7_T9_mT8_S1G_bDpT10_ENKUlT_T0_E_clISt17integral_constantIbLb0EES1T_IbLb1EEEEDaS1P_S1Q_EUlS1P_E_NS1_11comp_targetILNS1_3genE0ELNS1_11target_archE4294967295ELNS1_3gpuE0ELNS1_3repE0EEENS1_30default_config_static_selectorELNS0_4arch9wavefront6targetE1EEEvS12_ ; -- Begin function _ZN7rocprim17ROCPRIM_400000_NS6detail17trampoline_kernelINS0_13select_configILj256ELj13ELNS0_17block_load_methodE3ELS4_3ELS4_3ELNS0_20block_scan_algorithmE0ELj4294967295EEENS1_25partition_config_selectorILNS1_17partition_subalgoE4EjNS0_10empty_typeEbEEZZNS1_14partition_implILS8_4ELb0ES6_15HIP_vector_typeIjLj2EENS0_17counting_iteratorIjlEEPS9_SG_NS0_5tupleIJPjSI_NS0_16reverse_iteratorISI_EEEEENSH_IJSG_SG_SG_EEES9_SI_JZNS1_25segmented_radix_sort_implINS0_14default_configELb0EPKiPiPKlPlN2at6native12_GLOBAL__N_18offset_tEEE10hipError_tPvRmT1_PNSt15iterator_traitsIS12_E10value_typeET2_T3_PNS13_IS18_E10value_typeET4_jRbjT5_S1E_jjP12ihipStream_tbEUljE_ZNSN_ISO_Lb0ESQ_SR_ST_SU_SY_EESZ_S10_S11_S12_S16_S17_S18_S1B_S1C_jS1D_jS1E_S1E_jjS1G_bEUljE0_EEESZ_S10_S11_S18_S1C_S1E_T6_T7_T9_mT8_S1G_bDpT10_ENKUlT_T0_E_clISt17integral_constantIbLb0EES1T_IbLb1EEEEDaS1P_S1Q_EUlS1P_E_NS1_11comp_targetILNS1_3genE0ELNS1_11target_archE4294967295ELNS1_3gpuE0ELNS1_3repE0EEENS1_30default_config_static_selectorELNS0_4arch9wavefront6targetE1EEEvS12_
	.p2align	8
	.type	_ZN7rocprim17ROCPRIM_400000_NS6detail17trampoline_kernelINS0_13select_configILj256ELj13ELNS0_17block_load_methodE3ELS4_3ELS4_3ELNS0_20block_scan_algorithmE0ELj4294967295EEENS1_25partition_config_selectorILNS1_17partition_subalgoE4EjNS0_10empty_typeEbEEZZNS1_14partition_implILS8_4ELb0ES6_15HIP_vector_typeIjLj2EENS0_17counting_iteratorIjlEEPS9_SG_NS0_5tupleIJPjSI_NS0_16reverse_iteratorISI_EEEEENSH_IJSG_SG_SG_EEES9_SI_JZNS1_25segmented_radix_sort_implINS0_14default_configELb0EPKiPiPKlPlN2at6native12_GLOBAL__N_18offset_tEEE10hipError_tPvRmT1_PNSt15iterator_traitsIS12_E10value_typeET2_T3_PNS13_IS18_E10value_typeET4_jRbjT5_S1E_jjP12ihipStream_tbEUljE_ZNSN_ISO_Lb0ESQ_SR_ST_SU_SY_EESZ_S10_S11_S12_S16_S17_S18_S1B_S1C_jS1D_jS1E_S1E_jjS1G_bEUljE0_EEESZ_S10_S11_S18_S1C_S1E_T6_T7_T9_mT8_S1G_bDpT10_ENKUlT_T0_E_clISt17integral_constantIbLb0EES1T_IbLb1EEEEDaS1P_S1Q_EUlS1P_E_NS1_11comp_targetILNS1_3genE0ELNS1_11target_archE4294967295ELNS1_3gpuE0ELNS1_3repE0EEENS1_30default_config_static_selectorELNS0_4arch9wavefront6targetE1EEEvS12_,@function
_ZN7rocprim17ROCPRIM_400000_NS6detail17trampoline_kernelINS0_13select_configILj256ELj13ELNS0_17block_load_methodE3ELS4_3ELS4_3ELNS0_20block_scan_algorithmE0ELj4294967295EEENS1_25partition_config_selectorILNS1_17partition_subalgoE4EjNS0_10empty_typeEbEEZZNS1_14partition_implILS8_4ELb0ES6_15HIP_vector_typeIjLj2EENS0_17counting_iteratorIjlEEPS9_SG_NS0_5tupleIJPjSI_NS0_16reverse_iteratorISI_EEEEENSH_IJSG_SG_SG_EEES9_SI_JZNS1_25segmented_radix_sort_implINS0_14default_configELb0EPKiPiPKlPlN2at6native12_GLOBAL__N_18offset_tEEE10hipError_tPvRmT1_PNSt15iterator_traitsIS12_E10value_typeET2_T3_PNS13_IS18_E10value_typeET4_jRbjT5_S1E_jjP12ihipStream_tbEUljE_ZNSN_ISO_Lb0ESQ_SR_ST_SU_SY_EESZ_S10_S11_S12_S16_S17_S18_S1B_S1C_jS1D_jS1E_S1E_jjS1G_bEUljE0_EEESZ_S10_S11_S18_S1C_S1E_T6_T7_T9_mT8_S1G_bDpT10_ENKUlT_T0_E_clISt17integral_constantIbLb0EES1T_IbLb1EEEEDaS1P_S1Q_EUlS1P_E_NS1_11comp_targetILNS1_3genE0ELNS1_11target_archE4294967295ELNS1_3gpuE0ELNS1_3repE0EEENS1_30default_config_static_selectorELNS0_4arch9wavefront6targetE1EEEvS12_: ; @_ZN7rocprim17ROCPRIM_400000_NS6detail17trampoline_kernelINS0_13select_configILj256ELj13ELNS0_17block_load_methodE3ELS4_3ELS4_3ELNS0_20block_scan_algorithmE0ELj4294967295EEENS1_25partition_config_selectorILNS1_17partition_subalgoE4EjNS0_10empty_typeEbEEZZNS1_14partition_implILS8_4ELb0ES6_15HIP_vector_typeIjLj2EENS0_17counting_iteratorIjlEEPS9_SG_NS0_5tupleIJPjSI_NS0_16reverse_iteratorISI_EEEEENSH_IJSG_SG_SG_EEES9_SI_JZNS1_25segmented_radix_sort_implINS0_14default_configELb0EPKiPiPKlPlN2at6native12_GLOBAL__N_18offset_tEEE10hipError_tPvRmT1_PNSt15iterator_traitsIS12_E10value_typeET2_T3_PNS13_IS18_E10value_typeET4_jRbjT5_S1E_jjP12ihipStream_tbEUljE_ZNSN_ISO_Lb0ESQ_SR_ST_SU_SY_EESZ_S10_S11_S12_S16_S17_S18_S1B_S1C_jS1D_jS1E_S1E_jjS1G_bEUljE0_EEESZ_S10_S11_S18_S1C_S1E_T6_T7_T9_mT8_S1G_bDpT10_ENKUlT_T0_E_clISt17integral_constantIbLb0EES1T_IbLb1EEEEDaS1P_S1Q_EUlS1P_E_NS1_11comp_targetILNS1_3genE0ELNS1_11target_archE4294967295ELNS1_3gpuE0ELNS1_3repE0EEENS1_30default_config_static_selectorELNS0_4arch9wavefront6targetE1EEEvS12_
; %bb.0:
	.section	.rodata,"a",@progbits
	.p2align	6, 0x0
	.amdhsa_kernel _ZN7rocprim17ROCPRIM_400000_NS6detail17trampoline_kernelINS0_13select_configILj256ELj13ELNS0_17block_load_methodE3ELS4_3ELS4_3ELNS0_20block_scan_algorithmE0ELj4294967295EEENS1_25partition_config_selectorILNS1_17partition_subalgoE4EjNS0_10empty_typeEbEEZZNS1_14partition_implILS8_4ELb0ES6_15HIP_vector_typeIjLj2EENS0_17counting_iteratorIjlEEPS9_SG_NS0_5tupleIJPjSI_NS0_16reverse_iteratorISI_EEEEENSH_IJSG_SG_SG_EEES9_SI_JZNS1_25segmented_radix_sort_implINS0_14default_configELb0EPKiPiPKlPlN2at6native12_GLOBAL__N_18offset_tEEE10hipError_tPvRmT1_PNSt15iterator_traitsIS12_E10value_typeET2_T3_PNS13_IS18_E10value_typeET4_jRbjT5_S1E_jjP12ihipStream_tbEUljE_ZNSN_ISO_Lb0ESQ_SR_ST_SU_SY_EESZ_S10_S11_S12_S16_S17_S18_S1B_S1C_jS1D_jS1E_S1E_jjS1G_bEUljE0_EEESZ_S10_S11_S18_S1C_S1E_T6_T7_T9_mT8_S1G_bDpT10_ENKUlT_T0_E_clISt17integral_constantIbLb0EES1T_IbLb1EEEEDaS1P_S1Q_EUlS1P_E_NS1_11comp_targetILNS1_3genE0ELNS1_11target_archE4294967295ELNS1_3gpuE0ELNS1_3repE0EEENS1_30default_config_static_selectorELNS0_4arch9wavefront6targetE1EEEvS12_
		.amdhsa_group_segment_fixed_size 0
		.amdhsa_private_segment_fixed_size 0
		.amdhsa_kernarg_size 184
		.amdhsa_user_sgpr_count 6
		.amdhsa_user_sgpr_private_segment_buffer 1
		.amdhsa_user_sgpr_dispatch_ptr 0
		.amdhsa_user_sgpr_queue_ptr 0
		.amdhsa_user_sgpr_kernarg_segment_ptr 1
		.amdhsa_user_sgpr_dispatch_id 0
		.amdhsa_user_sgpr_flat_scratch_init 0
		.amdhsa_user_sgpr_kernarg_preload_length 0
		.amdhsa_user_sgpr_kernarg_preload_offset 0
		.amdhsa_user_sgpr_private_segment_size 0
		.amdhsa_uses_dynamic_stack 0
		.amdhsa_system_sgpr_private_segment_wavefront_offset 0
		.amdhsa_system_sgpr_workgroup_id_x 1
		.amdhsa_system_sgpr_workgroup_id_y 0
		.amdhsa_system_sgpr_workgroup_id_z 0
		.amdhsa_system_sgpr_workgroup_info 0
		.amdhsa_system_vgpr_workitem_id 0
		.amdhsa_next_free_vgpr 1
		.amdhsa_next_free_sgpr 0
		.amdhsa_accum_offset 4
		.amdhsa_reserve_vcc 0
		.amdhsa_reserve_flat_scratch 0
		.amdhsa_float_round_mode_32 0
		.amdhsa_float_round_mode_16_64 0
		.amdhsa_float_denorm_mode_32 3
		.amdhsa_float_denorm_mode_16_64 3
		.amdhsa_dx10_clamp 1
		.amdhsa_ieee_mode 1
		.amdhsa_fp16_overflow 0
		.amdhsa_tg_split 0
		.amdhsa_exception_fp_ieee_invalid_op 0
		.amdhsa_exception_fp_denorm_src 0
		.amdhsa_exception_fp_ieee_div_zero 0
		.amdhsa_exception_fp_ieee_overflow 0
		.amdhsa_exception_fp_ieee_underflow 0
		.amdhsa_exception_fp_ieee_inexact 0
		.amdhsa_exception_int_div_zero 0
	.end_amdhsa_kernel
	.section	.text._ZN7rocprim17ROCPRIM_400000_NS6detail17trampoline_kernelINS0_13select_configILj256ELj13ELNS0_17block_load_methodE3ELS4_3ELS4_3ELNS0_20block_scan_algorithmE0ELj4294967295EEENS1_25partition_config_selectorILNS1_17partition_subalgoE4EjNS0_10empty_typeEbEEZZNS1_14partition_implILS8_4ELb0ES6_15HIP_vector_typeIjLj2EENS0_17counting_iteratorIjlEEPS9_SG_NS0_5tupleIJPjSI_NS0_16reverse_iteratorISI_EEEEENSH_IJSG_SG_SG_EEES9_SI_JZNS1_25segmented_radix_sort_implINS0_14default_configELb0EPKiPiPKlPlN2at6native12_GLOBAL__N_18offset_tEEE10hipError_tPvRmT1_PNSt15iterator_traitsIS12_E10value_typeET2_T3_PNS13_IS18_E10value_typeET4_jRbjT5_S1E_jjP12ihipStream_tbEUljE_ZNSN_ISO_Lb0ESQ_SR_ST_SU_SY_EESZ_S10_S11_S12_S16_S17_S18_S1B_S1C_jS1D_jS1E_S1E_jjS1G_bEUljE0_EEESZ_S10_S11_S18_S1C_S1E_T6_T7_T9_mT8_S1G_bDpT10_ENKUlT_T0_E_clISt17integral_constantIbLb0EES1T_IbLb1EEEEDaS1P_S1Q_EUlS1P_E_NS1_11comp_targetILNS1_3genE0ELNS1_11target_archE4294967295ELNS1_3gpuE0ELNS1_3repE0EEENS1_30default_config_static_selectorELNS0_4arch9wavefront6targetE1EEEvS12_,"axG",@progbits,_ZN7rocprim17ROCPRIM_400000_NS6detail17trampoline_kernelINS0_13select_configILj256ELj13ELNS0_17block_load_methodE3ELS4_3ELS4_3ELNS0_20block_scan_algorithmE0ELj4294967295EEENS1_25partition_config_selectorILNS1_17partition_subalgoE4EjNS0_10empty_typeEbEEZZNS1_14partition_implILS8_4ELb0ES6_15HIP_vector_typeIjLj2EENS0_17counting_iteratorIjlEEPS9_SG_NS0_5tupleIJPjSI_NS0_16reverse_iteratorISI_EEEEENSH_IJSG_SG_SG_EEES9_SI_JZNS1_25segmented_radix_sort_implINS0_14default_configELb0EPKiPiPKlPlN2at6native12_GLOBAL__N_18offset_tEEE10hipError_tPvRmT1_PNSt15iterator_traitsIS12_E10value_typeET2_T3_PNS13_IS18_E10value_typeET4_jRbjT5_S1E_jjP12ihipStream_tbEUljE_ZNSN_ISO_Lb0ESQ_SR_ST_SU_SY_EESZ_S10_S11_S12_S16_S17_S18_S1B_S1C_jS1D_jS1E_S1E_jjS1G_bEUljE0_EEESZ_S10_S11_S18_S1C_S1E_T6_T7_T9_mT8_S1G_bDpT10_ENKUlT_T0_E_clISt17integral_constantIbLb0EES1T_IbLb1EEEEDaS1P_S1Q_EUlS1P_E_NS1_11comp_targetILNS1_3genE0ELNS1_11target_archE4294967295ELNS1_3gpuE0ELNS1_3repE0EEENS1_30default_config_static_selectorELNS0_4arch9wavefront6targetE1EEEvS12_,comdat
.Lfunc_end560:
	.size	_ZN7rocprim17ROCPRIM_400000_NS6detail17trampoline_kernelINS0_13select_configILj256ELj13ELNS0_17block_load_methodE3ELS4_3ELS4_3ELNS0_20block_scan_algorithmE0ELj4294967295EEENS1_25partition_config_selectorILNS1_17partition_subalgoE4EjNS0_10empty_typeEbEEZZNS1_14partition_implILS8_4ELb0ES6_15HIP_vector_typeIjLj2EENS0_17counting_iteratorIjlEEPS9_SG_NS0_5tupleIJPjSI_NS0_16reverse_iteratorISI_EEEEENSH_IJSG_SG_SG_EEES9_SI_JZNS1_25segmented_radix_sort_implINS0_14default_configELb0EPKiPiPKlPlN2at6native12_GLOBAL__N_18offset_tEEE10hipError_tPvRmT1_PNSt15iterator_traitsIS12_E10value_typeET2_T3_PNS13_IS18_E10value_typeET4_jRbjT5_S1E_jjP12ihipStream_tbEUljE_ZNSN_ISO_Lb0ESQ_SR_ST_SU_SY_EESZ_S10_S11_S12_S16_S17_S18_S1B_S1C_jS1D_jS1E_S1E_jjS1G_bEUljE0_EEESZ_S10_S11_S18_S1C_S1E_T6_T7_T9_mT8_S1G_bDpT10_ENKUlT_T0_E_clISt17integral_constantIbLb0EES1T_IbLb1EEEEDaS1P_S1Q_EUlS1P_E_NS1_11comp_targetILNS1_3genE0ELNS1_11target_archE4294967295ELNS1_3gpuE0ELNS1_3repE0EEENS1_30default_config_static_selectorELNS0_4arch9wavefront6targetE1EEEvS12_, .Lfunc_end560-_ZN7rocprim17ROCPRIM_400000_NS6detail17trampoline_kernelINS0_13select_configILj256ELj13ELNS0_17block_load_methodE3ELS4_3ELS4_3ELNS0_20block_scan_algorithmE0ELj4294967295EEENS1_25partition_config_selectorILNS1_17partition_subalgoE4EjNS0_10empty_typeEbEEZZNS1_14partition_implILS8_4ELb0ES6_15HIP_vector_typeIjLj2EENS0_17counting_iteratorIjlEEPS9_SG_NS0_5tupleIJPjSI_NS0_16reverse_iteratorISI_EEEEENSH_IJSG_SG_SG_EEES9_SI_JZNS1_25segmented_radix_sort_implINS0_14default_configELb0EPKiPiPKlPlN2at6native12_GLOBAL__N_18offset_tEEE10hipError_tPvRmT1_PNSt15iterator_traitsIS12_E10value_typeET2_T3_PNS13_IS18_E10value_typeET4_jRbjT5_S1E_jjP12ihipStream_tbEUljE_ZNSN_ISO_Lb0ESQ_SR_ST_SU_SY_EESZ_S10_S11_S12_S16_S17_S18_S1B_S1C_jS1D_jS1E_S1E_jjS1G_bEUljE0_EEESZ_S10_S11_S18_S1C_S1E_T6_T7_T9_mT8_S1G_bDpT10_ENKUlT_T0_E_clISt17integral_constantIbLb0EES1T_IbLb1EEEEDaS1P_S1Q_EUlS1P_E_NS1_11comp_targetILNS1_3genE0ELNS1_11target_archE4294967295ELNS1_3gpuE0ELNS1_3repE0EEENS1_30default_config_static_selectorELNS0_4arch9wavefront6targetE1EEEvS12_
                                        ; -- End function
	.section	.AMDGPU.csdata,"",@progbits
; Kernel info:
; codeLenInByte = 0
; NumSgprs: 4
; NumVgprs: 0
; NumAgprs: 0
; TotalNumVgprs: 0
; ScratchSize: 0
; MemoryBound: 0
; FloatMode: 240
; IeeeMode: 1
; LDSByteSize: 0 bytes/workgroup (compile time only)
; SGPRBlocks: 0
; VGPRBlocks: 0
; NumSGPRsForWavesPerEU: 4
; NumVGPRsForWavesPerEU: 1
; AccumOffset: 4
; Occupancy: 8
; WaveLimiterHint : 0
; COMPUTE_PGM_RSRC2:SCRATCH_EN: 0
; COMPUTE_PGM_RSRC2:USER_SGPR: 6
; COMPUTE_PGM_RSRC2:TRAP_HANDLER: 0
; COMPUTE_PGM_RSRC2:TGID_X_EN: 1
; COMPUTE_PGM_RSRC2:TGID_Y_EN: 0
; COMPUTE_PGM_RSRC2:TGID_Z_EN: 0
; COMPUTE_PGM_RSRC2:TIDIG_COMP_CNT: 0
; COMPUTE_PGM_RSRC3_GFX90A:ACCUM_OFFSET: 0
; COMPUTE_PGM_RSRC3_GFX90A:TG_SPLIT: 0
	.section	.text._ZN7rocprim17ROCPRIM_400000_NS6detail17trampoline_kernelINS0_13select_configILj256ELj13ELNS0_17block_load_methodE3ELS4_3ELS4_3ELNS0_20block_scan_algorithmE0ELj4294967295EEENS1_25partition_config_selectorILNS1_17partition_subalgoE4EjNS0_10empty_typeEbEEZZNS1_14partition_implILS8_4ELb0ES6_15HIP_vector_typeIjLj2EENS0_17counting_iteratorIjlEEPS9_SG_NS0_5tupleIJPjSI_NS0_16reverse_iteratorISI_EEEEENSH_IJSG_SG_SG_EEES9_SI_JZNS1_25segmented_radix_sort_implINS0_14default_configELb0EPKiPiPKlPlN2at6native12_GLOBAL__N_18offset_tEEE10hipError_tPvRmT1_PNSt15iterator_traitsIS12_E10value_typeET2_T3_PNS13_IS18_E10value_typeET4_jRbjT5_S1E_jjP12ihipStream_tbEUljE_ZNSN_ISO_Lb0ESQ_SR_ST_SU_SY_EESZ_S10_S11_S12_S16_S17_S18_S1B_S1C_jS1D_jS1E_S1E_jjS1G_bEUljE0_EEESZ_S10_S11_S18_S1C_S1E_T6_T7_T9_mT8_S1G_bDpT10_ENKUlT_T0_E_clISt17integral_constantIbLb0EES1T_IbLb1EEEEDaS1P_S1Q_EUlS1P_E_NS1_11comp_targetILNS1_3genE5ELNS1_11target_archE942ELNS1_3gpuE9ELNS1_3repE0EEENS1_30default_config_static_selectorELNS0_4arch9wavefront6targetE1EEEvS12_,"axG",@progbits,_ZN7rocprim17ROCPRIM_400000_NS6detail17trampoline_kernelINS0_13select_configILj256ELj13ELNS0_17block_load_methodE3ELS4_3ELS4_3ELNS0_20block_scan_algorithmE0ELj4294967295EEENS1_25partition_config_selectorILNS1_17partition_subalgoE4EjNS0_10empty_typeEbEEZZNS1_14partition_implILS8_4ELb0ES6_15HIP_vector_typeIjLj2EENS0_17counting_iteratorIjlEEPS9_SG_NS0_5tupleIJPjSI_NS0_16reverse_iteratorISI_EEEEENSH_IJSG_SG_SG_EEES9_SI_JZNS1_25segmented_radix_sort_implINS0_14default_configELb0EPKiPiPKlPlN2at6native12_GLOBAL__N_18offset_tEEE10hipError_tPvRmT1_PNSt15iterator_traitsIS12_E10value_typeET2_T3_PNS13_IS18_E10value_typeET4_jRbjT5_S1E_jjP12ihipStream_tbEUljE_ZNSN_ISO_Lb0ESQ_SR_ST_SU_SY_EESZ_S10_S11_S12_S16_S17_S18_S1B_S1C_jS1D_jS1E_S1E_jjS1G_bEUljE0_EEESZ_S10_S11_S18_S1C_S1E_T6_T7_T9_mT8_S1G_bDpT10_ENKUlT_T0_E_clISt17integral_constantIbLb0EES1T_IbLb1EEEEDaS1P_S1Q_EUlS1P_E_NS1_11comp_targetILNS1_3genE5ELNS1_11target_archE942ELNS1_3gpuE9ELNS1_3repE0EEENS1_30default_config_static_selectorELNS0_4arch9wavefront6targetE1EEEvS12_,comdat
	.globl	_ZN7rocprim17ROCPRIM_400000_NS6detail17trampoline_kernelINS0_13select_configILj256ELj13ELNS0_17block_load_methodE3ELS4_3ELS4_3ELNS0_20block_scan_algorithmE0ELj4294967295EEENS1_25partition_config_selectorILNS1_17partition_subalgoE4EjNS0_10empty_typeEbEEZZNS1_14partition_implILS8_4ELb0ES6_15HIP_vector_typeIjLj2EENS0_17counting_iteratorIjlEEPS9_SG_NS0_5tupleIJPjSI_NS0_16reverse_iteratorISI_EEEEENSH_IJSG_SG_SG_EEES9_SI_JZNS1_25segmented_radix_sort_implINS0_14default_configELb0EPKiPiPKlPlN2at6native12_GLOBAL__N_18offset_tEEE10hipError_tPvRmT1_PNSt15iterator_traitsIS12_E10value_typeET2_T3_PNS13_IS18_E10value_typeET4_jRbjT5_S1E_jjP12ihipStream_tbEUljE_ZNSN_ISO_Lb0ESQ_SR_ST_SU_SY_EESZ_S10_S11_S12_S16_S17_S18_S1B_S1C_jS1D_jS1E_S1E_jjS1G_bEUljE0_EEESZ_S10_S11_S18_S1C_S1E_T6_T7_T9_mT8_S1G_bDpT10_ENKUlT_T0_E_clISt17integral_constantIbLb0EES1T_IbLb1EEEEDaS1P_S1Q_EUlS1P_E_NS1_11comp_targetILNS1_3genE5ELNS1_11target_archE942ELNS1_3gpuE9ELNS1_3repE0EEENS1_30default_config_static_selectorELNS0_4arch9wavefront6targetE1EEEvS12_ ; -- Begin function _ZN7rocprim17ROCPRIM_400000_NS6detail17trampoline_kernelINS0_13select_configILj256ELj13ELNS0_17block_load_methodE3ELS4_3ELS4_3ELNS0_20block_scan_algorithmE0ELj4294967295EEENS1_25partition_config_selectorILNS1_17partition_subalgoE4EjNS0_10empty_typeEbEEZZNS1_14partition_implILS8_4ELb0ES6_15HIP_vector_typeIjLj2EENS0_17counting_iteratorIjlEEPS9_SG_NS0_5tupleIJPjSI_NS0_16reverse_iteratorISI_EEEEENSH_IJSG_SG_SG_EEES9_SI_JZNS1_25segmented_radix_sort_implINS0_14default_configELb0EPKiPiPKlPlN2at6native12_GLOBAL__N_18offset_tEEE10hipError_tPvRmT1_PNSt15iterator_traitsIS12_E10value_typeET2_T3_PNS13_IS18_E10value_typeET4_jRbjT5_S1E_jjP12ihipStream_tbEUljE_ZNSN_ISO_Lb0ESQ_SR_ST_SU_SY_EESZ_S10_S11_S12_S16_S17_S18_S1B_S1C_jS1D_jS1E_S1E_jjS1G_bEUljE0_EEESZ_S10_S11_S18_S1C_S1E_T6_T7_T9_mT8_S1G_bDpT10_ENKUlT_T0_E_clISt17integral_constantIbLb0EES1T_IbLb1EEEEDaS1P_S1Q_EUlS1P_E_NS1_11comp_targetILNS1_3genE5ELNS1_11target_archE942ELNS1_3gpuE9ELNS1_3repE0EEENS1_30default_config_static_selectorELNS0_4arch9wavefront6targetE1EEEvS12_
	.p2align	8
	.type	_ZN7rocprim17ROCPRIM_400000_NS6detail17trampoline_kernelINS0_13select_configILj256ELj13ELNS0_17block_load_methodE3ELS4_3ELS4_3ELNS0_20block_scan_algorithmE0ELj4294967295EEENS1_25partition_config_selectorILNS1_17partition_subalgoE4EjNS0_10empty_typeEbEEZZNS1_14partition_implILS8_4ELb0ES6_15HIP_vector_typeIjLj2EENS0_17counting_iteratorIjlEEPS9_SG_NS0_5tupleIJPjSI_NS0_16reverse_iteratorISI_EEEEENSH_IJSG_SG_SG_EEES9_SI_JZNS1_25segmented_radix_sort_implINS0_14default_configELb0EPKiPiPKlPlN2at6native12_GLOBAL__N_18offset_tEEE10hipError_tPvRmT1_PNSt15iterator_traitsIS12_E10value_typeET2_T3_PNS13_IS18_E10value_typeET4_jRbjT5_S1E_jjP12ihipStream_tbEUljE_ZNSN_ISO_Lb0ESQ_SR_ST_SU_SY_EESZ_S10_S11_S12_S16_S17_S18_S1B_S1C_jS1D_jS1E_S1E_jjS1G_bEUljE0_EEESZ_S10_S11_S18_S1C_S1E_T6_T7_T9_mT8_S1G_bDpT10_ENKUlT_T0_E_clISt17integral_constantIbLb0EES1T_IbLb1EEEEDaS1P_S1Q_EUlS1P_E_NS1_11comp_targetILNS1_3genE5ELNS1_11target_archE942ELNS1_3gpuE9ELNS1_3repE0EEENS1_30default_config_static_selectorELNS0_4arch9wavefront6targetE1EEEvS12_,@function
_ZN7rocprim17ROCPRIM_400000_NS6detail17trampoline_kernelINS0_13select_configILj256ELj13ELNS0_17block_load_methodE3ELS4_3ELS4_3ELNS0_20block_scan_algorithmE0ELj4294967295EEENS1_25partition_config_selectorILNS1_17partition_subalgoE4EjNS0_10empty_typeEbEEZZNS1_14partition_implILS8_4ELb0ES6_15HIP_vector_typeIjLj2EENS0_17counting_iteratorIjlEEPS9_SG_NS0_5tupleIJPjSI_NS0_16reverse_iteratorISI_EEEEENSH_IJSG_SG_SG_EEES9_SI_JZNS1_25segmented_radix_sort_implINS0_14default_configELb0EPKiPiPKlPlN2at6native12_GLOBAL__N_18offset_tEEE10hipError_tPvRmT1_PNSt15iterator_traitsIS12_E10value_typeET2_T3_PNS13_IS18_E10value_typeET4_jRbjT5_S1E_jjP12ihipStream_tbEUljE_ZNSN_ISO_Lb0ESQ_SR_ST_SU_SY_EESZ_S10_S11_S12_S16_S17_S18_S1B_S1C_jS1D_jS1E_S1E_jjS1G_bEUljE0_EEESZ_S10_S11_S18_S1C_S1E_T6_T7_T9_mT8_S1G_bDpT10_ENKUlT_T0_E_clISt17integral_constantIbLb0EES1T_IbLb1EEEEDaS1P_S1Q_EUlS1P_E_NS1_11comp_targetILNS1_3genE5ELNS1_11target_archE942ELNS1_3gpuE9ELNS1_3repE0EEENS1_30default_config_static_selectorELNS0_4arch9wavefront6targetE1EEEvS12_: ; @_ZN7rocprim17ROCPRIM_400000_NS6detail17trampoline_kernelINS0_13select_configILj256ELj13ELNS0_17block_load_methodE3ELS4_3ELS4_3ELNS0_20block_scan_algorithmE0ELj4294967295EEENS1_25partition_config_selectorILNS1_17partition_subalgoE4EjNS0_10empty_typeEbEEZZNS1_14partition_implILS8_4ELb0ES6_15HIP_vector_typeIjLj2EENS0_17counting_iteratorIjlEEPS9_SG_NS0_5tupleIJPjSI_NS0_16reverse_iteratorISI_EEEEENSH_IJSG_SG_SG_EEES9_SI_JZNS1_25segmented_radix_sort_implINS0_14default_configELb0EPKiPiPKlPlN2at6native12_GLOBAL__N_18offset_tEEE10hipError_tPvRmT1_PNSt15iterator_traitsIS12_E10value_typeET2_T3_PNS13_IS18_E10value_typeET4_jRbjT5_S1E_jjP12ihipStream_tbEUljE_ZNSN_ISO_Lb0ESQ_SR_ST_SU_SY_EESZ_S10_S11_S12_S16_S17_S18_S1B_S1C_jS1D_jS1E_S1E_jjS1G_bEUljE0_EEESZ_S10_S11_S18_S1C_S1E_T6_T7_T9_mT8_S1G_bDpT10_ENKUlT_T0_E_clISt17integral_constantIbLb0EES1T_IbLb1EEEEDaS1P_S1Q_EUlS1P_E_NS1_11comp_targetILNS1_3genE5ELNS1_11target_archE942ELNS1_3gpuE9ELNS1_3repE0EEENS1_30default_config_static_selectorELNS0_4arch9wavefront6targetE1EEEvS12_
; %bb.0:
	.section	.rodata,"a",@progbits
	.p2align	6, 0x0
	.amdhsa_kernel _ZN7rocprim17ROCPRIM_400000_NS6detail17trampoline_kernelINS0_13select_configILj256ELj13ELNS0_17block_load_methodE3ELS4_3ELS4_3ELNS0_20block_scan_algorithmE0ELj4294967295EEENS1_25partition_config_selectorILNS1_17partition_subalgoE4EjNS0_10empty_typeEbEEZZNS1_14partition_implILS8_4ELb0ES6_15HIP_vector_typeIjLj2EENS0_17counting_iteratorIjlEEPS9_SG_NS0_5tupleIJPjSI_NS0_16reverse_iteratorISI_EEEEENSH_IJSG_SG_SG_EEES9_SI_JZNS1_25segmented_radix_sort_implINS0_14default_configELb0EPKiPiPKlPlN2at6native12_GLOBAL__N_18offset_tEEE10hipError_tPvRmT1_PNSt15iterator_traitsIS12_E10value_typeET2_T3_PNS13_IS18_E10value_typeET4_jRbjT5_S1E_jjP12ihipStream_tbEUljE_ZNSN_ISO_Lb0ESQ_SR_ST_SU_SY_EESZ_S10_S11_S12_S16_S17_S18_S1B_S1C_jS1D_jS1E_S1E_jjS1G_bEUljE0_EEESZ_S10_S11_S18_S1C_S1E_T6_T7_T9_mT8_S1G_bDpT10_ENKUlT_T0_E_clISt17integral_constantIbLb0EES1T_IbLb1EEEEDaS1P_S1Q_EUlS1P_E_NS1_11comp_targetILNS1_3genE5ELNS1_11target_archE942ELNS1_3gpuE9ELNS1_3repE0EEENS1_30default_config_static_selectorELNS0_4arch9wavefront6targetE1EEEvS12_
		.amdhsa_group_segment_fixed_size 0
		.amdhsa_private_segment_fixed_size 0
		.amdhsa_kernarg_size 184
		.amdhsa_user_sgpr_count 6
		.amdhsa_user_sgpr_private_segment_buffer 1
		.amdhsa_user_sgpr_dispatch_ptr 0
		.amdhsa_user_sgpr_queue_ptr 0
		.amdhsa_user_sgpr_kernarg_segment_ptr 1
		.amdhsa_user_sgpr_dispatch_id 0
		.amdhsa_user_sgpr_flat_scratch_init 0
		.amdhsa_user_sgpr_kernarg_preload_length 0
		.amdhsa_user_sgpr_kernarg_preload_offset 0
		.amdhsa_user_sgpr_private_segment_size 0
		.amdhsa_uses_dynamic_stack 0
		.amdhsa_system_sgpr_private_segment_wavefront_offset 0
		.amdhsa_system_sgpr_workgroup_id_x 1
		.amdhsa_system_sgpr_workgroup_id_y 0
		.amdhsa_system_sgpr_workgroup_id_z 0
		.amdhsa_system_sgpr_workgroup_info 0
		.amdhsa_system_vgpr_workitem_id 0
		.amdhsa_next_free_vgpr 1
		.amdhsa_next_free_sgpr 0
		.amdhsa_accum_offset 4
		.amdhsa_reserve_vcc 0
		.amdhsa_reserve_flat_scratch 0
		.amdhsa_float_round_mode_32 0
		.amdhsa_float_round_mode_16_64 0
		.amdhsa_float_denorm_mode_32 3
		.amdhsa_float_denorm_mode_16_64 3
		.amdhsa_dx10_clamp 1
		.amdhsa_ieee_mode 1
		.amdhsa_fp16_overflow 0
		.amdhsa_tg_split 0
		.amdhsa_exception_fp_ieee_invalid_op 0
		.amdhsa_exception_fp_denorm_src 0
		.amdhsa_exception_fp_ieee_div_zero 0
		.amdhsa_exception_fp_ieee_overflow 0
		.amdhsa_exception_fp_ieee_underflow 0
		.amdhsa_exception_fp_ieee_inexact 0
		.amdhsa_exception_int_div_zero 0
	.end_amdhsa_kernel
	.section	.text._ZN7rocprim17ROCPRIM_400000_NS6detail17trampoline_kernelINS0_13select_configILj256ELj13ELNS0_17block_load_methodE3ELS4_3ELS4_3ELNS0_20block_scan_algorithmE0ELj4294967295EEENS1_25partition_config_selectorILNS1_17partition_subalgoE4EjNS0_10empty_typeEbEEZZNS1_14partition_implILS8_4ELb0ES6_15HIP_vector_typeIjLj2EENS0_17counting_iteratorIjlEEPS9_SG_NS0_5tupleIJPjSI_NS0_16reverse_iteratorISI_EEEEENSH_IJSG_SG_SG_EEES9_SI_JZNS1_25segmented_radix_sort_implINS0_14default_configELb0EPKiPiPKlPlN2at6native12_GLOBAL__N_18offset_tEEE10hipError_tPvRmT1_PNSt15iterator_traitsIS12_E10value_typeET2_T3_PNS13_IS18_E10value_typeET4_jRbjT5_S1E_jjP12ihipStream_tbEUljE_ZNSN_ISO_Lb0ESQ_SR_ST_SU_SY_EESZ_S10_S11_S12_S16_S17_S18_S1B_S1C_jS1D_jS1E_S1E_jjS1G_bEUljE0_EEESZ_S10_S11_S18_S1C_S1E_T6_T7_T9_mT8_S1G_bDpT10_ENKUlT_T0_E_clISt17integral_constantIbLb0EES1T_IbLb1EEEEDaS1P_S1Q_EUlS1P_E_NS1_11comp_targetILNS1_3genE5ELNS1_11target_archE942ELNS1_3gpuE9ELNS1_3repE0EEENS1_30default_config_static_selectorELNS0_4arch9wavefront6targetE1EEEvS12_,"axG",@progbits,_ZN7rocprim17ROCPRIM_400000_NS6detail17trampoline_kernelINS0_13select_configILj256ELj13ELNS0_17block_load_methodE3ELS4_3ELS4_3ELNS0_20block_scan_algorithmE0ELj4294967295EEENS1_25partition_config_selectorILNS1_17partition_subalgoE4EjNS0_10empty_typeEbEEZZNS1_14partition_implILS8_4ELb0ES6_15HIP_vector_typeIjLj2EENS0_17counting_iteratorIjlEEPS9_SG_NS0_5tupleIJPjSI_NS0_16reverse_iteratorISI_EEEEENSH_IJSG_SG_SG_EEES9_SI_JZNS1_25segmented_radix_sort_implINS0_14default_configELb0EPKiPiPKlPlN2at6native12_GLOBAL__N_18offset_tEEE10hipError_tPvRmT1_PNSt15iterator_traitsIS12_E10value_typeET2_T3_PNS13_IS18_E10value_typeET4_jRbjT5_S1E_jjP12ihipStream_tbEUljE_ZNSN_ISO_Lb0ESQ_SR_ST_SU_SY_EESZ_S10_S11_S12_S16_S17_S18_S1B_S1C_jS1D_jS1E_S1E_jjS1G_bEUljE0_EEESZ_S10_S11_S18_S1C_S1E_T6_T7_T9_mT8_S1G_bDpT10_ENKUlT_T0_E_clISt17integral_constantIbLb0EES1T_IbLb1EEEEDaS1P_S1Q_EUlS1P_E_NS1_11comp_targetILNS1_3genE5ELNS1_11target_archE942ELNS1_3gpuE9ELNS1_3repE0EEENS1_30default_config_static_selectorELNS0_4arch9wavefront6targetE1EEEvS12_,comdat
.Lfunc_end561:
	.size	_ZN7rocprim17ROCPRIM_400000_NS6detail17trampoline_kernelINS0_13select_configILj256ELj13ELNS0_17block_load_methodE3ELS4_3ELS4_3ELNS0_20block_scan_algorithmE0ELj4294967295EEENS1_25partition_config_selectorILNS1_17partition_subalgoE4EjNS0_10empty_typeEbEEZZNS1_14partition_implILS8_4ELb0ES6_15HIP_vector_typeIjLj2EENS0_17counting_iteratorIjlEEPS9_SG_NS0_5tupleIJPjSI_NS0_16reverse_iteratorISI_EEEEENSH_IJSG_SG_SG_EEES9_SI_JZNS1_25segmented_radix_sort_implINS0_14default_configELb0EPKiPiPKlPlN2at6native12_GLOBAL__N_18offset_tEEE10hipError_tPvRmT1_PNSt15iterator_traitsIS12_E10value_typeET2_T3_PNS13_IS18_E10value_typeET4_jRbjT5_S1E_jjP12ihipStream_tbEUljE_ZNSN_ISO_Lb0ESQ_SR_ST_SU_SY_EESZ_S10_S11_S12_S16_S17_S18_S1B_S1C_jS1D_jS1E_S1E_jjS1G_bEUljE0_EEESZ_S10_S11_S18_S1C_S1E_T6_T7_T9_mT8_S1G_bDpT10_ENKUlT_T0_E_clISt17integral_constantIbLb0EES1T_IbLb1EEEEDaS1P_S1Q_EUlS1P_E_NS1_11comp_targetILNS1_3genE5ELNS1_11target_archE942ELNS1_3gpuE9ELNS1_3repE0EEENS1_30default_config_static_selectorELNS0_4arch9wavefront6targetE1EEEvS12_, .Lfunc_end561-_ZN7rocprim17ROCPRIM_400000_NS6detail17trampoline_kernelINS0_13select_configILj256ELj13ELNS0_17block_load_methodE3ELS4_3ELS4_3ELNS0_20block_scan_algorithmE0ELj4294967295EEENS1_25partition_config_selectorILNS1_17partition_subalgoE4EjNS0_10empty_typeEbEEZZNS1_14partition_implILS8_4ELb0ES6_15HIP_vector_typeIjLj2EENS0_17counting_iteratorIjlEEPS9_SG_NS0_5tupleIJPjSI_NS0_16reverse_iteratorISI_EEEEENSH_IJSG_SG_SG_EEES9_SI_JZNS1_25segmented_radix_sort_implINS0_14default_configELb0EPKiPiPKlPlN2at6native12_GLOBAL__N_18offset_tEEE10hipError_tPvRmT1_PNSt15iterator_traitsIS12_E10value_typeET2_T3_PNS13_IS18_E10value_typeET4_jRbjT5_S1E_jjP12ihipStream_tbEUljE_ZNSN_ISO_Lb0ESQ_SR_ST_SU_SY_EESZ_S10_S11_S12_S16_S17_S18_S1B_S1C_jS1D_jS1E_S1E_jjS1G_bEUljE0_EEESZ_S10_S11_S18_S1C_S1E_T6_T7_T9_mT8_S1G_bDpT10_ENKUlT_T0_E_clISt17integral_constantIbLb0EES1T_IbLb1EEEEDaS1P_S1Q_EUlS1P_E_NS1_11comp_targetILNS1_3genE5ELNS1_11target_archE942ELNS1_3gpuE9ELNS1_3repE0EEENS1_30default_config_static_selectorELNS0_4arch9wavefront6targetE1EEEvS12_
                                        ; -- End function
	.section	.AMDGPU.csdata,"",@progbits
; Kernel info:
; codeLenInByte = 0
; NumSgprs: 4
; NumVgprs: 0
; NumAgprs: 0
; TotalNumVgprs: 0
; ScratchSize: 0
; MemoryBound: 0
; FloatMode: 240
; IeeeMode: 1
; LDSByteSize: 0 bytes/workgroup (compile time only)
; SGPRBlocks: 0
; VGPRBlocks: 0
; NumSGPRsForWavesPerEU: 4
; NumVGPRsForWavesPerEU: 1
; AccumOffset: 4
; Occupancy: 8
; WaveLimiterHint : 0
; COMPUTE_PGM_RSRC2:SCRATCH_EN: 0
; COMPUTE_PGM_RSRC2:USER_SGPR: 6
; COMPUTE_PGM_RSRC2:TRAP_HANDLER: 0
; COMPUTE_PGM_RSRC2:TGID_X_EN: 1
; COMPUTE_PGM_RSRC2:TGID_Y_EN: 0
; COMPUTE_PGM_RSRC2:TGID_Z_EN: 0
; COMPUTE_PGM_RSRC2:TIDIG_COMP_CNT: 0
; COMPUTE_PGM_RSRC3_GFX90A:ACCUM_OFFSET: 0
; COMPUTE_PGM_RSRC3_GFX90A:TG_SPLIT: 0
	.section	.text._ZN7rocprim17ROCPRIM_400000_NS6detail17trampoline_kernelINS0_13select_configILj256ELj13ELNS0_17block_load_methodE3ELS4_3ELS4_3ELNS0_20block_scan_algorithmE0ELj4294967295EEENS1_25partition_config_selectorILNS1_17partition_subalgoE4EjNS0_10empty_typeEbEEZZNS1_14partition_implILS8_4ELb0ES6_15HIP_vector_typeIjLj2EENS0_17counting_iteratorIjlEEPS9_SG_NS0_5tupleIJPjSI_NS0_16reverse_iteratorISI_EEEEENSH_IJSG_SG_SG_EEES9_SI_JZNS1_25segmented_radix_sort_implINS0_14default_configELb0EPKiPiPKlPlN2at6native12_GLOBAL__N_18offset_tEEE10hipError_tPvRmT1_PNSt15iterator_traitsIS12_E10value_typeET2_T3_PNS13_IS18_E10value_typeET4_jRbjT5_S1E_jjP12ihipStream_tbEUljE_ZNSN_ISO_Lb0ESQ_SR_ST_SU_SY_EESZ_S10_S11_S12_S16_S17_S18_S1B_S1C_jS1D_jS1E_S1E_jjS1G_bEUljE0_EEESZ_S10_S11_S18_S1C_S1E_T6_T7_T9_mT8_S1G_bDpT10_ENKUlT_T0_E_clISt17integral_constantIbLb0EES1T_IbLb1EEEEDaS1P_S1Q_EUlS1P_E_NS1_11comp_targetILNS1_3genE4ELNS1_11target_archE910ELNS1_3gpuE8ELNS1_3repE0EEENS1_30default_config_static_selectorELNS0_4arch9wavefront6targetE1EEEvS12_,"axG",@progbits,_ZN7rocprim17ROCPRIM_400000_NS6detail17trampoline_kernelINS0_13select_configILj256ELj13ELNS0_17block_load_methodE3ELS4_3ELS4_3ELNS0_20block_scan_algorithmE0ELj4294967295EEENS1_25partition_config_selectorILNS1_17partition_subalgoE4EjNS0_10empty_typeEbEEZZNS1_14partition_implILS8_4ELb0ES6_15HIP_vector_typeIjLj2EENS0_17counting_iteratorIjlEEPS9_SG_NS0_5tupleIJPjSI_NS0_16reverse_iteratorISI_EEEEENSH_IJSG_SG_SG_EEES9_SI_JZNS1_25segmented_radix_sort_implINS0_14default_configELb0EPKiPiPKlPlN2at6native12_GLOBAL__N_18offset_tEEE10hipError_tPvRmT1_PNSt15iterator_traitsIS12_E10value_typeET2_T3_PNS13_IS18_E10value_typeET4_jRbjT5_S1E_jjP12ihipStream_tbEUljE_ZNSN_ISO_Lb0ESQ_SR_ST_SU_SY_EESZ_S10_S11_S12_S16_S17_S18_S1B_S1C_jS1D_jS1E_S1E_jjS1G_bEUljE0_EEESZ_S10_S11_S18_S1C_S1E_T6_T7_T9_mT8_S1G_bDpT10_ENKUlT_T0_E_clISt17integral_constantIbLb0EES1T_IbLb1EEEEDaS1P_S1Q_EUlS1P_E_NS1_11comp_targetILNS1_3genE4ELNS1_11target_archE910ELNS1_3gpuE8ELNS1_3repE0EEENS1_30default_config_static_selectorELNS0_4arch9wavefront6targetE1EEEvS12_,comdat
	.globl	_ZN7rocprim17ROCPRIM_400000_NS6detail17trampoline_kernelINS0_13select_configILj256ELj13ELNS0_17block_load_methodE3ELS4_3ELS4_3ELNS0_20block_scan_algorithmE0ELj4294967295EEENS1_25partition_config_selectorILNS1_17partition_subalgoE4EjNS0_10empty_typeEbEEZZNS1_14partition_implILS8_4ELb0ES6_15HIP_vector_typeIjLj2EENS0_17counting_iteratorIjlEEPS9_SG_NS0_5tupleIJPjSI_NS0_16reverse_iteratorISI_EEEEENSH_IJSG_SG_SG_EEES9_SI_JZNS1_25segmented_radix_sort_implINS0_14default_configELb0EPKiPiPKlPlN2at6native12_GLOBAL__N_18offset_tEEE10hipError_tPvRmT1_PNSt15iterator_traitsIS12_E10value_typeET2_T3_PNS13_IS18_E10value_typeET4_jRbjT5_S1E_jjP12ihipStream_tbEUljE_ZNSN_ISO_Lb0ESQ_SR_ST_SU_SY_EESZ_S10_S11_S12_S16_S17_S18_S1B_S1C_jS1D_jS1E_S1E_jjS1G_bEUljE0_EEESZ_S10_S11_S18_S1C_S1E_T6_T7_T9_mT8_S1G_bDpT10_ENKUlT_T0_E_clISt17integral_constantIbLb0EES1T_IbLb1EEEEDaS1P_S1Q_EUlS1P_E_NS1_11comp_targetILNS1_3genE4ELNS1_11target_archE910ELNS1_3gpuE8ELNS1_3repE0EEENS1_30default_config_static_selectorELNS0_4arch9wavefront6targetE1EEEvS12_ ; -- Begin function _ZN7rocprim17ROCPRIM_400000_NS6detail17trampoline_kernelINS0_13select_configILj256ELj13ELNS0_17block_load_methodE3ELS4_3ELS4_3ELNS0_20block_scan_algorithmE0ELj4294967295EEENS1_25partition_config_selectorILNS1_17partition_subalgoE4EjNS0_10empty_typeEbEEZZNS1_14partition_implILS8_4ELb0ES6_15HIP_vector_typeIjLj2EENS0_17counting_iteratorIjlEEPS9_SG_NS0_5tupleIJPjSI_NS0_16reverse_iteratorISI_EEEEENSH_IJSG_SG_SG_EEES9_SI_JZNS1_25segmented_radix_sort_implINS0_14default_configELb0EPKiPiPKlPlN2at6native12_GLOBAL__N_18offset_tEEE10hipError_tPvRmT1_PNSt15iterator_traitsIS12_E10value_typeET2_T3_PNS13_IS18_E10value_typeET4_jRbjT5_S1E_jjP12ihipStream_tbEUljE_ZNSN_ISO_Lb0ESQ_SR_ST_SU_SY_EESZ_S10_S11_S12_S16_S17_S18_S1B_S1C_jS1D_jS1E_S1E_jjS1G_bEUljE0_EEESZ_S10_S11_S18_S1C_S1E_T6_T7_T9_mT8_S1G_bDpT10_ENKUlT_T0_E_clISt17integral_constantIbLb0EES1T_IbLb1EEEEDaS1P_S1Q_EUlS1P_E_NS1_11comp_targetILNS1_3genE4ELNS1_11target_archE910ELNS1_3gpuE8ELNS1_3repE0EEENS1_30default_config_static_selectorELNS0_4arch9wavefront6targetE1EEEvS12_
	.p2align	8
	.type	_ZN7rocprim17ROCPRIM_400000_NS6detail17trampoline_kernelINS0_13select_configILj256ELj13ELNS0_17block_load_methodE3ELS4_3ELS4_3ELNS0_20block_scan_algorithmE0ELj4294967295EEENS1_25partition_config_selectorILNS1_17partition_subalgoE4EjNS0_10empty_typeEbEEZZNS1_14partition_implILS8_4ELb0ES6_15HIP_vector_typeIjLj2EENS0_17counting_iteratorIjlEEPS9_SG_NS0_5tupleIJPjSI_NS0_16reverse_iteratorISI_EEEEENSH_IJSG_SG_SG_EEES9_SI_JZNS1_25segmented_radix_sort_implINS0_14default_configELb0EPKiPiPKlPlN2at6native12_GLOBAL__N_18offset_tEEE10hipError_tPvRmT1_PNSt15iterator_traitsIS12_E10value_typeET2_T3_PNS13_IS18_E10value_typeET4_jRbjT5_S1E_jjP12ihipStream_tbEUljE_ZNSN_ISO_Lb0ESQ_SR_ST_SU_SY_EESZ_S10_S11_S12_S16_S17_S18_S1B_S1C_jS1D_jS1E_S1E_jjS1G_bEUljE0_EEESZ_S10_S11_S18_S1C_S1E_T6_T7_T9_mT8_S1G_bDpT10_ENKUlT_T0_E_clISt17integral_constantIbLb0EES1T_IbLb1EEEEDaS1P_S1Q_EUlS1P_E_NS1_11comp_targetILNS1_3genE4ELNS1_11target_archE910ELNS1_3gpuE8ELNS1_3repE0EEENS1_30default_config_static_selectorELNS0_4arch9wavefront6targetE1EEEvS12_,@function
_ZN7rocprim17ROCPRIM_400000_NS6detail17trampoline_kernelINS0_13select_configILj256ELj13ELNS0_17block_load_methodE3ELS4_3ELS4_3ELNS0_20block_scan_algorithmE0ELj4294967295EEENS1_25partition_config_selectorILNS1_17partition_subalgoE4EjNS0_10empty_typeEbEEZZNS1_14partition_implILS8_4ELb0ES6_15HIP_vector_typeIjLj2EENS0_17counting_iteratorIjlEEPS9_SG_NS0_5tupleIJPjSI_NS0_16reverse_iteratorISI_EEEEENSH_IJSG_SG_SG_EEES9_SI_JZNS1_25segmented_radix_sort_implINS0_14default_configELb0EPKiPiPKlPlN2at6native12_GLOBAL__N_18offset_tEEE10hipError_tPvRmT1_PNSt15iterator_traitsIS12_E10value_typeET2_T3_PNS13_IS18_E10value_typeET4_jRbjT5_S1E_jjP12ihipStream_tbEUljE_ZNSN_ISO_Lb0ESQ_SR_ST_SU_SY_EESZ_S10_S11_S12_S16_S17_S18_S1B_S1C_jS1D_jS1E_S1E_jjS1G_bEUljE0_EEESZ_S10_S11_S18_S1C_S1E_T6_T7_T9_mT8_S1G_bDpT10_ENKUlT_T0_E_clISt17integral_constantIbLb0EES1T_IbLb1EEEEDaS1P_S1Q_EUlS1P_E_NS1_11comp_targetILNS1_3genE4ELNS1_11target_archE910ELNS1_3gpuE8ELNS1_3repE0EEENS1_30default_config_static_selectorELNS0_4arch9wavefront6targetE1EEEvS12_: ; @_ZN7rocprim17ROCPRIM_400000_NS6detail17trampoline_kernelINS0_13select_configILj256ELj13ELNS0_17block_load_methodE3ELS4_3ELS4_3ELNS0_20block_scan_algorithmE0ELj4294967295EEENS1_25partition_config_selectorILNS1_17partition_subalgoE4EjNS0_10empty_typeEbEEZZNS1_14partition_implILS8_4ELb0ES6_15HIP_vector_typeIjLj2EENS0_17counting_iteratorIjlEEPS9_SG_NS0_5tupleIJPjSI_NS0_16reverse_iteratorISI_EEEEENSH_IJSG_SG_SG_EEES9_SI_JZNS1_25segmented_radix_sort_implINS0_14default_configELb0EPKiPiPKlPlN2at6native12_GLOBAL__N_18offset_tEEE10hipError_tPvRmT1_PNSt15iterator_traitsIS12_E10value_typeET2_T3_PNS13_IS18_E10value_typeET4_jRbjT5_S1E_jjP12ihipStream_tbEUljE_ZNSN_ISO_Lb0ESQ_SR_ST_SU_SY_EESZ_S10_S11_S12_S16_S17_S18_S1B_S1C_jS1D_jS1E_S1E_jjS1G_bEUljE0_EEESZ_S10_S11_S18_S1C_S1E_T6_T7_T9_mT8_S1G_bDpT10_ENKUlT_T0_E_clISt17integral_constantIbLb0EES1T_IbLb1EEEEDaS1P_S1Q_EUlS1P_E_NS1_11comp_targetILNS1_3genE4ELNS1_11target_archE910ELNS1_3gpuE8ELNS1_3repE0EEENS1_30default_config_static_selectorELNS0_4arch9wavefront6targetE1EEEvS12_
; %bb.0:
	s_load_dwordx2 s[48:49], s[4:5], 0x10
	s_load_dwordx4 s[44:47], s[4:5], 0x28
	s_load_dwordx2 s[34:35], s[4:5], 0x38
	s_load_dwordx4 s[28:31], s[4:5], 0x58
	s_load_dwordx2 s[2:3], s[4:5], 0x68
	s_load_dwordx2 s[50:51], s[4:5], 0x78
	;; [unrolled: 1-line block ×3, first 2 shown]
	s_load_dwordx8 s[36:43], s[4:5], 0x90
	v_cmp_eq_u32_e64 s[0:1], 0, v0
	s_and_saveexec_b64 s[6:7], s[0:1]
	s_cbranch_execz .LBB562_4
; %bb.1:
	s_mov_b64 s[10:11], exec
	v_mbcnt_lo_u32_b32 v1, s10, 0
	v_mbcnt_hi_u32_b32 v1, s11, v1
	v_cmp_eq_u32_e32 vcc, 0, v1
                                        ; implicit-def: $vgpr2
	s_and_saveexec_b64 s[8:9], vcc
	s_cbranch_execz .LBB562_3
; %bb.2:
	s_load_dwordx2 s[12:13], s[4:5], 0x88
	s_bcnt1_i32_b64 s10, s[10:11]
	v_mov_b32_e32 v2, 0
	v_mov_b32_e32 v3, s10
	s_waitcnt lgkmcnt(0)
	global_atomic_add v2, v2, v3, s[12:13] glc
.LBB562_3:
	s_or_b64 exec, exec, s[8:9]
	s_waitcnt vmcnt(0)
	v_readfirstlane_b32 s8, v2
	v_add_u32_e32 v1, s8, v1
	v_mov_b32_e32 v2, 0
	ds_write_b32 v2, v1
.LBB562_4:
	s_or_b64 exec, exec, s[6:7]
	v_mov_b32_e32 v1, 0
	s_load_dword s7, s[4:5], 0x8
	s_load_dword s6, s[4:5], 0x80
	s_waitcnt lgkmcnt(0)
	s_barrier
	ds_read_b32 v8, v1
	s_waitcnt lgkmcnt(0)
	s_barrier
	global_load_dwordx4 v[2:5], v1, s[30:31]
	v_mov_b32_e32 v7, s3
	s_movk_i32 s3, 0xd00
	s_add_i32 s8, s7, s48
	v_mul_lo_u32 v34, v8, s3
	s_add_i32 s7, s6, -1
	s_mul_i32 s3, s6, 0xd00
	s_add_u32 s4, s48, s3
	v_readfirstlane_b32 s33, v8
	s_addc_u32 s5, s49, 0
	s_cmp_eq_u32 s33, s7
	v_mov_b32_e32 v6, s2
	s_cselect_b64 s[30:31], -1, 0
	s_cmp_lg_u32 s33, s7
	v_cmp_lt_u64_e32 vcc, s[4:5], v[6:7]
	s_cselect_b64 s[4:5], -1, 0
	s_or_b64 s[4:5], vcc, s[4:5]
	v_add_u32_e32 v1, s8, v34
	s_mov_b64 s[6:7], -1
	s_and_b64 vcc, exec, s[4:5]
	v_add_u32_e32 v1, v1, v0
	s_cbranch_vccz .LBB562_6
; %bb.5:
	v_add_u32_e32 v6, 0x100, v1
	v_lshlrev_b32_e32 v18, 2, v0
	v_add_u32_e32 v7, 0x200, v1
	v_add_u32_e32 v8, 0x300, v1
	;; [unrolled: 1-line block ×11, first 2 shown]
	ds_write2st64_b32 v18, v1, v6 offset1:4
	ds_write2st64_b32 v18, v7, v8 offset0:8 offset1:12
	ds_write2st64_b32 v18, v9, v10 offset0:16 offset1:20
	;; [unrolled: 1-line block ×5, first 2 shown]
	ds_write_b32 v18, v17 offset:12288
	s_waitcnt lgkmcnt(0)
	s_barrier
	s_mov_b64 s[6:7], 0
.LBB562_6:
	s_andn2_b64 vcc, exec, s[6:7]
	s_add_i32 s3, s3, s48
	s_cbranch_vccnz .LBB562_8
; %bb.7:
	v_add_u32_e32 v6, 0x100, v1
	v_lshlrev_b32_e32 v18, 2, v0
	v_add_u32_e32 v7, 0x200, v1
	v_add_u32_e32 v8, 0x300, v1
	;; [unrolled: 1-line block ×11, first 2 shown]
	ds_write2st64_b32 v18, v1, v6 offset1:4
	ds_write2st64_b32 v18, v7, v8 offset0:8 offset1:12
	ds_write2st64_b32 v18, v9, v10 offset0:16 offset1:20
	;; [unrolled: 1-line block ×5, first 2 shown]
	ds_write_b32 v18, v17 offset:12288
	s_waitcnt lgkmcnt(0)
	s_barrier
.LBB562_8:
	v_mul_u32_u24_e32 v36, 13, v0
	v_lshlrev_b32_e32 v1, 2, v36
	ds_read2_b32 v[22:23], v1 offset1:1
	ds_read2_b32 v[20:21], v1 offset0:2 offset1:3
	ds_read2_b32 v[18:19], v1 offset0:4 offset1:5
	ds_read2_b32 v[16:17], v1 offset0:6 offset1:7
	ds_read2_b32 v[14:15], v1 offset0:8 offset1:9
	ds_read2_b32 v[12:13], v1 offset0:10 offset1:11
	ds_read_b32 v35, v1 offset:48
	v_cndmask_b32_e64 v1, 0, 1, s[4:5]
	s_sub_i32 s86, s2, s3
	v_cmp_ne_u32_e64 s[2:3], 1, v1
	s_andn2_b64 vcc, exec, s[4:5]
	s_waitcnt lgkmcnt(0)
	s_barrier
	s_cbranch_vccnz .LBB562_36
; %bb.9:
	v_add_u32_e32 v1, s37, v22
	v_add_u32_e32 v6, s39, v22
	v_mul_lo_u32 v1, v1, s36
	v_mul_lo_u32 v6, v6, s38
	v_sub_u32_e32 v1, v1, v6
	v_cmp_lt_u32_e32 vcc, s40, v1
	v_cmp_ge_u32_e64 s[4:5], s40, v1
	s_mov_b64 s[60:61], 0
	s_mov_b64 s[58:59], 0
	s_and_saveexec_b64 s[6:7], s[4:5]
; %bb.10:
	v_add_u32_e32 v1, s42, v22
	v_add_u32_e32 v6, s56, v22
	v_mul_lo_u32 v1, v1, s41
	v_mul_lo_u32 v6, v6, s43
	v_sub_u32_e32 v1, v1, v6
	v_cmp_lt_u32_e64 s[4:5], s57, v1
	s_and_b64 s[58:59], s[4:5], exec
; %bb.11:
	s_or_b64 exec, exec, s[6:7]
	v_add_u32_e32 v1, s37, v23
	v_add_u32_e32 v6, s39, v23
	v_mul_lo_u32 v1, v1, s36
	v_mul_lo_u32 v6, v6, s38
	v_sub_u32_e32 v1, v1, v6
	v_cmp_lt_u32_e64 s[4:5], s40, v1
	v_cmp_ge_u32_e64 s[6:7], s40, v1
	s_and_saveexec_b64 s[8:9], s[6:7]
; %bb.12:
	v_add_u32_e32 v1, s42, v23
	v_add_u32_e32 v6, s56, v23
	v_mul_lo_u32 v1, v1, s41
	v_mul_lo_u32 v6, v6, s43
	v_sub_u32_e32 v1, v1, v6
	v_cmp_lt_u32_e64 s[6:7], s57, v1
	s_and_b64 s[60:61], s[6:7], exec
; %bb.13:
	s_or_b64 exec, exec, s[8:9]
	v_add_u32_e32 v1, s37, v20
	v_add_u32_e32 v6, s39, v20
	v_mul_lo_u32 v1, v1, s36
	v_mul_lo_u32 v6, v6, s38
	v_sub_u32_e32 v1, v1, v6
	v_cmp_lt_u32_e64 s[6:7], s40, v1
	v_cmp_ge_u32_e64 s[8:9], s40, v1
	s_mov_b64 s[64:65], 0
	s_mov_b64 s[62:63], 0
	s_and_saveexec_b64 s[10:11], s[8:9]
; %bb.14:
	v_add_u32_e32 v1, s42, v20
	v_add_u32_e32 v6, s56, v20
	v_mul_lo_u32 v1, v1, s41
	v_mul_lo_u32 v6, v6, s43
	v_sub_u32_e32 v1, v1, v6
	v_cmp_lt_u32_e64 s[8:9], s57, v1
	s_and_b64 s[62:63], s[8:9], exec
; %bb.15:
	s_or_b64 exec, exec, s[10:11]
	v_add_u32_e32 v1, s37, v21
	v_add_u32_e32 v6, s39, v21
	v_mul_lo_u32 v1, v1, s36
	v_mul_lo_u32 v6, v6, s38
	v_sub_u32_e32 v1, v1, v6
	v_cmp_lt_u32_e64 s[8:9], s40, v1
	v_cmp_ge_u32_e64 s[10:11], s40, v1
	s_and_saveexec_b64 s[12:13], s[10:11]
; %bb.16:
	v_add_u32_e32 v1, s42, v21
	v_add_u32_e32 v6, s56, v21
	v_mul_lo_u32 v1, v1, s41
	v_mul_lo_u32 v6, v6, s43
	v_sub_u32_e32 v1, v1, v6
	v_cmp_lt_u32_e64 s[10:11], s57, v1
	s_and_b64 s[64:65], s[10:11], exec
; %bb.17:
	s_or_b64 exec, exec, s[12:13]
	v_add_u32_e32 v1, s37, v18
	v_add_u32_e32 v6, s39, v18
	v_mul_lo_u32 v1, v1, s36
	v_mul_lo_u32 v6, v6, s38
	v_sub_u32_e32 v1, v1, v6
	v_cmp_lt_u32_e64 s[10:11], s40, v1
	v_cmp_ge_u32_e64 s[12:13], s40, v1
	s_mov_b64 s[68:69], 0
	s_mov_b64 s[66:67], 0
	s_and_saveexec_b64 s[14:15], s[12:13]
; %bb.18:
	v_add_u32_e32 v1, s42, v18
	v_add_u32_e32 v6, s56, v18
	v_mul_lo_u32 v1, v1, s41
	v_mul_lo_u32 v6, v6, s43
	v_sub_u32_e32 v1, v1, v6
	v_cmp_lt_u32_e64 s[12:13], s57, v1
	s_and_b64 s[66:67], s[12:13], exec
; %bb.19:
	s_or_b64 exec, exec, s[14:15]
	v_add_u32_e32 v1, s37, v19
	v_add_u32_e32 v6, s39, v19
	v_mul_lo_u32 v1, v1, s36
	v_mul_lo_u32 v6, v6, s38
	v_sub_u32_e32 v1, v1, v6
	v_cmp_lt_u32_e64 s[12:13], s40, v1
	v_cmp_ge_u32_e64 s[14:15], s40, v1
	s_and_saveexec_b64 s[16:17], s[14:15]
; %bb.20:
	v_add_u32_e32 v1, s42, v19
	v_add_u32_e32 v6, s56, v19
	v_mul_lo_u32 v1, v1, s41
	v_mul_lo_u32 v6, v6, s43
	v_sub_u32_e32 v1, v1, v6
	v_cmp_lt_u32_e64 s[14:15], s57, v1
	s_and_b64 s[68:69], s[14:15], exec
; %bb.21:
	s_or_b64 exec, exec, s[16:17]
	v_add_u32_e32 v1, s37, v16
	v_add_u32_e32 v6, s39, v16
	v_mul_lo_u32 v1, v1, s36
	v_mul_lo_u32 v6, v6, s38
	v_sub_u32_e32 v1, v1, v6
	v_cmp_lt_u32_e64 s[14:15], s40, v1
	v_cmp_ge_u32_e64 s[16:17], s40, v1
	s_mov_b64 s[72:73], 0
	s_mov_b64 s[70:71], 0
	s_and_saveexec_b64 s[18:19], s[16:17]
; %bb.22:
	v_add_u32_e32 v1, s42, v16
	v_add_u32_e32 v6, s56, v16
	v_mul_lo_u32 v1, v1, s41
	v_mul_lo_u32 v6, v6, s43
	v_sub_u32_e32 v1, v1, v6
	v_cmp_lt_u32_e64 s[16:17], s57, v1
	s_and_b64 s[70:71], s[16:17], exec
; %bb.23:
	s_or_b64 exec, exec, s[18:19]
	v_add_u32_e32 v1, s37, v17
	v_add_u32_e32 v6, s39, v17
	v_mul_lo_u32 v1, v1, s36
	v_mul_lo_u32 v6, v6, s38
	v_sub_u32_e32 v1, v1, v6
	v_cmp_lt_u32_e64 s[16:17], s40, v1
	v_cmp_ge_u32_e64 s[18:19], s40, v1
	s_and_saveexec_b64 s[20:21], s[18:19]
; %bb.24:
	v_add_u32_e32 v1, s42, v17
	v_add_u32_e32 v6, s56, v17
	v_mul_lo_u32 v1, v1, s41
	v_mul_lo_u32 v6, v6, s43
	v_sub_u32_e32 v1, v1, v6
	v_cmp_lt_u32_e64 s[18:19], s57, v1
	s_and_b64 s[72:73], s[18:19], exec
; %bb.25:
	s_or_b64 exec, exec, s[20:21]
	v_add_u32_e32 v1, s37, v14
	v_add_u32_e32 v6, s39, v14
	v_mul_lo_u32 v1, v1, s36
	v_mul_lo_u32 v6, v6, s38
	v_sub_u32_e32 v1, v1, v6
	v_cmp_lt_u32_e64 s[18:19], s40, v1
	v_cmp_ge_u32_e64 s[20:21], s40, v1
	s_mov_b64 s[78:79], 0
	s_mov_b64 s[76:77], 0
	s_and_saveexec_b64 s[22:23], s[20:21]
; %bb.26:
	v_add_u32_e32 v1, s42, v14
	v_add_u32_e32 v6, s56, v14
	v_mul_lo_u32 v1, v1, s41
	v_mul_lo_u32 v6, v6, s43
	v_sub_u32_e32 v1, v1, v6
	v_cmp_lt_u32_e64 s[20:21], s57, v1
	s_and_b64 s[76:77], s[20:21], exec
; %bb.27:
	s_or_b64 exec, exec, s[22:23]
	v_add_u32_e32 v1, s37, v15
	v_add_u32_e32 v6, s39, v15
	v_mul_lo_u32 v1, v1, s36
	v_mul_lo_u32 v6, v6, s38
	v_sub_u32_e32 v1, v1, v6
	v_cmp_lt_u32_e64 s[20:21], s40, v1
	v_cmp_ge_u32_e64 s[22:23], s40, v1
	s_and_saveexec_b64 s[24:25], s[22:23]
; %bb.28:
	v_add_u32_e32 v1, s42, v15
	v_add_u32_e32 v6, s56, v15
	v_mul_lo_u32 v1, v1, s41
	v_mul_lo_u32 v6, v6, s43
	v_sub_u32_e32 v1, v1, v6
	v_cmp_lt_u32_e64 s[22:23], s57, v1
	s_and_b64 s[78:79], s[22:23], exec
; %bb.29:
	s_or_b64 exec, exec, s[24:25]
	v_add_u32_e32 v1, s37, v12
	v_add_u32_e32 v6, s39, v12
	v_mul_lo_u32 v1, v1, s36
	v_mul_lo_u32 v6, v6, s38
	v_sub_u32_e32 v1, v1, v6
	v_cmp_lt_u32_e64 s[22:23], s40, v1
	v_cmp_ge_u32_e64 s[24:25], s40, v1
	s_mov_b64 s[80:81], 0
	s_mov_b64 s[82:83], 0
	s_and_saveexec_b64 s[26:27], s[24:25]
; %bb.30:
	v_add_u32_e32 v1, s42, v12
	v_add_u32_e32 v6, s56, v12
	v_mul_lo_u32 v1, v1, s41
	v_mul_lo_u32 v6, v6, s43
	v_sub_u32_e32 v1, v1, v6
	v_cmp_lt_u32_e64 s[24:25], s57, v1
	s_and_b64 s[82:83], s[24:25], exec
; %bb.31:
	s_or_b64 exec, exec, s[26:27]
	v_add_u32_e32 v1, s37, v13
	v_add_u32_e32 v6, s39, v13
	v_mul_lo_u32 v1, v1, s36
	v_mul_lo_u32 v6, v6, s38
	v_sub_u32_e32 v1, v1, v6
	v_cmp_lt_u32_e64 s[24:25], s40, v1
	v_cmp_ge_u32_e64 s[26:27], s40, v1
	s_and_saveexec_b64 s[52:53], s[26:27]
; %bb.32:
	v_add_u32_e32 v1, s42, v13
	v_add_u32_e32 v6, s56, v13
	v_mul_lo_u32 v1, v1, s41
	v_mul_lo_u32 v6, v6, s43
	v_sub_u32_e32 v1, v1, v6
	v_cmp_lt_u32_e64 s[26:27], s57, v1
	s_and_b64 s[80:81], s[26:27], exec
; %bb.33:
	s_or_b64 exec, exec, s[52:53]
	v_add_u32_e32 v1, s37, v35
	v_add_u32_e32 v6, s39, v35
	v_mul_lo_u32 v1, v1, s36
	v_mul_lo_u32 v6, v6, s38
	v_sub_u32_e32 v1, v1, v6
	v_cmp_ge_u32_e64 s[26:27], s40, v1
	s_mov_b64 s[52:53], -1
	s_mov_b64 s[74:75], 0
	s_mov_b64 s[54:55], 0
	s_and_saveexec_b64 s[84:85], s[26:27]
; %bb.34:
	v_add_u32_e32 v1, s42, v35
	v_add_u32_e32 v6, s56, v35
	v_mul_lo_u32 v1, v1, s41
	v_mul_lo_u32 v6, v6, s43
	v_sub_u32_e32 v1, v1, v6
	v_cmp_lt_u32_e64 s[26:27], s57, v1
	s_and_b64 s[54:55], s[26:27], exec
	s_xor_b64 s[52:53], exec, -1
; %bb.35:
	s_or_b64 exec, exec, s[84:85]
	v_cndmask_b32_e64 v57, 0, 1, s[82:83]
	v_cndmask_b32_e64 v60, 0, 1, s[24:25]
	;; [unrolled: 1-line block ×22, first 2 shown]
	v_cndmask_b32_e64 v37, 0, 1, vcc
	v_cndmask_b32_e64 v59, 0, 1, s[80:81]
	s_add_i32 s16, s86, 0xd00
	s_and_b64 vcc, exec, s[74:75]
	s_cbranch_vccnz .LBB562_37
	s_branch .LBB562_90
.LBB562_36:
                                        ; implicit-def: $sgpr52_sgpr53
                                        ; implicit-def: $sgpr54_sgpr55
                                        ; implicit-def: $vgpr59
                                        ; implicit-def: $vgpr57
                                        ; implicit-def: $vgpr55
                                        ; implicit-def: $vgpr53
                                        ; implicit-def: $vgpr51
                                        ; implicit-def: $vgpr49
                                        ; implicit-def: $vgpr47
                                        ; implicit-def: $vgpr45
                                        ; implicit-def: $vgpr43
                                        ; implicit-def: $vgpr37
                                        ; implicit-def: $vgpr39
                                        ; implicit-def: $vgpr41
                                        ; implicit-def: $vgpr44
                                        ; implicit-def: $vgpr46
                                        ; implicit-def: $vgpr48
                                        ; implicit-def: $vgpr50
                                        ; implicit-def: $vgpr52
                                        ; implicit-def: $vgpr54
                                        ; implicit-def: $vgpr56
                                        ; implicit-def: $vgpr58
                                        ; implicit-def: $vgpr60
                                        ; implicit-def: $vgpr38
                                        ; implicit-def: $vgpr40
                                        ; implicit-def: $vgpr42
	s_add_i32 s16, s86, 0xd00
	s_cbranch_execz .LBB562_90
.LBB562_37:
	v_cmp_gt_u32_e32 vcc, s16, v36
	v_mov_b32_e32 v38, 0
	v_mov_b32_e32 v37, 0
	s_and_saveexec_b64 s[6:7], vcc
	s_cbranch_execz .LBB562_41
; %bb.38:
	v_add_u32_e32 v1, s37, v22
	v_add_u32_e32 v6, s39, v22
	v_mul_lo_u32 v1, v1, s36
	v_mul_lo_u32 v6, v6, s38
	v_sub_u32_e32 v1, v1, v6
	v_cmp_lt_u32_e32 vcc, s40, v1
	v_cmp_ge_u32_e64 s[4:5], s40, v1
	s_mov_b64 s[10:11], 0
	s_and_saveexec_b64 s[8:9], s[4:5]
; %bb.39:
	v_add_u32_e32 v1, s42, v22
	v_add_u32_e32 v6, s56, v22
	v_mul_lo_u32 v1, v1, s41
	v_mul_lo_u32 v6, v6, s43
	v_sub_u32_e32 v1, v1, v6
	v_cmp_lt_u32_e64 s[4:5], s57, v1
	s_and_b64 s[10:11], s[4:5], exec
; %bb.40:
	s_or_b64 exec, exec, s[8:9]
	v_cndmask_b32_e64 v37, 0, 1, vcc
	v_cndmask_b32_e64 v38, 0, 1, s[10:11]
.LBB562_41:
	s_or_b64 exec, exec, s[6:7]
	v_add_u32_e32 v1, 1, v36
	v_cmp_gt_u32_e32 vcc, s16, v1
	v_mov_b32_e32 v39, 0
	v_mov_b32_e32 v40, 0
	s_and_saveexec_b64 s[6:7], vcc
	s_cbranch_execz .LBB562_45
; %bb.42:
	v_add_u32_e32 v1, s37, v23
	v_add_u32_e32 v6, s39, v23
	v_mul_lo_u32 v1, v1, s36
	v_mul_lo_u32 v6, v6, s38
	v_sub_u32_e32 v1, v1, v6
	v_cmp_lt_u32_e32 vcc, s40, v1
	v_cmp_ge_u32_e64 s[4:5], s40, v1
	s_mov_b64 s[10:11], 0
	s_and_saveexec_b64 s[8:9], s[4:5]
; %bb.43:
	v_add_u32_e32 v1, s42, v23
	v_add_u32_e32 v6, s56, v23
	v_mul_lo_u32 v1, v1, s41
	v_mul_lo_u32 v6, v6, s43
	v_sub_u32_e32 v1, v1, v6
	v_cmp_lt_u32_e64 s[4:5], s57, v1
	s_and_b64 s[10:11], s[4:5], exec
; %bb.44:
	s_or_b64 exec, exec, s[8:9]
	v_cndmask_b32_e64 v39, 0, 1, vcc
	v_cndmask_b32_e64 v40, 0, 1, s[10:11]
.LBB562_45:
	s_or_b64 exec, exec, s[6:7]
	v_add_u32_e32 v1, 2, v36
	;; [unrolled: 30-line block ×12, first 2 shown]
	v_cmp_gt_u32_e32 vcc, s16, v1
	s_mov_b64 s[52:53], 0
	s_mov_b64 s[54:55], 0
	s_and_saveexec_b64 s[4:5], vcc
	s_cbranch_execz .LBB562_89
; %bb.86:
	v_add_u32_e32 v1, s37, v35
	v_add_u32_e32 v6, s39, v35
	v_mul_lo_u32 v1, v1, s36
	v_mul_lo_u32 v6, v6, s38
	v_sub_u32_e32 v1, v1, v6
	v_cmp_ge_u32_e32 vcc, s40, v1
	s_mov_b64 s[8:9], -1
	s_mov_b64 s[10:11], 0
	s_and_saveexec_b64 s[6:7], vcc
; %bb.87:
	v_add_u32_e32 v1, s42, v35
	v_add_u32_e32 v6, s56, v35
	v_mul_lo_u32 v1, v1, s41
	v_mul_lo_u32 v6, v6, s43
	v_sub_u32_e32 v1, v1, v6
	v_cmp_lt_u32_e32 vcc, s57, v1
	s_and_b64 s[10:11], vcc, exec
	s_xor_b64 s[8:9], exec, -1
; %bb.88:
	s_or_b64 exec, exec, s[6:7]
	s_and_b64 s[54:55], s[10:11], exec
	s_and_b64 s[52:53], s[8:9], exec
.LBB562_89:
	s_or_b64 exec, exec, s[4:5]
.LBB562_90:
	v_and_b32_e32 v68, 0xff, v38
	v_and_b32_e32 v79, 0xff, v40
	;; [unrolled: 1-line block ×5, first 2 shown]
	v_add3_u32 v6, v79, v70, v68
	v_and_b32_e32 v81, 0xff, v47
	v_and_b32_e32 v74, 0xff, v49
	v_add3_u32 v6, v6, v80, v72
	v_and_b32_e32 v67, 0xff, v37
	v_and_b32_e32 v61, 0xff, v39
	;; [unrolled: 1-line block ×5, first 2 shown]
	v_add3_u32 v6, v6, v81, v74
	v_and_b32_e32 v62, 0xff, v44
	v_and_b32_e32 v71, 0xff, v46
	;; [unrolled: 1-line block ×4, first 2 shown]
	v_add3_u32 v7, v61, v69, v67
	v_add3_u32 v6, v6, v82, v76
	v_and_b32_e32 v63, 0xff, v48
	v_and_b32_e32 v73, 0xff, v50
	;; [unrolled: 1-line block ×3, first 2 shown]
	v_cndmask_b32_e64 v1, 0, 1, s[54:55]
	v_add3_u32 v7, v7, v62, v71
	v_add3_u32 v6, v6, v83, v78
	v_and_b32_e32 v64, 0xff, v52
	v_and_b32_e32 v75, 0xff, v54
	v_add3_u32 v7, v7, v63, v73
	v_add3_u32 v91, v6, v84, v1
	v_mbcnt_lo_u32_b32 v1, -1, 0
	v_and_b32_e32 v65, 0xff, v56
	v_and_b32_e32 v77, 0xff, v58
	v_add3_u32 v7, v7, v64, v75
	v_mbcnt_hi_u32_b32 v85, -1, v1
	v_and_b32_e32 v66, 0xff, v60
	v_add3_u32 v7, v7, v65, v77
	v_cndmask_b32_e64 v8, 0, 1, s[52:53]
	v_and_b32_e32 v89, 15, v85
	s_cmp_lg_u32 s33, 0
	v_add3_u32 v90, v7, v66, v8
	v_cmp_eq_u32_e64 s[6:7], 0, v89
	v_cmp_lt_u32_e64 s[4:5], 1, v89
	v_cmp_lt_u32_e64 s[10:11], 3, v89
	;; [unrolled: 1-line block ×3, first 2 shown]
	v_and_b32_e32 v88, 16, v85
	v_cmp_lt_u32_e32 vcc, 31, v85
	v_lshrrev_b32_e32 v86, 6, v0
	v_or_b32_e32 v87, 63, v0
	s_cbranch_scc0 .LBB562_119
; %bb.91:
	v_mov_b32_dpp v1, v90 row_shr:1 row_mask:0xf bank_mask:0xf
	v_mov_b32_dpp v6, v91 row_shr:1 row_mask:0xf bank_mask:0xf
	v_add_u32_e32 v1, v1, v90
	v_add_u32_e32 v6, v6, v91
	v_cndmask_b32_e64 v6, v6, v91, s[6:7]
	v_cndmask_b32_e64 v1, v1, v90, s[6:7]
	s_nop 0
	v_mov_b32_dpp v8, v6 row_shr:2 row_mask:0xf bank_mask:0xf
	v_mov_b32_dpp v7, v1 row_shr:2 row_mask:0xf bank_mask:0xf
	v_add_u32_e32 v7, v1, v7
	v_add_u32_e32 v8, v6, v8
	v_cndmask_b32_e64 v6, v6, v8, s[4:5]
	v_cndmask_b32_e64 v1, v1, v7, s[4:5]
	s_nop 0
	;; [unrolled: 7-line block ×3, first 2 shown]
	v_mov_b32_dpp v8, v6 row_shr:8 row_mask:0xf bank_mask:0xf
	v_mov_b32_dpp v7, v1 row_shr:8 row_mask:0xf bank_mask:0xf
	v_add_u32_e32 v7, v1, v7
	v_add_u32_e32 v8, v6, v8
	v_cndmask_b32_e64 v6, v6, v8, s[8:9]
	v_cndmask_b32_e64 v1, v1, v7, s[8:9]
	v_cmp_eq_u32_e64 s[8:9], 0, v88
	v_mov_b32_dpp v8, v6 row_bcast:15 row_mask:0xf bank_mask:0xf
	v_mov_b32_dpp v7, v1 row_bcast:15 row_mask:0xf bank_mask:0xf
	v_add_u32_e32 v7, v1, v7
	v_add_u32_e32 v8, v6, v8
	v_cndmask_b32_e64 v6, v8, v6, s[8:9]
	v_cndmask_b32_e64 v1, v7, v1, s[8:9]
	s_nop 0
	v_mov_b32_dpp v8, v6 row_bcast:31 row_mask:0xf bank_mask:0xf
	v_mov_b32_dpp v7, v1 row_bcast:31 row_mask:0xf bank_mask:0xf
	v_add_u32_e32 v8, v6, v8
	v_add_u32_e32 v9, v1, v7
	v_cndmask_b32_e32 v7, v6, v8, vcc
	v_cndmask_b32_e32 v6, v1, v9, vcc
	v_cmp_eq_u32_e32 vcc, v87, v0
	s_and_saveexec_b64 s[8:9], vcc
	s_cbranch_execz .LBB562_93
; %bb.92:
	v_lshlrev_b32_e32 v1, 3, v86
	ds_write_b64 v1, v[6:7]
.LBB562_93:
	s_or_b64 exec, exec, s[8:9]
	v_cmp_gt_u32_e32 vcc, 4, v0
	s_waitcnt lgkmcnt(0)
	s_barrier
	s_and_saveexec_b64 s[8:9], vcc
	s_cbranch_execz .LBB562_95
; %bb.94:
	v_lshlrev_b32_e32 v1, 3, v0
	ds_read_b64 v[8:9], v1
	v_and_b32_e32 v10, 3, v85
	v_cmp_eq_u32_e32 vcc, 0, v10
	s_waitcnt lgkmcnt(0)
	v_mov_b32_dpp v11, v8 row_shr:1 row_mask:0xf bank_mask:0xf
	v_mov_b32_dpp v24, v9 row_shr:1 row_mask:0xf bank_mask:0xf
	v_add_u32_e32 v11, v11, v8
	v_add_u32_e32 v24, v24, v9
	v_cndmask_b32_e32 v9, v24, v9, vcc
	v_cndmask_b32_e32 v8, v11, v8, vcc
	v_cmp_lt_u32_e32 vcc, 1, v10
	v_mov_b32_dpp v24, v9 row_shr:2 row_mask:0xf bank_mask:0xf
	v_mov_b32_dpp v11, v8 row_shr:2 row_mask:0xf bank_mask:0xf
	v_cndmask_b32_e32 v10, 0, v11, vcc
	v_cndmask_b32_e32 v11, 0, v24, vcc
	v_add_u32_e32 v9, v11, v9
	v_add_u32_e32 v8, v10, v8
	ds_write_b64 v1, v[8:9]
.LBB562_95:
	s_or_b64 exec, exec, s[8:9]
	v_cmp_gt_u32_e32 vcc, 64, v0
	v_cmp_lt_u32_e64 s[8:9], 63, v0
	s_waitcnt lgkmcnt(0)
	s_barrier
	s_waitcnt lgkmcnt(0)
                                        ; implicit-def: $vgpr25
	s_and_saveexec_b64 s[10:11], s[8:9]
	s_xor_b64 s[8:9], exec, s[10:11]
	s_cbranch_execz .LBB562_97
; %bb.96:
	v_lshl_add_u32 v1, v86, 3, -8
	ds_read_b64 v[24:25], v1
	s_waitcnt lgkmcnt(0)
	v_add_u32_e32 v7, v25, v7
	v_add_u32_e32 v6, v24, v6
.LBB562_97:
	s_andn2_saveexec_b64 s[8:9], s[8:9]
; %bb.98:
                                        ; implicit-def: $vgpr24
; %bb.99:
	s_or_b64 exec, exec, s[8:9]
	v_add_u32_e32 v1, -1, v85
	v_and_b32_e32 v8, 64, v85
	v_cmp_lt_i32_e64 s[8:9], v1, v8
	v_cndmask_b32_e64 v1, v1, v85, s[8:9]
	v_lshlrev_b32_e32 v8, 2, v1
	ds_bpermute_b32 v1, v8, v6
	ds_bpermute_b32 v92, v8, v7
	v_cmp_eq_u32_e64 s[8:9], 0, v85
	s_and_saveexec_b64 s[10:11], vcc
	s_cbranch_execz .LBB562_118
; %bb.100:
	v_mov_b32_e32 v11, 0
	ds_read_b64 v[26:27], v11 offset:24
	s_and_saveexec_b64 s[12:13], s[8:9]
	s_cbranch_execz .LBB562_102
; %bb.101:
	s_add_i32 s14, s33, 64
	s_mov_b32 s15, 0
	s_lshl_b64 s[14:15], s[14:15], 4
	s_waitcnt lgkmcnt(0)
	v_and_b32_e32 v6, 0xff000000, v27
	v_and_b32_e32 v7, 0xff0000, v27
	s_add_u32 s14, s50, s14
	v_or_b32_e32 v6, v7, v6
	v_and_b32_e32 v7, 0xff00, v27
	s_addc_u32 s15, s51, s15
	v_or_b32_e32 v6, v6, v7
	v_or_b32_sdwa v9, v6, v27 dst_sel:DWORD dst_unused:UNUSED_PAD src0_sel:DWORD src1_sel:BYTE_0
	v_mov_b32_e32 v10, 1
	v_mov_b32_e32 v8, v26
	v_pk_mov_b32 v[6:7], s[14:15], s[14:15] op_sel:[0,1]
	;;#ASMSTART
	global_store_dwordx4 v[6:7], v[8:11] off	
s_waitcnt vmcnt(0)
	;;#ASMEND
.LBB562_102:
	s_or_b64 exec, exec, s[12:13]
	v_xad_u32 v28, v85, -1, s33
	v_add_u32_e32 v10, 64, v28
	v_lshlrev_b64 v[6:7], 4, v[10:11]
	v_mov_b32_e32 v8, s51
	v_add_co_u32_e32 v30, vcc, s50, v6
	v_addc_co_u32_e32 v31, vcc, v8, v7, vcc
	;;#ASMSTART
	global_load_dwordx4 v[6:9], v[30:31] off glc	
s_waitcnt vmcnt(0)
	;;#ASMEND
	v_and_b32_e32 v9, 0xff, v7
	v_and_b32_e32 v10, 0xff00, v7
	v_or3_b32 v9, 0, v9, v10
	v_or3_b32 v6, v6, 0, 0
	v_and_b32_e32 v10, 0xff000000, v7
	v_and_b32_e32 v7, 0xff0000, v7
	v_or3_b32 v7, v9, v7, v10
	v_or3_b32 v6, v6, 0, 0
	v_cmp_eq_u16_sdwa s[14:15], v8, v11 src0_sel:BYTE_0 src1_sel:DWORD
	s_and_saveexec_b64 s[12:13], s[14:15]
	s_cbranch_execz .LBB562_106
; %bb.103:
	s_mov_b64 s[14:15], 0
	v_mov_b32_e32 v10, 0
.LBB562_104:                            ; =>This Inner Loop Header: Depth=1
	;;#ASMSTART
	global_load_dwordx4 v[6:9], v[30:31] off glc	
s_waitcnt vmcnt(0)
	;;#ASMEND
	v_cmp_ne_u16_sdwa s[18:19], v8, v10 src0_sel:BYTE_0 src1_sel:DWORD
	s_or_b64 s[14:15], s[18:19], s[14:15]
	s_andn2_b64 exec, exec, s[14:15]
	s_cbranch_execnz .LBB562_104
; %bb.105:
	s_or_b64 exec, exec, s[14:15]
.LBB562_106:
	s_or_b64 exec, exec, s[12:13]
	v_and_b32_e32 v94, 63, v85
	v_cmp_ne_u32_e32 vcc, 63, v94
	v_mov_b32_e32 v93, 2
	v_addc_co_u32_e32 v30, vcc, 0, v85, vcc
	v_cmp_eq_u16_sdwa s[12:13], v8, v93 src0_sel:BYTE_0 src1_sel:DWORD
	v_lshlrev_b64 v[10:11], v85, -1
	v_lshlrev_b32_e32 v95, 2, v30
	v_and_b32_e32 v9, s13, v11
	ds_bpermute_b32 v30, v95, v6
	ds_bpermute_b32 v31, v95, v7
	v_or_b32_e32 v9, 0x80000000, v9
	v_and_b32_e32 v29, s12, v10
	v_ffbl_b32_e32 v9, v9
	v_add_u32_e32 v9, 32, v9
	v_ffbl_b32_e32 v29, v29
	v_min_u32_e32 v9, v29, v9
	s_waitcnt lgkmcnt(1)
	v_add_u32_e32 v29, v30, v6
	s_waitcnt lgkmcnt(0)
	v_add_u32_e32 v30, v31, v7
	v_cmp_lt_u32_e32 vcc, v94, v9
	v_cndmask_b32_e32 v7, v7, v30, vcc
	v_cndmask_b32_e32 v6, v6, v29, vcc
	v_cmp_gt_u32_e32 vcc, 62, v94
	v_cndmask_b32_e64 v29, 0, 1, vcc
	v_lshlrev_b32_e32 v29, 1, v29
	v_add_lshl_u32 v96, v29, v85, 2
	ds_bpermute_b32 v29, v96, v6
	ds_bpermute_b32 v30, v96, v7
	v_add_u32_e32 v97, 2, v94
	v_cmp_gt_u32_e32 vcc, v97, v9
	v_add_u32_e32 v99, 4, v94
	s_waitcnt lgkmcnt(1)
	v_add_u32_e32 v29, v6, v29
	s_waitcnt lgkmcnt(0)
	v_add_u32_e32 v30, v7, v30
	v_cndmask_b32_e32 v7, v30, v7, vcc
	v_cndmask_b32_e32 v6, v29, v6, vcc
	v_cmp_gt_u32_e32 vcc, 60, v94
	v_cndmask_b32_e64 v29, 0, 1, vcc
	v_lshlrev_b32_e32 v29, 2, v29
	v_add_lshl_u32 v98, v29, v85, 2
	ds_bpermute_b32 v29, v98, v6
	ds_bpermute_b32 v30, v98, v7
	v_cmp_gt_u32_e32 vcc, v99, v9
	v_add_u32_e32 v101, 8, v94
	v_add_u32_e32 v103, 16, v94
	s_waitcnt lgkmcnt(1)
	v_add_u32_e32 v29, v6, v29
	s_waitcnt lgkmcnt(0)
	v_add_u32_e32 v30, v7, v30
	v_cndmask_b32_e32 v7, v30, v7, vcc
	v_cndmask_b32_e32 v6, v29, v6, vcc
	v_cmp_gt_u32_e32 vcc, 56, v94
	v_cndmask_b32_e64 v29, 0, 1, vcc
	v_lshlrev_b32_e32 v29, 3, v29
	v_add_lshl_u32 v100, v29, v85, 2
	ds_bpermute_b32 v29, v100, v6
	ds_bpermute_b32 v30, v100, v7
	v_cmp_gt_u32_e32 vcc, v101, v9
	v_add_u32_e32 v105, 32, v94
	s_waitcnt lgkmcnt(1)
	v_add_u32_e32 v29, v6, v29
	s_waitcnt lgkmcnt(0)
	v_add_u32_e32 v30, v7, v30
	v_cndmask_b32_e32 v7, v30, v7, vcc
	v_cndmask_b32_e32 v6, v29, v6, vcc
	v_cmp_gt_u32_e32 vcc, 48, v94
	v_cndmask_b32_e64 v29, 0, 1, vcc
	v_lshlrev_b32_e32 v29, 4, v29
	v_add_lshl_u32 v102, v29, v85, 2
	ds_bpermute_b32 v29, v102, v6
	ds_bpermute_b32 v30, v102, v7
	v_cmp_gt_u32_e32 vcc, v103, v9
	s_waitcnt lgkmcnt(1)
	v_add_u32_e32 v29, v6, v29
	s_waitcnt lgkmcnt(0)
	v_add_u32_e32 v30, v7, v30
	v_cndmask_b32_e32 v7, v30, v7, vcc
	v_cndmask_b32_e32 v6, v29, v6, vcc
	v_cmp_gt_u32_e32 vcc, 32, v94
	v_cndmask_b32_e64 v29, 0, 1, vcc
	v_lshlrev_b32_e32 v29, 5, v29
	v_add_lshl_u32 v104, v29, v85, 2
	ds_bpermute_b32 v29, v104, v6
	ds_bpermute_b32 v30, v104, v7
	v_cmp_le_u32_e32 vcc, v105, v9
	s_waitcnt lgkmcnt(1)
	v_cndmask_b32_e32 v9, 0, v29, vcc
	s_waitcnt lgkmcnt(0)
	v_cndmask_b32_e32 v29, 0, v30, vcc
	v_add_u32_e32 v7, v7, v29
	v_add_u32_e32 v6, v6, v9
	v_mov_b32_e32 v29, 0
	s_branch .LBB562_108
.LBB562_107:                            ;   in Loop: Header=BB562_108 Depth=1
	s_or_b64 exec, exec, s[12:13]
	v_cmp_eq_u16_sdwa s[12:13], v8, v93 src0_sel:BYTE_0 src1_sel:DWORD
	v_and_b32_e32 v9, s13, v11
	ds_bpermute_b32 v33, v95, v6
	ds_bpermute_b32 v106, v95, v7
	v_or_b32_e32 v9, 0x80000000, v9
	v_and_b32_e32 v32, s12, v10
	v_ffbl_b32_e32 v9, v9
	v_add_u32_e32 v9, 32, v9
	v_ffbl_b32_e32 v32, v32
	v_min_u32_e32 v9, v32, v9
	s_waitcnt lgkmcnt(1)
	v_add_u32_e32 v32, v33, v6
	s_waitcnt lgkmcnt(0)
	v_add_u32_e32 v33, v106, v7
	v_cmp_lt_u32_e32 vcc, v94, v9
	v_cndmask_b32_e32 v7, v7, v33, vcc
	v_cndmask_b32_e32 v6, v6, v32, vcc
	ds_bpermute_b32 v32, v96, v6
	ds_bpermute_b32 v33, v96, v7
	v_cmp_gt_u32_e32 vcc, v97, v9
	v_subrev_u32_e32 v28, 64, v28
	s_waitcnt lgkmcnt(1)
	v_add_u32_e32 v32, v6, v32
	s_waitcnt lgkmcnt(0)
	v_add_u32_e32 v33, v7, v33
	v_cndmask_b32_e32 v7, v33, v7, vcc
	v_cndmask_b32_e32 v6, v32, v6, vcc
	ds_bpermute_b32 v32, v98, v6
	ds_bpermute_b32 v33, v98, v7
	v_cmp_gt_u32_e32 vcc, v99, v9
	s_waitcnt lgkmcnt(1)
	v_add_u32_e32 v32, v6, v32
	s_waitcnt lgkmcnt(0)
	v_add_u32_e32 v33, v7, v33
	v_cndmask_b32_e32 v7, v33, v7, vcc
	v_cndmask_b32_e32 v6, v32, v6, vcc
	ds_bpermute_b32 v32, v100, v6
	ds_bpermute_b32 v33, v100, v7
	v_cmp_gt_u32_e32 vcc, v101, v9
	;; [unrolled: 9-line block ×3, first 2 shown]
	s_waitcnt lgkmcnt(1)
	v_add_u32_e32 v32, v6, v32
	s_waitcnt lgkmcnt(0)
	v_add_u32_e32 v33, v7, v33
	v_cndmask_b32_e32 v7, v33, v7, vcc
	v_cndmask_b32_e32 v6, v32, v6, vcc
	ds_bpermute_b32 v32, v104, v6
	ds_bpermute_b32 v33, v104, v7
	v_cmp_le_u32_e32 vcc, v105, v9
	s_waitcnt lgkmcnt(1)
	v_cndmask_b32_e32 v9, 0, v32, vcc
	s_waitcnt lgkmcnt(0)
	v_cndmask_b32_e32 v32, 0, v33, vcc
	v_add3_u32 v7, v32, v31, v7
	v_add3_u32 v6, v9, v30, v6
.LBB562_108:                            ; =>This Loop Header: Depth=1
                                        ;     Child Loop BB562_111 Depth 2
	v_cmp_ne_u16_sdwa s[12:13], v8, v93 src0_sel:BYTE_0 src1_sel:DWORD
	v_cndmask_b32_e64 v8, 0, 1, s[12:13]
	;;#ASMSTART
	;;#ASMEND
	v_cmp_ne_u32_e32 vcc, 0, v8
	s_cmp_lg_u64 vcc, exec
	v_pk_mov_b32 v[30:31], v[6:7], v[6:7] op_sel:[0,1]
	s_cbranch_scc1 .LBB562_113
; %bb.109:                              ;   in Loop: Header=BB562_108 Depth=1
	v_lshlrev_b64 v[6:7], 4, v[28:29]
	v_mov_b32_e32 v8, s51
	v_add_co_u32_e32 v32, vcc, s50, v6
	v_addc_co_u32_e32 v33, vcc, v8, v7, vcc
	;;#ASMSTART
	global_load_dwordx4 v[6:9], v[32:33] off glc	
s_waitcnt vmcnt(0)
	;;#ASMEND
	v_and_b32_e32 v9, 0xff, v7
	v_and_b32_e32 v106, 0xff00, v7
	v_or3_b32 v9, 0, v9, v106
	v_or3_b32 v6, v6, 0, 0
	v_and_b32_e32 v106, 0xff000000, v7
	v_and_b32_e32 v7, 0xff0000, v7
	v_or3_b32 v7, v9, v7, v106
	v_or3_b32 v6, v6, 0, 0
	v_cmp_eq_u16_sdwa s[14:15], v8, v29 src0_sel:BYTE_0 src1_sel:DWORD
	s_and_saveexec_b64 s[12:13], s[14:15]
	s_cbranch_execz .LBB562_107
; %bb.110:                              ;   in Loop: Header=BB562_108 Depth=1
	s_mov_b64 s[14:15], 0
.LBB562_111:                            ;   Parent Loop BB562_108 Depth=1
                                        ; =>  This Inner Loop Header: Depth=2
	;;#ASMSTART
	global_load_dwordx4 v[6:9], v[32:33] off glc	
s_waitcnt vmcnt(0)
	;;#ASMEND
	v_cmp_ne_u16_sdwa s[18:19], v8, v29 src0_sel:BYTE_0 src1_sel:DWORD
	s_or_b64 s[14:15], s[18:19], s[14:15]
	s_andn2_b64 exec, exec, s[14:15]
	s_cbranch_execnz .LBB562_111
; %bb.112:                              ;   in Loop: Header=BB562_108 Depth=1
	s_or_b64 exec, exec, s[14:15]
	s_branch .LBB562_107
.LBB562_113:                            ;   in Loop: Header=BB562_108 Depth=1
                                        ; implicit-def: $vgpr8
                                        ; implicit-def: $vgpr6_vgpr7
	s_cbranch_execz .LBB562_108
; %bb.114:
	s_and_saveexec_b64 s[12:13], s[8:9]
	s_cbranch_execz .LBB562_116
; %bb.115:
	s_add_i32 s14, s33, 64
	s_mov_b32 s15, 0
	v_add_u32_e32 v7, v31, v27
	s_lshl_b64 s[14:15], s[14:15], 4
	s_add_u32 s14, s50, s14
	v_and_b32_e32 v8, 0xff000000, v7
	v_and_b32_e32 v10, 0xff0000, v7
	s_addc_u32 s15, s51, s15
	v_or_b32_e32 v8, v10, v8
	v_and_b32_e32 v10, 0xff00, v7
	v_and_b32_e32 v7, 0xff, v7
	v_add_u32_e32 v6, v30, v26
	v_mov_b32_e32 v9, 0
	v_or3_b32 v7, v8, v10, v7
	v_mov_b32_e32 v8, 2
	v_pk_mov_b32 v[10:11], s[14:15], s[14:15] op_sel:[0,1]
	;;#ASMSTART
	global_store_dwordx4 v[10:11], v[6:9] off	
s_waitcnt vmcnt(0)
	;;#ASMEND
	s_movk_i32 s14, 0x3400
	v_add_u32_e64 v6, s14, 0
	ds_write2_b32 v6, v26, v27 offset1:2
	ds_write2_b32 v6, v30, v31 offset0:4 offset1:6
.LBB562_116:
	s_or_b64 exec, exec, s[12:13]
	s_and_b64 exec, exec, s[0:1]
	s_cbranch_execz .LBB562_118
; %bb.117:
	v_mov_b32_e32 v6, 0
	ds_write_b64 v6, v[30:31] offset:24
.LBB562_118:
	s_or_b64 exec, exec, s[10:11]
	v_mov_b32_e32 v6, 0
	s_waitcnt lgkmcnt(0)
	s_barrier
	ds_read_b64 v[10:11], v6 offset:24
	v_cndmask_b32_e64 v25, v92, v25, s[8:9]
	v_cndmask_b32_e64 v1, v1, v24, s[8:9]
	s_movk_i32 s8, 0x3400
	s_waitcnt lgkmcnt(0)
	v_add_u32_e32 v24, v10, v1
	v_add_u32_e64 v1, s8, 0
	s_barrier
	ds_read2_b32 v[6:7], v1 offset1:2
	ds_read2_b32 v[8:9], v1 offset0:4 offset1:6
	v_add_u32_e32 v1, v11, v25
	v_cndmask_b32_e64 v1, v1, v11, s[0:1]
	v_cndmask_b32_e64 v10, v24, v10, s[0:1]
	s_branch .LBB562_129
.LBB562_119:
                                        ; implicit-def: $vgpr1
                                        ; implicit-def: $vgpr8
                                        ; implicit-def: $vgpr6
                                        ; implicit-def: $vgpr10_vgpr11
	s_cbranch_execz .LBB562_129
; %bb.120:
	s_nop 0
	v_mov_b32_dpp v1, v90 row_shr:1 row_mask:0xf bank_mask:0xf
	s_waitcnt lgkmcnt(1)
	v_mov_b32_dpp v6, v91 row_shr:1 row_mask:0xf bank_mask:0xf
	v_add_u32_e32 v1, v1, v90
	v_add_u32_e32 v6, v6, v91
	v_cndmask_b32_e64 v6, v6, v91, s[6:7]
	v_cndmask_b32_e64 v1, v1, v90, s[6:7]
	v_cmp_lt_u32_e32 vcc, 3, v89
	s_waitcnt lgkmcnt(0)
	v_mov_b32_dpp v8, v6 row_shr:2 row_mask:0xf bank_mask:0xf
	v_mov_b32_dpp v7, v1 row_shr:2 row_mask:0xf bank_mask:0xf
	v_add_u32_e32 v7, v1, v7
	v_add_u32_e32 v8, v6, v8
	v_cndmask_b32_e64 v6, v6, v8, s[4:5]
	v_cndmask_b32_e64 v1, v1, v7, s[4:5]
	s_nop 0
	v_mov_b32_dpp v8, v6 row_shr:4 row_mask:0xf bank_mask:0xf
	v_mov_b32_dpp v7, v1 row_shr:4 row_mask:0xf bank_mask:0xf
	v_add_u32_e32 v7, v1, v7
	v_add_u32_e32 v8, v6, v8
	v_cndmask_b32_e32 v6, v6, v8, vcc
	v_cndmask_b32_e32 v1, v1, v7, vcc
	v_cmp_lt_u32_e32 vcc, 7, v89
	v_mov_b32_dpp v8, v6 row_shr:8 row_mask:0xf bank_mask:0xf
	v_mov_b32_dpp v7, v1 row_shr:8 row_mask:0xf bank_mask:0xf
	v_add_u32_e32 v7, v1, v7
	v_add_u32_e32 v8, v6, v8
	v_cndmask_b32_e32 v6, v6, v8, vcc
	v_cndmask_b32_e32 v1, v1, v7, vcc
	v_cmp_eq_u32_e32 vcc, 0, v88
	v_mov_b32_dpp v8, v6 row_bcast:15 row_mask:0xf bank_mask:0xf
	v_mov_b32_dpp v7, v1 row_bcast:15 row_mask:0xf bank_mask:0xf
	v_add_u32_e32 v7, v1, v7
	v_add_u32_e32 v8, v6, v8
	v_cndmask_b32_e32 v6, v8, v6, vcc
	v_cndmask_b32_e32 v1, v7, v1, vcc
	v_cmp_lt_u32_e32 vcc, 31, v85
	v_mov_b32_dpp v8, v6 row_bcast:31 row_mask:0xf bank_mask:0xf
	v_mov_b32_dpp v7, v1 row_bcast:31 row_mask:0xf bank_mask:0xf
	v_add_u32_e32 v8, v6, v8
	v_add_u32_e32 v9, v1, v7
	v_cndmask_b32_e32 v7, v6, v8, vcc
	v_cndmask_b32_e32 v6, v1, v9, vcc
	v_cmp_eq_u32_e32 vcc, v87, v0
	s_and_saveexec_b64 s[4:5], vcc
	s_cbranch_execz .LBB562_122
; %bb.121:
	v_lshlrev_b32_e32 v1, 3, v86
	ds_write_b64 v1, v[6:7]
.LBB562_122:
	s_or_b64 exec, exec, s[4:5]
	v_cmp_gt_u32_e32 vcc, 4, v0
	s_waitcnt lgkmcnt(0)
	s_barrier
	s_and_saveexec_b64 s[4:5], vcc
	s_cbranch_execz .LBB562_124
; %bb.123:
	v_lshlrev_b32_e32 v1, 3, v0
	ds_read_b64 v[8:9], v1
	v_and_b32_e32 v10, 3, v85
	v_cmp_eq_u32_e32 vcc, 0, v10
	s_waitcnt lgkmcnt(0)
	v_mov_b32_dpp v11, v8 row_shr:1 row_mask:0xf bank_mask:0xf
	v_mov_b32_dpp v24, v9 row_shr:1 row_mask:0xf bank_mask:0xf
	v_add_u32_e32 v11, v11, v8
	v_add_u32_e32 v24, v24, v9
	v_cndmask_b32_e32 v9, v24, v9, vcc
	v_cndmask_b32_e32 v8, v11, v8, vcc
	v_cmp_lt_u32_e32 vcc, 1, v10
	v_mov_b32_dpp v24, v9 row_shr:2 row_mask:0xf bank_mask:0xf
	v_mov_b32_dpp v11, v8 row_shr:2 row_mask:0xf bank_mask:0xf
	v_cndmask_b32_e32 v10, 0, v11, vcc
	v_cndmask_b32_e32 v11, 0, v24, vcc
	v_add_u32_e32 v9, v11, v9
	v_add_u32_e32 v8, v10, v8
	ds_write_b64 v1, v[8:9]
.LBB562_124:
	s_or_b64 exec, exec, s[4:5]
	v_cmp_lt_u32_e32 vcc, 63, v0
	v_mov_b32_e32 v8, 0
	v_mov_b32_e32 v10, 0
	;; [unrolled: 1-line block ×3, first 2 shown]
	s_waitcnt lgkmcnt(0)
	s_barrier
	s_and_saveexec_b64 s[4:5], vcc
	s_cbranch_execz .LBB562_126
; %bb.125:
	v_lshl_add_u32 v1, v86, 3, -8
	ds_read_b64 v[10:11], v1
.LBB562_126:
	s_or_b64 exec, exec, s[4:5]
	s_waitcnt lgkmcnt(0)
	v_add_u32_e32 v9, v11, v7
	v_add_u32_e32 v1, v10, v6
	v_add_u32_e32 v6, -1, v85
	v_and_b32_e32 v7, 64, v85
	v_cmp_lt_i32_e32 vcc, v6, v7
	v_cndmask_b32_e32 v6, v6, v85, vcc
	v_lshlrev_b32_e32 v24, 2, v6
	ds_read_b64 v[6:7], v8 offset:24
	ds_bpermute_b32 v1, v24, v1
	ds_bpermute_b32 v24, v24, v9
	s_waitcnt lgkmcnt(2)
	v_readfirstlane_b32 s6, v7
	s_and_saveexec_b64 s[4:5], s[0:1]
	s_cbranch_execz .LBB562_128
; %bb.127:
	s_add_u32 s8, s50, 0x400
	s_mov_b32 s10, 0
	s_addc_u32 s9, s51, 0
	s_and_b32 s11, s6, 0xff000000
	s_and_b32 s13, s6, 0xff0000
	s_mov_b32 s12, s10
	s_or_b64 s[12:13], s[12:13], s[10:11]
	s_and_b32 s11, s6, 0xff00
	s_or_b64 s[12:13], s[12:13], s[10:11]
	s_and_b32 s11, s6, 0xff
	s_or_b64 s[10:11], s[12:13], s[10:11]
	v_mov_b32_e32 v7, s11
	v_mov_b32_e32 v8, 2
	v_mov_b32_e32 v9, 0
	v_pk_mov_b32 v[26:27], s[8:9], s[8:9] op_sel:[0,1]
	;;#ASMSTART
	global_store_dwordx4 v[26:27], v[6:9] off	
s_waitcnt vmcnt(0)
	;;#ASMEND
.LBB562_128:
	s_or_b64 exec, exec, s[4:5]
	v_cmp_eq_u32_e32 vcc, 0, v85
	s_waitcnt lgkmcnt(1)
	v_cndmask_b32_e32 v7, v1, v10, vcc
	s_waitcnt lgkmcnt(0)
	v_cndmask_b32_e32 v1, v24, v11, vcc
	v_mov_b32_e32 v8, 0
	v_cndmask_b32_e64 v1, v1, 0, s[0:1]
	v_cndmask_b32_e64 v10, v7, 0, s[0:1]
	s_barrier
	v_mov_b32_e32 v7, s6
	v_mov_b32_e32 v9, 0
.LBB562_129:
	v_add_u32_e32 v11, v10, v67
	v_add_u32_e32 v26, v1, v68
	;; [unrolled: 1-line block ×13, first 2 shown]
	s_waitcnt vmcnt(0) lgkmcnt(0)
	v_add_co_u32_e32 v2, vcc, v2, v8
	v_add_u32_e32 v68, v62, v74
	v_add_u32_e32 v64, v67, v64
	v_addc_co_u32_e32 v3, vcc, 0, v3, vcc
	v_add_u32_e32 v69, v68, v82
	v_add_u32_e32 v70, v64, v75
	v_sub_co_u32_e32 v24, vcc, v4, v6
	v_add_u32_e32 v71, v69, v76
	v_add_u32_e32 v65, v70, v65
	v_subbrev_co_u32_e32 v25, vcc, 0, v5, vcc
	v_lshlrev_b32_e32 v76, 1, v6
	v_sub_u32_e32 v1, v1, v9
	v_add_u32_e32 v73, v65, v77
	v_add_co_u32_e32 v24, vcc, v24, v9
	v_add_u32_e32 v77, v76, v7
	v_sub_u32_e32 v10, v10, v8
	v_add_u32_e32 v1, v1, v6
	v_addc_co_u32_e32 v25, vcc, 0, v25, vcc
	v_add_u32_e32 v36, v77, v36
	v_and_b32_e32 v38, 1, v38
	v_add_u32_e32 v77, v10, v1
	v_and_b32_e32 v37, 1, v37
	v_sub_u32_e32 v77, v36, v77
	v_cmp_eq_u32_e32 vcc, 1, v38
	v_cndmask_b32_e32 v1, v77, v1, vcc
	v_cmp_eq_u32_e32 vcc, 1, v37
	v_cndmask_b32_e32 v1, v1, v10, vcc
	v_lshlrev_b32_e32 v1, 2, v1
	ds_write_b32 v1, v22
	v_sub_u32_e32 v1, v11, v8
	v_sub_u32_e32 v11, v26, v9
	v_add_u32_e32 v11, v11, v6
	v_add_u32_e32 v26, v11, v1
	v_and_b32_e32 v22, 1, v40
	v_sub_u32_e32 v26, v36, v26
	v_and_b32_e32 v10, 1, v39
	v_add_u32_e32 v26, 1, v26
	v_cmp_eq_u32_e32 vcc, 1, v22
	v_cndmask_b32_e32 v11, v26, v11, vcc
	v_cmp_eq_u32_e32 vcc, 1, v10
	v_cndmask_b32_e32 v1, v11, v1, vcc
	v_lshlrev_b32_e32 v1, 2, v1
	v_sub_u32_e32 v11, v27, v9
	ds_write_b32 v1, v23
	v_sub_u32_e32 v1, v28, v8
	v_add_u32_e32 v11, v11, v6
	v_add_u32_e32 v23, v11, v1
	v_and_b32_e32 v22, 1, v42
	v_sub_u32_e32 v23, v36, v23
	v_and_b32_e32 v10, 1, v41
	v_add_u32_e32 v23, 2, v23
	v_cmp_eq_u32_e32 vcc, 1, v22
	v_cndmask_b32_e32 v11, v23, v11, vcc
	v_cmp_eq_u32_e32 vcc, 1, v10
	v_cndmask_b32_e32 v1, v11, v1, vcc
	v_lshlrev_b32_e32 v1, 2, v1
	v_sub_u32_e32 v11, v30, v9
	ds_write_b32 v1, v20
	;; [unrolled: 14-line block ×8, first 2 shown]
	v_sub_u32_e32 v1, v70, v8
	v_add_u32_e32 v11, v11, v6
	v_add_u32_e32 v16, v1, v11
	v_and_b32_e32 v14, 1, v55
	v_sub_u32_e32 v16, v36, v16
	v_and_b32_e32 v10, 1, v56
	v_add_u32_e32 v16, 9, v16
	v_cmp_eq_u32_e32 vcc, 1, v14
	v_cndmask_b32_e32 v11, v16, v11, vcc
	v_cmp_eq_u32_e32 vcc, 1, v10
	v_add_u32_e32 v72, v71, v83
	v_cndmask_b32_e32 v1, v11, v1, vcc
	v_lshlrev_b32_e32 v1, 2, v1
	v_sub_u32_e32 v11, v72, v9
	ds_write_b32 v1, v15
	v_sub_u32_e32 v1, v65, v8
	v_add_u32_e32 v11, v11, v6
	v_add_u32_e32 v15, v1, v11
	v_and_b32_e32 v14, 1, v57
	v_sub_u32_e32 v15, v36, v15
	v_and_b32_e32 v10, 1, v58
	v_add_u32_e32 v15, 10, v15
	v_cmp_eq_u32_e32 vcc, 1, v14
	v_cndmask_b32_e32 v11, v15, v11, vcc
	v_cmp_eq_u32_e32 vcc, 1, v10
	v_add_u32_e32 v74, v72, v78
	v_cndmask_b32_e32 v1, v11, v1, vcc
	v_lshlrev_b32_e32 v1, 2, v1
	v_sub_u32_e32 v11, v74, v9
	ds_write_b32 v1, v12
	v_sub_u32_e32 v1, v73, v8
	v_add_u32_e32 v11, v11, v6
	v_add_u32_e32 v14, v1, v11
	v_and_b32_e32 v12, 1, v59
	v_sub_u32_e32 v14, v36, v14
	v_and_b32_e32 v10, 1, v60
	v_add_u32_e32 v14, 11, v14
	v_cmp_eq_u32_e32 vcc, 1, v12
	v_cndmask_b32_e32 v11, v14, v11, vcc
	v_cmp_eq_u32_e32 vcc, 1, v10
	v_cndmask_b32_e32 v1, v11, v1, vcc
	v_add_u32_e32 v75, v74, v84
	v_add_u32_e32 v66, v73, v66
	v_lshlrev_b32_e32 v1, 2, v1
	ds_write_b32 v1, v13
	v_sub_u32_e32 v1, v66, v8
	v_sub_u32_e32 v8, v75, v9
	v_add_u32_e32 v8, v8, v6
	v_add_u32_e32 v10, v1, v8
	v_sub_u32_e32 v10, v36, v10
	v_add_u32_e32 v10, 12, v10
	v_cndmask_b32_e64 v8, v10, v8, s[54:55]
	v_cndmask_b32_e64 v1, v8, v1, s[52:53]
	v_lshlrev_b32_e32 v1, 2, v1
	ds_write_b32 v1, v35
	v_mov_b32_e32 v1, s49
	v_add_co_u32_e32 v8, vcc, s48, v34
	v_addc_co_u32_e32 v10, vcc, 0, v1, vcc
	v_add_co_u32_e32 v1, vcc, v7, v76
	v_addc_co_u32_e64 v11, s[4:5], 0, 0, vcc
	v_add_co_u32_e32 v1, vcc, v1, v24
	v_addc_co_u32_e32 v11, vcc, v11, v25, vcc
	v_add_co_u32_e32 v1, vcc, v1, v2
	v_addc_co_u32_e32 v11, vcc, v11, v3, vcc
	v_sub_co_u32_e32 v1, vcc, v8, v1
	v_subb_co_u32_e32 v8, vcc, v10, v11, vcc
	v_lshlrev_b64 v[10:11], 2, v[24:25]
	v_mov_b32_e32 v12, s47
	v_add_co_u32_e32 v10, vcc, s46, v10
	v_addc_co_u32_e32 v11, vcc, v12, v11, vcc
	v_lshlrev_b64 v[12:13], 2, v[2:3]
	v_mov_b32_e32 v15, s45
	v_add_co_u32_e32 v12, vcc, s44, v12
	s_add_u32 s8, s34, -4
	v_addc_co_u32_e32 v13, vcc, v15, v13, vcc
	s_addc_u32 s9, s35, -1
	v_add_u32_e32 v14, v6, v7
	s_and_b64 vcc, exec, s[2:3]
	s_mov_b64 s[2:3], -1
	s_waitcnt lgkmcnt(0)
	s_barrier
	s_cbranch_vccz .LBB562_133
; %bb.130:
	s_and_b64 vcc, exec, s[2:3]
	s_cbranch_vccnz .LBB562_238
.LBB562_131:
	s_and_b64 s[0:1], s[0:1], s[30:31]
	s_and_saveexec_b64 s[2:3], s[0:1]
	s_cbranch_execnz .LBB562_356
.LBB562_132:
	s_endpgm
.LBB562_133:
	v_cmp_le_u32_e32 vcc, v6, v0
	s_and_saveexec_b64 s[2:3], vcc
	s_xor_b64 s[2:3], exec, s[2:3]
	s_cbranch_execz .LBB562_139
; %bb.134:
	v_cmp_le_u32_e32 vcc, v14, v0
	s_and_saveexec_b64 s[4:5], vcc
	s_xor_b64 s[4:5], exec, s[4:5]
	s_cbranch_execz .LBB562_136
; %bb.135:
	v_lshlrev_b32_e32 v15, 2, v0
	v_add_co_u32_e32 v16, vcc, v1, v0
	ds_read_b32 v15, v15
	v_addc_co_u32_e32 v17, vcc, 0, v8, vcc
	v_lshlrev_b64 v[16:17], 2, v[16:17]
	v_mov_b32_e32 v18, s35
	v_sub_co_u32_e32 v16, vcc, s34, v16
	v_subb_co_u32_e32 v17, vcc, v18, v17, vcc
	s_waitcnt lgkmcnt(0)
	global_store_dword v[16:17], v15, off offset:-4
.LBB562_136:
	s_andn2_saveexec_b64 s[4:5], s[4:5]
	s_cbranch_execz .LBB562_138
; %bb.137:
	v_lshlrev_b32_e32 v15, 2, v0
	ds_read_b32 v16, v15
	v_readfirstlane_b32 s6, v10
	v_readfirstlane_b32 s7, v11
	s_waitcnt lgkmcnt(0)
	s_nop 3
	global_store_dword v15, v16, s[6:7]
.LBB562_138:
	s_or_b64 exec, exec, s[4:5]
.LBB562_139:
	s_andn2_saveexec_b64 s[2:3], s[2:3]
	s_cbranch_execz .LBB562_141
; %bb.140:
	v_lshlrev_b32_e32 v15, 2, v0
	ds_read_b32 v16, v15
	v_readfirstlane_b32 s4, v12
	v_readfirstlane_b32 s5, v13
	s_waitcnt lgkmcnt(0)
	s_nop 3
	global_store_dword v15, v16, s[4:5]
.LBB562_141:
	s_or_b64 exec, exec, s[2:3]
	v_or_b32_e32 v15, 0x100, v0
	v_cmp_le_u32_e32 vcc, v6, v15
	s_and_saveexec_b64 s[2:3], vcc
	s_xor_b64 s[2:3], exec, s[2:3]
	s_cbranch_execz .LBB562_147
; %bb.142:
	v_cmp_le_u32_e32 vcc, v14, v15
	s_and_saveexec_b64 s[4:5], vcc
	s_xor_b64 s[4:5], exec, s[4:5]
	s_cbranch_execz .LBB562_144
; %bb.143:
	v_lshlrev_b32_e32 v15, 2, v0
	ds_read_b32 v15, v15 offset:1024
	v_add_co_u32_e32 v16, vcc, v1, v0
	v_addc_co_u32_e32 v17, vcc, 0, v8, vcc
	v_lshlrev_b64 v[16:17], 2, v[16:17]
	v_mov_b32_e32 v18, s9
	v_sub_co_u32_e32 v16, vcc, s8, v16
	v_subb_co_u32_e32 v17, vcc, v18, v17, vcc
	s_waitcnt lgkmcnt(0)
	global_store_dword v[16:17], v15, off offset:-1024
.LBB562_144:
	s_andn2_saveexec_b64 s[4:5], s[4:5]
	s_cbranch_execz .LBB562_146
; %bb.145:
	v_lshlrev_b32_e32 v15, 2, v0
	ds_read_b32 v16, v15 offset:1024
	v_readfirstlane_b32 s6, v10
	v_readfirstlane_b32 s7, v11
	s_waitcnt lgkmcnt(0)
	s_nop 3
	global_store_dword v15, v16, s[6:7] offset:1024
.LBB562_146:
	s_or_b64 exec, exec, s[4:5]
.LBB562_147:
	s_andn2_saveexec_b64 s[2:3], s[2:3]
	s_cbranch_execz .LBB562_149
; %bb.148:
	v_lshlrev_b32_e32 v15, 2, v0
	ds_read_b32 v16, v15 offset:1024
	v_readfirstlane_b32 s4, v12
	v_readfirstlane_b32 s5, v13
	s_waitcnt lgkmcnt(0)
	s_nop 3
	global_store_dword v15, v16, s[4:5] offset:1024
.LBB562_149:
	s_or_b64 exec, exec, s[2:3]
	v_or_b32_e32 v15, 0x200, v0
	v_cmp_le_u32_e32 vcc, v6, v15
	s_and_saveexec_b64 s[2:3], vcc
	s_xor_b64 s[2:3], exec, s[2:3]
	s_cbranch_execz .LBB562_155
; %bb.150:
	v_cmp_le_u32_e32 vcc, v14, v15
	s_and_saveexec_b64 s[4:5], vcc
	s_xor_b64 s[4:5], exec, s[4:5]
	s_cbranch_execz .LBB562_152
; %bb.151:
	v_lshlrev_b32_e32 v15, 2, v0
	ds_read_b32 v15, v15 offset:2048
	v_add_co_u32_e32 v16, vcc, v1, v0
	v_addc_co_u32_e32 v17, vcc, 0, v8, vcc
	v_lshlrev_b64 v[16:17], 2, v[16:17]
	v_mov_b32_e32 v18, s9
	v_sub_co_u32_e32 v16, vcc, s8, v16
	v_subb_co_u32_e32 v17, vcc, v18, v17, vcc
	s_waitcnt lgkmcnt(0)
	global_store_dword v[16:17], v15, off offset:-2048
.LBB562_152:
	s_andn2_saveexec_b64 s[4:5], s[4:5]
	s_cbranch_execz .LBB562_154
; %bb.153:
	v_lshlrev_b32_e32 v15, 2, v0
	ds_read_b32 v16, v15 offset:2048
	v_readfirstlane_b32 s6, v10
	v_readfirstlane_b32 s7, v11
	s_waitcnt lgkmcnt(0)
	s_nop 3
	global_store_dword v15, v16, s[6:7] offset:2048
.LBB562_154:
	s_or_b64 exec, exec, s[4:5]
.LBB562_155:
	s_andn2_saveexec_b64 s[2:3], s[2:3]
	s_cbranch_execz .LBB562_157
; %bb.156:
	v_lshlrev_b32_e32 v15, 2, v0
	ds_read_b32 v16, v15 offset:2048
	v_readfirstlane_b32 s4, v12
	v_readfirstlane_b32 s5, v13
	s_waitcnt lgkmcnt(0)
	s_nop 3
	global_store_dword v15, v16, s[4:5] offset:2048
.LBB562_157:
	;; [unrolled: 47-line block ×3, first 2 shown]
	s_or_b64 exec, exec, s[2:3]
	v_or_b32_e32 v15, 0x400, v0
	v_cmp_le_u32_e32 vcc, v6, v15
	s_and_saveexec_b64 s[2:3], vcc
	s_xor_b64 s[2:3], exec, s[2:3]
	s_cbranch_execz .LBB562_171
; %bb.166:
	v_cmp_le_u32_e32 vcc, v14, v15
	s_and_saveexec_b64 s[4:5], vcc
	s_xor_b64 s[4:5], exec, s[4:5]
	s_cbranch_execz .LBB562_168
; %bb.167:
	v_lshlrev_b32_e32 v15, 2, v0
	ds_read_b32 v15, v15 offset:4096
	v_add_co_u32_e32 v16, vcc, v1, v0
	v_addc_co_u32_e32 v17, vcc, 0, v8, vcc
	v_lshlrev_b64 v[16:17], 2, v[16:17]
	v_mov_b32_e32 v18, s9
	v_sub_co_u32_e32 v16, vcc, s8, v16
	v_subb_co_u32_e32 v17, vcc, v18, v17, vcc
	s_waitcnt lgkmcnt(0)
	global_store_dword v[16:17], v15, off offset:-4096
                                        ; implicit-def: $vgpr15
.LBB562_168:
	s_andn2_saveexec_b64 s[4:5], s[4:5]
	s_cbranch_execz .LBB562_170
; %bb.169:
	v_lshlrev_b32_e32 v16, 2, v0
	ds_read_b32 v16, v16 offset:4096
	v_lshlrev_b32_e32 v15, 2, v15
	v_readfirstlane_b32 s6, v10
	v_readfirstlane_b32 s7, v11
	s_waitcnt lgkmcnt(0)
	s_nop 3
	global_store_dword v15, v16, s[6:7]
.LBB562_170:
	s_or_b64 exec, exec, s[4:5]
                                        ; implicit-def: $vgpr15
.LBB562_171:
	s_andn2_saveexec_b64 s[2:3], s[2:3]
	s_cbranch_execz .LBB562_173
; %bb.172:
	v_lshlrev_b32_e32 v16, 2, v0
	ds_read_b32 v16, v16 offset:4096
	v_lshlrev_b32_e32 v15, 2, v15
	v_readfirstlane_b32 s4, v12
	v_readfirstlane_b32 s5, v13
	s_waitcnt lgkmcnt(0)
	s_nop 3
	global_store_dword v15, v16, s[4:5]
.LBB562_173:
	s_or_b64 exec, exec, s[2:3]
	v_or_b32_e32 v15, 0x500, v0
	v_cmp_le_u32_e32 vcc, v6, v15
	s_and_saveexec_b64 s[2:3], vcc
	s_xor_b64 s[2:3], exec, s[2:3]
	s_cbranch_execz .LBB562_179
; %bb.174:
	v_cmp_le_u32_e32 vcc, v14, v15
	s_and_saveexec_b64 s[4:5], vcc
	s_xor_b64 s[4:5], exec, s[4:5]
	s_cbranch_execz .LBB562_176
; %bb.175:
	v_add_co_u32_e32 v16, vcc, v1, v15
	v_lshlrev_b32_e32 v15, 2, v0
	ds_read_b32 v15, v15 offset:5120
	v_addc_co_u32_e32 v17, vcc, 0, v8, vcc
	v_lshlrev_b64 v[16:17], 2, v[16:17]
	v_mov_b32_e32 v18, s9
	v_sub_co_u32_e32 v16, vcc, s8, v16
	v_subb_co_u32_e32 v17, vcc, v18, v17, vcc
	s_waitcnt lgkmcnt(0)
	global_store_dword v[16:17], v15, off
                                        ; implicit-def: $vgpr15
.LBB562_176:
	s_andn2_saveexec_b64 s[4:5], s[4:5]
	s_cbranch_execz .LBB562_178
; %bb.177:
	v_lshlrev_b32_e32 v16, 2, v0
	ds_read_b32 v16, v16 offset:5120
	v_lshlrev_b32_e32 v15, 2, v15
	v_readfirstlane_b32 s6, v10
	v_readfirstlane_b32 s7, v11
	s_waitcnt lgkmcnt(0)
	s_nop 3
	global_store_dword v15, v16, s[6:7]
.LBB562_178:
	s_or_b64 exec, exec, s[4:5]
                                        ; implicit-def: $vgpr15
.LBB562_179:
	s_andn2_saveexec_b64 s[2:3], s[2:3]
	s_cbranch_execz .LBB562_181
; %bb.180:
	v_lshlrev_b32_e32 v16, 2, v0
	ds_read_b32 v16, v16 offset:5120
	v_lshlrev_b32_e32 v15, 2, v15
	v_readfirstlane_b32 s4, v12
	v_readfirstlane_b32 s5, v13
	s_waitcnt lgkmcnt(0)
	s_nop 3
	global_store_dword v15, v16, s[4:5]
.LBB562_181:
	s_or_b64 exec, exec, s[2:3]
	v_or_b32_e32 v15, 0x600, v0
	v_cmp_le_u32_e32 vcc, v6, v15
	s_and_saveexec_b64 s[2:3], vcc
	s_xor_b64 s[2:3], exec, s[2:3]
	s_cbranch_execz .LBB562_187
; %bb.182:
	v_cmp_le_u32_e32 vcc, v14, v15
	s_and_saveexec_b64 s[4:5], vcc
	s_xor_b64 s[4:5], exec, s[4:5]
	s_cbranch_execz .LBB562_184
; %bb.183:
	v_add_co_u32_e32 v16, vcc, v1, v15
	v_lshlrev_b32_e32 v15, 2, v0
	ds_read_b32 v15, v15 offset:6144
	v_addc_co_u32_e32 v17, vcc, 0, v8, vcc
	v_lshlrev_b64 v[16:17], 2, v[16:17]
	v_mov_b32_e32 v18, s9
	v_sub_co_u32_e32 v16, vcc, s8, v16
	v_subb_co_u32_e32 v17, vcc, v18, v17, vcc
	s_waitcnt lgkmcnt(0)
	global_store_dword v[16:17], v15, off
                                        ; implicit-def: $vgpr15
.LBB562_184:
	s_andn2_saveexec_b64 s[4:5], s[4:5]
	s_cbranch_execz .LBB562_186
; %bb.185:
	v_lshlrev_b32_e32 v16, 2, v0
	ds_read_b32 v16, v16 offset:6144
	v_lshlrev_b32_e32 v15, 2, v15
	v_readfirstlane_b32 s6, v10
	v_readfirstlane_b32 s7, v11
	s_waitcnt lgkmcnt(0)
	s_nop 3
	global_store_dword v15, v16, s[6:7]
.LBB562_186:
	s_or_b64 exec, exec, s[4:5]
                                        ; implicit-def: $vgpr15
.LBB562_187:
	;; [unrolled: 51-line block ×8, first 2 shown]
	s_andn2_saveexec_b64 s[2:3], s[2:3]
	s_cbranch_execz .LBB562_237
; %bb.236:
	v_lshlrev_b32_e32 v16, 2, v0
	ds_read_b32 v16, v16 offset:12288
	v_lshlrev_b32_e32 v15, 2, v15
	v_readfirstlane_b32 s4, v12
	v_readfirstlane_b32 s5, v13
	s_waitcnt lgkmcnt(0)
	s_nop 3
	global_store_dword v15, v16, s[4:5]
.LBB562_237:
	s_or_b64 exec, exec, s[2:3]
	s_branch .LBB562_131
.LBB562_238:
	v_cmp_gt_u32_e32 vcc, s16, v0
	s_and_saveexec_b64 s[2:3], vcc
	s_cbranch_execz .LBB562_247
; %bb.239:
	v_cmp_le_u32_e32 vcc, v6, v0
	s_and_saveexec_b64 s[4:5], vcc
	s_xor_b64 s[4:5], exec, s[4:5]
	s_cbranch_execz .LBB562_245
; %bb.240:
	v_cmp_le_u32_e32 vcc, v14, v0
	s_and_saveexec_b64 s[6:7], vcc
	s_xor_b64 s[6:7], exec, s[6:7]
	s_cbranch_execz .LBB562_242
; %bb.241:
	v_lshlrev_b32_e32 v15, 2, v0
	v_add_co_u32_e32 v16, vcc, v1, v0
	ds_read_b32 v15, v15
	v_addc_co_u32_e32 v17, vcc, 0, v8, vcc
	v_lshlrev_b64 v[16:17], 2, v[16:17]
	v_mov_b32_e32 v18, s35
	v_sub_co_u32_e32 v16, vcc, s34, v16
	v_subb_co_u32_e32 v17, vcc, v18, v17, vcc
	s_waitcnt lgkmcnt(0)
	global_store_dword v[16:17], v15, off offset:-4
.LBB562_242:
	s_andn2_saveexec_b64 s[6:7], s[6:7]
	s_cbranch_execz .LBB562_244
; %bb.243:
	v_lshlrev_b32_e32 v15, 2, v0
	ds_read_b32 v16, v15
	v_readfirstlane_b32 s10, v10
	v_readfirstlane_b32 s11, v11
	s_waitcnt lgkmcnt(0)
	s_nop 3
	global_store_dword v15, v16, s[10:11]
.LBB562_244:
	s_or_b64 exec, exec, s[6:7]
.LBB562_245:
	s_andn2_saveexec_b64 s[4:5], s[4:5]
	s_cbranch_execz .LBB562_247
; %bb.246:
	v_lshlrev_b32_e32 v15, 2, v0
	ds_read_b32 v16, v15
	v_readfirstlane_b32 s4, v12
	v_readfirstlane_b32 s5, v13
	s_waitcnt lgkmcnt(0)
	s_nop 3
	global_store_dword v15, v16, s[4:5]
.LBB562_247:
	s_or_b64 exec, exec, s[2:3]
	v_or_b32_e32 v15, 0x100, v0
	v_cmp_gt_u32_e32 vcc, s16, v15
	s_and_saveexec_b64 s[2:3], vcc
	s_cbranch_execz .LBB562_256
; %bb.248:
	v_cmp_le_u32_e32 vcc, v6, v15
	s_and_saveexec_b64 s[4:5], vcc
	s_xor_b64 s[4:5], exec, s[4:5]
	s_cbranch_execz .LBB562_254
; %bb.249:
	v_cmp_le_u32_e32 vcc, v14, v15
	s_and_saveexec_b64 s[6:7], vcc
	s_xor_b64 s[6:7], exec, s[6:7]
	s_cbranch_execz .LBB562_251
; %bb.250:
	v_lshlrev_b32_e32 v15, 2, v0
	ds_read_b32 v15, v15 offset:1024
	v_add_co_u32_e32 v16, vcc, v1, v0
	v_addc_co_u32_e32 v17, vcc, 0, v8, vcc
	v_lshlrev_b64 v[16:17], 2, v[16:17]
	v_mov_b32_e32 v18, s9
	v_sub_co_u32_e32 v16, vcc, s8, v16
	v_subb_co_u32_e32 v17, vcc, v18, v17, vcc
	s_waitcnt lgkmcnt(0)
	global_store_dword v[16:17], v15, off offset:-1024
.LBB562_251:
	s_andn2_saveexec_b64 s[6:7], s[6:7]
	s_cbranch_execz .LBB562_253
; %bb.252:
	v_lshlrev_b32_e32 v15, 2, v0
	ds_read_b32 v16, v15 offset:1024
	v_readfirstlane_b32 s10, v10
	v_readfirstlane_b32 s11, v11
	s_waitcnt lgkmcnt(0)
	s_nop 3
	global_store_dword v15, v16, s[10:11] offset:1024
.LBB562_253:
	s_or_b64 exec, exec, s[6:7]
.LBB562_254:
	s_andn2_saveexec_b64 s[4:5], s[4:5]
	s_cbranch_execz .LBB562_256
; %bb.255:
	v_lshlrev_b32_e32 v15, 2, v0
	ds_read_b32 v16, v15 offset:1024
	v_readfirstlane_b32 s4, v12
	v_readfirstlane_b32 s5, v13
	s_waitcnt lgkmcnt(0)
	s_nop 3
	global_store_dword v15, v16, s[4:5] offset:1024
.LBB562_256:
	s_or_b64 exec, exec, s[2:3]
	v_or_b32_e32 v15, 0x200, v0
	v_cmp_gt_u32_e32 vcc, s16, v15
	s_and_saveexec_b64 s[2:3], vcc
	s_cbranch_execz .LBB562_265
; %bb.257:
	v_cmp_le_u32_e32 vcc, v6, v15
	s_and_saveexec_b64 s[4:5], vcc
	s_xor_b64 s[4:5], exec, s[4:5]
	s_cbranch_execz .LBB562_263
; %bb.258:
	v_cmp_le_u32_e32 vcc, v14, v15
	s_and_saveexec_b64 s[6:7], vcc
	s_xor_b64 s[6:7], exec, s[6:7]
	s_cbranch_execz .LBB562_260
; %bb.259:
	v_lshlrev_b32_e32 v15, 2, v0
	ds_read_b32 v15, v15 offset:2048
	v_add_co_u32_e32 v16, vcc, v1, v0
	v_addc_co_u32_e32 v17, vcc, 0, v8, vcc
	v_lshlrev_b64 v[16:17], 2, v[16:17]
	v_mov_b32_e32 v18, s9
	v_sub_co_u32_e32 v16, vcc, s8, v16
	v_subb_co_u32_e32 v17, vcc, v18, v17, vcc
	s_waitcnt lgkmcnt(0)
	global_store_dword v[16:17], v15, off offset:-2048
.LBB562_260:
	s_andn2_saveexec_b64 s[6:7], s[6:7]
	s_cbranch_execz .LBB562_262
; %bb.261:
	v_lshlrev_b32_e32 v15, 2, v0
	ds_read_b32 v16, v15 offset:2048
	v_readfirstlane_b32 s10, v10
	v_readfirstlane_b32 s11, v11
	s_waitcnt lgkmcnt(0)
	s_nop 3
	global_store_dword v15, v16, s[10:11] offset:2048
.LBB562_262:
	s_or_b64 exec, exec, s[6:7]
.LBB562_263:
	s_andn2_saveexec_b64 s[4:5], s[4:5]
	s_cbranch_execz .LBB562_265
; %bb.264:
	v_lshlrev_b32_e32 v15, 2, v0
	ds_read_b32 v16, v15 offset:2048
	v_readfirstlane_b32 s4, v12
	v_readfirstlane_b32 s5, v13
	s_waitcnt lgkmcnt(0)
	s_nop 3
	global_store_dword v15, v16, s[4:5] offset:2048
.LBB562_265:
	s_or_b64 exec, exec, s[2:3]
	v_or_b32_e32 v15, 0x300, v0
	v_cmp_gt_u32_e32 vcc, s16, v15
	s_and_saveexec_b64 s[2:3], vcc
	s_cbranch_execz .LBB562_274
; %bb.266:
	v_cmp_le_u32_e32 vcc, v6, v15
	s_and_saveexec_b64 s[4:5], vcc
	s_xor_b64 s[4:5], exec, s[4:5]
	s_cbranch_execz .LBB562_272
; %bb.267:
	v_cmp_le_u32_e32 vcc, v14, v15
	s_and_saveexec_b64 s[6:7], vcc
	s_xor_b64 s[6:7], exec, s[6:7]
	s_cbranch_execz .LBB562_269
; %bb.268:
	v_lshlrev_b32_e32 v15, 2, v0
	ds_read_b32 v15, v15 offset:3072
	v_add_co_u32_e32 v16, vcc, v1, v0
	v_addc_co_u32_e32 v17, vcc, 0, v8, vcc
	v_lshlrev_b64 v[16:17], 2, v[16:17]
	v_mov_b32_e32 v18, s9
	v_sub_co_u32_e32 v16, vcc, s8, v16
	v_subb_co_u32_e32 v17, vcc, v18, v17, vcc
	s_waitcnt lgkmcnt(0)
	global_store_dword v[16:17], v15, off offset:-3072
.LBB562_269:
	s_andn2_saveexec_b64 s[6:7], s[6:7]
	s_cbranch_execz .LBB562_271
; %bb.270:
	v_lshlrev_b32_e32 v15, 2, v0
	ds_read_b32 v16, v15 offset:3072
	v_readfirstlane_b32 s10, v10
	v_readfirstlane_b32 s11, v11
	s_waitcnt lgkmcnt(0)
	s_nop 3
	global_store_dword v15, v16, s[10:11] offset:3072
.LBB562_271:
	s_or_b64 exec, exec, s[6:7]
.LBB562_272:
	s_andn2_saveexec_b64 s[4:5], s[4:5]
	s_cbranch_execz .LBB562_274
; %bb.273:
	v_lshlrev_b32_e32 v15, 2, v0
	ds_read_b32 v16, v15 offset:3072
	v_readfirstlane_b32 s4, v12
	v_readfirstlane_b32 s5, v13
	s_waitcnt lgkmcnt(0)
	s_nop 3
	global_store_dword v15, v16, s[4:5] offset:3072
.LBB562_274:
	s_or_b64 exec, exec, s[2:3]
	v_or_b32_e32 v15, 0x400, v0
	v_cmp_gt_u32_e32 vcc, s16, v15
	s_and_saveexec_b64 s[2:3], vcc
	s_cbranch_execz .LBB562_283
; %bb.275:
	v_cmp_le_u32_e32 vcc, v6, v15
	s_and_saveexec_b64 s[4:5], vcc
	s_xor_b64 s[4:5], exec, s[4:5]
	s_cbranch_execz .LBB562_281
; %bb.276:
	v_cmp_le_u32_e32 vcc, v14, v15
	s_and_saveexec_b64 s[6:7], vcc
	s_xor_b64 s[6:7], exec, s[6:7]
	s_cbranch_execz .LBB562_278
; %bb.277:
	v_lshlrev_b32_e32 v15, 2, v0
	ds_read_b32 v15, v15 offset:4096
	v_add_co_u32_e32 v16, vcc, v1, v0
	v_addc_co_u32_e32 v17, vcc, 0, v8, vcc
	v_lshlrev_b64 v[16:17], 2, v[16:17]
	v_mov_b32_e32 v18, s9
	v_sub_co_u32_e32 v16, vcc, s8, v16
	v_subb_co_u32_e32 v17, vcc, v18, v17, vcc
	s_waitcnt lgkmcnt(0)
	global_store_dword v[16:17], v15, off offset:-4096
                                        ; implicit-def: $vgpr15
.LBB562_278:
	s_andn2_saveexec_b64 s[6:7], s[6:7]
	s_cbranch_execz .LBB562_280
; %bb.279:
	v_lshlrev_b32_e32 v16, 2, v0
	ds_read_b32 v16, v16 offset:4096
	v_lshlrev_b32_e32 v15, 2, v15
	v_readfirstlane_b32 s10, v10
	v_readfirstlane_b32 s11, v11
	s_waitcnt lgkmcnt(0)
	s_nop 3
	global_store_dword v15, v16, s[10:11]
.LBB562_280:
	s_or_b64 exec, exec, s[6:7]
                                        ; implicit-def: $vgpr15
.LBB562_281:
	s_andn2_saveexec_b64 s[4:5], s[4:5]
	s_cbranch_execz .LBB562_283
; %bb.282:
	v_lshlrev_b32_e32 v16, 2, v0
	ds_read_b32 v16, v16 offset:4096
	v_lshlrev_b32_e32 v15, 2, v15
	v_readfirstlane_b32 s4, v12
	v_readfirstlane_b32 s5, v13
	s_waitcnt lgkmcnt(0)
	s_nop 3
	global_store_dword v15, v16, s[4:5]
.LBB562_283:
	s_or_b64 exec, exec, s[2:3]
	v_or_b32_e32 v15, 0x500, v0
	v_cmp_gt_u32_e32 vcc, s16, v15
	s_and_saveexec_b64 s[2:3], vcc
	s_cbranch_execz .LBB562_292
; %bb.284:
	v_cmp_le_u32_e32 vcc, v6, v15
	s_and_saveexec_b64 s[4:5], vcc
	s_xor_b64 s[4:5], exec, s[4:5]
	s_cbranch_execz .LBB562_290
; %bb.285:
	v_cmp_le_u32_e32 vcc, v14, v15
	s_and_saveexec_b64 s[6:7], vcc
	s_xor_b64 s[6:7], exec, s[6:7]
	s_cbranch_execz .LBB562_287
; %bb.286:
	v_add_co_u32_e32 v16, vcc, v1, v15
	v_lshlrev_b32_e32 v15, 2, v0
	ds_read_b32 v15, v15 offset:5120
	v_addc_co_u32_e32 v17, vcc, 0, v8, vcc
	v_lshlrev_b64 v[16:17], 2, v[16:17]
	v_mov_b32_e32 v18, s9
	v_sub_co_u32_e32 v16, vcc, s8, v16
	v_subb_co_u32_e32 v17, vcc, v18, v17, vcc
	s_waitcnt lgkmcnt(0)
	global_store_dword v[16:17], v15, off
                                        ; implicit-def: $vgpr15
.LBB562_287:
	s_andn2_saveexec_b64 s[6:7], s[6:7]
	s_cbranch_execz .LBB562_289
; %bb.288:
	v_lshlrev_b32_e32 v16, 2, v0
	ds_read_b32 v16, v16 offset:5120
	v_lshlrev_b32_e32 v15, 2, v15
	v_readfirstlane_b32 s10, v10
	v_readfirstlane_b32 s11, v11
	s_waitcnt lgkmcnt(0)
	s_nop 3
	global_store_dword v15, v16, s[10:11]
.LBB562_289:
	s_or_b64 exec, exec, s[6:7]
                                        ; implicit-def: $vgpr15
.LBB562_290:
	s_andn2_saveexec_b64 s[4:5], s[4:5]
	s_cbranch_execz .LBB562_292
; %bb.291:
	v_lshlrev_b32_e32 v16, 2, v0
	ds_read_b32 v16, v16 offset:5120
	v_lshlrev_b32_e32 v15, 2, v15
	v_readfirstlane_b32 s4, v12
	v_readfirstlane_b32 s5, v13
	s_waitcnt lgkmcnt(0)
	s_nop 3
	global_store_dword v15, v16, s[4:5]
.LBB562_292:
	s_or_b64 exec, exec, s[2:3]
	v_or_b32_e32 v15, 0x600, v0
	v_cmp_gt_u32_e32 vcc, s16, v15
	s_and_saveexec_b64 s[2:3], vcc
	s_cbranch_execz .LBB562_301
; %bb.293:
	v_cmp_le_u32_e32 vcc, v6, v15
	s_and_saveexec_b64 s[4:5], vcc
	s_xor_b64 s[4:5], exec, s[4:5]
	s_cbranch_execz .LBB562_299
; %bb.294:
	v_cmp_le_u32_e32 vcc, v14, v15
	s_and_saveexec_b64 s[6:7], vcc
	s_xor_b64 s[6:7], exec, s[6:7]
	s_cbranch_execz .LBB562_296
; %bb.295:
	v_add_co_u32_e32 v16, vcc, v1, v15
	v_lshlrev_b32_e32 v15, 2, v0
	ds_read_b32 v15, v15 offset:6144
	v_addc_co_u32_e32 v17, vcc, 0, v8, vcc
	v_lshlrev_b64 v[16:17], 2, v[16:17]
	v_mov_b32_e32 v18, s9
	v_sub_co_u32_e32 v16, vcc, s8, v16
	v_subb_co_u32_e32 v17, vcc, v18, v17, vcc
	s_waitcnt lgkmcnt(0)
	global_store_dword v[16:17], v15, off
                                        ; implicit-def: $vgpr15
.LBB562_296:
	s_andn2_saveexec_b64 s[6:7], s[6:7]
	s_cbranch_execz .LBB562_298
; %bb.297:
	v_lshlrev_b32_e32 v16, 2, v0
	ds_read_b32 v16, v16 offset:6144
	v_lshlrev_b32_e32 v15, 2, v15
	v_readfirstlane_b32 s10, v10
	v_readfirstlane_b32 s11, v11
	s_waitcnt lgkmcnt(0)
	s_nop 3
	global_store_dword v15, v16, s[10:11]
.LBB562_298:
	s_or_b64 exec, exec, s[6:7]
                                        ; implicit-def: $vgpr15
.LBB562_299:
	s_andn2_saveexec_b64 s[4:5], s[4:5]
	s_cbranch_execz .LBB562_301
; %bb.300:
	v_lshlrev_b32_e32 v16, 2, v0
	ds_read_b32 v16, v16 offset:6144
	v_lshlrev_b32_e32 v15, 2, v15
	v_readfirstlane_b32 s4, v12
	v_readfirstlane_b32 s5, v13
	s_waitcnt lgkmcnt(0)
	s_nop 3
	global_store_dword v15, v16, s[4:5]
.LBB562_301:
	;; [unrolled: 55-line block ×7, first 2 shown]
	s_or_b64 exec, exec, s[2:3]
	v_or_b32_e32 v15, 0xc00, v0
	v_cmp_gt_u32_e32 vcc, s16, v15
	s_and_saveexec_b64 s[2:3], vcc
	s_cbranch_execz .LBB562_355
; %bb.347:
	v_cmp_le_u32_e32 vcc, v6, v15
	s_and_saveexec_b64 s[4:5], vcc
	s_xor_b64 s[4:5], exec, s[4:5]
	s_cbranch_execz .LBB562_353
; %bb.348:
	v_cmp_le_u32_e32 vcc, v14, v15
	s_and_saveexec_b64 s[6:7], vcc
	s_xor_b64 s[6:7], exec, s[6:7]
	s_cbranch_execz .LBB562_350
; %bb.349:
	v_add_co_u32_e32 v10, vcc, v1, v15
	v_lshlrev_b32_e32 v0, 2, v0
	v_addc_co_u32_e32 v11, vcc, 0, v8, vcc
	ds_read_b32 v8, v0 offset:12288
	v_lshlrev_b64 v[0:1], 2, v[10:11]
	v_mov_b32_e32 v10, s9
	v_sub_co_u32_e32 v0, vcc, s8, v0
	v_subb_co_u32_e32 v1, vcc, v10, v1, vcc
	s_waitcnt lgkmcnt(0)
	global_store_dword v[0:1], v8, off
                                        ; implicit-def: $vgpr0
                                        ; implicit-def: $vgpr15
                                        ; implicit-def: $vgpr10_vgpr11
.LBB562_350:
	s_andn2_saveexec_b64 s[6:7], s[6:7]
	s_cbranch_execz .LBB562_352
; %bb.351:
	v_lshlrev_b32_e32 v0, 2, v0
	ds_read_b32 v0, v0 offset:12288
	v_lshlrev_b32_e32 v1, 2, v15
	v_readfirstlane_b32 s8, v10
	v_readfirstlane_b32 s9, v11
	s_waitcnt lgkmcnt(0)
	s_nop 3
	global_store_dword v1, v0, s[8:9]
.LBB562_352:
	s_or_b64 exec, exec, s[6:7]
                                        ; implicit-def: $vgpr0
                                        ; implicit-def: $vgpr15
                                        ; implicit-def: $vgpr12_vgpr13
.LBB562_353:
	s_andn2_saveexec_b64 s[4:5], s[4:5]
	s_cbranch_execz .LBB562_355
; %bb.354:
	v_lshlrev_b32_e32 v0, 2, v0
	ds_read_b32 v0, v0 offset:12288
	v_lshlrev_b32_e32 v1, 2, v15
	v_readfirstlane_b32 s4, v12
	v_readfirstlane_b32 s5, v13
	s_waitcnt lgkmcnt(0)
	s_nop 3
	global_store_dword v1, v0, s[4:5]
.LBB562_355:
	s_or_b64 exec, exec, s[2:3]
	s_and_b64 s[0:1], s[0:1], s[30:31]
	s_and_saveexec_b64 s[2:3], s[0:1]
	s_cbranch_execz .LBB562_132
.LBB562_356:
	v_add_co_u32_e32 v0, vcc, v2, v6
	v_addc_co_u32_e32 v1, vcc, 0, v3, vcc
	v_add_co_u32_e32 v2, vcc, v4, v7
	v_addc_co_u32_e32 v3, vcc, 0, v5, vcc
	v_add_co_u32_e32 v2, vcc, v2, v9
	v_mov_b32_e32 v8, 0
	v_addc_co_u32_e32 v3, vcc, 0, v3, vcc
	global_store_dwordx4 v8, v[0:3], s[28:29]
	s_endpgm
	.section	.rodata,"a",@progbits
	.p2align	6, 0x0
	.amdhsa_kernel _ZN7rocprim17ROCPRIM_400000_NS6detail17trampoline_kernelINS0_13select_configILj256ELj13ELNS0_17block_load_methodE3ELS4_3ELS4_3ELNS0_20block_scan_algorithmE0ELj4294967295EEENS1_25partition_config_selectorILNS1_17partition_subalgoE4EjNS0_10empty_typeEbEEZZNS1_14partition_implILS8_4ELb0ES6_15HIP_vector_typeIjLj2EENS0_17counting_iteratorIjlEEPS9_SG_NS0_5tupleIJPjSI_NS0_16reverse_iteratorISI_EEEEENSH_IJSG_SG_SG_EEES9_SI_JZNS1_25segmented_radix_sort_implINS0_14default_configELb0EPKiPiPKlPlN2at6native12_GLOBAL__N_18offset_tEEE10hipError_tPvRmT1_PNSt15iterator_traitsIS12_E10value_typeET2_T3_PNS13_IS18_E10value_typeET4_jRbjT5_S1E_jjP12ihipStream_tbEUljE_ZNSN_ISO_Lb0ESQ_SR_ST_SU_SY_EESZ_S10_S11_S12_S16_S17_S18_S1B_S1C_jS1D_jS1E_S1E_jjS1G_bEUljE0_EEESZ_S10_S11_S18_S1C_S1E_T6_T7_T9_mT8_S1G_bDpT10_ENKUlT_T0_E_clISt17integral_constantIbLb0EES1T_IbLb1EEEEDaS1P_S1Q_EUlS1P_E_NS1_11comp_targetILNS1_3genE4ELNS1_11target_archE910ELNS1_3gpuE8ELNS1_3repE0EEENS1_30default_config_static_selectorELNS0_4arch9wavefront6targetE1EEEvS12_
		.amdhsa_group_segment_fixed_size 13340
		.amdhsa_private_segment_fixed_size 0
		.amdhsa_kernarg_size 184
		.amdhsa_user_sgpr_count 6
		.amdhsa_user_sgpr_private_segment_buffer 1
		.amdhsa_user_sgpr_dispatch_ptr 0
		.amdhsa_user_sgpr_queue_ptr 0
		.amdhsa_user_sgpr_kernarg_segment_ptr 1
		.amdhsa_user_sgpr_dispatch_id 0
		.amdhsa_user_sgpr_flat_scratch_init 0
		.amdhsa_user_sgpr_kernarg_preload_length 0
		.amdhsa_user_sgpr_kernarg_preload_offset 0
		.amdhsa_user_sgpr_private_segment_size 0
		.amdhsa_uses_dynamic_stack 0
		.amdhsa_system_sgpr_private_segment_wavefront_offset 0
		.amdhsa_system_sgpr_workgroup_id_x 1
		.amdhsa_system_sgpr_workgroup_id_y 0
		.amdhsa_system_sgpr_workgroup_id_z 0
		.amdhsa_system_sgpr_workgroup_info 0
		.amdhsa_system_vgpr_workitem_id 0
		.amdhsa_next_free_vgpr 107
		.amdhsa_next_free_sgpr 87
		.amdhsa_accum_offset 108
		.amdhsa_reserve_vcc 1
		.amdhsa_reserve_flat_scratch 0
		.amdhsa_float_round_mode_32 0
		.amdhsa_float_round_mode_16_64 0
		.amdhsa_float_denorm_mode_32 3
		.amdhsa_float_denorm_mode_16_64 3
		.amdhsa_dx10_clamp 1
		.amdhsa_ieee_mode 1
		.amdhsa_fp16_overflow 0
		.amdhsa_tg_split 0
		.amdhsa_exception_fp_ieee_invalid_op 0
		.amdhsa_exception_fp_denorm_src 0
		.amdhsa_exception_fp_ieee_div_zero 0
		.amdhsa_exception_fp_ieee_overflow 0
		.amdhsa_exception_fp_ieee_underflow 0
		.amdhsa_exception_fp_ieee_inexact 0
		.amdhsa_exception_int_div_zero 0
	.end_amdhsa_kernel
	.section	.text._ZN7rocprim17ROCPRIM_400000_NS6detail17trampoline_kernelINS0_13select_configILj256ELj13ELNS0_17block_load_methodE3ELS4_3ELS4_3ELNS0_20block_scan_algorithmE0ELj4294967295EEENS1_25partition_config_selectorILNS1_17partition_subalgoE4EjNS0_10empty_typeEbEEZZNS1_14partition_implILS8_4ELb0ES6_15HIP_vector_typeIjLj2EENS0_17counting_iteratorIjlEEPS9_SG_NS0_5tupleIJPjSI_NS0_16reverse_iteratorISI_EEEEENSH_IJSG_SG_SG_EEES9_SI_JZNS1_25segmented_radix_sort_implINS0_14default_configELb0EPKiPiPKlPlN2at6native12_GLOBAL__N_18offset_tEEE10hipError_tPvRmT1_PNSt15iterator_traitsIS12_E10value_typeET2_T3_PNS13_IS18_E10value_typeET4_jRbjT5_S1E_jjP12ihipStream_tbEUljE_ZNSN_ISO_Lb0ESQ_SR_ST_SU_SY_EESZ_S10_S11_S12_S16_S17_S18_S1B_S1C_jS1D_jS1E_S1E_jjS1G_bEUljE0_EEESZ_S10_S11_S18_S1C_S1E_T6_T7_T9_mT8_S1G_bDpT10_ENKUlT_T0_E_clISt17integral_constantIbLb0EES1T_IbLb1EEEEDaS1P_S1Q_EUlS1P_E_NS1_11comp_targetILNS1_3genE4ELNS1_11target_archE910ELNS1_3gpuE8ELNS1_3repE0EEENS1_30default_config_static_selectorELNS0_4arch9wavefront6targetE1EEEvS12_,"axG",@progbits,_ZN7rocprim17ROCPRIM_400000_NS6detail17trampoline_kernelINS0_13select_configILj256ELj13ELNS0_17block_load_methodE3ELS4_3ELS4_3ELNS0_20block_scan_algorithmE0ELj4294967295EEENS1_25partition_config_selectorILNS1_17partition_subalgoE4EjNS0_10empty_typeEbEEZZNS1_14partition_implILS8_4ELb0ES6_15HIP_vector_typeIjLj2EENS0_17counting_iteratorIjlEEPS9_SG_NS0_5tupleIJPjSI_NS0_16reverse_iteratorISI_EEEEENSH_IJSG_SG_SG_EEES9_SI_JZNS1_25segmented_radix_sort_implINS0_14default_configELb0EPKiPiPKlPlN2at6native12_GLOBAL__N_18offset_tEEE10hipError_tPvRmT1_PNSt15iterator_traitsIS12_E10value_typeET2_T3_PNS13_IS18_E10value_typeET4_jRbjT5_S1E_jjP12ihipStream_tbEUljE_ZNSN_ISO_Lb0ESQ_SR_ST_SU_SY_EESZ_S10_S11_S12_S16_S17_S18_S1B_S1C_jS1D_jS1E_S1E_jjS1G_bEUljE0_EEESZ_S10_S11_S18_S1C_S1E_T6_T7_T9_mT8_S1G_bDpT10_ENKUlT_T0_E_clISt17integral_constantIbLb0EES1T_IbLb1EEEEDaS1P_S1Q_EUlS1P_E_NS1_11comp_targetILNS1_3genE4ELNS1_11target_archE910ELNS1_3gpuE8ELNS1_3repE0EEENS1_30default_config_static_selectorELNS0_4arch9wavefront6targetE1EEEvS12_,comdat
.Lfunc_end562:
	.size	_ZN7rocprim17ROCPRIM_400000_NS6detail17trampoline_kernelINS0_13select_configILj256ELj13ELNS0_17block_load_methodE3ELS4_3ELS4_3ELNS0_20block_scan_algorithmE0ELj4294967295EEENS1_25partition_config_selectorILNS1_17partition_subalgoE4EjNS0_10empty_typeEbEEZZNS1_14partition_implILS8_4ELb0ES6_15HIP_vector_typeIjLj2EENS0_17counting_iteratorIjlEEPS9_SG_NS0_5tupleIJPjSI_NS0_16reverse_iteratorISI_EEEEENSH_IJSG_SG_SG_EEES9_SI_JZNS1_25segmented_radix_sort_implINS0_14default_configELb0EPKiPiPKlPlN2at6native12_GLOBAL__N_18offset_tEEE10hipError_tPvRmT1_PNSt15iterator_traitsIS12_E10value_typeET2_T3_PNS13_IS18_E10value_typeET4_jRbjT5_S1E_jjP12ihipStream_tbEUljE_ZNSN_ISO_Lb0ESQ_SR_ST_SU_SY_EESZ_S10_S11_S12_S16_S17_S18_S1B_S1C_jS1D_jS1E_S1E_jjS1G_bEUljE0_EEESZ_S10_S11_S18_S1C_S1E_T6_T7_T9_mT8_S1G_bDpT10_ENKUlT_T0_E_clISt17integral_constantIbLb0EES1T_IbLb1EEEEDaS1P_S1Q_EUlS1P_E_NS1_11comp_targetILNS1_3genE4ELNS1_11target_archE910ELNS1_3gpuE8ELNS1_3repE0EEENS1_30default_config_static_selectorELNS0_4arch9wavefront6targetE1EEEvS12_, .Lfunc_end562-_ZN7rocprim17ROCPRIM_400000_NS6detail17trampoline_kernelINS0_13select_configILj256ELj13ELNS0_17block_load_methodE3ELS4_3ELS4_3ELNS0_20block_scan_algorithmE0ELj4294967295EEENS1_25partition_config_selectorILNS1_17partition_subalgoE4EjNS0_10empty_typeEbEEZZNS1_14partition_implILS8_4ELb0ES6_15HIP_vector_typeIjLj2EENS0_17counting_iteratorIjlEEPS9_SG_NS0_5tupleIJPjSI_NS0_16reverse_iteratorISI_EEEEENSH_IJSG_SG_SG_EEES9_SI_JZNS1_25segmented_radix_sort_implINS0_14default_configELb0EPKiPiPKlPlN2at6native12_GLOBAL__N_18offset_tEEE10hipError_tPvRmT1_PNSt15iterator_traitsIS12_E10value_typeET2_T3_PNS13_IS18_E10value_typeET4_jRbjT5_S1E_jjP12ihipStream_tbEUljE_ZNSN_ISO_Lb0ESQ_SR_ST_SU_SY_EESZ_S10_S11_S12_S16_S17_S18_S1B_S1C_jS1D_jS1E_S1E_jjS1G_bEUljE0_EEESZ_S10_S11_S18_S1C_S1E_T6_T7_T9_mT8_S1G_bDpT10_ENKUlT_T0_E_clISt17integral_constantIbLb0EES1T_IbLb1EEEEDaS1P_S1Q_EUlS1P_E_NS1_11comp_targetILNS1_3genE4ELNS1_11target_archE910ELNS1_3gpuE8ELNS1_3repE0EEENS1_30default_config_static_selectorELNS0_4arch9wavefront6targetE1EEEvS12_
                                        ; -- End function
	.section	.AMDGPU.csdata,"",@progbits
; Kernel info:
; codeLenInByte = 13432
; NumSgprs: 91
; NumVgprs: 107
; NumAgprs: 0
; TotalNumVgprs: 107
; ScratchSize: 0
; MemoryBound: 0
; FloatMode: 240
; IeeeMode: 1
; LDSByteSize: 13340 bytes/workgroup (compile time only)
; SGPRBlocks: 11
; VGPRBlocks: 13
; NumSGPRsForWavesPerEU: 91
; NumVGPRsForWavesPerEU: 107
; AccumOffset: 108
; Occupancy: 4
; WaveLimiterHint : 1
; COMPUTE_PGM_RSRC2:SCRATCH_EN: 0
; COMPUTE_PGM_RSRC2:USER_SGPR: 6
; COMPUTE_PGM_RSRC2:TRAP_HANDLER: 0
; COMPUTE_PGM_RSRC2:TGID_X_EN: 1
; COMPUTE_PGM_RSRC2:TGID_Y_EN: 0
; COMPUTE_PGM_RSRC2:TGID_Z_EN: 0
; COMPUTE_PGM_RSRC2:TIDIG_COMP_CNT: 0
; COMPUTE_PGM_RSRC3_GFX90A:ACCUM_OFFSET: 26
; COMPUTE_PGM_RSRC3_GFX90A:TG_SPLIT: 0
	.section	.text._ZN7rocprim17ROCPRIM_400000_NS6detail17trampoline_kernelINS0_13select_configILj256ELj13ELNS0_17block_load_methodE3ELS4_3ELS4_3ELNS0_20block_scan_algorithmE0ELj4294967295EEENS1_25partition_config_selectorILNS1_17partition_subalgoE4EjNS0_10empty_typeEbEEZZNS1_14partition_implILS8_4ELb0ES6_15HIP_vector_typeIjLj2EENS0_17counting_iteratorIjlEEPS9_SG_NS0_5tupleIJPjSI_NS0_16reverse_iteratorISI_EEEEENSH_IJSG_SG_SG_EEES9_SI_JZNS1_25segmented_radix_sort_implINS0_14default_configELb0EPKiPiPKlPlN2at6native12_GLOBAL__N_18offset_tEEE10hipError_tPvRmT1_PNSt15iterator_traitsIS12_E10value_typeET2_T3_PNS13_IS18_E10value_typeET4_jRbjT5_S1E_jjP12ihipStream_tbEUljE_ZNSN_ISO_Lb0ESQ_SR_ST_SU_SY_EESZ_S10_S11_S12_S16_S17_S18_S1B_S1C_jS1D_jS1E_S1E_jjS1G_bEUljE0_EEESZ_S10_S11_S18_S1C_S1E_T6_T7_T9_mT8_S1G_bDpT10_ENKUlT_T0_E_clISt17integral_constantIbLb0EES1T_IbLb1EEEEDaS1P_S1Q_EUlS1P_E_NS1_11comp_targetILNS1_3genE3ELNS1_11target_archE908ELNS1_3gpuE7ELNS1_3repE0EEENS1_30default_config_static_selectorELNS0_4arch9wavefront6targetE1EEEvS12_,"axG",@progbits,_ZN7rocprim17ROCPRIM_400000_NS6detail17trampoline_kernelINS0_13select_configILj256ELj13ELNS0_17block_load_methodE3ELS4_3ELS4_3ELNS0_20block_scan_algorithmE0ELj4294967295EEENS1_25partition_config_selectorILNS1_17partition_subalgoE4EjNS0_10empty_typeEbEEZZNS1_14partition_implILS8_4ELb0ES6_15HIP_vector_typeIjLj2EENS0_17counting_iteratorIjlEEPS9_SG_NS0_5tupleIJPjSI_NS0_16reverse_iteratorISI_EEEEENSH_IJSG_SG_SG_EEES9_SI_JZNS1_25segmented_radix_sort_implINS0_14default_configELb0EPKiPiPKlPlN2at6native12_GLOBAL__N_18offset_tEEE10hipError_tPvRmT1_PNSt15iterator_traitsIS12_E10value_typeET2_T3_PNS13_IS18_E10value_typeET4_jRbjT5_S1E_jjP12ihipStream_tbEUljE_ZNSN_ISO_Lb0ESQ_SR_ST_SU_SY_EESZ_S10_S11_S12_S16_S17_S18_S1B_S1C_jS1D_jS1E_S1E_jjS1G_bEUljE0_EEESZ_S10_S11_S18_S1C_S1E_T6_T7_T9_mT8_S1G_bDpT10_ENKUlT_T0_E_clISt17integral_constantIbLb0EES1T_IbLb1EEEEDaS1P_S1Q_EUlS1P_E_NS1_11comp_targetILNS1_3genE3ELNS1_11target_archE908ELNS1_3gpuE7ELNS1_3repE0EEENS1_30default_config_static_selectorELNS0_4arch9wavefront6targetE1EEEvS12_,comdat
	.globl	_ZN7rocprim17ROCPRIM_400000_NS6detail17trampoline_kernelINS0_13select_configILj256ELj13ELNS0_17block_load_methodE3ELS4_3ELS4_3ELNS0_20block_scan_algorithmE0ELj4294967295EEENS1_25partition_config_selectorILNS1_17partition_subalgoE4EjNS0_10empty_typeEbEEZZNS1_14partition_implILS8_4ELb0ES6_15HIP_vector_typeIjLj2EENS0_17counting_iteratorIjlEEPS9_SG_NS0_5tupleIJPjSI_NS0_16reverse_iteratorISI_EEEEENSH_IJSG_SG_SG_EEES9_SI_JZNS1_25segmented_radix_sort_implINS0_14default_configELb0EPKiPiPKlPlN2at6native12_GLOBAL__N_18offset_tEEE10hipError_tPvRmT1_PNSt15iterator_traitsIS12_E10value_typeET2_T3_PNS13_IS18_E10value_typeET4_jRbjT5_S1E_jjP12ihipStream_tbEUljE_ZNSN_ISO_Lb0ESQ_SR_ST_SU_SY_EESZ_S10_S11_S12_S16_S17_S18_S1B_S1C_jS1D_jS1E_S1E_jjS1G_bEUljE0_EEESZ_S10_S11_S18_S1C_S1E_T6_T7_T9_mT8_S1G_bDpT10_ENKUlT_T0_E_clISt17integral_constantIbLb0EES1T_IbLb1EEEEDaS1P_S1Q_EUlS1P_E_NS1_11comp_targetILNS1_3genE3ELNS1_11target_archE908ELNS1_3gpuE7ELNS1_3repE0EEENS1_30default_config_static_selectorELNS0_4arch9wavefront6targetE1EEEvS12_ ; -- Begin function _ZN7rocprim17ROCPRIM_400000_NS6detail17trampoline_kernelINS0_13select_configILj256ELj13ELNS0_17block_load_methodE3ELS4_3ELS4_3ELNS0_20block_scan_algorithmE0ELj4294967295EEENS1_25partition_config_selectorILNS1_17partition_subalgoE4EjNS0_10empty_typeEbEEZZNS1_14partition_implILS8_4ELb0ES6_15HIP_vector_typeIjLj2EENS0_17counting_iteratorIjlEEPS9_SG_NS0_5tupleIJPjSI_NS0_16reverse_iteratorISI_EEEEENSH_IJSG_SG_SG_EEES9_SI_JZNS1_25segmented_radix_sort_implINS0_14default_configELb0EPKiPiPKlPlN2at6native12_GLOBAL__N_18offset_tEEE10hipError_tPvRmT1_PNSt15iterator_traitsIS12_E10value_typeET2_T3_PNS13_IS18_E10value_typeET4_jRbjT5_S1E_jjP12ihipStream_tbEUljE_ZNSN_ISO_Lb0ESQ_SR_ST_SU_SY_EESZ_S10_S11_S12_S16_S17_S18_S1B_S1C_jS1D_jS1E_S1E_jjS1G_bEUljE0_EEESZ_S10_S11_S18_S1C_S1E_T6_T7_T9_mT8_S1G_bDpT10_ENKUlT_T0_E_clISt17integral_constantIbLb0EES1T_IbLb1EEEEDaS1P_S1Q_EUlS1P_E_NS1_11comp_targetILNS1_3genE3ELNS1_11target_archE908ELNS1_3gpuE7ELNS1_3repE0EEENS1_30default_config_static_selectorELNS0_4arch9wavefront6targetE1EEEvS12_
	.p2align	8
	.type	_ZN7rocprim17ROCPRIM_400000_NS6detail17trampoline_kernelINS0_13select_configILj256ELj13ELNS0_17block_load_methodE3ELS4_3ELS4_3ELNS0_20block_scan_algorithmE0ELj4294967295EEENS1_25partition_config_selectorILNS1_17partition_subalgoE4EjNS0_10empty_typeEbEEZZNS1_14partition_implILS8_4ELb0ES6_15HIP_vector_typeIjLj2EENS0_17counting_iteratorIjlEEPS9_SG_NS0_5tupleIJPjSI_NS0_16reverse_iteratorISI_EEEEENSH_IJSG_SG_SG_EEES9_SI_JZNS1_25segmented_radix_sort_implINS0_14default_configELb0EPKiPiPKlPlN2at6native12_GLOBAL__N_18offset_tEEE10hipError_tPvRmT1_PNSt15iterator_traitsIS12_E10value_typeET2_T3_PNS13_IS18_E10value_typeET4_jRbjT5_S1E_jjP12ihipStream_tbEUljE_ZNSN_ISO_Lb0ESQ_SR_ST_SU_SY_EESZ_S10_S11_S12_S16_S17_S18_S1B_S1C_jS1D_jS1E_S1E_jjS1G_bEUljE0_EEESZ_S10_S11_S18_S1C_S1E_T6_T7_T9_mT8_S1G_bDpT10_ENKUlT_T0_E_clISt17integral_constantIbLb0EES1T_IbLb1EEEEDaS1P_S1Q_EUlS1P_E_NS1_11comp_targetILNS1_3genE3ELNS1_11target_archE908ELNS1_3gpuE7ELNS1_3repE0EEENS1_30default_config_static_selectorELNS0_4arch9wavefront6targetE1EEEvS12_,@function
_ZN7rocprim17ROCPRIM_400000_NS6detail17trampoline_kernelINS0_13select_configILj256ELj13ELNS0_17block_load_methodE3ELS4_3ELS4_3ELNS0_20block_scan_algorithmE0ELj4294967295EEENS1_25partition_config_selectorILNS1_17partition_subalgoE4EjNS0_10empty_typeEbEEZZNS1_14partition_implILS8_4ELb0ES6_15HIP_vector_typeIjLj2EENS0_17counting_iteratorIjlEEPS9_SG_NS0_5tupleIJPjSI_NS0_16reverse_iteratorISI_EEEEENSH_IJSG_SG_SG_EEES9_SI_JZNS1_25segmented_radix_sort_implINS0_14default_configELb0EPKiPiPKlPlN2at6native12_GLOBAL__N_18offset_tEEE10hipError_tPvRmT1_PNSt15iterator_traitsIS12_E10value_typeET2_T3_PNS13_IS18_E10value_typeET4_jRbjT5_S1E_jjP12ihipStream_tbEUljE_ZNSN_ISO_Lb0ESQ_SR_ST_SU_SY_EESZ_S10_S11_S12_S16_S17_S18_S1B_S1C_jS1D_jS1E_S1E_jjS1G_bEUljE0_EEESZ_S10_S11_S18_S1C_S1E_T6_T7_T9_mT8_S1G_bDpT10_ENKUlT_T0_E_clISt17integral_constantIbLb0EES1T_IbLb1EEEEDaS1P_S1Q_EUlS1P_E_NS1_11comp_targetILNS1_3genE3ELNS1_11target_archE908ELNS1_3gpuE7ELNS1_3repE0EEENS1_30default_config_static_selectorELNS0_4arch9wavefront6targetE1EEEvS12_: ; @_ZN7rocprim17ROCPRIM_400000_NS6detail17trampoline_kernelINS0_13select_configILj256ELj13ELNS0_17block_load_methodE3ELS4_3ELS4_3ELNS0_20block_scan_algorithmE0ELj4294967295EEENS1_25partition_config_selectorILNS1_17partition_subalgoE4EjNS0_10empty_typeEbEEZZNS1_14partition_implILS8_4ELb0ES6_15HIP_vector_typeIjLj2EENS0_17counting_iteratorIjlEEPS9_SG_NS0_5tupleIJPjSI_NS0_16reverse_iteratorISI_EEEEENSH_IJSG_SG_SG_EEES9_SI_JZNS1_25segmented_radix_sort_implINS0_14default_configELb0EPKiPiPKlPlN2at6native12_GLOBAL__N_18offset_tEEE10hipError_tPvRmT1_PNSt15iterator_traitsIS12_E10value_typeET2_T3_PNS13_IS18_E10value_typeET4_jRbjT5_S1E_jjP12ihipStream_tbEUljE_ZNSN_ISO_Lb0ESQ_SR_ST_SU_SY_EESZ_S10_S11_S12_S16_S17_S18_S1B_S1C_jS1D_jS1E_S1E_jjS1G_bEUljE0_EEESZ_S10_S11_S18_S1C_S1E_T6_T7_T9_mT8_S1G_bDpT10_ENKUlT_T0_E_clISt17integral_constantIbLb0EES1T_IbLb1EEEEDaS1P_S1Q_EUlS1P_E_NS1_11comp_targetILNS1_3genE3ELNS1_11target_archE908ELNS1_3gpuE7ELNS1_3repE0EEENS1_30default_config_static_selectorELNS0_4arch9wavefront6targetE1EEEvS12_
; %bb.0:
	.section	.rodata,"a",@progbits
	.p2align	6, 0x0
	.amdhsa_kernel _ZN7rocprim17ROCPRIM_400000_NS6detail17trampoline_kernelINS0_13select_configILj256ELj13ELNS0_17block_load_methodE3ELS4_3ELS4_3ELNS0_20block_scan_algorithmE0ELj4294967295EEENS1_25partition_config_selectorILNS1_17partition_subalgoE4EjNS0_10empty_typeEbEEZZNS1_14partition_implILS8_4ELb0ES6_15HIP_vector_typeIjLj2EENS0_17counting_iteratorIjlEEPS9_SG_NS0_5tupleIJPjSI_NS0_16reverse_iteratorISI_EEEEENSH_IJSG_SG_SG_EEES9_SI_JZNS1_25segmented_radix_sort_implINS0_14default_configELb0EPKiPiPKlPlN2at6native12_GLOBAL__N_18offset_tEEE10hipError_tPvRmT1_PNSt15iterator_traitsIS12_E10value_typeET2_T3_PNS13_IS18_E10value_typeET4_jRbjT5_S1E_jjP12ihipStream_tbEUljE_ZNSN_ISO_Lb0ESQ_SR_ST_SU_SY_EESZ_S10_S11_S12_S16_S17_S18_S1B_S1C_jS1D_jS1E_S1E_jjS1G_bEUljE0_EEESZ_S10_S11_S18_S1C_S1E_T6_T7_T9_mT8_S1G_bDpT10_ENKUlT_T0_E_clISt17integral_constantIbLb0EES1T_IbLb1EEEEDaS1P_S1Q_EUlS1P_E_NS1_11comp_targetILNS1_3genE3ELNS1_11target_archE908ELNS1_3gpuE7ELNS1_3repE0EEENS1_30default_config_static_selectorELNS0_4arch9wavefront6targetE1EEEvS12_
		.amdhsa_group_segment_fixed_size 0
		.amdhsa_private_segment_fixed_size 0
		.amdhsa_kernarg_size 184
		.amdhsa_user_sgpr_count 6
		.amdhsa_user_sgpr_private_segment_buffer 1
		.amdhsa_user_sgpr_dispatch_ptr 0
		.amdhsa_user_sgpr_queue_ptr 0
		.amdhsa_user_sgpr_kernarg_segment_ptr 1
		.amdhsa_user_sgpr_dispatch_id 0
		.amdhsa_user_sgpr_flat_scratch_init 0
		.amdhsa_user_sgpr_kernarg_preload_length 0
		.amdhsa_user_sgpr_kernarg_preload_offset 0
		.amdhsa_user_sgpr_private_segment_size 0
		.amdhsa_uses_dynamic_stack 0
		.amdhsa_system_sgpr_private_segment_wavefront_offset 0
		.amdhsa_system_sgpr_workgroup_id_x 1
		.amdhsa_system_sgpr_workgroup_id_y 0
		.amdhsa_system_sgpr_workgroup_id_z 0
		.amdhsa_system_sgpr_workgroup_info 0
		.amdhsa_system_vgpr_workitem_id 0
		.amdhsa_next_free_vgpr 1
		.amdhsa_next_free_sgpr 0
		.amdhsa_accum_offset 4
		.amdhsa_reserve_vcc 0
		.amdhsa_reserve_flat_scratch 0
		.amdhsa_float_round_mode_32 0
		.amdhsa_float_round_mode_16_64 0
		.amdhsa_float_denorm_mode_32 3
		.amdhsa_float_denorm_mode_16_64 3
		.amdhsa_dx10_clamp 1
		.amdhsa_ieee_mode 1
		.amdhsa_fp16_overflow 0
		.amdhsa_tg_split 0
		.amdhsa_exception_fp_ieee_invalid_op 0
		.amdhsa_exception_fp_denorm_src 0
		.amdhsa_exception_fp_ieee_div_zero 0
		.amdhsa_exception_fp_ieee_overflow 0
		.amdhsa_exception_fp_ieee_underflow 0
		.amdhsa_exception_fp_ieee_inexact 0
		.amdhsa_exception_int_div_zero 0
	.end_amdhsa_kernel
	.section	.text._ZN7rocprim17ROCPRIM_400000_NS6detail17trampoline_kernelINS0_13select_configILj256ELj13ELNS0_17block_load_methodE3ELS4_3ELS4_3ELNS0_20block_scan_algorithmE0ELj4294967295EEENS1_25partition_config_selectorILNS1_17partition_subalgoE4EjNS0_10empty_typeEbEEZZNS1_14partition_implILS8_4ELb0ES6_15HIP_vector_typeIjLj2EENS0_17counting_iteratorIjlEEPS9_SG_NS0_5tupleIJPjSI_NS0_16reverse_iteratorISI_EEEEENSH_IJSG_SG_SG_EEES9_SI_JZNS1_25segmented_radix_sort_implINS0_14default_configELb0EPKiPiPKlPlN2at6native12_GLOBAL__N_18offset_tEEE10hipError_tPvRmT1_PNSt15iterator_traitsIS12_E10value_typeET2_T3_PNS13_IS18_E10value_typeET4_jRbjT5_S1E_jjP12ihipStream_tbEUljE_ZNSN_ISO_Lb0ESQ_SR_ST_SU_SY_EESZ_S10_S11_S12_S16_S17_S18_S1B_S1C_jS1D_jS1E_S1E_jjS1G_bEUljE0_EEESZ_S10_S11_S18_S1C_S1E_T6_T7_T9_mT8_S1G_bDpT10_ENKUlT_T0_E_clISt17integral_constantIbLb0EES1T_IbLb1EEEEDaS1P_S1Q_EUlS1P_E_NS1_11comp_targetILNS1_3genE3ELNS1_11target_archE908ELNS1_3gpuE7ELNS1_3repE0EEENS1_30default_config_static_selectorELNS0_4arch9wavefront6targetE1EEEvS12_,"axG",@progbits,_ZN7rocprim17ROCPRIM_400000_NS6detail17trampoline_kernelINS0_13select_configILj256ELj13ELNS0_17block_load_methodE3ELS4_3ELS4_3ELNS0_20block_scan_algorithmE0ELj4294967295EEENS1_25partition_config_selectorILNS1_17partition_subalgoE4EjNS0_10empty_typeEbEEZZNS1_14partition_implILS8_4ELb0ES6_15HIP_vector_typeIjLj2EENS0_17counting_iteratorIjlEEPS9_SG_NS0_5tupleIJPjSI_NS0_16reverse_iteratorISI_EEEEENSH_IJSG_SG_SG_EEES9_SI_JZNS1_25segmented_radix_sort_implINS0_14default_configELb0EPKiPiPKlPlN2at6native12_GLOBAL__N_18offset_tEEE10hipError_tPvRmT1_PNSt15iterator_traitsIS12_E10value_typeET2_T3_PNS13_IS18_E10value_typeET4_jRbjT5_S1E_jjP12ihipStream_tbEUljE_ZNSN_ISO_Lb0ESQ_SR_ST_SU_SY_EESZ_S10_S11_S12_S16_S17_S18_S1B_S1C_jS1D_jS1E_S1E_jjS1G_bEUljE0_EEESZ_S10_S11_S18_S1C_S1E_T6_T7_T9_mT8_S1G_bDpT10_ENKUlT_T0_E_clISt17integral_constantIbLb0EES1T_IbLb1EEEEDaS1P_S1Q_EUlS1P_E_NS1_11comp_targetILNS1_3genE3ELNS1_11target_archE908ELNS1_3gpuE7ELNS1_3repE0EEENS1_30default_config_static_selectorELNS0_4arch9wavefront6targetE1EEEvS12_,comdat
.Lfunc_end563:
	.size	_ZN7rocprim17ROCPRIM_400000_NS6detail17trampoline_kernelINS0_13select_configILj256ELj13ELNS0_17block_load_methodE3ELS4_3ELS4_3ELNS0_20block_scan_algorithmE0ELj4294967295EEENS1_25partition_config_selectorILNS1_17partition_subalgoE4EjNS0_10empty_typeEbEEZZNS1_14partition_implILS8_4ELb0ES6_15HIP_vector_typeIjLj2EENS0_17counting_iteratorIjlEEPS9_SG_NS0_5tupleIJPjSI_NS0_16reverse_iteratorISI_EEEEENSH_IJSG_SG_SG_EEES9_SI_JZNS1_25segmented_radix_sort_implINS0_14default_configELb0EPKiPiPKlPlN2at6native12_GLOBAL__N_18offset_tEEE10hipError_tPvRmT1_PNSt15iterator_traitsIS12_E10value_typeET2_T3_PNS13_IS18_E10value_typeET4_jRbjT5_S1E_jjP12ihipStream_tbEUljE_ZNSN_ISO_Lb0ESQ_SR_ST_SU_SY_EESZ_S10_S11_S12_S16_S17_S18_S1B_S1C_jS1D_jS1E_S1E_jjS1G_bEUljE0_EEESZ_S10_S11_S18_S1C_S1E_T6_T7_T9_mT8_S1G_bDpT10_ENKUlT_T0_E_clISt17integral_constantIbLb0EES1T_IbLb1EEEEDaS1P_S1Q_EUlS1P_E_NS1_11comp_targetILNS1_3genE3ELNS1_11target_archE908ELNS1_3gpuE7ELNS1_3repE0EEENS1_30default_config_static_selectorELNS0_4arch9wavefront6targetE1EEEvS12_, .Lfunc_end563-_ZN7rocprim17ROCPRIM_400000_NS6detail17trampoline_kernelINS0_13select_configILj256ELj13ELNS0_17block_load_methodE3ELS4_3ELS4_3ELNS0_20block_scan_algorithmE0ELj4294967295EEENS1_25partition_config_selectorILNS1_17partition_subalgoE4EjNS0_10empty_typeEbEEZZNS1_14partition_implILS8_4ELb0ES6_15HIP_vector_typeIjLj2EENS0_17counting_iteratorIjlEEPS9_SG_NS0_5tupleIJPjSI_NS0_16reverse_iteratorISI_EEEEENSH_IJSG_SG_SG_EEES9_SI_JZNS1_25segmented_radix_sort_implINS0_14default_configELb0EPKiPiPKlPlN2at6native12_GLOBAL__N_18offset_tEEE10hipError_tPvRmT1_PNSt15iterator_traitsIS12_E10value_typeET2_T3_PNS13_IS18_E10value_typeET4_jRbjT5_S1E_jjP12ihipStream_tbEUljE_ZNSN_ISO_Lb0ESQ_SR_ST_SU_SY_EESZ_S10_S11_S12_S16_S17_S18_S1B_S1C_jS1D_jS1E_S1E_jjS1G_bEUljE0_EEESZ_S10_S11_S18_S1C_S1E_T6_T7_T9_mT8_S1G_bDpT10_ENKUlT_T0_E_clISt17integral_constantIbLb0EES1T_IbLb1EEEEDaS1P_S1Q_EUlS1P_E_NS1_11comp_targetILNS1_3genE3ELNS1_11target_archE908ELNS1_3gpuE7ELNS1_3repE0EEENS1_30default_config_static_selectorELNS0_4arch9wavefront6targetE1EEEvS12_
                                        ; -- End function
	.section	.AMDGPU.csdata,"",@progbits
; Kernel info:
; codeLenInByte = 0
; NumSgprs: 4
; NumVgprs: 0
; NumAgprs: 0
; TotalNumVgprs: 0
; ScratchSize: 0
; MemoryBound: 0
; FloatMode: 240
; IeeeMode: 1
; LDSByteSize: 0 bytes/workgroup (compile time only)
; SGPRBlocks: 0
; VGPRBlocks: 0
; NumSGPRsForWavesPerEU: 4
; NumVGPRsForWavesPerEU: 1
; AccumOffset: 4
; Occupancy: 8
; WaveLimiterHint : 0
; COMPUTE_PGM_RSRC2:SCRATCH_EN: 0
; COMPUTE_PGM_RSRC2:USER_SGPR: 6
; COMPUTE_PGM_RSRC2:TRAP_HANDLER: 0
; COMPUTE_PGM_RSRC2:TGID_X_EN: 1
; COMPUTE_PGM_RSRC2:TGID_Y_EN: 0
; COMPUTE_PGM_RSRC2:TGID_Z_EN: 0
; COMPUTE_PGM_RSRC2:TIDIG_COMP_CNT: 0
; COMPUTE_PGM_RSRC3_GFX90A:ACCUM_OFFSET: 0
; COMPUTE_PGM_RSRC3_GFX90A:TG_SPLIT: 0
	.section	.text._ZN7rocprim17ROCPRIM_400000_NS6detail17trampoline_kernelINS0_13select_configILj256ELj13ELNS0_17block_load_methodE3ELS4_3ELS4_3ELNS0_20block_scan_algorithmE0ELj4294967295EEENS1_25partition_config_selectorILNS1_17partition_subalgoE4EjNS0_10empty_typeEbEEZZNS1_14partition_implILS8_4ELb0ES6_15HIP_vector_typeIjLj2EENS0_17counting_iteratorIjlEEPS9_SG_NS0_5tupleIJPjSI_NS0_16reverse_iteratorISI_EEEEENSH_IJSG_SG_SG_EEES9_SI_JZNS1_25segmented_radix_sort_implINS0_14default_configELb0EPKiPiPKlPlN2at6native12_GLOBAL__N_18offset_tEEE10hipError_tPvRmT1_PNSt15iterator_traitsIS12_E10value_typeET2_T3_PNS13_IS18_E10value_typeET4_jRbjT5_S1E_jjP12ihipStream_tbEUljE_ZNSN_ISO_Lb0ESQ_SR_ST_SU_SY_EESZ_S10_S11_S12_S16_S17_S18_S1B_S1C_jS1D_jS1E_S1E_jjS1G_bEUljE0_EEESZ_S10_S11_S18_S1C_S1E_T6_T7_T9_mT8_S1G_bDpT10_ENKUlT_T0_E_clISt17integral_constantIbLb0EES1T_IbLb1EEEEDaS1P_S1Q_EUlS1P_E_NS1_11comp_targetILNS1_3genE2ELNS1_11target_archE906ELNS1_3gpuE6ELNS1_3repE0EEENS1_30default_config_static_selectorELNS0_4arch9wavefront6targetE1EEEvS12_,"axG",@progbits,_ZN7rocprim17ROCPRIM_400000_NS6detail17trampoline_kernelINS0_13select_configILj256ELj13ELNS0_17block_load_methodE3ELS4_3ELS4_3ELNS0_20block_scan_algorithmE0ELj4294967295EEENS1_25partition_config_selectorILNS1_17partition_subalgoE4EjNS0_10empty_typeEbEEZZNS1_14partition_implILS8_4ELb0ES6_15HIP_vector_typeIjLj2EENS0_17counting_iteratorIjlEEPS9_SG_NS0_5tupleIJPjSI_NS0_16reverse_iteratorISI_EEEEENSH_IJSG_SG_SG_EEES9_SI_JZNS1_25segmented_radix_sort_implINS0_14default_configELb0EPKiPiPKlPlN2at6native12_GLOBAL__N_18offset_tEEE10hipError_tPvRmT1_PNSt15iterator_traitsIS12_E10value_typeET2_T3_PNS13_IS18_E10value_typeET4_jRbjT5_S1E_jjP12ihipStream_tbEUljE_ZNSN_ISO_Lb0ESQ_SR_ST_SU_SY_EESZ_S10_S11_S12_S16_S17_S18_S1B_S1C_jS1D_jS1E_S1E_jjS1G_bEUljE0_EEESZ_S10_S11_S18_S1C_S1E_T6_T7_T9_mT8_S1G_bDpT10_ENKUlT_T0_E_clISt17integral_constantIbLb0EES1T_IbLb1EEEEDaS1P_S1Q_EUlS1P_E_NS1_11comp_targetILNS1_3genE2ELNS1_11target_archE906ELNS1_3gpuE6ELNS1_3repE0EEENS1_30default_config_static_selectorELNS0_4arch9wavefront6targetE1EEEvS12_,comdat
	.globl	_ZN7rocprim17ROCPRIM_400000_NS6detail17trampoline_kernelINS0_13select_configILj256ELj13ELNS0_17block_load_methodE3ELS4_3ELS4_3ELNS0_20block_scan_algorithmE0ELj4294967295EEENS1_25partition_config_selectorILNS1_17partition_subalgoE4EjNS0_10empty_typeEbEEZZNS1_14partition_implILS8_4ELb0ES6_15HIP_vector_typeIjLj2EENS0_17counting_iteratorIjlEEPS9_SG_NS0_5tupleIJPjSI_NS0_16reverse_iteratorISI_EEEEENSH_IJSG_SG_SG_EEES9_SI_JZNS1_25segmented_radix_sort_implINS0_14default_configELb0EPKiPiPKlPlN2at6native12_GLOBAL__N_18offset_tEEE10hipError_tPvRmT1_PNSt15iterator_traitsIS12_E10value_typeET2_T3_PNS13_IS18_E10value_typeET4_jRbjT5_S1E_jjP12ihipStream_tbEUljE_ZNSN_ISO_Lb0ESQ_SR_ST_SU_SY_EESZ_S10_S11_S12_S16_S17_S18_S1B_S1C_jS1D_jS1E_S1E_jjS1G_bEUljE0_EEESZ_S10_S11_S18_S1C_S1E_T6_T7_T9_mT8_S1G_bDpT10_ENKUlT_T0_E_clISt17integral_constantIbLb0EES1T_IbLb1EEEEDaS1P_S1Q_EUlS1P_E_NS1_11comp_targetILNS1_3genE2ELNS1_11target_archE906ELNS1_3gpuE6ELNS1_3repE0EEENS1_30default_config_static_selectorELNS0_4arch9wavefront6targetE1EEEvS12_ ; -- Begin function _ZN7rocprim17ROCPRIM_400000_NS6detail17trampoline_kernelINS0_13select_configILj256ELj13ELNS0_17block_load_methodE3ELS4_3ELS4_3ELNS0_20block_scan_algorithmE0ELj4294967295EEENS1_25partition_config_selectorILNS1_17partition_subalgoE4EjNS0_10empty_typeEbEEZZNS1_14partition_implILS8_4ELb0ES6_15HIP_vector_typeIjLj2EENS0_17counting_iteratorIjlEEPS9_SG_NS0_5tupleIJPjSI_NS0_16reverse_iteratorISI_EEEEENSH_IJSG_SG_SG_EEES9_SI_JZNS1_25segmented_radix_sort_implINS0_14default_configELb0EPKiPiPKlPlN2at6native12_GLOBAL__N_18offset_tEEE10hipError_tPvRmT1_PNSt15iterator_traitsIS12_E10value_typeET2_T3_PNS13_IS18_E10value_typeET4_jRbjT5_S1E_jjP12ihipStream_tbEUljE_ZNSN_ISO_Lb0ESQ_SR_ST_SU_SY_EESZ_S10_S11_S12_S16_S17_S18_S1B_S1C_jS1D_jS1E_S1E_jjS1G_bEUljE0_EEESZ_S10_S11_S18_S1C_S1E_T6_T7_T9_mT8_S1G_bDpT10_ENKUlT_T0_E_clISt17integral_constantIbLb0EES1T_IbLb1EEEEDaS1P_S1Q_EUlS1P_E_NS1_11comp_targetILNS1_3genE2ELNS1_11target_archE906ELNS1_3gpuE6ELNS1_3repE0EEENS1_30default_config_static_selectorELNS0_4arch9wavefront6targetE1EEEvS12_
	.p2align	8
	.type	_ZN7rocprim17ROCPRIM_400000_NS6detail17trampoline_kernelINS0_13select_configILj256ELj13ELNS0_17block_load_methodE3ELS4_3ELS4_3ELNS0_20block_scan_algorithmE0ELj4294967295EEENS1_25partition_config_selectorILNS1_17partition_subalgoE4EjNS0_10empty_typeEbEEZZNS1_14partition_implILS8_4ELb0ES6_15HIP_vector_typeIjLj2EENS0_17counting_iteratorIjlEEPS9_SG_NS0_5tupleIJPjSI_NS0_16reverse_iteratorISI_EEEEENSH_IJSG_SG_SG_EEES9_SI_JZNS1_25segmented_radix_sort_implINS0_14default_configELb0EPKiPiPKlPlN2at6native12_GLOBAL__N_18offset_tEEE10hipError_tPvRmT1_PNSt15iterator_traitsIS12_E10value_typeET2_T3_PNS13_IS18_E10value_typeET4_jRbjT5_S1E_jjP12ihipStream_tbEUljE_ZNSN_ISO_Lb0ESQ_SR_ST_SU_SY_EESZ_S10_S11_S12_S16_S17_S18_S1B_S1C_jS1D_jS1E_S1E_jjS1G_bEUljE0_EEESZ_S10_S11_S18_S1C_S1E_T6_T7_T9_mT8_S1G_bDpT10_ENKUlT_T0_E_clISt17integral_constantIbLb0EES1T_IbLb1EEEEDaS1P_S1Q_EUlS1P_E_NS1_11comp_targetILNS1_3genE2ELNS1_11target_archE906ELNS1_3gpuE6ELNS1_3repE0EEENS1_30default_config_static_selectorELNS0_4arch9wavefront6targetE1EEEvS12_,@function
_ZN7rocprim17ROCPRIM_400000_NS6detail17trampoline_kernelINS0_13select_configILj256ELj13ELNS0_17block_load_methodE3ELS4_3ELS4_3ELNS0_20block_scan_algorithmE0ELj4294967295EEENS1_25partition_config_selectorILNS1_17partition_subalgoE4EjNS0_10empty_typeEbEEZZNS1_14partition_implILS8_4ELb0ES6_15HIP_vector_typeIjLj2EENS0_17counting_iteratorIjlEEPS9_SG_NS0_5tupleIJPjSI_NS0_16reverse_iteratorISI_EEEEENSH_IJSG_SG_SG_EEES9_SI_JZNS1_25segmented_radix_sort_implINS0_14default_configELb0EPKiPiPKlPlN2at6native12_GLOBAL__N_18offset_tEEE10hipError_tPvRmT1_PNSt15iterator_traitsIS12_E10value_typeET2_T3_PNS13_IS18_E10value_typeET4_jRbjT5_S1E_jjP12ihipStream_tbEUljE_ZNSN_ISO_Lb0ESQ_SR_ST_SU_SY_EESZ_S10_S11_S12_S16_S17_S18_S1B_S1C_jS1D_jS1E_S1E_jjS1G_bEUljE0_EEESZ_S10_S11_S18_S1C_S1E_T6_T7_T9_mT8_S1G_bDpT10_ENKUlT_T0_E_clISt17integral_constantIbLb0EES1T_IbLb1EEEEDaS1P_S1Q_EUlS1P_E_NS1_11comp_targetILNS1_3genE2ELNS1_11target_archE906ELNS1_3gpuE6ELNS1_3repE0EEENS1_30default_config_static_selectorELNS0_4arch9wavefront6targetE1EEEvS12_: ; @_ZN7rocprim17ROCPRIM_400000_NS6detail17trampoline_kernelINS0_13select_configILj256ELj13ELNS0_17block_load_methodE3ELS4_3ELS4_3ELNS0_20block_scan_algorithmE0ELj4294967295EEENS1_25partition_config_selectorILNS1_17partition_subalgoE4EjNS0_10empty_typeEbEEZZNS1_14partition_implILS8_4ELb0ES6_15HIP_vector_typeIjLj2EENS0_17counting_iteratorIjlEEPS9_SG_NS0_5tupleIJPjSI_NS0_16reverse_iteratorISI_EEEEENSH_IJSG_SG_SG_EEES9_SI_JZNS1_25segmented_radix_sort_implINS0_14default_configELb0EPKiPiPKlPlN2at6native12_GLOBAL__N_18offset_tEEE10hipError_tPvRmT1_PNSt15iterator_traitsIS12_E10value_typeET2_T3_PNS13_IS18_E10value_typeET4_jRbjT5_S1E_jjP12ihipStream_tbEUljE_ZNSN_ISO_Lb0ESQ_SR_ST_SU_SY_EESZ_S10_S11_S12_S16_S17_S18_S1B_S1C_jS1D_jS1E_S1E_jjS1G_bEUljE0_EEESZ_S10_S11_S18_S1C_S1E_T6_T7_T9_mT8_S1G_bDpT10_ENKUlT_T0_E_clISt17integral_constantIbLb0EES1T_IbLb1EEEEDaS1P_S1Q_EUlS1P_E_NS1_11comp_targetILNS1_3genE2ELNS1_11target_archE906ELNS1_3gpuE6ELNS1_3repE0EEENS1_30default_config_static_selectorELNS0_4arch9wavefront6targetE1EEEvS12_
; %bb.0:
	.section	.rodata,"a",@progbits
	.p2align	6, 0x0
	.amdhsa_kernel _ZN7rocprim17ROCPRIM_400000_NS6detail17trampoline_kernelINS0_13select_configILj256ELj13ELNS0_17block_load_methodE3ELS4_3ELS4_3ELNS0_20block_scan_algorithmE0ELj4294967295EEENS1_25partition_config_selectorILNS1_17partition_subalgoE4EjNS0_10empty_typeEbEEZZNS1_14partition_implILS8_4ELb0ES6_15HIP_vector_typeIjLj2EENS0_17counting_iteratorIjlEEPS9_SG_NS0_5tupleIJPjSI_NS0_16reverse_iteratorISI_EEEEENSH_IJSG_SG_SG_EEES9_SI_JZNS1_25segmented_radix_sort_implINS0_14default_configELb0EPKiPiPKlPlN2at6native12_GLOBAL__N_18offset_tEEE10hipError_tPvRmT1_PNSt15iterator_traitsIS12_E10value_typeET2_T3_PNS13_IS18_E10value_typeET4_jRbjT5_S1E_jjP12ihipStream_tbEUljE_ZNSN_ISO_Lb0ESQ_SR_ST_SU_SY_EESZ_S10_S11_S12_S16_S17_S18_S1B_S1C_jS1D_jS1E_S1E_jjS1G_bEUljE0_EEESZ_S10_S11_S18_S1C_S1E_T6_T7_T9_mT8_S1G_bDpT10_ENKUlT_T0_E_clISt17integral_constantIbLb0EES1T_IbLb1EEEEDaS1P_S1Q_EUlS1P_E_NS1_11comp_targetILNS1_3genE2ELNS1_11target_archE906ELNS1_3gpuE6ELNS1_3repE0EEENS1_30default_config_static_selectorELNS0_4arch9wavefront6targetE1EEEvS12_
		.amdhsa_group_segment_fixed_size 0
		.amdhsa_private_segment_fixed_size 0
		.amdhsa_kernarg_size 184
		.amdhsa_user_sgpr_count 6
		.amdhsa_user_sgpr_private_segment_buffer 1
		.amdhsa_user_sgpr_dispatch_ptr 0
		.amdhsa_user_sgpr_queue_ptr 0
		.amdhsa_user_sgpr_kernarg_segment_ptr 1
		.amdhsa_user_sgpr_dispatch_id 0
		.amdhsa_user_sgpr_flat_scratch_init 0
		.amdhsa_user_sgpr_kernarg_preload_length 0
		.amdhsa_user_sgpr_kernarg_preload_offset 0
		.amdhsa_user_sgpr_private_segment_size 0
		.amdhsa_uses_dynamic_stack 0
		.amdhsa_system_sgpr_private_segment_wavefront_offset 0
		.amdhsa_system_sgpr_workgroup_id_x 1
		.amdhsa_system_sgpr_workgroup_id_y 0
		.amdhsa_system_sgpr_workgroup_id_z 0
		.amdhsa_system_sgpr_workgroup_info 0
		.amdhsa_system_vgpr_workitem_id 0
		.amdhsa_next_free_vgpr 1
		.amdhsa_next_free_sgpr 0
		.amdhsa_accum_offset 4
		.amdhsa_reserve_vcc 0
		.amdhsa_reserve_flat_scratch 0
		.amdhsa_float_round_mode_32 0
		.amdhsa_float_round_mode_16_64 0
		.amdhsa_float_denorm_mode_32 3
		.amdhsa_float_denorm_mode_16_64 3
		.amdhsa_dx10_clamp 1
		.amdhsa_ieee_mode 1
		.amdhsa_fp16_overflow 0
		.amdhsa_tg_split 0
		.amdhsa_exception_fp_ieee_invalid_op 0
		.amdhsa_exception_fp_denorm_src 0
		.amdhsa_exception_fp_ieee_div_zero 0
		.amdhsa_exception_fp_ieee_overflow 0
		.amdhsa_exception_fp_ieee_underflow 0
		.amdhsa_exception_fp_ieee_inexact 0
		.amdhsa_exception_int_div_zero 0
	.end_amdhsa_kernel
	.section	.text._ZN7rocprim17ROCPRIM_400000_NS6detail17trampoline_kernelINS0_13select_configILj256ELj13ELNS0_17block_load_methodE3ELS4_3ELS4_3ELNS0_20block_scan_algorithmE0ELj4294967295EEENS1_25partition_config_selectorILNS1_17partition_subalgoE4EjNS0_10empty_typeEbEEZZNS1_14partition_implILS8_4ELb0ES6_15HIP_vector_typeIjLj2EENS0_17counting_iteratorIjlEEPS9_SG_NS0_5tupleIJPjSI_NS0_16reverse_iteratorISI_EEEEENSH_IJSG_SG_SG_EEES9_SI_JZNS1_25segmented_radix_sort_implINS0_14default_configELb0EPKiPiPKlPlN2at6native12_GLOBAL__N_18offset_tEEE10hipError_tPvRmT1_PNSt15iterator_traitsIS12_E10value_typeET2_T3_PNS13_IS18_E10value_typeET4_jRbjT5_S1E_jjP12ihipStream_tbEUljE_ZNSN_ISO_Lb0ESQ_SR_ST_SU_SY_EESZ_S10_S11_S12_S16_S17_S18_S1B_S1C_jS1D_jS1E_S1E_jjS1G_bEUljE0_EEESZ_S10_S11_S18_S1C_S1E_T6_T7_T9_mT8_S1G_bDpT10_ENKUlT_T0_E_clISt17integral_constantIbLb0EES1T_IbLb1EEEEDaS1P_S1Q_EUlS1P_E_NS1_11comp_targetILNS1_3genE2ELNS1_11target_archE906ELNS1_3gpuE6ELNS1_3repE0EEENS1_30default_config_static_selectorELNS0_4arch9wavefront6targetE1EEEvS12_,"axG",@progbits,_ZN7rocprim17ROCPRIM_400000_NS6detail17trampoline_kernelINS0_13select_configILj256ELj13ELNS0_17block_load_methodE3ELS4_3ELS4_3ELNS0_20block_scan_algorithmE0ELj4294967295EEENS1_25partition_config_selectorILNS1_17partition_subalgoE4EjNS0_10empty_typeEbEEZZNS1_14partition_implILS8_4ELb0ES6_15HIP_vector_typeIjLj2EENS0_17counting_iteratorIjlEEPS9_SG_NS0_5tupleIJPjSI_NS0_16reverse_iteratorISI_EEEEENSH_IJSG_SG_SG_EEES9_SI_JZNS1_25segmented_radix_sort_implINS0_14default_configELb0EPKiPiPKlPlN2at6native12_GLOBAL__N_18offset_tEEE10hipError_tPvRmT1_PNSt15iterator_traitsIS12_E10value_typeET2_T3_PNS13_IS18_E10value_typeET4_jRbjT5_S1E_jjP12ihipStream_tbEUljE_ZNSN_ISO_Lb0ESQ_SR_ST_SU_SY_EESZ_S10_S11_S12_S16_S17_S18_S1B_S1C_jS1D_jS1E_S1E_jjS1G_bEUljE0_EEESZ_S10_S11_S18_S1C_S1E_T6_T7_T9_mT8_S1G_bDpT10_ENKUlT_T0_E_clISt17integral_constantIbLb0EES1T_IbLb1EEEEDaS1P_S1Q_EUlS1P_E_NS1_11comp_targetILNS1_3genE2ELNS1_11target_archE906ELNS1_3gpuE6ELNS1_3repE0EEENS1_30default_config_static_selectorELNS0_4arch9wavefront6targetE1EEEvS12_,comdat
.Lfunc_end564:
	.size	_ZN7rocprim17ROCPRIM_400000_NS6detail17trampoline_kernelINS0_13select_configILj256ELj13ELNS0_17block_load_methodE3ELS4_3ELS4_3ELNS0_20block_scan_algorithmE0ELj4294967295EEENS1_25partition_config_selectorILNS1_17partition_subalgoE4EjNS0_10empty_typeEbEEZZNS1_14partition_implILS8_4ELb0ES6_15HIP_vector_typeIjLj2EENS0_17counting_iteratorIjlEEPS9_SG_NS0_5tupleIJPjSI_NS0_16reverse_iteratorISI_EEEEENSH_IJSG_SG_SG_EEES9_SI_JZNS1_25segmented_radix_sort_implINS0_14default_configELb0EPKiPiPKlPlN2at6native12_GLOBAL__N_18offset_tEEE10hipError_tPvRmT1_PNSt15iterator_traitsIS12_E10value_typeET2_T3_PNS13_IS18_E10value_typeET4_jRbjT5_S1E_jjP12ihipStream_tbEUljE_ZNSN_ISO_Lb0ESQ_SR_ST_SU_SY_EESZ_S10_S11_S12_S16_S17_S18_S1B_S1C_jS1D_jS1E_S1E_jjS1G_bEUljE0_EEESZ_S10_S11_S18_S1C_S1E_T6_T7_T9_mT8_S1G_bDpT10_ENKUlT_T0_E_clISt17integral_constantIbLb0EES1T_IbLb1EEEEDaS1P_S1Q_EUlS1P_E_NS1_11comp_targetILNS1_3genE2ELNS1_11target_archE906ELNS1_3gpuE6ELNS1_3repE0EEENS1_30default_config_static_selectorELNS0_4arch9wavefront6targetE1EEEvS12_, .Lfunc_end564-_ZN7rocprim17ROCPRIM_400000_NS6detail17trampoline_kernelINS0_13select_configILj256ELj13ELNS0_17block_load_methodE3ELS4_3ELS4_3ELNS0_20block_scan_algorithmE0ELj4294967295EEENS1_25partition_config_selectorILNS1_17partition_subalgoE4EjNS0_10empty_typeEbEEZZNS1_14partition_implILS8_4ELb0ES6_15HIP_vector_typeIjLj2EENS0_17counting_iteratorIjlEEPS9_SG_NS0_5tupleIJPjSI_NS0_16reverse_iteratorISI_EEEEENSH_IJSG_SG_SG_EEES9_SI_JZNS1_25segmented_radix_sort_implINS0_14default_configELb0EPKiPiPKlPlN2at6native12_GLOBAL__N_18offset_tEEE10hipError_tPvRmT1_PNSt15iterator_traitsIS12_E10value_typeET2_T3_PNS13_IS18_E10value_typeET4_jRbjT5_S1E_jjP12ihipStream_tbEUljE_ZNSN_ISO_Lb0ESQ_SR_ST_SU_SY_EESZ_S10_S11_S12_S16_S17_S18_S1B_S1C_jS1D_jS1E_S1E_jjS1G_bEUljE0_EEESZ_S10_S11_S18_S1C_S1E_T6_T7_T9_mT8_S1G_bDpT10_ENKUlT_T0_E_clISt17integral_constantIbLb0EES1T_IbLb1EEEEDaS1P_S1Q_EUlS1P_E_NS1_11comp_targetILNS1_3genE2ELNS1_11target_archE906ELNS1_3gpuE6ELNS1_3repE0EEENS1_30default_config_static_selectorELNS0_4arch9wavefront6targetE1EEEvS12_
                                        ; -- End function
	.section	.AMDGPU.csdata,"",@progbits
; Kernel info:
; codeLenInByte = 0
; NumSgprs: 4
; NumVgprs: 0
; NumAgprs: 0
; TotalNumVgprs: 0
; ScratchSize: 0
; MemoryBound: 0
; FloatMode: 240
; IeeeMode: 1
; LDSByteSize: 0 bytes/workgroup (compile time only)
; SGPRBlocks: 0
; VGPRBlocks: 0
; NumSGPRsForWavesPerEU: 4
; NumVGPRsForWavesPerEU: 1
; AccumOffset: 4
; Occupancy: 8
; WaveLimiterHint : 0
; COMPUTE_PGM_RSRC2:SCRATCH_EN: 0
; COMPUTE_PGM_RSRC2:USER_SGPR: 6
; COMPUTE_PGM_RSRC2:TRAP_HANDLER: 0
; COMPUTE_PGM_RSRC2:TGID_X_EN: 1
; COMPUTE_PGM_RSRC2:TGID_Y_EN: 0
; COMPUTE_PGM_RSRC2:TGID_Z_EN: 0
; COMPUTE_PGM_RSRC2:TIDIG_COMP_CNT: 0
; COMPUTE_PGM_RSRC3_GFX90A:ACCUM_OFFSET: 0
; COMPUTE_PGM_RSRC3_GFX90A:TG_SPLIT: 0
	.section	.text._ZN7rocprim17ROCPRIM_400000_NS6detail17trampoline_kernelINS0_13select_configILj256ELj13ELNS0_17block_load_methodE3ELS4_3ELS4_3ELNS0_20block_scan_algorithmE0ELj4294967295EEENS1_25partition_config_selectorILNS1_17partition_subalgoE4EjNS0_10empty_typeEbEEZZNS1_14partition_implILS8_4ELb0ES6_15HIP_vector_typeIjLj2EENS0_17counting_iteratorIjlEEPS9_SG_NS0_5tupleIJPjSI_NS0_16reverse_iteratorISI_EEEEENSH_IJSG_SG_SG_EEES9_SI_JZNS1_25segmented_radix_sort_implINS0_14default_configELb0EPKiPiPKlPlN2at6native12_GLOBAL__N_18offset_tEEE10hipError_tPvRmT1_PNSt15iterator_traitsIS12_E10value_typeET2_T3_PNS13_IS18_E10value_typeET4_jRbjT5_S1E_jjP12ihipStream_tbEUljE_ZNSN_ISO_Lb0ESQ_SR_ST_SU_SY_EESZ_S10_S11_S12_S16_S17_S18_S1B_S1C_jS1D_jS1E_S1E_jjS1G_bEUljE0_EEESZ_S10_S11_S18_S1C_S1E_T6_T7_T9_mT8_S1G_bDpT10_ENKUlT_T0_E_clISt17integral_constantIbLb0EES1T_IbLb1EEEEDaS1P_S1Q_EUlS1P_E_NS1_11comp_targetILNS1_3genE10ELNS1_11target_archE1200ELNS1_3gpuE4ELNS1_3repE0EEENS1_30default_config_static_selectorELNS0_4arch9wavefront6targetE1EEEvS12_,"axG",@progbits,_ZN7rocprim17ROCPRIM_400000_NS6detail17trampoline_kernelINS0_13select_configILj256ELj13ELNS0_17block_load_methodE3ELS4_3ELS4_3ELNS0_20block_scan_algorithmE0ELj4294967295EEENS1_25partition_config_selectorILNS1_17partition_subalgoE4EjNS0_10empty_typeEbEEZZNS1_14partition_implILS8_4ELb0ES6_15HIP_vector_typeIjLj2EENS0_17counting_iteratorIjlEEPS9_SG_NS0_5tupleIJPjSI_NS0_16reverse_iteratorISI_EEEEENSH_IJSG_SG_SG_EEES9_SI_JZNS1_25segmented_radix_sort_implINS0_14default_configELb0EPKiPiPKlPlN2at6native12_GLOBAL__N_18offset_tEEE10hipError_tPvRmT1_PNSt15iterator_traitsIS12_E10value_typeET2_T3_PNS13_IS18_E10value_typeET4_jRbjT5_S1E_jjP12ihipStream_tbEUljE_ZNSN_ISO_Lb0ESQ_SR_ST_SU_SY_EESZ_S10_S11_S12_S16_S17_S18_S1B_S1C_jS1D_jS1E_S1E_jjS1G_bEUljE0_EEESZ_S10_S11_S18_S1C_S1E_T6_T7_T9_mT8_S1G_bDpT10_ENKUlT_T0_E_clISt17integral_constantIbLb0EES1T_IbLb1EEEEDaS1P_S1Q_EUlS1P_E_NS1_11comp_targetILNS1_3genE10ELNS1_11target_archE1200ELNS1_3gpuE4ELNS1_3repE0EEENS1_30default_config_static_selectorELNS0_4arch9wavefront6targetE1EEEvS12_,comdat
	.globl	_ZN7rocprim17ROCPRIM_400000_NS6detail17trampoline_kernelINS0_13select_configILj256ELj13ELNS0_17block_load_methodE3ELS4_3ELS4_3ELNS0_20block_scan_algorithmE0ELj4294967295EEENS1_25partition_config_selectorILNS1_17partition_subalgoE4EjNS0_10empty_typeEbEEZZNS1_14partition_implILS8_4ELb0ES6_15HIP_vector_typeIjLj2EENS0_17counting_iteratorIjlEEPS9_SG_NS0_5tupleIJPjSI_NS0_16reverse_iteratorISI_EEEEENSH_IJSG_SG_SG_EEES9_SI_JZNS1_25segmented_radix_sort_implINS0_14default_configELb0EPKiPiPKlPlN2at6native12_GLOBAL__N_18offset_tEEE10hipError_tPvRmT1_PNSt15iterator_traitsIS12_E10value_typeET2_T3_PNS13_IS18_E10value_typeET4_jRbjT5_S1E_jjP12ihipStream_tbEUljE_ZNSN_ISO_Lb0ESQ_SR_ST_SU_SY_EESZ_S10_S11_S12_S16_S17_S18_S1B_S1C_jS1D_jS1E_S1E_jjS1G_bEUljE0_EEESZ_S10_S11_S18_S1C_S1E_T6_T7_T9_mT8_S1G_bDpT10_ENKUlT_T0_E_clISt17integral_constantIbLb0EES1T_IbLb1EEEEDaS1P_S1Q_EUlS1P_E_NS1_11comp_targetILNS1_3genE10ELNS1_11target_archE1200ELNS1_3gpuE4ELNS1_3repE0EEENS1_30default_config_static_selectorELNS0_4arch9wavefront6targetE1EEEvS12_ ; -- Begin function _ZN7rocprim17ROCPRIM_400000_NS6detail17trampoline_kernelINS0_13select_configILj256ELj13ELNS0_17block_load_methodE3ELS4_3ELS4_3ELNS0_20block_scan_algorithmE0ELj4294967295EEENS1_25partition_config_selectorILNS1_17partition_subalgoE4EjNS0_10empty_typeEbEEZZNS1_14partition_implILS8_4ELb0ES6_15HIP_vector_typeIjLj2EENS0_17counting_iteratorIjlEEPS9_SG_NS0_5tupleIJPjSI_NS0_16reverse_iteratorISI_EEEEENSH_IJSG_SG_SG_EEES9_SI_JZNS1_25segmented_radix_sort_implINS0_14default_configELb0EPKiPiPKlPlN2at6native12_GLOBAL__N_18offset_tEEE10hipError_tPvRmT1_PNSt15iterator_traitsIS12_E10value_typeET2_T3_PNS13_IS18_E10value_typeET4_jRbjT5_S1E_jjP12ihipStream_tbEUljE_ZNSN_ISO_Lb0ESQ_SR_ST_SU_SY_EESZ_S10_S11_S12_S16_S17_S18_S1B_S1C_jS1D_jS1E_S1E_jjS1G_bEUljE0_EEESZ_S10_S11_S18_S1C_S1E_T6_T7_T9_mT8_S1G_bDpT10_ENKUlT_T0_E_clISt17integral_constantIbLb0EES1T_IbLb1EEEEDaS1P_S1Q_EUlS1P_E_NS1_11comp_targetILNS1_3genE10ELNS1_11target_archE1200ELNS1_3gpuE4ELNS1_3repE0EEENS1_30default_config_static_selectorELNS0_4arch9wavefront6targetE1EEEvS12_
	.p2align	8
	.type	_ZN7rocprim17ROCPRIM_400000_NS6detail17trampoline_kernelINS0_13select_configILj256ELj13ELNS0_17block_load_methodE3ELS4_3ELS4_3ELNS0_20block_scan_algorithmE0ELj4294967295EEENS1_25partition_config_selectorILNS1_17partition_subalgoE4EjNS0_10empty_typeEbEEZZNS1_14partition_implILS8_4ELb0ES6_15HIP_vector_typeIjLj2EENS0_17counting_iteratorIjlEEPS9_SG_NS0_5tupleIJPjSI_NS0_16reverse_iteratorISI_EEEEENSH_IJSG_SG_SG_EEES9_SI_JZNS1_25segmented_radix_sort_implINS0_14default_configELb0EPKiPiPKlPlN2at6native12_GLOBAL__N_18offset_tEEE10hipError_tPvRmT1_PNSt15iterator_traitsIS12_E10value_typeET2_T3_PNS13_IS18_E10value_typeET4_jRbjT5_S1E_jjP12ihipStream_tbEUljE_ZNSN_ISO_Lb0ESQ_SR_ST_SU_SY_EESZ_S10_S11_S12_S16_S17_S18_S1B_S1C_jS1D_jS1E_S1E_jjS1G_bEUljE0_EEESZ_S10_S11_S18_S1C_S1E_T6_T7_T9_mT8_S1G_bDpT10_ENKUlT_T0_E_clISt17integral_constantIbLb0EES1T_IbLb1EEEEDaS1P_S1Q_EUlS1P_E_NS1_11comp_targetILNS1_3genE10ELNS1_11target_archE1200ELNS1_3gpuE4ELNS1_3repE0EEENS1_30default_config_static_selectorELNS0_4arch9wavefront6targetE1EEEvS12_,@function
_ZN7rocprim17ROCPRIM_400000_NS6detail17trampoline_kernelINS0_13select_configILj256ELj13ELNS0_17block_load_methodE3ELS4_3ELS4_3ELNS0_20block_scan_algorithmE0ELj4294967295EEENS1_25partition_config_selectorILNS1_17partition_subalgoE4EjNS0_10empty_typeEbEEZZNS1_14partition_implILS8_4ELb0ES6_15HIP_vector_typeIjLj2EENS0_17counting_iteratorIjlEEPS9_SG_NS0_5tupleIJPjSI_NS0_16reverse_iteratorISI_EEEEENSH_IJSG_SG_SG_EEES9_SI_JZNS1_25segmented_radix_sort_implINS0_14default_configELb0EPKiPiPKlPlN2at6native12_GLOBAL__N_18offset_tEEE10hipError_tPvRmT1_PNSt15iterator_traitsIS12_E10value_typeET2_T3_PNS13_IS18_E10value_typeET4_jRbjT5_S1E_jjP12ihipStream_tbEUljE_ZNSN_ISO_Lb0ESQ_SR_ST_SU_SY_EESZ_S10_S11_S12_S16_S17_S18_S1B_S1C_jS1D_jS1E_S1E_jjS1G_bEUljE0_EEESZ_S10_S11_S18_S1C_S1E_T6_T7_T9_mT8_S1G_bDpT10_ENKUlT_T0_E_clISt17integral_constantIbLb0EES1T_IbLb1EEEEDaS1P_S1Q_EUlS1P_E_NS1_11comp_targetILNS1_3genE10ELNS1_11target_archE1200ELNS1_3gpuE4ELNS1_3repE0EEENS1_30default_config_static_selectorELNS0_4arch9wavefront6targetE1EEEvS12_: ; @_ZN7rocprim17ROCPRIM_400000_NS6detail17trampoline_kernelINS0_13select_configILj256ELj13ELNS0_17block_load_methodE3ELS4_3ELS4_3ELNS0_20block_scan_algorithmE0ELj4294967295EEENS1_25partition_config_selectorILNS1_17partition_subalgoE4EjNS0_10empty_typeEbEEZZNS1_14partition_implILS8_4ELb0ES6_15HIP_vector_typeIjLj2EENS0_17counting_iteratorIjlEEPS9_SG_NS0_5tupleIJPjSI_NS0_16reverse_iteratorISI_EEEEENSH_IJSG_SG_SG_EEES9_SI_JZNS1_25segmented_radix_sort_implINS0_14default_configELb0EPKiPiPKlPlN2at6native12_GLOBAL__N_18offset_tEEE10hipError_tPvRmT1_PNSt15iterator_traitsIS12_E10value_typeET2_T3_PNS13_IS18_E10value_typeET4_jRbjT5_S1E_jjP12ihipStream_tbEUljE_ZNSN_ISO_Lb0ESQ_SR_ST_SU_SY_EESZ_S10_S11_S12_S16_S17_S18_S1B_S1C_jS1D_jS1E_S1E_jjS1G_bEUljE0_EEESZ_S10_S11_S18_S1C_S1E_T6_T7_T9_mT8_S1G_bDpT10_ENKUlT_T0_E_clISt17integral_constantIbLb0EES1T_IbLb1EEEEDaS1P_S1Q_EUlS1P_E_NS1_11comp_targetILNS1_3genE10ELNS1_11target_archE1200ELNS1_3gpuE4ELNS1_3repE0EEENS1_30default_config_static_selectorELNS0_4arch9wavefront6targetE1EEEvS12_
; %bb.0:
	.section	.rodata,"a",@progbits
	.p2align	6, 0x0
	.amdhsa_kernel _ZN7rocprim17ROCPRIM_400000_NS6detail17trampoline_kernelINS0_13select_configILj256ELj13ELNS0_17block_load_methodE3ELS4_3ELS4_3ELNS0_20block_scan_algorithmE0ELj4294967295EEENS1_25partition_config_selectorILNS1_17partition_subalgoE4EjNS0_10empty_typeEbEEZZNS1_14partition_implILS8_4ELb0ES6_15HIP_vector_typeIjLj2EENS0_17counting_iteratorIjlEEPS9_SG_NS0_5tupleIJPjSI_NS0_16reverse_iteratorISI_EEEEENSH_IJSG_SG_SG_EEES9_SI_JZNS1_25segmented_radix_sort_implINS0_14default_configELb0EPKiPiPKlPlN2at6native12_GLOBAL__N_18offset_tEEE10hipError_tPvRmT1_PNSt15iterator_traitsIS12_E10value_typeET2_T3_PNS13_IS18_E10value_typeET4_jRbjT5_S1E_jjP12ihipStream_tbEUljE_ZNSN_ISO_Lb0ESQ_SR_ST_SU_SY_EESZ_S10_S11_S12_S16_S17_S18_S1B_S1C_jS1D_jS1E_S1E_jjS1G_bEUljE0_EEESZ_S10_S11_S18_S1C_S1E_T6_T7_T9_mT8_S1G_bDpT10_ENKUlT_T0_E_clISt17integral_constantIbLb0EES1T_IbLb1EEEEDaS1P_S1Q_EUlS1P_E_NS1_11comp_targetILNS1_3genE10ELNS1_11target_archE1200ELNS1_3gpuE4ELNS1_3repE0EEENS1_30default_config_static_selectorELNS0_4arch9wavefront6targetE1EEEvS12_
		.amdhsa_group_segment_fixed_size 0
		.amdhsa_private_segment_fixed_size 0
		.amdhsa_kernarg_size 184
		.amdhsa_user_sgpr_count 6
		.amdhsa_user_sgpr_private_segment_buffer 1
		.amdhsa_user_sgpr_dispatch_ptr 0
		.amdhsa_user_sgpr_queue_ptr 0
		.amdhsa_user_sgpr_kernarg_segment_ptr 1
		.amdhsa_user_sgpr_dispatch_id 0
		.amdhsa_user_sgpr_flat_scratch_init 0
		.amdhsa_user_sgpr_kernarg_preload_length 0
		.amdhsa_user_sgpr_kernarg_preload_offset 0
		.amdhsa_user_sgpr_private_segment_size 0
		.amdhsa_uses_dynamic_stack 0
		.amdhsa_system_sgpr_private_segment_wavefront_offset 0
		.amdhsa_system_sgpr_workgroup_id_x 1
		.amdhsa_system_sgpr_workgroup_id_y 0
		.amdhsa_system_sgpr_workgroup_id_z 0
		.amdhsa_system_sgpr_workgroup_info 0
		.amdhsa_system_vgpr_workitem_id 0
		.amdhsa_next_free_vgpr 1
		.amdhsa_next_free_sgpr 0
		.amdhsa_accum_offset 4
		.amdhsa_reserve_vcc 0
		.amdhsa_reserve_flat_scratch 0
		.amdhsa_float_round_mode_32 0
		.amdhsa_float_round_mode_16_64 0
		.amdhsa_float_denorm_mode_32 3
		.amdhsa_float_denorm_mode_16_64 3
		.amdhsa_dx10_clamp 1
		.amdhsa_ieee_mode 1
		.amdhsa_fp16_overflow 0
		.amdhsa_tg_split 0
		.amdhsa_exception_fp_ieee_invalid_op 0
		.amdhsa_exception_fp_denorm_src 0
		.amdhsa_exception_fp_ieee_div_zero 0
		.amdhsa_exception_fp_ieee_overflow 0
		.amdhsa_exception_fp_ieee_underflow 0
		.amdhsa_exception_fp_ieee_inexact 0
		.amdhsa_exception_int_div_zero 0
	.end_amdhsa_kernel
	.section	.text._ZN7rocprim17ROCPRIM_400000_NS6detail17trampoline_kernelINS0_13select_configILj256ELj13ELNS0_17block_load_methodE3ELS4_3ELS4_3ELNS0_20block_scan_algorithmE0ELj4294967295EEENS1_25partition_config_selectorILNS1_17partition_subalgoE4EjNS0_10empty_typeEbEEZZNS1_14partition_implILS8_4ELb0ES6_15HIP_vector_typeIjLj2EENS0_17counting_iteratorIjlEEPS9_SG_NS0_5tupleIJPjSI_NS0_16reverse_iteratorISI_EEEEENSH_IJSG_SG_SG_EEES9_SI_JZNS1_25segmented_radix_sort_implINS0_14default_configELb0EPKiPiPKlPlN2at6native12_GLOBAL__N_18offset_tEEE10hipError_tPvRmT1_PNSt15iterator_traitsIS12_E10value_typeET2_T3_PNS13_IS18_E10value_typeET4_jRbjT5_S1E_jjP12ihipStream_tbEUljE_ZNSN_ISO_Lb0ESQ_SR_ST_SU_SY_EESZ_S10_S11_S12_S16_S17_S18_S1B_S1C_jS1D_jS1E_S1E_jjS1G_bEUljE0_EEESZ_S10_S11_S18_S1C_S1E_T6_T7_T9_mT8_S1G_bDpT10_ENKUlT_T0_E_clISt17integral_constantIbLb0EES1T_IbLb1EEEEDaS1P_S1Q_EUlS1P_E_NS1_11comp_targetILNS1_3genE10ELNS1_11target_archE1200ELNS1_3gpuE4ELNS1_3repE0EEENS1_30default_config_static_selectorELNS0_4arch9wavefront6targetE1EEEvS12_,"axG",@progbits,_ZN7rocprim17ROCPRIM_400000_NS6detail17trampoline_kernelINS0_13select_configILj256ELj13ELNS0_17block_load_methodE3ELS4_3ELS4_3ELNS0_20block_scan_algorithmE0ELj4294967295EEENS1_25partition_config_selectorILNS1_17partition_subalgoE4EjNS0_10empty_typeEbEEZZNS1_14partition_implILS8_4ELb0ES6_15HIP_vector_typeIjLj2EENS0_17counting_iteratorIjlEEPS9_SG_NS0_5tupleIJPjSI_NS0_16reverse_iteratorISI_EEEEENSH_IJSG_SG_SG_EEES9_SI_JZNS1_25segmented_radix_sort_implINS0_14default_configELb0EPKiPiPKlPlN2at6native12_GLOBAL__N_18offset_tEEE10hipError_tPvRmT1_PNSt15iterator_traitsIS12_E10value_typeET2_T3_PNS13_IS18_E10value_typeET4_jRbjT5_S1E_jjP12ihipStream_tbEUljE_ZNSN_ISO_Lb0ESQ_SR_ST_SU_SY_EESZ_S10_S11_S12_S16_S17_S18_S1B_S1C_jS1D_jS1E_S1E_jjS1G_bEUljE0_EEESZ_S10_S11_S18_S1C_S1E_T6_T7_T9_mT8_S1G_bDpT10_ENKUlT_T0_E_clISt17integral_constantIbLb0EES1T_IbLb1EEEEDaS1P_S1Q_EUlS1P_E_NS1_11comp_targetILNS1_3genE10ELNS1_11target_archE1200ELNS1_3gpuE4ELNS1_3repE0EEENS1_30default_config_static_selectorELNS0_4arch9wavefront6targetE1EEEvS12_,comdat
.Lfunc_end565:
	.size	_ZN7rocprim17ROCPRIM_400000_NS6detail17trampoline_kernelINS0_13select_configILj256ELj13ELNS0_17block_load_methodE3ELS4_3ELS4_3ELNS0_20block_scan_algorithmE0ELj4294967295EEENS1_25partition_config_selectorILNS1_17partition_subalgoE4EjNS0_10empty_typeEbEEZZNS1_14partition_implILS8_4ELb0ES6_15HIP_vector_typeIjLj2EENS0_17counting_iteratorIjlEEPS9_SG_NS0_5tupleIJPjSI_NS0_16reverse_iteratorISI_EEEEENSH_IJSG_SG_SG_EEES9_SI_JZNS1_25segmented_radix_sort_implINS0_14default_configELb0EPKiPiPKlPlN2at6native12_GLOBAL__N_18offset_tEEE10hipError_tPvRmT1_PNSt15iterator_traitsIS12_E10value_typeET2_T3_PNS13_IS18_E10value_typeET4_jRbjT5_S1E_jjP12ihipStream_tbEUljE_ZNSN_ISO_Lb0ESQ_SR_ST_SU_SY_EESZ_S10_S11_S12_S16_S17_S18_S1B_S1C_jS1D_jS1E_S1E_jjS1G_bEUljE0_EEESZ_S10_S11_S18_S1C_S1E_T6_T7_T9_mT8_S1G_bDpT10_ENKUlT_T0_E_clISt17integral_constantIbLb0EES1T_IbLb1EEEEDaS1P_S1Q_EUlS1P_E_NS1_11comp_targetILNS1_3genE10ELNS1_11target_archE1200ELNS1_3gpuE4ELNS1_3repE0EEENS1_30default_config_static_selectorELNS0_4arch9wavefront6targetE1EEEvS12_, .Lfunc_end565-_ZN7rocprim17ROCPRIM_400000_NS6detail17trampoline_kernelINS0_13select_configILj256ELj13ELNS0_17block_load_methodE3ELS4_3ELS4_3ELNS0_20block_scan_algorithmE0ELj4294967295EEENS1_25partition_config_selectorILNS1_17partition_subalgoE4EjNS0_10empty_typeEbEEZZNS1_14partition_implILS8_4ELb0ES6_15HIP_vector_typeIjLj2EENS0_17counting_iteratorIjlEEPS9_SG_NS0_5tupleIJPjSI_NS0_16reverse_iteratorISI_EEEEENSH_IJSG_SG_SG_EEES9_SI_JZNS1_25segmented_radix_sort_implINS0_14default_configELb0EPKiPiPKlPlN2at6native12_GLOBAL__N_18offset_tEEE10hipError_tPvRmT1_PNSt15iterator_traitsIS12_E10value_typeET2_T3_PNS13_IS18_E10value_typeET4_jRbjT5_S1E_jjP12ihipStream_tbEUljE_ZNSN_ISO_Lb0ESQ_SR_ST_SU_SY_EESZ_S10_S11_S12_S16_S17_S18_S1B_S1C_jS1D_jS1E_S1E_jjS1G_bEUljE0_EEESZ_S10_S11_S18_S1C_S1E_T6_T7_T9_mT8_S1G_bDpT10_ENKUlT_T0_E_clISt17integral_constantIbLb0EES1T_IbLb1EEEEDaS1P_S1Q_EUlS1P_E_NS1_11comp_targetILNS1_3genE10ELNS1_11target_archE1200ELNS1_3gpuE4ELNS1_3repE0EEENS1_30default_config_static_selectorELNS0_4arch9wavefront6targetE1EEEvS12_
                                        ; -- End function
	.section	.AMDGPU.csdata,"",@progbits
; Kernel info:
; codeLenInByte = 0
; NumSgprs: 4
; NumVgprs: 0
; NumAgprs: 0
; TotalNumVgprs: 0
; ScratchSize: 0
; MemoryBound: 0
; FloatMode: 240
; IeeeMode: 1
; LDSByteSize: 0 bytes/workgroup (compile time only)
; SGPRBlocks: 0
; VGPRBlocks: 0
; NumSGPRsForWavesPerEU: 4
; NumVGPRsForWavesPerEU: 1
; AccumOffset: 4
; Occupancy: 8
; WaveLimiterHint : 0
; COMPUTE_PGM_RSRC2:SCRATCH_EN: 0
; COMPUTE_PGM_RSRC2:USER_SGPR: 6
; COMPUTE_PGM_RSRC2:TRAP_HANDLER: 0
; COMPUTE_PGM_RSRC2:TGID_X_EN: 1
; COMPUTE_PGM_RSRC2:TGID_Y_EN: 0
; COMPUTE_PGM_RSRC2:TGID_Z_EN: 0
; COMPUTE_PGM_RSRC2:TIDIG_COMP_CNT: 0
; COMPUTE_PGM_RSRC3_GFX90A:ACCUM_OFFSET: 0
; COMPUTE_PGM_RSRC3_GFX90A:TG_SPLIT: 0
	.section	.text._ZN7rocprim17ROCPRIM_400000_NS6detail17trampoline_kernelINS0_13select_configILj256ELj13ELNS0_17block_load_methodE3ELS4_3ELS4_3ELNS0_20block_scan_algorithmE0ELj4294967295EEENS1_25partition_config_selectorILNS1_17partition_subalgoE4EjNS0_10empty_typeEbEEZZNS1_14partition_implILS8_4ELb0ES6_15HIP_vector_typeIjLj2EENS0_17counting_iteratorIjlEEPS9_SG_NS0_5tupleIJPjSI_NS0_16reverse_iteratorISI_EEEEENSH_IJSG_SG_SG_EEES9_SI_JZNS1_25segmented_radix_sort_implINS0_14default_configELb0EPKiPiPKlPlN2at6native12_GLOBAL__N_18offset_tEEE10hipError_tPvRmT1_PNSt15iterator_traitsIS12_E10value_typeET2_T3_PNS13_IS18_E10value_typeET4_jRbjT5_S1E_jjP12ihipStream_tbEUljE_ZNSN_ISO_Lb0ESQ_SR_ST_SU_SY_EESZ_S10_S11_S12_S16_S17_S18_S1B_S1C_jS1D_jS1E_S1E_jjS1G_bEUljE0_EEESZ_S10_S11_S18_S1C_S1E_T6_T7_T9_mT8_S1G_bDpT10_ENKUlT_T0_E_clISt17integral_constantIbLb0EES1T_IbLb1EEEEDaS1P_S1Q_EUlS1P_E_NS1_11comp_targetILNS1_3genE9ELNS1_11target_archE1100ELNS1_3gpuE3ELNS1_3repE0EEENS1_30default_config_static_selectorELNS0_4arch9wavefront6targetE1EEEvS12_,"axG",@progbits,_ZN7rocprim17ROCPRIM_400000_NS6detail17trampoline_kernelINS0_13select_configILj256ELj13ELNS0_17block_load_methodE3ELS4_3ELS4_3ELNS0_20block_scan_algorithmE0ELj4294967295EEENS1_25partition_config_selectorILNS1_17partition_subalgoE4EjNS0_10empty_typeEbEEZZNS1_14partition_implILS8_4ELb0ES6_15HIP_vector_typeIjLj2EENS0_17counting_iteratorIjlEEPS9_SG_NS0_5tupleIJPjSI_NS0_16reverse_iteratorISI_EEEEENSH_IJSG_SG_SG_EEES9_SI_JZNS1_25segmented_radix_sort_implINS0_14default_configELb0EPKiPiPKlPlN2at6native12_GLOBAL__N_18offset_tEEE10hipError_tPvRmT1_PNSt15iterator_traitsIS12_E10value_typeET2_T3_PNS13_IS18_E10value_typeET4_jRbjT5_S1E_jjP12ihipStream_tbEUljE_ZNSN_ISO_Lb0ESQ_SR_ST_SU_SY_EESZ_S10_S11_S12_S16_S17_S18_S1B_S1C_jS1D_jS1E_S1E_jjS1G_bEUljE0_EEESZ_S10_S11_S18_S1C_S1E_T6_T7_T9_mT8_S1G_bDpT10_ENKUlT_T0_E_clISt17integral_constantIbLb0EES1T_IbLb1EEEEDaS1P_S1Q_EUlS1P_E_NS1_11comp_targetILNS1_3genE9ELNS1_11target_archE1100ELNS1_3gpuE3ELNS1_3repE0EEENS1_30default_config_static_selectorELNS0_4arch9wavefront6targetE1EEEvS12_,comdat
	.globl	_ZN7rocprim17ROCPRIM_400000_NS6detail17trampoline_kernelINS0_13select_configILj256ELj13ELNS0_17block_load_methodE3ELS4_3ELS4_3ELNS0_20block_scan_algorithmE0ELj4294967295EEENS1_25partition_config_selectorILNS1_17partition_subalgoE4EjNS0_10empty_typeEbEEZZNS1_14partition_implILS8_4ELb0ES6_15HIP_vector_typeIjLj2EENS0_17counting_iteratorIjlEEPS9_SG_NS0_5tupleIJPjSI_NS0_16reverse_iteratorISI_EEEEENSH_IJSG_SG_SG_EEES9_SI_JZNS1_25segmented_radix_sort_implINS0_14default_configELb0EPKiPiPKlPlN2at6native12_GLOBAL__N_18offset_tEEE10hipError_tPvRmT1_PNSt15iterator_traitsIS12_E10value_typeET2_T3_PNS13_IS18_E10value_typeET4_jRbjT5_S1E_jjP12ihipStream_tbEUljE_ZNSN_ISO_Lb0ESQ_SR_ST_SU_SY_EESZ_S10_S11_S12_S16_S17_S18_S1B_S1C_jS1D_jS1E_S1E_jjS1G_bEUljE0_EEESZ_S10_S11_S18_S1C_S1E_T6_T7_T9_mT8_S1G_bDpT10_ENKUlT_T0_E_clISt17integral_constantIbLb0EES1T_IbLb1EEEEDaS1P_S1Q_EUlS1P_E_NS1_11comp_targetILNS1_3genE9ELNS1_11target_archE1100ELNS1_3gpuE3ELNS1_3repE0EEENS1_30default_config_static_selectorELNS0_4arch9wavefront6targetE1EEEvS12_ ; -- Begin function _ZN7rocprim17ROCPRIM_400000_NS6detail17trampoline_kernelINS0_13select_configILj256ELj13ELNS0_17block_load_methodE3ELS4_3ELS4_3ELNS0_20block_scan_algorithmE0ELj4294967295EEENS1_25partition_config_selectorILNS1_17partition_subalgoE4EjNS0_10empty_typeEbEEZZNS1_14partition_implILS8_4ELb0ES6_15HIP_vector_typeIjLj2EENS0_17counting_iteratorIjlEEPS9_SG_NS0_5tupleIJPjSI_NS0_16reverse_iteratorISI_EEEEENSH_IJSG_SG_SG_EEES9_SI_JZNS1_25segmented_radix_sort_implINS0_14default_configELb0EPKiPiPKlPlN2at6native12_GLOBAL__N_18offset_tEEE10hipError_tPvRmT1_PNSt15iterator_traitsIS12_E10value_typeET2_T3_PNS13_IS18_E10value_typeET4_jRbjT5_S1E_jjP12ihipStream_tbEUljE_ZNSN_ISO_Lb0ESQ_SR_ST_SU_SY_EESZ_S10_S11_S12_S16_S17_S18_S1B_S1C_jS1D_jS1E_S1E_jjS1G_bEUljE0_EEESZ_S10_S11_S18_S1C_S1E_T6_T7_T9_mT8_S1G_bDpT10_ENKUlT_T0_E_clISt17integral_constantIbLb0EES1T_IbLb1EEEEDaS1P_S1Q_EUlS1P_E_NS1_11comp_targetILNS1_3genE9ELNS1_11target_archE1100ELNS1_3gpuE3ELNS1_3repE0EEENS1_30default_config_static_selectorELNS0_4arch9wavefront6targetE1EEEvS12_
	.p2align	8
	.type	_ZN7rocprim17ROCPRIM_400000_NS6detail17trampoline_kernelINS0_13select_configILj256ELj13ELNS0_17block_load_methodE3ELS4_3ELS4_3ELNS0_20block_scan_algorithmE0ELj4294967295EEENS1_25partition_config_selectorILNS1_17partition_subalgoE4EjNS0_10empty_typeEbEEZZNS1_14partition_implILS8_4ELb0ES6_15HIP_vector_typeIjLj2EENS0_17counting_iteratorIjlEEPS9_SG_NS0_5tupleIJPjSI_NS0_16reverse_iteratorISI_EEEEENSH_IJSG_SG_SG_EEES9_SI_JZNS1_25segmented_radix_sort_implINS0_14default_configELb0EPKiPiPKlPlN2at6native12_GLOBAL__N_18offset_tEEE10hipError_tPvRmT1_PNSt15iterator_traitsIS12_E10value_typeET2_T3_PNS13_IS18_E10value_typeET4_jRbjT5_S1E_jjP12ihipStream_tbEUljE_ZNSN_ISO_Lb0ESQ_SR_ST_SU_SY_EESZ_S10_S11_S12_S16_S17_S18_S1B_S1C_jS1D_jS1E_S1E_jjS1G_bEUljE0_EEESZ_S10_S11_S18_S1C_S1E_T6_T7_T9_mT8_S1G_bDpT10_ENKUlT_T0_E_clISt17integral_constantIbLb0EES1T_IbLb1EEEEDaS1P_S1Q_EUlS1P_E_NS1_11comp_targetILNS1_3genE9ELNS1_11target_archE1100ELNS1_3gpuE3ELNS1_3repE0EEENS1_30default_config_static_selectorELNS0_4arch9wavefront6targetE1EEEvS12_,@function
_ZN7rocprim17ROCPRIM_400000_NS6detail17trampoline_kernelINS0_13select_configILj256ELj13ELNS0_17block_load_methodE3ELS4_3ELS4_3ELNS0_20block_scan_algorithmE0ELj4294967295EEENS1_25partition_config_selectorILNS1_17partition_subalgoE4EjNS0_10empty_typeEbEEZZNS1_14partition_implILS8_4ELb0ES6_15HIP_vector_typeIjLj2EENS0_17counting_iteratorIjlEEPS9_SG_NS0_5tupleIJPjSI_NS0_16reverse_iteratorISI_EEEEENSH_IJSG_SG_SG_EEES9_SI_JZNS1_25segmented_radix_sort_implINS0_14default_configELb0EPKiPiPKlPlN2at6native12_GLOBAL__N_18offset_tEEE10hipError_tPvRmT1_PNSt15iterator_traitsIS12_E10value_typeET2_T3_PNS13_IS18_E10value_typeET4_jRbjT5_S1E_jjP12ihipStream_tbEUljE_ZNSN_ISO_Lb0ESQ_SR_ST_SU_SY_EESZ_S10_S11_S12_S16_S17_S18_S1B_S1C_jS1D_jS1E_S1E_jjS1G_bEUljE0_EEESZ_S10_S11_S18_S1C_S1E_T6_T7_T9_mT8_S1G_bDpT10_ENKUlT_T0_E_clISt17integral_constantIbLb0EES1T_IbLb1EEEEDaS1P_S1Q_EUlS1P_E_NS1_11comp_targetILNS1_3genE9ELNS1_11target_archE1100ELNS1_3gpuE3ELNS1_3repE0EEENS1_30default_config_static_selectorELNS0_4arch9wavefront6targetE1EEEvS12_: ; @_ZN7rocprim17ROCPRIM_400000_NS6detail17trampoline_kernelINS0_13select_configILj256ELj13ELNS0_17block_load_methodE3ELS4_3ELS4_3ELNS0_20block_scan_algorithmE0ELj4294967295EEENS1_25partition_config_selectorILNS1_17partition_subalgoE4EjNS0_10empty_typeEbEEZZNS1_14partition_implILS8_4ELb0ES6_15HIP_vector_typeIjLj2EENS0_17counting_iteratorIjlEEPS9_SG_NS0_5tupleIJPjSI_NS0_16reverse_iteratorISI_EEEEENSH_IJSG_SG_SG_EEES9_SI_JZNS1_25segmented_radix_sort_implINS0_14default_configELb0EPKiPiPKlPlN2at6native12_GLOBAL__N_18offset_tEEE10hipError_tPvRmT1_PNSt15iterator_traitsIS12_E10value_typeET2_T3_PNS13_IS18_E10value_typeET4_jRbjT5_S1E_jjP12ihipStream_tbEUljE_ZNSN_ISO_Lb0ESQ_SR_ST_SU_SY_EESZ_S10_S11_S12_S16_S17_S18_S1B_S1C_jS1D_jS1E_S1E_jjS1G_bEUljE0_EEESZ_S10_S11_S18_S1C_S1E_T6_T7_T9_mT8_S1G_bDpT10_ENKUlT_T0_E_clISt17integral_constantIbLb0EES1T_IbLb1EEEEDaS1P_S1Q_EUlS1P_E_NS1_11comp_targetILNS1_3genE9ELNS1_11target_archE1100ELNS1_3gpuE3ELNS1_3repE0EEENS1_30default_config_static_selectorELNS0_4arch9wavefront6targetE1EEEvS12_
; %bb.0:
	.section	.rodata,"a",@progbits
	.p2align	6, 0x0
	.amdhsa_kernel _ZN7rocprim17ROCPRIM_400000_NS6detail17trampoline_kernelINS0_13select_configILj256ELj13ELNS0_17block_load_methodE3ELS4_3ELS4_3ELNS0_20block_scan_algorithmE0ELj4294967295EEENS1_25partition_config_selectorILNS1_17partition_subalgoE4EjNS0_10empty_typeEbEEZZNS1_14partition_implILS8_4ELb0ES6_15HIP_vector_typeIjLj2EENS0_17counting_iteratorIjlEEPS9_SG_NS0_5tupleIJPjSI_NS0_16reverse_iteratorISI_EEEEENSH_IJSG_SG_SG_EEES9_SI_JZNS1_25segmented_radix_sort_implINS0_14default_configELb0EPKiPiPKlPlN2at6native12_GLOBAL__N_18offset_tEEE10hipError_tPvRmT1_PNSt15iterator_traitsIS12_E10value_typeET2_T3_PNS13_IS18_E10value_typeET4_jRbjT5_S1E_jjP12ihipStream_tbEUljE_ZNSN_ISO_Lb0ESQ_SR_ST_SU_SY_EESZ_S10_S11_S12_S16_S17_S18_S1B_S1C_jS1D_jS1E_S1E_jjS1G_bEUljE0_EEESZ_S10_S11_S18_S1C_S1E_T6_T7_T9_mT8_S1G_bDpT10_ENKUlT_T0_E_clISt17integral_constantIbLb0EES1T_IbLb1EEEEDaS1P_S1Q_EUlS1P_E_NS1_11comp_targetILNS1_3genE9ELNS1_11target_archE1100ELNS1_3gpuE3ELNS1_3repE0EEENS1_30default_config_static_selectorELNS0_4arch9wavefront6targetE1EEEvS12_
		.amdhsa_group_segment_fixed_size 0
		.amdhsa_private_segment_fixed_size 0
		.amdhsa_kernarg_size 184
		.amdhsa_user_sgpr_count 6
		.amdhsa_user_sgpr_private_segment_buffer 1
		.amdhsa_user_sgpr_dispatch_ptr 0
		.amdhsa_user_sgpr_queue_ptr 0
		.amdhsa_user_sgpr_kernarg_segment_ptr 1
		.amdhsa_user_sgpr_dispatch_id 0
		.amdhsa_user_sgpr_flat_scratch_init 0
		.amdhsa_user_sgpr_kernarg_preload_length 0
		.amdhsa_user_sgpr_kernarg_preload_offset 0
		.amdhsa_user_sgpr_private_segment_size 0
		.amdhsa_uses_dynamic_stack 0
		.amdhsa_system_sgpr_private_segment_wavefront_offset 0
		.amdhsa_system_sgpr_workgroup_id_x 1
		.amdhsa_system_sgpr_workgroup_id_y 0
		.amdhsa_system_sgpr_workgroup_id_z 0
		.amdhsa_system_sgpr_workgroup_info 0
		.amdhsa_system_vgpr_workitem_id 0
		.amdhsa_next_free_vgpr 1
		.amdhsa_next_free_sgpr 0
		.amdhsa_accum_offset 4
		.amdhsa_reserve_vcc 0
		.amdhsa_reserve_flat_scratch 0
		.amdhsa_float_round_mode_32 0
		.amdhsa_float_round_mode_16_64 0
		.amdhsa_float_denorm_mode_32 3
		.amdhsa_float_denorm_mode_16_64 3
		.amdhsa_dx10_clamp 1
		.amdhsa_ieee_mode 1
		.amdhsa_fp16_overflow 0
		.amdhsa_tg_split 0
		.amdhsa_exception_fp_ieee_invalid_op 0
		.amdhsa_exception_fp_denorm_src 0
		.amdhsa_exception_fp_ieee_div_zero 0
		.amdhsa_exception_fp_ieee_overflow 0
		.amdhsa_exception_fp_ieee_underflow 0
		.amdhsa_exception_fp_ieee_inexact 0
		.amdhsa_exception_int_div_zero 0
	.end_amdhsa_kernel
	.section	.text._ZN7rocprim17ROCPRIM_400000_NS6detail17trampoline_kernelINS0_13select_configILj256ELj13ELNS0_17block_load_methodE3ELS4_3ELS4_3ELNS0_20block_scan_algorithmE0ELj4294967295EEENS1_25partition_config_selectorILNS1_17partition_subalgoE4EjNS0_10empty_typeEbEEZZNS1_14partition_implILS8_4ELb0ES6_15HIP_vector_typeIjLj2EENS0_17counting_iteratorIjlEEPS9_SG_NS0_5tupleIJPjSI_NS0_16reverse_iteratorISI_EEEEENSH_IJSG_SG_SG_EEES9_SI_JZNS1_25segmented_radix_sort_implINS0_14default_configELb0EPKiPiPKlPlN2at6native12_GLOBAL__N_18offset_tEEE10hipError_tPvRmT1_PNSt15iterator_traitsIS12_E10value_typeET2_T3_PNS13_IS18_E10value_typeET4_jRbjT5_S1E_jjP12ihipStream_tbEUljE_ZNSN_ISO_Lb0ESQ_SR_ST_SU_SY_EESZ_S10_S11_S12_S16_S17_S18_S1B_S1C_jS1D_jS1E_S1E_jjS1G_bEUljE0_EEESZ_S10_S11_S18_S1C_S1E_T6_T7_T9_mT8_S1G_bDpT10_ENKUlT_T0_E_clISt17integral_constantIbLb0EES1T_IbLb1EEEEDaS1P_S1Q_EUlS1P_E_NS1_11comp_targetILNS1_3genE9ELNS1_11target_archE1100ELNS1_3gpuE3ELNS1_3repE0EEENS1_30default_config_static_selectorELNS0_4arch9wavefront6targetE1EEEvS12_,"axG",@progbits,_ZN7rocprim17ROCPRIM_400000_NS6detail17trampoline_kernelINS0_13select_configILj256ELj13ELNS0_17block_load_methodE3ELS4_3ELS4_3ELNS0_20block_scan_algorithmE0ELj4294967295EEENS1_25partition_config_selectorILNS1_17partition_subalgoE4EjNS0_10empty_typeEbEEZZNS1_14partition_implILS8_4ELb0ES6_15HIP_vector_typeIjLj2EENS0_17counting_iteratorIjlEEPS9_SG_NS0_5tupleIJPjSI_NS0_16reverse_iteratorISI_EEEEENSH_IJSG_SG_SG_EEES9_SI_JZNS1_25segmented_radix_sort_implINS0_14default_configELb0EPKiPiPKlPlN2at6native12_GLOBAL__N_18offset_tEEE10hipError_tPvRmT1_PNSt15iterator_traitsIS12_E10value_typeET2_T3_PNS13_IS18_E10value_typeET4_jRbjT5_S1E_jjP12ihipStream_tbEUljE_ZNSN_ISO_Lb0ESQ_SR_ST_SU_SY_EESZ_S10_S11_S12_S16_S17_S18_S1B_S1C_jS1D_jS1E_S1E_jjS1G_bEUljE0_EEESZ_S10_S11_S18_S1C_S1E_T6_T7_T9_mT8_S1G_bDpT10_ENKUlT_T0_E_clISt17integral_constantIbLb0EES1T_IbLb1EEEEDaS1P_S1Q_EUlS1P_E_NS1_11comp_targetILNS1_3genE9ELNS1_11target_archE1100ELNS1_3gpuE3ELNS1_3repE0EEENS1_30default_config_static_selectorELNS0_4arch9wavefront6targetE1EEEvS12_,comdat
.Lfunc_end566:
	.size	_ZN7rocprim17ROCPRIM_400000_NS6detail17trampoline_kernelINS0_13select_configILj256ELj13ELNS0_17block_load_methodE3ELS4_3ELS4_3ELNS0_20block_scan_algorithmE0ELj4294967295EEENS1_25partition_config_selectorILNS1_17partition_subalgoE4EjNS0_10empty_typeEbEEZZNS1_14partition_implILS8_4ELb0ES6_15HIP_vector_typeIjLj2EENS0_17counting_iteratorIjlEEPS9_SG_NS0_5tupleIJPjSI_NS0_16reverse_iteratorISI_EEEEENSH_IJSG_SG_SG_EEES9_SI_JZNS1_25segmented_radix_sort_implINS0_14default_configELb0EPKiPiPKlPlN2at6native12_GLOBAL__N_18offset_tEEE10hipError_tPvRmT1_PNSt15iterator_traitsIS12_E10value_typeET2_T3_PNS13_IS18_E10value_typeET4_jRbjT5_S1E_jjP12ihipStream_tbEUljE_ZNSN_ISO_Lb0ESQ_SR_ST_SU_SY_EESZ_S10_S11_S12_S16_S17_S18_S1B_S1C_jS1D_jS1E_S1E_jjS1G_bEUljE0_EEESZ_S10_S11_S18_S1C_S1E_T6_T7_T9_mT8_S1G_bDpT10_ENKUlT_T0_E_clISt17integral_constantIbLb0EES1T_IbLb1EEEEDaS1P_S1Q_EUlS1P_E_NS1_11comp_targetILNS1_3genE9ELNS1_11target_archE1100ELNS1_3gpuE3ELNS1_3repE0EEENS1_30default_config_static_selectorELNS0_4arch9wavefront6targetE1EEEvS12_, .Lfunc_end566-_ZN7rocprim17ROCPRIM_400000_NS6detail17trampoline_kernelINS0_13select_configILj256ELj13ELNS0_17block_load_methodE3ELS4_3ELS4_3ELNS0_20block_scan_algorithmE0ELj4294967295EEENS1_25partition_config_selectorILNS1_17partition_subalgoE4EjNS0_10empty_typeEbEEZZNS1_14partition_implILS8_4ELb0ES6_15HIP_vector_typeIjLj2EENS0_17counting_iteratorIjlEEPS9_SG_NS0_5tupleIJPjSI_NS0_16reverse_iteratorISI_EEEEENSH_IJSG_SG_SG_EEES9_SI_JZNS1_25segmented_radix_sort_implINS0_14default_configELb0EPKiPiPKlPlN2at6native12_GLOBAL__N_18offset_tEEE10hipError_tPvRmT1_PNSt15iterator_traitsIS12_E10value_typeET2_T3_PNS13_IS18_E10value_typeET4_jRbjT5_S1E_jjP12ihipStream_tbEUljE_ZNSN_ISO_Lb0ESQ_SR_ST_SU_SY_EESZ_S10_S11_S12_S16_S17_S18_S1B_S1C_jS1D_jS1E_S1E_jjS1G_bEUljE0_EEESZ_S10_S11_S18_S1C_S1E_T6_T7_T9_mT8_S1G_bDpT10_ENKUlT_T0_E_clISt17integral_constantIbLb0EES1T_IbLb1EEEEDaS1P_S1Q_EUlS1P_E_NS1_11comp_targetILNS1_3genE9ELNS1_11target_archE1100ELNS1_3gpuE3ELNS1_3repE0EEENS1_30default_config_static_selectorELNS0_4arch9wavefront6targetE1EEEvS12_
                                        ; -- End function
	.section	.AMDGPU.csdata,"",@progbits
; Kernel info:
; codeLenInByte = 0
; NumSgprs: 4
; NumVgprs: 0
; NumAgprs: 0
; TotalNumVgprs: 0
; ScratchSize: 0
; MemoryBound: 0
; FloatMode: 240
; IeeeMode: 1
; LDSByteSize: 0 bytes/workgroup (compile time only)
; SGPRBlocks: 0
; VGPRBlocks: 0
; NumSGPRsForWavesPerEU: 4
; NumVGPRsForWavesPerEU: 1
; AccumOffset: 4
; Occupancy: 8
; WaveLimiterHint : 0
; COMPUTE_PGM_RSRC2:SCRATCH_EN: 0
; COMPUTE_PGM_RSRC2:USER_SGPR: 6
; COMPUTE_PGM_RSRC2:TRAP_HANDLER: 0
; COMPUTE_PGM_RSRC2:TGID_X_EN: 1
; COMPUTE_PGM_RSRC2:TGID_Y_EN: 0
; COMPUTE_PGM_RSRC2:TGID_Z_EN: 0
; COMPUTE_PGM_RSRC2:TIDIG_COMP_CNT: 0
; COMPUTE_PGM_RSRC3_GFX90A:ACCUM_OFFSET: 0
; COMPUTE_PGM_RSRC3_GFX90A:TG_SPLIT: 0
	.section	.text._ZN7rocprim17ROCPRIM_400000_NS6detail17trampoline_kernelINS0_13select_configILj256ELj13ELNS0_17block_load_methodE3ELS4_3ELS4_3ELNS0_20block_scan_algorithmE0ELj4294967295EEENS1_25partition_config_selectorILNS1_17partition_subalgoE4EjNS0_10empty_typeEbEEZZNS1_14partition_implILS8_4ELb0ES6_15HIP_vector_typeIjLj2EENS0_17counting_iteratorIjlEEPS9_SG_NS0_5tupleIJPjSI_NS0_16reverse_iteratorISI_EEEEENSH_IJSG_SG_SG_EEES9_SI_JZNS1_25segmented_radix_sort_implINS0_14default_configELb0EPKiPiPKlPlN2at6native12_GLOBAL__N_18offset_tEEE10hipError_tPvRmT1_PNSt15iterator_traitsIS12_E10value_typeET2_T3_PNS13_IS18_E10value_typeET4_jRbjT5_S1E_jjP12ihipStream_tbEUljE_ZNSN_ISO_Lb0ESQ_SR_ST_SU_SY_EESZ_S10_S11_S12_S16_S17_S18_S1B_S1C_jS1D_jS1E_S1E_jjS1G_bEUljE0_EEESZ_S10_S11_S18_S1C_S1E_T6_T7_T9_mT8_S1G_bDpT10_ENKUlT_T0_E_clISt17integral_constantIbLb0EES1T_IbLb1EEEEDaS1P_S1Q_EUlS1P_E_NS1_11comp_targetILNS1_3genE8ELNS1_11target_archE1030ELNS1_3gpuE2ELNS1_3repE0EEENS1_30default_config_static_selectorELNS0_4arch9wavefront6targetE1EEEvS12_,"axG",@progbits,_ZN7rocprim17ROCPRIM_400000_NS6detail17trampoline_kernelINS0_13select_configILj256ELj13ELNS0_17block_load_methodE3ELS4_3ELS4_3ELNS0_20block_scan_algorithmE0ELj4294967295EEENS1_25partition_config_selectorILNS1_17partition_subalgoE4EjNS0_10empty_typeEbEEZZNS1_14partition_implILS8_4ELb0ES6_15HIP_vector_typeIjLj2EENS0_17counting_iteratorIjlEEPS9_SG_NS0_5tupleIJPjSI_NS0_16reverse_iteratorISI_EEEEENSH_IJSG_SG_SG_EEES9_SI_JZNS1_25segmented_radix_sort_implINS0_14default_configELb0EPKiPiPKlPlN2at6native12_GLOBAL__N_18offset_tEEE10hipError_tPvRmT1_PNSt15iterator_traitsIS12_E10value_typeET2_T3_PNS13_IS18_E10value_typeET4_jRbjT5_S1E_jjP12ihipStream_tbEUljE_ZNSN_ISO_Lb0ESQ_SR_ST_SU_SY_EESZ_S10_S11_S12_S16_S17_S18_S1B_S1C_jS1D_jS1E_S1E_jjS1G_bEUljE0_EEESZ_S10_S11_S18_S1C_S1E_T6_T7_T9_mT8_S1G_bDpT10_ENKUlT_T0_E_clISt17integral_constantIbLb0EES1T_IbLb1EEEEDaS1P_S1Q_EUlS1P_E_NS1_11comp_targetILNS1_3genE8ELNS1_11target_archE1030ELNS1_3gpuE2ELNS1_3repE0EEENS1_30default_config_static_selectorELNS0_4arch9wavefront6targetE1EEEvS12_,comdat
	.globl	_ZN7rocprim17ROCPRIM_400000_NS6detail17trampoline_kernelINS0_13select_configILj256ELj13ELNS0_17block_load_methodE3ELS4_3ELS4_3ELNS0_20block_scan_algorithmE0ELj4294967295EEENS1_25partition_config_selectorILNS1_17partition_subalgoE4EjNS0_10empty_typeEbEEZZNS1_14partition_implILS8_4ELb0ES6_15HIP_vector_typeIjLj2EENS0_17counting_iteratorIjlEEPS9_SG_NS0_5tupleIJPjSI_NS0_16reverse_iteratorISI_EEEEENSH_IJSG_SG_SG_EEES9_SI_JZNS1_25segmented_radix_sort_implINS0_14default_configELb0EPKiPiPKlPlN2at6native12_GLOBAL__N_18offset_tEEE10hipError_tPvRmT1_PNSt15iterator_traitsIS12_E10value_typeET2_T3_PNS13_IS18_E10value_typeET4_jRbjT5_S1E_jjP12ihipStream_tbEUljE_ZNSN_ISO_Lb0ESQ_SR_ST_SU_SY_EESZ_S10_S11_S12_S16_S17_S18_S1B_S1C_jS1D_jS1E_S1E_jjS1G_bEUljE0_EEESZ_S10_S11_S18_S1C_S1E_T6_T7_T9_mT8_S1G_bDpT10_ENKUlT_T0_E_clISt17integral_constantIbLb0EES1T_IbLb1EEEEDaS1P_S1Q_EUlS1P_E_NS1_11comp_targetILNS1_3genE8ELNS1_11target_archE1030ELNS1_3gpuE2ELNS1_3repE0EEENS1_30default_config_static_selectorELNS0_4arch9wavefront6targetE1EEEvS12_ ; -- Begin function _ZN7rocprim17ROCPRIM_400000_NS6detail17trampoline_kernelINS0_13select_configILj256ELj13ELNS0_17block_load_methodE3ELS4_3ELS4_3ELNS0_20block_scan_algorithmE0ELj4294967295EEENS1_25partition_config_selectorILNS1_17partition_subalgoE4EjNS0_10empty_typeEbEEZZNS1_14partition_implILS8_4ELb0ES6_15HIP_vector_typeIjLj2EENS0_17counting_iteratorIjlEEPS9_SG_NS0_5tupleIJPjSI_NS0_16reverse_iteratorISI_EEEEENSH_IJSG_SG_SG_EEES9_SI_JZNS1_25segmented_radix_sort_implINS0_14default_configELb0EPKiPiPKlPlN2at6native12_GLOBAL__N_18offset_tEEE10hipError_tPvRmT1_PNSt15iterator_traitsIS12_E10value_typeET2_T3_PNS13_IS18_E10value_typeET4_jRbjT5_S1E_jjP12ihipStream_tbEUljE_ZNSN_ISO_Lb0ESQ_SR_ST_SU_SY_EESZ_S10_S11_S12_S16_S17_S18_S1B_S1C_jS1D_jS1E_S1E_jjS1G_bEUljE0_EEESZ_S10_S11_S18_S1C_S1E_T6_T7_T9_mT8_S1G_bDpT10_ENKUlT_T0_E_clISt17integral_constantIbLb0EES1T_IbLb1EEEEDaS1P_S1Q_EUlS1P_E_NS1_11comp_targetILNS1_3genE8ELNS1_11target_archE1030ELNS1_3gpuE2ELNS1_3repE0EEENS1_30default_config_static_selectorELNS0_4arch9wavefront6targetE1EEEvS12_
	.p2align	8
	.type	_ZN7rocprim17ROCPRIM_400000_NS6detail17trampoline_kernelINS0_13select_configILj256ELj13ELNS0_17block_load_methodE3ELS4_3ELS4_3ELNS0_20block_scan_algorithmE0ELj4294967295EEENS1_25partition_config_selectorILNS1_17partition_subalgoE4EjNS0_10empty_typeEbEEZZNS1_14partition_implILS8_4ELb0ES6_15HIP_vector_typeIjLj2EENS0_17counting_iteratorIjlEEPS9_SG_NS0_5tupleIJPjSI_NS0_16reverse_iteratorISI_EEEEENSH_IJSG_SG_SG_EEES9_SI_JZNS1_25segmented_radix_sort_implINS0_14default_configELb0EPKiPiPKlPlN2at6native12_GLOBAL__N_18offset_tEEE10hipError_tPvRmT1_PNSt15iterator_traitsIS12_E10value_typeET2_T3_PNS13_IS18_E10value_typeET4_jRbjT5_S1E_jjP12ihipStream_tbEUljE_ZNSN_ISO_Lb0ESQ_SR_ST_SU_SY_EESZ_S10_S11_S12_S16_S17_S18_S1B_S1C_jS1D_jS1E_S1E_jjS1G_bEUljE0_EEESZ_S10_S11_S18_S1C_S1E_T6_T7_T9_mT8_S1G_bDpT10_ENKUlT_T0_E_clISt17integral_constantIbLb0EES1T_IbLb1EEEEDaS1P_S1Q_EUlS1P_E_NS1_11comp_targetILNS1_3genE8ELNS1_11target_archE1030ELNS1_3gpuE2ELNS1_3repE0EEENS1_30default_config_static_selectorELNS0_4arch9wavefront6targetE1EEEvS12_,@function
_ZN7rocprim17ROCPRIM_400000_NS6detail17trampoline_kernelINS0_13select_configILj256ELj13ELNS0_17block_load_methodE3ELS4_3ELS4_3ELNS0_20block_scan_algorithmE0ELj4294967295EEENS1_25partition_config_selectorILNS1_17partition_subalgoE4EjNS0_10empty_typeEbEEZZNS1_14partition_implILS8_4ELb0ES6_15HIP_vector_typeIjLj2EENS0_17counting_iteratorIjlEEPS9_SG_NS0_5tupleIJPjSI_NS0_16reverse_iteratorISI_EEEEENSH_IJSG_SG_SG_EEES9_SI_JZNS1_25segmented_radix_sort_implINS0_14default_configELb0EPKiPiPKlPlN2at6native12_GLOBAL__N_18offset_tEEE10hipError_tPvRmT1_PNSt15iterator_traitsIS12_E10value_typeET2_T3_PNS13_IS18_E10value_typeET4_jRbjT5_S1E_jjP12ihipStream_tbEUljE_ZNSN_ISO_Lb0ESQ_SR_ST_SU_SY_EESZ_S10_S11_S12_S16_S17_S18_S1B_S1C_jS1D_jS1E_S1E_jjS1G_bEUljE0_EEESZ_S10_S11_S18_S1C_S1E_T6_T7_T9_mT8_S1G_bDpT10_ENKUlT_T0_E_clISt17integral_constantIbLb0EES1T_IbLb1EEEEDaS1P_S1Q_EUlS1P_E_NS1_11comp_targetILNS1_3genE8ELNS1_11target_archE1030ELNS1_3gpuE2ELNS1_3repE0EEENS1_30default_config_static_selectorELNS0_4arch9wavefront6targetE1EEEvS12_: ; @_ZN7rocprim17ROCPRIM_400000_NS6detail17trampoline_kernelINS0_13select_configILj256ELj13ELNS0_17block_load_methodE3ELS4_3ELS4_3ELNS0_20block_scan_algorithmE0ELj4294967295EEENS1_25partition_config_selectorILNS1_17partition_subalgoE4EjNS0_10empty_typeEbEEZZNS1_14partition_implILS8_4ELb0ES6_15HIP_vector_typeIjLj2EENS0_17counting_iteratorIjlEEPS9_SG_NS0_5tupleIJPjSI_NS0_16reverse_iteratorISI_EEEEENSH_IJSG_SG_SG_EEES9_SI_JZNS1_25segmented_radix_sort_implINS0_14default_configELb0EPKiPiPKlPlN2at6native12_GLOBAL__N_18offset_tEEE10hipError_tPvRmT1_PNSt15iterator_traitsIS12_E10value_typeET2_T3_PNS13_IS18_E10value_typeET4_jRbjT5_S1E_jjP12ihipStream_tbEUljE_ZNSN_ISO_Lb0ESQ_SR_ST_SU_SY_EESZ_S10_S11_S12_S16_S17_S18_S1B_S1C_jS1D_jS1E_S1E_jjS1G_bEUljE0_EEESZ_S10_S11_S18_S1C_S1E_T6_T7_T9_mT8_S1G_bDpT10_ENKUlT_T0_E_clISt17integral_constantIbLb0EES1T_IbLb1EEEEDaS1P_S1Q_EUlS1P_E_NS1_11comp_targetILNS1_3genE8ELNS1_11target_archE1030ELNS1_3gpuE2ELNS1_3repE0EEENS1_30default_config_static_selectorELNS0_4arch9wavefront6targetE1EEEvS12_
; %bb.0:
	.section	.rodata,"a",@progbits
	.p2align	6, 0x0
	.amdhsa_kernel _ZN7rocprim17ROCPRIM_400000_NS6detail17trampoline_kernelINS0_13select_configILj256ELj13ELNS0_17block_load_methodE3ELS4_3ELS4_3ELNS0_20block_scan_algorithmE0ELj4294967295EEENS1_25partition_config_selectorILNS1_17partition_subalgoE4EjNS0_10empty_typeEbEEZZNS1_14partition_implILS8_4ELb0ES6_15HIP_vector_typeIjLj2EENS0_17counting_iteratorIjlEEPS9_SG_NS0_5tupleIJPjSI_NS0_16reverse_iteratorISI_EEEEENSH_IJSG_SG_SG_EEES9_SI_JZNS1_25segmented_radix_sort_implINS0_14default_configELb0EPKiPiPKlPlN2at6native12_GLOBAL__N_18offset_tEEE10hipError_tPvRmT1_PNSt15iterator_traitsIS12_E10value_typeET2_T3_PNS13_IS18_E10value_typeET4_jRbjT5_S1E_jjP12ihipStream_tbEUljE_ZNSN_ISO_Lb0ESQ_SR_ST_SU_SY_EESZ_S10_S11_S12_S16_S17_S18_S1B_S1C_jS1D_jS1E_S1E_jjS1G_bEUljE0_EEESZ_S10_S11_S18_S1C_S1E_T6_T7_T9_mT8_S1G_bDpT10_ENKUlT_T0_E_clISt17integral_constantIbLb0EES1T_IbLb1EEEEDaS1P_S1Q_EUlS1P_E_NS1_11comp_targetILNS1_3genE8ELNS1_11target_archE1030ELNS1_3gpuE2ELNS1_3repE0EEENS1_30default_config_static_selectorELNS0_4arch9wavefront6targetE1EEEvS12_
		.amdhsa_group_segment_fixed_size 0
		.amdhsa_private_segment_fixed_size 0
		.amdhsa_kernarg_size 184
		.amdhsa_user_sgpr_count 6
		.amdhsa_user_sgpr_private_segment_buffer 1
		.amdhsa_user_sgpr_dispatch_ptr 0
		.amdhsa_user_sgpr_queue_ptr 0
		.amdhsa_user_sgpr_kernarg_segment_ptr 1
		.amdhsa_user_sgpr_dispatch_id 0
		.amdhsa_user_sgpr_flat_scratch_init 0
		.amdhsa_user_sgpr_kernarg_preload_length 0
		.amdhsa_user_sgpr_kernarg_preload_offset 0
		.amdhsa_user_sgpr_private_segment_size 0
		.amdhsa_uses_dynamic_stack 0
		.amdhsa_system_sgpr_private_segment_wavefront_offset 0
		.amdhsa_system_sgpr_workgroup_id_x 1
		.amdhsa_system_sgpr_workgroup_id_y 0
		.amdhsa_system_sgpr_workgroup_id_z 0
		.amdhsa_system_sgpr_workgroup_info 0
		.amdhsa_system_vgpr_workitem_id 0
		.amdhsa_next_free_vgpr 1
		.amdhsa_next_free_sgpr 0
		.amdhsa_accum_offset 4
		.amdhsa_reserve_vcc 0
		.amdhsa_reserve_flat_scratch 0
		.amdhsa_float_round_mode_32 0
		.amdhsa_float_round_mode_16_64 0
		.amdhsa_float_denorm_mode_32 3
		.amdhsa_float_denorm_mode_16_64 3
		.amdhsa_dx10_clamp 1
		.amdhsa_ieee_mode 1
		.amdhsa_fp16_overflow 0
		.amdhsa_tg_split 0
		.amdhsa_exception_fp_ieee_invalid_op 0
		.amdhsa_exception_fp_denorm_src 0
		.amdhsa_exception_fp_ieee_div_zero 0
		.amdhsa_exception_fp_ieee_overflow 0
		.amdhsa_exception_fp_ieee_underflow 0
		.amdhsa_exception_fp_ieee_inexact 0
		.amdhsa_exception_int_div_zero 0
	.end_amdhsa_kernel
	.section	.text._ZN7rocprim17ROCPRIM_400000_NS6detail17trampoline_kernelINS0_13select_configILj256ELj13ELNS0_17block_load_methodE3ELS4_3ELS4_3ELNS0_20block_scan_algorithmE0ELj4294967295EEENS1_25partition_config_selectorILNS1_17partition_subalgoE4EjNS0_10empty_typeEbEEZZNS1_14partition_implILS8_4ELb0ES6_15HIP_vector_typeIjLj2EENS0_17counting_iteratorIjlEEPS9_SG_NS0_5tupleIJPjSI_NS0_16reverse_iteratorISI_EEEEENSH_IJSG_SG_SG_EEES9_SI_JZNS1_25segmented_radix_sort_implINS0_14default_configELb0EPKiPiPKlPlN2at6native12_GLOBAL__N_18offset_tEEE10hipError_tPvRmT1_PNSt15iterator_traitsIS12_E10value_typeET2_T3_PNS13_IS18_E10value_typeET4_jRbjT5_S1E_jjP12ihipStream_tbEUljE_ZNSN_ISO_Lb0ESQ_SR_ST_SU_SY_EESZ_S10_S11_S12_S16_S17_S18_S1B_S1C_jS1D_jS1E_S1E_jjS1G_bEUljE0_EEESZ_S10_S11_S18_S1C_S1E_T6_T7_T9_mT8_S1G_bDpT10_ENKUlT_T0_E_clISt17integral_constantIbLb0EES1T_IbLb1EEEEDaS1P_S1Q_EUlS1P_E_NS1_11comp_targetILNS1_3genE8ELNS1_11target_archE1030ELNS1_3gpuE2ELNS1_3repE0EEENS1_30default_config_static_selectorELNS0_4arch9wavefront6targetE1EEEvS12_,"axG",@progbits,_ZN7rocprim17ROCPRIM_400000_NS6detail17trampoline_kernelINS0_13select_configILj256ELj13ELNS0_17block_load_methodE3ELS4_3ELS4_3ELNS0_20block_scan_algorithmE0ELj4294967295EEENS1_25partition_config_selectorILNS1_17partition_subalgoE4EjNS0_10empty_typeEbEEZZNS1_14partition_implILS8_4ELb0ES6_15HIP_vector_typeIjLj2EENS0_17counting_iteratorIjlEEPS9_SG_NS0_5tupleIJPjSI_NS0_16reverse_iteratorISI_EEEEENSH_IJSG_SG_SG_EEES9_SI_JZNS1_25segmented_radix_sort_implINS0_14default_configELb0EPKiPiPKlPlN2at6native12_GLOBAL__N_18offset_tEEE10hipError_tPvRmT1_PNSt15iterator_traitsIS12_E10value_typeET2_T3_PNS13_IS18_E10value_typeET4_jRbjT5_S1E_jjP12ihipStream_tbEUljE_ZNSN_ISO_Lb0ESQ_SR_ST_SU_SY_EESZ_S10_S11_S12_S16_S17_S18_S1B_S1C_jS1D_jS1E_S1E_jjS1G_bEUljE0_EEESZ_S10_S11_S18_S1C_S1E_T6_T7_T9_mT8_S1G_bDpT10_ENKUlT_T0_E_clISt17integral_constantIbLb0EES1T_IbLb1EEEEDaS1P_S1Q_EUlS1P_E_NS1_11comp_targetILNS1_3genE8ELNS1_11target_archE1030ELNS1_3gpuE2ELNS1_3repE0EEENS1_30default_config_static_selectorELNS0_4arch9wavefront6targetE1EEEvS12_,comdat
.Lfunc_end567:
	.size	_ZN7rocprim17ROCPRIM_400000_NS6detail17trampoline_kernelINS0_13select_configILj256ELj13ELNS0_17block_load_methodE3ELS4_3ELS4_3ELNS0_20block_scan_algorithmE0ELj4294967295EEENS1_25partition_config_selectorILNS1_17partition_subalgoE4EjNS0_10empty_typeEbEEZZNS1_14partition_implILS8_4ELb0ES6_15HIP_vector_typeIjLj2EENS0_17counting_iteratorIjlEEPS9_SG_NS0_5tupleIJPjSI_NS0_16reverse_iteratorISI_EEEEENSH_IJSG_SG_SG_EEES9_SI_JZNS1_25segmented_radix_sort_implINS0_14default_configELb0EPKiPiPKlPlN2at6native12_GLOBAL__N_18offset_tEEE10hipError_tPvRmT1_PNSt15iterator_traitsIS12_E10value_typeET2_T3_PNS13_IS18_E10value_typeET4_jRbjT5_S1E_jjP12ihipStream_tbEUljE_ZNSN_ISO_Lb0ESQ_SR_ST_SU_SY_EESZ_S10_S11_S12_S16_S17_S18_S1B_S1C_jS1D_jS1E_S1E_jjS1G_bEUljE0_EEESZ_S10_S11_S18_S1C_S1E_T6_T7_T9_mT8_S1G_bDpT10_ENKUlT_T0_E_clISt17integral_constantIbLb0EES1T_IbLb1EEEEDaS1P_S1Q_EUlS1P_E_NS1_11comp_targetILNS1_3genE8ELNS1_11target_archE1030ELNS1_3gpuE2ELNS1_3repE0EEENS1_30default_config_static_selectorELNS0_4arch9wavefront6targetE1EEEvS12_, .Lfunc_end567-_ZN7rocprim17ROCPRIM_400000_NS6detail17trampoline_kernelINS0_13select_configILj256ELj13ELNS0_17block_load_methodE3ELS4_3ELS4_3ELNS0_20block_scan_algorithmE0ELj4294967295EEENS1_25partition_config_selectorILNS1_17partition_subalgoE4EjNS0_10empty_typeEbEEZZNS1_14partition_implILS8_4ELb0ES6_15HIP_vector_typeIjLj2EENS0_17counting_iteratorIjlEEPS9_SG_NS0_5tupleIJPjSI_NS0_16reverse_iteratorISI_EEEEENSH_IJSG_SG_SG_EEES9_SI_JZNS1_25segmented_radix_sort_implINS0_14default_configELb0EPKiPiPKlPlN2at6native12_GLOBAL__N_18offset_tEEE10hipError_tPvRmT1_PNSt15iterator_traitsIS12_E10value_typeET2_T3_PNS13_IS18_E10value_typeET4_jRbjT5_S1E_jjP12ihipStream_tbEUljE_ZNSN_ISO_Lb0ESQ_SR_ST_SU_SY_EESZ_S10_S11_S12_S16_S17_S18_S1B_S1C_jS1D_jS1E_S1E_jjS1G_bEUljE0_EEESZ_S10_S11_S18_S1C_S1E_T6_T7_T9_mT8_S1G_bDpT10_ENKUlT_T0_E_clISt17integral_constantIbLb0EES1T_IbLb1EEEEDaS1P_S1Q_EUlS1P_E_NS1_11comp_targetILNS1_3genE8ELNS1_11target_archE1030ELNS1_3gpuE2ELNS1_3repE0EEENS1_30default_config_static_selectorELNS0_4arch9wavefront6targetE1EEEvS12_
                                        ; -- End function
	.section	.AMDGPU.csdata,"",@progbits
; Kernel info:
; codeLenInByte = 0
; NumSgprs: 4
; NumVgprs: 0
; NumAgprs: 0
; TotalNumVgprs: 0
; ScratchSize: 0
; MemoryBound: 0
; FloatMode: 240
; IeeeMode: 1
; LDSByteSize: 0 bytes/workgroup (compile time only)
; SGPRBlocks: 0
; VGPRBlocks: 0
; NumSGPRsForWavesPerEU: 4
; NumVGPRsForWavesPerEU: 1
; AccumOffset: 4
; Occupancy: 8
; WaveLimiterHint : 0
; COMPUTE_PGM_RSRC2:SCRATCH_EN: 0
; COMPUTE_PGM_RSRC2:USER_SGPR: 6
; COMPUTE_PGM_RSRC2:TRAP_HANDLER: 0
; COMPUTE_PGM_RSRC2:TGID_X_EN: 1
; COMPUTE_PGM_RSRC2:TGID_Y_EN: 0
; COMPUTE_PGM_RSRC2:TGID_Z_EN: 0
; COMPUTE_PGM_RSRC2:TIDIG_COMP_CNT: 0
; COMPUTE_PGM_RSRC3_GFX90A:ACCUM_OFFSET: 0
; COMPUTE_PGM_RSRC3_GFX90A:TG_SPLIT: 0
	.section	.text._ZN7rocprim17ROCPRIM_400000_NS6detail17trampoline_kernelINS0_13select_configILj256ELj13ELNS0_17block_load_methodE3ELS4_3ELS4_3ELNS0_20block_scan_algorithmE0ELj4294967295EEENS1_25partition_config_selectorILNS1_17partition_subalgoE3EjNS0_10empty_typeEbEEZZNS1_14partition_implILS8_3ELb0ES6_jNS0_17counting_iteratorIjlEEPS9_SE_NS0_5tupleIJPjSE_EEENSF_IJSE_SE_EEES9_SG_JZNS1_25segmented_radix_sort_implINS0_14default_configELb0EPKiPiPKlPlN2at6native12_GLOBAL__N_18offset_tEEE10hipError_tPvRmT1_PNSt15iterator_traitsISY_E10value_typeET2_T3_PNSZ_IS14_E10value_typeET4_jRbjT5_S1A_jjP12ihipStream_tbEUljE_EEESV_SW_SX_S14_S18_S1A_T6_T7_T9_mT8_S1C_bDpT10_ENKUlT_T0_E_clISt17integral_constantIbLb0EES1P_EEDaS1K_S1L_EUlS1K_E_NS1_11comp_targetILNS1_3genE0ELNS1_11target_archE4294967295ELNS1_3gpuE0ELNS1_3repE0EEENS1_30default_config_static_selectorELNS0_4arch9wavefront6targetE1EEEvSY_,"axG",@progbits,_ZN7rocprim17ROCPRIM_400000_NS6detail17trampoline_kernelINS0_13select_configILj256ELj13ELNS0_17block_load_methodE3ELS4_3ELS4_3ELNS0_20block_scan_algorithmE0ELj4294967295EEENS1_25partition_config_selectorILNS1_17partition_subalgoE3EjNS0_10empty_typeEbEEZZNS1_14partition_implILS8_3ELb0ES6_jNS0_17counting_iteratorIjlEEPS9_SE_NS0_5tupleIJPjSE_EEENSF_IJSE_SE_EEES9_SG_JZNS1_25segmented_radix_sort_implINS0_14default_configELb0EPKiPiPKlPlN2at6native12_GLOBAL__N_18offset_tEEE10hipError_tPvRmT1_PNSt15iterator_traitsISY_E10value_typeET2_T3_PNSZ_IS14_E10value_typeET4_jRbjT5_S1A_jjP12ihipStream_tbEUljE_EEESV_SW_SX_S14_S18_S1A_T6_T7_T9_mT8_S1C_bDpT10_ENKUlT_T0_E_clISt17integral_constantIbLb0EES1P_EEDaS1K_S1L_EUlS1K_E_NS1_11comp_targetILNS1_3genE0ELNS1_11target_archE4294967295ELNS1_3gpuE0ELNS1_3repE0EEENS1_30default_config_static_selectorELNS0_4arch9wavefront6targetE1EEEvSY_,comdat
	.globl	_ZN7rocprim17ROCPRIM_400000_NS6detail17trampoline_kernelINS0_13select_configILj256ELj13ELNS0_17block_load_methodE3ELS4_3ELS4_3ELNS0_20block_scan_algorithmE0ELj4294967295EEENS1_25partition_config_selectorILNS1_17partition_subalgoE3EjNS0_10empty_typeEbEEZZNS1_14partition_implILS8_3ELb0ES6_jNS0_17counting_iteratorIjlEEPS9_SE_NS0_5tupleIJPjSE_EEENSF_IJSE_SE_EEES9_SG_JZNS1_25segmented_radix_sort_implINS0_14default_configELb0EPKiPiPKlPlN2at6native12_GLOBAL__N_18offset_tEEE10hipError_tPvRmT1_PNSt15iterator_traitsISY_E10value_typeET2_T3_PNSZ_IS14_E10value_typeET4_jRbjT5_S1A_jjP12ihipStream_tbEUljE_EEESV_SW_SX_S14_S18_S1A_T6_T7_T9_mT8_S1C_bDpT10_ENKUlT_T0_E_clISt17integral_constantIbLb0EES1P_EEDaS1K_S1L_EUlS1K_E_NS1_11comp_targetILNS1_3genE0ELNS1_11target_archE4294967295ELNS1_3gpuE0ELNS1_3repE0EEENS1_30default_config_static_selectorELNS0_4arch9wavefront6targetE1EEEvSY_ ; -- Begin function _ZN7rocprim17ROCPRIM_400000_NS6detail17trampoline_kernelINS0_13select_configILj256ELj13ELNS0_17block_load_methodE3ELS4_3ELS4_3ELNS0_20block_scan_algorithmE0ELj4294967295EEENS1_25partition_config_selectorILNS1_17partition_subalgoE3EjNS0_10empty_typeEbEEZZNS1_14partition_implILS8_3ELb0ES6_jNS0_17counting_iteratorIjlEEPS9_SE_NS0_5tupleIJPjSE_EEENSF_IJSE_SE_EEES9_SG_JZNS1_25segmented_radix_sort_implINS0_14default_configELb0EPKiPiPKlPlN2at6native12_GLOBAL__N_18offset_tEEE10hipError_tPvRmT1_PNSt15iterator_traitsISY_E10value_typeET2_T3_PNSZ_IS14_E10value_typeET4_jRbjT5_S1A_jjP12ihipStream_tbEUljE_EEESV_SW_SX_S14_S18_S1A_T6_T7_T9_mT8_S1C_bDpT10_ENKUlT_T0_E_clISt17integral_constantIbLb0EES1P_EEDaS1K_S1L_EUlS1K_E_NS1_11comp_targetILNS1_3genE0ELNS1_11target_archE4294967295ELNS1_3gpuE0ELNS1_3repE0EEENS1_30default_config_static_selectorELNS0_4arch9wavefront6targetE1EEEvSY_
	.p2align	8
	.type	_ZN7rocprim17ROCPRIM_400000_NS6detail17trampoline_kernelINS0_13select_configILj256ELj13ELNS0_17block_load_methodE3ELS4_3ELS4_3ELNS0_20block_scan_algorithmE0ELj4294967295EEENS1_25partition_config_selectorILNS1_17partition_subalgoE3EjNS0_10empty_typeEbEEZZNS1_14partition_implILS8_3ELb0ES6_jNS0_17counting_iteratorIjlEEPS9_SE_NS0_5tupleIJPjSE_EEENSF_IJSE_SE_EEES9_SG_JZNS1_25segmented_radix_sort_implINS0_14default_configELb0EPKiPiPKlPlN2at6native12_GLOBAL__N_18offset_tEEE10hipError_tPvRmT1_PNSt15iterator_traitsISY_E10value_typeET2_T3_PNSZ_IS14_E10value_typeET4_jRbjT5_S1A_jjP12ihipStream_tbEUljE_EEESV_SW_SX_S14_S18_S1A_T6_T7_T9_mT8_S1C_bDpT10_ENKUlT_T0_E_clISt17integral_constantIbLb0EES1P_EEDaS1K_S1L_EUlS1K_E_NS1_11comp_targetILNS1_3genE0ELNS1_11target_archE4294967295ELNS1_3gpuE0ELNS1_3repE0EEENS1_30default_config_static_selectorELNS0_4arch9wavefront6targetE1EEEvSY_,@function
_ZN7rocprim17ROCPRIM_400000_NS6detail17trampoline_kernelINS0_13select_configILj256ELj13ELNS0_17block_load_methodE3ELS4_3ELS4_3ELNS0_20block_scan_algorithmE0ELj4294967295EEENS1_25partition_config_selectorILNS1_17partition_subalgoE3EjNS0_10empty_typeEbEEZZNS1_14partition_implILS8_3ELb0ES6_jNS0_17counting_iteratorIjlEEPS9_SE_NS0_5tupleIJPjSE_EEENSF_IJSE_SE_EEES9_SG_JZNS1_25segmented_radix_sort_implINS0_14default_configELb0EPKiPiPKlPlN2at6native12_GLOBAL__N_18offset_tEEE10hipError_tPvRmT1_PNSt15iterator_traitsISY_E10value_typeET2_T3_PNSZ_IS14_E10value_typeET4_jRbjT5_S1A_jjP12ihipStream_tbEUljE_EEESV_SW_SX_S14_S18_S1A_T6_T7_T9_mT8_S1C_bDpT10_ENKUlT_T0_E_clISt17integral_constantIbLb0EES1P_EEDaS1K_S1L_EUlS1K_E_NS1_11comp_targetILNS1_3genE0ELNS1_11target_archE4294967295ELNS1_3gpuE0ELNS1_3repE0EEENS1_30default_config_static_selectorELNS0_4arch9wavefront6targetE1EEEvSY_: ; @_ZN7rocprim17ROCPRIM_400000_NS6detail17trampoline_kernelINS0_13select_configILj256ELj13ELNS0_17block_load_methodE3ELS4_3ELS4_3ELNS0_20block_scan_algorithmE0ELj4294967295EEENS1_25partition_config_selectorILNS1_17partition_subalgoE3EjNS0_10empty_typeEbEEZZNS1_14partition_implILS8_3ELb0ES6_jNS0_17counting_iteratorIjlEEPS9_SE_NS0_5tupleIJPjSE_EEENSF_IJSE_SE_EEES9_SG_JZNS1_25segmented_radix_sort_implINS0_14default_configELb0EPKiPiPKlPlN2at6native12_GLOBAL__N_18offset_tEEE10hipError_tPvRmT1_PNSt15iterator_traitsISY_E10value_typeET2_T3_PNSZ_IS14_E10value_typeET4_jRbjT5_S1A_jjP12ihipStream_tbEUljE_EEESV_SW_SX_S14_S18_S1A_T6_T7_T9_mT8_S1C_bDpT10_ENKUlT_T0_E_clISt17integral_constantIbLb0EES1P_EEDaS1K_S1L_EUlS1K_E_NS1_11comp_targetILNS1_3genE0ELNS1_11target_archE4294967295ELNS1_3gpuE0ELNS1_3repE0EEENS1_30default_config_static_selectorELNS0_4arch9wavefront6targetE1EEEvSY_
; %bb.0:
	.section	.rodata,"a",@progbits
	.p2align	6, 0x0
	.amdhsa_kernel _ZN7rocprim17ROCPRIM_400000_NS6detail17trampoline_kernelINS0_13select_configILj256ELj13ELNS0_17block_load_methodE3ELS4_3ELS4_3ELNS0_20block_scan_algorithmE0ELj4294967295EEENS1_25partition_config_selectorILNS1_17partition_subalgoE3EjNS0_10empty_typeEbEEZZNS1_14partition_implILS8_3ELb0ES6_jNS0_17counting_iteratorIjlEEPS9_SE_NS0_5tupleIJPjSE_EEENSF_IJSE_SE_EEES9_SG_JZNS1_25segmented_radix_sort_implINS0_14default_configELb0EPKiPiPKlPlN2at6native12_GLOBAL__N_18offset_tEEE10hipError_tPvRmT1_PNSt15iterator_traitsISY_E10value_typeET2_T3_PNSZ_IS14_E10value_typeET4_jRbjT5_S1A_jjP12ihipStream_tbEUljE_EEESV_SW_SX_S14_S18_S1A_T6_T7_T9_mT8_S1C_bDpT10_ENKUlT_T0_E_clISt17integral_constantIbLb0EES1P_EEDaS1K_S1L_EUlS1K_E_NS1_11comp_targetILNS1_3genE0ELNS1_11target_archE4294967295ELNS1_3gpuE0ELNS1_3repE0EEENS1_30default_config_static_selectorELNS0_4arch9wavefront6targetE1EEEvSY_
		.amdhsa_group_segment_fixed_size 0
		.amdhsa_private_segment_fixed_size 0
		.amdhsa_kernarg_size 144
		.amdhsa_user_sgpr_count 6
		.amdhsa_user_sgpr_private_segment_buffer 1
		.amdhsa_user_sgpr_dispatch_ptr 0
		.amdhsa_user_sgpr_queue_ptr 0
		.amdhsa_user_sgpr_kernarg_segment_ptr 1
		.amdhsa_user_sgpr_dispatch_id 0
		.amdhsa_user_sgpr_flat_scratch_init 0
		.amdhsa_user_sgpr_kernarg_preload_length 0
		.amdhsa_user_sgpr_kernarg_preload_offset 0
		.amdhsa_user_sgpr_private_segment_size 0
		.amdhsa_uses_dynamic_stack 0
		.amdhsa_system_sgpr_private_segment_wavefront_offset 0
		.amdhsa_system_sgpr_workgroup_id_x 1
		.amdhsa_system_sgpr_workgroup_id_y 0
		.amdhsa_system_sgpr_workgroup_id_z 0
		.amdhsa_system_sgpr_workgroup_info 0
		.amdhsa_system_vgpr_workitem_id 0
		.amdhsa_next_free_vgpr 1
		.amdhsa_next_free_sgpr 0
		.amdhsa_accum_offset 4
		.amdhsa_reserve_vcc 0
		.amdhsa_reserve_flat_scratch 0
		.amdhsa_float_round_mode_32 0
		.amdhsa_float_round_mode_16_64 0
		.amdhsa_float_denorm_mode_32 3
		.amdhsa_float_denorm_mode_16_64 3
		.amdhsa_dx10_clamp 1
		.amdhsa_ieee_mode 1
		.amdhsa_fp16_overflow 0
		.amdhsa_tg_split 0
		.amdhsa_exception_fp_ieee_invalid_op 0
		.amdhsa_exception_fp_denorm_src 0
		.amdhsa_exception_fp_ieee_div_zero 0
		.amdhsa_exception_fp_ieee_overflow 0
		.amdhsa_exception_fp_ieee_underflow 0
		.amdhsa_exception_fp_ieee_inexact 0
		.amdhsa_exception_int_div_zero 0
	.end_amdhsa_kernel
	.section	.text._ZN7rocprim17ROCPRIM_400000_NS6detail17trampoline_kernelINS0_13select_configILj256ELj13ELNS0_17block_load_methodE3ELS4_3ELS4_3ELNS0_20block_scan_algorithmE0ELj4294967295EEENS1_25partition_config_selectorILNS1_17partition_subalgoE3EjNS0_10empty_typeEbEEZZNS1_14partition_implILS8_3ELb0ES6_jNS0_17counting_iteratorIjlEEPS9_SE_NS0_5tupleIJPjSE_EEENSF_IJSE_SE_EEES9_SG_JZNS1_25segmented_radix_sort_implINS0_14default_configELb0EPKiPiPKlPlN2at6native12_GLOBAL__N_18offset_tEEE10hipError_tPvRmT1_PNSt15iterator_traitsISY_E10value_typeET2_T3_PNSZ_IS14_E10value_typeET4_jRbjT5_S1A_jjP12ihipStream_tbEUljE_EEESV_SW_SX_S14_S18_S1A_T6_T7_T9_mT8_S1C_bDpT10_ENKUlT_T0_E_clISt17integral_constantIbLb0EES1P_EEDaS1K_S1L_EUlS1K_E_NS1_11comp_targetILNS1_3genE0ELNS1_11target_archE4294967295ELNS1_3gpuE0ELNS1_3repE0EEENS1_30default_config_static_selectorELNS0_4arch9wavefront6targetE1EEEvSY_,"axG",@progbits,_ZN7rocprim17ROCPRIM_400000_NS6detail17trampoline_kernelINS0_13select_configILj256ELj13ELNS0_17block_load_methodE3ELS4_3ELS4_3ELNS0_20block_scan_algorithmE0ELj4294967295EEENS1_25partition_config_selectorILNS1_17partition_subalgoE3EjNS0_10empty_typeEbEEZZNS1_14partition_implILS8_3ELb0ES6_jNS0_17counting_iteratorIjlEEPS9_SE_NS0_5tupleIJPjSE_EEENSF_IJSE_SE_EEES9_SG_JZNS1_25segmented_radix_sort_implINS0_14default_configELb0EPKiPiPKlPlN2at6native12_GLOBAL__N_18offset_tEEE10hipError_tPvRmT1_PNSt15iterator_traitsISY_E10value_typeET2_T3_PNSZ_IS14_E10value_typeET4_jRbjT5_S1A_jjP12ihipStream_tbEUljE_EEESV_SW_SX_S14_S18_S1A_T6_T7_T9_mT8_S1C_bDpT10_ENKUlT_T0_E_clISt17integral_constantIbLb0EES1P_EEDaS1K_S1L_EUlS1K_E_NS1_11comp_targetILNS1_3genE0ELNS1_11target_archE4294967295ELNS1_3gpuE0ELNS1_3repE0EEENS1_30default_config_static_selectorELNS0_4arch9wavefront6targetE1EEEvSY_,comdat
.Lfunc_end568:
	.size	_ZN7rocprim17ROCPRIM_400000_NS6detail17trampoline_kernelINS0_13select_configILj256ELj13ELNS0_17block_load_methodE3ELS4_3ELS4_3ELNS0_20block_scan_algorithmE0ELj4294967295EEENS1_25partition_config_selectorILNS1_17partition_subalgoE3EjNS0_10empty_typeEbEEZZNS1_14partition_implILS8_3ELb0ES6_jNS0_17counting_iteratorIjlEEPS9_SE_NS0_5tupleIJPjSE_EEENSF_IJSE_SE_EEES9_SG_JZNS1_25segmented_radix_sort_implINS0_14default_configELb0EPKiPiPKlPlN2at6native12_GLOBAL__N_18offset_tEEE10hipError_tPvRmT1_PNSt15iterator_traitsISY_E10value_typeET2_T3_PNSZ_IS14_E10value_typeET4_jRbjT5_S1A_jjP12ihipStream_tbEUljE_EEESV_SW_SX_S14_S18_S1A_T6_T7_T9_mT8_S1C_bDpT10_ENKUlT_T0_E_clISt17integral_constantIbLb0EES1P_EEDaS1K_S1L_EUlS1K_E_NS1_11comp_targetILNS1_3genE0ELNS1_11target_archE4294967295ELNS1_3gpuE0ELNS1_3repE0EEENS1_30default_config_static_selectorELNS0_4arch9wavefront6targetE1EEEvSY_, .Lfunc_end568-_ZN7rocprim17ROCPRIM_400000_NS6detail17trampoline_kernelINS0_13select_configILj256ELj13ELNS0_17block_load_methodE3ELS4_3ELS4_3ELNS0_20block_scan_algorithmE0ELj4294967295EEENS1_25partition_config_selectorILNS1_17partition_subalgoE3EjNS0_10empty_typeEbEEZZNS1_14partition_implILS8_3ELb0ES6_jNS0_17counting_iteratorIjlEEPS9_SE_NS0_5tupleIJPjSE_EEENSF_IJSE_SE_EEES9_SG_JZNS1_25segmented_radix_sort_implINS0_14default_configELb0EPKiPiPKlPlN2at6native12_GLOBAL__N_18offset_tEEE10hipError_tPvRmT1_PNSt15iterator_traitsISY_E10value_typeET2_T3_PNSZ_IS14_E10value_typeET4_jRbjT5_S1A_jjP12ihipStream_tbEUljE_EEESV_SW_SX_S14_S18_S1A_T6_T7_T9_mT8_S1C_bDpT10_ENKUlT_T0_E_clISt17integral_constantIbLb0EES1P_EEDaS1K_S1L_EUlS1K_E_NS1_11comp_targetILNS1_3genE0ELNS1_11target_archE4294967295ELNS1_3gpuE0ELNS1_3repE0EEENS1_30default_config_static_selectorELNS0_4arch9wavefront6targetE1EEEvSY_
                                        ; -- End function
	.section	.AMDGPU.csdata,"",@progbits
; Kernel info:
; codeLenInByte = 0
; NumSgprs: 4
; NumVgprs: 0
; NumAgprs: 0
; TotalNumVgprs: 0
; ScratchSize: 0
; MemoryBound: 0
; FloatMode: 240
; IeeeMode: 1
; LDSByteSize: 0 bytes/workgroup (compile time only)
; SGPRBlocks: 0
; VGPRBlocks: 0
; NumSGPRsForWavesPerEU: 4
; NumVGPRsForWavesPerEU: 1
; AccumOffset: 4
; Occupancy: 8
; WaveLimiterHint : 0
; COMPUTE_PGM_RSRC2:SCRATCH_EN: 0
; COMPUTE_PGM_RSRC2:USER_SGPR: 6
; COMPUTE_PGM_RSRC2:TRAP_HANDLER: 0
; COMPUTE_PGM_RSRC2:TGID_X_EN: 1
; COMPUTE_PGM_RSRC2:TGID_Y_EN: 0
; COMPUTE_PGM_RSRC2:TGID_Z_EN: 0
; COMPUTE_PGM_RSRC2:TIDIG_COMP_CNT: 0
; COMPUTE_PGM_RSRC3_GFX90A:ACCUM_OFFSET: 0
; COMPUTE_PGM_RSRC3_GFX90A:TG_SPLIT: 0
	.section	.text._ZN7rocprim17ROCPRIM_400000_NS6detail17trampoline_kernelINS0_13select_configILj256ELj13ELNS0_17block_load_methodE3ELS4_3ELS4_3ELNS0_20block_scan_algorithmE0ELj4294967295EEENS1_25partition_config_selectorILNS1_17partition_subalgoE3EjNS0_10empty_typeEbEEZZNS1_14partition_implILS8_3ELb0ES6_jNS0_17counting_iteratorIjlEEPS9_SE_NS0_5tupleIJPjSE_EEENSF_IJSE_SE_EEES9_SG_JZNS1_25segmented_radix_sort_implINS0_14default_configELb0EPKiPiPKlPlN2at6native12_GLOBAL__N_18offset_tEEE10hipError_tPvRmT1_PNSt15iterator_traitsISY_E10value_typeET2_T3_PNSZ_IS14_E10value_typeET4_jRbjT5_S1A_jjP12ihipStream_tbEUljE_EEESV_SW_SX_S14_S18_S1A_T6_T7_T9_mT8_S1C_bDpT10_ENKUlT_T0_E_clISt17integral_constantIbLb0EES1P_EEDaS1K_S1L_EUlS1K_E_NS1_11comp_targetILNS1_3genE5ELNS1_11target_archE942ELNS1_3gpuE9ELNS1_3repE0EEENS1_30default_config_static_selectorELNS0_4arch9wavefront6targetE1EEEvSY_,"axG",@progbits,_ZN7rocprim17ROCPRIM_400000_NS6detail17trampoline_kernelINS0_13select_configILj256ELj13ELNS0_17block_load_methodE3ELS4_3ELS4_3ELNS0_20block_scan_algorithmE0ELj4294967295EEENS1_25partition_config_selectorILNS1_17partition_subalgoE3EjNS0_10empty_typeEbEEZZNS1_14partition_implILS8_3ELb0ES6_jNS0_17counting_iteratorIjlEEPS9_SE_NS0_5tupleIJPjSE_EEENSF_IJSE_SE_EEES9_SG_JZNS1_25segmented_radix_sort_implINS0_14default_configELb0EPKiPiPKlPlN2at6native12_GLOBAL__N_18offset_tEEE10hipError_tPvRmT1_PNSt15iterator_traitsISY_E10value_typeET2_T3_PNSZ_IS14_E10value_typeET4_jRbjT5_S1A_jjP12ihipStream_tbEUljE_EEESV_SW_SX_S14_S18_S1A_T6_T7_T9_mT8_S1C_bDpT10_ENKUlT_T0_E_clISt17integral_constantIbLb0EES1P_EEDaS1K_S1L_EUlS1K_E_NS1_11comp_targetILNS1_3genE5ELNS1_11target_archE942ELNS1_3gpuE9ELNS1_3repE0EEENS1_30default_config_static_selectorELNS0_4arch9wavefront6targetE1EEEvSY_,comdat
	.globl	_ZN7rocprim17ROCPRIM_400000_NS6detail17trampoline_kernelINS0_13select_configILj256ELj13ELNS0_17block_load_methodE3ELS4_3ELS4_3ELNS0_20block_scan_algorithmE0ELj4294967295EEENS1_25partition_config_selectorILNS1_17partition_subalgoE3EjNS0_10empty_typeEbEEZZNS1_14partition_implILS8_3ELb0ES6_jNS0_17counting_iteratorIjlEEPS9_SE_NS0_5tupleIJPjSE_EEENSF_IJSE_SE_EEES9_SG_JZNS1_25segmented_radix_sort_implINS0_14default_configELb0EPKiPiPKlPlN2at6native12_GLOBAL__N_18offset_tEEE10hipError_tPvRmT1_PNSt15iterator_traitsISY_E10value_typeET2_T3_PNSZ_IS14_E10value_typeET4_jRbjT5_S1A_jjP12ihipStream_tbEUljE_EEESV_SW_SX_S14_S18_S1A_T6_T7_T9_mT8_S1C_bDpT10_ENKUlT_T0_E_clISt17integral_constantIbLb0EES1P_EEDaS1K_S1L_EUlS1K_E_NS1_11comp_targetILNS1_3genE5ELNS1_11target_archE942ELNS1_3gpuE9ELNS1_3repE0EEENS1_30default_config_static_selectorELNS0_4arch9wavefront6targetE1EEEvSY_ ; -- Begin function _ZN7rocprim17ROCPRIM_400000_NS6detail17trampoline_kernelINS0_13select_configILj256ELj13ELNS0_17block_load_methodE3ELS4_3ELS4_3ELNS0_20block_scan_algorithmE0ELj4294967295EEENS1_25partition_config_selectorILNS1_17partition_subalgoE3EjNS0_10empty_typeEbEEZZNS1_14partition_implILS8_3ELb0ES6_jNS0_17counting_iteratorIjlEEPS9_SE_NS0_5tupleIJPjSE_EEENSF_IJSE_SE_EEES9_SG_JZNS1_25segmented_radix_sort_implINS0_14default_configELb0EPKiPiPKlPlN2at6native12_GLOBAL__N_18offset_tEEE10hipError_tPvRmT1_PNSt15iterator_traitsISY_E10value_typeET2_T3_PNSZ_IS14_E10value_typeET4_jRbjT5_S1A_jjP12ihipStream_tbEUljE_EEESV_SW_SX_S14_S18_S1A_T6_T7_T9_mT8_S1C_bDpT10_ENKUlT_T0_E_clISt17integral_constantIbLb0EES1P_EEDaS1K_S1L_EUlS1K_E_NS1_11comp_targetILNS1_3genE5ELNS1_11target_archE942ELNS1_3gpuE9ELNS1_3repE0EEENS1_30default_config_static_selectorELNS0_4arch9wavefront6targetE1EEEvSY_
	.p2align	8
	.type	_ZN7rocprim17ROCPRIM_400000_NS6detail17trampoline_kernelINS0_13select_configILj256ELj13ELNS0_17block_load_methodE3ELS4_3ELS4_3ELNS0_20block_scan_algorithmE0ELj4294967295EEENS1_25partition_config_selectorILNS1_17partition_subalgoE3EjNS0_10empty_typeEbEEZZNS1_14partition_implILS8_3ELb0ES6_jNS0_17counting_iteratorIjlEEPS9_SE_NS0_5tupleIJPjSE_EEENSF_IJSE_SE_EEES9_SG_JZNS1_25segmented_radix_sort_implINS0_14default_configELb0EPKiPiPKlPlN2at6native12_GLOBAL__N_18offset_tEEE10hipError_tPvRmT1_PNSt15iterator_traitsISY_E10value_typeET2_T3_PNSZ_IS14_E10value_typeET4_jRbjT5_S1A_jjP12ihipStream_tbEUljE_EEESV_SW_SX_S14_S18_S1A_T6_T7_T9_mT8_S1C_bDpT10_ENKUlT_T0_E_clISt17integral_constantIbLb0EES1P_EEDaS1K_S1L_EUlS1K_E_NS1_11comp_targetILNS1_3genE5ELNS1_11target_archE942ELNS1_3gpuE9ELNS1_3repE0EEENS1_30default_config_static_selectorELNS0_4arch9wavefront6targetE1EEEvSY_,@function
_ZN7rocprim17ROCPRIM_400000_NS6detail17trampoline_kernelINS0_13select_configILj256ELj13ELNS0_17block_load_methodE3ELS4_3ELS4_3ELNS0_20block_scan_algorithmE0ELj4294967295EEENS1_25partition_config_selectorILNS1_17partition_subalgoE3EjNS0_10empty_typeEbEEZZNS1_14partition_implILS8_3ELb0ES6_jNS0_17counting_iteratorIjlEEPS9_SE_NS0_5tupleIJPjSE_EEENSF_IJSE_SE_EEES9_SG_JZNS1_25segmented_radix_sort_implINS0_14default_configELb0EPKiPiPKlPlN2at6native12_GLOBAL__N_18offset_tEEE10hipError_tPvRmT1_PNSt15iterator_traitsISY_E10value_typeET2_T3_PNSZ_IS14_E10value_typeET4_jRbjT5_S1A_jjP12ihipStream_tbEUljE_EEESV_SW_SX_S14_S18_S1A_T6_T7_T9_mT8_S1C_bDpT10_ENKUlT_T0_E_clISt17integral_constantIbLb0EES1P_EEDaS1K_S1L_EUlS1K_E_NS1_11comp_targetILNS1_3genE5ELNS1_11target_archE942ELNS1_3gpuE9ELNS1_3repE0EEENS1_30default_config_static_selectorELNS0_4arch9wavefront6targetE1EEEvSY_: ; @_ZN7rocprim17ROCPRIM_400000_NS6detail17trampoline_kernelINS0_13select_configILj256ELj13ELNS0_17block_load_methodE3ELS4_3ELS4_3ELNS0_20block_scan_algorithmE0ELj4294967295EEENS1_25partition_config_selectorILNS1_17partition_subalgoE3EjNS0_10empty_typeEbEEZZNS1_14partition_implILS8_3ELb0ES6_jNS0_17counting_iteratorIjlEEPS9_SE_NS0_5tupleIJPjSE_EEENSF_IJSE_SE_EEES9_SG_JZNS1_25segmented_radix_sort_implINS0_14default_configELb0EPKiPiPKlPlN2at6native12_GLOBAL__N_18offset_tEEE10hipError_tPvRmT1_PNSt15iterator_traitsISY_E10value_typeET2_T3_PNSZ_IS14_E10value_typeET4_jRbjT5_S1A_jjP12ihipStream_tbEUljE_EEESV_SW_SX_S14_S18_S1A_T6_T7_T9_mT8_S1C_bDpT10_ENKUlT_T0_E_clISt17integral_constantIbLb0EES1P_EEDaS1K_S1L_EUlS1K_E_NS1_11comp_targetILNS1_3genE5ELNS1_11target_archE942ELNS1_3gpuE9ELNS1_3repE0EEENS1_30default_config_static_selectorELNS0_4arch9wavefront6targetE1EEEvSY_
; %bb.0:
	.section	.rodata,"a",@progbits
	.p2align	6, 0x0
	.amdhsa_kernel _ZN7rocprim17ROCPRIM_400000_NS6detail17trampoline_kernelINS0_13select_configILj256ELj13ELNS0_17block_load_methodE3ELS4_3ELS4_3ELNS0_20block_scan_algorithmE0ELj4294967295EEENS1_25partition_config_selectorILNS1_17partition_subalgoE3EjNS0_10empty_typeEbEEZZNS1_14partition_implILS8_3ELb0ES6_jNS0_17counting_iteratorIjlEEPS9_SE_NS0_5tupleIJPjSE_EEENSF_IJSE_SE_EEES9_SG_JZNS1_25segmented_radix_sort_implINS0_14default_configELb0EPKiPiPKlPlN2at6native12_GLOBAL__N_18offset_tEEE10hipError_tPvRmT1_PNSt15iterator_traitsISY_E10value_typeET2_T3_PNSZ_IS14_E10value_typeET4_jRbjT5_S1A_jjP12ihipStream_tbEUljE_EEESV_SW_SX_S14_S18_S1A_T6_T7_T9_mT8_S1C_bDpT10_ENKUlT_T0_E_clISt17integral_constantIbLb0EES1P_EEDaS1K_S1L_EUlS1K_E_NS1_11comp_targetILNS1_3genE5ELNS1_11target_archE942ELNS1_3gpuE9ELNS1_3repE0EEENS1_30default_config_static_selectorELNS0_4arch9wavefront6targetE1EEEvSY_
		.amdhsa_group_segment_fixed_size 0
		.amdhsa_private_segment_fixed_size 0
		.amdhsa_kernarg_size 144
		.amdhsa_user_sgpr_count 6
		.amdhsa_user_sgpr_private_segment_buffer 1
		.amdhsa_user_sgpr_dispatch_ptr 0
		.amdhsa_user_sgpr_queue_ptr 0
		.amdhsa_user_sgpr_kernarg_segment_ptr 1
		.amdhsa_user_sgpr_dispatch_id 0
		.amdhsa_user_sgpr_flat_scratch_init 0
		.amdhsa_user_sgpr_kernarg_preload_length 0
		.amdhsa_user_sgpr_kernarg_preload_offset 0
		.amdhsa_user_sgpr_private_segment_size 0
		.amdhsa_uses_dynamic_stack 0
		.amdhsa_system_sgpr_private_segment_wavefront_offset 0
		.amdhsa_system_sgpr_workgroup_id_x 1
		.amdhsa_system_sgpr_workgroup_id_y 0
		.amdhsa_system_sgpr_workgroup_id_z 0
		.amdhsa_system_sgpr_workgroup_info 0
		.amdhsa_system_vgpr_workitem_id 0
		.amdhsa_next_free_vgpr 1
		.amdhsa_next_free_sgpr 0
		.amdhsa_accum_offset 4
		.amdhsa_reserve_vcc 0
		.amdhsa_reserve_flat_scratch 0
		.amdhsa_float_round_mode_32 0
		.amdhsa_float_round_mode_16_64 0
		.amdhsa_float_denorm_mode_32 3
		.amdhsa_float_denorm_mode_16_64 3
		.amdhsa_dx10_clamp 1
		.amdhsa_ieee_mode 1
		.amdhsa_fp16_overflow 0
		.amdhsa_tg_split 0
		.amdhsa_exception_fp_ieee_invalid_op 0
		.amdhsa_exception_fp_denorm_src 0
		.amdhsa_exception_fp_ieee_div_zero 0
		.amdhsa_exception_fp_ieee_overflow 0
		.amdhsa_exception_fp_ieee_underflow 0
		.amdhsa_exception_fp_ieee_inexact 0
		.amdhsa_exception_int_div_zero 0
	.end_amdhsa_kernel
	.section	.text._ZN7rocprim17ROCPRIM_400000_NS6detail17trampoline_kernelINS0_13select_configILj256ELj13ELNS0_17block_load_methodE3ELS4_3ELS4_3ELNS0_20block_scan_algorithmE0ELj4294967295EEENS1_25partition_config_selectorILNS1_17partition_subalgoE3EjNS0_10empty_typeEbEEZZNS1_14partition_implILS8_3ELb0ES6_jNS0_17counting_iteratorIjlEEPS9_SE_NS0_5tupleIJPjSE_EEENSF_IJSE_SE_EEES9_SG_JZNS1_25segmented_radix_sort_implINS0_14default_configELb0EPKiPiPKlPlN2at6native12_GLOBAL__N_18offset_tEEE10hipError_tPvRmT1_PNSt15iterator_traitsISY_E10value_typeET2_T3_PNSZ_IS14_E10value_typeET4_jRbjT5_S1A_jjP12ihipStream_tbEUljE_EEESV_SW_SX_S14_S18_S1A_T6_T7_T9_mT8_S1C_bDpT10_ENKUlT_T0_E_clISt17integral_constantIbLb0EES1P_EEDaS1K_S1L_EUlS1K_E_NS1_11comp_targetILNS1_3genE5ELNS1_11target_archE942ELNS1_3gpuE9ELNS1_3repE0EEENS1_30default_config_static_selectorELNS0_4arch9wavefront6targetE1EEEvSY_,"axG",@progbits,_ZN7rocprim17ROCPRIM_400000_NS6detail17trampoline_kernelINS0_13select_configILj256ELj13ELNS0_17block_load_methodE3ELS4_3ELS4_3ELNS0_20block_scan_algorithmE0ELj4294967295EEENS1_25partition_config_selectorILNS1_17partition_subalgoE3EjNS0_10empty_typeEbEEZZNS1_14partition_implILS8_3ELb0ES6_jNS0_17counting_iteratorIjlEEPS9_SE_NS0_5tupleIJPjSE_EEENSF_IJSE_SE_EEES9_SG_JZNS1_25segmented_radix_sort_implINS0_14default_configELb0EPKiPiPKlPlN2at6native12_GLOBAL__N_18offset_tEEE10hipError_tPvRmT1_PNSt15iterator_traitsISY_E10value_typeET2_T3_PNSZ_IS14_E10value_typeET4_jRbjT5_S1A_jjP12ihipStream_tbEUljE_EEESV_SW_SX_S14_S18_S1A_T6_T7_T9_mT8_S1C_bDpT10_ENKUlT_T0_E_clISt17integral_constantIbLb0EES1P_EEDaS1K_S1L_EUlS1K_E_NS1_11comp_targetILNS1_3genE5ELNS1_11target_archE942ELNS1_3gpuE9ELNS1_3repE0EEENS1_30default_config_static_selectorELNS0_4arch9wavefront6targetE1EEEvSY_,comdat
.Lfunc_end569:
	.size	_ZN7rocprim17ROCPRIM_400000_NS6detail17trampoline_kernelINS0_13select_configILj256ELj13ELNS0_17block_load_methodE3ELS4_3ELS4_3ELNS0_20block_scan_algorithmE0ELj4294967295EEENS1_25partition_config_selectorILNS1_17partition_subalgoE3EjNS0_10empty_typeEbEEZZNS1_14partition_implILS8_3ELb0ES6_jNS0_17counting_iteratorIjlEEPS9_SE_NS0_5tupleIJPjSE_EEENSF_IJSE_SE_EEES9_SG_JZNS1_25segmented_radix_sort_implINS0_14default_configELb0EPKiPiPKlPlN2at6native12_GLOBAL__N_18offset_tEEE10hipError_tPvRmT1_PNSt15iterator_traitsISY_E10value_typeET2_T3_PNSZ_IS14_E10value_typeET4_jRbjT5_S1A_jjP12ihipStream_tbEUljE_EEESV_SW_SX_S14_S18_S1A_T6_T7_T9_mT8_S1C_bDpT10_ENKUlT_T0_E_clISt17integral_constantIbLb0EES1P_EEDaS1K_S1L_EUlS1K_E_NS1_11comp_targetILNS1_3genE5ELNS1_11target_archE942ELNS1_3gpuE9ELNS1_3repE0EEENS1_30default_config_static_selectorELNS0_4arch9wavefront6targetE1EEEvSY_, .Lfunc_end569-_ZN7rocprim17ROCPRIM_400000_NS6detail17trampoline_kernelINS0_13select_configILj256ELj13ELNS0_17block_load_methodE3ELS4_3ELS4_3ELNS0_20block_scan_algorithmE0ELj4294967295EEENS1_25partition_config_selectorILNS1_17partition_subalgoE3EjNS0_10empty_typeEbEEZZNS1_14partition_implILS8_3ELb0ES6_jNS0_17counting_iteratorIjlEEPS9_SE_NS0_5tupleIJPjSE_EEENSF_IJSE_SE_EEES9_SG_JZNS1_25segmented_radix_sort_implINS0_14default_configELb0EPKiPiPKlPlN2at6native12_GLOBAL__N_18offset_tEEE10hipError_tPvRmT1_PNSt15iterator_traitsISY_E10value_typeET2_T3_PNSZ_IS14_E10value_typeET4_jRbjT5_S1A_jjP12ihipStream_tbEUljE_EEESV_SW_SX_S14_S18_S1A_T6_T7_T9_mT8_S1C_bDpT10_ENKUlT_T0_E_clISt17integral_constantIbLb0EES1P_EEDaS1K_S1L_EUlS1K_E_NS1_11comp_targetILNS1_3genE5ELNS1_11target_archE942ELNS1_3gpuE9ELNS1_3repE0EEENS1_30default_config_static_selectorELNS0_4arch9wavefront6targetE1EEEvSY_
                                        ; -- End function
	.section	.AMDGPU.csdata,"",@progbits
; Kernel info:
; codeLenInByte = 0
; NumSgprs: 4
; NumVgprs: 0
; NumAgprs: 0
; TotalNumVgprs: 0
; ScratchSize: 0
; MemoryBound: 0
; FloatMode: 240
; IeeeMode: 1
; LDSByteSize: 0 bytes/workgroup (compile time only)
; SGPRBlocks: 0
; VGPRBlocks: 0
; NumSGPRsForWavesPerEU: 4
; NumVGPRsForWavesPerEU: 1
; AccumOffset: 4
; Occupancy: 8
; WaveLimiterHint : 0
; COMPUTE_PGM_RSRC2:SCRATCH_EN: 0
; COMPUTE_PGM_RSRC2:USER_SGPR: 6
; COMPUTE_PGM_RSRC2:TRAP_HANDLER: 0
; COMPUTE_PGM_RSRC2:TGID_X_EN: 1
; COMPUTE_PGM_RSRC2:TGID_Y_EN: 0
; COMPUTE_PGM_RSRC2:TGID_Z_EN: 0
; COMPUTE_PGM_RSRC2:TIDIG_COMP_CNT: 0
; COMPUTE_PGM_RSRC3_GFX90A:ACCUM_OFFSET: 0
; COMPUTE_PGM_RSRC3_GFX90A:TG_SPLIT: 0
	.section	.text._ZN7rocprim17ROCPRIM_400000_NS6detail17trampoline_kernelINS0_13select_configILj256ELj13ELNS0_17block_load_methodE3ELS4_3ELS4_3ELNS0_20block_scan_algorithmE0ELj4294967295EEENS1_25partition_config_selectorILNS1_17partition_subalgoE3EjNS0_10empty_typeEbEEZZNS1_14partition_implILS8_3ELb0ES6_jNS0_17counting_iteratorIjlEEPS9_SE_NS0_5tupleIJPjSE_EEENSF_IJSE_SE_EEES9_SG_JZNS1_25segmented_radix_sort_implINS0_14default_configELb0EPKiPiPKlPlN2at6native12_GLOBAL__N_18offset_tEEE10hipError_tPvRmT1_PNSt15iterator_traitsISY_E10value_typeET2_T3_PNSZ_IS14_E10value_typeET4_jRbjT5_S1A_jjP12ihipStream_tbEUljE_EEESV_SW_SX_S14_S18_S1A_T6_T7_T9_mT8_S1C_bDpT10_ENKUlT_T0_E_clISt17integral_constantIbLb0EES1P_EEDaS1K_S1L_EUlS1K_E_NS1_11comp_targetILNS1_3genE4ELNS1_11target_archE910ELNS1_3gpuE8ELNS1_3repE0EEENS1_30default_config_static_selectorELNS0_4arch9wavefront6targetE1EEEvSY_,"axG",@progbits,_ZN7rocprim17ROCPRIM_400000_NS6detail17trampoline_kernelINS0_13select_configILj256ELj13ELNS0_17block_load_methodE3ELS4_3ELS4_3ELNS0_20block_scan_algorithmE0ELj4294967295EEENS1_25partition_config_selectorILNS1_17partition_subalgoE3EjNS0_10empty_typeEbEEZZNS1_14partition_implILS8_3ELb0ES6_jNS0_17counting_iteratorIjlEEPS9_SE_NS0_5tupleIJPjSE_EEENSF_IJSE_SE_EEES9_SG_JZNS1_25segmented_radix_sort_implINS0_14default_configELb0EPKiPiPKlPlN2at6native12_GLOBAL__N_18offset_tEEE10hipError_tPvRmT1_PNSt15iterator_traitsISY_E10value_typeET2_T3_PNSZ_IS14_E10value_typeET4_jRbjT5_S1A_jjP12ihipStream_tbEUljE_EEESV_SW_SX_S14_S18_S1A_T6_T7_T9_mT8_S1C_bDpT10_ENKUlT_T0_E_clISt17integral_constantIbLb0EES1P_EEDaS1K_S1L_EUlS1K_E_NS1_11comp_targetILNS1_3genE4ELNS1_11target_archE910ELNS1_3gpuE8ELNS1_3repE0EEENS1_30default_config_static_selectorELNS0_4arch9wavefront6targetE1EEEvSY_,comdat
	.globl	_ZN7rocprim17ROCPRIM_400000_NS6detail17trampoline_kernelINS0_13select_configILj256ELj13ELNS0_17block_load_methodE3ELS4_3ELS4_3ELNS0_20block_scan_algorithmE0ELj4294967295EEENS1_25partition_config_selectorILNS1_17partition_subalgoE3EjNS0_10empty_typeEbEEZZNS1_14partition_implILS8_3ELb0ES6_jNS0_17counting_iteratorIjlEEPS9_SE_NS0_5tupleIJPjSE_EEENSF_IJSE_SE_EEES9_SG_JZNS1_25segmented_radix_sort_implINS0_14default_configELb0EPKiPiPKlPlN2at6native12_GLOBAL__N_18offset_tEEE10hipError_tPvRmT1_PNSt15iterator_traitsISY_E10value_typeET2_T3_PNSZ_IS14_E10value_typeET4_jRbjT5_S1A_jjP12ihipStream_tbEUljE_EEESV_SW_SX_S14_S18_S1A_T6_T7_T9_mT8_S1C_bDpT10_ENKUlT_T0_E_clISt17integral_constantIbLb0EES1P_EEDaS1K_S1L_EUlS1K_E_NS1_11comp_targetILNS1_3genE4ELNS1_11target_archE910ELNS1_3gpuE8ELNS1_3repE0EEENS1_30default_config_static_selectorELNS0_4arch9wavefront6targetE1EEEvSY_ ; -- Begin function _ZN7rocprim17ROCPRIM_400000_NS6detail17trampoline_kernelINS0_13select_configILj256ELj13ELNS0_17block_load_methodE3ELS4_3ELS4_3ELNS0_20block_scan_algorithmE0ELj4294967295EEENS1_25partition_config_selectorILNS1_17partition_subalgoE3EjNS0_10empty_typeEbEEZZNS1_14partition_implILS8_3ELb0ES6_jNS0_17counting_iteratorIjlEEPS9_SE_NS0_5tupleIJPjSE_EEENSF_IJSE_SE_EEES9_SG_JZNS1_25segmented_radix_sort_implINS0_14default_configELb0EPKiPiPKlPlN2at6native12_GLOBAL__N_18offset_tEEE10hipError_tPvRmT1_PNSt15iterator_traitsISY_E10value_typeET2_T3_PNSZ_IS14_E10value_typeET4_jRbjT5_S1A_jjP12ihipStream_tbEUljE_EEESV_SW_SX_S14_S18_S1A_T6_T7_T9_mT8_S1C_bDpT10_ENKUlT_T0_E_clISt17integral_constantIbLb0EES1P_EEDaS1K_S1L_EUlS1K_E_NS1_11comp_targetILNS1_3genE4ELNS1_11target_archE910ELNS1_3gpuE8ELNS1_3repE0EEENS1_30default_config_static_selectorELNS0_4arch9wavefront6targetE1EEEvSY_
	.p2align	8
	.type	_ZN7rocprim17ROCPRIM_400000_NS6detail17trampoline_kernelINS0_13select_configILj256ELj13ELNS0_17block_load_methodE3ELS4_3ELS4_3ELNS0_20block_scan_algorithmE0ELj4294967295EEENS1_25partition_config_selectorILNS1_17partition_subalgoE3EjNS0_10empty_typeEbEEZZNS1_14partition_implILS8_3ELb0ES6_jNS0_17counting_iteratorIjlEEPS9_SE_NS0_5tupleIJPjSE_EEENSF_IJSE_SE_EEES9_SG_JZNS1_25segmented_radix_sort_implINS0_14default_configELb0EPKiPiPKlPlN2at6native12_GLOBAL__N_18offset_tEEE10hipError_tPvRmT1_PNSt15iterator_traitsISY_E10value_typeET2_T3_PNSZ_IS14_E10value_typeET4_jRbjT5_S1A_jjP12ihipStream_tbEUljE_EEESV_SW_SX_S14_S18_S1A_T6_T7_T9_mT8_S1C_bDpT10_ENKUlT_T0_E_clISt17integral_constantIbLb0EES1P_EEDaS1K_S1L_EUlS1K_E_NS1_11comp_targetILNS1_3genE4ELNS1_11target_archE910ELNS1_3gpuE8ELNS1_3repE0EEENS1_30default_config_static_selectorELNS0_4arch9wavefront6targetE1EEEvSY_,@function
_ZN7rocprim17ROCPRIM_400000_NS6detail17trampoline_kernelINS0_13select_configILj256ELj13ELNS0_17block_load_methodE3ELS4_3ELS4_3ELNS0_20block_scan_algorithmE0ELj4294967295EEENS1_25partition_config_selectorILNS1_17partition_subalgoE3EjNS0_10empty_typeEbEEZZNS1_14partition_implILS8_3ELb0ES6_jNS0_17counting_iteratorIjlEEPS9_SE_NS0_5tupleIJPjSE_EEENSF_IJSE_SE_EEES9_SG_JZNS1_25segmented_radix_sort_implINS0_14default_configELb0EPKiPiPKlPlN2at6native12_GLOBAL__N_18offset_tEEE10hipError_tPvRmT1_PNSt15iterator_traitsISY_E10value_typeET2_T3_PNSZ_IS14_E10value_typeET4_jRbjT5_S1A_jjP12ihipStream_tbEUljE_EEESV_SW_SX_S14_S18_S1A_T6_T7_T9_mT8_S1C_bDpT10_ENKUlT_T0_E_clISt17integral_constantIbLb0EES1P_EEDaS1K_S1L_EUlS1K_E_NS1_11comp_targetILNS1_3genE4ELNS1_11target_archE910ELNS1_3gpuE8ELNS1_3repE0EEENS1_30default_config_static_selectorELNS0_4arch9wavefront6targetE1EEEvSY_: ; @_ZN7rocprim17ROCPRIM_400000_NS6detail17trampoline_kernelINS0_13select_configILj256ELj13ELNS0_17block_load_methodE3ELS4_3ELS4_3ELNS0_20block_scan_algorithmE0ELj4294967295EEENS1_25partition_config_selectorILNS1_17partition_subalgoE3EjNS0_10empty_typeEbEEZZNS1_14partition_implILS8_3ELb0ES6_jNS0_17counting_iteratorIjlEEPS9_SE_NS0_5tupleIJPjSE_EEENSF_IJSE_SE_EEES9_SG_JZNS1_25segmented_radix_sort_implINS0_14default_configELb0EPKiPiPKlPlN2at6native12_GLOBAL__N_18offset_tEEE10hipError_tPvRmT1_PNSt15iterator_traitsISY_E10value_typeET2_T3_PNSZ_IS14_E10value_typeET4_jRbjT5_S1A_jjP12ihipStream_tbEUljE_EEESV_SW_SX_S14_S18_S1A_T6_T7_T9_mT8_S1C_bDpT10_ENKUlT_T0_E_clISt17integral_constantIbLb0EES1P_EEDaS1K_S1L_EUlS1K_E_NS1_11comp_targetILNS1_3genE4ELNS1_11target_archE910ELNS1_3gpuE8ELNS1_3repE0EEENS1_30default_config_static_selectorELNS0_4arch9wavefront6targetE1EEEvSY_
; %bb.0:
	s_load_dwordx2 s[26:27], s[4:5], 0x58
	s_load_dwordx4 s[20:23], s[4:5], 0x48
	s_load_dword s13, s[4:5], 0x8
	s_load_dwordx2 s[28:29], s[4:5], 0x10
	s_load_dword s12, s[4:5], 0x70
	s_load_dword s7, s[4:5], 0x88
	s_load_dwordx4 s[8:11], s[4:5], 0x78
	s_waitcnt lgkmcnt(0)
	s_load_dwordx2 s[30:31], s[22:23], 0x0
	v_pk_mov_b32 v[2:3], s[26:27], s[26:27] op_sel:[0,1]
	s_add_i32 s2, s12, -1
	s_mulk_i32 s12, 0xd00
	s_add_u32 s0, s28, s12
	s_addc_u32 s1, s29, 0
	s_cmp_eq_u32 s6, s2
	s_cselect_b64 s[22:23], -1, 0
	s_cmp_lg_u32 s6, s2
	s_mul_i32 s42, s6, 0xd00
	v_cmp_lt_u64_e32 vcc, s[0:1], v[2:3]
	s_cselect_b64 s[0:1], -1, 0
	s_or_b64 s[2:3], s[0:1], vcc
	s_add_i32 s0, s13, s42
	s_add_i32 s0, s0, s28
	v_add_u32_e32 v2, s0, v0
	s_mov_b64 s[0:1], -1
	s_and_b64 vcc, exec, s[2:3]
	v_lshlrev_b32_e32 v1, 2, v0
	s_cbranch_vccz .LBB570_2
; %bb.1:
	v_add_u32_e32 v3, 0x100, v2
	v_add_u32_e32 v4, 0x200, v2
	;; [unrolled: 1-line block ×12, first 2 shown]
	ds_write2st64_b32 v1, v2, v3 offset1:4
	ds_write2st64_b32 v1, v4, v5 offset0:8 offset1:12
	ds_write2st64_b32 v1, v6, v7 offset0:16 offset1:20
	;; [unrolled: 1-line block ×5, first 2 shown]
	ds_write_b32 v1, v14 offset:12288
	s_waitcnt lgkmcnt(0)
	s_barrier
	s_mov_b64 s[0:1], 0
.LBB570_2:
	s_andn2_b64 vcc, exec, s[0:1]
	s_add_i32 s12, s12, s28
	s_cbranch_vccnz .LBB570_4
; %bb.3:
	v_add_u32_e32 v3, 0x100, v2
	v_add_u32_e32 v4, 0x200, v2
	;; [unrolled: 1-line block ×12, first 2 shown]
	ds_write2st64_b32 v1, v2, v3 offset1:4
	ds_write2st64_b32 v1, v4, v5 offset0:8 offset1:12
	ds_write2st64_b32 v1, v6, v7 offset0:16 offset1:20
	;; [unrolled: 1-line block ×5, first 2 shown]
	ds_write_b32 v1, v14 offset:12288
	s_waitcnt lgkmcnt(0)
	s_barrier
.LBB570_4:
	v_mul_u32_u24_e32 v33, 13, v0
	v_lshlrev_b32_e32 v2, 2, v33
	s_waitcnt lgkmcnt(0)
	ds_read2_b32 v[30:31], v2 offset1:1
	ds_read2_b32 v[28:29], v2 offset0:2 offset1:3
	ds_read2_b32 v[26:27], v2 offset0:4 offset1:5
	;; [unrolled: 1-line block ×5, first 2 shown]
	ds_read_b32 v32, v2 offset:48
	v_cndmask_b32_e64 v2, 0, 1, s[2:3]
	s_sub_i32 s33, s26, s12
	v_cmp_ne_u32_e64 s[0:1], 1, v2
	s_andn2_b64 vcc, exec, s[2:3]
	s_waitcnt lgkmcnt(0)
	s_barrier
	s_cbranch_vccnz .LBB570_6
; %bb.5:
	v_add_u32_e32 v2, s9, v30
	v_add_u32_e32 v3, s11, v30
	v_mul_lo_u32 v2, v2, s8
	v_mul_lo_u32 v3, v3, s10
	v_sub_u32_e32 v2, v2, v3
	v_add_u32_e32 v3, s9, v31
	v_add_u32_e32 v4, s11, v31
	v_mul_lo_u32 v3, v3, s8
	v_mul_lo_u32 v4, v4, s10
	v_sub_u32_e32 v3, v3, v4
	;; [unrolled: 5-line block ×6, first 2 shown]
	v_add_u32_e32 v8, s9, v24
	v_add_u32_e32 v9, s11, v24
	v_mul_lo_u32 v8, v8, s8
	v_mul_lo_u32 v9, v9, s10
	v_cmp_lt_u32_e32 vcc, s7, v2
	v_sub_u32_e32 v8, v8, v9
	v_add_u32_e32 v9, s9, v25
	v_add_u32_e32 v10, s11, v25
	v_cndmask_b32_e64 v2, 0, 1, vcc
	v_cmp_lt_u32_e32 vcc, s7, v3
	v_mul_lo_u32 v9, v9, s8
	v_mul_lo_u32 v10, v10, s10
	v_cndmask_b32_e64 v3, 0, 1, vcc
	v_cmp_lt_u32_e32 vcc, s7, v4
	v_sub_u32_e32 v9, v9, v10
	v_add_u32_e32 v10, s9, v22
	v_add_u32_e32 v11, s11, v22
	v_cndmask_b32_e64 v4, 0, 1, vcc
	v_cmp_lt_u32_e32 vcc, s7, v5
	v_mul_lo_u32 v10, v10, s8
	v_mul_lo_u32 v11, v11, s10
	v_cndmask_b32_e64 v5, 0, 1, vcc
	v_cmp_lt_u32_e32 vcc, s7, v6
	v_sub_u32_e32 v10, v10, v11
	v_add_u32_e32 v11, s9, v23
	v_add_u32_e32 v12, s11, v23
	v_cndmask_b32_e64 v6, 0, 1, vcc
	v_cmp_lt_u32_e32 vcc, s7, v7
	v_mul_lo_u32 v11, v11, s8
	v_mul_lo_u32 v12, v12, s10
	v_cndmask_b32_e64 v7, 0, 1, vcc
	v_cmp_lt_u32_e32 vcc, s7, v8
	v_sub_u32_e32 v11, v11, v12
	v_add_u32_e32 v12, s9, v20
	v_add_u32_e32 v13, s11, v20
	v_cndmask_b32_e64 v8, 0, 1, vcc
	v_cmp_lt_u32_e32 vcc, s7, v9
	v_mul_lo_u32 v12, v12, s8
	v_mul_lo_u32 v13, v13, s10
	v_cndmask_b32_e64 v9, 0, 1, vcc
	v_cmp_lt_u32_e32 vcc, s7, v10
	v_sub_u32_e32 v12, v12, v13
	v_add_u32_e32 v13, s9, v21
	v_add_u32_e32 v14, s11, v21
	v_lshlrev_b16_e32 v3, 8, v3
	v_cndmask_b32_e64 v10, 0, 1, vcc
	v_cmp_lt_u32_e32 vcc, s7, v11
	v_mul_lo_u32 v13, v13, s8
	v_mul_lo_u32 v14, v14, s10
	v_or_b32_e32 v2, v2, v3
	v_lshlrev_b16_e32 v3, 8, v5
	v_cndmask_b32_e64 v11, 0, 1, vcc
	v_cmp_lt_u32_e32 vcc, s7, v12
	v_sub_u32_e32 v13, v13, v14
	v_or_b32_sdwa v3, v4, v3 dst_sel:WORD_1 dst_unused:UNUSED_PAD src0_sel:DWORD src1_sel:DWORD
	v_cndmask_b32_e64 v12, 0, 1, vcc
	v_cmp_lt_u32_e32 vcc, s7, v13
	v_add_u32_e32 v14, s9, v32
	v_add_u32_e32 v15, s11, v32
	v_or_b32_sdwa v37, v2, v3 dst_sel:DWORD dst_unused:UNUSED_PAD src0_sel:WORD_0 src1_sel:DWORD
	v_lshlrev_b16_e32 v2, 8, v7
	v_lshlrev_b16_e32 v3, 8, v9
	v_cndmask_b32_e64 v13, 0, 1, vcc
	v_mul_lo_u32 v14, v14, s8
	v_mul_lo_u32 v15, v15, s10
	v_or_b32_e32 v2, v6, v2
	v_or_b32_sdwa v3, v8, v3 dst_sel:WORD_1 dst_unused:UNUSED_PAD src0_sel:DWORD src1_sel:DWORD
	v_sub_u32_e32 v14, v14, v15
	v_or_b32_sdwa v36, v2, v3 dst_sel:DWORD dst_unused:UNUSED_PAD src0_sel:WORD_0 src1_sel:DWORD
	v_lshlrev_b16_e32 v2, 8, v11
	v_lshlrev_b16_e32 v3, 8, v13
	v_cmp_lt_u32_e32 vcc, s7, v14
	v_or_b32_e32 v2, v10, v2
	v_or_b32_sdwa v3, v12, v3 dst_sel:WORD_1 dst_unused:UNUSED_PAD src0_sel:DWORD src1_sel:DWORD
	v_cndmask_b32_e64 v34, 0, 1, vcc
	v_or_b32_sdwa v35, v2, v3 dst_sel:DWORD dst_unused:UNUSED_PAD src0_sel:WORD_0 src1_sel:DWORD
	s_mov_b64 s[2:3], 0
	s_branch .LBB570_7
.LBB570_6:
	s_mov_b64 s[2:3], -1
                                        ; implicit-def: $vgpr34
                                        ; implicit-def: $vgpr35
                                        ; implicit-def: $vgpr36
                                        ; implicit-def: $vgpr37
.LBB570_7:
	s_load_dwordx2 s[24:25], s[4:5], 0x28
	s_load_dwordx2 s[34:35], s[4:5], 0x68
	s_andn2_b64 vcc, exec, s[2:3]
	s_addk_i32 s33, 0xd00
	s_cbranch_vccnz .LBB570_35
; %bb.8:
	v_cmp_gt_u32_e32 vcc, s33, v33
	v_mov_b32_e32 v3, 0
	v_mov_b32_e32 v2, 0
	s_and_saveexec_b64 s[2:3], vcc
; %bb.9:
	v_add_u32_e32 v2, s9, v30
	v_add_u32_e32 v4, s11, v30
	v_mul_lo_u32 v2, v2, s8
	v_mul_lo_u32 v4, v4, s10
	v_sub_u32_e32 v2, v2, v4
	v_cmp_lt_u32_e32 vcc, s7, v2
	v_cndmask_b32_e64 v2, 0, 1, vcc
; %bb.10:
	s_or_b64 exec, exec, s[2:3]
	v_add_u32_e32 v4, 1, v33
	v_cmp_gt_u32_e32 vcc, s33, v4
	s_and_saveexec_b64 s[2:3], vcc
; %bb.11:
	v_add_u32_e32 v3, s9, v31
	v_add_u32_e32 v4, s11, v31
	v_mul_lo_u32 v3, v3, s8
	v_mul_lo_u32 v4, v4, s10
	v_sub_u32_e32 v3, v3, v4
	v_cmp_lt_u32_e32 vcc, s7, v3
	v_cndmask_b32_e64 v3, 0, 1, vcc
; %bb.12:
	s_or_b64 exec, exec, s[2:3]
	v_add_u32_e32 v4, 2, v33
	v_cmp_gt_u32_e32 vcc, s33, v4
	v_mov_b32_e32 v5, 0
	v_mov_b32_e32 v4, 0
	s_and_saveexec_b64 s[2:3], vcc
; %bb.13:
	v_add_u32_e32 v4, s9, v28
	v_add_u32_e32 v6, s11, v28
	v_mul_lo_u32 v4, v4, s8
	v_mul_lo_u32 v6, v6, s10
	v_sub_u32_e32 v4, v4, v6
	v_cmp_lt_u32_e32 vcc, s7, v4
	v_cndmask_b32_e64 v4, 0, 1, vcc
; %bb.14:
	s_or_b64 exec, exec, s[2:3]
	v_add_u32_e32 v6, 3, v33
	v_cmp_gt_u32_e32 vcc, s33, v6
	s_and_saveexec_b64 s[2:3], vcc
; %bb.15:
	v_add_u32_e32 v5, s9, v29
	v_add_u32_e32 v6, s11, v29
	v_mul_lo_u32 v5, v5, s8
	v_mul_lo_u32 v6, v6, s10
	v_sub_u32_e32 v5, v5, v6
	v_cmp_lt_u32_e32 vcc, s7, v5
	v_cndmask_b32_e64 v5, 0, 1, vcc
; %bb.16:
	s_or_b64 exec, exec, s[2:3]
	v_add_u32_e32 v6, 4, v33
	;; [unrolled: 28-line block ×6, first 2 shown]
	v_cmp_gt_u32_e32 vcc, s33, v14
	v_mov_b32_e32 v34, 0
	s_and_saveexec_b64 s[2:3], vcc
; %bb.33:
	v_add_u32_e32 v14, s9, v32
	v_add_u32_e32 v15, s11, v32
	v_mul_lo_u32 v14, v14, s8
	v_mul_lo_u32 v15, v15, s10
	v_sub_u32_e32 v14, v14, v15
	v_cmp_lt_u32_e32 vcc, s7, v14
	v_cndmask_b32_e64 v34, 0, 1, vcc
; %bb.34:
	s_or_b64 exec, exec, s[2:3]
	v_lshlrev_b16_e32 v3, 8, v3
	v_or_b32_e32 v2, v2, v3
	v_lshlrev_b16_e32 v3, 8, v5
	v_or_b32_sdwa v3, v4, v3 dst_sel:WORD_1 dst_unused:UNUSED_PAD src0_sel:DWORD src1_sel:DWORD
	v_or_b32_sdwa v37, v2, v3 dst_sel:DWORD dst_unused:UNUSED_PAD src0_sel:WORD_0 src1_sel:DWORD
	v_lshlrev_b16_e32 v2, 8, v7
	v_lshlrev_b16_e32 v3, 8, v9
	v_or_b32_e32 v2, v6, v2
	v_or_b32_sdwa v3, v8, v3 dst_sel:WORD_1 dst_unused:UNUSED_PAD src0_sel:DWORD src1_sel:DWORD
	v_or_b32_sdwa v36, v2, v3 dst_sel:DWORD dst_unused:UNUSED_PAD src0_sel:WORD_0 src1_sel:DWORD
	v_lshlrev_b16_e32 v2, 8, v11
	v_lshlrev_b16_e32 v3, 8, v13
	v_or_b32_e32 v2, v10, v2
	v_or_b32_sdwa v3, v12, v3 dst_sel:WORD_1 dst_unused:UNUSED_PAD src0_sel:DWORD src1_sel:DWORD
	v_or_b32_sdwa v35, v2, v3 dst_sel:DWORD dst_unused:UNUSED_PAD src0_sel:WORD_0 src1_sel:DWORD
.LBB570_35:
	v_and_b32_e32 v41, 0xff, v37
	v_bfe_u32 v42, v37, 8, 8
	v_bfe_u32 v43, v37, 16, 8
	v_lshrrev_b32_e32 v40, 24, v37
	v_and_b32_e32 v44, 0xff, v36
	v_add3_u32 v3, v42, v41, v43
	v_bfe_u32 v45, v36, 8, 8
	v_bfe_u32 v46, v36, 16, 8
	v_add3_u32 v3, v3, v40, v44
	v_lshrrev_b32_e32 v39, 24, v36
	v_and_b32_e32 v47, 0xff, v35
	v_add3_u32 v3, v3, v45, v46
	v_bfe_u32 v48, v35, 8, 8
	v_bfe_u32 v49, v35, 16, 8
	v_add3_u32 v3, v3, v39, v47
	v_lshrrev_b32_e32 v38, 24, v35
	v_and_b32_e32 v2, 0xff, v34
	v_add3_u32 v3, v3, v48, v49
	v_add3_u32 v52, v3, v38, v2
	v_mbcnt_lo_u32_b32 v2, -1, 0
	v_mbcnt_hi_u32_b32 v50, -1, v2
	v_and_b32_e32 v2, 15, v50
	v_cmp_eq_u32_e64 s[14:15], 0, v2
	v_cmp_lt_u32_e64 s[12:13], 1, v2
	v_cmp_lt_u32_e64 s[10:11], 3, v2
	;; [unrolled: 1-line block ×3, first 2 shown]
	v_and_b32_e32 v2, 16, v50
	v_cmp_eq_u32_e64 s[18:19], 0, v2
	v_or_b32_e32 v2, 63, v0
	s_cmp_lg_u32 s6, 0
	v_cmp_lt_u32_e64 s[2:3], 31, v50
	v_lshrrev_b32_e32 v51, 6, v0
	v_cmp_eq_u32_e64 s[4:5], v2, v0
	s_cbranch_scc0 .LBB570_62
; %bb.36:
	v_mov_b32_dpp v2, v52 row_shr:1 row_mask:0xf bank_mask:0xf
	v_cndmask_b32_e64 v2, v2, 0, s[14:15]
	v_add_u32_e32 v2, v2, v52
	s_nop 1
	v_mov_b32_dpp v3, v2 row_shr:2 row_mask:0xf bank_mask:0xf
	v_cndmask_b32_e64 v3, 0, v3, s[12:13]
	v_add_u32_e32 v2, v2, v3
	s_nop 1
	;; [unrolled: 4-line block ×4, first 2 shown]
	v_mov_b32_dpp v3, v2 row_bcast:15 row_mask:0xf bank_mask:0xf
	v_cndmask_b32_e64 v3, v3, 0, s[18:19]
	v_add_u32_e32 v2, v2, v3
	s_nop 1
	v_mov_b32_dpp v3, v2 row_bcast:31 row_mask:0xf bank_mask:0xf
	v_cndmask_b32_e64 v3, 0, v3, s[2:3]
	v_add_u32_e32 v2, v2, v3
	s_and_saveexec_b64 s[16:17], s[4:5]
	s_cbranch_execz .LBB570_38
; %bb.37:
	v_lshlrev_b32_e32 v3, 2, v51
	ds_write_b32 v3, v2
.LBB570_38:
	s_or_b64 exec, exec, s[16:17]
	v_cmp_gt_u32_e32 vcc, 4, v0
	s_waitcnt lgkmcnt(0)
	s_barrier
	s_and_saveexec_b64 s[16:17], vcc
	s_cbranch_execz .LBB570_40
; %bb.39:
	ds_read_b32 v3, v1
	v_and_b32_e32 v4, 3, v50
	v_cmp_ne_u32_e32 vcc, 0, v4
	s_waitcnt lgkmcnt(0)
	v_mov_b32_dpp v5, v3 row_shr:1 row_mask:0xf bank_mask:0xf
	v_cndmask_b32_e32 v5, 0, v5, vcc
	v_add_u32_e32 v3, v5, v3
	v_cmp_lt_u32_e32 vcc, 1, v4
	s_nop 0
	v_mov_b32_dpp v5, v3 row_shr:2 row_mask:0xf bank_mask:0xf
	v_cndmask_b32_e32 v4, 0, v5, vcc
	v_add_u32_e32 v3, v3, v4
	ds_write_b32 v1, v3
.LBB570_40:
	s_or_b64 exec, exec, s[16:17]
	v_cmp_gt_u32_e32 vcc, 64, v0
	v_cmp_lt_u32_e64 s[16:17], 63, v0
	s_waitcnt lgkmcnt(0)
	s_barrier
	s_waitcnt lgkmcnt(0)
                                        ; implicit-def: $vgpr12
	s_and_saveexec_b64 s[36:37], s[16:17]
	s_cbranch_execz .LBB570_42
; %bb.41:
	v_lshl_add_u32 v3, v51, 2, -4
	ds_read_b32 v12, v3
	s_waitcnt lgkmcnt(0)
	v_add_u32_e32 v2, v12, v2
.LBB570_42:
	s_or_b64 exec, exec, s[36:37]
	v_add_u32_e32 v3, -1, v50
	v_and_b32_e32 v4, 64, v50
	v_cmp_lt_i32_e64 s[16:17], v3, v4
	v_cndmask_b32_e64 v3, v3, v50, s[16:17]
	v_lshlrev_b32_e32 v3, 2, v3
	ds_bpermute_b32 v13, v3, v2
	v_cmp_eq_u32_e64 s[16:17], 0, v50
	s_and_saveexec_b64 s[36:37], vcc
	s_cbranch_execz .LBB570_61
; %bb.43:
	v_mov_b32_e32 v9, 0
	ds_read_b32 v2, v9 offset:12
	s_and_saveexec_b64 s[38:39], s[16:17]
	s_cbranch_execz .LBB570_45
; %bb.44:
	s_add_i32 s40, s6, 64
	s_mov_b32 s41, 0
	s_lshl_b64 s[40:41], s[40:41], 3
	s_add_u32 s40, s34, s40
	v_mov_b32_e32 v3, 1
	s_addc_u32 s41, s35, s41
	s_waitcnt lgkmcnt(0)
	global_store_dwordx2 v9, v[2:3], s[40:41]
.LBB570_45:
	s_or_b64 exec, exec, s[38:39]
	v_xad_u32 v4, v50, -1, s6
	v_add_u32_e32 v8, 64, v4
	v_lshlrev_b64 v[6:7], 3, v[8:9]
	v_mov_b32_e32 v3, s35
	v_add_co_u32_e32 v10, vcc, s34, v6
	v_addc_co_u32_e32 v11, vcc, v3, v7, vcc
	global_load_dwordx2 v[6:7], v[10:11], off glc
	s_waitcnt vmcnt(0)
	v_cmp_eq_u16_sdwa s[40:41], v7, v9 src0_sel:BYTE_0 src1_sel:DWORD
	s_and_saveexec_b64 s[38:39], s[40:41]
	s_cbranch_execz .LBB570_49
; %bb.46:
	s_mov_b64 s[40:41], 0
	v_mov_b32_e32 v3, 0
.LBB570_47:                             ; =>This Inner Loop Header: Depth=1
	global_load_dwordx2 v[6:7], v[10:11], off glc
	s_waitcnt vmcnt(0)
	v_cmp_ne_u16_sdwa s[44:45], v7, v3 src0_sel:BYTE_0 src1_sel:DWORD
	s_or_b64 s[40:41], s[44:45], s[40:41]
	s_andn2_b64 exec, exec, s[40:41]
	s_cbranch_execnz .LBB570_47
; %bb.48:
	s_or_b64 exec, exec, s[40:41]
.LBB570_49:
	s_or_b64 exec, exec, s[38:39]
	v_and_b32_e32 v14, 63, v50
	v_mov_b32_e32 v3, 2
	v_cmp_ne_u32_e32 vcc, 63, v14
	v_cmp_eq_u16_sdwa s[38:39], v7, v3 src0_sel:BYTE_0 src1_sel:DWORD
	v_lshlrev_b64 v[8:9], v50, -1
	v_addc_co_u32_e32 v11, vcc, 0, v50, vcc
	v_and_b32_e32 v5, s39, v9
	v_lshlrev_b32_e32 v15, 2, v11
	v_or_b32_e32 v5, 0x80000000, v5
	ds_bpermute_b32 v11, v15, v6
	v_and_b32_e32 v10, s38, v8
	v_ffbl_b32_e32 v5, v5
	v_add_u32_e32 v5, 32, v5
	v_ffbl_b32_e32 v10, v10
	v_min_u32_e32 v5, v10, v5
	v_cmp_lt_u32_e32 vcc, v14, v5
	s_waitcnt lgkmcnt(0)
	v_cndmask_b32_e32 v10, 0, v11, vcc
	v_cmp_gt_u32_e32 vcc, 62, v14
	v_add_u32_e32 v6, v10, v6
	v_cndmask_b32_e64 v10, 0, 1, vcc
	v_lshlrev_b32_e32 v10, 1, v10
	v_add_lshl_u32 v16, v10, v50, 2
	ds_bpermute_b32 v10, v16, v6
	v_add_u32_e32 v17, 2, v14
	v_cmp_le_u32_e32 vcc, v17, v5
	v_add_u32_e32 v19, 4, v14
	v_add_u32_e32 v54, 8, v14
	s_waitcnt lgkmcnt(0)
	v_cndmask_b32_e32 v10, 0, v10, vcc
	v_cmp_gt_u32_e32 vcc, 60, v14
	v_add_u32_e32 v6, v6, v10
	v_cndmask_b32_e64 v10, 0, 1, vcc
	v_lshlrev_b32_e32 v10, 2, v10
	v_add_lshl_u32 v18, v10, v50, 2
	ds_bpermute_b32 v10, v18, v6
	v_cmp_le_u32_e32 vcc, v19, v5
	v_add_u32_e32 v57, 16, v14
	v_add_u32_e32 v59, 32, v14
	s_waitcnt lgkmcnt(0)
	v_cndmask_b32_e32 v10, 0, v10, vcc
	v_cmp_gt_u32_e32 vcc, 56, v14
	v_add_u32_e32 v6, v6, v10
	v_cndmask_b32_e64 v10, 0, 1, vcc
	v_lshlrev_b32_e32 v10, 3, v10
	v_add_lshl_u32 v53, v10, v50, 2
	ds_bpermute_b32 v10, v53, v6
	v_cmp_le_u32_e32 vcc, v54, v5
	s_waitcnt lgkmcnt(0)
	v_cndmask_b32_e32 v10, 0, v10, vcc
	v_cmp_gt_u32_e32 vcc, 48, v14
	v_add_u32_e32 v6, v6, v10
	v_cndmask_b32_e64 v10, 0, 1, vcc
	v_lshlrev_b32_e32 v10, 4, v10
	v_add_lshl_u32 v56, v10, v50, 2
	ds_bpermute_b32 v10, v56, v6
	v_cmp_le_u32_e32 vcc, v57, v5
	;; [unrolled: 9-line block ×3, first 2 shown]
	s_waitcnt lgkmcnt(0)
	v_cndmask_b32_e32 v5, 0, v10, vcc
	v_add_u32_e32 v6, v6, v5
	v_mov_b32_e32 v5, 0
	s_branch .LBB570_51
.LBB570_50:                             ;   in Loop: Header=BB570_51 Depth=1
	s_or_b64 exec, exec, s[38:39]
	v_cmp_eq_u16_sdwa s[38:39], v7, v3 src0_sel:BYTE_0 src1_sel:DWORD
	v_and_b32_e32 v10, s39, v9
	v_or_b32_e32 v10, 0x80000000, v10
	ds_bpermute_b32 v60, v15, v6
	v_and_b32_e32 v11, s38, v8
	v_ffbl_b32_e32 v10, v10
	v_add_u32_e32 v10, 32, v10
	v_ffbl_b32_e32 v11, v11
	v_min_u32_e32 v10, v11, v10
	v_cmp_lt_u32_e32 vcc, v14, v10
	s_waitcnt lgkmcnt(0)
	v_cndmask_b32_e32 v11, 0, v60, vcc
	v_add_u32_e32 v6, v11, v6
	ds_bpermute_b32 v11, v16, v6
	v_cmp_le_u32_e32 vcc, v17, v10
	v_subrev_u32_e32 v4, 64, v4
	s_waitcnt lgkmcnt(0)
	v_cndmask_b32_e32 v11, 0, v11, vcc
	v_add_u32_e32 v6, v6, v11
	ds_bpermute_b32 v11, v18, v6
	v_cmp_le_u32_e32 vcc, v19, v10
	s_waitcnt lgkmcnt(0)
	v_cndmask_b32_e32 v11, 0, v11, vcc
	v_add_u32_e32 v6, v6, v11
	ds_bpermute_b32 v11, v53, v6
	v_cmp_le_u32_e32 vcc, v54, v10
	;; [unrolled: 5-line block ×4, first 2 shown]
	s_waitcnt lgkmcnt(0)
	v_cndmask_b32_e32 v10, 0, v11, vcc
	v_add3_u32 v6, v10, v55, v6
.LBB570_51:                             ; =>This Loop Header: Depth=1
                                        ;     Child Loop BB570_54 Depth 2
	v_cmp_ne_u16_sdwa s[38:39], v7, v3 src0_sel:BYTE_0 src1_sel:DWORD
	v_cndmask_b32_e64 v7, 0, 1, s[38:39]
	;;#ASMSTART
	;;#ASMEND
	v_cmp_ne_u32_e32 vcc, 0, v7
	s_cmp_lg_u64 vcc, exec
	v_mov_b32_e32 v55, v6
	s_cbranch_scc1 .LBB570_56
; %bb.52:                               ;   in Loop: Header=BB570_51 Depth=1
	v_lshlrev_b64 v[6:7], 3, v[4:5]
	v_mov_b32_e32 v11, s35
	v_add_co_u32_e32 v10, vcc, s34, v6
	v_addc_co_u32_e32 v11, vcc, v11, v7, vcc
	global_load_dwordx2 v[6:7], v[10:11], off glc
	s_waitcnt vmcnt(0)
	v_cmp_eq_u16_sdwa s[40:41], v7, v5 src0_sel:BYTE_0 src1_sel:DWORD
	s_and_saveexec_b64 s[38:39], s[40:41]
	s_cbranch_execz .LBB570_50
; %bb.53:                               ;   in Loop: Header=BB570_51 Depth=1
	s_mov_b64 s[40:41], 0
.LBB570_54:                             ;   Parent Loop BB570_51 Depth=1
                                        ; =>  This Inner Loop Header: Depth=2
	global_load_dwordx2 v[6:7], v[10:11], off glc
	s_waitcnt vmcnt(0)
	v_cmp_ne_u16_sdwa s[44:45], v7, v5 src0_sel:BYTE_0 src1_sel:DWORD
	s_or_b64 s[40:41], s[44:45], s[40:41]
	s_andn2_b64 exec, exec, s[40:41]
	s_cbranch_execnz .LBB570_54
; %bb.55:                               ;   in Loop: Header=BB570_51 Depth=1
	s_or_b64 exec, exec, s[40:41]
	s_branch .LBB570_50
.LBB570_56:                             ;   in Loop: Header=BB570_51 Depth=1
                                        ; implicit-def: $vgpr6
                                        ; implicit-def: $vgpr7
	s_cbranch_execz .LBB570_51
; %bb.57:
	s_and_saveexec_b64 s[38:39], s[16:17]
	s_cbranch_execz .LBB570_59
; %bb.58:
	s_add_i32 s6, s6, 64
	s_mov_b32 s7, 0
	s_lshl_b64 s[6:7], s[6:7], 3
	s_add_u32 s6, s34, s6
	v_add_u32_e32 v4, v55, v2
	v_mov_b32_e32 v5, 2
	s_addc_u32 s7, s35, s7
	v_mov_b32_e32 v3, 0
	global_store_dwordx2 v3, v[4:5], s[6:7]
	s_movk_i32 s6, 0x3400
	v_add_u32_e64 v3, s6, 0
	ds_write2_b32 v3, v2, v55 offset1:2
.LBB570_59:
	s_or_b64 exec, exec, s[38:39]
	v_cmp_eq_u32_e32 vcc, 0, v0
	s_and_b64 exec, exec, vcc
	s_cbranch_execz .LBB570_61
; %bb.60:
	v_mov_b32_e32 v2, 0
	ds_write_b32 v2, v55 offset:12
.LBB570_61:
	s_or_b64 exec, exec, s[36:37]
	v_mov_b32_e32 v2, 0
	s_waitcnt lgkmcnt(0)
	s_barrier
	ds_read_b32 v2, v2 offset:12
	v_cndmask_b32_e64 v3, v13, v12, s[16:17]
	v_cmp_ne_u32_e32 vcc, 0, v0
	v_cndmask_b32_e32 v3, 0, v3, vcc
	s_movk_i32 s6, 0x3400
	s_waitcnt lgkmcnt(0)
	v_add_u32_e32 v2, v2, v3
	v_add_u32_e32 v3, v2, v41
	;; [unrolled: 1-line block ×8, first 2 shown]
	v_add_u32_e64 v12, s6, 0
	v_add_u32_e32 v10, v9, v39
	s_barrier
	ds_read2_b32 v[18:19], v12 offset1:2
	v_add_u32_e32 v11, v10, v47
	v_add_u32_e32 v12, v11, v48
	;; [unrolled: 1-line block ×4, first 2 shown]
	s_branch .LBB570_72
.LBB570_62:
                                        ; implicit-def: $vgpr19
                                        ; implicit-def: $vgpr2_vgpr3_vgpr4_vgpr5_vgpr6_vgpr7_vgpr8_vgpr9_vgpr10_vgpr11_vgpr12_vgpr13_vgpr14_vgpr15_vgpr16_vgpr17
	s_cbranch_execz .LBB570_72
; %bb.63:
	s_nop 0
	v_mov_b32_dpp v2, v52 row_shr:1 row_mask:0xf bank_mask:0xf
	v_cndmask_b32_e64 v2, v2, 0, s[14:15]
	v_add_u32_e32 v2, v2, v52
	s_nop 1
	v_mov_b32_dpp v3, v2 row_shr:2 row_mask:0xf bank_mask:0xf
	v_cndmask_b32_e64 v3, 0, v3, s[12:13]
	v_add_u32_e32 v2, v2, v3
	;; [unrolled: 4-line block ×4, first 2 shown]
	s_nop 1
	v_mov_b32_dpp v3, v2 row_bcast:15 row_mask:0xf bank_mask:0xf
	v_cndmask_b32_e64 v3, v3, 0, s[18:19]
	v_add_u32_e32 v2, v2, v3
	s_nop 1
	v_mov_b32_dpp v3, v2 row_bcast:31 row_mask:0xf bank_mask:0xf
	v_cndmask_b32_e64 v3, 0, v3, s[2:3]
	v_add_u32_e32 v2, v2, v3
	s_and_saveexec_b64 s[2:3], s[4:5]
	s_cbranch_execz .LBB570_65
; %bb.64:
	v_lshlrev_b32_e32 v3, 2, v51
	ds_write_b32 v3, v2
.LBB570_65:
	s_or_b64 exec, exec, s[2:3]
	v_cmp_gt_u32_e32 vcc, 4, v0
	s_waitcnt lgkmcnt(0)
	s_barrier
	s_and_saveexec_b64 s[2:3], vcc
	s_cbranch_execz .LBB570_67
; %bb.66:
	ds_read_b32 v3, v1
	v_and_b32_e32 v4, 3, v50
	v_cmp_ne_u32_e32 vcc, 0, v4
	s_waitcnt lgkmcnt(0)
	v_mov_b32_dpp v5, v3 row_shr:1 row_mask:0xf bank_mask:0xf
	v_cndmask_b32_e32 v5, 0, v5, vcc
	v_add_u32_e32 v3, v5, v3
	v_cmp_lt_u32_e32 vcc, 1, v4
	s_nop 0
	v_mov_b32_dpp v5, v3 row_shr:2 row_mask:0xf bank_mask:0xf
	v_cndmask_b32_e32 v4, 0, v5, vcc
	v_add_u32_e32 v3, v3, v4
	ds_write_b32 v1, v3
.LBB570_67:
	s_or_b64 exec, exec, s[2:3]
	v_cmp_lt_u32_e32 vcc, 63, v0
	v_mov_b32_e32 v4, 0
	v_mov_b32_e32 v3, 0
	s_waitcnt lgkmcnt(0)
	s_barrier
	s_and_saveexec_b64 s[2:3], vcc
	s_cbranch_execz .LBB570_69
; %bb.68:
	v_lshl_add_u32 v3, v51, 2, -4
	ds_read_b32 v3, v3
.LBB570_69:
	s_or_b64 exec, exec, s[2:3]
	v_add_u32_e32 v5, -1, v50
	v_and_b32_e32 v6, 64, v50
	v_cmp_lt_i32_e32 vcc, v5, v6
	v_cndmask_b32_e32 v5, v5, v50, vcc
	s_waitcnt lgkmcnt(0)
	v_add_u32_e32 v2, v3, v2
	v_lshlrev_b32_e32 v5, 2, v5
	ds_bpermute_b32 v2, v5, v2
	ds_read_b32 v18, v4 offset:12
	v_cmp_eq_u32_e32 vcc, 0, v0
	s_and_saveexec_b64 s[2:3], vcc
	s_cbranch_execz .LBB570_71
; %bb.70:
	v_mov_b32_e32 v4, 0
	v_mov_b32_e32 v19, 2
	s_waitcnt lgkmcnt(0)
	global_store_dwordx2 v4, v[18:19], s[34:35] offset:512
.LBB570_71:
	s_or_b64 exec, exec, s[2:3]
	v_cmp_eq_u32_e64 s[2:3], 0, v50
	s_waitcnt lgkmcnt(1)
	v_cndmask_b32_e64 v2, v2, v3, s[2:3]
	v_cndmask_b32_e64 v2, v2, 0, vcc
	v_add_u32_e32 v3, v2, v41
	v_add_u32_e32 v4, v3, v42
	;; [unrolled: 1-line block ×11, first 2 shown]
	v_mov_b32_e32 v19, 0
	v_add_u32_e32 v14, v13, v38
	s_waitcnt lgkmcnt(0)
	s_barrier
.LBB570_72:
	s_waitcnt lgkmcnt(0)
	v_add_u32_e32 v33, v18, v33
	v_sub_u32_e32 v2, v2, v19
	v_and_b32_e32 v42, 1, v37
	v_sub_u32_e32 v41, v33, v2
	v_cmp_eq_u32_e32 vcc, 1, v42
	v_cndmask_b32_e32 v2, v41, v2, vcc
	v_lshlrev_b32_e32 v2, 2, v2
	v_lshrrev_b32_e32 v17, 8, v37
	ds_write_b32 v2, v30
	v_sub_u32_e32 v2, v3, v19
	v_sub_u32_e32 v3, v33, v2
	v_and_b32_e32 v17, 1, v17
	v_add_u32_e32 v3, 1, v3
	v_cmp_eq_u32_e32 vcc, 1, v17
	v_cndmask_b32_e32 v2, v3, v2, vcc
	v_lshlrev_b32_e32 v2, 2, v2
	ds_write_b32 v2, v31
	v_sub_u32_e32 v2, v4, v19
	v_mov_b32_e32 v4, 1
	v_sub_u32_e32 v3, v33, v2
	v_and_b32_sdwa v17, v4, v37 dst_sel:DWORD dst_unused:UNUSED_PAD src0_sel:DWORD src1_sel:WORD_1
	v_add_u32_e32 v3, 2, v3
	v_cmp_eq_u32_e32 vcc, 1, v17
	v_cndmask_b32_e32 v2, v3, v2, vcc
	v_lshlrev_b32_e32 v2, 2, v2
	ds_write_b32 v2, v28
	v_sub_u32_e32 v2, v5, v19
	v_sub_u32_e32 v3, v33, v2
	v_and_b32_e32 v5, 1, v40
	v_add_u32_e32 v3, 3, v3
	v_cmp_eq_u32_e32 vcc, 1, v5
	v_cndmask_b32_e32 v2, v3, v2, vcc
	v_lshlrev_b32_e32 v2, 2, v2
	ds_write_b32 v2, v29
	v_sub_u32_e32 v2, v6, v19
	v_sub_u32_e32 v3, v33, v2
	v_and_b32_e32 v5, 1, v36
	v_add_u32_e32 v3, 4, v3
	v_cmp_eq_u32_e32 vcc, 1, v5
	v_cndmask_b32_e32 v2, v3, v2, vcc
	v_lshlrev_b32_e32 v2, 2, v2
	v_lshrrev_b32_e32 v16, 8, v36
	ds_write_b32 v2, v26
	v_sub_u32_e32 v2, v7, v19
	v_sub_u32_e32 v3, v33, v2
	v_and_b32_e32 v5, 1, v16
	v_add_u32_e32 v3, 5, v3
	v_cmp_eq_u32_e32 vcc, 1, v5
	v_cndmask_b32_e32 v2, v3, v2, vcc
	v_lshlrev_b32_e32 v2, 2, v2
	ds_write_b32 v2, v27
	v_sub_u32_e32 v2, v8, v19
	v_sub_u32_e32 v3, v33, v2
	v_and_b32_sdwa v5, v4, v36 dst_sel:DWORD dst_unused:UNUSED_PAD src0_sel:DWORD src1_sel:WORD_1
	v_add_u32_e32 v3, 6, v3
	v_cmp_eq_u32_e32 vcc, 1, v5
	v_cndmask_b32_e32 v2, v3, v2, vcc
	v_lshlrev_b32_e32 v2, 2, v2
	ds_write_b32 v2, v24
	v_sub_u32_e32 v2, v9, v19
	v_sub_u32_e32 v3, v33, v2
	v_and_b32_e32 v5, 1, v39
	v_add_u32_e32 v3, 7, v3
	v_cmp_eq_u32_e32 vcc, 1, v5
	v_cndmask_b32_e32 v2, v3, v2, vcc
	v_lshlrev_b32_e32 v2, 2, v2
	ds_write_b32 v2, v25
	v_sub_u32_e32 v2, v10, v19
	v_sub_u32_e32 v3, v33, v2
	v_and_b32_e32 v5, 1, v35
	v_add_u32_e32 v3, 8, v3
	v_cmp_eq_u32_e32 vcc, 1, v5
	v_cndmask_b32_e32 v2, v3, v2, vcc
	v_lshlrev_b32_e32 v2, 2, v2
	v_lshrrev_b32_e32 v15, 8, v35
	ds_write_b32 v2, v22
	v_sub_u32_e32 v2, v11, v19
	v_sub_u32_e32 v3, v33, v2
	v_and_b32_e32 v5, 1, v15
	v_add_u32_e32 v3, 9, v3
	v_cmp_eq_u32_e32 vcc, 1, v5
	v_cndmask_b32_e32 v2, v3, v2, vcc
	v_lshlrev_b32_e32 v2, 2, v2
	ds_write_b32 v2, v23
	v_sub_u32_e32 v2, v12, v19
	v_sub_u32_e32 v3, v33, v2
	v_and_b32_sdwa v4, v4, v35 dst_sel:DWORD dst_unused:UNUSED_PAD src0_sel:DWORD src1_sel:WORD_1
	v_add_u32_e32 v3, 10, v3
	v_cmp_eq_u32_e32 vcc, 1, v4
	v_cndmask_b32_e32 v2, v3, v2, vcc
	v_lshlrev_b32_e32 v2, 2, v2
	ds_write_b32 v2, v20
	v_sub_u32_e32 v2, v13, v19
	v_sub_u32_e32 v3, v33, v2
	v_and_b32_e32 v4, 1, v38
	v_add_u32_e32 v3, 11, v3
	v_cmp_eq_u32_e32 vcc, 1, v4
	v_cndmask_b32_e32 v2, v3, v2, vcc
	v_lshlrev_b32_e32 v2, 2, v2
	ds_write_b32 v2, v21
	v_sub_u32_e32 v2, v14, v19
	v_sub_u32_e32 v3, v33, v2
	v_and_b32_e32 v4, 1, v34
	v_add_u32_e32 v3, 12, v3
	v_cmp_eq_u32_e32 vcc, 1, v4
	v_cndmask_b32_e32 v2, v3, v2, vcc
	s_add_u32 s2, s28, s42
	v_lshlrev_b32_e32 v2, 2, v2
	s_addc_u32 s3, s29, 0
	ds_write_b32 v2, v32
	s_waitcnt lgkmcnt(0)
	s_barrier
	ds_read2st64_b32 v[12:13], v1 offset1:4
	ds_read2st64_b32 v[10:11], v1 offset0:8 offset1:12
	ds_read2st64_b32 v[8:9], v1 offset0:16 offset1:20
	;; [unrolled: 1-line block ×5, first 2 shown]
	ds_read_b32 v17, v1 offset:12288
	v_mov_b32_e32 v14, s31
	v_add_co_u32_e32 v1, vcc, s30, v19
	s_sub_u32 s2, s26, s2
	v_addc_co_u32_e32 v16, vcc, 0, v14, vcc
	s_subb_u32 s3, s27, s3
	v_mov_b32_e32 v14, s3
	v_add_co_u32_e32 v15, vcc, s2, v18
	v_addc_co_u32_e32 v14, vcc, 0, v14, vcc
	s_and_b64 vcc, exec, s[0:1]
	v_add_co_u32_e64 v19, s[0:1], v15, v1
	v_or_b32_e32 v32, 0x100, v0
	v_or_b32_e32 v31, 0x200, v0
	;; [unrolled: 1-line block ×12, first 2 shown]
	v_addc_co_u32_e64 v21, s[0:1], v14, v16, s[0:1]
	s_cbranch_vccnz .LBB570_126
; %bb.73:
	v_cmp_ge_u32_e32 vcc, v0, v18
                                        ; implicit-def: $vgpr14_vgpr15
	s_and_saveexec_b64 s[0:1], vcc
	s_xor_b64 s[0:1], exec, s[0:1]
; %bb.74:
	v_not_b32_e32 v14, v0
	v_ashrrev_i32_e32 v15, 31, v14
	v_add_co_u32_e32 v14, vcc, v19, v14
	v_addc_co_u32_e32 v15, vcc, v21, v15, vcc
; %bb.75:
	s_andn2_saveexec_b64 s[0:1], s[0:1]
; %bb.76:
	v_add_co_u32_e32 v14, vcc, v1, v0
	v_addc_co_u32_e32 v15, vcc, 0, v16, vcc
; %bb.77:
	s_or_b64 exec, exec, s[0:1]
	v_lshlrev_b64 v[14:15], 2, v[14:15]
	v_mov_b32_e32 v33, s25
	v_add_co_u32_e32 v14, vcc, s24, v14
	v_addc_co_u32_e32 v15, vcc, v33, v15, vcc
	v_cmp_ge_u32_e32 vcc, v32, v18
	s_waitcnt lgkmcnt(6)
	global_store_dword v[14:15], v12, off
                                        ; implicit-def: $vgpr14_vgpr15
	s_and_saveexec_b64 s[0:1], vcc
	s_xor_b64 s[0:1], exec, s[0:1]
; %bb.78:
	v_xor_b32_e32 v14, 0xfffffeff, v0
	v_ashrrev_i32_e32 v15, 31, v14
	v_add_co_u32_e32 v14, vcc, v19, v14
	v_addc_co_u32_e32 v15, vcc, v21, v15, vcc
; %bb.79:
	s_andn2_saveexec_b64 s[0:1], s[0:1]
; %bb.80:
	v_add_co_u32_e32 v14, vcc, v1, v32
	v_addc_co_u32_e32 v15, vcc, 0, v16, vcc
; %bb.81:
	s_or_b64 exec, exec, s[0:1]
	v_lshlrev_b64 v[14:15], 2, v[14:15]
	v_mov_b32_e32 v33, s25
	v_add_co_u32_e32 v14, vcc, s24, v14
	v_addc_co_u32_e32 v15, vcc, v33, v15, vcc
	v_cmp_ge_u32_e32 vcc, v31, v18
	global_store_dword v[14:15], v13, off
                                        ; implicit-def: $vgpr14_vgpr15
	s_and_saveexec_b64 s[0:1], vcc
	s_xor_b64 s[0:1], exec, s[0:1]
; %bb.82:
	v_xor_b32_e32 v14, 0xfffffdff, v0
	v_ashrrev_i32_e32 v15, 31, v14
	v_add_co_u32_e32 v14, vcc, v19, v14
	v_addc_co_u32_e32 v15, vcc, v21, v15, vcc
; %bb.83:
	s_andn2_saveexec_b64 s[0:1], s[0:1]
; %bb.84:
	v_add_co_u32_e32 v14, vcc, v1, v31
	v_addc_co_u32_e32 v15, vcc, 0, v16, vcc
; %bb.85:
	s_or_b64 exec, exec, s[0:1]
	v_lshlrev_b64 v[14:15], 2, v[14:15]
	v_mov_b32_e32 v33, s25
	v_add_co_u32_e32 v14, vcc, s24, v14
	v_addc_co_u32_e32 v15, vcc, v33, v15, vcc
	v_cmp_ge_u32_e32 vcc, v30, v18
	s_waitcnt lgkmcnt(5)
	global_store_dword v[14:15], v10, off
                                        ; implicit-def: $vgpr14_vgpr15
	s_and_saveexec_b64 s[0:1], vcc
	s_xor_b64 s[0:1], exec, s[0:1]
; %bb.86:
	v_xor_b32_e32 v14, 0xfffffcff, v0
	v_ashrrev_i32_e32 v15, 31, v14
	v_add_co_u32_e32 v14, vcc, v19, v14
	v_addc_co_u32_e32 v15, vcc, v21, v15, vcc
; %bb.87:
	s_andn2_saveexec_b64 s[0:1], s[0:1]
; %bb.88:
	v_add_co_u32_e32 v14, vcc, v1, v30
	v_addc_co_u32_e32 v15, vcc, 0, v16, vcc
; %bb.89:
	s_or_b64 exec, exec, s[0:1]
	v_lshlrev_b64 v[14:15], 2, v[14:15]
	v_mov_b32_e32 v33, s25
	v_add_co_u32_e32 v14, vcc, s24, v14
	v_addc_co_u32_e32 v15, vcc, v33, v15, vcc
	v_cmp_ge_u32_e32 vcc, v29, v18
	global_store_dword v[14:15], v11, off
                                        ; implicit-def: $vgpr14_vgpr15
	s_and_saveexec_b64 s[0:1], vcc
	s_xor_b64 s[0:1], exec, s[0:1]
; %bb.90:
	v_xor_b32_e32 v14, 0xfffffbff, v0
	;; [unrolled: 43-line block ×6, first 2 shown]
	v_ashrrev_i32_e32 v15, 31, v14
	v_add_co_u32_e32 v14, vcc, v19, v14
	v_addc_co_u32_e32 v15, vcc, v21, v15, vcc
; %bb.123:
	s_andn2_saveexec_b64 s[0:1], s[0:1]
; %bb.124:
	v_add_co_u32_e32 v14, vcc, v1, v20
	v_addc_co_u32_e32 v15, vcc, 0, v16, vcc
; %bb.125:
	s_or_b64 exec, exec, s[0:1]
	s_mov_b64 s[0:1], -1
	s_branch .LBB570_206
.LBB570_126:
	s_mov_b64 s[0:1], 0
                                        ; implicit-def: $vgpr14_vgpr15
	s_cbranch_execz .LBB570_206
; %bb.127:
	v_cmp_gt_u32_e32 vcc, s33, v0
	s_and_saveexec_b64 s[2:3], vcc
	s_cbranch_execz .LBB570_163
; %bb.128:
	v_cmp_ge_u32_e32 vcc, v0, v18
                                        ; implicit-def: $vgpr14_vgpr15
	s_and_saveexec_b64 s[4:5], vcc
	s_xor_b64 s[4:5], exec, s[4:5]
; %bb.129:
	v_not_b32_e32 v14, v0
	v_ashrrev_i32_e32 v15, 31, v14
	v_add_co_u32_e32 v14, vcc, v19, v14
	v_addc_co_u32_e32 v15, vcc, v21, v15, vcc
; %bb.130:
	s_andn2_saveexec_b64 s[4:5], s[4:5]
; %bb.131:
	v_add_co_u32_e32 v14, vcc, v1, v0
	v_addc_co_u32_e32 v15, vcc, 0, v16, vcc
; %bb.132:
	s_or_b64 exec, exec, s[4:5]
	v_lshlrev_b64 v[14:15], 2, v[14:15]
	v_mov_b32_e32 v33, s25
	v_add_co_u32_e32 v14, vcc, s24, v14
	v_addc_co_u32_e32 v15, vcc, v33, v15, vcc
	s_waitcnt lgkmcnt(6)
	global_store_dword v[14:15], v12, off
	s_or_b64 exec, exec, s[2:3]
	v_cmp_gt_u32_e32 vcc, s33, v32
	s_and_saveexec_b64 s[2:3], vcc
	s_cbranch_execnz .LBB570_164
.LBB570_133:
	s_or_b64 exec, exec, s[2:3]
	v_cmp_gt_u32_e32 vcc, s33, v31
	s_and_saveexec_b64 s[2:3], vcc
	s_cbranch_execz .LBB570_169
.LBB570_134:
	v_cmp_ge_u32_e32 vcc, v31, v18
                                        ; implicit-def: $vgpr12_vgpr13
	s_and_saveexec_b64 s[4:5], vcc
	s_xor_b64 s[4:5], exec, s[4:5]
	s_cbranch_execz .LBB570_136
; %bb.135:
	s_waitcnt lgkmcnt(6)
	v_xor_b32_e32 v12, 0xfffffdff, v0
	v_ashrrev_i32_e32 v13, 31, v12
	v_add_co_u32_e32 v12, vcc, v19, v12
	v_addc_co_u32_e32 v13, vcc, v21, v13, vcc
                                        ; implicit-def: $vgpr31
.LBB570_136:
	s_andn2_saveexec_b64 s[4:5], s[4:5]
	s_cbranch_execz .LBB570_138
; %bb.137:
	s_waitcnt lgkmcnt(6)
	v_add_co_u32_e32 v12, vcc, v1, v31
	v_addc_co_u32_e32 v13, vcc, 0, v16, vcc
.LBB570_138:
	s_or_b64 exec, exec, s[4:5]
	s_waitcnt lgkmcnt(6)
	v_lshlrev_b64 v[12:13], 2, v[12:13]
	v_mov_b32_e32 v14, s25
	v_add_co_u32_e32 v12, vcc, s24, v12
	v_addc_co_u32_e32 v13, vcc, v14, v13, vcc
	s_waitcnt lgkmcnt(5)
	global_store_dword v[12:13], v10, off
	s_or_b64 exec, exec, s[2:3]
	v_cmp_gt_u32_e32 vcc, s33, v30
	s_and_saveexec_b64 s[2:3], vcc
	s_cbranch_execnz .LBB570_170
.LBB570_139:
	s_or_b64 exec, exec, s[2:3]
	v_cmp_gt_u32_e32 vcc, s33, v29
	s_and_saveexec_b64 s[2:3], vcc
	s_cbranch_execz .LBB570_175
.LBB570_140:
	v_cmp_ge_u32_e32 vcc, v29, v18
                                        ; implicit-def: $vgpr10_vgpr11
	s_and_saveexec_b64 s[4:5], vcc
	s_xor_b64 s[4:5], exec, s[4:5]
	s_cbranch_execz .LBB570_142
; %bb.141:
	s_waitcnt lgkmcnt(5)
	v_xor_b32_e32 v10, 0xfffffbff, v0
	v_ashrrev_i32_e32 v11, 31, v10
	v_add_co_u32_e32 v10, vcc, v19, v10
	v_addc_co_u32_e32 v11, vcc, v21, v11, vcc
                                        ; implicit-def: $vgpr29
.LBB570_142:
	s_andn2_saveexec_b64 s[4:5], s[4:5]
	s_cbranch_execz .LBB570_144
; %bb.143:
	s_waitcnt lgkmcnt(5)
	v_add_co_u32_e32 v10, vcc, v1, v29
	v_addc_co_u32_e32 v11, vcc, 0, v16, vcc
.LBB570_144:
	s_or_b64 exec, exec, s[4:5]
	s_waitcnt lgkmcnt(5)
	v_lshlrev_b64 v[10:11], 2, v[10:11]
	v_mov_b32_e32 v12, s25
	v_add_co_u32_e32 v10, vcc, s24, v10
	v_addc_co_u32_e32 v11, vcc, v12, v11, vcc
	s_waitcnt lgkmcnt(4)
	global_store_dword v[10:11], v8, off
	s_or_b64 exec, exec, s[2:3]
	v_cmp_gt_u32_e32 vcc, s33, v28
	s_and_saveexec_b64 s[2:3], vcc
	s_cbranch_execnz .LBB570_176
.LBB570_145:
	s_or_b64 exec, exec, s[2:3]
	v_cmp_gt_u32_e32 vcc, s33, v27
	s_and_saveexec_b64 s[2:3], vcc
	s_cbranch_execz .LBB570_181
.LBB570_146:
	v_cmp_ge_u32_e32 vcc, v27, v18
                                        ; implicit-def: $vgpr8_vgpr9
	s_and_saveexec_b64 s[4:5], vcc
	s_xor_b64 s[4:5], exec, s[4:5]
	s_cbranch_execz .LBB570_148
; %bb.147:
	s_waitcnt lgkmcnt(4)
	v_xor_b32_e32 v8, 0xfffff9ff, v0
	v_ashrrev_i32_e32 v9, 31, v8
	v_add_co_u32_e32 v8, vcc, v19, v8
	v_addc_co_u32_e32 v9, vcc, v21, v9, vcc
                                        ; implicit-def: $vgpr27
.LBB570_148:
	s_andn2_saveexec_b64 s[4:5], s[4:5]
	s_cbranch_execz .LBB570_150
; %bb.149:
	s_waitcnt lgkmcnt(4)
	v_add_co_u32_e32 v8, vcc, v1, v27
	v_addc_co_u32_e32 v9, vcc, 0, v16, vcc
.LBB570_150:
	s_or_b64 exec, exec, s[4:5]
	s_waitcnt lgkmcnt(4)
	v_lshlrev_b64 v[8:9], 2, v[8:9]
	v_mov_b32_e32 v10, s25
	v_add_co_u32_e32 v8, vcc, s24, v8
	v_addc_co_u32_e32 v9, vcc, v10, v9, vcc
	s_waitcnt lgkmcnt(3)
	global_store_dword v[8:9], v6, off
	s_or_b64 exec, exec, s[2:3]
	v_cmp_gt_u32_e32 vcc, s33, v26
	s_and_saveexec_b64 s[2:3], vcc
	s_cbranch_execnz .LBB570_182
.LBB570_151:
	s_or_b64 exec, exec, s[2:3]
	v_cmp_gt_u32_e32 vcc, s33, v25
	s_and_saveexec_b64 s[2:3], vcc
	s_cbranch_execz .LBB570_187
.LBB570_152:
	v_cmp_ge_u32_e32 vcc, v25, v18
                                        ; implicit-def: $vgpr6_vgpr7
	s_and_saveexec_b64 s[4:5], vcc
	s_xor_b64 s[4:5], exec, s[4:5]
	s_cbranch_execz .LBB570_154
; %bb.153:
	s_waitcnt lgkmcnt(3)
	v_xor_b32_e32 v6, 0xfffff7ff, v0
	v_ashrrev_i32_e32 v7, 31, v6
	v_add_co_u32_e32 v6, vcc, v19, v6
	v_addc_co_u32_e32 v7, vcc, v21, v7, vcc
                                        ; implicit-def: $vgpr25
.LBB570_154:
	s_andn2_saveexec_b64 s[4:5], s[4:5]
	s_cbranch_execz .LBB570_156
; %bb.155:
	s_waitcnt lgkmcnt(3)
	v_add_co_u32_e32 v6, vcc, v1, v25
	v_addc_co_u32_e32 v7, vcc, 0, v16, vcc
.LBB570_156:
	s_or_b64 exec, exec, s[4:5]
	s_waitcnt lgkmcnt(3)
	v_lshlrev_b64 v[6:7], 2, v[6:7]
	v_mov_b32_e32 v8, s25
	v_add_co_u32_e32 v6, vcc, s24, v6
	v_addc_co_u32_e32 v7, vcc, v8, v7, vcc
	s_waitcnt lgkmcnt(2)
	global_store_dword v[6:7], v4, off
	s_or_b64 exec, exec, s[2:3]
	v_cmp_gt_u32_e32 vcc, s33, v24
	s_and_saveexec_b64 s[2:3], vcc
	s_cbranch_execnz .LBB570_188
.LBB570_157:
	s_or_b64 exec, exec, s[2:3]
	v_cmp_gt_u32_e32 vcc, s33, v23
	s_and_saveexec_b64 s[2:3], vcc
	s_cbranch_execz .LBB570_193
.LBB570_158:
	v_cmp_ge_u32_e32 vcc, v23, v18
                                        ; implicit-def: $vgpr4_vgpr5
	s_and_saveexec_b64 s[4:5], vcc
	s_xor_b64 s[4:5], exec, s[4:5]
	s_cbranch_execz .LBB570_160
; %bb.159:
	s_waitcnt lgkmcnt(2)
	v_xor_b32_e32 v4, 0xfffff5ff, v0
	v_ashrrev_i32_e32 v5, 31, v4
	v_add_co_u32_e32 v4, vcc, v19, v4
	v_addc_co_u32_e32 v5, vcc, v21, v5, vcc
                                        ; implicit-def: $vgpr23
.LBB570_160:
	s_andn2_saveexec_b64 s[4:5], s[4:5]
	s_cbranch_execz .LBB570_162
; %bb.161:
	s_waitcnt lgkmcnt(2)
	v_add_co_u32_e32 v4, vcc, v1, v23
	v_addc_co_u32_e32 v5, vcc, 0, v16, vcc
.LBB570_162:
	s_or_b64 exec, exec, s[4:5]
	s_waitcnt lgkmcnt(2)
	v_lshlrev_b64 v[4:5], 2, v[4:5]
	v_mov_b32_e32 v6, s25
	v_add_co_u32_e32 v4, vcc, s24, v4
	v_addc_co_u32_e32 v5, vcc, v6, v5, vcc
	s_waitcnt lgkmcnt(1)
	global_store_dword v[4:5], v2, off
	s_or_b64 exec, exec, s[2:3]
	v_cmp_gt_u32_e32 vcc, s33, v22
	s_and_saveexec_b64 s[2:3], vcc
	s_cbranch_execz .LBB570_199
	s_branch .LBB570_194
.LBB570_163:
	s_or_b64 exec, exec, s[2:3]
	v_cmp_gt_u32_e32 vcc, s33, v32
	s_and_saveexec_b64 s[2:3], vcc
	s_cbranch_execz .LBB570_133
.LBB570_164:
	v_cmp_ge_u32_e32 vcc, v32, v18
                                        ; implicit-def: $vgpr14_vgpr15
	s_and_saveexec_b64 s[4:5], vcc
	s_xor_b64 s[4:5], exec, s[4:5]
	s_cbranch_execz .LBB570_166
; %bb.165:
	s_waitcnt lgkmcnt(6)
	v_xor_b32_e32 v12, 0xfffffeff, v0
	v_ashrrev_i32_e32 v15, 31, v12
	v_add_co_u32_e32 v14, vcc, v19, v12
	v_addc_co_u32_e32 v15, vcc, v21, v15, vcc
                                        ; implicit-def: $vgpr32
.LBB570_166:
	s_andn2_saveexec_b64 s[4:5], s[4:5]
; %bb.167:
	v_add_co_u32_e32 v14, vcc, v1, v32
	v_addc_co_u32_e32 v15, vcc, 0, v16, vcc
; %bb.168:
	s_or_b64 exec, exec, s[4:5]
	v_lshlrev_b64 v[14:15], 2, v[14:15]
	s_waitcnt lgkmcnt(6)
	v_mov_b32_e32 v12, s25
	v_add_co_u32_e32 v14, vcc, s24, v14
	v_addc_co_u32_e32 v15, vcc, v12, v15, vcc
	global_store_dword v[14:15], v13, off
	s_or_b64 exec, exec, s[2:3]
	v_cmp_gt_u32_e32 vcc, s33, v31
	s_and_saveexec_b64 s[2:3], vcc
	s_cbranch_execnz .LBB570_134
.LBB570_169:
	s_or_b64 exec, exec, s[2:3]
	v_cmp_gt_u32_e32 vcc, s33, v30
	s_and_saveexec_b64 s[2:3], vcc
	s_cbranch_execz .LBB570_139
.LBB570_170:
	v_cmp_ge_u32_e32 vcc, v30, v18
                                        ; implicit-def: $vgpr12_vgpr13
	s_and_saveexec_b64 s[4:5], vcc
	s_xor_b64 s[4:5], exec, s[4:5]
	s_cbranch_execz .LBB570_172
; %bb.171:
	s_waitcnt lgkmcnt(5)
	v_xor_b32_e32 v10, 0xfffffcff, v0
	v_ashrrev_i32_e32 v13, 31, v10
	v_add_co_u32_e32 v12, vcc, v19, v10
	v_addc_co_u32_e32 v13, vcc, v21, v13, vcc
                                        ; implicit-def: $vgpr30
.LBB570_172:
	s_andn2_saveexec_b64 s[4:5], s[4:5]
	s_cbranch_execz .LBB570_174
; %bb.173:
	s_waitcnt lgkmcnt(6)
	v_add_co_u32_e32 v12, vcc, v1, v30
	v_addc_co_u32_e32 v13, vcc, 0, v16, vcc
.LBB570_174:
	s_or_b64 exec, exec, s[4:5]
	s_waitcnt lgkmcnt(6)
	v_lshlrev_b64 v[12:13], 2, v[12:13]
	s_waitcnt lgkmcnt(5)
	v_mov_b32_e32 v10, s25
	v_add_co_u32_e32 v12, vcc, s24, v12
	v_addc_co_u32_e32 v13, vcc, v10, v13, vcc
	global_store_dword v[12:13], v11, off
	s_or_b64 exec, exec, s[2:3]
	v_cmp_gt_u32_e32 vcc, s33, v29
	s_and_saveexec_b64 s[2:3], vcc
	s_cbranch_execnz .LBB570_140
.LBB570_175:
	s_or_b64 exec, exec, s[2:3]
	v_cmp_gt_u32_e32 vcc, s33, v28
	s_and_saveexec_b64 s[2:3], vcc
	s_cbranch_execz .LBB570_145
.LBB570_176:
	v_cmp_ge_u32_e32 vcc, v28, v18
                                        ; implicit-def: $vgpr10_vgpr11
	s_and_saveexec_b64 s[4:5], vcc
	s_xor_b64 s[4:5], exec, s[4:5]
	s_cbranch_execz .LBB570_178
; %bb.177:
	s_waitcnt lgkmcnt(4)
	v_xor_b32_e32 v8, 0xfffffaff, v0
	v_ashrrev_i32_e32 v11, 31, v8
	v_add_co_u32_e32 v10, vcc, v19, v8
	v_addc_co_u32_e32 v11, vcc, v21, v11, vcc
                                        ; implicit-def: $vgpr28
.LBB570_178:
	s_andn2_saveexec_b64 s[4:5], s[4:5]
	s_cbranch_execz .LBB570_180
; %bb.179:
	s_waitcnt lgkmcnt(5)
	v_add_co_u32_e32 v10, vcc, v1, v28
	v_addc_co_u32_e32 v11, vcc, 0, v16, vcc
.LBB570_180:
	s_or_b64 exec, exec, s[4:5]
	s_waitcnt lgkmcnt(5)
	v_lshlrev_b64 v[10:11], 2, v[10:11]
	s_waitcnt lgkmcnt(4)
	v_mov_b32_e32 v8, s25
	v_add_co_u32_e32 v10, vcc, s24, v10
	v_addc_co_u32_e32 v11, vcc, v8, v11, vcc
	global_store_dword v[10:11], v9, off
	s_or_b64 exec, exec, s[2:3]
	v_cmp_gt_u32_e32 vcc, s33, v27
	s_and_saveexec_b64 s[2:3], vcc
	s_cbranch_execnz .LBB570_146
.LBB570_181:
	s_or_b64 exec, exec, s[2:3]
	v_cmp_gt_u32_e32 vcc, s33, v26
	s_and_saveexec_b64 s[2:3], vcc
	s_cbranch_execz .LBB570_151
.LBB570_182:
	v_cmp_ge_u32_e32 vcc, v26, v18
                                        ; implicit-def: $vgpr8_vgpr9
	s_and_saveexec_b64 s[4:5], vcc
	s_xor_b64 s[4:5], exec, s[4:5]
	s_cbranch_execz .LBB570_184
; %bb.183:
	s_waitcnt lgkmcnt(3)
	v_xor_b32_e32 v6, 0xfffff8ff, v0
	v_ashrrev_i32_e32 v9, 31, v6
	v_add_co_u32_e32 v8, vcc, v19, v6
	v_addc_co_u32_e32 v9, vcc, v21, v9, vcc
                                        ; implicit-def: $vgpr26
.LBB570_184:
	s_andn2_saveexec_b64 s[4:5], s[4:5]
	s_cbranch_execz .LBB570_186
; %bb.185:
	s_waitcnt lgkmcnt(4)
	v_add_co_u32_e32 v8, vcc, v1, v26
	v_addc_co_u32_e32 v9, vcc, 0, v16, vcc
.LBB570_186:
	s_or_b64 exec, exec, s[4:5]
	s_waitcnt lgkmcnt(4)
	v_lshlrev_b64 v[8:9], 2, v[8:9]
	s_waitcnt lgkmcnt(3)
	v_mov_b32_e32 v6, s25
	v_add_co_u32_e32 v8, vcc, s24, v8
	v_addc_co_u32_e32 v9, vcc, v6, v9, vcc
	global_store_dword v[8:9], v7, off
	s_or_b64 exec, exec, s[2:3]
	v_cmp_gt_u32_e32 vcc, s33, v25
	s_and_saveexec_b64 s[2:3], vcc
	s_cbranch_execnz .LBB570_152
.LBB570_187:
	s_or_b64 exec, exec, s[2:3]
	v_cmp_gt_u32_e32 vcc, s33, v24
	s_and_saveexec_b64 s[2:3], vcc
	s_cbranch_execz .LBB570_157
.LBB570_188:
	v_cmp_ge_u32_e32 vcc, v24, v18
                                        ; implicit-def: $vgpr6_vgpr7
	s_and_saveexec_b64 s[4:5], vcc
	s_xor_b64 s[4:5], exec, s[4:5]
	s_cbranch_execz .LBB570_190
; %bb.189:
	s_waitcnt lgkmcnt(2)
	v_xor_b32_e32 v4, 0xfffff6ff, v0
	v_ashrrev_i32_e32 v7, 31, v4
	v_add_co_u32_e32 v6, vcc, v19, v4
	v_addc_co_u32_e32 v7, vcc, v21, v7, vcc
                                        ; implicit-def: $vgpr24
.LBB570_190:
	s_andn2_saveexec_b64 s[4:5], s[4:5]
	s_cbranch_execz .LBB570_192
; %bb.191:
	s_waitcnt lgkmcnt(3)
	v_add_co_u32_e32 v6, vcc, v1, v24
	v_addc_co_u32_e32 v7, vcc, 0, v16, vcc
.LBB570_192:
	s_or_b64 exec, exec, s[4:5]
	s_waitcnt lgkmcnt(3)
	v_lshlrev_b64 v[6:7], 2, v[6:7]
	s_waitcnt lgkmcnt(2)
	v_mov_b32_e32 v4, s25
	v_add_co_u32_e32 v6, vcc, s24, v6
	v_addc_co_u32_e32 v7, vcc, v4, v7, vcc
	global_store_dword v[6:7], v5, off
	s_or_b64 exec, exec, s[2:3]
	v_cmp_gt_u32_e32 vcc, s33, v23
	s_and_saveexec_b64 s[2:3], vcc
	s_cbranch_execnz .LBB570_158
.LBB570_193:
	s_or_b64 exec, exec, s[2:3]
	v_cmp_gt_u32_e32 vcc, s33, v22
	s_and_saveexec_b64 s[2:3], vcc
	s_cbranch_execz .LBB570_199
.LBB570_194:
	v_cmp_ge_u32_e32 vcc, v22, v18
                                        ; implicit-def: $vgpr4_vgpr5
	s_and_saveexec_b64 s[4:5], vcc
	s_xor_b64 s[4:5], exec, s[4:5]
	s_cbranch_execz .LBB570_196
; %bb.195:
	s_waitcnt lgkmcnt(1)
	v_xor_b32_e32 v2, 0xfffff4ff, v0
	v_ashrrev_i32_e32 v5, 31, v2
	v_add_co_u32_e32 v4, vcc, v19, v2
	v_addc_co_u32_e32 v5, vcc, v21, v5, vcc
                                        ; implicit-def: $vgpr22
.LBB570_196:
	s_andn2_saveexec_b64 s[4:5], s[4:5]
	s_cbranch_execz .LBB570_198
; %bb.197:
	s_waitcnt lgkmcnt(2)
	v_add_co_u32_e32 v4, vcc, v1, v22
	v_addc_co_u32_e32 v5, vcc, 0, v16, vcc
.LBB570_198:
	s_or_b64 exec, exec, s[4:5]
	s_waitcnt lgkmcnt(2)
	v_lshlrev_b64 v[4:5], 2, v[4:5]
	s_waitcnt lgkmcnt(1)
	v_mov_b32_e32 v2, s25
	v_add_co_u32_e32 v4, vcc, s24, v4
	v_addc_co_u32_e32 v5, vcc, v2, v5, vcc
	global_store_dword v[4:5], v3, off
.LBB570_199:
	s_or_b64 exec, exec, s[2:3]
	v_cmp_gt_u32_e32 vcc, s33, v20
                                        ; implicit-def: $vgpr14_vgpr15
	s_and_saveexec_b64 s[2:3], vcc
	s_cbranch_execz .LBB570_205
; %bb.200:
	v_cmp_ge_u32_e32 vcc, v20, v18
                                        ; implicit-def: $vgpr14_vgpr15
	s_and_saveexec_b64 s[4:5], vcc
	s_xor_b64 s[4:5], exec, s[4:5]
	s_cbranch_execz .LBB570_202
; %bb.201:
	s_waitcnt lgkmcnt(1)
	v_xor_b32_e32 v2, 0xfffff3ff, v0
	v_ashrrev_i32_e32 v3, 31, v2
	v_add_co_u32_e32 v14, vcc, v19, v2
	v_addc_co_u32_e32 v15, vcc, v21, v3, vcc
                                        ; implicit-def: $vgpr20
.LBB570_202:
	s_andn2_saveexec_b64 s[4:5], s[4:5]
; %bb.203:
	v_add_co_u32_e32 v14, vcc, v1, v20
	v_addc_co_u32_e32 v15, vcc, 0, v16, vcc
; %bb.204:
	s_or_b64 exec, exec, s[4:5]
	s_or_b64 s[0:1], s[0:1], exec
.LBB570_205:
	s_or_b64 exec, exec, s[2:3]
.LBB570_206:
	s_and_saveexec_b64 s[2:3], s[0:1]
	s_cbranch_execz .LBB570_208
; %bb.207:
	s_waitcnt lgkmcnt(1)
	v_lshlrev_b64 v[2:3], 2, v[14:15]
	v_mov_b32_e32 v4, s25
	v_add_co_u32_e32 v2, vcc, s24, v2
	v_addc_co_u32_e32 v3, vcc, v4, v3, vcc
	s_waitcnt lgkmcnt(0)
	global_store_dword v[2:3], v17, off
.LBB570_208:
	s_or_b64 exec, exec, s[2:3]
	v_cmp_eq_u32_e32 vcc, 0, v0
	s_and_b64 s[0:1], vcc, s[22:23]
	s_and_saveexec_b64 s[2:3], s[0:1]
	s_cbranch_execz .LBB570_210
; %bb.209:
	v_add_co_u32_e32 v0, vcc, v1, v18
	s_waitcnt lgkmcnt(1)
	v_mov_b32_e32 v2, 0
	v_addc_co_u32_e32 v1, vcc, 0, v16, vcc
	global_store_dwordx2 v2, v[0:1], s[20:21]
.LBB570_210:
	s_endpgm
	.section	.rodata,"a",@progbits
	.p2align	6, 0x0
	.amdhsa_kernel _ZN7rocprim17ROCPRIM_400000_NS6detail17trampoline_kernelINS0_13select_configILj256ELj13ELNS0_17block_load_methodE3ELS4_3ELS4_3ELNS0_20block_scan_algorithmE0ELj4294967295EEENS1_25partition_config_selectorILNS1_17partition_subalgoE3EjNS0_10empty_typeEbEEZZNS1_14partition_implILS8_3ELb0ES6_jNS0_17counting_iteratorIjlEEPS9_SE_NS0_5tupleIJPjSE_EEENSF_IJSE_SE_EEES9_SG_JZNS1_25segmented_radix_sort_implINS0_14default_configELb0EPKiPiPKlPlN2at6native12_GLOBAL__N_18offset_tEEE10hipError_tPvRmT1_PNSt15iterator_traitsISY_E10value_typeET2_T3_PNSZ_IS14_E10value_typeET4_jRbjT5_S1A_jjP12ihipStream_tbEUljE_EEESV_SW_SX_S14_S18_S1A_T6_T7_T9_mT8_S1C_bDpT10_ENKUlT_T0_E_clISt17integral_constantIbLb0EES1P_EEDaS1K_S1L_EUlS1K_E_NS1_11comp_targetILNS1_3genE4ELNS1_11target_archE910ELNS1_3gpuE8ELNS1_3repE0EEENS1_30default_config_static_selectorELNS0_4arch9wavefront6targetE1EEEvSY_
		.amdhsa_group_segment_fixed_size 13324
		.amdhsa_private_segment_fixed_size 0
		.amdhsa_kernarg_size 144
		.amdhsa_user_sgpr_count 6
		.amdhsa_user_sgpr_private_segment_buffer 1
		.amdhsa_user_sgpr_dispatch_ptr 0
		.amdhsa_user_sgpr_queue_ptr 0
		.amdhsa_user_sgpr_kernarg_segment_ptr 1
		.amdhsa_user_sgpr_dispatch_id 0
		.amdhsa_user_sgpr_flat_scratch_init 0
		.amdhsa_user_sgpr_kernarg_preload_length 0
		.amdhsa_user_sgpr_kernarg_preload_offset 0
		.amdhsa_user_sgpr_private_segment_size 0
		.amdhsa_uses_dynamic_stack 0
		.amdhsa_system_sgpr_private_segment_wavefront_offset 0
		.amdhsa_system_sgpr_workgroup_id_x 1
		.amdhsa_system_sgpr_workgroup_id_y 0
		.amdhsa_system_sgpr_workgroup_id_z 0
		.amdhsa_system_sgpr_workgroup_info 0
		.amdhsa_system_vgpr_workitem_id 0
		.amdhsa_next_free_vgpr 61
		.amdhsa_next_free_sgpr 46
		.amdhsa_accum_offset 64
		.amdhsa_reserve_vcc 1
		.amdhsa_reserve_flat_scratch 0
		.amdhsa_float_round_mode_32 0
		.amdhsa_float_round_mode_16_64 0
		.amdhsa_float_denorm_mode_32 3
		.amdhsa_float_denorm_mode_16_64 3
		.amdhsa_dx10_clamp 1
		.amdhsa_ieee_mode 1
		.amdhsa_fp16_overflow 0
		.amdhsa_tg_split 0
		.amdhsa_exception_fp_ieee_invalid_op 0
		.amdhsa_exception_fp_denorm_src 0
		.amdhsa_exception_fp_ieee_div_zero 0
		.amdhsa_exception_fp_ieee_overflow 0
		.amdhsa_exception_fp_ieee_underflow 0
		.amdhsa_exception_fp_ieee_inexact 0
		.amdhsa_exception_int_div_zero 0
	.end_amdhsa_kernel
	.section	.text._ZN7rocprim17ROCPRIM_400000_NS6detail17trampoline_kernelINS0_13select_configILj256ELj13ELNS0_17block_load_methodE3ELS4_3ELS4_3ELNS0_20block_scan_algorithmE0ELj4294967295EEENS1_25partition_config_selectorILNS1_17partition_subalgoE3EjNS0_10empty_typeEbEEZZNS1_14partition_implILS8_3ELb0ES6_jNS0_17counting_iteratorIjlEEPS9_SE_NS0_5tupleIJPjSE_EEENSF_IJSE_SE_EEES9_SG_JZNS1_25segmented_radix_sort_implINS0_14default_configELb0EPKiPiPKlPlN2at6native12_GLOBAL__N_18offset_tEEE10hipError_tPvRmT1_PNSt15iterator_traitsISY_E10value_typeET2_T3_PNSZ_IS14_E10value_typeET4_jRbjT5_S1A_jjP12ihipStream_tbEUljE_EEESV_SW_SX_S14_S18_S1A_T6_T7_T9_mT8_S1C_bDpT10_ENKUlT_T0_E_clISt17integral_constantIbLb0EES1P_EEDaS1K_S1L_EUlS1K_E_NS1_11comp_targetILNS1_3genE4ELNS1_11target_archE910ELNS1_3gpuE8ELNS1_3repE0EEENS1_30default_config_static_selectorELNS0_4arch9wavefront6targetE1EEEvSY_,"axG",@progbits,_ZN7rocprim17ROCPRIM_400000_NS6detail17trampoline_kernelINS0_13select_configILj256ELj13ELNS0_17block_load_methodE3ELS4_3ELS4_3ELNS0_20block_scan_algorithmE0ELj4294967295EEENS1_25partition_config_selectorILNS1_17partition_subalgoE3EjNS0_10empty_typeEbEEZZNS1_14partition_implILS8_3ELb0ES6_jNS0_17counting_iteratorIjlEEPS9_SE_NS0_5tupleIJPjSE_EEENSF_IJSE_SE_EEES9_SG_JZNS1_25segmented_radix_sort_implINS0_14default_configELb0EPKiPiPKlPlN2at6native12_GLOBAL__N_18offset_tEEE10hipError_tPvRmT1_PNSt15iterator_traitsISY_E10value_typeET2_T3_PNSZ_IS14_E10value_typeET4_jRbjT5_S1A_jjP12ihipStream_tbEUljE_EEESV_SW_SX_S14_S18_S1A_T6_T7_T9_mT8_S1C_bDpT10_ENKUlT_T0_E_clISt17integral_constantIbLb0EES1P_EEDaS1K_S1L_EUlS1K_E_NS1_11comp_targetILNS1_3genE4ELNS1_11target_archE910ELNS1_3gpuE8ELNS1_3repE0EEENS1_30default_config_static_selectorELNS0_4arch9wavefront6targetE1EEEvSY_,comdat
.Lfunc_end570:
	.size	_ZN7rocprim17ROCPRIM_400000_NS6detail17trampoline_kernelINS0_13select_configILj256ELj13ELNS0_17block_load_methodE3ELS4_3ELS4_3ELNS0_20block_scan_algorithmE0ELj4294967295EEENS1_25partition_config_selectorILNS1_17partition_subalgoE3EjNS0_10empty_typeEbEEZZNS1_14partition_implILS8_3ELb0ES6_jNS0_17counting_iteratorIjlEEPS9_SE_NS0_5tupleIJPjSE_EEENSF_IJSE_SE_EEES9_SG_JZNS1_25segmented_radix_sort_implINS0_14default_configELb0EPKiPiPKlPlN2at6native12_GLOBAL__N_18offset_tEEE10hipError_tPvRmT1_PNSt15iterator_traitsISY_E10value_typeET2_T3_PNSZ_IS14_E10value_typeET4_jRbjT5_S1A_jjP12ihipStream_tbEUljE_EEESV_SW_SX_S14_S18_S1A_T6_T7_T9_mT8_S1C_bDpT10_ENKUlT_T0_E_clISt17integral_constantIbLb0EES1P_EEDaS1K_S1L_EUlS1K_E_NS1_11comp_targetILNS1_3genE4ELNS1_11target_archE910ELNS1_3gpuE8ELNS1_3repE0EEENS1_30default_config_static_selectorELNS0_4arch9wavefront6targetE1EEEvSY_, .Lfunc_end570-_ZN7rocprim17ROCPRIM_400000_NS6detail17trampoline_kernelINS0_13select_configILj256ELj13ELNS0_17block_load_methodE3ELS4_3ELS4_3ELNS0_20block_scan_algorithmE0ELj4294967295EEENS1_25partition_config_selectorILNS1_17partition_subalgoE3EjNS0_10empty_typeEbEEZZNS1_14partition_implILS8_3ELb0ES6_jNS0_17counting_iteratorIjlEEPS9_SE_NS0_5tupleIJPjSE_EEENSF_IJSE_SE_EEES9_SG_JZNS1_25segmented_radix_sort_implINS0_14default_configELb0EPKiPiPKlPlN2at6native12_GLOBAL__N_18offset_tEEE10hipError_tPvRmT1_PNSt15iterator_traitsISY_E10value_typeET2_T3_PNSZ_IS14_E10value_typeET4_jRbjT5_S1A_jjP12ihipStream_tbEUljE_EEESV_SW_SX_S14_S18_S1A_T6_T7_T9_mT8_S1C_bDpT10_ENKUlT_T0_E_clISt17integral_constantIbLb0EES1P_EEDaS1K_S1L_EUlS1K_E_NS1_11comp_targetILNS1_3genE4ELNS1_11target_archE910ELNS1_3gpuE8ELNS1_3repE0EEENS1_30default_config_static_selectorELNS0_4arch9wavefront6targetE1EEEvSY_
                                        ; -- End function
	.section	.AMDGPU.csdata,"",@progbits
; Kernel info:
; codeLenInByte = 7676
; NumSgprs: 50
; NumVgprs: 61
; NumAgprs: 0
; TotalNumVgprs: 61
; ScratchSize: 0
; MemoryBound: 0
; FloatMode: 240
; IeeeMode: 1
; LDSByteSize: 13324 bytes/workgroup (compile time only)
; SGPRBlocks: 6
; VGPRBlocks: 7
; NumSGPRsForWavesPerEU: 50
; NumVGPRsForWavesPerEU: 61
; AccumOffset: 64
; Occupancy: 4
; WaveLimiterHint : 0
; COMPUTE_PGM_RSRC2:SCRATCH_EN: 0
; COMPUTE_PGM_RSRC2:USER_SGPR: 6
; COMPUTE_PGM_RSRC2:TRAP_HANDLER: 0
; COMPUTE_PGM_RSRC2:TGID_X_EN: 1
; COMPUTE_PGM_RSRC2:TGID_Y_EN: 0
; COMPUTE_PGM_RSRC2:TGID_Z_EN: 0
; COMPUTE_PGM_RSRC2:TIDIG_COMP_CNT: 0
; COMPUTE_PGM_RSRC3_GFX90A:ACCUM_OFFSET: 15
; COMPUTE_PGM_RSRC3_GFX90A:TG_SPLIT: 0
	.section	.text._ZN7rocprim17ROCPRIM_400000_NS6detail17trampoline_kernelINS0_13select_configILj256ELj13ELNS0_17block_load_methodE3ELS4_3ELS4_3ELNS0_20block_scan_algorithmE0ELj4294967295EEENS1_25partition_config_selectorILNS1_17partition_subalgoE3EjNS0_10empty_typeEbEEZZNS1_14partition_implILS8_3ELb0ES6_jNS0_17counting_iteratorIjlEEPS9_SE_NS0_5tupleIJPjSE_EEENSF_IJSE_SE_EEES9_SG_JZNS1_25segmented_radix_sort_implINS0_14default_configELb0EPKiPiPKlPlN2at6native12_GLOBAL__N_18offset_tEEE10hipError_tPvRmT1_PNSt15iterator_traitsISY_E10value_typeET2_T3_PNSZ_IS14_E10value_typeET4_jRbjT5_S1A_jjP12ihipStream_tbEUljE_EEESV_SW_SX_S14_S18_S1A_T6_T7_T9_mT8_S1C_bDpT10_ENKUlT_T0_E_clISt17integral_constantIbLb0EES1P_EEDaS1K_S1L_EUlS1K_E_NS1_11comp_targetILNS1_3genE3ELNS1_11target_archE908ELNS1_3gpuE7ELNS1_3repE0EEENS1_30default_config_static_selectorELNS0_4arch9wavefront6targetE1EEEvSY_,"axG",@progbits,_ZN7rocprim17ROCPRIM_400000_NS6detail17trampoline_kernelINS0_13select_configILj256ELj13ELNS0_17block_load_methodE3ELS4_3ELS4_3ELNS0_20block_scan_algorithmE0ELj4294967295EEENS1_25partition_config_selectorILNS1_17partition_subalgoE3EjNS0_10empty_typeEbEEZZNS1_14partition_implILS8_3ELb0ES6_jNS0_17counting_iteratorIjlEEPS9_SE_NS0_5tupleIJPjSE_EEENSF_IJSE_SE_EEES9_SG_JZNS1_25segmented_radix_sort_implINS0_14default_configELb0EPKiPiPKlPlN2at6native12_GLOBAL__N_18offset_tEEE10hipError_tPvRmT1_PNSt15iterator_traitsISY_E10value_typeET2_T3_PNSZ_IS14_E10value_typeET4_jRbjT5_S1A_jjP12ihipStream_tbEUljE_EEESV_SW_SX_S14_S18_S1A_T6_T7_T9_mT8_S1C_bDpT10_ENKUlT_T0_E_clISt17integral_constantIbLb0EES1P_EEDaS1K_S1L_EUlS1K_E_NS1_11comp_targetILNS1_3genE3ELNS1_11target_archE908ELNS1_3gpuE7ELNS1_3repE0EEENS1_30default_config_static_selectorELNS0_4arch9wavefront6targetE1EEEvSY_,comdat
	.globl	_ZN7rocprim17ROCPRIM_400000_NS6detail17trampoline_kernelINS0_13select_configILj256ELj13ELNS0_17block_load_methodE3ELS4_3ELS4_3ELNS0_20block_scan_algorithmE0ELj4294967295EEENS1_25partition_config_selectorILNS1_17partition_subalgoE3EjNS0_10empty_typeEbEEZZNS1_14partition_implILS8_3ELb0ES6_jNS0_17counting_iteratorIjlEEPS9_SE_NS0_5tupleIJPjSE_EEENSF_IJSE_SE_EEES9_SG_JZNS1_25segmented_radix_sort_implINS0_14default_configELb0EPKiPiPKlPlN2at6native12_GLOBAL__N_18offset_tEEE10hipError_tPvRmT1_PNSt15iterator_traitsISY_E10value_typeET2_T3_PNSZ_IS14_E10value_typeET4_jRbjT5_S1A_jjP12ihipStream_tbEUljE_EEESV_SW_SX_S14_S18_S1A_T6_T7_T9_mT8_S1C_bDpT10_ENKUlT_T0_E_clISt17integral_constantIbLb0EES1P_EEDaS1K_S1L_EUlS1K_E_NS1_11comp_targetILNS1_3genE3ELNS1_11target_archE908ELNS1_3gpuE7ELNS1_3repE0EEENS1_30default_config_static_selectorELNS0_4arch9wavefront6targetE1EEEvSY_ ; -- Begin function _ZN7rocprim17ROCPRIM_400000_NS6detail17trampoline_kernelINS0_13select_configILj256ELj13ELNS0_17block_load_methodE3ELS4_3ELS4_3ELNS0_20block_scan_algorithmE0ELj4294967295EEENS1_25partition_config_selectorILNS1_17partition_subalgoE3EjNS0_10empty_typeEbEEZZNS1_14partition_implILS8_3ELb0ES6_jNS0_17counting_iteratorIjlEEPS9_SE_NS0_5tupleIJPjSE_EEENSF_IJSE_SE_EEES9_SG_JZNS1_25segmented_radix_sort_implINS0_14default_configELb0EPKiPiPKlPlN2at6native12_GLOBAL__N_18offset_tEEE10hipError_tPvRmT1_PNSt15iterator_traitsISY_E10value_typeET2_T3_PNSZ_IS14_E10value_typeET4_jRbjT5_S1A_jjP12ihipStream_tbEUljE_EEESV_SW_SX_S14_S18_S1A_T6_T7_T9_mT8_S1C_bDpT10_ENKUlT_T0_E_clISt17integral_constantIbLb0EES1P_EEDaS1K_S1L_EUlS1K_E_NS1_11comp_targetILNS1_3genE3ELNS1_11target_archE908ELNS1_3gpuE7ELNS1_3repE0EEENS1_30default_config_static_selectorELNS0_4arch9wavefront6targetE1EEEvSY_
	.p2align	8
	.type	_ZN7rocprim17ROCPRIM_400000_NS6detail17trampoline_kernelINS0_13select_configILj256ELj13ELNS0_17block_load_methodE3ELS4_3ELS4_3ELNS0_20block_scan_algorithmE0ELj4294967295EEENS1_25partition_config_selectorILNS1_17partition_subalgoE3EjNS0_10empty_typeEbEEZZNS1_14partition_implILS8_3ELb0ES6_jNS0_17counting_iteratorIjlEEPS9_SE_NS0_5tupleIJPjSE_EEENSF_IJSE_SE_EEES9_SG_JZNS1_25segmented_radix_sort_implINS0_14default_configELb0EPKiPiPKlPlN2at6native12_GLOBAL__N_18offset_tEEE10hipError_tPvRmT1_PNSt15iterator_traitsISY_E10value_typeET2_T3_PNSZ_IS14_E10value_typeET4_jRbjT5_S1A_jjP12ihipStream_tbEUljE_EEESV_SW_SX_S14_S18_S1A_T6_T7_T9_mT8_S1C_bDpT10_ENKUlT_T0_E_clISt17integral_constantIbLb0EES1P_EEDaS1K_S1L_EUlS1K_E_NS1_11comp_targetILNS1_3genE3ELNS1_11target_archE908ELNS1_3gpuE7ELNS1_3repE0EEENS1_30default_config_static_selectorELNS0_4arch9wavefront6targetE1EEEvSY_,@function
_ZN7rocprim17ROCPRIM_400000_NS6detail17trampoline_kernelINS0_13select_configILj256ELj13ELNS0_17block_load_methodE3ELS4_3ELS4_3ELNS0_20block_scan_algorithmE0ELj4294967295EEENS1_25partition_config_selectorILNS1_17partition_subalgoE3EjNS0_10empty_typeEbEEZZNS1_14partition_implILS8_3ELb0ES6_jNS0_17counting_iteratorIjlEEPS9_SE_NS0_5tupleIJPjSE_EEENSF_IJSE_SE_EEES9_SG_JZNS1_25segmented_radix_sort_implINS0_14default_configELb0EPKiPiPKlPlN2at6native12_GLOBAL__N_18offset_tEEE10hipError_tPvRmT1_PNSt15iterator_traitsISY_E10value_typeET2_T3_PNSZ_IS14_E10value_typeET4_jRbjT5_S1A_jjP12ihipStream_tbEUljE_EEESV_SW_SX_S14_S18_S1A_T6_T7_T9_mT8_S1C_bDpT10_ENKUlT_T0_E_clISt17integral_constantIbLb0EES1P_EEDaS1K_S1L_EUlS1K_E_NS1_11comp_targetILNS1_3genE3ELNS1_11target_archE908ELNS1_3gpuE7ELNS1_3repE0EEENS1_30default_config_static_selectorELNS0_4arch9wavefront6targetE1EEEvSY_: ; @_ZN7rocprim17ROCPRIM_400000_NS6detail17trampoline_kernelINS0_13select_configILj256ELj13ELNS0_17block_load_methodE3ELS4_3ELS4_3ELNS0_20block_scan_algorithmE0ELj4294967295EEENS1_25partition_config_selectorILNS1_17partition_subalgoE3EjNS0_10empty_typeEbEEZZNS1_14partition_implILS8_3ELb0ES6_jNS0_17counting_iteratorIjlEEPS9_SE_NS0_5tupleIJPjSE_EEENSF_IJSE_SE_EEES9_SG_JZNS1_25segmented_radix_sort_implINS0_14default_configELb0EPKiPiPKlPlN2at6native12_GLOBAL__N_18offset_tEEE10hipError_tPvRmT1_PNSt15iterator_traitsISY_E10value_typeET2_T3_PNSZ_IS14_E10value_typeET4_jRbjT5_S1A_jjP12ihipStream_tbEUljE_EEESV_SW_SX_S14_S18_S1A_T6_T7_T9_mT8_S1C_bDpT10_ENKUlT_T0_E_clISt17integral_constantIbLb0EES1P_EEDaS1K_S1L_EUlS1K_E_NS1_11comp_targetILNS1_3genE3ELNS1_11target_archE908ELNS1_3gpuE7ELNS1_3repE0EEENS1_30default_config_static_selectorELNS0_4arch9wavefront6targetE1EEEvSY_
; %bb.0:
	.section	.rodata,"a",@progbits
	.p2align	6, 0x0
	.amdhsa_kernel _ZN7rocprim17ROCPRIM_400000_NS6detail17trampoline_kernelINS0_13select_configILj256ELj13ELNS0_17block_load_methodE3ELS4_3ELS4_3ELNS0_20block_scan_algorithmE0ELj4294967295EEENS1_25partition_config_selectorILNS1_17partition_subalgoE3EjNS0_10empty_typeEbEEZZNS1_14partition_implILS8_3ELb0ES6_jNS0_17counting_iteratorIjlEEPS9_SE_NS0_5tupleIJPjSE_EEENSF_IJSE_SE_EEES9_SG_JZNS1_25segmented_radix_sort_implINS0_14default_configELb0EPKiPiPKlPlN2at6native12_GLOBAL__N_18offset_tEEE10hipError_tPvRmT1_PNSt15iterator_traitsISY_E10value_typeET2_T3_PNSZ_IS14_E10value_typeET4_jRbjT5_S1A_jjP12ihipStream_tbEUljE_EEESV_SW_SX_S14_S18_S1A_T6_T7_T9_mT8_S1C_bDpT10_ENKUlT_T0_E_clISt17integral_constantIbLb0EES1P_EEDaS1K_S1L_EUlS1K_E_NS1_11comp_targetILNS1_3genE3ELNS1_11target_archE908ELNS1_3gpuE7ELNS1_3repE0EEENS1_30default_config_static_selectorELNS0_4arch9wavefront6targetE1EEEvSY_
		.amdhsa_group_segment_fixed_size 0
		.amdhsa_private_segment_fixed_size 0
		.amdhsa_kernarg_size 144
		.amdhsa_user_sgpr_count 6
		.amdhsa_user_sgpr_private_segment_buffer 1
		.amdhsa_user_sgpr_dispatch_ptr 0
		.amdhsa_user_sgpr_queue_ptr 0
		.amdhsa_user_sgpr_kernarg_segment_ptr 1
		.amdhsa_user_sgpr_dispatch_id 0
		.amdhsa_user_sgpr_flat_scratch_init 0
		.amdhsa_user_sgpr_kernarg_preload_length 0
		.amdhsa_user_sgpr_kernarg_preload_offset 0
		.amdhsa_user_sgpr_private_segment_size 0
		.amdhsa_uses_dynamic_stack 0
		.amdhsa_system_sgpr_private_segment_wavefront_offset 0
		.amdhsa_system_sgpr_workgroup_id_x 1
		.amdhsa_system_sgpr_workgroup_id_y 0
		.amdhsa_system_sgpr_workgroup_id_z 0
		.amdhsa_system_sgpr_workgroup_info 0
		.amdhsa_system_vgpr_workitem_id 0
		.amdhsa_next_free_vgpr 1
		.amdhsa_next_free_sgpr 0
		.amdhsa_accum_offset 4
		.amdhsa_reserve_vcc 0
		.amdhsa_reserve_flat_scratch 0
		.amdhsa_float_round_mode_32 0
		.amdhsa_float_round_mode_16_64 0
		.amdhsa_float_denorm_mode_32 3
		.amdhsa_float_denorm_mode_16_64 3
		.amdhsa_dx10_clamp 1
		.amdhsa_ieee_mode 1
		.amdhsa_fp16_overflow 0
		.amdhsa_tg_split 0
		.amdhsa_exception_fp_ieee_invalid_op 0
		.amdhsa_exception_fp_denorm_src 0
		.amdhsa_exception_fp_ieee_div_zero 0
		.amdhsa_exception_fp_ieee_overflow 0
		.amdhsa_exception_fp_ieee_underflow 0
		.amdhsa_exception_fp_ieee_inexact 0
		.amdhsa_exception_int_div_zero 0
	.end_amdhsa_kernel
	.section	.text._ZN7rocprim17ROCPRIM_400000_NS6detail17trampoline_kernelINS0_13select_configILj256ELj13ELNS0_17block_load_methodE3ELS4_3ELS4_3ELNS0_20block_scan_algorithmE0ELj4294967295EEENS1_25partition_config_selectorILNS1_17partition_subalgoE3EjNS0_10empty_typeEbEEZZNS1_14partition_implILS8_3ELb0ES6_jNS0_17counting_iteratorIjlEEPS9_SE_NS0_5tupleIJPjSE_EEENSF_IJSE_SE_EEES9_SG_JZNS1_25segmented_radix_sort_implINS0_14default_configELb0EPKiPiPKlPlN2at6native12_GLOBAL__N_18offset_tEEE10hipError_tPvRmT1_PNSt15iterator_traitsISY_E10value_typeET2_T3_PNSZ_IS14_E10value_typeET4_jRbjT5_S1A_jjP12ihipStream_tbEUljE_EEESV_SW_SX_S14_S18_S1A_T6_T7_T9_mT8_S1C_bDpT10_ENKUlT_T0_E_clISt17integral_constantIbLb0EES1P_EEDaS1K_S1L_EUlS1K_E_NS1_11comp_targetILNS1_3genE3ELNS1_11target_archE908ELNS1_3gpuE7ELNS1_3repE0EEENS1_30default_config_static_selectorELNS0_4arch9wavefront6targetE1EEEvSY_,"axG",@progbits,_ZN7rocprim17ROCPRIM_400000_NS6detail17trampoline_kernelINS0_13select_configILj256ELj13ELNS0_17block_load_methodE3ELS4_3ELS4_3ELNS0_20block_scan_algorithmE0ELj4294967295EEENS1_25partition_config_selectorILNS1_17partition_subalgoE3EjNS0_10empty_typeEbEEZZNS1_14partition_implILS8_3ELb0ES6_jNS0_17counting_iteratorIjlEEPS9_SE_NS0_5tupleIJPjSE_EEENSF_IJSE_SE_EEES9_SG_JZNS1_25segmented_radix_sort_implINS0_14default_configELb0EPKiPiPKlPlN2at6native12_GLOBAL__N_18offset_tEEE10hipError_tPvRmT1_PNSt15iterator_traitsISY_E10value_typeET2_T3_PNSZ_IS14_E10value_typeET4_jRbjT5_S1A_jjP12ihipStream_tbEUljE_EEESV_SW_SX_S14_S18_S1A_T6_T7_T9_mT8_S1C_bDpT10_ENKUlT_T0_E_clISt17integral_constantIbLb0EES1P_EEDaS1K_S1L_EUlS1K_E_NS1_11comp_targetILNS1_3genE3ELNS1_11target_archE908ELNS1_3gpuE7ELNS1_3repE0EEENS1_30default_config_static_selectorELNS0_4arch9wavefront6targetE1EEEvSY_,comdat
.Lfunc_end571:
	.size	_ZN7rocprim17ROCPRIM_400000_NS6detail17trampoline_kernelINS0_13select_configILj256ELj13ELNS0_17block_load_methodE3ELS4_3ELS4_3ELNS0_20block_scan_algorithmE0ELj4294967295EEENS1_25partition_config_selectorILNS1_17partition_subalgoE3EjNS0_10empty_typeEbEEZZNS1_14partition_implILS8_3ELb0ES6_jNS0_17counting_iteratorIjlEEPS9_SE_NS0_5tupleIJPjSE_EEENSF_IJSE_SE_EEES9_SG_JZNS1_25segmented_radix_sort_implINS0_14default_configELb0EPKiPiPKlPlN2at6native12_GLOBAL__N_18offset_tEEE10hipError_tPvRmT1_PNSt15iterator_traitsISY_E10value_typeET2_T3_PNSZ_IS14_E10value_typeET4_jRbjT5_S1A_jjP12ihipStream_tbEUljE_EEESV_SW_SX_S14_S18_S1A_T6_T7_T9_mT8_S1C_bDpT10_ENKUlT_T0_E_clISt17integral_constantIbLb0EES1P_EEDaS1K_S1L_EUlS1K_E_NS1_11comp_targetILNS1_3genE3ELNS1_11target_archE908ELNS1_3gpuE7ELNS1_3repE0EEENS1_30default_config_static_selectorELNS0_4arch9wavefront6targetE1EEEvSY_, .Lfunc_end571-_ZN7rocprim17ROCPRIM_400000_NS6detail17trampoline_kernelINS0_13select_configILj256ELj13ELNS0_17block_load_methodE3ELS4_3ELS4_3ELNS0_20block_scan_algorithmE0ELj4294967295EEENS1_25partition_config_selectorILNS1_17partition_subalgoE3EjNS0_10empty_typeEbEEZZNS1_14partition_implILS8_3ELb0ES6_jNS0_17counting_iteratorIjlEEPS9_SE_NS0_5tupleIJPjSE_EEENSF_IJSE_SE_EEES9_SG_JZNS1_25segmented_radix_sort_implINS0_14default_configELb0EPKiPiPKlPlN2at6native12_GLOBAL__N_18offset_tEEE10hipError_tPvRmT1_PNSt15iterator_traitsISY_E10value_typeET2_T3_PNSZ_IS14_E10value_typeET4_jRbjT5_S1A_jjP12ihipStream_tbEUljE_EEESV_SW_SX_S14_S18_S1A_T6_T7_T9_mT8_S1C_bDpT10_ENKUlT_T0_E_clISt17integral_constantIbLb0EES1P_EEDaS1K_S1L_EUlS1K_E_NS1_11comp_targetILNS1_3genE3ELNS1_11target_archE908ELNS1_3gpuE7ELNS1_3repE0EEENS1_30default_config_static_selectorELNS0_4arch9wavefront6targetE1EEEvSY_
                                        ; -- End function
	.section	.AMDGPU.csdata,"",@progbits
; Kernel info:
; codeLenInByte = 0
; NumSgprs: 4
; NumVgprs: 0
; NumAgprs: 0
; TotalNumVgprs: 0
; ScratchSize: 0
; MemoryBound: 0
; FloatMode: 240
; IeeeMode: 1
; LDSByteSize: 0 bytes/workgroup (compile time only)
; SGPRBlocks: 0
; VGPRBlocks: 0
; NumSGPRsForWavesPerEU: 4
; NumVGPRsForWavesPerEU: 1
; AccumOffset: 4
; Occupancy: 8
; WaveLimiterHint : 0
; COMPUTE_PGM_RSRC2:SCRATCH_EN: 0
; COMPUTE_PGM_RSRC2:USER_SGPR: 6
; COMPUTE_PGM_RSRC2:TRAP_HANDLER: 0
; COMPUTE_PGM_RSRC2:TGID_X_EN: 1
; COMPUTE_PGM_RSRC2:TGID_Y_EN: 0
; COMPUTE_PGM_RSRC2:TGID_Z_EN: 0
; COMPUTE_PGM_RSRC2:TIDIG_COMP_CNT: 0
; COMPUTE_PGM_RSRC3_GFX90A:ACCUM_OFFSET: 0
; COMPUTE_PGM_RSRC3_GFX90A:TG_SPLIT: 0
	.section	.text._ZN7rocprim17ROCPRIM_400000_NS6detail17trampoline_kernelINS0_13select_configILj256ELj13ELNS0_17block_load_methodE3ELS4_3ELS4_3ELNS0_20block_scan_algorithmE0ELj4294967295EEENS1_25partition_config_selectorILNS1_17partition_subalgoE3EjNS0_10empty_typeEbEEZZNS1_14partition_implILS8_3ELb0ES6_jNS0_17counting_iteratorIjlEEPS9_SE_NS0_5tupleIJPjSE_EEENSF_IJSE_SE_EEES9_SG_JZNS1_25segmented_radix_sort_implINS0_14default_configELb0EPKiPiPKlPlN2at6native12_GLOBAL__N_18offset_tEEE10hipError_tPvRmT1_PNSt15iterator_traitsISY_E10value_typeET2_T3_PNSZ_IS14_E10value_typeET4_jRbjT5_S1A_jjP12ihipStream_tbEUljE_EEESV_SW_SX_S14_S18_S1A_T6_T7_T9_mT8_S1C_bDpT10_ENKUlT_T0_E_clISt17integral_constantIbLb0EES1P_EEDaS1K_S1L_EUlS1K_E_NS1_11comp_targetILNS1_3genE2ELNS1_11target_archE906ELNS1_3gpuE6ELNS1_3repE0EEENS1_30default_config_static_selectorELNS0_4arch9wavefront6targetE1EEEvSY_,"axG",@progbits,_ZN7rocprim17ROCPRIM_400000_NS6detail17trampoline_kernelINS0_13select_configILj256ELj13ELNS0_17block_load_methodE3ELS4_3ELS4_3ELNS0_20block_scan_algorithmE0ELj4294967295EEENS1_25partition_config_selectorILNS1_17partition_subalgoE3EjNS0_10empty_typeEbEEZZNS1_14partition_implILS8_3ELb0ES6_jNS0_17counting_iteratorIjlEEPS9_SE_NS0_5tupleIJPjSE_EEENSF_IJSE_SE_EEES9_SG_JZNS1_25segmented_radix_sort_implINS0_14default_configELb0EPKiPiPKlPlN2at6native12_GLOBAL__N_18offset_tEEE10hipError_tPvRmT1_PNSt15iterator_traitsISY_E10value_typeET2_T3_PNSZ_IS14_E10value_typeET4_jRbjT5_S1A_jjP12ihipStream_tbEUljE_EEESV_SW_SX_S14_S18_S1A_T6_T7_T9_mT8_S1C_bDpT10_ENKUlT_T0_E_clISt17integral_constantIbLb0EES1P_EEDaS1K_S1L_EUlS1K_E_NS1_11comp_targetILNS1_3genE2ELNS1_11target_archE906ELNS1_3gpuE6ELNS1_3repE0EEENS1_30default_config_static_selectorELNS0_4arch9wavefront6targetE1EEEvSY_,comdat
	.globl	_ZN7rocprim17ROCPRIM_400000_NS6detail17trampoline_kernelINS0_13select_configILj256ELj13ELNS0_17block_load_methodE3ELS4_3ELS4_3ELNS0_20block_scan_algorithmE0ELj4294967295EEENS1_25partition_config_selectorILNS1_17partition_subalgoE3EjNS0_10empty_typeEbEEZZNS1_14partition_implILS8_3ELb0ES6_jNS0_17counting_iteratorIjlEEPS9_SE_NS0_5tupleIJPjSE_EEENSF_IJSE_SE_EEES9_SG_JZNS1_25segmented_radix_sort_implINS0_14default_configELb0EPKiPiPKlPlN2at6native12_GLOBAL__N_18offset_tEEE10hipError_tPvRmT1_PNSt15iterator_traitsISY_E10value_typeET2_T3_PNSZ_IS14_E10value_typeET4_jRbjT5_S1A_jjP12ihipStream_tbEUljE_EEESV_SW_SX_S14_S18_S1A_T6_T7_T9_mT8_S1C_bDpT10_ENKUlT_T0_E_clISt17integral_constantIbLb0EES1P_EEDaS1K_S1L_EUlS1K_E_NS1_11comp_targetILNS1_3genE2ELNS1_11target_archE906ELNS1_3gpuE6ELNS1_3repE0EEENS1_30default_config_static_selectorELNS0_4arch9wavefront6targetE1EEEvSY_ ; -- Begin function _ZN7rocprim17ROCPRIM_400000_NS6detail17trampoline_kernelINS0_13select_configILj256ELj13ELNS0_17block_load_methodE3ELS4_3ELS4_3ELNS0_20block_scan_algorithmE0ELj4294967295EEENS1_25partition_config_selectorILNS1_17partition_subalgoE3EjNS0_10empty_typeEbEEZZNS1_14partition_implILS8_3ELb0ES6_jNS0_17counting_iteratorIjlEEPS9_SE_NS0_5tupleIJPjSE_EEENSF_IJSE_SE_EEES9_SG_JZNS1_25segmented_radix_sort_implINS0_14default_configELb0EPKiPiPKlPlN2at6native12_GLOBAL__N_18offset_tEEE10hipError_tPvRmT1_PNSt15iterator_traitsISY_E10value_typeET2_T3_PNSZ_IS14_E10value_typeET4_jRbjT5_S1A_jjP12ihipStream_tbEUljE_EEESV_SW_SX_S14_S18_S1A_T6_T7_T9_mT8_S1C_bDpT10_ENKUlT_T0_E_clISt17integral_constantIbLb0EES1P_EEDaS1K_S1L_EUlS1K_E_NS1_11comp_targetILNS1_3genE2ELNS1_11target_archE906ELNS1_3gpuE6ELNS1_3repE0EEENS1_30default_config_static_selectorELNS0_4arch9wavefront6targetE1EEEvSY_
	.p2align	8
	.type	_ZN7rocprim17ROCPRIM_400000_NS6detail17trampoline_kernelINS0_13select_configILj256ELj13ELNS0_17block_load_methodE3ELS4_3ELS4_3ELNS0_20block_scan_algorithmE0ELj4294967295EEENS1_25partition_config_selectorILNS1_17partition_subalgoE3EjNS0_10empty_typeEbEEZZNS1_14partition_implILS8_3ELb0ES6_jNS0_17counting_iteratorIjlEEPS9_SE_NS0_5tupleIJPjSE_EEENSF_IJSE_SE_EEES9_SG_JZNS1_25segmented_radix_sort_implINS0_14default_configELb0EPKiPiPKlPlN2at6native12_GLOBAL__N_18offset_tEEE10hipError_tPvRmT1_PNSt15iterator_traitsISY_E10value_typeET2_T3_PNSZ_IS14_E10value_typeET4_jRbjT5_S1A_jjP12ihipStream_tbEUljE_EEESV_SW_SX_S14_S18_S1A_T6_T7_T9_mT8_S1C_bDpT10_ENKUlT_T0_E_clISt17integral_constantIbLb0EES1P_EEDaS1K_S1L_EUlS1K_E_NS1_11comp_targetILNS1_3genE2ELNS1_11target_archE906ELNS1_3gpuE6ELNS1_3repE0EEENS1_30default_config_static_selectorELNS0_4arch9wavefront6targetE1EEEvSY_,@function
_ZN7rocprim17ROCPRIM_400000_NS6detail17trampoline_kernelINS0_13select_configILj256ELj13ELNS0_17block_load_methodE3ELS4_3ELS4_3ELNS0_20block_scan_algorithmE0ELj4294967295EEENS1_25partition_config_selectorILNS1_17partition_subalgoE3EjNS0_10empty_typeEbEEZZNS1_14partition_implILS8_3ELb0ES6_jNS0_17counting_iteratorIjlEEPS9_SE_NS0_5tupleIJPjSE_EEENSF_IJSE_SE_EEES9_SG_JZNS1_25segmented_radix_sort_implINS0_14default_configELb0EPKiPiPKlPlN2at6native12_GLOBAL__N_18offset_tEEE10hipError_tPvRmT1_PNSt15iterator_traitsISY_E10value_typeET2_T3_PNSZ_IS14_E10value_typeET4_jRbjT5_S1A_jjP12ihipStream_tbEUljE_EEESV_SW_SX_S14_S18_S1A_T6_T7_T9_mT8_S1C_bDpT10_ENKUlT_T0_E_clISt17integral_constantIbLb0EES1P_EEDaS1K_S1L_EUlS1K_E_NS1_11comp_targetILNS1_3genE2ELNS1_11target_archE906ELNS1_3gpuE6ELNS1_3repE0EEENS1_30default_config_static_selectorELNS0_4arch9wavefront6targetE1EEEvSY_: ; @_ZN7rocprim17ROCPRIM_400000_NS6detail17trampoline_kernelINS0_13select_configILj256ELj13ELNS0_17block_load_methodE3ELS4_3ELS4_3ELNS0_20block_scan_algorithmE0ELj4294967295EEENS1_25partition_config_selectorILNS1_17partition_subalgoE3EjNS0_10empty_typeEbEEZZNS1_14partition_implILS8_3ELb0ES6_jNS0_17counting_iteratorIjlEEPS9_SE_NS0_5tupleIJPjSE_EEENSF_IJSE_SE_EEES9_SG_JZNS1_25segmented_radix_sort_implINS0_14default_configELb0EPKiPiPKlPlN2at6native12_GLOBAL__N_18offset_tEEE10hipError_tPvRmT1_PNSt15iterator_traitsISY_E10value_typeET2_T3_PNSZ_IS14_E10value_typeET4_jRbjT5_S1A_jjP12ihipStream_tbEUljE_EEESV_SW_SX_S14_S18_S1A_T6_T7_T9_mT8_S1C_bDpT10_ENKUlT_T0_E_clISt17integral_constantIbLb0EES1P_EEDaS1K_S1L_EUlS1K_E_NS1_11comp_targetILNS1_3genE2ELNS1_11target_archE906ELNS1_3gpuE6ELNS1_3repE0EEENS1_30default_config_static_selectorELNS0_4arch9wavefront6targetE1EEEvSY_
; %bb.0:
	.section	.rodata,"a",@progbits
	.p2align	6, 0x0
	.amdhsa_kernel _ZN7rocprim17ROCPRIM_400000_NS6detail17trampoline_kernelINS0_13select_configILj256ELj13ELNS0_17block_load_methodE3ELS4_3ELS4_3ELNS0_20block_scan_algorithmE0ELj4294967295EEENS1_25partition_config_selectorILNS1_17partition_subalgoE3EjNS0_10empty_typeEbEEZZNS1_14partition_implILS8_3ELb0ES6_jNS0_17counting_iteratorIjlEEPS9_SE_NS0_5tupleIJPjSE_EEENSF_IJSE_SE_EEES9_SG_JZNS1_25segmented_radix_sort_implINS0_14default_configELb0EPKiPiPKlPlN2at6native12_GLOBAL__N_18offset_tEEE10hipError_tPvRmT1_PNSt15iterator_traitsISY_E10value_typeET2_T3_PNSZ_IS14_E10value_typeET4_jRbjT5_S1A_jjP12ihipStream_tbEUljE_EEESV_SW_SX_S14_S18_S1A_T6_T7_T9_mT8_S1C_bDpT10_ENKUlT_T0_E_clISt17integral_constantIbLb0EES1P_EEDaS1K_S1L_EUlS1K_E_NS1_11comp_targetILNS1_3genE2ELNS1_11target_archE906ELNS1_3gpuE6ELNS1_3repE0EEENS1_30default_config_static_selectorELNS0_4arch9wavefront6targetE1EEEvSY_
		.amdhsa_group_segment_fixed_size 0
		.amdhsa_private_segment_fixed_size 0
		.amdhsa_kernarg_size 144
		.amdhsa_user_sgpr_count 6
		.amdhsa_user_sgpr_private_segment_buffer 1
		.amdhsa_user_sgpr_dispatch_ptr 0
		.amdhsa_user_sgpr_queue_ptr 0
		.amdhsa_user_sgpr_kernarg_segment_ptr 1
		.amdhsa_user_sgpr_dispatch_id 0
		.amdhsa_user_sgpr_flat_scratch_init 0
		.amdhsa_user_sgpr_kernarg_preload_length 0
		.amdhsa_user_sgpr_kernarg_preload_offset 0
		.amdhsa_user_sgpr_private_segment_size 0
		.amdhsa_uses_dynamic_stack 0
		.amdhsa_system_sgpr_private_segment_wavefront_offset 0
		.amdhsa_system_sgpr_workgroup_id_x 1
		.amdhsa_system_sgpr_workgroup_id_y 0
		.amdhsa_system_sgpr_workgroup_id_z 0
		.amdhsa_system_sgpr_workgroup_info 0
		.amdhsa_system_vgpr_workitem_id 0
		.amdhsa_next_free_vgpr 1
		.amdhsa_next_free_sgpr 0
		.amdhsa_accum_offset 4
		.amdhsa_reserve_vcc 0
		.amdhsa_reserve_flat_scratch 0
		.amdhsa_float_round_mode_32 0
		.amdhsa_float_round_mode_16_64 0
		.amdhsa_float_denorm_mode_32 3
		.amdhsa_float_denorm_mode_16_64 3
		.amdhsa_dx10_clamp 1
		.amdhsa_ieee_mode 1
		.amdhsa_fp16_overflow 0
		.amdhsa_tg_split 0
		.amdhsa_exception_fp_ieee_invalid_op 0
		.amdhsa_exception_fp_denorm_src 0
		.amdhsa_exception_fp_ieee_div_zero 0
		.amdhsa_exception_fp_ieee_overflow 0
		.amdhsa_exception_fp_ieee_underflow 0
		.amdhsa_exception_fp_ieee_inexact 0
		.amdhsa_exception_int_div_zero 0
	.end_amdhsa_kernel
	.section	.text._ZN7rocprim17ROCPRIM_400000_NS6detail17trampoline_kernelINS0_13select_configILj256ELj13ELNS0_17block_load_methodE3ELS4_3ELS4_3ELNS0_20block_scan_algorithmE0ELj4294967295EEENS1_25partition_config_selectorILNS1_17partition_subalgoE3EjNS0_10empty_typeEbEEZZNS1_14partition_implILS8_3ELb0ES6_jNS0_17counting_iteratorIjlEEPS9_SE_NS0_5tupleIJPjSE_EEENSF_IJSE_SE_EEES9_SG_JZNS1_25segmented_radix_sort_implINS0_14default_configELb0EPKiPiPKlPlN2at6native12_GLOBAL__N_18offset_tEEE10hipError_tPvRmT1_PNSt15iterator_traitsISY_E10value_typeET2_T3_PNSZ_IS14_E10value_typeET4_jRbjT5_S1A_jjP12ihipStream_tbEUljE_EEESV_SW_SX_S14_S18_S1A_T6_T7_T9_mT8_S1C_bDpT10_ENKUlT_T0_E_clISt17integral_constantIbLb0EES1P_EEDaS1K_S1L_EUlS1K_E_NS1_11comp_targetILNS1_3genE2ELNS1_11target_archE906ELNS1_3gpuE6ELNS1_3repE0EEENS1_30default_config_static_selectorELNS0_4arch9wavefront6targetE1EEEvSY_,"axG",@progbits,_ZN7rocprim17ROCPRIM_400000_NS6detail17trampoline_kernelINS0_13select_configILj256ELj13ELNS0_17block_load_methodE3ELS4_3ELS4_3ELNS0_20block_scan_algorithmE0ELj4294967295EEENS1_25partition_config_selectorILNS1_17partition_subalgoE3EjNS0_10empty_typeEbEEZZNS1_14partition_implILS8_3ELb0ES6_jNS0_17counting_iteratorIjlEEPS9_SE_NS0_5tupleIJPjSE_EEENSF_IJSE_SE_EEES9_SG_JZNS1_25segmented_radix_sort_implINS0_14default_configELb0EPKiPiPKlPlN2at6native12_GLOBAL__N_18offset_tEEE10hipError_tPvRmT1_PNSt15iterator_traitsISY_E10value_typeET2_T3_PNSZ_IS14_E10value_typeET4_jRbjT5_S1A_jjP12ihipStream_tbEUljE_EEESV_SW_SX_S14_S18_S1A_T6_T7_T9_mT8_S1C_bDpT10_ENKUlT_T0_E_clISt17integral_constantIbLb0EES1P_EEDaS1K_S1L_EUlS1K_E_NS1_11comp_targetILNS1_3genE2ELNS1_11target_archE906ELNS1_3gpuE6ELNS1_3repE0EEENS1_30default_config_static_selectorELNS0_4arch9wavefront6targetE1EEEvSY_,comdat
.Lfunc_end572:
	.size	_ZN7rocprim17ROCPRIM_400000_NS6detail17trampoline_kernelINS0_13select_configILj256ELj13ELNS0_17block_load_methodE3ELS4_3ELS4_3ELNS0_20block_scan_algorithmE0ELj4294967295EEENS1_25partition_config_selectorILNS1_17partition_subalgoE3EjNS0_10empty_typeEbEEZZNS1_14partition_implILS8_3ELb0ES6_jNS0_17counting_iteratorIjlEEPS9_SE_NS0_5tupleIJPjSE_EEENSF_IJSE_SE_EEES9_SG_JZNS1_25segmented_radix_sort_implINS0_14default_configELb0EPKiPiPKlPlN2at6native12_GLOBAL__N_18offset_tEEE10hipError_tPvRmT1_PNSt15iterator_traitsISY_E10value_typeET2_T3_PNSZ_IS14_E10value_typeET4_jRbjT5_S1A_jjP12ihipStream_tbEUljE_EEESV_SW_SX_S14_S18_S1A_T6_T7_T9_mT8_S1C_bDpT10_ENKUlT_T0_E_clISt17integral_constantIbLb0EES1P_EEDaS1K_S1L_EUlS1K_E_NS1_11comp_targetILNS1_3genE2ELNS1_11target_archE906ELNS1_3gpuE6ELNS1_3repE0EEENS1_30default_config_static_selectorELNS0_4arch9wavefront6targetE1EEEvSY_, .Lfunc_end572-_ZN7rocprim17ROCPRIM_400000_NS6detail17trampoline_kernelINS0_13select_configILj256ELj13ELNS0_17block_load_methodE3ELS4_3ELS4_3ELNS0_20block_scan_algorithmE0ELj4294967295EEENS1_25partition_config_selectorILNS1_17partition_subalgoE3EjNS0_10empty_typeEbEEZZNS1_14partition_implILS8_3ELb0ES6_jNS0_17counting_iteratorIjlEEPS9_SE_NS0_5tupleIJPjSE_EEENSF_IJSE_SE_EEES9_SG_JZNS1_25segmented_radix_sort_implINS0_14default_configELb0EPKiPiPKlPlN2at6native12_GLOBAL__N_18offset_tEEE10hipError_tPvRmT1_PNSt15iterator_traitsISY_E10value_typeET2_T3_PNSZ_IS14_E10value_typeET4_jRbjT5_S1A_jjP12ihipStream_tbEUljE_EEESV_SW_SX_S14_S18_S1A_T6_T7_T9_mT8_S1C_bDpT10_ENKUlT_T0_E_clISt17integral_constantIbLb0EES1P_EEDaS1K_S1L_EUlS1K_E_NS1_11comp_targetILNS1_3genE2ELNS1_11target_archE906ELNS1_3gpuE6ELNS1_3repE0EEENS1_30default_config_static_selectorELNS0_4arch9wavefront6targetE1EEEvSY_
                                        ; -- End function
	.section	.AMDGPU.csdata,"",@progbits
; Kernel info:
; codeLenInByte = 0
; NumSgprs: 4
; NumVgprs: 0
; NumAgprs: 0
; TotalNumVgprs: 0
; ScratchSize: 0
; MemoryBound: 0
; FloatMode: 240
; IeeeMode: 1
; LDSByteSize: 0 bytes/workgroup (compile time only)
; SGPRBlocks: 0
; VGPRBlocks: 0
; NumSGPRsForWavesPerEU: 4
; NumVGPRsForWavesPerEU: 1
; AccumOffset: 4
; Occupancy: 8
; WaveLimiterHint : 0
; COMPUTE_PGM_RSRC2:SCRATCH_EN: 0
; COMPUTE_PGM_RSRC2:USER_SGPR: 6
; COMPUTE_PGM_RSRC2:TRAP_HANDLER: 0
; COMPUTE_PGM_RSRC2:TGID_X_EN: 1
; COMPUTE_PGM_RSRC2:TGID_Y_EN: 0
; COMPUTE_PGM_RSRC2:TGID_Z_EN: 0
; COMPUTE_PGM_RSRC2:TIDIG_COMP_CNT: 0
; COMPUTE_PGM_RSRC3_GFX90A:ACCUM_OFFSET: 0
; COMPUTE_PGM_RSRC3_GFX90A:TG_SPLIT: 0
	.section	.text._ZN7rocprim17ROCPRIM_400000_NS6detail17trampoline_kernelINS0_13select_configILj256ELj13ELNS0_17block_load_methodE3ELS4_3ELS4_3ELNS0_20block_scan_algorithmE0ELj4294967295EEENS1_25partition_config_selectorILNS1_17partition_subalgoE3EjNS0_10empty_typeEbEEZZNS1_14partition_implILS8_3ELb0ES6_jNS0_17counting_iteratorIjlEEPS9_SE_NS0_5tupleIJPjSE_EEENSF_IJSE_SE_EEES9_SG_JZNS1_25segmented_radix_sort_implINS0_14default_configELb0EPKiPiPKlPlN2at6native12_GLOBAL__N_18offset_tEEE10hipError_tPvRmT1_PNSt15iterator_traitsISY_E10value_typeET2_T3_PNSZ_IS14_E10value_typeET4_jRbjT5_S1A_jjP12ihipStream_tbEUljE_EEESV_SW_SX_S14_S18_S1A_T6_T7_T9_mT8_S1C_bDpT10_ENKUlT_T0_E_clISt17integral_constantIbLb0EES1P_EEDaS1K_S1L_EUlS1K_E_NS1_11comp_targetILNS1_3genE10ELNS1_11target_archE1200ELNS1_3gpuE4ELNS1_3repE0EEENS1_30default_config_static_selectorELNS0_4arch9wavefront6targetE1EEEvSY_,"axG",@progbits,_ZN7rocprim17ROCPRIM_400000_NS6detail17trampoline_kernelINS0_13select_configILj256ELj13ELNS0_17block_load_methodE3ELS4_3ELS4_3ELNS0_20block_scan_algorithmE0ELj4294967295EEENS1_25partition_config_selectorILNS1_17partition_subalgoE3EjNS0_10empty_typeEbEEZZNS1_14partition_implILS8_3ELb0ES6_jNS0_17counting_iteratorIjlEEPS9_SE_NS0_5tupleIJPjSE_EEENSF_IJSE_SE_EEES9_SG_JZNS1_25segmented_radix_sort_implINS0_14default_configELb0EPKiPiPKlPlN2at6native12_GLOBAL__N_18offset_tEEE10hipError_tPvRmT1_PNSt15iterator_traitsISY_E10value_typeET2_T3_PNSZ_IS14_E10value_typeET4_jRbjT5_S1A_jjP12ihipStream_tbEUljE_EEESV_SW_SX_S14_S18_S1A_T6_T7_T9_mT8_S1C_bDpT10_ENKUlT_T0_E_clISt17integral_constantIbLb0EES1P_EEDaS1K_S1L_EUlS1K_E_NS1_11comp_targetILNS1_3genE10ELNS1_11target_archE1200ELNS1_3gpuE4ELNS1_3repE0EEENS1_30default_config_static_selectorELNS0_4arch9wavefront6targetE1EEEvSY_,comdat
	.globl	_ZN7rocprim17ROCPRIM_400000_NS6detail17trampoline_kernelINS0_13select_configILj256ELj13ELNS0_17block_load_methodE3ELS4_3ELS4_3ELNS0_20block_scan_algorithmE0ELj4294967295EEENS1_25partition_config_selectorILNS1_17partition_subalgoE3EjNS0_10empty_typeEbEEZZNS1_14partition_implILS8_3ELb0ES6_jNS0_17counting_iteratorIjlEEPS9_SE_NS0_5tupleIJPjSE_EEENSF_IJSE_SE_EEES9_SG_JZNS1_25segmented_radix_sort_implINS0_14default_configELb0EPKiPiPKlPlN2at6native12_GLOBAL__N_18offset_tEEE10hipError_tPvRmT1_PNSt15iterator_traitsISY_E10value_typeET2_T3_PNSZ_IS14_E10value_typeET4_jRbjT5_S1A_jjP12ihipStream_tbEUljE_EEESV_SW_SX_S14_S18_S1A_T6_T7_T9_mT8_S1C_bDpT10_ENKUlT_T0_E_clISt17integral_constantIbLb0EES1P_EEDaS1K_S1L_EUlS1K_E_NS1_11comp_targetILNS1_3genE10ELNS1_11target_archE1200ELNS1_3gpuE4ELNS1_3repE0EEENS1_30default_config_static_selectorELNS0_4arch9wavefront6targetE1EEEvSY_ ; -- Begin function _ZN7rocprim17ROCPRIM_400000_NS6detail17trampoline_kernelINS0_13select_configILj256ELj13ELNS0_17block_load_methodE3ELS4_3ELS4_3ELNS0_20block_scan_algorithmE0ELj4294967295EEENS1_25partition_config_selectorILNS1_17partition_subalgoE3EjNS0_10empty_typeEbEEZZNS1_14partition_implILS8_3ELb0ES6_jNS0_17counting_iteratorIjlEEPS9_SE_NS0_5tupleIJPjSE_EEENSF_IJSE_SE_EEES9_SG_JZNS1_25segmented_radix_sort_implINS0_14default_configELb0EPKiPiPKlPlN2at6native12_GLOBAL__N_18offset_tEEE10hipError_tPvRmT1_PNSt15iterator_traitsISY_E10value_typeET2_T3_PNSZ_IS14_E10value_typeET4_jRbjT5_S1A_jjP12ihipStream_tbEUljE_EEESV_SW_SX_S14_S18_S1A_T6_T7_T9_mT8_S1C_bDpT10_ENKUlT_T0_E_clISt17integral_constantIbLb0EES1P_EEDaS1K_S1L_EUlS1K_E_NS1_11comp_targetILNS1_3genE10ELNS1_11target_archE1200ELNS1_3gpuE4ELNS1_3repE0EEENS1_30default_config_static_selectorELNS0_4arch9wavefront6targetE1EEEvSY_
	.p2align	8
	.type	_ZN7rocprim17ROCPRIM_400000_NS6detail17trampoline_kernelINS0_13select_configILj256ELj13ELNS0_17block_load_methodE3ELS4_3ELS4_3ELNS0_20block_scan_algorithmE0ELj4294967295EEENS1_25partition_config_selectorILNS1_17partition_subalgoE3EjNS0_10empty_typeEbEEZZNS1_14partition_implILS8_3ELb0ES6_jNS0_17counting_iteratorIjlEEPS9_SE_NS0_5tupleIJPjSE_EEENSF_IJSE_SE_EEES9_SG_JZNS1_25segmented_radix_sort_implINS0_14default_configELb0EPKiPiPKlPlN2at6native12_GLOBAL__N_18offset_tEEE10hipError_tPvRmT1_PNSt15iterator_traitsISY_E10value_typeET2_T3_PNSZ_IS14_E10value_typeET4_jRbjT5_S1A_jjP12ihipStream_tbEUljE_EEESV_SW_SX_S14_S18_S1A_T6_T7_T9_mT8_S1C_bDpT10_ENKUlT_T0_E_clISt17integral_constantIbLb0EES1P_EEDaS1K_S1L_EUlS1K_E_NS1_11comp_targetILNS1_3genE10ELNS1_11target_archE1200ELNS1_3gpuE4ELNS1_3repE0EEENS1_30default_config_static_selectorELNS0_4arch9wavefront6targetE1EEEvSY_,@function
_ZN7rocprim17ROCPRIM_400000_NS6detail17trampoline_kernelINS0_13select_configILj256ELj13ELNS0_17block_load_methodE3ELS4_3ELS4_3ELNS0_20block_scan_algorithmE0ELj4294967295EEENS1_25partition_config_selectorILNS1_17partition_subalgoE3EjNS0_10empty_typeEbEEZZNS1_14partition_implILS8_3ELb0ES6_jNS0_17counting_iteratorIjlEEPS9_SE_NS0_5tupleIJPjSE_EEENSF_IJSE_SE_EEES9_SG_JZNS1_25segmented_radix_sort_implINS0_14default_configELb0EPKiPiPKlPlN2at6native12_GLOBAL__N_18offset_tEEE10hipError_tPvRmT1_PNSt15iterator_traitsISY_E10value_typeET2_T3_PNSZ_IS14_E10value_typeET4_jRbjT5_S1A_jjP12ihipStream_tbEUljE_EEESV_SW_SX_S14_S18_S1A_T6_T7_T9_mT8_S1C_bDpT10_ENKUlT_T0_E_clISt17integral_constantIbLb0EES1P_EEDaS1K_S1L_EUlS1K_E_NS1_11comp_targetILNS1_3genE10ELNS1_11target_archE1200ELNS1_3gpuE4ELNS1_3repE0EEENS1_30default_config_static_selectorELNS0_4arch9wavefront6targetE1EEEvSY_: ; @_ZN7rocprim17ROCPRIM_400000_NS6detail17trampoline_kernelINS0_13select_configILj256ELj13ELNS0_17block_load_methodE3ELS4_3ELS4_3ELNS0_20block_scan_algorithmE0ELj4294967295EEENS1_25partition_config_selectorILNS1_17partition_subalgoE3EjNS0_10empty_typeEbEEZZNS1_14partition_implILS8_3ELb0ES6_jNS0_17counting_iteratorIjlEEPS9_SE_NS0_5tupleIJPjSE_EEENSF_IJSE_SE_EEES9_SG_JZNS1_25segmented_radix_sort_implINS0_14default_configELb0EPKiPiPKlPlN2at6native12_GLOBAL__N_18offset_tEEE10hipError_tPvRmT1_PNSt15iterator_traitsISY_E10value_typeET2_T3_PNSZ_IS14_E10value_typeET4_jRbjT5_S1A_jjP12ihipStream_tbEUljE_EEESV_SW_SX_S14_S18_S1A_T6_T7_T9_mT8_S1C_bDpT10_ENKUlT_T0_E_clISt17integral_constantIbLb0EES1P_EEDaS1K_S1L_EUlS1K_E_NS1_11comp_targetILNS1_3genE10ELNS1_11target_archE1200ELNS1_3gpuE4ELNS1_3repE0EEENS1_30default_config_static_selectorELNS0_4arch9wavefront6targetE1EEEvSY_
; %bb.0:
	.section	.rodata,"a",@progbits
	.p2align	6, 0x0
	.amdhsa_kernel _ZN7rocprim17ROCPRIM_400000_NS6detail17trampoline_kernelINS0_13select_configILj256ELj13ELNS0_17block_load_methodE3ELS4_3ELS4_3ELNS0_20block_scan_algorithmE0ELj4294967295EEENS1_25partition_config_selectorILNS1_17partition_subalgoE3EjNS0_10empty_typeEbEEZZNS1_14partition_implILS8_3ELb0ES6_jNS0_17counting_iteratorIjlEEPS9_SE_NS0_5tupleIJPjSE_EEENSF_IJSE_SE_EEES9_SG_JZNS1_25segmented_radix_sort_implINS0_14default_configELb0EPKiPiPKlPlN2at6native12_GLOBAL__N_18offset_tEEE10hipError_tPvRmT1_PNSt15iterator_traitsISY_E10value_typeET2_T3_PNSZ_IS14_E10value_typeET4_jRbjT5_S1A_jjP12ihipStream_tbEUljE_EEESV_SW_SX_S14_S18_S1A_T6_T7_T9_mT8_S1C_bDpT10_ENKUlT_T0_E_clISt17integral_constantIbLb0EES1P_EEDaS1K_S1L_EUlS1K_E_NS1_11comp_targetILNS1_3genE10ELNS1_11target_archE1200ELNS1_3gpuE4ELNS1_3repE0EEENS1_30default_config_static_selectorELNS0_4arch9wavefront6targetE1EEEvSY_
		.amdhsa_group_segment_fixed_size 0
		.amdhsa_private_segment_fixed_size 0
		.amdhsa_kernarg_size 144
		.amdhsa_user_sgpr_count 6
		.amdhsa_user_sgpr_private_segment_buffer 1
		.amdhsa_user_sgpr_dispatch_ptr 0
		.amdhsa_user_sgpr_queue_ptr 0
		.amdhsa_user_sgpr_kernarg_segment_ptr 1
		.amdhsa_user_sgpr_dispatch_id 0
		.amdhsa_user_sgpr_flat_scratch_init 0
		.amdhsa_user_sgpr_kernarg_preload_length 0
		.amdhsa_user_sgpr_kernarg_preload_offset 0
		.amdhsa_user_sgpr_private_segment_size 0
		.amdhsa_uses_dynamic_stack 0
		.amdhsa_system_sgpr_private_segment_wavefront_offset 0
		.amdhsa_system_sgpr_workgroup_id_x 1
		.amdhsa_system_sgpr_workgroup_id_y 0
		.amdhsa_system_sgpr_workgroup_id_z 0
		.amdhsa_system_sgpr_workgroup_info 0
		.amdhsa_system_vgpr_workitem_id 0
		.amdhsa_next_free_vgpr 1
		.amdhsa_next_free_sgpr 0
		.amdhsa_accum_offset 4
		.amdhsa_reserve_vcc 0
		.amdhsa_reserve_flat_scratch 0
		.amdhsa_float_round_mode_32 0
		.amdhsa_float_round_mode_16_64 0
		.amdhsa_float_denorm_mode_32 3
		.amdhsa_float_denorm_mode_16_64 3
		.amdhsa_dx10_clamp 1
		.amdhsa_ieee_mode 1
		.amdhsa_fp16_overflow 0
		.amdhsa_tg_split 0
		.amdhsa_exception_fp_ieee_invalid_op 0
		.amdhsa_exception_fp_denorm_src 0
		.amdhsa_exception_fp_ieee_div_zero 0
		.amdhsa_exception_fp_ieee_overflow 0
		.amdhsa_exception_fp_ieee_underflow 0
		.amdhsa_exception_fp_ieee_inexact 0
		.amdhsa_exception_int_div_zero 0
	.end_amdhsa_kernel
	.section	.text._ZN7rocprim17ROCPRIM_400000_NS6detail17trampoline_kernelINS0_13select_configILj256ELj13ELNS0_17block_load_methodE3ELS4_3ELS4_3ELNS0_20block_scan_algorithmE0ELj4294967295EEENS1_25partition_config_selectorILNS1_17partition_subalgoE3EjNS0_10empty_typeEbEEZZNS1_14partition_implILS8_3ELb0ES6_jNS0_17counting_iteratorIjlEEPS9_SE_NS0_5tupleIJPjSE_EEENSF_IJSE_SE_EEES9_SG_JZNS1_25segmented_radix_sort_implINS0_14default_configELb0EPKiPiPKlPlN2at6native12_GLOBAL__N_18offset_tEEE10hipError_tPvRmT1_PNSt15iterator_traitsISY_E10value_typeET2_T3_PNSZ_IS14_E10value_typeET4_jRbjT5_S1A_jjP12ihipStream_tbEUljE_EEESV_SW_SX_S14_S18_S1A_T6_T7_T9_mT8_S1C_bDpT10_ENKUlT_T0_E_clISt17integral_constantIbLb0EES1P_EEDaS1K_S1L_EUlS1K_E_NS1_11comp_targetILNS1_3genE10ELNS1_11target_archE1200ELNS1_3gpuE4ELNS1_3repE0EEENS1_30default_config_static_selectorELNS0_4arch9wavefront6targetE1EEEvSY_,"axG",@progbits,_ZN7rocprim17ROCPRIM_400000_NS6detail17trampoline_kernelINS0_13select_configILj256ELj13ELNS0_17block_load_methodE3ELS4_3ELS4_3ELNS0_20block_scan_algorithmE0ELj4294967295EEENS1_25partition_config_selectorILNS1_17partition_subalgoE3EjNS0_10empty_typeEbEEZZNS1_14partition_implILS8_3ELb0ES6_jNS0_17counting_iteratorIjlEEPS9_SE_NS0_5tupleIJPjSE_EEENSF_IJSE_SE_EEES9_SG_JZNS1_25segmented_radix_sort_implINS0_14default_configELb0EPKiPiPKlPlN2at6native12_GLOBAL__N_18offset_tEEE10hipError_tPvRmT1_PNSt15iterator_traitsISY_E10value_typeET2_T3_PNSZ_IS14_E10value_typeET4_jRbjT5_S1A_jjP12ihipStream_tbEUljE_EEESV_SW_SX_S14_S18_S1A_T6_T7_T9_mT8_S1C_bDpT10_ENKUlT_T0_E_clISt17integral_constantIbLb0EES1P_EEDaS1K_S1L_EUlS1K_E_NS1_11comp_targetILNS1_3genE10ELNS1_11target_archE1200ELNS1_3gpuE4ELNS1_3repE0EEENS1_30default_config_static_selectorELNS0_4arch9wavefront6targetE1EEEvSY_,comdat
.Lfunc_end573:
	.size	_ZN7rocprim17ROCPRIM_400000_NS6detail17trampoline_kernelINS0_13select_configILj256ELj13ELNS0_17block_load_methodE3ELS4_3ELS4_3ELNS0_20block_scan_algorithmE0ELj4294967295EEENS1_25partition_config_selectorILNS1_17partition_subalgoE3EjNS0_10empty_typeEbEEZZNS1_14partition_implILS8_3ELb0ES6_jNS0_17counting_iteratorIjlEEPS9_SE_NS0_5tupleIJPjSE_EEENSF_IJSE_SE_EEES9_SG_JZNS1_25segmented_radix_sort_implINS0_14default_configELb0EPKiPiPKlPlN2at6native12_GLOBAL__N_18offset_tEEE10hipError_tPvRmT1_PNSt15iterator_traitsISY_E10value_typeET2_T3_PNSZ_IS14_E10value_typeET4_jRbjT5_S1A_jjP12ihipStream_tbEUljE_EEESV_SW_SX_S14_S18_S1A_T6_T7_T9_mT8_S1C_bDpT10_ENKUlT_T0_E_clISt17integral_constantIbLb0EES1P_EEDaS1K_S1L_EUlS1K_E_NS1_11comp_targetILNS1_3genE10ELNS1_11target_archE1200ELNS1_3gpuE4ELNS1_3repE0EEENS1_30default_config_static_selectorELNS0_4arch9wavefront6targetE1EEEvSY_, .Lfunc_end573-_ZN7rocprim17ROCPRIM_400000_NS6detail17trampoline_kernelINS0_13select_configILj256ELj13ELNS0_17block_load_methodE3ELS4_3ELS4_3ELNS0_20block_scan_algorithmE0ELj4294967295EEENS1_25partition_config_selectorILNS1_17partition_subalgoE3EjNS0_10empty_typeEbEEZZNS1_14partition_implILS8_3ELb0ES6_jNS0_17counting_iteratorIjlEEPS9_SE_NS0_5tupleIJPjSE_EEENSF_IJSE_SE_EEES9_SG_JZNS1_25segmented_radix_sort_implINS0_14default_configELb0EPKiPiPKlPlN2at6native12_GLOBAL__N_18offset_tEEE10hipError_tPvRmT1_PNSt15iterator_traitsISY_E10value_typeET2_T3_PNSZ_IS14_E10value_typeET4_jRbjT5_S1A_jjP12ihipStream_tbEUljE_EEESV_SW_SX_S14_S18_S1A_T6_T7_T9_mT8_S1C_bDpT10_ENKUlT_T0_E_clISt17integral_constantIbLb0EES1P_EEDaS1K_S1L_EUlS1K_E_NS1_11comp_targetILNS1_3genE10ELNS1_11target_archE1200ELNS1_3gpuE4ELNS1_3repE0EEENS1_30default_config_static_selectorELNS0_4arch9wavefront6targetE1EEEvSY_
                                        ; -- End function
	.section	.AMDGPU.csdata,"",@progbits
; Kernel info:
; codeLenInByte = 0
; NumSgprs: 4
; NumVgprs: 0
; NumAgprs: 0
; TotalNumVgprs: 0
; ScratchSize: 0
; MemoryBound: 0
; FloatMode: 240
; IeeeMode: 1
; LDSByteSize: 0 bytes/workgroup (compile time only)
; SGPRBlocks: 0
; VGPRBlocks: 0
; NumSGPRsForWavesPerEU: 4
; NumVGPRsForWavesPerEU: 1
; AccumOffset: 4
; Occupancy: 8
; WaveLimiterHint : 0
; COMPUTE_PGM_RSRC2:SCRATCH_EN: 0
; COMPUTE_PGM_RSRC2:USER_SGPR: 6
; COMPUTE_PGM_RSRC2:TRAP_HANDLER: 0
; COMPUTE_PGM_RSRC2:TGID_X_EN: 1
; COMPUTE_PGM_RSRC2:TGID_Y_EN: 0
; COMPUTE_PGM_RSRC2:TGID_Z_EN: 0
; COMPUTE_PGM_RSRC2:TIDIG_COMP_CNT: 0
; COMPUTE_PGM_RSRC3_GFX90A:ACCUM_OFFSET: 0
; COMPUTE_PGM_RSRC3_GFX90A:TG_SPLIT: 0
	.section	.text._ZN7rocprim17ROCPRIM_400000_NS6detail17trampoline_kernelINS0_13select_configILj256ELj13ELNS0_17block_load_methodE3ELS4_3ELS4_3ELNS0_20block_scan_algorithmE0ELj4294967295EEENS1_25partition_config_selectorILNS1_17partition_subalgoE3EjNS0_10empty_typeEbEEZZNS1_14partition_implILS8_3ELb0ES6_jNS0_17counting_iteratorIjlEEPS9_SE_NS0_5tupleIJPjSE_EEENSF_IJSE_SE_EEES9_SG_JZNS1_25segmented_radix_sort_implINS0_14default_configELb0EPKiPiPKlPlN2at6native12_GLOBAL__N_18offset_tEEE10hipError_tPvRmT1_PNSt15iterator_traitsISY_E10value_typeET2_T3_PNSZ_IS14_E10value_typeET4_jRbjT5_S1A_jjP12ihipStream_tbEUljE_EEESV_SW_SX_S14_S18_S1A_T6_T7_T9_mT8_S1C_bDpT10_ENKUlT_T0_E_clISt17integral_constantIbLb0EES1P_EEDaS1K_S1L_EUlS1K_E_NS1_11comp_targetILNS1_3genE9ELNS1_11target_archE1100ELNS1_3gpuE3ELNS1_3repE0EEENS1_30default_config_static_selectorELNS0_4arch9wavefront6targetE1EEEvSY_,"axG",@progbits,_ZN7rocprim17ROCPRIM_400000_NS6detail17trampoline_kernelINS0_13select_configILj256ELj13ELNS0_17block_load_methodE3ELS4_3ELS4_3ELNS0_20block_scan_algorithmE0ELj4294967295EEENS1_25partition_config_selectorILNS1_17partition_subalgoE3EjNS0_10empty_typeEbEEZZNS1_14partition_implILS8_3ELb0ES6_jNS0_17counting_iteratorIjlEEPS9_SE_NS0_5tupleIJPjSE_EEENSF_IJSE_SE_EEES9_SG_JZNS1_25segmented_radix_sort_implINS0_14default_configELb0EPKiPiPKlPlN2at6native12_GLOBAL__N_18offset_tEEE10hipError_tPvRmT1_PNSt15iterator_traitsISY_E10value_typeET2_T3_PNSZ_IS14_E10value_typeET4_jRbjT5_S1A_jjP12ihipStream_tbEUljE_EEESV_SW_SX_S14_S18_S1A_T6_T7_T9_mT8_S1C_bDpT10_ENKUlT_T0_E_clISt17integral_constantIbLb0EES1P_EEDaS1K_S1L_EUlS1K_E_NS1_11comp_targetILNS1_3genE9ELNS1_11target_archE1100ELNS1_3gpuE3ELNS1_3repE0EEENS1_30default_config_static_selectorELNS0_4arch9wavefront6targetE1EEEvSY_,comdat
	.globl	_ZN7rocprim17ROCPRIM_400000_NS6detail17trampoline_kernelINS0_13select_configILj256ELj13ELNS0_17block_load_methodE3ELS4_3ELS4_3ELNS0_20block_scan_algorithmE0ELj4294967295EEENS1_25partition_config_selectorILNS1_17partition_subalgoE3EjNS0_10empty_typeEbEEZZNS1_14partition_implILS8_3ELb0ES6_jNS0_17counting_iteratorIjlEEPS9_SE_NS0_5tupleIJPjSE_EEENSF_IJSE_SE_EEES9_SG_JZNS1_25segmented_radix_sort_implINS0_14default_configELb0EPKiPiPKlPlN2at6native12_GLOBAL__N_18offset_tEEE10hipError_tPvRmT1_PNSt15iterator_traitsISY_E10value_typeET2_T3_PNSZ_IS14_E10value_typeET4_jRbjT5_S1A_jjP12ihipStream_tbEUljE_EEESV_SW_SX_S14_S18_S1A_T6_T7_T9_mT8_S1C_bDpT10_ENKUlT_T0_E_clISt17integral_constantIbLb0EES1P_EEDaS1K_S1L_EUlS1K_E_NS1_11comp_targetILNS1_3genE9ELNS1_11target_archE1100ELNS1_3gpuE3ELNS1_3repE0EEENS1_30default_config_static_selectorELNS0_4arch9wavefront6targetE1EEEvSY_ ; -- Begin function _ZN7rocprim17ROCPRIM_400000_NS6detail17trampoline_kernelINS0_13select_configILj256ELj13ELNS0_17block_load_methodE3ELS4_3ELS4_3ELNS0_20block_scan_algorithmE0ELj4294967295EEENS1_25partition_config_selectorILNS1_17partition_subalgoE3EjNS0_10empty_typeEbEEZZNS1_14partition_implILS8_3ELb0ES6_jNS0_17counting_iteratorIjlEEPS9_SE_NS0_5tupleIJPjSE_EEENSF_IJSE_SE_EEES9_SG_JZNS1_25segmented_radix_sort_implINS0_14default_configELb0EPKiPiPKlPlN2at6native12_GLOBAL__N_18offset_tEEE10hipError_tPvRmT1_PNSt15iterator_traitsISY_E10value_typeET2_T3_PNSZ_IS14_E10value_typeET4_jRbjT5_S1A_jjP12ihipStream_tbEUljE_EEESV_SW_SX_S14_S18_S1A_T6_T7_T9_mT8_S1C_bDpT10_ENKUlT_T0_E_clISt17integral_constantIbLb0EES1P_EEDaS1K_S1L_EUlS1K_E_NS1_11comp_targetILNS1_3genE9ELNS1_11target_archE1100ELNS1_3gpuE3ELNS1_3repE0EEENS1_30default_config_static_selectorELNS0_4arch9wavefront6targetE1EEEvSY_
	.p2align	8
	.type	_ZN7rocprim17ROCPRIM_400000_NS6detail17trampoline_kernelINS0_13select_configILj256ELj13ELNS0_17block_load_methodE3ELS4_3ELS4_3ELNS0_20block_scan_algorithmE0ELj4294967295EEENS1_25partition_config_selectorILNS1_17partition_subalgoE3EjNS0_10empty_typeEbEEZZNS1_14partition_implILS8_3ELb0ES6_jNS0_17counting_iteratorIjlEEPS9_SE_NS0_5tupleIJPjSE_EEENSF_IJSE_SE_EEES9_SG_JZNS1_25segmented_radix_sort_implINS0_14default_configELb0EPKiPiPKlPlN2at6native12_GLOBAL__N_18offset_tEEE10hipError_tPvRmT1_PNSt15iterator_traitsISY_E10value_typeET2_T3_PNSZ_IS14_E10value_typeET4_jRbjT5_S1A_jjP12ihipStream_tbEUljE_EEESV_SW_SX_S14_S18_S1A_T6_T7_T9_mT8_S1C_bDpT10_ENKUlT_T0_E_clISt17integral_constantIbLb0EES1P_EEDaS1K_S1L_EUlS1K_E_NS1_11comp_targetILNS1_3genE9ELNS1_11target_archE1100ELNS1_3gpuE3ELNS1_3repE0EEENS1_30default_config_static_selectorELNS0_4arch9wavefront6targetE1EEEvSY_,@function
_ZN7rocprim17ROCPRIM_400000_NS6detail17trampoline_kernelINS0_13select_configILj256ELj13ELNS0_17block_load_methodE3ELS4_3ELS4_3ELNS0_20block_scan_algorithmE0ELj4294967295EEENS1_25partition_config_selectorILNS1_17partition_subalgoE3EjNS0_10empty_typeEbEEZZNS1_14partition_implILS8_3ELb0ES6_jNS0_17counting_iteratorIjlEEPS9_SE_NS0_5tupleIJPjSE_EEENSF_IJSE_SE_EEES9_SG_JZNS1_25segmented_radix_sort_implINS0_14default_configELb0EPKiPiPKlPlN2at6native12_GLOBAL__N_18offset_tEEE10hipError_tPvRmT1_PNSt15iterator_traitsISY_E10value_typeET2_T3_PNSZ_IS14_E10value_typeET4_jRbjT5_S1A_jjP12ihipStream_tbEUljE_EEESV_SW_SX_S14_S18_S1A_T6_T7_T9_mT8_S1C_bDpT10_ENKUlT_T0_E_clISt17integral_constantIbLb0EES1P_EEDaS1K_S1L_EUlS1K_E_NS1_11comp_targetILNS1_3genE9ELNS1_11target_archE1100ELNS1_3gpuE3ELNS1_3repE0EEENS1_30default_config_static_selectorELNS0_4arch9wavefront6targetE1EEEvSY_: ; @_ZN7rocprim17ROCPRIM_400000_NS6detail17trampoline_kernelINS0_13select_configILj256ELj13ELNS0_17block_load_methodE3ELS4_3ELS4_3ELNS0_20block_scan_algorithmE0ELj4294967295EEENS1_25partition_config_selectorILNS1_17partition_subalgoE3EjNS0_10empty_typeEbEEZZNS1_14partition_implILS8_3ELb0ES6_jNS0_17counting_iteratorIjlEEPS9_SE_NS0_5tupleIJPjSE_EEENSF_IJSE_SE_EEES9_SG_JZNS1_25segmented_radix_sort_implINS0_14default_configELb0EPKiPiPKlPlN2at6native12_GLOBAL__N_18offset_tEEE10hipError_tPvRmT1_PNSt15iterator_traitsISY_E10value_typeET2_T3_PNSZ_IS14_E10value_typeET4_jRbjT5_S1A_jjP12ihipStream_tbEUljE_EEESV_SW_SX_S14_S18_S1A_T6_T7_T9_mT8_S1C_bDpT10_ENKUlT_T0_E_clISt17integral_constantIbLb0EES1P_EEDaS1K_S1L_EUlS1K_E_NS1_11comp_targetILNS1_3genE9ELNS1_11target_archE1100ELNS1_3gpuE3ELNS1_3repE0EEENS1_30default_config_static_selectorELNS0_4arch9wavefront6targetE1EEEvSY_
; %bb.0:
	.section	.rodata,"a",@progbits
	.p2align	6, 0x0
	.amdhsa_kernel _ZN7rocprim17ROCPRIM_400000_NS6detail17trampoline_kernelINS0_13select_configILj256ELj13ELNS0_17block_load_methodE3ELS4_3ELS4_3ELNS0_20block_scan_algorithmE0ELj4294967295EEENS1_25partition_config_selectorILNS1_17partition_subalgoE3EjNS0_10empty_typeEbEEZZNS1_14partition_implILS8_3ELb0ES6_jNS0_17counting_iteratorIjlEEPS9_SE_NS0_5tupleIJPjSE_EEENSF_IJSE_SE_EEES9_SG_JZNS1_25segmented_radix_sort_implINS0_14default_configELb0EPKiPiPKlPlN2at6native12_GLOBAL__N_18offset_tEEE10hipError_tPvRmT1_PNSt15iterator_traitsISY_E10value_typeET2_T3_PNSZ_IS14_E10value_typeET4_jRbjT5_S1A_jjP12ihipStream_tbEUljE_EEESV_SW_SX_S14_S18_S1A_T6_T7_T9_mT8_S1C_bDpT10_ENKUlT_T0_E_clISt17integral_constantIbLb0EES1P_EEDaS1K_S1L_EUlS1K_E_NS1_11comp_targetILNS1_3genE9ELNS1_11target_archE1100ELNS1_3gpuE3ELNS1_3repE0EEENS1_30default_config_static_selectorELNS0_4arch9wavefront6targetE1EEEvSY_
		.amdhsa_group_segment_fixed_size 0
		.amdhsa_private_segment_fixed_size 0
		.amdhsa_kernarg_size 144
		.amdhsa_user_sgpr_count 6
		.amdhsa_user_sgpr_private_segment_buffer 1
		.amdhsa_user_sgpr_dispatch_ptr 0
		.amdhsa_user_sgpr_queue_ptr 0
		.amdhsa_user_sgpr_kernarg_segment_ptr 1
		.amdhsa_user_sgpr_dispatch_id 0
		.amdhsa_user_sgpr_flat_scratch_init 0
		.amdhsa_user_sgpr_kernarg_preload_length 0
		.amdhsa_user_sgpr_kernarg_preload_offset 0
		.amdhsa_user_sgpr_private_segment_size 0
		.amdhsa_uses_dynamic_stack 0
		.amdhsa_system_sgpr_private_segment_wavefront_offset 0
		.amdhsa_system_sgpr_workgroup_id_x 1
		.amdhsa_system_sgpr_workgroup_id_y 0
		.amdhsa_system_sgpr_workgroup_id_z 0
		.amdhsa_system_sgpr_workgroup_info 0
		.amdhsa_system_vgpr_workitem_id 0
		.amdhsa_next_free_vgpr 1
		.amdhsa_next_free_sgpr 0
		.amdhsa_accum_offset 4
		.amdhsa_reserve_vcc 0
		.amdhsa_reserve_flat_scratch 0
		.amdhsa_float_round_mode_32 0
		.amdhsa_float_round_mode_16_64 0
		.amdhsa_float_denorm_mode_32 3
		.amdhsa_float_denorm_mode_16_64 3
		.amdhsa_dx10_clamp 1
		.amdhsa_ieee_mode 1
		.amdhsa_fp16_overflow 0
		.amdhsa_tg_split 0
		.amdhsa_exception_fp_ieee_invalid_op 0
		.amdhsa_exception_fp_denorm_src 0
		.amdhsa_exception_fp_ieee_div_zero 0
		.amdhsa_exception_fp_ieee_overflow 0
		.amdhsa_exception_fp_ieee_underflow 0
		.amdhsa_exception_fp_ieee_inexact 0
		.amdhsa_exception_int_div_zero 0
	.end_amdhsa_kernel
	.section	.text._ZN7rocprim17ROCPRIM_400000_NS6detail17trampoline_kernelINS0_13select_configILj256ELj13ELNS0_17block_load_methodE3ELS4_3ELS4_3ELNS0_20block_scan_algorithmE0ELj4294967295EEENS1_25partition_config_selectorILNS1_17partition_subalgoE3EjNS0_10empty_typeEbEEZZNS1_14partition_implILS8_3ELb0ES6_jNS0_17counting_iteratorIjlEEPS9_SE_NS0_5tupleIJPjSE_EEENSF_IJSE_SE_EEES9_SG_JZNS1_25segmented_radix_sort_implINS0_14default_configELb0EPKiPiPKlPlN2at6native12_GLOBAL__N_18offset_tEEE10hipError_tPvRmT1_PNSt15iterator_traitsISY_E10value_typeET2_T3_PNSZ_IS14_E10value_typeET4_jRbjT5_S1A_jjP12ihipStream_tbEUljE_EEESV_SW_SX_S14_S18_S1A_T6_T7_T9_mT8_S1C_bDpT10_ENKUlT_T0_E_clISt17integral_constantIbLb0EES1P_EEDaS1K_S1L_EUlS1K_E_NS1_11comp_targetILNS1_3genE9ELNS1_11target_archE1100ELNS1_3gpuE3ELNS1_3repE0EEENS1_30default_config_static_selectorELNS0_4arch9wavefront6targetE1EEEvSY_,"axG",@progbits,_ZN7rocprim17ROCPRIM_400000_NS6detail17trampoline_kernelINS0_13select_configILj256ELj13ELNS0_17block_load_methodE3ELS4_3ELS4_3ELNS0_20block_scan_algorithmE0ELj4294967295EEENS1_25partition_config_selectorILNS1_17partition_subalgoE3EjNS0_10empty_typeEbEEZZNS1_14partition_implILS8_3ELb0ES6_jNS0_17counting_iteratorIjlEEPS9_SE_NS0_5tupleIJPjSE_EEENSF_IJSE_SE_EEES9_SG_JZNS1_25segmented_radix_sort_implINS0_14default_configELb0EPKiPiPKlPlN2at6native12_GLOBAL__N_18offset_tEEE10hipError_tPvRmT1_PNSt15iterator_traitsISY_E10value_typeET2_T3_PNSZ_IS14_E10value_typeET4_jRbjT5_S1A_jjP12ihipStream_tbEUljE_EEESV_SW_SX_S14_S18_S1A_T6_T7_T9_mT8_S1C_bDpT10_ENKUlT_T0_E_clISt17integral_constantIbLb0EES1P_EEDaS1K_S1L_EUlS1K_E_NS1_11comp_targetILNS1_3genE9ELNS1_11target_archE1100ELNS1_3gpuE3ELNS1_3repE0EEENS1_30default_config_static_selectorELNS0_4arch9wavefront6targetE1EEEvSY_,comdat
.Lfunc_end574:
	.size	_ZN7rocprim17ROCPRIM_400000_NS6detail17trampoline_kernelINS0_13select_configILj256ELj13ELNS0_17block_load_methodE3ELS4_3ELS4_3ELNS0_20block_scan_algorithmE0ELj4294967295EEENS1_25partition_config_selectorILNS1_17partition_subalgoE3EjNS0_10empty_typeEbEEZZNS1_14partition_implILS8_3ELb0ES6_jNS0_17counting_iteratorIjlEEPS9_SE_NS0_5tupleIJPjSE_EEENSF_IJSE_SE_EEES9_SG_JZNS1_25segmented_radix_sort_implINS0_14default_configELb0EPKiPiPKlPlN2at6native12_GLOBAL__N_18offset_tEEE10hipError_tPvRmT1_PNSt15iterator_traitsISY_E10value_typeET2_T3_PNSZ_IS14_E10value_typeET4_jRbjT5_S1A_jjP12ihipStream_tbEUljE_EEESV_SW_SX_S14_S18_S1A_T6_T7_T9_mT8_S1C_bDpT10_ENKUlT_T0_E_clISt17integral_constantIbLb0EES1P_EEDaS1K_S1L_EUlS1K_E_NS1_11comp_targetILNS1_3genE9ELNS1_11target_archE1100ELNS1_3gpuE3ELNS1_3repE0EEENS1_30default_config_static_selectorELNS0_4arch9wavefront6targetE1EEEvSY_, .Lfunc_end574-_ZN7rocprim17ROCPRIM_400000_NS6detail17trampoline_kernelINS0_13select_configILj256ELj13ELNS0_17block_load_methodE3ELS4_3ELS4_3ELNS0_20block_scan_algorithmE0ELj4294967295EEENS1_25partition_config_selectorILNS1_17partition_subalgoE3EjNS0_10empty_typeEbEEZZNS1_14partition_implILS8_3ELb0ES6_jNS0_17counting_iteratorIjlEEPS9_SE_NS0_5tupleIJPjSE_EEENSF_IJSE_SE_EEES9_SG_JZNS1_25segmented_radix_sort_implINS0_14default_configELb0EPKiPiPKlPlN2at6native12_GLOBAL__N_18offset_tEEE10hipError_tPvRmT1_PNSt15iterator_traitsISY_E10value_typeET2_T3_PNSZ_IS14_E10value_typeET4_jRbjT5_S1A_jjP12ihipStream_tbEUljE_EEESV_SW_SX_S14_S18_S1A_T6_T7_T9_mT8_S1C_bDpT10_ENKUlT_T0_E_clISt17integral_constantIbLb0EES1P_EEDaS1K_S1L_EUlS1K_E_NS1_11comp_targetILNS1_3genE9ELNS1_11target_archE1100ELNS1_3gpuE3ELNS1_3repE0EEENS1_30default_config_static_selectorELNS0_4arch9wavefront6targetE1EEEvSY_
                                        ; -- End function
	.section	.AMDGPU.csdata,"",@progbits
; Kernel info:
; codeLenInByte = 0
; NumSgprs: 4
; NumVgprs: 0
; NumAgprs: 0
; TotalNumVgprs: 0
; ScratchSize: 0
; MemoryBound: 0
; FloatMode: 240
; IeeeMode: 1
; LDSByteSize: 0 bytes/workgroup (compile time only)
; SGPRBlocks: 0
; VGPRBlocks: 0
; NumSGPRsForWavesPerEU: 4
; NumVGPRsForWavesPerEU: 1
; AccumOffset: 4
; Occupancy: 8
; WaveLimiterHint : 0
; COMPUTE_PGM_RSRC2:SCRATCH_EN: 0
; COMPUTE_PGM_RSRC2:USER_SGPR: 6
; COMPUTE_PGM_RSRC2:TRAP_HANDLER: 0
; COMPUTE_PGM_RSRC2:TGID_X_EN: 1
; COMPUTE_PGM_RSRC2:TGID_Y_EN: 0
; COMPUTE_PGM_RSRC2:TGID_Z_EN: 0
; COMPUTE_PGM_RSRC2:TIDIG_COMP_CNT: 0
; COMPUTE_PGM_RSRC3_GFX90A:ACCUM_OFFSET: 0
; COMPUTE_PGM_RSRC3_GFX90A:TG_SPLIT: 0
	.section	.text._ZN7rocprim17ROCPRIM_400000_NS6detail17trampoline_kernelINS0_13select_configILj256ELj13ELNS0_17block_load_methodE3ELS4_3ELS4_3ELNS0_20block_scan_algorithmE0ELj4294967295EEENS1_25partition_config_selectorILNS1_17partition_subalgoE3EjNS0_10empty_typeEbEEZZNS1_14partition_implILS8_3ELb0ES6_jNS0_17counting_iteratorIjlEEPS9_SE_NS0_5tupleIJPjSE_EEENSF_IJSE_SE_EEES9_SG_JZNS1_25segmented_radix_sort_implINS0_14default_configELb0EPKiPiPKlPlN2at6native12_GLOBAL__N_18offset_tEEE10hipError_tPvRmT1_PNSt15iterator_traitsISY_E10value_typeET2_T3_PNSZ_IS14_E10value_typeET4_jRbjT5_S1A_jjP12ihipStream_tbEUljE_EEESV_SW_SX_S14_S18_S1A_T6_T7_T9_mT8_S1C_bDpT10_ENKUlT_T0_E_clISt17integral_constantIbLb0EES1P_EEDaS1K_S1L_EUlS1K_E_NS1_11comp_targetILNS1_3genE8ELNS1_11target_archE1030ELNS1_3gpuE2ELNS1_3repE0EEENS1_30default_config_static_selectorELNS0_4arch9wavefront6targetE1EEEvSY_,"axG",@progbits,_ZN7rocprim17ROCPRIM_400000_NS6detail17trampoline_kernelINS0_13select_configILj256ELj13ELNS0_17block_load_methodE3ELS4_3ELS4_3ELNS0_20block_scan_algorithmE0ELj4294967295EEENS1_25partition_config_selectorILNS1_17partition_subalgoE3EjNS0_10empty_typeEbEEZZNS1_14partition_implILS8_3ELb0ES6_jNS0_17counting_iteratorIjlEEPS9_SE_NS0_5tupleIJPjSE_EEENSF_IJSE_SE_EEES9_SG_JZNS1_25segmented_radix_sort_implINS0_14default_configELb0EPKiPiPKlPlN2at6native12_GLOBAL__N_18offset_tEEE10hipError_tPvRmT1_PNSt15iterator_traitsISY_E10value_typeET2_T3_PNSZ_IS14_E10value_typeET4_jRbjT5_S1A_jjP12ihipStream_tbEUljE_EEESV_SW_SX_S14_S18_S1A_T6_T7_T9_mT8_S1C_bDpT10_ENKUlT_T0_E_clISt17integral_constantIbLb0EES1P_EEDaS1K_S1L_EUlS1K_E_NS1_11comp_targetILNS1_3genE8ELNS1_11target_archE1030ELNS1_3gpuE2ELNS1_3repE0EEENS1_30default_config_static_selectorELNS0_4arch9wavefront6targetE1EEEvSY_,comdat
	.globl	_ZN7rocprim17ROCPRIM_400000_NS6detail17trampoline_kernelINS0_13select_configILj256ELj13ELNS0_17block_load_methodE3ELS4_3ELS4_3ELNS0_20block_scan_algorithmE0ELj4294967295EEENS1_25partition_config_selectorILNS1_17partition_subalgoE3EjNS0_10empty_typeEbEEZZNS1_14partition_implILS8_3ELb0ES6_jNS0_17counting_iteratorIjlEEPS9_SE_NS0_5tupleIJPjSE_EEENSF_IJSE_SE_EEES9_SG_JZNS1_25segmented_radix_sort_implINS0_14default_configELb0EPKiPiPKlPlN2at6native12_GLOBAL__N_18offset_tEEE10hipError_tPvRmT1_PNSt15iterator_traitsISY_E10value_typeET2_T3_PNSZ_IS14_E10value_typeET4_jRbjT5_S1A_jjP12ihipStream_tbEUljE_EEESV_SW_SX_S14_S18_S1A_T6_T7_T9_mT8_S1C_bDpT10_ENKUlT_T0_E_clISt17integral_constantIbLb0EES1P_EEDaS1K_S1L_EUlS1K_E_NS1_11comp_targetILNS1_3genE8ELNS1_11target_archE1030ELNS1_3gpuE2ELNS1_3repE0EEENS1_30default_config_static_selectorELNS0_4arch9wavefront6targetE1EEEvSY_ ; -- Begin function _ZN7rocprim17ROCPRIM_400000_NS6detail17trampoline_kernelINS0_13select_configILj256ELj13ELNS0_17block_load_methodE3ELS4_3ELS4_3ELNS0_20block_scan_algorithmE0ELj4294967295EEENS1_25partition_config_selectorILNS1_17partition_subalgoE3EjNS0_10empty_typeEbEEZZNS1_14partition_implILS8_3ELb0ES6_jNS0_17counting_iteratorIjlEEPS9_SE_NS0_5tupleIJPjSE_EEENSF_IJSE_SE_EEES9_SG_JZNS1_25segmented_radix_sort_implINS0_14default_configELb0EPKiPiPKlPlN2at6native12_GLOBAL__N_18offset_tEEE10hipError_tPvRmT1_PNSt15iterator_traitsISY_E10value_typeET2_T3_PNSZ_IS14_E10value_typeET4_jRbjT5_S1A_jjP12ihipStream_tbEUljE_EEESV_SW_SX_S14_S18_S1A_T6_T7_T9_mT8_S1C_bDpT10_ENKUlT_T0_E_clISt17integral_constantIbLb0EES1P_EEDaS1K_S1L_EUlS1K_E_NS1_11comp_targetILNS1_3genE8ELNS1_11target_archE1030ELNS1_3gpuE2ELNS1_3repE0EEENS1_30default_config_static_selectorELNS0_4arch9wavefront6targetE1EEEvSY_
	.p2align	8
	.type	_ZN7rocprim17ROCPRIM_400000_NS6detail17trampoline_kernelINS0_13select_configILj256ELj13ELNS0_17block_load_methodE3ELS4_3ELS4_3ELNS0_20block_scan_algorithmE0ELj4294967295EEENS1_25partition_config_selectorILNS1_17partition_subalgoE3EjNS0_10empty_typeEbEEZZNS1_14partition_implILS8_3ELb0ES6_jNS0_17counting_iteratorIjlEEPS9_SE_NS0_5tupleIJPjSE_EEENSF_IJSE_SE_EEES9_SG_JZNS1_25segmented_radix_sort_implINS0_14default_configELb0EPKiPiPKlPlN2at6native12_GLOBAL__N_18offset_tEEE10hipError_tPvRmT1_PNSt15iterator_traitsISY_E10value_typeET2_T3_PNSZ_IS14_E10value_typeET4_jRbjT5_S1A_jjP12ihipStream_tbEUljE_EEESV_SW_SX_S14_S18_S1A_T6_T7_T9_mT8_S1C_bDpT10_ENKUlT_T0_E_clISt17integral_constantIbLb0EES1P_EEDaS1K_S1L_EUlS1K_E_NS1_11comp_targetILNS1_3genE8ELNS1_11target_archE1030ELNS1_3gpuE2ELNS1_3repE0EEENS1_30default_config_static_selectorELNS0_4arch9wavefront6targetE1EEEvSY_,@function
_ZN7rocprim17ROCPRIM_400000_NS6detail17trampoline_kernelINS0_13select_configILj256ELj13ELNS0_17block_load_methodE3ELS4_3ELS4_3ELNS0_20block_scan_algorithmE0ELj4294967295EEENS1_25partition_config_selectorILNS1_17partition_subalgoE3EjNS0_10empty_typeEbEEZZNS1_14partition_implILS8_3ELb0ES6_jNS0_17counting_iteratorIjlEEPS9_SE_NS0_5tupleIJPjSE_EEENSF_IJSE_SE_EEES9_SG_JZNS1_25segmented_radix_sort_implINS0_14default_configELb0EPKiPiPKlPlN2at6native12_GLOBAL__N_18offset_tEEE10hipError_tPvRmT1_PNSt15iterator_traitsISY_E10value_typeET2_T3_PNSZ_IS14_E10value_typeET4_jRbjT5_S1A_jjP12ihipStream_tbEUljE_EEESV_SW_SX_S14_S18_S1A_T6_T7_T9_mT8_S1C_bDpT10_ENKUlT_T0_E_clISt17integral_constantIbLb0EES1P_EEDaS1K_S1L_EUlS1K_E_NS1_11comp_targetILNS1_3genE8ELNS1_11target_archE1030ELNS1_3gpuE2ELNS1_3repE0EEENS1_30default_config_static_selectorELNS0_4arch9wavefront6targetE1EEEvSY_: ; @_ZN7rocprim17ROCPRIM_400000_NS6detail17trampoline_kernelINS0_13select_configILj256ELj13ELNS0_17block_load_methodE3ELS4_3ELS4_3ELNS0_20block_scan_algorithmE0ELj4294967295EEENS1_25partition_config_selectorILNS1_17partition_subalgoE3EjNS0_10empty_typeEbEEZZNS1_14partition_implILS8_3ELb0ES6_jNS0_17counting_iteratorIjlEEPS9_SE_NS0_5tupleIJPjSE_EEENSF_IJSE_SE_EEES9_SG_JZNS1_25segmented_radix_sort_implINS0_14default_configELb0EPKiPiPKlPlN2at6native12_GLOBAL__N_18offset_tEEE10hipError_tPvRmT1_PNSt15iterator_traitsISY_E10value_typeET2_T3_PNSZ_IS14_E10value_typeET4_jRbjT5_S1A_jjP12ihipStream_tbEUljE_EEESV_SW_SX_S14_S18_S1A_T6_T7_T9_mT8_S1C_bDpT10_ENKUlT_T0_E_clISt17integral_constantIbLb0EES1P_EEDaS1K_S1L_EUlS1K_E_NS1_11comp_targetILNS1_3genE8ELNS1_11target_archE1030ELNS1_3gpuE2ELNS1_3repE0EEENS1_30default_config_static_selectorELNS0_4arch9wavefront6targetE1EEEvSY_
; %bb.0:
	.section	.rodata,"a",@progbits
	.p2align	6, 0x0
	.amdhsa_kernel _ZN7rocprim17ROCPRIM_400000_NS6detail17trampoline_kernelINS0_13select_configILj256ELj13ELNS0_17block_load_methodE3ELS4_3ELS4_3ELNS0_20block_scan_algorithmE0ELj4294967295EEENS1_25partition_config_selectorILNS1_17partition_subalgoE3EjNS0_10empty_typeEbEEZZNS1_14partition_implILS8_3ELb0ES6_jNS0_17counting_iteratorIjlEEPS9_SE_NS0_5tupleIJPjSE_EEENSF_IJSE_SE_EEES9_SG_JZNS1_25segmented_radix_sort_implINS0_14default_configELb0EPKiPiPKlPlN2at6native12_GLOBAL__N_18offset_tEEE10hipError_tPvRmT1_PNSt15iterator_traitsISY_E10value_typeET2_T3_PNSZ_IS14_E10value_typeET4_jRbjT5_S1A_jjP12ihipStream_tbEUljE_EEESV_SW_SX_S14_S18_S1A_T6_T7_T9_mT8_S1C_bDpT10_ENKUlT_T0_E_clISt17integral_constantIbLb0EES1P_EEDaS1K_S1L_EUlS1K_E_NS1_11comp_targetILNS1_3genE8ELNS1_11target_archE1030ELNS1_3gpuE2ELNS1_3repE0EEENS1_30default_config_static_selectorELNS0_4arch9wavefront6targetE1EEEvSY_
		.amdhsa_group_segment_fixed_size 0
		.amdhsa_private_segment_fixed_size 0
		.amdhsa_kernarg_size 144
		.amdhsa_user_sgpr_count 6
		.amdhsa_user_sgpr_private_segment_buffer 1
		.amdhsa_user_sgpr_dispatch_ptr 0
		.amdhsa_user_sgpr_queue_ptr 0
		.amdhsa_user_sgpr_kernarg_segment_ptr 1
		.amdhsa_user_sgpr_dispatch_id 0
		.amdhsa_user_sgpr_flat_scratch_init 0
		.amdhsa_user_sgpr_kernarg_preload_length 0
		.amdhsa_user_sgpr_kernarg_preload_offset 0
		.amdhsa_user_sgpr_private_segment_size 0
		.amdhsa_uses_dynamic_stack 0
		.amdhsa_system_sgpr_private_segment_wavefront_offset 0
		.amdhsa_system_sgpr_workgroup_id_x 1
		.amdhsa_system_sgpr_workgroup_id_y 0
		.amdhsa_system_sgpr_workgroup_id_z 0
		.amdhsa_system_sgpr_workgroup_info 0
		.amdhsa_system_vgpr_workitem_id 0
		.amdhsa_next_free_vgpr 1
		.amdhsa_next_free_sgpr 0
		.amdhsa_accum_offset 4
		.amdhsa_reserve_vcc 0
		.amdhsa_reserve_flat_scratch 0
		.amdhsa_float_round_mode_32 0
		.amdhsa_float_round_mode_16_64 0
		.amdhsa_float_denorm_mode_32 3
		.amdhsa_float_denorm_mode_16_64 3
		.amdhsa_dx10_clamp 1
		.amdhsa_ieee_mode 1
		.amdhsa_fp16_overflow 0
		.amdhsa_tg_split 0
		.amdhsa_exception_fp_ieee_invalid_op 0
		.amdhsa_exception_fp_denorm_src 0
		.amdhsa_exception_fp_ieee_div_zero 0
		.amdhsa_exception_fp_ieee_overflow 0
		.amdhsa_exception_fp_ieee_underflow 0
		.amdhsa_exception_fp_ieee_inexact 0
		.amdhsa_exception_int_div_zero 0
	.end_amdhsa_kernel
	.section	.text._ZN7rocprim17ROCPRIM_400000_NS6detail17trampoline_kernelINS0_13select_configILj256ELj13ELNS0_17block_load_methodE3ELS4_3ELS4_3ELNS0_20block_scan_algorithmE0ELj4294967295EEENS1_25partition_config_selectorILNS1_17partition_subalgoE3EjNS0_10empty_typeEbEEZZNS1_14partition_implILS8_3ELb0ES6_jNS0_17counting_iteratorIjlEEPS9_SE_NS0_5tupleIJPjSE_EEENSF_IJSE_SE_EEES9_SG_JZNS1_25segmented_radix_sort_implINS0_14default_configELb0EPKiPiPKlPlN2at6native12_GLOBAL__N_18offset_tEEE10hipError_tPvRmT1_PNSt15iterator_traitsISY_E10value_typeET2_T3_PNSZ_IS14_E10value_typeET4_jRbjT5_S1A_jjP12ihipStream_tbEUljE_EEESV_SW_SX_S14_S18_S1A_T6_T7_T9_mT8_S1C_bDpT10_ENKUlT_T0_E_clISt17integral_constantIbLb0EES1P_EEDaS1K_S1L_EUlS1K_E_NS1_11comp_targetILNS1_3genE8ELNS1_11target_archE1030ELNS1_3gpuE2ELNS1_3repE0EEENS1_30default_config_static_selectorELNS0_4arch9wavefront6targetE1EEEvSY_,"axG",@progbits,_ZN7rocprim17ROCPRIM_400000_NS6detail17trampoline_kernelINS0_13select_configILj256ELj13ELNS0_17block_load_methodE3ELS4_3ELS4_3ELNS0_20block_scan_algorithmE0ELj4294967295EEENS1_25partition_config_selectorILNS1_17partition_subalgoE3EjNS0_10empty_typeEbEEZZNS1_14partition_implILS8_3ELb0ES6_jNS0_17counting_iteratorIjlEEPS9_SE_NS0_5tupleIJPjSE_EEENSF_IJSE_SE_EEES9_SG_JZNS1_25segmented_radix_sort_implINS0_14default_configELb0EPKiPiPKlPlN2at6native12_GLOBAL__N_18offset_tEEE10hipError_tPvRmT1_PNSt15iterator_traitsISY_E10value_typeET2_T3_PNSZ_IS14_E10value_typeET4_jRbjT5_S1A_jjP12ihipStream_tbEUljE_EEESV_SW_SX_S14_S18_S1A_T6_T7_T9_mT8_S1C_bDpT10_ENKUlT_T0_E_clISt17integral_constantIbLb0EES1P_EEDaS1K_S1L_EUlS1K_E_NS1_11comp_targetILNS1_3genE8ELNS1_11target_archE1030ELNS1_3gpuE2ELNS1_3repE0EEENS1_30default_config_static_selectorELNS0_4arch9wavefront6targetE1EEEvSY_,comdat
.Lfunc_end575:
	.size	_ZN7rocprim17ROCPRIM_400000_NS6detail17trampoline_kernelINS0_13select_configILj256ELj13ELNS0_17block_load_methodE3ELS4_3ELS4_3ELNS0_20block_scan_algorithmE0ELj4294967295EEENS1_25partition_config_selectorILNS1_17partition_subalgoE3EjNS0_10empty_typeEbEEZZNS1_14partition_implILS8_3ELb0ES6_jNS0_17counting_iteratorIjlEEPS9_SE_NS0_5tupleIJPjSE_EEENSF_IJSE_SE_EEES9_SG_JZNS1_25segmented_radix_sort_implINS0_14default_configELb0EPKiPiPKlPlN2at6native12_GLOBAL__N_18offset_tEEE10hipError_tPvRmT1_PNSt15iterator_traitsISY_E10value_typeET2_T3_PNSZ_IS14_E10value_typeET4_jRbjT5_S1A_jjP12ihipStream_tbEUljE_EEESV_SW_SX_S14_S18_S1A_T6_T7_T9_mT8_S1C_bDpT10_ENKUlT_T0_E_clISt17integral_constantIbLb0EES1P_EEDaS1K_S1L_EUlS1K_E_NS1_11comp_targetILNS1_3genE8ELNS1_11target_archE1030ELNS1_3gpuE2ELNS1_3repE0EEENS1_30default_config_static_selectorELNS0_4arch9wavefront6targetE1EEEvSY_, .Lfunc_end575-_ZN7rocprim17ROCPRIM_400000_NS6detail17trampoline_kernelINS0_13select_configILj256ELj13ELNS0_17block_load_methodE3ELS4_3ELS4_3ELNS0_20block_scan_algorithmE0ELj4294967295EEENS1_25partition_config_selectorILNS1_17partition_subalgoE3EjNS0_10empty_typeEbEEZZNS1_14partition_implILS8_3ELb0ES6_jNS0_17counting_iteratorIjlEEPS9_SE_NS0_5tupleIJPjSE_EEENSF_IJSE_SE_EEES9_SG_JZNS1_25segmented_radix_sort_implINS0_14default_configELb0EPKiPiPKlPlN2at6native12_GLOBAL__N_18offset_tEEE10hipError_tPvRmT1_PNSt15iterator_traitsISY_E10value_typeET2_T3_PNSZ_IS14_E10value_typeET4_jRbjT5_S1A_jjP12ihipStream_tbEUljE_EEESV_SW_SX_S14_S18_S1A_T6_T7_T9_mT8_S1C_bDpT10_ENKUlT_T0_E_clISt17integral_constantIbLb0EES1P_EEDaS1K_S1L_EUlS1K_E_NS1_11comp_targetILNS1_3genE8ELNS1_11target_archE1030ELNS1_3gpuE2ELNS1_3repE0EEENS1_30default_config_static_selectorELNS0_4arch9wavefront6targetE1EEEvSY_
                                        ; -- End function
	.section	.AMDGPU.csdata,"",@progbits
; Kernel info:
; codeLenInByte = 0
; NumSgprs: 4
; NumVgprs: 0
; NumAgprs: 0
; TotalNumVgprs: 0
; ScratchSize: 0
; MemoryBound: 0
; FloatMode: 240
; IeeeMode: 1
; LDSByteSize: 0 bytes/workgroup (compile time only)
; SGPRBlocks: 0
; VGPRBlocks: 0
; NumSGPRsForWavesPerEU: 4
; NumVGPRsForWavesPerEU: 1
; AccumOffset: 4
; Occupancy: 8
; WaveLimiterHint : 0
; COMPUTE_PGM_RSRC2:SCRATCH_EN: 0
; COMPUTE_PGM_RSRC2:USER_SGPR: 6
; COMPUTE_PGM_RSRC2:TRAP_HANDLER: 0
; COMPUTE_PGM_RSRC2:TGID_X_EN: 1
; COMPUTE_PGM_RSRC2:TGID_Y_EN: 0
; COMPUTE_PGM_RSRC2:TGID_Z_EN: 0
; COMPUTE_PGM_RSRC2:TIDIG_COMP_CNT: 0
; COMPUTE_PGM_RSRC3_GFX90A:ACCUM_OFFSET: 0
; COMPUTE_PGM_RSRC3_GFX90A:TG_SPLIT: 0
	.section	.text._ZN7rocprim17ROCPRIM_400000_NS6detail17trampoline_kernelINS0_13select_configILj256ELj13ELNS0_17block_load_methodE3ELS4_3ELS4_3ELNS0_20block_scan_algorithmE0ELj4294967295EEENS1_25partition_config_selectorILNS1_17partition_subalgoE3EjNS0_10empty_typeEbEEZZNS1_14partition_implILS8_3ELb0ES6_jNS0_17counting_iteratorIjlEEPS9_SE_NS0_5tupleIJPjSE_EEENSF_IJSE_SE_EEES9_SG_JZNS1_25segmented_radix_sort_implINS0_14default_configELb0EPKiPiPKlPlN2at6native12_GLOBAL__N_18offset_tEEE10hipError_tPvRmT1_PNSt15iterator_traitsISY_E10value_typeET2_T3_PNSZ_IS14_E10value_typeET4_jRbjT5_S1A_jjP12ihipStream_tbEUljE_EEESV_SW_SX_S14_S18_S1A_T6_T7_T9_mT8_S1C_bDpT10_ENKUlT_T0_E_clISt17integral_constantIbLb1EES1P_EEDaS1K_S1L_EUlS1K_E_NS1_11comp_targetILNS1_3genE0ELNS1_11target_archE4294967295ELNS1_3gpuE0ELNS1_3repE0EEENS1_30default_config_static_selectorELNS0_4arch9wavefront6targetE1EEEvSY_,"axG",@progbits,_ZN7rocprim17ROCPRIM_400000_NS6detail17trampoline_kernelINS0_13select_configILj256ELj13ELNS0_17block_load_methodE3ELS4_3ELS4_3ELNS0_20block_scan_algorithmE0ELj4294967295EEENS1_25partition_config_selectorILNS1_17partition_subalgoE3EjNS0_10empty_typeEbEEZZNS1_14partition_implILS8_3ELb0ES6_jNS0_17counting_iteratorIjlEEPS9_SE_NS0_5tupleIJPjSE_EEENSF_IJSE_SE_EEES9_SG_JZNS1_25segmented_radix_sort_implINS0_14default_configELb0EPKiPiPKlPlN2at6native12_GLOBAL__N_18offset_tEEE10hipError_tPvRmT1_PNSt15iterator_traitsISY_E10value_typeET2_T3_PNSZ_IS14_E10value_typeET4_jRbjT5_S1A_jjP12ihipStream_tbEUljE_EEESV_SW_SX_S14_S18_S1A_T6_T7_T9_mT8_S1C_bDpT10_ENKUlT_T0_E_clISt17integral_constantIbLb1EES1P_EEDaS1K_S1L_EUlS1K_E_NS1_11comp_targetILNS1_3genE0ELNS1_11target_archE4294967295ELNS1_3gpuE0ELNS1_3repE0EEENS1_30default_config_static_selectorELNS0_4arch9wavefront6targetE1EEEvSY_,comdat
	.globl	_ZN7rocprim17ROCPRIM_400000_NS6detail17trampoline_kernelINS0_13select_configILj256ELj13ELNS0_17block_load_methodE3ELS4_3ELS4_3ELNS0_20block_scan_algorithmE0ELj4294967295EEENS1_25partition_config_selectorILNS1_17partition_subalgoE3EjNS0_10empty_typeEbEEZZNS1_14partition_implILS8_3ELb0ES6_jNS0_17counting_iteratorIjlEEPS9_SE_NS0_5tupleIJPjSE_EEENSF_IJSE_SE_EEES9_SG_JZNS1_25segmented_radix_sort_implINS0_14default_configELb0EPKiPiPKlPlN2at6native12_GLOBAL__N_18offset_tEEE10hipError_tPvRmT1_PNSt15iterator_traitsISY_E10value_typeET2_T3_PNSZ_IS14_E10value_typeET4_jRbjT5_S1A_jjP12ihipStream_tbEUljE_EEESV_SW_SX_S14_S18_S1A_T6_T7_T9_mT8_S1C_bDpT10_ENKUlT_T0_E_clISt17integral_constantIbLb1EES1P_EEDaS1K_S1L_EUlS1K_E_NS1_11comp_targetILNS1_3genE0ELNS1_11target_archE4294967295ELNS1_3gpuE0ELNS1_3repE0EEENS1_30default_config_static_selectorELNS0_4arch9wavefront6targetE1EEEvSY_ ; -- Begin function _ZN7rocprim17ROCPRIM_400000_NS6detail17trampoline_kernelINS0_13select_configILj256ELj13ELNS0_17block_load_methodE3ELS4_3ELS4_3ELNS0_20block_scan_algorithmE0ELj4294967295EEENS1_25partition_config_selectorILNS1_17partition_subalgoE3EjNS0_10empty_typeEbEEZZNS1_14partition_implILS8_3ELb0ES6_jNS0_17counting_iteratorIjlEEPS9_SE_NS0_5tupleIJPjSE_EEENSF_IJSE_SE_EEES9_SG_JZNS1_25segmented_radix_sort_implINS0_14default_configELb0EPKiPiPKlPlN2at6native12_GLOBAL__N_18offset_tEEE10hipError_tPvRmT1_PNSt15iterator_traitsISY_E10value_typeET2_T3_PNSZ_IS14_E10value_typeET4_jRbjT5_S1A_jjP12ihipStream_tbEUljE_EEESV_SW_SX_S14_S18_S1A_T6_T7_T9_mT8_S1C_bDpT10_ENKUlT_T0_E_clISt17integral_constantIbLb1EES1P_EEDaS1K_S1L_EUlS1K_E_NS1_11comp_targetILNS1_3genE0ELNS1_11target_archE4294967295ELNS1_3gpuE0ELNS1_3repE0EEENS1_30default_config_static_selectorELNS0_4arch9wavefront6targetE1EEEvSY_
	.p2align	8
	.type	_ZN7rocprim17ROCPRIM_400000_NS6detail17trampoline_kernelINS0_13select_configILj256ELj13ELNS0_17block_load_methodE3ELS4_3ELS4_3ELNS0_20block_scan_algorithmE0ELj4294967295EEENS1_25partition_config_selectorILNS1_17partition_subalgoE3EjNS0_10empty_typeEbEEZZNS1_14partition_implILS8_3ELb0ES6_jNS0_17counting_iteratorIjlEEPS9_SE_NS0_5tupleIJPjSE_EEENSF_IJSE_SE_EEES9_SG_JZNS1_25segmented_radix_sort_implINS0_14default_configELb0EPKiPiPKlPlN2at6native12_GLOBAL__N_18offset_tEEE10hipError_tPvRmT1_PNSt15iterator_traitsISY_E10value_typeET2_T3_PNSZ_IS14_E10value_typeET4_jRbjT5_S1A_jjP12ihipStream_tbEUljE_EEESV_SW_SX_S14_S18_S1A_T6_T7_T9_mT8_S1C_bDpT10_ENKUlT_T0_E_clISt17integral_constantIbLb1EES1P_EEDaS1K_S1L_EUlS1K_E_NS1_11comp_targetILNS1_3genE0ELNS1_11target_archE4294967295ELNS1_3gpuE0ELNS1_3repE0EEENS1_30default_config_static_selectorELNS0_4arch9wavefront6targetE1EEEvSY_,@function
_ZN7rocprim17ROCPRIM_400000_NS6detail17trampoline_kernelINS0_13select_configILj256ELj13ELNS0_17block_load_methodE3ELS4_3ELS4_3ELNS0_20block_scan_algorithmE0ELj4294967295EEENS1_25partition_config_selectorILNS1_17partition_subalgoE3EjNS0_10empty_typeEbEEZZNS1_14partition_implILS8_3ELb0ES6_jNS0_17counting_iteratorIjlEEPS9_SE_NS0_5tupleIJPjSE_EEENSF_IJSE_SE_EEES9_SG_JZNS1_25segmented_radix_sort_implINS0_14default_configELb0EPKiPiPKlPlN2at6native12_GLOBAL__N_18offset_tEEE10hipError_tPvRmT1_PNSt15iterator_traitsISY_E10value_typeET2_T3_PNSZ_IS14_E10value_typeET4_jRbjT5_S1A_jjP12ihipStream_tbEUljE_EEESV_SW_SX_S14_S18_S1A_T6_T7_T9_mT8_S1C_bDpT10_ENKUlT_T0_E_clISt17integral_constantIbLb1EES1P_EEDaS1K_S1L_EUlS1K_E_NS1_11comp_targetILNS1_3genE0ELNS1_11target_archE4294967295ELNS1_3gpuE0ELNS1_3repE0EEENS1_30default_config_static_selectorELNS0_4arch9wavefront6targetE1EEEvSY_: ; @_ZN7rocprim17ROCPRIM_400000_NS6detail17trampoline_kernelINS0_13select_configILj256ELj13ELNS0_17block_load_methodE3ELS4_3ELS4_3ELNS0_20block_scan_algorithmE0ELj4294967295EEENS1_25partition_config_selectorILNS1_17partition_subalgoE3EjNS0_10empty_typeEbEEZZNS1_14partition_implILS8_3ELb0ES6_jNS0_17counting_iteratorIjlEEPS9_SE_NS0_5tupleIJPjSE_EEENSF_IJSE_SE_EEES9_SG_JZNS1_25segmented_radix_sort_implINS0_14default_configELb0EPKiPiPKlPlN2at6native12_GLOBAL__N_18offset_tEEE10hipError_tPvRmT1_PNSt15iterator_traitsISY_E10value_typeET2_T3_PNSZ_IS14_E10value_typeET4_jRbjT5_S1A_jjP12ihipStream_tbEUljE_EEESV_SW_SX_S14_S18_S1A_T6_T7_T9_mT8_S1C_bDpT10_ENKUlT_T0_E_clISt17integral_constantIbLb1EES1P_EEDaS1K_S1L_EUlS1K_E_NS1_11comp_targetILNS1_3genE0ELNS1_11target_archE4294967295ELNS1_3gpuE0ELNS1_3repE0EEENS1_30default_config_static_selectorELNS0_4arch9wavefront6targetE1EEEvSY_
; %bb.0:
	.section	.rodata,"a",@progbits
	.p2align	6, 0x0
	.amdhsa_kernel _ZN7rocprim17ROCPRIM_400000_NS6detail17trampoline_kernelINS0_13select_configILj256ELj13ELNS0_17block_load_methodE3ELS4_3ELS4_3ELNS0_20block_scan_algorithmE0ELj4294967295EEENS1_25partition_config_selectorILNS1_17partition_subalgoE3EjNS0_10empty_typeEbEEZZNS1_14partition_implILS8_3ELb0ES6_jNS0_17counting_iteratorIjlEEPS9_SE_NS0_5tupleIJPjSE_EEENSF_IJSE_SE_EEES9_SG_JZNS1_25segmented_radix_sort_implINS0_14default_configELb0EPKiPiPKlPlN2at6native12_GLOBAL__N_18offset_tEEE10hipError_tPvRmT1_PNSt15iterator_traitsISY_E10value_typeET2_T3_PNSZ_IS14_E10value_typeET4_jRbjT5_S1A_jjP12ihipStream_tbEUljE_EEESV_SW_SX_S14_S18_S1A_T6_T7_T9_mT8_S1C_bDpT10_ENKUlT_T0_E_clISt17integral_constantIbLb1EES1P_EEDaS1K_S1L_EUlS1K_E_NS1_11comp_targetILNS1_3genE0ELNS1_11target_archE4294967295ELNS1_3gpuE0ELNS1_3repE0EEENS1_30default_config_static_selectorELNS0_4arch9wavefront6targetE1EEEvSY_
		.amdhsa_group_segment_fixed_size 0
		.amdhsa_private_segment_fixed_size 0
		.amdhsa_kernarg_size 152
		.amdhsa_user_sgpr_count 6
		.amdhsa_user_sgpr_private_segment_buffer 1
		.amdhsa_user_sgpr_dispatch_ptr 0
		.amdhsa_user_sgpr_queue_ptr 0
		.amdhsa_user_sgpr_kernarg_segment_ptr 1
		.amdhsa_user_sgpr_dispatch_id 0
		.amdhsa_user_sgpr_flat_scratch_init 0
		.amdhsa_user_sgpr_kernarg_preload_length 0
		.amdhsa_user_sgpr_kernarg_preload_offset 0
		.amdhsa_user_sgpr_private_segment_size 0
		.amdhsa_uses_dynamic_stack 0
		.amdhsa_system_sgpr_private_segment_wavefront_offset 0
		.amdhsa_system_sgpr_workgroup_id_x 1
		.amdhsa_system_sgpr_workgroup_id_y 0
		.amdhsa_system_sgpr_workgroup_id_z 0
		.amdhsa_system_sgpr_workgroup_info 0
		.amdhsa_system_vgpr_workitem_id 0
		.amdhsa_next_free_vgpr 1
		.amdhsa_next_free_sgpr 0
		.amdhsa_accum_offset 4
		.amdhsa_reserve_vcc 0
		.amdhsa_reserve_flat_scratch 0
		.amdhsa_float_round_mode_32 0
		.amdhsa_float_round_mode_16_64 0
		.amdhsa_float_denorm_mode_32 3
		.amdhsa_float_denorm_mode_16_64 3
		.amdhsa_dx10_clamp 1
		.amdhsa_ieee_mode 1
		.amdhsa_fp16_overflow 0
		.amdhsa_tg_split 0
		.amdhsa_exception_fp_ieee_invalid_op 0
		.amdhsa_exception_fp_denorm_src 0
		.amdhsa_exception_fp_ieee_div_zero 0
		.amdhsa_exception_fp_ieee_overflow 0
		.amdhsa_exception_fp_ieee_underflow 0
		.amdhsa_exception_fp_ieee_inexact 0
		.amdhsa_exception_int_div_zero 0
	.end_amdhsa_kernel
	.section	.text._ZN7rocprim17ROCPRIM_400000_NS6detail17trampoline_kernelINS0_13select_configILj256ELj13ELNS0_17block_load_methodE3ELS4_3ELS4_3ELNS0_20block_scan_algorithmE0ELj4294967295EEENS1_25partition_config_selectorILNS1_17partition_subalgoE3EjNS0_10empty_typeEbEEZZNS1_14partition_implILS8_3ELb0ES6_jNS0_17counting_iteratorIjlEEPS9_SE_NS0_5tupleIJPjSE_EEENSF_IJSE_SE_EEES9_SG_JZNS1_25segmented_radix_sort_implINS0_14default_configELb0EPKiPiPKlPlN2at6native12_GLOBAL__N_18offset_tEEE10hipError_tPvRmT1_PNSt15iterator_traitsISY_E10value_typeET2_T3_PNSZ_IS14_E10value_typeET4_jRbjT5_S1A_jjP12ihipStream_tbEUljE_EEESV_SW_SX_S14_S18_S1A_T6_T7_T9_mT8_S1C_bDpT10_ENKUlT_T0_E_clISt17integral_constantIbLb1EES1P_EEDaS1K_S1L_EUlS1K_E_NS1_11comp_targetILNS1_3genE0ELNS1_11target_archE4294967295ELNS1_3gpuE0ELNS1_3repE0EEENS1_30default_config_static_selectorELNS0_4arch9wavefront6targetE1EEEvSY_,"axG",@progbits,_ZN7rocprim17ROCPRIM_400000_NS6detail17trampoline_kernelINS0_13select_configILj256ELj13ELNS0_17block_load_methodE3ELS4_3ELS4_3ELNS0_20block_scan_algorithmE0ELj4294967295EEENS1_25partition_config_selectorILNS1_17partition_subalgoE3EjNS0_10empty_typeEbEEZZNS1_14partition_implILS8_3ELb0ES6_jNS0_17counting_iteratorIjlEEPS9_SE_NS0_5tupleIJPjSE_EEENSF_IJSE_SE_EEES9_SG_JZNS1_25segmented_radix_sort_implINS0_14default_configELb0EPKiPiPKlPlN2at6native12_GLOBAL__N_18offset_tEEE10hipError_tPvRmT1_PNSt15iterator_traitsISY_E10value_typeET2_T3_PNSZ_IS14_E10value_typeET4_jRbjT5_S1A_jjP12ihipStream_tbEUljE_EEESV_SW_SX_S14_S18_S1A_T6_T7_T9_mT8_S1C_bDpT10_ENKUlT_T0_E_clISt17integral_constantIbLb1EES1P_EEDaS1K_S1L_EUlS1K_E_NS1_11comp_targetILNS1_3genE0ELNS1_11target_archE4294967295ELNS1_3gpuE0ELNS1_3repE0EEENS1_30default_config_static_selectorELNS0_4arch9wavefront6targetE1EEEvSY_,comdat
.Lfunc_end576:
	.size	_ZN7rocprim17ROCPRIM_400000_NS6detail17trampoline_kernelINS0_13select_configILj256ELj13ELNS0_17block_load_methodE3ELS4_3ELS4_3ELNS0_20block_scan_algorithmE0ELj4294967295EEENS1_25partition_config_selectorILNS1_17partition_subalgoE3EjNS0_10empty_typeEbEEZZNS1_14partition_implILS8_3ELb0ES6_jNS0_17counting_iteratorIjlEEPS9_SE_NS0_5tupleIJPjSE_EEENSF_IJSE_SE_EEES9_SG_JZNS1_25segmented_radix_sort_implINS0_14default_configELb0EPKiPiPKlPlN2at6native12_GLOBAL__N_18offset_tEEE10hipError_tPvRmT1_PNSt15iterator_traitsISY_E10value_typeET2_T3_PNSZ_IS14_E10value_typeET4_jRbjT5_S1A_jjP12ihipStream_tbEUljE_EEESV_SW_SX_S14_S18_S1A_T6_T7_T9_mT8_S1C_bDpT10_ENKUlT_T0_E_clISt17integral_constantIbLb1EES1P_EEDaS1K_S1L_EUlS1K_E_NS1_11comp_targetILNS1_3genE0ELNS1_11target_archE4294967295ELNS1_3gpuE0ELNS1_3repE0EEENS1_30default_config_static_selectorELNS0_4arch9wavefront6targetE1EEEvSY_, .Lfunc_end576-_ZN7rocprim17ROCPRIM_400000_NS6detail17trampoline_kernelINS0_13select_configILj256ELj13ELNS0_17block_load_methodE3ELS4_3ELS4_3ELNS0_20block_scan_algorithmE0ELj4294967295EEENS1_25partition_config_selectorILNS1_17partition_subalgoE3EjNS0_10empty_typeEbEEZZNS1_14partition_implILS8_3ELb0ES6_jNS0_17counting_iteratorIjlEEPS9_SE_NS0_5tupleIJPjSE_EEENSF_IJSE_SE_EEES9_SG_JZNS1_25segmented_radix_sort_implINS0_14default_configELb0EPKiPiPKlPlN2at6native12_GLOBAL__N_18offset_tEEE10hipError_tPvRmT1_PNSt15iterator_traitsISY_E10value_typeET2_T3_PNSZ_IS14_E10value_typeET4_jRbjT5_S1A_jjP12ihipStream_tbEUljE_EEESV_SW_SX_S14_S18_S1A_T6_T7_T9_mT8_S1C_bDpT10_ENKUlT_T0_E_clISt17integral_constantIbLb1EES1P_EEDaS1K_S1L_EUlS1K_E_NS1_11comp_targetILNS1_3genE0ELNS1_11target_archE4294967295ELNS1_3gpuE0ELNS1_3repE0EEENS1_30default_config_static_selectorELNS0_4arch9wavefront6targetE1EEEvSY_
                                        ; -- End function
	.section	.AMDGPU.csdata,"",@progbits
; Kernel info:
; codeLenInByte = 0
; NumSgprs: 4
; NumVgprs: 0
; NumAgprs: 0
; TotalNumVgprs: 0
; ScratchSize: 0
; MemoryBound: 0
; FloatMode: 240
; IeeeMode: 1
; LDSByteSize: 0 bytes/workgroup (compile time only)
; SGPRBlocks: 0
; VGPRBlocks: 0
; NumSGPRsForWavesPerEU: 4
; NumVGPRsForWavesPerEU: 1
; AccumOffset: 4
; Occupancy: 8
; WaveLimiterHint : 0
; COMPUTE_PGM_RSRC2:SCRATCH_EN: 0
; COMPUTE_PGM_RSRC2:USER_SGPR: 6
; COMPUTE_PGM_RSRC2:TRAP_HANDLER: 0
; COMPUTE_PGM_RSRC2:TGID_X_EN: 1
; COMPUTE_PGM_RSRC2:TGID_Y_EN: 0
; COMPUTE_PGM_RSRC2:TGID_Z_EN: 0
; COMPUTE_PGM_RSRC2:TIDIG_COMP_CNT: 0
; COMPUTE_PGM_RSRC3_GFX90A:ACCUM_OFFSET: 0
; COMPUTE_PGM_RSRC3_GFX90A:TG_SPLIT: 0
	.section	.text._ZN7rocprim17ROCPRIM_400000_NS6detail17trampoline_kernelINS0_13select_configILj256ELj13ELNS0_17block_load_methodE3ELS4_3ELS4_3ELNS0_20block_scan_algorithmE0ELj4294967295EEENS1_25partition_config_selectorILNS1_17partition_subalgoE3EjNS0_10empty_typeEbEEZZNS1_14partition_implILS8_3ELb0ES6_jNS0_17counting_iteratorIjlEEPS9_SE_NS0_5tupleIJPjSE_EEENSF_IJSE_SE_EEES9_SG_JZNS1_25segmented_radix_sort_implINS0_14default_configELb0EPKiPiPKlPlN2at6native12_GLOBAL__N_18offset_tEEE10hipError_tPvRmT1_PNSt15iterator_traitsISY_E10value_typeET2_T3_PNSZ_IS14_E10value_typeET4_jRbjT5_S1A_jjP12ihipStream_tbEUljE_EEESV_SW_SX_S14_S18_S1A_T6_T7_T9_mT8_S1C_bDpT10_ENKUlT_T0_E_clISt17integral_constantIbLb1EES1P_EEDaS1K_S1L_EUlS1K_E_NS1_11comp_targetILNS1_3genE5ELNS1_11target_archE942ELNS1_3gpuE9ELNS1_3repE0EEENS1_30default_config_static_selectorELNS0_4arch9wavefront6targetE1EEEvSY_,"axG",@progbits,_ZN7rocprim17ROCPRIM_400000_NS6detail17trampoline_kernelINS0_13select_configILj256ELj13ELNS0_17block_load_methodE3ELS4_3ELS4_3ELNS0_20block_scan_algorithmE0ELj4294967295EEENS1_25partition_config_selectorILNS1_17partition_subalgoE3EjNS0_10empty_typeEbEEZZNS1_14partition_implILS8_3ELb0ES6_jNS0_17counting_iteratorIjlEEPS9_SE_NS0_5tupleIJPjSE_EEENSF_IJSE_SE_EEES9_SG_JZNS1_25segmented_radix_sort_implINS0_14default_configELb0EPKiPiPKlPlN2at6native12_GLOBAL__N_18offset_tEEE10hipError_tPvRmT1_PNSt15iterator_traitsISY_E10value_typeET2_T3_PNSZ_IS14_E10value_typeET4_jRbjT5_S1A_jjP12ihipStream_tbEUljE_EEESV_SW_SX_S14_S18_S1A_T6_T7_T9_mT8_S1C_bDpT10_ENKUlT_T0_E_clISt17integral_constantIbLb1EES1P_EEDaS1K_S1L_EUlS1K_E_NS1_11comp_targetILNS1_3genE5ELNS1_11target_archE942ELNS1_3gpuE9ELNS1_3repE0EEENS1_30default_config_static_selectorELNS0_4arch9wavefront6targetE1EEEvSY_,comdat
	.globl	_ZN7rocprim17ROCPRIM_400000_NS6detail17trampoline_kernelINS0_13select_configILj256ELj13ELNS0_17block_load_methodE3ELS4_3ELS4_3ELNS0_20block_scan_algorithmE0ELj4294967295EEENS1_25partition_config_selectorILNS1_17partition_subalgoE3EjNS0_10empty_typeEbEEZZNS1_14partition_implILS8_3ELb0ES6_jNS0_17counting_iteratorIjlEEPS9_SE_NS0_5tupleIJPjSE_EEENSF_IJSE_SE_EEES9_SG_JZNS1_25segmented_radix_sort_implINS0_14default_configELb0EPKiPiPKlPlN2at6native12_GLOBAL__N_18offset_tEEE10hipError_tPvRmT1_PNSt15iterator_traitsISY_E10value_typeET2_T3_PNSZ_IS14_E10value_typeET4_jRbjT5_S1A_jjP12ihipStream_tbEUljE_EEESV_SW_SX_S14_S18_S1A_T6_T7_T9_mT8_S1C_bDpT10_ENKUlT_T0_E_clISt17integral_constantIbLb1EES1P_EEDaS1K_S1L_EUlS1K_E_NS1_11comp_targetILNS1_3genE5ELNS1_11target_archE942ELNS1_3gpuE9ELNS1_3repE0EEENS1_30default_config_static_selectorELNS0_4arch9wavefront6targetE1EEEvSY_ ; -- Begin function _ZN7rocprim17ROCPRIM_400000_NS6detail17trampoline_kernelINS0_13select_configILj256ELj13ELNS0_17block_load_methodE3ELS4_3ELS4_3ELNS0_20block_scan_algorithmE0ELj4294967295EEENS1_25partition_config_selectorILNS1_17partition_subalgoE3EjNS0_10empty_typeEbEEZZNS1_14partition_implILS8_3ELb0ES6_jNS0_17counting_iteratorIjlEEPS9_SE_NS0_5tupleIJPjSE_EEENSF_IJSE_SE_EEES9_SG_JZNS1_25segmented_radix_sort_implINS0_14default_configELb0EPKiPiPKlPlN2at6native12_GLOBAL__N_18offset_tEEE10hipError_tPvRmT1_PNSt15iterator_traitsISY_E10value_typeET2_T3_PNSZ_IS14_E10value_typeET4_jRbjT5_S1A_jjP12ihipStream_tbEUljE_EEESV_SW_SX_S14_S18_S1A_T6_T7_T9_mT8_S1C_bDpT10_ENKUlT_T0_E_clISt17integral_constantIbLb1EES1P_EEDaS1K_S1L_EUlS1K_E_NS1_11comp_targetILNS1_3genE5ELNS1_11target_archE942ELNS1_3gpuE9ELNS1_3repE0EEENS1_30default_config_static_selectorELNS0_4arch9wavefront6targetE1EEEvSY_
	.p2align	8
	.type	_ZN7rocprim17ROCPRIM_400000_NS6detail17trampoline_kernelINS0_13select_configILj256ELj13ELNS0_17block_load_methodE3ELS4_3ELS4_3ELNS0_20block_scan_algorithmE0ELj4294967295EEENS1_25partition_config_selectorILNS1_17partition_subalgoE3EjNS0_10empty_typeEbEEZZNS1_14partition_implILS8_3ELb0ES6_jNS0_17counting_iteratorIjlEEPS9_SE_NS0_5tupleIJPjSE_EEENSF_IJSE_SE_EEES9_SG_JZNS1_25segmented_radix_sort_implINS0_14default_configELb0EPKiPiPKlPlN2at6native12_GLOBAL__N_18offset_tEEE10hipError_tPvRmT1_PNSt15iterator_traitsISY_E10value_typeET2_T3_PNSZ_IS14_E10value_typeET4_jRbjT5_S1A_jjP12ihipStream_tbEUljE_EEESV_SW_SX_S14_S18_S1A_T6_T7_T9_mT8_S1C_bDpT10_ENKUlT_T0_E_clISt17integral_constantIbLb1EES1P_EEDaS1K_S1L_EUlS1K_E_NS1_11comp_targetILNS1_3genE5ELNS1_11target_archE942ELNS1_3gpuE9ELNS1_3repE0EEENS1_30default_config_static_selectorELNS0_4arch9wavefront6targetE1EEEvSY_,@function
_ZN7rocprim17ROCPRIM_400000_NS6detail17trampoline_kernelINS0_13select_configILj256ELj13ELNS0_17block_load_methodE3ELS4_3ELS4_3ELNS0_20block_scan_algorithmE0ELj4294967295EEENS1_25partition_config_selectorILNS1_17partition_subalgoE3EjNS0_10empty_typeEbEEZZNS1_14partition_implILS8_3ELb0ES6_jNS0_17counting_iteratorIjlEEPS9_SE_NS0_5tupleIJPjSE_EEENSF_IJSE_SE_EEES9_SG_JZNS1_25segmented_radix_sort_implINS0_14default_configELb0EPKiPiPKlPlN2at6native12_GLOBAL__N_18offset_tEEE10hipError_tPvRmT1_PNSt15iterator_traitsISY_E10value_typeET2_T3_PNSZ_IS14_E10value_typeET4_jRbjT5_S1A_jjP12ihipStream_tbEUljE_EEESV_SW_SX_S14_S18_S1A_T6_T7_T9_mT8_S1C_bDpT10_ENKUlT_T0_E_clISt17integral_constantIbLb1EES1P_EEDaS1K_S1L_EUlS1K_E_NS1_11comp_targetILNS1_3genE5ELNS1_11target_archE942ELNS1_3gpuE9ELNS1_3repE0EEENS1_30default_config_static_selectorELNS0_4arch9wavefront6targetE1EEEvSY_: ; @_ZN7rocprim17ROCPRIM_400000_NS6detail17trampoline_kernelINS0_13select_configILj256ELj13ELNS0_17block_load_methodE3ELS4_3ELS4_3ELNS0_20block_scan_algorithmE0ELj4294967295EEENS1_25partition_config_selectorILNS1_17partition_subalgoE3EjNS0_10empty_typeEbEEZZNS1_14partition_implILS8_3ELb0ES6_jNS0_17counting_iteratorIjlEEPS9_SE_NS0_5tupleIJPjSE_EEENSF_IJSE_SE_EEES9_SG_JZNS1_25segmented_radix_sort_implINS0_14default_configELb0EPKiPiPKlPlN2at6native12_GLOBAL__N_18offset_tEEE10hipError_tPvRmT1_PNSt15iterator_traitsISY_E10value_typeET2_T3_PNSZ_IS14_E10value_typeET4_jRbjT5_S1A_jjP12ihipStream_tbEUljE_EEESV_SW_SX_S14_S18_S1A_T6_T7_T9_mT8_S1C_bDpT10_ENKUlT_T0_E_clISt17integral_constantIbLb1EES1P_EEDaS1K_S1L_EUlS1K_E_NS1_11comp_targetILNS1_3genE5ELNS1_11target_archE942ELNS1_3gpuE9ELNS1_3repE0EEENS1_30default_config_static_selectorELNS0_4arch9wavefront6targetE1EEEvSY_
; %bb.0:
	.section	.rodata,"a",@progbits
	.p2align	6, 0x0
	.amdhsa_kernel _ZN7rocprim17ROCPRIM_400000_NS6detail17trampoline_kernelINS0_13select_configILj256ELj13ELNS0_17block_load_methodE3ELS4_3ELS4_3ELNS0_20block_scan_algorithmE0ELj4294967295EEENS1_25partition_config_selectorILNS1_17partition_subalgoE3EjNS0_10empty_typeEbEEZZNS1_14partition_implILS8_3ELb0ES6_jNS0_17counting_iteratorIjlEEPS9_SE_NS0_5tupleIJPjSE_EEENSF_IJSE_SE_EEES9_SG_JZNS1_25segmented_radix_sort_implINS0_14default_configELb0EPKiPiPKlPlN2at6native12_GLOBAL__N_18offset_tEEE10hipError_tPvRmT1_PNSt15iterator_traitsISY_E10value_typeET2_T3_PNSZ_IS14_E10value_typeET4_jRbjT5_S1A_jjP12ihipStream_tbEUljE_EEESV_SW_SX_S14_S18_S1A_T6_T7_T9_mT8_S1C_bDpT10_ENKUlT_T0_E_clISt17integral_constantIbLb1EES1P_EEDaS1K_S1L_EUlS1K_E_NS1_11comp_targetILNS1_3genE5ELNS1_11target_archE942ELNS1_3gpuE9ELNS1_3repE0EEENS1_30default_config_static_selectorELNS0_4arch9wavefront6targetE1EEEvSY_
		.amdhsa_group_segment_fixed_size 0
		.amdhsa_private_segment_fixed_size 0
		.amdhsa_kernarg_size 152
		.amdhsa_user_sgpr_count 6
		.amdhsa_user_sgpr_private_segment_buffer 1
		.amdhsa_user_sgpr_dispatch_ptr 0
		.amdhsa_user_sgpr_queue_ptr 0
		.amdhsa_user_sgpr_kernarg_segment_ptr 1
		.amdhsa_user_sgpr_dispatch_id 0
		.amdhsa_user_sgpr_flat_scratch_init 0
		.amdhsa_user_sgpr_kernarg_preload_length 0
		.amdhsa_user_sgpr_kernarg_preload_offset 0
		.amdhsa_user_sgpr_private_segment_size 0
		.amdhsa_uses_dynamic_stack 0
		.amdhsa_system_sgpr_private_segment_wavefront_offset 0
		.amdhsa_system_sgpr_workgroup_id_x 1
		.amdhsa_system_sgpr_workgroup_id_y 0
		.amdhsa_system_sgpr_workgroup_id_z 0
		.amdhsa_system_sgpr_workgroup_info 0
		.amdhsa_system_vgpr_workitem_id 0
		.amdhsa_next_free_vgpr 1
		.amdhsa_next_free_sgpr 0
		.amdhsa_accum_offset 4
		.amdhsa_reserve_vcc 0
		.amdhsa_reserve_flat_scratch 0
		.amdhsa_float_round_mode_32 0
		.amdhsa_float_round_mode_16_64 0
		.amdhsa_float_denorm_mode_32 3
		.amdhsa_float_denorm_mode_16_64 3
		.amdhsa_dx10_clamp 1
		.amdhsa_ieee_mode 1
		.amdhsa_fp16_overflow 0
		.amdhsa_tg_split 0
		.amdhsa_exception_fp_ieee_invalid_op 0
		.amdhsa_exception_fp_denorm_src 0
		.amdhsa_exception_fp_ieee_div_zero 0
		.amdhsa_exception_fp_ieee_overflow 0
		.amdhsa_exception_fp_ieee_underflow 0
		.amdhsa_exception_fp_ieee_inexact 0
		.amdhsa_exception_int_div_zero 0
	.end_amdhsa_kernel
	.section	.text._ZN7rocprim17ROCPRIM_400000_NS6detail17trampoline_kernelINS0_13select_configILj256ELj13ELNS0_17block_load_methodE3ELS4_3ELS4_3ELNS0_20block_scan_algorithmE0ELj4294967295EEENS1_25partition_config_selectorILNS1_17partition_subalgoE3EjNS0_10empty_typeEbEEZZNS1_14partition_implILS8_3ELb0ES6_jNS0_17counting_iteratorIjlEEPS9_SE_NS0_5tupleIJPjSE_EEENSF_IJSE_SE_EEES9_SG_JZNS1_25segmented_radix_sort_implINS0_14default_configELb0EPKiPiPKlPlN2at6native12_GLOBAL__N_18offset_tEEE10hipError_tPvRmT1_PNSt15iterator_traitsISY_E10value_typeET2_T3_PNSZ_IS14_E10value_typeET4_jRbjT5_S1A_jjP12ihipStream_tbEUljE_EEESV_SW_SX_S14_S18_S1A_T6_T7_T9_mT8_S1C_bDpT10_ENKUlT_T0_E_clISt17integral_constantIbLb1EES1P_EEDaS1K_S1L_EUlS1K_E_NS1_11comp_targetILNS1_3genE5ELNS1_11target_archE942ELNS1_3gpuE9ELNS1_3repE0EEENS1_30default_config_static_selectorELNS0_4arch9wavefront6targetE1EEEvSY_,"axG",@progbits,_ZN7rocprim17ROCPRIM_400000_NS6detail17trampoline_kernelINS0_13select_configILj256ELj13ELNS0_17block_load_methodE3ELS4_3ELS4_3ELNS0_20block_scan_algorithmE0ELj4294967295EEENS1_25partition_config_selectorILNS1_17partition_subalgoE3EjNS0_10empty_typeEbEEZZNS1_14partition_implILS8_3ELb0ES6_jNS0_17counting_iteratorIjlEEPS9_SE_NS0_5tupleIJPjSE_EEENSF_IJSE_SE_EEES9_SG_JZNS1_25segmented_radix_sort_implINS0_14default_configELb0EPKiPiPKlPlN2at6native12_GLOBAL__N_18offset_tEEE10hipError_tPvRmT1_PNSt15iterator_traitsISY_E10value_typeET2_T3_PNSZ_IS14_E10value_typeET4_jRbjT5_S1A_jjP12ihipStream_tbEUljE_EEESV_SW_SX_S14_S18_S1A_T6_T7_T9_mT8_S1C_bDpT10_ENKUlT_T0_E_clISt17integral_constantIbLb1EES1P_EEDaS1K_S1L_EUlS1K_E_NS1_11comp_targetILNS1_3genE5ELNS1_11target_archE942ELNS1_3gpuE9ELNS1_3repE0EEENS1_30default_config_static_selectorELNS0_4arch9wavefront6targetE1EEEvSY_,comdat
.Lfunc_end577:
	.size	_ZN7rocprim17ROCPRIM_400000_NS6detail17trampoline_kernelINS0_13select_configILj256ELj13ELNS0_17block_load_methodE3ELS4_3ELS4_3ELNS0_20block_scan_algorithmE0ELj4294967295EEENS1_25partition_config_selectorILNS1_17partition_subalgoE3EjNS0_10empty_typeEbEEZZNS1_14partition_implILS8_3ELb0ES6_jNS0_17counting_iteratorIjlEEPS9_SE_NS0_5tupleIJPjSE_EEENSF_IJSE_SE_EEES9_SG_JZNS1_25segmented_radix_sort_implINS0_14default_configELb0EPKiPiPKlPlN2at6native12_GLOBAL__N_18offset_tEEE10hipError_tPvRmT1_PNSt15iterator_traitsISY_E10value_typeET2_T3_PNSZ_IS14_E10value_typeET4_jRbjT5_S1A_jjP12ihipStream_tbEUljE_EEESV_SW_SX_S14_S18_S1A_T6_T7_T9_mT8_S1C_bDpT10_ENKUlT_T0_E_clISt17integral_constantIbLb1EES1P_EEDaS1K_S1L_EUlS1K_E_NS1_11comp_targetILNS1_3genE5ELNS1_11target_archE942ELNS1_3gpuE9ELNS1_3repE0EEENS1_30default_config_static_selectorELNS0_4arch9wavefront6targetE1EEEvSY_, .Lfunc_end577-_ZN7rocprim17ROCPRIM_400000_NS6detail17trampoline_kernelINS0_13select_configILj256ELj13ELNS0_17block_load_methodE3ELS4_3ELS4_3ELNS0_20block_scan_algorithmE0ELj4294967295EEENS1_25partition_config_selectorILNS1_17partition_subalgoE3EjNS0_10empty_typeEbEEZZNS1_14partition_implILS8_3ELb0ES6_jNS0_17counting_iteratorIjlEEPS9_SE_NS0_5tupleIJPjSE_EEENSF_IJSE_SE_EEES9_SG_JZNS1_25segmented_radix_sort_implINS0_14default_configELb0EPKiPiPKlPlN2at6native12_GLOBAL__N_18offset_tEEE10hipError_tPvRmT1_PNSt15iterator_traitsISY_E10value_typeET2_T3_PNSZ_IS14_E10value_typeET4_jRbjT5_S1A_jjP12ihipStream_tbEUljE_EEESV_SW_SX_S14_S18_S1A_T6_T7_T9_mT8_S1C_bDpT10_ENKUlT_T0_E_clISt17integral_constantIbLb1EES1P_EEDaS1K_S1L_EUlS1K_E_NS1_11comp_targetILNS1_3genE5ELNS1_11target_archE942ELNS1_3gpuE9ELNS1_3repE0EEENS1_30default_config_static_selectorELNS0_4arch9wavefront6targetE1EEEvSY_
                                        ; -- End function
	.section	.AMDGPU.csdata,"",@progbits
; Kernel info:
; codeLenInByte = 0
; NumSgprs: 4
; NumVgprs: 0
; NumAgprs: 0
; TotalNumVgprs: 0
; ScratchSize: 0
; MemoryBound: 0
; FloatMode: 240
; IeeeMode: 1
; LDSByteSize: 0 bytes/workgroup (compile time only)
; SGPRBlocks: 0
; VGPRBlocks: 0
; NumSGPRsForWavesPerEU: 4
; NumVGPRsForWavesPerEU: 1
; AccumOffset: 4
; Occupancy: 8
; WaveLimiterHint : 0
; COMPUTE_PGM_RSRC2:SCRATCH_EN: 0
; COMPUTE_PGM_RSRC2:USER_SGPR: 6
; COMPUTE_PGM_RSRC2:TRAP_HANDLER: 0
; COMPUTE_PGM_RSRC2:TGID_X_EN: 1
; COMPUTE_PGM_RSRC2:TGID_Y_EN: 0
; COMPUTE_PGM_RSRC2:TGID_Z_EN: 0
; COMPUTE_PGM_RSRC2:TIDIG_COMP_CNT: 0
; COMPUTE_PGM_RSRC3_GFX90A:ACCUM_OFFSET: 0
; COMPUTE_PGM_RSRC3_GFX90A:TG_SPLIT: 0
	.section	.text._ZN7rocprim17ROCPRIM_400000_NS6detail17trampoline_kernelINS0_13select_configILj256ELj13ELNS0_17block_load_methodE3ELS4_3ELS4_3ELNS0_20block_scan_algorithmE0ELj4294967295EEENS1_25partition_config_selectorILNS1_17partition_subalgoE3EjNS0_10empty_typeEbEEZZNS1_14partition_implILS8_3ELb0ES6_jNS0_17counting_iteratorIjlEEPS9_SE_NS0_5tupleIJPjSE_EEENSF_IJSE_SE_EEES9_SG_JZNS1_25segmented_radix_sort_implINS0_14default_configELb0EPKiPiPKlPlN2at6native12_GLOBAL__N_18offset_tEEE10hipError_tPvRmT1_PNSt15iterator_traitsISY_E10value_typeET2_T3_PNSZ_IS14_E10value_typeET4_jRbjT5_S1A_jjP12ihipStream_tbEUljE_EEESV_SW_SX_S14_S18_S1A_T6_T7_T9_mT8_S1C_bDpT10_ENKUlT_T0_E_clISt17integral_constantIbLb1EES1P_EEDaS1K_S1L_EUlS1K_E_NS1_11comp_targetILNS1_3genE4ELNS1_11target_archE910ELNS1_3gpuE8ELNS1_3repE0EEENS1_30default_config_static_selectorELNS0_4arch9wavefront6targetE1EEEvSY_,"axG",@progbits,_ZN7rocprim17ROCPRIM_400000_NS6detail17trampoline_kernelINS0_13select_configILj256ELj13ELNS0_17block_load_methodE3ELS4_3ELS4_3ELNS0_20block_scan_algorithmE0ELj4294967295EEENS1_25partition_config_selectorILNS1_17partition_subalgoE3EjNS0_10empty_typeEbEEZZNS1_14partition_implILS8_3ELb0ES6_jNS0_17counting_iteratorIjlEEPS9_SE_NS0_5tupleIJPjSE_EEENSF_IJSE_SE_EEES9_SG_JZNS1_25segmented_radix_sort_implINS0_14default_configELb0EPKiPiPKlPlN2at6native12_GLOBAL__N_18offset_tEEE10hipError_tPvRmT1_PNSt15iterator_traitsISY_E10value_typeET2_T3_PNSZ_IS14_E10value_typeET4_jRbjT5_S1A_jjP12ihipStream_tbEUljE_EEESV_SW_SX_S14_S18_S1A_T6_T7_T9_mT8_S1C_bDpT10_ENKUlT_T0_E_clISt17integral_constantIbLb1EES1P_EEDaS1K_S1L_EUlS1K_E_NS1_11comp_targetILNS1_3genE4ELNS1_11target_archE910ELNS1_3gpuE8ELNS1_3repE0EEENS1_30default_config_static_selectorELNS0_4arch9wavefront6targetE1EEEvSY_,comdat
	.globl	_ZN7rocprim17ROCPRIM_400000_NS6detail17trampoline_kernelINS0_13select_configILj256ELj13ELNS0_17block_load_methodE3ELS4_3ELS4_3ELNS0_20block_scan_algorithmE0ELj4294967295EEENS1_25partition_config_selectorILNS1_17partition_subalgoE3EjNS0_10empty_typeEbEEZZNS1_14partition_implILS8_3ELb0ES6_jNS0_17counting_iteratorIjlEEPS9_SE_NS0_5tupleIJPjSE_EEENSF_IJSE_SE_EEES9_SG_JZNS1_25segmented_radix_sort_implINS0_14default_configELb0EPKiPiPKlPlN2at6native12_GLOBAL__N_18offset_tEEE10hipError_tPvRmT1_PNSt15iterator_traitsISY_E10value_typeET2_T3_PNSZ_IS14_E10value_typeET4_jRbjT5_S1A_jjP12ihipStream_tbEUljE_EEESV_SW_SX_S14_S18_S1A_T6_T7_T9_mT8_S1C_bDpT10_ENKUlT_T0_E_clISt17integral_constantIbLb1EES1P_EEDaS1K_S1L_EUlS1K_E_NS1_11comp_targetILNS1_3genE4ELNS1_11target_archE910ELNS1_3gpuE8ELNS1_3repE0EEENS1_30default_config_static_selectorELNS0_4arch9wavefront6targetE1EEEvSY_ ; -- Begin function _ZN7rocprim17ROCPRIM_400000_NS6detail17trampoline_kernelINS0_13select_configILj256ELj13ELNS0_17block_load_methodE3ELS4_3ELS4_3ELNS0_20block_scan_algorithmE0ELj4294967295EEENS1_25partition_config_selectorILNS1_17partition_subalgoE3EjNS0_10empty_typeEbEEZZNS1_14partition_implILS8_3ELb0ES6_jNS0_17counting_iteratorIjlEEPS9_SE_NS0_5tupleIJPjSE_EEENSF_IJSE_SE_EEES9_SG_JZNS1_25segmented_radix_sort_implINS0_14default_configELb0EPKiPiPKlPlN2at6native12_GLOBAL__N_18offset_tEEE10hipError_tPvRmT1_PNSt15iterator_traitsISY_E10value_typeET2_T3_PNSZ_IS14_E10value_typeET4_jRbjT5_S1A_jjP12ihipStream_tbEUljE_EEESV_SW_SX_S14_S18_S1A_T6_T7_T9_mT8_S1C_bDpT10_ENKUlT_T0_E_clISt17integral_constantIbLb1EES1P_EEDaS1K_S1L_EUlS1K_E_NS1_11comp_targetILNS1_3genE4ELNS1_11target_archE910ELNS1_3gpuE8ELNS1_3repE0EEENS1_30default_config_static_selectorELNS0_4arch9wavefront6targetE1EEEvSY_
	.p2align	8
	.type	_ZN7rocprim17ROCPRIM_400000_NS6detail17trampoline_kernelINS0_13select_configILj256ELj13ELNS0_17block_load_methodE3ELS4_3ELS4_3ELNS0_20block_scan_algorithmE0ELj4294967295EEENS1_25partition_config_selectorILNS1_17partition_subalgoE3EjNS0_10empty_typeEbEEZZNS1_14partition_implILS8_3ELb0ES6_jNS0_17counting_iteratorIjlEEPS9_SE_NS0_5tupleIJPjSE_EEENSF_IJSE_SE_EEES9_SG_JZNS1_25segmented_radix_sort_implINS0_14default_configELb0EPKiPiPKlPlN2at6native12_GLOBAL__N_18offset_tEEE10hipError_tPvRmT1_PNSt15iterator_traitsISY_E10value_typeET2_T3_PNSZ_IS14_E10value_typeET4_jRbjT5_S1A_jjP12ihipStream_tbEUljE_EEESV_SW_SX_S14_S18_S1A_T6_T7_T9_mT8_S1C_bDpT10_ENKUlT_T0_E_clISt17integral_constantIbLb1EES1P_EEDaS1K_S1L_EUlS1K_E_NS1_11comp_targetILNS1_3genE4ELNS1_11target_archE910ELNS1_3gpuE8ELNS1_3repE0EEENS1_30default_config_static_selectorELNS0_4arch9wavefront6targetE1EEEvSY_,@function
_ZN7rocprim17ROCPRIM_400000_NS6detail17trampoline_kernelINS0_13select_configILj256ELj13ELNS0_17block_load_methodE3ELS4_3ELS4_3ELNS0_20block_scan_algorithmE0ELj4294967295EEENS1_25partition_config_selectorILNS1_17partition_subalgoE3EjNS0_10empty_typeEbEEZZNS1_14partition_implILS8_3ELb0ES6_jNS0_17counting_iteratorIjlEEPS9_SE_NS0_5tupleIJPjSE_EEENSF_IJSE_SE_EEES9_SG_JZNS1_25segmented_radix_sort_implINS0_14default_configELb0EPKiPiPKlPlN2at6native12_GLOBAL__N_18offset_tEEE10hipError_tPvRmT1_PNSt15iterator_traitsISY_E10value_typeET2_T3_PNSZ_IS14_E10value_typeET4_jRbjT5_S1A_jjP12ihipStream_tbEUljE_EEESV_SW_SX_S14_S18_S1A_T6_T7_T9_mT8_S1C_bDpT10_ENKUlT_T0_E_clISt17integral_constantIbLb1EES1P_EEDaS1K_S1L_EUlS1K_E_NS1_11comp_targetILNS1_3genE4ELNS1_11target_archE910ELNS1_3gpuE8ELNS1_3repE0EEENS1_30default_config_static_selectorELNS0_4arch9wavefront6targetE1EEEvSY_: ; @_ZN7rocprim17ROCPRIM_400000_NS6detail17trampoline_kernelINS0_13select_configILj256ELj13ELNS0_17block_load_methodE3ELS4_3ELS4_3ELNS0_20block_scan_algorithmE0ELj4294967295EEENS1_25partition_config_selectorILNS1_17partition_subalgoE3EjNS0_10empty_typeEbEEZZNS1_14partition_implILS8_3ELb0ES6_jNS0_17counting_iteratorIjlEEPS9_SE_NS0_5tupleIJPjSE_EEENSF_IJSE_SE_EEES9_SG_JZNS1_25segmented_radix_sort_implINS0_14default_configELb0EPKiPiPKlPlN2at6native12_GLOBAL__N_18offset_tEEE10hipError_tPvRmT1_PNSt15iterator_traitsISY_E10value_typeET2_T3_PNSZ_IS14_E10value_typeET4_jRbjT5_S1A_jjP12ihipStream_tbEUljE_EEESV_SW_SX_S14_S18_S1A_T6_T7_T9_mT8_S1C_bDpT10_ENKUlT_T0_E_clISt17integral_constantIbLb1EES1P_EEDaS1K_S1L_EUlS1K_E_NS1_11comp_targetILNS1_3genE4ELNS1_11target_archE910ELNS1_3gpuE8ELNS1_3repE0EEENS1_30default_config_static_selectorELNS0_4arch9wavefront6targetE1EEEvSY_
; %bb.0:
	s_load_dwordx2 s[28:29], s[4:5], 0x10
	s_load_dwordx2 s[24:25], s[4:5], 0x28
	;; [unrolled: 1-line block ×3, first 2 shown]
	s_load_dwordx4 s[20:23], s[4:5], 0x48
	s_load_dword s14, s[4:5], 0x90
	s_load_dwordx2 s[30:31], s[4:5], 0x68
	s_load_dwordx4 s[8:11], s[4:5], 0x80
	v_cmp_eq_u32_e64 s[0:1], 0, v0
	s_and_saveexec_b64 s[2:3], s[0:1]
	s_cbranch_execz .LBB578_4
; %bb.1:
	s_mov_b64 s[12:13], exec
	v_mbcnt_lo_u32_b32 v1, s12, 0
	v_mbcnt_hi_u32_b32 v1, s13, v1
	v_cmp_eq_u32_e32 vcc, 0, v1
                                        ; implicit-def: $vgpr2
	s_and_saveexec_b64 s[6:7], vcc
	s_cbranch_execz .LBB578_3
; %bb.2:
	s_load_dwordx2 s[16:17], s[4:5], 0x78
	s_bcnt1_i32_b64 s12, s[12:13]
	v_mov_b32_e32 v2, 0
	v_mov_b32_e32 v3, s12
	s_waitcnt lgkmcnt(0)
	global_atomic_add v2, v2, v3, s[16:17] glc
.LBB578_3:
	s_or_b64 exec, exec, s[6:7]
	s_waitcnt vmcnt(0)
	v_readfirstlane_b32 s6, v2
	v_add_u32_e32 v1, s6, v1
	v_mov_b32_e32 v2, 0
	ds_write_b32 v2, v1
.LBB578_4:
	s_or_b64 exec, exec, s[2:3]
	v_mov_b32_e32 v1, 0
	s_load_dword s2, s[4:5], 0x8
	s_load_dword s6, s[4:5], 0x70
	s_waitcnt lgkmcnt(0)
	s_barrier
	ds_read_b32 v2, v1
	s_waitcnt lgkmcnt(0)
	s_barrier
	global_load_dwordx2 v[20:21], v1, s[22:23]
	s_add_i32 s7, s2, s28
	s_movk_i32 s2, 0xd00
	s_add_i32 s4, s6, -1
	s_mulk_i32 s6, 0xd00
	v_mul_lo_u32 v1, v2, s2
	s_add_u32 s2, s28, s6
	v_readfirstlane_b32 s40, v2
	s_addc_u32 s3, s29, 0
	s_cmp_eq_u32 s40, s4
	v_pk_mov_b32 v[2:3], s[26:27], s[26:27] op_sel:[0,1]
	s_cselect_b64 s[22:23], -1, 0
	s_cmp_lg_u32 s40, s4
	v_cmp_lt_u64_e32 vcc, s[2:3], v[2:3]
	s_cselect_b64 s[2:3], -1, 0
	s_or_b64 s[4:5], vcc, s[2:3]
	v_add_u32_e32 v2, s7, v1
	s_mov_b64 s[2:3], -1
	s_and_b64 vcc, exec, s[4:5]
	v_add_u32_e32 v2, v2, v0
	v_lshlrev_b32_e32 v34, 2, v0
	s_cbranch_vccz .LBB578_6
; %bb.5:
	v_add_u32_e32 v3, 0x100, v2
	v_add_u32_e32 v4, 0x200, v2
	;; [unrolled: 1-line block ×12, first 2 shown]
	ds_write2st64_b32 v34, v2, v3 offset1:4
	ds_write2st64_b32 v34, v4, v5 offset0:8 offset1:12
	ds_write2st64_b32 v34, v6, v7 offset0:16 offset1:20
	ds_write2st64_b32 v34, v8, v9 offset0:24 offset1:28
	ds_write2st64_b32 v34, v10, v11 offset0:32 offset1:36
	ds_write2st64_b32 v34, v12, v13 offset0:40 offset1:44
	ds_write_b32 v34, v14 offset:12288
	s_waitcnt lgkmcnt(0)
	s_barrier
	s_mov_b64 s[2:3], 0
.LBB578_6:
	s_andn2_b64 vcc, exec, s[2:3]
	s_add_i32 s6, s6, s28
	s_cbranch_vccnz .LBB578_8
; %bb.7:
	v_add_u32_e32 v3, 0x100, v2
	v_add_u32_e32 v4, 0x200, v2
	v_add_u32_e32 v5, 0x300, v2
	v_add_u32_e32 v6, 0x400, v2
	v_add_u32_e32 v7, 0x500, v2
	v_add_u32_e32 v8, 0x600, v2
	v_add_u32_e32 v9, 0x700, v2
	v_add_u32_e32 v10, 0x800, v2
	v_add_u32_e32 v11, 0x900, v2
	v_add_u32_e32 v12, 0xa00, v2
	v_add_u32_e32 v13, 0xb00, v2
	v_add_u32_e32 v14, 0xc00, v2
	ds_write2st64_b32 v34, v2, v3 offset1:4
	ds_write2st64_b32 v34, v4, v5 offset0:8 offset1:12
	ds_write2st64_b32 v34, v6, v7 offset0:16 offset1:20
	;; [unrolled: 1-line block ×5, first 2 shown]
	ds_write_b32 v34, v14 offset:12288
	s_waitcnt lgkmcnt(0)
	s_barrier
.LBB578_8:
	v_mul_u32_u24_e32 v36, 13, v0
	v_lshlrev_b32_e32 v2, 2, v36
	ds_read2_b32 v[32:33], v2 offset1:1
	ds_read2_b32 v[30:31], v2 offset0:2 offset1:3
	ds_read2_b32 v[28:29], v2 offset0:4 offset1:5
	ds_read2_b32 v[26:27], v2 offset0:6 offset1:7
	ds_read2_b32 v[24:25], v2 offset0:8 offset1:9
	ds_read2_b32 v[22:23], v2 offset0:10 offset1:11
	ds_read_b32 v35, v2 offset:48
	v_cndmask_b32_e64 v2, 0, 1, s[4:5]
	s_sub_i32 s33, s26, s6
	v_cmp_ne_u32_e64 s[2:3], 1, v2
	s_andn2_b64 vcc, exec, s[4:5]
	s_waitcnt lgkmcnt(0)
	s_barrier
	s_cbranch_vccnz .LBB578_10
; %bb.9:
	v_add_u32_e32 v2, s9, v32
	v_add_u32_e32 v3, s11, v32
	v_mul_lo_u32 v2, v2, s8
	v_mul_lo_u32 v3, v3, s10
	v_sub_u32_e32 v2, v2, v3
	v_add_u32_e32 v3, s9, v33
	v_add_u32_e32 v4, s11, v33
	v_mul_lo_u32 v3, v3, s8
	v_mul_lo_u32 v4, v4, s10
	v_sub_u32_e32 v3, v3, v4
	;; [unrolled: 5-line block ×6, first 2 shown]
	v_add_u32_e32 v8, s9, v26
	v_add_u32_e32 v9, s11, v26
	v_mul_lo_u32 v8, v8, s8
	v_mul_lo_u32 v9, v9, s10
	v_cmp_lt_u32_e32 vcc, s14, v2
	v_sub_u32_e32 v8, v8, v9
	v_add_u32_e32 v9, s9, v27
	v_add_u32_e32 v10, s11, v27
	v_cndmask_b32_e64 v2, 0, 1, vcc
	v_cmp_lt_u32_e32 vcc, s14, v3
	v_mul_lo_u32 v9, v9, s8
	v_mul_lo_u32 v10, v10, s10
	v_cndmask_b32_e64 v3, 0, 1, vcc
	v_cmp_lt_u32_e32 vcc, s14, v4
	v_sub_u32_e32 v9, v9, v10
	v_add_u32_e32 v10, s9, v24
	v_add_u32_e32 v11, s11, v24
	v_cndmask_b32_e64 v4, 0, 1, vcc
	v_cmp_lt_u32_e32 vcc, s14, v5
	v_mul_lo_u32 v10, v10, s8
	v_mul_lo_u32 v11, v11, s10
	v_cndmask_b32_e64 v5, 0, 1, vcc
	v_cmp_lt_u32_e32 vcc, s14, v6
	v_sub_u32_e32 v10, v10, v11
	v_add_u32_e32 v11, s9, v25
	v_add_u32_e32 v12, s11, v25
	v_cndmask_b32_e64 v6, 0, 1, vcc
	v_cmp_lt_u32_e32 vcc, s14, v7
	v_mul_lo_u32 v11, v11, s8
	v_mul_lo_u32 v12, v12, s10
	v_cndmask_b32_e64 v7, 0, 1, vcc
	v_cmp_lt_u32_e32 vcc, s14, v8
	v_sub_u32_e32 v11, v11, v12
	v_add_u32_e32 v12, s9, v22
	v_add_u32_e32 v13, s11, v22
	v_cndmask_b32_e64 v8, 0, 1, vcc
	v_cmp_lt_u32_e32 vcc, s14, v9
	v_mul_lo_u32 v12, v12, s8
	v_mul_lo_u32 v13, v13, s10
	v_cndmask_b32_e64 v9, 0, 1, vcc
	v_cmp_lt_u32_e32 vcc, s14, v10
	v_sub_u32_e32 v12, v12, v13
	v_add_u32_e32 v13, s9, v23
	v_add_u32_e32 v14, s11, v23
	v_lshlrev_b16_e32 v3, 8, v3
	v_cndmask_b32_e64 v10, 0, 1, vcc
	v_cmp_lt_u32_e32 vcc, s14, v11
	v_mul_lo_u32 v13, v13, s8
	v_mul_lo_u32 v14, v14, s10
	v_or_b32_e32 v2, v2, v3
	v_lshlrev_b16_e32 v3, 8, v5
	v_cndmask_b32_e64 v11, 0, 1, vcc
	v_cmp_lt_u32_e32 vcc, s14, v12
	v_sub_u32_e32 v13, v13, v14
	v_or_b32_sdwa v3, v4, v3 dst_sel:WORD_1 dst_unused:UNUSED_PAD src0_sel:DWORD src1_sel:DWORD
	v_cndmask_b32_e64 v12, 0, 1, vcc
	v_cmp_lt_u32_e32 vcc, s14, v13
	v_add_u32_e32 v14, s9, v35
	v_add_u32_e32 v15, s11, v35
	v_or_b32_sdwa v40, v2, v3 dst_sel:DWORD dst_unused:UNUSED_PAD src0_sel:WORD_0 src1_sel:DWORD
	v_lshlrev_b16_e32 v2, 8, v7
	v_lshlrev_b16_e32 v3, 8, v9
	v_cndmask_b32_e64 v13, 0, 1, vcc
	v_mul_lo_u32 v14, v14, s8
	v_mul_lo_u32 v15, v15, s10
	v_or_b32_e32 v2, v6, v2
	v_or_b32_sdwa v3, v8, v3 dst_sel:WORD_1 dst_unused:UNUSED_PAD src0_sel:DWORD src1_sel:DWORD
	v_sub_u32_e32 v14, v14, v15
	v_or_b32_sdwa v39, v2, v3 dst_sel:DWORD dst_unused:UNUSED_PAD src0_sel:WORD_0 src1_sel:DWORD
	v_lshlrev_b16_e32 v2, 8, v11
	v_lshlrev_b16_e32 v3, 8, v13
	v_cmp_lt_u32_e32 vcc, s14, v14
	v_or_b32_e32 v2, v10, v2
	v_or_b32_sdwa v3, v12, v3 dst_sel:WORD_1 dst_unused:UNUSED_PAD src0_sel:DWORD src1_sel:DWORD
	v_cndmask_b32_e64 v37, 0, 1, vcc
	v_or_b32_sdwa v38, v2, v3 dst_sel:DWORD dst_unused:UNUSED_PAD src0_sel:WORD_0 src1_sel:DWORD
	s_addk_i32 s33, 0xd00
	s_cbranch_execz .LBB578_11
	s_branch .LBB578_38
.LBB578_10:
                                        ; implicit-def: $vgpr37
                                        ; implicit-def: $vgpr38
                                        ; implicit-def: $vgpr39
                                        ; implicit-def: $vgpr40
	s_addk_i32 s33, 0xd00
.LBB578_11:
	v_cmp_gt_u32_e32 vcc, s33, v36
	v_mov_b32_e32 v3, 0
	v_mov_b32_e32 v2, 0
	s_and_saveexec_b64 s[4:5], vcc
; %bb.12:
	v_add_u32_e32 v2, s9, v32
	v_add_u32_e32 v4, s11, v32
	v_mul_lo_u32 v2, v2, s8
	v_mul_lo_u32 v4, v4, s10
	v_sub_u32_e32 v2, v2, v4
	v_cmp_lt_u32_e32 vcc, s14, v2
	v_cndmask_b32_e64 v2, 0, 1, vcc
; %bb.13:
	s_or_b64 exec, exec, s[4:5]
	v_add_u32_e32 v4, 1, v36
	v_cmp_gt_u32_e32 vcc, s33, v4
	s_and_saveexec_b64 s[4:5], vcc
; %bb.14:
	v_add_u32_e32 v3, s9, v33
	v_add_u32_e32 v4, s11, v33
	v_mul_lo_u32 v3, v3, s8
	v_mul_lo_u32 v4, v4, s10
	v_sub_u32_e32 v3, v3, v4
	v_cmp_lt_u32_e32 vcc, s14, v3
	v_cndmask_b32_e64 v3, 0, 1, vcc
; %bb.15:
	s_or_b64 exec, exec, s[4:5]
	v_add_u32_e32 v4, 2, v36
	v_cmp_gt_u32_e32 vcc, s33, v4
	v_mov_b32_e32 v5, 0
	v_mov_b32_e32 v4, 0
	s_and_saveexec_b64 s[4:5], vcc
; %bb.16:
	v_add_u32_e32 v4, s9, v30
	v_add_u32_e32 v6, s11, v30
	v_mul_lo_u32 v4, v4, s8
	v_mul_lo_u32 v6, v6, s10
	v_sub_u32_e32 v4, v4, v6
	v_cmp_lt_u32_e32 vcc, s14, v4
	v_cndmask_b32_e64 v4, 0, 1, vcc
; %bb.17:
	s_or_b64 exec, exec, s[4:5]
	v_add_u32_e32 v6, 3, v36
	v_cmp_gt_u32_e32 vcc, s33, v6
	s_and_saveexec_b64 s[4:5], vcc
; %bb.18:
	v_add_u32_e32 v5, s9, v31
	v_add_u32_e32 v6, s11, v31
	v_mul_lo_u32 v5, v5, s8
	v_mul_lo_u32 v6, v6, s10
	v_sub_u32_e32 v5, v5, v6
	v_cmp_lt_u32_e32 vcc, s14, v5
	v_cndmask_b32_e64 v5, 0, 1, vcc
; %bb.19:
	s_or_b64 exec, exec, s[4:5]
	v_add_u32_e32 v6, 4, v36
	;; [unrolled: 28-line block ×6, first 2 shown]
	v_cmp_gt_u32_e32 vcc, s33, v14
	v_mov_b32_e32 v37, 0
	s_and_saveexec_b64 s[4:5], vcc
; %bb.36:
	v_add_u32_e32 v14, s9, v35
	v_add_u32_e32 v15, s11, v35
	v_mul_lo_u32 v14, v14, s8
	v_mul_lo_u32 v15, v15, s10
	v_sub_u32_e32 v14, v14, v15
	v_cmp_lt_u32_e32 vcc, s14, v14
	v_cndmask_b32_e64 v37, 0, 1, vcc
; %bb.37:
	s_or_b64 exec, exec, s[4:5]
	v_lshlrev_b16_e32 v3, 8, v3
	v_or_b32_e32 v2, v2, v3
	v_lshlrev_b16_e32 v3, 8, v5
	v_or_b32_sdwa v3, v4, v3 dst_sel:WORD_1 dst_unused:UNUSED_PAD src0_sel:DWORD src1_sel:DWORD
	v_or_b32_sdwa v40, v2, v3 dst_sel:DWORD dst_unused:UNUSED_PAD src0_sel:WORD_0 src1_sel:DWORD
	v_lshlrev_b16_e32 v2, 8, v7
	v_lshlrev_b16_e32 v3, 8, v9
	v_or_b32_e32 v2, v6, v2
	v_or_b32_sdwa v3, v8, v3 dst_sel:WORD_1 dst_unused:UNUSED_PAD src0_sel:DWORD src1_sel:DWORD
	v_or_b32_sdwa v39, v2, v3 dst_sel:DWORD dst_unused:UNUSED_PAD src0_sel:WORD_0 src1_sel:DWORD
	v_lshlrev_b16_e32 v2, 8, v11
	v_lshlrev_b16_e32 v3, 8, v13
	v_or_b32_e32 v2, v10, v2
	v_or_b32_sdwa v3, v12, v3 dst_sel:WORD_1 dst_unused:UNUSED_PAD src0_sel:DWORD src1_sel:DWORD
	v_or_b32_sdwa v38, v2, v3 dst_sel:DWORD dst_unused:UNUSED_PAD src0_sel:WORD_0 src1_sel:DWORD
.LBB578_38:
	v_and_b32_e32 v44, 0xff, v40
	v_bfe_u32 v45, v40, 8, 8
	v_bfe_u32 v46, v40, 16, 8
	v_lshrrev_b32_e32 v43, 24, v40
	v_and_b32_e32 v47, 0xff, v39
	v_add3_u32 v3, v45, v44, v46
	v_bfe_u32 v48, v39, 8, 8
	v_bfe_u32 v49, v39, 16, 8
	v_add3_u32 v3, v3, v43, v47
	v_lshrrev_b32_e32 v42, 24, v39
	v_and_b32_e32 v50, 0xff, v38
	v_add3_u32 v3, v3, v48, v49
	v_bfe_u32 v51, v38, 8, 8
	v_bfe_u32 v52, v38, 16, 8
	v_add3_u32 v3, v3, v42, v50
	v_lshrrev_b32_e32 v41, 24, v38
	v_and_b32_e32 v2, 0xff, v37
	v_add3_u32 v3, v3, v51, v52
	v_add3_u32 v55, v3, v41, v2
	v_mbcnt_lo_u32_b32 v2, -1, 0
	v_mbcnt_hi_u32_b32 v53, -1, v2
	v_and_b32_e32 v2, 15, v53
	v_cmp_eq_u32_e64 s[16:17], 0, v2
	v_cmp_lt_u32_e64 s[14:15], 1, v2
	v_cmp_lt_u32_e64 s[12:13], 3, v2
	;; [unrolled: 1-line block ×3, first 2 shown]
	v_and_b32_e32 v2, 16, v53
	v_cmp_eq_u32_e64 s[8:9], 0, v2
	v_or_b32_e32 v2, 63, v0
	s_cmp_lg_u32 s40, 0
	v_cmp_lt_u32_e64 s[4:5], 31, v53
	v_lshrrev_b32_e32 v54, 6, v0
	v_cmp_eq_u32_e64 s[6:7], v2, v0
	s_cbranch_scc0 .LBB578_69
; %bb.39:
	v_mov_b32_dpp v2, v55 row_shr:1 row_mask:0xf bank_mask:0xf
	v_cndmask_b32_e64 v2, v2, 0, s[16:17]
	v_add_u32_e32 v2, v2, v55
	s_nop 1
	v_mov_b32_dpp v3, v2 row_shr:2 row_mask:0xf bank_mask:0xf
	v_cndmask_b32_e64 v3, 0, v3, s[14:15]
	v_add_u32_e32 v2, v2, v3
	s_nop 1
	;; [unrolled: 4-line block ×4, first 2 shown]
	v_mov_b32_dpp v3, v2 row_bcast:15 row_mask:0xf bank_mask:0xf
	v_cndmask_b32_e64 v3, v3, 0, s[8:9]
	v_add_u32_e32 v2, v2, v3
	s_nop 1
	v_mov_b32_dpp v3, v2 row_bcast:31 row_mask:0xf bank_mask:0xf
	v_cndmask_b32_e64 v3, 0, v3, s[4:5]
	v_add_u32_e32 v2, v2, v3
	s_and_saveexec_b64 s[18:19], s[6:7]
	s_cbranch_execz .LBB578_41
; %bb.40:
	v_lshlrev_b32_e32 v3, 2, v54
	ds_write_b32 v3, v2
.LBB578_41:
	s_or_b64 exec, exec, s[18:19]
	v_cmp_gt_u32_e32 vcc, 4, v0
	s_waitcnt lgkmcnt(0)
	s_barrier
	s_and_saveexec_b64 s[18:19], vcc
	s_cbranch_execz .LBB578_43
; %bb.42:
	ds_read_b32 v3, v34
	v_and_b32_e32 v4, 3, v53
	v_cmp_ne_u32_e32 vcc, 0, v4
	s_waitcnt lgkmcnt(0)
	v_mov_b32_dpp v5, v3 row_shr:1 row_mask:0xf bank_mask:0xf
	v_cndmask_b32_e32 v5, 0, v5, vcc
	v_add_u32_e32 v3, v5, v3
	v_cmp_lt_u32_e32 vcc, 1, v4
	s_nop 0
	v_mov_b32_dpp v5, v3 row_shr:2 row_mask:0xf bank_mask:0xf
	v_cndmask_b32_e32 v4, 0, v5, vcc
	v_add_u32_e32 v3, v3, v4
	ds_write_b32 v34, v3
.LBB578_43:
	s_or_b64 exec, exec, s[18:19]
	v_cmp_gt_u32_e32 vcc, 64, v0
	v_cmp_lt_u32_e64 s[18:19], 63, v0
	s_waitcnt lgkmcnt(0)
	s_barrier
	s_waitcnt lgkmcnt(0)
                                        ; implicit-def: $vgpr12
	s_and_saveexec_b64 s[34:35], s[18:19]
	s_cbranch_execz .LBB578_45
; %bb.44:
	v_lshl_add_u32 v3, v54, 2, -4
	ds_read_b32 v12, v3
	s_waitcnt lgkmcnt(0)
	v_add_u32_e32 v2, v12, v2
.LBB578_45:
	s_or_b64 exec, exec, s[34:35]
	v_add_u32_e32 v3, -1, v53
	v_and_b32_e32 v4, 64, v53
	v_cmp_lt_i32_e64 s[18:19], v3, v4
	v_cndmask_b32_e64 v3, v3, v53, s[18:19]
	v_lshlrev_b32_e32 v3, 2, v3
	ds_bpermute_b32 v13, v3, v2
	v_cmp_eq_u32_e64 s[18:19], 0, v53
	s_and_saveexec_b64 s[34:35], vcc
	s_cbranch_execz .LBB578_68
; %bb.46:
	v_mov_b32_e32 v11, 0
	ds_read_b32 v2, v11 offset:12
	s_and_saveexec_b64 s[36:37], s[18:19]
	s_cbranch_execz .LBB578_48
; %bb.47:
	s_add_i32 s38, s40, 64
	s_mov_b32 s39, 0
	s_lshl_b64 s[38:39], s[38:39], 3
	s_add_u32 s38, s30, s38
	v_mov_b32_e32 v3, 1
	s_addc_u32 s39, s31, s39
	s_waitcnt lgkmcnt(0)
	global_store_dwordx2 v11, v[2:3], s[38:39]
.LBB578_48:
	s_or_b64 exec, exec, s[36:37]
	v_xad_u32 v4, v53, -1, s40
	v_add_u32_e32 v10, 64, v4
	v_lshlrev_b64 v[6:7], 3, v[10:11]
	v_mov_b32_e32 v3, s31
	v_add_co_u32_e32 v6, vcc, s30, v6
	v_addc_co_u32_e32 v7, vcc, v3, v7, vcc
	global_load_dwordx2 v[8:9], v[6:7], off glc
	s_waitcnt vmcnt(0)
	v_cmp_eq_u16_sdwa s[38:39], v9, v11 src0_sel:BYTE_0 src1_sel:DWORD
	s_and_saveexec_b64 s[36:37], s[38:39]
	s_cbranch_execz .LBB578_54
; %bb.49:
	s_mov_b32 s41, 1
	s_mov_b64 s[38:39], 0
	v_mov_b32_e32 v3, 0
.LBB578_50:                             ; =>This Loop Header: Depth=1
                                        ;     Child Loop BB578_51 Depth 2
	s_max_u32 s42, s41, 1
.LBB578_51:                             ;   Parent Loop BB578_50 Depth=1
                                        ; =>  This Inner Loop Header: Depth=2
	s_add_i32 s42, s42, -1
	s_cmp_eq_u32 s42, 0
	s_sleep 1
	s_cbranch_scc0 .LBB578_51
; %bb.52:                               ;   in Loop: Header=BB578_50 Depth=1
	global_load_dwordx2 v[8:9], v[6:7], off glc
	s_cmp_lt_u32 s41, 32
	s_cselect_b64 s[42:43], -1, 0
	s_cmp_lg_u64 s[42:43], 0
	s_addc_u32 s41, s41, 0
	s_waitcnt vmcnt(0)
	v_cmp_ne_u16_sdwa s[42:43], v9, v3 src0_sel:BYTE_0 src1_sel:DWORD
	s_or_b64 s[38:39], s[42:43], s[38:39]
	s_andn2_b64 exec, exec, s[38:39]
	s_cbranch_execnz .LBB578_50
; %bb.53:
	s_or_b64 exec, exec, s[38:39]
.LBB578_54:
	s_or_b64 exec, exec, s[36:37]
	v_and_b32_e32 v14, 63, v53
	v_mov_b32_e32 v3, 2
	v_cmp_ne_u32_e32 vcc, 63, v14
	v_cmp_eq_u16_sdwa s[36:37], v9, v3 src0_sel:BYTE_0 src1_sel:DWORD
	v_lshlrev_b64 v[6:7], v53, -1
	v_addc_co_u32_e32 v11, vcc, 0, v53, vcc
	v_and_b32_e32 v5, s37, v7
	v_lshlrev_b32_e32 v15, 2, v11
	v_or_b32_e32 v5, 0x80000000, v5
	ds_bpermute_b32 v11, v15, v8
	v_and_b32_e32 v10, s36, v6
	v_ffbl_b32_e32 v5, v5
	v_add_u32_e32 v5, 32, v5
	v_ffbl_b32_e32 v10, v10
	v_min_u32_e32 v5, v10, v5
	v_cmp_lt_u32_e32 vcc, v14, v5
	s_waitcnt lgkmcnt(0)
	v_cndmask_b32_e32 v10, 0, v11, vcc
	v_cmp_gt_u32_e32 vcc, 62, v14
	v_add_u32_e32 v8, v10, v8
	v_cndmask_b32_e64 v10, 0, 1, vcc
	v_lshlrev_b32_e32 v10, 1, v10
	v_add_lshl_u32 v16, v10, v53, 2
	ds_bpermute_b32 v10, v16, v8
	v_add_u32_e32 v17, 2, v14
	v_cmp_le_u32_e32 vcc, v17, v5
	v_add_u32_e32 v19, 4, v14
	v_add_u32_e32 v57, 8, v14
	s_waitcnt lgkmcnt(0)
	v_cndmask_b32_e32 v10, 0, v10, vcc
	v_cmp_gt_u32_e32 vcc, 60, v14
	v_add_u32_e32 v8, v8, v10
	v_cndmask_b32_e64 v10, 0, 1, vcc
	v_lshlrev_b32_e32 v10, 2, v10
	v_add_lshl_u32 v18, v10, v53, 2
	ds_bpermute_b32 v10, v18, v8
	v_cmp_le_u32_e32 vcc, v19, v5
	v_add_u32_e32 v60, 16, v14
	v_add_u32_e32 v62, 32, v14
	s_waitcnt lgkmcnt(0)
	v_cndmask_b32_e32 v10, 0, v10, vcc
	v_cmp_gt_u32_e32 vcc, 56, v14
	v_add_u32_e32 v8, v8, v10
	v_cndmask_b32_e64 v10, 0, 1, vcc
	v_lshlrev_b32_e32 v10, 3, v10
	v_add_lshl_u32 v56, v10, v53, 2
	ds_bpermute_b32 v10, v56, v8
	v_cmp_le_u32_e32 vcc, v57, v5
	s_waitcnt lgkmcnt(0)
	v_cndmask_b32_e32 v10, 0, v10, vcc
	v_cmp_gt_u32_e32 vcc, 48, v14
	v_add_u32_e32 v8, v8, v10
	v_cndmask_b32_e64 v10, 0, 1, vcc
	v_lshlrev_b32_e32 v10, 4, v10
	v_add_lshl_u32 v59, v10, v53, 2
	ds_bpermute_b32 v10, v59, v8
	v_cmp_le_u32_e32 vcc, v60, v5
	;; [unrolled: 9-line block ×3, first 2 shown]
	s_waitcnt lgkmcnt(0)
	v_cndmask_b32_e32 v5, 0, v10, vcc
	v_add_u32_e32 v8, v8, v5
	v_mov_b32_e32 v5, 0
	s_branch .LBB578_56
.LBB578_55:                             ;   in Loop: Header=BB578_56 Depth=1
	s_or_b64 exec, exec, s[36:37]
	v_cmp_eq_u16_sdwa s[36:37], v9, v3 src0_sel:BYTE_0 src1_sel:DWORD
	v_and_b32_e32 v10, s37, v7
	v_or_b32_e32 v10, 0x80000000, v10
	ds_bpermute_b32 v63, v15, v8
	v_and_b32_e32 v11, s36, v6
	v_ffbl_b32_e32 v10, v10
	v_add_u32_e32 v10, 32, v10
	v_ffbl_b32_e32 v11, v11
	v_min_u32_e32 v10, v11, v10
	v_cmp_lt_u32_e32 vcc, v14, v10
	s_waitcnt lgkmcnt(0)
	v_cndmask_b32_e32 v11, 0, v63, vcc
	v_add_u32_e32 v8, v11, v8
	ds_bpermute_b32 v11, v16, v8
	v_cmp_le_u32_e32 vcc, v17, v10
	v_subrev_u32_e32 v4, 64, v4
	s_waitcnt lgkmcnt(0)
	v_cndmask_b32_e32 v11, 0, v11, vcc
	v_add_u32_e32 v8, v8, v11
	ds_bpermute_b32 v11, v18, v8
	v_cmp_le_u32_e32 vcc, v19, v10
	s_waitcnt lgkmcnt(0)
	v_cndmask_b32_e32 v11, 0, v11, vcc
	v_add_u32_e32 v8, v8, v11
	ds_bpermute_b32 v11, v56, v8
	v_cmp_le_u32_e32 vcc, v57, v10
	;; [unrolled: 5-line block ×4, first 2 shown]
	s_waitcnt lgkmcnt(0)
	v_cndmask_b32_e32 v10, 0, v11, vcc
	v_add3_u32 v8, v10, v58, v8
.LBB578_56:                             ; =>This Loop Header: Depth=1
                                        ;     Child Loop BB578_59 Depth 2
                                        ;       Child Loop BB578_60 Depth 3
	v_cmp_ne_u16_sdwa s[36:37], v9, v3 src0_sel:BYTE_0 src1_sel:DWORD
	v_cndmask_b32_e64 v9, 0, 1, s[36:37]
	;;#ASMSTART
	;;#ASMEND
	v_cmp_ne_u32_e32 vcc, 0, v9
	s_cmp_lg_u64 vcc, exec
	v_mov_b32_e32 v58, v8
	s_cbranch_scc1 .LBB578_63
; %bb.57:                               ;   in Loop: Header=BB578_56 Depth=1
	v_lshlrev_b64 v[8:9], 3, v[4:5]
	v_mov_b32_e32 v11, s31
	v_add_co_u32_e32 v10, vcc, s30, v8
	v_addc_co_u32_e32 v11, vcc, v11, v9, vcc
	global_load_dwordx2 v[8:9], v[10:11], off glc
	s_waitcnt vmcnt(0)
	v_cmp_eq_u16_sdwa s[38:39], v9, v5 src0_sel:BYTE_0 src1_sel:DWORD
	s_and_saveexec_b64 s[36:37], s[38:39]
	s_cbranch_execz .LBB578_55
; %bb.58:                               ;   in Loop: Header=BB578_56 Depth=1
	s_mov_b32 s41, 1
	s_mov_b64 s[38:39], 0
.LBB578_59:                             ;   Parent Loop BB578_56 Depth=1
                                        ; =>  This Loop Header: Depth=2
                                        ;       Child Loop BB578_60 Depth 3
	s_max_u32 s42, s41, 1
.LBB578_60:                             ;   Parent Loop BB578_56 Depth=1
                                        ;     Parent Loop BB578_59 Depth=2
                                        ; =>    This Inner Loop Header: Depth=3
	s_add_i32 s42, s42, -1
	s_cmp_eq_u32 s42, 0
	s_sleep 1
	s_cbranch_scc0 .LBB578_60
; %bb.61:                               ;   in Loop: Header=BB578_59 Depth=2
	global_load_dwordx2 v[8:9], v[10:11], off glc
	s_cmp_lt_u32 s41, 32
	s_cselect_b64 s[42:43], -1, 0
	s_cmp_lg_u64 s[42:43], 0
	s_addc_u32 s41, s41, 0
	s_waitcnt vmcnt(0)
	v_cmp_ne_u16_sdwa s[42:43], v9, v5 src0_sel:BYTE_0 src1_sel:DWORD
	s_or_b64 s[38:39], s[42:43], s[38:39]
	s_andn2_b64 exec, exec, s[38:39]
	s_cbranch_execnz .LBB578_59
; %bb.62:                               ;   in Loop: Header=BB578_56 Depth=1
	s_or_b64 exec, exec, s[38:39]
	s_branch .LBB578_55
.LBB578_63:                             ;   in Loop: Header=BB578_56 Depth=1
                                        ; implicit-def: $vgpr8
                                        ; implicit-def: $vgpr9
	s_cbranch_execz .LBB578_56
; %bb.64:
	s_and_saveexec_b64 s[36:37], s[18:19]
	s_cbranch_execz .LBB578_66
; %bb.65:
	s_add_i32 s38, s40, 64
	s_mov_b32 s39, 0
	s_lshl_b64 s[38:39], s[38:39], 3
	s_add_u32 s38, s30, s38
	v_add_u32_e32 v4, v58, v2
	v_mov_b32_e32 v5, 2
	s_addc_u32 s39, s31, s39
	v_mov_b32_e32 v3, 0
	global_store_dwordx2 v3, v[4:5], s[38:39]
	s_movk_i32 s38, 0x3400
	v_add_u32_e64 v3, s38, 0
	ds_write2_b32 v3, v2, v58 offset1:2
.LBB578_66:
	s_or_b64 exec, exec, s[36:37]
	s_and_b64 exec, exec, s[0:1]
	s_cbranch_execz .LBB578_68
; %bb.67:
	v_mov_b32_e32 v2, 0
	ds_write_b32 v2, v58 offset:12
.LBB578_68:
	s_or_b64 exec, exec, s[34:35]
	v_mov_b32_e32 v2, 0
	s_waitcnt lgkmcnt(0)
	s_barrier
	ds_read_b32 v2, v2 offset:12
	v_cndmask_b32_e64 v3, v13, v12, s[18:19]
	v_cndmask_b32_e64 v3, v3, 0, s[0:1]
	s_movk_i32 s18, 0x3400
	v_add_u32_e64 v12, s18, 0
	s_waitcnt lgkmcnt(0)
	v_add_u32_e32 v2, v2, v3
	v_add_u32_e32 v3, v2, v44
	;; [unrolled: 1-line block ×9, first 2 shown]
	s_barrier
	ds_read2_b32 v[18:19], v12 offset1:2
	v_add_u32_e32 v11, v10, v50
	v_add_u32_e32 v12, v11, v51
	;; [unrolled: 1-line block ×4, first 2 shown]
	s_branch .LBB578_79
.LBB578_69:
                                        ; implicit-def: $vgpr19
                                        ; implicit-def: $vgpr2_vgpr3_vgpr4_vgpr5_vgpr6_vgpr7_vgpr8_vgpr9_vgpr10_vgpr11_vgpr12_vgpr13_vgpr14_vgpr15_vgpr16_vgpr17
	s_cbranch_execz .LBB578_79
; %bb.70:
	s_nop 0
	v_mov_b32_dpp v2, v55 row_shr:1 row_mask:0xf bank_mask:0xf
	v_cndmask_b32_e64 v2, v2, 0, s[16:17]
	v_add_u32_e32 v2, v2, v55
	s_nop 1
	v_mov_b32_dpp v3, v2 row_shr:2 row_mask:0xf bank_mask:0xf
	v_cndmask_b32_e64 v3, 0, v3, s[14:15]
	v_add_u32_e32 v2, v2, v3
	;; [unrolled: 4-line block ×4, first 2 shown]
	s_nop 1
	v_mov_b32_dpp v3, v2 row_bcast:15 row_mask:0xf bank_mask:0xf
	v_cndmask_b32_e64 v3, v3, 0, s[8:9]
	v_add_u32_e32 v2, v2, v3
	s_nop 1
	v_mov_b32_dpp v3, v2 row_bcast:31 row_mask:0xf bank_mask:0xf
	v_cndmask_b32_e64 v3, 0, v3, s[4:5]
	v_add_u32_e32 v2, v2, v3
	s_and_saveexec_b64 s[4:5], s[6:7]
	s_cbranch_execz .LBB578_72
; %bb.71:
	v_lshlrev_b32_e32 v3, 2, v54
	ds_write_b32 v3, v2
.LBB578_72:
	s_or_b64 exec, exec, s[4:5]
	v_cmp_gt_u32_e32 vcc, 4, v0
	s_waitcnt lgkmcnt(0)
	s_barrier
	s_and_saveexec_b64 s[4:5], vcc
	s_cbranch_execz .LBB578_74
; %bb.73:
	ds_read_b32 v3, v34
	v_and_b32_e32 v4, 3, v53
	v_cmp_ne_u32_e32 vcc, 0, v4
	s_waitcnt lgkmcnt(0)
	v_mov_b32_dpp v5, v3 row_shr:1 row_mask:0xf bank_mask:0xf
	v_cndmask_b32_e32 v5, 0, v5, vcc
	v_add_u32_e32 v3, v5, v3
	v_cmp_lt_u32_e32 vcc, 1, v4
	s_nop 0
	v_mov_b32_dpp v5, v3 row_shr:2 row_mask:0xf bank_mask:0xf
	v_cndmask_b32_e32 v4, 0, v5, vcc
	v_add_u32_e32 v3, v3, v4
	ds_write_b32 v34, v3
.LBB578_74:
	s_or_b64 exec, exec, s[4:5]
	v_cmp_lt_u32_e32 vcc, 63, v0
	v_mov_b32_e32 v4, 0
	v_mov_b32_e32 v3, 0
	s_waitcnt lgkmcnt(0)
	s_barrier
	s_and_saveexec_b64 s[4:5], vcc
	s_cbranch_execz .LBB578_76
; %bb.75:
	v_lshl_add_u32 v3, v54, 2, -4
	ds_read_b32 v3, v3
.LBB578_76:
	s_or_b64 exec, exec, s[4:5]
	v_add_u32_e32 v5, -1, v53
	v_and_b32_e32 v6, 64, v53
	v_cmp_lt_i32_e32 vcc, v5, v6
	v_cndmask_b32_e32 v5, v5, v53, vcc
	s_waitcnt lgkmcnt(0)
	v_add_u32_e32 v2, v3, v2
	v_lshlrev_b32_e32 v5, 2, v5
	ds_bpermute_b32 v2, v5, v2
	ds_read_b32 v18, v4 offset:12
	s_and_saveexec_b64 s[4:5], s[0:1]
	s_cbranch_execz .LBB578_78
; %bb.77:
	v_mov_b32_e32 v4, 0
	v_mov_b32_e32 v19, 2
	s_waitcnt lgkmcnt(0)
	global_store_dwordx2 v4, v[18:19], s[30:31] offset:512
.LBB578_78:
	s_or_b64 exec, exec, s[4:5]
	v_cmp_eq_u32_e32 vcc, 0, v53
	s_waitcnt lgkmcnt(1)
	v_cndmask_b32_e32 v2, v2, v3, vcc
	v_cndmask_b32_e64 v2, v2, 0, s[0:1]
	v_add_u32_e32 v3, v2, v44
	v_add_u32_e32 v4, v3, v45
	;; [unrolled: 1-line block ×11, first 2 shown]
	v_mov_b32_e32 v19, 0
	v_add_u32_e32 v14, v13, v41
	s_waitcnt lgkmcnt(0)
	s_barrier
.LBB578_79:
	s_waitcnt lgkmcnt(0)
	v_add_u32_e32 v36, v18, v36
	v_sub_u32_e32 v2, v2, v19
	v_and_b32_e32 v45, 1, v40
	v_sub_u32_e32 v44, v36, v2
	v_cmp_eq_u32_e32 vcc, 1, v45
	v_cndmask_b32_e32 v2, v44, v2, vcc
	v_lshlrev_b32_e32 v2, 2, v2
	v_lshrrev_b32_e32 v17, 8, v40
	ds_write_b32 v2, v32
	v_sub_u32_e32 v2, v3, v19
	v_sub_u32_e32 v3, v36, v2
	v_and_b32_e32 v17, 1, v17
	v_add_u32_e32 v3, 1, v3
	v_cmp_eq_u32_e32 vcc, 1, v17
	v_cndmask_b32_e32 v2, v3, v2, vcc
	v_lshlrev_b32_e32 v2, 2, v2
	ds_write_b32 v2, v33
	v_sub_u32_e32 v2, v4, v19
	v_mov_b32_e32 v4, 1
	v_sub_u32_e32 v3, v36, v2
	v_and_b32_sdwa v17, v4, v40 dst_sel:DWORD dst_unused:UNUSED_PAD src0_sel:DWORD src1_sel:WORD_1
	v_add_u32_e32 v3, 2, v3
	v_cmp_eq_u32_e32 vcc, 1, v17
	v_cndmask_b32_e32 v2, v3, v2, vcc
	v_lshlrev_b32_e32 v2, 2, v2
	ds_write_b32 v2, v30
	v_sub_u32_e32 v2, v5, v19
	v_sub_u32_e32 v3, v36, v2
	v_and_b32_e32 v5, 1, v43
	v_add_u32_e32 v3, 3, v3
	v_cmp_eq_u32_e32 vcc, 1, v5
	v_cndmask_b32_e32 v2, v3, v2, vcc
	v_lshlrev_b32_e32 v2, 2, v2
	ds_write_b32 v2, v31
	v_sub_u32_e32 v2, v6, v19
	v_sub_u32_e32 v3, v36, v2
	v_and_b32_e32 v5, 1, v39
	v_add_u32_e32 v3, 4, v3
	v_cmp_eq_u32_e32 vcc, 1, v5
	v_cndmask_b32_e32 v2, v3, v2, vcc
	v_lshlrev_b32_e32 v2, 2, v2
	v_lshrrev_b32_e32 v16, 8, v39
	ds_write_b32 v2, v28
	v_sub_u32_e32 v2, v7, v19
	v_sub_u32_e32 v3, v36, v2
	v_and_b32_e32 v5, 1, v16
	v_add_u32_e32 v3, 5, v3
	v_cmp_eq_u32_e32 vcc, 1, v5
	v_cndmask_b32_e32 v2, v3, v2, vcc
	v_lshlrev_b32_e32 v2, 2, v2
	ds_write_b32 v2, v29
	v_sub_u32_e32 v2, v8, v19
	v_sub_u32_e32 v3, v36, v2
	v_and_b32_sdwa v5, v4, v39 dst_sel:DWORD dst_unused:UNUSED_PAD src0_sel:DWORD src1_sel:WORD_1
	v_add_u32_e32 v3, 6, v3
	v_cmp_eq_u32_e32 vcc, 1, v5
	v_cndmask_b32_e32 v2, v3, v2, vcc
	v_lshlrev_b32_e32 v2, 2, v2
	ds_write_b32 v2, v26
	v_sub_u32_e32 v2, v9, v19
	v_sub_u32_e32 v3, v36, v2
	v_and_b32_e32 v5, 1, v42
	v_add_u32_e32 v3, 7, v3
	v_cmp_eq_u32_e32 vcc, 1, v5
	v_cndmask_b32_e32 v2, v3, v2, vcc
	v_lshlrev_b32_e32 v2, 2, v2
	ds_write_b32 v2, v27
	v_sub_u32_e32 v2, v10, v19
	v_sub_u32_e32 v3, v36, v2
	v_and_b32_e32 v5, 1, v38
	v_add_u32_e32 v3, 8, v3
	v_cmp_eq_u32_e32 vcc, 1, v5
	v_cndmask_b32_e32 v2, v3, v2, vcc
	v_lshlrev_b32_e32 v2, 2, v2
	v_lshrrev_b32_e32 v15, 8, v38
	ds_write_b32 v2, v24
	v_sub_u32_e32 v2, v11, v19
	v_sub_u32_e32 v3, v36, v2
	v_and_b32_e32 v5, 1, v15
	v_add_u32_e32 v3, 9, v3
	v_cmp_eq_u32_e32 vcc, 1, v5
	v_cndmask_b32_e32 v2, v3, v2, vcc
	v_lshlrev_b32_e32 v2, 2, v2
	ds_write_b32 v2, v25
	v_sub_u32_e32 v2, v12, v19
	v_sub_u32_e32 v3, v36, v2
	v_and_b32_sdwa v4, v4, v38 dst_sel:DWORD dst_unused:UNUSED_PAD src0_sel:DWORD src1_sel:WORD_1
	v_add_u32_e32 v3, 10, v3
	v_cmp_eq_u32_e32 vcc, 1, v4
	v_cndmask_b32_e32 v2, v3, v2, vcc
	v_lshlrev_b32_e32 v2, 2, v2
	ds_write_b32 v2, v22
	v_sub_u32_e32 v2, v13, v19
	v_sub_u32_e32 v3, v36, v2
	v_and_b32_e32 v4, 1, v41
	v_add_u32_e32 v3, 11, v3
	v_cmp_eq_u32_e32 vcc, 1, v4
	v_cndmask_b32_e32 v2, v3, v2, vcc
	v_lshlrev_b32_e32 v2, 2, v2
	ds_write_b32 v2, v23
	v_sub_u32_e32 v2, v14, v19
	v_sub_u32_e32 v3, v36, v2
	v_and_b32_e32 v4, 1, v37
	v_add_u32_e32 v3, 12, v3
	v_cmp_eq_u32_e32 vcc, 1, v4
	v_cndmask_b32_e32 v2, v3, v2, vcc
	s_waitcnt vmcnt(0)
	v_add_co_u32_e32 v16, vcc, v20, v19
	v_addc_co_u32_e32 v17, vcc, 0, v21, vcc
	v_mov_b32_e32 v14, s29
	v_add_co_u32_e32 v1, vcc, s28, v1
	v_addc_co_u32_e32 v14, vcc, 0, v14, vcc
	v_lshlrev_b32_e32 v2, 2, v2
	v_mov_b32_e32 v15, s27
	v_sub_co_u32_e32 v1, vcc, s26, v1
	ds_write_b32 v2, v35
	s_waitcnt lgkmcnt(0)
	s_barrier
	ds_read2st64_b32 v[12:13], v34 offset1:4
	ds_read2st64_b32 v[10:11], v34 offset0:8 offset1:12
	ds_read2st64_b32 v[8:9], v34 offset0:16 offset1:20
	;; [unrolled: 1-line block ×5, first 2 shown]
	ds_read_b32 v22, v34 offset:12288
	v_subb_co_u32_e32 v14, vcc, v15, v14, vcc
	v_add_co_u32_e32 v1, vcc, v1, v18
	v_addc_co_u32_e32 v14, vcc, 0, v14, vcc
	s_and_b64 vcc, exec, s[2:3]
	v_add_co_u32_e64 v1, s[2:3], v1, v16
	v_or_b32_e32 v35, 0x100, v0
	v_or_b32_e32 v33, 0x200, v0
	;; [unrolled: 1-line block ×12, first 2 shown]
	v_addc_co_u32_e64 v19, s[2:3], v14, v17, s[2:3]
	s_cbranch_vccnz .LBB578_136
; %bb.80:
	v_cmp_ge_u32_e32 vcc, v0, v18
                                        ; implicit-def: $vgpr14_vgpr15
	s_and_saveexec_b64 s[2:3], vcc
	s_xor_b64 s[2:3], exec, s[2:3]
; %bb.81:
	v_not_b32_e32 v14, v0
	v_ashrrev_i32_e32 v15, 31, v14
	v_add_co_u32_e32 v14, vcc, v1, v14
	v_addc_co_u32_e32 v15, vcc, v19, v15, vcc
; %bb.82:
	s_andn2_saveexec_b64 s[2:3], s[2:3]
; %bb.83:
	v_add_co_u32_e32 v14, vcc, v16, v0
	v_addc_co_u32_e32 v15, vcc, 0, v17, vcc
; %bb.84:
	s_or_b64 exec, exec, s[2:3]
	v_lshlrev_b64 v[14:15], 2, v[14:15]
	v_mov_b32_e32 v20, s25
	v_add_co_u32_e32 v14, vcc, s24, v14
	v_addc_co_u32_e32 v15, vcc, v20, v15, vcc
	v_cmp_ge_u32_e32 vcc, v35, v18
	s_waitcnt lgkmcnt(6)
	global_store_dword v[14:15], v12, off
                                        ; implicit-def: $vgpr14_vgpr15
	s_and_saveexec_b64 s[2:3], vcc
	s_xor_b64 s[2:3], exec, s[2:3]
; %bb.85:
	v_xor_b32_e32 v14, 0xfffffeff, v0
	v_ashrrev_i32_e32 v15, 31, v14
	v_add_co_u32_e32 v14, vcc, v1, v14
	v_addc_co_u32_e32 v15, vcc, v19, v15, vcc
; %bb.86:
	s_andn2_saveexec_b64 s[2:3], s[2:3]
; %bb.87:
	v_add_co_u32_e32 v14, vcc, v16, v35
	v_addc_co_u32_e32 v15, vcc, 0, v17, vcc
; %bb.88:
	s_or_b64 exec, exec, s[2:3]
	v_lshlrev_b64 v[14:15], 2, v[14:15]
	v_mov_b32_e32 v20, s25
	v_add_co_u32_e32 v14, vcc, s24, v14
	v_addc_co_u32_e32 v15, vcc, v20, v15, vcc
	v_cmp_ge_u32_e32 vcc, v33, v18
	global_store_dword v[14:15], v13, off
                                        ; implicit-def: $vgpr14_vgpr15
	s_and_saveexec_b64 s[2:3], vcc
	s_xor_b64 s[2:3], exec, s[2:3]
; %bb.89:
	v_xor_b32_e32 v14, 0xfffffdff, v0
	v_ashrrev_i32_e32 v15, 31, v14
	v_add_co_u32_e32 v14, vcc, v1, v14
	v_addc_co_u32_e32 v15, vcc, v19, v15, vcc
; %bb.90:
	s_andn2_saveexec_b64 s[2:3], s[2:3]
; %bb.91:
	v_add_co_u32_e32 v14, vcc, v16, v33
	v_addc_co_u32_e32 v15, vcc, 0, v17, vcc
; %bb.92:
	s_or_b64 exec, exec, s[2:3]
	v_lshlrev_b64 v[14:15], 2, v[14:15]
	v_mov_b32_e32 v20, s25
	v_add_co_u32_e32 v14, vcc, s24, v14
	v_addc_co_u32_e32 v15, vcc, v20, v15, vcc
	v_cmp_ge_u32_e32 vcc, v32, v18
	s_waitcnt lgkmcnt(5)
	global_store_dword v[14:15], v10, off
                                        ; implicit-def: $vgpr14_vgpr15
	s_and_saveexec_b64 s[2:3], vcc
	s_xor_b64 s[2:3], exec, s[2:3]
; %bb.93:
	v_xor_b32_e32 v14, 0xfffffcff, v0
	v_ashrrev_i32_e32 v15, 31, v14
	v_add_co_u32_e32 v14, vcc, v1, v14
	v_addc_co_u32_e32 v15, vcc, v19, v15, vcc
; %bb.94:
	s_andn2_saveexec_b64 s[2:3], s[2:3]
; %bb.95:
	v_add_co_u32_e32 v14, vcc, v16, v32
	v_addc_co_u32_e32 v15, vcc, 0, v17, vcc
; %bb.96:
	s_or_b64 exec, exec, s[2:3]
	v_lshlrev_b64 v[14:15], 2, v[14:15]
	v_mov_b32_e32 v20, s25
	v_add_co_u32_e32 v14, vcc, s24, v14
	v_addc_co_u32_e32 v15, vcc, v20, v15, vcc
	v_cmp_ge_u32_e32 vcc, v31, v18
	global_store_dword v[14:15], v11, off
                                        ; implicit-def: $vgpr14_vgpr15
	s_and_saveexec_b64 s[2:3], vcc
	s_xor_b64 s[2:3], exec, s[2:3]
; %bb.97:
	v_xor_b32_e32 v14, 0xfffffbff, v0
	;; [unrolled: 43-line block ×6, first 2 shown]
	v_ashrrev_i32_e32 v15, 31, v14
	v_add_co_u32_e32 v14, vcc, v1, v14
	v_addc_co_u32_e32 v15, vcc, v19, v15, vcc
; %bb.130:
	s_andn2_saveexec_b64 s[2:3], s[2:3]
; %bb.131:
	v_add_co_u32_e32 v14, vcc, v16, v23
	v_addc_co_u32_e32 v15, vcc, 0, v17, vcc
; %bb.132:
	s_or_b64 exec, exec, s[2:3]
	s_mov_b64 s[2:3], -1
.LBB578_133:
	s_and_saveexec_b64 s[4:5], s[2:3]
	s_cbranch_execz .LBB578_216
.LBB578_134:
	v_lshlrev_b64 v[0:1], 2, v[14:15]
	s_waitcnt lgkmcnt(1)
	v_mov_b32_e32 v2, s25
	v_add_co_u32_e32 v0, vcc, s24, v0
	v_addc_co_u32_e32 v1, vcc, v2, v1, vcc
	s_waitcnt lgkmcnt(0)
	global_store_dword v[0:1], v22, off
	s_or_b64 exec, exec, s[4:5]
	s_and_b64 s[0:1], s[0:1], s[22:23]
	s_and_saveexec_b64 s[2:3], s[0:1]
	s_cbranch_execnz .LBB578_217
.LBB578_135:
	s_endpgm
.LBB578_136:
	s_mov_b64 s[2:3], 0
                                        ; implicit-def: $vgpr14_vgpr15
	s_cbranch_execz .LBB578_133
; %bb.137:
	v_cmp_gt_u32_e32 vcc, s33, v0
	s_and_saveexec_b64 s[4:5], vcc
	s_cbranch_execz .LBB578_173
; %bb.138:
	v_cmp_ge_u32_e32 vcc, v0, v18
                                        ; implicit-def: $vgpr14_vgpr15
	s_and_saveexec_b64 s[6:7], vcc
	s_xor_b64 s[6:7], exec, s[6:7]
; %bb.139:
	v_not_b32_e32 v14, v0
	v_ashrrev_i32_e32 v15, 31, v14
	v_add_co_u32_e32 v14, vcc, v1, v14
	v_addc_co_u32_e32 v15, vcc, v19, v15, vcc
; %bb.140:
	s_andn2_saveexec_b64 s[6:7], s[6:7]
; %bb.141:
	v_add_co_u32_e32 v14, vcc, v16, v0
	v_addc_co_u32_e32 v15, vcc, 0, v17, vcc
; %bb.142:
	s_or_b64 exec, exec, s[6:7]
	v_lshlrev_b64 v[14:15], 2, v[14:15]
	v_mov_b32_e32 v20, s25
	v_add_co_u32_e32 v14, vcc, s24, v14
	v_addc_co_u32_e32 v15, vcc, v20, v15, vcc
	s_waitcnt lgkmcnt(6)
	global_store_dword v[14:15], v12, off
	s_or_b64 exec, exec, s[4:5]
	v_cmp_gt_u32_e32 vcc, s33, v35
	s_and_saveexec_b64 s[4:5], vcc
	s_cbranch_execnz .LBB578_174
.LBB578_143:
	s_or_b64 exec, exec, s[4:5]
	v_cmp_gt_u32_e32 vcc, s33, v33
	s_and_saveexec_b64 s[4:5], vcc
	s_cbranch_execz .LBB578_179
.LBB578_144:
	v_cmp_ge_u32_e32 vcc, v33, v18
                                        ; implicit-def: $vgpr12_vgpr13
	s_and_saveexec_b64 s[6:7], vcc
	s_xor_b64 s[6:7], exec, s[6:7]
	s_cbranch_execz .LBB578_146
; %bb.145:
	s_waitcnt lgkmcnt(6)
	v_xor_b32_e32 v12, 0xfffffdff, v0
	v_ashrrev_i32_e32 v13, 31, v12
	v_add_co_u32_e32 v12, vcc, v1, v12
	v_addc_co_u32_e32 v13, vcc, v19, v13, vcc
                                        ; implicit-def: $vgpr33
.LBB578_146:
	s_andn2_saveexec_b64 s[6:7], s[6:7]
	s_cbranch_execz .LBB578_148
; %bb.147:
	s_waitcnt lgkmcnt(6)
	v_add_co_u32_e32 v12, vcc, v16, v33
	v_addc_co_u32_e32 v13, vcc, 0, v17, vcc
.LBB578_148:
	s_or_b64 exec, exec, s[6:7]
	s_waitcnt lgkmcnt(6)
	v_lshlrev_b64 v[12:13], 2, v[12:13]
	v_mov_b32_e32 v14, s25
	v_add_co_u32_e32 v12, vcc, s24, v12
	v_addc_co_u32_e32 v13, vcc, v14, v13, vcc
	s_waitcnt lgkmcnt(5)
	global_store_dword v[12:13], v10, off
	s_or_b64 exec, exec, s[4:5]
	v_cmp_gt_u32_e32 vcc, s33, v32
	s_and_saveexec_b64 s[4:5], vcc
	s_cbranch_execnz .LBB578_180
.LBB578_149:
	s_or_b64 exec, exec, s[4:5]
	v_cmp_gt_u32_e32 vcc, s33, v31
	s_and_saveexec_b64 s[4:5], vcc
	s_cbranch_execz .LBB578_185
.LBB578_150:
	v_cmp_ge_u32_e32 vcc, v31, v18
                                        ; implicit-def: $vgpr10_vgpr11
	s_and_saveexec_b64 s[6:7], vcc
	s_xor_b64 s[6:7], exec, s[6:7]
	s_cbranch_execz .LBB578_152
; %bb.151:
	s_waitcnt lgkmcnt(5)
	v_xor_b32_e32 v10, 0xfffffbff, v0
	v_ashrrev_i32_e32 v11, 31, v10
	v_add_co_u32_e32 v10, vcc, v1, v10
	v_addc_co_u32_e32 v11, vcc, v19, v11, vcc
                                        ; implicit-def: $vgpr31
.LBB578_152:
	s_andn2_saveexec_b64 s[6:7], s[6:7]
	s_cbranch_execz .LBB578_154
; %bb.153:
	s_waitcnt lgkmcnt(5)
	v_add_co_u32_e32 v10, vcc, v16, v31
	v_addc_co_u32_e32 v11, vcc, 0, v17, vcc
.LBB578_154:
	s_or_b64 exec, exec, s[6:7]
	s_waitcnt lgkmcnt(5)
	v_lshlrev_b64 v[10:11], 2, v[10:11]
	v_mov_b32_e32 v12, s25
	v_add_co_u32_e32 v10, vcc, s24, v10
	v_addc_co_u32_e32 v11, vcc, v12, v11, vcc
	s_waitcnt lgkmcnt(4)
	global_store_dword v[10:11], v8, off
	s_or_b64 exec, exec, s[4:5]
	v_cmp_gt_u32_e32 vcc, s33, v30
	s_and_saveexec_b64 s[4:5], vcc
	s_cbranch_execnz .LBB578_186
.LBB578_155:
	s_or_b64 exec, exec, s[4:5]
	v_cmp_gt_u32_e32 vcc, s33, v29
	s_and_saveexec_b64 s[4:5], vcc
	s_cbranch_execz .LBB578_191
.LBB578_156:
	v_cmp_ge_u32_e32 vcc, v29, v18
                                        ; implicit-def: $vgpr8_vgpr9
	s_and_saveexec_b64 s[6:7], vcc
	s_xor_b64 s[6:7], exec, s[6:7]
	s_cbranch_execz .LBB578_158
; %bb.157:
	s_waitcnt lgkmcnt(4)
	v_xor_b32_e32 v8, 0xfffff9ff, v0
	v_ashrrev_i32_e32 v9, 31, v8
	v_add_co_u32_e32 v8, vcc, v1, v8
	v_addc_co_u32_e32 v9, vcc, v19, v9, vcc
                                        ; implicit-def: $vgpr29
.LBB578_158:
	s_andn2_saveexec_b64 s[6:7], s[6:7]
	s_cbranch_execz .LBB578_160
; %bb.159:
	s_waitcnt lgkmcnt(4)
	v_add_co_u32_e32 v8, vcc, v16, v29
	v_addc_co_u32_e32 v9, vcc, 0, v17, vcc
.LBB578_160:
	s_or_b64 exec, exec, s[6:7]
	s_waitcnt lgkmcnt(4)
	v_lshlrev_b64 v[8:9], 2, v[8:9]
	v_mov_b32_e32 v10, s25
	v_add_co_u32_e32 v8, vcc, s24, v8
	v_addc_co_u32_e32 v9, vcc, v10, v9, vcc
	s_waitcnt lgkmcnt(3)
	global_store_dword v[8:9], v6, off
	s_or_b64 exec, exec, s[4:5]
	v_cmp_gt_u32_e32 vcc, s33, v28
	s_and_saveexec_b64 s[4:5], vcc
	s_cbranch_execnz .LBB578_192
.LBB578_161:
	s_or_b64 exec, exec, s[4:5]
	v_cmp_gt_u32_e32 vcc, s33, v27
	s_and_saveexec_b64 s[4:5], vcc
	s_cbranch_execz .LBB578_197
.LBB578_162:
	v_cmp_ge_u32_e32 vcc, v27, v18
                                        ; implicit-def: $vgpr6_vgpr7
	s_and_saveexec_b64 s[6:7], vcc
	s_xor_b64 s[6:7], exec, s[6:7]
	s_cbranch_execz .LBB578_164
; %bb.163:
	s_waitcnt lgkmcnt(3)
	v_xor_b32_e32 v6, 0xfffff7ff, v0
	v_ashrrev_i32_e32 v7, 31, v6
	v_add_co_u32_e32 v6, vcc, v1, v6
	v_addc_co_u32_e32 v7, vcc, v19, v7, vcc
                                        ; implicit-def: $vgpr27
.LBB578_164:
	s_andn2_saveexec_b64 s[6:7], s[6:7]
	s_cbranch_execz .LBB578_166
; %bb.165:
	s_waitcnt lgkmcnt(3)
	v_add_co_u32_e32 v6, vcc, v16, v27
	v_addc_co_u32_e32 v7, vcc, 0, v17, vcc
.LBB578_166:
	s_or_b64 exec, exec, s[6:7]
	s_waitcnt lgkmcnt(3)
	v_lshlrev_b64 v[6:7], 2, v[6:7]
	v_mov_b32_e32 v8, s25
	v_add_co_u32_e32 v6, vcc, s24, v6
	v_addc_co_u32_e32 v7, vcc, v8, v7, vcc
	s_waitcnt lgkmcnt(2)
	global_store_dword v[6:7], v4, off
	s_or_b64 exec, exec, s[4:5]
	v_cmp_gt_u32_e32 vcc, s33, v26
	s_and_saveexec_b64 s[4:5], vcc
	s_cbranch_execnz .LBB578_198
.LBB578_167:
	s_or_b64 exec, exec, s[4:5]
	v_cmp_gt_u32_e32 vcc, s33, v25
	s_and_saveexec_b64 s[4:5], vcc
	s_cbranch_execz .LBB578_203
.LBB578_168:
	v_cmp_ge_u32_e32 vcc, v25, v18
                                        ; implicit-def: $vgpr4_vgpr5
	s_and_saveexec_b64 s[6:7], vcc
	s_xor_b64 s[6:7], exec, s[6:7]
	s_cbranch_execz .LBB578_170
; %bb.169:
	s_waitcnt lgkmcnt(2)
	v_xor_b32_e32 v4, 0xfffff5ff, v0
	v_ashrrev_i32_e32 v5, 31, v4
	v_add_co_u32_e32 v4, vcc, v1, v4
	v_addc_co_u32_e32 v5, vcc, v19, v5, vcc
                                        ; implicit-def: $vgpr25
.LBB578_170:
	s_andn2_saveexec_b64 s[6:7], s[6:7]
	s_cbranch_execz .LBB578_172
; %bb.171:
	s_waitcnt lgkmcnt(2)
	v_add_co_u32_e32 v4, vcc, v16, v25
	v_addc_co_u32_e32 v5, vcc, 0, v17, vcc
.LBB578_172:
	s_or_b64 exec, exec, s[6:7]
	s_waitcnt lgkmcnt(2)
	v_lshlrev_b64 v[4:5], 2, v[4:5]
	v_mov_b32_e32 v6, s25
	v_add_co_u32_e32 v4, vcc, s24, v4
	v_addc_co_u32_e32 v5, vcc, v6, v5, vcc
	s_waitcnt lgkmcnt(1)
	global_store_dword v[4:5], v2, off
	s_or_b64 exec, exec, s[4:5]
	v_cmp_gt_u32_e32 vcc, s33, v24
	s_and_saveexec_b64 s[4:5], vcc
	s_cbranch_execz .LBB578_209
	s_branch .LBB578_204
.LBB578_173:
	s_or_b64 exec, exec, s[4:5]
	v_cmp_gt_u32_e32 vcc, s33, v35
	s_and_saveexec_b64 s[4:5], vcc
	s_cbranch_execz .LBB578_143
.LBB578_174:
	v_cmp_ge_u32_e32 vcc, v35, v18
                                        ; implicit-def: $vgpr14_vgpr15
	s_and_saveexec_b64 s[6:7], vcc
	s_xor_b64 s[6:7], exec, s[6:7]
	s_cbranch_execz .LBB578_176
; %bb.175:
	s_waitcnt lgkmcnt(6)
	v_xor_b32_e32 v12, 0xfffffeff, v0
	v_ashrrev_i32_e32 v15, 31, v12
	v_add_co_u32_e32 v14, vcc, v1, v12
	v_addc_co_u32_e32 v15, vcc, v19, v15, vcc
                                        ; implicit-def: $vgpr35
.LBB578_176:
	s_andn2_saveexec_b64 s[6:7], s[6:7]
; %bb.177:
	v_add_co_u32_e32 v14, vcc, v16, v35
	v_addc_co_u32_e32 v15, vcc, 0, v17, vcc
; %bb.178:
	s_or_b64 exec, exec, s[6:7]
	v_lshlrev_b64 v[14:15], 2, v[14:15]
	s_waitcnt lgkmcnt(6)
	v_mov_b32_e32 v12, s25
	v_add_co_u32_e32 v14, vcc, s24, v14
	v_addc_co_u32_e32 v15, vcc, v12, v15, vcc
	global_store_dword v[14:15], v13, off
	s_or_b64 exec, exec, s[4:5]
	v_cmp_gt_u32_e32 vcc, s33, v33
	s_and_saveexec_b64 s[4:5], vcc
	s_cbranch_execnz .LBB578_144
.LBB578_179:
	s_or_b64 exec, exec, s[4:5]
	v_cmp_gt_u32_e32 vcc, s33, v32
	s_and_saveexec_b64 s[4:5], vcc
	s_cbranch_execz .LBB578_149
.LBB578_180:
	v_cmp_ge_u32_e32 vcc, v32, v18
                                        ; implicit-def: $vgpr12_vgpr13
	s_and_saveexec_b64 s[6:7], vcc
	s_xor_b64 s[6:7], exec, s[6:7]
	s_cbranch_execz .LBB578_182
; %bb.181:
	s_waitcnt lgkmcnt(5)
	v_xor_b32_e32 v10, 0xfffffcff, v0
	v_ashrrev_i32_e32 v13, 31, v10
	v_add_co_u32_e32 v12, vcc, v1, v10
	v_addc_co_u32_e32 v13, vcc, v19, v13, vcc
                                        ; implicit-def: $vgpr32
.LBB578_182:
	s_andn2_saveexec_b64 s[6:7], s[6:7]
	s_cbranch_execz .LBB578_184
; %bb.183:
	s_waitcnt lgkmcnt(6)
	v_add_co_u32_e32 v12, vcc, v16, v32
	v_addc_co_u32_e32 v13, vcc, 0, v17, vcc
.LBB578_184:
	s_or_b64 exec, exec, s[6:7]
	s_waitcnt lgkmcnt(6)
	v_lshlrev_b64 v[12:13], 2, v[12:13]
	s_waitcnt lgkmcnt(5)
	v_mov_b32_e32 v10, s25
	v_add_co_u32_e32 v12, vcc, s24, v12
	v_addc_co_u32_e32 v13, vcc, v10, v13, vcc
	global_store_dword v[12:13], v11, off
	s_or_b64 exec, exec, s[4:5]
	v_cmp_gt_u32_e32 vcc, s33, v31
	s_and_saveexec_b64 s[4:5], vcc
	s_cbranch_execnz .LBB578_150
.LBB578_185:
	s_or_b64 exec, exec, s[4:5]
	v_cmp_gt_u32_e32 vcc, s33, v30
	s_and_saveexec_b64 s[4:5], vcc
	s_cbranch_execz .LBB578_155
.LBB578_186:
	v_cmp_ge_u32_e32 vcc, v30, v18
                                        ; implicit-def: $vgpr10_vgpr11
	s_and_saveexec_b64 s[6:7], vcc
	s_xor_b64 s[6:7], exec, s[6:7]
	s_cbranch_execz .LBB578_188
; %bb.187:
	s_waitcnt lgkmcnt(4)
	v_xor_b32_e32 v8, 0xfffffaff, v0
	v_ashrrev_i32_e32 v11, 31, v8
	v_add_co_u32_e32 v10, vcc, v1, v8
	v_addc_co_u32_e32 v11, vcc, v19, v11, vcc
                                        ; implicit-def: $vgpr30
.LBB578_188:
	s_andn2_saveexec_b64 s[6:7], s[6:7]
	s_cbranch_execz .LBB578_190
; %bb.189:
	s_waitcnt lgkmcnt(5)
	v_add_co_u32_e32 v10, vcc, v16, v30
	v_addc_co_u32_e32 v11, vcc, 0, v17, vcc
.LBB578_190:
	s_or_b64 exec, exec, s[6:7]
	s_waitcnt lgkmcnt(5)
	v_lshlrev_b64 v[10:11], 2, v[10:11]
	s_waitcnt lgkmcnt(4)
	v_mov_b32_e32 v8, s25
	v_add_co_u32_e32 v10, vcc, s24, v10
	v_addc_co_u32_e32 v11, vcc, v8, v11, vcc
	global_store_dword v[10:11], v9, off
	s_or_b64 exec, exec, s[4:5]
	v_cmp_gt_u32_e32 vcc, s33, v29
	s_and_saveexec_b64 s[4:5], vcc
	s_cbranch_execnz .LBB578_156
.LBB578_191:
	s_or_b64 exec, exec, s[4:5]
	v_cmp_gt_u32_e32 vcc, s33, v28
	s_and_saveexec_b64 s[4:5], vcc
	s_cbranch_execz .LBB578_161
.LBB578_192:
	v_cmp_ge_u32_e32 vcc, v28, v18
                                        ; implicit-def: $vgpr8_vgpr9
	s_and_saveexec_b64 s[6:7], vcc
	s_xor_b64 s[6:7], exec, s[6:7]
	s_cbranch_execz .LBB578_194
; %bb.193:
	s_waitcnt lgkmcnt(3)
	v_xor_b32_e32 v6, 0xfffff8ff, v0
	v_ashrrev_i32_e32 v9, 31, v6
	v_add_co_u32_e32 v8, vcc, v1, v6
	v_addc_co_u32_e32 v9, vcc, v19, v9, vcc
                                        ; implicit-def: $vgpr28
.LBB578_194:
	s_andn2_saveexec_b64 s[6:7], s[6:7]
	s_cbranch_execz .LBB578_196
; %bb.195:
	s_waitcnt lgkmcnt(4)
	v_add_co_u32_e32 v8, vcc, v16, v28
	v_addc_co_u32_e32 v9, vcc, 0, v17, vcc
.LBB578_196:
	s_or_b64 exec, exec, s[6:7]
	s_waitcnt lgkmcnt(4)
	v_lshlrev_b64 v[8:9], 2, v[8:9]
	s_waitcnt lgkmcnt(3)
	v_mov_b32_e32 v6, s25
	v_add_co_u32_e32 v8, vcc, s24, v8
	v_addc_co_u32_e32 v9, vcc, v6, v9, vcc
	global_store_dword v[8:9], v7, off
	s_or_b64 exec, exec, s[4:5]
	v_cmp_gt_u32_e32 vcc, s33, v27
	s_and_saveexec_b64 s[4:5], vcc
	s_cbranch_execnz .LBB578_162
.LBB578_197:
	s_or_b64 exec, exec, s[4:5]
	v_cmp_gt_u32_e32 vcc, s33, v26
	s_and_saveexec_b64 s[4:5], vcc
	s_cbranch_execz .LBB578_167
.LBB578_198:
	v_cmp_ge_u32_e32 vcc, v26, v18
                                        ; implicit-def: $vgpr6_vgpr7
	s_and_saveexec_b64 s[6:7], vcc
	s_xor_b64 s[6:7], exec, s[6:7]
	s_cbranch_execz .LBB578_200
; %bb.199:
	s_waitcnt lgkmcnt(2)
	v_xor_b32_e32 v4, 0xfffff6ff, v0
	v_ashrrev_i32_e32 v7, 31, v4
	v_add_co_u32_e32 v6, vcc, v1, v4
	v_addc_co_u32_e32 v7, vcc, v19, v7, vcc
                                        ; implicit-def: $vgpr26
.LBB578_200:
	s_andn2_saveexec_b64 s[6:7], s[6:7]
	s_cbranch_execz .LBB578_202
; %bb.201:
	s_waitcnt lgkmcnt(3)
	v_add_co_u32_e32 v6, vcc, v16, v26
	v_addc_co_u32_e32 v7, vcc, 0, v17, vcc
.LBB578_202:
	s_or_b64 exec, exec, s[6:7]
	s_waitcnt lgkmcnt(3)
	v_lshlrev_b64 v[6:7], 2, v[6:7]
	s_waitcnt lgkmcnt(2)
	v_mov_b32_e32 v4, s25
	v_add_co_u32_e32 v6, vcc, s24, v6
	v_addc_co_u32_e32 v7, vcc, v4, v7, vcc
	global_store_dword v[6:7], v5, off
	s_or_b64 exec, exec, s[4:5]
	v_cmp_gt_u32_e32 vcc, s33, v25
	s_and_saveexec_b64 s[4:5], vcc
	s_cbranch_execnz .LBB578_168
.LBB578_203:
	s_or_b64 exec, exec, s[4:5]
	v_cmp_gt_u32_e32 vcc, s33, v24
	s_and_saveexec_b64 s[4:5], vcc
	s_cbranch_execz .LBB578_209
.LBB578_204:
	v_cmp_ge_u32_e32 vcc, v24, v18
                                        ; implicit-def: $vgpr4_vgpr5
	s_and_saveexec_b64 s[6:7], vcc
	s_xor_b64 s[6:7], exec, s[6:7]
	s_cbranch_execz .LBB578_206
; %bb.205:
	s_waitcnt lgkmcnt(1)
	v_xor_b32_e32 v2, 0xfffff4ff, v0
	v_ashrrev_i32_e32 v5, 31, v2
	v_add_co_u32_e32 v4, vcc, v1, v2
	v_addc_co_u32_e32 v5, vcc, v19, v5, vcc
                                        ; implicit-def: $vgpr24
.LBB578_206:
	s_andn2_saveexec_b64 s[6:7], s[6:7]
	s_cbranch_execz .LBB578_208
; %bb.207:
	s_waitcnt lgkmcnt(2)
	v_add_co_u32_e32 v4, vcc, v16, v24
	v_addc_co_u32_e32 v5, vcc, 0, v17, vcc
.LBB578_208:
	s_or_b64 exec, exec, s[6:7]
	s_waitcnt lgkmcnt(2)
	v_lshlrev_b64 v[4:5], 2, v[4:5]
	s_waitcnt lgkmcnt(1)
	v_mov_b32_e32 v2, s25
	v_add_co_u32_e32 v4, vcc, s24, v4
	v_addc_co_u32_e32 v5, vcc, v2, v5, vcc
	global_store_dword v[4:5], v3, off
.LBB578_209:
	s_or_b64 exec, exec, s[4:5]
	v_cmp_gt_u32_e32 vcc, s33, v23
                                        ; implicit-def: $vgpr14_vgpr15
	s_and_saveexec_b64 s[4:5], vcc
	s_cbranch_execz .LBB578_215
; %bb.210:
	v_cmp_ge_u32_e32 vcc, v23, v18
                                        ; implicit-def: $vgpr14_vgpr15
	s_and_saveexec_b64 s[6:7], vcc
	s_xor_b64 s[6:7], exec, s[6:7]
	s_cbranch_execz .LBB578_212
; %bb.211:
	v_xor_b32_e32 v0, 0xfffff3ff, v0
	s_waitcnt lgkmcnt(1)
	v_ashrrev_i32_e32 v2, 31, v0
	v_add_co_u32_e32 v14, vcc, v1, v0
	v_addc_co_u32_e32 v15, vcc, v19, v2, vcc
                                        ; implicit-def: $vgpr23
.LBB578_212:
	s_andn2_saveexec_b64 s[6:7], s[6:7]
; %bb.213:
	v_add_co_u32_e32 v14, vcc, v16, v23
	v_addc_co_u32_e32 v15, vcc, 0, v17, vcc
; %bb.214:
	s_or_b64 exec, exec, s[6:7]
	s_or_b64 s[2:3], s[2:3], exec
.LBB578_215:
	s_or_b64 exec, exec, s[4:5]
	s_and_saveexec_b64 s[4:5], s[2:3]
	s_cbranch_execnz .LBB578_134
.LBB578_216:
	s_or_b64 exec, exec, s[4:5]
	s_and_b64 s[0:1], s[0:1], s[22:23]
	s_and_saveexec_b64 s[2:3], s[0:1]
	s_cbranch_execz .LBB578_135
.LBB578_217:
	v_add_co_u32_e32 v0, vcc, v16, v18
	s_waitcnt lgkmcnt(1)
	v_mov_b32_e32 v2, 0
	v_addc_co_u32_e32 v1, vcc, 0, v17, vcc
	global_store_dwordx2 v2, v[0:1], s[20:21]
	s_endpgm
	.section	.rodata,"a",@progbits
	.p2align	6, 0x0
	.amdhsa_kernel _ZN7rocprim17ROCPRIM_400000_NS6detail17trampoline_kernelINS0_13select_configILj256ELj13ELNS0_17block_load_methodE3ELS4_3ELS4_3ELNS0_20block_scan_algorithmE0ELj4294967295EEENS1_25partition_config_selectorILNS1_17partition_subalgoE3EjNS0_10empty_typeEbEEZZNS1_14partition_implILS8_3ELb0ES6_jNS0_17counting_iteratorIjlEEPS9_SE_NS0_5tupleIJPjSE_EEENSF_IJSE_SE_EEES9_SG_JZNS1_25segmented_radix_sort_implINS0_14default_configELb0EPKiPiPKlPlN2at6native12_GLOBAL__N_18offset_tEEE10hipError_tPvRmT1_PNSt15iterator_traitsISY_E10value_typeET2_T3_PNSZ_IS14_E10value_typeET4_jRbjT5_S1A_jjP12ihipStream_tbEUljE_EEESV_SW_SX_S14_S18_S1A_T6_T7_T9_mT8_S1C_bDpT10_ENKUlT_T0_E_clISt17integral_constantIbLb1EES1P_EEDaS1K_S1L_EUlS1K_E_NS1_11comp_targetILNS1_3genE4ELNS1_11target_archE910ELNS1_3gpuE8ELNS1_3repE0EEENS1_30default_config_static_selectorELNS0_4arch9wavefront6targetE1EEEvSY_
		.amdhsa_group_segment_fixed_size 13324
		.amdhsa_private_segment_fixed_size 0
		.amdhsa_kernarg_size 152
		.amdhsa_user_sgpr_count 6
		.amdhsa_user_sgpr_private_segment_buffer 1
		.amdhsa_user_sgpr_dispatch_ptr 0
		.amdhsa_user_sgpr_queue_ptr 0
		.amdhsa_user_sgpr_kernarg_segment_ptr 1
		.amdhsa_user_sgpr_dispatch_id 0
		.amdhsa_user_sgpr_flat_scratch_init 0
		.amdhsa_user_sgpr_kernarg_preload_length 0
		.amdhsa_user_sgpr_kernarg_preload_offset 0
		.amdhsa_user_sgpr_private_segment_size 0
		.amdhsa_uses_dynamic_stack 0
		.amdhsa_system_sgpr_private_segment_wavefront_offset 0
		.amdhsa_system_sgpr_workgroup_id_x 1
		.amdhsa_system_sgpr_workgroup_id_y 0
		.amdhsa_system_sgpr_workgroup_id_z 0
		.amdhsa_system_sgpr_workgroup_info 0
		.amdhsa_system_vgpr_workitem_id 0
		.amdhsa_next_free_vgpr 64
		.amdhsa_next_free_sgpr 44
		.amdhsa_accum_offset 64
		.amdhsa_reserve_vcc 1
		.amdhsa_reserve_flat_scratch 0
		.amdhsa_float_round_mode_32 0
		.amdhsa_float_round_mode_16_64 0
		.amdhsa_float_denorm_mode_32 3
		.amdhsa_float_denorm_mode_16_64 3
		.amdhsa_dx10_clamp 1
		.amdhsa_ieee_mode 1
		.amdhsa_fp16_overflow 0
		.amdhsa_tg_split 0
		.amdhsa_exception_fp_ieee_invalid_op 0
		.amdhsa_exception_fp_denorm_src 0
		.amdhsa_exception_fp_ieee_div_zero 0
		.amdhsa_exception_fp_ieee_overflow 0
		.amdhsa_exception_fp_ieee_underflow 0
		.amdhsa_exception_fp_ieee_inexact 0
		.amdhsa_exception_int_div_zero 0
	.end_amdhsa_kernel
	.section	.text._ZN7rocprim17ROCPRIM_400000_NS6detail17trampoline_kernelINS0_13select_configILj256ELj13ELNS0_17block_load_methodE3ELS4_3ELS4_3ELNS0_20block_scan_algorithmE0ELj4294967295EEENS1_25partition_config_selectorILNS1_17partition_subalgoE3EjNS0_10empty_typeEbEEZZNS1_14partition_implILS8_3ELb0ES6_jNS0_17counting_iteratorIjlEEPS9_SE_NS0_5tupleIJPjSE_EEENSF_IJSE_SE_EEES9_SG_JZNS1_25segmented_radix_sort_implINS0_14default_configELb0EPKiPiPKlPlN2at6native12_GLOBAL__N_18offset_tEEE10hipError_tPvRmT1_PNSt15iterator_traitsISY_E10value_typeET2_T3_PNSZ_IS14_E10value_typeET4_jRbjT5_S1A_jjP12ihipStream_tbEUljE_EEESV_SW_SX_S14_S18_S1A_T6_T7_T9_mT8_S1C_bDpT10_ENKUlT_T0_E_clISt17integral_constantIbLb1EES1P_EEDaS1K_S1L_EUlS1K_E_NS1_11comp_targetILNS1_3genE4ELNS1_11target_archE910ELNS1_3gpuE8ELNS1_3repE0EEENS1_30default_config_static_selectorELNS0_4arch9wavefront6targetE1EEEvSY_,"axG",@progbits,_ZN7rocprim17ROCPRIM_400000_NS6detail17trampoline_kernelINS0_13select_configILj256ELj13ELNS0_17block_load_methodE3ELS4_3ELS4_3ELNS0_20block_scan_algorithmE0ELj4294967295EEENS1_25partition_config_selectorILNS1_17partition_subalgoE3EjNS0_10empty_typeEbEEZZNS1_14partition_implILS8_3ELb0ES6_jNS0_17counting_iteratorIjlEEPS9_SE_NS0_5tupleIJPjSE_EEENSF_IJSE_SE_EEES9_SG_JZNS1_25segmented_radix_sort_implINS0_14default_configELb0EPKiPiPKlPlN2at6native12_GLOBAL__N_18offset_tEEE10hipError_tPvRmT1_PNSt15iterator_traitsISY_E10value_typeET2_T3_PNSZ_IS14_E10value_typeET4_jRbjT5_S1A_jjP12ihipStream_tbEUljE_EEESV_SW_SX_S14_S18_S1A_T6_T7_T9_mT8_S1C_bDpT10_ENKUlT_T0_E_clISt17integral_constantIbLb1EES1P_EEDaS1K_S1L_EUlS1K_E_NS1_11comp_targetILNS1_3genE4ELNS1_11target_archE910ELNS1_3gpuE8ELNS1_3repE0EEENS1_30default_config_static_selectorELNS0_4arch9wavefront6targetE1EEEvSY_,comdat
.Lfunc_end578:
	.size	_ZN7rocprim17ROCPRIM_400000_NS6detail17trampoline_kernelINS0_13select_configILj256ELj13ELNS0_17block_load_methodE3ELS4_3ELS4_3ELNS0_20block_scan_algorithmE0ELj4294967295EEENS1_25partition_config_selectorILNS1_17partition_subalgoE3EjNS0_10empty_typeEbEEZZNS1_14partition_implILS8_3ELb0ES6_jNS0_17counting_iteratorIjlEEPS9_SE_NS0_5tupleIJPjSE_EEENSF_IJSE_SE_EEES9_SG_JZNS1_25segmented_radix_sort_implINS0_14default_configELb0EPKiPiPKlPlN2at6native12_GLOBAL__N_18offset_tEEE10hipError_tPvRmT1_PNSt15iterator_traitsISY_E10value_typeET2_T3_PNSZ_IS14_E10value_typeET4_jRbjT5_S1A_jjP12ihipStream_tbEUljE_EEESV_SW_SX_S14_S18_S1A_T6_T7_T9_mT8_S1C_bDpT10_ENKUlT_T0_E_clISt17integral_constantIbLb1EES1P_EEDaS1K_S1L_EUlS1K_E_NS1_11comp_targetILNS1_3genE4ELNS1_11target_archE910ELNS1_3gpuE8ELNS1_3repE0EEENS1_30default_config_static_selectorELNS0_4arch9wavefront6targetE1EEEvSY_, .Lfunc_end578-_ZN7rocprim17ROCPRIM_400000_NS6detail17trampoline_kernelINS0_13select_configILj256ELj13ELNS0_17block_load_methodE3ELS4_3ELS4_3ELNS0_20block_scan_algorithmE0ELj4294967295EEENS1_25partition_config_selectorILNS1_17partition_subalgoE3EjNS0_10empty_typeEbEEZZNS1_14partition_implILS8_3ELb0ES6_jNS0_17counting_iteratorIjlEEPS9_SE_NS0_5tupleIJPjSE_EEENSF_IJSE_SE_EEES9_SG_JZNS1_25segmented_radix_sort_implINS0_14default_configELb0EPKiPiPKlPlN2at6native12_GLOBAL__N_18offset_tEEE10hipError_tPvRmT1_PNSt15iterator_traitsISY_E10value_typeET2_T3_PNSZ_IS14_E10value_typeET4_jRbjT5_S1A_jjP12ihipStream_tbEUljE_EEESV_SW_SX_S14_S18_S1A_T6_T7_T9_mT8_S1C_bDpT10_ENKUlT_T0_E_clISt17integral_constantIbLb1EES1P_EEDaS1K_S1L_EUlS1K_E_NS1_11comp_targetILNS1_3genE4ELNS1_11target_archE910ELNS1_3gpuE8ELNS1_3repE0EEENS1_30default_config_static_selectorELNS0_4arch9wavefront6targetE1EEEvSY_
                                        ; -- End function
	.section	.AMDGPU.csdata,"",@progbits
; Kernel info:
; codeLenInByte = 7896
; NumSgprs: 48
; NumVgprs: 64
; NumAgprs: 0
; TotalNumVgprs: 64
; ScratchSize: 0
; MemoryBound: 0
; FloatMode: 240
; IeeeMode: 1
; LDSByteSize: 13324 bytes/workgroup (compile time only)
; SGPRBlocks: 5
; VGPRBlocks: 7
; NumSGPRsForWavesPerEU: 48
; NumVGPRsForWavesPerEU: 64
; AccumOffset: 64
; Occupancy: 4
; WaveLimiterHint : 0
; COMPUTE_PGM_RSRC2:SCRATCH_EN: 0
; COMPUTE_PGM_RSRC2:USER_SGPR: 6
; COMPUTE_PGM_RSRC2:TRAP_HANDLER: 0
; COMPUTE_PGM_RSRC2:TGID_X_EN: 1
; COMPUTE_PGM_RSRC2:TGID_Y_EN: 0
; COMPUTE_PGM_RSRC2:TGID_Z_EN: 0
; COMPUTE_PGM_RSRC2:TIDIG_COMP_CNT: 0
; COMPUTE_PGM_RSRC3_GFX90A:ACCUM_OFFSET: 15
; COMPUTE_PGM_RSRC3_GFX90A:TG_SPLIT: 0
	.section	.text._ZN7rocprim17ROCPRIM_400000_NS6detail17trampoline_kernelINS0_13select_configILj256ELj13ELNS0_17block_load_methodE3ELS4_3ELS4_3ELNS0_20block_scan_algorithmE0ELj4294967295EEENS1_25partition_config_selectorILNS1_17partition_subalgoE3EjNS0_10empty_typeEbEEZZNS1_14partition_implILS8_3ELb0ES6_jNS0_17counting_iteratorIjlEEPS9_SE_NS0_5tupleIJPjSE_EEENSF_IJSE_SE_EEES9_SG_JZNS1_25segmented_radix_sort_implINS0_14default_configELb0EPKiPiPKlPlN2at6native12_GLOBAL__N_18offset_tEEE10hipError_tPvRmT1_PNSt15iterator_traitsISY_E10value_typeET2_T3_PNSZ_IS14_E10value_typeET4_jRbjT5_S1A_jjP12ihipStream_tbEUljE_EEESV_SW_SX_S14_S18_S1A_T6_T7_T9_mT8_S1C_bDpT10_ENKUlT_T0_E_clISt17integral_constantIbLb1EES1P_EEDaS1K_S1L_EUlS1K_E_NS1_11comp_targetILNS1_3genE3ELNS1_11target_archE908ELNS1_3gpuE7ELNS1_3repE0EEENS1_30default_config_static_selectorELNS0_4arch9wavefront6targetE1EEEvSY_,"axG",@progbits,_ZN7rocprim17ROCPRIM_400000_NS6detail17trampoline_kernelINS0_13select_configILj256ELj13ELNS0_17block_load_methodE3ELS4_3ELS4_3ELNS0_20block_scan_algorithmE0ELj4294967295EEENS1_25partition_config_selectorILNS1_17partition_subalgoE3EjNS0_10empty_typeEbEEZZNS1_14partition_implILS8_3ELb0ES6_jNS0_17counting_iteratorIjlEEPS9_SE_NS0_5tupleIJPjSE_EEENSF_IJSE_SE_EEES9_SG_JZNS1_25segmented_radix_sort_implINS0_14default_configELb0EPKiPiPKlPlN2at6native12_GLOBAL__N_18offset_tEEE10hipError_tPvRmT1_PNSt15iterator_traitsISY_E10value_typeET2_T3_PNSZ_IS14_E10value_typeET4_jRbjT5_S1A_jjP12ihipStream_tbEUljE_EEESV_SW_SX_S14_S18_S1A_T6_T7_T9_mT8_S1C_bDpT10_ENKUlT_T0_E_clISt17integral_constantIbLb1EES1P_EEDaS1K_S1L_EUlS1K_E_NS1_11comp_targetILNS1_3genE3ELNS1_11target_archE908ELNS1_3gpuE7ELNS1_3repE0EEENS1_30default_config_static_selectorELNS0_4arch9wavefront6targetE1EEEvSY_,comdat
	.globl	_ZN7rocprim17ROCPRIM_400000_NS6detail17trampoline_kernelINS0_13select_configILj256ELj13ELNS0_17block_load_methodE3ELS4_3ELS4_3ELNS0_20block_scan_algorithmE0ELj4294967295EEENS1_25partition_config_selectorILNS1_17partition_subalgoE3EjNS0_10empty_typeEbEEZZNS1_14partition_implILS8_3ELb0ES6_jNS0_17counting_iteratorIjlEEPS9_SE_NS0_5tupleIJPjSE_EEENSF_IJSE_SE_EEES9_SG_JZNS1_25segmented_radix_sort_implINS0_14default_configELb0EPKiPiPKlPlN2at6native12_GLOBAL__N_18offset_tEEE10hipError_tPvRmT1_PNSt15iterator_traitsISY_E10value_typeET2_T3_PNSZ_IS14_E10value_typeET4_jRbjT5_S1A_jjP12ihipStream_tbEUljE_EEESV_SW_SX_S14_S18_S1A_T6_T7_T9_mT8_S1C_bDpT10_ENKUlT_T0_E_clISt17integral_constantIbLb1EES1P_EEDaS1K_S1L_EUlS1K_E_NS1_11comp_targetILNS1_3genE3ELNS1_11target_archE908ELNS1_3gpuE7ELNS1_3repE0EEENS1_30default_config_static_selectorELNS0_4arch9wavefront6targetE1EEEvSY_ ; -- Begin function _ZN7rocprim17ROCPRIM_400000_NS6detail17trampoline_kernelINS0_13select_configILj256ELj13ELNS0_17block_load_methodE3ELS4_3ELS4_3ELNS0_20block_scan_algorithmE0ELj4294967295EEENS1_25partition_config_selectorILNS1_17partition_subalgoE3EjNS0_10empty_typeEbEEZZNS1_14partition_implILS8_3ELb0ES6_jNS0_17counting_iteratorIjlEEPS9_SE_NS0_5tupleIJPjSE_EEENSF_IJSE_SE_EEES9_SG_JZNS1_25segmented_radix_sort_implINS0_14default_configELb0EPKiPiPKlPlN2at6native12_GLOBAL__N_18offset_tEEE10hipError_tPvRmT1_PNSt15iterator_traitsISY_E10value_typeET2_T3_PNSZ_IS14_E10value_typeET4_jRbjT5_S1A_jjP12ihipStream_tbEUljE_EEESV_SW_SX_S14_S18_S1A_T6_T7_T9_mT8_S1C_bDpT10_ENKUlT_T0_E_clISt17integral_constantIbLb1EES1P_EEDaS1K_S1L_EUlS1K_E_NS1_11comp_targetILNS1_3genE3ELNS1_11target_archE908ELNS1_3gpuE7ELNS1_3repE0EEENS1_30default_config_static_selectorELNS0_4arch9wavefront6targetE1EEEvSY_
	.p2align	8
	.type	_ZN7rocprim17ROCPRIM_400000_NS6detail17trampoline_kernelINS0_13select_configILj256ELj13ELNS0_17block_load_methodE3ELS4_3ELS4_3ELNS0_20block_scan_algorithmE0ELj4294967295EEENS1_25partition_config_selectorILNS1_17partition_subalgoE3EjNS0_10empty_typeEbEEZZNS1_14partition_implILS8_3ELb0ES6_jNS0_17counting_iteratorIjlEEPS9_SE_NS0_5tupleIJPjSE_EEENSF_IJSE_SE_EEES9_SG_JZNS1_25segmented_radix_sort_implINS0_14default_configELb0EPKiPiPKlPlN2at6native12_GLOBAL__N_18offset_tEEE10hipError_tPvRmT1_PNSt15iterator_traitsISY_E10value_typeET2_T3_PNSZ_IS14_E10value_typeET4_jRbjT5_S1A_jjP12ihipStream_tbEUljE_EEESV_SW_SX_S14_S18_S1A_T6_T7_T9_mT8_S1C_bDpT10_ENKUlT_T0_E_clISt17integral_constantIbLb1EES1P_EEDaS1K_S1L_EUlS1K_E_NS1_11comp_targetILNS1_3genE3ELNS1_11target_archE908ELNS1_3gpuE7ELNS1_3repE0EEENS1_30default_config_static_selectorELNS0_4arch9wavefront6targetE1EEEvSY_,@function
_ZN7rocprim17ROCPRIM_400000_NS6detail17trampoline_kernelINS0_13select_configILj256ELj13ELNS0_17block_load_methodE3ELS4_3ELS4_3ELNS0_20block_scan_algorithmE0ELj4294967295EEENS1_25partition_config_selectorILNS1_17partition_subalgoE3EjNS0_10empty_typeEbEEZZNS1_14partition_implILS8_3ELb0ES6_jNS0_17counting_iteratorIjlEEPS9_SE_NS0_5tupleIJPjSE_EEENSF_IJSE_SE_EEES9_SG_JZNS1_25segmented_radix_sort_implINS0_14default_configELb0EPKiPiPKlPlN2at6native12_GLOBAL__N_18offset_tEEE10hipError_tPvRmT1_PNSt15iterator_traitsISY_E10value_typeET2_T3_PNSZ_IS14_E10value_typeET4_jRbjT5_S1A_jjP12ihipStream_tbEUljE_EEESV_SW_SX_S14_S18_S1A_T6_T7_T9_mT8_S1C_bDpT10_ENKUlT_T0_E_clISt17integral_constantIbLb1EES1P_EEDaS1K_S1L_EUlS1K_E_NS1_11comp_targetILNS1_3genE3ELNS1_11target_archE908ELNS1_3gpuE7ELNS1_3repE0EEENS1_30default_config_static_selectorELNS0_4arch9wavefront6targetE1EEEvSY_: ; @_ZN7rocprim17ROCPRIM_400000_NS6detail17trampoline_kernelINS0_13select_configILj256ELj13ELNS0_17block_load_methodE3ELS4_3ELS4_3ELNS0_20block_scan_algorithmE0ELj4294967295EEENS1_25partition_config_selectorILNS1_17partition_subalgoE3EjNS0_10empty_typeEbEEZZNS1_14partition_implILS8_3ELb0ES6_jNS0_17counting_iteratorIjlEEPS9_SE_NS0_5tupleIJPjSE_EEENSF_IJSE_SE_EEES9_SG_JZNS1_25segmented_radix_sort_implINS0_14default_configELb0EPKiPiPKlPlN2at6native12_GLOBAL__N_18offset_tEEE10hipError_tPvRmT1_PNSt15iterator_traitsISY_E10value_typeET2_T3_PNSZ_IS14_E10value_typeET4_jRbjT5_S1A_jjP12ihipStream_tbEUljE_EEESV_SW_SX_S14_S18_S1A_T6_T7_T9_mT8_S1C_bDpT10_ENKUlT_T0_E_clISt17integral_constantIbLb1EES1P_EEDaS1K_S1L_EUlS1K_E_NS1_11comp_targetILNS1_3genE3ELNS1_11target_archE908ELNS1_3gpuE7ELNS1_3repE0EEENS1_30default_config_static_selectorELNS0_4arch9wavefront6targetE1EEEvSY_
; %bb.0:
	.section	.rodata,"a",@progbits
	.p2align	6, 0x0
	.amdhsa_kernel _ZN7rocprim17ROCPRIM_400000_NS6detail17trampoline_kernelINS0_13select_configILj256ELj13ELNS0_17block_load_methodE3ELS4_3ELS4_3ELNS0_20block_scan_algorithmE0ELj4294967295EEENS1_25partition_config_selectorILNS1_17partition_subalgoE3EjNS0_10empty_typeEbEEZZNS1_14partition_implILS8_3ELb0ES6_jNS0_17counting_iteratorIjlEEPS9_SE_NS0_5tupleIJPjSE_EEENSF_IJSE_SE_EEES9_SG_JZNS1_25segmented_radix_sort_implINS0_14default_configELb0EPKiPiPKlPlN2at6native12_GLOBAL__N_18offset_tEEE10hipError_tPvRmT1_PNSt15iterator_traitsISY_E10value_typeET2_T3_PNSZ_IS14_E10value_typeET4_jRbjT5_S1A_jjP12ihipStream_tbEUljE_EEESV_SW_SX_S14_S18_S1A_T6_T7_T9_mT8_S1C_bDpT10_ENKUlT_T0_E_clISt17integral_constantIbLb1EES1P_EEDaS1K_S1L_EUlS1K_E_NS1_11comp_targetILNS1_3genE3ELNS1_11target_archE908ELNS1_3gpuE7ELNS1_3repE0EEENS1_30default_config_static_selectorELNS0_4arch9wavefront6targetE1EEEvSY_
		.amdhsa_group_segment_fixed_size 0
		.amdhsa_private_segment_fixed_size 0
		.amdhsa_kernarg_size 152
		.amdhsa_user_sgpr_count 6
		.amdhsa_user_sgpr_private_segment_buffer 1
		.amdhsa_user_sgpr_dispatch_ptr 0
		.amdhsa_user_sgpr_queue_ptr 0
		.amdhsa_user_sgpr_kernarg_segment_ptr 1
		.amdhsa_user_sgpr_dispatch_id 0
		.amdhsa_user_sgpr_flat_scratch_init 0
		.amdhsa_user_sgpr_kernarg_preload_length 0
		.amdhsa_user_sgpr_kernarg_preload_offset 0
		.amdhsa_user_sgpr_private_segment_size 0
		.amdhsa_uses_dynamic_stack 0
		.amdhsa_system_sgpr_private_segment_wavefront_offset 0
		.amdhsa_system_sgpr_workgroup_id_x 1
		.amdhsa_system_sgpr_workgroup_id_y 0
		.amdhsa_system_sgpr_workgroup_id_z 0
		.amdhsa_system_sgpr_workgroup_info 0
		.amdhsa_system_vgpr_workitem_id 0
		.amdhsa_next_free_vgpr 1
		.amdhsa_next_free_sgpr 0
		.amdhsa_accum_offset 4
		.amdhsa_reserve_vcc 0
		.amdhsa_reserve_flat_scratch 0
		.amdhsa_float_round_mode_32 0
		.amdhsa_float_round_mode_16_64 0
		.amdhsa_float_denorm_mode_32 3
		.amdhsa_float_denorm_mode_16_64 3
		.amdhsa_dx10_clamp 1
		.amdhsa_ieee_mode 1
		.amdhsa_fp16_overflow 0
		.amdhsa_tg_split 0
		.amdhsa_exception_fp_ieee_invalid_op 0
		.amdhsa_exception_fp_denorm_src 0
		.amdhsa_exception_fp_ieee_div_zero 0
		.amdhsa_exception_fp_ieee_overflow 0
		.amdhsa_exception_fp_ieee_underflow 0
		.amdhsa_exception_fp_ieee_inexact 0
		.amdhsa_exception_int_div_zero 0
	.end_amdhsa_kernel
	.section	.text._ZN7rocprim17ROCPRIM_400000_NS6detail17trampoline_kernelINS0_13select_configILj256ELj13ELNS0_17block_load_methodE3ELS4_3ELS4_3ELNS0_20block_scan_algorithmE0ELj4294967295EEENS1_25partition_config_selectorILNS1_17partition_subalgoE3EjNS0_10empty_typeEbEEZZNS1_14partition_implILS8_3ELb0ES6_jNS0_17counting_iteratorIjlEEPS9_SE_NS0_5tupleIJPjSE_EEENSF_IJSE_SE_EEES9_SG_JZNS1_25segmented_radix_sort_implINS0_14default_configELb0EPKiPiPKlPlN2at6native12_GLOBAL__N_18offset_tEEE10hipError_tPvRmT1_PNSt15iterator_traitsISY_E10value_typeET2_T3_PNSZ_IS14_E10value_typeET4_jRbjT5_S1A_jjP12ihipStream_tbEUljE_EEESV_SW_SX_S14_S18_S1A_T6_T7_T9_mT8_S1C_bDpT10_ENKUlT_T0_E_clISt17integral_constantIbLb1EES1P_EEDaS1K_S1L_EUlS1K_E_NS1_11comp_targetILNS1_3genE3ELNS1_11target_archE908ELNS1_3gpuE7ELNS1_3repE0EEENS1_30default_config_static_selectorELNS0_4arch9wavefront6targetE1EEEvSY_,"axG",@progbits,_ZN7rocprim17ROCPRIM_400000_NS6detail17trampoline_kernelINS0_13select_configILj256ELj13ELNS0_17block_load_methodE3ELS4_3ELS4_3ELNS0_20block_scan_algorithmE0ELj4294967295EEENS1_25partition_config_selectorILNS1_17partition_subalgoE3EjNS0_10empty_typeEbEEZZNS1_14partition_implILS8_3ELb0ES6_jNS0_17counting_iteratorIjlEEPS9_SE_NS0_5tupleIJPjSE_EEENSF_IJSE_SE_EEES9_SG_JZNS1_25segmented_radix_sort_implINS0_14default_configELb0EPKiPiPKlPlN2at6native12_GLOBAL__N_18offset_tEEE10hipError_tPvRmT1_PNSt15iterator_traitsISY_E10value_typeET2_T3_PNSZ_IS14_E10value_typeET4_jRbjT5_S1A_jjP12ihipStream_tbEUljE_EEESV_SW_SX_S14_S18_S1A_T6_T7_T9_mT8_S1C_bDpT10_ENKUlT_T0_E_clISt17integral_constantIbLb1EES1P_EEDaS1K_S1L_EUlS1K_E_NS1_11comp_targetILNS1_3genE3ELNS1_11target_archE908ELNS1_3gpuE7ELNS1_3repE0EEENS1_30default_config_static_selectorELNS0_4arch9wavefront6targetE1EEEvSY_,comdat
.Lfunc_end579:
	.size	_ZN7rocprim17ROCPRIM_400000_NS6detail17trampoline_kernelINS0_13select_configILj256ELj13ELNS0_17block_load_methodE3ELS4_3ELS4_3ELNS0_20block_scan_algorithmE0ELj4294967295EEENS1_25partition_config_selectorILNS1_17partition_subalgoE3EjNS0_10empty_typeEbEEZZNS1_14partition_implILS8_3ELb0ES6_jNS0_17counting_iteratorIjlEEPS9_SE_NS0_5tupleIJPjSE_EEENSF_IJSE_SE_EEES9_SG_JZNS1_25segmented_radix_sort_implINS0_14default_configELb0EPKiPiPKlPlN2at6native12_GLOBAL__N_18offset_tEEE10hipError_tPvRmT1_PNSt15iterator_traitsISY_E10value_typeET2_T3_PNSZ_IS14_E10value_typeET4_jRbjT5_S1A_jjP12ihipStream_tbEUljE_EEESV_SW_SX_S14_S18_S1A_T6_T7_T9_mT8_S1C_bDpT10_ENKUlT_T0_E_clISt17integral_constantIbLb1EES1P_EEDaS1K_S1L_EUlS1K_E_NS1_11comp_targetILNS1_3genE3ELNS1_11target_archE908ELNS1_3gpuE7ELNS1_3repE0EEENS1_30default_config_static_selectorELNS0_4arch9wavefront6targetE1EEEvSY_, .Lfunc_end579-_ZN7rocprim17ROCPRIM_400000_NS6detail17trampoline_kernelINS0_13select_configILj256ELj13ELNS0_17block_load_methodE3ELS4_3ELS4_3ELNS0_20block_scan_algorithmE0ELj4294967295EEENS1_25partition_config_selectorILNS1_17partition_subalgoE3EjNS0_10empty_typeEbEEZZNS1_14partition_implILS8_3ELb0ES6_jNS0_17counting_iteratorIjlEEPS9_SE_NS0_5tupleIJPjSE_EEENSF_IJSE_SE_EEES9_SG_JZNS1_25segmented_radix_sort_implINS0_14default_configELb0EPKiPiPKlPlN2at6native12_GLOBAL__N_18offset_tEEE10hipError_tPvRmT1_PNSt15iterator_traitsISY_E10value_typeET2_T3_PNSZ_IS14_E10value_typeET4_jRbjT5_S1A_jjP12ihipStream_tbEUljE_EEESV_SW_SX_S14_S18_S1A_T6_T7_T9_mT8_S1C_bDpT10_ENKUlT_T0_E_clISt17integral_constantIbLb1EES1P_EEDaS1K_S1L_EUlS1K_E_NS1_11comp_targetILNS1_3genE3ELNS1_11target_archE908ELNS1_3gpuE7ELNS1_3repE0EEENS1_30default_config_static_selectorELNS0_4arch9wavefront6targetE1EEEvSY_
                                        ; -- End function
	.section	.AMDGPU.csdata,"",@progbits
; Kernel info:
; codeLenInByte = 0
; NumSgprs: 4
; NumVgprs: 0
; NumAgprs: 0
; TotalNumVgprs: 0
; ScratchSize: 0
; MemoryBound: 0
; FloatMode: 240
; IeeeMode: 1
; LDSByteSize: 0 bytes/workgroup (compile time only)
; SGPRBlocks: 0
; VGPRBlocks: 0
; NumSGPRsForWavesPerEU: 4
; NumVGPRsForWavesPerEU: 1
; AccumOffset: 4
; Occupancy: 8
; WaveLimiterHint : 0
; COMPUTE_PGM_RSRC2:SCRATCH_EN: 0
; COMPUTE_PGM_RSRC2:USER_SGPR: 6
; COMPUTE_PGM_RSRC2:TRAP_HANDLER: 0
; COMPUTE_PGM_RSRC2:TGID_X_EN: 1
; COMPUTE_PGM_RSRC2:TGID_Y_EN: 0
; COMPUTE_PGM_RSRC2:TGID_Z_EN: 0
; COMPUTE_PGM_RSRC2:TIDIG_COMP_CNT: 0
; COMPUTE_PGM_RSRC3_GFX90A:ACCUM_OFFSET: 0
; COMPUTE_PGM_RSRC3_GFX90A:TG_SPLIT: 0
	.section	.text._ZN7rocprim17ROCPRIM_400000_NS6detail17trampoline_kernelINS0_13select_configILj256ELj13ELNS0_17block_load_methodE3ELS4_3ELS4_3ELNS0_20block_scan_algorithmE0ELj4294967295EEENS1_25partition_config_selectorILNS1_17partition_subalgoE3EjNS0_10empty_typeEbEEZZNS1_14partition_implILS8_3ELb0ES6_jNS0_17counting_iteratorIjlEEPS9_SE_NS0_5tupleIJPjSE_EEENSF_IJSE_SE_EEES9_SG_JZNS1_25segmented_radix_sort_implINS0_14default_configELb0EPKiPiPKlPlN2at6native12_GLOBAL__N_18offset_tEEE10hipError_tPvRmT1_PNSt15iterator_traitsISY_E10value_typeET2_T3_PNSZ_IS14_E10value_typeET4_jRbjT5_S1A_jjP12ihipStream_tbEUljE_EEESV_SW_SX_S14_S18_S1A_T6_T7_T9_mT8_S1C_bDpT10_ENKUlT_T0_E_clISt17integral_constantIbLb1EES1P_EEDaS1K_S1L_EUlS1K_E_NS1_11comp_targetILNS1_3genE2ELNS1_11target_archE906ELNS1_3gpuE6ELNS1_3repE0EEENS1_30default_config_static_selectorELNS0_4arch9wavefront6targetE1EEEvSY_,"axG",@progbits,_ZN7rocprim17ROCPRIM_400000_NS6detail17trampoline_kernelINS0_13select_configILj256ELj13ELNS0_17block_load_methodE3ELS4_3ELS4_3ELNS0_20block_scan_algorithmE0ELj4294967295EEENS1_25partition_config_selectorILNS1_17partition_subalgoE3EjNS0_10empty_typeEbEEZZNS1_14partition_implILS8_3ELb0ES6_jNS0_17counting_iteratorIjlEEPS9_SE_NS0_5tupleIJPjSE_EEENSF_IJSE_SE_EEES9_SG_JZNS1_25segmented_radix_sort_implINS0_14default_configELb0EPKiPiPKlPlN2at6native12_GLOBAL__N_18offset_tEEE10hipError_tPvRmT1_PNSt15iterator_traitsISY_E10value_typeET2_T3_PNSZ_IS14_E10value_typeET4_jRbjT5_S1A_jjP12ihipStream_tbEUljE_EEESV_SW_SX_S14_S18_S1A_T6_T7_T9_mT8_S1C_bDpT10_ENKUlT_T0_E_clISt17integral_constantIbLb1EES1P_EEDaS1K_S1L_EUlS1K_E_NS1_11comp_targetILNS1_3genE2ELNS1_11target_archE906ELNS1_3gpuE6ELNS1_3repE0EEENS1_30default_config_static_selectorELNS0_4arch9wavefront6targetE1EEEvSY_,comdat
	.globl	_ZN7rocprim17ROCPRIM_400000_NS6detail17trampoline_kernelINS0_13select_configILj256ELj13ELNS0_17block_load_methodE3ELS4_3ELS4_3ELNS0_20block_scan_algorithmE0ELj4294967295EEENS1_25partition_config_selectorILNS1_17partition_subalgoE3EjNS0_10empty_typeEbEEZZNS1_14partition_implILS8_3ELb0ES6_jNS0_17counting_iteratorIjlEEPS9_SE_NS0_5tupleIJPjSE_EEENSF_IJSE_SE_EEES9_SG_JZNS1_25segmented_radix_sort_implINS0_14default_configELb0EPKiPiPKlPlN2at6native12_GLOBAL__N_18offset_tEEE10hipError_tPvRmT1_PNSt15iterator_traitsISY_E10value_typeET2_T3_PNSZ_IS14_E10value_typeET4_jRbjT5_S1A_jjP12ihipStream_tbEUljE_EEESV_SW_SX_S14_S18_S1A_T6_T7_T9_mT8_S1C_bDpT10_ENKUlT_T0_E_clISt17integral_constantIbLb1EES1P_EEDaS1K_S1L_EUlS1K_E_NS1_11comp_targetILNS1_3genE2ELNS1_11target_archE906ELNS1_3gpuE6ELNS1_3repE0EEENS1_30default_config_static_selectorELNS0_4arch9wavefront6targetE1EEEvSY_ ; -- Begin function _ZN7rocprim17ROCPRIM_400000_NS6detail17trampoline_kernelINS0_13select_configILj256ELj13ELNS0_17block_load_methodE3ELS4_3ELS4_3ELNS0_20block_scan_algorithmE0ELj4294967295EEENS1_25partition_config_selectorILNS1_17partition_subalgoE3EjNS0_10empty_typeEbEEZZNS1_14partition_implILS8_3ELb0ES6_jNS0_17counting_iteratorIjlEEPS9_SE_NS0_5tupleIJPjSE_EEENSF_IJSE_SE_EEES9_SG_JZNS1_25segmented_radix_sort_implINS0_14default_configELb0EPKiPiPKlPlN2at6native12_GLOBAL__N_18offset_tEEE10hipError_tPvRmT1_PNSt15iterator_traitsISY_E10value_typeET2_T3_PNSZ_IS14_E10value_typeET4_jRbjT5_S1A_jjP12ihipStream_tbEUljE_EEESV_SW_SX_S14_S18_S1A_T6_T7_T9_mT8_S1C_bDpT10_ENKUlT_T0_E_clISt17integral_constantIbLb1EES1P_EEDaS1K_S1L_EUlS1K_E_NS1_11comp_targetILNS1_3genE2ELNS1_11target_archE906ELNS1_3gpuE6ELNS1_3repE0EEENS1_30default_config_static_selectorELNS0_4arch9wavefront6targetE1EEEvSY_
	.p2align	8
	.type	_ZN7rocprim17ROCPRIM_400000_NS6detail17trampoline_kernelINS0_13select_configILj256ELj13ELNS0_17block_load_methodE3ELS4_3ELS4_3ELNS0_20block_scan_algorithmE0ELj4294967295EEENS1_25partition_config_selectorILNS1_17partition_subalgoE3EjNS0_10empty_typeEbEEZZNS1_14partition_implILS8_3ELb0ES6_jNS0_17counting_iteratorIjlEEPS9_SE_NS0_5tupleIJPjSE_EEENSF_IJSE_SE_EEES9_SG_JZNS1_25segmented_radix_sort_implINS0_14default_configELb0EPKiPiPKlPlN2at6native12_GLOBAL__N_18offset_tEEE10hipError_tPvRmT1_PNSt15iterator_traitsISY_E10value_typeET2_T3_PNSZ_IS14_E10value_typeET4_jRbjT5_S1A_jjP12ihipStream_tbEUljE_EEESV_SW_SX_S14_S18_S1A_T6_T7_T9_mT8_S1C_bDpT10_ENKUlT_T0_E_clISt17integral_constantIbLb1EES1P_EEDaS1K_S1L_EUlS1K_E_NS1_11comp_targetILNS1_3genE2ELNS1_11target_archE906ELNS1_3gpuE6ELNS1_3repE0EEENS1_30default_config_static_selectorELNS0_4arch9wavefront6targetE1EEEvSY_,@function
_ZN7rocprim17ROCPRIM_400000_NS6detail17trampoline_kernelINS0_13select_configILj256ELj13ELNS0_17block_load_methodE3ELS4_3ELS4_3ELNS0_20block_scan_algorithmE0ELj4294967295EEENS1_25partition_config_selectorILNS1_17partition_subalgoE3EjNS0_10empty_typeEbEEZZNS1_14partition_implILS8_3ELb0ES6_jNS0_17counting_iteratorIjlEEPS9_SE_NS0_5tupleIJPjSE_EEENSF_IJSE_SE_EEES9_SG_JZNS1_25segmented_radix_sort_implINS0_14default_configELb0EPKiPiPKlPlN2at6native12_GLOBAL__N_18offset_tEEE10hipError_tPvRmT1_PNSt15iterator_traitsISY_E10value_typeET2_T3_PNSZ_IS14_E10value_typeET4_jRbjT5_S1A_jjP12ihipStream_tbEUljE_EEESV_SW_SX_S14_S18_S1A_T6_T7_T9_mT8_S1C_bDpT10_ENKUlT_T0_E_clISt17integral_constantIbLb1EES1P_EEDaS1K_S1L_EUlS1K_E_NS1_11comp_targetILNS1_3genE2ELNS1_11target_archE906ELNS1_3gpuE6ELNS1_3repE0EEENS1_30default_config_static_selectorELNS0_4arch9wavefront6targetE1EEEvSY_: ; @_ZN7rocprim17ROCPRIM_400000_NS6detail17trampoline_kernelINS0_13select_configILj256ELj13ELNS0_17block_load_methodE3ELS4_3ELS4_3ELNS0_20block_scan_algorithmE0ELj4294967295EEENS1_25partition_config_selectorILNS1_17partition_subalgoE3EjNS0_10empty_typeEbEEZZNS1_14partition_implILS8_3ELb0ES6_jNS0_17counting_iteratorIjlEEPS9_SE_NS0_5tupleIJPjSE_EEENSF_IJSE_SE_EEES9_SG_JZNS1_25segmented_radix_sort_implINS0_14default_configELb0EPKiPiPKlPlN2at6native12_GLOBAL__N_18offset_tEEE10hipError_tPvRmT1_PNSt15iterator_traitsISY_E10value_typeET2_T3_PNSZ_IS14_E10value_typeET4_jRbjT5_S1A_jjP12ihipStream_tbEUljE_EEESV_SW_SX_S14_S18_S1A_T6_T7_T9_mT8_S1C_bDpT10_ENKUlT_T0_E_clISt17integral_constantIbLb1EES1P_EEDaS1K_S1L_EUlS1K_E_NS1_11comp_targetILNS1_3genE2ELNS1_11target_archE906ELNS1_3gpuE6ELNS1_3repE0EEENS1_30default_config_static_selectorELNS0_4arch9wavefront6targetE1EEEvSY_
; %bb.0:
	.section	.rodata,"a",@progbits
	.p2align	6, 0x0
	.amdhsa_kernel _ZN7rocprim17ROCPRIM_400000_NS6detail17trampoline_kernelINS0_13select_configILj256ELj13ELNS0_17block_load_methodE3ELS4_3ELS4_3ELNS0_20block_scan_algorithmE0ELj4294967295EEENS1_25partition_config_selectorILNS1_17partition_subalgoE3EjNS0_10empty_typeEbEEZZNS1_14partition_implILS8_3ELb0ES6_jNS0_17counting_iteratorIjlEEPS9_SE_NS0_5tupleIJPjSE_EEENSF_IJSE_SE_EEES9_SG_JZNS1_25segmented_radix_sort_implINS0_14default_configELb0EPKiPiPKlPlN2at6native12_GLOBAL__N_18offset_tEEE10hipError_tPvRmT1_PNSt15iterator_traitsISY_E10value_typeET2_T3_PNSZ_IS14_E10value_typeET4_jRbjT5_S1A_jjP12ihipStream_tbEUljE_EEESV_SW_SX_S14_S18_S1A_T6_T7_T9_mT8_S1C_bDpT10_ENKUlT_T0_E_clISt17integral_constantIbLb1EES1P_EEDaS1K_S1L_EUlS1K_E_NS1_11comp_targetILNS1_3genE2ELNS1_11target_archE906ELNS1_3gpuE6ELNS1_3repE0EEENS1_30default_config_static_selectorELNS0_4arch9wavefront6targetE1EEEvSY_
		.amdhsa_group_segment_fixed_size 0
		.amdhsa_private_segment_fixed_size 0
		.amdhsa_kernarg_size 152
		.amdhsa_user_sgpr_count 6
		.amdhsa_user_sgpr_private_segment_buffer 1
		.amdhsa_user_sgpr_dispatch_ptr 0
		.amdhsa_user_sgpr_queue_ptr 0
		.amdhsa_user_sgpr_kernarg_segment_ptr 1
		.amdhsa_user_sgpr_dispatch_id 0
		.amdhsa_user_sgpr_flat_scratch_init 0
		.amdhsa_user_sgpr_kernarg_preload_length 0
		.amdhsa_user_sgpr_kernarg_preload_offset 0
		.amdhsa_user_sgpr_private_segment_size 0
		.amdhsa_uses_dynamic_stack 0
		.amdhsa_system_sgpr_private_segment_wavefront_offset 0
		.amdhsa_system_sgpr_workgroup_id_x 1
		.amdhsa_system_sgpr_workgroup_id_y 0
		.amdhsa_system_sgpr_workgroup_id_z 0
		.amdhsa_system_sgpr_workgroup_info 0
		.amdhsa_system_vgpr_workitem_id 0
		.amdhsa_next_free_vgpr 1
		.amdhsa_next_free_sgpr 0
		.amdhsa_accum_offset 4
		.amdhsa_reserve_vcc 0
		.amdhsa_reserve_flat_scratch 0
		.amdhsa_float_round_mode_32 0
		.amdhsa_float_round_mode_16_64 0
		.amdhsa_float_denorm_mode_32 3
		.amdhsa_float_denorm_mode_16_64 3
		.amdhsa_dx10_clamp 1
		.amdhsa_ieee_mode 1
		.amdhsa_fp16_overflow 0
		.amdhsa_tg_split 0
		.amdhsa_exception_fp_ieee_invalid_op 0
		.amdhsa_exception_fp_denorm_src 0
		.amdhsa_exception_fp_ieee_div_zero 0
		.amdhsa_exception_fp_ieee_overflow 0
		.amdhsa_exception_fp_ieee_underflow 0
		.amdhsa_exception_fp_ieee_inexact 0
		.amdhsa_exception_int_div_zero 0
	.end_amdhsa_kernel
	.section	.text._ZN7rocprim17ROCPRIM_400000_NS6detail17trampoline_kernelINS0_13select_configILj256ELj13ELNS0_17block_load_methodE3ELS4_3ELS4_3ELNS0_20block_scan_algorithmE0ELj4294967295EEENS1_25partition_config_selectorILNS1_17partition_subalgoE3EjNS0_10empty_typeEbEEZZNS1_14partition_implILS8_3ELb0ES6_jNS0_17counting_iteratorIjlEEPS9_SE_NS0_5tupleIJPjSE_EEENSF_IJSE_SE_EEES9_SG_JZNS1_25segmented_radix_sort_implINS0_14default_configELb0EPKiPiPKlPlN2at6native12_GLOBAL__N_18offset_tEEE10hipError_tPvRmT1_PNSt15iterator_traitsISY_E10value_typeET2_T3_PNSZ_IS14_E10value_typeET4_jRbjT5_S1A_jjP12ihipStream_tbEUljE_EEESV_SW_SX_S14_S18_S1A_T6_T7_T9_mT8_S1C_bDpT10_ENKUlT_T0_E_clISt17integral_constantIbLb1EES1P_EEDaS1K_S1L_EUlS1K_E_NS1_11comp_targetILNS1_3genE2ELNS1_11target_archE906ELNS1_3gpuE6ELNS1_3repE0EEENS1_30default_config_static_selectorELNS0_4arch9wavefront6targetE1EEEvSY_,"axG",@progbits,_ZN7rocprim17ROCPRIM_400000_NS6detail17trampoline_kernelINS0_13select_configILj256ELj13ELNS0_17block_load_methodE3ELS4_3ELS4_3ELNS0_20block_scan_algorithmE0ELj4294967295EEENS1_25partition_config_selectorILNS1_17partition_subalgoE3EjNS0_10empty_typeEbEEZZNS1_14partition_implILS8_3ELb0ES6_jNS0_17counting_iteratorIjlEEPS9_SE_NS0_5tupleIJPjSE_EEENSF_IJSE_SE_EEES9_SG_JZNS1_25segmented_radix_sort_implINS0_14default_configELb0EPKiPiPKlPlN2at6native12_GLOBAL__N_18offset_tEEE10hipError_tPvRmT1_PNSt15iterator_traitsISY_E10value_typeET2_T3_PNSZ_IS14_E10value_typeET4_jRbjT5_S1A_jjP12ihipStream_tbEUljE_EEESV_SW_SX_S14_S18_S1A_T6_T7_T9_mT8_S1C_bDpT10_ENKUlT_T0_E_clISt17integral_constantIbLb1EES1P_EEDaS1K_S1L_EUlS1K_E_NS1_11comp_targetILNS1_3genE2ELNS1_11target_archE906ELNS1_3gpuE6ELNS1_3repE0EEENS1_30default_config_static_selectorELNS0_4arch9wavefront6targetE1EEEvSY_,comdat
.Lfunc_end580:
	.size	_ZN7rocprim17ROCPRIM_400000_NS6detail17trampoline_kernelINS0_13select_configILj256ELj13ELNS0_17block_load_methodE3ELS4_3ELS4_3ELNS0_20block_scan_algorithmE0ELj4294967295EEENS1_25partition_config_selectorILNS1_17partition_subalgoE3EjNS0_10empty_typeEbEEZZNS1_14partition_implILS8_3ELb0ES6_jNS0_17counting_iteratorIjlEEPS9_SE_NS0_5tupleIJPjSE_EEENSF_IJSE_SE_EEES9_SG_JZNS1_25segmented_radix_sort_implINS0_14default_configELb0EPKiPiPKlPlN2at6native12_GLOBAL__N_18offset_tEEE10hipError_tPvRmT1_PNSt15iterator_traitsISY_E10value_typeET2_T3_PNSZ_IS14_E10value_typeET4_jRbjT5_S1A_jjP12ihipStream_tbEUljE_EEESV_SW_SX_S14_S18_S1A_T6_T7_T9_mT8_S1C_bDpT10_ENKUlT_T0_E_clISt17integral_constantIbLb1EES1P_EEDaS1K_S1L_EUlS1K_E_NS1_11comp_targetILNS1_3genE2ELNS1_11target_archE906ELNS1_3gpuE6ELNS1_3repE0EEENS1_30default_config_static_selectorELNS0_4arch9wavefront6targetE1EEEvSY_, .Lfunc_end580-_ZN7rocprim17ROCPRIM_400000_NS6detail17trampoline_kernelINS0_13select_configILj256ELj13ELNS0_17block_load_methodE3ELS4_3ELS4_3ELNS0_20block_scan_algorithmE0ELj4294967295EEENS1_25partition_config_selectorILNS1_17partition_subalgoE3EjNS0_10empty_typeEbEEZZNS1_14partition_implILS8_3ELb0ES6_jNS0_17counting_iteratorIjlEEPS9_SE_NS0_5tupleIJPjSE_EEENSF_IJSE_SE_EEES9_SG_JZNS1_25segmented_radix_sort_implINS0_14default_configELb0EPKiPiPKlPlN2at6native12_GLOBAL__N_18offset_tEEE10hipError_tPvRmT1_PNSt15iterator_traitsISY_E10value_typeET2_T3_PNSZ_IS14_E10value_typeET4_jRbjT5_S1A_jjP12ihipStream_tbEUljE_EEESV_SW_SX_S14_S18_S1A_T6_T7_T9_mT8_S1C_bDpT10_ENKUlT_T0_E_clISt17integral_constantIbLb1EES1P_EEDaS1K_S1L_EUlS1K_E_NS1_11comp_targetILNS1_3genE2ELNS1_11target_archE906ELNS1_3gpuE6ELNS1_3repE0EEENS1_30default_config_static_selectorELNS0_4arch9wavefront6targetE1EEEvSY_
                                        ; -- End function
	.section	.AMDGPU.csdata,"",@progbits
; Kernel info:
; codeLenInByte = 0
; NumSgprs: 4
; NumVgprs: 0
; NumAgprs: 0
; TotalNumVgprs: 0
; ScratchSize: 0
; MemoryBound: 0
; FloatMode: 240
; IeeeMode: 1
; LDSByteSize: 0 bytes/workgroup (compile time only)
; SGPRBlocks: 0
; VGPRBlocks: 0
; NumSGPRsForWavesPerEU: 4
; NumVGPRsForWavesPerEU: 1
; AccumOffset: 4
; Occupancy: 8
; WaveLimiterHint : 0
; COMPUTE_PGM_RSRC2:SCRATCH_EN: 0
; COMPUTE_PGM_RSRC2:USER_SGPR: 6
; COMPUTE_PGM_RSRC2:TRAP_HANDLER: 0
; COMPUTE_PGM_RSRC2:TGID_X_EN: 1
; COMPUTE_PGM_RSRC2:TGID_Y_EN: 0
; COMPUTE_PGM_RSRC2:TGID_Z_EN: 0
; COMPUTE_PGM_RSRC2:TIDIG_COMP_CNT: 0
; COMPUTE_PGM_RSRC3_GFX90A:ACCUM_OFFSET: 0
; COMPUTE_PGM_RSRC3_GFX90A:TG_SPLIT: 0
	.section	.text._ZN7rocprim17ROCPRIM_400000_NS6detail17trampoline_kernelINS0_13select_configILj256ELj13ELNS0_17block_load_methodE3ELS4_3ELS4_3ELNS0_20block_scan_algorithmE0ELj4294967295EEENS1_25partition_config_selectorILNS1_17partition_subalgoE3EjNS0_10empty_typeEbEEZZNS1_14partition_implILS8_3ELb0ES6_jNS0_17counting_iteratorIjlEEPS9_SE_NS0_5tupleIJPjSE_EEENSF_IJSE_SE_EEES9_SG_JZNS1_25segmented_radix_sort_implINS0_14default_configELb0EPKiPiPKlPlN2at6native12_GLOBAL__N_18offset_tEEE10hipError_tPvRmT1_PNSt15iterator_traitsISY_E10value_typeET2_T3_PNSZ_IS14_E10value_typeET4_jRbjT5_S1A_jjP12ihipStream_tbEUljE_EEESV_SW_SX_S14_S18_S1A_T6_T7_T9_mT8_S1C_bDpT10_ENKUlT_T0_E_clISt17integral_constantIbLb1EES1P_EEDaS1K_S1L_EUlS1K_E_NS1_11comp_targetILNS1_3genE10ELNS1_11target_archE1200ELNS1_3gpuE4ELNS1_3repE0EEENS1_30default_config_static_selectorELNS0_4arch9wavefront6targetE1EEEvSY_,"axG",@progbits,_ZN7rocprim17ROCPRIM_400000_NS6detail17trampoline_kernelINS0_13select_configILj256ELj13ELNS0_17block_load_methodE3ELS4_3ELS4_3ELNS0_20block_scan_algorithmE0ELj4294967295EEENS1_25partition_config_selectorILNS1_17partition_subalgoE3EjNS0_10empty_typeEbEEZZNS1_14partition_implILS8_3ELb0ES6_jNS0_17counting_iteratorIjlEEPS9_SE_NS0_5tupleIJPjSE_EEENSF_IJSE_SE_EEES9_SG_JZNS1_25segmented_radix_sort_implINS0_14default_configELb0EPKiPiPKlPlN2at6native12_GLOBAL__N_18offset_tEEE10hipError_tPvRmT1_PNSt15iterator_traitsISY_E10value_typeET2_T3_PNSZ_IS14_E10value_typeET4_jRbjT5_S1A_jjP12ihipStream_tbEUljE_EEESV_SW_SX_S14_S18_S1A_T6_T7_T9_mT8_S1C_bDpT10_ENKUlT_T0_E_clISt17integral_constantIbLb1EES1P_EEDaS1K_S1L_EUlS1K_E_NS1_11comp_targetILNS1_3genE10ELNS1_11target_archE1200ELNS1_3gpuE4ELNS1_3repE0EEENS1_30default_config_static_selectorELNS0_4arch9wavefront6targetE1EEEvSY_,comdat
	.globl	_ZN7rocprim17ROCPRIM_400000_NS6detail17trampoline_kernelINS0_13select_configILj256ELj13ELNS0_17block_load_methodE3ELS4_3ELS4_3ELNS0_20block_scan_algorithmE0ELj4294967295EEENS1_25partition_config_selectorILNS1_17partition_subalgoE3EjNS0_10empty_typeEbEEZZNS1_14partition_implILS8_3ELb0ES6_jNS0_17counting_iteratorIjlEEPS9_SE_NS0_5tupleIJPjSE_EEENSF_IJSE_SE_EEES9_SG_JZNS1_25segmented_radix_sort_implINS0_14default_configELb0EPKiPiPKlPlN2at6native12_GLOBAL__N_18offset_tEEE10hipError_tPvRmT1_PNSt15iterator_traitsISY_E10value_typeET2_T3_PNSZ_IS14_E10value_typeET4_jRbjT5_S1A_jjP12ihipStream_tbEUljE_EEESV_SW_SX_S14_S18_S1A_T6_T7_T9_mT8_S1C_bDpT10_ENKUlT_T0_E_clISt17integral_constantIbLb1EES1P_EEDaS1K_S1L_EUlS1K_E_NS1_11comp_targetILNS1_3genE10ELNS1_11target_archE1200ELNS1_3gpuE4ELNS1_3repE0EEENS1_30default_config_static_selectorELNS0_4arch9wavefront6targetE1EEEvSY_ ; -- Begin function _ZN7rocprim17ROCPRIM_400000_NS6detail17trampoline_kernelINS0_13select_configILj256ELj13ELNS0_17block_load_methodE3ELS4_3ELS4_3ELNS0_20block_scan_algorithmE0ELj4294967295EEENS1_25partition_config_selectorILNS1_17partition_subalgoE3EjNS0_10empty_typeEbEEZZNS1_14partition_implILS8_3ELb0ES6_jNS0_17counting_iteratorIjlEEPS9_SE_NS0_5tupleIJPjSE_EEENSF_IJSE_SE_EEES9_SG_JZNS1_25segmented_radix_sort_implINS0_14default_configELb0EPKiPiPKlPlN2at6native12_GLOBAL__N_18offset_tEEE10hipError_tPvRmT1_PNSt15iterator_traitsISY_E10value_typeET2_T3_PNSZ_IS14_E10value_typeET4_jRbjT5_S1A_jjP12ihipStream_tbEUljE_EEESV_SW_SX_S14_S18_S1A_T6_T7_T9_mT8_S1C_bDpT10_ENKUlT_T0_E_clISt17integral_constantIbLb1EES1P_EEDaS1K_S1L_EUlS1K_E_NS1_11comp_targetILNS1_3genE10ELNS1_11target_archE1200ELNS1_3gpuE4ELNS1_3repE0EEENS1_30default_config_static_selectorELNS0_4arch9wavefront6targetE1EEEvSY_
	.p2align	8
	.type	_ZN7rocprim17ROCPRIM_400000_NS6detail17trampoline_kernelINS0_13select_configILj256ELj13ELNS0_17block_load_methodE3ELS4_3ELS4_3ELNS0_20block_scan_algorithmE0ELj4294967295EEENS1_25partition_config_selectorILNS1_17partition_subalgoE3EjNS0_10empty_typeEbEEZZNS1_14partition_implILS8_3ELb0ES6_jNS0_17counting_iteratorIjlEEPS9_SE_NS0_5tupleIJPjSE_EEENSF_IJSE_SE_EEES9_SG_JZNS1_25segmented_radix_sort_implINS0_14default_configELb0EPKiPiPKlPlN2at6native12_GLOBAL__N_18offset_tEEE10hipError_tPvRmT1_PNSt15iterator_traitsISY_E10value_typeET2_T3_PNSZ_IS14_E10value_typeET4_jRbjT5_S1A_jjP12ihipStream_tbEUljE_EEESV_SW_SX_S14_S18_S1A_T6_T7_T9_mT8_S1C_bDpT10_ENKUlT_T0_E_clISt17integral_constantIbLb1EES1P_EEDaS1K_S1L_EUlS1K_E_NS1_11comp_targetILNS1_3genE10ELNS1_11target_archE1200ELNS1_3gpuE4ELNS1_3repE0EEENS1_30default_config_static_selectorELNS0_4arch9wavefront6targetE1EEEvSY_,@function
_ZN7rocprim17ROCPRIM_400000_NS6detail17trampoline_kernelINS0_13select_configILj256ELj13ELNS0_17block_load_methodE3ELS4_3ELS4_3ELNS0_20block_scan_algorithmE0ELj4294967295EEENS1_25partition_config_selectorILNS1_17partition_subalgoE3EjNS0_10empty_typeEbEEZZNS1_14partition_implILS8_3ELb0ES6_jNS0_17counting_iteratorIjlEEPS9_SE_NS0_5tupleIJPjSE_EEENSF_IJSE_SE_EEES9_SG_JZNS1_25segmented_radix_sort_implINS0_14default_configELb0EPKiPiPKlPlN2at6native12_GLOBAL__N_18offset_tEEE10hipError_tPvRmT1_PNSt15iterator_traitsISY_E10value_typeET2_T3_PNSZ_IS14_E10value_typeET4_jRbjT5_S1A_jjP12ihipStream_tbEUljE_EEESV_SW_SX_S14_S18_S1A_T6_T7_T9_mT8_S1C_bDpT10_ENKUlT_T0_E_clISt17integral_constantIbLb1EES1P_EEDaS1K_S1L_EUlS1K_E_NS1_11comp_targetILNS1_3genE10ELNS1_11target_archE1200ELNS1_3gpuE4ELNS1_3repE0EEENS1_30default_config_static_selectorELNS0_4arch9wavefront6targetE1EEEvSY_: ; @_ZN7rocprim17ROCPRIM_400000_NS6detail17trampoline_kernelINS0_13select_configILj256ELj13ELNS0_17block_load_methodE3ELS4_3ELS4_3ELNS0_20block_scan_algorithmE0ELj4294967295EEENS1_25partition_config_selectorILNS1_17partition_subalgoE3EjNS0_10empty_typeEbEEZZNS1_14partition_implILS8_3ELb0ES6_jNS0_17counting_iteratorIjlEEPS9_SE_NS0_5tupleIJPjSE_EEENSF_IJSE_SE_EEES9_SG_JZNS1_25segmented_radix_sort_implINS0_14default_configELb0EPKiPiPKlPlN2at6native12_GLOBAL__N_18offset_tEEE10hipError_tPvRmT1_PNSt15iterator_traitsISY_E10value_typeET2_T3_PNSZ_IS14_E10value_typeET4_jRbjT5_S1A_jjP12ihipStream_tbEUljE_EEESV_SW_SX_S14_S18_S1A_T6_T7_T9_mT8_S1C_bDpT10_ENKUlT_T0_E_clISt17integral_constantIbLb1EES1P_EEDaS1K_S1L_EUlS1K_E_NS1_11comp_targetILNS1_3genE10ELNS1_11target_archE1200ELNS1_3gpuE4ELNS1_3repE0EEENS1_30default_config_static_selectorELNS0_4arch9wavefront6targetE1EEEvSY_
; %bb.0:
	.section	.rodata,"a",@progbits
	.p2align	6, 0x0
	.amdhsa_kernel _ZN7rocprim17ROCPRIM_400000_NS6detail17trampoline_kernelINS0_13select_configILj256ELj13ELNS0_17block_load_methodE3ELS4_3ELS4_3ELNS0_20block_scan_algorithmE0ELj4294967295EEENS1_25partition_config_selectorILNS1_17partition_subalgoE3EjNS0_10empty_typeEbEEZZNS1_14partition_implILS8_3ELb0ES6_jNS0_17counting_iteratorIjlEEPS9_SE_NS0_5tupleIJPjSE_EEENSF_IJSE_SE_EEES9_SG_JZNS1_25segmented_radix_sort_implINS0_14default_configELb0EPKiPiPKlPlN2at6native12_GLOBAL__N_18offset_tEEE10hipError_tPvRmT1_PNSt15iterator_traitsISY_E10value_typeET2_T3_PNSZ_IS14_E10value_typeET4_jRbjT5_S1A_jjP12ihipStream_tbEUljE_EEESV_SW_SX_S14_S18_S1A_T6_T7_T9_mT8_S1C_bDpT10_ENKUlT_T0_E_clISt17integral_constantIbLb1EES1P_EEDaS1K_S1L_EUlS1K_E_NS1_11comp_targetILNS1_3genE10ELNS1_11target_archE1200ELNS1_3gpuE4ELNS1_3repE0EEENS1_30default_config_static_selectorELNS0_4arch9wavefront6targetE1EEEvSY_
		.amdhsa_group_segment_fixed_size 0
		.amdhsa_private_segment_fixed_size 0
		.amdhsa_kernarg_size 152
		.amdhsa_user_sgpr_count 6
		.amdhsa_user_sgpr_private_segment_buffer 1
		.amdhsa_user_sgpr_dispatch_ptr 0
		.amdhsa_user_sgpr_queue_ptr 0
		.amdhsa_user_sgpr_kernarg_segment_ptr 1
		.amdhsa_user_sgpr_dispatch_id 0
		.amdhsa_user_sgpr_flat_scratch_init 0
		.amdhsa_user_sgpr_kernarg_preload_length 0
		.amdhsa_user_sgpr_kernarg_preload_offset 0
		.amdhsa_user_sgpr_private_segment_size 0
		.amdhsa_uses_dynamic_stack 0
		.amdhsa_system_sgpr_private_segment_wavefront_offset 0
		.amdhsa_system_sgpr_workgroup_id_x 1
		.amdhsa_system_sgpr_workgroup_id_y 0
		.amdhsa_system_sgpr_workgroup_id_z 0
		.amdhsa_system_sgpr_workgroup_info 0
		.amdhsa_system_vgpr_workitem_id 0
		.amdhsa_next_free_vgpr 1
		.amdhsa_next_free_sgpr 0
		.amdhsa_accum_offset 4
		.amdhsa_reserve_vcc 0
		.amdhsa_reserve_flat_scratch 0
		.amdhsa_float_round_mode_32 0
		.amdhsa_float_round_mode_16_64 0
		.amdhsa_float_denorm_mode_32 3
		.amdhsa_float_denorm_mode_16_64 3
		.amdhsa_dx10_clamp 1
		.amdhsa_ieee_mode 1
		.amdhsa_fp16_overflow 0
		.amdhsa_tg_split 0
		.amdhsa_exception_fp_ieee_invalid_op 0
		.amdhsa_exception_fp_denorm_src 0
		.amdhsa_exception_fp_ieee_div_zero 0
		.amdhsa_exception_fp_ieee_overflow 0
		.amdhsa_exception_fp_ieee_underflow 0
		.amdhsa_exception_fp_ieee_inexact 0
		.amdhsa_exception_int_div_zero 0
	.end_amdhsa_kernel
	.section	.text._ZN7rocprim17ROCPRIM_400000_NS6detail17trampoline_kernelINS0_13select_configILj256ELj13ELNS0_17block_load_methodE3ELS4_3ELS4_3ELNS0_20block_scan_algorithmE0ELj4294967295EEENS1_25partition_config_selectorILNS1_17partition_subalgoE3EjNS0_10empty_typeEbEEZZNS1_14partition_implILS8_3ELb0ES6_jNS0_17counting_iteratorIjlEEPS9_SE_NS0_5tupleIJPjSE_EEENSF_IJSE_SE_EEES9_SG_JZNS1_25segmented_radix_sort_implINS0_14default_configELb0EPKiPiPKlPlN2at6native12_GLOBAL__N_18offset_tEEE10hipError_tPvRmT1_PNSt15iterator_traitsISY_E10value_typeET2_T3_PNSZ_IS14_E10value_typeET4_jRbjT5_S1A_jjP12ihipStream_tbEUljE_EEESV_SW_SX_S14_S18_S1A_T6_T7_T9_mT8_S1C_bDpT10_ENKUlT_T0_E_clISt17integral_constantIbLb1EES1P_EEDaS1K_S1L_EUlS1K_E_NS1_11comp_targetILNS1_3genE10ELNS1_11target_archE1200ELNS1_3gpuE4ELNS1_3repE0EEENS1_30default_config_static_selectorELNS0_4arch9wavefront6targetE1EEEvSY_,"axG",@progbits,_ZN7rocprim17ROCPRIM_400000_NS6detail17trampoline_kernelINS0_13select_configILj256ELj13ELNS0_17block_load_methodE3ELS4_3ELS4_3ELNS0_20block_scan_algorithmE0ELj4294967295EEENS1_25partition_config_selectorILNS1_17partition_subalgoE3EjNS0_10empty_typeEbEEZZNS1_14partition_implILS8_3ELb0ES6_jNS0_17counting_iteratorIjlEEPS9_SE_NS0_5tupleIJPjSE_EEENSF_IJSE_SE_EEES9_SG_JZNS1_25segmented_radix_sort_implINS0_14default_configELb0EPKiPiPKlPlN2at6native12_GLOBAL__N_18offset_tEEE10hipError_tPvRmT1_PNSt15iterator_traitsISY_E10value_typeET2_T3_PNSZ_IS14_E10value_typeET4_jRbjT5_S1A_jjP12ihipStream_tbEUljE_EEESV_SW_SX_S14_S18_S1A_T6_T7_T9_mT8_S1C_bDpT10_ENKUlT_T0_E_clISt17integral_constantIbLb1EES1P_EEDaS1K_S1L_EUlS1K_E_NS1_11comp_targetILNS1_3genE10ELNS1_11target_archE1200ELNS1_3gpuE4ELNS1_3repE0EEENS1_30default_config_static_selectorELNS0_4arch9wavefront6targetE1EEEvSY_,comdat
.Lfunc_end581:
	.size	_ZN7rocprim17ROCPRIM_400000_NS6detail17trampoline_kernelINS0_13select_configILj256ELj13ELNS0_17block_load_methodE3ELS4_3ELS4_3ELNS0_20block_scan_algorithmE0ELj4294967295EEENS1_25partition_config_selectorILNS1_17partition_subalgoE3EjNS0_10empty_typeEbEEZZNS1_14partition_implILS8_3ELb0ES6_jNS0_17counting_iteratorIjlEEPS9_SE_NS0_5tupleIJPjSE_EEENSF_IJSE_SE_EEES9_SG_JZNS1_25segmented_radix_sort_implINS0_14default_configELb0EPKiPiPKlPlN2at6native12_GLOBAL__N_18offset_tEEE10hipError_tPvRmT1_PNSt15iterator_traitsISY_E10value_typeET2_T3_PNSZ_IS14_E10value_typeET4_jRbjT5_S1A_jjP12ihipStream_tbEUljE_EEESV_SW_SX_S14_S18_S1A_T6_T7_T9_mT8_S1C_bDpT10_ENKUlT_T0_E_clISt17integral_constantIbLb1EES1P_EEDaS1K_S1L_EUlS1K_E_NS1_11comp_targetILNS1_3genE10ELNS1_11target_archE1200ELNS1_3gpuE4ELNS1_3repE0EEENS1_30default_config_static_selectorELNS0_4arch9wavefront6targetE1EEEvSY_, .Lfunc_end581-_ZN7rocprim17ROCPRIM_400000_NS6detail17trampoline_kernelINS0_13select_configILj256ELj13ELNS0_17block_load_methodE3ELS4_3ELS4_3ELNS0_20block_scan_algorithmE0ELj4294967295EEENS1_25partition_config_selectorILNS1_17partition_subalgoE3EjNS0_10empty_typeEbEEZZNS1_14partition_implILS8_3ELb0ES6_jNS0_17counting_iteratorIjlEEPS9_SE_NS0_5tupleIJPjSE_EEENSF_IJSE_SE_EEES9_SG_JZNS1_25segmented_radix_sort_implINS0_14default_configELb0EPKiPiPKlPlN2at6native12_GLOBAL__N_18offset_tEEE10hipError_tPvRmT1_PNSt15iterator_traitsISY_E10value_typeET2_T3_PNSZ_IS14_E10value_typeET4_jRbjT5_S1A_jjP12ihipStream_tbEUljE_EEESV_SW_SX_S14_S18_S1A_T6_T7_T9_mT8_S1C_bDpT10_ENKUlT_T0_E_clISt17integral_constantIbLb1EES1P_EEDaS1K_S1L_EUlS1K_E_NS1_11comp_targetILNS1_3genE10ELNS1_11target_archE1200ELNS1_3gpuE4ELNS1_3repE0EEENS1_30default_config_static_selectorELNS0_4arch9wavefront6targetE1EEEvSY_
                                        ; -- End function
	.section	.AMDGPU.csdata,"",@progbits
; Kernel info:
; codeLenInByte = 0
; NumSgprs: 4
; NumVgprs: 0
; NumAgprs: 0
; TotalNumVgprs: 0
; ScratchSize: 0
; MemoryBound: 0
; FloatMode: 240
; IeeeMode: 1
; LDSByteSize: 0 bytes/workgroup (compile time only)
; SGPRBlocks: 0
; VGPRBlocks: 0
; NumSGPRsForWavesPerEU: 4
; NumVGPRsForWavesPerEU: 1
; AccumOffset: 4
; Occupancy: 8
; WaveLimiterHint : 0
; COMPUTE_PGM_RSRC2:SCRATCH_EN: 0
; COMPUTE_PGM_RSRC2:USER_SGPR: 6
; COMPUTE_PGM_RSRC2:TRAP_HANDLER: 0
; COMPUTE_PGM_RSRC2:TGID_X_EN: 1
; COMPUTE_PGM_RSRC2:TGID_Y_EN: 0
; COMPUTE_PGM_RSRC2:TGID_Z_EN: 0
; COMPUTE_PGM_RSRC2:TIDIG_COMP_CNT: 0
; COMPUTE_PGM_RSRC3_GFX90A:ACCUM_OFFSET: 0
; COMPUTE_PGM_RSRC3_GFX90A:TG_SPLIT: 0
	.section	.text._ZN7rocprim17ROCPRIM_400000_NS6detail17trampoline_kernelINS0_13select_configILj256ELj13ELNS0_17block_load_methodE3ELS4_3ELS4_3ELNS0_20block_scan_algorithmE0ELj4294967295EEENS1_25partition_config_selectorILNS1_17partition_subalgoE3EjNS0_10empty_typeEbEEZZNS1_14partition_implILS8_3ELb0ES6_jNS0_17counting_iteratorIjlEEPS9_SE_NS0_5tupleIJPjSE_EEENSF_IJSE_SE_EEES9_SG_JZNS1_25segmented_radix_sort_implINS0_14default_configELb0EPKiPiPKlPlN2at6native12_GLOBAL__N_18offset_tEEE10hipError_tPvRmT1_PNSt15iterator_traitsISY_E10value_typeET2_T3_PNSZ_IS14_E10value_typeET4_jRbjT5_S1A_jjP12ihipStream_tbEUljE_EEESV_SW_SX_S14_S18_S1A_T6_T7_T9_mT8_S1C_bDpT10_ENKUlT_T0_E_clISt17integral_constantIbLb1EES1P_EEDaS1K_S1L_EUlS1K_E_NS1_11comp_targetILNS1_3genE9ELNS1_11target_archE1100ELNS1_3gpuE3ELNS1_3repE0EEENS1_30default_config_static_selectorELNS0_4arch9wavefront6targetE1EEEvSY_,"axG",@progbits,_ZN7rocprim17ROCPRIM_400000_NS6detail17trampoline_kernelINS0_13select_configILj256ELj13ELNS0_17block_load_methodE3ELS4_3ELS4_3ELNS0_20block_scan_algorithmE0ELj4294967295EEENS1_25partition_config_selectorILNS1_17partition_subalgoE3EjNS0_10empty_typeEbEEZZNS1_14partition_implILS8_3ELb0ES6_jNS0_17counting_iteratorIjlEEPS9_SE_NS0_5tupleIJPjSE_EEENSF_IJSE_SE_EEES9_SG_JZNS1_25segmented_radix_sort_implINS0_14default_configELb0EPKiPiPKlPlN2at6native12_GLOBAL__N_18offset_tEEE10hipError_tPvRmT1_PNSt15iterator_traitsISY_E10value_typeET2_T3_PNSZ_IS14_E10value_typeET4_jRbjT5_S1A_jjP12ihipStream_tbEUljE_EEESV_SW_SX_S14_S18_S1A_T6_T7_T9_mT8_S1C_bDpT10_ENKUlT_T0_E_clISt17integral_constantIbLb1EES1P_EEDaS1K_S1L_EUlS1K_E_NS1_11comp_targetILNS1_3genE9ELNS1_11target_archE1100ELNS1_3gpuE3ELNS1_3repE0EEENS1_30default_config_static_selectorELNS0_4arch9wavefront6targetE1EEEvSY_,comdat
	.globl	_ZN7rocprim17ROCPRIM_400000_NS6detail17trampoline_kernelINS0_13select_configILj256ELj13ELNS0_17block_load_methodE3ELS4_3ELS4_3ELNS0_20block_scan_algorithmE0ELj4294967295EEENS1_25partition_config_selectorILNS1_17partition_subalgoE3EjNS0_10empty_typeEbEEZZNS1_14partition_implILS8_3ELb0ES6_jNS0_17counting_iteratorIjlEEPS9_SE_NS0_5tupleIJPjSE_EEENSF_IJSE_SE_EEES9_SG_JZNS1_25segmented_radix_sort_implINS0_14default_configELb0EPKiPiPKlPlN2at6native12_GLOBAL__N_18offset_tEEE10hipError_tPvRmT1_PNSt15iterator_traitsISY_E10value_typeET2_T3_PNSZ_IS14_E10value_typeET4_jRbjT5_S1A_jjP12ihipStream_tbEUljE_EEESV_SW_SX_S14_S18_S1A_T6_T7_T9_mT8_S1C_bDpT10_ENKUlT_T0_E_clISt17integral_constantIbLb1EES1P_EEDaS1K_S1L_EUlS1K_E_NS1_11comp_targetILNS1_3genE9ELNS1_11target_archE1100ELNS1_3gpuE3ELNS1_3repE0EEENS1_30default_config_static_selectorELNS0_4arch9wavefront6targetE1EEEvSY_ ; -- Begin function _ZN7rocprim17ROCPRIM_400000_NS6detail17trampoline_kernelINS0_13select_configILj256ELj13ELNS0_17block_load_methodE3ELS4_3ELS4_3ELNS0_20block_scan_algorithmE0ELj4294967295EEENS1_25partition_config_selectorILNS1_17partition_subalgoE3EjNS0_10empty_typeEbEEZZNS1_14partition_implILS8_3ELb0ES6_jNS0_17counting_iteratorIjlEEPS9_SE_NS0_5tupleIJPjSE_EEENSF_IJSE_SE_EEES9_SG_JZNS1_25segmented_radix_sort_implINS0_14default_configELb0EPKiPiPKlPlN2at6native12_GLOBAL__N_18offset_tEEE10hipError_tPvRmT1_PNSt15iterator_traitsISY_E10value_typeET2_T3_PNSZ_IS14_E10value_typeET4_jRbjT5_S1A_jjP12ihipStream_tbEUljE_EEESV_SW_SX_S14_S18_S1A_T6_T7_T9_mT8_S1C_bDpT10_ENKUlT_T0_E_clISt17integral_constantIbLb1EES1P_EEDaS1K_S1L_EUlS1K_E_NS1_11comp_targetILNS1_3genE9ELNS1_11target_archE1100ELNS1_3gpuE3ELNS1_3repE0EEENS1_30default_config_static_selectorELNS0_4arch9wavefront6targetE1EEEvSY_
	.p2align	8
	.type	_ZN7rocprim17ROCPRIM_400000_NS6detail17trampoline_kernelINS0_13select_configILj256ELj13ELNS0_17block_load_methodE3ELS4_3ELS4_3ELNS0_20block_scan_algorithmE0ELj4294967295EEENS1_25partition_config_selectorILNS1_17partition_subalgoE3EjNS0_10empty_typeEbEEZZNS1_14partition_implILS8_3ELb0ES6_jNS0_17counting_iteratorIjlEEPS9_SE_NS0_5tupleIJPjSE_EEENSF_IJSE_SE_EEES9_SG_JZNS1_25segmented_radix_sort_implINS0_14default_configELb0EPKiPiPKlPlN2at6native12_GLOBAL__N_18offset_tEEE10hipError_tPvRmT1_PNSt15iterator_traitsISY_E10value_typeET2_T3_PNSZ_IS14_E10value_typeET4_jRbjT5_S1A_jjP12ihipStream_tbEUljE_EEESV_SW_SX_S14_S18_S1A_T6_T7_T9_mT8_S1C_bDpT10_ENKUlT_T0_E_clISt17integral_constantIbLb1EES1P_EEDaS1K_S1L_EUlS1K_E_NS1_11comp_targetILNS1_3genE9ELNS1_11target_archE1100ELNS1_3gpuE3ELNS1_3repE0EEENS1_30default_config_static_selectorELNS0_4arch9wavefront6targetE1EEEvSY_,@function
_ZN7rocprim17ROCPRIM_400000_NS6detail17trampoline_kernelINS0_13select_configILj256ELj13ELNS0_17block_load_methodE3ELS4_3ELS4_3ELNS0_20block_scan_algorithmE0ELj4294967295EEENS1_25partition_config_selectorILNS1_17partition_subalgoE3EjNS0_10empty_typeEbEEZZNS1_14partition_implILS8_3ELb0ES6_jNS0_17counting_iteratorIjlEEPS9_SE_NS0_5tupleIJPjSE_EEENSF_IJSE_SE_EEES9_SG_JZNS1_25segmented_radix_sort_implINS0_14default_configELb0EPKiPiPKlPlN2at6native12_GLOBAL__N_18offset_tEEE10hipError_tPvRmT1_PNSt15iterator_traitsISY_E10value_typeET2_T3_PNSZ_IS14_E10value_typeET4_jRbjT5_S1A_jjP12ihipStream_tbEUljE_EEESV_SW_SX_S14_S18_S1A_T6_T7_T9_mT8_S1C_bDpT10_ENKUlT_T0_E_clISt17integral_constantIbLb1EES1P_EEDaS1K_S1L_EUlS1K_E_NS1_11comp_targetILNS1_3genE9ELNS1_11target_archE1100ELNS1_3gpuE3ELNS1_3repE0EEENS1_30default_config_static_selectorELNS0_4arch9wavefront6targetE1EEEvSY_: ; @_ZN7rocprim17ROCPRIM_400000_NS6detail17trampoline_kernelINS0_13select_configILj256ELj13ELNS0_17block_load_methodE3ELS4_3ELS4_3ELNS0_20block_scan_algorithmE0ELj4294967295EEENS1_25partition_config_selectorILNS1_17partition_subalgoE3EjNS0_10empty_typeEbEEZZNS1_14partition_implILS8_3ELb0ES6_jNS0_17counting_iteratorIjlEEPS9_SE_NS0_5tupleIJPjSE_EEENSF_IJSE_SE_EEES9_SG_JZNS1_25segmented_radix_sort_implINS0_14default_configELb0EPKiPiPKlPlN2at6native12_GLOBAL__N_18offset_tEEE10hipError_tPvRmT1_PNSt15iterator_traitsISY_E10value_typeET2_T3_PNSZ_IS14_E10value_typeET4_jRbjT5_S1A_jjP12ihipStream_tbEUljE_EEESV_SW_SX_S14_S18_S1A_T6_T7_T9_mT8_S1C_bDpT10_ENKUlT_T0_E_clISt17integral_constantIbLb1EES1P_EEDaS1K_S1L_EUlS1K_E_NS1_11comp_targetILNS1_3genE9ELNS1_11target_archE1100ELNS1_3gpuE3ELNS1_3repE0EEENS1_30default_config_static_selectorELNS0_4arch9wavefront6targetE1EEEvSY_
; %bb.0:
	.section	.rodata,"a",@progbits
	.p2align	6, 0x0
	.amdhsa_kernel _ZN7rocprim17ROCPRIM_400000_NS6detail17trampoline_kernelINS0_13select_configILj256ELj13ELNS0_17block_load_methodE3ELS4_3ELS4_3ELNS0_20block_scan_algorithmE0ELj4294967295EEENS1_25partition_config_selectorILNS1_17partition_subalgoE3EjNS0_10empty_typeEbEEZZNS1_14partition_implILS8_3ELb0ES6_jNS0_17counting_iteratorIjlEEPS9_SE_NS0_5tupleIJPjSE_EEENSF_IJSE_SE_EEES9_SG_JZNS1_25segmented_radix_sort_implINS0_14default_configELb0EPKiPiPKlPlN2at6native12_GLOBAL__N_18offset_tEEE10hipError_tPvRmT1_PNSt15iterator_traitsISY_E10value_typeET2_T3_PNSZ_IS14_E10value_typeET4_jRbjT5_S1A_jjP12ihipStream_tbEUljE_EEESV_SW_SX_S14_S18_S1A_T6_T7_T9_mT8_S1C_bDpT10_ENKUlT_T0_E_clISt17integral_constantIbLb1EES1P_EEDaS1K_S1L_EUlS1K_E_NS1_11comp_targetILNS1_3genE9ELNS1_11target_archE1100ELNS1_3gpuE3ELNS1_3repE0EEENS1_30default_config_static_selectorELNS0_4arch9wavefront6targetE1EEEvSY_
		.amdhsa_group_segment_fixed_size 0
		.amdhsa_private_segment_fixed_size 0
		.amdhsa_kernarg_size 152
		.amdhsa_user_sgpr_count 6
		.amdhsa_user_sgpr_private_segment_buffer 1
		.amdhsa_user_sgpr_dispatch_ptr 0
		.amdhsa_user_sgpr_queue_ptr 0
		.amdhsa_user_sgpr_kernarg_segment_ptr 1
		.amdhsa_user_sgpr_dispatch_id 0
		.amdhsa_user_sgpr_flat_scratch_init 0
		.amdhsa_user_sgpr_kernarg_preload_length 0
		.amdhsa_user_sgpr_kernarg_preload_offset 0
		.amdhsa_user_sgpr_private_segment_size 0
		.amdhsa_uses_dynamic_stack 0
		.amdhsa_system_sgpr_private_segment_wavefront_offset 0
		.amdhsa_system_sgpr_workgroup_id_x 1
		.amdhsa_system_sgpr_workgroup_id_y 0
		.amdhsa_system_sgpr_workgroup_id_z 0
		.amdhsa_system_sgpr_workgroup_info 0
		.amdhsa_system_vgpr_workitem_id 0
		.amdhsa_next_free_vgpr 1
		.amdhsa_next_free_sgpr 0
		.amdhsa_accum_offset 4
		.amdhsa_reserve_vcc 0
		.amdhsa_reserve_flat_scratch 0
		.amdhsa_float_round_mode_32 0
		.amdhsa_float_round_mode_16_64 0
		.amdhsa_float_denorm_mode_32 3
		.amdhsa_float_denorm_mode_16_64 3
		.amdhsa_dx10_clamp 1
		.amdhsa_ieee_mode 1
		.amdhsa_fp16_overflow 0
		.amdhsa_tg_split 0
		.amdhsa_exception_fp_ieee_invalid_op 0
		.amdhsa_exception_fp_denorm_src 0
		.amdhsa_exception_fp_ieee_div_zero 0
		.amdhsa_exception_fp_ieee_overflow 0
		.amdhsa_exception_fp_ieee_underflow 0
		.amdhsa_exception_fp_ieee_inexact 0
		.amdhsa_exception_int_div_zero 0
	.end_amdhsa_kernel
	.section	.text._ZN7rocprim17ROCPRIM_400000_NS6detail17trampoline_kernelINS0_13select_configILj256ELj13ELNS0_17block_load_methodE3ELS4_3ELS4_3ELNS0_20block_scan_algorithmE0ELj4294967295EEENS1_25partition_config_selectorILNS1_17partition_subalgoE3EjNS0_10empty_typeEbEEZZNS1_14partition_implILS8_3ELb0ES6_jNS0_17counting_iteratorIjlEEPS9_SE_NS0_5tupleIJPjSE_EEENSF_IJSE_SE_EEES9_SG_JZNS1_25segmented_radix_sort_implINS0_14default_configELb0EPKiPiPKlPlN2at6native12_GLOBAL__N_18offset_tEEE10hipError_tPvRmT1_PNSt15iterator_traitsISY_E10value_typeET2_T3_PNSZ_IS14_E10value_typeET4_jRbjT5_S1A_jjP12ihipStream_tbEUljE_EEESV_SW_SX_S14_S18_S1A_T6_T7_T9_mT8_S1C_bDpT10_ENKUlT_T0_E_clISt17integral_constantIbLb1EES1P_EEDaS1K_S1L_EUlS1K_E_NS1_11comp_targetILNS1_3genE9ELNS1_11target_archE1100ELNS1_3gpuE3ELNS1_3repE0EEENS1_30default_config_static_selectorELNS0_4arch9wavefront6targetE1EEEvSY_,"axG",@progbits,_ZN7rocprim17ROCPRIM_400000_NS6detail17trampoline_kernelINS0_13select_configILj256ELj13ELNS0_17block_load_methodE3ELS4_3ELS4_3ELNS0_20block_scan_algorithmE0ELj4294967295EEENS1_25partition_config_selectorILNS1_17partition_subalgoE3EjNS0_10empty_typeEbEEZZNS1_14partition_implILS8_3ELb0ES6_jNS0_17counting_iteratorIjlEEPS9_SE_NS0_5tupleIJPjSE_EEENSF_IJSE_SE_EEES9_SG_JZNS1_25segmented_radix_sort_implINS0_14default_configELb0EPKiPiPKlPlN2at6native12_GLOBAL__N_18offset_tEEE10hipError_tPvRmT1_PNSt15iterator_traitsISY_E10value_typeET2_T3_PNSZ_IS14_E10value_typeET4_jRbjT5_S1A_jjP12ihipStream_tbEUljE_EEESV_SW_SX_S14_S18_S1A_T6_T7_T9_mT8_S1C_bDpT10_ENKUlT_T0_E_clISt17integral_constantIbLb1EES1P_EEDaS1K_S1L_EUlS1K_E_NS1_11comp_targetILNS1_3genE9ELNS1_11target_archE1100ELNS1_3gpuE3ELNS1_3repE0EEENS1_30default_config_static_selectorELNS0_4arch9wavefront6targetE1EEEvSY_,comdat
.Lfunc_end582:
	.size	_ZN7rocprim17ROCPRIM_400000_NS6detail17trampoline_kernelINS0_13select_configILj256ELj13ELNS0_17block_load_methodE3ELS4_3ELS4_3ELNS0_20block_scan_algorithmE0ELj4294967295EEENS1_25partition_config_selectorILNS1_17partition_subalgoE3EjNS0_10empty_typeEbEEZZNS1_14partition_implILS8_3ELb0ES6_jNS0_17counting_iteratorIjlEEPS9_SE_NS0_5tupleIJPjSE_EEENSF_IJSE_SE_EEES9_SG_JZNS1_25segmented_radix_sort_implINS0_14default_configELb0EPKiPiPKlPlN2at6native12_GLOBAL__N_18offset_tEEE10hipError_tPvRmT1_PNSt15iterator_traitsISY_E10value_typeET2_T3_PNSZ_IS14_E10value_typeET4_jRbjT5_S1A_jjP12ihipStream_tbEUljE_EEESV_SW_SX_S14_S18_S1A_T6_T7_T9_mT8_S1C_bDpT10_ENKUlT_T0_E_clISt17integral_constantIbLb1EES1P_EEDaS1K_S1L_EUlS1K_E_NS1_11comp_targetILNS1_3genE9ELNS1_11target_archE1100ELNS1_3gpuE3ELNS1_3repE0EEENS1_30default_config_static_selectorELNS0_4arch9wavefront6targetE1EEEvSY_, .Lfunc_end582-_ZN7rocprim17ROCPRIM_400000_NS6detail17trampoline_kernelINS0_13select_configILj256ELj13ELNS0_17block_load_methodE3ELS4_3ELS4_3ELNS0_20block_scan_algorithmE0ELj4294967295EEENS1_25partition_config_selectorILNS1_17partition_subalgoE3EjNS0_10empty_typeEbEEZZNS1_14partition_implILS8_3ELb0ES6_jNS0_17counting_iteratorIjlEEPS9_SE_NS0_5tupleIJPjSE_EEENSF_IJSE_SE_EEES9_SG_JZNS1_25segmented_radix_sort_implINS0_14default_configELb0EPKiPiPKlPlN2at6native12_GLOBAL__N_18offset_tEEE10hipError_tPvRmT1_PNSt15iterator_traitsISY_E10value_typeET2_T3_PNSZ_IS14_E10value_typeET4_jRbjT5_S1A_jjP12ihipStream_tbEUljE_EEESV_SW_SX_S14_S18_S1A_T6_T7_T9_mT8_S1C_bDpT10_ENKUlT_T0_E_clISt17integral_constantIbLb1EES1P_EEDaS1K_S1L_EUlS1K_E_NS1_11comp_targetILNS1_3genE9ELNS1_11target_archE1100ELNS1_3gpuE3ELNS1_3repE0EEENS1_30default_config_static_selectorELNS0_4arch9wavefront6targetE1EEEvSY_
                                        ; -- End function
	.section	.AMDGPU.csdata,"",@progbits
; Kernel info:
; codeLenInByte = 0
; NumSgprs: 4
; NumVgprs: 0
; NumAgprs: 0
; TotalNumVgprs: 0
; ScratchSize: 0
; MemoryBound: 0
; FloatMode: 240
; IeeeMode: 1
; LDSByteSize: 0 bytes/workgroup (compile time only)
; SGPRBlocks: 0
; VGPRBlocks: 0
; NumSGPRsForWavesPerEU: 4
; NumVGPRsForWavesPerEU: 1
; AccumOffset: 4
; Occupancy: 8
; WaveLimiterHint : 0
; COMPUTE_PGM_RSRC2:SCRATCH_EN: 0
; COMPUTE_PGM_RSRC2:USER_SGPR: 6
; COMPUTE_PGM_RSRC2:TRAP_HANDLER: 0
; COMPUTE_PGM_RSRC2:TGID_X_EN: 1
; COMPUTE_PGM_RSRC2:TGID_Y_EN: 0
; COMPUTE_PGM_RSRC2:TGID_Z_EN: 0
; COMPUTE_PGM_RSRC2:TIDIG_COMP_CNT: 0
; COMPUTE_PGM_RSRC3_GFX90A:ACCUM_OFFSET: 0
; COMPUTE_PGM_RSRC3_GFX90A:TG_SPLIT: 0
	.section	.text._ZN7rocprim17ROCPRIM_400000_NS6detail17trampoline_kernelINS0_13select_configILj256ELj13ELNS0_17block_load_methodE3ELS4_3ELS4_3ELNS0_20block_scan_algorithmE0ELj4294967295EEENS1_25partition_config_selectorILNS1_17partition_subalgoE3EjNS0_10empty_typeEbEEZZNS1_14partition_implILS8_3ELb0ES6_jNS0_17counting_iteratorIjlEEPS9_SE_NS0_5tupleIJPjSE_EEENSF_IJSE_SE_EEES9_SG_JZNS1_25segmented_radix_sort_implINS0_14default_configELb0EPKiPiPKlPlN2at6native12_GLOBAL__N_18offset_tEEE10hipError_tPvRmT1_PNSt15iterator_traitsISY_E10value_typeET2_T3_PNSZ_IS14_E10value_typeET4_jRbjT5_S1A_jjP12ihipStream_tbEUljE_EEESV_SW_SX_S14_S18_S1A_T6_T7_T9_mT8_S1C_bDpT10_ENKUlT_T0_E_clISt17integral_constantIbLb1EES1P_EEDaS1K_S1L_EUlS1K_E_NS1_11comp_targetILNS1_3genE8ELNS1_11target_archE1030ELNS1_3gpuE2ELNS1_3repE0EEENS1_30default_config_static_selectorELNS0_4arch9wavefront6targetE1EEEvSY_,"axG",@progbits,_ZN7rocprim17ROCPRIM_400000_NS6detail17trampoline_kernelINS0_13select_configILj256ELj13ELNS0_17block_load_methodE3ELS4_3ELS4_3ELNS0_20block_scan_algorithmE0ELj4294967295EEENS1_25partition_config_selectorILNS1_17partition_subalgoE3EjNS0_10empty_typeEbEEZZNS1_14partition_implILS8_3ELb0ES6_jNS0_17counting_iteratorIjlEEPS9_SE_NS0_5tupleIJPjSE_EEENSF_IJSE_SE_EEES9_SG_JZNS1_25segmented_radix_sort_implINS0_14default_configELb0EPKiPiPKlPlN2at6native12_GLOBAL__N_18offset_tEEE10hipError_tPvRmT1_PNSt15iterator_traitsISY_E10value_typeET2_T3_PNSZ_IS14_E10value_typeET4_jRbjT5_S1A_jjP12ihipStream_tbEUljE_EEESV_SW_SX_S14_S18_S1A_T6_T7_T9_mT8_S1C_bDpT10_ENKUlT_T0_E_clISt17integral_constantIbLb1EES1P_EEDaS1K_S1L_EUlS1K_E_NS1_11comp_targetILNS1_3genE8ELNS1_11target_archE1030ELNS1_3gpuE2ELNS1_3repE0EEENS1_30default_config_static_selectorELNS0_4arch9wavefront6targetE1EEEvSY_,comdat
	.globl	_ZN7rocprim17ROCPRIM_400000_NS6detail17trampoline_kernelINS0_13select_configILj256ELj13ELNS0_17block_load_methodE3ELS4_3ELS4_3ELNS0_20block_scan_algorithmE0ELj4294967295EEENS1_25partition_config_selectorILNS1_17partition_subalgoE3EjNS0_10empty_typeEbEEZZNS1_14partition_implILS8_3ELb0ES6_jNS0_17counting_iteratorIjlEEPS9_SE_NS0_5tupleIJPjSE_EEENSF_IJSE_SE_EEES9_SG_JZNS1_25segmented_radix_sort_implINS0_14default_configELb0EPKiPiPKlPlN2at6native12_GLOBAL__N_18offset_tEEE10hipError_tPvRmT1_PNSt15iterator_traitsISY_E10value_typeET2_T3_PNSZ_IS14_E10value_typeET4_jRbjT5_S1A_jjP12ihipStream_tbEUljE_EEESV_SW_SX_S14_S18_S1A_T6_T7_T9_mT8_S1C_bDpT10_ENKUlT_T0_E_clISt17integral_constantIbLb1EES1P_EEDaS1K_S1L_EUlS1K_E_NS1_11comp_targetILNS1_3genE8ELNS1_11target_archE1030ELNS1_3gpuE2ELNS1_3repE0EEENS1_30default_config_static_selectorELNS0_4arch9wavefront6targetE1EEEvSY_ ; -- Begin function _ZN7rocprim17ROCPRIM_400000_NS6detail17trampoline_kernelINS0_13select_configILj256ELj13ELNS0_17block_load_methodE3ELS4_3ELS4_3ELNS0_20block_scan_algorithmE0ELj4294967295EEENS1_25partition_config_selectorILNS1_17partition_subalgoE3EjNS0_10empty_typeEbEEZZNS1_14partition_implILS8_3ELb0ES6_jNS0_17counting_iteratorIjlEEPS9_SE_NS0_5tupleIJPjSE_EEENSF_IJSE_SE_EEES9_SG_JZNS1_25segmented_radix_sort_implINS0_14default_configELb0EPKiPiPKlPlN2at6native12_GLOBAL__N_18offset_tEEE10hipError_tPvRmT1_PNSt15iterator_traitsISY_E10value_typeET2_T3_PNSZ_IS14_E10value_typeET4_jRbjT5_S1A_jjP12ihipStream_tbEUljE_EEESV_SW_SX_S14_S18_S1A_T6_T7_T9_mT8_S1C_bDpT10_ENKUlT_T0_E_clISt17integral_constantIbLb1EES1P_EEDaS1K_S1L_EUlS1K_E_NS1_11comp_targetILNS1_3genE8ELNS1_11target_archE1030ELNS1_3gpuE2ELNS1_3repE0EEENS1_30default_config_static_selectorELNS0_4arch9wavefront6targetE1EEEvSY_
	.p2align	8
	.type	_ZN7rocprim17ROCPRIM_400000_NS6detail17trampoline_kernelINS0_13select_configILj256ELj13ELNS0_17block_load_methodE3ELS4_3ELS4_3ELNS0_20block_scan_algorithmE0ELj4294967295EEENS1_25partition_config_selectorILNS1_17partition_subalgoE3EjNS0_10empty_typeEbEEZZNS1_14partition_implILS8_3ELb0ES6_jNS0_17counting_iteratorIjlEEPS9_SE_NS0_5tupleIJPjSE_EEENSF_IJSE_SE_EEES9_SG_JZNS1_25segmented_radix_sort_implINS0_14default_configELb0EPKiPiPKlPlN2at6native12_GLOBAL__N_18offset_tEEE10hipError_tPvRmT1_PNSt15iterator_traitsISY_E10value_typeET2_T3_PNSZ_IS14_E10value_typeET4_jRbjT5_S1A_jjP12ihipStream_tbEUljE_EEESV_SW_SX_S14_S18_S1A_T6_T7_T9_mT8_S1C_bDpT10_ENKUlT_T0_E_clISt17integral_constantIbLb1EES1P_EEDaS1K_S1L_EUlS1K_E_NS1_11comp_targetILNS1_3genE8ELNS1_11target_archE1030ELNS1_3gpuE2ELNS1_3repE0EEENS1_30default_config_static_selectorELNS0_4arch9wavefront6targetE1EEEvSY_,@function
_ZN7rocprim17ROCPRIM_400000_NS6detail17trampoline_kernelINS0_13select_configILj256ELj13ELNS0_17block_load_methodE3ELS4_3ELS4_3ELNS0_20block_scan_algorithmE0ELj4294967295EEENS1_25partition_config_selectorILNS1_17partition_subalgoE3EjNS0_10empty_typeEbEEZZNS1_14partition_implILS8_3ELb0ES6_jNS0_17counting_iteratorIjlEEPS9_SE_NS0_5tupleIJPjSE_EEENSF_IJSE_SE_EEES9_SG_JZNS1_25segmented_radix_sort_implINS0_14default_configELb0EPKiPiPKlPlN2at6native12_GLOBAL__N_18offset_tEEE10hipError_tPvRmT1_PNSt15iterator_traitsISY_E10value_typeET2_T3_PNSZ_IS14_E10value_typeET4_jRbjT5_S1A_jjP12ihipStream_tbEUljE_EEESV_SW_SX_S14_S18_S1A_T6_T7_T9_mT8_S1C_bDpT10_ENKUlT_T0_E_clISt17integral_constantIbLb1EES1P_EEDaS1K_S1L_EUlS1K_E_NS1_11comp_targetILNS1_3genE8ELNS1_11target_archE1030ELNS1_3gpuE2ELNS1_3repE0EEENS1_30default_config_static_selectorELNS0_4arch9wavefront6targetE1EEEvSY_: ; @_ZN7rocprim17ROCPRIM_400000_NS6detail17trampoline_kernelINS0_13select_configILj256ELj13ELNS0_17block_load_methodE3ELS4_3ELS4_3ELNS0_20block_scan_algorithmE0ELj4294967295EEENS1_25partition_config_selectorILNS1_17partition_subalgoE3EjNS0_10empty_typeEbEEZZNS1_14partition_implILS8_3ELb0ES6_jNS0_17counting_iteratorIjlEEPS9_SE_NS0_5tupleIJPjSE_EEENSF_IJSE_SE_EEES9_SG_JZNS1_25segmented_radix_sort_implINS0_14default_configELb0EPKiPiPKlPlN2at6native12_GLOBAL__N_18offset_tEEE10hipError_tPvRmT1_PNSt15iterator_traitsISY_E10value_typeET2_T3_PNSZ_IS14_E10value_typeET4_jRbjT5_S1A_jjP12ihipStream_tbEUljE_EEESV_SW_SX_S14_S18_S1A_T6_T7_T9_mT8_S1C_bDpT10_ENKUlT_T0_E_clISt17integral_constantIbLb1EES1P_EEDaS1K_S1L_EUlS1K_E_NS1_11comp_targetILNS1_3genE8ELNS1_11target_archE1030ELNS1_3gpuE2ELNS1_3repE0EEENS1_30default_config_static_selectorELNS0_4arch9wavefront6targetE1EEEvSY_
; %bb.0:
	.section	.rodata,"a",@progbits
	.p2align	6, 0x0
	.amdhsa_kernel _ZN7rocprim17ROCPRIM_400000_NS6detail17trampoline_kernelINS0_13select_configILj256ELj13ELNS0_17block_load_methodE3ELS4_3ELS4_3ELNS0_20block_scan_algorithmE0ELj4294967295EEENS1_25partition_config_selectorILNS1_17partition_subalgoE3EjNS0_10empty_typeEbEEZZNS1_14partition_implILS8_3ELb0ES6_jNS0_17counting_iteratorIjlEEPS9_SE_NS0_5tupleIJPjSE_EEENSF_IJSE_SE_EEES9_SG_JZNS1_25segmented_radix_sort_implINS0_14default_configELb0EPKiPiPKlPlN2at6native12_GLOBAL__N_18offset_tEEE10hipError_tPvRmT1_PNSt15iterator_traitsISY_E10value_typeET2_T3_PNSZ_IS14_E10value_typeET4_jRbjT5_S1A_jjP12ihipStream_tbEUljE_EEESV_SW_SX_S14_S18_S1A_T6_T7_T9_mT8_S1C_bDpT10_ENKUlT_T0_E_clISt17integral_constantIbLb1EES1P_EEDaS1K_S1L_EUlS1K_E_NS1_11comp_targetILNS1_3genE8ELNS1_11target_archE1030ELNS1_3gpuE2ELNS1_3repE0EEENS1_30default_config_static_selectorELNS0_4arch9wavefront6targetE1EEEvSY_
		.amdhsa_group_segment_fixed_size 0
		.amdhsa_private_segment_fixed_size 0
		.amdhsa_kernarg_size 152
		.amdhsa_user_sgpr_count 6
		.amdhsa_user_sgpr_private_segment_buffer 1
		.amdhsa_user_sgpr_dispatch_ptr 0
		.amdhsa_user_sgpr_queue_ptr 0
		.amdhsa_user_sgpr_kernarg_segment_ptr 1
		.amdhsa_user_sgpr_dispatch_id 0
		.amdhsa_user_sgpr_flat_scratch_init 0
		.amdhsa_user_sgpr_kernarg_preload_length 0
		.amdhsa_user_sgpr_kernarg_preload_offset 0
		.amdhsa_user_sgpr_private_segment_size 0
		.amdhsa_uses_dynamic_stack 0
		.amdhsa_system_sgpr_private_segment_wavefront_offset 0
		.amdhsa_system_sgpr_workgroup_id_x 1
		.amdhsa_system_sgpr_workgroup_id_y 0
		.amdhsa_system_sgpr_workgroup_id_z 0
		.amdhsa_system_sgpr_workgroup_info 0
		.amdhsa_system_vgpr_workitem_id 0
		.amdhsa_next_free_vgpr 1
		.amdhsa_next_free_sgpr 0
		.amdhsa_accum_offset 4
		.amdhsa_reserve_vcc 0
		.amdhsa_reserve_flat_scratch 0
		.amdhsa_float_round_mode_32 0
		.amdhsa_float_round_mode_16_64 0
		.amdhsa_float_denorm_mode_32 3
		.amdhsa_float_denorm_mode_16_64 3
		.amdhsa_dx10_clamp 1
		.amdhsa_ieee_mode 1
		.amdhsa_fp16_overflow 0
		.amdhsa_tg_split 0
		.amdhsa_exception_fp_ieee_invalid_op 0
		.amdhsa_exception_fp_denorm_src 0
		.amdhsa_exception_fp_ieee_div_zero 0
		.amdhsa_exception_fp_ieee_overflow 0
		.amdhsa_exception_fp_ieee_underflow 0
		.amdhsa_exception_fp_ieee_inexact 0
		.amdhsa_exception_int_div_zero 0
	.end_amdhsa_kernel
	.section	.text._ZN7rocprim17ROCPRIM_400000_NS6detail17trampoline_kernelINS0_13select_configILj256ELj13ELNS0_17block_load_methodE3ELS4_3ELS4_3ELNS0_20block_scan_algorithmE0ELj4294967295EEENS1_25partition_config_selectorILNS1_17partition_subalgoE3EjNS0_10empty_typeEbEEZZNS1_14partition_implILS8_3ELb0ES6_jNS0_17counting_iteratorIjlEEPS9_SE_NS0_5tupleIJPjSE_EEENSF_IJSE_SE_EEES9_SG_JZNS1_25segmented_radix_sort_implINS0_14default_configELb0EPKiPiPKlPlN2at6native12_GLOBAL__N_18offset_tEEE10hipError_tPvRmT1_PNSt15iterator_traitsISY_E10value_typeET2_T3_PNSZ_IS14_E10value_typeET4_jRbjT5_S1A_jjP12ihipStream_tbEUljE_EEESV_SW_SX_S14_S18_S1A_T6_T7_T9_mT8_S1C_bDpT10_ENKUlT_T0_E_clISt17integral_constantIbLb1EES1P_EEDaS1K_S1L_EUlS1K_E_NS1_11comp_targetILNS1_3genE8ELNS1_11target_archE1030ELNS1_3gpuE2ELNS1_3repE0EEENS1_30default_config_static_selectorELNS0_4arch9wavefront6targetE1EEEvSY_,"axG",@progbits,_ZN7rocprim17ROCPRIM_400000_NS6detail17trampoline_kernelINS0_13select_configILj256ELj13ELNS0_17block_load_methodE3ELS4_3ELS4_3ELNS0_20block_scan_algorithmE0ELj4294967295EEENS1_25partition_config_selectorILNS1_17partition_subalgoE3EjNS0_10empty_typeEbEEZZNS1_14partition_implILS8_3ELb0ES6_jNS0_17counting_iteratorIjlEEPS9_SE_NS0_5tupleIJPjSE_EEENSF_IJSE_SE_EEES9_SG_JZNS1_25segmented_radix_sort_implINS0_14default_configELb0EPKiPiPKlPlN2at6native12_GLOBAL__N_18offset_tEEE10hipError_tPvRmT1_PNSt15iterator_traitsISY_E10value_typeET2_T3_PNSZ_IS14_E10value_typeET4_jRbjT5_S1A_jjP12ihipStream_tbEUljE_EEESV_SW_SX_S14_S18_S1A_T6_T7_T9_mT8_S1C_bDpT10_ENKUlT_T0_E_clISt17integral_constantIbLb1EES1P_EEDaS1K_S1L_EUlS1K_E_NS1_11comp_targetILNS1_3genE8ELNS1_11target_archE1030ELNS1_3gpuE2ELNS1_3repE0EEENS1_30default_config_static_selectorELNS0_4arch9wavefront6targetE1EEEvSY_,comdat
.Lfunc_end583:
	.size	_ZN7rocprim17ROCPRIM_400000_NS6detail17trampoline_kernelINS0_13select_configILj256ELj13ELNS0_17block_load_methodE3ELS4_3ELS4_3ELNS0_20block_scan_algorithmE0ELj4294967295EEENS1_25partition_config_selectorILNS1_17partition_subalgoE3EjNS0_10empty_typeEbEEZZNS1_14partition_implILS8_3ELb0ES6_jNS0_17counting_iteratorIjlEEPS9_SE_NS0_5tupleIJPjSE_EEENSF_IJSE_SE_EEES9_SG_JZNS1_25segmented_radix_sort_implINS0_14default_configELb0EPKiPiPKlPlN2at6native12_GLOBAL__N_18offset_tEEE10hipError_tPvRmT1_PNSt15iterator_traitsISY_E10value_typeET2_T3_PNSZ_IS14_E10value_typeET4_jRbjT5_S1A_jjP12ihipStream_tbEUljE_EEESV_SW_SX_S14_S18_S1A_T6_T7_T9_mT8_S1C_bDpT10_ENKUlT_T0_E_clISt17integral_constantIbLb1EES1P_EEDaS1K_S1L_EUlS1K_E_NS1_11comp_targetILNS1_3genE8ELNS1_11target_archE1030ELNS1_3gpuE2ELNS1_3repE0EEENS1_30default_config_static_selectorELNS0_4arch9wavefront6targetE1EEEvSY_, .Lfunc_end583-_ZN7rocprim17ROCPRIM_400000_NS6detail17trampoline_kernelINS0_13select_configILj256ELj13ELNS0_17block_load_methodE3ELS4_3ELS4_3ELNS0_20block_scan_algorithmE0ELj4294967295EEENS1_25partition_config_selectorILNS1_17partition_subalgoE3EjNS0_10empty_typeEbEEZZNS1_14partition_implILS8_3ELb0ES6_jNS0_17counting_iteratorIjlEEPS9_SE_NS0_5tupleIJPjSE_EEENSF_IJSE_SE_EEES9_SG_JZNS1_25segmented_radix_sort_implINS0_14default_configELb0EPKiPiPKlPlN2at6native12_GLOBAL__N_18offset_tEEE10hipError_tPvRmT1_PNSt15iterator_traitsISY_E10value_typeET2_T3_PNSZ_IS14_E10value_typeET4_jRbjT5_S1A_jjP12ihipStream_tbEUljE_EEESV_SW_SX_S14_S18_S1A_T6_T7_T9_mT8_S1C_bDpT10_ENKUlT_T0_E_clISt17integral_constantIbLb1EES1P_EEDaS1K_S1L_EUlS1K_E_NS1_11comp_targetILNS1_3genE8ELNS1_11target_archE1030ELNS1_3gpuE2ELNS1_3repE0EEENS1_30default_config_static_selectorELNS0_4arch9wavefront6targetE1EEEvSY_
                                        ; -- End function
	.section	.AMDGPU.csdata,"",@progbits
; Kernel info:
; codeLenInByte = 0
; NumSgprs: 4
; NumVgprs: 0
; NumAgprs: 0
; TotalNumVgprs: 0
; ScratchSize: 0
; MemoryBound: 0
; FloatMode: 240
; IeeeMode: 1
; LDSByteSize: 0 bytes/workgroup (compile time only)
; SGPRBlocks: 0
; VGPRBlocks: 0
; NumSGPRsForWavesPerEU: 4
; NumVGPRsForWavesPerEU: 1
; AccumOffset: 4
; Occupancy: 8
; WaveLimiterHint : 0
; COMPUTE_PGM_RSRC2:SCRATCH_EN: 0
; COMPUTE_PGM_RSRC2:USER_SGPR: 6
; COMPUTE_PGM_RSRC2:TRAP_HANDLER: 0
; COMPUTE_PGM_RSRC2:TGID_X_EN: 1
; COMPUTE_PGM_RSRC2:TGID_Y_EN: 0
; COMPUTE_PGM_RSRC2:TGID_Z_EN: 0
; COMPUTE_PGM_RSRC2:TIDIG_COMP_CNT: 0
; COMPUTE_PGM_RSRC3_GFX90A:ACCUM_OFFSET: 0
; COMPUTE_PGM_RSRC3_GFX90A:TG_SPLIT: 0
	.section	.text._ZN7rocprim17ROCPRIM_400000_NS6detail17trampoline_kernelINS0_13select_configILj256ELj13ELNS0_17block_load_methodE3ELS4_3ELS4_3ELNS0_20block_scan_algorithmE0ELj4294967295EEENS1_25partition_config_selectorILNS1_17partition_subalgoE3EjNS0_10empty_typeEbEEZZNS1_14partition_implILS8_3ELb0ES6_jNS0_17counting_iteratorIjlEEPS9_SE_NS0_5tupleIJPjSE_EEENSF_IJSE_SE_EEES9_SG_JZNS1_25segmented_radix_sort_implINS0_14default_configELb0EPKiPiPKlPlN2at6native12_GLOBAL__N_18offset_tEEE10hipError_tPvRmT1_PNSt15iterator_traitsISY_E10value_typeET2_T3_PNSZ_IS14_E10value_typeET4_jRbjT5_S1A_jjP12ihipStream_tbEUljE_EEESV_SW_SX_S14_S18_S1A_T6_T7_T9_mT8_S1C_bDpT10_ENKUlT_T0_E_clISt17integral_constantIbLb1EES1O_IbLb0EEEEDaS1K_S1L_EUlS1K_E_NS1_11comp_targetILNS1_3genE0ELNS1_11target_archE4294967295ELNS1_3gpuE0ELNS1_3repE0EEENS1_30default_config_static_selectorELNS0_4arch9wavefront6targetE1EEEvSY_,"axG",@progbits,_ZN7rocprim17ROCPRIM_400000_NS6detail17trampoline_kernelINS0_13select_configILj256ELj13ELNS0_17block_load_methodE3ELS4_3ELS4_3ELNS0_20block_scan_algorithmE0ELj4294967295EEENS1_25partition_config_selectorILNS1_17partition_subalgoE3EjNS0_10empty_typeEbEEZZNS1_14partition_implILS8_3ELb0ES6_jNS0_17counting_iteratorIjlEEPS9_SE_NS0_5tupleIJPjSE_EEENSF_IJSE_SE_EEES9_SG_JZNS1_25segmented_radix_sort_implINS0_14default_configELb0EPKiPiPKlPlN2at6native12_GLOBAL__N_18offset_tEEE10hipError_tPvRmT1_PNSt15iterator_traitsISY_E10value_typeET2_T3_PNSZ_IS14_E10value_typeET4_jRbjT5_S1A_jjP12ihipStream_tbEUljE_EEESV_SW_SX_S14_S18_S1A_T6_T7_T9_mT8_S1C_bDpT10_ENKUlT_T0_E_clISt17integral_constantIbLb1EES1O_IbLb0EEEEDaS1K_S1L_EUlS1K_E_NS1_11comp_targetILNS1_3genE0ELNS1_11target_archE4294967295ELNS1_3gpuE0ELNS1_3repE0EEENS1_30default_config_static_selectorELNS0_4arch9wavefront6targetE1EEEvSY_,comdat
	.globl	_ZN7rocprim17ROCPRIM_400000_NS6detail17trampoline_kernelINS0_13select_configILj256ELj13ELNS0_17block_load_methodE3ELS4_3ELS4_3ELNS0_20block_scan_algorithmE0ELj4294967295EEENS1_25partition_config_selectorILNS1_17partition_subalgoE3EjNS0_10empty_typeEbEEZZNS1_14partition_implILS8_3ELb0ES6_jNS0_17counting_iteratorIjlEEPS9_SE_NS0_5tupleIJPjSE_EEENSF_IJSE_SE_EEES9_SG_JZNS1_25segmented_radix_sort_implINS0_14default_configELb0EPKiPiPKlPlN2at6native12_GLOBAL__N_18offset_tEEE10hipError_tPvRmT1_PNSt15iterator_traitsISY_E10value_typeET2_T3_PNSZ_IS14_E10value_typeET4_jRbjT5_S1A_jjP12ihipStream_tbEUljE_EEESV_SW_SX_S14_S18_S1A_T6_T7_T9_mT8_S1C_bDpT10_ENKUlT_T0_E_clISt17integral_constantIbLb1EES1O_IbLb0EEEEDaS1K_S1L_EUlS1K_E_NS1_11comp_targetILNS1_3genE0ELNS1_11target_archE4294967295ELNS1_3gpuE0ELNS1_3repE0EEENS1_30default_config_static_selectorELNS0_4arch9wavefront6targetE1EEEvSY_ ; -- Begin function _ZN7rocprim17ROCPRIM_400000_NS6detail17trampoline_kernelINS0_13select_configILj256ELj13ELNS0_17block_load_methodE3ELS4_3ELS4_3ELNS0_20block_scan_algorithmE0ELj4294967295EEENS1_25partition_config_selectorILNS1_17partition_subalgoE3EjNS0_10empty_typeEbEEZZNS1_14partition_implILS8_3ELb0ES6_jNS0_17counting_iteratorIjlEEPS9_SE_NS0_5tupleIJPjSE_EEENSF_IJSE_SE_EEES9_SG_JZNS1_25segmented_radix_sort_implINS0_14default_configELb0EPKiPiPKlPlN2at6native12_GLOBAL__N_18offset_tEEE10hipError_tPvRmT1_PNSt15iterator_traitsISY_E10value_typeET2_T3_PNSZ_IS14_E10value_typeET4_jRbjT5_S1A_jjP12ihipStream_tbEUljE_EEESV_SW_SX_S14_S18_S1A_T6_T7_T9_mT8_S1C_bDpT10_ENKUlT_T0_E_clISt17integral_constantIbLb1EES1O_IbLb0EEEEDaS1K_S1L_EUlS1K_E_NS1_11comp_targetILNS1_3genE0ELNS1_11target_archE4294967295ELNS1_3gpuE0ELNS1_3repE0EEENS1_30default_config_static_selectorELNS0_4arch9wavefront6targetE1EEEvSY_
	.p2align	8
	.type	_ZN7rocprim17ROCPRIM_400000_NS6detail17trampoline_kernelINS0_13select_configILj256ELj13ELNS0_17block_load_methodE3ELS4_3ELS4_3ELNS0_20block_scan_algorithmE0ELj4294967295EEENS1_25partition_config_selectorILNS1_17partition_subalgoE3EjNS0_10empty_typeEbEEZZNS1_14partition_implILS8_3ELb0ES6_jNS0_17counting_iteratorIjlEEPS9_SE_NS0_5tupleIJPjSE_EEENSF_IJSE_SE_EEES9_SG_JZNS1_25segmented_radix_sort_implINS0_14default_configELb0EPKiPiPKlPlN2at6native12_GLOBAL__N_18offset_tEEE10hipError_tPvRmT1_PNSt15iterator_traitsISY_E10value_typeET2_T3_PNSZ_IS14_E10value_typeET4_jRbjT5_S1A_jjP12ihipStream_tbEUljE_EEESV_SW_SX_S14_S18_S1A_T6_T7_T9_mT8_S1C_bDpT10_ENKUlT_T0_E_clISt17integral_constantIbLb1EES1O_IbLb0EEEEDaS1K_S1L_EUlS1K_E_NS1_11comp_targetILNS1_3genE0ELNS1_11target_archE4294967295ELNS1_3gpuE0ELNS1_3repE0EEENS1_30default_config_static_selectorELNS0_4arch9wavefront6targetE1EEEvSY_,@function
_ZN7rocprim17ROCPRIM_400000_NS6detail17trampoline_kernelINS0_13select_configILj256ELj13ELNS0_17block_load_methodE3ELS4_3ELS4_3ELNS0_20block_scan_algorithmE0ELj4294967295EEENS1_25partition_config_selectorILNS1_17partition_subalgoE3EjNS0_10empty_typeEbEEZZNS1_14partition_implILS8_3ELb0ES6_jNS0_17counting_iteratorIjlEEPS9_SE_NS0_5tupleIJPjSE_EEENSF_IJSE_SE_EEES9_SG_JZNS1_25segmented_radix_sort_implINS0_14default_configELb0EPKiPiPKlPlN2at6native12_GLOBAL__N_18offset_tEEE10hipError_tPvRmT1_PNSt15iterator_traitsISY_E10value_typeET2_T3_PNSZ_IS14_E10value_typeET4_jRbjT5_S1A_jjP12ihipStream_tbEUljE_EEESV_SW_SX_S14_S18_S1A_T6_T7_T9_mT8_S1C_bDpT10_ENKUlT_T0_E_clISt17integral_constantIbLb1EES1O_IbLb0EEEEDaS1K_S1L_EUlS1K_E_NS1_11comp_targetILNS1_3genE0ELNS1_11target_archE4294967295ELNS1_3gpuE0ELNS1_3repE0EEENS1_30default_config_static_selectorELNS0_4arch9wavefront6targetE1EEEvSY_: ; @_ZN7rocprim17ROCPRIM_400000_NS6detail17trampoline_kernelINS0_13select_configILj256ELj13ELNS0_17block_load_methodE3ELS4_3ELS4_3ELNS0_20block_scan_algorithmE0ELj4294967295EEENS1_25partition_config_selectorILNS1_17partition_subalgoE3EjNS0_10empty_typeEbEEZZNS1_14partition_implILS8_3ELb0ES6_jNS0_17counting_iteratorIjlEEPS9_SE_NS0_5tupleIJPjSE_EEENSF_IJSE_SE_EEES9_SG_JZNS1_25segmented_radix_sort_implINS0_14default_configELb0EPKiPiPKlPlN2at6native12_GLOBAL__N_18offset_tEEE10hipError_tPvRmT1_PNSt15iterator_traitsISY_E10value_typeET2_T3_PNSZ_IS14_E10value_typeET4_jRbjT5_S1A_jjP12ihipStream_tbEUljE_EEESV_SW_SX_S14_S18_S1A_T6_T7_T9_mT8_S1C_bDpT10_ENKUlT_T0_E_clISt17integral_constantIbLb1EES1O_IbLb0EEEEDaS1K_S1L_EUlS1K_E_NS1_11comp_targetILNS1_3genE0ELNS1_11target_archE4294967295ELNS1_3gpuE0ELNS1_3repE0EEENS1_30default_config_static_selectorELNS0_4arch9wavefront6targetE1EEEvSY_
; %bb.0:
	.section	.rodata,"a",@progbits
	.p2align	6, 0x0
	.amdhsa_kernel _ZN7rocprim17ROCPRIM_400000_NS6detail17trampoline_kernelINS0_13select_configILj256ELj13ELNS0_17block_load_methodE3ELS4_3ELS4_3ELNS0_20block_scan_algorithmE0ELj4294967295EEENS1_25partition_config_selectorILNS1_17partition_subalgoE3EjNS0_10empty_typeEbEEZZNS1_14partition_implILS8_3ELb0ES6_jNS0_17counting_iteratorIjlEEPS9_SE_NS0_5tupleIJPjSE_EEENSF_IJSE_SE_EEES9_SG_JZNS1_25segmented_radix_sort_implINS0_14default_configELb0EPKiPiPKlPlN2at6native12_GLOBAL__N_18offset_tEEE10hipError_tPvRmT1_PNSt15iterator_traitsISY_E10value_typeET2_T3_PNSZ_IS14_E10value_typeET4_jRbjT5_S1A_jjP12ihipStream_tbEUljE_EEESV_SW_SX_S14_S18_S1A_T6_T7_T9_mT8_S1C_bDpT10_ENKUlT_T0_E_clISt17integral_constantIbLb1EES1O_IbLb0EEEEDaS1K_S1L_EUlS1K_E_NS1_11comp_targetILNS1_3genE0ELNS1_11target_archE4294967295ELNS1_3gpuE0ELNS1_3repE0EEENS1_30default_config_static_selectorELNS0_4arch9wavefront6targetE1EEEvSY_
		.amdhsa_group_segment_fixed_size 0
		.amdhsa_private_segment_fixed_size 0
		.amdhsa_kernarg_size 144
		.amdhsa_user_sgpr_count 6
		.amdhsa_user_sgpr_private_segment_buffer 1
		.amdhsa_user_sgpr_dispatch_ptr 0
		.amdhsa_user_sgpr_queue_ptr 0
		.amdhsa_user_sgpr_kernarg_segment_ptr 1
		.amdhsa_user_sgpr_dispatch_id 0
		.amdhsa_user_sgpr_flat_scratch_init 0
		.amdhsa_user_sgpr_kernarg_preload_length 0
		.amdhsa_user_sgpr_kernarg_preload_offset 0
		.amdhsa_user_sgpr_private_segment_size 0
		.amdhsa_uses_dynamic_stack 0
		.amdhsa_system_sgpr_private_segment_wavefront_offset 0
		.amdhsa_system_sgpr_workgroup_id_x 1
		.amdhsa_system_sgpr_workgroup_id_y 0
		.amdhsa_system_sgpr_workgroup_id_z 0
		.amdhsa_system_sgpr_workgroup_info 0
		.amdhsa_system_vgpr_workitem_id 0
		.amdhsa_next_free_vgpr 1
		.amdhsa_next_free_sgpr 0
		.amdhsa_accum_offset 4
		.amdhsa_reserve_vcc 0
		.amdhsa_reserve_flat_scratch 0
		.amdhsa_float_round_mode_32 0
		.amdhsa_float_round_mode_16_64 0
		.amdhsa_float_denorm_mode_32 3
		.amdhsa_float_denorm_mode_16_64 3
		.amdhsa_dx10_clamp 1
		.amdhsa_ieee_mode 1
		.amdhsa_fp16_overflow 0
		.amdhsa_tg_split 0
		.amdhsa_exception_fp_ieee_invalid_op 0
		.amdhsa_exception_fp_denorm_src 0
		.amdhsa_exception_fp_ieee_div_zero 0
		.amdhsa_exception_fp_ieee_overflow 0
		.amdhsa_exception_fp_ieee_underflow 0
		.amdhsa_exception_fp_ieee_inexact 0
		.amdhsa_exception_int_div_zero 0
	.end_amdhsa_kernel
	.section	.text._ZN7rocprim17ROCPRIM_400000_NS6detail17trampoline_kernelINS0_13select_configILj256ELj13ELNS0_17block_load_methodE3ELS4_3ELS4_3ELNS0_20block_scan_algorithmE0ELj4294967295EEENS1_25partition_config_selectorILNS1_17partition_subalgoE3EjNS0_10empty_typeEbEEZZNS1_14partition_implILS8_3ELb0ES6_jNS0_17counting_iteratorIjlEEPS9_SE_NS0_5tupleIJPjSE_EEENSF_IJSE_SE_EEES9_SG_JZNS1_25segmented_radix_sort_implINS0_14default_configELb0EPKiPiPKlPlN2at6native12_GLOBAL__N_18offset_tEEE10hipError_tPvRmT1_PNSt15iterator_traitsISY_E10value_typeET2_T3_PNSZ_IS14_E10value_typeET4_jRbjT5_S1A_jjP12ihipStream_tbEUljE_EEESV_SW_SX_S14_S18_S1A_T6_T7_T9_mT8_S1C_bDpT10_ENKUlT_T0_E_clISt17integral_constantIbLb1EES1O_IbLb0EEEEDaS1K_S1L_EUlS1K_E_NS1_11comp_targetILNS1_3genE0ELNS1_11target_archE4294967295ELNS1_3gpuE0ELNS1_3repE0EEENS1_30default_config_static_selectorELNS0_4arch9wavefront6targetE1EEEvSY_,"axG",@progbits,_ZN7rocprim17ROCPRIM_400000_NS6detail17trampoline_kernelINS0_13select_configILj256ELj13ELNS0_17block_load_methodE3ELS4_3ELS4_3ELNS0_20block_scan_algorithmE0ELj4294967295EEENS1_25partition_config_selectorILNS1_17partition_subalgoE3EjNS0_10empty_typeEbEEZZNS1_14partition_implILS8_3ELb0ES6_jNS0_17counting_iteratorIjlEEPS9_SE_NS0_5tupleIJPjSE_EEENSF_IJSE_SE_EEES9_SG_JZNS1_25segmented_radix_sort_implINS0_14default_configELb0EPKiPiPKlPlN2at6native12_GLOBAL__N_18offset_tEEE10hipError_tPvRmT1_PNSt15iterator_traitsISY_E10value_typeET2_T3_PNSZ_IS14_E10value_typeET4_jRbjT5_S1A_jjP12ihipStream_tbEUljE_EEESV_SW_SX_S14_S18_S1A_T6_T7_T9_mT8_S1C_bDpT10_ENKUlT_T0_E_clISt17integral_constantIbLb1EES1O_IbLb0EEEEDaS1K_S1L_EUlS1K_E_NS1_11comp_targetILNS1_3genE0ELNS1_11target_archE4294967295ELNS1_3gpuE0ELNS1_3repE0EEENS1_30default_config_static_selectorELNS0_4arch9wavefront6targetE1EEEvSY_,comdat
.Lfunc_end584:
	.size	_ZN7rocprim17ROCPRIM_400000_NS6detail17trampoline_kernelINS0_13select_configILj256ELj13ELNS0_17block_load_methodE3ELS4_3ELS4_3ELNS0_20block_scan_algorithmE0ELj4294967295EEENS1_25partition_config_selectorILNS1_17partition_subalgoE3EjNS0_10empty_typeEbEEZZNS1_14partition_implILS8_3ELb0ES6_jNS0_17counting_iteratorIjlEEPS9_SE_NS0_5tupleIJPjSE_EEENSF_IJSE_SE_EEES9_SG_JZNS1_25segmented_radix_sort_implINS0_14default_configELb0EPKiPiPKlPlN2at6native12_GLOBAL__N_18offset_tEEE10hipError_tPvRmT1_PNSt15iterator_traitsISY_E10value_typeET2_T3_PNSZ_IS14_E10value_typeET4_jRbjT5_S1A_jjP12ihipStream_tbEUljE_EEESV_SW_SX_S14_S18_S1A_T6_T7_T9_mT8_S1C_bDpT10_ENKUlT_T0_E_clISt17integral_constantIbLb1EES1O_IbLb0EEEEDaS1K_S1L_EUlS1K_E_NS1_11comp_targetILNS1_3genE0ELNS1_11target_archE4294967295ELNS1_3gpuE0ELNS1_3repE0EEENS1_30default_config_static_selectorELNS0_4arch9wavefront6targetE1EEEvSY_, .Lfunc_end584-_ZN7rocprim17ROCPRIM_400000_NS6detail17trampoline_kernelINS0_13select_configILj256ELj13ELNS0_17block_load_methodE3ELS4_3ELS4_3ELNS0_20block_scan_algorithmE0ELj4294967295EEENS1_25partition_config_selectorILNS1_17partition_subalgoE3EjNS0_10empty_typeEbEEZZNS1_14partition_implILS8_3ELb0ES6_jNS0_17counting_iteratorIjlEEPS9_SE_NS0_5tupleIJPjSE_EEENSF_IJSE_SE_EEES9_SG_JZNS1_25segmented_radix_sort_implINS0_14default_configELb0EPKiPiPKlPlN2at6native12_GLOBAL__N_18offset_tEEE10hipError_tPvRmT1_PNSt15iterator_traitsISY_E10value_typeET2_T3_PNSZ_IS14_E10value_typeET4_jRbjT5_S1A_jjP12ihipStream_tbEUljE_EEESV_SW_SX_S14_S18_S1A_T6_T7_T9_mT8_S1C_bDpT10_ENKUlT_T0_E_clISt17integral_constantIbLb1EES1O_IbLb0EEEEDaS1K_S1L_EUlS1K_E_NS1_11comp_targetILNS1_3genE0ELNS1_11target_archE4294967295ELNS1_3gpuE0ELNS1_3repE0EEENS1_30default_config_static_selectorELNS0_4arch9wavefront6targetE1EEEvSY_
                                        ; -- End function
	.section	.AMDGPU.csdata,"",@progbits
; Kernel info:
; codeLenInByte = 0
; NumSgprs: 4
; NumVgprs: 0
; NumAgprs: 0
; TotalNumVgprs: 0
; ScratchSize: 0
; MemoryBound: 0
; FloatMode: 240
; IeeeMode: 1
; LDSByteSize: 0 bytes/workgroup (compile time only)
; SGPRBlocks: 0
; VGPRBlocks: 0
; NumSGPRsForWavesPerEU: 4
; NumVGPRsForWavesPerEU: 1
; AccumOffset: 4
; Occupancy: 8
; WaveLimiterHint : 0
; COMPUTE_PGM_RSRC2:SCRATCH_EN: 0
; COMPUTE_PGM_RSRC2:USER_SGPR: 6
; COMPUTE_PGM_RSRC2:TRAP_HANDLER: 0
; COMPUTE_PGM_RSRC2:TGID_X_EN: 1
; COMPUTE_PGM_RSRC2:TGID_Y_EN: 0
; COMPUTE_PGM_RSRC2:TGID_Z_EN: 0
; COMPUTE_PGM_RSRC2:TIDIG_COMP_CNT: 0
; COMPUTE_PGM_RSRC3_GFX90A:ACCUM_OFFSET: 0
; COMPUTE_PGM_RSRC3_GFX90A:TG_SPLIT: 0
	.section	.text._ZN7rocprim17ROCPRIM_400000_NS6detail17trampoline_kernelINS0_13select_configILj256ELj13ELNS0_17block_load_methodE3ELS4_3ELS4_3ELNS0_20block_scan_algorithmE0ELj4294967295EEENS1_25partition_config_selectorILNS1_17partition_subalgoE3EjNS0_10empty_typeEbEEZZNS1_14partition_implILS8_3ELb0ES6_jNS0_17counting_iteratorIjlEEPS9_SE_NS0_5tupleIJPjSE_EEENSF_IJSE_SE_EEES9_SG_JZNS1_25segmented_radix_sort_implINS0_14default_configELb0EPKiPiPKlPlN2at6native12_GLOBAL__N_18offset_tEEE10hipError_tPvRmT1_PNSt15iterator_traitsISY_E10value_typeET2_T3_PNSZ_IS14_E10value_typeET4_jRbjT5_S1A_jjP12ihipStream_tbEUljE_EEESV_SW_SX_S14_S18_S1A_T6_T7_T9_mT8_S1C_bDpT10_ENKUlT_T0_E_clISt17integral_constantIbLb1EES1O_IbLb0EEEEDaS1K_S1L_EUlS1K_E_NS1_11comp_targetILNS1_3genE5ELNS1_11target_archE942ELNS1_3gpuE9ELNS1_3repE0EEENS1_30default_config_static_selectorELNS0_4arch9wavefront6targetE1EEEvSY_,"axG",@progbits,_ZN7rocprim17ROCPRIM_400000_NS6detail17trampoline_kernelINS0_13select_configILj256ELj13ELNS0_17block_load_methodE3ELS4_3ELS4_3ELNS0_20block_scan_algorithmE0ELj4294967295EEENS1_25partition_config_selectorILNS1_17partition_subalgoE3EjNS0_10empty_typeEbEEZZNS1_14partition_implILS8_3ELb0ES6_jNS0_17counting_iteratorIjlEEPS9_SE_NS0_5tupleIJPjSE_EEENSF_IJSE_SE_EEES9_SG_JZNS1_25segmented_radix_sort_implINS0_14default_configELb0EPKiPiPKlPlN2at6native12_GLOBAL__N_18offset_tEEE10hipError_tPvRmT1_PNSt15iterator_traitsISY_E10value_typeET2_T3_PNSZ_IS14_E10value_typeET4_jRbjT5_S1A_jjP12ihipStream_tbEUljE_EEESV_SW_SX_S14_S18_S1A_T6_T7_T9_mT8_S1C_bDpT10_ENKUlT_T0_E_clISt17integral_constantIbLb1EES1O_IbLb0EEEEDaS1K_S1L_EUlS1K_E_NS1_11comp_targetILNS1_3genE5ELNS1_11target_archE942ELNS1_3gpuE9ELNS1_3repE0EEENS1_30default_config_static_selectorELNS0_4arch9wavefront6targetE1EEEvSY_,comdat
	.globl	_ZN7rocprim17ROCPRIM_400000_NS6detail17trampoline_kernelINS0_13select_configILj256ELj13ELNS0_17block_load_methodE3ELS4_3ELS4_3ELNS0_20block_scan_algorithmE0ELj4294967295EEENS1_25partition_config_selectorILNS1_17partition_subalgoE3EjNS0_10empty_typeEbEEZZNS1_14partition_implILS8_3ELb0ES6_jNS0_17counting_iteratorIjlEEPS9_SE_NS0_5tupleIJPjSE_EEENSF_IJSE_SE_EEES9_SG_JZNS1_25segmented_radix_sort_implINS0_14default_configELb0EPKiPiPKlPlN2at6native12_GLOBAL__N_18offset_tEEE10hipError_tPvRmT1_PNSt15iterator_traitsISY_E10value_typeET2_T3_PNSZ_IS14_E10value_typeET4_jRbjT5_S1A_jjP12ihipStream_tbEUljE_EEESV_SW_SX_S14_S18_S1A_T6_T7_T9_mT8_S1C_bDpT10_ENKUlT_T0_E_clISt17integral_constantIbLb1EES1O_IbLb0EEEEDaS1K_S1L_EUlS1K_E_NS1_11comp_targetILNS1_3genE5ELNS1_11target_archE942ELNS1_3gpuE9ELNS1_3repE0EEENS1_30default_config_static_selectorELNS0_4arch9wavefront6targetE1EEEvSY_ ; -- Begin function _ZN7rocprim17ROCPRIM_400000_NS6detail17trampoline_kernelINS0_13select_configILj256ELj13ELNS0_17block_load_methodE3ELS4_3ELS4_3ELNS0_20block_scan_algorithmE0ELj4294967295EEENS1_25partition_config_selectorILNS1_17partition_subalgoE3EjNS0_10empty_typeEbEEZZNS1_14partition_implILS8_3ELb0ES6_jNS0_17counting_iteratorIjlEEPS9_SE_NS0_5tupleIJPjSE_EEENSF_IJSE_SE_EEES9_SG_JZNS1_25segmented_radix_sort_implINS0_14default_configELb0EPKiPiPKlPlN2at6native12_GLOBAL__N_18offset_tEEE10hipError_tPvRmT1_PNSt15iterator_traitsISY_E10value_typeET2_T3_PNSZ_IS14_E10value_typeET4_jRbjT5_S1A_jjP12ihipStream_tbEUljE_EEESV_SW_SX_S14_S18_S1A_T6_T7_T9_mT8_S1C_bDpT10_ENKUlT_T0_E_clISt17integral_constantIbLb1EES1O_IbLb0EEEEDaS1K_S1L_EUlS1K_E_NS1_11comp_targetILNS1_3genE5ELNS1_11target_archE942ELNS1_3gpuE9ELNS1_3repE0EEENS1_30default_config_static_selectorELNS0_4arch9wavefront6targetE1EEEvSY_
	.p2align	8
	.type	_ZN7rocprim17ROCPRIM_400000_NS6detail17trampoline_kernelINS0_13select_configILj256ELj13ELNS0_17block_load_methodE3ELS4_3ELS4_3ELNS0_20block_scan_algorithmE0ELj4294967295EEENS1_25partition_config_selectorILNS1_17partition_subalgoE3EjNS0_10empty_typeEbEEZZNS1_14partition_implILS8_3ELb0ES6_jNS0_17counting_iteratorIjlEEPS9_SE_NS0_5tupleIJPjSE_EEENSF_IJSE_SE_EEES9_SG_JZNS1_25segmented_radix_sort_implINS0_14default_configELb0EPKiPiPKlPlN2at6native12_GLOBAL__N_18offset_tEEE10hipError_tPvRmT1_PNSt15iterator_traitsISY_E10value_typeET2_T3_PNSZ_IS14_E10value_typeET4_jRbjT5_S1A_jjP12ihipStream_tbEUljE_EEESV_SW_SX_S14_S18_S1A_T6_T7_T9_mT8_S1C_bDpT10_ENKUlT_T0_E_clISt17integral_constantIbLb1EES1O_IbLb0EEEEDaS1K_S1L_EUlS1K_E_NS1_11comp_targetILNS1_3genE5ELNS1_11target_archE942ELNS1_3gpuE9ELNS1_3repE0EEENS1_30default_config_static_selectorELNS0_4arch9wavefront6targetE1EEEvSY_,@function
_ZN7rocprim17ROCPRIM_400000_NS6detail17trampoline_kernelINS0_13select_configILj256ELj13ELNS0_17block_load_methodE3ELS4_3ELS4_3ELNS0_20block_scan_algorithmE0ELj4294967295EEENS1_25partition_config_selectorILNS1_17partition_subalgoE3EjNS0_10empty_typeEbEEZZNS1_14partition_implILS8_3ELb0ES6_jNS0_17counting_iteratorIjlEEPS9_SE_NS0_5tupleIJPjSE_EEENSF_IJSE_SE_EEES9_SG_JZNS1_25segmented_radix_sort_implINS0_14default_configELb0EPKiPiPKlPlN2at6native12_GLOBAL__N_18offset_tEEE10hipError_tPvRmT1_PNSt15iterator_traitsISY_E10value_typeET2_T3_PNSZ_IS14_E10value_typeET4_jRbjT5_S1A_jjP12ihipStream_tbEUljE_EEESV_SW_SX_S14_S18_S1A_T6_T7_T9_mT8_S1C_bDpT10_ENKUlT_T0_E_clISt17integral_constantIbLb1EES1O_IbLb0EEEEDaS1K_S1L_EUlS1K_E_NS1_11comp_targetILNS1_3genE5ELNS1_11target_archE942ELNS1_3gpuE9ELNS1_3repE0EEENS1_30default_config_static_selectorELNS0_4arch9wavefront6targetE1EEEvSY_: ; @_ZN7rocprim17ROCPRIM_400000_NS6detail17trampoline_kernelINS0_13select_configILj256ELj13ELNS0_17block_load_methodE3ELS4_3ELS4_3ELNS0_20block_scan_algorithmE0ELj4294967295EEENS1_25partition_config_selectorILNS1_17partition_subalgoE3EjNS0_10empty_typeEbEEZZNS1_14partition_implILS8_3ELb0ES6_jNS0_17counting_iteratorIjlEEPS9_SE_NS0_5tupleIJPjSE_EEENSF_IJSE_SE_EEES9_SG_JZNS1_25segmented_radix_sort_implINS0_14default_configELb0EPKiPiPKlPlN2at6native12_GLOBAL__N_18offset_tEEE10hipError_tPvRmT1_PNSt15iterator_traitsISY_E10value_typeET2_T3_PNSZ_IS14_E10value_typeET4_jRbjT5_S1A_jjP12ihipStream_tbEUljE_EEESV_SW_SX_S14_S18_S1A_T6_T7_T9_mT8_S1C_bDpT10_ENKUlT_T0_E_clISt17integral_constantIbLb1EES1O_IbLb0EEEEDaS1K_S1L_EUlS1K_E_NS1_11comp_targetILNS1_3genE5ELNS1_11target_archE942ELNS1_3gpuE9ELNS1_3repE0EEENS1_30default_config_static_selectorELNS0_4arch9wavefront6targetE1EEEvSY_
; %bb.0:
	.section	.rodata,"a",@progbits
	.p2align	6, 0x0
	.amdhsa_kernel _ZN7rocprim17ROCPRIM_400000_NS6detail17trampoline_kernelINS0_13select_configILj256ELj13ELNS0_17block_load_methodE3ELS4_3ELS4_3ELNS0_20block_scan_algorithmE0ELj4294967295EEENS1_25partition_config_selectorILNS1_17partition_subalgoE3EjNS0_10empty_typeEbEEZZNS1_14partition_implILS8_3ELb0ES6_jNS0_17counting_iteratorIjlEEPS9_SE_NS0_5tupleIJPjSE_EEENSF_IJSE_SE_EEES9_SG_JZNS1_25segmented_radix_sort_implINS0_14default_configELb0EPKiPiPKlPlN2at6native12_GLOBAL__N_18offset_tEEE10hipError_tPvRmT1_PNSt15iterator_traitsISY_E10value_typeET2_T3_PNSZ_IS14_E10value_typeET4_jRbjT5_S1A_jjP12ihipStream_tbEUljE_EEESV_SW_SX_S14_S18_S1A_T6_T7_T9_mT8_S1C_bDpT10_ENKUlT_T0_E_clISt17integral_constantIbLb1EES1O_IbLb0EEEEDaS1K_S1L_EUlS1K_E_NS1_11comp_targetILNS1_3genE5ELNS1_11target_archE942ELNS1_3gpuE9ELNS1_3repE0EEENS1_30default_config_static_selectorELNS0_4arch9wavefront6targetE1EEEvSY_
		.amdhsa_group_segment_fixed_size 0
		.amdhsa_private_segment_fixed_size 0
		.amdhsa_kernarg_size 144
		.amdhsa_user_sgpr_count 6
		.amdhsa_user_sgpr_private_segment_buffer 1
		.amdhsa_user_sgpr_dispatch_ptr 0
		.amdhsa_user_sgpr_queue_ptr 0
		.amdhsa_user_sgpr_kernarg_segment_ptr 1
		.amdhsa_user_sgpr_dispatch_id 0
		.amdhsa_user_sgpr_flat_scratch_init 0
		.amdhsa_user_sgpr_kernarg_preload_length 0
		.amdhsa_user_sgpr_kernarg_preload_offset 0
		.amdhsa_user_sgpr_private_segment_size 0
		.amdhsa_uses_dynamic_stack 0
		.amdhsa_system_sgpr_private_segment_wavefront_offset 0
		.amdhsa_system_sgpr_workgroup_id_x 1
		.amdhsa_system_sgpr_workgroup_id_y 0
		.amdhsa_system_sgpr_workgroup_id_z 0
		.amdhsa_system_sgpr_workgroup_info 0
		.amdhsa_system_vgpr_workitem_id 0
		.amdhsa_next_free_vgpr 1
		.amdhsa_next_free_sgpr 0
		.amdhsa_accum_offset 4
		.amdhsa_reserve_vcc 0
		.amdhsa_reserve_flat_scratch 0
		.amdhsa_float_round_mode_32 0
		.amdhsa_float_round_mode_16_64 0
		.amdhsa_float_denorm_mode_32 3
		.amdhsa_float_denorm_mode_16_64 3
		.amdhsa_dx10_clamp 1
		.amdhsa_ieee_mode 1
		.amdhsa_fp16_overflow 0
		.amdhsa_tg_split 0
		.amdhsa_exception_fp_ieee_invalid_op 0
		.amdhsa_exception_fp_denorm_src 0
		.amdhsa_exception_fp_ieee_div_zero 0
		.amdhsa_exception_fp_ieee_overflow 0
		.amdhsa_exception_fp_ieee_underflow 0
		.amdhsa_exception_fp_ieee_inexact 0
		.amdhsa_exception_int_div_zero 0
	.end_amdhsa_kernel
	.section	.text._ZN7rocprim17ROCPRIM_400000_NS6detail17trampoline_kernelINS0_13select_configILj256ELj13ELNS0_17block_load_methodE3ELS4_3ELS4_3ELNS0_20block_scan_algorithmE0ELj4294967295EEENS1_25partition_config_selectorILNS1_17partition_subalgoE3EjNS0_10empty_typeEbEEZZNS1_14partition_implILS8_3ELb0ES6_jNS0_17counting_iteratorIjlEEPS9_SE_NS0_5tupleIJPjSE_EEENSF_IJSE_SE_EEES9_SG_JZNS1_25segmented_radix_sort_implINS0_14default_configELb0EPKiPiPKlPlN2at6native12_GLOBAL__N_18offset_tEEE10hipError_tPvRmT1_PNSt15iterator_traitsISY_E10value_typeET2_T3_PNSZ_IS14_E10value_typeET4_jRbjT5_S1A_jjP12ihipStream_tbEUljE_EEESV_SW_SX_S14_S18_S1A_T6_T7_T9_mT8_S1C_bDpT10_ENKUlT_T0_E_clISt17integral_constantIbLb1EES1O_IbLb0EEEEDaS1K_S1L_EUlS1K_E_NS1_11comp_targetILNS1_3genE5ELNS1_11target_archE942ELNS1_3gpuE9ELNS1_3repE0EEENS1_30default_config_static_selectorELNS0_4arch9wavefront6targetE1EEEvSY_,"axG",@progbits,_ZN7rocprim17ROCPRIM_400000_NS6detail17trampoline_kernelINS0_13select_configILj256ELj13ELNS0_17block_load_methodE3ELS4_3ELS4_3ELNS0_20block_scan_algorithmE0ELj4294967295EEENS1_25partition_config_selectorILNS1_17partition_subalgoE3EjNS0_10empty_typeEbEEZZNS1_14partition_implILS8_3ELb0ES6_jNS0_17counting_iteratorIjlEEPS9_SE_NS0_5tupleIJPjSE_EEENSF_IJSE_SE_EEES9_SG_JZNS1_25segmented_radix_sort_implINS0_14default_configELb0EPKiPiPKlPlN2at6native12_GLOBAL__N_18offset_tEEE10hipError_tPvRmT1_PNSt15iterator_traitsISY_E10value_typeET2_T3_PNSZ_IS14_E10value_typeET4_jRbjT5_S1A_jjP12ihipStream_tbEUljE_EEESV_SW_SX_S14_S18_S1A_T6_T7_T9_mT8_S1C_bDpT10_ENKUlT_T0_E_clISt17integral_constantIbLb1EES1O_IbLb0EEEEDaS1K_S1L_EUlS1K_E_NS1_11comp_targetILNS1_3genE5ELNS1_11target_archE942ELNS1_3gpuE9ELNS1_3repE0EEENS1_30default_config_static_selectorELNS0_4arch9wavefront6targetE1EEEvSY_,comdat
.Lfunc_end585:
	.size	_ZN7rocprim17ROCPRIM_400000_NS6detail17trampoline_kernelINS0_13select_configILj256ELj13ELNS0_17block_load_methodE3ELS4_3ELS4_3ELNS0_20block_scan_algorithmE0ELj4294967295EEENS1_25partition_config_selectorILNS1_17partition_subalgoE3EjNS0_10empty_typeEbEEZZNS1_14partition_implILS8_3ELb0ES6_jNS0_17counting_iteratorIjlEEPS9_SE_NS0_5tupleIJPjSE_EEENSF_IJSE_SE_EEES9_SG_JZNS1_25segmented_radix_sort_implINS0_14default_configELb0EPKiPiPKlPlN2at6native12_GLOBAL__N_18offset_tEEE10hipError_tPvRmT1_PNSt15iterator_traitsISY_E10value_typeET2_T3_PNSZ_IS14_E10value_typeET4_jRbjT5_S1A_jjP12ihipStream_tbEUljE_EEESV_SW_SX_S14_S18_S1A_T6_T7_T9_mT8_S1C_bDpT10_ENKUlT_T0_E_clISt17integral_constantIbLb1EES1O_IbLb0EEEEDaS1K_S1L_EUlS1K_E_NS1_11comp_targetILNS1_3genE5ELNS1_11target_archE942ELNS1_3gpuE9ELNS1_3repE0EEENS1_30default_config_static_selectorELNS0_4arch9wavefront6targetE1EEEvSY_, .Lfunc_end585-_ZN7rocprim17ROCPRIM_400000_NS6detail17trampoline_kernelINS0_13select_configILj256ELj13ELNS0_17block_load_methodE3ELS4_3ELS4_3ELNS0_20block_scan_algorithmE0ELj4294967295EEENS1_25partition_config_selectorILNS1_17partition_subalgoE3EjNS0_10empty_typeEbEEZZNS1_14partition_implILS8_3ELb0ES6_jNS0_17counting_iteratorIjlEEPS9_SE_NS0_5tupleIJPjSE_EEENSF_IJSE_SE_EEES9_SG_JZNS1_25segmented_radix_sort_implINS0_14default_configELb0EPKiPiPKlPlN2at6native12_GLOBAL__N_18offset_tEEE10hipError_tPvRmT1_PNSt15iterator_traitsISY_E10value_typeET2_T3_PNSZ_IS14_E10value_typeET4_jRbjT5_S1A_jjP12ihipStream_tbEUljE_EEESV_SW_SX_S14_S18_S1A_T6_T7_T9_mT8_S1C_bDpT10_ENKUlT_T0_E_clISt17integral_constantIbLb1EES1O_IbLb0EEEEDaS1K_S1L_EUlS1K_E_NS1_11comp_targetILNS1_3genE5ELNS1_11target_archE942ELNS1_3gpuE9ELNS1_3repE0EEENS1_30default_config_static_selectorELNS0_4arch9wavefront6targetE1EEEvSY_
                                        ; -- End function
	.section	.AMDGPU.csdata,"",@progbits
; Kernel info:
; codeLenInByte = 0
; NumSgprs: 4
; NumVgprs: 0
; NumAgprs: 0
; TotalNumVgprs: 0
; ScratchSize: 0
; MemoryBound: 0
; FloatMode: 240
; IeeeMode: 1
; LDSByteSize: 0 bytes/workgroup (compile time only)
; SGPRBlocks: 0
; VGPRBlocks: 0
; NumSGPRsForWavesPerEU: 4
; NumVGPRsForWavesPerEU: 1
; AccumOffset: 4
; Occupancy: 8
; WaveLimiterHint : 0
; COMPUTE_PGM_RSRC2:SCRATCH_EN: 0
; COMPUTE_PGM_RSRC2:USER_SGPR: 6
; COMPUTE_PGM_RSRC2:TRAP_HANDLER: 0
; COMPUTE_PGM_RSRC2:TGID_X_EN: 1
; COMPUTE_PGM_RSRC2:TGID_Y_EN: 0
; COMPUTE_PGM_RSRC2:TGID_Z_EN: 0
; COMPUTE_PGM_RSRC2:TIDIG_COMP_CNT: 0
; COMPUTE_PGM_RSRC3_GFX90A:ACCUM_OFFSET: 0
; COMPUTE_PGM_RSRC3_GFX90A:TG_SPLIT: 0
	.section	.text._ZN7rocprim17ROCPRIM_400000_NS6detail17trampoline_kernelINS0_13select_configILj256ELj13ELNS0_17block_load_methodE3ELS4_3ELS4_3ELNS0_20block_scan_algorithmE0ELj4294967295EEENS1_25partition_config_selectorILNS1_17partition_subalgoE3EjNS0_10empty_typeEbEEZZNS1_14partition_implILS8_3ELb0ES6_jNS0_17counting_iteratorIjlEEPS9_SE_NS0_5tupleIJPjSE_EEENSF_IJSE_SE_EEES9_SG_JZNS1_25segmented_radix_sort_implINS0_14default_configELb0EPKiPiPKlPlN2at6native12_GLOBAL__N_18offset_tEEE10hipError_tPvRmT1_PNSt15iterator_traitsISY_E10value_typeET2_T3_PNSZ_IS14_E10value_typeET4_jRbjT5_S1A_jjP12ihipStream_tbEUljE_EEESV_SW_SX_S14_S18_S1A_T6_T7_T9_mT8_S1C_bDpT10_ENKUlT_T0_E_clISt17integral_constantIbLb1EES1O_IbLb0EEEEDaS1K_S1L_EUlS1K_E_NS1_11comp_targetILNS1_3genE4ELNS1_11target_archE910ELNS1_3gpuE8ELNS1_3repE0EEENS1_30default_config_static_selectorELNS0_4arch9wavefront6targetE1EEEvSY_,"axG",@progbits,_ZN7rocprim17ROCPRIM_400000_NS6detail17trampoline_kernelINS0_13select_configILj256ELj13ELNS0_17block_load_methodE3ELS4_3ELS4_3ELNS0_20block_scan_algorithmE0ELj4294967295EEENS1_25partition_config_selectorILNS1_17partition_subalgoE3EjNS0_10empty_typeEbEEZZNS1_14partition_implILS8_3ELb0ES6_jNS0_17counting_iteratorIjlEEPS9_SE_NS0_5tupleIJPjSE_EEENSF_IJSE_SE_EEES9_SG_JZNS1_25segmented_radix_sort_implINS0_14default_configELb0EPKiPiPKlPlN2at6native12_GLOBAL__N_18offset_tEEE10hipError_tPvRmT1_PNSt15iterator_traitsISY_E10value_typeET2_T3_PNSZ_IS14_E10value_typeET4_jRbjT5_S1A_jjP12ihipStream_tbEUljE_EEESV_SW_SX_S14_S18_S1A_T6_T7_T9_mT8_S1C_bDpT10_ENKUlT_T0_E_clISt17integral_constantIbLb1EES1O_IbLb0EEEEDaS1K_S1L_EUlS1K_E_NS1_11comp_targetILNS1_3genE4ELNS1_11target_archE910ELNS1_3gpuE8ELNS1_3repE0EEENS1_30default_config_static_selectorELNS0_4arch9wavefront6targetE1EEEvSY_,comdat
	.globl	_ZN7rocprim17ROCPRIM_400000_NS6detail17trampoline_kernelINS0_13select_configILj256ELj13ELNS0_17block_load_methodE3ELS4_3ELS4_3ELNS0_20block_scan_algorithmE0ELj4294967295EEENS1_25partition_config_selectorILNS1_17partition_subalgoE3EjNS0_10empty_typeEbEEZZNS1_14partition_implILS8_3ELb0ES6_jNS0_17counting_iteratorIjlEEPS9_SE_NS0_5tupleIJPjSE_EEENSF_IJSE_SE_EEES9_SG_JZNS1_25segmented_radix_sort_implINS0_14default_configELb0EPKiPiPKlPlN2at6native12_GLOBAL__N_18offset_tEEE10hipError_tPvRmT1_PNSt15iterator_traitsISY_E10value_typeET2_T3_PNSZ_IS14_E10value_typeET4_jRbjT5_S1A_jjP12ihipStream_tbEUljE_EEESV_SW_SX_S14_S18_S1A_T6_T7_T9_mT8_S1C_bDpT10_ENKUlT_T0_E_clISt17integral_constantIbLb1EES1O_IbLb0EEEEDaS1K_S1L_EUlS1K_E_NS1_11comp_targetILNS1_3genE4ELNS1_11target_archE910ELNS1_3gpuE8ELNS1_3repE0EEENS1_30default_config_static_selectorELNS0_4arch9wavefront6targetE1EEEvSY_ ; -- Begin function _ZN7rocprim17ROCPRIM_400000_NS6detail17trampoline_kernelINS0_13select_configILj256ELj13ELNS0_17block_load_methodE3ELS4_3ELS4_3ELNS0_20block_scan_algorithmE0ELj4294967295EEENS1_25partition_config_selectorILNS1_17partition_subalgoE3EjNS0_10empty_typeEbEEZZNS1_14partition_implILS8_3ELb0ES6_jNS0_17counting_iteratorIjlEEPS9_SE_NS0_5tupleIJPjSE_EEENSF_IJSE_SE_EEES9_SG_JZNS1_25segmented_radix_sort_implINS0_14default_configELb0EPKiPiPKlPlN2at6native12_GLOBAL__N_18offset_tEEE10hipError_tPvRmT1_PNSt15iterator_traitsISY_E10value_typeET2_T3_PNSZ_IS14_E10value_typeET4_jRbjT5_S1A_jjP12ihipStream_tbEUljE_EEESV_SW_SX_S14_S18_S1A_T6_T7_T9_mT8_S1C_bDpT10_ENKUlT_T0_E_clISt17integral_constantIbLb1EES1O_IbLb0EEEEDaS1K_S1L_EUlS1K_E_NS1_11comp_targetILNS1_3genE4ELNS1_11target_archE910ELNS1_3gpuE8ELNS1_3repE0EEENS1_30default_config_static_selectorELNS0_4arch9wavefront6targetE1EEEvSY_
	.p2align	8
	.type	_ZN7rocprim17ROCPRIM_400000_NS6detail17trampoline_kernelINS0_13select_configILj256ELj13ELNS0_17block_load_methodE3ELS4_3ELS4_3ELNS0_20block_scan_algorithmE0ELj4294967295EEENS1_25partition_config_selectorILNS1_17partition_subalgoE3EjNS0_10empty_typeEbEEZZNS1_14partition_implILS8_3ELb0ES6_jNS0_17counting_iteratorIjlEEPS9_SE_NS0_5tupleIJPjSE_EEENSF_IJSE_SE_EEES9_SG_JZNS1_25segmented_radix_sort_implINS0_14default_configELb0EPKiPiPKlPlN2at6native12_GLOBAL__N_18offset_tEEE10hipError_tPvRmT1_PNSt15iterator_traitsISY_E10value_typeET2_T3_PNSZ_IS14_E10value_typeET4_jRbjT5_S1A_jjP12ihipStream_tbEUljE_EEESV_SW_SX_S14_S18_S1A_T6_T7_T9_mT8_S1C_bDpT10_ENKUlT_T0_E_clISt17integral_constantIbLb1EES1O_IbLb0EEEEDaS1K_S1L_EUlS1K_E_NS1_11comp_targetILNS1_3genE4ELNS1_11target_archE910ELNS1_3gpuE8ELNS1_3repE0EEENS1_30default_config_static_selectorELNS0_4arch9wavefront6targetE1EEEvSY_,@function
_ZN7rocprim17ROCPRIM_400000_NS6detail17trampoline_kernelINS0_13select_configILj256ELj13ELNS0_17block_load_methodE3ELS4_3ELS4_3ELNS0_20block_scan_algorithmE0ELj4294967295EEENS1_25partition_config_selectorILNS1_17partition_subalgoE3EjNS0_10empty_typeEbEEZZNS1_14partition_implILS8_3ELb0ES6_jNS0_17counting_iteratorIjlEEPS9_SE_NS0_5tupleIJPjSE_EEENSF_IJSE_SE_EEES9_SG_JZNS1_25segmented_radix_sort_implINS0_14default_configELb0EPKiPiPKlPlN2at6native12_GLOBAL__N_18offset_tEEE10hipError_tPvRmT1_PNSt15iterator_traitsISY_E10value_typeET2_T3_PNSZ_IS14_E10value_typeET4_jRbjT5_S1A_jjP12ihipStream_tbEUljE_EEESV_SW_SX_S14_S18_S1A_T6_T7_T9_mT8_S1C_bDpT10_ENKUlT_T0_E_clISt17integral_constantIbLb1EES1O_IbLb0EEEEDaS1K_S1L_EUlS1K_E_NS1_11comp_targetILNS1_3genE4ELNS1_11target_archE910ELNS1_3gpuE8ELNS1_3repE0EEENS1_30default_config_static_selectorELNS0_4arch9wavefront6targetE1EEEvSY_: ; @_ZN7rocprim17ROCPRIM_400000_NS6detail17trampoline_kernelINS0_13select_configILj256ELj13ELNS0_17block_load_methodE3ELS4_3ELS4_3ELNS0_20block_scan_algorithmE0ELj4294967295EEENS1_25partition_config_selectorILNS1_17partition_subalgoE3EjNS0_10empty_typeEbEEZZNS1_14partition_implILS8_3ELb0ES6_jNS0_17counting_iteratorIjlEEPS9_SE_NS0_5tupleIJPjSE_EEENSF_IJSE_SE_EEES9_SG_JZNS1_25segmented_radix_sort_implINS0_14default_configELb0EPKiPiPKlPlN2at6native12_GLOBAL__N_18offset_tEEE10hipError_tPvRmT1_PNSt15iterator_traitsISY_E10value_typeET2_T3_PNSZ_IS14_E10value_typeET4_jRbjT5_S1A_jjP12ihipStream_tbEUljE_EEESV_SW_SX_S14_S18_S1A_T6_T7_T9_mT8_S1C_bDpT10_ENKUlT_T0_E_clISt17integral_constantIbLb1EES1O_IbLb0EEEEDaS1K_S1L_EUlS1K_E_NS1_11comp_targetILNS1_3genE4ELNS1_11target_archE910ELNS1_3gpuE8ELNS1_3repE0EEENS1_30default_config_static_selectorELNS0_4arch9wavefront6targetE1EEEvSY_
; %bb.0:
	s_load_dwordx2 s[26:27], s[4:5], 0x58
	s_load_dwordx4 s[20:23], s[4:5], 0x48
	s_load_dword s13, s[4:5], 0x8
	s_load_dwordx2 s[28:29], s[4:5], 0x10
	s_load_dword s12, s[4:5], 0x70
	s_load_dword s7, s[4:5], 0x88
	s_load_dwordx4 s[8:11], s[4:5], 0x78
	s_waitcnt lgkmcnt(0)
	s_load_dwordx2 s[30:31], s[22:23], 0x0
	v_pk_mov_b32 v[2:3], s[26:27], s[26:27] op_sel:[0,1]
	s_add_i32 s2, s12, -1
	s_mulk_i32 s12, 0xd00
	s_add_u32 s0, s28, s12
	s_addc_u32 s1, s29, 0
	s_cmp_eq_u32 s6, s2
	s_cselect_b64 s[22:23], -1, 0
	s_cmp_lg_u32 s6, s2
	s_mul_i32 s42, s6, 0xd00
	v_cmp_lt_u64_e32 vcc, s[0:1], v[2:3]
	s_cselect_b64 s[0:1], -1, 0
	s_or_b64 s[2:3], s[0:1], vcc
	s_add_i32 s0, s13, s42
	s_add_i32 s0, s0, s28
	v_add_u32_e32 v2, s0, v0
	s_mov_b64 s[0:1], -1
	s_and_b64 vcc, exec, s[2:3]
	v_lshlrev_b32_e32 v1, 2, v0
	s_cbranch_vccz .LBB586_2
; %bb.1:
	v_add_u32_e32 v3, 0x100, v2
	v_add_u32_e32 v4, 0x200, v2
	;; [unrolled: 1-line block ×12, first 2 shown]
	ds_write2st64_b32 v1, v2, v3 offset1:4
	ds_write2st64_b32 v1, v4, v5 offset0:8 offset1:12
	ds_write2st64_b32 v1, v6, v7 offset0:16 offset1:20
	;; [unrolled: 1-line block ×5, first 2 shown]
	ds_write_b32 v1, v14 offset:12288
	s_waitcnt lgkmcnt(0)
	s_barrier
	s_mov_b64 s[0:1], 0
.LBB586_2:
	s_andn2_b64 vcc, exec, s[0:1]
	s_add_i32 s12, s12, s28
	s_cbranch_vccnz .LBB586_4
; %bb.3:
	v_add_u32_e32 v3, 0x100, v2
	v_add_u32_e32 v4, 0x200, v2
	;; [unrolled: 1-line block ×12, first 2 shown]
	ds_write2st64_b32 v1, v2, v3 offset1:4
	ds_write2st64_b32 v1, v4, v5 offset0:8 offset1:12
	ds_write2st64_b32 v1, v6, v7 offset0:16 offset1:20
	;; [unrolled: 1-line block ×5, first 2 shown]
	ds_write_b32 v1, v14 offset:12288
	s_waitcnt lgkmcnt(0)
	s_barrier
.LBB586_4:
	v_mul_u32_u24_e32 v33, 13, v0
	v_lshlrev_b32_e32 v2, 2, v33
	s_waitcnt lgkmcnt(0)
	ds_read2_b32 v[30:31], v2 offset1:1
	ds_read2_b32 v[28:29], v2 offset0:2 offset1:3
	ds_read2_b32 v[26:27], v2 offset0:4 offset1:5
	;; [unrolled: 1-line block ×5, first 2 shown]
	ds_read_b32 v32, v2 offset:48
	v_cndmask_b32_e64 v2, 0, 1, s[2:3]
	s_sub_i32 s33, s26, s12
	v_cmp_ne_u32_e64 s[0:1], 1, v2
	s_andn2_b64 vcc, exec, s[2:3]
	s_waitcnt lgkmcnt(0)
	s_barrier
	s_cbranch_vccnz .LBB586_6
; %bb.5:
	v_add_u32_e32 v2, s9, v30
	v_add_u32_e32 v3, s11, v30
	v_mul_lo_u32 v2, v2, s8
	v_mul_lo_u32 v3, v3, s10
	v_sub_u32_e32 v2, v2, v3
	v_add_u32_e32 v3, s9, v31
	v_add_u32_e32 v4, s11, v31
	v_mul_lo_u32 v3, v3, s8
	v_mul_lo_u32 v4, v4, s10
	v_sub_u32_e32 v3, v3, v4
	;; [unrolled: 5-line block ×6, first 2 shown]
	v_add_u32_e32 v8, s9, v24
	v_add_u32_e32 v9, s11, v24
	v_mul_lo_u32 v8, v8, s8
	v_mul_lo_u32 v9, v9, s10
	v_cmp_lt_u32_e32 vcc, s7, v2
	v_sub_u32_e32 v8, v8, v9
	v_add_u32_e32 v9, s9, v25
	v_add_u32_e32 v10, s11, v25
	v_cndmask_b32_e64 v2, 0, 1, vcc
	v_cmp_lt_u32_e32 vcc, s7, v3
	v_mul_lo_u32 v9, v9, s8
	v_mul_lo_u32 v10, v10, s10
	v_cndmask_b32_e64 v3, 0, 1, vcc
	v_cmp_lt_u32_e32 vcc, s7, v4
	v_sub_u32_e32 v9, v9, v10
	v_add_u32_e32 v10, s9, v22
	v_add_u32_e32 v11, s11, v22
	v_cndmask_b32_e64 v4, 0, 1, vcc
	v_cmp_lt_u32_e32 vcc, s7, v5
	v_mul_lo_u32 v10, v10, s8
	v_mul_lo_u32 v11, v11, s10
	v_cndmask_b32_e64 v5, 0, 1, vcc
	;; [unrolled: 9-line block ×4, first 2 shown]
	v_cmp_lt_u32_e32 vcc, s7, v10
	v_sub_u32_e32 v12, v12, v13
	v_add_u32_e32 v13, s9, v21
	v_add_u32_e32 v14, s11, v21
	v_lshlrev_b16_e32 v3, 8, v3
	v_cndmask_b32_e64 v10, 0, 1, vcc
	v_cmp_lt_u32_e32 vcc, s7, v11
	v_mul_lo_u32 v13, v13, s8
	v_mul_lo_u32 v14, v14, s10
	v_or_b32_e32 v2, v2, v3
	v_lshlrev_b16_e32 v3, 8, v5
	v_cndmask_b32_e64 v11, 0, 1, vcc
	v_cmp_lt_u32_e32 vcc, s7, v12
	v_sub_u32_e32 v13, v13, v14
	v_or_b32_sdwa v3, v4, v3 dst_sel:WORD_1 dst_unused:UNUSED_PAD src0_sel:DWORD src1_sel:DWORD
	v_cndmask_b32_e64 v12, 0, 1, vcc
	v_cmp_lt_u32_e32 vcc, s7, v13
	v_add_u32_e32 v14, s9, v32
	v_add_u32_e32 v15, s11, v32
	v_or_b32_sdwa v37, v2, v3 dst_sel:DWORD dst_unused:UNUSED_PAD src0_sel:WORD_0 src1_sel:DWORD
	v_lshlrev_b16_e32 v2, 8, v7
	v_lshlrev_b16_e32 v3, 8, v9
	v_cndmask_b32_e64 v13, 0, 1, vcc
	v_mul_lo_u32 v14, v14, s8
	v_mul_lo_u32 v15, v15, s10
	v_or_b32_e32 v2, v6, v2
	v_or_b32_sdwa v3, v8, v3 dst_sel:WORD_1 dst_unused:UNUSED_PAD src0_sel:DWORD src1_sel:DWORD
	v_sub_u32_e32 v14, v14, v15
	v_or_b32_sdwa v36, v2, v3 dst_sel:DWORD dst_unused:UNUSED_PAD src0_sel:WORD_0 src1_sel:DWORD
	v_lshlrev_b16_e32 v2, 8, v11
	v_lshlrev_b16_e32 v3, 8, v13
	v_cmp_lt_u32_e32 vcc, s7, v14
	v_or_b32_e32 v2, v10, v2
	v_or_b32_sdwa v3, v12, v3 dst_sel:WORD_1 dst_unused:UNUSED_PAD src0_sel:DWORD src1_sel:DWORD
	v_cndmask_b32_e64 v34, 0, 1, vcc
	v_or_b32_sdwa v35, v2, v3 dst_sel:DWORD dst_unused:UNUSED_PAD src0_sel:WORD_0 src1_sel:DWORD
	s_mov_b64 s[2:3], 0
	s_branch .LBB586_7
.LBB586_6:
	s_mov_b64 s[2:3], -1
                                        ; implicit-def: $vgpr34
                                        ; implicit-def: $vgpr35
                                        ; implicit-def: $vgpr36
                                        ; implicit-def: $vgpr37
.LBB586_7:
	s_load_dwordx2 s[24:25], s[4:5], 0x28
	s_load_dwordx2 s[34:35], s[4:5], 0x68
	s_andn2_b64 vcc, exec, s[2:3]
	s_addk_i32 s33, 0xd00
	s_cbranch_vccnz .LBB586_35
; %bb.8:
	v_cmp_gt_u32_e32 vcc, s33, v33
	v_mov_b32_e32 v3, 0
	v_mov_b32_e32 v2, 0
	s_and_saveexec_b64 s[2:3], vcc
; %bb.9:
	v_add_u32_e32 v2, s9, v30
	v_add_u32_e32 v4, s11, v30
	v_mul_lo_u32 v2, v2, s8
	v_mul_lo_u32 v4, v4, s10
	v_sub_u32_e32 v2, v2, v4
	v_cmp_lt_u32_e32 vcc, s7, v2
	v_cndmask_b32_e64 v2, 0, 1, vcc
; %bb.10:
	s_or_b64 exec, exec, s[2:3]
	v_add_u32_e32 v4, 1, v33
	v_cmp_gt_u32_e32 vcc, s33, v4
	s_and_saveexec_b64 s[2:3], vcc
; %bb.11:
	v_add_u32_e32 v3, s9, v31
	v_add_u32_e32 v4, s11, v31
	v_mul_lo_u32 v3, v3, s8
	v_mul_lo_u32 v4, v4, s10
	v_sub_u32_e32 v3, v3, v4
	v_cmp_lt_u32_e32 vcc, s7, v3
	v_cndmask_b32_e64 v3, 0, 1, vcc
; %bb.12:
	s_or_b64 exec, exec, s[2:3]
	v_add_u32_e32 v4, 2, v33
	v_cmp_gt_u32_e32 vcc, s33, v4
	v_mov_b32_e32 v5, 0
	v_mov_b32_e32 v4, 0
	s_and_saveexec_b64 s[2:3], vcc
; %bb.13:
	v_add_u32_e32 v4, s9, v28
	v_add_u32_e32 v6, s11, v28
	v_mul_lo_u32 v4, v4, s8
	v_mul_lo_u32 v6, v6, s10
	v_sub_u32_e32 v4, v4, v6
	v_cmp_lt_u32_e32 vcc, s7, v4
	v_cndmask_b32_e64 v4, 0, 1, vcc
; %bb.14:
	s_or_b64 exec, exec, s[2:3]
	v_add_u32_e32 v6, 3, v33
	v_cmp_gt_u32_e32 vcc, s33, v6
	s_and_saveexec_b64 s[2:3], vcc
; %bb.15:
	v_add_u32_e32 v5, s9, v29
	v_add_u32_e32 v6, s11, v29
	v_mul_lo_u32 v5, v5, s8
	v_mul_lo_u32 v6, v6, s10
	v_sub_u32_e32 v5, v5, v6
	v_cmp_lt_u32_e32 vcc, s7, v5
	v_cndmask_b32_e64 v5, 0, 1, vcc
; %bb.16:
	s_or_b64 exec, exec, s[2:3]
	v_add_u32_e32 v6, 4, v33
	;; [unrolled: 28-line block ×6, first 2 shown]
	v_cmp_gt_u32_e32 vcc, s33, v14
	v_mov_b32_e32 v34, 0
	s_and_saveexec_b64 s[2:3], vcc
; %bb.33:
	v_add_u32_e32 v14, s9, v32
	v_add_u32_e32 v15, s11, v32
	v_mul_lo_u32 v14, v14, s8
	v_mul_lo_u32 v15, v15, s10
	v_sub_u32_e32 v14, v14, v15
	v_cmp_lt_u32_e32 vcc, s7, v14
	v_cndmask_b32_e64 v34, 0, 1, vcc
; %bb.34:
	s_or_b64 exec, exec, s[2:3]
	v_lshlrev_b16_e32 v3, 8, v3
	v_or_b32_e32 v2, v2, v3
	v_lshlrev_b16_e32 v3, 8, v5
	v_or_b32_sdwa v3, v4, v3 dst_sel:WORD_1 dst_unused:UNUSED_PAD src0_sel:DWORD src1_sel:DWORD
	v_or_b32_sdwa v37, v2, v3 dst_sel:DWORD dst_unused:UNUSED_PAD src0_sel:WORD_0 src1_sel:DWORD
	v_lshlrev_b16_e32 v2, 8, v7
	v_lshlrev_b16_e32 v3, 8, v9
	v_or_b32_e32 v2, v6, v2
	v_or_b32_sdwa v3, v8, v3 dst_sel:WORD_1 dst_unused:UNUSED_PAD src0_sel:DWORD src1_sel:DWORD
	v_or_b32_sdwa v36, v2, v3 dst_sel:DWORD dst_unused:UNUSED_PAD src0_sel:WORD_0 src1_sel:DWORD
	v_lshlrev_b16_e32 v2, 8, v11
	v_lshlrev_b16_e32 v3, 8, v13
	v_or_b32_e32 v2, v10, v2
	v_or_b32_sdwa v3, v12, v3 dst_sel:WORD_1 dst_unused:UNUSED_PAD src0_sel:DWORD src1_sel:DWORD
	v_or_b32_sdwa v35, v2, v3 dst_sel:DWORD dst_unused:UNUSED_PAD src0_sel:WORD_0 src1_sel:DWORD
.LBB586_35:
	v_and_b32_e32 v41, 0xff, v37
	v_bfe_u32 v42, v37, 8, 8
	v_bfe_u32 v43, v37, 16, 8
	v_lshrrev_b32_e32 v40, 24, v37
	v_and_b32_e32 v44, 0xff, v36
	v_add3_u32 v3, v42, v41, v43
	v_bfe_u32 v45, v36, 8, 8
	v_bfe_u32 v46, v36, 16, 8
	v_add3_u32 v3, v3, v40, v44
	v_lshrrev_b32_e32 v39, 24, v36
	v_and_b32_e32 v47, 0xff, v35
	v_add3_u32 v3, v3, v45, v46
	v_bfe_u32 v48, v35, 8, 8
	v_bfe_u32 v49, v35, 16, 8
	v_add3_u32 v3, v3, v39, v47
	v_lshrrev_b32_e32 v38, 24, v35
	v_and_b32_e32 v2, 0xff, v34
	v_add3_u32 v3, v3, v48, v49
	v_add3_u32 v52, v3, v38, v2
	v_mbcnt_lo_u32_b32 v2, -1, 0
	v_mbcnt_hi_u32_b32 v50, -1, v2
	v_and_b32_e32 v2, 15, v50
	v_cmp_eq_u32_e64 s[14:15], 0, v2
	v_cmp_lt_u32_e64 s[12:13], 1, v2
	v_cmp_lt_u32_e64 s[10:11], 3, v2
	;; [unrolled: 1-line block ×3, first 2 shown]
	v_and_b32_e32 v2, 16, v50
	v_cmp_eq_u32_e64 s[18:19], 0, v2
	v_or_b32_e32 v2, 63, v0
	s_cmp_lg_u32 s6, 0
	v_cmp_lt_u32_e64 s[2:3], 31, v50
	v_lshrrev_b32_e32 v51, 6, v0
	v_cmp_eq_u32_e64 s[4:5], v2, v0
	s_cbranch_scc0 .LBB586_66
; %bb.36:
	v_mov_b32_dpp v2, v52 row_shr:1 row_mask:0xf bank_mask:0xf
	v_cndmask_b32_e64 v2, v2, 0, s[14:15]
	v_add_u32_e32 v2, v2, v52
	s_nop 1
	v_mov_b32_dpp v3, v2 row_shr:2 row_mask:0xf bank_mask:0xf
	v_cndmask_b32_e64 v3, 0, v3, s[12:13]
	v_add_u32_e32 v2, v2, v3
	s_nop 1
	;; [unrolled: 4-line block ×4, first 2 shown]
	v_mov_b32_dpp v3, v2 row_bcast:15 row_mask:0xf bank_mask:0xf
	v_cndmask_b32_e64 v3, v3, 0, s[18:19]
	v_add_u32_e32 v2, v2, v3
	s_nop 1
	v_mov_b32_dpp v3, v2 row_bcast:31 row_mask:0xf bank_mask:0xf
	v_cndmask_b32_e64 v3, 0, v3, s[2:3]
	v_add_u32_e32 v2, v2, v3
	s_and_saveexec_b64 s[16:17], s[4:5]
	s_cbranch_execz .LBB586_38
; %bb.37:
	v_lshlrev_b32_e32 v3, 2, v51
	ds_write_b32 v3, v2
.LBB586_38:
	s_or_b64 exec, exec, s[16:17]
	v_cmp_gt_u32_e32 vcc, 4, v0
	s_waitcnt lgkmcnt(0)
	s_barrier
	s_and_saveexec_b64 s[16:17], vcc
	s_cbranch_execz .LBB586_40
; %bb.39:
	ds_read_b32 v3, v1
	v_and_b32_e32 v4, 3, v50
	v_cmp_ne_u32_e32 vcc, 0, v4
	s_waitcnt lgkmcnt(0)
	v_mov_b32_dpp v5, v3 row_shr:1 row_mask:0xf bank_mask:0xf
	v_cndmask_b32_e32 v5, 0, v5, vcc
	v_add_u32_e32 v3, v5, v3
	v_cmp_lt_u32_e32 vcc, 1, v4
	s_nop 0
	v_mov_b32_dpp v5, v3 row_shr:2 row_mask:0xf bank_mask:0xf
	v_cndmask_b32_e32 v4, 0, v5, vcc
	v_add_u32_e32 v3, v3, v4
	ds_write_b32 v1, v3
.LBB586_40:
	s_or_b64 exec, exec, s[16:17]
	v_cmp_gt_u32_e32 vcc, 64, v0
	v_cmp_lt_u32_e64 s[16:17], 63, v0
	s_waitcnt lgkmcnt(0)
	s_barrier
	s_waitcnt lgkmcnt(0)
                                        ; implicit-def: $vgpr12
	s_and_saveexec_b64 s[36:37], s[16:17]
	s_cbranch_execz .LBB586_42
; %bb.41:
	v_lshl_add_u32 v3, v51, 2, -4
	ds_read_b32 v12, v3
	s_waitcnt lgkmcnt(0)
	v_add_u32_e32 v2, v12, v2
.LBB586_42:
	s_or_b64 exec, exec, s[36:37]
	v_add_u32_e32 v3, -1, v50
	v_and_b32_e32 v4, 64, v50
	v_cmp_lt_i32_e64 s[16:17], v3, v4
	v_cndmask_b32_e64 v3, v3, v50, s[16:17]
	v_lshlrev_b32_e32 v3, 2, v3
	ds_bpermute_b32 v13, v3, v2
	v_cmp_eq_u32_e64 s[16:17], 0, v50
	s_and_saveexec_b64 s[36:37], vcc
	s_cbranch_execz .LBB586_65
; %bb.43:
	v_mov_b32_e32 v11, 0
	ds_read_b32 v2, v11 offset:12
	s_and_saveexec_b64 s[38:39], s[16:17]
	s_cbranch_execz .LBB586_45
; %bb.44:
	s_add_i32 s40, s6, 64
	s_mov_b32 s41, 0
	s_lshl_b64 s[40:41], s[40:41], 3
	s_add_u32 s40, s34, s40
	v_mov_b32_e32 v3, 1
	s_addc_u32 s41, s35, s41
	s_waitcnt lgkmcnt(0)
	global_store_dwordx2 v11, v[2:3], s[40:41]
.LBB586_45:
	s_or_b64 exec, exec, s[38:39]
	v_xad_u32 v4, v50, -1, s6
	v_add_u32_e32 v10, 64, v4
	v_lshlrev_b64 v[6:7], 3, v[10:11]
	v_mov_b32_e32 v3, s35
	v_add_co_u32_e32 v6, vcc, s34, v6
	v_addc_co_u32_e32 v7, vcc, v3, v7, vcc
	global_load_dwordx2 v[8:9], v[6:7], off glc
	s_waitcnt vmcnt(0)
	v_cmp_eq_u16_sdwa s[40:41], v9, v11 src0_sel:BYTE_0 src1_sel:DWORD
	s_and_saveexec_b64 s[38:39], s[40:41]
	s_cbranch_execz .LBB586_51
; %bb.46:
	s_mov_b32 s7, 1
	s_mov_b64 s[40:41], 0
	v_mov_b32_e32 v3, 0
.LBB586_47:                             ; =>This Loop Header: Depth=1
                                        ;     Child Loop BB586_48 Depth 2
	s_max_u32 s43, s7, 1
.LBB586_48:                             ;   Parent Loop BB586_47 Depth=1
                                        ; =>  This Inner Loop Header: Depth=2
	s_add_i32 s43, s43, -1
	s_cmp_eq_u32 s43, 0
	s_sleep 1
	s_cbranch_scc0 .LBB586_48
; %bb.49:                               ;   in Loop: Header=BB586_47 Depth=1
	global_load_dwordx2 v[8:9], v[6:7], off glc
	s_cmp_lt_u32 s7, 32
	s_cselect_b64 s[44:45], -1, 0
	s_cmp_lg_u64 s[44:45], 0
	s_addc_u32 s7, s7, 0
	s_waitcnt vmcnt(0)
	v_cmp_ne_u16_sdwa s[44:45], v9, v3 src0_sel:BYTE_0 src1_sel:DWORD
	s_or_b64 s[40:41], s[44:45], s[40:41]
	s_andn2_b64 exec, exec, s[40:41]
	s_cbranch_execnz .LBB586_47
; %bb.50:
	s_or_b64 exec, exec, s[40:41]
.LBB586_51:
	s_or_b64 exec, exec, s[38:39]
	v_and_b32_e32 v14, 63, v50
	v_mov_b32_e32 v3, 2
	v_cmp_ne_u32_e32 vcc, 63, v14
	v_cmp_eq_u16_sdwa s[38:39], v9, v3 src0_sel:BYTE_0 src1_sel:DWORD
	v_lshlrev_b64 v[6:7], v50, -1
	v_addc_co_u32_e32 v11, vcc, 0, v50, vcc
	v_and_b32_e32 v5, s39, v7
	v_lshlrev_b32_e32 v15, 2, v11
	v_or_b32_e32 v5, 0x80000000, v5
	ds_bpermute_b32 v11, v15, v8
	v_and_b32_e32 v10, s38, v6
	v_ffbl_b32_e32 v5, v5
	v_add_u32_e32 v5, 32, v5
	v_ffbl_b32_e32 v10, v10
	v_min_u32_e32 v5, v10, v5
	v_cmp_lt_u32_e32 vcc, v14, v5
	s_waitcnt lgkmcnt(0)
	v_cndmask_b32_e32 v10, 0, v11, vcc
	v_cmp_gt_u32_e32 vcc, 62, v14
	v_add_u32_e32 v8, v10, v8
	v_cndmask_b32_e64 v10, 0, 1, vcc
	v_lshlrev_b32_e32 v10, 1, v10
	v_add_lshl_u32 v16, v10, v50, 2
	ds_bpermute_b32 v10, v16, v8
	v_add_u32_e32 v17, 2, v14
	v_cmp_le_u32_e32 vcc, v17, v5
	v_add_u32_e32 v19, 4, v14
	v_add_u32_e32 v54, 8, v14
	s_waitcnt lgkmcnt(0)
	v_cndmask_b32_e32 v10, 0, v10, vcc
	v_cmp_gt_u32_e32 vcc, 60, v14
	v_add_u32_e32 v8, v8, v10
	v_cndmask_b32_e64 v10, 0, 1, vcc
	v_lshlrev_b32_e32 v10, 2, v10
	v_add_lshl_u32 v18, v10, v50, 2
	ds_bpermute_b32 v10, v18, v8
	v_cmp_le_u32_e32 vcc, v19, v5
	v_add_u32_e32 v57, 16, v14
	v_add_u32_e32 v59, 32, v14
	s_waitcnt lgkmcnt(0)
	v_cndmask_b32_e32 v10, 0, v10, vcc
	v_cmp_gt_u32_e32 vcc, 56, v14
	v_add_u32_e32 v8, v8, v10
	v_cndmask_b32_e64 v10, 0, 1, vcc
	v_lshlrev_b32_e32 v10, 3, v10
	v_add_lshl_u32 v53, v10, v50, 2
	ds_bpermute_b32 v10, v53, v8
	v_cmp_le_u32_e32 vcc, v54, v5
	s_waitcnt lgkmcnt(0)
	v_cndmask_b32_e32 v10, 0, v10, vcc
	v_cmp_gt_u32_e32 vcc, 48, v14
	v_add_u32_e32 v8, v8, v10
	v_cndmask_b32_e64 v10, 0, 1, vcc
	v_lshlrev_b32_e32 v10, 4, v10
	v_add_lshl_u32 v56, v10, v50, 2
	ds_bpermute_b32 v10, v56, v8
	v_cmp_le_u32_e32 vcc, v57, v5
	;; [unrolled: 9-line block ×3, first 2 shown]
	s_waitcnt lgkmcnt(0)
	v_cndmask_b32_e32 v5, 0, v10, vcc
	v_add_u32_e32 v8, v8, v5
	v_mov_b32_e32 v5, 0
	s_branch .LBB586_53
.LBB586_52:                             ;   in Loop: Header=BB586_53 Depth=1
	s_or_b64 exec, exec, s[38:39]
	v_cmp_eq_u16_sdwa s[38:39], v9, v3 src0_sel:BYTE_0 src1_sel:DWORD
	v_and_b32_e32 v10, s39, v7
	v_or_b32_e32 v10, 0x80000000, v10
	ds_bpermute_b32 v60, v15, v8
	v_and_b32_e32 v11, s38, v6
	v_ffbl_b32_e32 v10, v10
	v_add_u32_e32 v10, 32, v10
	v_ffbl_b32_e32 v11, v11
	v_min_u32_e32 v10, v11, v10
	v_cmp_lt_u32_e32 vcc, v14, v10
	s_waitcnt lgkmcnt(0)
	v_cndmask_b32_e32 v11, 0, v60, vcc
	v_add_u32_e32 v8, v11, v8
	ds_bpermute_b32 v11, v16, v8
	v_cmp_le_u32_e32 vcc, v17, v10
	v_subrev_u32_e32 v4, 64, v4
	s_waitcnt lgkmcnt(0)
	v_cndmask_b32_e32 v11, 0, v11, vcc
	v_add_u32_e32 v8, v8, v11
	ds_bpermute_b32 v11, v18, v8
	v_cmp_le_u32_e32 vcc, v19, v10
	s_waitcnt lgkmcnt(0)
	v_cndmask_b32_e32 v11, 0, v11, vcc
	v_add_u32_e32 v8, v8, v11
	ds_bpermute_b32 v11, v53, v8
	v_cmp_le_u32_e32 vcc, v54, v10
	;; [unrolled: 5-line block ×4, first 2 shown]
	s_waitcnt lgkmcnt(0)
	v_cndmask_b32_e32 v10, 0, v11, vcc
	v_add3_u32 v8, v10, v55, v8
.LBB586_53:                             ; =>This Loop Header: Depth=1
                                        ;     Child Loop BB586_56 Depth 2
                                        ;       Child Loop BB586_57 Depth 3
	v_cmp_ne_u16_sdwa s[38:39], v9, v3 src0_sel:BYTE_0 src1_sel:DWORD
	v_cndmask_b32_e64 v9, 0, 1, s[38:39]
	;;#ASMSTART
	;;#ASMEND
	v_cmp_ne_u32_e32 vcc, 0, v9
	s_cmp_lg_u64 vcc, exec
	v_mov_b32_e32 v55, v8
	s_cbranch_scc1 .LBB586_60
; %bb.54:                               ;   in Loop: Header=BB586_53 Depth=1
	v_lshlrev_b64 v[8:9], 3, v[4:5]
	v_mov_b32_e32 v11, s35
	v_add_co_u32_e32 v10, vcc, s34, v8
	v_addc_co_u32_e32 v11, vcc, v11, v9, vcc
	global_load_dwordx2 v[8:9], v[10:11], off glc
	s_waitcnt vmcnt(0)
	v_cmp_eq_u16_sdwa s[40:41], v9, v5 src0_sel:BYTE_0 src1_sel:DWORD
	s_and_saveexec_b64 s[38:39], s[40:41]
	s_cbranch_execz .LBB586_52
; %bb.55:                               ;   in Loop: Header=BB586_53 Depth=1
	s_mov_b32 s7, 1
	s_mov_b64 s[40:41], 0
.LBB586_56:                             ;   Parent Loop BB586_53 Depth=1
                                        ; =>  This Loop Header: Depth=2
                                        ;       Child Loop BB586_57 Depth 3
	s_max_u32 s43, s7, 1
.LBB586_57:                             ;   Parent Loop BB586_53 Depth=1
                                        ;     Parent Loop BB586_56 Depth=2
                                        ; =>    This Inner Loop Header: Depth=3
	s_add_i32 s43, s43, -1
	s_cmp_eq_u32 s43, 0
	s_sleep 1
	s_cbranch_scc0 .LBB586_57
; %bb.58:                               ;   in Loop: Header=BB586_56 Depth=2
	global_load_dwordx2 v[8:9], v[10:11], off glc
	s_cmp_lt_u32 s7, 32
	s_cselect_b64 s[44:45], -1, 0
	s_cmp_lg_u64 s[44:45], 0
	s_addc_u32 s7, s7, 0
	s_waitcnt vmcnt(0)
	v_cmp_ne_u16_sdwa s[44:45], v9, v5 src0_sel:BYTE_0 src1_sel:DWORD
	s_or_b64 s[40:41], s[44:45], s[40:41]
	s_andn2_b64 exec, exec, s[40:41]
	s_cbranch_execnz .LBB586_56
; %bb.59:                               ;   in Loop: Header=BB586_53 Depth=1
	s_or_b64 exec, exec, s[40:41]
	s_branch .LBB586_52
.LBB586_60:                             ;   in Loop: Header=BB586_53 Depth=1
                                        ; implicit-def: $vgpr8
                                        ; implicit-def: $vgpr9
	s_cbranch_execz .LBB586_53
; %bb.61:
	s_and_saveexec_b64 s[38:39], s[16:17]
	s_cbranch_execz .LBB586_63
; %bb.62:
	s_add_i32 s6, s6, 64
	s_mov_b32 s7, 0
	s_lshl_b64 s[6:7], s[6:7], 3
	s_add_u32 s6, s34, s6
	v_add_u32_e32 v4, v55, v2
	v_mov_b32_e32 v5, 2
	s_addc_u32 s7, s35, s7
	v_mov_b32_e32 v3, 0
	global_store_dwordx2 v3, v[4:5], s[6:7]
	s_movk_i32 s6, 0x3400
	v_add_u32_e64 v3, s6, 0
	ds_write2_b32 v3, v2, v55 offset1:2
.LBB586_63:
	s_or_b64 exec, exec, s[38:39]
	v_cmp_eq_u32_e32 vcc, 0, v0
	s_and_b64 exec, exec, vcc
	s_cbranch_execz .LBB586_65
; %bb.64:
	v_mov_b32_e32 v2, 0
	ds_write_b32 v2, v55 offset:12
.LBB586_65:
	s_or_b64 exec, exec, s[36:37]
	v_mov_b32_e32 v2, 0
	s_waitcnt lgkmcnt(0)
	s_barrier
	ds_read_b32 v2, v2 offset:12
	v_cndmask_b32_e64 v3, v13, v12, s[16:17]
	v_cmp_ne_u32_e32 vcc, 0, v0
	v_cndmask_b32_e32 v3, 0, v3, vcc
	s_movk_i32 s6, 0x3400
	s_waitcnt lgkmcnt(0)
	v_add_u32_e32 v2, v2, v3
	v_add_u32_e32 v3, v2, v41
	;; [unrolled: 1-line block ×8, first 2 shown]
	v_add_u32_e64 v12, s6, 0
	v_add_u32_e32 v10, v9, v39
	s_barrier
	ds_read2_b32 v[18:19], v12 offset1:2
	v_add_u32_e32 v11, v10, v47
	v_add_u32_e32 v12, v11, v48
	;; [unrolled: 1-line block ×4, first 2 shown]
	s_branch .LBB586_76
.LBB586_66:
                                        ; implicit-def: $vgpr19
                                        ; implicit-def: $vgpr2_vgpr3_vgpr4_vgpr5_vgpr6_vgpr7_vgpr8_vgpr9_vgpr10_vgpr11_vgpr12_vgpr13_vgpr14_vgpr15_vgpr16_vgpr17
	s_cbranch_execz .LBB586_76
; %bb.67:
	s_nop 0
	v_mov_b32_dpp v2, v52 row_shr:1 row_mask:0xf bank_mask:0xf
	v_cndmask_b32_e64 v2, v2, 0, s[14:15]
	v_add_u32_e32 v2, v2, v52
	s_nop 1
	v_mov_b32_dpp v3, v2 row_shr:2 row_mask:0xf bank_mask:0xf
	v_cndmask_b32_e64 v3, 0, v3, s[12:13]
	v_add_u32_e32 v2, v2, v3
	;; [unrolled: 4-line block ×4, first 2 shown]
	s_nop 1
	v_mov_b32_dpp v3, v2 row_bcast:15 row_mask:0xf bank_mask:0xf
	v_cndmask_b32_e64 v3, v3, 0, s[18:19]
	v_add_u32_e32 v2, v2, v3
	s_nop 1
	v_mov_b32_dpp v3, v2 row_bcast:31 row_mask:0xf bank_mask:0xf
	v_cndmask_b32_e64 v3, 0, v3, s[2:3]
	v_add_u32_e32 v2, v2, v3
	s_and_saveexec_b64 s[2:3], s[4:5]
	s_cbranch_execz .LBB586_69
; %bb.68:
	v_lshlrev_b32_e32 v3, 2, v51
	ds_write_b32 v3, v2
.LBB586_69:
	s_or_b64 exec, exec, s[2:3]
	v_cmp_gt_u32_e32 vcc, 4, v0
	s_waitcnt lgkmcnt(0)
	s_barrier
	s_and_saveexec_b64 s[2:3], vcc
	s_cbranch_execz .LBB586_71
; %bb.70:
	ds_read_b32 v3, v1
	v_and_b32_e32 v4, 3, v50
	v_cmp_ne_u32_e32 vcc, 0, v4
	s_waitcnt lgkmcnt(0)
	v_mov_b32_dpp v5, v3 row_shr:1 row_mask:0xf bank_mask:0xf
	v_cndmask_b32_e32 v5, 0, v5, vcc
	v_add_u32_e32 v3, v5, v3
	v_cmp_lt_u32_e32 vcc, 1, v4
	s_nop 0
	v_mov_b32_dpp v5, v3 row_shr:2 row_mask:0xf bank_mask:0xf
	v_cndmask_b32_e32 v4, 0, v5, vcc
	v_add_u32_e32 v3, v3, v4
	ds_write_b32 v1, v3
.LBB586_71:
	s_or_b64 exec, exec, s[2:3]
	v_cmp_lt_u32_e32 vcc, 63, v0
	v_mov_b32_e32 v4, 0
	v_mov_b32_e32 v3, 0
	s_waitcnt lgkmcnt(0)
	s_barrier
	s_and_saveexec_b64 s[2:3], vcc
	s_cbranch_execz .LBB586_73
; %bb.72:
	v_lshl_add_u32 v3, v51, 2, -4
	ds_read_b32 v3, v3
.LBB586_73:
	s_or_b64 exec, exec, s[2:3]
	v_add_u32_e32 v5, -1, v50
	v_and_b32_e32 v6, 64, v50
	v_cmp_lt_i32_e32 vcc, v5, v6
	v_cndmask_b32_e32 v5, v5, v50, vcc
	s_waitcnt lgkmcnt(0)
	v_add_u32_e32 v2, v3, v2
	v_lshlrev_b32_e32 v5, 2, v5
	ds_bpermute_b32 v2, v5, v2
	ds_read_b32 v18, v4 offset:12
	v_cmp_eq_u32_e32 vcc, 0, v0
	s_and_saveexec_b64 s[2:3], vcc
	s_cbranch_execz .LBB586_75
; %bb.74:
	v_mov_b32_e32 v4, 0
	v_mov_b32_e32 v19, 2
	s_waitcnt lgkmcnt(0)
	global_store_dwordx2 v4, v[18:19], s[34:35] offset:512
.LBB586_75:
	s_or_b64 exec, exec, s[2:3]
	v_cmp_eq_u32_e64 s[2:3], 0, v50
	s_waitcnt lgkmcnt(1)
	v_cndmask_b32_e64 v2, v2, v3, s[2:3]
	v_cndmask_b32_e64 v2, v2, 0, vcc
	v_add_u32_e32 v3, v2, v41
	v_add_u32_e32 v4, v3, v42
	;; [unrolled: 1-line block ×11, first 2 shown]
	v_mov_b32_e32 v19, 0
	v_add_u32_e32 v14, v13, v38
	s_waitcnt lgkmcnt(0)
	s_barrier
.LBB586_76:
	s_waitcnt lgkmcnt(0)
	v_add_u32_e32 v33, v18, v33
	v_sub_u32_e32 v2, v2, v19
	v_and_b32_e32 v42, 1, v37
	v_sub_u32_e32 v41, v33, v2
	v_cmp_eq_u32_e32 vcc, 1, v42
	v_cndmask_b32_e32 v2, v41, v2, vcc
	v_lshlrev_b32_e32 v2, 2, v2
	v_lshrrev_b32_e32 v17, 8, v37
	ds_write_b32 v2, v30
	v_sub_u32_e32 v2, v3, v19
	v_sub_u32_e32 v3, v33, v2
	v_and_b32_e32 v17, 1, v17
	v_add_u32_e32 v3, 1, v3
	v_cmp_eq_u32_e32 vcc, 1, v17
	v_cndmask_b32_e32 v2, v3, v2, vcc
	v_lshlrev_b32_e32 v2, 2, v2
	ds_write_b32 v2, v31
	v_sub_u32_e32 v2, v4, v19
	v_mov_b32_e32 v4, 1
	v_sub_u32_e32 v3, v33, v2
	v_and_b32_sdwa v17, v4, v37 dst_sel:DWORD dst_unused:UNUSED_PAD src0_sel:DWORD src1_sel:WORD_1
	v_add_u32_e32 v3, 2, v3
	v_cmp_eq_u32_e32 vcc, 1, v17
	v_cndmask_b32_e32 v2, v3, v2, vcc
	v_lshlrev_b32_e32 v2, 2, v2
	ds_write_b32 v2, v28
	v_sub_u32_e32 v2, v5, v19
	v_sub_u32_e32 v3, v33, v2
	v_and_b32_e32 v5, 1, v40
	v_add_u32_e32 v3, 3, v3
	v_cmp_eq_u32_e32 vcc, 1, v5
	v_cndmask_b32_e32 v2, v3, v2, vcc
	v_lshlrev_b32_e32 v2, 2, v2
	ds_write_b32 v2, v29
	v_sub_u32_e32 v2, v6, v19
	v_sub_u32_e32 v3, v33, v2
	v_and_b32_e32 v5, 1, v36
	v_add_u32_e32 v3, 4, v3
	v_cmp_eq_u32_e32 vcc, 1, v5
	v_cndmask_b32_e32 v2, v3, v2, vcc
	v_lshlrev_b32_e32 v2, 2, v2
	v_lshrrev_b32_e32 v16, 8, v36
	ds_write_b32 v2, v26
	v_sub_u32_e32 v2, v7, v19
	v_sub_u32_e32 v3, v33, v2
	v_and_b32_e32 v5, 1, v16
	v_add_u32_e32 v3, 5, v3
	v_cmp_eq_u32_e32 vcc, 1, v5
	v_cndmask_b32_e32 v2, v3, v2, vcc
	v_lshlrev_b32_e32 v2, 2, v2
	ds_write_b32 v2, v27
	v_sub_u32_e32 v2, v8, v19
	v_sub_u32_e32 v3, v33, v2
	v_and_b32_sdwa v5, v4, v36 dst_sel:DWORD dst_unused:UNUSED_PAD src0_sel:DWORD src1_sel:WORD_1
	v_add_u32_e32 v3, 6, v3
	v_cmp_eq_u32_e32 vcc, 1, v5
	v_cndmask_b32_e32 v2, v3, v2, vcc
	v_lshlrev_b32_e32 v2, 2, v2
	ds_write_b32 v2, v24
	v_sub_u32_e32 v2, v9, v19
	v_sub_u32_e32 v3, v33, v2
	v_and_b32_e32 v5, 1, v39
	v_add_u32_e32 v3, 7, v3
	v_cmp_eq_u32_e32 vcc, 1, v5
	v_cndmask_b32_e32 v2, v3, v2, vcc
	v_lshlrev_b32_e32 v2, 2, v2
	ds_write_b32 v2, v25
	v_sub_u32_e32 v2, v10, v19
	v_sub_u32_e32 v3, v33, v2
	v_and_b32_e32 v5, 1, v35
	v_add_u32_e32 v3, 8, v3
	v_cmp_eq_u32_e32 vcc, 1, v5
	v_cndmask_b32_e32 v2, v3, v2, vcc
	v_lshlrev_b32_e32 v2, 2, v2
	v_lshrrev_b32_e32 v15, 8, v35
	ds_write_b32 v2, v22
	v_sub_u32_e32 v2, v11, v19
	v_sub_u32_e32 v3, v33, v2
	v_and_b32_e32 v5, 1, v15
	v_add_u32_e32 v3, 9, v3
	v_cmp_eq_u32_e32 vcc, 1, v5
	v_cndmask_b32_e32 v2, v3, v2, vcc
	v_lshlrev_b32_e32 v2, 2, v2
	ds_write_b32 v2, v23
	v_sub_u32_e32 v2, v12, v19
	v_sub_u32_e32 v3, v33, v2
	v_and_b32_sdwa v4, v4, v35 dst_sel:DWORD dst_unused:UNUSED_PAD src0_sel:DWORD src1_sel:WORD_1
	v_add_u32_e32 v3, 10, v3
	v_cmp_eq_u32_e32 vcc, 1, v4
	v_cndmask_b32_e32 v2, v3, v2, vcc
	v_lshlrev_b32_e32 v2, 2, v2
	ds_write_b32 v2, v20
	v_sub_u32_e32 v2, v13, v19
	v_sub_u32_e32 v3, v33, v2
	v_and_b32_e32 v4, 1, v38
	v_add_u32_e32 v3, 11, v3
	v_cmp_eq_u32_e32 vcc, 1, v4
	v_cndmask_b32_e32 v2, v3, v2, vcc
	v_lshlrev_b32_e32 v2, 2, v2
	ds_write_b32 v2, v21
	v_sub_u32_e32 v2, v14, v19
	v_sub_u32_e32 v3, v33, v2
	v_and_b32_e32 v4, 1, v34
	v_add_u32_e32 v3, 12, v3
	v_cmp_eq_u32_e32 vcc, 1, v4
	v_cndmask_b32_e32 v2, v3, v2, vcc
	s_add_u32 s2, s28, s42
	v_lshlrev_b32_e32 v2, 2, v2
	s_addc_u32 s3, s29, 0
	ds_write_b32 v2, v32
	s_waitcnt lgkmcnt(0)
	s_barrier
	ds_read2st64_b32 v[12:13], v1 offset1:4
	ds_read2st64_b32 v[10:11], v1 offset0:8 offset1:12
	ds_read2st64_b32 v[8:9], v1 offset0:16 offset1:20
	;; [unrolled: 1-line block ×5, first 2 shown]
	ds_read_b32 v17, v1 offset:12288
	v_mov_b32_e32 v14, s31
	v_add_co_u32_e32 v1, vcc, s30, v19
	s_sub_u32 s2, s26, s2
	v_addc_co_u32_e32 v16, vcc, 0, v14, vcc
	s_subb_u32 s3, s27, s3
	v_mov_b32_e32 v14, s3
	v_add_co_u32_e32 v15, vcc, s2, v18
	v_addc_co_u32_e32 v14, vcc, 0, v14, vcc
	s_and_b64 vcc, exec, s[0:1]
	v_add_co_u32_e64 v19, s[0:1], v15, v1
	v_or_b32_e32 v32, 0x100, v0
	v_or_b32_e32 v31, 0x200, v0
	;; [unrolled: 1-line block ×12, first 2 shown]
	v_addc_co_u32_e64 v21, s[0:1], v14, v16, s[0:1]
	s_cbranch_vccnz .LBB586_130
; %bb.77:
	v_cmp_ge_u32_e32 vcc, v0, v18
                                        ; implicit-def: $vgpr14_vgpr15
	s_and_saveexec_b64 s[0:1], vcc
	s_xor_b64 s[0:1], exec, s[0:1]
; %bb.78:
	v_not_b32_e32 v14, v0
	v_ashrrev_i32_e32 v15, 31, v14
	v_add_co_u32_e32 v14, vcc, v19, v14
	v_addc_co_u32_e32 v15, vcc, v21, v15, vcc
; %bb.79:
	s_andn2_saveexec_b64 s[0:1], s[0:1]
; %bb.80:
	v_add_co_u32_e32 v14, vcc, v1, v0
	v_addc_co_u32_e32 v15, vcc, 0, v16, vcc
; %bb.81:
	s_or_b64 exec, exec, s[0:1]
	v_lshlrev_b64 v[14:15], 2, v[14:15]
	v_mov_b32_e32 v33, s25
	v_add_co_u32_e32 v14, vcc, s24, v14
	v_addc_co_u32_e32 v15, vcc, v33, v15, vcc
	v_cmp_ge_u32_e32 vcc, v32, v18
	s_waitcnt lgkmcnt(6)
	global_store_dword v[14:15], v12, off
                                        ; implicit-def: $vgpr14_vgpr15
	s_and_saveexec_b64 s[0:1], vcc
	s_xor_b64 s[0:1], exec, s[0:1]
; %bb.82:
	v_xor_b32_e32 v14, 0xfffffeff, v0
	v_ashrrev_i32_e32 v15, 31, v14
	v_add_co_u32_e32 v14, vcc, v19, v14
	v_addc_co_u32_e32 v15, vcc, v21, v15, vcc
; %bb.83:
	s_andn2_saveexec_b64 s[0:1], s[0:1]
; %bb.84:
	v_add_co_u32_e32 v14, vcc, v1, v32
	v_addc_co_u32_e32 v15, vcc, 0, v16, vcc
; %bb.85:
	s_or_b64 exec, exec, s[0:1]
	v_lshlrev_b64 v[14:15], 2, v[14:15]
	v_mov_b32_e32 v33, s25
	v_add_co_u32_e32 v14, vcc, s24, v14
	v_addc_co_u32_e32 v15, vcc, v33, v15, vcc
	v_cmp_ge_u32_e32 vcc, v31, v18
	global_store_dword v[14:15], v13, off
                                        ; implicit-def: $vgpr14_vgpr15
	s_and_saveexec_b64 s[0:1], vcc
	s_xor_b64 s[0:1], exec, s[0:1]
; %bb.86:
	v_xor_b32_e32 v14, 0xfffffdff, v0
	v_ashrrev_i32_e32 v15, 31, v14
	v_add_co_u32_e32 v14, vcc, v19, v14
	v_addc_co_u32_e32 v15, vcc, v21, v15, vcc
; %bb.87:
	s_andn2_saveexec_b64 s[0:1], s[0:1]
; %bb.88:
	v_add_co_u32_e32 v14, vcc, v1, v31
	v_addc_co_u32_e32 v15, vcc, 0, v16, vcc
; %bb.89:
	s_or_b64 exec, exec, s[0:1]
	v_lshlrev_b64 v[14:15], 2, v[14:15]
	v_mov_b32_e32 v33, s25
	v_add_co_u32_e32 v14, vcc, s24, v14
	v_addc_co_u32_e32 v15, vcc, v33, v15, vcc
	v_cmp_ge_u32_e32 vcc, v30, v18
	s_waitcnt lgkmcnt(5)
	global_store_dword v[14:15], v10, off
                                        ; implicit-def: $vgpr14_vgpr15
	s_and_saveexec_b64 s[0:1], vcc
	s_xor_b64 s[0:1], exec, s[0:1]
; %bb.90:
	v_xor_b32_e32 v14, 0xfffffcff, v0
	v_ashrrev_i32_e32 v15, 31, v14
	v_add_co_u32_e32 v14, vcc, v19, v14
	v_addc_co_u32_e32 v15, vcc, v21, v15, vcc
; %bb.91:
	s_andn2_saveexec_b64 s[0:1], s[0:1]
; %bb.92:
	v_add_co_u32_e32 v14, vcc, v1, v30
	v_addc_co_u32_e32 v15, vcc, 0, v16, vcc
; %bb.93:
	s_or_b64 exec, exec, s[0:1]
	v_lshlrev_b64 v[14:15], 2, v[14:15]
	v_mov_b32_e32 v33, s25
	v_add_co_u32_e32 v14, vcc, s24, v14
	v_addc_co_u32_e32 v15, vcc, v33, v15, vcc
	v_cmp_ge_u32_e32 vcc, v29, v18
	global_store_dword v[14:15], v11, off
                                        ; implicit-def: $vgpr14_vgpr15
	s_and_saveexec_b64 s[0:1], vcc
	s_xor_b64 s[0:1], exec, s[0:1]
; %bb.94:
	v_xor_b32_e32 v14, 0xfffffbff, v0
	;; [unrolled: 43-line block ×6, first 2 shown]
	v_ashrrev_i32_e32 v15, 31, v14
	v_add_co_u32_e32 v14, vcc, v19, v14
	v_addc_co_u32_e32 v15, vcc, v21, v15, vcc
; %bb.127:
	s_andn2_saveexec_b64 s[0:1], s[0:1]
; %bb.128:
	v_add_co_u32_e32 v14, vcc, v1, v20
	v_addc_co_u32_e32 v15, vcc, 0, v16, vcc
; %bb.129:
	s_or_b64 exec, exec, s[0:1]
	s_mov_b64 s[0:1], -1
	s_branch .LBB586_210
.LBB586_130:
	s_mov_b64 s[0:1], 0
                                        ; implicit-def: $vgpr14_vgpr15
	s_cbranch_execz .LBB586_210
; %bb.131:
	v_cmp_gt_u32_e32 vcc, s33, v0
	s_and_saveexec_b64 s[2:3], vcc
	s_cbranch_execz .LBB586_167
; %bb.132:
	v_cmp_ge_u32_e32 vcc, v0, v18
                                        ; implicit-def: $vgpr14_vgpr15
	s_and_saveexec_b64 s[4:5], vcc
	s_xor_b64 s[4:5], exec, s[4:5]
; %bb.133:
	v_not_b32_e32 v14, v0
	v_ashrrev_i32_e32 v15, 31, v14
	v_add_co_u32_e32 v14, vcc, v19, v14
	v_addc_co_u32_e32 v15, vcc, v21, v15, vcc
; %bb.134:
	s_andn2_saveexec_b64 s[4:5], s[4:5]
; %bb.135:
	v_add_co_u32_e32 v14, vcc, v1, v0
	v_addc_co_u32_e32 v15, vcc, 0, v16, vcc
; %bb.136:
	s_or_b64 exec, exec, s[4:5]
	v_lshlrev_b64 v[14:15], 2, v[14:15]
	v_mov_b32_e32 v33, s25
	v_add_co_u32_e32 v14, vcc, s24, v14
	v_addc_co_u32_e32 v15, vcc, v33, v15, vcc
	s_waitcnt lgkmcnt(6)
	global_store_dword v[14:15], v12, off
	s_or_b64 exec, exec, s[2:3]
	v_cmp_gt_u32_e32 vcc, s33, v32
	s_and_saveexec_b64 s[2:3], vcc
	s_cbranch_execnz .LBB586_168
.LBB586_137:
	s_or_b64 exec, exec, s[2:3]
	v_cmp_gt_u32_e32 vcc, s33, v31
	s_and_saveexec_b64 s[2:3], vcc
	s_cbranch_execz .LBB586_173
.LBB586_138:
	v_cmp_ge_u32_e32 vcc, v31, v18
                                        ; implicit-def: $vgpr12_vgpr13
	s_and_saveexec_b64 s[4:5], vcc
	s_xor_b64 s[4:5], exec, s[4:5]
	s_cbranch_execz .LBB586_140
; %bb.139:
	s_waitcnt lgkmcnt(6)
	v_xor_b32_e32 v12, 0xfffffdff, v0
	v_ashrrev_i32_e32 v13, 31, v12
	v_add_co_u32_e32 v12, vcc, v19, v12
	v_addc_co_u32_e32 v13, vcc, v21, v13, vcc
                                        ; implicit-def: $vgpr31
.LBB586_140:
	s_andn2_saveexec_b64 s[4:5], s[4:5]
	s_cbranch_execz .LBB586_142
; %bb.141:
	s_waitcnt lgkmcnt(6)
	v_add_co_u32_e32 v12, vcc, v1, v31
	v_addc_co_u32_e32 v13, vcc, 0, v16, vcc
.LBB586_142:
	s_or_b64 exec, exec, s[4:5]
	s_waitcnt lgkmcnt(6)
	v_lshlrev_b64 v[12:13], 2, v[12:13]
	v_mov_b32_e32 v14, s25
	v_add_co_u32_e32 v12, vcc, s24, v12
	v_addc_co_u32_e32 v13, vcc, v14, v13, vcc
	s_waitcnt lgkmcnt(5)
	global_store_dword v[12:13], v10, off
	s_or_b64 exec, exec, s[2:3]
	v_cmp_gt_u32_e32 vcc, s33, v30
	s_and_saveexec_b64 s[2:3], vcc
	s_cbranch_execnz .LBB586_174
.LBB586_143:
	s_or_b64 exec, exec, s[2:3]
	v_cmp_gt_u32_e32 vcc, s33, v29
	s_and_saveexec_b64 s[2:3], vcc
	s_cbranch_execz .LBB586_179
.LBB586_144:
	v_cmp_ge_u32_e32 vcc, v29, v18
                                        ; implicit-def: $vgpr10_vgpr11
	s_and_saveexec_b64 s[4:5], vcc
	s_xor_b64 s[4:5], exec, s[4:5]
	s_cbranch_execz .LBB586_146
; %bb.145:
	s_waitcnt lgkmcnt(5)
	v_xor_b32_e32 v10, 0xfffffbff, v0
	v_ashrrev_i32_e32 v11, 31, v10
	v_add_co_u32_e32 v10, vcc, v19, v10
	v_addc_co_u32_e32 v11, vcc, v21, v11, vcc
                                        ; implicit-def: $vgpr29
.LBB586_146:
	s_andn2_saveexec_b64 s[4:5], s[4:5]
	s_cbranch_execz .LBB586_148
; %bb.147:
	s_waitcnt lgkmcnt(5)
	v_add_co_u32_e32 v10, vcc, v1, v29
	v_addc_co_u32_e32 v11, vcc, 0, v16, vcc
.LBB586_148:
	s_or_b64 exec, exec, s[4:5]
	s_waitcnt lgkmcnt(5)
	v_lshlrev_b64 v[10:11], 2, v[10:11]
	v_mov_b32_e32 v12, s25
	v_add_co_u32_e32 v10, vcc, s24, v10
	v_addc_co_u32_e32 v11, vcc, v12, v11, vcc
	s_waitcnt lgkmcnt(4)
	global_store_dword v[10:11], v8, off
	s_or_b64 exec, exec, s[2:3]
	v_cmp_gt_u32_e32 vcc, s33, v28
	s_and_saveexec_b64 s[2:3], vcc
	s_cbranch_execnz .LBB586_180
.LBB586_149:
	s_or_b64 exec, exec, s[2:3]
	v_cmp_gt_u32_e32 vcc, s33, v27
	s_and_saveexec_b64 s[2:3], vcc
	s_cbranch_execz .LBB586_185
.LBB586_150:
	v_cmp_ge_u32_e32 vcc, v27, v18
                                        ; implicit-def: $vgpr8_vgpr9
	s_and_saveexec_b64 s[4:5], vcc
	s_xor_b64 s[4:5], exec, s[4:5]
	s_cbranch_execz .LBB586_152
; %bb.151:
	s_waitcnt lgkmcnt(4)
	v_xor_b32_e32 v8, 0xfffff9ff, v0
	v_ashrrev_i32_e32 v9, 31, v8
	v_add_co_u32_e32 v8, vcc, v19, v8
	v_addc_co_u32_e32 v9, vcc, v21, v9, vcc
                                        ; implicit-def: $vgpr27
.LBB586_152:
	s_andn2_saveexec_b64 s[4:5], s[4:5]
	s_cbranch_execz .LBB586_154
; %bb.153:
	s_waitcnt lgkmcnt(4)
	v_add_co_u32_e32 v8, vcc, v1, v27
	v_addc_co_u32_e32 v9, vcc, 0, v16, vcc
.LBB586_154:
	s_or_b64 exec, exec, s[4:5]
	s_waitcnt lgkmcnt(4)
	v_lshlrev_b64 v[8:9], 2, v[8:9]
	v_mov_b32_e32 v10, s25
	v_add_co_u32_e32 v8, vcc, s24, v8
	v_addc_co_u32_e32 v9, vcc, v10, v9, vcc
	s_waitcnt lgkmcnt(3)
	global_store_dword v[8:9], v6, off
	s_or_b64 exec, exec, s[2:3]
	v_cmp_gt_u32_e32 vcc, s33, v26
	s_and_saveexec_b64 s[2:3], vcc
	s_cbranch_execnz .LBB586_186
.LBB586_155:
	s_or_b64 exec, exec, s[2:3]
	v_cmp_gt_u32_e32 vcc, s33, v25
	s_and_saveexec_b64 s[2:3], vcc
	s_cbranch_execz .LBB586_191
.LBB586_156:
	v_cmp_ge_u32_e32 vcc, v25, v18
                                        ; implicit-def: $vgpr6_vgpr7
	s_and_saveexec_b64 s[4:5], vcc
	s_xor_b64 s[4:5], exec, s[4:5]
	s_cbranch_execz .LBB586_158
; %bb.157:
	s_waitcnt lgkmcnt(3)
	v_xor_b32_e32 v6, 0xfffff7ff, v0
	v_ashrrev_i32_e32 v7, 31, v6
	v_add_co_u32_e32 v6, vcc, v19, v6
	v_addc_co_u32_e32 v7, vcc, v21, v7, vcc
                                        ; implicit-def: $vgpr25
.LBB586_158:
	s_andn2_saveexec_b64 s[4:5], s[4:5]
	s_cbranch_execz .LBB586_160
; %bb.159:
	s_waitcnt lgkmcnt(3)
	v_add_co_u32_e32 v6, vcc, v1, v25
	v_addc_co_u32_e32 v7, vcc, 0, v16, vcc
.LBB586_160:
	s_or_b64 exec, exec, s[4:5]
	s_waitcnt lgkmcnt(3)
	v_lshlrev_b64 v[6:7], 2, v[6:7]
	v_mov_b32_e32 v8, s25
	v_add_co_u32_e32 v6, vcc, s24, v6
	v_addc_co_u32_e32 v7, vcc, v8, v7, vcc
	s_waitcnt lgkmcnt(2)
	global_store_dword v[6:7], v4, off
	s_or_b64 exec, exec, s[2:3]
	v_cmp_gt_u32_e32 vcc, s33, v24
	s_and_saveexec_b64 s[2:3], vcc
	s_cbranch_execnz .LBB586_192
.LBB586_161:
	s_or_b64 exec, exec, s[2:3]
	v_cmp_gt_u32_e32 vcc, s33, v23
	s_and_saveexec_b64 s[2:3], vcc
	s_cbranch_execz .LBB586_197
.LBB586_162:
	v_cmp_ge_u32_e32 vcc, v23, v18
                                        ; implicit-def: $vgpr4_vgpr5
	s_and_saveexec_b64 s[4:5], vcc
	s_xor_b64 s[4:5], exec, s[4:5]
	s_cbranch_execz .LBB586_164
; %bb.163:
	s_waitcnt lgkmcnt(2)
	v_xor_b32_e32 v4, 0xfffff5ff, v0
	v_ashrrev_i32_e32 v5, 31, v4
	v_add_co_u32_e32 v4, vcc, v19, v4
	v_addc_co_u32_e32 v5, vcc, v21, v5, vcc
                                        ; implicit-def: $vgpr23
.LBB586_164:
	s_andn2_saveexec_b64 s[4:5], s[4:5]
	s_cbranch_execz .LBB586_166
; %bb.165:
	s_waitcnt lgkmcnt(2)
	v_add_co_u32_e32 v4, vcc, v1, v23
	v_addc_co_u32_e32 v5, vcc, 0, v16, vcc
.LBB586_166:
	s_or_b64 exec, exec, s[4:5]
	s_waitcnt lgkmcnt(2)
	v_lshlrev_b64 v[4:5], 2, v[4:5]
	v_mov_b32_e32 v6, s25
	v_add_co_u32_e32 v4, vcc, s24, v4
	v_addc_co_u32_e32 v5, vcc, v6, v5, vcc
	s_waitcnt lgkmcnt(1)
	global_store_dword v[4:5], v2, off
	s_or_b64 exec, exec, s[2:3]
	v_cmp_gt_u32_e32 vcc, s33, v22
	s_and_saveexec_b64 s[2:3], vcc
	s_cbranch_execz .LBB586_203
	s_branch .LBB586_198
.LBB586_167:
	s_or_b64 exec, exec, s[2:3]
	v_cmp_gt_u32_e32 vcc, s33, v32
	s_and_saveexec_b64 s[2:3], vcc
	s_cbranch_execz .LBB586_137
.LBB586_168:
	v_cmp_ge_u32_e32 vcc, v32, v18
                                        ; implicit-def: $vgpr14_vgpr15
	s_and_saveexec_b64 s[4:5], vcc
	s_xor_b64 s[4:5], exec, s[4:5]
	s_cbranch_execz .LBB586_170
; %bb.169:
	s_waitcnt lgkmcnt(6)
	v_xor_b32_e32 v12, 0xfffffeff, v0
	v_ashrrev_i32_e32 v15, 31, v12
	v_add_co_u32_e32 v14, vcc, v19, v12
	v_addc_co_u32_e32 v15, vcc, v21, v15, vcc
                                        ; implicit-def: $vgpr32
.LBB586_170:
	s_andn2_saveexec_b64 s[4:5], s[4:5]
; %bb.171:
	v_add_co_u32_e32 v14, vcc, v1, v32
	v_addc_co_u32_e32 v15, vcc, 0, v16, vcc
; %bb.172:
	s_or_b64 exec, exec, s[4:5]
	v_lshlrev_b64 v[14:15], 2, v[14:15]
	s_waitcnt lgkmcnt(6)
	v_mov_b32_e32 v12, s25
	v_add_co_u32_e32 v14, vcc, s24, v14
	v_addc_co_u32_e32 v15, vcc, v12, v15, vcc
	global_store_dword v[14:15], v13, off
	s_or_b64 exec, exec, s[2:3]
	v_cmp_gt_u32_e32 vcc, s33, v31
	s_and_saveexec_b64 s[2:3], vcc
	s_cbranch_execnz .LBB586_138
.LBB586_173:
	s_or_b64 exec, exec, s[2:3]
	v_cmp_gt_u32_e32 vcc, s33, v30
	s_and_saveexec_b64 s[2:3], vcc
	s_cbranch_execz .LBB586_143
.LBB586_174:
	v_cmp_ge_u32_e32 vcc, v30, v18
                                        ; implicit-def: $vgpr12_vgpr13
	s_and_saveexec_b64 s[4:5], vcc
	s_xor_b64 s[4:5], exec, s[4:5]
	s_cbranch_execz .LBB586_176
; %bb.175:
	s_waitcnt lgkmcnt(5)
	v_xor_b32_e32 v10, 0xfffffcff, v0
	v_ashrrev_i32_e32 v13, 31, v10
	v_add_co_u32_e32 v12, vcc, v19, v10
	v_addc_co_u32_e32 v13, vcc, v21, v13, vcc
                                        ; implicit-def: $vgpr30
.LBB586_176:
	s_andn2_saveexec_b64 s[4:5], s[4:5]
	s_cbranch_execz .LBB586_178
; %bb.177:
	s_waitcnt lgkmcnt(6)
	v_add_co_u32_e32 v12, vcc, v1, v30
	v_addc_co_u32_e32 v13, vcc, 0, v16, vcc
.LBB586_178:
	s_or_b64 exec, exec, s[4:5]
	s_waitcnt lgkmcnt(6)
	v_lshlrev_b64 v[12:13], 2, v[12:13]
	s_waitcnt lgkmcnt(5)
	v_mov_b32_e32 v10, s25
	v_add_co_u32_e32 v12, vcc, s24, v12
	v_addc_co_u32_e32 v13, vcc, v10, v13, vcc
	global_store_dword v[12:13], v11, off
	s_or_b64 exec, exec, s[2:3]
	v_cmp_gt_u32_e32 vcc, s33, v29
	s_and_saveexec_b64 s[2:3], vcc
	s_cbranch_execnz .LBB586_144
.LBB586_179:
	s_or_b64 exec, exec, s[2:3]
	v_cmp_gt_u32_e32 vcc, s33, v28
	s_and_saveexec_b64 s[2:3], vcc
	s_cbranch_execz .LBB586_149
.LBB586_180:
	v_cmp_ge_u32_e32 vcc, v28, v18
                                        ; implicit-def: $vgpr10_vgpr11
	s_and_saveexec_b64 s[4:5], vcc
	s_xor_b64 s[4:5], exec, s[4:5]
	s_cbranch_execz .LBB586_182
; %bb.181:
	s_waitcnt lgkmcnt(4)
	v_xor_b32_e32 v8, 0xfffffaff, v0
	v_ashrrev_i32_e32 v11, 31, v8
	v_add_co_u32_e32 v10, vcc, v19, v8
	v_addc_co_u32_e32 v11, vcc, v21, v11, vcc
                                        ; implicit-def: $vgpr28
.LBB586_182:
	s_andn2_saveexec_b64 s[4:5], s[4:5]
	s_cbranch_execz .LBB586_184
; %bb.183:
	s_waitcnt lgkmcnt(5)
	v_add_co_u32_e32 v10, vcc, v1, v28
	v_addc_co_u32_e32 v11, vcc, 0, v16, vcc
.LBB586_184:
	s_or_b64 exec, exec, s[4:5]
	s_waitcnt lgkmcnt(5)
	v_lshlrev_b64 v[10:11], 2, v[10:11]
	s_waitcnt lgkmcnt(4)
	v_mov_b32_e32 v8, s25
	v_add_co_u32_e32 v10, vcc, s24, v10
	v_addc_co_u32_e32 v11, vcc, v8, v11, vcc
	global_store_dword v[10:11], v9, off
	s_or_b64 exec, exec, s[2:3]
	v_cmp_gt_u32_e32 vcc, s33, v27
	s_and_saveexec_b64 s[2:3], vcc
	s_cbranch_execnz .LBB586_150
.LBB586_185:
	s_or_b64 exec, exec, s[2:3]
	v_cmp_gt_u32_e32 vcc, s33, v26
	s_and_saveexec_b64 s[2:3], vcc
	s_cbranch_execz .LBB586_155
.LBB586_186:
	v_cmp_ge_u32_e32 vcc, v26, v18
                                        ; implicit-def: $vgpr8_vgpr9
	s_and_saveexec_b64 s[4:5], vcc
	s_xor_b64 s[4:5], exec, s[4:5]
	s_cbranch_execz .LBB586_188
; %bb.187:
	s_waitcnt lgkmcnt(3)
	v_xor_b32_e32 v6, 0xfffff8ff, v0
	v_ashrrev_i32_e32 v9, 31, v6
	v_add_co_u32_e32 v8, vcc, v19, v6
	v_addc_co_u32_e32 v9, vcc, v21, v9, vcc
                                        ; implicit-def: $vgpr26
.LBB586_188:
	s_andn2_saveexec_b64 s[4:5], s[4:5]
	s_cbranch_execz .LBB586_190
; %bb.189:
	s_waitcnt lgkmcnt(4)
	v_add_co_u32_e32 v8, vcc, v1, v26
	v_addc_co_u32_e32 v9, vcc, 0, v16, vcc
.LBB586_190:
	s_or_b64 exec, exec, s[4:5]
	s_waitcnt lgkmcnt(4)
	v_lshlrev_b64 v[8:9], 2, v[8:9]
	s_waitcnt lgkmcnt(3)
	v_mov_b32_e32 v6, s25
	v_add_co_u32_e32 v8, vcc, s24, v8
	v_addc_co_u32_e32 v9, vcc, v6, v9, vcc
	global_store_dword v[8:9], v7, off
	s_or_b64 exec, exec, s[2:3]
	v_cmp_gt_u32_e32 vcc, s33, v25
	s_and_saveexec_b64 s[2:3], vcc
	s_cbranch_execnz .LBB586_156
.LBB586_191:
	s_or_b64 exec, exec, s[2:3]
	v_cmp_gt_u32_e32 vcc, s33, v24
	s_and_saveexec_b64 s[2:3], vcc
	s_cbranch_execz .LBB586_161
.LBB586_192:
	v_cmp_ge_u32_e32 vcc, v24, v18
                                        ; implicit-def: $vgpr6_vgpr7
	s_and_saveexec_b64 s[4:5], vcc
	s_xor_b64 s[4:5], exec, s[4:5]
	s_cbranch_execz .LBB586_194
; %bb.193:
	s_waitcnt lgkmcnt(2)
	v_xor_b32_e32 v4, 0xfffff6ff, v0
	v_ashrrev_i32_e32 v7, 31, v4
	v_add_co_u32_e32 v6, vcc, v19, v4
	v_addc_co_u32_e32 v7, vcc, v21, v7, vcc
                                        ; implicit-def: $vgpr24
.LBB586_194:
	s_andn2_saveexec_b64 s[4:5], s[4:5]
	s_cbranch_execz .LBB586_196
; %bb.195:
	s_waitcnt lgkmcnt(3)
	v_add_co_u32_e32 v6, vcc, v1, v24
	v_addc_co_u32_e32 v7, vcc, 0, v16, vcc
.LBB586_196:
	s_or_b64 exec, exec, s[4:5]
	s_waitcnt lgkmcnt(3)
	v_lshlrev_b64 v[6:7], 2, v[6:7]
	s_waitcnt lgkmcnt(2)
	v_mov_b32_e32 v4, s25
	v_add_co_u32_e32 v6, vcc, s24, v6
	v_addc_co_u32_e32 v7, vcc, v4, v7, vcc
	global_store_dword v[6:7], v5, off
	s_or_b64 exec, exec, s[2:3]
	v_cmp_gt_u32_e32 vcc, s33, v23
	s_and_saveexec_b64 s[2:3], vcc
	s_cbranch_execnz .LBB586_162
.LBB586_197:
	s_or_b64 exec, exec, s[2:3]
	v_cmp_gt_u32_e32 vcc, s33, v22
	s_and_saveexec_b64 s[2:3], vcc
	s_cbranch_execz .LBB586_203
.LBB586_198:
	v_cmp_ge_u32_e32 vcc, v22, v18
                                        ; implicit-def: $vgpr4_vgpr5
	s_and_saveexec_b64 s[4:5], vcc
	s_xor_b64 s[4:5], exec, s[4:5]
	s_cbranch_execz .LBB586_200
; %bb.199:
	s_waitcnt lgkmcnt(1)
	v_xor_b32_e32 v2, 0xfffff4ff, v0
	v_ashrrev_i32_e32 v5, 31, v2
	v_add_co_u32_e32 v4, vcc, v19, v2
	v_addc_co_u32_e32 v5, vcc, v21, v5, vcc
                                        ; implicit-def: $vgpr22
.LBB586_200:
	s_andn2_saveexec_b64 s[4:5], s[4:5]
	s_cbranch_execz .LBB586_202
; %bb.201:
	s_waitcnt lgkmcnt(2)
	v_add_co_u32_e32 v4, vcc, v1, v22
	v_addc_co_u32_e32 v5, vcc, 0, v16, vcc
.LBB586_202:
	s_or_b64 exec, exec, s[4:5]
	s_waitcnt lgkmcnt(2)
	v_lshlrev_b64 v[4:5], 2, v[4:5]
	s_waitcnt lgkmcnt(1)
	v_mov_b32_e32 v2, s25
	v_add_co_u32_e32 v4, vcc, s24, v4
	v_addc_co_u32_e32 v5, vcc, v2, v5, vcc
	global_store_dword v[4:5], v3, off
.LBB586_203:
	s_or_b64 exec, exec, s[2:3]
	v_cmp_gt_u32_e32 vcc, s33, v20
                                        ; implicit-def: $vgpr14_vgpr15
	s_and_saveexec_b64 s[2:3], vcc
	s_cbranch_execz .LBB586_209
; %bb.204:
	v_cmp_ge_u32_e32 vcc, v20, v18
                                        ; implicit-def: $vgpr14_vgpr15
	s_and_saveexec_b64 s[4:5], vcc
	s_xor_b64 s[4:5], exec, s[4:5]
	s_cbranch_execz .LBB586_206
; %bb.205:
	s_waitcnt lgkmcnt(1)
	v_xor_b32_e32 v2, 0xfffff3ff, v0
	v_ashrrev_i32_e32 v3, 31, v2
	v_add_co_u32_e32 v14, vcc, v19, v2
	v_addc_co_u32_e32 v15, vcc, v21, v3, vcc
                                        ; implicit-def: $vgpr20
.LBB586_206:
	s_andn2_saveexec_b64 s[4:5], s[4:5]
; %bb.207:
	v_add_co_u32_e32 v14, vcc, v1, v20
	v_addc_co_u32_e32 v15, vcc, 0, v16, vcc
; %bb.208:
	s_or_b64 exec, exec, s[4:5]
	s_or_b64 s[0:1], s[0:1], exec
.LBB586_209:
	s_or_b64 exec, exec, s[2:3]
.LBB586_210:
	s_and_saveexec_b64 s[2:3], s[0:1]
	s_cbranch_execz .LBB586_212
; %bb.211:
	s_waitcnt lgkmcnt(1)
	v_lshlrev_b64 v[2:3], 2, v[14:15]
	v_mov_b32_e32 v4, s25
	v_add_co_u32_e32 v2, vcc, s24, v2
	v_addc_co_u32_e32 v3, vcc, v4, v3, vcc
	s_waitcnt lgkmcnt(0)
	global_store_dword v[2:3], v17, off
.LBB586_212:
	s_or_b64 exec, exec, s[2:3]
	v_cmp_eq_u32_e32 vcc, 0, v0
	s_and_b64 s[0:1], vcc, s[22:23]
	s_and_saveexec_b64 s[2:3], s[0:1]
	s_cbranch_execz .LBB586_214
; %bb.213:
	v_add_co_u32_e32 v0, vcc, v1, v18
	s_waitcnt lgkmcnt(1)
	v_mov_b32_e32 v2, 0
	v_addc_co_u32_e32 v1, vcc, 0, v16, vcc
	global_store_dwordx2 v2, v[0:1], s[20:21]
.LBB586_214:
	s_endpgm
	.section	.rodata,"a",@progbits
	.p2align	6, 0x0
	.amdhsa_kernel _ZN7rocprim17ROCPRIM_400000_NS6detail17trampoline_kernelINS0_13select_configILj256ELj13ELNS0_17block_load_methodE3ELS4_3ELS4_3ELNS0_20block_scan_algorithmE0ELj4294967295EEENS1_25partition_config_selectorILNS1_17partition_subalgoE3EjNS0_10empty_typeEbEEZZNS1_14partition_implILS8_3ELb0ES6_jNS0_17counting_iteratorIjlEEPS9_SE_NS0_5tupleIJPjSE_EEENSF_IJSE_SE_EEES9_SG_JZNS1_25segmented_radix_sort_implINS0_14default_configELb0EPKiPiPKlPlN2at6native12_GLOBAL__N_18offset_tEEE10hipError_tPvRmT1_PNSt15iterator_traitsISY_E10value_typeET2_T3_PNSZ_IS14_E10value_typeET4_jRbjT5_S1A_jjP12ihipStream_tbEUljE_EEESV_SW_SX_S14_S18_S1A_T6_T7_T9_mT8_S1C_bDpT10_ENKUlT_T0_E_clISt17integral_constantIbLb1EES1O_IbLb0EEEEDaS1K_S1L_EUlS1K_E_NS1_11comp_targetILNS1_3genE4ELNS1_11target_archE910ELNS1_3gpuE8ELNS1_3repE0EEENS1_30default_config_static_selectorELNS0_4arch9wavefront6targetE1EEEvSY_
		.amdhsa_group_segment_fixed_size 13324
		.amdhsa_private_segment_fixed_size 0
		.amdhsa_kernarg_size 144
		.amdhsa_user_sgpr_count 6
		.amdhsa_user_sgpr_private_segment_buffer 1
		.amdhsa_user_sgpr_dispatch_ptr 0
		.amdhsa_user_sgpr_queue_ptr 0
		.amdhsa_user_sgpr_kernarg_segment_ptr 1
		.amdhsa_user_sgpr_dispatch_id 0
		.amdhsa_user_sgpr_flat_scratch_init 0
		.amdhsa_user_sgpr_kernarg_preload_length 0
		.amdhsa_user_sgpr_kernarg_preload_offset 0
		.amdhsa_user_sgpr_private_segment_size 0
		.amdhsa_uses_dynamic_stack 0
		.amdhsa_system_sgpr_private_segment_wavefront_offset 0
		.amdhsa_system_sgpr_workgroup_id_x 1
		.amdhsa_system_sgpr_workgroup_id_y 0
		.amdhsa_system_sgpr_workgroup_id_z 0
		.amdhsa_system_sgpr_workgroup_info 0
		.amdhsa_system_vgpr_workitem_id 0
		.amdhsa_next_free_vgpr 61
		.amdhsa_next_free_sgpr 46
		.amdhsa_accum_offset 64
		.amdhsa_reserve_vcc 1
		.amdhsa_reserve_flat_scratch 0
		.amdhsa_float_round_mode_32 0
		.amdhsa_float_round_mode_16_64 0
		.amdhsa_float_denorm_mode_32 3
		.amdhsa_float_denorm_mode_16_64 3
		.amdhsa_dx10_clamp 1
		.amdhsa_ieee_mode 1
		.amdhsa_fp16_overflow 0
		.amdhsa_tg_split 0
		.amdhsa_exception_fp_ieee_invalid_op 0
		.amdhsa_exception_fp_denorm_src 0
		.amdhsa_exception_fp_ieee_div_zero 0
		.amdhsa_exception_fp_ieee_overflow 0
		.amdhsa_exception_fp_ieee_underflow 0
		.amdhsa_exception_fp_ieee_inexact 0
		.amdhsa_exception_int_div_zero 0
	.end_amdhsa_kernel
	.section	.text._ZN7rocprim17ROCPRIM_400000_NS6detail17trampoline_kernelINS0_13select_configILj256ELj13ELNS0_17block_load_methodE3ELS4_3ELS4_3ELNS0_20block_scan_algorithmE0ELj4294967295EEENS1_25partition_config_selectorILNS1_17partition_subalgoE3EjNS0_10empty_typeEbEEZZNS1_14partition_implILS8_3ELb0ES6_jNS0_17counting_iteratorIjlEEPS9_SE_NS0_5tupleIJPjSE_EEENSF_IJSE_SE_EEES9_SG_JZNS1_25segmented_radix_sort_implINS0_14default_configELb0EPKiPiPKlPlN2at6native12_GLOBAL__N_18offset_tEEE10hipError_tPvRmT1_PNSt15iterator_traitsISY_E10value_typeET2_T3_PNSZ_IS14_E10value_typeET4_jRbjT5_S1A_jjP12ihipStream_tbEUljE_EEESV_SW_SX_S14_S18_S1A_T6_T7_T9_mT8_S1C_bDpT10_ENKUlT_T0_E_clISt17integral_constantIbLb1EES1O_IbLb0EEEEDaS1K_S1L_EUlS1K_E_NS1_11comp_targetILNS1_3genE4ELNS1_11target_archE910ELNS1_3gpuE8ELNS1_3repE0EEENS1_30default_config_static_selectorELNS0_4arch9wavefront6targetE1EEEvSY_,"axG",@progbits,_ZN7rocprim17ROCPRIM_400000_NS6detail17trampoline_kernelINS0_13select_configILj256ELj13ELNS0_17block_load_methodE3ELS4_3ELS4_3ELNS0_20block_scan_algorithmE0ELj4294967295EEENS1_25partition_config_selectorILNS1_17partition_subalgoE3EjNS0_10empty_typeEbEEZZNS1_14partition_implILS8_3ELb0ES6_jNS0_17counting_iteratorIjlEEPS9_SE_NS0_5tupleIJPjSE_EEENSF_IJSE_SE_EEES9_SG_JZNS1_25segmented_radix_sort_implINS0_14default_configELb0EPKiPiPKlPlN2at6native12_GLOBAL__N_18offset_tEEE10hipError_tPvRmT1_PNSt15iterator_traitsISY_E10value_typeET2_T3_PNSZ_IS14_E10value_typeET4_jRbjT5_S1A_jjP12ihipStream_tbEUljE_EEESV_SW_SX_S14_S18_S1A_T6_T7_T9_mT8_S1C_bDpT10_ENKUlT_T0_E_clISt17integral_constantIbLb1EES1O_IbLb0EEEEDaS1K_S1L_EUlS1K_E_NS1_11comp_targetILNS1_3genE4ELNS1_11target_archE910ELNS1_3gpuE8ELNS1_3repE0EEENS1_30default_config_static_selectorELNS0_4arch9wavefront6targetE1EEEvSY_,comdat
.Lfunc_end586:
	.size	_ZN7rocprim17ROCPRIM_400000_NS6detail17trampoline_kernelINS0_13select_configILj256ELj13ELNS0_17block_load_methodE3ELS4_3ELS4_3ELNS0_20block_scan_algorithmE0ELj4294967295EEENS1_25partition_config_selectorILNS1_17partition_subalgoE3EjNS0_10empty_typeEbEEZZNS1_14partition_implILS8_3ELb0ES6_jNS0_17counting_iteratorIjlEEPS9_SE_NS0_5tupleIJPjSE_EEENSF_IJSE_SE_EEES9_SG_JZNS1_25segmented_radix_sort_implINS0_14default_configELb0EPKiPiPKlPlN2at6native12_GLOBAL__N_18offset_tEEE10hipError_tPvRmT1_PNSt15iterator_traitsISY_E10value_typeET2_T3_PNSZ_IS14_E10value_typeET4_jRbjT5_S1A_jjP12ihipStream_tbEUljE_EEESV_SW_SX_S14_S18_S1A_T6_T7_T9_mT8_S1C_bDpT10_ENKUlT_T0_E_clISt17integral_constantIbLb1EES1O_IbLb0EEEEDaS1K_S1L_EUlS1K_E_NS1_11comp_targetILNS1_3genE4ELNS1_11target_archE910ELNS1_3gpuE8ELNS1_3repE0EEENS1_30default_config_static_selectorELNS0_4arch9wavefront6targetE1EEEvSY_, .Lfunc_end586-_ZN7rocprim17ROCPRIM_400000_NS6detail17trampoline_kernelINS0_13select_configILj256ELj13ELNS0_17block_load_methodE3ELS4_3ELS4_3ELNS0_20block_scan_algorithmE0ELj4294967295EEENS1_25partition_config_selectorILNS1_17partition_subalgoE3EjNS0_10empty_typeEbEEZZNS1_14partition_implILS8_3ELb0ES6_jNS0_17counting_iteratorIjlEEPS9_SE_NS0_5tupleIJPjSE_EEENSF_IJSE_SE_EEES9_SG_JZNS1_25segmented_radix_sort_implINS0_14default_configELb0EPKiPiPKlPlN2at6native12_GLOBAL__N_18offset_tEEE10hipError_tPvRmT1_PNSt15iterator_traitsISY_E10value_typeET2_T3_PNSZ_IS14_E10value_typeET4_jRbjT5_S1A_jjP12ihipStream_tbEUljE_EEESV_SW_SX_S14_S18_S1A_T6_T7_T9_mT8_S1C_bDpT10_ENKUlT_T0_E_clISt17integral_constantIbLb1EES1O_IbLb0EEEEDaS1K_S1L_EUlS1K_E_NS1_11comp_targetILNS1_3genE4ELNS1_11target_archE910ELNS1_3gpuE8ELNS1_3repE0EEENS1_30default_config_static_selectorELNS0_4arch9wavefront6targetE1EEEvSY_
                                        ; -- End function
	.section	.AMDGPU.csdata,"",@progbits
; Kernel info:
; codeLenInByte = 7756
; NumSgprs: 50
; NumVgprs: 61
; NumAgprs: 0
; TotalNumVgprs: 61
; ScratchSize: 0
; MemoryBound: 0
; FloatMode: 240
; IeeeMode: 1
; LDSByteSize: 13324 bytes/workgroup (compile time only)
; SGPRBlocks: 6
; VGPRBlocks: 7
; NumSGPRsForWavesPerEU: 50
; NumVGPRsForWavesPerEU: 61
; AccumOffset: 64
; Occupancy: 4
; WaveLimiterHint : 0
; COMPUTE_PGM_RSRC2:SCRATCH_EN: 0
; COMPUTE_PGM_RSRC2:USER_SGPR: 6
; COMPUTE_PGM_RSRC2:TRAP_HANDLER: 0
; COMPUTE_PGM_RSRC2:TGID_X_EN: 1
; COMPUTE_PGM_RSRC2:TGID_Y_EN: 0
; COMPUTE_PGM_RSRC2:TGID_Z_EN: 0
; COMPUTE_PGM_RSRC2:TIDIG_COMP_CNT: 0
; COMPUTE_PGM_RSRC3_GFX90A:ACCUM_OFFSET: 15
; COMPUTE_PGM_RSRC3_GFX90A:TG_SPLIT: 0
	.section	.text._ZN7rocprim17ROCPRIM_400000_NS6detail17trampoline_kernelINS0_13select_configILj256ELj13ELNS0_17block_load_methodE3ELS4_3ELS4_3ELNS0_20block_scan_algorithmE0ELj4294967295EEENS1_25partition_config_selectorILNS1_17partition_subalgoE3EjNS0_10empty_typeEbEEZZNS1_14partition_implILS8_3ELb0ES6_jNS0_17counting_iteratorIjlEEPS9_SE_NS0_5tupleIJPjSE_EEENSF_IJSE_SE_EEES9_SG_JZNS1_25segmented_radix_sort_implINS0_14default_configELb0EPKiPiPKlPlN2at6native12_GLOBAL__N_18offset_tEEE10hipError_tPvRmT1_PNSt15iterator_traitsISY_E10value_typeET2_T3_PNSZ_IS14_E10value_typeET4_jRbjT5_S1A_jjP12ihipStream_tbEUljE_EEESV_SW_SX_S14_S18_S1A_T6_T7_T9_mT8_S1C_bDpT10_ENKUlT_T0_E_clISt17integral_constantIbLb1EES1O_IbLb0EEEEDaS1K_S1L_EUlS1K_E_NS1_11comp_targetILNS1_3genE3ELNS1_11target_archE908ELNS1_3gpuE7ELNS1_3repE0EEENS1_30default_config_static_selectorELNS0_4arch9wavefront6targetE1EEEvSY_,"axG",@progbits,_ZN7rocprim17ROCPRIM_400000_NS6detail17trampoline_kernelINS0_13select_configILj256ELj13ELNS0_17block_load_methodE3ELS4_3ELS4_3ELNS0_20block_scan_algorithmE0ELj4294967295EEENS1_25partition_config_selectorILNS1_17partition_subalgoE3EjNS0_10empty_typeEbEEZZNS1_14partition_implILS8_3ELb0ES6_jNS0_17counting_iteratorIjlEEPS9_SE_NS0_5tupleIJPjSE_EEENSF_IJSE_SE_EEES9_SG_JZNS1_25segmented_radix_sort_implINS0_14default_configELb0EPKiPiPKlPlN2at6native12_GLOBAL__N_18offset_tEEE10hipError_tPvRmT1_PNSt15iterator_traitsISY_E10value_typeET2_T3_PNSZ_IS14_E10value_typeET4_jRbjT5_S1A_jjP12ihipStream_tbEUljE_EEESV_SW_SX_S14_S18_S1A_T6_T7_T9_mT8_S1C_bDpT10_ENKUlT_T0_E_clISt17integral_constantIbLb1EES1O_IbLb0EEEEDaS1K_S1L_EUlS1K_E_NS1_11comp_targetILNS1_3genE3ELNS1_11target_archE908ELNS1_3gpuE7ELNS1_3repE0EEENS1_30default_config_static_selectorELNS0_4arch9wavefront6targetE1EEEvSY_,comdat
	.globl	_ZN7rocprim17ROCPRIM_400000_NS6detail17trampoline_kernelINS0_13select_configILj256ELj13ELNS0_17block_load_methodE3ELS4_3ELS4_3ELNS0_20block_scan_algorithmE0ELj4294967295EEENS1_25partition_config_selectorILNS1_17partition_subalgoE3EjNS0_10empty_typeEbEEZZNS1_14partition_implILS8_3ELb0ES6_jNS0_17counting_iteratorIjlEEPS9_SE_NS0_5tupleIJPjSE_EEENSF_IJSE_SE_EEES9_SG_JZNS1_25segmented_radix_sort_implINS0_14default_configELb0EPKiPiPKlPlN2at6native12_GLOBAL__N_18offset_tEEE10hipError_tPvRmT1_PNSt15iterator_traitsISY_E10value_typeET2_T3_PNSZ_IS14_E10value_typeET4_jRbjT5_S1A_jjP12ihipStream_tbEUljE_EEESV_SW_SX_S14_S18_S1A_T6_T7_T9_mT8_S1C_bDpT10_ENKUlT_T0_E_clISt17integral_constantIbLb1EES1O_IbLb0EEEEDaS1K_S1L_EUlS1K_E_NS1_11comp_targetILNS1_3genE3ELNS1_11target_archE908ELNS1_3gpuE7ELNS1_3repE0EEENS1_30default_config_static_selectorELNS0_4arch9wavefront6targetE1EEEvSY_ ; -- Begin function _ZN7rocprim17ROCPRIM_400000_NS6detail17trampoline_kernelINS0_13select_configILj256ELj13ELNS0_17block_load_methodE3ELS4_3ELS4_3ELNS0_20block_scan_algorithmE0ELj4294967295EEENS1_25partition_config_selectorILNS1_17partition_subalgoE3EjNS0_10empty_typeEbEEZZNS1_14partition_implILS8_3ELb0ES6_jNS0_17counting_iteratorIjlEEPS9_SE_NS0_5tupleIJPjSE_EEENSF_IJSE_SE_EEES9_SG_JZNS1_25segmented_radix_sort_implINS0_14default_configELb0EPKiPiPKlPlN2at6native12_GLOBAL__N_18offset_tEEE10hipError_tPvRmT1_PNSt15iterator_traitsISY_E10value_typeET2_T3_PNSZ_IS14_E10value_typeET4_jRbjT5_S1A_jjP12ihipStream_tbEUljE_EEESV_SW_SX_S14_S18_S1A_T6_T7_T9_mT8_S1C_bDpT10_ENKUlT_T0_E_clISt17integral_constantIbLb1EES1O_IbLb0EEEEDaS1K_S1L_EUlS1K_E_NS1_11comp_targetILNS1_3genE3ELNS1_11target_archE908ELNS1_3gpuE7ELNS1_3repE0EEENS1_30default_config_static_selectorELNS0_4arch9wavefront6targetE1EEEvSY_
	.p2align	8
	.type	_ZN7rocprim17ROCPRIM_400000_NS6detail17trampoline_kernelINS0_13select_configILj256ELj13ELNS0_17block_load_methodE3ELS4_3ELS4_3ELNS0_20block_scan_algorithmE0ELj4294967295EEENS1_25partition_config_selectorILNS1_17partition_subalgoE3EjNS0_10empty_typeEbEEZZNS1_14partition_implILS8_3ELb0ES6_jNS0_17counting_iteratorIjlEEPS9_SE_NS0_5tupleIJPjSE_EEENSF_IJSE_SE_EEES9_SG_JZNS1_25segmented_radix_sort_implINS0_14default_configELb0EPKiPiPKlPlN2at6native12_GLOBAL__N_18offset_tEEE10hipError_tPvRmT1_PNSt15iterator_traitsISY_E10value_typeET2_T3_PNSZ_IS14_E10value_typeET4_jRbjT5_S1A_jjP12ihipStream_tbEUljE_EEESV_SW_SX_S14_S18_S1A_T6_T7_T9_mT8_S1C_bDpT10_ENKUlT_T0_E_clISt17integral_constantIbLb1EES1O_IbLb0EEEEDaS1K_S1L_EUlS1K_E_NS1_11comp_targetILNS1_3genE3ELNS1_11target_archE908ELNS1_3gpuE7ELNS1_3repE0EEENS1_30default_config_static_selectorELNS0_4arch9wavefront6targetE1EEEvSY_,@function
_ZN7rocprim17ROCPRIM_400000_NS6detail17trampoline_kernelINS0_13select_configILj256ELj13ELNS0_17block_load_methodE3ELS4_3ELS4_3ELNS0_20block_scan_algorithmE0ELj4294967295EEENS1_25partition_config_selectorILNS1_17partition_subalgoE3EjNS0_10empty_typeEbEEZZNS1_14partition_implILS8_3ELb0ES6_jNS0_17counting_iteratorIjlEEPS9_SE_NS0_5tupleIJPjSE_EEENSF_IJSE_SE_EEES9_SG_JZNS1_25segmented_radix_sort_implINS0_14default_configELb0EPKiPiPKlPlN2at6native12_GLOBAL__N_18offset_tEEE10hipError_tPvRmT1_PNSt15iterator_traitsISY_E10value_typeET2_T3_PNSZ_IS14_E10value_typeET4_jRbjT5_S1A_jjP12ihipStream_tbEUljE_EEESV_SW_SX_S14_S18_S1A_T6_T7_T9_mT8_S1C_bDpT10_ENKUlT_T0_E_clISt17integral_constantIbLb1EES1O_IbLb0EEEEDaS1K_S1L_EUlS1K_E_NS1_11comp_targetILNS1_3genE3ELNS1_11target_archE908ELNS1_3gpuE7ELNS1_3repE0EEENS1_30default_config_static_selectorELNS0_4arch9wavefront6targetE1EEEvSY_: ; @_ZN7rocprim17ROCPRIM_400000_NS6detail17trampoline_kernelINS0_13select_configILj256ELj13ELNS0_17block_load_methodE3ELS4_3ELS4_3ELNS0_20block_scan_algorithmE0ELj4294967295EEENS1_25partition_config_selectorILNS1_17partition_subalgoE3EjNS0_10empty_typeEbEEZZNS1_14partition_implILS8_3ELb0ES6_jNS0_17counting_iteratorIjlEEPS9_SE_NS0_5tupleIJPjSE_EEENSF_IJSE_SE_EEES9_SG_JZNS1_25segmented_radix_sort_implINS0_14default_configELb0EPKiPiPKlPlN2at6native12_GLOBAL__N_18offset_tEEE10hipError_tPvRmT1_PNSt15iterator_traitsISY_E10value_typeET2_T3_PNSZ_IS14_E10value_typeET4_jRbjT5_S1A_jjP12ihipStream_tbEUljE_EEESV_SW_SX_S14_S18_S1A_T6_T7_T9_mT8_S1C_bDpT10_ENKUlT_T0_E_clISt17integral_constantIbLb1EES1O_IbLb0EEEEDaS1K_S1L_EUlS1K_E_NS1_11comp_targetILNS1_3genE3ELNS1_11target_archE908ELNS1_3gpuE7ELNS1_3repE0EEENS1_30default_config_static_selectorELNS0_4arch9wavefront6targetE1EEEvSY_
; %bb.0:
	.section	.rodata,"a",@progbits
	.p2align	6, 0x0
	.amdhsa_kernel _ZN7rocprim17ROCPRIM_400000_NS6detail17trampoline_kernelINS0_13select_configILj256ELj13ELNS0_17block_load_methodE3ELS4_3ELS4_3ELNS0_20block_scan_algorithmE0ELj4294967295EEENS1_25partition_config_selectorILNS1_17partition_subalgoE3EjNS0_10empty_typeEbEEZZNS1_14partition_implILS8_3ELb0ES6_jNS0_17counting_iteratorIjlEEPS9_SE_NS0_5tupleIJPjSE_EEENSF_IJSE_SE_EEES9_SG_JZNS1_25segmented_radix_sort_implINS0_14default_configELb0EPKiPiPKlPlN2at6native12_GLOBAL__N_18offset_tEEE10hipError_tPvRmT1_PNSt15iterator_traitsISY_E10value_typeET2_T3_PNSZ_IS14_E10value_typeET4_jRbjT5_S1A_jjP12ihipStream_tbEUljE_EEESV_SW_SX_S14_S18_S1A_T6_T7_T9_mT8_S1C_bDpT10_ENKUlT_T0_E_clISt17integral_constantIbLb1EES1O_IbLb0EEEEDaS1K_S1L_EUlS1K_E_NS1_11comp_targetILNS1_3genE3ELNS1_11target_archE908ELNS1_3gpuE7ELNS1_3repE0EEENS1_30default_config_static_selectorELNS0_4arch9wavefront6targetE1EEEvSY_
		.amdhsa_group_segment_fixed_size 0
		.amdhsa_private_segment_fixed_size 0
		.amdhsa_kernarg_size 144
		.amdhsa_user_sgpr_count 6
		.amdhsa_user_sgpr_private_segment_buffer 1
		.amdhsa_user_sgpr_dispatch_ptr 0
		.amdhsa_user_sgpr_queue_ptr 0
		.amdhsa_user_sgpr_kernarg_segment_ptr 1
		.amdhsa_user_sgpr_dispatch_id 0
		.amdhsa_user_sgpr_flat_scratch_init 0
		.amdhsa_user_sgpr_kernarg_preload_length 0
		.amdhsa_user_sgpr_kernarg_preload_offset 0
		.amdhsa_user_sgpr_private_segment_size 0
		.amdhsa_uses_dynamic_stack 0
		.amdhsa_system_sgpr_private_segment_wavefront_offset 0
		.amdhsa_system_sgpr_workgroup_id_x 1
		.amdhsa_system_sgpr_workgroup_id_y 0
		.amdhsa_system_sgpr_workgroup_id_z 0
		.amdhsa_system_sgpr_workgroup_info 0
		.amdhsa_system_vgpr_workitem_id 0
		.amdhsa_next_free_vgpr 1
		.amdhsa_next_free_sgpr 0
		.amdhsa_accum_offset 4
		.amdhsa_reserve_vcc 0
		.amdhsa_reserve_flat_scratch 0
		.amdhsa_float_round_mode_32 0
		.amdhsa_float_round_mode_16_64 0
		.amdhsa_float_denorm_mode_32 3
		.amdhsa_float_denorm_mode_16_64 3
		.amdhsa_dx10_clamp 1
		.amdhsa_ieee_mode 1
		.amdhsa_fp16_overflow 0
		.amdhsa_tg_split 0
		.amdhsa_exception_fp_ieee_invalid_op 0
		.amdhsa_exception_fp_denorm_src 0
		.amdhsa_exception_fp_ieee_div_zero 0
		.amdhsa_exception_fp_ieee_overflow 0
		.amdhsa_exception_fp_ieee_underflow 0
		.amdhsa_exception_fp_ieee_inexact 0
		.amdhsa_exception_int_div_zero 0
	.end_amdhsa_kernel
	.section	.text._ZN7rocprim17ROCPRIM_400000_NS6detail17trampoline_kernelINS0_13select_configILj256ELj13ELNS0_17block_load_methodE3ELS4_3ELS4_3ELNS0_20block_scan_algorithmE0ELj4294967295EEENS1_25partition_config_selectorILNS1_17partition_subalgoE3EjNS0_10empty_typeEbEEZZNS1_14partition_implILS8_3ELb0ES6_jNS0_17counting_iteratorIjlEEPS9_SE_NS0_5tupleIJPjSE_EEENSF_IJSE_SE_EEES9_SG_JZNS1_25segmented_radix_sort_implINS0_14default_configELb0EPKiPiPKlPlN2at6native12_GLOBAL__N_18offset_tEEE10hipError_tPvRmT1_PNSt15iterator_traitsISY_E10value_typeET2_T3_PNSZ_IS14_E10value_typeET4_jRbjT5_S1A_jjP12ihipStream_tbEUljE_EEESV_SW_SX_S14_S18_S1A_T6_T7_T9_mT8_S1C_bDpT10_ENKUlT_T0_E_clISt17integral_constantIbLb1EES1O_IbLb0EEEEDaS1K_S1L_EUlS1K_E_NS1_11comp_targetILNS1_3genE3ELNS1_11target_archE908ELNS1_3gpuE7ELNS1_3repE0EEENS1_30default_config_static_selectorELNS0_4arch9wavefront6targetE1EEEvSY_,"axG",@progbits,_ZN7rocprim17ROCPRIM_400000_NS6detail17trampoline_kernelINS0_13select_configILj256ELj13ELNS0_17block_load_methodE3ELS4_3ELS4_3ELNS0_20block_scan_algorithmE0ELj4294967295EEENS1_25partition_config_selectorILNS1_17partition_subalgoE3EjNS0_10empty_typeEbEEZZNS1_14partition_implILS8_3ELb0ES6_jNS0_17counting_iteratorIjlEEPS9_SE_NS0_5tupleIJPjSE_EEENSF_IJSE_SE_EEES9_SG_JZNS1_25segmented_radix_sort_implINS0_14default_configELb0EPKiPiPKlPlN2at6native12_GLOBAL__N_18offset_tEEE10hipError_tPvRmT1_PNSt15iterator_traitsISY_E10value_typeET2_T3_PNSZ_IS14_E10value_typeET4_jRbjT5_S1A_jjP12ihipStream_tbEUljE_EEESV_SW_SX_S14_S18_S1A_T6_T7_T9_mT8_S1C_bDpT10_ENKUlT_T0_E_clISt17integral_constantIbLb1EES1O_IbLb0EEEEDaS1K_S1L_EUlS1K_E_NS1_11comp_targetILNS1_3genE3ELNS1_11target_archE908ELNS1_3gpuE7ELNS1_3repE0EEENS1_30default_config_static_selectorELNS0_4arch9wavefront6targetE1EEEvSY_,comdat
.Lfunc_end587:
	.size	_ZN7rocprim17ROCPRIM_400000_NS6detail17trampoline_kernelINS0_13select_configILj256ELj13ELNS0_17block_load_methodE3ELS4_3ELS4_3ELNS0_20block_scan_algorithmE0ELj4294967295EEENS1_25partition_config_selectorILNS1_17partition_subalgoE3EjNS0_10empty_typeEbEEZZNS1_14partition_implILS8_3ELb0ES6_jNS0_17counting_iteratorIjlEEPS9_SE_NS0_5tupleIJPjSE_EEENSF_IJSE_SE_EEES9_SG_JZNS1_25segmented_radix_sort_implINS0_14default_configELb0EPKiPiPKlPlN2at6native12_GLOBAL__N_18offset_tEEE10hipError_tPvRmT1_PNSt15iterator_traitsISY_E10value_typeET2_T3_PNSZ_IS14_E10value_typeET4_jRbjT5_S1A_jjP12ihipStream_tbEUljE_EEESV_SW_SX_S14_S18_S1A_T6_T7_T9_mT8_S1C_bDpT10_ENKUlT_T0_E_clISt17integral_constantIbLb1EES1O_IbLb0EEEEDaS1K_S1L_EUlS1K_E_NS1_11comp_targetILNS1_3genE3ELNS1_11target_archE908ELNS1_3gpuE7ELNS1_3repE0EEENS1_30default_config_static_selectorELNS0_4arch9wavefront6targetE1EEEvSY_, .Lfunc_end587-_ZN7rocprim17ROCPRIM_400000_NS6detail17trampoline_kernelINS0_13select_configILj256ELj13ELNS0_17block_load_methodE3ELS4_3ELS4_3ELNS0_20block_scan_algorithmE0ELj4294967295EEENS1_25partition_config_selectorILNS1_17partition_subalgoE3EjNS0_10empty_typeEbEEZZNS1_14partition_implILS8_3ELb0ES6_jNS0_17counting_iteratorIjlEEPS9_SE_NS0_5tupleIJPjSE_EEENSF_IJSE_SE_EEES9_SG_JZNS1_25segmented_radix_sort_implINS0_14default_configELb0EPKiPiPKlPlN2at6native12_GLOBAL__N_18offset_tEEE10hipError_tPvRmT1_PNSt15iterator_traitsISY_E10value_typeET2_T3_PNSZ_IS14_E10value_typeET4_jRbjT5_S1A_jjP12ihipStream_tbEUljE_EEESV_SW_SX_S14_S18_S1A_T6_T7_T9_mT8_S1C_bDpT10_ENKUlT_T0_E_clISt17integral_constantIbLb1EES1O_IbLb0EEEEDaS1K_S1L_EUlS1K_E_NS1_11comp_targetILNS1_3genE3ELNS1_11target_archE908ELNS1_3gpuE7ELNS1_3repE0EEENS1_30default_config_static_selectorELNS0_4arch9wavefront6targetE1EEEvSY_
                                        ; -- End function
	.section	.AMDGPU.csdata,"",@progbits
; Kernel info:
; codeLenInByte = 0
; NumSgprs: 4
; NumVgprs: 0
; NumAgprs: 0
; TotalNumVgprs: 0
; ScratchSize: 0
; MemoryBound: 0
; FloatMode: 240
; IeeeMode: 1
; LDSByteSize: 0 bytes/workgroup (compile time only)
; SGPRBlocks: 0
; VGPRBlocks: 0
; NumSGPRsForWavesPerEU: 4
; NumVGPRsForWavesPerEU: 1
; AccumOffset: 4
; Occupancy: 8
; WaveLimiterHint : 0
; COMPUTE_PGM_RSRC2:SCRATCH_EN: 0
; COMPUTE_PGM_RSRC2:USER_SGPR: 6
; COMPUTE_PGM_RSRC2:TRAP_HANDLER: 0
; COMPUTE_PGM_RSRC2:TGID_X_EN: 1
; COMPUTE_PGM_RSRC2:TGID_Y_EN: 0
; COMPUTE_PGM_RSRC2:TGID_Z_EN: 0
; COMPUTE_PGM_RSRC2:TIDIG_COMP_CNT: 0
; COMPUTE_PGM_RSRC3_GFX90A:ACCUM_OFFSET: 0
; COMPUTE_PGM_RSRC3_GFX90A:TG_SPLIT: 0
	.section	.text._ZN7rocprim17ROCPRIM_400000_NS6detail17trampoline_kernelINS0_13select_configILj256ELj13ELNS0_17block_load_methodE3ELS4_3ELS4_3ELNS0_20block_scan_algorithmE0ELj4294967295EEENS1_25partition_config_selectorILNS1_17partition_subalgoE3EjNS0_10empty_typeEbEEZZNS1_14partition_implILS8_3ELb0ES6_jNS0_17counting_iteratorIjlEEPS9_SE_NS0_5tupleIJPjSE_EEENSF_IJSE_SE_EEES9_SG_JZNS1_25segmented_radix_sort_implINS0_14default_configELb0EPKiPiPKlPlN2at6native12_GLOBAL__N_18offset_tEEE10hipError_tPvRmT1_PNSt15iterator_traitsISY_E10value_typeET2_T3_PNSZ_IS14_E10value_typeET4_jRbjT5_S1A_jjP12ihipStream_tbEUljE_EEESV_SW_SX_S14_S18_S1A_T6_T7_T9_mT8_S1C_bDpT10_ENKUlT_T0_E_clISt17integral_constantIbLb1EES1O_IbLb0EEEEDaS1K_S1L_EUlS1K_E_NS1_11comp_targetILNS1_3genE2ELNS1_11target_archE906ELNS1_3gpuE6ELNS1_3repE0EEENS1_30default_config_static_selectorELNS0_4arch9wavefront6targetE1EEEvSY_,"axG",@progbits,_ZN7rocprim17ROCPRIM_400000_NS6detail17trampoline_kernelINS0_13select_configILj256ELj13ELNS0_17block_load_methodE3ELS4_3ELS4_3ELNS0_20block_scan_algorithmE0ELj4294967295EEENS1_25partition_config_selectorILNS1_17partition_subalgoE3EjNS0_10empty_typeEbEEZZNS1_14partition_implILS8_3ELb0ES6_jNS0_17counting_iteratorIjlEEPS9_SE_NS0_5tupleIJPjSE_EEENSF_IJSE_SE_EEES9_SG_JZNS1_25segmented_radix_sort_implINS0_14default_configELb0EPKiPiPKlPlN2at6native12_GLOBAL__N_18offset_tEEE10hipError_tPvRmT1_PNSt15iterator_traitsISY_E10value_typeET2_T3_PNSZ_IS14_E10value_typeET4_jRbjT5_S1A_jjP12ihipStream_tbEUljE_EEESV_SW_SX_S14_S18_S1A_T6_T7_T9_mT8_S1C_bDpT10_ENKUlT_T0_E_clISt17integral_constantIbLb1EES1O_IbLb0EEEEDaS1K_S1L_EUlS1K_E_NS1_11comp_targetILNS1_3genE2ELNS1_11target_archE906ELNS1_3gpuE6ELNS1_3repE0EEENS1_30default_config_static_selectorELNS0_4arch9wavefront6targetE1EEEvSY_,comdat
	.globl	_ZN7rocprim17ROCPRIM_400000_NS6detail17trampoline_kernelINS0_13select_configILj256ELj13ELNS0_17block_load_methodE3ELS4_3ELS4_3ELNS0_20block_scan_algorithmE0ELj4294967295EEENS1_25partition_config_selectorILNS1_17partition_subalgoE3EjNS0_10empty_typeEbEEZZNS1_14partition_implILS8_3ELb0ES6_jNS0_17counting_iteratorIjlEEPS9_SE_NS0_5tupleIJPjSE_EEENSF_IJSE_SE_EEES9_SG_JZNS1_25segmented_radix_sort_implINS0_14default_configELb0EPKiPiPKlPlN2at6native12_GLOBAL__N_18offset_tEEE10hipError_tPvRmT1_PNSt15iterator_traitsISY_E10value_typeET2_T3_PNSZ_IS14_E10value_typeET4_jRbjT5_S1A_jjP12ihipStream_tbEUljE_EEESV_SW_SX_S14_S18_S1A_T6_T7_T9_mT8_S1C_bDpT10_ENKUlT_T0_E_clISt17integral_constantIbLb1EES1O_IbLb0EEEEDaS1K_S1L_EUlS1K_E_NS1_11comp_targetILNS1_3genE2ELNS1_11target_archE906ELNS1_3gpuE6ELNS1_3repE0EEENS1_30default_config_static_selectorELNS0_4arch9wavefront6targetE1EEEvSY_ ; -- Begin function _ZN7rocprim17ROCPRIM_400000_NS6detail17trampoline_kernelINS0_13select_configILj256ELj13ELNS0_17block_load_methodE3ELS4_3ELS4_3ELNS0_20block_scan_algorithmE0ELj4294967295EEENS1_25partition_config_selectorILNS1_17partition_subalgoE3EjNS0_10empty_typeEbEEZZNS1_14partition_implILS8_3ELb0ES6_jNS0_17counting_iteratorIjlEEPS9_SE_NS0_5tupleIJPjSE_EEENSF_IJSE_SE_EEES9_SG_JZNS1_25segmented_radix_sort_implINS0_14default_configELb0EPKiPiPKlPlN2at6native12_GLOBAL__N_18offset_tEEE10hipError_tPvRmT1_PNSt15iterator_traitsISY_E10value_typeET2_T3_PNSZ_IS14_E10value_typeET4_jRbjT5_S1A_jjP12ihipStream_tbEUljE_EEESV_SW_SX_S14_S18_S1A_T6_T7_T9_mT8_S1C_bDpT10_ENKUlT_T0_E_clISt17integral_constantIbLb1EES1O_IbLb0EEEEDaS1K_S1L_EUlS1K_E_NS1_11comp_targetILNS1_3genE2ELNS1_11target_archE906ELNS1_3gpuE6ELNS1_3repE0EEENS1_30default_config_static_selectorELNS0_4arch9wavefront6targetE1EEEvSY_
	.p2align	8
	.type	_ZN7rocprim17ROCPRIM_400000_NS6detail17trampoline_kernelINS0_13select_configILj256ELj13ELNS0_17block_load_methodE3ELS4_3ELS4_3ELNS0_20block_scan_algorithmE0ELj4294967295EEENS1_25partition_config_selectorILNS1_17partition_subalgoE3EjNS0_10empty_typeEbEEZZNS1_14partition_implILS8_3ELb0ES6_jNS0_17counting_iteratorIjlEEPS9_SE_NS0_5tupleIJPjSE_EEENSF_IJSE_SE_EEES9_SG_JZNS1_25segmented_radix_sort_implINS0_14default_configELb0EPKiPiPKlPlN2at6native12_GLOBAL__N_18offset_tEEE10hipError_tPvRmT1_PNSt15iterator_traitsISY_E10value_typeET2_T3_PNSZ_IS14_E10value_typeET4_jRbjT5_S1A_jjP12ihipStream_tbEUljE_EEESV_SW_SX_S14_S18_S1A_T6_T7_T9_mT8_S1C_bDpT10_ENKUlT_T0_E_clISt17integral_constantIbLb1EES1O_IbLb0EEEEDaS1K_S1L_EUlS1K_E_NS1_11comp_targetILNS1_3genE2ELNS1_11target_archE906ELNS1_3gpuE6ELNS1_3repE0EEENS1_30default_config_static_selectorELNS0_4arch9wavefront6targetE1EEEvSY_,@function
_ZN7rocprim17ROCPRIM_400000_NS6detail17trampoline_kernelINS0_13select_configILj256ELj13ELNS0_17block_load_methodE3ELS4_3ELS4_3ELNS0_20block_scan_algorithmE0ELj4294967295EEENS1_25partition_config_selectorILNS1_17partition_subalgoE3EjNS0_10empty_typeEbEEZZNS1_14partition_implILS8_3ELb0ES6_jNS0_17counting_iteratorIjlEEPS9_SE_NS0_5tupleIJPjSE_EEENSF_IJSE_SE_EEES9_SG_JZNS1_25segmented_radix_sort_implINS0_14default_configELb0EPKiPiPKlPlN2at6native12_GLOBAL__N_18offset_tEEE10hipError_tPvRmT1_PNSt15iterator_traitsISY_E10value_typeET2_T3_PNSZ_IS14_E10value_typeET4_jRbjT5_S1A_jjP12ihipStream_tbEUljE_EEESV_SW_SX_S14_S18_S1A_T6_T7_T9_mT8_S1C_bDpT10_ENKUlT_T0_E_clISt17integral_constantIbLb1EES1O_IbLb0EEEEDaS1K_S1L_EUlS1K_E_NS1_11comp_targetILNS1_3genE2ELNS1_11target_archE906ELNS1_3gpuE6ELNS1_3repE0EEENS1_30default_config_static_selectorELNS0_4arch9wavefront6targetE1EEEvSY_: ; @_ZN7rocprim17ROCPRIM_400000_NS6detail17trampoline_kernelINS0_13select_configILj256ELj13ELNS0_17block_load_methodE3ELS4_3ELS4_3ELNS0_20block_scan_algorithmE0ELj4294967295EEENS1_25partition_config_selectorILNS1_17partition_subalgoE3EjNS0_10empty_typeEbEEZZNS1_14partition_implILS8_3ELb0ES6_jNS0_17counting_iteratorIjlEEPS9_SE_NS0_5tupleIJPjSE_EEENSF_IJSE_SE_EEES9_SG_JZNS1_25segmented_radix_sort_implINS0_14default_configELb0EPKiPiPKlPlN2at6native12_GLOBAL__N_18offset_tEEE10hipError_tPvRmT1_PNSt15iterator_traitsISY_E10value_typeET2_T3_PNSZ_IS14_E10value_typeET4_jRbjT5_S1A_jjP12ihipStream_tbEUljE_EEESV_SW_SX_S14_S18_S1A_T6_T7_T9_mT8_S1C_bDpT10_ENKUlT_T0_E_clISt17integral_constantIbLb1EES1O_IbLb0EEEEDaS1K_S1L_EUlS1K_E_NS1_11comp_targetILNS1_3genE2ELNS1_11target_archE906ELNS1_3gpuE6ELNS1_3repE0EEENS1_30default_config_static_selectorELNS0_4arch9wavefront6targetE1EEEvSY_
; %bb.0:
	.section	.rodata,"a",@progbits
	.p2align	6, 0x0
	.amdhsa_kernel _ZN7rocprim17ROCPRIM_400000_NS6detail17trampoline_kernelINS0_13select_configILj256ELj13ELNS0_17block_load_methodE3ELS4_3ELS4_3ELNS0_20block_scan_algorithmE0ELj4294967295EEENS1_25partition_config_selectorILNS1_17partition_subalgoE3EjNS0_10empty_typeEbEEZZNS1_14partition_implILS8_3ELb0ES6_jNS0_17counting_iteratorIjlEEPS9_SE_NS0_5tupleIJPjSE_EEENSF_IJSE_SE_EEES9_SG_JZNS1_25segmented_radix_sort_implINS0_14default_configELb0EPKiPiPKlPlN2at6native12_GLOBAL__N_18offset_tEEE10hipError_tPvRmT1_PNSt15iterator_traitsISY_E10value_typeET2_T3_PNSZ_IS14_E10value_typeET4_jRbjT5_S1A_jjP12ihipStream_tbEUljE_EEESV_SW_SX_S14_S18_S1A_T6_T7_T9_mT8_S1C_bDpT10_ENKUlT_T0_E_clISt17integral_constantIbLb1EES1O_IbLb0EEEEDaS1K_S1L_EUlS1K_E_NS1_11comp_targetILNS1_3genE2ELNS1_11target_archE906ELNS1_3gpuE6ELNS1_3repE0EEENS1_30default_config_static_selectorELNS0_4arch9wavefront6targetE1EEEvSY_
		.amdhsa_group_segment_fixed_size 0
		.amdhsa_private_segment_fixed_size 0
		.amdhsa_kernarg_size 144
		.amdhsa_user_sgpr_count 6
		.amdhsa_user_sgpr_private_segment_buffer 1
		.amdhsa_user_sgpr_dispatch_ptr 0
		.amdhsa_user_sgpr_queue_ptr 0
		.amdhsa_user_sgpr_kernarg_segment_ptr 1
		.amdhsa_user_sgpr_dispatch_id 0
		.amdhsa_user_sgpr_flat_scratch_init 0
		.amdhsa_user_sgpr_kernarg_preload_length 0
		.amdhsa_user_sgpr_kernarg_preload_offset 0
		.amdhsa_user_sgpr_private_segment_size 0
		.amdhsa_uses_dynamic_stack 0
		.amdhsa_system_sgpr_private_segment_wavefront_offset 0
		.amdhsa_system_sgpr_workgroup_id_x 1
		.amdhsa_system_sgpr_workgroup_id_y 0
		.amdhsa_system_sgpr_workgroup_id_z 0
		.amdhsa_system_sgpr_workgroup_info 0
		.amdhsa_system_vgpr_workitem_id 0
		.amdhsa_next_free_vgpr 1
		.amdhsa_next_free_sgpr 0
		.amdhsa_accum_offset 4
		.amdhsa_reserve_vcc 0
		.amdhsa_reserve_flat_scratch 0
		.amdhsa_float_round_mode_32 0
		.amdhsa_float_round_mode_16_64 0
		.amdhsa_float_denorm_mode_32 3
		.amdhsa_float_denorm_mode_16_64 3
		.amdhsa_dx10_clamp 1
		.amdhsa_ieee_mode 1
		.amdhsa_fp16_overflow 0
		.amdhsa_tg_split 0
		.amdhsa_exception_fp_ieee_invalid_op 0
		.amdhsa_exception_fp_denorm_src 0
		.amdhsa_exception_fp_ieee_div_zero 0
		.amdhsa_exception_fp_ieee_overflow 0
		.amdhsa_exception_fp_ieee_underflow 0
		.amdhsa_exception_fp_ieee_inexact 0
		.amdhsa_exception_int_div_zero 0
	.end_amdhsa_kernel
	.section	.text._ZN7rocprim17ROCPRIM_400000_NS6detail17trampoline_kernelINS0_13select_configILj256ELj13ELNS0_17block_load_methodE3ELS4_3ELS4_3ELNS0_20block_scan_algorithmE0ELj4294967295EEENS1_25partition_config_selectorILNS1_17partition_subalgoE3EjNS0_10empty_typeEbEEZZNS1_14partition_implILS8_3ELb0ES6_jNS0_17counting_iteratorIjlEEPS9_SE_NS0_5tupleIJPjSE_EEENSF_IJSE_SE_EEES9_SG_JZNS1_25segmented_radix_sort_implINS0_14default_configELb0EPKiPiPKlPlN2at6native12_GLOBAL__N_18offset_tEEE10hipError_tPvRmT1_PNSt15iterator_traitsISY_E10value_typeET2_T3_PNSZ_IS14_E10value_typeET4_jRbjT5_S1A_jjP12ihipStream_tbEUljE_EEESV_SW_SX_S14_S18_S1A_T6_T7_T9_mT8_S1C_bDpT10_ENKUlT_T0_E_clISt17integral_constantIbLb1EES1O_IbLb0EEEEDaS1K_S1L_EUlS1K_E_NS1_11comp_targetILNS1_3genE2ELNS1_11target_archE906ELNS1_3gpuE6ELNS1_3repE0EEENS1_30default_config_static_selectorELNS0_4arch9wavefront6targetE1EEEvSY_,"axG",@progbits,_ZN7rocprim17ROCPRIM_400000_NS6detail17trampoline_kernelINS0_13select_configILj256ELj13ELNS0_17block_load_methodE3ELS4_3ELS4_3ELNS0_20block_scan_algorithmE0ELj4294967295EEENS1_25partition_config_selectorILNS1_17partition_subalgoE3EjNS0_10empty_typeEbEEZZNS1_14partition_implILS8_3ELb0ES6_jNS0_17counting_iteratorIjlEEPS9_SE_NS0_5tupleIJPjSE_EEENSF_IJSE_SE_EEES9_SG_JZNS1_25segmented_radix_sort_implINS0_14default_configELb0EPKiPiPKlPlN2at6native12_GLOBAL__N_18offset_tEEE10hipError_tPvRmT1_PNSt15iterator_traitsISY_E10value_typeET2_T3_PNSZ_IS14_E10value_typeET4_jRbjT5_S1A_jjP12ihipStream_tbEUljE_EEESV_SW_SX_S14_S18_S1A_T6_T7_T9_mT8_S1C_bDpT10_ENKUlT_T0_E_clISt17integral_constantIbLb1EES1O_IbLb0EEEEDaS1K_S1L_EUlS1K_E_NS1_11comp_targetILNS1_3genE2ELNS1_11target_archE906ELNS1_3gpuE6ELNS1_3repE0EEENS1_30default_config_static_selectorELNS0_4arch9wavefront6targetE1EEEvSY_,comdat
.Lfunc_end588:
	.size	_ZN7rocprim17ROCPRIM_400000_NS6detail17trampoline_kernelINS0_13select_configILj256ELj13ELNS0_17block_load_methodE3ELS4_3ELS4_3ELNS0_20block_scan_algorithmE0ELj4294967295EEENS1_25partition_config_selectorILNS1_17partition_subalgoE3EjNS0_10empty_typeEbEEZZNS1_14partition_implILS8_3ELb0ES6_jNS0_17counting_iteratorIjlEEPS9_SE_NS0_5tupleIJPjSE_EEENSF_IJSE_SE_EEES9_SG_JZNS1_25segmented_radix_sort_implINS0_14default_configELb0EPKiPiPKlPlN2at6native12_GLOBAL__N_18offset_tEEE10hipError_tPvRmT1_PNSt15iterator_traitsISY_E10value_typeET2_T3_PNSZ_IS14_E10value_typeET4_jRbjT5_S1A_jjP12ihipStream_tbEUljE_EEESV_SW_SX_S14_S18_S1A_T6_T7_T9_mT8_S1C_bDpT10_ENKUlT_T0_E_clISt17integral_constantIbLb1EES1O_IbLb0EEEEDaS1K_S1L_EUlS1K_E_NS1_11comp_targetILNS1_3genE2ELNS1_11target_archE906ELNS1_3gpuE6ELNS1_3repE0EEENS1_30default_config_static_selectorELNS0_4arch9wavefront6targetE1EEEvSY_, .Lfunc_end588-_ZN7rocprim17ROCPRIM_400000_NS6detail17trampoline_kernelINS0_13select_configILj256ELj13ELNS0_17block_load_methodE3ELS4_3ELS4_3ELNS0_20block_scan_algorithmE0ELj4294967295EEENS1_25partition_config_selectorILNS1_17partition_subalgoE3EjNS0_10empty_typeEbEEZZNS1_14partition_implILS8_3ELb0ES6_jNS0_17counting_iteratorIjlEEPS9_SE_NS0_5tupleIJPjSE_EEENSF_IJSE_SE_EEES9_SG_JZNS1_25segmented_radix_sort_implINS0_14default_configELb0EPKiPiPKlPlN2at6native12_GLOBAL__N_18offset_tEEE10hipError_tPvRmT1_PNSt15iterator_traitsISY_E10value_typeET2_T3_PNSZ_IS14_E10value_typeET4_jRbjT5_S1A_jjP12ihipStream_tbEUljE_EEESV_SW_SX_S14_S18_S1A_T6_T7_T9_mT8_S1C_bDpT10_ENKUlT_T0_E_clISt17integral_constantIbLb1EES1O_IbLb0EEEEDaS1K_S1L_EUlS1K_E_NS1_11comp_targetILNS1_3genE2ELNS1_11target_archE906ELNS1_3gpuE6ELNS1_3repE0EEENS1_30default_config_static_selectorELNS0_4arch9wavefront6targetE1EEEvSY_
                                        ; -- End function
	.section	.AMDGPU.csdata,"",@progbits
; Kernel info:
; codeLenInByte = 0
; NumSgprs: 4
; NumVgprs: 0
; NumAgprs: 0
; TotalNumVgprs: 0
; ScratchSize: 0
; MemoryBound: 0
; FloatMode: 240
; IeeeMode: 1
; LDSByteSize: 0 bytes/workgroup (compile time only)
; SGPRBlocks: 0
; VGPRBlocks: 0
; NumSGPRsForWavesPerEU: 4
; NumVGPRsForWavesPerEU: 1
; AccumOffset: 4
; Occupancy: 8
; WaveLimiterHint : 0
; COMPUTE_PGM_RSRC2:SCRATCH_EN: 0
; COMPUTE_PGM_RSRC2:USER_SGPR: 6
; COMPUTE_PGM_RSRC2:TRAP_HANDLER: 0
; COMPUTE_PGM_RSRC2:TGID_X_EN: 1
; COMPUTE_PGM_RSRC2:TGID_Y_EN: 0
; COMPUTE_PGM_RSRC2:TGID_Z_EN: 0
; COMPUTE_PGM_RSRC2:TIDIG_COMP_CNT: 0
; COMPUTE_PGM_RSRC3_GFX90A:ACCUM_OFFSET: 0
; COMPUTE_PGM_RSRC3_GFX90A:TG_SPLIT: 0
	.section	.text._ZN7rocprim17ROCPRIM_400000_NS6detail17trampoline_kernelINS0_13select_configILj256ELj13ELNS0_17block_load_methodE3ELS4_3ELS4_3ELNS0_20block_scan_algorithmE0ELj4294967295EEENS1_25partition_config_selectorILNS1_17partition_subalgoE3EjNS0_10empty_typeEbEEZZNS1_14partition_implILS8_3ELb0ES6_jNS0_17counting_iteratorIjlEEPS9_SE_NS0_5tupleIJPjSE_EEENSF_IJSE_SE_EEES9_SG_JZNS1_25segmented_radix_sort_implINS0_14default_configELb0EPKiPiPKlPlN2at6native12_GLOBAL__N_18offset_tEEE10hipError_tPvRmT1_PNSt15iterator_traitsISY_E10value_typeET2_T3_PNSZ_IS14_E10value_typeET4_jRbjT5_S1A_jjP12ihipStream_tbEUljE_EEESV_SW_SX_S14_S18_S1A_T6_T7_T9_mT8_S1C_bDpT10_ENKUlT_T0_E_clISt17integral_constantIbLb1EES1O_IbLb0EEEEDaS1K_S1L_EUlS1K_E_NS1_11comp_targetILNS1_3genE10ELNS1_11target_archE1200ELNS1_3gpuE4ELNS1_3repE0EEENS1_30default_config_static_selectorELNS0_4arch9wavefront6targetE1EEEvSY_,"axG",@progbits,_ZN7rocprim17ROCPRIM_400000_NS6detail17trampoline_kernelINS0_13select_configILj256ELj13ELNS0_17block_load_methodE3ELS4_3ELS4_3ELNS0_20block_scan_algorithmE0ELj4294967295EEENS1_25partition_config_selectorILNS1_17partition_subalgoE3EjNS0_10empty_typeEbEEZZNS1_14partition_implILS8_3ELb0ES6_jNS0_17counting_iteratorIjlEEPS9_SE_NS0_5tupleIJPjSE_EEENSF_IJSE_SE_EEES9_SG_JZNS1_25segmented_radix_sort_implINS0_14default_configELb0EPKiPiPKlPlN2at6native12_GLOBAL__N_18offset_tEEE10hipError_tPvRmT1_PNSt15iterator_traitsISY_E10value_typeET2_T3_PNSZ_IS14_E10value_typeET4_jRbjT5_S1A_jjP12ihipStream_tbEUljE_EEESV_SW_SX_S14_S18_S1A_T6_T7_T9_mT8_S1C_bDpT10_ENKUlT_T0_E_clISt17integral_constantIbLb1EES1O_IbLb0EEEEDaS1K_S1L_EUlS1K_E_NS1_11comp_targetILNS1_3genE10ELNS1_11target_archE1200ELNS1_3gpuE4ELNS1_3repE0EEENS1_30default_config_static_selectorELNS0_4arch9wavefront6targetE1EEEvSY_,comdat
	.globl	_ZN7rocprim17ROCPRIM_400000_NS6detail17trampoline_kernelINS0_13select_configILj256ELj13ELNS0_17block_load_methodE3ELS4_3ELS4_3ELNS0_20block_scan_algorithmE0ELj4294967295EEENS1_25partition_config_selectorILNS1_17partition_subalgoE3EjNS0_10empty_typeEbEEZZNS1_14partition_implILS8_3ELb0ES6_jNS0_17counting_iteratorIjlEEPS9_SE_NS0_5tupleIJPjSE_EEENSF_IJSE_SE_EEES9_SG_JZNS1_25segmented_radix_sort_implINS0_14default_configELb0EPKiPiPKlPlN2at6native12_GLOBAL__N_18offset_tEEE10hipError_tPvRmT1_PNSt15iterator_traitsISY_E10value_typeET2_T3_PNSZ_IS14_E10value_typeET4_jRbjT5_S1A_jjP12ihipStream_tbEUljE_EEESV_SW_SX_S14_S18_S1A_T6_T7_T9_mT8_S1C_bDpT10_ENKUlT_T0_E_clISt17integral_constantIbLb1EES1O_IbLb0EEEEDaS1K_S1L_EUlS1K_E_NS1_11comp_targetILNS1_3genE10ELNS1_11target_archE1200ELNS1_3gpuE4ELNS1_3repE0EEENS1_30default_config_static_selectorELNS0_4arch9wavefront6targetE1EEEvSY_ ; -- Begin function _ZN7rocprim17ROCPRIM_400000_NS6detail17trampoline_kernelINS0_13select_configILj256ELj13ELNS0_17block_load_methodE3ELS4_3ELS4_3ELNS0_20block_scan_algorithmE0ELj4294967295EEENS1_25partition_config_selectorILNS1_17partition_subalgoE3EjNS0_10empty_typeEbEEZZNS1_14partition_implILS8_3ELb0ES6_jNS0_17counting_iteratorIjlEEPS9_SE_NS0_5tupleIJPjSE_EEENSF_IJSE_SE_EEES9_SG_JZNS1_25segmented_radix_sort_implINS0_14default_configELb0EPKiPiPKlPlN2at6native12_GLOBAL__N_18offset_tEEE10hipError_tPvRmT1_PNSt15iterator_traitsISY_E10value_typeET2_T3_PNSZ_IS14_E10value_typeET4_jRbjT5_S1A_jjP12ihipStream_tbEUljE_EEESV_SW_SX_S14_S18_S1A_T6_T7_T9_mT8_S1C_bDpT10_ENKUlT_T0_E_clISt17integral_constantIbLb1EES1O_IbLb0EEEEDaS1K_S1L_EUlS1K_E_NS1_11comp_targetILNS1_3genE10ELNS1_11target_archE1200ELNS1_3gpuE4ELNS1_3repE0EEENS1_30default_config_static_selectorELNS0_4arch9wavefront6targetE1EEEvSY_
	.p2align	8
	.type	_ZN7rocprim17ROCPRIM_400000_NS6detail17trampoline_kernelINS0_13select_configILj256ELj13ELNS0_17block_load_methodE3ELS4_3ELS4_3ELNS0_20block_scan_algorithmE0ELj4294967295EEENS1_25partition_config_selectorILNS1_17partition_subalgoE3EjNS0_10empty_typeEbEEZZNS1_14partition_implILS8_3ELb0ES6_jNS0_17counting_iteratorIjlEEPS9_SE_NS0_5tupleIJPjSE_EEENSF_IJSE_SE_EEES9_SG_JZNS1_25segmented_radix_sort_implINS0_14default_configELb0EPKiPiPKlPlN2at6native12_GLOBAL__N_18offset_tEEE10hipError_tPvRmT1_PNSt15iterator_traitsISY_E10value_typeET2_T3_PNSZ_IS14_E10value_typeET4_jRbjT5_S1A_jjP12ihipStream_tbEUljE_EEESV_SW_SX_S14_S18_S1A_T6_T7_T9_mT8_S1C_bDpT10_ENKUlT_T0_E_clISt17integral_constantIbLb1EES1O_IbLb0EEEEDaS1K_S1L_EUlS1K_E_NS1_11comp_targetILNS1_3genE10ELNS1_11target_archE1200ELNS1_3gpuE4ELNS1_3repE0EEENS1_30default_config_static_selectorELNS0_4arch9wavefront6targetE1EEEvSY_,@function
_ZN7rocprim17ROCPRIM_400000_NS6detail17trampoline_kernelINS0_13select_configILj256ELj13ELNS0_17block_load_methodE3ELS4_3ELS4_3ELNS0_20block_scan_algorithmE0ELj4294967295EEENS1_25partition_config_selectorILNS1_17partition_subalgoE3EjNS0_10empty_typeEbEEZZNS1_14partition_implILS8_3ELb0ES6_jNS0_17counting_iteratorIjlEEPS9_SE_NS0_5tupleIJPjSE_EEENSF_IJSE_SE_EEES9_SG_JZNS1_25segmented_radix_sort_implINS0_14default_configELb0EPKiPiPKlPlN2at6native12_GLOBAL__N_18offset_tEEE10hipError_tPvRmT1_PNSt15iterator_traitsISY_E10value_typeET2_T3_PNSZ_IS14_E10value_typeET4_jRbjT5_S1A_jjP12ihipStream_tbEUljE_EEESV_SW_SX_S14_S18_S1A_T6_T7_T9_mT8_S1C_bDpT10_ENKUlT_T0_E_clISt17integral_constantIbLb1EES1O_IbLb0EEEEDaS1K_S1L_EUlS1K_E_NS1_11comp_targetILNS1_3genE10ELNS1_11target_archE1200ELNS1_3gpuE4ELNS1_3repE0EEENS1_30default_config_static_selectorELNS0_4arch9wavefront6targetE1EEEvSY_: ; @_ZN7rocprim17ROCPRIM_400000_NS6detail17trampoline_kernelINS0_13select_configILj256ELj13ELNS0_17block_load_methodE3ELS4_3ELS4_3ELNS0_20block_scan_algorithmE0ELj4294967295EEENS1_25partition_config_selectorILNS1_17partition_subalgoE3EjNS0_10empty_typeEbEEZZNS1_14partition_implILS8_3ELb0ES6_jNS0_17counting_iteratorIjlEEPS9_SE_NS0_5tupleIJPjSE_EEENSF_IJSE_SE_EEES9_SG_JZNS1_25segmented_radix_sort_implINS0_14default_configELb0EPKiPiPKlPlN2at6native12_GLOBAL__N_18offset_tEEE10hipError_tPvRmT1_PNSt15iterator_traitsISY_E10value_typeET2_T3_PNSZ_IS14_E10value_typeET4_jRbjT5_S1A_jjP12ihipStream_tbEUljE_EEESV_SW_SX_S14_S18_S1A_T6_T7_T9_mT8_S1C_bDpT10_ENKUlT_T0_E_clISt17integral_constantIbLb1EES1O_IbLb0EEEEDaS1K_S1L_EUlS1K_E_NS1_11comp_targetILNS1_3genE10ELNS1_11target_archE1200ELNS1_3gpuE4ELNS1_3repE0EEENS1_30default_config_static_selectorELNS0_4arch9wavefront6targetE1EEEvSY_
; %bb.0:
	.section	.rodata,"a",@progbits
	.p2align	6, 0x0
	.amdhsa_kernel _ZN7rocprim17ROCPRIM_400000_NS6detail17trampoline_kernelINS0_13select_configILj256ELj13ELNS0_17block_load_methodE3ELS4_3ELS4_3ELNS0_20block_scan_algorithmE0ELj4294967295EEENS1_25partition_config_selectorILNS1_17partition_subalgoE3EjNS0_10empty_typeEbEEZZNS1_14partition_implILS8_3ELb0ES6_jNS0_17counting_iteratorIjlEEPS9_SE_NS0_5tupleIJPjSE_EEENSF_IJSE_SE_EEES9_SG_JZNS1_25segmented_radix_sort_implINS0_14default_configELb0EPKiPiPKlPlN2at6native12_GLOBAL__N_18offset_tEEE10hipError_tPvRmT1_PNSt15iterator_traitsISY_E10value_typeET2_T3_PNSZ_IS14_E10value_typeET4_jRbjT5_S1A_jjP12ihipStream_tbEUljE_EEESV_SW_SX_S14_S18_S1A_T6_T7_T9_mT8_S1C_bDpT10_ENKUlT_T0_E_clISt17integral_constantIbLb1EES1O_IbLb0EEEEDaS1K_S1L_EUlS1K_E_NS1_11comp_targetILNS1_3genE10ELNS1_11target_archE1200ELNS1_3gpuE4ELNS1_3repE0EEENS1_30default_config_static_selectorELNS0_4arch9wavefront6targetE1EEEvSY_
		.amdhsa_group_segment_fixed_size 0
		.amdhsa_private_segment_fixed_size 0
		.amdhsa_kernarg_size 144
		.amdhsa_user_sgpr_count 6
		.amdhsa_user_sgpr_private_segment_buffer 1
		.amdhsa_user_sgpr_dispatch_ptr 0
		.amdhsa_user_sgpr_queue_ptr 0
		.amdhsa_user_sgpr_kernarg_segment_ptr 1
		.amdhsa_user_sgpr_dispatch_id 0
		.amdhsa_user_sgpr_flat_scratch_init 0
		.amdhsa_user_sgpr_kernarg_preload_length 0
		.amdhsa_user_sgpr_kernarg_preload_offset 0
		.amdhsa_user_sgpr_private_segment_size 0
		.amdhsa_uses_dynamic_stack 0
		.amdhsa_system_sgpr_private_segment_wavefront_offset 0
		.amdhsa_system_sgpr_workgroup_id_x 1
		.amdhsa_system_sgpr_workgroup_id_y 0
		.amdhsa_system_sgpr_workgroup_id_z 0
		.amdhsa_system_sgpr_workgroup_info 0
		.amdhsa_system_vgpr_workitem_id 0
		.amdhsa_next_free_vgpr 1
		.amdhsa_next_free_sgpr 0
		.amdhsa_accum_offset 4
		.amdhsa_reserve_vcc 0
		.amdhsa_reserve_flat_scratch 0
		.amdhsa_float_round_mode_32 0
		.amdhsa_float_round_mode_16_64 0
		.amdhsa_float_denorm_mode_32 3
		.amdhsa_float_denorm_mode_16_64 3
		.amdhsa_dx10_clamp 1
		.amdhsa_ieee_mode 1
		.amdhsa_fp16_overflow 0
		.amdhsa_tg_split 0
		.amdhsa_exception_fp_ieee_invalid_op 0
		.amdhsa_exception_fp_denorm_src 0
		.amdhsa_exception_fp_ieee_div_zero 0
		.amdhsa_exception_fp_ieee_overflow 0
		.amdhsa_exception_fp_ieee_underflow 0
		.amdhsa_exception_fp_ieee_inexact 0
		.amdhsa_exception_int_div_zero 0
	.end_amdhsa_kernel
	.section	.text._ZN7rocprim17ROCPRIM_400000_NS6detail17trampoline_kernelINS0_13select_configILj256ELj13ELNS0_17block_load_methodE3ELS4_3ELS4_3ELNS0_20block_scan_algorithmE0ELj4294967295EEENS1_25partition_config_selectorILNS1_17partition_subalgoE3EjNS0_10empty_typeEbEEZZNS1_14partition_implILS8_3ELb0ES6_jNS0_17counting_iteratorIjlEEPS9_SE_NS0_5tupleIJPjSE_EEENSF_IJSE_SE_EEES9_SG_JZNS1_25segmented_radix_sort_implINS0_14default_configELb0EPKiPiPKlPlN2at6native12_GLOBAL__N_18offset_tEEE10hipError_tPvRmT1_PNSt15iterator_traitsISY_E10value_typeET2_T3_PNSZ_IS14_E10value_typeET4_jRbjT5_S1A_jjP12ihipStream_tbEUljE_EEESV_SW_SX_S14_S18_S1A_T6_T7_T9_mT8_S1C_bDpT10_ENKUlT_T0_E_clISt17integral_constantIbLb1EES1O_IbLb0EEEEDaS1K_S1L_EUlS1K_E_NS1_11comp_targetILNS1_3genE10ELNS1_11target_archE1200ELNS1_3gpuE4ELNS1_3repE0EEENS1_30default_config_static_selectorELNS0_4arch9wavefront6targetE1EEEvSY_,"axG",@progbits,_ZN7rocprim17ROCPRIM_400000_NS6detail17trampoline_kernelINS0_13select_configILj256ELj13ELNS0_17block_load_methodE3ELS4_3ELS4_3ELNS0_20block_scan_algorithmE0ELj4294967295EEENS1_25partition_config_selectorILNS1_17partition_subalgoE3EjNS0_10empty_typeEbEEZZNS1_14partition_implILS8_3ELb0ES6_jNS0_17counting_iteratorIjlEEPS9_SE_NS0_5tupleIJPjSE_EEENSF_IJSE_SE_EEES9_SG_JZNS1_25segmented_radix_sort_implINS0_14default_configELb0EPKiPiPKlPlN2at6native12_GLOBAL__N_18offset_tEEE10hipError_tPvRmT1_PNSt15iterator_traitsISY_E10value_typeET2_T3_PNSZ_IS14_E10value_typeET4_jRbjT5_S1A_jjP12ihipStream_tbEUljE_EEESV_SW_SX_S14_S18_S1A_T6_T7_T9_mT8_S1C_bDpT10_ENKUlT_T0_E_clISt17integral_constantIbLb1EES1O_IbLb0EEEEDaS1K_S1L_EUlS1K_E_NS1_11comp_targetILNS1_3genE10ELNS1_11target_archE1200ELNS1_3gpuE4ELNS1_3repE0EEENS1_30default_config_static_selectorELNS0_4arch9wavefront6targetE1EEEvSY_,comdat
.Lfunc_end589:
	.size	_ZN7rocprim17ROCPRIM_400000_NS6detail17trampoline_kernelINS0_13select_configILj256ELj13ELNS0_17block_load_methodE3ELS4_3ELS4_3ELNS0_20block_scan_algorithmE0ELj4294967295EEENS1_25partition_config_selectorILNS1_17partition_subalgoE3EjNS0_10empty_typeEbEEZZNS1_14partition_implILS8_3ELb0ES6_jNS0_17counting_iteratorIjlEEPS9_SE_NS0_5tupleIJPjSE_EEENSF_IJSE_SE_EEES9_SG_JZNS1_25segmented_radix_sort_implINS0_14default_configELb0EPKiPiPKlPlN2at6native12_GLOBAL__N_18offset_tEEE10hipError_tPvRmT1_PNSt15iterator_traitsISY_E10value_typeET2_T3_PNSZ_IS14_E10value_typeET4_jRbjT5_S1A_jjP12ihipStream_tbEUljE_EEESV_SW_SX_S14_S18_S1A_T6_T7_T9_mT8_S1C_bDpT10_ENKUlT_T0_E_clISt17integral_constantIbLb1EES1O_IbLb0EEEEDaS1K_S1L_EUlS1K_E_NS1_11comp_targetILNS1_3genE10ELNS1_11target_archE1200ELNS1_3gpuE4ELNS1_3repE0EEENS1_30default_config_static_selectorELNS0_4arch9wavefront6targetE1EEEvSY_, .Lfunc_end589-_ZN7rocprim17ROCPRIM_400000_NS6detail17trampoline_kernelINS0_13select_configILj256ELj13ELNS0_17block_load_methodE3ELS4_3ELS4_3ELNS0_20block_scan_algorithmE0ELj4294967295EEENS1_25partition_config_selectorILNS1_17partition_subalgoE3EjNS0_10empty_typeEbEEZZNS1_14partition_implILS8_3ELb0ES6_jNS0_17counting_iteratorIjlEEPS9_SE_NS0_5tupleIJPjSE_EEENSF_IJSE_SE_EEES9_SG_JZNS1_25segmented_radix_sort_implINS0_14default_configELb0EPKiPiPKlPlN2at6native12_GLOBAL__N_18offset_tEEE10hipError_tPvRmT1_PNSt15iterator_traitsISY_E10value_typeET2_T3_PNSZ_IS14_E10value_typeET4_jRbjT5_S1A_jjP12ihipStream_tbEUljE_EEESV_SW_SX_S14_S18_S1A_T6_T7_T9_mT8_S1C_bDpT10_ENKUlT_T0_E_clISt17integral_constantIbLb1EES1O_IbLb0EEEEDaS1K_S1L_EUlS1K_E_NS1_11comp_targetILNS1_3genE10ELNS1_11target_archE1200ELNS1_3gpuE4ELNS1_3repE0EEENS1_30default_config_static_selectorELNS0_4arch9wavefront6targetE1EEEvSY_
                                        ; -- End function
	.section	.AMDGPU.csdata,"",@progbits
; Kernel info:
; codeLenInByte = 0
; NumSgprs: 4
; NumVgprs: 0
; NumAgprs: 0
; TotalNumVgprs: 0
; ScratchSize: 0
; MemoryBound: 0
; FloatMode: 240
; IeeeMode: 1
; LDSByteSize: 0 bytes/workgroup (compile time only)
; SGPRBlocks: 0
; VGPRBlocks: 0
; NumSGPRsForWavesPerEU: 4
; NumVGPRsForWavesPerEU: 1
; AccumOffset: 4
; Occupancy: 8
; WaveLimiterHint : 0
; COMPUTE_PGM_RSRC2:SCRATCH_EN: 0
; COMPUTE_PGM_RSRC2:USER_SGPR: 6
; COMPUTE_PGM_RSRC2:TRAP_HANDLER: 0
; COMPUTE_PGM_RSRC2:TGID_X_EN: 1
; COMPUTE_PGM_RSRC2:TGID_Y_EN: 0
; COMPUTE_PGM_RSRC2:TGID_Z_EN: 0
; COMPUTE_PGM_RSRC2:TIDIG_COMP_CNT: 0
; COMPUTE_PGM_RSRC3_GFX90A:ACCUM_OFFSET: 0
; COMPUTE_PGM_RSRC3_GFX90A:TG_SPLIT: 0
	.section	.text._ZN7rocprim17ROCPRIM_400000_NS6detail17trampoline_kernelINS0_13select_configILj256ELj13ELNS0_17block_load_methodE3ELS4_3ELS4_3ELNS0_20block_scan_algorithmE0ELj4294967295EEENS1_25partition_config_selectorILNS1_17partition_subalgoE3EjNS0_10empty_typeEbEEZZNS1_14partition_implILS8_3ELb0ES6_jNS0_17counting_iteratorIjlEEPS9_SE_NS0_5tupleIJPjSE_EEENSF_IJSE_SE_EEES9_SG_JZNS1_25segmented_radix_sort_implINS0_14default_configELb0EPKiPiPKlPlN2at6native12_GLOBAL__N_18offset_tEEE10hipError_tPvRmT1_PNSt15iterator_traitsISY_E10value_typeET2_T3_PNSZ_IS14_E10value_typeET4_jRbjT5_S1A_jjP12ihipStream_tbEUljE_EEESV_SW_SX_S14_S18_S1A_T6_T7_T9_mT8_S1C_bDpT10_ENKUlT_T0_E_clISt17integral_constantIbLb1EES1O_IbLb0EEEEDaS1K_S1L_EUlS1K_E_NS1_11comp_targetILNS1_3genE9ELNS1_11target_archE1100ELNS1_3gpuE3ELNS1_3repE0EEENS1_30default_config_static_selectorELNS0_4arch9wavefront6targetE1EEEvSY_,"axG",@progbits,_ZN7rocprim17ROCPRIM_400000_NS6detail17trampoline_kernelINS0_13select_configILj256ELj13ELNS0_17block_load_methodE3ELS4_3ELS4_3ELNS0_20block_scan_algorithmE0ELj4294967295EEENS1_25partition_config_selectorILNS1_17partition_subalgoE3EjNS0_10empty_typeEbEEZZNS1_14partition_implILS8_3ELb0ES6_jNS0_17counting_iteratorIjlEEPS9_SE_NS0_5tupleIJPjSE_EEENSF_IJSE_SE_EEES9_SG_JZNS1_25segmented_radix_sort_implINS0_14default_configELb0EPKiPiPKlPlN2at6native12_GLOBAL__N_18offset_tEEE10hipError_tPvRmT1_PNSt15iterator_traitsISY_E10value_typeET2_T3_PNSZ_IS14_E10value_typeET4_jRbjT5_S1A_jjP12ihipStream_tbEUljE_EEESV_SW_SX_S14_S18_S1A_T6_T7_T9_mT8_S1C_bDpT10_ENKUlT_T0_E_clISt17integral_constantIbLb1EES1O_IbLb0EEEEDaS1K_S1L_EUlS1K_E_NS1_11comp_targetILNS1_3genE9ELNS1_11target_archE1100ELNS1_3gpuE3ELNS1_3repE0EEENS1_30default_config_static_selectorELNS0_4arch9wavefront6targetE1EEEvSY_,comdat
	.globl	_ZN7rocprim17ROCPRIM_400000_NS6detail17trampoline_kernelINS0_13select_configILj256ELj13ELNS0_17block_load_methodE3ELS4_3ELS4_3ELNS0_20block_scan_algorithmE0ELj4294967295EEENS1_25partition_config_selectorILNS1_17partition_subalgoE3EjNS0_10empty_typeEbEEZZNS1_14partition_implILS8_3ELb0ES6_jNS0_17counting_iteratorIjlEEPS9_SE_NS0_5tupleIJPjSE_EEENSF_IJSE_SE_EEES9_SG_JZNS1_25segmented_radix_sort_implINS0_14default_configELb0EPKiPiPKlPlN2at6native12_GLOBAL__N_18offset_tEEE10hipError_tPvRmT1_PNSt15iterator_traitsISY_E10value_typeET2_T3_PNSZ_IS14_E10value_typeET4_jRbjT5_S1A_jjP12ihipStream_tbEUljE_EEESV_SW_SX_S14_S18_S1A_T6_T7_T9_mT8_S1C_bDpT10_ENKUlT_T0_E_clISt17integral_constantIbLb1EES1O_IbLb0EEEEDaS1K_S1L_EUlS1K_E_NS1_11comp_targetILNS1_3genE9ELNS1_11target_archE1100ELNS1_3gpuE3ELNS1_3repE0EEENS1_30default_config_static_selectorELNS0_4arch9wavefront6targetE1EEEvSY_ ; -- Begin function _ZN7rocprim17ROCPRIM_400000_NS6detail17trampoline_kernelINS0_13select_configILj256ELj13ELNS0_17block_load_methodE3ELS4_3ELS4_3ELNS0_20block_scan_algorithmE0ELj4294967295EEENS1_25partition_config_selectorILNS1_17partition_subalgoE3EjNS0_10empty_typeEbEEZZNS1_14partition_implILS8_3ELb0ES6_jNS0_17counting_iteratorIjlEEPS9_SE_NS0_5tupleIJPjSE_EEENSF_IJSE_SE_EEES9_SG_JZNS1_25segmented_radix_sort_implINS0_14default_configELb0EPKiPiPKlPlN2at6native12_GLOBAL__N_18offset_tEEE10hipError_tPvRmT1_PNSt15iterator_traitsISY_E10value_typeET2_T3_PNSZ_IS14_E10value_typeET4_jRbjT5_S1A_jjP12ihipStream_tbEUljE_EEESV_SW_SX_S14_S18_S1A_T6_T7_T9_mT8_S1C_bDpT10_ENKUlT_T0_E_clISt17integral_constantIbLb1EES1O_IbLb0EEEEDaS1K_S1L_EUlS1K_E_NS1_11comp_targetILNS1_3genE9ELNS1_11target_archE1100ELNS1_3gpuE3ELNS1_3repE0EEENS1_30default_config_static_selectorELNS0_4arch9wavefront6targetE1EEEvSY_
	.p2align	8
	.type	_ZN7rocprim17ROCPRIM_400000_NS6detail17trampoline_kernelINS0_13select_configILj256ELj13ELNS0_17block_load_methodE3ELS4_3ELS4_3ELNS0_20block_scan_algorithmE0ELj4294967295EEENS1_25partition_config_selectorILNS1_17partition_subalgoE3EjNS0_10empty_typeEbEEZZNS1_14partition_implILS8_3ELb0ES6_jNS0_17counting_iteratorIjlEEPS9_SE_NS0_5tupleIJPjSE_EEENSF_IJSE_SE_EEES9_SG_JZNS1_25segmented_radix_sort_implINS0_14default_configELb0EPKiPiPKlPlN2at6native12_GLOBAL__N_18offset_tEEE10hipError_tPvRmT1_PNSt15iterator_traitsISY_E10value_typeET2_T3_PNSZ_IS14_E10value_typeET4_jRbjT5_S1A_jjP12ihipStream_tbEUljE_EEESV_SW_SX_S14_S18_S1A_T6_T7_T9_mT8_S1C_bDpT10_ENKUlT_T0_E_clISt17integral_constantIbLb1EES1O_IbLb0EEEEDaS1K_S1L_EUlS1K_E_NS1_11comp_targetILNS1_3genE9ELNS1_11target_archE1100ELNS1_3gpuE3ELNS1_3repE0EEENS1_30default_config_static_selectorELNS0_4arch9wavefront6targetE1EEEvSY_,@function
_ZN7rocprim17ROCPRIM_400000_NS6detail17trampoline_kernelINS0_13select_configILj256ELj13ELNS0_17block_load_methodE3ELS4_3ELS4_3ELNS0_20block_scan_algorithmE0ELj4294967295EEENS1_25partition_config_selectorILNS1_17partition_subalgoE3EjNS0_10empty_typeEbEEZZNS1_14partition_implILS8_3ELb0ES6_jNS0_17counting_iteratorIjlEEPS9_SE_NS0_5tupleIJPjSE_EEENSF_IJSE_SE_EEES9_SG_JZNS1_25segmented_radix_sort_implINS0_14default_configELb0EPKiPiPKlPlN2at6native12_GLOBAL__N_18offset_tEEE10hipError_tPvRmT1_PNSt15iterator_traitsISY_E10value_typeET2_T3_PNSZ_IS14_E10value_typeET4_jRbjT5_S1A_jjP12ihipStream_tbEUljE_EEESV_SW_SX_S14_S18_S1A_T6_T7_T9_mT8_S1C_bDpT10_ENKUlT_T0_E_clISt17integral_constantIbLb1EES1O_IbLb0EEEEDaS1K_S1L_EUlS1K_E_NS1_11comp_targetILNS1_3genE9ELNS1_11target_archE1100ELNS1_3gpuE3ELNS1_3repE0EEENS1_30default_config_static_selectorELNS0_4arch9wavefront6targetE1EEEvSY_: ; @_ZN7rocprim17ROCPRIM_400000_NS6detail17trampoline_kernelINS0_13select_configILj256ELj13ELNS0_17block_load_methodE3ELS4_3ELS4_3ELNS0_20block_scan_algorithmE0ELj4294967295EEENS1_25partition_config_selectorILNS1_17partition_subalgoE3EjNS0_10empty_typeEbEEZZNS1_14partition_implILS8_3ELb0ES6_jNS0_17counting_iteratorIjlEEPS9_SE_NS0_5tupleIJPjSE_EEENSF_IJSE_SE_EEES9_SG_JZNS1_25segmented_radix_sort_implINS0_14default_configELb0EPKiPiPKlPlN2at6native12_GLOBAL__N_18offset_tEEE10hipError_tPvRmT1_PNSt15iterator_traitsISY_E10value_typeET2_T3_PNSZ_IS14_E10value_typeET4_jRbjT5_S1A_jjP12ihipStream_tbEUljE_EEESV_SW_SX_S14_S18_S1A_T6_T7_T9_mT8_S1C_bDpT10_ENKUlT_T0_E_clISt17integral_constantIbLb1EES1O_IbLb0EEEEDaS1K_S1L_EUlS1K_E_NS1_11comp_targetILNS1_3genE9ELNS1_11target_archE1100ELNS1_3gpuE3ELNS1_3repE0EEENS1_30default_config_static_selectorELNS0_4arch9wavefront6targetE1EEEvSY_
; %bb.0:
	.section	.rodata,"a",@progbits
	.p2align	6, 0x0
	.amdhsa_kernel _ZN7rocprim17ROCPRIM_400000_NS6detail17trampoline_kernelINS0_13select_configILj256ELj13ELNS0_17block_load_methodE3ELS4_3ELS4_3ELNS0_20block_scan_algorithmE0ELj4294967295EEENS1_25partition_config_selectorILNS1_17partition_subalgoE3EjNS0_10empty_typeEbEEZZNS1_14partition_implILS8_3ELb0ES6_jNS0_17counting_iteratorIjlEEPS9_SE_NS0_5tupleIJPjSE_EEENSF_IJSE_SE_EEES9_SG_JZNS1_25segmented_radix_sort_implINS0_14default_configELb0EPKiPiPKlPlN2at6native12_GLOBAL__N_18offset_tEEE10hipError_tPvRmT1_PNSt15iterator_traitsISY_E10value_typeET2_T3_PNSZ_IS14_E10value_typeET4_jRbjT5_S1A_jjP12ihipStream_tbEUljE_EEESV_SW_SX_S14_S18_S1A_T6_T7_T9_mT8_S1C_bDpT10_ENKUlT_T0_E_clISt17integral_constantIbLb1EES1O_IbLb0EEEEDaS1K_S1L_EUlS1K_E_NS1_11comp_targetILNS1_3genE9ELNS1_11target_archE1100ELNS1_3gpuE3ELNS1_3repE0EEENS1_30default_config_static_selectorELNS0_4arch9wavefront6targetE1EEEvSY_
		.amdhsa_group_segment_fixed_size 0
		.amdhsa_private_segment_fixed_size 0
		.amdhsa_kernarg_size 144
		.amdhsa_user_sgpr_count 6
		.amdhsa_user_sgpr_private_segment_buffer 1
		.amdhsa_user_sgpr_dispatch_ptr 0
		.amdhsa_user_sgpr_queue_ptr 0
		.amdhsa_user_sgpr_kernarg_segment_ptr 1
		.amdhsa_user_sgpr_dispatch_id 0
		.amdhsa_user_sgpr_flat_scratch_init 0
		.amdhsa_user_sgpr_kernarg_preload_length 0
		.amdhsa_user_sgpr_kernarg_preload_offset 0
		.amdhsa_user_sgpr_private_segment_size 0
		.amdhsa_uses_dynamic_stack 0
		.amdhsa_system_sgpr_private_segment_wavefront_offset 0
		.amdhsa_system_sgpr_workgroup_id_x 1
		.amdhsa_system_sgpr_workgroup_id_y 0
		.amdhsa_system_sgpr_workgroup_id_z 0
		.amdhsa_system_sgpr_workgroup_info 0
		.amdhsa_system_vgpr_workitem_id 0
		.amdhsa_next_free_vgpr 1
		.amdhsa_next_free_sgpr 0
		.amdhsa_accum_offset 4
		.amdhsa_reserve_vcc 0
		.amdhsa_reserve_flat_scratch 0
		.amdhsa_float_round_mode_32 0
		.amdhsa_float_round_mode_16_64 0
		.amdhsa_float_denorm_mode_32 3
		.amdhsa_float_denorm_mode_16_64 3
		.amdhsa_dx10_clamp 1
		.amdhsa_ieee_mode 1
		.amdhsa_fp16_overflow 0
		.amdhsa_tg_split 0
		.amdhsa_exception_fp_ieee_invalid_op 0
		.amdhsa_exception_fp_denorm_src 0
		.amdhsa_exception_fp_ieee_div_zero 0
		.amdhsa_exception_fp_ieee_overflow 0
		.amdhsa_exception_fp_ieee_underflow 0
		.amdhsa_exception_fp_ieee_inexact 0
		.amdhsa_exception_int_div_zero 0
	.end_amdhsa_kernel
	.section	.text._ZN7rocprim17ROCPRIM_400000_NS6detail17trampoline_kernelINS0_13select_configILj256ELj13ELNS0_17block_load_methodE3ELS4_3ELS4_3ELNS0_20block_scan_algorithmE0ELj4294967295EEENS1_25partition_config_selectorILNS1_17partition_subalgoE3EjNS0_10empty_typeEbEEZZNS1_14partition_implILS8_3ELb0ES6_jNS0_17counting_iteratorIjlEEPS9_SE_NS0_5tupleIJPjSE_EEENSF_IJSE_SE_EEES9_SG_JZNS1_25segmented_radix_sort_implINS0_14default_configELb0EPKiPiPKlPlN2at6native12_GLOBAL__N_18offset_tEEE10hipError_tPvRmT1_PNSt15iterator_traitsISY_E10value_typeET2_T3_PNSZ_IS14_E10value_typeET4_jRbjT5_S1A_jjP12ihipStream_tbEUljE_EEESV_SW_SX_S14_S18_S1A_T6_T7_T9_mT8_S1C_bDpT10_ENKUlT_T0_E_clISt17integral_constantIbLb1EES1O_IbLb0EEEEDaS1K_S1L_EUlS1K_E_NS1_11comp_targetILNS1_3genE9ELNS1_11target_archE1100ELNS1_3gpuE3ELNS1_3repE0EEENS1_30default_config_static_selectorELNS0_4arch9wavefront6targetE1EEEvSY_,"axG",@progbits,_ZN7rocprim17ROCPRIM_400000_NS6detail17trampoline_kernelINS0_13select_configILj256ELj13ELNS0_17block_load_methodE3ELS4_3ELS4_3ELNS0_20block_scan_algorithmE0ELj4294967295EEENS1_25partition_config_selectorILNS1_17partition_subalgoE3EjNS0_10empty_typeEbEEZZNS1_14partition_implILS8_3ELb0ES6_jNS0_17counting_iteratorIjlEEPS9_SE_NS0_5tupleIJPjSE_EEENSF_IJSE_SE_EEES9_SG_JZNS1_25segmented_radix_sort_implINS0_14default_configELb0EPKiPiPKlPlN2at6native12_GLOBAL__N_18offset_tEEE10hipError_tPvRmT1_PNSt15iterator_traitsISY_E10value_typeET2_T3_PNSZ_IS14_E10value_typeET4_jRbjT5_S1A_jjP12ihipStream_tbEUljE_EEESV_SW_SX_S14_S18_S1A_T6_T7_T9_mT8_S1C_bDpT10_ENKUlT_T0_E_clISt17integral_constantIbLb1EES1O_IbLb0EEEEDaS1K_S1L_EUlS1K_E_NS1_11comp_targetILNS1_3genE9ELNS1_11target_archE1100ELNS1_3gpuE3ELNS1_3repE0EEENS1_30default_config_static_selectorELNS0_4arch9wavefront6targetE1EEEvSY_,comdat
.Lfunc_end590:
	.size	_ZN7rocprim17ROCPRIM_400000_NS6detail17trampoline_kernelINS0_13select_configILj256ELj13ELNS0_17block_load_methodE3ELS4_3ELS4_3ELNS0_20block_scan_algorithmE0ELj4294967295EEENS1_25partition_config_selectorILNS1_17partition_subalgoE3EjNS0_10empty_typeEbEEZZNS1_14partition_implILS8_3ELb0ES6_jNS0_17counting_iteratorIjlEEPS9_SE_NS0_5tupleIJPjSE_EEENSF_IJSE_SE_EEES9_SG_JZNS1_25segmented_radix_sort_implINS0_14default_configELb0EPKiPiPKlPlN2at6native12_GLOBAL__N_18offset_tEEE10hipError_tPvRmT1_PNSt15iterator_traitsISY_E10value_typeET2_T3_PNSZ_IS14_E10value_typeET4_jRbjT5_S1A_jjP12ihipStream_tbEUljE_EEESV_SW_SX_S14_S18_S1A_T6_T7_T9_mT8_S1C_bDpT10_ENKUlT_T0_E_clISt17integral_constantIbLb1EES1O_IbLb0EEEEDaS1K_S1L_EUlS1K_E_NS1_11comp_targetILNS1_3genE9ELNS1_11target_archE1100ELNS1_3gpuE3ELNS1_3repE0EEENS1_30default_config_static_selectorELNS0_4arch9wavefront6targetE1EEEvSY_, .Lfunc_end590-_ZN7rocprim17ROCPRIM_400000_NS6detail17trampoline_kernelINS0_13select_configILj256ELj13ELNS0_17block_load_methodE3ELS4_3ELS4_3ELNS0_20block_scan_algorithmE0ELj4294967295EEENS1_25partition_config_selectorILNS1_17partition_subalgoE3EjNS0_10empty_typeEbEEZZNS1_14partition_implILS8_3ELb0ES6_jNS0_17counting_iteratorIjlEEPS9_SE_NS0_5tupleIJPjSE_EEENSF_IJSE_SE_EEES9_SG_JZNS1_25segmented_radix_sort_implINS0_14default_configELb0EPKiPiPKlPlN2at6native12_GLOBAL__N_18offset_tEEE10hipError_tPvRmT1_PNSt15iterator_traitsISY_E10value_typeET2_T3_PNSZ_IS14_E10value_typeET4_jRbjT5_S1A_jjP12ihipStream_tbEUljE_EEESV_SW_SX_S14_S18_S1A_T6_T7_T9_mT8_S1C_bDpT10_ENKUlT_T0_E_clISt17integral_constantIbLb1EES1O_IbLb0EEEEDaS1K_S1L_EUlS1K_E_NS1_11comp_targetILNS1_3genE9ELNS1_11target_archE1100ELNS1_3gpuE3ELNS1_3repE0EEENS1_30default_config_static_selectorELNS0_4arch9wavefront6targetE1EEEvSY_
                                        ; -- End function
	.section	.AMDGPU.csdata,"",@progbits
; Kernel info:
; codeLenInByte = 0
; NumSgprs: 4
; NumVgprs: 0
; NumAgprs: 0
; TotalNumVgprs: 0
; ScratchSize: 0
; MemoryBound: 0
; FloatMode: 240
; IeeeMode: 1
; LDSByteSize: 0 bytes/workgroup (compile time only)
; SGPRBlocks: 0
; VGPRBlocks: 0
; NumSGPRsForWavesPerEU: 4
; NumVGPRsForWavesPerEU: 1
; AccumOffset: 4
; Occupancy: 8
; WaveLimiterHint : 0
; COMPUTE_PGM_RSRC2:SCRATCH_EN: 0
; COMPUTE_PGM_RSRC2:USER_SGPR: 6
; COMPUTE_PGM_RSRC2:TRAP_HANDLER: 0
; COMPUTE_PGM_RSRC2:TGID_X_EN: 1
; COMPUTE_PGM_RSRC2:TGID_Y_EN: 0
; COMPUTE_PGM_RSRC2:TGID_Z_EN: 0
; COMPUTE_PGM_RSRC2:TIDIG_COMP_CNT: 0
; COMPUTE_PGM_RSRC3_GFX90A:ACCUM_OFFSET: 0
; COMPUTE_PGM_RSRC3_GFX90A:TG_SPLIT: 0
	.section	.text._ZN7rocprim17ROCPRIM_400000_NS6detail17trampoline_kernelINS0_13select_configILj256ELj13ELNS0_17block_load_methodE3ELS4_3ELS4_3ELNS0_20block_scan_algorithmE0ELj4294967295EEENS1_25partition_config_selectorILNS1_17partition_subalgoE3EjNS0_10empty_typeEbEEZZNS1_14partition_implILS8_3ELb0ES6_jNS0_17counting_iteratorIjlEEPS9_SE_NS0_5tupleIJPjSE_EEENSF_IJSE_SE_EEES9_SG_JZNS1_25segmented_radix_sort_implINS0_14default_configELb0EPKiPiPKlPlN2at6native12_GLOBAL__N_18offset_tEEE10hipError_tPvRmT1_PNSt15iterator_traitsISY_E10value_typeET2_T3_PNSZ_IS14_E10value_typeET4_jRbjT5_S1A_jjP12ihipStream_tbEUljE_EEESV_SW_SX_S14_S18_S1A_T6_T7_T9_mT8_S1C_bDpT10_ENKUlT_T0_E_clISt17integral_constantIbLb1EES1O_IbLb0EEEEDaS1K_S1L_EUlS1K_E_NS1_11comp_targetILNS1_3genE8ELNS1_11target_archE1030ELNS1_3gpuE2ELNS1_3repE0EEENS1_30default_config_static_selectorELNS0_4arch9wavefront6targetE1EEEvSY_,"axG",@progbits,_ZN7rocprim17ROCPRIM_400000_NS6detail17trampoline_kernelINS0_13select_configILj256ELj13ELNS0_17block_load_methodE3ELS4_3ELS4_3ELNS0_20block_scan_algorithmE0ELj4294967295EEENS1_25partition_config_selectorILNS1_17partition_subalgoE3EjNS0_10empty_typeEbEEZZNS1_14partition_implILS8_3ELb0ES6_jNS0_17counting_iteratorIjlEEPS9_SE_NS0_5tupleIJPjSE_EEENSF_IJSE_SE_EEES9_SG_JZNS1_25segmented_radix_sort_implINS0_14default_configELb0EPKiPiPKlPlN2at6native12_GLOBAL__N_18offset_tEEE10hipError_tPvRmT1_PNSt15iterator_traitsISY_E10value_typeET2_T3_PNSZ_IS14_E10value_typeET4_jRbjT5_S1A_jjP12ihipStream_tbEUljE_EEESV_SW_SX_S14_S18_S1A_T6_T7_T9_mT8_S1C_bDpT10_ENKUlT_T0_E_clISt17integral_constantIbLb1EES1O_IbLb0EEEEDaS1K_S1L_EUlS1K_E_NS1_11comp_targetILNS1_3genE8ELNS1_11target_archE1030ELNS1_3gpuE2ELNS1_3repE0EEENS1_30default_config_static_selectorELNS0_4arch9wavefront6targetE1EEEvSY_,comdat
	.globl	_ZN7rocprim17ROCPRIM_400000_NS6detail17trampoline_kernelINS0_13select_configILj256ELj13ELNS0_17block_load_methodE3ELS4_3ELS4_3ELNS0_20block_scan_algorithmE0ELj4294967295EEENS1_25partition_config_selectorILNS1_17partition_subalgoE3EjNS0_10empty_typeEbEEZZNS1_14partition_implILS8_3ELb0ES6_jNS0_17counting_iteratorIjlEEPS9_SE_NS0_5tupleIJPjSE_EEENSF_IJSE_SE_EEES9_SG_JZNS1_25segmented_radix_sort_implINS0_14default_configELb0EPKiPiPKlPlN2at6native12_GLOBAL__N_18offset_tEEE10hipError_tPvRmT1_PNSt15iterator_traitsISY_E10value_typeET2_T3_PNSZ_IS14_E10value_typeET4_jRbjT5_S1A_jjP12ihipStream_tbEUljE_EEESV_SW_SX_S14_S18_S1A_T6_T7_T9_mT8_S1C_bDpT10_ENKUlT_T0_E_clISt17integral_constantIbLb1EES1O_IbLb0EEEEDaS1K_S1L_EUlS1K_E_NS1_11comp_targetILNS1_3genE8ELNS1_11target_archE1030ELNS1_3gpuE2ELNS1_3repE0EEENS1_30default_config_static_selectorELNS0_4arch9wavefront6targetE1EEEvSY_ ; -- Begin function _ZN7rocprim17ROCPRIM_400000_NS6detail17trampoline_kernelINS0_13select_configILj256ELj13ELNS0_17block_load_methodE3ELS4_3ELS4_3ELNS0_20block_scan_algorithmE0ELj4294967295EEENS1_25partition_config_selectorILNS1_17partition_subalgoE3EjNS0_10empty_typeEbEEZZNS1_14partition_implILS8_3ELb0ES6_jNS0_17counting_iteratorIjlEEPS9_SE_NS0_5tupleIJPjSE_EEENSF_IJSE_SE_EEES9_SG_JZNS1_25segmented_radix_sort_implINS0_14default_configELb0EPKiPiPKlPlN2at6native12_GLOBAL__N_18offset_tEEE10hipError_tPvRmT1_PNSt15iterator_traitsISY_E10value_typeET2_T3_PNSZ_IS14_E10value_typeET4_jRbjT5_S1A_jjP12ihipStream_tbEUljE_EEESV_SW_SX_S14_S18_S1A_T6_T7_T9_mT8_S1C_bDpT10_ENKUlT_T0_E_clISt17integral_constantIbLb1EES1O_IbLb0EEEEDaS1K_S1L_EUlS1K_E_NS1_11comp_targetILNS1_3genE8ELNS1_11target_archE1030ELNS1_3gpuE2ELNS1_3repE0EEENS1_30default_config_static_selectorELNS0_4arch9wavefront6targetE1EEEvSY_
	.p2align	8
	.type	_ZN7rocprim17ROCPRIM_400000_NS6detail17trampoline_kernelINS0_13select_configILj256ELj13ELNS0_17block_load_methodE3ELS4_3ELS4_3ELNS0_20block_scan_algorithmE0ELj4294967295EEENS1_25partition_config_selectorILNS1_17partition_subalgoE3EjNS0_10empty_typeEbEEZZNS1_14partition_implILS8_3ELb0ES6_jNS0_17counting_iteratorIjlEEPS9_SE_NS0_5tupleIJPjSE_EEENSF_IJSE_SE_EEES9_SG_JZNS1_25segmented_radix_sort_implINS0_14default_configELb0EPKiPiPKlPlN2at6native12_GLOBAL__N_18offset_tEEE10hipError_tPvRmT1_PNSt15iterator_traitsISY_E10value_typeET2_T3_PNSZ_IS14_E10value_typeET4_jRbjT5_S1A_jjP12ihipStream_tbEUljE_EEESV_SW_SX_S14_S18_S1A_T6_T7_T9_mT8_S1C_bDpT10_ENKUlT_T0_E_clISt17integral_constantIbLb1EES1O_IbLb0EEEEDaS1K_S1L_EUlS1K_E_NS1_11comp_targetILNS1_3genE8ELNS1_11target_archE1030ELNS1_3gpuE2ELNS1_3repE0EEENS1_30default_config_static_selectorELNS0_4arch9wavefront6targetE1EEEvSY_,@function
_ZN7rocprim17ROCPRIM_400000_NS6detail17trampoline_kernelINS0_13select_configILj256ELj13ELNS0_17block_load_methodE3ELS4_3ELS4_3ELNS0_20block_scan_algorithmE0ELj4294967295EEENS1_25partition_config_selectorILNS1_17partition_subalgoE3EjNS0_10empty_typeEbEEZZNS1_14partition_implILS8_3ELb0ES6_jNS0_17counting_iteratorIjlEEPS9_SE_NS0_5tupleIJPjSE_EEENSF_IJSE_SE_EEES9_SG_JZNS1_25segmented_radix_sort_implINS0_14default_configELb0EPKiPiPKlPlN2at6native12_GLOBAL__N_18offset_tEEE10hipError_tPvRmT1_PNSt15iterator_traitsISY_E10value_typeET2_T3_PNSZ_IS14_E10value_typeET4_jRbjT5_S1A_jjP12ihipStream_tbEUljE_EEESV_SW_SX_S14_S18_S1A_T6_T7_T9_mT8_S1C_bDpT10_ENKUlT_T0_E_clISt17integral_constantIbLb1EES1O_IbLb0EEEEDaS1K_S1L_EUlS1K_E_NS1_11comp_targetILNS1_3genE8ELNS1_11target_archE1030ELNS1_3gpuE2ELNS1_3repE0EEENS1_30default_config_static_selectorELNS0_4arch9wavefront6targetE1EEEvSY_: ; @_ZN7rocprim17ROCPRIM_400000_NS6detail17trampoline_kernelINS0_13select_configILj256ELj13ELNS0_17block_load_methodE3ELS4_3ELS4_3ELNS0_20block_scan_algorithmE0ELj4294967295EEENS1_25partition_config_selectorILNS1_17partition_subalgoE3EjNS0_10empty_typeEbEEZZNS1_14partition_implILS8_3ELb0ES6_jNS0_17counting_iteratorIjlEEPS9_SE_NS0_5tupleIJPjSE_EEENSF_IJSE_SE_EEES9_SG_JZNS1_25segmented_radix_sort_implINS0_14default_configELb0EPKiPiPKlPlN2at6native12_GLOBAL__N_18offset_tEEE10hipError_tPvRmT1_PNSt15iterator_traitsISY_E10value_typeET2_T3_PNSZ_IS14_E10value_typeET4_jRbjT5_S1A_jjP12ihipStream_tbEUljE_EEESV_SW_SX_S14_S18_S1A_T6_T7_T9_mT8_S1C_bDpT10_ENKUlT_T0_E_clISt17integral_constantIbLb1EES1O_IbLb0EEEEDaS1K_S1L_EUlS1K_E_NS1_11comp_targetILNS1_3genE8ELNS1_11target_archE1030ELNS1_3gpuE2ELNS1_3repE0EEENS1_30default_config_static_selectorELNS0_4arch9wavefront6targetE1EEEvSY_
; %bb.0:
	.section	.rodata,"a",@progbits
	.p2align	6, 0x0
	.amdhsa_kernel _ZN7rocprim17ROCPRIM_400000_NS6detail17trampoline_kernelINS0_13select_configILj256ELj13ELNS0_17block_load_methodE3ELS4_3ELS4_3ELNS0_20block_scan_algorithmE0ELj4294967295EEENS1_25partition_config_selectorILNS1_17partition_subalgoE3EjNS0_10empty_typeEbEEZZNS1_14partition_implILS8_3ELb0ES6_jNS0_17counting_iteratorIjlEEPS9_SE_NS0_5tupleIJPjSE_EEENSF_IJSE_SE_EEES9_SG_JZNS1_25segmented_radix_sort_implINS0_14default_configELb0EPKiPiPKlPlN2at6native12_GLOBAL__N_18offset_tEEE10hipError_tPvRmT1_PNSt15iterator_traitsISY_E10value_typeET2_T3_PNSZ_IS14_E10value_typeET4_jRbjT5_S1A_jjP12ihipStream_tbEUljE_EEESV_SW_SX_S14_S18_S1A_T6_T7_T9_mT8_S1C_bDpT10_ENKUlT_T0_E_clISt17integral_constantIbLb1EES1O_IbLb0EEEEDaS1K_S1L_EUlS1K_E_NS1_11comp_targetILNS1_3genE8ELNS1_11target_archE1030ELNS1_3gpuE2ELNS1_3repE0EEENS1_30default_config_static_selectorELNS0_4arch9wavefront6targetE1EEEvSY_
		.amdhsa_group_segment_fixed_size 0
		.amdhsa_private_segment_fixed_size 0
		.amdhsa_kernarg_size 144
		.amdhsa_user_sgpr_count 6
		.amdhsa_user_sgpr_private_segment_buffer 1
		.amdhsa_user_sgpr_dispatch_ptr 0
		.amdhsa_user_sgpr_queue_ptr 0
		.amdhsa_user_sgpr_kernarg_segment_ptr 1
		.amdhsa_user_sgpr_dispatch_id 0
		.amdhsa_user_sgpr_flat_scratch_init 0
		.amdhsa_user_sgpr_kernarg_preload_length 0
		.amdhsa_user_sgpr_kernarg_preload_offset 0
		.amdhsa_user_sgpr_private_segment_size 0
		.amdhsa_uses_dynamic_stack 0
		.amdhsa_system_sgpr_private_segment_wavefront_offset 0
		.amdhsa_system_sgpr_workgroup_id_x 1
		.amdhsa_system_sgpr_workgroup_id_y 0
		.amdhsa_system_sgpr_workgroup_id_z 0
		.amdhsa_system_sgpr_workgroup_info 0
		.amdhsa_system_vgpr_workitem_id 0
		.amdhsa_next_free_vgpr 1
		.amdhsa_next_free_sgpr 0
		.amdhsa_accum_offset 4
		.amdhsa_reserve_vcc 0
		.amdhsa_reserve_flat_scratch 0
		.amdhsa_float_round_mode_32 0
		.amdhsa_float_round_mode_16_64 0
		.amdhsa_float_denorm_mode_32 3
		.amdhsa_float_denorm_mode_16_64 3
		.amdhsa_dx10_clamp 1
		.amdhsa_ieee_mode 1
		.amdhsa_fp16_overflow 0
		.amdhsa_tg_split 0
		.amdhsa_exception_fp_ieee_invalid_op 0
		.amdhsa_exception_fp_denorm_src 0
		.amdhsa_exception_fp_ieee_div_zero 0
		.amdhsa_exception_fp_ieee_overflow 0
		.amdhsa_exception_fp_ieee_underflow 0
		.amdhsa_exception_fp_ieee_inexact 0
		.amdhsa_exception_int_div_zero 0
	.end_amdhsa_kernel
	.section	.text._ZN7rocprim17ROCPRIM_400000_NS6detail17trampoline_kernelINS0_13select_configILj256ELj13ELNS0_17block_load_methodE3ELS4_3ELS4_3ELNS0_20block_scan_algorithmE0ELj4294967295EEENS1_25partition_config_selectorILNS1_17partition_subalgoE3EjNS0_10empty_typeEbEEZZNS1_14partition_implILS8_3ELb0ES6_jNS0_17counting_iteratorIjlEEPS9_SE_NS0_5tupleIJPjSE_EEENSF_IJSE_SE_EEES9_SG_JZNS1_25segmented_radix_sort_implINS0_14default_configELb0EPKiPiPKlPlN2at6native12_GLOBAL__N_18offset_tEEE10hipError_tPvRmT1_PNSt15iterator_traitsISY_E10value_typeET2_T3_PNSZ_IS14_E10value_typeET4_jRbjT5_S1A_jjP12ihipStream_tbEUljE_EEESV_SW_SX_S14_S18_S1A_T6_T7_T9_mT8_S1C_bDpT10_ENKUlT_T0_E_clISt17integral_constantIbLb1EES1O_IbLb0EEEEDaS1K_S1L_EUlS1K_E_NS1_11comp_targetILNS1_3genE8ELNS1_11target_archE1030ELNS1_3gpuE2ELNS1_3repE0EEENS1_30default_config_static_selectorELNS0_4arch9wavefront6targetE1EEEvSY_,"axG",@progbits,_ZN7rocprim17ROCPRIM_400000_NS6detail17trampoline_kernelINS0_13select_configILj256ELj13ELNS0_17block_load_methodE3ELS4_3ELS4_3ELNS0_20block_scan_algorithmE0ELj4294967295EEENS1_25partition_config_selectorILNS1_17partition_subalgoE3EjNS0_10empty_typeEbEEZZNS1_14partition_implILS8_3ELb0ES6_jNS0_17counting_iteratorIjlEEPS9_SE_NS0_5tupleIJPjSE_EEENSF_IJSE_SE_EEES9_SG_JZNS1_25segmented_radix_sort_implINS0_14default_configELb0EPKiPiPKlPlN2at6native12_GLOBAL__N_18offset_tEEE10hipError_tPvRmT1_PNSt15iterator_traitsISY_E10value_typeET2_T3_PNSZ_IS14_E10value_typeET4_jRbjT5_S1A_jjP12ihipStream_tbEUljE_EEESV_SW_SX_S14_S18_S1A_T6_T7_T9_mT8_S1C_bDpT10_ENKUlT_T0_E_clISt17integral_constantIbLb1EES1O_IbLb0EEEEDaS1K_S1L_EUlS1K_E_NS1_11comp_targetILNS1_3genE8ELNS1_11target_archE1030ELNS1_3gpuE2ELNS1_3repE0EEENS1_30default_config_static_selectorELNS0_4arch9wavefront6targetE1EEEvSY_,comdat
.Lfunc_end591:
	.size	_ZN7rocprim17ROCPRIM_400000_NS6detail17trampoline_kernelINS0_13select_configILj256ELj13ELNS0_17block_load_methodE3ELS4_3ELS4_3ELNS0_20block_scan_algorithmE0ELj4294967295EEENS1_25partition_config_selectorILNS1_17partition_subalgoE3EjNS0_10empty_typeEbEEZZNS1_14partition_implILS8_3ELb0ES6_jNS0_17counting_iteratorIjlEEPS9_SE_NS0_5tupleIJPjSE_EEENSF_IJSE_SE_EEES9_SG_JZNS1_25segmented_radix_sort_implINS0_14default_configELb0EPKiPiPKlPlN2at6native12_GLOBAL__N_18offset_tEEE10hipError_tPvRmT1_PNSt15iterator_traitsISY_E10value_typeET2_T3_PNSZ_IS14_E10value_typeET4_jRbjT5_S1A_jjP12ihipStream_tbEUljE_EEESV_SW_SX_S14_S18_S1A_T6_T7_T9_mT8_S1C_bDpT10_ENKUlT_T0_E_clISt17integral_constantIbLb1EES1O_IbLb0EEEEDaS1K_S1L_EUlS1K_E_NS1_11comp_targetILNS1_3genE8ELNS1_11target_archE1030ELNS1_3gpuE2ELNS1_3repE0EEENS1_30default_config_static_selectorELNS0_4arch9wavefront6targetE1EEEvSY_, .Lfunc_end591-_ZN7rocprim17ROCPRIM_400000_NS6detail17trampoline_kernelINS0_13select_configILj256ELj13ELNS0_17block_load_methodE3ELS4_3ELS4_3ELNS0_20block_scan_algorithmE0ELj4294967295EEENS1_25partition_config_selectorILNS1_17partition_subalgoE3EjNS0_10empty_typeEbEEZZNS1_14partition_implILS8_3ELb0ES6_jNS0_17counting_iteratorIjlEEPS9_SE_NS0_5tupleIJPjSE_EEENSF_IJSE_SE_EEES9_SG_JZNS1_25segmented_radix_sort_implINS0_14default_configELb0EPKiPiPKlPlN2at6native12_GLOBAL__N_18offset_tEEE10hipError_tPvRmT1_PNSt15iterator_traitsISY_E10value_typeET2_T3_PNSZ_IS14_E10value_typeET4_jRbjT5_S1A_jjP12ihipStream_tbEUljE_EEESV_SW_SX_S14_S18_S1A_T6_T7_T9_mT8_S1C_bDpT10_ENKUlT_T0_E_clISt17integral_constantIbLb1EES1O_IbLb0EEEEDaS1K_S1L_EUlS1K_E_NS1_11comp_targetILNS1_3genE8ELNS1_11target_archE1030ELNS1_3gpuE2ELNS1_3repE0EEENS1_30default_config_static_selectorELNS0_4arch9wavefront6targetE1EEEvSY_
                                        ; -- End function
	.section	.AMDGPU.csdata,"",@progbits
; Kernel info:
; codeLenInByte = 0
; NumSgprs: 4
; NumVgprs: 0
; NumAgprs: 0
; TotalNumVgprs: 0
; ScratchSize: 0
; MemoryBound: 0
; FloatMode: 240
; IeeeMode: 1
; LDSByteSize: 0 bytes/workgroup (compile time only)
; SGPRBlocks: 0
; VGPRBlocks: 0
; NumSGPRsForWavesPerEU: 4
; NumVGPRsForWavesPerEU: 1
; AccumOffset: 4
; Occupancy: 8
; WaveLimiterHint : 0
; COMPUTE_PGM_RSRC2:SCRATCH_EN: 0
; COMPUTE_PGM_RSRC2:USER_SGPR: 6
; COMPUTE_PGM_RSRC2:TRAP_HANDLER: 0
; COMPUTE_PGM_RSRC2:TGID_X_EN: 1
; COMPUTE_PGM_RSRC2:TGID_Y_EN: 0
; COMPUTE_PGM_RSRC2:TGID_Z_EN: 0
; COMPUTE_PGM_RSRC2:TIDIG_COMP_CNT: 0
; COMPUTE_PGM_RSRC3_GFX90A:ACCUM_OFFSET: 0
; COMPUTE_PGM_RSRC3_GFX90A:TG_SPLIT: 0
	.section	.text._ZN7rocprim17ROCPRIM_400000_NS6detail17trampoline_kernelINS0_13select_configILj256ELj13ELNS0_17block_load_methodE3ELS4_3ELS4_3ELNS0_20block_scan_algorithmE0ELj4294967295EEENS1_25partition_config_selectorILNS1_17partition_subalgoE3EjNS0_10empty_typeEbEEZZNS1_14partition_implILS8_3ELb0ES6_jNS0_17counting_iteratorIjlEEPS9_SE_NS0_5tupleIJPjSE_EEENSF_IJSE_SE_EEES9_SG_JZNS1_25segmented_radix_sort_implINS0_14default_configELb0EPKiPiPKlPlN2at6native12_GLOBAL__N_18offset_tEEE10hipError_tPvRmT1_PNSt15iterator_traitsISY_E10value_typeET2_T3_PNSZ_IS14_E10value_typeET4_jRbjT5_S1A_jjP12ihipStream_tbEUljE_EEESV_SW_SX_S14_S18_S1A_T6_T7_T9_mT8_S1C_bDpT10_ENKUlT_T0_E_clISt17integral_constantIbLb0EES1O_IbLb1EEEEDaS1K_S1L_EUlS1K_E_NS1_11comp_targetILNS1_3genE0ELNS1_11target_archE4294967295ELNS1_3gpuE0ELNS1_3repE0EEENS1_30default_config_static_selectorELNS0_4arch9wavefront6targetE1EEEvSY_,"axG",@progbits,_ZN7rocprim17ROCPRIM_400000_NS6detail17trampoline_kernelINS0_13select_configILj256ELj13ELNS0_17block_load_methodE3ELS4_3ELS4_3ELNS0_20block_scan_algorithmE0ELj4294967295EEENS1_25partition_config_selectorILNS1_17partition_subalgoE3EjNS0_10empty_typeEbEEZZNS1_14partition_implILS8_3ELb0ES6_jNS0_17counting_iteratorIjlEEPS9_SE_NS0_5tupleIJPjSE_EEENSF_IJSE_SE_EEES9_SG_JZNS1_25segmented_radix_sort_implINS0_14default_configELb0EPKiPiPKlPlN2at6native12_GLOBAL__N_18offset_tEEE10hipError_tPvRmT1_PNSt15iterator_traitsISY_E10value_typeET2_T3_PNSZ_IS14_E10value_typeET4_jRbjT5_S1A_jjP12ihipStream_tbEUljE_EEESV_SW_SX_S14_S18_S1A_T6_T7_T9_mT8_S1C_bDpT10_ENKUlT_T0_E_clISt17integral_constantIbLb0EES1O_IbLb1EEEEDaS1K_S1L_EUlS1K_E_NS1_11comp_targetILNS1_3genE0ELNS1_11target_archE4294967295ELNS1_3gpuE0ELNS1_3repE0EEENS1_30default_config_static_selectorELNS0_4arch9wavefront6targetE1EEEvSY_,comdat
	.globl	_ZN7rocprim17ROCPRIM_400000_NS6detail17trampoline_kernelINS0_13select_configILj256ELj13ELNS0_17block_load_methodE3ELS4_3ELS4_3ELNS0_20block_scan_algorithmE0ELj4294967295EEENS1_25partition_config_selectorILNS1_17partition_subalgoE3EjNS0_10empty_typeEbEEZZNS1_14partition_implILS8_3ELb0ES6_jNS0_17counting_iteratorIjlEEPS9_SE_NS0_5tupleIJPjSE_EEENSF_IJSE_SE_EEES9_SG_JZNS1_25segmented_radix_sort_implINS0_14default_configELb0EPKiPiPKlPlN2at6native12_GLOBAL__N_18offset_tEEE10hipError_tPvRmT1_PNSt15iterator_traitsISY_E10value_typeET2_T3_PNSZ_IS14_E10value_typeET4_jRbjT5_S1A_jjP12ihipStream_tbEUljE_EEESV_SW_SX_S14_S18_S1A_T6_T7_T9_mT8_S1C_bDpT10_ENKUlT_T0_E_clISt17integral_constantIbLb0EES1O_IbLb1EEEEDaS1K_S1L_EUlS1K_E_NS1_11comp_targetILNS1_3genE0ELNS1_11target_archE4294967295ELNS1_3gpuE0ELNS1_3repE0EEENS1_30default_config_static_selectorELNS0_4arch9wavefront6targetE1EEEvSY_ ; -- Begin function _ZN7rocprim17ROCPRIM_400000_NS6detail17trampoline_kernelINS0_13select_configILj256ELj13ELNS0_17block_load_methodE3ELS4_3ELS4_3ELNS0_20block_scan_algorithmE0ELj4294967295EEENS1_25partition_config_selectorILNS1_17partition_subalgoE3EjNS0_10empty_typeEbEEZZNS1_14partition_implILS8_3ELb0ES6_jNS0_17counting_iteratorIjlEEPS9_SE_NS0_5tupleIJPjSE_EEENSF_IJSE_SE_EEES9_SG_JZNS1_25segmented_radix_sort_implINS0_14default_configELb0EPKiPiPKlPlN2at6native12_GLOBAL__N_18offset_tEEE10hipError_tPvRmT1_PNSt15iterator_traitsISY_E10value_typeET2_T3_PNSZ_IS14_E10value_typeET4_jRbjT5_S1A_jjP12ihipStream_tbEUljE_EEESV_SW_SX_S14_S18_S1A_T6_T7_T9_mT8_S1C_bDpT10_ENKUlT_T0_E_clISt17integral_constantIbLb0EES1O_IbLb1EEEEDaS1K_S1L_EUlS1K_E_NS1_11comp_targetILNS1_3genE0ELNS1_11target_archE4294967295ELNS1_3gpuE0ELNS1_3repE0EEENS1_30default_config_static_selectorELNS0_4arch9wavefront6targetE1EEEvSY_
	.p2align	8
	.type	_ZN7rocprim17ROCPRIM_400000_NS6detail17trampoline_kernelINS0_13select_configILj256ELj13ELNS0_17block_load_methodE3ELS4_3ELS4_3ELNS0_20block_scan_algorithmE0ELj4294967295EEENS1_25partition_config_selectorILNS1_17partition_subalgoE3EjNS0_10empty_typeEbEEZZNS1_14partition_implILS8_3ELb0ES6_jNS0_17counting_iteratorIjlEEPS9_SE_NS0_5tupleIJPjSE_EEENSF_IJSE_SE_EEES9_SG_JZNS1_25segmented_radix_sort_implINS0_14default_configELb0EPKiPiPKlPlN2at6native12_GLOBAL__N_18offset_tEEE10hipError_tPvRmT1_PNSt15iterator_traitsISY_E10value_typeET2_T3_PNSZ_IS14_E10value_typeET4_jRbjT5_S1A_jjP12ihipStream_tbEUljE_EEESV_SW_SX_S14_S18_S1A_T6_T7_T9_mT8_S1C_bDpT10_ENKUlT_T0_E_clISt17integral_constantIbLb0EES1O_IbLb1EEEEDaS1K_S1L_EUlS1K_E_NS1_11comp_targetILNS1_3genE0ELNS1_11target_archE4294967295ELNS1_3gpuE0ELNS1_3repE0EEENS1_30default_config_static_selectorELNS0_4arch9wavefront6targetE1EEEvSY_,@function
_ZN7rocprim17ROCPRIM_400000_NS6detail17trampoline_kernelINS0_13select_configILj256ELj13ELNS0_17block_load_methodE3ELS4_3ELS4_3ELNS0_20block_scan_algorithmE0ELj4294967295EEENS1_25partition_config_selectorILNS1_17partition_subalgoE3EjNS0_10empty_typeEbEEZZNS1_14partition_implILS8_3ELb0ES6_jNS0_17counting_iteratorIjlEEPS9_SE_NS0_5tupleIJPjSE_EEENSF_IJSE_SE_EEES9_SG_JZNS1_25segmented_radix_sort_implINS0_14default_configELb0EPKiPiPKlPlN2at6native12_GLOBAL__N_18offset_tEEE10hipError_tPvRmT1_PNSt15iterator_traitsISY_E10value_typeET2_T3_PNSZ_IS14_E10value_typeET4_jRbjT5_S1A_jjP12ihipStream_tbEUljE_EEESV_SW_SX_S14_S18_S1A_T6_T7_T9_mT8_S1C_bDpT10_ENKUlT_T0_E_clISt17integral_constantIbLb0EES1O_IbLb1EEEEDaS1K_S1L_EUlS1K_E_NS1_11comp_targetILNS1_3genE0ELNS1_11target_archE4294967295ELNS1_3gpuE0ELNS1_3repE0EEENS1_30default_config_static_selectorELNS0_4arch9wavefront6targetE1EEEvSY_: ; @_ZN7rocprim17ROCPRIM_400000_NS6detail17trampoline_kernelINS0_13select_configILj256ELj13ELNS0_17block_load_methodE3ELS4_3ELS4_3ELNS0_20block_scan_algorithmE0ELj4294967295EEENS1_25partition_config_selectorILNS1_17partition_subalgoE3EjNS0_10empty_typeEbEEZZNS1_14partition_implILS8_3ELb0ES6_jNS0_17counting_iteratorIjlEEPS9_SE_NS0_5tupleIJPjSE_EEENSF_IJSE_SE_EEES9_SG_JZNS1_25segmented_radix_sort_implINS0_14default_configELb0EPKiPiPKlPlN2at6native12_GLOBAL__N_18offset_tEEE10hipError_tPvRmT1_PNSt15iterator_traitsISY_E10value_typeET2_T3_PNSZ_IS14_E10value_typeET4_jRbjT5_S1A_jjP12ihipStream_tbEUljE_EEESV_SW_SX_S14_S18_S1A_T6_T7_T9_mT8_S1C_bDpT10_ENKUlT_T0_E_clISt17integral_constantIbLb0EES1O_IbLb1EEEEDaS1K_S1L_EUlS1K_E_NS1_11comp_targetILNS1_3genE0ELNS1_11target_archE4294967295ELNS1_3gpuE0ELNS1_3repE0EEENS1_30default_config_static_selectorELNS0_4arch9wavefront6targetE1EEEvSY_
; %bb.0:
	.section	.rodata,"a",@progbits
	.p2align	6, 0x0
	.amdhsa_kernel _ZN7rocprim17ROCPRIM_400000_NS6detail17trampoline_kernelINS0_13select_configILj256ELj13ELNS0_17block_load_methodE3ELS4_3ELS4_3ELNS0_20block_scan_algorithmE0ELj4294967295EEENS1_25partition_config_selectorILNS1_17partition_subalgoE3EjNS0_10empty_typeEbEEZZNS1_14partition_implILS8_3ELb0ES6_jNS0_17counting_iteratorIjlEEPS9_SE_NS0_5tupleIJPjSE_EEENSF_IJSE_SE_EEES9_SG_JZNS1_25segmented_radix_sort_implINS0_14default_configELb0EPKiPiPKlPlN2at6native12_GLOBAL__N_18offset_tEEE10hipError_tPvRmT1_PNSt15iterator_traitsISY_E10value_typeET2_T3_PNSZ_IS14_E10value_typeET4_jRbjT5_S1A_jjP12ihipStream_tbEUljE_EEESV_SW_SX_S14_S18_S1A_T6_T7_T9_mT8_S1C_bDpT10_ENKUlT_T0_E_clISt17integral_constantIbLb0EES1O_IbLb1EEEEDaS1K_S1L_EUlS1K_E_NS1_11comp_targetILNS1_3genE0ELNS1_11target_archE4294967295ELNS1_3gpuE0ELNS1_3repE0EEENS1_30default_config_static_selectorELNS0_4arch9wavefront6targetE1EEEvSY_
		.amdhsa_group_segment_fixed_size 0
		.amdhsa_private_segment_fixed_size 0
		.amdhsa_kernarg_size 152
		.amdhsa_user_sgpr_count 6
		.amdhsa_user_sgpr_private_segment_buffer 1
		.amdhsa_user_sgpr_dispatch_ptr 0
		.amdhsa_user_sgpr_queue_ptr 0
		.amdhsa_user_sgpr_kernarg_segment_ptr 1
		.amdhsa_user_sgpr_dispatch_id 0
		.amdhsa_user_sgpr_flat_scratch_init 0
		.amdhsa_user_sgpr_kernarg_preload_length 0
		.amdhsa_user_sgpr_kernarg_preload_offset 0
		.amdhsa_user_sgpr_private_segment_size 0
		.amdhsa_uses_dynamic_stack 0
		.amdhsa_system_sgpr_private_segment_wavefront_offset 0
		.amdhsa_system_sgpr_workgroup_id_x 1
		.amdhsa_system_sgpr_workgroup_id_y 0
		.amdhsa_system_sgpr_workgroup_id_z 0
		.amdhsa_system_sgpr_workgroup_info 0
		.amdhsa_system_vgpr_workitem_id 0
		.amdhsa_next_free_vgpr 1
		.amdhsa_next_free_sgpr 0
		.amdhsa_accum_offset 4
		.amdhsa_reserve_vcc 0
		.amdhsa_reserve_flat_scratch 0
		.amdhsa_float_round_mode_32 0
		.amdhsa_float_round_mode_16_64 0
		.amdhsa_float_denorm_mode_32 3
		.amdhsa_float_denorm_mode_16_64 3
		.amdhsa_dx10_clamp 1
		.amdhsa_ieee_mode 1
		.amdhsa_fp16_overflow 0
		.amdhsa_tg_split 0
		.amdhsa_exception_fp_ieee_invalid_op 0
		.amdhsa_exception_fp_denorm_src 0
		.amdhsa_exception_fp_ieee_div_zero 0
		.amdhsa_exception_fp_ieee_overflow 0
		.amdhsa_exception_fp_ieee_underflow 0
		.amdhsa_exception_fp_ieee_inexact 0
		.amdhsa_exception_int_div_zero 0
	.end_amdhsa_kernel
	.section	.text._ZN7rocprim17ROCPRIM_400000_NS6detail17trampoline_kernelINS0_13select_configILj256ELj13ELNS0_17block_load_methodE3ELS4_3ELS4_3ELNS0_20block_scan_algorithmE0ELj4294967295EEENS1_25partition_config_selectorILNS1_17partition_subalgoE3EjNS0_10empty_typeEbEEZZNS1_14partition_implILS8_3ELb0ES6_jNS0_17counting_iteratorIjlEEPS9_SE_NS0_5tupleIJPjSE_EEENSF_IJSE_SE_EEES9_SG_JZNS1_25segmented_radix_sort_implINS0_14default_configELb0EPKiPiPKlPlN2at6native12_GLOBAL__N_18offset_tEEE10hipError_tPvRmT1_PNSt15iterator_traitsISY_E10value_typeET2_T3_PNSZ_IS14_E10value_typeET4_jRbjT5_S1A_jjP12ihipStream_tbEUljE_EEESV_SW_SX_S14_S18_S1A_T6_T7_T9_mT8_S1C_bDpT10_ENKUlT_T0_E_clISt17integral_constantIbLb0EES1O_IbLb1EEEEDaS1K_S1L_EUlS1K_E_NS1_11comp_targetILNS1_3genE0ELNS1_11target_archE4294967295ELNS1_3gpuE0ELNS1_3repE0EEENS1_30default_config_static_selectorELNS0_4arch9wavefront6targetE1EEEvSY_,"axG",@progbits,_ZN7rocprim17ROCPRIM_400000_NS6detail17trampoline_kernelINS0_13select_configILj256ELj13ELNS0_17block_load_methodE3ELS4_3ELS4_3ELNS0_20block_scan_algorithmE0ELj4294967295EEENS1_25partition_config_selectorILNS1_17partition_subalgoE3EjNS0_10empty_typeEbEEZZNS1_14partition_implILS8_3ELb0ES6_jNS0_17counting_iteratorIjlEEPS9_SE_NS0_5tupleIJPjSE_EEENSF_IJSE_SE_EEES9_SG_JZNS1_25segmented_radix_sort_implINS0_14default_configELb0EPKiPiPKlPlN2at6native12_GLOBAL__N_18offset_tEEE10hipError_tPvRmT1_PNSt15iterator_traitsISY_E10value_typeET2_T3_PNSZ_IS14_E10value_typeET4_jRbjT5_S1A_jjP12ihipStream_tbEUljE_EEESV_SW_SX_S14_S18_S1A_T6_T7_T9_mT8_S1C_bDpT10_ENKUlT_T0_E_clISt17integral_constantIbLb0EES1O_IbLb1EEEEDaS1K_S1L_EUlS1K_E_NS1_11comp_targetILNS1_3genE0ELNS1_11target_archE4294967295ELNS1_3gpuE0ELNS1_3repE0EEENS1_30default_config_static_selectorELNS0_4arch9wavefront6targetE1EEEvSY_,comdat
.Lfunc_end592:
	.size	_ZN7rocprim17ROCPRIM_400000_NS6detail17trampoline_kernelINS0_13select_configILj256ELj13ELNS0_17block_load_methodE3ELS4_3ELS4_3ELNS0_20block_scan_algorithmE0ELj4294967295EEENS1_25partition_config_selectorILNS1_17partition_subalgoE3EjNS0_10empty_typeEbEEZZNS1_14partition_implILS8_3ELb0ES6_jNS0_17counting_iteratorIjlEEPS9_SE_NS0_5tupleIJPjSE_EEENSF_IJSE_SE_EEES9_SG_JZNS1_25segmented_radix_sort_implINS0_14default_configELb0EPKiPiPKlPlN2at6native12_GLOBAL__N_18offset_tEEE10hipError_tPvRmT1_PNSt15iterator_traitsISY_E10value_typeET2_T3_PNSZ_IS14_E10value_typeET4_jRbjT5_S1A_jjP12ihipStream_tbEUljE_EEESV_SW_SX_S14_S18_S1A_T6_T7_T9_mT8_S1C_bDpT10_ENKUlT_T0_E_clISt17integral_constantIbLb0EES1O_IbLb1EEEEDaS1K_S1L_EUlS1K_E_NS1_11comp_targetILNS1_3genE0ELNS1_11target_archE4294967295ELNS1_3gpuE0ELNS1_3repE0EEENS1_30default_config_static_selectorELNS0_4arch9wavefront6targetE1EEEvSY_, .Lfunc_end592-_ZN7rocprim17ROCPRIM_400000_NS6detail17trampoline_kernelINS0_13select_configILj256ELj13ELNS0_17block_load_methodE3ELS4_3ELS4_3ELNS0_20block_scan_algorithmE0ELj4294967295EEENS1_25partition_config_selectorILNS1_17partition_subalgoE3EjNS0_10empty_typeEbEEZZNS1_14partition_implILS8_3ELb0ES6_jNS0_17counting_iteratorIjlEEPS9_SE_NS0_5tupleIJPjSE_EEENSF_IJSE_SE_EEES9_SG_JZNS1_25segmented_radix_sort_implINS0_14default_configELb0EPKiPiPKlPlN2at6native12_GLOBAL__N_18offset_tEEE10hipError_tPvRmT1_PNSt15iterator_traitsISY_E10value_typeET2_T3_PNSZ_IS14_E10value_typeET4_jRbjT5_S1A_jjP12ihipStream_tbEUljE_EEESV_SW_SX_S14_S18_S1A_T6_T7_T9_mT8_S1C_bDpT10_ENKUlT_T0_E_clISt17integral_constantIbLb0EES1O_IbLb1EEEEDaS1K_S1L_EUlS1K_E_NS1_11comp_targetILNS1_3genE0ELNS1_11target_archE4294967295ELNS1_3gpuE0ELNS1_3repE0EEENS1_30default_config_static_selectorELNS0_4arch9wavefront6targetE1EEEvSY_
                                        ; -- End function
	.section	.AMDGPU.csdata,"",@progbits
; Kernel info:
; codeLenInByte = 0
; NumSgprs: 4
; NumVgprs: 0
; NumAgprs: 0
; TotalNumVgprs: 0
; ScratchSize: 0
; MemoryBound: 0
; FloatMode: 240
; IeeeMode: 1
; LDSByteSize: 0 bytes/workgroup (compile time only)
; SGPRBlocks: 0
; VGPRBlocks: 0
; NumSGPRsForWavesPerEU: 4
; NumVGPRsForWavesPerEU: 1
; AccumOffset: 4
; Occupancy: 8
; WaveLimiterHint : 0
; COMPUTE_PGM_RSRC2:SCRATCH_EN: 0
; COMPUTE_PGM_RSRC2:USER_SGPR: 6
; COMPUTE_PGM_RSRC2:TRAP_HANDLER: 0
; COMPUTE_PGM_RSRC2:TGID_X_EN: 1
; COMPUTE_PGM_RSRC2:TGID_Y_EN: 0
; COMPUTE_PGM_RSRC2:TGID_Z_EN: 0
; COMPUTE_PGM_RSRC2:TIDIG_COMP_CNT: 0
; COMPUTE_PGM_RSRC3_GFX90A:ACCUM_OFFSET: 0
; COMPUTE_PGM_RSRC3_GFX90A:TG_SPLIT: 0
	.section	.text._ZN7rocprim17ROCPRIM_400000_NS6detail17trampoline_kernelINS0_13select_configILj256ELj13ELNS0_17block_load_methodE3ELS4_3ELS4_3ELNS0_20block_scan_algorithmE0ELj4294967295EEENS1_25partition_config_selectorILNS1_17partition_subalgoE3EjNS0_10empty_typeEbEEZZNS1_14partition_implILS8_3ELb0ES6_jNS0_17counting_iteratorIjlEEPS9_SE_NS0_5tupleIJPjSE_EEENSF_IJSE_SE_EEES9_SG_JZNS1_25segmented_radix_sort_implINS0_14default_configELb0EPKiPiPKlPlN2at6native12_GLOBAL__N_18offset_tEEE10hipError_tPvRmT1_PNSt15iterator_traitsISY_E10value_typeET2_T3_PNSZ_IS14_E10value_typeET4_jRbjT5_S1A_jjP12ihipStream_tbEUljE_EEESV_SW_SX_S14_S18_S1A_T6_T7_T9_mT8_S1C_bDpT10_ENKUlT_T0_E_clISt17integral_constantIbLb0EES1O_IbLb1EEEEDaS1K_S1L_EUlS1K_E_NS1_11comp_targetILNS1_3genE5ELNS1_11target_archE942ELNS1_3gpuE9ELNS1_3repE0EEENS1_30default_config_static_selectorELNS0_4arch9wavefront6targetE1EEEvSY_,"axG",@progbits,_ZN7rocprim17ROCPRIM_400000_NS6detail17trampoline_kernelINS0_13select_configILj256ELj13ELNS0_17block_load_methodE3ELS4_3ELS4_3ELNS0_20block_scan_algorithmE0ELj4294967295EEENS1_25partition_config_selectorILNS1_17partition_subalgoE3EjNS0_10empty_typeEbEEZZNS1_14partition_implILS8_3ELb0ES6_jNS0_17counting_iteratorIjlEEPS9_SE_NS0_5tupleIJPjSE_EEENSF_IJSE_SE_EEES9_SG_JZNS1_25segmented_radix_sort_implINS0_14default_configELb0EPKiPiPKlPlN2at6native12_GLOBAL__N_18offset_tEEE10hipError_tPvRmT1_PNSt15iterator_traitsISY_E10value_typeET2_T3_PNSZ_IS14_E10value_typeET4_jRbjT5_S1A_jjP12ihipStream_tbEUljE_EEESV_SW_SX_S14_S18_S1A_T6_T7_T9_mT8_S1C_bDpT10_ENKUlT_T0_E_clISt17integral_constantIbLb0EES1O_IbLb1EEEEDaS1K_S1L_EUlS1K_E_NS1_11comp_targetILNS1_3genE5ELNS1_11target_archE942ELNS1_3gpuE9ELNS1_3repE0EEENS1_30default_config_static_selectorELNS0_4arch9wavefront6targetE1EEEvSY_,comdat
	.globl	_ZN7rocprim17ROCPRIM_400000_NS6detail17trampoline_kernelINS0_13select_configILj256ELj13ELNS0_17block_load_methodE3ELS4_3ELS4_3ELNS0_20block_scan_algorithmE0ELj4294967295EEENS1_25partition_config_selectorILNS1_17partition_subalgoE3EjNS0_10empty_typeEbEEZZNS1_14partition_implILS8_3ELb0ES6_jNS0_17counting_iteratorIjlEEPS9_SE_NS0_5tupleIJPjSE_EEENSF_IJSE_SE_EEES9_SG_JZNS1_25segmented_radix_sort_implINS0_14default_configELb0EPKiPiPKlPlN2at6native12_GLOBAL__N_18offset_tEEE10hipError_tPvRmT1_PNSt15iterator_traitsISY_E10value_typeET2_T3_PNSZ_IS14_E10value_typeET4_jRbjT5_S1A_jjP12ihipStream_tbEUljE_EEESV_SW_SX_S14_S18_S1A_T6_T7_T9_mT8_S1C_bDpT10_ENKUlT_T0_E_clISt17integral_constantIbLb0EES1O_IbLb1EEEEDaS1K_S1L_EUlS1K_E_NS1_11comp_targetILNS1_3genE5ELNS1_11target_archE942ELNS1_3gpuE9ELNS1_3repE0EEENS1_30default_config_static_selectorELNS0_4arch9wavefront6targetE1EEEvSY_ ; -- Begin function _ZN7rocprim17ROCPRIM_400000_NS6detail17trampoline_kernelINS0_13select_configILj256ELj13ELNS0_17block_load_methodE3ELS4_3ELS4_3ELNS0_20block_scan_algorithmE0ELj4294967295EEENS1_25partition_config_selectorILNS1_17partition_subalgoE3EjNS0_10empty_typeEbEEZZNS1_14partition_implILS8_3ELb0ES6_jNS0_17counting_iteratorIjlEEPS9_SE_NS0_5tupleIJPjSE_EEENSF_IJSE_SE_EEES9_SG_JZNS1_25segmented_radix_sort_implINS0_14default_configELb0EPKiPiPKlPlN2at6native12_GLOBAL__N_18offset_tEEE10hipError_tPvRmT1_PNSt15iterator_traitsISY_E10value_typeET2_T3_PNSZ_IS14_E10value_typeET4_jRbjT5_S1A_jjP12ihipStream_tbEUljE_EEESV_SW_SX_S14_S18_S1A_T6_T7_T9_mT8_S1C_bDpT10_ENKUlT_T0_E_clISt17integral_constantIbLb0EES1O_IbLb1EEEEDaS1K_S1L_EUlS1K_E_NS1_11comp_targetILNS1_3genE5ELNS1_11target_archE942ELNS1_3gpuE9ELNS1_3repE0EEENS1_30default_config_static_selectorELNS0_4arch9wavefront6targetE1EEEvSY_
	.p2align	8
	.type	_ZN7rocprim17ROCPRIM_400000_NS6detail17trampoline_kernelINS0_13select_configILj256ELj13ELNS0_17block_load_methodE3ELS4_3ELS4_3ELNS0_20block_scan_algorithmE0ELj4294967295EEENS1_25partition_config_selectorILNS1_17partition_subalgoE3EjNS0_10empty_typeEbEEZZNS1_14partition_implILS8_3ELb0ES6_jNS0_17counting_iteratorIjlEEPS9_SE_NS0_5tupleIJPjSE_EEENSF_IJSE_SE_EEES9_SG_JZNS1_25segmented_radix_sort_implINS0_14default_configELb0EPKiPiPKlPlN2at6native12_GLOBAL__N_18offset_tEEE10hipError_tPvRmT1_PNSt15iterator_traitsISY_E10value_typeET2_T3_PNSZ_IS14_E10value_typeET4_jRbjT5_S1A_jjP12ihipStream_tbEUljE_EEESV_SW_SX_S14_S18_S1A_T6_T7_T9_mT8_S1C_bDpT10_ENKUlT_T0_E_clISt17integral_constantIbLb0EES1O_IbLb1EEEEDaS1K_S1L_EUlS1K_E_NS1_11comp_targetILNS1_3genE5ELNS1_11target_archE942ELNS1_3gpuE9ELNS1_3repE0EEENS1_30default_config_static_selectorELNS0_4arch9wavefront6targetE1EEEvSY_,@function
_ZN7rocprim17ROCPRIM_400000_NS6detail17trampoline_kernelINS0_13select_configILj256ELj13ELNS0_17block_load_methodE3ELS4_3ELS4_3ELNS0_20block_scan_algorithmE0ELj4294967295EEENS1_25partition_config_selectorILNS1_17partition_subalgoE3EjNS0_10empty_typeEbEEZZNS1_14partition_implILS8_3ELb0ES6_jNS0_17counting_iteratorIjlEEPS9_SE_NS0_5tupleIJPjSE_EEENSF_IJSE_SE_EEES9_SG_JZNS1_25segmented_radix_sort_implINS0_14default_configELb0EPKiPiPKlPlN2at6native12_GLOBAL__N_18offset_tEEE10hipError_tPvRmT1_PNSt15iterator_traitsISY_E10value_typeET2_T3_PNSZ_IS14_E10value_typeET4_jRbjT5_S1A_jjP12ihipStream_tbEUljE_EEESV_SW_SX_S14_S18_S1A_T6_T7_T9_mT8_S1C_bDpT10_ENKUlT_T0_E_clISt17integral_constantIbLb0EES1O_IbLb1EEEEDaS1K_S1L_EUlS1K_E_NS1_11comp_targetILNS1_3genE5ELNS1_11target_archE942ELNS1_3gpuE9ELNS1_3repE0EEENS1_30default_config_static_selectorELNS0_4arch9wavefront6targetE1EEEvSY_: ; @_ZN7rocprim17ROCPRIM_400000_NS6detail17trampoline_kernelINS0_13select_configILj256ELj13ELNS0_17block_load_methodE3ELS4_3ELS4_3ELNS0_20block_scan_algorithmE0ELj4294967295EEENS1_25partition_config_selectorILNS1_17partition_subalgoE3EjNS0_10empty_typeEbEEZZNS1_14partition_implILS8_3ELb0ES6_jNS0_17counting_iteratorIjlEEPS9_SE_NS0_5tupleIJPjSE_EEENSF_IJSE_SE_EEES9_SG_JZNS1_25segmented_radix_sort_implINS0_14default_configELb0EPKiPiPKlPlN2at6native12_GLOBAL__N_18offset_tEEE10hipError_tPvRmT1_PNSt15iterator_traitsISY_E10value_typeET2_T3_PNSZ_IS14_E10value_typeET4_jRbjT5_S1A_jjP12ihipStream_tbEUljE_EEESV_SW_SX_S14_S18_S1A_T6_T7_T9_mT8_S1C_bDpT10_ENKUlT_T0_E_clISt17integral_constantIbLb0EES1O_IbLb1EEEEDaS1K_S1L_EUlS1K_E_NS1_11comp_targetILNS1_3genE5ELNS1_11target_archE942ELNS1_3gpuE9ELNS1_3repE0EEENS1_30default_config_static_selectorELNS0_4arch9wavefront6targetE1EEEvSY_
; %bb.0:
	.section	.rodata,"a",@progbits
	.p2align	6, 0x0
	.amdhsa_kernel _ZN7rocprim17ROCPRIM_400000_NS6detail17trampoline_kernelINS0_13select_configILj256ELj13ELNS0_17block_load_methodE3ELS4_3ELS4_3ELNS0_20block_scan_algorithmE0ELj4294967295EEENS1_25partition_config_selectorILNS1_17partition_subalgoE3EjNS0_10empty_typeEbEEZZNS1_14partition_implILS8_3ELb0ES6_jNS0_17counting_iteratorIjlEEPS9_SE_NS0_5tupleIJPjSE_EEENSF_IJSE_SE_EEES9_SG_JZNS1_25segmented_radix_sort_implINS0_14default_configELb0EPKiPiPKlPlN2at6native12_GLOBAL__N_18offset_tEEE10hipError_tPvRmT1_PNSt15iterator_traitsISY_E10value_typeET2_T3_PNSZ_IS14_E10value_typeET4_jRbjT5_S1A_jjP12ihipStream_tbEUljE_EEESV_SW_SX_S14_S18_S1A_T6_T7_T9_mT8_S1C_bDpT10_ENKUlT_T0_E_clISt17integral_constantIbLb0EES1O_IbLb1EEEEDaS1K_S1L_EUlS1K_E_NS1_11comp_targetILNS1_3genE5ELNS1_11target_archE942ELNS1_3gpuE9ELNS1_3repE0EEENS1_30default_config_static_selectorELNS0_4arch9wavefront6targetE1EEEvSY_
		.amdhsa_group_segment_fixed_size 0
		.amdhsa_private_segment_fixed_size 0
		.amdhsa_kernarg_size 152
		.amdhsa_user_sgpr_count 6
		.amdhsa_user_sgpr_private_segment_buffer 1
		.amdhsa_user_sgpr_dispatch_ptr 0
		.amdhsa_user_sgpr_queue_ptr 0
		.amdhsa_user_sgpr_kernarg_segment_ptr 1
		.amdhsa_user_sgpr_dispatch_id 0
		.amdhsa_user_sgpr_flat_scratch_init 0
		.amdhsa_user_sgpr_kernarg_preload_length 0
		.amdhsa_user_sgpr_kernarg_preload_offset 0
		.amdhsa_user_sgpr_private_segment_size 0
		.amdhsa_uses_dynamic_stack 0
		.amdhsa_system_sgpr_private_segment_wavefront_offset 0
		.amdhsa_system_sgpr_workgroup_id_x 1
		.amdhsa_system_sgpr_workgroup_id_y 0
		.amdhsa_system_sgpr_workgroup_id_z 0
		.amdhsa_system_sgpr_workgroup_info 0
		.amdhsa_system_vgpr_workitem_id 0
		.amdhsa_next_free_vgpr 1
		.amdhsa_next_free_sgpr 0
		.amdhsa_accum_offset 4
		.amdhsa_reserve_vcc 0
		.amdhsa_reserve_flat_scratch 0
		.amdhsa_float_round_mode_32 0
		.amdhsa_float_round_mode_16_64 0
		.amdhsa_float_denorm_mode_32 3
		.amdhsa_float_denorm_mode_16_64 3
		.amdhsa_dx10_clamp 1
		.amdhsa_ieee_mode 1
		.amdhsa_fp16_overflow 0
		.amdhsa_tg_split 0
		.amdhsa_exception_fp_ieee_invalid_op 0
		.amdhsa_exception_fp_denorm_src 0
		.amdhsa_exception_fp_ieee_div_zero 0
		.amdhsa_exception_fp_ieee_overflow 0
		.amdhsa_exception_fp_ieee_underflow 0
		.amdhsa_exception_fp_ieee_inexact 0
		.amdhsa_exception_int_div_zero 0
	.end_amdhsa_kernel
	.section	.text._ZN7rocprim17ROCPRIM_400000_NS6detail17trampoline_kernelINS0_13select_configILj256ELj13ELNS0_17block_load_methodE3ELS4_3ELS4_3ELNS0_20block_scan_algorithmE0ELj4294967295EEENS1_25partition_config_selectorILNS1_17partition_subalgoE3EjNS0_10empty_typeEbEEZZNS1_14partition_implILS8_3ELb0ES6_jNS0_17counting_iteratorIjlEEPS9_SE_NS0_5tupleIJPjSE_EEENSF_IJSE_SE_EEES9_SG_JZNS1_25segmented_radix_sort_implINS0_14default_configELb0EPKiPiPKlPlN2at6native12_GLOBAL__N_18offset_tEEE10hipError_tPvRmT1_PNSt15iterator_traitsISY_E10value_typeET2_T3_PNSZ_IS14_E10value_typeET4_jRbjT5_S1A_jjP12ihipStream_tbEUljE_EEESV_SW_SX_S14_S18_S1A_T6_T7_T9_mT8_S1C_bDpT10_ENKUlT_T0_E_clISt17integral_constantIbLb0EES1O_IbLb1EEEEDaS1K_S1L_EUlS1K_E_NS1_11comp_targetILNS1_3genE5ELNS1_11target_archE942ELNS1_3gpuE9ELNS1_3repE0EEENS1_30default_config_static_selectorELNS0_4arch9wavefront6targetE1EEEvSY_,"axG",@progbits,_ZN7rocprim17ROCPRIM_400000_NS6detail17trampoline_kernelINS0_13select_configILj256ELj13ELNS0_17block_load_methodE3ELS4_3ELS4_3ELNS0_20block_scan_algorithmE0ELj4294967295EEENS1_25partition_config_selectorILNS1_17partition_subalgoE3EjNS0_10empty_typeEbEEZZNS1_14partition_implILS8_3ELb0ES6_jNS0_17counting_iteratorIjlEEPS9_SE_NS0_5tupleIJPjSE_EEENSF_IJSE_SE_EEES9_SG_JZNS1_25segmented_radix_sort_implINS0_14default_configELb0EPKiPiPKlPlN2at6native12_GLOBAL__N_18offset_tEEE10hipError_tPvRmT1_PNSt15iterator_traitsISY_E10value_typeET2_T3_PNSZ_IS14_E10value_typeET4_jRbjT5_S1A_jjP12ihipStream_tbEUljE_EEESV_SW_SX_S14_S18_S1A_T6_T7_T9_mT8_S1C_bDpT10_ENKUlT_T0_E_clISt17integral_constantIbLb0EES1O_IbLb1EEEEDaS1K_S1L_EUlS1K_E_NS1_11comp_targetILNS1_3genE5ELNS1_11target_archE942ELNS1_3gpuE9ELNS1_3repE0EEENS1_30default_config_static_selectorELNS0_4arch9wavefront6targetE1EEEvSY_,comdat
.Lfunc_end593:
	.size	_ZN7rocprim17ROCPRIM_400000_NS6detail17trampoline_kernelINS0_13select_configILj256ELj13ELNS0_17block_load_methodE3ELS4_3ELS4_3ELNS0_20block_scan_algorithmE0ELj4294967295EEENS1_25partition_config_selectorILNS1_17partition_subalgoE3EjNS0_10empty_typeEbEEZZNS1_14partition_implILS8_3ELb0ES6_jNS0_17counting_iteratorIjlEEPS9_SE_NS0_5tupleIJPjSE_EEENSF_IJSE_SE_EEES9_SG_JZNS1_25segmented_radix_sort_implINS0_14default_configELb0EPKiPiPKlPlN2at6native12_GLOBAL__N_18offset_tEEE10hipError_tPvRmT1_PNSt15iterator_traitsISY_E10value_typeET2_T3_PNSZ_IS14_E10value_typeET4_jRbjT5_S1A_jjP12ihipStream_tbEUljE_EEESV_SW_SX_S14_S18_S1A_T6_T7_T9_mT8_S1C_bDpT10_ENKUlT_T0_E_clISt17integral_constantIbLb0EES1O_IbLb1EEEEDaS1K_S1L_EUlS1K_E_NS1_11comp_targetILNS1_3genE5ELNS1_11target_archE942ELNS1_3gpuE9ELNS1_3repE0EEENS1_30default_config_static_selectorELNS0_4arch9wavefront6targetE1EEEvSY_, .Lfunc_end593-_ZN7rocprim17ROCPRIM_400000_NS6detail17trampoline_kernelINS0_13select_configILj256ELj13ELNS0_17block_load_methodE3ELS4_3ELS4_3ELNS0_20block_scan_algorithmE0ELj4294967295EEENS1_25partition_config_selectorILNS1_17partition_subalgoE3EjNS0_10empty_typeEbEEZZNS1_14partition_implILS8_3ELb0ES6_jNS0_17counting_iteratorIjlEEPS9_SE_NS0_5tupleIJPjSE_EEENSF_IJSE_SE_EEES9_SG_JZNS1_25segmented_radix_sort_implINS0_14default_configELb0EPKiPiPKlPlN2at6native12_GLOBAL__N_18offset_tEEE10hipError_tPvRmT1_PNSt15iterator_traitsISY_E10value_typeET2_T3_PNSZ_IS14_E10value_typeET4_jRbjT5_S1A_jjP12ihipStream_tbEUljE_EEESV_SW_SX_S14_S18_S1A_T6_T7_T9_mT8_S1C_bDpT10_ENKUlT_T0_E_clISt17integral_constantIbLb0EES1O_IbLb1EEEEDaS1K_S1L_EUlS1K_E_NS1_11comp_targetILNS1_3genE5ELNS1_11target_archE942ELNS1_3gpuE9ELNS1_3repE0EEENS1_30default_config_static_selectorELNS0_4arch9wavefront6targetE1EEEvSY_
                                        ; -- End function
	.section	.AMDGPU.csdata,"",@progbits
; Kernel info:
; codeLenInByte = 0
; NumSgprs: 4
; NumVgprs: 0
; NumAgprs: 0
; TotalNumVgprs: 0
; ScratchSize: 0
; MemoryBound: 0
; FloatMode: 240
; IeeeMode: 1
; LDSByteSize: 0 bytes/workgroup (compile time only)
; SGPRBlocks: 0
; VGPRBlocks: 0
; NumSGPRsForWavesPerEU: 4
; NumVGPRsForWavesPerEU: 1
; AccumOffset: 4
; Occupancy: 8
; WaveLimiterHint : 0
; COMPUTE_PGM_RSRC2:SCRATCH_EN: 0
; COMPUTE_PGM_RSRC2:USER_SGPR: 6
; COMPUTE_PGM_RSRC2:TRAP_HANDLER: 0
; COMPUTE_PGM_RSRC2:TGID_X_EN: 1
; COMPUTE_PGM_RSRC2:TGID_Y_EN: 0
; COMPUTE_PGM_RSRC2:TGID_Z_EN: 0
; COMPUTE_PGM_RSRC2:TIDIG_COMP_CNT: 0
; COMPUTE_PGM_RSRC3_GFX90A:ACCUM_OFFSET: 0
; COMPUTE_PGM_RSRC3_GFX90A:TG_SPLIT: 0
	.section	.text._ZN7rocprim17ROCPRIM_400000_NS6detail17trampoline_kernelINS0_13select_configILj256ELj13ELNS0_17block_load_methodE3ELS4_3ELS4_3ELNS0_20block_scan_algorithmE0ELj4294967295EEENS1_25partition_config_selectorILNS1_17partition_subalgoE3EjNS0_10empty_typeEbEEZZNS1_14partition_implILS8_3ELb0ES6_jNS0_17counting_iteratorIjlEEPS9_SE_NS0_5tupleIJPjSE_EEENSF_IJSE_SE_EEES9_SG_JZNS1_25segmented_radix_sort_implINS0_14default_configELb0EPKiPiPKlPlN2at6native12_GLOBAL__N_18offset_tEEE10hipError_tPvRmT1_PNSt15iterator_traitsISY_E10value_typeET2_T3_PNSZ_IS14_E10value_typeET4_jRbjT5_S1A_jjP12ihipStream_tbEUljE_EEESV_SW_SX_S14_S18_S1A_T6_T7_T9_mT8_S1C_bDpT10_ENKUlT_T0_E_clISt17integral_constantIbLb0EES1O_IbLb1EEEEDaS1K_S1L_EUlS1K_E_NS1_11comp_targetILNS1_3genE4ELNS1_11target_archE910ELNS1_3gpuE8ELNS1_3repE0EEENS1_30default_config_static_selectorELNS0_4arch9wavefront6targetE1EEEvSY_,"axG",@progbits,_ZN7rocprim17ROCPRIM_400000_NS6detail17trampoline_kernelINS0_13select_configILj256ELj13ELNS0_17block_load_methodE3ELS4_3ELS4_3ELNS0_20block_scan_algorithmE0ELj4294967295EEENS1_25partition_config_selectorILNS1_17partition_subalgoE3EjNS0_10empty_typeEbEEZZNS1_14partition_implILS8_3ELb0ES6_jNS0_17counting_iteratorIjlEEPS9_SE_NS0_5tupleIJPjSE_EEENSF_IJSE_SE_EEES9_SG_JZNS1_25segmented_radix_sort_implINS0_14default_configELb0EPKiPiPKlPlN2at6native12_GLOBAL__N_18offset_tEEE10hipError_tPvRmT1_PNSt15iterator_traitsISY_E10value_typeET2_T3_PNSZ_IS14_E10value_typeET4_jRbjT5_S1A_jjP12ihipStream_tbEUljE_EEESV_SW_SX_S14_S18_S1A_T6_T7_T9_mT8_S1C_bDpT10_ENKUlT_T0_E_clISt17integral_constantIbLb0EES1O_IbLb1EEEEDaS1K_S1L_EUlS1K_E_NS1_11comp_targetILNS1_3genE4ELNS1_11target_archE910ELNS1_3gpuE8ELNS1_3repE0EEENS1_30default_config_static_selectorELNS0_4arch9wavefront6targetE1EEEvSY_,comdat
	.globl	_ZN7rocprim17ROCPRIM_400000_NS6detail17trampoline_kernelINS0_13select_configILj256ELj13ELNS0_17block_load_methodE3ELS4_3ELS4_3ELNS0_20block_scan_algorithmE0ELj4294967295EEENS1_25partition_config_selectorILNS1_17partition_subalgoE3EjNS0_10empty_typeEbEEZZNS1_14partition_implILS8_3ELb0ES6_jNS0_17counting_iteratorIjlEEPS9_SE_NS0_5tupleIJPjSE_EEENSF_IJSE_SE_EEES9_SG_JZNS1_25segmented_radix_sort_implINS0_14default_configELb0EPKiPiPKlPlN2at6native12_GLOBAL__N_18offset_tEEE10hipError_tPvRmT1_PNSt15iterator_traitsISY_E10value_typeET2_T3_PNSZ_IS14_E10value_typeET4_jRbjT5_S1A_jjP12ihipStream_tbEUljE_EEESV_SW_SX_S14_S18_S1A_T6_T7_T9_mT8_S1C_bDpT10_ENKUlT_T0_E_clISt17integral_constantIbLb0EES1O_IbLb1EEEEDaS1K_S1L_EUlS1K_E_NS1_11comp_targetILNS1_3genE4ELNS1_11target_archE910ELNS1_3gpuE8ELNS1_3repE0EEENS1_30default_config_static_selectorELNS0_4arch9wavefront6targetE1EEEvSY_ ; -- Begin function _ZN7rocprim17ROCPRIM_400000_NS6detail17trampoline_kernelINS0_13select_configILj256ELj13ELNS0_17block_load_methodE3ELS4_3ELS4_3ELNS0_20block_scan_algorithmE0ELj4294967295EEENS1_25partition_config_selectorILNS1_17partition_subalgoE3EjNS0_10empty_typeEbEEZZNS1_14partition_implILS8_3ELb0ES6_jNS0_17counting_iteratorIjlEEPS9_SE_NS0_5tupleIJPjSE_EEENSF_IJSE_SE_EEES9_SG_JZNS1_25segmented_radix_sort_implINS0_14default_configELb0EPKiPiPKlPlN2at6native12_GLOBAL__N_18offset_tEEE10hipError_tPvRmT1_PNSt15iterator_traitsISY_E10value_typeET2_T3_PNSZ_IS14_E10value_typeET4_jRbjT5_S1A_jjP12ihipStream_tbEUljE_EEESV_SW_SX_S14_S18_S1A_T6_T7_T9_mT8_S1C_bDpT10_ENKUlT_T0_E_clISt17integral_constantIbLb0EES1O_IbLb1EEEEDaS1K_S1L_EUlS1K_E_NS1_11comp_targetILNS1_3genE4ELNS1_11target_archE910ELNS1_3gpuE8ELNS1_3repE0EEENS1_30default_config_static_selectorELNS0_4arch9wavefront6targetE1EEEvSY_
	.p2align	8
	.type	_ZN7rocprim17ROCPRIM_400000_NS6detail17trampoline_kernelINS0_13select_configILj256ELj13ELNS0_17block_load_methodE3ELS4_3ELS4_3ELNS0_20block_scan_algorithmE0ELj4294967295EEENS1_25partition_config_selectorILNS1_17partition_subalgoE3EjNS0_10empty_typeEbEEZZNS1_14partition_implILS8_3ELb0ES6_jNS0_17counting_iteratorIjlEEPS9_SE_NS0_5tupleIJPjSE_EEENSF_IJSE_SE_EEES9_SG_JZNS1_25segmented_radix_sort_implINS0_14default_configELb0EPKiPiPKlPlN2at6native12_GLOBAL__N_18offset_tEEE10hipError_tPvRmT1_PNSt15iterator_traitsISY_E10value_typeET2_T3_PNSZ_IS14_E10value_typeET4_jRbjT5_S1A_jjP12ihipStream_tbEUljE_EEESV_SW_SX_S14_S18_S1A_T6_T7_T9_mT8_S1C_bDpT10_ENKUlT_T0_E_clISt17integral_constantIbLb0EES1O_IbLb1EEEEDaS1K_S1L_EUlS1K_E_NS1_11comp_targetILNS1_3genE4ELNS1_11target_archE910ELNS1_3gpuE8ELNS1_3repE0EEENS1_30default_config_static_selectorELNS0_4arch9wavefront6targetE1EEEvSY_,@function
_ZN7rocprim17ROCPRIM_400000_NS6detail17trampoline_kernelINS0_13select_configILj256ELj13ELNS0_17block_load_methodE3ELS4_3ELS4_3ELNS0_20block_scan_algorithmE0ELj4294967295EEENS1_25partition_config_selectorILNS1_17partition_subalgoE3EjNS0_10empty_typeEbEEZZNS1_14partition_implILS8_3ELb0ES6_jNS0_17counting_iteratorIjlEEPS9_SE_NS0_5tupleIJPjSE_EEENSF_IJSE_SE_EEES9_SG_JZNS1_25segmented_radix_sort_implINS0_14default_configELb0EPKiPiPKlPlN2at6native12_GLOBAL__N_18offset_tEEE10hipError_tPvRmT1_PNSt15iterator_traitsISY_E10value_typeET2_T3_PNSZ_IS14_E10value_typeET4_jRbjT5_S1A_jjP12ihipStream_tbEUljE_EEESV_SW_SX_S14_S18_S1A_T6_T7_T9_mT8_S1C_bDpT10_ENKUlT_T0_E_clISt17integral_constantIbLb0EES1O_IbLb1EEEEDaS1K_S1L_EUlS1K_E_NS1_11comp_targetILNS1_3genE4ELNS1_11target_archE910ELNS1_3gpuE8ELNS1_3repE0EEENS1_30default_config_static_selectorELNS0_4arch9wavefront6targetE1EEEvSY_: ; @_ZN7rocprim17ROCPRIM_400000_NS6detail17trampoline_kernelINS0_13select_configILj256ELj13ELNS0_17block_load_methodE3ELS4_3ELS4_3ELNS0_20block_scan_algorithmE0ELj4294967295EEENS1_25partition_config_selectorILNS1_17partition_subalgoE3EjNS0_10empty_typeEbEEZZNS1_14partition_implILS8_3ELb0ES6_jNS0_17counting_iteratorIjlEEPS9_SE_NS0_5tupleIJPjSE_EEENSF_IJSE_SE_EEES9_SG_JZNS1_25segmented_radix_sort_implINS0_14default_configELb0EPKiPiPKlPlN2at6native12_GLOBAL__N_18offset_tEEE10hipError_tPvRmT1_PNSt15iterator_traitsISY_E10value_typeET2_T3_PNSZ_IS14_E10value_typeET4_jRbjT5_S1A_jjP12ihipStream_tbEUljE_EEESV_SW_SX_S14_S18_S1A_T6_T7_T9_mT8_S1C_bDpT10_ENKUlT_T0_E_clISt17integral_constantIbLb0EES1O_IbLb1EEEEDaS1K_S1L_EUlS1K_E_NS1_11comp_targetILNS1_3genE4ELNS1_11target_archE910ELNS1_3gpuE8ELNS1_3repE0EEENS1_30default_config_static_selectorELNS0_4arch9wavefront6targetE1EEEvSY_
; %bb.0:
	s_load_dwordx2 s[28:29], s[4:5], 0x10
	s_load_dwordx2 s[24:25], s[4:5], 0x28
	;; [unrolled: 1-line block ×3, first 2 shown]
	s_load_dwordx4 s[20:23], s[4:5], 0x48
	s_load_dword s14, s[4:5], 0x90
	s_load_dwordx2 s[30:31], s[4:5], 0x68
	s_load_dwordx4 s[8:11], s[4:5], 0x80
	v_cmp_eq_u32_e64 s[0:1], 0, v0
	s_and_saveexec_b64 s[2:3], s[0:1]
	s_cbranch_execz .LBB594_4
; %bb.1:
	s_mov_b64 s[12:13], exec
	v_mbcnt_lo_u32_b32 v1, s12, 0
	v_mbcnt_hi_u32_b32 v1, s13, v1
	v_cmp_eq_u32_e32 vcc, 0, v1
                                        ; implicit-def: $vgpr2
	s_and_saveexec_b64 s[6:7], vcc
	s_cbranch_execz .LBB594_3
; %bb.2:
	s_load_dwordx2 s[16:17], s[4:5], 0x78
	s_bcnt1_i32_b64 s12, s[12:13]
	v_mov_b32_e32 v2, 0
	v_mov_b32_e32 v3, s12
	s_waitcnt lgkmcnt(0)
	global_atomic_add v2, v2, v3, s[16:17] glc
.LBB594_3:
	s_or_b64 exec, exec, s[6:7]
	s_waitcnt vmcnt(0)
	v_readfirstlane_b32 s6, v2
	v_add_u32_e32 v1, s6, v1
	v_mov_b32_e32 v2, 0
	ds_write_b32 v2, v1
.LBB594_4:
	s_or_b64 exec, exec, s[2:3]
	v_mov_b32_e32 v1, 0
	s_load_dword s2, s[4:5], 0x8
	s_load_dword s6, s[4:5], 0x70
	s_waitcnt lgkmcnt(0)
	s_barrier
	ds_read_b32 v2, v1
	s_waitcnt lgkmcnt(0)
	s_barrier
	global_load_dwordx2 v[20:21], v1, s[22:23]
	s_add_i32 s7, s2, s28
	s_movk_i32 s2, 0xd00
	s_add_i32 s4, s6, -1
	s_mulk_i32 s6, 0xd00
	v_mul_lo_u32 v34, v2, s2
	s_add_u32 s2, s28, s6
	v_readfirstlane_b32 s40, v2
	s_addc_u32 s3, s29, 0
	s_cmp_eq_u32 s40, s4
	v_pk_mov_b32 v[2:3], s[26:27], s[26:27] op_sel:[0,1]
	s_cselect_b64 s[22:23], -1, 0
	s_cmp_lg_u32 s40, s4
	v_cmp_lt_u64_e32 vcc, s[2:3], v[2:3]
	s_cselect_b64 s[2:3], -1, 0
	s_or_b64 s[4:5], vcc, s[2:3]
	v_add_u32_e32 v1, s7, v34
	s_mov_b64 s[2:3], -1
	s_and_b64 vcc, exec, s[4:5]
	v_add_u32_e32 v2, v1, v0
	v_lshlrev_b32_e32 v1, 2, v0
	s_cbranch_vccz .LBB594_6
; %bb.5:
	v_add_u32_e32 v3, 0x100, v2
	v_add_u32_e32 v4, 0x200, v2
	v_add_u32_e32 v5, 0x300, v2
	v_add_u32_e32 v6, 0x400, v2
	v_add_u32_e32 v7, 0x500, v2
	v_add_u32_e32 v8, 0x600, v2
	v_add_u32_e32 v9, 0x700, v2
	v_add_u32_e32 v10, 0x800, v2
	v_add_u32_e32 v11, 0x900, v2
	v_add_u32_e32 v12, 0xa00, v2
	v_add_u32_e32 v13, 0xb00, v2
	v_add_u32_e32 v14, 0xc00, v2
	ds_write2st64_b32 v1, v2, v3 offset1:4
	ds_write2st64_b32 v1, v4, v5 offset0:8 offset1:12
	ds_write2st64_b32 v1, v6, v7 offset0:16 offset1:20
	;; [unrolled: 1-line block ×5, first 2 shown]
	ds_write_b32 v1, v14 offset:12288
	s_waitcnt lgkmcnt(0)
	s_barrier
	s_mov_b64 s[2:3], 0
.LBB594_6:
	s_andn2_b64 vcc, exec, s[2:3]
	s_add_i32 s6, s6, s28
	s_cbranch_vccnz .LBB594_8
; %bb.7:
	v_add_u32_e32 v3, 0x100, v2
	v_add_u32_e32 v4, 0x200, v2
	;; [unrolled: 1-line block ×12, first 2 shown]
	ds_write2st64_b32 v1, v2, v3 offset1:4
	ds_write2st64_b32 v1, v4, v5 offset0:8 offset1:12
	ds_write2st64_b32 v1, v6, v7 offset0:16 offset1:20
	;; [unrolled: 1-line block ×5, first 2 shown]
	ds_write_b32 v1, v14 offset:12288
	s_waitcnt lgkmcnt(0)
	s_barrier
.LBB594_8:
	v_mul_u32_u24_e32 v36, 13, v0
	v_lshlrev_b32_e32 v2, 2, v36
	ds_read2_b32 v[32:33], v2 offset1:1
	ds_read2_b32 v[30:31], v2 offset0:2 offset1:3
	ds_read2_b32 v[28:29], v2 offset0:4 offset1:5
	;; [unrolled: 1-line block ×5, first 2 shown]
	ds_read_b32 v35, v2 offset:48
	v_cndmask_b32_e64 v2, 0, 1, s[4:5]
	s_sub_i32 s33, s26, s6
	v_cmp_ne_u32_e64 s[2:3], 1, v2
	s_andn2_b64 vcc, exec, s[4:5]
	s_waitcnt lgkmcnt(0)
	s_barrier
	s_cbranch_vccnz .LBB594_10
; %bb.9:
	v_add_u32_e32 v2, s9, v32
	v_add_u32_e32 v3, s11, v32
	v_mul_lo_u32 v2, v2, s8
	v_mul_lo_u32 v3, v3, s10
	v_sub_u32_e32 v2, v2, v3
	v_add_u32_e32 v3, s9, v33
	v_add_u32_e32 v4, s11, v33
	v_mul_lo_u32 v3, v3, s8
	v_mul_lo_u32 v4, v4, s10
	v_sub_u32_e32 v3, v3, v4
	v_add_u32_e32 v4, s9, v30
	v_add_u32_e32 v5, s11, v30
	v_mul_lo_u32 v4, v4, s8
	v_mul_lo_u32 v5, v5, s10
	v_sub_u32_e32 v4, v4, v5
	v_add_u32_e32 v5, s9, v31
	v_add_u32_e32 v6, s11, v31
	v_mul_lo_u32 v5, v5, s8
	v_mul_lo_u32 v6, v6, s10
	v_sub_u32_e32 v5, v5, v6
	v_add_u32_e32 v6, s9, v28
	v_add_u32_e32 v7, s11, v28
	v_mul_lo_u32 v6, v6, s8
	v_mul_lo_u32 v7, v7, s10
	v_sub_u32_e32 v6, v6, v7
	v_add_u32_e32 v7, s9, v29
	v_add_u32_e32 v8, s11, v29
	v_mul_lo_u32 v7, v7, s8
	v_mul_lo_u32 v8, v8, s10
	v_sub_u32_e32 v7, v7, v8
	v_add_u32_e32 v8, s9, v26
	v_add_u32_e32 v9, s11, v26
	v_mul_lo_u32 v8, v8, s8
	v_mul_lo_u32 v9, v9, s10
	v_cmp_lt_u32_e32 vcc, s14, v2
	v_sub_u32_e32 v8, v8, v9
	v_add_u32_e32 v9, s9, v27
	v_add_u32_e32 v10, s11, v27
	v_cndmask_b32_e64 v2, 0, 1, vcc
	v_cmp_lt_u32_e32 vcc, s14, v3
	v_mul_lo_u32 v9, v9, s8
	v_mul_lo_u32 v10, v10, s10
	v_cndmask_b32_e64 v3, 0, 1, vcc
	v_cmp_lt_u32_e32 vcc, s14, v4
	v_sub_u32_e32 v9, v9, v10
	v_add_u32_e32 v10, s9, v24
	v_add_u32_e32 v11, s11, v24
	v_cndmask_b32_e64 v4, 0, 1, vcc
	v_cmp_lt_u32_e32 vcc, s14, v5
	v_mul_lo_u32 v10, v10, s8
	v_mul_lo_u32 v11, v11, s10
	v_cndmask_b32_e64 v5, 0, 1, vcc
	;; [unrolled: 9-line block ×4, first 2 shown]
	v_cmp_lt_u32_e32 vcc, s14, v10
	v_sub_u32_e32 v12, v12, v13
	v_add_u32_e32 v13, s9, v23
	v_add_u32_e32 v14, s11, v23
	v_lshlrev_b16_e32 v3, 8, v3
	v_cndmask_b32_e64 v10, 0, 1, vcc
	v_cmp_lt_u32_e32 vcc, s14, v11
	v_mul_lo_u32 v13, v13, s8
	v_mul_lo_u32 v14, v14, s10
	v_or_b32_e32 v2, v2, v3
	v_lshlrev_b16_e32 v3, 8, v5
	v_cndmask_b32_e64 v11, 0, 1, vcc
	v_cmp_lt_u32_e32 vcc, s14, v12
	v_sub_u32_e32 v13, v13, v14
	v_or_b32_sdwa v3, v4, v3 dst_sel:WORD_1 dst_unused:UNUSED_PAD src0_sel:DWORD src1_sel:DWORD
	v_cndmask_b32_e64 v12, 0, 1, vcc
	v_cmp_lt_u32_e32 vcc, s14, v13
	v_add_u32_e32 v14, s9, v35
	v_add_u32_e32 v15, s11, v35
	v_or_b32_sdwa v40, v2, v3 dst_sel:DWORD dst_unused:UNUSED_PAD src0_sel:WORD_0 src1_sel:DWORD
	v_lshlrev_b16_e32 v2, 8, v7
	v_lshlrev_b16_e32 v3, 8, v9
	v_cndmask_b32_e64 v13, 0, 1, vcc
	v_mul_lo_u32 v14, v14, s8
	v_mul_lo_u32 v15, v15, s10
	v_or_b32_e32 v2, v6, v2
	v_or_b32_sdwa v3, v8, v3 dst_sel:WORD_1 dst_unused:UNUSED_PAD src0_sel:DWORD src1_sel:DWORD
	v_sub_u32_e32 v14, v14, v15
	v_or_b32_sdwa v39, v2, v3 dst_sel:DWORD dst_unused:UNUSED_PAD src0_sel:WORD_0 src1_sel:DWORD
	v_lshlrev_b16_e32 v2, 8, v11
	v_lshlrev_b16_e32 v3, 8, v13
	v_cmp_lt_u32_e32 vcc, s14, v14
	v_or_b32_e32 v2, v10, v2
	v_or_b32_sdwa v3, v12, v3 dst_sel:WORD_1 dst_unused:UNUSED_PAD src0_sel:DWORD src1_sel:DWORD
	v_cndmask_b32_e64 v37, 0, 1, vcc
	v_or_b32_sdwa v38, v2, v3 dst_sel:DWORD dst_unused:UNUSED_PAD src0_sel:WORD_0 src1_sel:DWORD
	s_addk_i32 s33, 0xd00
	s_cbranch_execz .LBB594_11
	s_branch .LBB594_38
.LBB594_10:
                                        ; implicit-def: $vgpr37
                                        ; implicit-def: $vgpr38
                                        ; implicit-def: $vgpr39
                                        ; implicit-def: $vgpr40
	s_addk_i32 s33, 0xd00
.LBB594_11:
	v_cmp_gt_u32_e32 vcc, s33, v36
	v_mov_b32_e32 v3, 0
	v_mov_b32_e32 v2, 0
	s_and_saveexec_b64 s[4:5], vcc
; %bb.12:
	v_add_u32_e32 v2, s9, v32
	v_add_u32_e32 v4, s11, v32
	v_mul_lo_u32 v2, v2, s8
	v_mul_lo_u32 v4, v4, s10
	v_sub_u32_e32 v2, v2, v4
	v_cmp_lt_u32_e32 vcc, s14, v2
	v_cndmask_b32_e64 v2, 0, 1, vcc
; %bb.13:
	s_or_b64 exec, exec, s[4:5]
	v_add_u32_e32 v4, 1, v36
	v_cmp_gt_u32_e32 vcc, s33, v4
	s_and_saveexec_b64 s[4:5], vcc
; %bb.14:
	v_add_u32_e32 v3, s9, v33
	v_add_u32_e32 v4, s11, v33
	v_mul_lo_u32 v3, v3, s8
	v_mul_lo_u32 v4, v4, s10
	v_sub_u32_e32 v3, v3, v4
	v_cmp_lt_u32_e32 vcc, s14, v3
	v_cndmask_b32_e64 v3, 0, 1, vcc
; %bb.15:
	s_or_b64 exec, exec, s[4:5]
	v_add_u32_e32 v4, 2, v36
	v_cmp_gt_u32_e32 vcc, s33, v4
	v_mov_b32_e32 v5, 0
	v_mov_b32_e32 v4, 0
	s_and_saveexec_b64 s[4:5], vcc
; %bb.16:
	v_add_u32_e32 v4, s9, v30
	v_add_u32_e32 v6, s11, v30
	v_mul_lo_u32 v4, v4, s8
	v_mul_lo_u32 v6, v6, s10
	v_sub_u32_e32 v4, v4, v6
	v_cmp_lt_u32_e32 vcc, s14, v4
	v_cndmask_b32_e64 v4, 0, 1, vcc
; %bb.17:
	s_or_b64 exec, exec, s[4:5]
	v_add_u32_e32 v6, 3, v36
	v_cmp_gt_u32_e32 vcc, s33, v6
	s_and_saveexec_b64 s[4:5], vcc
; %bb.18:
	v_add_u32_e32 v5, s9, v31
	v_add_u32_e32 v6, s11, v31
	v_mul_lo_u32 v5, v5, s8
	v_mul_lo_u32 v6, v6, s10
	v_sub_u32_e32 v5, v5, v6
	v_cmp_lt_u32_e32 vcc, s14, v5
	v_cndmask_b32_e64 v5, 0, 1, vcc
; %bb.19:
	s_or_b64 exec, exec, s[4:5]
	v_add_u32_e32 v6, 4, v36
	;; [unrolled: 28-line block ×6, first 2 shown]
	v_cmp_gt_u32_e32 vcc, s33, v14
	v_mov_b32_e32 v37, 0
	s_and_saveexec_b64 s[4:5], vcc
; %bb.36:
	v_add_u32_e32 v14, s9, v35
	v_add_u32_e32 v15, s11, v35
	v_mul_lo_u32 v14, v14, s8
	v_mul_lo_u32 v15, v15, s10
	v_sub_u32_e32 v14, v14, v15
	v_cmp_lt_u32_e32 vcc, s14, v14
	v_cndmask_b32_e64 v37, 0, 1, vcc
; %bb.37:
	s_or_b64 exec, exec, s[4:5]
	v_lshlrev_b16_e32 v3, 8, v3
	v_or_b32_e32 v2, v2, v3
	v_lshlrev_b16_e32 v3, 8, v5
	v_or_b32_sdwa v3, v4, v3 dst_sel:WORD_1 dst_unused:UNUSED_PAD src0_sel:DWORD src1_sel:DWORD
	v_or_b32_sdwa v40, v2, v3 dst_sel:DWORD dst_unused:UNUSED_PAD src0_sel:WORD_0 src1_sel:DWORD
	v_lshlrev_b16_e32 v2, 8, v7
	v_lshlrev_b16_e32 v3, 8, v9
	v_or_b32_e32 v2, v6, v2
	v_or_b32_sdwa v3, v8, v3 dst_sel:WORD_1 dst_unused:UNUSED_PAD src0_sel:DWORD src1_sel:DWORD
	v_or_b32_sdwa v39, v2, v3 dst_sel:DWORD dst_unused:UNUSED_PAD src0_sel:WORD_0 src1_sel:DWORD
	v_lshlrev_b16_e32 v2, 8, v11
	v_lshlrev_b16_e32 v3, 8, v13
	v_or_b32_e32 v2, v10, v2
	v_or_b32_sdwa v3, v12, v3 dst_sel:WORD_1 dst_unused:UNUSED_PAD src0_sel:DWORD src1_sel:DWORD
	v_or_b32_sdwa v38, v2, v3 dst_sel:DWORD dst_unused:UNUSED_PAD src0_sel:WORD_0 src1_sel:DWORD
.LBB594_38:
	v_and_b32_e32 v44, 0xff, v40
	v_bfe_u32 v45, v40, 8, 8
	v_bfe_u32 v46, v40, 16, 8
	v_lshrrev_b32_e32 v43, 24, v40
	v_and_b32_e32 v47, 0xff, v39
	v_add3_u32 v3, v45, v44, v46
	v_bfe_u32 v48, v39, 8, 8
	v_bfe_u32 v49, v39, 16, 8
	v_add3_u32 v3, v3, v43, v47
	v_lshrrev_b32_e32 v42, 24, v39
	v_and_b32_e32 v50, 0xff, v38
	v_add3_u32 v3, v3, v48, v49
	v_bfe_u32 v51, v38, 8, 8
	v_bfe_u32 v52, v38, 16, 8
	v_add3_u32 v3, v3, v42, v50
	v_lshrrev_b32_e32 v41, 24, v38
	v_and_b32_e32 v2, 0xff, v37
	v_add3_u32 v3, v3, v51, v52
	v_add3_u32 v55, v3, v41, v2
	v_mbcnt_lo_u32_b32 v2, -1, 0
	v_mbcnt_hi_u32_b32 v53, -1, v2
	v_and_b32_e32 v2, 15, v53
	v_cmp_eq_u32_e64 s[16:17], 0, v2
	v_cmp_lt_u32_e64 s[14:15], 1, v2
	v_cmp_lt_u32_e64 s[12:13], 3, v2
	;; [unrolled: 1-line block ×3, first 2 shown]
	v_and_b32_e32 v2, 16, v53
	v_cmp_eq_u32_e64 s[8:9], 0, v2
	v_or_b32_e32 v2, 63, v0
	s_cmp_lg_u32 s40, 0
	v_cmp_lt_u32_e64 s[4:5], 31, v53
	v_lshrrev_b32_e32 v54, 6, v0
	v_cmp_eq_u32_e64 s[6:7], v2, v0
	s_cbranch_scc0 .LBB594_65
; %bb.39:
	v_mov_b32_dpp v2, v55 row_shr:1 row_mask:0xf bank_mask:0xf
	v_cndmask_b32_e64 v2, v2, 0, s[16:17]
	v_add_u32_e32 v2, v2, v55
	s_nop 1
	v_mov_b32_dpp v3, v2 row_shr:2 row_mask:0xf bank_mask:0xf
	v_cndmask_b32_e64 v3, 0, v3, s[14:15]
	v_add_u32_e32 v2, v2, v3
	s_nop 1
	;; [unrolled: 4-line block ×4, first 2 shown]
	v_mov_b32_dpp v3, v2 row_bcast:15 row_mask:0xf bank_mask:0xf
	v_cndmask_b32_e64 v3, v3, 0, s[8:9]
	v_add_u32_e32 v2, v2, v3
	s_nop 1
	v_mov_b32_dpp v3, v2 row_bcast:31 row_mask:0xf bank_mask:0xf
	v_cndmask_b32_e64 v3, 0, v3, s[4:5]
	v_add_u32_e32 v2, v2, v3
	s_and_saveexec_b64 s[18:19], s[6:7]
	s_cbranch_execz .LBB594_41
; %bb.40:
	v_lshlrev_b32_e32 v3, 2, v54
	ds_write_b32 v3, v2
.LBB594_41:
	s_or_b64 exec, exec, s[18:19]
	v_cmp_gt_u32_e32 vcc, 4, v0
	s_waitcnt lgkmcnt(0)
	s_barrier
	s_and_saveexec_b64 s[18:19], vcc
	s_cbranch_execz .LBB594_43
; %bb.42:
	ds_read_b32 v3, v1
	v_and_b32_e32 v4, 3, v53
	v_cmp_ne_u32_e32 vcc, 0, v4
	s_waitcnt lgkmcnt(0)
	v_mov_b32_dpp v5, v3 row_shr:1 row_mask:0xf bank_mask:0xf
	v_cndmask_b32_e32 v5, 0, v5, vcc
	v_add_u32_e32 v3, v5, v3
	v_cmp_lt_u32_e32 vcc, 1, v4
	s_nop 0
	v_mov_b32_dpp v5, v3 row_shr:2 row_mask:0xf bank_mask:0xf
	v_cndmask_b32_e32 v4, 0, v5, vcc
	v_add_u32_e32 v3, v3, v4
	ds_write_b32 v1, v3
.LBB594_43:
	s_or_b64 exec, exec, s[18:19]
	v_cmp_gt_u32_e32 vcc, 64, v0
	v_cmp_lt_u32_e64 s[18:19], 63, v0
	s_waitcnt lgkmcnt(0)
	s_barrier
	s_waitcnt lgkmcnt(0)
                                        ; implicit-def: $vgpr12
	s_and_saveexec_b64 s[34:35], s[18:19]
	s_cbranch_execz .LBB594_45
; %bb.44:
	v_lshl_add_u32 v3, v54, 2, -4
	ds_read_b32 v12, v3
	s_waitcnt lgkmcnt(0)
	v_add_u32_e32 v2, v12, v2
.LBB594_45:
	s_or_b64 exec, exec, s[34:35]
	v_add_u32_e32 v3, -1, v53
	v_and_b32_e32 v4, 64, v53
	v_cmp_lt_i32_e64 s[18:19], v3, v4
	v_cndmask_b32_e64 v3, v3, v53, s[18:19]
	v_lshlrev_b32_e32 v3, 2, v3
	ds_bpermute_b32 v13, v3, v2
	v_cmp_eq_u32_e64 s[18:19], 0, v53
	s_and_saveexec_b64 s[34:35], vcc
	s_cbranch_execz .LBB594_64
; %bb.46:
	v_mov_b32_e32 v9, 0
	ds_read_b32 v2, v9 offset:12
	s_and_saveexec_b64 s[36:37], s[18:19]
	s_cbranch_execz .LBB594_48
; %bb.47:
	s_add_i32 s38, s40, 64
	s_mov_b32 s39, 0
	s_lshl_b64 s[38:39], s[38:39], 3
	s_add_u32 s38, s30, s38
	v_mov_b32_e32 v3, 1
	s_addc_u32 s39, s31, s39
	s_waitcnt lgkmcnt(0)
	global_store_dwordx2 v9, v[2:3], s[38:39]
.LBB594_48:
	s_or_b64 exec, exec, s[36:37]
	v_xad_u32 v4, v53, -1, s40
	v_add_u32_e32 v8, 64, v4
	v_lshlrev_b64 v[6:7], 3, v[8:9]
	v_mov_b32_e32 v3, s31
	v_add_co_u32_e32 v10, vcc, s30, v6
	v_addc_co_u32_e32 v11, vcc, v3, v7, vcc
	global_load_dwordx2 v[6:7], v[10:11], off glc
	s_waitcnt vmcnt(0)
	v_cmp_eq_u16_sdwa s[38:39], v7, v9 src0_sel:BYTE_0 src1_sel:DWORD
	s_and_saveexec_b64 s[36:37], s[38:39]
	s_cbranch_execz .LBB594_52
; %bb.49:
	s_mov_b64 s[38:39], 0
	v_mov_b32_e32 v3, 0
.LBB594_50:                             ; =>This Inner Loop Header: Depth=1
	global_load_dwordx2 v[6:7], v[10:11], off glc
	s_waitcnt vmcnt(0)
	v_cmp_ne_u16_sdwa s[42:43], v7, v3 src0_sel:BYTE_0 src1_sel:DWORD
	s_or_b64 s[38:39], s[42:43], s[38:39]
	s_andn2_b64 exec, exec, s[38:39]
	s_cbranch_execnz .LBB594_50
; %bb.51:
	s_or_b64 exec, exec, s[38:39]
.LBB594_52:
	s_or_b64 exec, exec, s[36:37]
	v_and_b32_e32 v14, 63, v53
	v_mov_b32_e32 v3, 2
	v_cmp_ne_u32_e32 vcc, 63, v14
	v_cmp_eq_u16_sdwa s[36:37], v7, v3 src0_sel:BYTE_0 src1_sel:DWORD
	v_lshlrev_b64 v[8:9], v53, -1
	v_addc_co_u32_e32 v11, vcc, 0, v53, vcc
	v_and_b32_e32 v5, s37, v9
	v_lshlrev_b32_e32 v15, 2, v11
	v_or_b32_e32 v5, 0x80000000, v5
	ds_bpermute_b32 v11, v15, v6
	v_and_b32_e32 v10, s36, v8
	v_ffbl_b32_e32 v5, v5
	v_add_u32_e32 v5, 32, v5
	v_ffbl_b32_e32 v10, v10
	v_min_u32_e32 v5, v10, v5
	v_cmp_lt_u32_e32 vcc, v14, v5
	s_waitcnt lgkmcnt(0)
	v_cndmask_b32_e32 v10, 0, v11, vcc
	v_cmp_gt_u32_e32 vcc, 62, v14
	v_add_u32_e32 v6, v10, v6
	v_cndmask_b32_e64 v10, 0, 1, vcc
	v_lshlrev_b32_e32 v10, 1, v10
	v_add_lshl_u32 v16, v10, v53, 2
	ds_bpermute_b32 v10, v16, v6
	v_add_u32_e32 v17, 2, v14
	v_cmp_le_u32_e32 vcc, v17, v5
	v_add_u32_e32 v19, 4, v14
	v_add_u32_e32 v57, 8, v14
	s_waitcnt lgkmcnt(0)
	v_cndmask_b32_e32 v10, 0, v10, vcc
	v_cmp_gt_u32_e32 vcc, 60, v14
	v_add_u32_e32 v6, v6, v10
	v_cndmask_b32_e64 v10, 0, 1, vcc
	v_lshlrev_b32_e32 v10, 2, v10
	v_add_lshl_u32 v18, v10, v53, 2
	ds_bpermute_b32 v10, v18, v6
	v_cmp_le_u32_e32 vcc, v19, v5
	v_add_u32_e32 v60, 16, v14
	v_add_u32_e32 v62, 32, v14
	s_waitcnt lgkmcnt(0)
	v_cndmask_b32_e32 v10, 0, v10, vcc
	v_cmp_gt_u32_e32 vcc, 56, v14
	v_add_u32_e32 v6, v6, v10
	v_cndmask_b32_e64 v10, 0, 1, vcc
	v_lshlrev_b32_e32 v10, 3, v10
	v_add_lshl_u32 v56, v10, v53, 2
	ds_bpermute_b32 v10, v56, v6
	v_cmp_le_u32_e32 vcc, v57, v5
	s_waitcnt lgkmcnt(0)
	v_cndmask_b32_e32 v10, 0, v10, vcc
	v_cmp_gt_u32_e32 vcc, 48, v14
	v_add_u32_e32 v6, v6, v10
	v_cndmask_b32_e64 v10, 0, 1, vcc
	v_lshlrev_b32_e32 v10, 4, v10
	v_add_lshl_u32 v59, v10, v53, 2
	ds_bpermute_b32 v10, v59, v6
	v_cmp_le_u32_e32 vcc, v60, v5
	;; [unrolled: 9-line block ×3, first 2 shown]
	s_waitcnt lgkmcnt(0)
	v_cndmask_b32_e32 v5, 0, v10, vcc
	v_add_u32_e32 v6, v6, v5
	v_mov_b32_e32 v5, 0
	s_branch .LBB594_54
.LBB594_53:                             ;   in Loop: Header=BB594_54 Depth=1
	s_or_b64 exec, exec, s[36:37]
	v_cmp_eq_u16_sdwa s[36:37], v7, v3 src0_sel:BYTE_0 src1_sel:DWORD
	v_and_b32_e32 v10, s37, v9
	v_or_b32_e32 v10, 0x80000000, v10
	ds_bpermute_b32 v63, v15, v6
	v_and_b32_e32 v11, s36, v8
	v_ffbl_b32_e32 v10, v10
	v_add_u32_e32 v10, 32, v10
	v_ffbl_b32_e32 v11, v11
	v_min_u32_e32 v10, v11, v10
	v_cmp_lt_u32_e32 vcc, v14, v10
	s_waitcnt lgkmcnt(0)
	v_cndmask_b32_e32 v11, 0, v63, vcc
	v_add_u32_e32 v6, v11, v6
	ds_bpermute_b32 v11, v16, v6
	v_cmp_le_u32_e32 vcc, v17, v10
	v_subrev_u32_e32 v4, 64, v4
	s_waitcnt lgkmcnt(0)
	v_cndmask_b32_e32 v11, 0, v11, vcc
	v_add_u32_e32 v6, v6, v11
	ds_bpermute_b32 v11, v18, v6
	v_cmp_le_u32_e32 vcc, v19, v10
	s_waitcnt lgkmcnt(0)
	v_cndmask_b32_e32 v11, 0, v11, vcc
	v_add_u32_e32 v6, v6, v11
	ds_bpermute_b32 v11, v56, v6
	v_cmp_le_u32_e32 vcc, v57, v10
	;; [unrolled: 5-line block ×4, first 2 shown]
	s_waitcnt lgkmcnt(0)
	v_cndmask_b32_e32 v10, 0, v11, vcc
	v_add3_u32 v6, v10, v58, v6
.LBB594_54:                             ; =>This Loop Header: Depth=1
                                        ;     Child Loop BB594_57 Depth 2
	v_cmp_ne_u16_sdwa s[36:37], v7, v3 src0_sel:BYTE_0 src1_sel:DWORD
	v_cndmask_b32_e64 v7, 0, 1, s[36:37]
	;;#ASMSTART
	;;#ASMEND
	v_cmp_ne_u32_e32 vcc, 0, v7
	s_cmp_lg_u64 vcc, exec
	v_mov_b32_e32 v58, v6
	s_cbranch_scc1 .LBB594_59
; %bb.55:                               ;   in Loop: Header=BB594_54 Depth=1
	v_lshlrev_b64 v[6:7], 3, v[4:5]
	v_mov_b32_e32 v11, s31
	v_add_co_u32_e32 v10, vcc, s30, v6
	v_addc_co_u32_e32 v11, vcc, v11, v7, vcc
	global_load_dwordx2 v[6:7], v[10:11], off glc
	s_waitcnt vmcnt(0)
	v_cmp_eq_u16_sdwa s[38:39], v7, v5 src0_sel:BYTE_0 src1_sel:DWORD
	s_and_saveexec_b64 s[36:37], s[38:39]
	s_cbranch_execz .LBB594_53
; %bb.56:                               ;   in Loop: Header=BB594_54 Depth=1
	s_mov_b64 s[38:39], 0
.LBB594_57:                             ;   Parent Loop BB594_54 Depth=1
                                        ; =>  This Inner Loop Header: Depth=2
	global_load_dwordx2 v[6:7], v[10:11], off glc
	s_waitcnt vmcnt(0)
	v_cmp_ne_u16_sdwa s[42:43], v7, v5 src0_sel:BYTE_0 src1_sel:DWORD
	s_or_b64 s[38:39], s[42:43], s[38:39]
	s_andn2_b64 exec, exec, s[38:39]
	s_cbranch_execnz .LBB594_57
; %bb.58:                               ;   in Loop: Header=BB594_54 Depth=1
	s_or_b64 exec, exec, s[38:39]
	s_branch .LBB594_53
.LBB594_59:                             ;   in Loop: Header=BB594_54 Depth=1
                                        ; implicit-def: $vgpr6
                                        ; implicit-def: $vgpr7
	s_cbranch_execz .LBB594_54
; %bb.60:
	s_and_saveexec_b64 s[36:37], s[18:19]
	s_cbranch_execz .LBB594_62
; %bb.61:
	s_add_i32 s38, s40, 64
	s_mov_b32 s39, 0
	s_lshl_b64 s[38:39], s[38:39], 3
	s_add_u32 s38, s30, s38
	v_add_u32_e32 v4, v58, v2
	v_mov_b32_e32 v5, 2
	s_addc_u32 s39, s31, s39
	v_mov_b32_e32 v3, 0
	global_store_dwordx2 v3, v[4:5], s[38:39]
	s_movk_i32 s38, 0x3400
	v_add_u32_e64 v3, s38, 0
	ds_write2_b32 v3, v2, v58 offset1:2
.LBB594_62:
	s_or_b64 exec, exec, s[36:37]
	s_and_b64 exec, exec, s[0:1]
	s_cbranch_execz .LBB594_64
; %bb.63:
	v_mov_b32_e32 v2, 0
	ds_write_b32 v2, v58 offset:12
.LBB594_64:
	s_or_b64 exec, exec, s[34:35]
	v_mov_b32_e32 v2, 0
	s_waitcnt lgkmcnt(0)
	s_barrier
	ds_read_b32 v2, v2 offset:12
	v_cndmask_b32_e64 v3, v13, v12, s[18:19]
	v_cndmask_b32_e64 v3, v3, 0, s[0:1]
	s_movk_i32 s18, 0x3400
	v_add_u32_e64 v12, s18, 0
	s_waitcnt lgkmcnt(0)
	v_add_u32_e32 v2, v2, v3
	v_add_u32_e32 v3, v2, v44
	;; [unrolled: 1-line block ×9, first 2 shown]
	s_barrier
	ds_read2_b32 v[18:19], v12 offset1:2
	v_add_u32_e32 v11, v10, v50
	v_add_u32_e32 v12, v11, v51
	;; [unrolled: 1-line block ×4, first 2 shown]
	s_branch .LBB594_75
.LBB594_65:
                                        ; implicit-def: $vgpr19
                                        ; implicit-def: $vgpr2_vgpr3_vgpr4_vgpr5_vgpr6_vgpr7_vgpr8_vgpr9_vgpr10_vgpr11_vgpr12_vgpr13_vgpr14_vgpr15_vgpr16_vgpr17
	s_cbranch_execz .LBB594_75
; %bb.66:
	s_nop 0
	v_mov_b32_dpp v2, v55 row_shr:1 row_mask:0xf bank_mask:0xf
	v_cndmask_b32_e64 v2, v2, 0, s[16:17]
	v_add_u32_e32 v2, v2, v55
	s_nop 1
	v_mov_b32_dpp v3, v2 row_shr:2 row_mask:0xf bank_mask:0xf
	v_cndmask_b32_e64 v3, 0, v3, s[14:15]
	v_add_u32_e32 v2, v2, v3
	;; [unrolled: 4-line block ×4, first 2 shown]
	s_nop 1
	v_mov_b32_dpp v3, v2 row_bcast:15 row_mask:0xf bank_mask:0xf
	v_cndmask_b32_e64 v3, v3, 0, s[8:9]
	v_add_u32_e32 v2, v2, v3
	s_nop 1
	v_mov_b32_dpp v3, v2 row_bcast:31 row_mask:0xf bank_mask:0xf
	v_cndmask_b32_e64 v3, 0, v3, s[4:5]
	v_add_u32_e32 v2, v2, v3
	s_and_saveexec_b64 s[4:5], s[6:7]
	s_cbranch_execz .LBB594_68
; %bb.67:
	v_lshlrev_b32_e32 v3, 2, v54
	ds_write_b32 v3, v2
.LBB594_68:
	s_or_b64 exec, exec, s[4:5]
	v_cmp_gt_u32_e32 vcc, 4, v0
	s_waitcnt lgkmcnt(0)
	s_barrier
	s_and_saveexec_b64 s[4:5], vcc
	s_cbranch_execz .LBB594_70
; %bb.69:
	ds_read_b32 v3, v1
	v_and_b32_e32 v4, 3, v53
	v_cmp_ne_u32_e32 vcc, 0, v4
	s_waitcnt lgkmcnt(0)
	v_mov_b32_dpp v5, v3 row_shr:1 row_mask:0xf bank_mask:0xf
	v_cndmask_b32_e32 v5, 0, v5, vcc
	v_add_u32_e32 v3, v5, v3
	v_cmp_lt_u32_e32 vcc, 1, v4
	s_nop 0
	v_mov_b32_dpp v5, v3 row_shr:2 row_mask:0xf bank_mask:0xf
	v_cndmask_b32_e32 v4, 0, v5, vcc
	v_add_u32_e32 v3, v3, v4
	ds_write_b32 v1, v3
.LBB594_70:
	s_or_b64 exec, exec, s[4:5]
	v_cmp_lt_u32_e32 vcc, 63, v0
	v_mov_b32_e32 v4, 0
	v_mov_b32_e32 v3, 0
	s_waitcnt lgkmcnt(0)
	s_barrier
	s_and_saveexec_b64 s[4:5], vcc
	s_cbranch_execz .LBB594_72
; %bb.71:
	v_lshl_add_u32 v3, v54, 2, -4
	ds_read_b32 v3, v3
.LBB594_72:
	s_or_b64 exec, exec, s[4:5]
	v_add_u32_e32 v5, -1, v53
	v_and_b32_e32 v6, 64, v53
	v_cmp_lt_i32_e32 vcc, v5, v6
	v_cndmask_b32_e32 v5, v5, v53, vcc
	s_waitcnt lgkmcnt(0)
	v_add_u32_e32 v2, v3, v2
	v_lshlrev_b32_e32 v5, 2, v5
	ds_bpermute_b32 v2, v5, v2
	ds_read_b32 v18, v4 offset:12
	s_and_saveexec_b64 s[4:5], s[0:1]
	s_cbranch_execz .LBB594_74
; %bb.73:
	v_mov_b32_e32 v4, 0
	v_mov_b32_e32 v19, 2
	s_waitcnt lgkmcnt(0)
	global_store_dwordx2 v4, v[18:19], s[30:31] offset:512
.LBB594_74:
	s_or_b64 exec, exec, s[4:5]
	v_cmp_eq_u32_e32 vcc, 0, v53
	s_waitcnt lgkmcnt(1)
	v_cndmask_b32_e32 v2, v2, v3, vcc
	v_cndmask_b32_e64 v2, v2, 0, s[0:1]
	v_add_u32_e32 v3, v2, v44
	v_add_u32_e32 v4, v3, v45
	;; [unrolled: 1-line block ×11, first 2 shown]
	v_mov_b32_e32 v19, 0
	v_add_u32_e32 v14, v13, v41
	s_waitcnt lgkmcnt(0)
	s_barrier
.LBB594_75:
	s_waitcnt lgkmcnt(0)
	v_add_u32_e32 v36, v18, v36
	v_sub_u32_e32 v2, v2, v19
	v_and_b32_e32 v45, 1, v40
	v_sub_u32_e32 v44, v36, v2
	v_cmp_eq_u32_e32 vcc, 1, v45
	v_cndmask_b32_e32 v2, v44, v2, vcc
	v_lshlrev_b32_e32 v2, 2, v2
	v_lshrrev_b32_e32 v17, 8, v40
	ds_write_b32 v2, v32
	v_sub_u32_e32 v2, v3, v19
	v_sub_u32_e32 v3, v36, v2
	v_and_b32_e32 v17, 1, v17
	v_add_u32_e32 v3, 1, v3
	v_cmp_eq_u32_e32 vcc, 1, v17
	v_cndmask_b32_e32 v2, v3, v2, vcc
	v_lshlrev_b32_e32 v2, 2, v2
	ds_write_b32 v2, v33
	v_sub_u32_e32 v2, v4, v19
	v_mov_b32_e32 v4, 1
	v_sub_u32_e32 v3, v36, v2
	v_and_b32_sdwa v17, v4, v40 dst_sel:DWORD dst_unused:UNUSED_PAD src0_sel:DWORD src1_sel:WORD_1
	v_add_u32_e32 v3, 2, v3
	v_cmp_eq_u32_e32 vcc, 1, v17
	v_cndmask_b32_e32 v2, v3, v2, vcc
	v_lshlrev_b32_e32 v2, 2, v2
	ds_write_b32 v2, v30
	v_sub_u32_e32 v2, v5, v19
	v_sub_u32_e32 v3, v36, v2
	v_and_b32_e32 v5, 1, v43
	v_add_u32_e32 v3, 3, v3
	v_cmp_eq_u32_e32 vcc, 1, v5
	v_cndmask_b32_e32 v2, v3, v2, vcc
	v_lshlrev_b32_e32 v2, 2, v2
	ds_write_b32 v2, v31
	v_sub_u32_e32 v2, v6, v19
	v_sub_u32_e32 v3, v36, v2
	v_and_b32_e32 v5, 1, v39
	v_add_u32_e32 v3, 4, v3
	v_cmp_eq_u32_e32 vcc, 1, v5
	v_cndmask_b32_e32 v2, v3, v2, vcc
	v_lshlrev_b32_e32 v2, 2, v2
	v_lshrrev_b32_e32 v16, 8, v39
	ds_write_b32 v2, v28
	v_sub_u32_e32 v2, v7, v19
	v_sub_u32_e32 v3, v36, v2
	v_and_b32_e32 v5, 1, v16
	v_add_u32_e32 v3, 5, v3
	v_cmp_eq_u32_e32 vcc, 1, v5
	v_cndmask_b32_e32 v2, v3, v2, vcc
	v_lshlrev_b32_e32 v2, 2, v2
	ds_write_b32 v2, v29
	v_sub_u32_e32 v2, v8, v19
	v_sub_u32_e32 v3, v36, v2
	v_and_b32_sdwa v5, v4, v39 dst_sel:DWORD dst_unused:UNUSED_PAD src0_sel:DWORD src1_sel:WORD_1
	v_add_u32_e32 v3, 6, v3
	v_cmp_eq_u32_e32 vcc, 1, v5
	v_cndmask_b32_e32 v2, v3, v2, vcc
	v_lshlrev_b32_e32 v2, 2, v2
	ds_write_b32 v2, v26
	v_sub_u32_e32 v2, v9, v19
	v_sub_u32_e32 v3, v36, v2
	v_and_b32_e32 v5, 1, v42
	v_add_u32_e32 v3, 7, v3
	v_cmp_eq_u32_e32 vcc, 1, v5
	v_cndmask_b32_e32 v2, v3, v2, vcc
	v_lshlrev_b32_e32 v2, 2, v2
	ds_write_b32 v2, v27
	v_sub_u32_e32 v2, v10, v19
	v_sub_u32_e32 v3, v36, v2
	v_and_b32_e32 v5, 1, v38
	v_add_u32_e32 v3, 8, v3
	v_cmp_eq_u32_e32 vcc, 1, v5
	v_cndmask_b32_e32 v2, v3, v2, vcc
	v_lshlrev_b32_e32 v2, 2, v2
	v_lshrrev_b32_e32 v15, 8, v38
	ds_write_b32 v2, v24
	v_sub_u32_e32 v2, v11, v19
	v_sub_u32_e32 v3, v36, v2
	v_and_b32_e32 v5, 1, v15
	v_add_u32_e32 v3, 9, v3
	v_cmp_eq_u32_e32 vcc, 1, v5
	v_cndmask_b32_e32 v2, v3, v2, vcc
	v_lshlrev_b32_e32 v2, 2, v2
	ds_write_b32 v2, v25
	v_sub_u32_e32 v2, v12, v19
	v_sub_u32_e32 v3, v36, v2
	v_and_b32_sdwa v4, v4, v38 dst_sel:DWORD dst_unused:UNUSED_PAD src0_sel:DWORD src1_sel:WORD_1
	v_add_u32_e32 v3, 10, v3
	v_cmp_eq_u32_e32 vcc, 1, v4
	v_cndmask_b32_e32 v2, v3, v2, vcc
	v_lshlrev_b32_e32 v2, 2, v2
	ds_write_b32 v2, v22
	v_sub_u32_e32 v2, v13, v19
	v_sub_u32_e32 v3, v36, v2
	v_and_b32_e32 v4, 1, v41
	v_add_u32_e32 v3, 11, v3
	v_cmp_eq_u32_e32 vcc, 1, v4
	v_cndmask_b32_e32 v2, v3, v2, vcc
	v_lshlrev_b32_e32 v2, 2, v2
	ds_write_b32 v2, v23
	v_sub_u32_e32 v2, v14, v19
	v_sub_u32_e32 v3, v36, v2
	v_and_b32_e32 v4, 1, v37
	v_add_u32_e32 v3, 12, v3
	v_cmp_eq_u32_e32 vcc, 1, v4
	v_cndmask_b32_e32 v2, v3, v2, vcc
	v_lshlrev_b32_e32 v2, 2, v2
	ds_write_b32 v2, v35
	s_waitcnt lgkmcnt(0)
	s_barrier
	ds_read2st64_b32 v[12:13], v1 offset1:4
	ds_read2st64_b32 v[10:11], v1 offset0:8 offset1:12
	ds_read2st64_b32 v[8:9], v1 offset0:16 offset1:20
	;; [unrolled: 1-line block ×5, first 2 shown]
	ds_read_b32 v17, v1 offset:12288
	s_waitcnt vmcnt(0)
	v_add_co_u32_e32 v1, vcc, v20, v19
	v_addc_co_u32_e32 v16, vcc, 0, v21, vcc
	v_mov_b32_e32 v14, s29
	v_add_co_u32_e32 v15, vcc, s28, v34
	v_addc_co_u32_e32 v14, vcc, 0, v14, vcc
	v_mov_b32_e32 v19, s27
	v_sub_co_u32_e32 v15, vcc, s26, v15
	v_subb_co_u32_e32 v14, vcc, v19, v14, vcc
	v_add_co_u32_e32 v15, vcc, v15, v18
	v_addc_co_u32_e32 v14, vcc, 0, v14, vcc
	s_and_b64 vcc, exec, s[2:3]
	v_add_co_u32_e64 v19, s[2:3], v15, v1
	v_or_b32_e32 v33, 0x100, v0
	v_or_b32_e32 v32, 0x200, v0
	;; [unrolled: 1-line block ×12, first 2 shown]
	v_addc_co_u32_e64 v20, s[2:3], v14, v16, s[2:3]
	s_cbranch_vccnz .LBB594_132
; %bb.76:
	v_cmp_ge_u32_e32 vcc, v0, v18
                                        ; implicit-def: $vgpr14_vgpr15
	s_and_saveexec_b64 s[2:3], vcc
	s_xor_b64 s[2:3], exec, s[2:3]
; %bb.77:
	v_not_b32_e32 v14, v0
	v_ashrrev_i32_e32 v15, 31, v14
	v_add_co_u32_e32 v14, vcc, v19, v14
	v_addc_co_u32_e32 v15, vcc, v20, v15, vcc
; %bb.78:
	s_andn2_saveexec_b64 s[2:3], s[2:3]
; %bb.79:
	v_add_co_u32_e32 v14, vcc, v1, v0
	v_addc_co_u32_e32 v15, vcc, 0, v16, vcc
; %bb.80:
	s_or_b64 exec, exec, s[2:3]
	v_lshlrev_b64 v[14:15], 2, v[14:15]
	v_mov_b32_e32 v21, s25
	v_add_co_u32_e32 v14, vcc, s24, v14
	v_addc_co_u32_e32 v15, vcc, v21, v15, vcc
	v_cmp_ge_u32_e32 vcc, v33, v18
	s_waitcnt lgkmcnt(6)
	global_store_dword v[14:15], v12, off
                                        ; implicit-def: $vgpr14_vgpr15
	s_and_saveexec_b64 s[2:3], vcc
	s_xor_b64 s[2:3], exec, s[2:3]
; %bb.81:
	v_xor_b32_e32 v14, 0xfffffeff, v0
	v_ashrrev_i32_e32 v15, 31, v14
	v_add_co_u32_e32 v14, vcc, v19, v14
	v_addc_co_u32_e32 v15, vcc, v20, v15, vcc
; %bb.82:
	s_andn2_saveexec_b64 s[2:3], s[2:3]
; %bb.83:
	v_add_co_u32_e32 v14, vcc, v1, v33
	v_addc_co_u32_e32 v15, vcc, 0, v16, vcc
; %bb.84:
	s_or_b64 exec, exec, s[2:3]
	v_lshlrev_b64 v[14:15], 2, v[14:15]
	v_mov_b32_e32 v21, s25
	v_add_co_u32_e32 v14, vcc, s24, v14
	v_addc_co_u32_e32 v15, vcc, v21, v15, vcc
	v_cmp_ge_u32_e32 vcc, v32, v18
	global_store_dword v[14:15], v13, off
                                        ; implicit-def: $vgpr14_vgpr15
	s_and_saveexec_b64 s[2:3], vcc
	s_xor_b64 s[2:3], exec, s[2:3]
; %bb.85:
	v_xor_b32_e32 v14, 0xfffffdff, v0
	v_ashrrev_i32_e32 v15, 31, v14
	v_add_co_u32_e32 v14, vcc, v19, v14
	v_addc_co_u32_e32 v15, vcc, v20, v15, vcc
; %bb.86:
	s_andn2_saveexec_b64 s[2:3], s[2:3]
; %bb.87:
	v_add_co_u32_e32 v14, vcc, v1, v32
	v_addc_co_u32_e32 v15, vcc, 0, v16, vcc
; %bb.88:
	s_or_b64 exec, exec, s[2:3]
	v_lshlrev_b64 v[14:15], 2, v[14:15]
	v_mov_b32_e32 v21, s25
	v_add_co_u32_e32 v14, vcc, s24, v14
	v_addc_co_u32_e32 v15, vcc, v21, v15, vcc
	v_cmp_ge_u32_e32 vcc, v31, v18
	s_waitcnt lgkmcnt(5)
	global_store_dword v[14:15], v10, off
                                        ; implicit-def: $vgpr14_vgpr15
	s_and_saveexec_b64 s[2:3], vcc
	s_xor_b64 s[2:3], exec, s[2:3]
; %bb.89:
	v_xor_b32_e32 v14, 0xfffffcff, v0
	v_ashrrev_i32_e32 v15, 31, v14
	v_add_co_u32_e32 v14, vcc, v19, v14
	v_addc_co_u32_e32 v15, vcc, v20, v15, vcc
; %bb.90:
	s_andn2_saveexec_b64 s[2:3], s[2:3]
; %bb.91:
	v_add_co_u32_e32 v14, vcc, v1, v31
	v_addc_co_u32_e32 v15, vcc, 0, v16, vcc
; %bb.92:
	s_or_b64 exec, exec, s[2:3]
	v_lshlrev_b64 v[14:15], 2, v[14:15]
	v_mov_b32_e32 v21, s25
	v_add_co_u32_e32 v14, vcc, s24, v14
	v_addc_co_u32_e32 v15, vcc, v21, v15, vcc
	v_cmp_ge_u32_e32 vcc, v30, v18
	global_store_dword v[14:15], v11, off
                                        ; implicit-def: $vgpr14_vgpr15
	s_and_saveexec_b64 s[2:3], vcc
	s_xor_b64 s[2:3], exec, s[2:3]
; %bb.93:
	v_xor_b32_e32 v14, 0xfffffbff, v0
	;; [unrolled: 43-line block ×6, first 2 shown]
	v_ashrrev_i32_e32 v15, 31, v14
	v_add_co_u32_e32 v14, vcc, v19, v14
	v_addc_co_u32_e32 v15, vcc, v20, v15, vcc
; %bb.126:
	s_andn2_saveexec_b64 s[2:3], s[2:3]
; %bb.127:
	v_add_co_u32_e32 v14, vcc, v1, v22
	v_addc_co_u32_e32 v15, vcc, 0, v16, vcc
; %bb.128:
	s_or_b64 exec, exec, s[2:3]
	s_mov_b64 s[2:3], -1
.LBB594_129:
	s_and_saveexec_b64 s[4:5], s[2:3]
	s_cbranch_execz .LBB594_212
.LBB594_130:
	s_waitcnt lgkmcnt(1)
	v_lshlrev_b64 v[2:3], 2, v[14:15]
	v_mov_b32_e32 v0, s25
	v_add_co_u32_e32 v2, vcc, s24, v2
	v_addc_co_u32_e32 v3, vcc, v0, v3, vcc
	s_waitcnt lgkmcnt(0)
	global_store_dword v[2:3], v17, off
	s_or_b64 exec, exec, s[4:5]
	s_and_b64 s[0:1], s[0:1], s[22:23]
	s_and_saveexec_b64 s[2:3], s[0:1]
	s_cbranch_execnz .LBB594_213
.LBB594_131:
	s_endpgm
.LBB594_132:
	s_mov_b64 s[2:3], 0
                                        ; implicit-def: $vgpr14_vgpr15
	s_cbranch_execz .LBB594_129
; %bb.133:
	v_cmp_gt_u32_e32 vcc, s33, v0
	s_and_saveexec_b64 s[4:5], vcc
	s_cbranch_execz .LBB594_169
; %bb.134:
	v_cmp_ge_u32_e32 vcc, v0, v18
                                        ; implicit-def: $vgpr14_vgpr15
	s_and_saveexec_b64 s[6:7], vcc
	s_xor_b64 s[6:7], exec, s[6:7]
; %bb.135:
	v_not_b32_e32 v14, v0
	v_ashrrev_i32_e32 v15, 31, v14
	v_add_co_u32_e32 v14, vcc, v19, v14
	v_addc_co_u32_e32 v15, vcc, v20, v15, vcc
; %bb.136:
	s_andn2_saveexec_b64 s[6:7], s[6:7]
; %bb.137:
	v_add_co_u32_e32 v14, vcc, v1, v0
	v_addc_co_u32_e32 v15, vcc, 0, v16, vcc
; %bb.138:
	s_or_b64 exec, exec, s[6:7]
	v_lshlrev_b64 v[14:15], 2, v[14:15]
	v_mov_b32_e32 v21, s25
	v_add_co_u32_e32 v14, vcc, s24, v14
	v_addc_co_u32_e32 v15, vcc, v21, v15, vcc
	s_waitcnt lgkmcnt(6)
	global_store_dword v[14:15], v12, off
	s_or_b64 exec, exec, s[4:5]
	v_cmp_gt_u32_e32 vcc, s33, v33
	s_and_saveexec_b64 s[4:5], vcc
	s_cbranch_execnz .LBB594_170
.LBB594_139:
	s_or_b64 exec, exec, s[4:5]
	v_cmp_gt_u32_e32 vcc, s33, v32
	s_and_saveexec_b64 s[4:5], vcc
	s_cbranch_execz .LBB594_175
.LBB594_140:
	v_cmp_ge_u32_e32 vcc, v32, v18
                                        ; implicit-def: $vgpr12_vgpr13
	s_and_saveexec_b64 s[6:7], vcc
	s_xor_b64 s[6:7], exec, s[6:7]
	s_cbranch_execz .LBB594_142
; %bb.141:
	s_waitcnt lgkmcnt(6)
	v_xor_b32_e32 v12, 0xfffffdff, v0
	v_ashrrev_i32_e32 v13, 31, v12
	v_add_co_u32_e32 v12, vcc, v19, v12
	v_addc_co_u32_e32 v13, vcc, v20, v13, vcc
                                        ; implicit-def: $vgpr32
.LBB594_142:
	s_andn2_saveexec_b64 s[6:7], s[6:7]
	s_cbranch_execz .LBB594_144
; %bb.143:
	s_waitcnt lgkmcnt(6)
	v_add_co_u32_e32 v12, vcc, v1, v32
	v_addc_co_u32_e32 v13, vcc, 0, v16, vcc
.LBB594_144:
	s_or_b64 exec, exec, s[6:7]
	s_waitcnt lgkmcnt(6)
	v_lshlrev_b64 v[12:13], 2, v[12:13]
	v_mov_b32_e32 v14, s25
	v_add_co_u32_e32 v12, vcc, s24, v12
	v_addc_co_u32_e32 v13, vcc, v14, v13, vcc
	s_waitcnt lgkmcnt(5)
	global_store_dword v[12:13], v10, off
	s_or_b64 exec, exec, s[4:5]
	v_cmp_gt_u32_e32 vcc, s33, v31
	s_and_saveexec_b64 s[4:5], vcc
	s_cbranch_execnz .LBB594_176
.LBB594_145:
	s_or_b64 exec, exec, s[4:5]
	v_cmp_gt_u32_e32 vcc, s33, v30
	s_and_saveexec_b64 s[4:5], vcc
	s_cbranch_execz .LBB594_181
.LBB594_146:
	v_cmp_ge_u32_e32 vcc, v30, v18
                                        ; implicit-def: $vgpr10_vgpr11
	s_and_saveexec_b64 s[6:7], vcc
	s_xor_b64 s[6:7], exec, s[6:7]
	s_cbranch_execz .LBB594_148
; %bb.147:
	s_waitcnt lgkmcnt(5)
	v_xor_b32_e32 v10, 0xfffffbff, v0
	v_ashrrev_i32_e32 v11, 31, v10
	v_add_co_u32_e32 v10, vcc, v19, v10
	v_addc_co_u32_e32 v11, vcc, v20, v11, vcc
                                        ; implicit-def: $vgpr30
.LBB594_148:
	s_andn2_saveexec_b64 s[6:7], s[6:7]
	s_cbranch_execz .LBB594_150
; %bb.149:
	s_waitcnt lgkmcnt(5)
	v_add_co_u32_e32 v10, vcc, v1, v30
	v_addc_co_u32_e32 v11, vcc, 0, v16, vcc
.LBB594_150:
	s_or_b64 exec, exec, s[6:7]
	s_waitcnt lgkmcnt(5)
	v_lshlrev_b64 v[10:11], 2, v[10:11]
	v_mov_b32_e32 v12, s25
	v_add_co_u32_e32 v10, vcc, s24, v10
	v_addc_co_u32_e32 v11, vcc, v12, v11, vcc
	s_waitcnt lgkmcnt(4)
	global_store_dword v[10:11], v8, off
	s_or_b64 exec, exec, s[4:5]
	v_cmp_gt_u32_e32 vcc, s33, v29
	s_and_saveexec_b64 s[4:5], vcc
	s_cbranch_execnz .LBB594_182
.LBB594_151:
	s_or_b64 exec, exec, s[4:5]
	v_cmp_gt_u32_e32 vcc, s33, v28
	s_and_saveexec_b64 s[4:5], vcc
	s_cbranch_execz .LBB594_187
.LBB594_152:
	v_cmp_ge_u32_e32 vcc, v28, v18
                                        ; implicit-def: $vgpr8_vgpr9
	s_and_saveexec_b64 s[6:7], vcc
	s_xor_b64 s[6:7], exec, s[6:7]
	s_cbranch_execz .LBB594_154
; %bb.153:
	s_waitcnt lgkmcnt(4)
	v_xor_b32_e32 v8, 0xfffff9ff, v0
	v_ashrrev_i32_e32 v9, 31, v8
	v_add_co_u32_e32 v8, vcc, v19, v8
	v_addc_co_u32_e32 v9, vcc, v20, v9, vcc
                                        ; implicit-def: $vgpr28
.LBB594_154:
	s_andn2_saveexec_b64 s[6:7], s[6:7]
	s_cbranch_execz .LBB594_156
; %bb.155:
	s_waitcnt lgkmcnt(4)
	v_add_co_u32_e32 v8, vcc, v1, v28
	v_addc_co_u32_e32 v9, vcc, 0, v16, vcc
.LBB594_156:
	s_or_b64 exec, exec, s[6:7]
	s_waitcnt lgkmcnt(4)
	v_lshlrev_b64 v[8:9], 2, v[8:9]
	v_mov_b32_e32 v10, s25
	v_add_co_u32_e32 v8, vcc, s24, v8
	v_addc_co_u32_e32 v9, vcc, v10, v9, vcc
	s_waitcnt lgkmcnt(3)
	global_store_dword v[8:9], v6, off
	s_or_b64 exec, exec, s[4:5]
	v_cmp_gt_u32_e32 vcc, s33, v27
	s_and_saveexec_b64 s[4:5], vcc
	s_cbranch_execnz .LBB594_188
.LBB594_157:
	s_or_b64 exec, exec, s[4:5]
	v_cmp_gt_u32_e32 vcc, s33, v26
	s_and_saveexec_b64 s[4:5], vcc
	s_cbranch_execz .LBB594_193
.LBB594_158:
	v_cmp_ge_u32_e32 vcc, v26, v18
                                        ; implicit-def: $vgpr6_vgpr7
	s_and_saveexec_b64 s[6:7], vcc
	s_xor_b64 s[6:7], exec, s[6:7]
	s_cbranch_execz .LBB594_160
; %bb.159:
	s_waitcnt lgkmcnt(3)
	v_xor_b32_e32 v6, 0xfffff7ff, v0
	v_ashrrev_i32_e32 v7, 31, v6
	v_add_co_u32_e32 v6, vcc, v19, v6
	v_addc_co_u32_e32 v7, vcc, v20, v7, vcc
                                        ; implicit-def: $vgpr26
.LBB594_160:
	s_andn2_saveexec_b64 s[6:7], s[6:7]
	s_cbranch_execz .LBB594_162
; %bb.161:
	s_waitcnt lgkmcnt(3)
	v_add_co_u32_e32 v6, vcc, v1, v26
	v_addc_co_u32_e32 v7, vcc, 0, v16, vcc
.LBB594_162:
	s_or_b64 exec, exec, s[6:7]
	s_waitcnt lgkmcnt(3)
	v_lshlrev_b64 v[6:7], 2, v[6:7]
	v_mov_b32_e32 v8, s25
	v_add_co_u32_e32 v6, vcc, s24, v6
	v_addc_co_u32_e32 v7, vcc, v8, v7, vcc
	s_waitcnt lgkmcnt(2)
	global_store_dword v[6:7], v4, off
	s_or_b64 exec, exec, s[4:5]
	v_cmp_gt_u32_e32 vcc, s33, v25
	s_and_saveexec_b64 s[4:5], vcc
	s_cbranch_execnz .LBB594_194
.LBB594_163:
	s_or_b64 exec, exec, s[4:5]
	v_cmp_gt_u32_e32 vcc, s33, v24
	s_and_saveexec_b64 s[4:5], vcc
	s_cbranch_execz .LBB594_199
.LBB594_164:
	v_cmp_ge_u32_e32 vcc, v24, v18
                                        ; implicit-def: $vgpr4_vgpr5
	s_and_saveexec_b64 s[6:7], vcc
	s_xor_b64 s[6:7], exec, s[6:7]
	s_cbranch_execz .LBB594_166
; %bb.165:
	s_waitcnt lgkmcnt(2)
	v_xor_b32_e32 v4, 0xfffff5ff, v0
	v_ashrrev_i32_e32 v5, 31, v4
	v_add_co_u32_e32 v4, vcc, v19, v4
	v_addc_co_u32_e32 v5, vcc, v20, v5, vcc
                                        ; implicit-def: $vgpr24
.LBB594_166:
	s_andn2_saveexec_b64 s[6:7], s[6:7]
	s_cbranch_execz .LBB594_168
; %bb.167:
	s_waitcnt lgkmcnt(2)
	v_add_co_u32_e32 v4, vcc, v1, v24
	v_addc_co_u32_e32 v5, vcc, 0, v16, vcc
.LBB594_168:
	s_or_b64 exec, exec, s[6:7]
	s_waitcnt lgkmcnt(2)
	v_lshlrev_b64 v[4:5], 2, v[4:5]
	v_mov_b32_e32 v6, s25
	v_add_co_u32_e32 v4, vcc, s24, v4
	v_addc_co_u32_e32 v5, vcc, v6, v5, vcc
	s_waitcnt lgkmcnt(1)
	global_store_dword v[4:5], v2, off
	s_or_b64 exec, exec, s[4:5]
	v_cmp_gt_u32_e32 vcc, s33, v23
	s_and_saveexec_b64 s[4:5], vcc
	s_cbranch_execz .LBB594_205
	s_branch .LBB594_200
.LBB594_169:
	s_or_b64 exec, exec, s[4:5]
	v_cmp_gt_u32_e32 vcc, s33, v33
	s_and_saveexec_b64 s[4:5], vcc
	s_cbranch_execz .LBB594_139
.LBB594_170:
	v_cmp_ge_u32_e32 vcc, v33, v18
                                        ; implicit-def: $vgpr14_vgpr15
	s_and_saveexec_b64 s[6:7], vcc
	s_xor_b64 s[6:7], exec, s[6:7]
	s_cbranch_execz .LBB594_172
; %bb.171:
	s_waitcnt lgkmcnt(6)
	v_xor_b32_e32 v12, 0xfffffeff, v0
	v_ashrrev_i32_e32 v15, 31, v12
	v_add_co_u32_e32 v14, vcc, v19, v12
	v_addc_co_u32_e32 v15, vcc, v20, v15, vcc
                                        ; implicit-def: $vgpr33
.LBB594_172:
	s_andn2_saveexec_b64 s[6:7], s[6:7]
; %bb.173:
	v_add_co_u32_e32 v14, vcc, v1, v33
	v_addc_co_u32_e32 v15, vcc, 0, v16, vcc
; %bb.174:
	s_or_b64 exec, exec, s[6:7]
	v_lshlrev_b64 v[14:15], 2, v[14:15]
	s_waitcnt lgkmcnt(6)
	v_mov_b32_e32 v12, s25
	v_add_co_u32_e32 v14, vcc, s24, v14
	v_addc_co_u32_e32 v15, vcc, v12, v15, vcc
	global_store_dword v[14:15], v13, off
	s_or_b64 exec, exec, s[4:5]
	v_cmp_gt_u32_e32 vcc, s33, v32
	s_and_saveexec_b64 s[4:5], vcc
	s_cbranch_execnz .LBB594_140
.LBB594_175:
	s_or_b64 exec, exec, s[4:5]
	v_cmp_gt_u32_e32 vcc, s33, v31
	s_and_saveexec_b64 s[4:5], vcc
	s_cbranch_execz .LBB594_145
.LBB594_176:
	v_cmp_ge_u32_e32 vcc, v31, v18
                                        ; implicit-def: $vgpr12_vgpr13
	s_and_saveexec_b64 s[6:7], vcc
	s_xor_b64 s[6:7], exec, s[6:7]
	s_cbranch_execz .LBB594_178
; %bb.177:
	s_waitcnt lgkmcnt(5)
	v_xor_b32_e32 v10, 0xfffffcff, v0
	v_ashrrev_i32_e32 v13, 31, v10
	v_add_co_u32_e32 v12, vcc, v19, v10
	v_addc_co_u32_e32 v13, vcc, v20, v13, vcc
                                        ; implicit-def: $vgpr31
.LBB594_178:
	s_andn2_saveexec_b64 s[6:7], s[6:7]
	s_cbranch_execz .LBB594_180
; %bb.179:
	s_waitcnt lgkmcnt(6)
	v_add_co_u32_e32 v12, vcc, v1, v31
	v_addc_co_u32_e32 v13, vcc, 0, v16, vcc
.LBB594_180:
	s_or_b64 exec, exec, s[6:7]
	s_waitcnt lgkmcnt(6)
	v_lshlrev_b64 v[12:13], 2, v[12:13]
	s_waitcnt lgkmcnt(5)
	v_mov_b32_e32 v10, s25
	v_add_co_u32_e32 v12, vcc, s24, v12
	v_addc_co_u32_e32 v13, vcc, v10, v13, vcc
	global_store_dword v[12:13], v11, off
	s_or_b64 exec, exec, s[4:5]
	v_cmp_gt_u32_e32 vcc, s33, v30
	s_and_saveexec_b64 s[4:5], vcc
	s_cbranch_execnz .LBB594_146
.LBB594_181:
	s_or_b64 exec, exec, s[4:5]
	v_cmp_gt_u32_e32 vcc, s33, v29
	s_and_saveexec_b64 s[4:5], vcc
	s_cbranch_execz .LBB594_151
.LBB594_182:
	v_cmp_ge_u32_e32 vcc, v29, v18
                                        ; implicit-def: $vgpr10_vgpr11
	s_and_saveexec_b64 s[6:7], vcc
	s_xor_b64 s[6:7], exec, s[6:7]
	s_cbranch_execz .LBB594_184
; %bb.183:
	s_waitcnt lgkmcnt(4)
	v_xor_b32_e32 v8, 0xfffffaff, v0
	v_ashrrev_i32_e32 v11, 31, v8
	v_add_co_u32_e32 v10, vcc, v19, v8
	v_addc_co_u32_e32 v11, vcc, v20, v11, vcc
                                        ; implicit-def: $vgpr29
.LBB594_184:
	s_andn2_saveexec_b64 s[6:7], s[6:7]
	s_cbranch_execz .LBB594_186
; %bb.185:
	s_waitcnt lgkmcnt(5)
	v_add_co_u32_e32 v10, vcc, v1, v29
	v_addc_co_u32_e32 v11, vcc, 0, v16, vcc
.LBB594_186:
	s_or_b64 exec, exec, s[6:7]
	s_waitcnt lgkmcnt(5)
	v_lshlrev_b64 v[10:11], 2, v[10:11]
	s_waitcnt lgkmcnt(4)
	v_mov_b32_e32 v8, s25
	v_add_co_u32_e32 v10, vcc, s24, v10
	v_addc_co_u32_e32 v11, vcc, v8, v11, vcc
	global_store_dword v[10:11], v9, off
	s_or_b64 exec, exec, s[4:5]
	v_cmp_gt_u32_e32 vcc, s33, v28
	s_and_saveexec_b64 s[4:5], vcc
	s_cbranch_execnz .LBB594_152
.LBB594_187:
	s_or_b64 exec, exec, s[4:5]
	v_cmp_gt_u32_e32 vcc, s33, v27
	s_and_saveexec_b64 s[4:5], vcc
	s_cbranch_execz .LBB594_157
.LBB594_188:
	v_cmp_ge_u32_e32 vcc, v27, v18
                                        ; implicit-def: $vgpr8_vgpr9
	s_and_saveexec_b64 s[6:7], vcc
	s_xor_b64 s[6:7], exec, s[6:7]
	s_cbranch_execz .LBB594_190
; %bb.189:
	s_waitcnt lgkmcnt(3)
	v_xor_b32_e32 v6, 0xfffff8ff, v0
	v_ashrrev_i32_e32 v9, 31, v6
	v_add_co_u32_e32 v8, vcc, v19, v6
	v_addc_co_u32_e32 v9, vcc, v20, v9, vcc
                                        ; implicit-def: $vgpr27
.LBB594_190:
	s_andn2_saveexec_b64 s[6:7], s[6:7]
	s_cbranch_execz .LBB594_192
; %bb.191:
	s_waitcnt lgkmcnt(4)
	v_add_co_u32_e32 v8, vcc, v1, v27
	v_addc_co_u32_e32 v9, vcc, 0, v16, vcc
.LBB594_192:
	s_or_b64 exec, exec, s[6:7]
	s_waitcnt lgkmcnt(4)
	v_lshlrev_b64 v[8:9], 2, v[8:9]
	s_waitcnt lgkmcnt(3)
	v_mov_b32_e32 v6, s25
	v_add_co_u32_e32 v8, vcc, s24, v8
	v_addc_co_u32_e32 v9, vcc, v6, v9, vcc
	global_store_dword v[8:9], v7, off
	s_or_b64 exec, exec, s[4:5]
	v_cmp_gt_u32_e32 vcc, s33, v26
	s_and_saveexec_b64 s[4:5], vcc
	s_cbranch_execnz .LBB594_158
.LBB594_193:
	s_or_b64 exec, exec, s[4:5]
	v_cmp_gt_u32_e32 vcc, s33, v25
	s_and_saveexec_b64 s[4:5], vcc
	s_cbranch_execz .LBB594_163
.LBB594_194:
	v_cmp_ge_u32_e32 vcc, v25, v18
                                        ; implicit-def: $vgpr6_vgpr7
	s_and_saveexec_b64 s[6:7], vcc
	s_xor_b64 s[6:7], exec, s[6:7]
	s_cbranch_execz .LBB594_196
; %bb.195:
	s_waitcnt lgkmcnt(2)
	v_xor_b32_e32 v4, 0xfffff6ff, v0
	v_ashrrev_i32_e32 v7, 31, v4
	v_add_co_u32_e32 v6, vcc, v19, v4
	v_addc_co_u32_e32 v7, vcc, v20, v7, vcc
                                        ; implicit-def: $vgpr25
.LBB594_196:
	s_andn2_saveexec_b64 s[6:7], s[6:7]
	s_cbranch_execz .LBB594_198
; %bb.197:
	s_waitcnt lgkmcnt(3)
	v_add_co_u32_e32 v6, vcc, v1, v25
	v_addc_co_u32_e32 v7, vcc, 0, v16, vcc
.LBB594_198:
	s_or_b64 exec, exec, s[6:7]
	s_waitcnt lgkmcnt(3)
	v_lshlrev_b64 v[6:7], 2, v[6:7]
	s_waitcnt lgkmcnt(2)
	v_mov_b32_e32 v4, s25
	v_add_co_u32_e32 v6, vcc, s24, v6
	v_addc_co_u32_e32 v7, vcc, v4, v7, vcc
	global_store_dword v[6:7], v5, off
	s_or_b64 exec, exec, s[4:5]
	v_cmp_gt_u32_e32 vcc, s33, v24
	s_and_saveexec_b64 s[4:5], vcc
	s_cbranch_execnz .LBB594_164
.LBB594_199:
	s_or_b64 exec, exec, s[4:5]
	v_cmp_gt_u32_e32 vcc, s33, v23
	s_and_saveexec_b64 s[4:5], vcc
	s_cbranch_execz .LBB594_205
.LBB594_200:
	v_cmp_ge_u32_e32 vcc, v23, v18
                                        ; implicit-def: $vgpr4_vgpr5
	s_and_saveexec_b64 s[6:7], vcc
	s_xor_b64 s[6:7], exec, s[6:7]
	s_cbranch_execz .LBB594_202
; %bb.201:
	s_waitcnt lgkmcnt(1)
	v_xor_b32_e32 v2, 0xfffff4ff, v0
	v_ashrrev_i32_e32 v5, 31, v2
	v_add_co_u32_e32 v4, vcc, v19, v2
	v_addc_co_u32_e32 v5, vcc, v20, v5, vcc
                                        ; implicit-def: $vgpr23
.LBB594_202:
	s_andn2_saveexec_b64 s[6:7], s[6:7]
	s_cbranch_execz .LBB594_204
; %bb.203:
	s_waitcnt lgkmcnt(2)
	v_add_co_u32_e32 v4, vcc, v1, v23
	v_addc_co_u32_e32 v5, vcc, 0, v16, vcc
.LBB594_204:
	s_or_b64 exec, exec, s[6:7]
	s_waitcnt lgkmcnt(2)
	v_lshlrev_b64 v[4:5], 2, v[4:5]
	s_waitcnt lgkmcnt(1)
	v_mov_b32_e32 v2, s25
	v_add_co_u32_e32 v4, vcc, s24, v4
	v_addc_co_u32_e32 v5, vcc, v2, v5, vcc
	global_store_dword v[4:5], v3, off
.LBB594_205:
	s_or_b64 exec, exec, s[4:5]
	v_cmp_gt_u32_e32 vcc, s33, v22
                                        ; implicit-def: $vgpr14_vgpr15
	s_and_saveexec_b64 s[4:5], vcc
	s_cbranch_execz .LBB594_211
; %bb.206:
	v_cmp_ge_u32_e32 vcc, v22, v18
                                        ; implicit-def: $vgpr14_vgpr15
	s_and_saveexec_b64 s[6:7], vcc
	s_xor_b64 s[6:7], exec, s[6:7]
	s_cbranch_execz .LBB594_208
; %bb.207:
	v_xor_b32_e32 v0, 0xfffff3ff, v0
	s_waitcnt lgkmcnt(1)
	v_ashrrev_i32_e32 v2, 31, v0
	v_add_co_u32_e32 v14, vcc, v19, v0
	v_addc_co_u32_e32 v15, vcc, v20, v2, vcc
                                        ; implicit-def: $vgpr22
.LBB594_208:
	s_andn2_saveexec_b64 s[6:7], s[6:7]
; %bb.209:
	v_add_co_u32_e32 v14, vcc, v1, v22
	v_addc_co_u32_e32 v15, vcc, 0, v16, vcc
; %bb.210:
	s_or_b64 exec, exec, s[6:7]
	s_or_b64 s[2:3], s[2:3], exec
.LBB594_211:
	s_or_b64 exec, exec, s[4:5]
	s_and_saveexec_b64 s[4:5], s[2:3]
	s_cbranch_execnz .LBB594_130
.LBB594_212:
	s_or_b64 exec, exec, s[4:5]
	s_and_b64 s[0:1], s[0:1], s[22:23]
	s_and_saveexec_b64 s[2:3], s[0:1]
	s_cbranch_execz .LBB594_131
.LBB594_213:
	v_add_co_u32_e32 v0, vcc, v1, v18
	s_waitcnt lgkmcnt(1)
	v_mov_b32_e32 v2, 0
	v_addc_co_u32_e32 v1, vcc, 0, v16, vcc
	global_store_dwordx2 v2, v[0:1], s[20:21]
	s_endpgm
	.section	.rodata,"a",@progbits
	.p2align	6, 0x0
	.amdhsa_kernel _ZN7rocprim17ROCPRIM_400000_NS6detail17trampoline_kernelINS0_13select_configILj256ELj13ELNS0_17block_load_methodE3ELS4_3ELS4_3ELNS0_20block_scan_algorithmE0ELj4294967295EEENS1_25partition_config_selectorILNS1_17partition_subalgoE3EjNS0_10empty_typeEbEEZZNS1_14partition_implILS8_3ELb0ES6_jNS0_17counting_iteratorIjlEEPS9_SE_NS0_5tupleIJPjSE_EEENSF_IJSE_SE_EEES9_SG_JZNS1_25segmented_radix_sort_implINS0_14default_configELb0EPKiPiPKlPlN2at6native12_GLOBAL__N_18offset_tEEE10hipError_tPvRmT1_PNSt15iterator_traitsISY_E10value_typeET2_T3_PNSZ_IS14_E10value_typeET4_jRbjT5_S1A_jjP12ihipStream_tbEUljE_EEESV_SW_SX_S14_S18_S1A_T6_T7_T9_mT8_S1C_bDpT10_ENKUlT_T0_E_clISt17integral_constantIbLb0EES1O_IbLb1EEEEDaS1K_S1L_EUlS1K_E_NS1_11comp_targetILNS1_3genE4ELNS1_11target_archE910ELNS1_3gpuE8ELNS1_3repE0EEENS1_30default_config_static_selectorELNS0_4arch9wavefront6targetE1EEEvSY_
		.amdhsa_group_segment_fixed_size 13324
		.amdhsa_private_segment_fixed_size 0
		.amdhsa_kernarg_size 152
		.amdhsa_user_sgpr_count 6
		.amdhsa_user_sgpr_private_segment_buffer 1
		.amdhsa_user_sgpr_dispatch_ptr 0
		.amdhsa_user_sgpr_queue_ptr 0
		.amdhsa_user_sgpr_kernarg_segment_ptr 1
		.amdhsa_user_sgpr_dispatch_id 0
		.amdhsa_user_sgpr_flat_scratch_init 0
		.amdhsa_user_sgpr_kernarg_preload_length 0
		.amdhsa_user_sgpr_kernarg_preload_offset 0
		.amdhsa_user_sgpr_private_segment_size 0
		.amdhsa_uses_dynamic_stack 0
		.amdhsa_system_sgpr_private_segment_wavefront_offset 0
		.amdhsa_system_sgpr_workgroup_id_x 1
		.amdhsa_system_sgpr_workgroup_id_y 0
		.amdhsa_system_sgpr_workgroup_id_z 0
		.amdhsa_system_sgpr_workgroup_info 0
		.amdhsa_system_vgpr_workitem_id 0
		.amdhsa_next_free_vgpr 64
		.amdhsa_next_free_sgpr 44
		.amdhsa_accum_offset 64
		.amdhsa_reserve_vcc 1
		.amdhsa_reserve_flat_scratch 0
		.amdhsa_float_round_mode_32 0
		.amdhsa_float_round_mode_16_64 0
		.amdhsa_float_denorm_mode_32 3
		.amdhsa_float_denorm_mode_16_64 3
		.amdhsa_dx10_clamp 1
		.amdhsa_ieee_mode 1
		.amdhsa_fp16_overflow 0
		.amdhsa_tg_split 0
		.amdhsa_exception_fp_ieee_invalid_op 0
		.amdhsa_exception_fp_denorm_src 0
		.amdhsa_exception_fp_ieee_div_zero 0
		.amdhsa_exception_fp_ieee_overflow 0
		.amdhsa_exception_fp_ieee_underflow 0
		.amdhsa_exception_fp_ieee_inexact 0
		.amdhsa_exception_int_div_zero 0
	.end_amdhsa_kernel
	.section	.text._ZN7rocprim17ROCPRIM_400000_NS6detail17trampoline_kernelINS0_13select_configILj256ELj13ELNS0_17block_load_methodE3ELS4_3ELS4_3ELNS0_20block_scan_algorithmE0ELj4294967295EEENS1_25partition_config_selectorILNS1_17partition_subalgoE3EjNS0_10empty_typeEbEEZZNS1_14partition_implILS8_3ELb0ES6_jNS0_17counting_iteratorIjlEEPS9_SE_NS0_5tupleIJPjSE_EEENSF_IJSE_SE_EEES9_SG_JZNS1_25segmented_radix_sort_implINS0_14default_configELb0EPKiPiPKlPlN2at6native12_GLOBAL__N_18offset_tEEE10hipError_tPvRmT1_PNSt15iterator_traitsISY_E10value_typeET2_T3_PNSZ_IS14_E10value_typeET4_jRbjT5_S1A_jjP12ihipStream_tbEUljE_EEESV_SW_SX_S14_S18_S1A_T6_T7_T9_mT8_S1C_bDpT10_ENKUlT_T0_E_clISt17integral_constantIbLb0EES1O_IbLb1EEEEDaS1K_S1L_EUlS1K_E_NS1_11comp_targetILNS1_3genE4ELNS1_11target_archE910ELNS1_3gpuE8ELNS1_3repE0EEENS1_30default_config_static_selectorELNS0_4arch9wavefront6targetE1EEEvSY_,"axG",@progbits,_ZN7rocprim17ROCPRIM_400000_NS6detail17trampoline_kernelINS0_13select_configILj256ELj13ELNS0_17block_load_methodE3ELS4_3ELS4_3ELNS0_20block_scan_algorithmE0ELj4294967295EEENS1_25partition_config_selectorILNS1_17partition_subalgoE3EjNS0_10empty_typeEbEEZZNS1_14partition_implILS8_3ELb0ES6_jNS0_17counting_iteratorIjlEEPS9_SE_NS0_5tupleIJPjSE_EEENSF_IJSE_SE_EEES9_SG_JZNS1_25segmented_radix_sort_implINS0_14default_configELb0EPKiPiPKlPlN2at6native12_GLOBAL__N_18offset_tEEE10hipError_tPvRmT1_PNSt15iterator_traitsISY_E10value_typeET2_T3_PNSZ_IS14_E10value_typeET4_jRbjT5_S1A_jjP12ihipStream_tbEUljE_EEESV_SW_SX_S14_S18_S1A_T6_T7_T9_mT8_S1C_bDpT10_ENKUlT_T0_E_clISt17integral_constantIbLb0EES1O_IbLb1EEEEDaS1K_S1L_EUlS1K_E_NS1_11comp_targetILNS1_3genE4ELNS1_11target_archE910ELNS1_3gpuE8ELNS1_3repE0EEENS1_30default_config_static_selectorELNS0_4arch9wavefront6targetE1EEEvSY_,comdat
.Lfunc_end594:
	.size	_ZN7rocprim17ROCPRIM_400000_NS6detail17trampoline_kernelINS0_13select_configILj256ELj13ELNS0_17block_load_methodE3ELS4_3ELS4_3ELNS0_20block_scan_algorithmE0ELj4294967295EEENS1_25partition_config_selectorILNS1_17partition_subalgoE3EjNS0_10empty_typeEbEEZZNS1_14partition_implILS8_3ELb0ES6_jNS0_17counting_iteratorIjlEEPS9_SE_NS0_5tupleIJPjSE_EEENSF_IJSE_SE_EEES9_SG_JZNS1_25segmented_radix_sort_implINS0_14default_configELb0EPKiPiPKlPlN2at6native12_GLOBAL__N_18offset_tEEE10hipError_tPvRmT1_PNSt15iterator_traitsISY_E10value_typeET2_T3_PNSZ_IS14_E10value_typeET4_jRbjT5_S1A_jjP12ihipStream_tbEUljE_EEESV_SW_SX_S14_S18_S1A_T6_T7_T9_mT8_S1C_bDpT10_ENKUlT_T0_E_clISt17integral_constantIbLb0EES1O_IbLb1EEEEDaS1K_S1L_EUlS1K_E_NS1_11comp_targetILNS1_3genE4ELNS1_11target_archE910ELNS1_3gpuE8ELNS1_3repE0EEENS1_30default_config_static_selectorELNS0_4arch9wavefront6targetE1EEEvSY_, .Lfunc_end594-_ZN7rocprim17ROCPRIM_400000_NS6detail17trampoline_kernelINS0_13select_configILj256ELj13ELNS0_17block_load_methodE3ELS4_3ELS4_3ELNS0_20block_scan_algorithmE0ELj4294967295EEENS1_25partition_config_selectorILNS1_17partition_subalgoE3EjNS0_10empty_typeEbEEZZNS1_14partition_implILS8_3ELb0ES6_jNS0_17counting_iteratorIjlEEPS9_SE_NS0_5tupleIJPjSE_EEENSF_IJSE_SE_EEES9_SG_JZNS1_25segmented_radix_sort_implINS0_14default_configELb0EPKiPiPKlPlN2at6native12_GLOBAL__N_18offset_tEEE10hipError_tPvRmT1_PNSt15iterator_traitsISY_E10value_typeET2_T3_PNSZ_IS14_E10value_typeET4_jRbjT5_S1A_jjP12ihipStream_tbEUljE_EEESV_SW_SX_S14_S18_S1A_T6_T7_T9_mT8_S1C_bDpT10_ENKUlT_T0_E_clISt17integral_constantIbLb0EES1O_IbLb1EEEEDaS1K_S1L_EUlS1K_E_NS1_11comp_targetILNS1_3genE4ELNS1_11target_archE910ELNS1_3gpuE8ELNS1_3repE0EEENS1_30default_config_static_selectorELNS0_4arch9wavefront6targetE1EEEvSY_
                                        ; -- End function
	.section	.AMDGPU.csdata,"",@progbits
; Kernel info:
; codeLenInByte = 7816
; NumSgprs: 48
; NumVgprs: 64
; NumAgprs: 0
; TotalNumVgprs: 64
; ScratchSize: 0
; MemoryBound: 0
; FloatMode: 240
; IeeeMode: 1
; LDSByteSize: 13324 bytes/workgroup (compile time only)
; SGPRBlocks: 5
; VGPRBlocks: 7
; NumSGPRsForWavesPerEU: 48
; NumVGPRsForWavesPerEU: 64
; AccumOffset: 64
; Occupancy: 4
; WaveLimiterHint : 0
; COMPUTE_PGM_RSRC2:SCRATCH_EN: 0
; COMPUTE_PGM_RSRC2:USER_SGPR: 6
; COMPUTE_PGM_RSRC2:TRAP_HANDLER: 0
; COMPUTE_PGM_RSRC2:TGID_X_EN: 1
; COMPUTE_PGM_RSRC2:TGID_Y_EN: 0
; COMPUTE_PGM_RSRC2:TGID_Z_EN: 0
; COMPUTE_PGM_RSRC2:TIDIG_COMP_CNT: 0
; COMPUTE_PGM_RSRC3_GFX90A:ACCUM_OFFSET: 15
; COMPUTE_PGM_RSRC3_GFX90A:TG_SPLIT: 0
	.section	.text._ZN7rocprim17ROCPRIM_400000_NS6detail17trampoline_kernelINS0_13select_configILj256ELj13ELNS0_17block_load_methodE3ELS4_3ELS4_3ELNS0_20block_scan_algorithmE0ELj4294967295EEENS1_25partition_config_selectorILNS1_17partition_subalgoE3EjNS0_10empty_typeEbEEZZNS1_14partition_implILS8_3ELb0ES6_jNS0_17counting_iteratorIjlEEPS9_SE_NS0_5tupleIJPjSE_EEENSF_IJSE_SE_EEES9_SG_JZNS1_25segmented_radix_sort_implINS0_14default_configELb0EPKiPiPKlPlN2at6native12_GLOBAL__N_18offset_tEEE10hipError_tPvRmT1_PNSt15iterator_traitsISY_E10value_typeET2_T3_PNSZ_IS14_E10value_typeET4_jRbjT5_S1A_jjP12ihipStream_tbEUljE_EEESV_SW_SX_S14_S18_S1A_T6_T7_T9_mT8_S1C_bDpT10_ENKUlT_T0_E_clISt17integral_constantIbLb0EES1O_IbLb1EEEEDaS1K_S1L_EUlS1K_E_NS1_11comp_targetILNS1_3genE3ELNS1_11target_archE908ELNS1_3gpuE7ELNS1_3repE0EEENS1_30default_config_static_selectorELNS0_4arch9wavefront6targetE1EEEvSY_,"axG",@progbits,_ZN7rocprim17ROCPRIM_400000_NS6detail17trampoline_kernelINS0_13select_configILj256ELj13ELNS0_17block_load_methodE3ELS4_3ELS4_3ELNS0_20block_scan_algorithmE0ELj4294967295EEENS1_25partition_config_selectorILNS1_17partition_subalgoE3EjNS0_10empty_typeEbEEZZNS1_14partition_implILS8_3ELb0ES6_jNS0_17counting_iteratorIjlEEPS9_SE_NS0_5tupleIJPjSE_EEENSF_IJSE_SE_EEES9_SG_JZNS1_25segmented_radix_sort_implINS0_14default_configELb0EPKiPiPKlPlN2at6native12_GLOBAL__N_18offset_tEEE10hipError_tPvRmT1_PNSt15iterator_traitsISY_E10value_typeET2_T3_PNSZ_IS14_E10value_typeET4_jRbjT5_S1A_jjP12ihipStream_tbEUljE_EEESV_SW_SX_S14_S18_S1A_T6_T7_T9_mT8_S1C_bDpT10_ENKUlT_T0_E_clISt17integral_constantIbLb0EES1O_IbLb1EEEEDaS1K_S1L_EUlS1K_E_NS1_11comp_targetILNS1_3genE3ELNS1_11target_archE908ELNS1_3gpuE7ELNS1_3repE0EEENS1_30default_config_static_selectorELNS0_4arch9wavefront6targetE1EEEvSY_,comdat
	.globl	_ZN7rocprim17ROCPRIM_400000_NS6detail17trampoline_kernelINS0_13select_configILj256ELj13ELNS0_17block_load_methodE3ELS4_3ELS4_3ELNS0_20block_scan_algorithmE0ELj4294967295EEENS1_25partition_config_selectorILNS1_17partition_subalgoE3EjNS0_10empty_typeEbEEZZNS1_14partition_implILS8_3ELb0ES6_jNS0_17counting_iteratorIjlEEPS9_SE_NS0_5tupleIJPjSE_EEENSF_IJSE_SE_EEES9_SG_JZNS1_25segmented_radix_sort_implINS0_14default_configELb0EPKiPiPKlPlN2at6native12_GLOBAL__N_18offset_tEEE10hipError_tPvRmT1_PNSt15iterator_traitsISY_E10value_typeET2_T3_PNSZ_IS14_E10value_typeET4_jRbjT5_S1A_jjP12ihipStream_tbEUljE_EEESV_SW_SX_S14_S18_S1A_T6_T7_T9_mT8_S1C_bDpT10_ENKUlT_T0_E_clISt17integral_constantIbLb0EES1O_IbLb1EEEEDaS1K_S1L_EUlS1K_E_NS1_11comp_targetILNS1_3genE3ELNS1_11target_archE908ELNS1_3gpuE7ELNS1_3repE0EEENS1_30default_config_static_selectorELNS0_4arch9wavefront6targetE1EEEvSY_ ; -- Begin function _ZN7rocprim17ROCPRIM_400000_NS6detail17trampoline_kernelINS0_13select_configILj256ELj13ELNS0_17block_load_methodE3ELS4_3ELS4_3ELNS0_20block_scan_algorithmE0ELj4294967295EEENS1_25partition_config_selectorILNS1_17partition_subalgoE3EjNS0_10empty_typeEbEEZZNS1_14partition_implILS8_3ELb0ES6_jNS0_17counting_iteratorIjlEEPS9_SE_NS0_5tupleIJPjSE_EEENSF_IJSE_SE_EEES9_SG_JZNS1_25segmented_radix_sort_implINS0_14default_configELb0EPKiPiPKlPlN2at6native12_GLOBAL__N_18offset_tEEE10hipError_tPvRmT1_PNSt15iterator_traitsISY_E10value_typeET2_T3_PNSZ_IS14_E10value_typeET4_jRbjT5_S1A_jjP12ihipStream_tbEUljE_EEESV_SW_SX_S14_S18_S1A_T6_T7_T9_mT8_S1C_bDpT10_ENKUlT_T0_E_clISt17integral_constantIbLb0EES1O_IbLb1EEEEDaS1K_S1L_EUlS1K_E_NS1_11comp_targetILNS1_3genE3ELNS1_11target_archE908ELNS1_3gpuE7ELNS1_3repE0EEENS1_30default_config_static_selectorELNS0_4arch9wavefront6targetE1EEEvSY_
	.p2align	8
	.type	_ZN7rocprim17ROCPRIM_400000_NS6detail17trampoline_kernelINS0_13select_configILj256ELj13ELNS0_17block_load_methodE3ELS4_3ELS4_3ELNS0_20block_scan_algorithmE0ELj4294967295EEENS1_25partition_config_selectorILNS1_17partition_subalgoE3EjNS0_10empty_typeEbEEZZNS1_14partition_implILS8_3ELb0ES6_jNS0_17counting_iteratorIjlEEPS9_SE_NS0_5tupleIJPjSE_EEENSF_IJSE_SE_EEES9_SG_JZNS1_25segmented_radix_sort_implINS0_14default_configELb0EPKiPiPKlPlN2at6native12_GLOBAL__N_18offset_tEEE10hipError_tPvRmT1_PNSt15iterator_traitsISY_E10value_typeET2_T3_PNSZ_IS14_E10value_typeET4_jRbjT5_S1A_jjP12ihipStream_tbEUljE_EEESV_SW_SX_S14_S18_S1A_T6_T7_T9_mT8_S1C_bDpT10_ENKUlT_T0_E_clISt17integral_constantIbLb0EES1O_IbLb1EEEEDaS1K_S1L_EUlS1K_E_NS1_11comp_targetILNS1_3genE3ELNS1_11target_archE908ELNS1_3gpuE7ELNS1_3repE0EEENS1_30default_config_static_selectorELNS0_4arch9wavefront6targetE1EEEvSY_,@function
_ZN7rocprim17ROCPRIM_400000_NS6detail17trampoline_kernelINS0_13select_configILj256ELj13ELNS0_17block_load_methodE3ELS4_3ELS4_3ELNS0_20block_scan_algorithmE0ELj4294967295EEENS1_25partition_config_selectorILNS1_17partition_subalgoE3EjNS0_10empty_typeEbEEZZNS1_14partition_implILS8_3ELb0ES6_jNS0_17counting_iteratorIjlEEPS9_SE_NS0_5tupleIJPjSE_EEENSF_IJSE_SE_EEES9_SG_JZNS1_25segmented_radix_sort_implINS0_14default_configELb0EPKiPiPKlPlN2at6native12_GLOBAL__N_18offset_tEEE10hipError_tPvRmT1_PNSt15iterator_traitsISY_E10value_typeET2_T3_PNSZ_IS14_E10value_typeET4_jRbjT5_S1A_jjP12ihipStream_tbEUljE_EEESV_SW_SX_S14_S18_S1A_T6_T7_T9_mT8_S1C_bDpT10_ENKUlT_T0_E_clISt17integral_constantIbLb0EES1O_IbLb1EEEEDaS1K_S1L_EUlS1K_E_NS1_11comp_targetILNS1_3genE3ELNS1_11target_archE908ELNS1_3gpuE7ELNS1_3repE0EEENS1_30default_config_static_selectorELNS0_4arch9wavefront6targetE1EEEvSY_: ; @_ZN7rocprim17ROCPRIM_400000_NS6detail17trampoline_kernelINS0_13select_configILj256ELj13ELNS0_17block_load_methodE3ELS4_3ELS4_3ELNS0_20block_scan_algorithmE0ELj4294967295EEENS1_25partition_config_selectorILNS1_17partition_subalgoE3EjNS0_10empty_typeEbEEZZNS1_14partition_implILS8_3ELb0ES6_jNS0_17counting_iteratorIjlEEPS9_SE_NS0_5tupleIJPjSE_EEENSF_IJSE_SE_EEES9_SG_JZNS1_25segmented_radix_sort_implINS0_14default_configELb0EPKiPiPKlPlN2at6native12_GLOBAL__N_18offset_tEEE10hipError_tPvRmT1_PNSt15iterator_traitsISY_E10value_typeET2_T3_PNSZ_IS14_E10value_typeET4_jRbjT5_S1A_jjP12ihipStream_tbEUljE_EEESV_SW_SX_S14_S18_S1A_T6_T7_T9_mT8_S1C_bDpT10_ENKUlT_T0_E_clISt17integral_constantIbLb0EES1O_IbLb1EEEEDaS1K_S1L_EUlS1K_E_NS1_11comp_targetILNS1_3genE3ELNS1_11target_archE908ELNS1_3gpuE7ELNS1_3repE0EEENS1_30default_config_static_selectorELNS0_4arch9wavefront6targetE1EEEvSY_
; %bb.0:
	.section	.rodata,"a",@progbits
	.p2align	6, 0x0
	.amdhsa_kernel _ZN7rocprim17ROCPRIM_400000_NS6detail17trampoline_kernelINS0_13select_configILj256ELj13ELNS0_17block_load_methodE3ELS4_3ELS4_3ELNS0_20block_scan_algorithmE0ELj4294967295EEENS1_25partition_config_selectorILNS1_17partition_subalgoE3EjNS0_10empty_typeEbEEZZNS1_14partition_implILS8_3ELb0ES6_jNS0_17counting_iteratorIjlEEPS9_SE_NS0_5tupleIJPjSE_EEENSF_IJSE_SE_EEES9_SG_JZNS1_25segmented_radix_sort_implINS0_14default_configELb0EPKiPiPKlPlN2at6native12_GLOBAL__N_18offset_tEEE10hipError_tPvRmT1_PNSt15iterator_traitsISY_E10value_typeET2_T3_PNSZ_IS14_E10value_typeET4_jRbjT5_S1A_jjP12ihipStream_tbEUljE_EEESV_SW_SX_S14_S18_S1A_T6_T7_T9_mT8_S1C_bDpT10_ENKUlT_T0_E_clISt17integral_constantIbLb0EES1O_IbLb1EEEEDaS1K_S1L_EUlS1K_E_NS1_11comp_targetILNS1_3genE3ELNS1_11target_archE908ELNS1_3gpuE7ELNS1_3repE0EEENS1_30default_config_static_selectorELNS0_4arch9wavefront6targetE1EEEvSY_
		.amdhsa_group_segment_fixed_size 0
		.amdhsa_private_segment_fixed_size 0
		.amdhsa_kernarg_size 152
		.amdhsa_user_sgpr_count 6
		.amdhsa_user_sgpr_private_segment_buffer 1
		.amdhsa_user_sgpr_dispatch_ptr 0
		.amdhsa_user_sgpr_queue_ptr 0
		.amdhsa_user_sgpr_kernarg_segment_ptr 1
		.amdhsa_user_sgpr_dispatch_id 0
		.amdhsa_user_sgpr_flat_scratch_init 0
		.amdhsa_user_sgpr_kernarg_preload_length 0
		.amdhsa_user_sgpr_kernarg_preload_offset 0
		.amdhsa_user_sgpr_private_segment_size 0
		.amdhsa_uses_dynamic_stack 0
		.amdhsa_system_sgpr_private_segment_wavefront_offset 0
		.amdhsa_system_sgpr_workgroup_id_x 1
		.amdhsa_system_sgpr_workgroup_id_y 0
		.amdhsa_system_sgpr_workgroup_id_z 0
		.amdhsa_system_sgpr_workgroup_info 0
		.amdhsa_system_vgpr_workitem_id 0
		.amdhsa_next_free_vgpr 1
		.amdhsa_next_free_sgpr 0
		.amdhsa_accum_offset 4
		.amdhsa_reserve_vcc 0
		.amdhsa_reserve_flat_scratch 0
		.amdhsa_float_round_mode_32 0
		.amdhsa_float_round_mode_16_64 0
		.amdhsa_float_denorm_mode_32 3
		.amdhsa_float_denorm_mode_16_64 3
		.amdhsa_dx10_clamp 1
		.amdhsa_ieee_mode 1
		.amdhsa_fp16_overflow 0
		.amdhsa_tg_split 0
		.amdhsa_exception_fp_ieee_invalid_op 0
		.amdhsa_exception_fp_denorm_src 0
		.amdhsa_exception_fp_ieee_div_zero 0
		.amdhsa_exception_fp_ieee_overflow 0
		.amdhsa_exception_fp_ieee_underflow 0
		.amdhsa_exception_fp_ieee_inexact 0
		.amdhsa_exception_int_div_zero 0
	.end_amdhsa_kernel
	.section	.text._ZN7rocprim17ROCPRIM_400000_NS6detail17trampoline_kernelINS0_13select_configILj256ELj13ELNS0_17block_load_methodE3ELS4_3ELS4_3ELNS0_20block_scan_algorithmE0ELj4294967295EEENS1_25partition_config_selectorILNS1_17partition_subalgoE3EjNS0_10empty_typeEbEEZZNS1_14partition_implILS8_3ELb0ES6_jNS0_17counting_iteratorIjlEEPS9_SE_NS0_5tupleIJPjSE_EEENSF_IJSE_SE_EEES9_SG_JZNS1_25segmented_radix_sort_implINS0_14default_configELb0EPKiPiPKlPlN2at6native12_GLOBAL__N_18offset_tEEE10hipError_tPvRmT1_PNSt15iterator_traitsISY_E10value_typeET2_T3_PNSZ_IS14_E10value_typeET4_jRbjT5_S1A_jjP12ihipStream_tbEUljE_EEESV_SW_SX_S14_S18_S1A_T6_T7_T9_mT8_S1C_bDpT10_ENKUlT_T0_E_clISt17integral_constantIbLb0EES1O_IbLb1EEEEDaS1K_S1L_EUlS1K_E_NS1_11comp_targetILNS1_3genE3ELNS1_11target_archE908ELNS1_3gpuE7ELNS1_3repE0EEENS1_30default_config_static_selectorELNS0_4arch9wavefront6targetE1EEEvSY_,"axG",@progbits,_ZN7rocprim17ROCPRIM_400000_NS6detail17trampoline_kernelINS0_13select_configILj256ELj13ELNS0_17block_load_methodE3ELS4_3ELS4_3ELNS0_20block_scan_algorithmE0ELj4294967295EEENS1_25partition_config_selectorILNS1_17partition_subalgoE3EjNS0_10empty_typeEbEEZZNS1_14partition_implILS8_3ELb0ES6_jNS0_17counting_iteratorIjlEEPS9_SE_NS0_5tupleIJPjSE_EEENSF_IJSE_SE_EEES9_SG_JZNS1_25segmented_radix_sort_implINS0_14default_configELb0EPKiPiPKlPlN2at6native12_GLOBAL__N_18offset_tEEE10hipError_tPvRmT1_PNSt15iterator_traitsISY_E10value_typeET2_T3_PNSZ_IS14_E10value_typeET4_jRbjT5_S1A_jjP12ihipStream_tbEUljE_EEESV_SW_SX_S14_S18_S1A_T6_T7_T9_mT8_S1C_bDpT10_ENKUlT_T0_E_clISt17integral_constantIbLb0EES1O_IbLb1EEEEDaS1K_S1L_EUlS1K_E_NS1_11comp_targetILNS1_3genE3ELNS1_11target_archE908ELNS1_3gpuE7ELNS1_3repE0EEENS1_30default_config_static_selectorELNS0_4arch9wavefront6targetE1EEEvSY_,comdat
.Lfunc_end595:
	.size	_ZN7rocprim17ROCPRIM_400000_NS6detail17trampoline_kernelINS0_13select_configILj256ELj13ELNS0_17block_load_methodE3ELS4_3ELS4_3ELNS0_20block_scan_algorithmE0ELj4294967295EEENS1_25partition_config_selectorILNS1_17partition_subalgoE3EjNS0_10empty_typeEbEEZZNS1_14partition_implILS8_3ELb0ES6_jNS0_17counting_iteratorIjlEEPS9_SE_NS0_5tupleIJPjSE_EEENSF_IJSE_SE_EEES9_SG_JZNS1_25segmented_radix_sort_implINS0_14default_configELb0EPKiPiPKlPlN2at6native12_GLOBAL__N_18offset_tEEE10hipError_tPvRmT1_PNSt15iterator_traitsISY_E10value_typeET2_T3_PNSZ_IS14_E10value_typeET4_jRbjT5_S1A_jjP12ihipStream_tbEUljE_EEESV_SW_SX_S14_S18_S1A_T6_T7_T9_mT8_S1C_bDpT10_ENKUlT_T0_E_clISt17integral_constantIbLb0EES1O_IbLb1EEEEDaS1K_S1L_EUlS1K_E_NS1_11comp_targetILNS1_3genE3ELNS1_11target_archE908ELNS1_3gpuE7ELNS1_3repE0EEENS1_30default_config_static_selectorELNS0_4arch9wavefront6targetE1EEEvSY_, .Lfunc_end595-_ZN7rocprim17ROCPRIM_400000_NS6detail17trampoline_kernelINS0_13select_configILj256ELj13ELNS0_17block_load_methodE3ELS4_3ELS4_3ELNS0_20block_scan_algorithmE0ELj4294967295EEENS1_25partition_config_selectorILNS1_17partition_subalgoE3EjNS0_10empty_typeEbEEZZNS1_14partition_implILS8_3ELb0ES6_jNS0_17counting_iteratorIjlEEPS9_SE_NS0_5tupleIJPjSE_EEENSF_IJSE_SE_EEES9_SG_JZNS1_25segmented_radix_sort_implINS0_14default_configELb0EPKiPiPKlPlN2at6native12_GLOBAL__N_18offset_tEEE10hipError_tPvRmT1_PNSt15iterator_traitsISY_E10value_typeET2_T3_PNSZ_IS14_E10value_typeET4_jRbjT5_S1A_jjP12ihipStream_tbEUljE_EEESV_SW_SX_S14_S18_S1A_T6_T7_T9_mT8_S1C_bDpT10_ENKUlT_T0_E_clISt17integral_constantIbLb0EES1O_IbLb1EEEEDaS1K_S1L_EUlS1K_E_NS1_11comp_targetILNS1_3genE3ELNS1_11target_archE908ELNS1_3gpuE7ELNS1_3repE0EEENS1_30default_config_static_selectorELNS0_4arch9wavefront6targetE1EEEvSY_
                                        ; -- End function
	.section	.AMDGPU.csdata,"",@progbits
; Kernel info:
; codeLenInByte = 0
; NumSgprs: 4
; NumVgprs: 0
; NumAgprs: 0
; TotalNumVgprs: 0
; ScratchSize: 0
; MemoryBound: 0
; FloatMode: 240
; IeeeMode: 1
; LDSByteSize: 0 bytes/workgroup (compile time only)
; SGPRBlocks: 0
; VGPRBlocks: 0
; NumSGPRsForWavesPerEU: 4
; NumVGPRsForWavesPerEU: 1
; AccumOffset: 4
; Occupancy: 8
; WaveLimiterHint : 0
; COMPUTE_PGM_RSRC2:SCRATCH_EN: 0
; COMPUTE_PGM_RSRC2:USER_SGPR: 6
; COMPUTE_PGM_RSRC2:TRAP_HANDLER: 0
; COMPUTE_PGM_RSRC2:TGID_X_EN: 1
; COMPUTE_PGM_RSRC2:TGID_Y_EN: 0
; COMPUTE_PGM_RSRC2:TGID_Z_EN: 0
; COMPUTE_PGM_RSRC2:TIDIG_COMP_CNT: 0
; COMPUTE_PGM_RSRC3_GFX90A:ACCUM_OFFSET: 0
; COMPUTE_PGM_RSRC3_GFX90A:TG_SPLIT: 0
	.section	.text._ZN7rocprim17ROCPRIM_400000_NS6detail17trampoline_kernelINS0_13select_configILj256ELj13ELNS0_17block_load_methodE3ELS4_3ELS4_3ELNS0_20block_scan_algorithmE0ELj4294967295EEENS1_25partition_config_selectorILNS1_17partition_subalgoE3EjNS0_10empty_typeEbEEZZNS1_14partition_implILS8_3ELb0ES6_jNS0_17counting_iteratorIjlEEPS9_SE_NS0_5tupleIJPjSE_EEENSF_IJSE_SE_EEES9_SG_JZNS1_25segmented_radix_sort_implINS0_14default_configELb0EPKiPiPKlPlN2at6native12_GLOBAL__N_18offset_tEEE10hipError_tPvRmT1_PNSt15iterator_traitsISY_E10value_typeET2_T3_PNSZ_IS14_E10value_typeET4_jRbjT5_S1A_jjP12ihipStream_tbEUljE_EEESV_SW_SX_S14_S18_S1A_T6_T7_T9_mT8_S1C_bDpT10_ENKUlT_T0_E_clISt17integral_constantIbLb0EES1O_IbLb1EEEEDaS1K_S1L_EUlS1K_E_NS1_11comp_targetILNS1_3genE2ELNS1_11target_archE906ELNS1_3gpuE6ELNS1_3repE0EEENS1_30default_config_static_selectorELNS0_4arch9wavefront6targetE1EEEvSY_,"axG",@progbits,_ZN7rocprim17ROCPRIM_400000_NS6detail17trampoline_kernelINS0_13select_configILj256ELj13ELNS0_17block_load_methodE3ELS4_3ELS4_3ELNS0_20block_scan_algorithmE0ELj4294967295EEENS1_25partition_config_selectorILNS1_17partition_subalgoE3EjNS0_10empty_typeEbEEZZNS1_14partition_implILS8_3ELb0ES6_jNS0_17counting_iteratorIjlEEPS9_SE_NS0_5tupleIJPjSE_EEENSF_IJSE_SE_EEES9_SG_JZNS1_25segmented_radix_sort_implINS0_14default_configELb0EPKiPiPKlPlN2at6native12_GLOBAL__N_18offset_tEEE10hipError_tPvRmT1_PNSt15iterator_traitsISY_E10value_typeET2_T3_PNSZ_IS14_E10value_typeET4_jRbjT5_S1A_jjP12ihipStream_tbEUljE_EEESV_SW_SX_S14_S18_S1A_T6_T7_T9_mT8_S1C_bDpT10_ENKUlT_T0_E_clISt17integral_constantIbLb0EES1O_IbLb1EEEEDaS1K_S1L_EUlS1K_E_NS1_11comp_targetILNS1_3genE2ELNS1_11target_archE906ELNS1_3gpuE6ELNS1_3repE0EEENS1_30default_config_static_selectorELNS0_4arch9wavefront6targetE1EEEvSY_,comdat
	.globl	_ZN7rocprim17ROCPRIM_400000_NS6detail17trampoline_kernelINS0_13select_configILj256ELj13ELNS0_17block_load_methodE3ELS4_3ELS4_3ELNS0_20block_scan_algorithmE0ELj4294967295EEENS1_25partition_config_selectorILNS1_17partition_subalgoE3EjNS0_10empty_typeEbEEZZNS1_14partition_implILS8_3ELb0ES6_jNS0_17counting_iteratorIjlEEPS9_SE_NS0_5tupleIJPjSE_EEENSF_IJSE_SE_EEES9_SG_JZNS1_25segmented_radix_sort_implINS0_14default_configELb0EPKiPiPKlPlN2at6native12_GLOBAL__N_18offset_tEEE10hipError_tPvRmT1_PNSt15iterator_traitsISY_E10value_typeET2_T3_PNSZ_IS14_E10value_typeET4_jRbjT5_S1A_jjP12ihipStream_tbEUljE_EEESV_SW_SX_S14_S18_S1A_T6_T7_T9_mT8_S1C_bDpT10_ENKUlT_T0_E_clISt17integral_constantIbLb0EES1O_IbLb1EEEEDaS1K_S1L_EUlS1K_E_NS1_11comp_targetILNS1_3genE2ELNS1_11target_archE906ELNS1_3gpuE6ELNS1_3repE0EEENS1_30default_config_static_selectorELNS0_4arch9wavefront6targetE1EEEvSY_ ; -- Begin function _ZN7rocprim17ROCPRIM_400000_NS6detail17trampoline_kernelINS0_13select_configILj256ELj13ELNS0_17block_load_methodE3ELS4_3ELS4_3ELNS0_20block_scan_algorithmE0ELj4294967295EEENS1_25partition_config_selectorILNS1_17partition_subalgoE3EjNS0_10empty_typeEbEEZZNS1_14partition_implILS8_3ELb0ES6_jNS0_17counting_iteratorIjlEEPS9_SE_NS0_5tupleIJPjSE_EEENSF_IJSE_SE_EEES9_SG_JZNS1_25segmented_radix_sort_implINS0_14default_configELb0EPKiPiPKlPlN2at6native12_GLOBAL__N_18offset_tEEE10hipError_tPvRmT1_PNSt15iterator_traitsISY_E10value_typeET2_T3_PNSZ_IS14_E10value_typeET4_jRbjT5_S1A_jjP12ihipStream_tbEUljE_EEESV_SW_SX_S14_S18_S1A_T6_T7_T9_mT8_S1C_bDpT10_ENKUlT_T0_E_clISt17integral_constantIbLb0EES1O_IbLb1EEEEDaS1K_S1L_EUlS1K_E_NS1_11comp_targetILNS1_3genE2ELNS1_11target_archE906ELNS1_3gpuE6ELNS1_3repE0EEENS1_30default_config_static_selectorELNS0_4arch9wavefront6targetE1EEEvSY_
	.p2align	8
	.type	_ZN7rocprim17ROCPRIM_400000_NS6detail17trampoline_kernelINS0_13select_configILj256ELj13ELNS0_17block_load_methodE3ELS4_3ELS4_3ELNS0_20block_scan_algorithmE0ELj4294967295EEENS1_25partition_config_selectorILNS1_17partition_subalgoE3EjNS0_10empty_typeEbEEZZNS1_14partition_implILS8_3ELb0ES6_jNS0_17counting_iteratorIjlEEPS9_SE_NS0_5tupleIJPjSE_EEENSF_IJSE_SE_EEES9_SG_JZNS1_25segmented_radix_sort_implINS0_14default_configELb0EPKiPiPKlPlN2at6native12_GLOBAL__N_18offset_tEEE10hipError_tPvRmT1_PNSt15iterator_traitsISY_E10value_typeET2_T3_PNSZ_IS14_E10value_typeET4_jRbjT5_S1A_jjP12ihipStream_tbEUljE_EEESV_SW_SX_S14_S18_S1A_T6_T7_T9_mT8_S1C_bDpT10_ENKUlT_T0_E_clISt17integral_constantIbLb0EES1O_IbLb1EEEEDaS1K_S1L_EUlS1K_E_NS1_11comp_targetILNS1_3genE2ELNS1_11target_archE906ELNS1_3gpuE6ELNS1_3repE0EEENS1_30default_config_static_selectorELNS0_4arch9wavefront6targetE1EEEvSY_,@function
_ZN7rocprim17ROCPRIM_400000_NS6detail17trampoline_kernelINS0_13select_configILj256ELj13ELNS0_17block_load_methodE3ELS4_3ELS4_3ELNS0_20block_scan_algorithmE0ELj4294967295EEENS1_25partition_config_selectorILNS1_17partition_subalgoE3EjNS0_10empty_typeEbEEZZNS1_14partition_implILS8_3ELb0ES6_jNS0_17counting_iteratorIjlEEPS9_SE_NS0_5tupleIJPjSE_EEENSF_IJSE_SE_EEES9_SG_JZNS1_25segmented_radix_sort_implINS0_14default_configELb0EPKiPiPKlPlN2at6native12_GLOBAL__N_18offset_tEEE10hipError_tPvRmT1_PNSt15iterator_traitsISY_E10value_typeET2_T3_PNSZ_IS14_E10value_typeET4_jRbjT5_S1A_jjP12ihipStream_tbEUljE_EEESV_SW_SX_S14_S18_S1A_T6_T7_T9_mT8_S1C_bDpT10_ENKUlT_T0_E_clISt17integral_constantIbLb0EES1O_IbLb1EEEEDaS1K_S1L_EUlS1K_E_NS1_11comp_targetILNS1_3genE2ELNS1_11target_archE906ELNS1_3gpuE6ELNS1_3repE0EEENS1_30default_config_static_selectorELNS0_4arch9wavefront6targetE1EEEvSY_: ; @_ZN7rocprim17ROCPRIM_400000_NS6detail17trampoline_kernelINS0_13select_configILj256ELj13ELNS0_17block_load_methodE3ELS4_3ELS4_3ELNS0_20block_scan_algorithmE0ELj4294967295EEENS1_25partition_config_selectorILNS1_17partition_subalgoE3EjNS0_10empty_typeEbEEZZNS1_14partition_implILS8_3ELb0ES6_jNS0_17counting_iteratorIjlEEPS9_SE_NS0_5tupleIJPjSE_EEENSF_IJSE_SE_EEES9_SG_JZNS1_25segmented_radix_sort_implINS0_14default_configELb0EPKiPiPKlPlN2at6native12_GLOBAL__N_18offset_tEEE10hipError_tPvRmT1_PNSt15iterator_traitsISY_E10value_typeET2_T3_PNSZ_IS14_E10value_typeET4_jRbjT5_S1A_jjP12ihipStream_tbEUljE_EEESV_SW_SX_S14_S18_S1A_T6_T7_T9_mT8_S1C_bDpT10_ENKUlT_T0_E_clISt17integral_constantIbLb0EES1O_IbLb1EEEEDaS1K_S1L_EUlS1K_E_NS1_11comp_targetILNS1_3genE2ELNS1_11target_archE906ELNS1_3gpuE6ELNS1_3repE0EEENS1_30default_config_static_selectorELNS0_4arch9wavefront6targetE1EEEvSY_
; %bb.0:
	.section	.rodata,"a",@progbits
	.p2align	6, 0x0
	.amdhsa_kernel _ZN7rocprim17ROCPRIM_400000_NS6detail17trampoline_kernelINS0_13select_configILj256ELj13ELNS0_17block_load_methodE3ELS4_3ELS4_3ELNS0_20block_scan_algorithmE0ELj4294967295EEENS1_25partition_config_selectorILNS1_17partition_subalgoE3EjNS0_10empty_typeEbEEZZNS1_14partition_implILS8_3ELb0ES6_jNS0_17counting_iteratorIjlEEPS9_SE_NS0_5tupleIJPjSE_EEENSF_IJSE_SE_EEES9_SG_JZNS1_25segmented_radix_sort_implINS0_14default_configELb0EPKiPiPKlPlN2at6native12_GLOBAL__N_18offset_tEEE10hipError_tPvRmT1_PNSt15iterator_traitsISY_E10value_typeET2_T3_PNSZ_IS14_E10value_typeET4_jRbjT5_S1A_jjP12ihipStream_tbEUljE_EEESV_SW_SX_S14_S18_S1A_T6_T7_T9_mT8_S1C_bDpT10_ENKUlT_T0_E_clISt17integral_constantIbLb0EES1O_IbLb1EEEEDaS1K_S1L_EUlS1K_E_NS1_11comp_targetILNS1_3genE2ELNS1_11target_archE906ELNS1_3gpuE6ELNS1_3repE0EEENS1_30default_config_static_selectorELNS0_4arch9wavefront6targetE1EEEvSY_
		.amdhsa_group_segment_fixed_size 0
		.amdhsa_private_segment_fixed_size 0
		.amdhsa_kernarg_size 152
		.amdhsa_user_sgpr_count 6
		.amdhsa_user_sgpr_private_segment_buffer 1
		.amdhsa_user_sgpr_dispatch_ptr 0
		.amdhsa_user_sgpr_queue_ptr 0
		.amdhsa_user_sgpr_kernarg_segment_ptr 1
		.amdhsa_user_sgpr_dispatch_id 0
		.amdhsa_user_sgpr_flat_scratch_init 0
		.amdhsa_user_sgpr_kernarg_preload_length 0
		.amdhsa_user_sgpr_kernarg_preload_offset 0
		.amdhsa_user_sgpr_private_segment_size 0
		.amdhsa_uses_dynamic_stack 0
		.amdhsa_system_sgpr_private_segment_wavefront_offset 0
		.amdhsa_system_sgpr_workgroup_id_x 1
		.amdhsa_system_sgpr_workgroup_id_y 0
		.amdhsa_system_sgpr_workgroup_id_z 0
		.amdhsa_system_sgpr_workgroup_info 0
		.amdhsa_system_vgpr_workitem_id 0
		.amdhsa_next_free_vgpr 1
		.amdhsa_next_free_sgpr 0
		.amdhsa_accum_offset 4
		.amdhsa_reserve_vcc 0
		.amdhsa_reserve_flat_scratch 0
		.amdhsa_float_round_mode_32 0
		.amdhsa_float_round_mode_16_64 0
		.amdhsa_float_denorm_mode_32 3
		.amdhsa_float_denorm_mode_16_64 3
		.amdhsa_dx10_clamp 1
		.amdhsa_ieee_mode 1
		.amdhsa_fp16_overflow 0
		.amdhsa_tg_split 0
		.amdhsa_exception_fp_ieee_invalid_op 0
		.amdhsa_exception_fp_denorm_src 0
		.amdhsa_exception_fp_ieee_div_zero 0
		.amdhsa_exception_fp_ieee_overflow 0
		.amdhsa_exception_fp_ieee_underflow 0
		.amdhsa_exception_fp_ieee_inexact 0
		.amdhsa_exception_int_div_zero 0
	.end_amdhsa_kernel
	.section	.text._ZN7rocprim17ROCPRIM_400000_NS6detail17trampoline_kernelINS0_13select_configILj256ELj13ELNS0_17block_load_methodE3ELS4_3ELS4_3ELNS0_20block_scan_algorithmE0ELj4294967295EEENS1_25partition_config_selectorILNS1_17partition_subalgoE3EjNS0_10empty_typeEbEEZZNS1_14partition_implILS8_3ELb0ES6_jNS0_17counting_iteratorIjlEEPS9_SE_NS0_5tupleIJPjSE_EEENSF_IJSE_SE_EEES9_SG_JZNS1_25segmented_radix_sort_implINS0_14default_configELb0EPKiPiPKlPlN2at6native12_GLOBAL__N_18offset_tEEE10hipError_tPvRmT1_PNSt15iterator_traitsISY_E10value_typeET2_T3_PNSZ_IS14_E10value_typeET4_jRbjT5_S1A_jjP12ihipStream_tbEUljE_EEESV_SW_SX_S14_S18_S1A_T6_T7_T9_mT8_S1C_bDpT10_ENKUlT_T0_E_clISt17integral_constantIbLb0EES1O_IbLb1EEEEDaS1K_S1L_EUlS1K_E_NS1_11comp_targetILNS1_3genE2ELNS1_11target_archE906ELNS1_3gpuE6ELNS1_3repE0EEENS1_30default_config_static_selectorELNS0_4arch9wavefront6targetE1EEEvSY_,"axG",@progbits,_ZN7rocprim17ROCPRIM_400000_NS6detail17trampoline_kernelINS0_13select_configILj256ELj13ELNS0_17block_load_methodE3ELS4_3ELS4_3ELNS0_20block_scan_algorithmE0ELj4294967295EEENS1_25partition_config_selectorILNS1_17partition_subalgoE3EjNS0_10empty_typeEbEEZZNS1_14partition_implILS8_3ELb0ES6_jNS0_17counting_iteratorIjlEEPS9_SE_NS0_5tupleIJPjSE_EEENSF_IJSE_SE_EEES9_SG_JZNS1_25segmented_radix_sort_implINS0_14default_configELb0EPKiPiPKlPlN2at6native12_GLOBAL__N_18offset_tEEE10hipError_tPvRmT1_PNSt15iterator_traitsISY_E10value_typeET2_T3_PNSZ_IS14_E10value_typeET4_jRbjT5_S1A_jjP12ihipStream_tbEUljE_EEESV_SW_SX_S14_S18_S1A_T6_T7_T9_mT8_S1C_bDpT10_ENKUlT_T0_E_clISt17integral_constantIbLb0EES1O_IbLb1EEEEDaS1K_S1L_EUlS1K_E_NS1_11comp_targetILNS1_3genE2ELNS1_11target_archE906ELNS1_3gpuE6ELNS1_3repE0EEENS1_30default_config_static_selectorELNS0_4arch9wavefront6targetE1EEEvSY_,comdat
.Lfunc_end596:
	.size	_ZN7rocprim17ROCPRIM_400000_NS6detail17trampoline_kernelINS0_13select_configILj256ELj13ELNS0_17block_load_methodE3ELS4_3ELS4_3ELNS0_20block_scan_algorithmE0ELj4294967295EEENS1_25partition_config_selectorILNS1_17partition_subalgoE3EjNS0_10empty_typeEbEEZZNS1_14partition_implILS8_3ELb0ES6_jNS0_17counting_iteratorIjlEEPS9_SE_NS0_5tupleIJPjSE_EEENSF_IJSE_SE_EEES9_SG_JZNS1_25segmented_radix_sort_implINS0_14default_configELb0EPKiPiPKlPlN2at6native12_GLOBAL__N_18offset_tEEE10hipError_tPvRmT1_PNSt15iterator_traitsISY_E10value_typeET2_T3_PNSZ_IS14_E10value_typeET4_jRbjT5_S1A_jjP12ihipStream_tbEUljE_EEESV_SW_SX_S14_S18_S1A_T6_T7_T9_mT8_S1C_bDpT10_ENKUlT_T0_E_clISt17integral_constantIbLb0EES1O_IbLb1EEEEDaS1K_S1L_EUlS1K_E_NS1_11comp_targetILNS1_3genE2ELNS1_11target_archE906ELNS1_3gpuE6ELNS1_3repE0EEENS1_30default_config_static_selectorELNS0_4arch9wavefront6targetE1EEEvSY_, .Lfunc_end596-_ZN7rocprim17ROCPRIM_400000_NS6detail17trampoline_kernelINS0_13select_configILj256ELj13ELNS0_17block_load_methodE3ELS4_3ELS4_3ELNS0_20block_scan_algorithmE0ELj4294967295EEENS1_25partition_config_selectorILNS1_17partition_subalgoE3EjNS0_10empty_typeEbEEZZNS1_14partition_implILS8_3ELb0ES6_jNS0_17counting_iteratorIjlEEPS9_SE_NS0_5tupleIJPjSE_EEENSF_IJSE_SE_EEES9_SG_JZNS1_25segmented_radix_sort_implINS0_14default_configELb0EPKiPiPKlPlN2at6native12_GLOBAL__N_18offset_tEEE10hipError_tPvRmT1_PNSt15iterator_traitsISY_E10value_typeET2_T3_PNSZ_IS14_E10value_typeET4_jRbjT5_S1A_jjP12ihipStream_tbEUljE_EEESV_SW_SX_S14_S18_S1A_T6_T7_T9_mT8_S1C_bDpT10_ENKUlT_T0_E_clISt17integral_constantIbLb0EES1O_IbLb1EEEEDaS1K_S1L_EUlS1K_E_NS1_11comp_targetILNS1_3genE2ELNS1_11target_archE906ELNS1_3gpuE6ELNS1_3repE0EEENS1_30default_config_static_selectorELNS0_4arch9wavefront6targetE1EEEvSY_
                                        ; -- End function
	.section	.AMDGPU.csdata,"",@progbits
; Kernel info:
; codeLenInByte = 0
; NumSgprs: 4
; NumVgprs: 0
; NumAgprs: 0
; TotalNumVgprs: 0
; ScratchSize: 0
; MemoryBound: 0
; FloatMode: 240
; IeeeMode: 1
; LDSByteSize: 0 bytes/workgroup (compile time only)
; SGPRBlocks: 0
; VGPRBlocks: 0
; NumSGPRsForWavesPerEU: 4
; NumVGPRsForWavesPerEU: 1
; AccumOffset: 4
; Occupancy: 8
; WaveLimiterHint : 0
; COMPUTE_PGM_RSRC2:SCRATCH_EN: 0
; COMPUTE_PGM_RSRC2:USER_SGPR: 6
; COMPUTE_PGM_RSRC2:TRAP_HANDLER: 0
; COMPUTE_PGM_RSRC2:TGID_X_EN: 1
; COMPUTE_PGM_RSRC2:TGID_Y_EN: 0
; COMPUTE_PGM_RSRC2:TGID_Z_EN: 0
; COMPUTE_PGM_RSRC2:TIDIG_COMP_CNT: 0
; COMPUTE_PGM_RSRC3_GFX90A:ACCUM_OFFSET: 0
; COMPUTE_PGM_RSRC3_GFX90A:TG_SPLIT: 0
	.section	.text._ZN7rocprim17ROCPRIM_400000_NS6detail17trampoline_kernelINS0_13select_configILj256ELj13ELNS0_17block_load_methodE3ELS4_3ELS4_3ELNS0_20block_scan_algorithmE0ELj4294967295EEENS1_25partition_config_selectorILNS1_17partition_subalgoE3EjNS0_10empty_typeEbEEZZNS1_14partition_implILS8_3ELb0ES6_jNS0_17counting_iteratorIjlEEPS9_SE_NS0_5tupleIJPjSE_EEENSF_IJSE_SE_EEES9_SG_JZNS1_25segmented_radix_sort_implINS0_14default_configELb0EPKiPiPKlPlN2at6native12_GLOBAL__N_18offset_tEEE10hipError_tPvRmT1_PNSt15iterator_traitsISY_E10value_typeET2_T3_PNSZ_IS14_E10value_typeET4_jRbjT5_S1A_jjP12ihipStream_tbEUljE_EEESV_SW_SX_S14_S18_S1A_T6_T7_T9_mT8_S1C_bDpT10_ENKUlT_T0_E_clISt17integral_constantIbLb0EES1O_IbLb1EEEEDaS1K_S1L_EUlS1K_E_NS1_11comp_targetILNS1_3genE10ELNS1_11target_archE1200ELNS1_3gpuE4ELNS1_3repE0EEENS1_30default_config_static_selectorELNS0_4arch9wavefront6targetE1EEEvSY_,"axG",@progbits,_ZN7rocprim17ROCPRIM_400000_NS6detail17trampoline_kernelINS0_13select_configILj256ELj13ELNS0_17block_load_methodE3ELS4_3ELS4_3ELNS0_20block_scan_algorithmE0ELj4294967295EEENS1_25partition_config_selectorILNS1_17partition_subalgoE3EjNS0_10empty_typeEbEEZZNS1_14partition_implILS8_3ELb0ES6_jNS0_17counting_iteratorIjlEEPS9_SE_NS0_5tupleIJPjSE_EEENSF_IJSE_SE_EEES9_SG_JZNS1_25segmented_radix_sort_implINS0_14default_configELb0EPKiPiPKlPlN2at6native12_GLOBAL__N_18offset_tEEE10hipError_tPvRmT1_PNSt15iterator_traitsISY_E10value_typeET2_T3_PNSZ_IS14_E10value_typeET4_jRbjT5_S1A_jjP12ihipStream_tbEUljE_EEESV_SW_SX_S14_S18_S1A_T6_T7_T9_mT8_S1C_bDpT10_ENKUlT_T0_E_clISt17integral_constantIbLb0EES1O_IbLb1EEEEDaS1K_S1L_EUlS1K_E_NS1_11comp_targetILNS1_3genE10ELNS1_11target_archE1200ELNS1_3gpuE4ELNS1_3repE0EEENS1_30default_config_static_selectorELNS0_4arch9wavefront6targetE1EEEvSY_,comdat
	.globl	_ZN7rocprim17ROCPRIM_400000_NS6detail17trampoline_kernelINS0_13select_configILj256ELj13ELNS0_17block_load_methodE3ELS4_3ELS4_3ELNS0_20block_scan_algorithmE0ELj4294967295EEENS1_25partition_config_selectorILNS1_17partition_subalgoE3EjNS0_10empty_typeEbEEZZNS1_14partition_implILS8_3ELb0ES6_jNS0_17counting_iteratorIjlEEPS9_SE_NS0_5tupleIJPjSE_EEENSF_IJSE_SE_EEES9_SG_JZNS1_25segmented_radix_sort_implINS0_14default_configELb0EPKiPiPKlPlN2at6native12_GLOBAL__N_18offset_tEEE10hipError_tPvRmT1_PNSt15iterator_traitsISY_E10value_typeET2_T3_PNSZ_IS14_E10value_typeET4_jRbjT5_S1A_jjP12ihipStream_tbEUljE_EEESV_SW_SX_S14_S18_S1A_T6_T7_T9_mT8_S1C_bDpT10_ENKUlT_T0_E_clISt17integral_constantIbLb0EES1O_IbLb1EEEEDaS1K_S1L_EUlS1K_E_NS1_11comp_targetILNS1_3genE10ELNS1_11target_archE1200ELNS1_3gpuE4ELNS1_3repE0EEENS1_30default_config_static_selectorELNS0_4arch9wavefront6targetE1EEEvSY_ ; -- Begin function _ZN7rocprim17ROCPRIM_400000_NS6detail17trampoline_kernelINS0_13select_configILj256ELj13ELNS0_17block_load_methodE3ELS4_3ELS4_3ELNS0_20block_scan_algorithmE0ELj4294967295EEENS1_25partition_config_selectorILNS1_17partition_subalgoE3EjNS0_10empty_typeEbEEZZNS1_14partition_implILS8_3ELb0ES6_jNS0_17counting_iteratorIjlEEPS9_SE_NS0_5tupleIJPjSE_EEENSF_IJSE_SE_EEES9_SG_JZNS1_25segmented_radix_sort_implINS0_14default_configELb0EPKiPiPKlPlN2at6native12_GLOBAL__N_18offset_tEEE10hipError_tPvRmT1_PNSt15iterator_traitsISY_E10value_typeET2_T3_PNSZ_IS14_E10value_typeET4_jRbjT5_S1A_jjP12ihipStream_tbEUljE_EEESV_SW_SX_S14_S18_S1A_T6_T7_T9_mT8_S1C_bDpT10_ENKUlT_T0_E_clISt17integral_constantIbLb0EES1O_IbLb1EEEEDaS1K_S1L_EUlS1K_E_NS1_11comp_targetILNS1_3genE10ELNS1_11target_archE1200ELNS1_3gpuE4ELNS1_3repE0EEENS1_30default_config_static_selectorELNS0_4arch9wavefront6targetE1EEEvSY_
	.p2align	8
	.type	_ZN7rocprim17ROCPRIM_400000_NS6detail17trampoline_kernelINS0_13select_configILj256ELj13ELNS0_17block_load_methodE3ELS4_3ELS4_3ELNS0_20block_scan_algorithmE0ELj4294967295EEENS1_25partition_config_selectorILNS1_17partition_subalgoE3EjNS0_10empty_typeEbEEZZNS1_14partition_implILS8_3ELb0ES6_jNS0_17counting_iteratorIjlEEPS9_SE_NS0_5tupleIJPjSE_EEENSF_IJSE_SE_EEES9_SG_JZNS1_25segmented_radix_sort_implINS0_14default_configELb0EPKiPiPKlPlN2at6native12_GLOBAL__N_18offset_tEEE10hipError_tPvRmT1_PNSt15iterator_traitsISY_E10value_typeET2_T3_PNSZ_IS14_E10value_typeET4_jRbjT5_S1A_jjP12ihipStream_tbEUljE_EEESV_SW_SX_S14_S18_S1A_T6_T7_T9_mT8_S1C_bDpT10_ENKUlT_T0_E_clISt17integral_constantIbLb0EES1O_IbLb1EEEEDaS1K_S1L_EUlS1K_E_NS1_11comp_targetILNS1_3genE10ELNS1_11target_archE1200ELNS1_3gpuE4ELNS1_3repE0EEENS1_30default_config_static_selectorELNS0_4arch9wavefront6targetE1EEEvSY_,@function
_ZN7rocprim17ROCPRIM_400000_NS6detail17trampoline_kernelINS0_13select_configILj256ELj13ELNS0_17block_load_methodE3ELS4_3ELS4_3ELNS0_20block_scan_algorithmE0ELj4294967295EEENS1_25partition_config_selectorILNS1_17partition_subalgoE3EjNS0_10empty_typeEbEEZZNS1_14partition_implILS8_3ELb0ES6_jNS0_17counting_iteratorIjlEEPS9_SE_NS0_5tupleIJPjSE_EEENSF_IJSE_SE_EEES9_SG_JZNS1_25segmented_radix_sort_implINS0_14default_configELb0EPKiPiPKlPlN2at6native12_GLOBAL__N_18offset_tEEE10hipError_tPvRmT1_PNSt15iterator_traitsISY_E10value_typeET2_T3_PNSZ_IS14_E10value_typeET4_jRbjT5_S1A_jjP12ihipStream_tbEUljE_EEESV_SW_SX_S14_S18_S1A_T6_T7_T9_mT8_S1C_bDpT10_ENKUlT_T0_E_clISt17integral_constantIbLb0EES1O_IbLb1EEEEDaS1K_S1L_EUlS1K_E_NS1_11comp_targetILNS1_3genE10ELNS1_11target_archE1200ELNS1_3gpuE4ELNS1_3repE0EEENS1_30default_config_static_selectorELNS0_4arch9wavefront6targetE1EEEvSY_: ; @_ZN7rocprim17ROCPRIM_400000_NS6detail17trampoline_kernelINS0_13select_configILj256ELj13ELNS0_17block_load_methodE3ELS4_3ELS4_3ELNS0_20block_scan_algorithmE0ELj4294967295EEENS1_25partition_config_selectorILNS1_17partition_subalgoE3EjNS0_10empty_typeEbEEZZNS1_14partition_implILS8_3ELb0ES6_jNS0_17counting_iteratorIjlEEPS9_SE_NS0_5tupleIJPjSE_EEENSF_IJSE_SE_EEES9_SG_JZNS1_25segmented_radix_sort_implINS0_14default_configELb0EPKiPiPKlPlN2at6native12_GLOBAL__N_18offset_tEEE10hipError_tPvRmT1_PNSt15iterator_traitsISY_E10value_typeET2_T3_PNSZ_IS14_E10value_typeET4_jRbjT5_S1A_jjP12ihipStream_tbEUljE_EEESV_SW_SX_S14_S18_S1A_T6_T7_T9_mT8_S1C_bDpT10_ENKUlT_T0_E_clISt17integral_constantIbLb0EES1O_IbLb1EEEEDaS1K_S1L_EUlS1K_E_NS1_11comp_targetILNS1_3genE10ELNS1_11target_archE1200ELNS1_3gpuE4ELNS1_3repE0EEENS1_30default_config_static_selectorELNS0_4arch9wavefront6targetE1EEEvSY_
; %bb.0:
	.section	.rodata,"a",@progbits
	.p2align	6, 0x0
	.amdhsa_kernel _ZN7rocprim17ROCPRIM_400000_NS6detail17trampoline_kernelINS0_13select_configILj256ELj13ELNS0_17block_load_methodE3ELS4_3ELS4_3ELNS0_20block_scan_algorithmE0ELj4294967295EEENS1_25partition_config_selectorILNS1_17partition_subalgoE3EjNS0_10empty_typeEbEEZZNS1_14partition_implILS8_3ELb0ES6_jNS0_17counting_iteratorIjlEEPS9_SE_NS0_5tupleIJPjSE_EEENSF_IJSE_SE_EEES9_SG_JZNS1_25segmented_radix_sort_implINS0_14default_configELb0EPKiPiPKlPlN2at6native12_GLOBAL__N_18offset_tEEE10hipError_tPvRmT1_PNSt15iterator_traitsISY_E10value_typeET2_T3_PNSZ_IS14_E10value_typeET4_jRbjT5_S1A_jjP12ihipStream_tbEUljE_EEESV_SW_SX_S14_S18_S1A_T6_T7_T9_mT8_S1C_bDpT10_ENKUlT_T0_E_clISt17integral_constantIbLb0EES1O_IbLb1EEEEDaS1K_S1L_EUlS1K_E_NS1_11comp_targetILNS1_3genE10ELNS1_11target_archE1200ELNS1_3gpuE4ELNS1_3repE0EEENS1_30default_config_static_selectorELNS0_4arch9wavefront6targetE1EEEvSY_
		.amdhsa_group_segment_fixed_size 0
		.amdhsa_private_segment_fixed_size 0
		.amdhsa_kernarg_size 152
		.amdhsa_user_sgpr_count 6
		.amdhsa_user_sgpr_private_segment_buffer 1
		.amdhsa_user_sgpr_dispatch_ptr 0
		.amdhsa_user_sgpr_queue_ptr 0
		.amdhsa_user_sgpr_kernarg_segment_ptr 1
		.amdhsa_user_sgpr_dispatch_id 0
		.amdhsa_user_sgpr_flat_scratch_init 0
		.amdhsa_user_sgpr_kernarg_preload_length 0
		.amdhsa_user_sgpr_kernarg_preload_offset 0
		.amdhsa_user_sgpr_private_segment_size 0
		.amdhsa_uses_dynamic_stack 0
		.amdhsa_system_sgpr_private_segment_wavefront_offset 0
		.amdhsa_system_sgpr_workgroup_id_x 1
		.amdhsa_system_sgpr_workgroup_id_y 0
		.amdhsa_system_sgpr_workgroup_id_z 0
		.amdhsa_system_sgpr_workgroup_info 0
		.amdhsa_system_vgpr_workitem_id 0
		.amdhsa_next_free_vgpr 1
		.amdhsa_next_free_sgpr 0
		.amdhsa_accum_offset 4
		.amdhsa_reserve_vcc 0
		.amdhsa_reserve_flat_scratch 0
		.amdhsa_float_round_mode_32 0
		.amdhsa_float_round_mode_16_64 0
		.amdhsa_float_denorm_mode_32 3
		.amdhsa_float_denorm_mode_16_64 3
		.amdhsa_dx10_clamp 1
		.amdhsa_ieee_mode 1
		.amdhsa_fp16_overflow 0
		.amdhsa_tg_split 0
		.amdhsa_exception_fp_ieee_invalid_op 0
		.amdhsa_exception_fp_denorm_src 0
		.amdhsa_exception_fp_ieee_div_zero 0
		.amdhsa_exception_fp_ieee_overflow 0
		.amdhsa_exception_fp_ieee_underflow 0
		.amdhsa_exception_fp_ieee_inexact 0
		.amdhsa_exception_int_div_zero 0
	.end_amdhsa_kernel
	.section	.text._ZN7rocprim17ROCPRIM_400000_NS6detail17trampoline_kernelINS0_13select_configILj256ELj13ELNS0_17block_load_methodE3ELS4_3ELS4_3ELNS0_20block_scan_algorithmE0ELj4294967295EEENS1_25partition_config_selectorILNS1_17partition_subalgoE3EjNS0_10empty_typeEbEEZZNS1_14partition_implILS8_3ELb0ES6_jNS0_17counting_iteratorIjlEEPS9_SE_NS0_5tupleIJPjSE_EEENSF_IJSE_SE_EEES9_SG_JZNS1_25segmented_radix_sort_implINS0_14default_configELb0EPKiPiPKlPlN2at6native12_GLOBAL__N_18offset_tEEE10hipError_tPvRmT1_PNSt15iterator_traitsISY_E10value_typeET2_T3_PNSZ_IS14_E10value_typeET4_jRbjT5_S1A_jjP12ihipStream_tbEUljE_EEESV_SW_SX_S14_S18_S1A_T6_T7_T9_mT8_S1C_bDpT10_ENKUlT_T0_E_clISt17integral_constantIbLb0EES1O_IbLb1EEEEDaS1K_S1L_EUlS1K_E_NS1_11comp_targetILNS1_3genE10ELNS1_11target_archE1200ELNS1_3gpuE4ELNS1_3repE0EEENS1_30default_config_static_selectorELNS0_4arch9wavefront6targetE1EEEvSY_,"axG",@progbits,_ZN7rocprim17ROCPRIM_400000_NS6detail17trampoline_kernelINS0_13select_configILj256ELj13ELNS0_17block_load_methodE3ELS4_3ELS4_3ELNS0_20block_scan_algorithmE0ELj4294967295EEENS1_25partition_config_selectorILNS1_17partition_subalgoE3EjNS0_10empty_typeEbEEZZNS1_14partition_implILS8_3ELb0ES6_jNS0_17counting_iteratorIjlEEPS9_SE_NS0_5tupleIJPjSE_EEENSF_IJSE_SE_EEES9_SG_JZNS1_25segmented_radix_sort_implINS0_14default_configELb0EPKiPiPKlPlN2at6native12_GLOBAL__N_18offset_tEEE10hipError_tPvRmT1_PNSt15iterator_traitsISY_E10value_typeET2_T3_PNSZ_IS14_E10value_typeET4_jRbjT5_S1A_jjP12ihipStream_tbEUljE_EEESV_SW_SX_S14_S18_S1A_T6_T7_T9_mT8_S1C_bDpT10_ENKUlT_T0_E_clISt17integral_constantIbLb0EES1O_IbLb1EEEEDaS1K_S1L_EUlS1K_E_NS1_11comp_targetILNS1_3genE10ELNS1_11target_archE1200ELNS1_3gpuE4ELNS1_3repE0EEENS1_30default_config_static_selectorELNS0_4arch9wavefront6targetE1EEEvSY_,comdat
.Lfunc_end597:
	.size	_ZN7rocprim17ROCPRIM_400000_NS6detail17trampoline_kernelINS0_13select_configILj256ELj13ELNS0_17block_load_methodE3ELS4_3ELS4_3ELNS0_20block_scan_algorithmE0ELj4294967295EEENS1_25partition_config_selectorILNS1_17partition_subalgoE3EjNS0_10empty_typeEbEEZZNS1_14partition_implILS8_3ELb0ES6_jNS0_17counting_iteratorIjlEEPS9_SE_NS0_5tupleIJPjSE_EEENSF_IJSE_SE_EEES9_SG_JZNS1_25segmented_radix_sort_implINS0_14default_configELb0EPKiPiPKlPlN2at6native12_GLOBAL__N_18offset_tEEE10hipError_tPvRmT1_PNSt15iterator_traitsISY_E10value_typeET2_T3_PNSZ_IS14_E10value_typeET4_jRbjT5_S1A_jjP12ihipStream_tbEUljE_EEESV_SW_SX_S14_S18_S1A_T6_T7_T9_mT8_S1C_bDpT10_ENKUlT_T0_E_clISt17integral_constantIbLb0EES1O_IbLb1EEEEDaS1K_S1L_EUlS1K_E_NS1_11comp_targetILNS1_3genE10ELNS1_11target_archE1200ELNS1_3gpuE4ELNS1_3repE0EEENS1_30default_config_static_selectorELNS0_4arch9wavefront6targetE1EEEvSY_, .Lfunc_end597-_ZN7rocprim17ROCPRIM_400000_NS6detail17trampoline_kernelINS0_13select_configILj256ELj13ELNS0_17block_load_methodE3ELS4_3ELS4_3ELNS0_20block_scan_algorithmE0ELj4294967295EEENS1_25partition_config_selectorILNS1_17partition_subalgoE3EjNS0_10empty_typeEbEEZZNS1_14partition_implILS8_3ELb0ES6_jNS0_17counting_iteratorIjlEEPS9_SE_NS0_5tupleIJPjSE_EEENSF_IJSE_SE_EEES9_SG_JZNS1_25segmented_radix_sort_implINS0_14default_configELb0EPKiPiPKlPlN2at6native12_GLOBAL__N_18offset_tEEE10hipError_tPvRmT1_PNSt15iterator_traitsISY_E10value_typeET2_T3_PNSZ_IS14_E10value_typeET4_jRbjT5_S1A_jjP12ihipStream_tbEUljE_EEESV_SW_SX_S14_S18_S1A_T6_T7_T9_mT8_S1C_bDpT10_ENKUlT_T0_E_clISt17integral_constantIbLb0EES1O_IbLb1EEEEDaS1K_S1L_EUlS1K_E_NS1_11comp_targetILNS1_3genE10ELNS1_11target_archE1200ELNS1_3gpuE4ELNS1_3repE0EEENS1_30default_config_static_selectorELNS0_4arch9wavefront6targetE1EEEvSY_
                                        ; -- End function
	.section	.AMDGPU.csdata,"",@progbits
; Kernel info:
; codeLenInByte = 0
; NumSgprs: 4
; NumVgprs: 0
; NumAgprs: 0
; TotalNumVgprs: 0
; ScratchSize: 0
; MemoryBound: 0
; FloatMode: 240
; IeeeMode: 1
; LDSByteSize: 0 bytes/workgroup (compile time only)
; SGPRBlocks: 0
; VGPRBlocks: 0
; NumSGPRsForWavesPerEU: 4
; NumVGPRsForWavesPerEU: 1
; AccumOffset: 4
; Occupancy: 8
; WaveLimiterHint : 0
; COMPUTE_PGM_RSRC2:SCRATCH_EN: 0
; COMPUTE_PGM_RSRC2:USER_SGPR: 6
; COMPUTE_PGM_RSRC2:TRAP_HANDLER: 0
; COMPUTE_PGM_RSRC2:TGID_X_EN: 1
; COMPUTE_PGM_RSRC2:TGID_Y_EN: 0
; COMPUTE_PGM_RSRC2:TGID_Z_EN: 0
; COMPUTE_PGM_RSRC2:TIDIG_COMP_CNT: 0
; COMPUTE_PGM_RSRC3_GFX90A:ACCUM_OFFSET: 0
; COMPUTE_PGM_RSRC3_GFX90A:TG_SPLIT: 0
	.section	.text._ZN7rocprim17ROCPRIM_400000_NS6detail17trampoline_kernelINS0_13select_configILj256ELj13ELNS0_17block_load_methodE3ELS4_3ELS4_3ELNS0_20block_scan_algorithmE0ELj4294967295EEENS1_25partition_config_selectorILNS1_17partition_subalgoE3EjNS0_10empty_typeEbEEZZNS1_14partition_implILS8_3ELb0ES6_jNS0_17counting_iteratorIjlEEPS9_SE_NS0_5tupleIJPjSE_EEENSF_IJSE_SE_EEES9_SG_JZNS1_25segmented_radix_sort_implINS0_14default_configELb0EPKiPiPKlPlN2at6native12_GLOBAL__N_18offset_tEEE10hipError_tPvRmT1_PNSt15iterator_traitsISY_E10value_typeET2_T3_PNSZ_IS14_E10value_typeET4_jRbjT5_S1A_jjP12ihipStream_tbEUljE_EEESV_SW_SX_S14_S18_S1A_T6_T7_T9_mT8_S1C_bDpT10_ENKUlT_T0_E_clISt17integral_constantIbLb0EES1O_IbLb1EEEEDaS1K_S1L_EUlS1K_E_NS1_11comp_targetILNS1_3genE9ELNS1_11target_archE1100ELNS1_3gpuE3ELNS1_3repE0EEENS1_30default_config_static_selectorELNS0_4arch9wavefront6targetE1EEEvSY_,"axG",@progbits,_ZN7rocprim17ROCPRIM_400000_NS6detail17trampoline_kernelINS0_13select_configILj256ELj13ELNS0_17block_load_methodE3ELS4_3ELS4_3ELNS0_20block_scan_algorithmE0ELj4294967295EEENS1_25partition_config_selectorILNS1_17partition_subalgoE3EjNS0_10empty_typeEbEEZZNS1_14partition_implILS8_3ELb0ES6_jNS0_17counting_iteratorIjlEEPS9_SE_NS0_5tupleIJPjSE_EEENSF_IJSE_SE_EEES9_SG_JZNS1_25segmented_radix_sort_implINS0_14default_configELb0EPKiPiPKlPlN2at6native12_GLOBAL__N_18offset_tEEE10hipError_tPvRmT1_PNSt15iterator_traitsISY_E10value_typeET2_T3_PNSZ_IS14_E10value_typeET4_jRbjT5_S1A_jjP12ihipStream_tbEUljE_EEESV_SW_SX_S14_S18_S1A_T6_T7_T9_mT8_S1C_bDpT10_ENKUlT_T0_E_clISt17integral_constantIbLb0EES1O_IbLb1EEEEDaS1K_S1L_EUlS1K_E_NS1_11comp_targetILNS1_3genE9ELNS1_11target_archE1100ELNS1_3gpuE3ELNS1_3repE0EEENS1_30default_config_static_selectorELNS0_4arch9wavefront6targetE1EEEvSY_,comdat
	.globl	_ZN7rocprim17ROCPRIM_400000_NS6detail17trampoline_kernelINS0_13select_configILj256ELj13ELNS0_17block_load_methodE3ELS4_3ELS4_3ELNS0_20block_scan_algorithmE0ELj4294967295EEENS1_25partition_config_selectorILNS1_17partition_subalgoE3EjNS0_10empty_typeEbEEZZNS1_14partition_implILS8_3ELb0ES6_jNS0_17counting_iteratorIjlEEPS9_SE_NS0_5tupleIJPjSE_EEENSF_IJSE_SE_EEES9_SG_JZNS1_25segmented_radix_sort_implINS0_14default_configELb0EPKiPiPKlPlN2at6native12_GLOBAL__N_18offset_tEEE10hipError_tPvRmT1_PNSt15iterator_traitsISY_E10value_typeET2_T3_PNSZ_IS14_E10value_typeET4_jRbjT5_S1A_jjP12ihipStream_tbEUljE_EEESV_SW_SX_S14_S18_S1A_T6_T7_T9_mT8_S1C_bDpT10_ENKUlT_T0_E_clISt17integral_constantIbLb0EES1O_IbLb1EEEEDaS1K_S1L_EUlS1K_E_NS1_11comp_targetILNS1_3genE9ELNS1_11target_archE1100ELNS1_3gpuE3ELNS1_3repE0EEENS1_30default_config_static_selectorELNS0_4arch9wavefront6targetE1EEEvSY_ ; -- Begin function _ZN7rocprim17ROCPRIM_400000_NS6detail17trampoline_kernelINS0_13select_configILj256ELj13ELNS0_17block_load_methodE3ELS4_3ELS4_3ELNS0_20block_scan_algorithmE0ELj4294967295EEENS1_25partition_config_selectorILNS1_17partition_subalgoE3EjNS0_10empty_typeEbEEZZNS1_14partition_implILS8_3ELb0ES6_jNS0_17counting_iteratorIjlEEPS9_SE_NS0_5tupleIJPjSE_EEENSF_IJSE_SE_EEES9_SG_JZNS1_25segmented_radix_sort_implINS0_14default_configELb0EPKiPiPKlPlN2at6native12_GLOBAL__N_18offset_tEEE10hipError_tPvRmT1_PNSt15iterator_traitsISY_E10value_typeET2_T3_PNSZ_IS14_E10value_typeET4_jRbjT5_S1A_jjP12ihipStream_tbEUljE_EEESV_SW_SX_S14_S18_S1A_T6_T7_T9_mT8_S1C_bDpT10_ENKUlT_T0_E_clISt17integral_constantIbLb0EES1O_IbLb1EEEEDaS1K_S1L_EUlS1K_E_NS1_11comp_targetILNS1_3genE9ELNS1_11target_archE1100ELNS1_3gpuE3ELNS1_3repE0EEENS1_30default_config_static_selectorELNS0_4arch9wavefront6targetE1EEEvSY_
	.p2align	8
	.type	_ZN7rocprim17ROCPRIM_400000_NS6detail17trampoline_kernelINS0_13select_configILj256ELj13ELNS0_17block_load_methodE3ELS4_3ELS4_3ELNS0_20block_scan_algorithmE0ELj4294967295EEENS1_25partition_config_selectorILNS1_17partition_subalgoE3EjNS0_10empty_typeEbEEZZNS1_14partition_implILS8_3ELb0ES6_jNS0_17counting_iteratorIjlEEPS9_SE_NS0_5tupleIJPjSE_EEENSF_IJSE_SE_EEES9_SG_JZNS1_25segmented_radix_sort_implINS0_14default_configELb0EPKiPiPKlPlN2at6native12_GLOBAL__N_18offset_tEEE10hipError_tPvRmT1_PNSt15iterator_traitsISY_E10value_typeET2_T3_PNSZ_IS14_E10value_typeET4_jRbjT5_S1A_jjP12ihipStream_tbEUljE_EEESV_SW_SX_S14_S18_S1A_T6_T7_T9_mT8_S1C_bDpT10_ENKUlT_T0_E_clISt17integral_constantIbLb0EES1O_IbLb1EEEEDaS1K_S1L_EUlS1K_E_NS1_11comp_targetILNS1_3genE9ELNS1_11target_archE1100ELNS1_3gpuE3ELNS1_3repE0EEENS1_30default_config_static_selectorELNS0_4arch9wavefront6targetE1EEEvSY_,@function
_ZN7rocprim17ROCPRIM_400000_NS6detail17trampoline_kernelINS0_13select_configILj256ELj13ELNS0_17block_load_methodE3ELS4_3ELS4_3ELNS0_20block_scan_algorithmE0ELj4294967295EEENS1_25partition_config_selectorILNS1_17partition_subalgoE3EjNS0_10empty_typeEbEEZZNS1_14partition_implILS8_3ELb0ES6_jNS0_17counting_iteratorIjlEEPS9_SE_NS0_5tupleIJPjSE_EEENSF_IJSE_SE_EEES9_SG_JZNS1_25segmented_radix_sort_implINS0_14default_configELb0EPKiPiPKlPlN2at6native12_GLOBAL__N_18offset_tEEE10hipError_tPvRmT1_PNSt15iterator_traitsISY_E10value_typeET2_T3_PNSZ_IS14_E10value_typeET4_jRbjT5_S1A_jjP12ihipStream_tbEUljE_EEESV_SW_SX_S14_S18_S1A_T6_T7_T9_mT8_S1C_bDpT10_ENKUlT_T0_E_clISt17integral_constantIbLb0EES1O_IbLb1EEEEDaS1K_S1L_EUlS1K_E_NS1_11comp_targetILNS1_3genE9ELNS1_11target_archE1100ELNS1_3gpuE3ELNS1_3repE0EEENS1_30default_config_static_selectorELNS0_4arch9wavefront6targetE1EEEvSY_: ; @_ZN7rocprim17ROCPRIM_400000_NS6detail17trampoline_kernelINS0_13select_configILj256ELj13ELNS0_17block_load_methodE3ELS4_3ELS4_3ELNS0_20block_scan_algorithmE0ELj4294967295EEENS1_25partition_config_selectorILNS1_17partition_subalgoE3EjNS0_10empty_typeEbEEZZNS1_14partition_implILS8_3ELb0ES6_jNS0_17counting_iteratorIjlEEPS9_SE_NS0_5tupleIJPjSE_EEENSF_IJSE_SE_EEES9_SG_JZNS1_25segmented_radix_sort_implINS0_14default_configELb0EPKiPiPKlPlN2at6native12_GLOBAL__N_18offset_tEEE10hipError_tPvRmT1_PNSt15iterator_traitsISY_E10value_typeET2_T3_PNSZ_IS14_E10value_typeET4_jRbjT5_S1A_jjP12ihipStream_tbEUljE_EEESV_SW_SX_S14_S18_S1A_T6_T7_T9_mT8_S1C_bDpT10_ENKUlT_T0_E_clISt17integral_constantIbLb0EES1O_IbLb1EEEEDaS1K_S1L_EUlS1K_E_NS1_11comp_targetILNS1_3genE9ELNS1_11target_archE1100ELNS1_3gpuE3ELNS1_3repE0EEENS1_30default_config_static_selectorELNS0_4arch9wavefront6targetE1EEEvSY_
; %bb.0:
	.section	.rodata,"a",@progbits
	.p2align	6, 0x0
	.amdhsa_kernel _ZN7rocprim17ROCPRIM_400000_NS6detail17trampoline_kernelINS0_13select_configILj256ELj13ELNS0_17block_load_methodE3ELS4_3ELS4_3ELNS0_20block_scan_algorithmE0ELj4294967295EEENS1_25partition_config_selectorILNS1_17partition_subalgoE3EjNS0_10empty_typeEbEEZZNS1_14partition_implILS8_3ELb0ES6_jNS0_17counting_iteratorIjlEEPS9_SE_NS0_5tupleIJPjSE_EEENSF_IJSE_SE_EEES9_SG_JZNS1_25segmented_radix_sort_implINS0_14default_configELb0EPKiPiPKlPlN2at6native12_GLOBAL__N_18offset_tEEE10hipError_tPvRmT1_PNSt15iterator_traitsISY_E10value_typeET2_T3_PNSZ_IS14_E10value_typeET4_jRbjT5_S1A_jjP12ihipStream_tbEUljE_EEESV_SW_SX_S14_S18_S1A_T6_T7_T9_mT8_S1C_bDpT10_ENKUlT_T0_E_clISt17integral_constantIbLb0EES1O_IbLb1EEEEDaS1K_S1L_EUlS1K_E_NS1_11comp_targetILNS1_3genE9ELNS1_11target_archE1100ELNS1_3gpuE3ELNS1_3repE0EEENS1_30default_config_static_selectorELNS0_4arch9wavefront6targetE1EEEvSY_
		.amdhsa_group_segment_fixed_size 0
		.amdhsa_private_segment_fixed_size 0
		.amdhsa_kernarg_size 152
		.amdhsa_user_sgpr_count 6
		.amdhsa_user_sgpr_private_segment_buffer 1
		.amdhsa_user_sgpr_dispatch_ptr 0
		.amdhsa_user_sgpr_queue_ptr 0
		.amdhsa_user_sgpr_kernarg_segment_ptr 1
		.amdhsa_user_sgpr_dispatch_id 0
		.amdhsa_user_sgpr_flat_scratch_init 0
		.amdhsa_user_sgpr_kernarg_preload_length 0
		.amdhsa_user_sgpr_kernarg_preload_offset 0
		.amdhsa_user_sgpr_private_segment_size 0
		.amdhsa_uses_dynamic_stack 0
		.amdhsa_system_sgpr_private_segment_wavefront_offset 0
		.amdhsa_system_sgpr_workgroup_id_x 1
		.amdhsa_system_sgpr_workgroup_id_y 0
		.amdhsa_system_sgpr_workgroup_id_z 0
		.amdhsa_system_sgpr_workgroup_info 0
		.amdhsa_system_vgpr_workitem_id 0
		.amdhsa_next_free_vgpr 1
		.amdhsa_next_free_sgpr 0
		.amdhsa_accum_offset 4
		.amdhsa_reserve_vcc 0
		.amdhsa_reserve_flat_scratch 0
		.amdhsa_float_round_mode_32 0
		.amdhsa_float_round_mode_16_64 0
		.amdhsa_float_denorm_mode_32 3
		.amdhsa_float_denorm_mode_16_64 3
		.amdhsa_dx10_clamp 1
		.amdhsa_ieee_mode 1
		.amdhsa_fp16_overflow 0
		.amdhsa_tg_split 0
		.amdhsa_exception_fp_ieee_invalid_op 0
		.amdhsa_exception_fp_denorm_src 0
		.amdhsa_exception_fp_ieee_div_zero 0
		.amdhsa_exception_fp_ieee_overflow 0
		.amdhsa_exception_fp_ieee_underflow 0
		.amdhsa_exception_fp_ieee_inexact 0
		.amdhsa_exception_int_div_zero 0
	.end_amdhsa_kernel
	.section	.text._ZN7rocprim17ROCPRIM_400000_NS6detail17trampoline_kernelINS0_13select_configILj256ELj13ELNS0_17block_load_methodE3ELS4_3ELS4_3ELNS0_20block_scan_algorithmE0ELj4294967295EEENS1_25partition_config_selectorILNS1_17partition_subalgoE3EjNS0_10empty_typeEbEEZZNS1_14partition_implILS8_3ELb0ES6_jNS0_17counting_iteratorIjlEEPS9_SE_NS0_5tupleIJPjSE_EEENSF_IJSE_SE_EEES9_SG_JZNS1_25segmented_radix_sort_implINS0_14default_configELb0EPKiPiPKlPlN2at6native12_GLOBAL__N_18offset_tEEE10hipError_tPvRmT1_PNSt15iterator_traitsISY_E10value_typeET2_T3_PNSZ_IS14_E10value_typeET4_jRbjT5_S1A_jjP12ihipStream_tbEUljE_EEESV_SW_SX_S14_S18_S1A_T6_T7_T9_mT8_S1C_bDpT10_ENKUlT_T0_E_clISt17integral_constantIbLb0EES1O_IbLb1EEEEDaS1K_S1L_EUlS1K_E_NS1_11comp_targetILNS1_3genE9ELNS1_11target_archE1100ELNS1_3gpuE3ELNS1_3repE0EEENS1_30default_config_static_selectorELNS0_4arch9wavefront6targetE1EEEvSY_,"axG",@progbits,_ZN7rocprim17ROCPRIM_400000_NS6detail17trampoline_kernelINS0_13select_configILj256ELj13ELNS0_17block_load_methodE3ELS4_3ELS4_3ELNS0_20block_scan_algorithmE0ELj4294967295EEENS1_25partition_config_selectorILNS1_17partition_subalgoE3EjNS0_10empty_typeEbEEZZNS1_14partition_implILS8_3ELb0ES6_jNS0_17counting_iteratorIjlEEPS9_SE_NS0_5tupleIJPjSE_EEENSF_IJSE_SE_EEES9_SG_JZNS1_25segmented_radix_sort_implINS0_14default_configELb0EPKiPiPKlPlN2at6native12_GLOBAL__N_18offset_tEEE10hipError_tPvRmT1_PNSt15iterator_traitsISY_E10value_typeET2_T3_PNSZ_IS14_E10value_typeET4_jRbjT5_S1A_jjP12ihipStream_tbEUljE_EEESV_SW_SX_S14_S18_S1A_T6_T7_T9_mT8_S1C_bDpT10_ENKUlT_T0_E_clISt17integral_constantIbLb0EES1O_IbLb1EEEEDaS1K_S1L_EUlS1K_E_NS1_11comp_targetILNS1_3genE9ELNS1_11target_archE1100ELNS1_3gpuE3ELNS1_3repE0EEENS1_30default_config_static_selectorELNS0_4arch9wavefront6targetE1EEEvSY_,comdat
.Lfunc_end598:
	.size	_ZN7rocprim17ROCPRIM_400000_NS6detail17trampoline_kernelINS0_13select_configILj256ELj13ELNS0_17block_load_methodE3ELS4_3ELS4_3ELNS0_20block_scan_algorithmE0ELj4294967295EEENS1_25partition_config_selectorILNS1_17partition_subalgoE3EjNS0_10empty_typeEbEEZZNS1_14partition_implILS8_3ELb0ES6_jNS0_17counting_iteratorIjlEEPS9_SE_NS0_5tupleIJPjSE_EEENSF_IJSE_SE_EEES9_SG_JZNS1_25segmented_radix_sort_implINS0_14default_configELb0EPKiPiPKlPlN2at6native12_GLOBAL__N_18offset_tEEE10hipError_tPvRmT1_PNSt15iterator_traitsISY_E10value_typeET2_T3_PNSZ_IS14_E10value_typeET4_jRbjT5_S1A_jjP12ihipStream_tbEUljE_EEESV_SW_SX_S14_S18_S1A_T6_T7_T9_mT8_S1C_bDpT10_ENKUlT_T0_E_clISt17integral_constantIbLb0EES1O_IbLb1EEEEDaS1K_S1L_EUlS1K_E_NS1_11comp_targetILNS1_3genE9ELNS1_11target_archE1100ELNS1_3gpuE3ELNS1_3repE0EEENS1_30default_config_static_selectorELNS0_4arch9wavefront6targetE1EEEvSY_, .Lfunc_end598-_ZN7rocprim17ROCPRIM_400000_NS6detail17trampoline_kernelINS0_13select_configILj256ELj13ELNS0_17block_load_methodE3ELS4_3ELS4_3ELNS0_20block_scan_algorithmE0ELj4294967295EEENS1_25partition_config_selectorILNS1_17partition_subalgoE3EjNS0_10empty_typeEbEEZZNS1_14partition_implILS8_3ELb0ES6_jNS0_17counting_iteratorIjlEEPS9_SE_NS0_5tupleIJPjSE_EEENSF_IJSE_SE_EEES9_SG_JZNS1_25segmented_radix_sort_implINS0_14default_configELb0EPKiPiPKlPlN2at6native12_GLOBAL__N_18offset_tEEE10hipError_tPvRmT1_PNSt15iterator_traitsISY_E10value_typeET2_T3_PNSZ_IS14_E10value_typeET4_jRbjT5_S1A_jjP12ihipStream_tbEUljE_EEESV_SW_SX_S14_S18_S1A_T6_T7_T9_mT8_S1C_bDpT10_ENKUlT_T0_E_clISt17integral_constantIbLb0EES1O_IbLb1EEEEDaS1K_S1L_EUlS1K_E_NS1_11comp_targetILNS1_3genE9ELNS1_11target_archE1100ELNS1_3gpuE3ELNS1_3repE0EEENS1_30default_config_static_selectorELNS0_4arch9wavefront6targetE1EEEvSY_
                                        ; -- End function
	.section	.AMDGPU.csdata,"",@progbits
; Kernel info:
; codeLenInByte = 0
; NumSgprs: 4
; NumVgprs: 0
; NumAgprs: 0
; TotalNumVgprs: 0
; ScratchSize: 0
; MemoryBound: 0
; FloatMode: 240
; IeeeMode: 1
; LDSByteSize: 0 bytes/workgroup (compile time only)
; SGPRBlocks: 0
; VGPRBlocks: 0
; NumSGPRsForWavesPerEU: 4
; NumVGPRsForWavesPerEU: 1
; AccumOffset: 4
; Occupancy: 8
; WaveLimiterHint : 0
; COMPUTE_PGM_RSRC2:SCRATCH_EN: 0
; COMPUTE_PGM_RSRC2:USER_SGPR: 6
; COMPUTE_PGM_RSRC2:TRAP_HANDLER: 0
; COMPUTE_PGM_RSRC2:TGID_X_EN: 1
; COMPUTE_PGM_RSRC2:TGID_Y_EN: 0
; COMPUTE_PGM_RSRC2:TGID_Z_EN: 0
; COMPUTE_PGM_RSRC2:TIDIG_COMP_CNT: 0
; COMPUTE_PGM_RSRC3_GFX90A:ACCUM_OFFSET: 0
; COMPUTE_PGM_RSRC3_GFX90A:TG_SPLIT: 0
	.section	.text._ZN7rocprim17ROCPRIM_400000_NS6detail17trampoline_kernelINS0_13select_configILj256ELj13ELNS0_17block_load_methodE3ELS4_3ELS4_3ELNS0_20block_scan_algorithmE0ELj4294967295EEENS1_25partition_config_selectorILNS1_17partition_subalgoE3EjNS0_10empty_typeEbEEZZNS1_14partition_implILS8_3ELb0ES6_jNS0_17counting_iteratorIjlEEPS9_SE_NS0_5tupleIJPjSE_EEENSF_IJSE_SE_EEES9_SG_JZNS1_25segmented_radix_sort_implINS0_14default_configELb0EPKiPiPKlPlN2at6native12_GLOBAL__N_18offset_tEEE10hipError_tPvRmT1_PNSt15iterator_traitsISY_E10value_typeET2_T3_PNSZ_IS14_E10value_typeET4_jRbjT5_S1A_jjP12ihipStream_tbEUljE_EEESV_SW_SX_S14_S18_S1A_T6_T7_T9_mT8_S1C_bDpT10_ENKUlT_T0_E_clISt17integral_constantIbLb0EES1O_IbLb1EEEEDaS1K_S1L_EUlS1K_E_NS1_11comp_targetILNS1_3genE8ELNS1_11target_archE1030ELNS1_3gpuE2ELNS1_3repE0EEENS1_30default_config_static_selectorELNS0_4arch9wavefront6targetE1EEEvSY_,"axG",@progbits,_ZN7rocprim17ROCPRIM_400000_NS6detail17trampoline_kernelINS0_13select_configILj256ELj13ELNS0_17block_load_methodE3ELS4_3ELS4_3ELNS0_20block_scan_algorithmE0ELj4294967295EEENS1_25partition_config_selectorILNS1_17partition_subalgoE3EjNS0_10empty_typeEbEEZZNS1_14partition_implILS8_3ELb0ES6_jNS0_17counting_iteratorIjlEEPS9_SE_NS0_5tupleIJPjSE_EEENSF_IJSE_SE_EEES9_SG_JZNS1_25segmented_radix_sort_implINS0_14default_configELb0EPKiPiPKlPlN2at6native12_GLOBAL__N_18offset_tEEE10hipError_tPvRmT1_PNSt15iterator_traitsISY_E10value_typeET2_T3_PNSZ_IS14_E10value_typeET4_jRbjT5_S1A_jjP12ihipStream_tbEUljE_EEESV_SW_SX_S14_S18_S1A_T6_T7_T9_mT8_S1C_bDpT10_ENKUlT_T0_E_clISt17integral_constantIbLb0EES1O_IbLb1EEEEDaS1K_S1L_EUlS1K_E_NS1_11comp_targetILNS1_3genE8ELNS1_11target_archE1030ELNS1_3gpuE2ELNS1_3repE0EEENS1_30default_config_static_selectorELNS0_4arch9wavefront6targetE1EEEvSY_,comdat
	.globl	_ZN7rocprim17ROCPRIM_400000_NS6detail17trampoline_kernelINS0_13select_configILj256ELj13ELNS0_17block_load_methodE3ELS4_3ELS4_3ELNS0_20block_scan_algorithmE0ELj4294967295EEENS1_25partition_config_selectorILNS1_17partition_subalgoE3EjNS0_10empty_typeEbEEZZNS1_14partition_implILS8_3ELb0ES6_jNS0_17counting_iteratorIjlEEPS9_SE_NS0_5tupleIJPjSE_EEENSF_IJSE_SE_EEES9_SG_JZNS1_25segmented_radix_sort_implINS0_14default_configELb0EPKiPiPKlPlN2at6native12_GLOBAL__N_18offset_tEEE10hipError_tPvRmT1_PNSt15iterator_traitsISY_E10value_typeET2_T3_PNSZ_IS14_E10value_typeET4_jRbjT5_S1A_jjP12ihipStream_tbEUljE_EEESV_SW_SX_S14_S18_S1A_T6_T7_T9_mT8_S1C_bDpT10_ENKUlT_T0_E_clISt17integral_constantIbLb0EES1O_IbLb1EEEEDaS1K_S1L_EUlS1K_E_NS1_11comp_targetILNS1_3genE8ELNS1_11target_archE1030ELNS1_3gpuE2ELNS1_3repE0EEENS1_30default_config_static_selectorELNS0_4arch9wavefront6targetE1EEEvSY_ ; -- Begin function _ZN7rocprim17ROCPRIM_400000_NS6detail17trampoline_kernelINS0_13select_configILj256ELj13ELNS0_17block_load_methodE3ELS4_3ELS4_3ELNS0_20block_scan_algorithmE0ELj4294967295EEENS1_25partition_config_selectorILNS1_17partition_subalgoE3EjNS0_10empty_typeEbEEZZNS1_14partition_implILS8_3ELb0ES6_jNS0_17counting_iteratorIjlEEPS9_SE_NS0_5tupleIJPjSE_EEENSF_IJSE_SE_EEES9_SG_JZNS1_25segmented_radix_sort_implINS0_14default_configELb0EPKiPiPKlPlN2at6native12_GLOBAL__N_18offset_tEEE10hipError_tPvRmT1_PNSt15iterator_traitsISY_E10value_typeET2_T3_PNSZ_IS14_E10value_typeET4_jRbjT5_S1A_jjP12ihipStream_tbEUljE_EEESV_SW_SX_S14_S18_S1A_T6_T7_T9_mT8_S1C_bDpT10_ENKUlT_T0_E_clISt17integral_constantIbLb0EES1O_IbLb1EEEEDaS1K_S1L_EUlS1K_E_NS1_11comp_targetILNS1_3genE8ELNS1_11target_archE1030ELNS1_3gpuE2ELNS1_3repE0EEENS1_30default_config_static_selectorELNS0_4arch9wavefront6targetE1EEEvSY_
	.p2align	8
	.type	_ZN7rocprim17ROCPRIM_400000_NS6detail17trampoline_kernelINS0_13select_configILj256ELj13ELNS0_17block_load_methodE3ELS4_3ELS4_3ELNS0_20block_scan_algorithmE0ELj4294967295EEENS1_25partition_config_selectorILNS1_17partition_subalgoE3EjNS0_10empty_typeEbEEZZNS1_14partition_implILS8_3ELb0ES6_jNS0_17counting_iteratorIjlEEPS9_SE_NS0_5tupleIJPjSE_EEENSF_IJSE_SE_EEES9_SG_JZNS1_25segmented_radix_sort_implINS0_14default_configELb0EPKiPiPKlPlN2at6native12_GLOBAL__N_18offset_tEEE10hipError_tPvRmT1_PNSt15iterator_traitsISY_E10value_typeET2_T3_PNSZ_IS14_E10value_typeET4_jRbjT5_S1A_jjP12ihipStream_tbEUljE_EEESV_SW_SX_S14_S18_S1A_T6_T7_T9_mT8_S1C_bDpT10_ENKUlT_T0_E_clISt17integral_constantIbLb0EES1O_IbLb1EEEEDaS1K_S1L_EUlS1K_E_NS1_11comp_targetILNS1_3genE8ELNS1_11target_archE1030ELNS1_3gpuE2ELNS1_3repE0EEENS1_30default_config_static_selectorELNS0_4arch9wavefront6targetE1EEEvSY_,@function
_ZN7rocprim17ROCPRIM_400000_NS6detail17trampoline_kernelINS0_13select_configILj256ELj13ELNS0_17block_load_methodE3ELS4_3ELS4_3ELNS0_20block_scan_algorithmE0ELj4294967295EEENS1_25partition_config_selectorILNS1_17partition_subalgoE3EjNS0_10empty_typeEbEEZZNS1_14partition_implILS8_3ELb0ES6_jNS0_17counting_iteratorIjlEEPS9_SE_NS0_5tupleIJPjSE_EEENSF_IJSE_SE_EEES9_SG_JZNS1_25segmented_radix_sort_implINS0_14default_configELb0EPKiPiPKlPlN2at6native12_GLOBAL__N_18offset_tEEE10hipError_tPvRmT1_PNSt15iterator_traitsISY_E10value_typeET2_T3_PNSZ_IS14_E10value_typeET4_jRbjT5_S1A_jjP12ihipStream_tbEUljE_EEESV_SW_SX_S14_S18_S1A_T6_T7_T9_mT8_S1C_bDpT10_ENKUlT_T0_E_clISt17integral_constantIbLb0EES1O_IbLb1EEEEDaS1K_S1L_EUlS1K_E_NS1_11comp_targetILNS1_3genE8ELNS1_11target_archE1030ELNS1_3gpuE2ELNS1_3repE0EEENS1_30default_config_static_selectorELNS0_4arch9wavefront6targetE1EEEvSY_: ; @_ZN7rocprim17ROCPRIM_400000_NS6detail17trampoline_kernelINS0_13select_configILj256ELj13ELNS0_17block_load_methodE3ELS4_3ELS4_3ELNS0_20block_scan_algorithmE0ELj4294967295EEENS1_25partition_config_selectorILNS1_17partition_subalgoE3EjNS0_10empty_typeEbEEZZNS1_14partition_implILS8_3ELb0ES6_jNS0_17counting_iteratorIjlEEPS9_SE_NS0_5tupleIJPjSE_EEENSF_IJSE_SE_EEES9_SG_JZNS1_25segmented_radix_sort_implINS0_14default_configELb0EPKiPiPKlPlN2at6native12_GLOBAL__N_18offset_tEEE10hipError_tPvRmT1_PNSt15iterator_traitsISY_E10value_typeET2_T3_PNSZ_IS14_E10value_typeET4_jRbjT5_S1A_jjP12ihipStream_tbEUljE_EEESV_SW_SX_S14_S18_S1A_T6_T7_T9_mT8_S1C_bDpT10_ENKUlT_T0_E_clISt17integral_constantIbLb0EES1O_IbLb1EEEEDaS1K_S1L_EUlS1K_E_NS1_11comp_targetILNS1_3genE8ELNS1_11target_archE1030ELNS1_3gpuE2ELNS1_3repE0EEENS1_30default_config_static_selectorELNS0_4arch9wavefront6targetE1EEEvSY_
; %bb.0:
	.section	.rodata,"a",@progbits
	.p2align	6, 0x0
	.amdhsa_kernel _ZN7rocprim17ROCPRIM_400000_NS6detail17trampoline_kernelINS0_13select_configILj256ELj13ELNS0_17block_load_methodE3ELS4_3ELS4_3ELNS0_20block_scan_algorithmE0ELj4294967295EEENS1_25partition_config_selectorILNS1_17partition_subalgoE3EjNS0_10empty_typeEbEEZZNS1_14partition_implILS8_3ELb0ES6_jNS0_17counting_iteratorIjlEEPS9_SE_NS0_5tupleIJPjSE_EEENSF_IJSE_SE_EEES9_SG_JZNS1_25segmented_radix_sort_implINS0_14default_configELb0EPKiPiPKlPlN2at6native12_GLOBAL__N_18offset_tEEE10hipError_tPvRmT1_PNSt15iterator_traitsISY_E10value_typeET2_T3_PNSZ_IS14_E10value_typeET4_jRbjT5_S1A_jjP12ihipStream_tbEUljE_EEESV_SW_SX_S14_S18_S1A_T6_T7_T9_mT8_S1C_bDpT10_ENKUlT_T0_E_clISt17integral_constantIbLb0EES1O_IbLb1EEEEDaS1K_S1L_EUlS1K_E_NS1_11comp_targetILNS1_3genE8ELNS1_11target_archE1030ELNS1_3gpuE2ELNS1_3repE0EEENS1_30default_config_static_selectorELNS0_4arch9wavefront6targetE1EEEvSY_
		.amdhsa_group_segment_fixed_size 0
		.amdhsa_private_segment_fixed_size 0
		.amdhsa_kernarg_size 152
		.amdhsa_user_sgpr_count 6
		.amdhsa_user_sgpr_private_segment_buffer 1
		.amdhsa_user_sgpr_dispatch_ptr 0
		.amdhsa_user_sgpr_queue_ptr 0
		.amdhsa_user_sgpr_kernarg_segment_ptr 1
		.amdhsa_user_sgpr_dispatch_id 0
		.amdhsa_user_sgpr_flat_scratch_init 0
		.amdhsa_user_sgpr_kernarg_preload_length 0
		.amdhsa_user_sgpr_kernarg_preload_offset 0
		.amdhsa_user_sgpr_private_segment_size 0
		.amdhsa_uses_dynamic_stack 0
		.amdhsa_system_sgpr_private_segment_wavefront_offset 0
		.amdhsa_system_sgpr_workgroup_id_x 1
		.amdhsa_system_sgpr_workgroup_id_y 0
		.amdhsa_system_sgpr_workgroup_id_z 0
		.amdhsa_system_sgpr_workgroup_info 0
		.amdhsa_system_vgpr_workitem_id 0
		.amdhsa_next_free_vgpr 1
		.amdhsa_next_free_sgpr 0
		.amdhsa_accum_offset 4
		.amdhsa_reserve_vcc 0
		.amdhsa_reserve_flat_scratch 0
		.amdhsa_float_round_mode_32 0
		.amdhsa_float_round_mode_16_64 0
		.amdhsa_float_denorm_mode_32 3
		.amdhsa_float_denorm_mode_16_64 3
		.amdhsa_dx10_clamp 1
		.amdhsa_ieee_mode 1
		.amdhsa_fp16_overflow 0
		.amdhsa_tg_split 0
		.amdhsa_exception_fp_ieee_invalid_op 0
		.amdhsa_exception_fp_denorm_src 0
		.amdhsa_exception_fp_ieee_div_zero 0
		.amdhsa_exception_fp_ieee_overflow 0
		.amdhsa_exception_fp_ieee_underflow 0
		.amdhsa_exception_fp_ieee_inexact 0
		.amdhsa_exception_int_div_zero 0
	.end_amdhsa_kernel
	.section	.text._ZN7rocprim17ROCPRIM_400000_NS6detail17trampoline_kernelINS0_13select_configILj256ELj13ELNS0_17block_load_methodE3ELS4_3ELS4_3ELNS0_20block_scan_algorithmE0ELj4294967295EEENS1_25partition_config_selectorILNS1_17partition_subalgoE3EjNS0_10empty_typeEbEEZZNS1_14partition_implILS8_3ELb0ES6_jNS0_17counting_iteratorIjlEEPS9_SE_NS0_5tupleIJPjSE_EEENSF_IJSE_SE_EEES9_SG_JZNS1_25segmented_radix_sort_implINS0_14default_configELb0EPKiPiPKlPlN2at6native12_GLOBAL__N_18offset_tEEE10hipError_tPvRmT1_PNSt15iterator_traitsISY_E10value_typeET2_T3_PNSZ_IS14_E10value_typeET4_jRbjT5_S1A_jjP12ihipStream_tbEUljE_EEESV_SW_SX_S14_S18_S1A_T6_T7_T9_mT8_S1C_bDpT10_ENKUlT_T0_E_clISt17integral_constantIbLb0EES1O_IbLb1EEEEDaS1K_S1L_EUlS1K_E_NS1_11comp_targetILNS1_3genE8ELNS1_11target_archE1030ELNS1_3gpuE2ELNS1_3repE0EEENS1_30default_config_static_selectorELNS0_4arch9wavefront6targetE1EEEvSY_,"axG",@progbits,_ZN7rocprim17ROCPRIM_400000_NS6detail17trampoline_kernelINS0_13select_configILj256ELj13ELNS0_17block_load_methodE3ELS4_3ELS4_3ELNS0_20block_scan_algorithmE0ELj4294967295EEENS1_25partition_config_selectorILNS1_17partition_subalgoE3EjNS0_10empty_typeEbEEZZNS1_14partition_implILS8_3ELb0ES6_jNS0_17counting_iteratorIjlEEPS9_SE_NS0_5tupleIJPjSE_EEENSF_IJSE_SE_EEES9_SG_JZNS1_25segmented_radix_sort_implINS0_14default_configELb0EPKiPiPKlPlN2at6native12_GLOBAL__N_18offset_tEEE10hipError_tPvRmT1_PNSt15iterator_traitsISY_E10value_typeET2_T3_PNSZ_IS14_E10value_typeET4_jRbjT5_S1A_jjP12ihipStream_tbEUljE_EEESV_SW_SX_S14_S18_S1A_T6_T7_T9_mT8_S1C_bDpT10_ENKUlT_T0_E_clISt17integral_constantIbLb0EES1O_IbLb1EEEEDaS1K_S1L_EUlS1K_E_NS1_11comp_targetILNS1_3genE8ELNS1_11target_archE1030ELNS1_3gpuE2ELNS1_3repE0EEENS1_30default_config_static_selectorELNS0_4arch9wavefront6targetE1EEEvSY_,comdat
.Lfunc_end599:
	.size	_ZN7rocprim17ROCPRIM_400000_NS6detail17trampoline_kernelINS0_13select_configILj256ELj13ELNS0_17block_load_methodE3ELS4_3ELS4_3ELNS0_20block_scan_algorithmE0ELj4294967295EEENS1_25partition_config_selectorILNS1_17partition_subalgoE3EjNS0_10empty_typeEbEEZZNS1_14partition_implILS8_3ELb0ES6_jNS0_17counting_iteratorIjlEEPS9_SE_NS0_5tupleIJPjSE_EEENSF_IJSE_SE_EEES9_SG_JZNS1_25segmented_radix_sort_implINS0_14default_configELb0EPKiPiPKlPlN2at6native12_GLOBAL__N_18offset_tEEE10hipError_tPvRmT1_PNSt15iterator_traitsISY_E10value_typeET2_T3_PNSZ_IS14_E10value_typeET4_jRbjT5_S1A_jjP12ihipStream_tbEUljE_EEESV_SW_SX_S14_S18_S1A_T6_T7_T9_mT8_S1C_bDpT10_ENKUlT_T0_E_clISt17integral_constantIbLb0EES1O_IbLb1EEEEDaS1K_S1L_EUlS1K_E_NS1_11comp_targetILNS1_3genE8ELNS1_11target_archE1030ELNS1_3gpuE2ELNS1_3repE0EEENS1_30default_config_static_selectorELNS0_4arch9wavefront6targetE1EEEvSY_, .Lfunc_end599-_ZN7rocprim17ROCPRIM_400000_NS6detail17trampoline_kernelINS0_13select_configILj256ELj13ELNS0_17block_load_methodE3ELS4_3ELS4_3ELNS0_20block_scan_algorithmE0ELj4294967295EEENS1_25partition_config_selectorILNS1_17partition_subalgoE3EjNS0_10empty_typeEbEEZZNS1_14partition_implILS8_3ELb0ES6_jNS0_17counting_iteratorIjlEEPS9_SE_NS0_5tupleIJPjSE_EEENSF_IJSE_SE_EEES9_SG_JZNS1_25segmented_radix_sort_implINS0_14default_configELb0EPKiPiPKlPlN2at6native12_GLOBAL__N_18offset_tEEE10hipError_tPvRmT1_PNSt15iterator_traitsISY_E10value_typeET2_T3_PNSZ_IS14_E10value_typeET4_jRbjT5_S1A_jjP12ihipStream_tbEUljE_EEESV_SW_SX_S14_S18_S1A_T6_T7_T9_mT8_S1C_bDpT10_ENKUlT_T0_E_clISt17integral_constantIbLb0EES1O_IbLb1EEEEDaS1K_S1L_EUlS1K_E_NS1_11comp_targetILNS1_3genE8ELNS1_11target_archE1030ELNS1_3gpuE2ELNS1_3repE0EEENS1_30default_config_static_selectorELNS0_4arch9wavefront6targetE1EEEvSY_
                                        ; -- End function
	.section	.AMDGPU.csdata,"",@progbits
; Kernel info:
; codeLenInByte = 0
; NumSgprs: 4
; NumVgprs: 0
; NumAgprs: 0
; TotalNumVgprs: 0
; ScratchSize: 0
; MemoryBound: 0
; FloatMode: 240
; IeeeMode: 1
; LDSByteSize: 0 bytes/workgroup (compile time only)
; SGPRBlocks: 0
; VGPRBlocks: 0
; NumSGPRsForWavesPerEU: 4
; NumVGPRsForWavesPerEU: 1
; AccumOffset: 4
; Occupancy: 8
; WaveLimiterHint : 0
; COMPUTE_PGM_RSRC2:SCRATCH_EN: 0
; COMPUTE_PGM_RSRC2:USER_SGPR: 6
; COMPUTE_PGM_RSRC2:TRAP_HANDLER: 0
; COMPUTE_PGM_RSRC2:TGID_X_EN: 1
; COMPUTE_PGM_RSRC2:TGID_Y_EN: 0
; COMPUTE_PGM_RSRC2:TGID_Z_EN: 0
; COMPUTE_PGM_RSRC2:TIDIG_COMP_CNT: 0
; COMPUTE_PGM_RSRC3_GFX90A:ACCUM_OFFSET: 0
; COMPUTE_PGM_RSRC3_GFX90A:TG_SPLIT: 0
	.section	.text._ZN7rocprim17ROCPRIM_400000_NS6detail17trampoline_kernelINS0_14default_configENS1_36segmented_radix_sort_config_selectorIilEEZNS1_25segmented_radix_sort_implIS3_Lb0EPKiPiPKlPlN2at6native12_GLOBAL__N_18offset_tEEE10hipError_tPvRmT1_PNSt15iterator_traitsISK_E10value_typeET2_T3_PNSL_ISQ_E10value_typeET4_jRbjT5_SW_jjP12ihipStream_tbEUlT_E_NS1_11comp_targetILNS1_3genE0ELNS1_11target_archE4294967295ELNS1_3gpuE0ELNS1_3repE0EEENS1_30default_config_static_selectorELNS0_4arch9wavefront6targetE1EEEvSK_,"axG",@progbits,_ZN7rocprim17ROCPRIM_400000_NS6detail17trampoline_kernelINS0_14default_configENS1_36segmented_radix_sort_config_selectorIilEEZNS1_25segmented_radix_sort_implIS3_Lb0EPKiPiPKlPlN2at6native12_GLOBAL__N_18offset_tEEE10hipError_tPvRmT1_PNSt15iterator_traitsISK_E10value_typeET2_T3_PNSL_ISQ_E10value_typeET4_jRbjT5_SW_jjP12ihipStream_tbEUlT_E_NS1_11comp_targetILNS1_3genE0ELNS1_11target_archE4294967295ELNS1_3gpuE0ELNS1_3repE0EEENS1_30default_config_static_selectorELNS0_4arch9wavefront6targetE1EEEvSK_,comdat
	.globl	_ZN7rocprim17ROCPRIM_400000_NS6detail17trampoline_kernelINS0_14default_configENS1_36segmented_radix_sort_config_selectorIilEEZNS1_25segmented_radix_sort_implIS3_Lb0EPKiPiPKlPlN2at6native12_GLOBAL__N_18offset_tEEE10hipError_tPvRmT1_PNSt15iterator_traitsISK_E10value_typeET2_T3_PNSL_ISQ_E10value_typeET4_jRbjT5_SW_jjP12ihipStream_tbEUlT_E_NS1_11comp_targetILNS1_3genE0ELNS1_11target_archE4294967295ELNS1_3gpuE0ELNS1_3repE0EEENS1_30default_config_static_selectorELNS0_4arch9wavefront6targetE1EEEvSK_ ; -- Begin function _ZN7rocprim17ROCPRIM_400000_NS6detail17trampoline_kernelINS0_14default_configENS1_36segmented_radix_sort_config_selectorIilEEZNS1_25segmented_radix_sort_implIS3_Lb0EPKiPiPKlPlN2at6native12_GLOBAL__N_18offset_tEEE10hipError_tPvRmT1_PNSt15iterator_traitsISK_E10value_typeET2_T3_PNSL_ISQ_E10value_typeET4_jRbjT5_SW_jjP12ihipStream_tbEUlT_E_NS1_11comp_targetILNS1_3genE0ELNS1_11target_archE4294967295ELNS1_3gpuE0ELNS1_3repE0EEENS1_30default_config_static_selectorELNS0_4arch9wavefront6targetE1EEEvSK_
	.p2align	8
	.type	_ZN7rocprim17ROCPRIM_400000_NS6detail17trampoline_kernelINS0_14default_configENS1_36segmented_radix_sort_config_selectorIilEEZNS1_25segmented_radix_sort_implIS3_Lb0EPKiPiPKlPlN2at6native12_GLOBAL__N_18offset_tEEE10hipError_tPvRmT1_PNSt15iterator_traitsISK_E10value_typeET2_T3_PNSL_ISQ_E10value_typeET4_jRbjT5_SW_jjP12ihipStream_tbEUlT_E_NS1_11comp_targetILNS1_3genE0ELNS1_11target_archE4294967295ELNS1_3gpuE0ELNS1_3repE0EEENS1_30default_config_static_selectorELNS0_4arch9wavefront6targetE1EEEvSK_,@function
_ZN7rocprim17ROCPRIM_400000_NS6detail17trampoline_kernelINS0_14default_configENS1_36segmented_radix_sort_config_selectorIilEEZNS1_25segmented_radix_sort_implIS3_Lb0EPKiPiPKlPlN2at6native12_GLOBAL__N_18offset_tEEE10hipError_tPvRmT1_PNSt15iterator_traitsISK_E10value_typeET2_T3_PNSL_ISQ_E10value_typeET4_jRbjT5_SW_jjP12ihipStream_tbEUlT_E_NS1_11comp_targetILNS1_3genE0ELNS1_11target_archE4294967295ELNS1_3gpuE0ELNS1_3repE0EEENS1_30default_config_static_selectorELNS0_4arch9wavefront6targetE1EEEvSK_: ; @_ZN7rocprim17ROCPRIM_400000_NS6detail17trampoline_kernelINS0_14default_configENS1_36segmented_radix_sort_config_selectorIilEEZNS1_25segmented_radix_sort_implIS3_Lb0EPKiPiPKlPlN2at6native12_GLOBAL__N_18offset_tEEE10hipError_tPvRmT1_PNSt15iterator_traitsISK_E10value_typeET2_T3_PNSL_ISQ_E10value_typeET4_jRbjT5_SW_jjP12ihipStream_tbEUlT_E_NS1_11comp_targetILNS1_3genE0ELNS1_11target_archE4294967295ELNS1_3gpuE0ELNS1_3repE0EEENS1_30default_config_static_selectorELNS0_4arch9wavefront6targetE1EEEvSK_
; %bb.0:
	.section	.rodata,"a",@progbits
	.p2align	6, 0x0
	.amdhsa_kernel _ZN7rocprim17ROCPRIM_400000_NS6detail17trampoline_kernelINS0_14default_configENS1_36segmented_radix_sort_config_selectorIilEEZNS1_25segmented_radix_sort_implIS3_Lb0EPKiPiPKlPlN2at6native12_GLOBAL__N_18offset_tEEE10hipError_tPvRmT1_PNSt15iterator_traitsISK_E10value_typeET2_T3_PNSL_ISQ_E10value_typeET4_jRbjT5_SW_jjP12ihipStream_tbEUlT_E_NS1_11comp_targetILNS1_3genE0ELNS1_11target_archE4294967295ELNS1_3gpuE0ELNS1_3repE0EEENS1_30default_config_static_selectorELNS0_4arch9wavefront6targetE1EEEvSK_
		.amdhsa_group_segment_fixed_size 0
		.amdhsa_private_segment_fixed_size 0
		.amdhsa_kernarg_size 96
		.amdhsa_user_sgpr_count 6
		.amdhsa_user_sgpr_private_segment_buffer 1
		.amdhsa_user_sgpr_dispatch_ptr 0
		.amdhsa_user_sgpr_queue_ptr 0
		.amdhsa_user_sgpr_kernarg_segment_ptr 1
		.amdhsa_user_sgpr_dispatch_id 0
		.amdhsa_user_sgpr_flat_scratch_init 0
		.amdhsa_user_sgpr_kernarg_preload_length 0
		.amdhsa_user_sgpr_kernarg_preload_offset 0
		.amdhsa_user_sgpr_private_segment_size 0
		.amdhsa_uses_dynamic_stack 0
		.amdhsa_system_sgpr_private_segment_wavefront_offset 0
		.amdhsa_system_sgpr_workgroup_id_x 1
		.amdhsa_system_sgpr_workgroup_id_y 0
		.amdhsa_system_sgpr_workgroup_id_z 0
		.amdhsa_system_sgpr_workgroup_info 0
		.amdhsa_system_vgpr_workitem_id 0
		.amdhsa_next_free_vgpr 1
		.amdhsa_next_free_sgpr 0
		.amdhsa_accum_offset 4
		.amdhsa_reserve_vcc 0
		.amdhsa_reserve_flat_scratch 0
		.amdhsa_float_round_mode_32 0
		.amdhsa_float_round_mode_16_64 0
		.amdhsa_float_denorm_mode_32 3
		.amdhsa_float_denorm_mode_16_64 3
		.amdhsa_dx10_clamp 1
		.amdhsa_ieee_mode 1
		.amdhsa_fp16_overflow 0
		.amdhsa_tg_split 0
		.amdhsa_exception_fp_ieee_invalid_op 0
		.amdhsa_exception_fp_denorm_src 0
		.amdhsa_exception_fp_ieee_div_zero 0
		.amdhsa_exception_fp_ieee_overflow 0
		.amdhsa_exception_fp_ieee_underflow 0
		.amdhsa_exception_fp_ieee_inexact 0
		.amdhsa_exception_int_div_zero 0
	.end_amdhsa_kernel
	.section	.text._ZN7rocprim17ROCPRIM_400000_NS6detail17trampoline_kernelINS0_14default_configENS1_36segmented_radix_sort_config_selectorIilEEZNS1_25segmented_radix_sort_implIS3_Lb0EPKiPiPKlPlN2at6native12_GLOBAL__N_18offset_tEEE10hipError_tPvRmT1_PNSt15iterator_traitsISK_E10value_typeET2_T3_PNSL_ISQ_E10value_typeET4_jRbjT5_SW_jjP12ihipStream_tbEUlT_E_NS1_11comp_targetILNS1_3genE0ELNS1_11target_archE4294967295ELNS1_3gpuE0ELNS1_3repE0EEENS1_30default_config_static_selectorELNS0_4arch9wavefront6targetE1EEEvSK_,"axG",@progbits,_ZN7rocprim17ROCPRIM_400000_NS6detail17trampoline_kernelINS0_14default_configENS1_36segmented_radix_sort_config_selectorIilEEZNS1_25segmented_radix_sort_implIS3_Lb0EPKiPiPKlPlN2at6native12_GLOBAL__N_18offset_tEEE10hipError_tPvRmT1_PNSt15iterator_traitsISK_E10value_typeET2_T3_PNSL_ISQ_E10value_typeET4_jRbjT5_SW_jjP12ihipStream_tbEUlT_E_NS1_11comp_targetILNS1_3genE0ELNS1_11target_archE4294967295ELNS1_3gpuE0ELNS1_3repE0EEENS1_30default_config_static_selectorELNS0_4arch9wavefront6targetE1EEEvSK_,comdat
.Lfunc_end600:
	.size	_ZN7rocprim17ROCPRIM_400000_NS6detail17trampoline_kernelINS0_14default_configENS1_36segmented_radix_sort_config_selectorIilEEZNS1_25segmented_radix_sort_implIS3_Lb0EPKiPiPKlPlN2at6native12_GLOBAL__N_18offset_tEEE10hipError_tPvRmT1_PNSt15iterator_traitsISK_E10value_typeET2_T3_PNSL_ISQ_E10value_typeET4_jRbjT5_SW_jjP12ihipStream_tbEUlT_E_NS1_11comp_targetILNS1_3genE0ELNS1_11target_archE4294967295ELNS1_3gpuE0ELNS1_3repE0EEENS1_30default_config_static_selectorELNS0_4arch9wavefront6targetE1EEEvSK_, .Lfunc_end600-_ZN7rocprim17ROCPRIM_400000_NS6detail17trampoline_kernelINS0_14default_configENS1_36segmented_radix_sort_config_selectorIilEEZNS1_25segmented_radix_sort_implIS3_Lb0EPKiPiPKlPlN2at6native12_GLOBAL__N_18offset_tEEE10hipError_tPvRmT1_PNSt15iterator_traitsISK_E10value_typeET2_T3_PNSL_ISQ_E10value_typeET4_jRbjT5_SW_jjP12ihipStream_tbEUlT_E_NS1_11comp_targetILNS1_3genE0ELNS1_11target_archE4294967295ELNS1_3gpuE0ELNS1_3repE0EEENS1_30default_config_static_selectorELNS0_4arch9wavefront6targetE1EEEvSK_
                                        ; -- End function
	.section	.AMDGPU.csdata,"",@progbits
; Kernel info:
; codeLenInByte = 0
; NumSgprs: 4
; NumVgprs: 0
; NumAgprs: 0
; TotalNumVgprs: 0
; ScratchSize: 0
; MemoryBound: 0
; FloatMode: 240
; IeeeMode: 1
; LDSByteSize: 0 bytes/workgroup (compile time only)
; SGPRBlocks: 0
; VGPRBlocks: 0
; NumSGPRsForWavesPerEU: 4
; NumVGPRsForWavesPerEU: 1
; AccumOffset: 4
; Occupancy: 8
; WaveLimiterHint : 0
; COMPUTE_PGM_RSRC2:SCRATCH_EN: 0
; COMPUTE_PGM_RSRC2:USER_SGPR: 6
; COMPUTE_PGM_RSRC2:TRAP_HANDLER: 0
; COMPUTE_PGM_RSRC2:TGID_X_EN: 1
; COMPUTE_PGM_RSRC2:TGID_Y_EN: 0
; COMPUTE_PGM_RSRC2:TGID_Z_EN: 0
; COMPUTE_PGM_RSRC2:TIDIG_COMP_CNT: 0
; COMPUTE_PGM_RSRC3_GFX90A:ACCUM_OFFSET: 0
; COMPUTE_PGM_RSRC3_GFX90A:TG_SPLIT: 0
	.section	.text._ZN7rocprim17ROCPRIM_400000_NS6detail17trampoline_kernelINS0_14default_configENS1_36segmented_radix_sort_config_selectorIilEEZNS1_25segmented_radix_sort_implIS3_Lb0EPKiPiPKlPlN2at6native12_GLOBAL__N_18offset_tEEE10hipError_tPvRmT1_PNSt15iterator_traitsISK_E10value_typeET2_T3_PNSL_ISQ_E10value_typeET4_jRbjT5_SW_jjP12ihipStream_tbEUlT_E_NS1_11comp_targetILNS1_3genE5ELNS1_11target_archE942ELNS1_3gpuE9ELNS1_3repE0EEENS1_30default_config_static_selectorELNS0_4arch9wavefront6targetE1EEEvSK_,"axG",@progbits,_ZN7rocprim17ROCPRIM_400000_NS6detail17trampoline_kernelINS0_14default_configENS1_36segmented_radix_sort_config_selectorIilEEZNS1_25segmented_radix_sort_implIS3_Lb0EPKiPiPKlPlN2at6native12_GLOBAL__N_18offset_tEEE10hipError_tPvRmT1_PNSt15iterator_traitsISK_E10value_typeET2_T3_PNSL_ISQ_E10value_typeET4_jRbjT5_SW_jjP12ihipStream_tbEUlT_E_NS1_11comp_targetILNS1_3genE5ELNS1_11target_archE942ELNS1_3gpuE9ELNS1_3repE0EEENS1_30default_config_static_selectorELNS0_4arch9wavefront6targetE1EEEvSK_,comdat
	.globl	_ZN7rocprim17ROCPRIM_400000_NS6detail17trampoline_kernelINS0_14default_configENS1_36segmented_radix_sort_config_selectorIilEEZNS1_25segmented_radix_sort_implIS3_Lb0EPKiPiPKlPlN2at6native12_GLOBAL__N_18offset_tEEE10hipError_tPvRmT1_PNSt15iterator_traitsISK_E10value_typeET2_T3_PNSL_ISQ_E10value_typeET4_jRbjT5_SW_jjP12ihipStream_tbEUlT_E_NS1_11comp_targetILNS1_3genE5ELNS1_11target_archE942ELNS1_3gpuE9ELNS1_3repE0EEENS1_30default_config_static_selectorELNS0_4arch9wavefront6targetE1EEEvSK_ ; -- Begin function _ZN7rocprim17ROCPRIM_400000_NS6detail17trampoline_kernelINS0_14default_configENS1_36segmented_radix_sort_config_selectorIilEEZNS1_25segmented_radix_sort_implIS3_Lb0EPKiPiPKlPlN2at6native12_GLOBAL__N_18offset_tEEE10hipError_tPvRmT1_PNSt15iterator_traitsISK_E10value_typeET2_T3_PNSL_ISQ_E10value_typeET4_jRbjT5_SW_jjP12ihipStream_tbEUlT_E_NS1_11comp_targetILNS1_3genE5ELNS1_11target_archE942ELNS1_3gpuE9ELNS1_3repE0EEENS1_30default_config_static_selectorELNS0_4arch9wavefront6targetE1EEEvSK_
	.p2align	8
	.type	_ZN7rocprim17ROCPRIM_400000_NS6detail17trampoline_kernelINS0_14default_configENS1_36segmented_radix_sort_config_selectorIilEEZNS1_25segmented_radix_sort_implIS3_Lb0EPKiPiPKlPlN2at6native12_GLOBAL__N_18offset_tEEE10hipError_tPvRmT1_PNSt15iterator_traitsISK_E10value_typeET2_T3_PNSL_ISQ_E10value_typeET4_jRbjT5_SW_jjP12ihipStream_tbEUlT_E_NS1_11comp_targetILNS1_3genE5ELNS1_11target_archE942ELNS1_3gpuE9ELNS1_3repE0EEENS1_30default_config_static_selectorELNS0_4arch9wavefront6targetE1EEEvSK_,@function
_ZN7rocprim17ROCPRIM_400000_NS6detail17trampoline_kernelINS0_14default_configENS1_36segmented_radix_sort_config_selectorIilEEZNS1_25segmented_radix_sort_implIS3_Lb0EPKiPiPKlPlN2at6native12_GLOBAL__N_18offset_tEEE10hipError_tPvRmT1_PNSt15iterator_traitsISK_E10value_typeET2_T3_PNSL_ISQ_E10value_typeET4_jRbjT5_SW_jjP12ihipStream_tbEUlT_E_NS1_11comp_targetILNS1_3genE5ELNS1_11target_archE942ELNS1_3gpuE9ELNS1_3repE0EEENS1_30default_config_static_selectorELNS0_4arch9wavefront6targetE1EEEvSK_: ; @_ZN7rocprim17ROCPRIM_400000_NS6detail17trampoline_kernelINS0_14default_configENS1_36segmented_radix_sort_config_selectorIilEEZNS1_25segmented_radix_sort_implIS3_Lb0EPKiPiPKlPlN2at6native12_GLOBAL__N_18offset_tEEE10hipError_tPvRmT1_PNSt15iterator_traitsISK_E10value_typeET2_T3_PNSL_ISQ_E10value_typeET4_jRbjT5_SW_jjP12ihipStream_tbEUlT_E_NS1_11comp_targetILNS1_3genE5ELNS1_11target_archE942ELNS1_3gpuE9ELNS1_3repE0EEENS1_30default_config_static_selectorELNS0_4arch9wavefront6targetE1EEEvSK_
; %bb.0:
	.section	.rodata,"a",@progbits
	.p2align	6, 0x0
	.amdhsa_kernel _ZN7rocprim17ROCPRIM_400000_NS6detail17trampoline_kernelINS0_14default_configENS1_36segmented_radix_sort_config_selectorIilEEZNS1_25segmented_radix_sort_implIS3_Lb0EPKiPiPKlPlN2at6native12_GLOBAL__N_18offset_tEEE10hipError_tPvRmT1_PNSt15iterator_traitsISK_E10value_typeET2_T3_PNSL_ISQ_E10value_typeET4_jRbjT5_SW_jjP12ihipStream_tbEUlT_E_NS1_11comp_targetILNS1_3genE5ELNS1_11target_archE942ELNS1_3gpuE9ELNS1_3repE0EEENS1_30default_config_static_selectorELNS0_4arch9wavefront6targetE1EEEvSK_
		.amdhsa_group_segment_fixed_size 0
		.amdhsa_private_segment_fixed_size 0
		.amdhsa_kernarg_size 96
		.amdhsa_user_sgpr_count 6
		.amdhsa_user_sgpr_private_segment_buffer 1
		.amdhsa_user_sgpr_dispatch_ptr 0
		.amdhsa_user_sgpr_queue_ptr 0
		.amdhsa_user_sgpr_kernarg_segment_ptr 1
		.amdhsa_user_sgpr_dispatch_id 0
		.amdhsa_user_sgpr_flat_scratch_init 0
		.amdhsa_user_sgpr_kernarg_preload_length 0
		.amdhsa_user_sgpr_kernarg_preload_offset 0
		.amdhsa_user_sgpr_private_segment_size 0
		.amdhsa_uses_dynamic_stack 0
		.amdhsa_system_sgpr_private_segment_wavefront_offset 0
		.amdhsa_system_sgpr_workgroup_id_x 1
		.amdhsa_system_sgpr_workgroup_id_y 0
		.amdhsa_system_sgpr_workgroup_id_z 0
		.amdhsa_system_sgpr_workgroup_info 0
		.amdhsa_system_vgpr_workitem_id 0
		.amdhsa_next_free_vgpr 1
		.amdhsa_next_free_sgpr 0
		.amdhsa_accum_offset 4
		.amdhsa_reserve_vcc 0
		.amdhsa_reserve_flat_scratch 0
		.amdhsa_float_round_mode_32 0
		.amdhsa_float_round_mode_16_64 0
		.amdhsa_float_denorm_mode_32 3
		.amdhsa_float_denorm_mode_16_64 3
		.amdhsa_dx10_clamp 1
		.amdhsa_ieee_mode 1
		.amdhsa_fp16_overflow 0
		.amdhsa_tg_split 0
		.amdhsa_exception_fp_ieee_invalid_op 0
		.amdhsa_exception_fp_denorm_src 0
		.amdhsa_exception_fp_ieee_div_zero 0
		.amdhsa_exception_fp_ieee_overflow 0
		.amdhsa_exception_fp_ieee_underflow 0
		.amdhsa_exception_fp_ieee_inexact 0
		.amdhsa_exception_int_div_zero 0
	.end_amdhsa_kernel
	.section	.text._ZN7rocprim17ROCPRIM_400000_NS6detail17trampoline_kernelINS0_14default_configENS1_36segmented_radix_sort_config_selectorIilEEZNS1_25segmented_radix_sort_implIS3_Lb0EPKiPiPKlPlN2at6native12_GLOBAL__N_18offset_tEEE10hipError_tPvRmT1_PNSt15iterator_traitsISK_E10value_typeET2_T3_PNSL_ISQ_E10value_typeET4_jRbjT5_SW_jjP12ihipStream_tbEUlT_E_NS1_11comp_targetILNS1_3genE5ELNS1_11target_archE942ELNS1_3gpuE9ELNS1_3repE0EEENS1_30default_config_static_selectorELNS0_4arch9wavefront6targetE1EEEvSK_,"axG",@progbits,_ZN7rocprim17ROCPRIM_400000_NS6detail17trampoline_kernelINS0_14default_configENS1_36segmented_radix_sort_config_selectorIilEEZNS1_25segmented_radix_sort_implIS3_Lb0EPKiPiPKlPlN2at6native12_GLOBAL__N_18offset_tEEE10hipError_tPvRmT1_PNSt15iterator_traitsISK_E10value_typeET2_T3_PNSL_ISQ_E10value_typeET4_jRbjT5_SW_jjP12ihipStream_tbEUlT_E_NS1_11comp_targetILNS1_3genE5ELNS1_11target_archE942ELNS1_3gpuE9ELNS1_3repE0EEENS1_30default_config_static_selectorELNS0_4arch9wavefront6targetE1EEEvSK_,comdat
.Lfunc_end601:
	.size	_ZN7rocprim17ROCPRIM_400000_NS6detail17trampoline_kernelINS0_14default_configENS1_36segmented_radix_sort_config_selectorIilEEZNS1_25segmented_radix_sort_implIS3_Lb0EPKiPiPKlPlN2at6native12_GLOBAL__N_18offset_tEEE10hipError_tPvRmT1_PNSt15iterator_traitsISK_E10value_typeET2_T3_PNSL_ISQ_E10value_typeET4_jRbjT5_SW_jjP12ihipStream_tbEUlT_E_NS1_11comp_targetILNS1_3genE5ELNS1_11target_archE942ELNS1_3gpuE9ELNS1_3repE0EEENS1_30default_config_static_selectorELNS0_4arch9wavefront6targetE1EEEvSK_, .Lfunc_end601-_ZN7rocprim17ROCPRIM_400000_NS6detail17trampoline_kernelINS0_14default_configENS1_36segmented_radix_sort_config_selectorIilEEZNS1_25segmented_radix_sort_implIS3_Lb0EPKiPiPKlPlN2at6native12_GLOBAL__N_18offset_tEEE10hipError_tPvRmT1_PNSt15iterator_traitsISK_E10value_typeET2_T3_PNSL_ISQ_E10value_typeET4_jRbjT5_SW_jjP12ihipStream_tbEUlT_E_NS1_11comp_targetILNS1_3genE5ELNS1_11target_archE942ELNS1_3gpuE9ELNS1_3repE0EEENS1_30default_config_static_selectorELNS0_4arch9wavefront6targetE1EEEvSK_
                                        ; -- End function
	.section	.AMDGPU.csdata,"",@progbits
; Kernel info:
; codeLenInByte = 0
; NumSgprs: 4
; NumVgprs: 0
; NumAgprs: 0
; TotalNumVgprs: 0
; ScratchSize: 0
; MemoryBound: 0
; FloatMode: 240
; IeeeMode: 1
; LDSByteSize: 0 bytes/workgroup (compile time only)
; SGPRBlocks: 0
; VGPRBlocks: 0
; NumSGPRsForWavesPerEU: 4
; NumVGPRsForWavesPerEU: 1
; AccumOffset: 4
; Occupancy: 8
; WaveLimiterHint : 0
; COMPUTE_PGM_RSRC2:SCRATCH_EN: 0
; COMPUTE_PGM_RSRC2:USER_SGPR: 6
; COMPUTE_PGM_RSRC2:TRAP_HANDLER: 0
; COMPUTE_PGM_RSRC2:TGID_X_EN: 1
; COMPUTE_PGM_RSRC2:TGID_Y_EN: 0
; COMPUTE_PGM_RSRC2:TGID_Z_EN: 0
; COMPUTE_PGM_RSRC2:TIDIG_COMP_CNT: 0
; COMPUTE_PGM_RSRC3_GFX90A:ACCUM_OFFSET: 0
; COMPUTE_PGM_RSRC3_GFX90A:TG_SPLIT: 0
	.text
	.p2align	2                               ; -- Begin function _ZN7rocprim17ROCPRIM_400000_NS6detail40segmented_radix_sort_single_block_helperIilLj256ELj16ELb0EE4sortIPKiPiPKlPlEEbT_T0_T1_T2_jjjjRNS3_12storage_typeE
	.type	_ZN7rocprim17ROCPRIM_400000_NS6detail40segmented_radix_sort_single_block_helperIilLj256ELj16ELb0EE4sortIPKiPiPKlPlEEbT_T0_T1_T2_jjjjRNS3_12storage_typeE,@function
_ZN7rocprim17ROCPRIM_400000_NS6detail40segmented_radix_sort_single_block_helperIilLj256ELj16ELb0EE4sortIPKiPiPKlPlEEbT_T0_T1_T2_jjjjRNS3_12storage_typeE: ; @_ZN7rocprim17ROCPRIM_400000_NS6detail40segmented_radix_sort_single_block_helperIilLj256ELj16ELb0EE4sortIPKiPiPKlPlEEbT_T0_T1_T2_jjjjRNS3_12storage_typeE
; %bb.0:
	s_waitcnt vmcnt(0) expcnt(0) lgkmcnt(0)
	s_or_saveexec_b64 s[4:5], -1
	buffer_store_dword v220, off, s[0:3], s32 offset:256 ; 4-byte Folded Spill
	s_mov_b64 exec, s[4:5]
	v_accvgpr_write_b32 a4, v40             ;  Reload Reuse
	v_accvgpr_write_b32 a5, v41             ;  Reload Reuse
	;; [unrolled: 1-line block ×6, first 2 shown]
	v_accvgpr_write_b32 a10, v46            ;  Reload Reuse
	v_accvgpr_write_b32 a11, v47            ;  Reload Reuse
	v_accvgpr_write_b32 a12, v56            ;  Reload Reuse
	v_accvgpr_write_b32 a13, v57            ;  Reload Reuse
	v_accvgpr_write_b32 a14, v58            ;  Reload Reuse
	v_accvgpr_write_b32 a15, v59            ;  Reload Reuse
	v_accvgpr_write_b32 a16, v60            ;  Reload Reuse
	v_accvgpr_write_b32 a17, v61            ;  Reload Reuse
	v_accvgpr_write_b32 a18, v62            ;  Reload Reuse
	v_accvgpr_write_b32 a19, v63            ;  Reload Reuse
	v_accvgpr_write_b32 a20, v72            ;  Reload Reuse
	v_accvgpr_write_b32 a21, v73            ;  Reload Reuse
	v_accvgpr_write_b32 a22, v74            ;  Reload Reuse
	v_accvgpr_write_b32 a23, v75            ;  Reload Reuse
	v_accvgpr_write_b32 a24, v76            ;  Reload Reuse
	v_accvgpr_write_b32 a25, v77            ;  Reload Reuse
	v_accvgpr_write_b32 a26, v78            ;  Reload Reuse
	v_accvgpr_write_b32 a27, v79            ;  Reload Reuse
	v_accvgpr_write_b32 a28, v88            ;  Reload Reuse
	v_accvgpr_write_b32 a29, v89            ;  Reload Reuse
	v_accvgpr_write_b32 a30, v90            ;  Reload Reuse
	v_accvgpr_write_b32 a31, v91            ;  Reload Reuse
	buffer_store_dword v92, off, s[0:3], s32 offset:252 ; 4-byte Folded Spill
	buffer_store_dword v93, off, s[0:3], s32 offset:248 ; 4-byte Folded Spill
	;; [unrolled: 1-line block ×63, first 2 shown]
	buffer_store_dword v219, off, s[0:3], s32 ; 4-byte Folded Spill
	v_writelane_b32 v220, s34, 0
	v_writelane_b32 v220, s35, 1
	;; [unrolled: 1-line block ×16, first 2 shown]
	v_sub_u32_e32 v152, v9, v8
	s_movk_i32 s4, 0x1001
	v_cmp_gt_u32_e32 vcc, s4, v152
	s_and_saveexec_b64 s[42:43], vcc
	s_cbranch_execz .LBB602_372
; %bb.1:
	s_movk_i32 s4, 0x800
	v_cmp_lt_u32_e32 vcc, s4, v152
	v_bfe_u32 v14, v31, 10, 10
	v_bfe_u32 v16, v31, 20, 10
	v_mbcnt_lo_u32_b32 v15, -1, 0
	s_and_saveexec_b64 s[4:5], vcc
	s_xor_b64 s[44:45], exec, s[4:5]
	s_cbranch_execz .LBB602_143
; %bb.2:
	s_load_dwordx2 s[4:5], s[8:9], 0x0
	v_mov_b32_e32 v9, 0
	v_mbcnt_hi_u32_b32 v18, -1, v15
	v_lshlrev_b64 v[22:23], 2, v[8:9]
	v_and_b32_e32 v19, 63, v18
	s_waitcnt lgkmcnt(0)
	s_cmp_lt_u32 s12, s4
	s_cselect_b32 s6, 12, 18
	s_cmp_lt_u32 s13, s5
	s_cselect_b32 s4, 14, 20
	s_add_u32 s4, s8, s4
	s_addc_u32 s5, s9, 0
	s_add_u32 s6, s8, s6
	global_load_ushort v17, v9, s[4:5]
	s_addc_u32 s7, s9, 0
	global_load_ushort v24, v9, s[6:7]
	v_add_co_u32_e32 v0, vcc, v0, v22
	v_addc_co_u32_e32 v1, vcc, v1, v23, vcc
	v_lshlrev_b32_e32 v25, 2, v19
	v_and_b32_e32 v20, 0x3ff, v31
	v_bfrev_b32_e32 v21, -2
	v_add_co_u32_e32 v25, vcc, v0, v25
	v_addc_co_u32_e32 v26, vcc, 0, v1, vcc
	v_mov_b32_e32 v15, v9
	s_waitcnt vmcnt(1)
	v_mad_u32_u24 v0, v16, v17, v14
	s_waitcnt vmcnt(0)
	v_mad_u64_u32 v[0:1], s[4:5], v0, v24, v[20:21]
	v_lshlrev_b32_e32 v1, 4, v0
	v_and_b32_e32 v14, 0xfffffc00, v1
	v_lshlrev_b64 v[16:17], 2, v[14:15]
	v_add_co_u32_e32 v16, vcc, v25, v16
	v_or_b32_e32 v38, v14, v19
	v_addc_co_u32_e32 v17, vcc, v26, v17, vcc
	v_cmp_lt_u32_e32 vcc, v38, v152
	v_bfrev_b32_e32 v1, -2
	s_and_saveexec_b64 s[4:5], vcc
	s_cbranch_execz .LBB602_4
; %bb.3:
	flat_load_dword v1, v[16:17]
.LBB602_4:
	s_or_b64 exec, exec, s[4:5]
	v_or_b32_e32 v24, 64, v38
	v_cmp_lt_u32_e64 s[10:11], v24, v152
	s_and_saveexec_b64 s[4:5], s[10:11]
	s_cbranch_execz .LBB602_6
; %bb.5:
	flat_load_dword v21, v[16:17] offset:256
.LBB602_6:
	s_or_b64 exec, exec, s[4:5]
	v_or_b32_e32 v24, 0x80, v38
	v_cmp_lt_u32_e64 s[14:15], v24, v152
	v_bfrev_b32_e32 v24, -2
	v_bfrev_b32_e32 v25, -2
	s_and_saveexec_b64 s[4:5], s[14:15]
	s_cbranch_execz .LBB602_8
; %bb.7:
	flat_load_dword v25, v[16:17] offset:512
.LBB602_8:
	s_or_b64 exec, exec, s[4:5]
	v_or_b32_e32 v26, 0xc0, v38
	v_cmp_lt_u32_e64 s[18:19], v26, v152
	s_and_saveexec_b64 s[4:5], s[18:19]
	s_cbranch_execz .LBB602_10
; %bb.9:
	flat_load_dword v24, v[16:17] offset:768
.LBB602_10:
	s_or_b64 exec, exec, s[4:5]
	v_or_b32_e32 v26, 0x100, v38
	v_cmp_lt_u32_e64 s[20:21], v26, v152
	v_bfrev_b32_e32 v26, -2
	v_bfrev_b32_e32 v27, -2
	s_and_saveexec_b64 s[4:5], s[20:21]
	s_cbranch_execz .LBB602_12
; %bb.11:
	flat_load_dword v27, v[16:17] offset:1024
.LBB602_12:
	;; [unrolled: 18-line block ×7, first 2 shown]
	s_or_b64 exec, exec, s[4:5]
	v_or_b32_e32 v38, 0x3c0, v38
	v_cmp_lt_u32_e64 s[4:5], v38, v152
	s_and_saveexec_b64 s[40:41], s[4:5]
	s_cbranch_execz .LBB602_34
; %bb.33:
	flat_load_dword v36, v[16:17] offset:3840
.LBB602_34:
	s_or_b64 exec, exec, s[40:41]
	v_lshlrev_b64 v[8:9], 3, v[8:9]
	v_add_co_u32_e64 v4, s[40:41], v4, v8
	v_addc_co_u32_e64 v5, s[40:41], v5, v9, s[40:41]
	v_lshlrev_b32_e32 v16, 3, v19
	v_add_co_u32_e64 v16, s[40:41], v4, v16
	v_addc_co_u32_e64 v17, s[40:41], 0, v5, s[40:41]
	v_lshlrev_b64 v[4:5], 3, v[14:15]
	v_add_co_u32_e64 v4, s[40:41], v16, v4
	v_addc_co_u32_e64 v5, s[40:41], v17, v5, s[40:41]
                                        ; implicit-def: $vgpr16_vgpr17
	s_and_saveexec_b64 s[40:41], vcc
	s_cbranch_execnz .LBB602_196
; %bb.35:
	s_or_b64 exec, exec, s[40:41]
                                        ; implicit-def: $vgpr130_vgpr131
	s_and_saveexec_b64 vcc, s[10:11]
	s_cbranch_execnz .LBB602_197
.LBB602_36:
	s_or_b64 exec, exec, vcc
                                        ; implicit-def: $vgpr146_vgpr147
	s_and_saveexec_b64 s[10:11], s[14:15]
	s_cbranch_execnz .LBB602_198
.LBB602_37:
	s_or_b64 exec, exec, s[10:11]
                                        ; implicit-def: $vgpr192_vgpr193
	s_and_saveexec_b64 s[10:11], s[18:19]
	s_cbranch_execnz .LBB602_199
.LBB602_38:
	s_or_b64 exec, exec, s[10:11]
                                        ; implicit-def: $vgpr196_vgpr197
	s_and_saveexec_b64 s[10:11], s[20:21]
	s_cbranch_execnz .LBB602_200
.LBB602_39:
	s_or_b64 exec, exec, s[10:11]
                                        ; implicit-def: $vgpr198_vgpr199
	s_and_saveexec_b64 s[10:11], s[24:25]
	s_cbranch_execnz .LBB602_201
.LBB602_40:
	s_or_b64 exec, exec, s[10:11]
                                        ; implicit-def: $vgpr208_vgpr209
	s_and_saveexec_b64 s[10:11], s[28:29]
	s_cbranch_execnz .LBB602_202
.LBB602_41:
	s_or_b64 exec, exec, s[10:11]
                                        ; implicit-def: $vgpr210_vgpr211
	s_and_saveexec_b64 s[10:11], s[34:35]
	s_cbranch_execnz .LBB602_203
.LBB602_42:
	s_or_b64 exec, exec, s[10:11]
                                        ; implicit-def: $vgpr212_vgpr213
	s_and_saveexec_b64 s[10:11], s[36:37]
	s_cbranch_execnz .LBB602_204
.LBB602_43:
	s_or_b64 exec, exec, s[10:11]
                                        ; implicit-def: $vgpr214_vgpr215
	s_and_saveexec_b64 s[10:11], s[30:31]
	s_cbranch_execnz .LBB602_205
.LBB602_44:
	s_or_b64 exec, exec, s[10:11]
                                        ; implicit-def: $vgpr224_vgpr225
	s_and_saveexec_b64 s[10:11], s[26:27]
	s_cbranch_execnz .LBB602_206
.LBB602_45:
	s_or_b64 exec, exec, s[10:11]
                                        ; implicit-def: $vgpr226_vgpr227
	s_and_saveexec_b64 s[10:11], s[22:23]
	s_cbranch_execnz .LBB602_207
.LBB602_46:
	s_or_b64 exec, exec, s[10:11]
                                        ; implicit-def: $vgpr228_vgpr229
	s_and_saveexec_b64 s[10:11], s[16:17]
	s_cbranch_execnz .LBB602_208
.LBB602_47:
	s_or_b64 exec, exec, s[10:11]
                                        ; implicit-def: $vgpr246_vgpr247
	s_and_saveexec_b64 s[10:11], s[38:39]
	s_cbranch_execnz .LBB602_209
.LBB602_48:
	s_or_b64 exec, exec, s[10:11]
                                        ; implicit-def: $agpr0_agpr1
	s_and_saveexec_b64 s[10:11], s[6:7]
	s_cbranch_execnz .LBB602_210
.LBB602_49:
	s_or_b64 exec, exec, s[10:11]
                                        ; implicit-def: $agpr2_agpr3
	s_and_saveexec_b64 s[6:7], s[4:5]
	s_cbranch_execz .LBB602_51
.LBB602_50:
	v_add_co_u32_e32 v4, vcc, 0x1000, v4
	v_addc_co_u32_e32 v5, vcc, 0, v5, vcc
	flat_load_dwordx2 a[2:3], v[4:5] offset:3584
.LBB602_51:
	s_or_b64 exec, exec, s[6:7]
	s_waitcnt vmcnt(0) lgkmcnt(0)
	v_xor_b32_e32 v188, 0x80000000, v1
	v_add_co_u32_e32 v1, vcc, 16, v12
	v_xor_b32_e32 v189, 0x80000000, v21
	v_xor_b32_e32 v201, 0x80000000, v26
	v_addc_co_u32_e32 v21, vcc, 0, v13, vcc
	v_lshlrev_b32_e32 v26, 4, v20
	v_add_co_u32_e32 v48, vcc, v12, v26
	s_getpc_b64 s[4:5]
	s_add_u32 s4, s4, _ZN7rocprim17ROCPRIM_400000_NS16block_radix_sortIiLj256ELj16ElLj1ELj1ELj8ELNS0_26block_radix_rank_algorithmE2ELNS0_18block_padding_hintE2ELNS0_4arch9wavefront6targetE1EE19radix_bits_per_passE@rel32@lo+4
	s_addc_u32 s5, s5, _ZN7rocprim17ROCPRIM_400000_NS16block_radix_sortIiLj256ELj16ElLj1ELj1ELj8ELNS0_26block_radix_rank_algorithmE2ELNS0_18block_padding_hintE2ELNS0_4arch9wavefront6targetE1EE19radix_bits_per_passE@rel32@hi+12
	v_addc_co_u32_e32 v49, vcc, 0, v13, vcc
	v_and_b32_e32 v5, 15, v18
	s_load_dword s46, s[4:5], 0x0
	v_cmp_eq_u32_e32 vcc, 0, v5
	v_cmp_lt_u32_e64 s[4:5], 1, v5
	v_cmp_lt_u32_e64 s[6:7], 3, v5
	;; [unrolled: 1-line block ×3, first 2 shown]
	v_and_b32_e32 v5, 16, v18
	v_cmp_eq_u32_e64 s[34:35], 0, v5
	v_and_b32_e32 v5, 0x3c0, v20
	v_min_u32_e32 v5, 0xc0, v5
	v_or_b32_e32 v5, 63, v5
	v_xor_b32_e32 v191, 0x80000000, v24
	v_cmp_eq_u32_e64 s[16:17], v5, v20
	v_add_u32_e32 v5, -1, v18
	v_and_b32_e32 v24, 64, v18
	v_cmp_lt_i32_e64 s[22:23], v5, v24
	v_lshrrev_b32_e32 v14, 6, v20
	v_cndmask_b32_e64 v5, v5, v18, s[22:23]
	v_mov_b32_e32 v15, 0
	v_lshlrev_b32_e32 v154, 2, v5
	v_lshlrev_b32_e32 v5, 2, v14
	v_add_u32_e32 v14, -1, v14
	v_xor_b32_e32 v190, 0x80000000, v25
	v_lshlrev_b64 v[24:25], 2, v[14:15]
	v_add_co_u32_e64 v70, s[26:27], v12, v5
	v_add_co_u32_e64 v84, s[30:31], v12, v24
	v_lshlrev_b32_e32 v4, 2, v20
	v_addc_co_u32_e64 v71, s[26:27], 0, v13, s[26:27]
	v_addc_co_u32_e64 v85, s[30:31], v13, v25, s[30:31]
	v_add_co_u32_e64 v4, s[26:27], v12, v4
	s_movk_i32 s30, 0x3c00
	v_cmp_lt_u32_e64 s[14:15], 31, v18
	v_cmp_eq_u32_e64 s[22:23], 0, v18
	v_addc_co_u32_e64 v5, s[26:27], 0, v13, s[26:27]
	v_and_b32_e32 v18, 3, v18
	v_and_or_b32 v14, v26, s30, v19
	v_cmp_eq_u32_e64 s[26:27], 0, v18
	v_cmp_lt_u32_e64 s[28:29], 1, v18
	v_lshlrev_b32_e32 v18, 2, v14
	v_add_co_u32_e64 v86, s[30:31], v12, v18
	v_addc_co_u32_e64 v87, s[30:31], 0, v13, s[30:31]
	v_lshlrev_b32_e32 v14, 3, v14
	v_add_co_u32_e64 v96, s[30:31], v86, v18
	v_addc_co_u32_e64 v97, s[30:31], 0, v87, s[30:31]
	v_or_b32_e32 v18, 0x1000, v14
	v_add_co_u32_e64 v98, s[30:31], v12, v18
	v_addc_co_u32_e64 v99, s[30:31], 0, v13, s[30:31]
	v_or_b32_e32 v18, 0x1200, v14
	;; [unrolled: 3-line block ×8, first 2 shown]
	v_add_co_u32_e64 v128, s[30:31], v12, v14
	v_xor_b32_e32 v200, 0x80000000, v27
	v_xor_b32_e32 v202, 0x80000000, v29
	;; [unrolled: 1-line block ×11, first 2 shown]
	v_lshrrev_b32_e32 v153, 6, v0
	v_cmp_gt_u32_e64 s[18:19], 4, v20
	v_cmp_lt_u32_e64 s[20:21], 63, v20
	v_cmp_eq_u32_e64 s[24:25], 0, v20
	v_addc_co_u32_e64 v129, s[30:31], 0, v13, s[30:31]
	v_sub_u32_e32 v155, v11, v10
	s_mov_b64 s[38:39], 0
	s_waitcnt lgkmcnt(0)
	s_barrier
	s_branch .LBB602_53
.LBB602_52:                             ;   in Loop: Header=BB602_53 Depth=1
	s_or_b64 exec, exec, s[36:37]
	s_and_b64 s[30:31], exec, s[40:41]
	s_or_b64 s[38:39], s[30:31], s[38:39]
	s_andn2_b64 exec, exec, s[38:39]
	s_cbranch_execz .LBB602_93
.LBB602_53:                             ; =>This Inner Loop Header: Depth=1
	s_waitcnt vmcnt(0)
	v_pk_mov_b32 v[82:83], v[16:17], v[16:17] op_sel:[0,1]
	v_min_u32_e32 v18, s46, v155
	v_mov_b32_e32 v14, v15
	v_mov_b32_e32 v16, v15
	;; [unrolled: 1-line block ×4, first 2 shown]
	flat_store_dwordx4 v[48:49], v[14:17] offset:16
	v_pk_mov_b32 v[80:81], v[130:131], v[130:131] op_sel:[0,1]
	v_lshlrev_b32_e64 v14, v18, -1
	v_not_b32_e32 v18, v14
	v_lshrrev_b32_e32 v14, v10, v187
	v_and_b32_e32 v19, v14, v18
	v_lshl_add_u32 v14, v19, 2, v153
	v_lshlrev_b64 v[16:17], 2, v[14:15]
	v_add_co_u32_e64 v130, s[30:31], v1, v16
	v_addc_co_u32_e64 v131, s[30:31], v21, v17, s[30:31]
	v_and_b32_e32 v14, 1, v19
	v_add_co_u32_e64 v16, s[30:31], -1, v14
	v_addc_co_u32_e64 v17, s[30:31], 0, -1, s[30:31]
	v_cmp_ne_u32_e64 s[30:31], 0, v14
	v_xor_b32_e32 v16, s30, v16
	v_xor_b32_e32 v14, s31, v17
	v_and_b32_e32 v132, exec_lo, v16
	v_lshlrev_b32_e32 v17, 30, v19
	v_mov_b32_e32 v16, v15
	v_cmp_gt_i64_e64 s[30:31], 0, v[16:17]
	v_not_b32_e32 v16, v17
	v_ashrrev_i32_e32 v16, 31, v16
	v_and_b32_e32 v14, exec_hi, v14
	v_xor_b32_e32 v17, s31, v16
	v_xor_b32_e32 v16, s30, v16
	v_and_b32_e32 v14, v14, v17
	v_and_b32_e32 v132, v132, v16
	v_lshlrev_b32_e32 v17, 29, v19
	v_mov_b32_e32 v16, v15
	v_cmp_gt_i64_e64 s[30:31], 0, v[16:17]
	v_not_b32_e32 v16, v17
	v_ashrrev_i32_e32 v16, 31, v16
	v_xor_b32_e32 v17, s31, v16
	v_xor_b32_e32 v16, s30, v16
	v_and_b32_e32 v14, v14, v17
	v_and_b32_e32 v132, v132, v16
	v_lshlrev_b32_e32 v17, 28, v19
	v_mov_b32_e32 v16, v15
	v_cmp_gt_i64_e64 s[30:31], 0, v[16:17]
	v_not_b32_e32 v16, v17
	v_ashrrev_i32_e32 v16, 31, v16
	;; [unrolled: 9-line block ×6, first 2 shown]
	v_xor_b32_e32 v17, s31, v16
	v_xor_b32_e32 v16, s30, v16
	v_and_b32_e32 v16, v132, v16
	v_and_b32_e32 v17, v14, v17
	v_mbcnt_lo_u32_b32 v14, v16, 0
	v_mbcnt_hi_u32_b32 v194, v17, v14
	v_accvgpr_read_b32 v27, a1
	v_accvgpr_read_b32 v25, a3
	v_cmp_eq_u32_e64 s[30:31], 0, v194
	v_cmp_ne_u64_e64 s[36:37], 0, v[16:17]
	v_pk_mov_b32 v[68:69], v[146:147], v[146:147] op_sel:[0,1]
	v_pk_mov_b32 v[66:67], v[192:193], v[192:193] op_sel:[0,1]
	;; [unrolled: 1-line block ×12, first 2 shown]
	v_accvgpr_read_b32 v26, a0
	v_accvgpr_read_b32 v24, a2
	v_mov_b32_e32 v186, v189
	v_mov_b32_e32 v185, v190
	;; [unrolled: 1-line block ×15, first 2 shown]
	s_and_b64 s[36:37], s[36:37], s[30:31]
	s_waitcnt lgkmcnt(0)
	s_barrier
	s_waitcnt lgkmcnt(0)
	; wave barrier
	s_and_saveexec_b64 s[30:31], s[36:37]
	s_cbranch_execz .LBB602_55
; %bb.54:                               ;   in Loop: Header=BB602_53 Depth=1
	v_bcnt_u32_b32 v14, v16, 0
	v_bcnt_u32_b32 v14, v17, v14
	flat_store_dword v[130:131], v14
.LBB602_55:                             ;   in Loop: Header=BB602_53 Depth=1
	s_or_b64 exec, exec, s[30:31]
	v_lshrrev_b32_e32 v14, v10, v186
	v_and_b32_e32 v19, v14, v18
	v_lshl_add_u32 v14, v19, 2, v153
	v_lshlrev_b64 v[16:17], 2, v[14:15]
	v_add_co_u32_e64 v132, s[30:31], v1, v16
	v_addc_co_u32_e64 v133, s[30:31], v21, v17, s[30:31]
	; wave barrier
	flat_load_dword v195, v[132:133]
	v_and_b32_e32 v14, 1, v19
	v_add_co_u32_e64 v16, s[30:31], -1, v14
	v_addc_co_u32_e64 v17, s[30:31], 0, -1, s[30:31]
	v_cmp_ne_u32_e64 s[30:31], 0, v14
	v_xor_b32_e32 v16, s30, v16
	v_xor_b32_e32 v14, s31, v17
	v_and_b32_e32 v134, exec_lo, v16
	v_lshlrev_b32_e32 v17, 30, v19
	v_mov_b32_e32 v16, v15
	v_cmp_gt_i64_e64 s[30:31], 0, v[16:17]
	v_not_b32_e32 v16, v17
	v_ashrrev_i32_e32 v16, 31, v16
	v_and_b32_e32 v14, exec_hi, v14
	v_xor_b32_e32 v17, s31, v16
	v_xor_b32_e32 v16, s30, v16
	v_and_b32_e32 v14, v14, v17
	v_and_b32_e32 v134, v134, v16
	v_lshlrev_b32_e32 v17, 29, v19
	v_mov_b32_e32 v16, v15
	v_cmp_gt_i64_e64 s[30:31], 0, v[16:17]
	v_not_b32_e32 v16, v17
	v_ashrrev_i32_e32 v16, 31, v16
	v_xor_b32_e32 v17, s31, v16
	v_xor_b32_e32 v16, s30, v16
	v_and_b32_e32 v14, v14, v17
	v_and_b32_e32 v134, v134, v16
	v_lshlrev_b32_e32 v17, 28, v19
	v_mov_b32_e32 v16, v15
	v_cmp_gt_i64_e64 s[30:31], 0, v[16:17]
	v_not_b32_e32 v16, v17
	v_ashrrev_i32_e32 v16, 31, v16
	;; [unrolled: 9-line block ×6, first 2 shown]
	v_xor_b32_e32 v17, s31, v16
	v_xor_b32_e32 v16, s30, v16
	v_and_b32_e32 v16, v134, v16
	v_and_b32_e32 v17, v14, v17
	v_mbcnt_lo_u32_b32 v14, v16, 0
	v_mbcnt_hi_u32_b32 v196, v17, v14
	v_cmp_eq_u32_e64 s[30:31], 0, v196
	v_cmp_ne_u64_e64 s[36:37], 0, v[16:17]
	s_and_b64 s[36:37], s[36:37], s[30:31]
	; wave barrier
	s_and_saveexec_b64 s[30:31], s[36:37]
	s_cbranch_execz .LBB602_57
; %bb.56:                               ;   in Loop: Header=BB602_53 Depth=1
	v_bcnt_u32_b32 v14, v16, 0
	v_bcnt_u32_b32 v14, v17, v14
	s_waitcnt vmcnt(0) lgkmcnt(0)
	v_add_u32_e32 v14, v195, v14
	flat_store_dword v[132:133], v14
.LBB602_57:                             ;   in Loop: Header=BB602_53 Depth=1
	s_or_b64 exec, exec, s[30:31]
	v_lshrrev_b32_e32 v14, v10, v185
	v_and_b32_e32 v19, v14, v18
	v_lshl_add_u32 v14, v19, 2, v153
	v_lshlrev_b64 v[16:17], 2, v[14:15]
	v_add_co_u32_e64 v134, s[30:31], v1, v16
	v_addc_co_u32_e64 v135, s[30:31], v21, v17, s[30:31]
	; wave barrier
	flat_load_dword v197, v[134:135]
	v_and_b32_e32 v14, 1, v19
	v_add_co_u32_e64 v16, s[30:31], -1, v14
	v_addc_co_u32_e64 v17, s[30:31], 0, -1, s[30:31]
	v_cmp_ne_u32_e64 s[30:31], 0, v14
	v_xor_b32_e32 v16, s30, v16
	v_xor_b32_e32 v14, s31, v17
	v_and_b32_e32 v144, exec_lo, v16
	v_lshlrev_b32_e32 v17, 30, v19
	v_mov_b32_e32 v16, v15
	v_cmp_gt_i64_e64 s[30:31], 0, v[16:17]
	v_not_b32_e32 v16, v17
	v_ashrrev_i32_e32 v16, 31, v16
	v_and_b32_e32 v14, exec_hi, v14
	v_xor_b32_e32 v17, s31, v16
	v_xor_b32_e32 v16, s30, v16
	v_and_b32_e32 v14, v14, v17
	v_and_b32_e32 v144, v144, v16
	v_lshlrev_b32_e32 v17, 29, v19
	v_mov_b32_e32 v16, v15
	v_cmp_gt_i64_e64 s[30:31], 0, v[16:17]
	v_not_b32_e32 v16, v17
	v_ashrrev_i32_e32 v16, 31, v16
	v_xor_b32_e32 v17, s31, v16
	v_xor_b32_e32 v16, s30, v16
	v_and_b32_e32 v14, v14, v17
	v_and_b32_e32 v144, v144, v16
	v_lshlrev_b32_e32 v17, 28, v19
	v_mov_b32_e32 v16, v15
	v_cmp_gt_i64_e64 s[30:31], 0, v[16:17]
	v_not_b32_e32 v16, v17
	v_ashrrev_i32_e32 v16, 31, v16
	v_xor_b32_e32 v17, s31, v16
	v_xor_b32_e32 v16, s30, v16
	v_and_b32_e32 v14, v14, v17
	v_and_b32_e32 v144, v144, v16
	v_lshlrev_b32_e32 v17, 27, v19
	v_mov_b32_e32 v16, v15
	v_cmp_gt_i64_e64 s[30:31], 0, v[16:17]
	v_not_b32_e32 v16, v17
	v_ashrrev_i32_e32 v16, 31, v16
	v_xor_b32_e32 v17, s31, v16
	v_xor_b32_e32 v16, s30, v16
	v_and_b32_e32 v14, v14, v17
	v_and_b32_e32 v144, v144, v16
	v_lshlrev_b32_e32 v17, 26, v19
	v_mov_b32_e32 v16, v15
	v_cmp_gt_i64_e64 s[30:31], 0, v[16:17]
	v_not_b32_e32 v16, v17
	v_ashrrev_i32_e32 v16, 31, v16
	v_xor_b32_e32 v17, s31, v16
	v_xor_b32_e32 v16, s30, v16
	v_and_b32_e32 v14, v14, v17
	v_and_b32_e32 v144, v144, v16
	v_lshlrev_b32_e32 v17, 25, v19
	v_mov_b32_e32 v16, v15
	v_cmp_gt_i64_e64 s[30:31], 0, v[16:17]
	v_not_b32_e32 v16, v17
	v_ashrrev_i32_e32 v16, 31, v16
	v_xor_b32_e32 v17, s31, v16
	v_xor_b32_e32 v16, s30, v16
	v_and_b32_e32 v14, v14, v17
	v_and_b32_e32 v144, v144, v16
	v_lshlrev_b32_e32 v17, 24, v19
	v_mov_b32_e32 v16, v15
	v_cmp_gt_i64_e64 s[30:31], 0, v[16:17]
	v_not_b32_e32 v16, v17
	v_ashrrev_i32_e32 v16, 31, v16
	v_xor_b32_e32 v17, s31, v16
	v_xor_b32_e32 v16, s30, v16
	v_and_b32_e32 v16, v144, v16
	v_and_b32_e32 v17, v14, v17
	v_mbcnt_lo_u32_b32 v14, v16, 0
	v_mbcnt_hi_u32_b32 v198, v17, v14
	v_cmp_eq_u32_e64 s[30:31], 0, v198
	v_cmp_ne_u64_e64 s[36:37], 0, v[16:17]
	s_and_b64 s[36:37], s[36:37], s[30:31]
	; wave barrier
	s_and_saveexec_b64 s[30:31], s[36:37]
	s_cbranch_execz .LBB602_59
; %bb.58:                               ;   in Loop: Header=BB602_53 Depth=1
	v_bcnt_u32_b32 v14, v16, 0
	v_bcnt_u32_b32 v14, v17, v14
	s_waitcnt vmcnt(0) lgkmcnt(0)
	v_add_u32_e32 v14, v197, v14
	flat_store_dword v[134:135], v14
.LBB602_59:                             ;   in Loop: Header=BB602_53 Depth=1
	s_or_b64 exec, exec, s[30:31]
	v_lshrrev_b32_e32 v14, v10, v184
	v_and_b32_e32 v19, v14, v18
	v_lshl_add_u32 v14, v19, 2, v153
	v_lshlrev_b64 v[16:17], 2, v[14:15]
	v_add_co_u32_e64 v144, s[30:31], v1, v16
	v_addc_co_u32_e64 v145, s[30:31], v21, v17, s[30:31]
	; wave barrier
	flat_load_dword v199, v[144:145]
	v_and_b32_e32 v14, 1, v19
	v_add_co_u32_e64 v16, s[30:31], -1, v14
	v_addc_co_u32_e64 v17, s[30:31], 0, -1, s[30:31]
	v_cmp_ne_u32_e64 s[30:31], 0, v14
	v_xor_b32_e32 v16, s30, v16
	v_xor_b32_e32 v14, s31, v17
	v_and_b32_e32 v146, exec_lo, v16
	v_lshlrev_b32_e32 v17, 30, v19
	v_mov_b32_e32 v16, v15
	v_cmp_gt_i64_e64 s[30:31], 0, v[16:17]
	v_not_b32_e32 v16, v17
	v_ashrrev_i32_e32 v16, 31, v16
	v_and_b32_e32 v14, exec_hi, v14
	v_xor_b32_e32 v17, s31, v16
	v_xor_b32_e32 v16, s30, v16
	v_and_b32_e32 v14, v14, v17
	v_and_b32_e32 v146, v146, v16
	v_lshlrev_b32_e32 v17, 29, v19
	v_mov_b32_e32 v16, v15
	v_cmp_gt_i64_e64 s[30:31], 0, v[16:17]
	v_not_b32_e32 v16, v17
	v_ashrrev_i32_e32 v16, 31, v16
	v_xor_b32_e32 v17, s31, v16
	v_xor_b32_e32 v16, s30, v16
	v_and_b32_e32 v14, v14, v17
	v_and_b32_e32 v146, v146, v16
	v_lshlrev_b32_e32 v17, 28, v19
	v_mov_b32_e32 v16, v15
	v_cmp_gt_i64_e64 s[30:31], 0, v[16:17]
	v_not_b32_e32 v16, v17
	v_ashrrev_i32_e32 v16, 31, v16
	;; [unrolled: 9-line block ×6, first 2 shown]
	v_xor_b32_e32 v17, s31, v16
	v_xor_b32_e32 v16, s30, v16
	v_and_b32_e32 v16, v146, v16
	v_and_b32_e32 v17, v14, v17
	v_mbcnt_lo_u32_b32 v14, v16, 0
	v_mbcnt_hi_u32_b32 v208, v17, v14
	v_cmp_eq_u32_e64 s[30:31], 0, v208
	v_cmp_ne_u64_e64 s[36:37], 0, v[16:17]
	s_and_b64 s[36:37], s[36:37], s[30:31]
	; wave barrier
	s_and_saveexec_b64 s[30:31], s[36:37]
	s_cbranch_execz .LBB602_61
; %bb.60:                               ;   in Loop: Header=BB602_53 Depth=1
	v_bcnt_u32_b32 v14, v16, 0
	v_bcnt_u32_b32 v14, v17, v14
	s_waitcnt vmcnt(0) lgkmcnt(0)
	v_add_u32_e32 v14, v199, v14
	flat_store_dword v[144:145], v14
.LBB602_61:                             ;   in Loop: Header=BB602_53 Depth=1
	s_or_b64 exec, exec, s[30:31]
	v_lshrrev_b32_e32 v14, v10, v175
	v_and_b32_e32 v19, v14, v18
	v_lshl_add_u32 v14, v19, 2, v153
	v_lshlrev_b64 v[16:17], 2, v[14:15]
	v_add_co_u32_e64 v146, s[30:31], v1, v16
	v_addc_co_u32_e64 v147, s[30:31], v21, v17, s[30:31]
	; wave barrier
	flat_load_dword v209, v[146:147]
	v_and_b32_e32 v14, 1, v19
	v_add_co_u32_e64 v16, s[30:31], -1, v14
	v_addc_co_u32_e64 v17, s[30:31], 0, -1, s[30:31]
	v_cmp_ne_u32_e64 s[30:31], 0, v14
	v_xor_b32_e32 v16, s30, v16
	v_xor_b32_e32 v14, s31, v17
	v_and_b32_e32 v148, exec_lo, v16
	v_lshlrev_b32_e32 v17, 30, v19
	v_mov_b32_e32 v16, v15
	v_cmp_gt_i64_e64 s[30:31], 0, v[16:17]
	v_not_b32_e32 v16, v17
	v_ashrrev_i32_e32 v16, 31, v16
	v_and_b32_e32 v14, exec_hi, v14
	v_xor_b32_e32 v17, s31, v16
	v_xor_b32_e32 v16, s30, v16
	v_and_b32_e32 v14, v14, v17
	v_and_b32_e32 v148, v148, v16
	v_lshlrev_b32_e32 v17, 29, v19
	v_mov_b32_e32 v16, v15
	v_cmp_gt_i64_e64 s[30:31], 0, v[16:17]
	v_not_b32_e32 v16, v17
	v_ashrrev_i32_e32 v16, 31, v16
	v_xor_b32_e32 v17, s31, v16
	v_xor_b32_e32 v16, s30, v16
	v_and_b32_e32 v14, v14, v17
	v_and_b32_e32 v148, v148, v16
	v_lshlrev_b32_e32 v17, 28, v19
	v_mov_b32_e32 v16, v15
	v_cmp_gt_i64_e64 s[30:31], 0, v[16:17]
	v_not_b32_e32 v16, v17
	v_ashrrev_i32_e32 v16, 31, v16
	v_xor_b32_e32 v17, s31, v16
	v_xor_b32_e32 v16, s30, v16
	v_and_b32_e32 v14, v14, v17
	v_and_b32_e32 v148, v148, v16
	v_lshlrev_b32_e32 v17, 27, v19
	v_mov_b32_e32 v16, v15
	v_cmp_gt_i64_e64 s[30:31], 0, v[16:17]
	v_not_b32_e32 v16, v17
	v_ashrrev_i32_e32 v16, 31, v16
	v_xor_b32_e32 v17, s31, v16
	v_xor_b32_e32 v16, s30, v16
	v_and_b32_e32 v14, v14, v17
	v_and_b32_e32 v148, v148, v16
	v_lshlrev_b32_e32 v17, 26, v19
	v_mov_b32_e32 v16, v15
	v_cmp_gt_i64_e64 s[30:31], 0, v[16:17]
	v_not_b32_e32 v16, v17
	v_ashrrev_i32_e32 v16, 31, v16
	v_xor_b32_e32 v17, s31, v16
	v_xor_b32_e32 v16, s30, v16
	v_and_b32_e32 v14, v14, v17
	v_and_b32_e32 v148, v148, v16
	v_lshlrev_b32_e32 v17, 25, v19
	v_mov_b32_e32 v16, v15
	v_cmp_gt_i64_e64 s[30:31], 0, v[16:17]
	v_not_b32_e32 v16, v17
	v_ashrrev_i32_e32 v16, 31, v16
	v_xor_b32_e32 v17, s31, v16
	v_xor_b32_e32 v16, s30, v16
	v_and_b32_e32 v14, v14, v17
	v_and_b32_e32 v148, v148, v16
	v_lshlrev_b32_e32 v17, 24, v19
	v_mov_b32_e32 v16, v15
	v_cmp_gt_i64_e64 s[30:31], 0, v[16:17]
	v_not_b32_e32 v16, v17
	v_ashrrev_i32_e32 v16, 31, v16
	v_xor_b32_e32 v17, s31, v16
	v_xor_b32_e32 v16, s30, v16
	v_and_b32_e32 v16, v148, v16
	v_and_b32_e32 v17, v14, v17
	v_mbcnt_lo_u32_b32 v14, v16, 0
	v_mbcnt_hi_u32_b32 v210, v17, v14
	v_cmp_eq_u32_e64 s[30:31], 0, v210
	v_cmp_ne_u64_e64 s[36:37], 0, v[16:17]
	s_and_b64 s[36:37], s[36:37], s[30:31]
	; wave barrier
	s_and_saveexec_b64 s[30:31], s[36:37]
	s_cbranch_execz .LBB602_63
; %bb.62:                               ;   in Loop: Header=BB602_53 Depth=1
	v_bcnt_u32_b32 v14, v16, 0
	v_bcnt_u32_b32 v14, v17, v14
	s_waitcnt vmcnt(0) lgkmcnt(0)
	v_add_u32_e32 v14, v209, v14
	flat_store_dword v[146:147], v14
.LBB602_63:                             ;   in Loop: Header=BB602_53 Depth=1
	s_or_b64 exec, exec, s[30:31]
	v_lshrrev_b32_e32 v14, v10, v174
	v_and_b32_e32 v19, v14, v18
	v_lshl_add_u32 v14, v19, 2, v153
	v_lshlrev_b64 v[16:17], 2, v[14:15]
	v_add_co_u32_e64 v148, s[30:31], v1, v16
	v_addc_co_u32_e64 v149, s[30:31], v21, v17, s[30:31]
	; wave barrier
	flat_load_dword v211, v[148:149]
	v_and_b32_e32 v14, 1, v19
	v_add_co_u32_e64 v16, s[30:31], -1, v14
	v_addc_co_u32_e64 v17, s[30:31], 0, -1, s[30:31]
	v_cmp_ne_u32_e64 s[30:31], 0, v14
	v_xor_b32_e32 v16, s30, v16
	v_xor_b32_e32 v14, s31, v17
	v_and_b32_e32 v150, exec_lo, v16
	v_lshlrev_b32_e32 v17, 30, v19
	v_mov_b32_e32 v16, v15
	v_cmp_gt_i64_e64 s[30:31], 0, v[16:17]
	v_not_b32_e32 v16, v17
	v_ashrrev_i32_e32 v16, 31, v16
	v_and_b32_e32 v14, exec_hi, v14
	v_xor_b32_e32 v17, s31, v16
	v_xor_b32_e32 v16, s30, v16
	v_and_b32_e32 v14, v14, v17
	v_and_b32_e32 v150, v150, v16
	v_lshlrev_b32_e32 v17, 29, v19
	v_mov_b32_e32 v16, v15
	v_cmp_gt_i64_e64 s[30:31], 0, v[16:17]
	v_not_b32_e32 v16, v17
	v_ashrrev_i32_e32 v16, 31, v16
	v_xor_b32_e32 v17, s31, v16
	v_xor_b32_e32 v16, s30, v16
	v_and_b32_e32 v14, v14, v17
	v_and_b32_e32 v150, v150, v16
	v_lshlrev_b32_e32 v17, 28, v19
	v_mov_b32_e32 v16, v15
	v_cmp_gt_i64_e64 s[30:31], 0, v[16:17]
	v_not_b32_e32 v16, v17
	v_ashrrev_i32_e32 v16, 31, v16
	;; [unrolled: 9-line block ×6, first 2 shown]
	v_xor_b32_e32 v17, s31, v16
	v_xor_b32_e32 v16, s30, v16
	v_and_b32_e32 v16, v150, v16
	v_and_b32_e32 v17, v14, v17
	v_mbcnt_lo_u32_b32 v14, v16, 0
	v_mbcnt_hi_u32_b32 v212, v17, v14
	v_cmp_eq_u32_e64 s[30:31], 0, v212
	v_cmp_ne_u64_e64 s[36:37], 0, v[16:17]
	s_and_b64 s[36:37], s[36:37], s[30:31]
	; wave barrier
	s_and_saveexec_b64 s[30:31], s[36:37]
	s_cbranch_execz .LBB602_65
; %bb.64:                               ;   in Loop: Header=BB602_53 Depth=1
	v_bcnt_u32_b32 v14, v16, 0
	v_bcnt_u32_b32 v14, v17, v14
	s_waitcnt vmcnt(0) lgkmcnt(0)
	v_add_u32_e32 v14, v211, v14
	flat_store_dword v[148:149], v14
.LBB602_65:                             ;   in Loop: Header=BB602_53 Depth=1
	s_or_b64 exec, exec, s[30:31]
	v_lshrrev_b32_e32 v14, v10, v173
	v_and_b32_e32 v19, v14, v18
	v_lshl_add_u32 v14, v19, 2, v153
	v_lshlrev_b64 v[16:17], 2, v[14:15]
	v_add_co_u32_e64 v150, s[30:31], v1, v16
	v_addc_co_u32_e64 v151, s[30:31], v21, v17, s[30:31]
	; wave barrier
	flat_load_dword v213, v[150:151]
	v_and_b32_e32 v14, 1, v19
	v_add_co_u32_e64 v16, s[30:31], -1, v14
	v_addc_co_u32_e64 v17, s[30:31], 0, -1, s[30:31]
	v_cmp_ne_u32_e64 s[30:31], 0, v14
	v_xor_b32_e32 v16, s30, v16
	v_xor_b32_e32 v14, s31, v17
	v_and_b32_e32 v160, exec_lo, v16
	v_lshlrev_b32_e32 v17, 30, v19
	v_mov_b32_e32 v16, v15
	v_cmp_gt_i64_e64 s[30:31], 0, v[16:17]
	v_not_b32_e32 v16, v17
	v_ashrrev_i32_e32 v16, 31, v16
	v_and_b32_e32 v14, exec_hi, v14
	v_xor_b32_e32 v17, s31, v16
	v_xor_b32_e32 v16, s30, v16
	v_and_b32_e32 v14, v14, v17
	v_and_b32_e32 v160, v160, v16
	v_lshlrev_b32_e32 v17, 29, v19
	v_mov_b32_e32 v16, v15
	v_cmp_gt_i64_e64 s[30:31], 0, v[16:17]
	v_not_b32_e32 v16, v17
	v_ashrrev_i32_e32 v16, 31, v16
	v_xor_b32_e32 v17, s31, v16
	v_xor_b32_e32 v16, s30, v16
	v_and_b32_e32 v14, v14, v17
	v_and_b32_e32 v160, v160, v16
	v_lshlrev_b32_e32 v17, 28, v19
	v_mov_b32_e32 v16, v15
	v_cmp_gt_i64_e64 s[30:31], 0, v[16:17]
	v_not_b32_e32 v16, v17
	v_ashrrev_i32_e32 v16, 31, v16
	;; [unrolled: 9-line block ×6, first 2 shown]
	v_xor_b32_e32 v17, s31, v16
	v_xor_b32_e32 v16, s30, v16
	v_and_b32_e32 v16, v160, v16
	v_and_b32_e32 v17, v14, v17
	v_mbcnt_lo_u32_b32 v14, v16, 0
	v_mbcnt_hi_u32_b32 v214, v17, v14
	v_cmp_eq_u32_e64 s[30:31], 0, v214
	v_cmp_ne_u64_e64 s[36:37], 0, v[16:17]
	s_and_b64 s[36:37], s[36:37], s[30:31]
	; wave barrier
	s_and_saveexec_b64 s[30:31], s[36:37]
	s_cbranch_execz .LBB602_67
; %bb.66:                               ;   in Loop: Header=BB602_53 Depth=1
	v_bcnt_u32_b32 v14, v16, 0
	v_bcnt_u32_b32 v14, v17, v14
	s_waitcnt vmcnt(0) lgkmcnt(0)
	v_add_u32_e32 v14, v213, v14
	flat_store_dword v[150:151], v14
.LBB602_67:                             ;   in Loop: Header=BB602_53 Depth=1
	s_or_b64 exec, exec, s[30:31]
	v_lshrrev_b32_e32 v14, v10, v172
	v_and_b32_e32 v19, v14, v18
	v_lshl_add_u32 v14, v19, 2, v153
	v_lshlrev_b64 v[16:17], 2, v[14:15]
	v_add_co_u32_e64 v160, s[30:31], v1, v16
	v_addc_co_u32_e64 v161, s[30:31], v21, v17, s[30:31]
	; wave barrier
	flat_load_dword v215, v[160:161]
	v_and_b32_e32 v14, 1, v19
	v_add_co_u32_e64 v16, s[30:31], -1, v14
	v_addc_co_u32_e64 v17, s[30:31], 0, -1, s[30:31]
	v_cmp_ne_u32_e64 s[30:31], 0, v14
	v_xor_b32_e32 v16, s30, v16
	v_xor_b32_e32 v14, s31, v17
	v_and_b32_e32 v162, exec_lo, v16
	v_lshlrev_b32_e32 v17, 30, v19
	v_mov_b32_e32 v16, v15
	v_cmp_gt_i64_e64 s[30:31], 0, v[16:17]
	v_not_b32_e32 v16, v17
	v_ashrrev_i32_e32 v16, 31, v16
	v_and_b32_e32 v14, exec_hi, v14
	v_xor_b32_e32 v17, s31, v16
	v_xor_b32_e32 v16, s30, v16
	v_and_b32_e32 v14, v14, v17
	v_and_b32_e32 v162, v162, v16
	v_lshlrev_b32_e32 v17, 29, v19
	v_mov_b32_e32 v16, v15
	v_cmp_gt_i64_e64 s[30:31], 0, v[16:17]
	v_not_b32_e32 v16, v17
	v_ashrrev_i32_e32 v16, 31, v16
	v_xor_b32_e32 v17, s31, v16
	v_xor_b32_e32 v16, s30, v16
	v_and_b32_e32 v14, v14, v17
	v_and_b32_e32 v162, v162, v16
	v_lshlrev_b32_e32 v17, 28, v19
	v_mov_b32_e32 v16, v15
	v_cmp_gt_i64_e64 s[30:31], 0, v[16:17]
	v_not_b32_e32 v16, v17
	v_ashrrev_i32_e32 v16, 31, v16
	;; [unrolled: 9-line block ×6, first 2 shown]
	v_xor_b32_e32 v17, s31, v16
	v_xor_b32_e32 v16, s30, v16
	v_and_b32_e32 v16, v162, v16
	v_and_b32_e32 v17, v14, v17
	v_mbcnt_lo_u32_b32 v14, v16, 0
	v_mbcnt_hi_u32_b32 v224, v17, v14
	v_cmp_eq_u32_e64 s[30:31], 0, v224
	v_cmp_ne_u64_e64 s[36:37], 0, v[16:17]
	s_and_b64 s[36:37], s[36:37], s[30:31]
	; wave barrier
	s_and_saveexec_b64 s[30:31], s[36:37]
	s_cbranch_execz .LBB602_69
; %bb.68:                               ;   in Loop: Header=BB602_53 Depth=1
	v_bcnt_u32_b32 v14, v16, 0
	v_bcnt_u32_b32 v14, v17, v14
	s_waitcnt vmcnt(0) lgkmcnt(0)
	v_add_u32_e32 v14, v215, v14
	flat_store_dword v[160:161], v14
.LBB602_69:                             ;   in Loop: Header=BB602_53 Depth=1
	s_or_b64 exec, exec, s[30:31]
	v_lshrrev_b32_e32 v14, v10, v171
	v_and_b32_e32 v19, v14, v18
	v_lshl_add_u32 v14, v19, 2, v153
	v_lshlrev_b64 v[16:17], 2, v[14:15]
	v_add_co_u32_e64 v162, s[30:31], v1, v16
	v_addc_co_u32_e64 v163, s[30:31], v21, v17, s[30:31]
	; wave barrier
	flat_load_dword v225, v[162:163]
	v_and_b32_e32 v14, 1, v19
	v_add_co_u32_e64 v16, s[30:31], -1, v14
	v_addc_co_u32_e64 v17, s[30:31], 0, -1, s[30:31]
	v_cmp_ne_u32_e64 s[30:31], 0, v14
	v_xor_b32_e32 v16, s30, v16
	v_xor_b32_e32 v14, s31, v17
	v_and_b32_e32 v164, exec_lo, v16
	v_lshlrev_b32_e32 v17, 30, v19
	v_mov_b32_e32 v16, v15
	v_cmp_gt_i64_e64 s[30:31], 0, v[16:17]
	v_not_b32_e32 v16, v17
	v_ashrrev_i32_e32 v16, 31, v16
	v_and_b32_e32 v14, exec_hi, v14
	v_xor_b32_e32 v17, s31, v16
	v_xor_b32_e32 v16, s30, v16
	v_and_b32_e32 v14, v14, v17
	v_and_b32_e32 v164, v164, v16
	v_lshlrev_b32_e32 v17, 29, v19
	v_mov_b32_e32 v16, v15
	v_cmp_gt_i64_e64 s[30:31], 0, v[16:17]
	v_not_b32_e32 v16, v17
	v_ashrrev_i32_e32 v16, 31, v16
	v_xor_b32_e32 v17, s31, v16
	v_xor_b32_e32 v16, s30, v16
	v_and_b32_e32 v14, v14, v17
	v_and_b32_e32 v164, v164, v16
	v_lshlrev_b32_e32 v17, 28, v19
	v_mov_b32_e32 v16, v15
	v_cmp_gt_i64_e64 s[30:31], 0, v[16:17]
	v_not_b32_e32 v16, v17
	v_ashrrev_i32_e32 v16, 31, v16
	;; [unrolled: 9-line block ×6, first 2 shown]
	v_xor_b32_e32 v17, s31, v16
	v_xor_b32_e32 v16, s30, v16
	v_and_b32_e32 v16, v164, v16
	v_and_b32_e32 v17, v14, v17
	v_mbcnt_lo_u32_b32 v14, v16, 0
	v_mbcnt_hi_u32_b32 v226, v17, v14
	v_cmp_eq_u32_e64 s[30:31], 0, v226
	v_cmp_ne_u64_e64 s[36:37], 0, v[16:17]
	s_and_b64 s[36:37], s[36:37], s[30:31]
	; wave barrier
	s_and_saveexec_b64 s[30:31], s[36:37]
	s_cbranch_execz .LBB602_71
; %bb.70:                               ;   in Loop: Header=BB602_53 Depth=1
	v_bcnt_u32_b32 v14, v16, 0
	v_bcnt_u32_b32 v14, v17, v14
	s_waitcnt vmcnt(0) lgkmcnt(0)
	v_add_u32_e32 v14, v225, v14
	flat_store_dword v[162:163], v14
.LBB602_71:                             ;   in Loop: Header=BB602_53 Depth=1
	s_or_b64 exec, exec, s[30:31]
	v_lshrrev_b32_e32 v14, v10, v170
	v_and_b32_e32 v19, v14, v18
	v_lshl_add_u32 v14, v19, 2, v153
	v_lshlrev_b64 v[16:17], 2, v[14:15]
	v_add_co_u32_e64 v164, s[30:31], v1, v16
	v_addc_co_u32_e64 v165, s[30:31], v21, v17, s[30:31]
	; wave barrier
	flat_load_dword v227, v[164:165]
	v_and_b32_e32 v14, 1, v19
	v_add_co_u32_e64 v16, s[30:31], -1, v14
	v_addc_co_u32_e64 v17, s[30:31], 0, -1, s[30:31]
	v_cmp_ne_u32_e64 s[30:31], 0, v14
	v_xor_b32_e32 v16, s30, v16
	v_xor_b32_e32 v14, s31, v17
	v_and_b32_e32 v166, exec_lo, v16
	v_lshlrev_b32_e32 v17, 30, v19
	v_mov_b32_e32 v16, v15
	v_cmp_gt_i64_e64 s[30:31], 0, v[16:17]
	v_not_b32_e32 v16, v17
	v_ashrrev_i32_e32 v16, 31, v16
	v_and_b32_e32 v14, exec_hi, v14
	v_xor_b32_e32 v17, s31, v16
	v_xor_b32_e32 v16, s30, v16
	v_and_b32_e32 v14, v14, v17
	v_and_b32_e32 v166, v166, v16
	v_lshlrev_b32_e32 v17, 29, v19
	v_mov_b32_e32 v16, v15
	v_cmp_gt_i64_e64 s[30:31], 0, v[16:17]
	v_not_b32_e32 v16, v17
	v_ashrrev_i32_e32 v16, 31, v16
	v_xor_b32_e32 v17, s31, v16
	v_xor_b32_e32 v16, s30, v16
	v_and_b32_e32 v14, v14, v17
	v_and_b32_e32 v166, v166, v16
	v_lshlrev_b32_e32 v17, 28, v19
	v_mov_b32_e32 v16, v15
	v_cmp_gt_i64_e64 s[30:31], 0, v[16:17]
	v_not_b32_e32 v16, v17
	v_ashrrev_i32_e32 v16, 31, v16
	;; [unrolled: 9-line block ×6, first 2 shown]
	v_xor_b32_e32 v17, s31, v16
	v_xor_b32_e32 v16, s30, v16
	v_and_b32_e32 v16, v166, v16
	v_and_b32_e32 v17, v14, v17
	v_mbcnt_lo_u32_b32 v14, v16, 0
	v_mbcnt_hi_u32_b32 v228, v17, v14
	v_cmp_eq_u32_e64 s[30:31], 0, v228
	v_cmp_ne_u64_e64 s[36:37], 0, v[16:17]
	s_and_b64 s[36:37], s[36:37], s[30:31]
	; wave barrier
	s_and_saveexec_b64 s[30:31], s[36:37]
	s_cbranch_execz .LBB602_73
; %bb.72:                               ;   in Loop: Header=BB602_53 Depth=1
	v_bcnt_u32_b32 v14, v16, 0
	v_bcnt_u32_b32 v14, v17, v14
	s_waitcnt vmcnt(0) lgkmcnt(0)
	v_add_u32_e32 v14, v227, v14
	flat_store_dword v[164:165], v14
.LBB602_73:                             ;   in Loop: Header=BB602_53 Depth=1
	s_or_b64 exec, exec, s[30:31]
	v_lshrrev_b32_e32 v14, v10, v169
	v_and_b32_e32 v19, v14, v18
	v_lshl_add_u32 v14, v19, 2, v153
	v_lshlrev_b64 v[16:17], 2, v[14:15]
	v_add_co_u32_e64 v166, s[30:31], v1, v16
	v_addc_co_u32_e64 v167, s[30:31], v21, v17, s[30:31]
	; wave barrier
	flat_load_dword v229, v[166:167]
	v_and_b32_e32 v14, 1, v19
	v_add_co_u32_e64 v16, s[30:31], -1, v14
	v_addc_co_u32_e64 v17, s[30:31], 0, -1, s[30:31]
	v_cmp_ne_u32_e64 s[30:31], 0, v14
	v_xor_b32_e32 v16, s30, v16
	v_xor_b32_e32 v14, s31, v17
	v_and_b32_e32 v176, exec_lo, v16
	v_lshlrev_b32_e32 v17, 30, v19
	v_mov_b32_e32 v16, v15
	v_cmp_gt_i64_e64 s[30:31], 0, v[16:17]
	v_not_b32_e32 v16, v17
	v_ashrrev_i32_e32 v16, 31, v16
	v_and_b32_e32 v14, exec_hi, v14
	v_xor_b32_e32 v17, s31, v16
	v_xor_b32_e32 v16, s30, v16
	v_and_b32_e32 v14, v14, v17
	v_and_b32_e32 v176, v176, v16
	v_lshlrev_b32_e32 v17, 29, v19
	v_mov_b32_e32 v16, v15
	v_cmp_gt_i64_e64 s[30:31], 0, v[16:17]
	v_not_b32_e32 v16, v17
	v_ashrrev_i32_e32 v16, 31, v16
	v_xor_b32_e32 v17, s31, v16
	v_xor_b32_e32 v16, s30, v16
	v_and_b32_e32 v14, v14, v17
	v_and_b32_e32 v176, v176, v16
	v_lshlrev_b32_e32 v17, 28, v19
	v_mov_b32_e32 v16, v15
	v_cmp_gt_i64_e64 s[30:31], 0, v[16:17]
	v_not_b32_e32 v16, v17
	v_ashrrev_i32_e32 v16, 31, v16
	v_xor_b32_e32 v17, s31, v16
	v_xor_b32_e32 v16, s30, v16
	v_and_b32_e32 v14, v14, v17
	v_and_b32_e32 v176, v176, v16
	v_lshlrev_b32_e32 v17, 27, v19
	v_mov_b32_e32 v16, v15
	v_cmp_gt_i64_e64 s[30:31], 0, v[16:17]
	v_not_b32_e32 v16, v17
	v_ashrrev_i32_e32 v16, 31, v16
	v_xor_b32_e32 v17, s31, v16
	v_xor_b32_e32 v16, s30, v16
	v_and_b32_e32 v14, v14, v17
	v_and_b32_e32 v176, v176, v16
	v_lshlrev_b32_e32 v17, 26, v19
	v_mov_b32_e32 v16, v15
	v_cmp_gt_i64_e64 s[30:31], 0, v[16:17]
	v_not_b32_e32 v16, v17
	v_ashrrev_i32_e32 v16, 31, v16
	v_xor_b32_e32 v17, s31, v16
	v_xor_b32_e32 v16, s30, v16
	v_and_b32_e32 v14, v14, v17
	v_and_b32_e32 v176, v176, v16
	v_lshlrev_b32_e32 v17, 25, v19
	v_mov_b32_e32 v16, v15
	v_cmp_gt_i64_e64 s[30:31], 0, v[16:17]
	v_not_b32_e32 v16, v17
	v_ashrrev_i32_e32 v16, 31, v16
	v_xor_b32_e32 v17, s31, v16
	v_xor_b32_e32 v16, s30, v16
	v_and_b32_e32 v14, v14, v17
	v_and_b32_e32 v176, v176, v16
	v_lshlrev_b32_e32 v17, 24, v19
	v_mov_b32_e32 v16, v15
	v_cmp_gt_i64_e64 s[30:31], 0, v[16:17]
	v_not_b32_e32 v16, v17
	v_ashrrev_i32_e32 v16, 31, v16
	v_xor_b32_e32 v17, s31, v16
	v_xor_b32_e32 v16, s30, v16
	v_and_b32_e32 v16, v176, v16
	v_and_b32_e32 v17, v14, v17
	v_mbcnt_lo_u32_b32 v14, v16, 0
	v_mbcnt_hi_u32_b32 v230, v17, v14
	v_cmp_eq_u32_e64 s[30:31], 0, v230
	v_cmp_ne_u64_e64 s[36:37], 0, v[16:17]
	s_and_b64 s[36:37], s[36:37], s[30:31]
	; wave barrier
	s_and_saveexec_b64 s[30:31], s[36:37]
	s_cbranch_execz .LBB602_75
; %bb.74:                               ;   in Loop: Header=BB602_53 Depth=1
	v_bcnt_u32_b32 v14, v16, 0
	v_bcnt_u32_b32 v14, v17, v14
	s_waitcnt vmcnt(0) lgkmcnt(0)
	v_add_u32_e32 v14, v229, v14
	flat_store_dword v[166:167], v14
.LBB602_75:                             ;   in Loop: Header=BB602_53 Depth=1
	s_or_b64 exec, exec, s[30:31]
	v_lshrrev_b32_e32 v14, v10, v168
	v_and_b32_e32 v19, v14, v18
	v_lshl_add_u32 v14, v19, 2, v153
	v_lshlrev_b64 v[16:17], 2, v[14:15]
	v_add_co_u32_e64 v176, s[30:31], v1, v16
	v_addc_co_u32_e64 v177, s[30:31], v21, v17, s[30:31]
	; wave barrier
	flat_load_dword v231, v[176:177]
	v_and_b32_e32 v14, 1, v19
	v_add_co_u32_e64 v16, s[30:31], -1, v14
	v_addc_co_u32_e64 v17, s[30:31], 0, -1, s[30:31]
	v_cmp_ne_u32_e64 s[30:31], 0, v14
	v_xor_b32_e32 v16, s30, v16
	v_xor_b32_e32 v14, s31, v17
	v_and_b32_e32 v178, exec_lo, v16
	v_lshlrev_b32_e32 v17, 30, v19
	v_mov_b32_e32 v16, v15
	v_cmp_gt_i64_e64 s[30:31], 0, v[16:17]
	v_not_b32_e32 v16, v17
	v_ashrrev_i32_e32 v16, 31, v16
	v_and_b32_e32 v14, exec_hi, v14
	v_xor_b32_e32 v17, s31, v16
	v_xor_b32_e32 v16, s30, v16
	v_and_b32_e32 v14, v14, v17
	v_and_b32_e32 v178, v178, v16
	v_lshlrev_b32_e32 v17, 29, v19
	v_mov_b32_e32 v16, v15
	v_cmp_gt_i64_e64 s[30:31], 0, v[16:17]
	v_not_b32_e32 v16, v17
	v_ashrrev_i32_e32 v16, 31, v16
	v_xor_b32_e32 v17, s31, v16
	v_xor_b32_e32 v16, s30, v16
	v_and_b32_e32 v14, v14, v17
	v_and_b32_e32 v178, v178, v16
	v_lshlrev_b32_e32 v17, 28, v19
	v_mov_b32_e32 v16, v15
	v_cmp_gt_i64_e64 s[30:31], 0, v[16:17]
	v_not_b32_e32 v16, v17
	v_ashrrev_i32_e32 v16, 31, v16
	;; [unrolled: 9-line block ×6, first 2 shown]
	v_xor_b32_e32 v17, s31, v16
	v_xor_b32_e32 v16, s30, v16
	v_and_b32_e32 v16, v178, v16
	v_and_b32_e32 v17, v14, v17
	v_mbcnt_lo_u32_b32 v14, v16, 0
	v_mbcnt_hi_u32_b32 v240, v17, v14
	v_cmp_eq_u32_e64 s[30:31], 0, v240
	v_cmp_ne_u64_e64 s[36:37], 0, v[16:17]
	s_and_b64 s[36:37], s[36:37], s[30:31]
	; wave barrier
	s_and_saveexec_b64 s[30:31], s[36:37]
	s_cbranch_execz .LBB602_77
; %bb.76:                               ;   in Loop: Header=BB602_53 Depth=1
	v_bcnt_u32_b32 v14, v16, 0
	v_bcnt_u32_b32 v14, v17, v14
	s_waitcnt vmcnt(0) lgkmcnt(0)
	v_add_u32_e32 v14, v231, v14
	flat_store_dword v[176:177], v14
.LBB602_77:                             ;   in Loop: Header=BB602_53 Depth=1
	s_or_b64 exec, exec, s[30:31]
	v_lshrrev_b32_e32 v14, v10, v159
	v_and_b32_e32 v19, v14, v18
	v_lshl_add_u32 v14, v19, 2, v153
	v_lshlrev_b64 v[16:17], 2, v[14:15]
	v_add_co_u32_e64 v178, s[30:31], v1, v16
	v_addc_co_u32_e64 v179, s[30:31], v21, v17, s[30:31]
	; wave barrier
	flat_load_dword v241, v[178:179]
	v_and_b32_e32 v14, 1, v19
	v_add_co_u32_e64 v16, s[30:31], -1, v14
	v_addc_co_u32_e64 v17, s[30:31], 0, -1, s[30:31]
	v_cmp_ne_u32_e64 s[30:31], 0, v14
	v_xor_b32_e32 v16, s30, v16
	v_xor_b32_e32 v14, s31, v17
	v_and_b32_e32 v180, exec_lo, v16
	v_lshlrev_b32_e32 v17, 30, v19
	v_mov_b32_e32 v16, v15
	v_cmp_gt_i64_e64 s[30:31], 0, v[16:17]
	v_not_b32_e32 v16, v17
	v_ashrrev_i32_e32 v16, 31, v16
	v_and_b32_e32 v14, exec_hi, v14
	v_xor_b32_e32 v17, s31, v16
	v_xor_b32_e32 v16, s30, v16
	v_and_b32_e32 v14, v14, v17
	v_and_b32_e32 v180, v180, v16
	v_lshlrev_b32_e32 v17, 29, v19
	v_mov_b32_e32 v16, v15
	v_cmp_gt_i64_e64 s[30:31], 0, v[16:17]
	v_not_b32_e32 v16, v17
	v_ashrrev_i32_e32 v16, 31, v16
	v_xor_b32_e32 v17, s31, v16
	v_xor_b32_e32 v16, s30, v16
	v_and_b32_e32 v14, v14, v17
	v_and_b32_e32 v180, v180, v16
	v_lshlrev_b32_e32 v17, 28, v19
	v_mov_b32_e32 v16, v15
	v_cmp_gt_i64_e64 s[30:31], 0, v[16:17]
	v_not_b32_e32 v16, v17
	v_ashrrev_i32_e32 v16, 31, v16
	v_xor_b32_e32 v17, s31, v16
	v_xor_b32_e32 v16, s30, v16
	v_and_b32_e32 v14, v14, v17
	v_and_b32_e32 v180, v180, v16
	v_lshlrev_b32_e32 v17, 27, v19
	v_mov_b32_e32 v16, v15
	v_cmp_gt_i64_e64 s[30:31], 0, v[16:17]
	v_not_b32_e32 v16, v17
	v_ashrrev_i32_e32 v16, 31, v16
	v_xor_b32_e32 v17, s31, v16
	v_xor_b32_e32 v16, s30, v16
	v_and_b32_e32 v14, v14, v17
	v_and_b32_e32 v180, v180, v16
	v_lshlrev_b32_e32 v17, 26, v19
	v_mov_b32_e32 v16, v15
	v_cmp_gt_i64_e64 s[30:31], 0, v[16:17]
	v_not_b32_e32 v16, v17
	v_ashrrev_i32_e32 v16, 31, v16
	v_xor_b32_e32 v17, s31, v16
	v_xor_b32_e32 v16, s30, v16
	v_and_b32_e32 v14, v14, v17
	v_and_b32_e32 v180, v180, v16
	v_lshlrev_b32_e32 v17, 25, v19
	v_mov_b32_e32 v16, v15
	v_cmp_gt_i64_e64 s[30:31], 0, v[16:17]
	v_not_b32_e32 v16, v17
	v_ashrrev_i32_e32 v16, 31, v16
	v_xor_b32_e32 v17, s31, v16
	v_xor_b32_e32 v16, s30, v16
	v_and_b32_e32 v14, v14, v17
	v_and_b32_e32 v180, v180, v16
	v_lshlrev_b32_e32 v17, 24, v19
	v_mov_b32_e32 v16, v15
	v_cmp_gt_i64_e64 s[30:31], 0, v[16:17]
	v_not_b32_e32 v16, v17
	v_ashrrev_i32_e32 v16, 31, v16
	v_xor_b32_e32 v17, s31, v16
	v_xor_b32_e32 v16, s30, v16
	v_and_b32_e32 v16, v180, v16
	v_and_b32_e32 v17, v14, v17
	v_mbcnt_lo_u32_b32 v14, v16, 0
	v_mbcnt_hi_u32_b32 v242, v17, v14
	v_cmp_eq_u32_e64 s[30:31], 0, v242
	v_cmp_ne_u64_e64 s[36:37], 0, v[16:17]
	s_and_b64 s[36:37], s[36:37], s[30:31]
	; wave barrier
	s_and_saveexec_b64 s[30:31], s[36:37]
	s_cbranch_execz .LBB602_79
; %bb.78:                               ;   in Loop: Header=BB602_53 Depth=1
	v_bcnt_u32_b32 v14, v16, 0
	v_bcnt_u32_b32 v14, v17, v14
	s_waitcnt vmcnt(0) lgkmcnt(0)
	v_add_u32_e32 v14, v241, v14
	flat_store_dword v[178:179], v14
.LBB602_79:                             ;   in Loop: Header=BB602_53 Depth=1
	s_or_b64 exec, exec, s[30:31]
	v_lshrrev_b32_e32 v14, v10, v158
	v_and_b32_e32 v19, v14, v18
	v_lshl_add_u32 v14, v19, 2, v153
	v_lshlrev_b64 v[16:17], 2, v[14:15]
	v_add_co_u32_e64 v180, s[30:31], v1, v16
	v_addc_co_u32_e64 v181, s[30:31], v21, v17, s[30:31]
	; wave barrier
	flat_load_dword v243, v[180:181]
	v_and_b32_e32 v14, 1, v19
	v_add_co_u32_e64 v16, s[30:31], -1, v14
	v_addc_co_u32_e64 v17, s[30:31], 0, -1, s[30:31]
	v_cmp_ne_u32_e64 s[30:31], 0, v14
	v_xor_b32_e32 v16, s30, v16
	v_xor_b32_e32 v14, s31, v17
	v_and_b32_e32 v182, exec_lo, v16
	v_lshlrev_b32_e32 v17, 30, v19
	v_mov_b32_e32 v16, v15
	v_cmp_gt_i64_e64 s[30:31], 0, v[16:17]
	v_not_b32_e32 v16, v17
	v_ashrrev_i32_e32 v16, 31, v16
	v_and_b32_e32 v14, exec_hi, v14
	v_xor_b32_e32 v17, s31, v16
	v_xor_b32_e32 v16, s30, v16
	v_and_b32_e32 v14, v14, v17
	v_and_b32_e32 v182, v182, v16
	v_lshlrev_b32_e32 v17, 29, v19
	v_mov_b32_e32 v16, v15
	v_cmp_gt_i64_e64 s[30:31], 0, v[16:17]
	v_not_b32_e32 v16, v17
	v_ashrrev_i32_e32 v16, 31, v16
	v_xor_b32_e32 v17, s31, v16
	v_xor_b32_e32 v16, s30, v16
	v_and_b32_e32 v14, v14, v17
	v_and_b32_e32 v182, v182, v16
	v_lshlrev_b32_e32 v17, 28, v19
	v_mov_b32_e32 v16, v15
	v_cmp_gt_i64_e64 s[30:31], 0, v[16:17]
	v_not_b32_e32 v16, v17
	v_ashrrev_i32_e32 v16, 31, v16
	;; [unrolled: 9-line block ×6, first 2 shown]
	v_xor_b32_e32 v17, s31, v16
	v_xor_b32_e32 v16, s30, v16
	v_and_b32_e32 v16, v182, v16
	v_and_b32_e32 v17, v14, v17
	v_mbcnt_lo_u32_b32 v14, v16, 0
	v_mbcnt_hi_u32_b32 v244, v17, v14
	v_cmp_eq_u32_e64 s[30:31], 0, v244
	v_cmp_ne_u64_e64 s[36:37], 0, v[16:17]
	s_and_b64 s[36:37], s[36:37], s[30:31]
	; wave barrier
	s_and_saveexec_b64 s[30:31], s[36:37]
	s_cbranch_execz .LBB602_81
; %bb.80:                               ;   in Loop: Header=BB602_53 Depth=1
	v_bcnt_u32_b32 v14, v16, 0
	v_bcnt_u32_b32 v14, v17, v14
	s_waitcnt vmcnt(0) lgkmcnt(0)
	v_add_u32_e32 v14, v243, v14
	flat_store_dword v[180:181], v14
.LBB602_81:                             ;   in Loop: Header=BB602_53 Depth=1
	s_or_b64 exec, exec, s[30:31]
	v_lshrrev_b32_e32 v14, v10, v157
	v_and_b32_e32 v19, v14, v18
	v_lshl_add_u32 v14, v19, 2, v153
	v_lshlrev_b64 v[16:17], 2, v[14:15]
	v_add_co_u32_e64 v182, s[30:31], v1, v16
	v_addc_co_u32_e64 v183, s[30:31], v21, v17, s[30:31]
	; wave barrier
	flat_load_dword v245, v[182:183]
	v_and_b32_e32 v14, 1, v19
	v_add_co_u32_e64 v16, s[30:31], -1, v14
	v_addc_co_u32_e64 v17, s[30:31], 0, -1, s[30:31]
	v_cmp_ne_u32_e64 s[30:31], 0, v14
	v_xor_b32_e32 v16, s30, v16
	v_xor_b32_e32 v14, s31, v17
	v_and_b32_e32 v192, exec_lo, v16
	v_lshlrev_b32_e32 v17, 30, v19
	v_mov_b32_e32 v16, v15
	v_cmp_gt_i64_e64 s[30:31], 0, v[16:17]
	v_not_b32_e32 v16, v17
	v_ashrrev_i32_e32 v16, 31, v16
	v_and_b32_e32 v14, exec_hi, v14
	v_xor_b32_e32 v17, s31, v16
	v_xor_b32_e32 v16, s30, v16
	v_and_b32_e32 v14, v14, v17
	v_and_b32_e32 v192, v192, v16
	v_lshlrev_b32_e32 v17, 29, v19
	v_mov_b32_e32 v16, v15
	v_cmp_gt_i64_e64 s[30:31], 0, v[16:17]
	v_not_b32_e32 v16, v17
	v_ashrrev_i32_e32 v16, 31, v16
	v_xor_b32_e32 v17, s31, v16
	v_xor_b32_e32 v16, s30, v16
	v_and_b32_e32 v14, v14, v17
	v_and_b32_e32 v192, v192, v16
	v_lshlrev_b32_e32 v17, 28, v19
	v_mov_b32_e32 v16, v15
	v_cmp_gt_i64_e64 s[30:31], 0, v[16:17]
	v_not_b32_e32 v16, v17
	v_ashrrev_i32_e32 v16, 31, v16
	;; [unrolled: 9-line block ×6, first 2 shown]
	v_xor_b32_e32 v17, s31, v16
	v_xor_b32_e32 v16, s30, v16
	v_and_b32_e32 v16, v192, v16
	v_and_b32_e32 v17, v14, v17
	v_mbcnt_lo_u32_b32 v14, v16, 0
	v_mbcnt_hi_u32_b32 v246, v17, v14
	v_cmp_eq_u32_e64 s[30:31], 0, v246
	v_cmp_ne_u64_e64 s[36:37], 0, v[16:17]
	s_and_b64 s[36:37], s[36:37], s[30:31]
	; wave barrier
	s_and_saveexec_b64 s[30:31], s[36:37]
	s_cbranch_execz .LBB602_83
; %bb.82:                               ;   in Loop: Header=BB602_53 Depth=1
	v_bcnt_u32_b32 v14, v16, 0
	v_bcnt_u32_b32 v14, v17, v14
	s_waitcnt vmcnt(0) lgkmcnt(0)
	v_add_u32_e32 v14, v245, v14
	flat_store_dword v[182:183], v14
.LBB602_83:                             ;   in Loop: Header=BB602_53 Depth=1
	s_or_b64 exec, exec, s[30:31]
	v_lshrrev_b32_e32 v14, v10, v156
	v_and_b32_e32 v18, v14, v18
	v_lshl_add_u32 v14, v18, 2, v153
	v_lshlrev_b64 v[16:17], 2, v[14:15]
	v_add_co_u32_e64 v192, s[30:31], v1, v16
	v_addc_co_u32_e64 v193, s[30:31], v21, v17, s[30:31]
	; wave barrier
	flat_load_dword v247, v[192:193]
	v_and_b32_e32 v14, 1, v18
	v_add_co_u32_e64 v16, s[30:31], -1, v14
	v_addc_co_u32_e64 v17, s[30:31], 0, -1, s[30:31]
	v_cmp_ne_u32_e64 s[30:31], 0, v14
	v_xor_b32_e32 v16, s30, v16
	v_xor_b32_e32 v14, s31, v17
	v_and_b32_e32 v19, exec_lo, v16
	v_lshlrev_b32_e32 v17, 30, v18
	v_mov_b32_e32 v16, v15
	v_cmp_gt_i64_e64 s[30:31], 0, v[16:17]
	v_not_b32_e32 v16, v17
	v_ashrrev_i32_e32 v16, 31, v16
	v_and_b32_e32 v14, exec_hi, v14
	v_xor_b32_e32 v17, s31, v16
	v_xor_b32_e32 v16, s30, v16
	v_and_b32_e32 v14, v14, v17
	v_and_b32_e32 v19, v19, v16
	v_lshlrev_b32_e32 v17, 29, v18
	v_mov_b32_e32 v16, v15
	v_cmp_gt_i64_e64 s[30:31], 0, v[16:17]
	v_not_b32_e32 v16, v17
	v_ashrrev_i32_e32 v16, 31, v16
	v_xor_b32_e32 v17, s31, v16
	v_xor_b32_e32 v16, s30, v16
	v_and_b32_e32 v14, v14, v17
	v_and_b32_e32 v19, v19, v16
	v_lshlrev_b32_e32 v17, 28, v18
	v_mov_b32_e32 v16, v15
	v_cmp_gt_i64_e64 s[30:31], 0, v[16:17]
	v_not_b32_e32 v16, v17
	v_ashrrev_i32_e32 v16, 31, v16
	;; [unrolled: 9-line block ×6, first 2 shown]
	v_xor_b32_e32 v17, s31, v16
	v_xor_b32_e32 v16, s30, v16
	v_and_b32_e32 v16, v19, v16
	v_and_b32_e32 v17, v14, v17
	v_mbcnt_lo_u32_b32 v14, v16, 0
	v_mbcnt_hi_u32_b32 v40, v17, v14
	v_cmp_eq_u32_e64 s[30:31], 0, v40
	v_cmp_ne_u64_e64 s[36:37], 0, v[16:17]
	s_and_b64 s[36:37], s[36:37], s[30:31]
	; wave barrier
	s_and_saveexec_b64 s[30:31], s[36:37]
	s_cbranch_execz .LBB602_85
; %bb.84:                               ;   in Loop: Header=BB602_53 Depth=1
	v_bcnt_u32_b32 v14, v16, 0
	v_bcnt_u32_b32 v14, v17, v14
	s_waitcnt vmcnt(0) lgkmcnt(0)
	v_add_u32_e32 v14, v247, v14
	flat_store_dword v[192:193], v14
.LBB602_85:                             ;   in Loop: Header=BB602_53 Depth=1
	s_or_b64 exec, exec, s[30:31]
	; wave barrier
	s_waitcnt lgkmcnt(0)
	s_barrier
	flat_load_dwordx4 v[16:19], v[48:49] offset:16
	s_waitcnt vmcnt(0) lgkmcnt(0)
	v_add_u32_e32 v14, v17, v16
	v_add3_u32 v14, v14, v18, v19
	s_nop 1
	v_mov_b32_dpp v19, v14 row_shr:1 row_mask:0xf bank_mask:0xf
	v_cndmask_b32_e64 v19, v19, 0, vcc
	v_add_u32_e32 v14, v19, v14
	s_nop 1
	v_mov_b32_dpp v19, v14 row_shr:2 row_mask:0xf bank_mask:0xf
	v_cndmask_b32_e64 v19, 0, v19, s[4:5]
	v_add_u32_e32 v14, v14, v19
	s_nop 1
	v_mov_b32_dpp v19, v14 row_shr:4 row_mask:0xf bank_mask:0xf
	v_cndmask_b32_e64 v19, 0, v19, s[6:7]
	;; [unrolled: 4-line block ×3, first 2 shown]
	v_add_u32_e32 v14, v14, v19
	s_nop 1
	v_mov_b32_dpp v19, v14 row_bcast:15 row_mask:0xf bank_mask:0xf
	v_cndmask_b32_e64 v19, v19, 0, s[34:35]
	v_add_u32_e32 v14, v14, v19
	s_nop 1
	v_mov_b32_dpp v19, v14 row_bcast:31 row_mask:0xf bank_mask:0xf
	v_cndmask_b32_e64 v19, 0, v19, s[14:15]
	v_add_u32_e32 v14, v14, v19
	s_and_saveexec_b64 s[30:31], s[16:17]
	s_cbranch_execz .LBB602_87
; %bb.86:                               ;   in Loop: Header=BB602_53 Depth=1
	flat_store_dword v[70:71], v14
.LBB602_87:                             ;   in Loop: Header=BB602_53 Depth=1
	s_or_b64 exec, exec, s[30:31]
	s_waitcnt lgkmcnt(0)
	s_barrier
	s_and_saveexec_b64 s[30:31], s[18:19]
	s_cbranch_execz .LBB602_89
; %bb.88:                               ;   in Loop: Header=BB602_53 Depth=1
	flat_load_dword v19, v[4:5]
	s_waitcnt vmcnt(0) lgkmcnt(0)
	s_nop 0
	v_mov_b32_dpp v41, v19 row_shr:1 row_mask:0xf bank_mask:0xf
	v_cndmask_b32_e64 v41, v41, 0, s[26:27]
	v_add_u32_e32 v19, v41, v19
	s_nop 1
	v_mov_b32_dpp v41, v19 row_shr:2 row_mask:0xf bank_mask:0xf
	v_cndmask_b32_e64 v41, 0, v41, s[28:29]
	v_add_u32_e32 v19, v19, v41
	flat_store_dword v[4:5], v19
.LBB602_89:                             ;   in Loop: Header=BB602_53 Depth=1
	s_or_b64 exec, exec, s[30:31]
	v_mov_b32_e32 v19, 0
	s_waitcnt lgkmcnt(0)
	s_barrier
	s_and_saveexec_b64 s[30:31], s[20:21]
	s_cbranch_execz .LBB602_91
; %bb.90:                               ;   in Loop: Header=BB602_53 Depth=1
	flat_load_dword v19, v[84:85]
.LBB602_91:                             ;   in Loop: Header=BB602_53 Depth=1
	s_or_b64 exec, exec, s[30:31]
	s_waitcnt vmcnt(0) lgkmcnt(0)
	v_add_u32_e32 v14, v19, v14
	ds_bpermute_b32 v14, v154, v14
	v_add_u32_e32 v10, 8, v10
	v_cmp_lt_u32_e64 s[30:31], v10, v11
	s_mov_b64 s[40:41], -1
                                        ; implicit-def: $agpr0_agpr1
                                        ; implicit-def: $agpr2_agpr3
                                        ; implicit-def: $vgpr188
                                        ; implicit-def: $vgpr189
                                        ; implicit-def: $vgpr190
                                        ; implicit-def: $vgpr191
                                        ; implicit-def: $vgpr200
                                        ; implicit-def: $vgpr201
                                        ; implicit-def: $vgpr202
                                        ; implicit-def: $vgpr203
                                        ; implicit-def: $vgpr204
                                        ; implicit-def: $vgpr205
                                        ; implicit-def: $vgpr206
                                        ; implicit-def: $vgpr207
                                        ; implicit-def: $vgpr216
                                        ; implicit-def: $vgpr217
                                        ; implicit-def: $vgpr218
                                        ; implicit-def: $vgpr219
	s_waitcnt lgkmcnt(0)
	v_cndmask_b32_e64 v14, v14, v19, s[22:23]
	v_cndmask_b32_e64 v42, v14, 0, s[24:25]
	v_add_u32_e32 v43, v42, v16
	v_add_u32_e32 v44, v43, v17
	;; [unrolled: 1-line block ×3, first 2 shown]
	flat_store_dwordx4 v[48:49], v[42:45] offset:16
	s_waitcnt lgkmcnt(0)
	s_barrier
	flat_load_dword v14, v[130:131]
	flat_load_dword v16, v[132:133]
	flat_load_dword v17, v[134:135]
	flat_load_dword v18, v[144:145]
	flat_load_dword v19, v[146:147]
	s_nop 0
	flat_load_dword v130, v[148:149]
	flat_load_dword v131, v[150:151]
	;; [unrolled: 1-line block ×10, first 2 shown]
	s_nop 0
	flat_load_dword v163, v[192:193]
	v_mov_b32_e32 v149, v15
	v_mov_b32_e32 v151, v15
	;; [unrolled: 1-line block ×9, first 2 shown]
	s_waitcnt lgkmcnt(0)
                                        ; implicit-def: $vgpr192_vgpr193
	s_waitcnt vmcnt(0) lgkmcnt(0)
	v_add_u32_e32 v14, v14, v194
	v_lshlrev_b64 v[142:143], 2, v[14:15]
	v_add3_u32 v148, v196, v195, v16
	v_lshlrev_b64 v[136:137], 2, v[148:149]
	v_add3_u32 v150, v198, v197, v17
	;; [unrolled: 2-line block ×4, first 2 shown]
	v_add3_u32 v194, v228, v227, v134
	v_add3_u32 v182, v230, v229, v135
	v_add_co_u32_e64 v230, s[36:37], v12, v142
	v_add3_u32 v162, v240, v231, v144
	v_addc_co_u32_e64 v231, s[36:37], v13, v143, s[36:37]
	v_add_co_u32_e64 v240, s[36:37], v12, v136
	v_add3_u32 v144, v242, v241, v145
	v_addc_co_u32_e64 v241, s[36:37], v13, v137, s[36:37]
	v_add_co_u32_e64 v242, s[36:37], v12, v122
	v_add3_u32 v134, v244, v243, v146
	v_addc_co_u32_e64 v243, s[36:37], v13, v123, s[36:37]
	v_add_co_u32_e64 v244, s[36:37], v12, v108
	v_add3_u32 v178, v224, v215, v132
	v_add3_u32 v132, v246, v245, v147
	v_lshlrev_b64 v[94:95], 2, v[164:165]
	v_addc_co_u32_e64 v245, s[36:37], v13, v109, s[36:37]
	v_add3_u32 v166, v212, v211, v130
	v_add3_u32 v18, v40, v247, v163
	v_add_co_u32_e64 v40, s[36:37], v12, v94
	v_lshlrev_b64 v[92:93], 2, v[166:167]
	v_addc_co_u32_e64 v41, s[36:37], v13, v95, s[36:37]
	v_add3_u32 v176, v214, v213, v131
	v_add_co_u32_e64 v42, s[36:37], v12, v92
	v_lshlrev_b64 v[90:91], 2, v[176:177]
	v_addc_co_u32_e64 v43, s[36:37], v13, v93, s[36:37]
	v_add_co_u32_e64 v44, s[36:37], v12, v90
	v_lshlrev_b64 v[88:89], 2, v[178:179]
	v_addc_co_u32_e64 v45, s[36:37], v13, v91, s[36:37]
	v_add3_u32 v180, v226, v225, v133
	v_add_co_u32_e64 v46, s[36:37], v12, v88
	v_addc_co_u32_e64 v47, s[36:37], v13, v89, s[36:37]
	v_lshlrev_b64 v[104:105], 2, v[180:181]
	v_add_co_u32_e64 v56, s[36:37], v12, v104
	v_mov_b32_e32 v195, v15
	v_addc_co_u32_e64 v57, s[36:37], v13, v105, s[36:37]
	v_lshlrev_b64 v[106:107], 2, v[194:195]
	v_add_co_u32_e64 v58, s[36:37], v12, v106
	v_addc_co_u32_e64 v59, s[36:37], v13, v107, s[36:37]
	v_lshlrev_b64 v[110:111], 2, v[182:183]
	v_add_co_u32_e64 v60, s[36:37], v12, v110
	v_mov_b32_e32 v163, v15
	v_addc_co_u32_e64 v61, s[36:37], v13, v111, s[36:37]
	v_lshlrev_b64 v[120:121], 2, v[162:163]
	v_add_co_u32_e64 v62, s[36:37], v12, v120
	v_mov_b32_e32 v145, v15
	;; [unrolled: 4-line block ×5, first 2 shown]
	v_addc_co_u32_e64 v77, s[36:37], v13, v139, s[36:37]
	v_lshlrev_b64 v[140:141], 2, v[18:19]
	v_add_co_u32_e64 v78, s[36:37], v12, v140
	v_addc_co_u32_e64 v79, s[36:37], v13, v141, s[36:37]
                                        ; implicit-def: $vgpr16_vgpr17
                                        ; implicit-def: $vgpr130_vgpr131
                                        ; implicit-def: $vgpr146_vgpr147
                                        ; implicit-def: $vgpr196_vgpr197
                                        ; implicit-def: $vgpr198_vgpr199
                                        ; implicit-def: $vgpr208_vgpr209
                                        ; implicit-def: $vgpr210_vgpr211
                                        ; implicit-def: $vgpr212_vgpr213
                                        ; implicit-def: $vgpr214_vgpr215
                                        ; implicit-def: $vgpr224_vgpr225
                                        ; implicit-def: $vgpr226_vgpr227
                                        ; implicit-def: $vgpr228_vgpr229
                                        ; implicit-def: $vgpr246_vgpr247
	s_and_saveexec_b64 s[36:37], s[30:31]
	s_cbranch_execz .LBB602_52
; %bb.92:                               ;   in Loop: Header=BB602_53 Depth=1
	v_add_co_u32_e64 v16, s[30:31], v230, v142
	v_addc_co_u32_e64 v17, s[30:31], v231, v143, s[30:31]
	s_barrier
	flat_store_dword v[230:231], v187
	flat_store_dword v[240:241], v186
	;; [unrolled: 1-line block ×16, first 2 shown]
	s_waitcnt lgkmcnt(0)
	s_barrier
	flat_load_dword v188, v[86:87]
	flat_load_dword v189, v[86:87] offset:256
	flat_load_dword v190, v[86:87] offset:512
	;; [unrolled: 1-line block ×15, first 2 shown]
	s_waitcnt lgkmcnt(0)
	s_barrier
	flat_store_dwordx2 v[16:17], v[82:83]
	v_add_co_u32_e64 v16, s[30:31], v240, v136
	v_addc_co_u32_e64 v17, s[30:31], v241, v137, s[30:31]
	flat_store_dwordx2 v[16:17], v[80:81]
	v_add_co_u32_e64 v16, s[30:31], v242, v122
	v_addc_co_u32_e64 v17, s[30:31], v243, v123, s[30:31]
	;; [unrolled: 3-line block ×15, first 2 shown]
	flat_store_dwordx2 v[16:17], v[24:25]
	s_waitcnt lgkmcnt(0)
	s_barrier
	flat_load_dwordx2 v[16:17], v[96:97]
	flat_load_dwordx2 v[130:131], v[96:97] offset:512
	flat_load_dwordx2 v[146:147], v[96:97] offset:1024
	;; [unrolled: 1-line block ×7, first 2 shown]
	flat_load_dwordx2 v[212:213], v[98:99]
	flat_load_dwordx2 v[214:215], v[100:101]
	;; [unrolled: 1-line block ×8, first 2 shown]
	v_add_u32_e32 v155, -8, v155
	s_xor_b64 s[40:41], exec, -1
	s_waitcnt lgkmcnt(0)
	s_barrier
	s_branch .LBB602_52
.LBB602_93:
	s_or_b64 exec, exec, s[38:39]
	v_or_b32_e32 v1, 0x400, v20
	v_lshlrev_b32_e32 v10, 2, v1
	v_add_co_u32_e32 v10, vcc, v12, v10
	v_addc_co_u32_e32 v11, vcc, 0, v13, vcc
	s_movk_i32 s4, 0x1000
	s_waitcnt vmcnt(0)
	v_add_co_u32_e32 v16, vcc, s4, v4
	v_or_b32_e32 v113, 0x800, v20
	s_barrier
	flat_store_dword v[230:231], v187
	flat_store_dword v[240:241], v186
	;; [unrolled: 1-line block ×16, first 2 shown]
	s_waitcnt lgkmcnt(0)
	s_barrier
	v_addc_co_u32_e32 v17, vcc, 0, v5, vcc
	flat_load_dword v112, v[4:5]
	flat_load_dword v103, v[4:5] offset:1024
	flat_load_dword v102, v[4:5] offset:2048
	;; [unrolled: 1-line block ×3, first 2 shown]
	flat_load_dword v100, v[10:11]
	flat_load_dword v99, v[16:17] offset:1024
	flat_load_dword v97, v[16:17] offset:2048
	flat_load_dword v87, v[16:17] offset:3072
	v_lshlrev_b32_e32 v10, 2, v113
	v_add_co_u32_e32 v10, vcc, v12, v10
	v_addc_co_u32_e32 v11, vcc, 0, v13, vcc
	s_movk_i32 s5, 0x2000
	v_add_co_u32_e32 v16, vcc, s5, v4
	v_or_b32_e32 v116, 0xc00, v20
	v_addc_co_u32_e32 v17, vcc, 0, v5, vcc
	v_lshlrev_b32_e32 v21, 2, v116
	v_add_co_u32_e32 v48, vcc, v12, v21
	v_addc_co_u32_e32 v49, vcc, 0, v13, vcc
	s_movk_i32 s6, 0x3000
	v_add_co_u32_e32 v114, vcc, s6, v4
	v_addc_co_u32_e32 v115, vcc, 0, v5, vcc
	s_movk_i32 s7, 0x3c00
	v_add_co_u32_e32 v117, vcc, s7, v4
	v_addc_co_u32_e32 v118, vcc, 0, v5, vcc
	v_lshlrev_b64 v[4:5], 3, v[14:15]
	v_add_co_u32_e32 v4, vcc, v12, v4
	v_addc_co_u32_e32 v5, vcc, v13, v5, vcc
	flat_load_dword v98, v[10:11]
	flat_load_dword v96, v[16:17] offset:1024
	flat_load_dword v86, v[16:17] offset:2048
	;; [unrolled: 1-line block ×3, first 2 shown]
	flat_load_dword v84, v[48:49]
	flat_load_dword v71, v[114:115] offset:1024
	flat_load_dword v70, v[114:115] offset:2048
	;; [unrolled: 1-line block ×3, first 2 shown]
	s_waitcnt lgkmcnt(0)
	s_barrier
	flat_store_dwordx2 v[4:5], v[82:83]
	v_lshlrev_b64 v[4:5], 3, v[148:149]
	v_add_co_u32_e32 v4, vcc, v12, v4
	v_addc_co_u32_e32 v5, vcc, v13, v5, vcc
	flat_store_dwordx2 v[4:5], v[80:81]
	v_lshlrev_b64 v[4:5], 3, v[150:151]
	v_add_co_u32_e32 v4, vcc, v12, v4
	v_addc_co_u32_e32 v5, vcc, v13, v5, vcc
	;; [unrolled: 4-line block ×15, first 2 shown]
	flat_store_dwordx2 v[4:5], v[24:25]
	v_lshlrev_b32_e32 v4, 3, v20
	v_add_co_u32_e32 v4, vcc, v12, v4
	v_addc_co_u32_e32 v5, vcc, 0, v13, vcc
	v_add_co_u32_e32 v10, vcc, s4, v4
	v_addc_co_u32_e32 v11, vcc, 0, v5, vcc
	v_lshlrev_b32_e32 v1, 3, v1
	s_waitcnt lgkmcnt(0)
	s_barrier
	flat_load_dwordx2 v[50:51], v[4:5]
	flat_load_dwordx2 v[48:49], v[4:5] offset:2048
	flat_load_dwordx2 v[38:39], v[10:11]
	flat_load_dwordx2 v[34:35], v[10:11] offset:2048
	v_add_co_u32_e32 v10, vcc, v12, v1
	v_addc_co_u32_e32 v11, vcc, 0, v13, vcc
	v_add_co_u32_e32 v14, vcc, s5, v4
	v_addc_co_u32_e32 v15, vcc, 0, v5, vcc
	;; [unrolled: 2-line block ×3, first 2 shown]
	v_lshlrev_b32_e32 v1, 3, v113
	flat_load_dwordx2 v[36:37], v[10:11]
	flat_load_dwordx2 v[32:33], v[14:15] offset:2048
	flat_load_dwordx2 v[30:31], v[16:17]
	flat_load_dwordx2 v[26:27], v[16:17] offset:2048
	v_add_co_u32_e32 v10, vcc, v12, v1
	v_addc_co_u32_e32 v11, vcc, 0, v13, vcc
	s_movk_i32 s4, 0x4000
	v_add_co_u32_e32 v16, vcc, s4, v4
	v_addc_co_u32_e32 v17, vcc, 0, v5, vcc
	s_movk_i32 s4, 0x5000
	v_add_co_u32_e32 v52, vcc, s4, v4
	v_addc_co_u32_e32 v53, vcc, 0, v5, vcc
	v_lshlrev_b32_e32 v1, 3, v116
	flat_load_dwordx2 v[28:29], v[10:11]
	flat_load_dwordx2 v[24:25], v[16:17] offset:2048
	flat_load_dwordx2 v[18:19], v[52:53]
	flat_load_dwordx2 v[14:15], v[52:53] offset:2048
	v_add_co_u32_e32 v52, vcc, v12, v1
	v_addc_co_u32_e32 v53, vcc, 0, v13, vcc
	s_movk_i32 s4, 0x6000
	v_add_co_u32_e32 v54, vcc, s4, v4
	v_addc_co_u32_e32 v55, vcc, 0, v5, vcc
	s_movk_i32 s4, 0x7000
	v_add_co_u32_e32 v64, vcc, s4, v4
	v_mov_b32_e32 v1, 0x3c00
	v_addc_co_u32_e32 v65, vcc, 0, v5, vcc
	v_lshl_add_u32 v1, v20, 2, v1
	v_add_co_u32_e32 v66, vcc, v117, v1
	v_addc_co_u32_e32 v67, vcc, 0, v118, vcc
	flat_load_dwordx2 v[16:17], v[52:53]
	flat_load_dwordx2 v[12:13], v[54:55] offset:2048
	flat_load_dwordx2 v[10:11], v[64:65]
	flat_load_dwordx2 v[4:5], v[66:67]
	v_mov_b32_e32 v1, 0
	v_add_co_u32_e32 v20, vcc, v2, v22
	v_addc_co_u32_e32 v22, vcc, v3, v23, vcc
	v_lshlrev_b64 v[2:3], 2, v[0:1]
	v_add_co_u32_e32 v2, vcc, v20, v2
	v_addc_co_u32_e32 v3, vcc, v22, v3, vcc
	v_cmp_lt_u32_e64 s[4:5], v0, v152
	s_waitcnt lgkmcnt(0)
	s_barrier
	s_and_saveexec_b64 s[6:7], s[4:5]
	s_cbranch_execz .LBB602_95
; %bb.94:
	s_waitcnt vmcnt(0)
	v_xor_b32_e32 v20, 0x80000000, v112
	flat_store_dword v[2:3], v20
.LBB602_95:
	s_or_b64 exec, exec, s[6:7]
	v_add_u32_e32 v20, 0x100, v0
	v_cmp_lt_u32_e64 s[10:11], v20, v152
	s_and_saveexec_b64 s[6:7], s[10:11]
	s_cbranch_execz .LBB602_97
; %bb.96:
	s_waitcnt vmcnt(0)
	v_xor_b32_e32 v20, 0x80000000, v103
	flat_store_dword v[2:3], v20 offset:1024
.LBB602_97:
	s_or_b64 exec, exec, s[6:7]
	v_add_u32_e32 v20, 0x200, v0
	v_cmp_lt_u32_e64 s[16:17], v20, v152
	s_and_saveexec_b64 s[6:7], s[16:17]
	s_cbranch_execz .LBB602_99
; %bb.98:
	s_waitcnt vmcnt(0)
	v_xor_b32_e32 v20, 0x80000000, v102
	flat_store_dword v[2:3], v20 offset:2048
.LBB602_99:
	;; [unrolled: 10-line block ×3, first 2 shown]
	s_or_b64 exec, exec, s[6:7]
	v_add_u32_e32 v20, 0x400, v0
	v_cmp_lt_u32_e64 s[6:7], v20, v152
	s_and_saveexec_b64 s[14:15], s[6:7]
	s_cbranch_execz .LBB602_103
; %bb.102:
	v_add_co_u32_e32 v22, vcc, 0x1000, v2
	s_waitcnt vmcnt(0)
	v_xor_b32_e32 v20, 0x80000000, v100
	v_addc_co_u32_e32 v23, vcc, 0, v3, vcc
	flat_store_dword v[22:23], v20
.LBB602_103:
	s_or_b64 exec, exec, s[14:15]
	v_add_u32_e32 v20, 0x500, v0
	v_cmp_lt_u32_e64 s[14:15], v20, v152
	s_and_saveexec_b64 s[18:19], s[14:15]
	s_cbranch_execz .LBB602_105
; %bb.104:
	v_add_co_u32_e32 v22, vcc, 0x1000, v2
	s_waitcnt vmcnt(0)
	v_xor_b32_e32 v20, 0x80000000, v99
	v_addc_co_u32_e32 v23, vcc, 0, v3, vcc
	flat_store_dword v[22:23], v20 offset:1024
.LBB602_105:
	s_or_b64 exec, exec, s[18:19]
	v_add_u32_e32 v20, 0x600, v0
	v_cmp_lt_u32_e64 s[18:19], v20, v152
	s_and_saveexec_b64 s[20:21], s[18:19]
	s_cbranch_execz .LBB602_107
; %bb.106:
	v_add_co_u32_e32 v22, vcc, 0x1000, v2
	s_waitcnt vmcnt(0)
	v_xor_b32_e32 v20, 0x80000000, v97
	v_addc_co_u32_e32 v23, vcc, 0, v3, vcc
	flat_store_dword v[22:23], v20 offset:2048
.LBB602_107:
	s_or_b64 exec, exec, s[20:21]
	v_add_u32_e32 v20, 0x700, v0
	v_cmp_lt_u32_e64 s[20:21], v20, v152
	s_and_saveexec_b64 s[22:23], s[20:21]
	s_cbranch_execz .LBB602_109
; %bb.108:
	v_add_co_u32_e32 v22, vcc, 0x1000, v2
	s_waitcnt vmcnt(0)
	v_xor_b32_e32 v20, 0x80000000, v87
	v_addc_co_u32_e32 v23, vcc, 0, v3, vcc
	flat_store_dword v[22:23], v20 offset:3072
.LBB602_109:
	s_or_b64 exec, exec, s[22:23]
	v_add_u32_e32 v20, 0x800, v0
	v_cmp_lt_u32_e64 s[22:23], v20, v152
	s_and_saveexec_b64 s[24:25], s[22:23]
	s_cbranch_execz .LBB602_111
; %bb.110:
	v_add_co_u32_e32 v22, vcc, 0x2000, v2
	s_waitcnt vmcnt(0)
	v_xor_b32_e32 v20, 0x80000000, v98
	v_addc_co_u32_e32 v23, vcc, 0, v3, vcc
	flat_store_dword v[22:23], v20
.LBB602_111:
	s_or_b64 exec, exec, s[24:25]
	v_add_u32_e32 v20, 0x900, v0
	v_cmp_lt_u32_e64 s[24:25], v20, v152
	s_and_saveexec_b64 s[26:27], s[24:25]
	s_cbranch_execz .LBB602_113
; %bb.112:
	v_add_co_u32_e32 v22, vcc, 0x2000, v2
	s_waitcnt vmcnt(0)
	v_xor_b32_e32 v20, 0x80000000, v96
	v_addc_co_u32_e32 v23, vcc, 0, v3, vcc
	flat_store_dword v[22:23], v20 offset:1024
.LBB602_113:
	s_or_b64 exec, exec, s[26:27]
	v_add_u32_e32 v20, 0xa00, v0
	v_cmp_lt_u32_e64 s[26:27], v20, v152
	s_and_saveexec_b64 s[28:29], s[26:27]
	s_cbranch_execz .LBB602_115
; %bb.114:
	v_add_co_u32_e32 v22, vcc, 0x2000, v2
	s_waitcnt vmcnt(0)
	v_xor_b32_e32 v20, 0x80000000, v86
	v_addc_co_u32_e32 v23, vcc, 0, v3, vcc
	flat_store_dword v[22:23], v20 offset:2048
.LBB602_115:
	s_or_b64 exec, exec, s[28:29]
	v_add_u32_e32 v20, 0xb00, v0
	v_cmp_lt_u32_e64 s[28:29], v20, v152
	s_and_saveexec_b64 s[30:31], s[28:29]
	s_cbranch_execz .LBB602_117
; %bb.116:
	v_add_co_u32_e32 v22, vcc, 0x2000, v2
	s_waitcnt vmcnt(0)
	v_xor_b32_e32 v20, 0x80000000, v85
	v_addc_co_u32_e32 v23, vcc, 0, v3, vcc
	flat_store_dword v[22:23], v20 offset:3072
.LBB602_117:
	;; [unrolled: 48-line block ×3, first 2 shown]
	s_or_b64 exec, exec, s[46:47]
	v_add_co_u32_e32 v2, vcc, v6, v8
	v_addc_co_u32_e32 v3, vcc, v7, v9, vcc
	v_lshlrev_b64 v[0:1], 3, v[0:1]
	v_add_co_u32_e32 v0, vcc, v2, v0
	v_addc_co_u32_e32 v1, vcc, v3, v1, vcc
	s_and_saveexec_b64 vcc, s[4:5]
	s_cbranch_execnz .LBB602_211
; %bb.126:
	s_or_b64 exec, exec, vcc
	s_and_saveexec_b64 s[4:5], s[10:11]
	s_cbranch_execnz .LBB602_212
.LBB602_127:
	s_or_b64 exec, exec, s[4:5]
	s_and_saveexec_b64 s[4:5], s[16:17]
	s_cbranch_execnz .LBB602_213
.LBB602_128:
	s_or_b64 exec, exec, s[4:5]
	s_and_saveexec_b64 s[4:5], s[40:41]
	s_cbranch_execnz .LBB602_214
.LBB602_129:
	s_or_b64 exec, exec, s[4:5]
	s_and_saveexec_b64 s[4:5], s[6:7]
	s_cbranch_execnz .LBB602_215
.LBB602_130:
	s_or_b64 exec, exec, s[4:5]
	s_and_saveexec_b64 s[4:5], s[14:15]
	s_cbranch_execnz .LBB602_216
.LBB602_131:
	s_or_b64 exec, exec, s[4:5]
	s_and_saveexec_b64 s[4:5], s[18:19]
	s_cbranch_execnz .LBB602_217
.LBB602_132:
	s_or_b64 exec, exec, s[4:5]
	s_and_saveexec_b64 s[4:5], s[20:21]
	s_cbranch_execnz .LBB602_218
.LBB602_133:
	s_or_b64 exec, exec, s[4:5]
	s_and_saveexec_b64 s[4:5], s[22:23]
	s_cbranch_execnz .LBB602_219
.LBB602_134:
	s_or_b64 exec, exec, s[4:5]
	s_and_saveexec_b64 s[4:5], s[24:25]
	s_cbranch_execnz .LBB602_220
.LBB602_135:
	s_or_b64 exec, exec, s[4:5]
	s_and_saveexec_b64 s[4:5], s[26:27]
	s_cbranch_execnz .LBB602_221
.LBB602_136:
	s_or_b64 exec, exec, s[4:5]
	s_and_saveexec_b64 s[4:5], s[28:29]
	s_cbranch_execnz .LBB602_222
.LBB602_137:
	s_or_b64 exec, exec, s[4:5]
	s_and_saveexec_b64 s[4:5], s[30:31]
	s_cbranch_execnz .LBB602_223
.LBB602_138:
	s_or_b64 exec, exec, s[4:5]
	s_and_saveexec_b64 s[4:5], s[34:35]
	s_cbranch_execnz .LBB602_224
.LBB602_139:
	s_or_b64 exec, exec, s[4:5]
	s_and_saveexec_b64 s[4:5], s[36:37]
	s_cbranch_execnz .LBB602_225
.LBB602_140:
	s_or_b64 exec, exec, s[4:5]
	s_and_saveexec_b64 s[4:5], s[38:39]
	s_cbranch_execz .LBB602_142
.LBB602_141:
	v_add_co_u32_e32 v0, vcc, 0x7000, v0
	v_addc_co_u32_e32 v1, vcc, 0, v1, vcc
	s_waitcnt vmcnt(0)
	flat_store_dwordx2 v[0:1], v[4:5] offset:2048
.LBB602_142:
	s_or_b64 exec, exec, s[4:5]
                                        ; implicit-def: $vgpr152
                                        ; implicit-def: $vgpr0
                                        ; implicit-def: $vgpr1
                                        ; implicit-def: $vgpr2
                                        ; implicit-def: $vgpr3
                                        ; implicit-def: $vgpr4
                                        ; implicit-def: $vgpr5
                                        ; implicit-def: $vgpr6
                                        ; implicit-def: $vgpr7
                                        ; implicit-def: $vgpr8
                                        ; implicit-def: $vgpr10
                                        ; implicit-def: $vgpr11
                                        ; implicit-def: $vgpr12
                                        ; implicit-def: $vgpr13
                                        ; implicit-def: $vgpr31
                                        ; implicit-def: $vgpr14
                                        ; implicit-def: $vgpr16
                                        ; implicit-def: $vgpr15
.LBB602_143:
	s_andn2_saveexec_b64 s[4:5], s[44:45]
	s_cbranch_execz .LBB602_372
; %bb.144:
	s_movk_i32 s4, 0x400
	v_cmp_lt_u32_e32 vcc, s4, v152
	s_and_saveexec_b64 s[4:5], vcc
	s_xor_b64 s[38:39], exec, s[4:5]
	s_cbranch_execz .LBB602_252
; %bb.145:
	s_load_dwordx2 s[4:5], s[8:9], 0x0
	v_mov_b32_e32 v9, 0
	s_waitcnt vmcnt(0)
	v_mbcnt_hi_u32_b32 v30, -1, v15
	v_lshlrev_b64 v[22:23], 2, v[8:9]
	v_and_b32_e32 v24, 0x3ff, v31
	s_waitcnt lgkmcnt(0)
	s_cmp_lt_u32 s12, s4
	s_cselect_b32 s6, 12, 18
	s_cmp_lt_u32 s13, s5
	s_cselect_b32 s4, 14, 20
	s_add_u32 s4, s8, s4
	s_addc_u32 s5, s9, 0
	s_add_u32 s6, s8, s6
	global_load_ushort v17, v9, s[4:5]
	s_addc_u32 s7, s9, 0
	global_load_ushort v18, v9, s[6:7]
	v_and_b32_e32 v31, 63, v30
	v_add_co_u32_e32 v0, vcc, v0, v22
	v_addc_co_u32_e32 v1, vcc, v1, v23, vcc
	v_lshlrev_b32_e32 v15, 2, v31
	v_add_co_u32_e32 v19, vcc, v0, v15
	v_addc_co_u32_e32 v20, vcc, 0, v1, vcc
	v_mov_b32_e32 v27, v9
	s_brev_b32 s16, -2
	s_mov_b32 s17, s16
	s_mov_b32 s18, s16
	;; [unrolled: 1-line block ×7, first 2 shown]
	s_waitcnt vmcnt(1)
	v_mad_u32_u24 v0, v16, v17, v14
	s_waitcnt vmcnt(0)
	v_mad_u64_u32 v[0:1], s[4:5], v0, v18, v[24:25]
	v_lshlrev_b32_e32 v1, 3, v0
	v_and_b32_e32 v26, 0xfffffe00, v1
	v_lshlrev_b64 v[14:15], 2, v[26:27]
	v_add_co_u32_e32 v28, vcc, v19, v14
	v_or_b32_e32 v1, v26, v31
	v_addc_co_u32_e32 v29, vcc, v20, v15, vcc
	v_pk_mov_b32 v[14:15], s[16:17], s[16:17] op_sel:[0,1]
	v_cmp_lt_u32_e32 vcc, v1, v152
	v_pk_mov_b32 v[16:17], s[18:19], s[18:19] op_sel:[0,1]
	v_pk_mov_b32 v[18:19], s[20:21], s[20:21] op_sel:[0,1]
	;; [unrolled: 1-line block ×3, first 2 shown]
	s_and_saveexec_b64 s[4:5], vcc
	s_cbranch_execz .LBB602_147
; %bb.146:
	flat_load_dword v14, v[28:29]
	v_bfrev_b32_e32 v15, -2
	v_mov_b32_e32 v16, v15
	v_mov_b32_e32 v17, v15
	;; [unrolled: 1-line block ×6, first 2 shown]
.LBB602_147:
	s_or_b64 exec, exec, s[4:5]
	v_or_b32_e32 v25, 64, v1
	v_cmp_lt_u32_e64 s[4:5], v25, v152
	s_and_saveexec_b64 s[6:7], s[4:5]
	s_cbranch_execz .LBB602_149
; %bb.148:
	flat_load_dword v15, v[28:29] offset:256
.LBB602_149:
	s_or_b64 exec, exec, s[6:7]
	v_or_b32_e32 v25, 0x80, v1
	v_cmp_lt_u32_e64 s[6:7], v25, v152
	s_and_saveexec_b64 s[10:11], s[6:7]
	s_cbranch_execz .LBB602_151
; %bb.150:
	flat_load_dword v16, v[28:29] offset:512
.LBB602_151:
	;; [unrolled: 8-line block ×7, first 2 shown]
	s_or_b64 exec, exec, s[22:23]
	v_lshlrev_b64 v[8:9], 3, v[8:9]
	v_add_co_u32_e64 v1, s[22:23], v4, v8
	v_addc_co_u32_e64 v4, s[22:23], v5, v9, s[22:23]
	v_lshlrev_b32_e32 v5, 3, v31
	v_add_co_u32_e64 v1, s[22:23], v1, v5
	v_addc_co_u32_e64 v25, s[22:23], 0, v4, s[22:23]
	v_lshlrev_b64 v[4:5], 3, v[26:27]
	v_add_co_u32_e64 v4, s[22:23], v1, v4
	v_addc_co_u32_e64 v5, s[22:23], v25, v5, s[22:23]
                                        ; implicit-def: $vgpr66_vgpr67
	s_and_saveexec_b64 s[22:23], vcc
	s_cbranch_execnz .LBB602_285
; %bb.162:
	s_or_b64 exec, exec, s[22:23]
                                        ; implicit-def: $vgpr68_vgpr69
	s_and_saveexec_b64 s[22:23], s[4:5]
	s_cbranch_execnz .LBB602_286
.LBB602_163:
	s_or_b64 exec, exec, s[22:23]
                                        ; implicit-def: $vgpr80_vgpr81
	s_and_saveexec_b64 s[4:5], s[6:7]
	s_cbranch_execnz .LBB602_287
.LBB602_164:
	s_or_b64 exec, exec, s[4:5]
                                        ; implicit-def: $vgpr114_vgpr115
	s_and_saveexec_b64 s[4:5], s[10:11]
	s_cbranch_execnz .LBB602_288
.LBB602_165:
	s_or_b64 exec, exec, s[4:5]
                                        ; implicit-def: $vgpr134_vgpr135
	s_and_saveexec_b64 s[4:5], s[20:21]
	s_cbranch_execnz .LBB602_289
.LBB602_166:
	s_or_b64 exec, exec, s[4:5]
                                        ; implicit-def: $vgpr144_vgpr145
	s_and_saveexec_b64 s[4:5], s[14:15]
	s_cbranch_execnz .LBB602_290
.LBB602_167:
	s_or_b64 exec, exec, s[4:5]
                                        ; implicit-def: $vgpr146_vgpr147
	s_and_saveexec_b64 s[4:5], s[16:17]
	s_cbranch_execnz .LBB602_291
.LBB602_168:
	s_or_b64 exec, exec, s[4:5]
                                        ; implicit-def: $vgpr148_vgpr149
	s_and_saveexec_b64 s[4:5], s[18:19]
	s_cbranch_execz .LBB602_170
.LBB602_169:
	flat_load_dwordx2 v[148:149], v[4:5] offset:3584
.LBB602_170:
	s_or_b64 exec, exec, s[4:5]
	v_add_co_u32_e32 v25, vcc, 16, v12
	v_addc_co_u32_e32 v150, vcc, 0, v13, vcc
	v_lshlrev_b32_e32 v4, 4, v24
	s_waitcnt vmcnt(0) lgkmcnt(0)
	v_xor_b32_e32 v183, 0x80000000, v20
	v_add_co_u32_e32 v20, vcc, v12, v4
	v_xor_b32_e32 v192, 0x80000000, v21
	s_getpc_b64 s[4:5]
	s_add_u32 s4, s4, _ZN7rocprim17ROCPRIM_400000_NS16block_radix_sortIiLj256ELj8ElLj1ELj1ELj8ELNS0_26block_radix_rank_algorithmE2ELNS0_18block_padding_hintE2ELNS0_4arch9wavefront6targetE1EE19radix_bits_per_passE@rel32@lo+4
	s_addc_u32 s5, s5, _ZN7rocprim17ROCPRIM_400000_NS16block_radix_sortIiLj256ELj8ElLj1ELj1ELj8ELNS0_26block_radix_rank_algorithmE2ELNS0_18block_padding_hintE2ELNS0_4arch9wavefront6targetE1EE19radix_bits_per_passE@rel32@hi+12
	v_addc_co_u32_e32 v21, vcc, 0, v13, vcc
	v_and_b32_e32 v4, 15, v30
	s_load_dword s46, s[4:5], 0x0
	v_cmp_eq_u32_e32 vcc, 0, v4
	v_cmp_lt_u32_e64 s[4:5], 1, v4
	v_cmp_lt_u32_e64 s[6:7], 3, v4
	;; [unrolled: 1-line block ×3, first 2 shown]
	v_and_b32_e32 v4, 16, v30
	v_cmp_eq_u32_e64 s[30:31], 0, v4
	v_and_b32_e32 v4, 0x3c0, v24
	v_min_u32_e32 v4, 0xc0, v4
	v_or_b32_e32 v4, 63, v4
	v_cmp_eq_u32_e64 s[16:17], v4, v24
	v_add_u32_e32 v4, -1, v30
	v_and_b32_e32 v5, 64, v30
	v_cmp_lt_i32_e64 s[22:23], v4, v5
	v_xor_b32_e32 v179, 0x80000000, v16
	v_lshrrev_b32_e32 v16, 6, v24
	v_cndmask_b32_e64 v4, v4, v30, s[22:23]
	v_lshlrev_b32_e32 v160, 2, v4
	v_lshlrev_b32_e32 v4, 2, v16
	v_add_co_u32_e64 v48, s[26:27], v12, v4
	v_lshlrev_b32_e32 v1, 2, v24
	v_addc_co_u32_e64 v49, s[26:27], 0, v13, s[26:27]
	v_add_co_u32_e64 v4, s[26:27], v12, v1
	v_xor_b32_e32 v178, 0x80000000, v14
	v_xor_b32_e32 v180, 0x80000000, v17
	v_mov_b32_e32 v14, 0
	v_addc_co_u32_e64 v5, s[26:27], 0, v13, s[26:27]
	v_and_b32_e32 v17, 3, v30
	v_cmp_eq_u32_e64 s[26:27], 0, v17
	v_cmp_lt_u32_e64 s[28:29], 1, v17
	v_add_u32_e32 v16, -1, v16
	v_mov_b32_e32 v17, v14
	v_lshlrev_b64 v[16:17], 2, v[16:17]
	v_add_co_u32_e64 v52, s[34:35], v12, v16
	v_addc_co_u32_e64 v53, s[34:35], v13, v17, s[34:35]
	v_lshlrev_b32_e32 v16, 3, v24
	s_movk_i32 s34, 0x1e00
	v_and_or_b32 v16, v16, s34, v31
	v_lshlrev_b32_e32 v16, 2, v16
	v_add_co_u32_e64 v54, s[34:35], v12, v16
	v_addc_co_u32_e64 v55, s[34:35], 0, v13, s[34:35]
	v_add_co_u32_e64 v64, s[34:35], v54, v16
	v_xor_b32_e32 v15, 0x80000000, v15
	v_xor_b32_e32 v181, 0x80000000, v18
	;; [unrolled: 1-line block ×3, first 2 shown]
	v_lshrrev_b32_e32 v151, 6, v0
	v_cmp_lt_u32_e64 s[14:15], 31, v30
	v_cmp_gt_u32_e64 s[18:19], 4, v24
	v_cmp_lt_u32_e64 s[20:21], 63, v24
	v_cmp_eq_u32_e64 s[22:23], 0, v30
	v_cmp_eq_u32_e64 s[24:25], 0, v24
	v_addc_co_u32_e64 v65, s[34:35], 0, v55, s[34:35]
	v_sub_u32_e32 v161, v11, v10
	s_mov_b64 s[40:41], 0
	s_waitcnt lgkmcnt(0)
	s_barrier
	s_branch .LBB602_172
.LBB602_171:                            ;   in Loop: Header=BB602_172 Depth=1
	s_or_b64 exec, exec, s[36:37]
	s_and_b64 s[34:35], exec, s[44:45]
	s_or_b64 s[40:41], s[34:35], s[40:41]
	s_andn2_b64 exec, exec, s[40:41]
	s_cbranch_execz .LBB602_226
.LBB602_172:                            ; =>This Inner Loop Header: Depth=1
	s_waitcnt vmcnt(0)
	v_mov_b32_e32 v176, v15
	v_min_u32_e32 v18, s46, v161
	v_mov_b32_e32 v15, v14
	v_mov_b32_e32 v16, v14
	;; [unrolled: 1-line block ×4, first 2 shown]
	flat_store_dwordx4 v[20:21], v[14:17] offset:16
	v_pk_mov_b32 v[50:51], v[66:67], v[66:67] op_sel:[0,1]
	v_lshlrev_b32_e64 v15, v18, -1
	v_not_b32_e32 v18, v15
	v_lshrrev_b32_e32 v15, v10, v177
	v_and_b32_e32 v19, v15, v18
	v_lshl_add_u32 v16, v19, 2, v151
	v_lshlrev_b64 v[16:17], 2, v[16:17]
	v_add_co_u32_e64 v66, s[34:35], v25, v16
	v_addc_co_u32_e64 v67, s[34:35], v150, v17, s[34:35]
	v_and_b32_e32 v15, 1, v19
	v_add_co_u32_e64 v16, s[34:35], -1, v15
	v_addc_co_u32_e64 v17, s[34:35], 0, -1, s[34:35]
	v_cmp_ne_u32_e64 s[34:35], 0, v15
	v_xor_b32_e32 v15, s35, v17
	v_and_b32_e32 v17, exec_hi, v15
	v_lshlrev_b32_e32 v15, 30, v19
	v_xor_b32_e32 v16, s34, v16
	v_cmp_gt_i64_e64 s[34:35], 0, v[14:15]
	v_not_b32_e32 v15, v15
	v_ashrrev_i32_e32 v15, 31, v15
	v_pk_mov_b32 v[38:39], v[68:69], v[68:69] op_sel:[0,1]
	v_and_b32_e32 v16, exec_lo, v16
	v_xor_b32_e32 v68, s35, v15
	v_xor_b32_e32 v15, s34, v15
	v_and_b32_e32 v16, v16, v15
	v_lshlrev_b32_e32 v15, 29, v19
	v_cmp_gt_i64_e64 s[34:35], 0, v[14:15]
	v_not_b32_e32 v15, v15
	v_ashrrev_i32_e32 v15, 31, v15
	v_and_b32_e32 v17, v17, v68
	v_xor_b32_e32 v68, s35, v15
	v_xor_b32_e32 v15, s34, v15
	v_and_b32_e32 v16, v16, v15
	v_lshlrev_b32_e32 v15, 28, v19
	v_cmp_gt_i64_e64 s[34:35], 0, v[14:15]
	v_not_b32_e32 v15, v15
	v_ashrrev_i32_e32 v15, 31, v15
	v_and_b32_e32 v17, v17, v68
	;; [unrolled: 8-line block ×5, first 2 shown]
	v_xor_b32_e32 v68, s35, v15
	v_xor_b32_e32 v15, s34, v15
	v_and_b32_e32 v16, v16, v15
	v_lshlrev_b32_e32 v15, 24, v19
	v_cmp_gt_i64_e64 s[34:35], 0, v[14:15]
	v_not_b32_e32 v15, v15
	v_ashrrev_i32_e32 v15, 31, v15
	v_xor_b32_e32 v19, s35, v15
	v_xor_b32_e32 v15, s34, v15
	v_and_b32_e32 v17, v17, v68
	v_and_b32_e32 v16, v16, v15
	;; [unrolled: 1-line block ×3, first 2 shown]
	v_mbcnt_lo_u32_b32 v15, v16, 0
	v_mbcnt_hi_u32_b32 v98, v17, v15
	v_cmp_eq_u32_e64 s[34:35], 0, v98
	v_cmp_ne_u64_e64 s[36:37], 0, v[16:17]
	v_mov_b32_e32 v162, v192
	v_mov_b32_e32 v163, v183
	;; [unrolled: 1-line block ×6, first 2 shown]
	v_pk_mov_b32 v[36:37], v[80:81], v[80:81] op_sel:[0,1]
	v_pk_mov_b32 v[34:35], v[114:115], v[114:115] op_sel:[0,1]
	;; [unrolled: 1-line block ×6, first 2 shown]
	s_and_b64 s[36:37], s[36:37], s[34:35]
	s_waitcnt lgkmcnt(0)
	s_barrier
	s_waitcnt lgkmcnt(0)
	; wave barrier
	s_and_saveexec_b64 s[34:35], s[36:37]
	s_cbranch_execz .LBB602_174
; %bb.173:                              ;   in Loop: Header=BB602_172 Depth=1
	v_bcnt_u32_b32 v15, v16, 0
	v_bcnt_u32_b32 v15, v17, v15
	flat_store_dword v[66:67], v15
.LBB602_174:                            ;   in Loop: Header=BB602_172 Depth=1
	s_or_b64 exec, exec, s[34:35]
	v_lshrrev_b32_e32 v15, v10, v176
	v_and_b32_e32 v19, v15, v18
	v_lshl_add_u32 v16, v19, 2, v151
	v_mov_b32_e32 v17, v14
	v_lshlrev_b64 v[16:17], 2, v[16:17]
	v_add_co_u32_e64 v68, s[34:35], v25, v16
	v_addc_co_u32_e64 v69, s[34:35], v150, v17, s[34:35]
	; wave barrier
	flat_load_dword v99, v[68:69]
	v_and_b32_e32 v15, 1, v19
	v_add_co_u32_e64 v16, s[34:35], -1, v15
	v_addc_co_u32_e64 v17, s[34:35], 0, -1, s[34:35]
	v_cmp_ne_u32_e64 s[34:35], 0, v15
	v_xor_b32_e32 v15, s35, v17
	v_and_b32_e32 v17, exec_hi, v15
	v_lshlrev_b32_e32 v15, 30, v19
	v_xor_b32_e32 v16, s34, v16
	v_cmp_gt_i64_e64 s[34:35], 0, v[14:15]
	v_not_b32_e32 v15, v15
	v_ashrrev_i32_e32 v15, 31, v15
	v_and_b32_e32 v16, exec_lo, v16
	v_xor_b32_e32 v70, s35, v15
	v_xor_b32_e32 v15, s34, v15
	v_and_b32_e32 v16, v16, v15
	v_lshlrev_b32_e32 v15, 29, v19
	v_cmp_gt_i64_e64 s[34:35], 0, v[14:15]
	v_not_b32_e32 v15, v15
	v_ashrrev_i32_e32 v15, 31, v15
	v_and_b32_e32 v17, v17, v70
	v_xor_b32_e32 v70, s35, v15
	v_xor_b32_e32 v15, s34, v15
	v_and_b32_e32 v16, v16, v15
	v_lshlrev_b32_e32 v15, 28, v19
	v_cmp_gt_i64_e64 s[34:35], 0, v[14:15]
	v_not_b32_e32 v15, v15
	v_ashrrev_i32_e32 v15, 31, v15
	v_and_b32_e32 v17, v17, v70
	;; [unrolled: 8-line block ×5, first 2 shown]
	v_xor_b32_e32 v70, s35, v15
	v_xor_b32_e32 v15, s34, v15
	v_and_b32_e32 v16, v16, v15
	v_lshlrev_b32_e32 v15, 24, v19
	v_cmp_gt_i64_e64 s[34:35], 0, v[14:15]
	v_not_b32_e32 v15, v15
	v_ashrrev_i32_e32 v15, 31, v15
	v_xor_b32_e32 v19, s35, v15
	v_xor_b32_e32 v15, s34, v15
	v_and_b32_e32 v17, v17, v70
	v_and_b32_e32 v16, v16, v15
	;; [unrolled: 1-line block ×3, first 2 shown]
	v_mbcnt_lo_u32_b32 v15, v16, 0
	v_mbcnt_hi_u32_b32 v100, v17, v15
	v_cmp_eq_u32_e64 s[34:35], 0, v100
	v_cmp_ne_u64_e64 s[36:37], 0, v[16:17]
	s_and_b64 s[36:37], s[36:37], s[34:35]
	; wave barrier
	s_and_saveexec_b64 s[34:35], s[36:37]
	s_cbranch_execz .LBB602_176
; %bb.175:                              ;   in Loop: Header=BB602_172 Depth=1
	v_bcnt_u32_b32 v15, v16, 0
	v_bcnt_u32_b32 v15, v17, v15
	s_waitcnt vmcnt(0) lgkmcnt(0)
	v_add_u32_e32 v15, v99, v15
	flat_store_dword v[68:69], v15
.LBB602_176:                            ;   in Loop: Header=BB602_172 Depth=1
	s_or_b64 exec, exec, s[34:35]
	v_lshrrev_b32_e32 v15, v10, v167
	v_and_b32_e32 v19, v15, v18
	v_lshl_add_u32 v16, v19, 2, v151
	v_mov_b32_e32 v17, v14
	v_lshlrev_b64 v[16:17], 2, v[16:17]
	v_add_co_u32_e64 v70, s[34:35], v25, v16
	v_addc_co_u32_e64 v71, s[34:35], v150, v17, s[34:35]
	; wave barrier
	flat_load_dword v101, v[70:71]
	v_and_b32_e32 v15, 1, v19
	v_add_co_u32_e64 v16, s[34:35], -1, v15
	v_addc_co_u32_e64 v17, s[34:35], 0, -1, s[34:35]
	v_cmp_ne_u32_e64 s[34:35], 0, v15
	v_xor_b32_e32 v15, s35, v17
	v_and_b32_e32 v17, exec_hi, v15
	v_lshlrev_b32_e32 v15, 30, v19
	v_xor_b32_e32 v16, s34, v16
	v_cmp_gt_i64_e64 s[34:35], 0, v[14:15]
	v_not_b32_e32 v15, v15
	v_ashrrev_i32_e32 v15, 31, v15
	v_and_b32_e32 v16, exec_lo, v16
	v_xor_b32_e32 v80, s35, v15
	v_xor_b32_e32 v15, s34, v15
	v_and_b32_e32 v16, v16, v15
	v_lshlrev_b32_e32 v15, 29, v19
	v_cmp_gt_i64_e64 s[34:35], 0, v[14:15]
	v_not_b32_e32 v15, v15
	v_ashrrev_i32_e32 v15, 31, v15
	v_and_b32_e32 v17, v17, v80
	v_xor_b32_e32 v80, s35, v15
	v_xor_b32_e32 v15, s34, v15
	v_and_b32_e32 v16, v16, v15
	v_lshlrev_b32_e32 v15, 28, v19
	v_cmp_gt_i64_e64 s[34:35], 0, v[14:15]
	v_not_b32_e32 v15, v15
	v_ashrrev_i32_e32 v15, 31, v15
	v_and_b32_e32 v17, v17, v80
	;; [unrolled: 8-line block ×5, first 2 shown]
	v_xor_b32_e32 v80, s35, v15
	v_xor_b32_e32 v15, s34, v15
	v_and_b32_e32 v16, v16, v15
	v_lshlrev_b32_e32 v15, 24, v19
	v_cmp_gt_i64_e64 s[34:35], 0, v[14:15]
	v_not_b32_e32 v15, v15
	v_ashrrev_i32_e32 v15, 31, v15
	v_xor_b32_e32 v19, s35, v15
	v_xor_b32_e32 v15, s34, v15
	v_and_b32_e32 v17, v17, v80
	v_and_b32_e32 v16, v16, v15
	;; [unrolled: 1-line block ×3, first 2 shown]
	v_mbcnt_lo_u32_b32 v15, v16, 0
	v_mbcnt_hi_u32_b32 v102, v17, v15
	v_cmp_eq_u32_e64 s[34:35], 0, v102
	v_cmp_ne_u64_e64 s[36:37], 0, v[16:17]
	s_and_b64 s[36:37], s[36:37], s[34:35]
	; wave barrier
	s_and_saveexec_b64 s[34:35], s[36:37]
	s_cbranch_execz .LBB602_178
; %bb.177:                              ;   in Loop: Header=BB602_172 Depth=1
	v_bcnt_u32_b32 v15, v16, 0
	v_bcnt_u32_b32 v15, v17, v15
	s_waitcnt vmcnt(0) lgkmcnt(0)
	v_add_u32_e32 v15, v101, v15
	flat_store_dword v[70:71], v15
.LBB602_178:                            ;   in Loop: Header=BB602_172 Depth=1
	s_or_b64 exec, exec, s[34:35]
	v_lshrrev_b32_e32 v15, v10, v166
	v_and_b32_e32 v19, v15, v18
	v_lshl_add_u32 v16, v19, 2, v151
	v_mov_b32_e32 v17, v14
	v_lshlrev_b64 v[16:17], 2, v[16:17]
	v_add_co_u32_e64 v80, s[34:35], v25, v16
	v_addc_co_u32_e64 v81, s[34:35], v150, v17, s[34:35]
	; wave barrier
	flat_load_dword v103, v[80:81]
	v_and_b32_e32 v15, 1, v19
	v_add_co_u32_e64 v16, s[34:35], -1, v15
	v_addc_co_u32_e64 v17, s[34:35], 0, -1, s[34:35]
	v_cmp_ne_u32_e64 s[34:35], 0, v15
	v_xor_b32_e32 v15, s35, v17
	v_and_b32_e32 v17, exec_hi, v15
	v_lshlrev_b32_e32 v15, 30, v19
	v_xor_b32_e32 v16, s34, v16
	v_cmp_gt_i64_e64 s[34:35], 0, v[14:15]
	v_not_b32_e32 v15, v15
	v_ashrrev_i32_e32 v15, 31, v15
	v_and_b32_e32 v16, exec_lo, v16
	v_xor_b32_e32 v82, s35, v15
	v_xor_b32_e32 v15, s34, v15
	v_and_b32_e32 v16, v16, v15
	v_lshlrev_b32_e32 v15, 29, v19
	v_cmp_gt_i64_e64 s[34:35], 0, v[14:15]
	v_not_b32_e32 v15, v15
	v_ashrrev_i32_e32 v15, 31, v15
	v_and_b32_e32 v17, v17, v82
	v_xor_b32_e32 v82, s35, v15
	v_xor_b32_e32 v15, s34, v15
	v_and_b32_e32 v16, v16, v15
	v_lshlrev_b32_e32 v15, 28, v19
	v_cmp_gt_i64_e64 s[34:35], 0, v[14:15]
	v_not_b32_e32 v15, v15
	v_ashrrev_i32_e32 v15, 31, v15
	v_and_b32_e32 v17, v17, v82
	;; [unrolled: 8-line block ×5, first 2 shown]
	v_xor_b32_e32 v82, s35, v15
	v_xor_b32_e32 v15, s34, v15
	v_and_b32_e32 v16, v16, v15
	v_lshlrev_b32_e32 v15, 24, v19
	v_cmp_gt_i64_e64 s[34:35], 0, v[14:15]
	v_not_b32_e32 v15, v15
	v_ashrrev_i32_e32 v15, 31, v15
	v_xor_b32_e32 v19, s35, v15
	v_xor_b32_e32 v15, s34, v15
	v_and_b32_e32 v17, v17, v82
	v_and_b32_e32 v16, v16, v15
	;; [unrolled: 1-line block ×3, first 2 shown]
	v_mbcnt_lo_u32_b32 v15, v16, 0
	v_mbcnt_hi_u32_b32 v112, v17, v15
	v_cmp_eq_u32_e64 s[34:35], 0, v112
	v_cmp_ne_u64_e64 s[36:37], 0, v[16:17]
	s_and_b64 s[36:37], s[36:37], s[34:35]
	; wave barrier
	s_and_saveexec_b64 s[34:35], s[36:37]
	s_cbranch_execz .LBB602_180
; %bb.179:                              ;   in Loop: Header=BB602_172 Depth=1
	v_bcnt_u32_b32 v15, v16, 0
	v_bcnt_u32_b32 v15, v17, v15
	s_waitcnt vmcnt(0) lgkmcnt(0)
	v_add_u32_e32 v15, v103, v15
	flat_store_dword v[80:81], v15
.LBB602_180:                            ;   in Loop: Header=BB602_172 Depth=1
	s_or_b64 exec, exec, s[34:35]
	v_lshrrev_b32_e32 v15, v10, v165
	v_and_b32_e32 v19, v15, v18
	v_lshl_add_u32 v16, v19, 2, v151
	v_mov_b32_e32 v17, v14
	v_lshlrev_b64 v[16:17], 2, v[16:17]
	v_add_co_u32_e64 v82, s[34:35], v25, v16
	v_addc_co_u32_e64 v83, s[34:35], v150, v17, s[34:35]
	; wave barrier
	flat_load_dword v113, v[82:83]
	v_and_b32_e32 v15, 1, v19
	v_add_co_u32_e64 v16, s[34:35], -1, v15
	v_addc_co_u32_e64 v17, s[34:35], 0, -1, s[34:35]
	v_cmp_ne_u32_e64 s[34:35], 0, v15
	v_xor_b32_e32 v15, s35, v17
	v_and_b32_e32 v17, exec_hi, v15
	v_lshlrev_b32_e32 v15, 30, v19
	v_xor_b32_e32 v16, s34, v16
	v_cmp_gt_i64_e64 s[34:35], 0, v[14:15]
	v_not_b32_e32 v15, v15
	v_ashrrev_i32_e32 v15, 31, v15
	v_and_b32_e32 v16, exec_lo, v16
	v_xor_b32_e32 v84, s35, v15
	v_xor_b32_e32 v15, s34, v15
	v_and_b32_e32 v16, v16, v15
	v_lshlrev_b32_e32 v15, 29, v19
	v_cmp_gt_i64_e64 s[34:35], 0, v[14:15]
	v_not_b32_e32 v15, v15
	v_ashrrev_i32_e32 v15, 31, v15
	v_and_b32_e32 v17, v17, v84
	v_xor_b32_e32 v84, s35, v15
	v_xor_b32_e32 v15, s34, v15
	v_and_b32_e32 v16, v16, v15
	v_lshlrev_b32_e32 v15, 28, v19
	v_cmp_gt_i64_e64 s[34:35], 0, v[14:15]
	v_not_b32_e32 v15, v15
	v_ashrrev_i32_e32 v15, 31, v15
	v_and_b32_e32 v17, v17, v84
	;; [unrolled: 8-line block ×5, first 2 shown]
	v_xor_b32_e32 v84, s35, v15
	v_xor_b32_e32 v15, s34, v15
	v_and_b32_e32 v16, v16, v15
	v_lshlrev_b32_e32 v15, 24, v19
	v_cmp_gt_i64_e64 s[34:35], 0, v[14:15]
	v_not_b32_e32 v15, v15
	v_ashrrev_i32_e32 v15, 31, v15
	v_xor_b32_e32 v19, s35, v15
	v_xor_b32_e32 v15, s34, v15
	v_and_b32_e32 v17, v17, v84
	v_and_b32_e32 v16, v16, v15
	v_and_b32_e32 v17, v17, v19
	v_mbcnt_lo_u32_b32 v15, v16, 0
	v_mbcnt_hi_u32_b32 v114, v17, v15
	v_cmp_eq_u32_e64 s[34:35], 0, v114
	v_cmp_ne_u64_e64 s[36:37], 0, v[16:17]
	s_and_b64 s[36:37], s[36:37], s[34:35]
	; wave barrier
	s_and_saveexec_b64 s[34:35], s[36:37]
	s_cbranch_execz .LBB602_182
; %bb.181:                              ;   in Loop: Header=BB602_172 Depth=1
	v_bcnt_u32_b32 v15, v16, 0
	v_bcnt_u32_b32 v15, v17, v15
	s_waitcnt vmcnt(0) lgkmcnt(0)
	v_add_u32_e32 v15, v113, v15
	flat_store_dword v[82:83], v15
.LBB602_182:                            ;   in Loop: Header=BB602_172 Depth=1
	s_or_b64 exec, exec, s[34:35]
	v_lshrrev_b32_e32 v15, v10, v164
	v_and_b32_e32 v19, v15, v18
	v_lshl_add_u32 v16, v19, 2, v151
	v_mov_b32_e32 v17, v14
	v_lshlrev_b64 v[16:17], 2, v[16:17]
	v_add_co_u32_e64 v84, s[34:35], v25, v16
	v_addc_co_u32_e64 v85, s[34:35], v150, v17, s[34:35]
	; wave barrier
	flat_load_dword v115, v[84:85]
	v_and_b32_e32 v15, 1, v19
	v_add_co_u32_e64 v16, s[34:35], -1, v15
	v_addc_co_u32_e64 v17, s[34:35], 0, -1, s[34:35]
	v_cmp_ne_u32_e64 s[34:35], 0, v15
	v_xor_b32_e32 v15, s35, v17
	v_and_b32_e32 v17, exec_hi, v15
	v_lshlrev_b32_e32 v15, 30, v19
	v_xor_b32_e32 v16, s34, v16
	v_cmp_gt_i64_e64 s[34:35], 0, v[14:15]
	v_not_b32_e32 v15, v15
	v_ashrrev_i32_e32 v15, 31, v15
	v_and_b32_e32 v16, exec_lo, v16
	v_xor_b32_e32 v86, s35, v15
	v_xor_b32_e32 v15, s34, v15
	v_and_b32_e32 v16, v16, v15
	v_lshlrev_b32_e32 v15, 29, v19
	v_cmp_gt_i64_e64 s[34:35], 0, v[14:15]
	v_not_b32_e32 v15, v15
	v_ashrrev_i32_e32 v15, 31, v15
	v_and_b32_e32 v17, v17, v86
	v_xor_b32_e32 v86, s35, v15
	v_xor_b32_e32 v15, s34, v15
	v_and_b32_e32 v16, v16, v15
	v_lshlrev_b32_e32 v15, 28, v19
	v_cmp_gt_i64_e64 s[34:35], 0, v[14:15]
	v_not_b32_e32 v15, v15
	v_ashrrev_i32_e32 v15, 31, v15
	v_and_b32_e32 v17, v17, v86
	;; [unrolled: 8-line block ×5, first 2 shown]
	v_xor_b32_e32 v86, s35, v15
	v_xor_b32_e32 v15, s34, v15
	v_and_b32_e32 v16, v16, v15
	v_lshlrev_b32_e32 v15, 24, v19
	v_cmp_gt_i64_e64 s[34:35], 0, v[14:15]
	v_not_b32_e32 v15, v15
	v_ashrrev_i32_e32 v15, 31, v15
	v_xor_b32_e32 v19, s35, v15
	v_xor_b32_e32 v15, s34, v15
	v_and_b32_e32 v17, v17, v86
	v_and_b32_e32 v16, v16, v15
	;; [unrolled: 1-line block ×3, first 2 shown]
	v_mbcnt_lo_u32_b32 v15, v16, 0
	v_mbcnt_hi_u32_b32 v116, v17, v15
	v_cmp_eq_u32_e64 s[34:35], 0, v116
	v_cmp_ne_u64_e64 s[36:37], 0, v[16:17]
	s_and_b64 s[36:37], s[36:37], s[34:35]
	; wave barrier
	s_and_saveexec_b64 s[34:35], s[36:37]
	s_cbranch_execz .LBB602_184
; %bb.183:                              ;   in Loop: Header=BB602_172 Depth=1
	v_bcnt_u32_b32 v15, v16, 0
	v_bcnt_u32_b32 v15, v17, v15
	s_waitcnt vmcnt(0) lgkmcnt(0)
	v_add_u32_e32 v15, v115, v15
	flat_store_dword v[84:85], v15
.LBB602_184:                            ;   in Loop: Header=BB602_172 Depth=1
	s_or_b64 exec, exec, s[34:35]
	v_lshrrev_b32_e32 v15, v10, v163
	v_and_b32_e32 v19, v15, v18
	v_lshl_add_u32 v16, v19, 2, v151
	v_mov_b32_e32 v17, v14
	v_lshlrev_b64 v[16:17], 2, v[16:17]
	v_add_co_u32_e64 v86, s[34:35], v25, v16
	v_addc_co_u32_e64 v87, s[34:35], v150, v17, s[34:35]
	; wave barrier
	flat_load_dword v117, v[86:87]
	v_and_b32_e32 v15, 1, v19
	v_add_co_u32_e64 v16, s[34:35], -1, v15
	v_addc_co_u32_e64 v17, s[34:35], 0, -1, s[34:35]
	v_cmp_ne_u32_e64 s[34:35], 0, v15
	v_xor_b32_e32 v15, s35, v17
	v_and_b32_e32 v17, exec_hi, v15
	v_lshlrev_b32_e32 v15, 30, v19
	v_xor_b32_e32 v16, s34, v16
	v_cmp_gt_i64_e64 s[34:35], 0, v[14:15]
	v_not_b32_e32 v15, v15
	v_ashrrev_i32_e32 v15, 31, v15
	v_and_b32_e32 v16, exec_lo, v16
	v_xor_b32_e32 v96, s35, v15
	v_xor_b32_e32 v15, s34, v15
	v_and_b32_e32 v16, v16, v15
	v_lshlrev_b32_e32 v15, 29, v19
	v_cmp_gt_i64_e64 s[34:35], 0, v[14:15]
	v_not_b32_e32 v15, v15
	v_ashrrev_i32_e32 v15, 31, v15
	v_and_b32_e32 v17, v17, v96
	v_xor_b32_e32 v96, s35, v15
	v_xor_b32_e32 v15, s34, v15
	v_and_b32_e32 v16, v16, v15
	v_lshlrev_b32_e32 v15, 28, v19
	v_cmp_gt_i64_e64 s[34:35], 0, v[14:15]
	v_not_b32_e32 v15, v15
	v_ashrrev_i32_e32 v15, 31, v15
	v_and_b32_e32 v17, v17, v96
	;; [unrolled: 8-line block ×5, first 2 shown]
	v_xor_b32_e32 v96, s35, v15
	v_xor_b32_e32 v15, s34, v15
	v_and_b32_e32 v16, v16, v15
	v_lshlrev_b32_e32 v15, 24, v19
	v_cmp_gt_i64_e64 s[34:35], 0, v[14:15]
	v_not_b32_e32 v15, v15
	v_ashrrev_i32_e32 v15, 31, v15
	v_xor_b32_e32 v19, s35, v15
	v_xor_b32_e32 v15, s34, v15
	v_and_b32_e32 v17, v17, v96
	v_and_b32_e32 v16, v16, v15
	;; [unrolled: 1-line block ×3, first 2 shown]
	v_mbcnt_lo_u32_b32 v15, v16, 0
	v_mbcnt_hi_u32_b32 v118, v17, v15
	v_cmp_eq_u32_e64 s[34:35], 0, v118
	v_cmp_ne_u64_e64 s[36:37], 0, v[16:17]
	s_and_b64 s[36:37], s[36:37], s[34:35]
	; wave barrier
	s_and_saveexec_b64 s[34:35], s[36:37]
	s_cbranch_execz .LBB602_186
; %bb.185:                              ;   in Loop: Header=BB602_172 Depth=1
	v_bcnt_u32_b32 v15, v16, 0
	v_bcnt_u32_b32 v15, v17, v15
	s_waitcnt vmcnt(0) lgkmcnt(0)
	v_add_u32_e32 v15, v117, v15
	flat_store_dword v[86:87], v15
.LBB602_186:                            ;   in Loop: Header=BB602_172 Depth=1
	s_or_b64 exec, exec, s[34:35]
	v_lshrrev_b32_e32 v15, v10, v162
	v_and_b32_e32 v18, v15, v18
	v_lshl_add_u32 v16, v18, 2, v151
	v_mov_b32_e32 v17, v14
	v_lshlrev_b64 v[16:17], 2, v[16:17]
	v_add_co_u32_e64 v96, s[34:35], v25, v16
	v_addc_co_u32_e64 v97, s[34:35], v150, v17, s[34:35]
	; wave barrier
	flat_load_dword v119, v[96:97]
	v_and_b32_e32 v15, 1, v18
	v_add_co_u32_e64 v16, s[34:35], -1, v15
	v_addc_co_u32_e64 v17, s[34:35], 0, -1, s[34:35]
	v_cmp_ne_u32_e64 s[34:35], 0, v15
	v_xor_b32_e32 v15, s35, v17
	v_and_b32_e32 v17, exec_hi, v15
	v_lshlrev_b32_e32 v15, 30, v18
	v_xor_b32_e32 v16, s34, v16
	v_cmp_gt_i64_e64 s[34:35], 0, v[14:15]
	v_not_b32_e32 v15, v15
	v_ashrrev_i32_e32 v15, 31, v15
	v_and_b32_e32 v16, exec_lo, v16
	v_xor_b32_e32 v19, s35, v15
	v_xor_b32_e32 v15, s34, v15
	v_and_b32_e32 v16, v16, v15
	v_lshlrev_b32_e32 v15, 29, v18
	v_cmp_gt_i64_e64 s[34:35], 0, v[14:15]
	v_not_b32_e32 v15, v15
	v_ashrrev_i32_e32 v15, 31, v15
	v_and_b32_e32 v17, v17, v19
	v_xor_b32_e32 v19, s35, v15
	v_xor_b32_e32 v15, s34, v15
	v_and_b32_e32 v16, v16, v15
	v_lshlrev_b32_e32 v15, 28, v18
	v_cmp_gt_i64_e64 s[34:35], 0, v[14:15]
	v_not_b32_e32 v15, v15
	v_ashrrev_i32_e32 v15, 31, v15
	v_and_b32_e32 v17, v17, v19
	;; [unrolled: 8-line block ×5, first 2 shown]
	v_xor_b32_e32 v19, s35, v15
	v_xor_b32_e32 v15, s34, v15
	v_and_b32_e32 v16, v16, v15
	v_lshlrev_b32_e32 v15, 24, v18
	v_cmp_gt_i64_e64 s[34:35], 0, v[14:15]
	v_not_b32_e32 v15, v15
	v_ashrrev_i32_e32 v15, 31, v15
	v_xor_b32_e32 v18, s35, v15
	v_xor_b32_e32 v15, s34, v15
	v_and_b32_e32 v17, v17, v19
	v_and_b32_e32 v16, v16, v15
	;; [unrolled: 1-line block ×3, first 2 shown]
	v_mbcnt_lo_u32_b32 v15, v16, 0
	v_mbcnt_hi_u32_b32 v15, v17, v15
	v_cmp_eq_u32_e64 s[34:35], 0, v15
	v_cmp_ne_u64_e64 s[36:37], 0, v[16:17]
	s_and_b64 s[36:37], s[36:37], s[34:35]
	; wave barrier
	s_and_saveexec_b64 s[34:35], s[36:37]
	s_cbranch_execz .LBB602_188
; %bb.187:                              ;   in Loop: Header=BB602_172 Depth=1
	v_bcnt_u32_b32 v16, v16, 0
	v_bcnt_u32_b32 v16, v17, v16
	s_waitcnt vmcnt(0) lgkmcnt(0)
	v_add_u32_e32 v16, v119, v16
	flat_store_dword v[96:97], v16
.LBB602_188:                            ;   in Loop: Header=BB602_172 Depth=1
	s_or_b64 exec, exec, s[34:35]
	; wave barrier
	s_waitcnt lgkmcnt(0)
	s_barrier
	flat_load_dwordx4 v[16:19], v[20:21] offset:16
	s_waitcnt vmcnt(0) lgkmcnt(0)
	v_add_u32_e32 v128, v17, v16
	v_add3_u32 v19, v128, v18, v19
	s_nop 1
	v_mov_b32_dpp v128, v19 row_shr:1 row_mask:0xf bank_mask:0xf
	v_cndmask_b32_e64 v128, v128, 0, vcc
	v_add_u32_e32 v19, v128, v19
	s_nop 1
	v_mov_b32_dpp v128, v19 row_shr:2 row_mask:0xf bank_mask:0xf
	v_cndmask_b32_e64 v128, 0, v128, s[4:5]
	v_add_u32_e32 v19, v19, v128
	s_nop 1
	v_mov_b32_dpp v128, v19 row_shr:4 row_mask:0xf bank_mask:0xf
	v_cndmask_b32_e64 v128, 0, v128, s[6:7]
	;; [unrolled: 4-line block ×3, first 2 shown]
	v_add_u32_e32 v19, v19, v128
	s_nop 1
	v_mov_b32_dpp v128, v19 row_bcast:15 row_mask:0xf bank_mask:0xf
	v_cndmask_b32_e64 v128, v128, 0, s[30:31]
	v_add_u32_e32 v19, v19, v128
	s_nop 1
	v_mov_b32_dpp v128, v19 row_bcast:31 row_mask:0xf bank_mask:0xf
	v_cndmask_b32_e64 v128, 0, v128, s[14:15]
	v_add_u32_e32 v19, v19, v128
	s_and_saveexec_b64 s[34:35], s[16:17]
	s_cbranch_execz .LBB602_190
; %bb.189:                              ;   in Loop: Header=BB602_172 Depth=1
	flat_store_dword v[48:49], v19
.LBB602_190:                            ;   in Loop: Header=BB602_172 Depth=1
	s_or_b64 exec, exec, s[34:35]
	s_waitcnt lgkmcnt(0)
	s_barrier
	s_and_saveexec_b64 s[34:35], s[18:19]
	s_cbranch_execz .LBB602_192
; %bb.191:                              ;   in Loop: Header=BB602_172 Depth=1
	flat_load_dword v128, v[4:5]
	s_waitcnt vmcnt(0) lgkmcnt(0)
	s_nop 0
	v_mov_b32_dpp v129, v128 row_shr:1 row_mask:0xf bank_mask:0xf
	v_cndmask_b32_e64 v129, v129, 0, s[26:27]
	v_add_u32_e32 v128, v129, v128
	s_nop 1
	v_mov_b32_dpp v129, v128 row_shr:2 row_mask:0xf bank_mask:0xf
	v_cndmask_b32_e64 v129, 0, v129, s[28:29]
	v_add_u32_e32 v128, v128, v129
	flat_store_dword v[4:5], v128
.LBB602_192:                            ;   in Loop: Header=BB602_172 Depth=1
	s_or_b64 exec, exec, s[34:35]
	v_mov_b32_e32 v128, 0
	s_waitcnt lgkmcnt(0)
	s_barrier
	s_and_saveexec_b64 s[34:35], s[20:21]
	s_cbranch_execz .LBB602_194
; %bb.193:                              ;   in Loop: Header=BB602_172 Depth=1
	flat_load_dword v128, v[52:53]
.LBB602_194:                            ;   in Loop: Header=BB602_172 Depth=1
	s_or_b64 exec, exec, s[34:35]
	s_waitcnt vmcnt(0) lgkmcnt(0)
	v_add_u32_e32 v19, v128, v19
	ds_bpermute_b32 v19, v160, v19
	v_add_u32_e32 v10, 8, v10
	v_cmp_lt_u32_e64 s[34:35], v10, v11
	s_mov_b64 s[44:45], -1
                                        ; implicit-def: $vgpr192
                                        ; implicit-def: $vgpr183
                                        ; implicit-def: $vgpr182
                                        ; implicit-def: $vgpr181
                                        ; implicit-def: $vgpr180
                                        ; implicit-def: $vgpr179
                                        ; implicit-def: $vgpr178
                                        ; implicit-def: $vgpr134_vgpr135
                                        ; implicit-def: $vgpr144_vgpr145
                                        ; implicit-def: $vgpr146_vgpr147
                                        ; implicit-def: $vgpr148_vgpr149
	s_waitcnt lgkmcnt(0)
	v_cndmask_b32_e64 v19, v19, v128, s[22:23]
	v_cndmask_b32_e64 v128, v19, 0, s[24:25]
	v_add_u32_e32 v129, v128, v16
	v_add_u32_e32 v130, v129, v17
	;; [unrolled: 1-line block ×3, first 2 shown]
	flat_store_dwordx4 v[20:21], v[128:131] offset:16
	s_waitcnt lgkmcnt(0)
	s_barrier
	flat_load_dword v16, v[66:67]
	flat_load_dword v18, v[68:69]
	;; [unrolled: 1-line block ×8, first 2 shown]
	v_mov_b32_e32 v17, v14
	v_mov_b32_e32 v19, v14
	;; [unrolled: 1-line block ×8, first 2 shown]
	s_waitcnt vmcnt(0) lgkmcnt(0)
	v_add_u32_e32 v16, v16, v98
	v_add3_u32 v18, v100, v99, v18
	v_add3_u32 v66, v102, v101, v128
	;; [unrolled: 1-line block ×4, first 2 shown]
	v_lshlrev_b64 v[112:113], 2, v[18:19]
	v_add3_u32 v84, v118, v117, v132
	v_add3_u32 v96, v15, v119, v133
	v_lshlrev_b64 v[118:119], 2, v[16:17]
	v_add_co_u32_e64 v132, s[36:37], v12, v118
	v_addc_co_u32_e64 v133, s[36:37], v13, v119, s[36:37]
	v_add_co_u32_e64 v130, s[36:37], v12, v112
	v_add3_u32 v80, v116, v115, v131
	v_lshlrev_b64 v[98:99], 2, v[66:67]
	v_addc_co_u32_e64 v131, s[36:37], v13, v113, s[36:37]
	v_add_co_u32_e64 v128, s[36:37], v12, v98
	v_lshlrev_b64 v[86:87], 2, v[68:69]
	v_addc_co_u32_e64 v129, s[36:37], v13, v99, s[36:37]
	v_add_co_u32_e64 v116, s[36:37], v12, v86
	;; [unrolled: 3-line block ×4, first 2 shown]
	v_lshlrev_b64 v[18:19], 2, v[84:85]
	v_addc_co_u32_e64 v101, s[36:37], v13, v71, s[36:37]
	v_lshlrev_b64 v[16:17], 2, v[96:97]
	v_add_co_u32_e64 v96, s[36:37], v12, v18
	v_addc_co_u32_e64 v97, s[36:37], v13, v19, s[36:37]
	v_add_co_u32_e64 v84, s[36:37], v12, v16
	v_addc_co_u32_e64 v85, s[36:37], v13, v17, s[36:37]
                                        ; implicit-def: $vgpr15
                                        ; implicit-def: $vgpr66_vgpr67
                                        ; implicit-def: $vgpr68_vgpr69
                                        ; implicit-def: $vgpr80_vgpr81
                                        ; implicit-def: $vgpr114_vgpr115
	s_and_saveexec_b64 s[36:37], s[34:35]
	s_cbranch_execz .LBB602_171
; %bb.195:                              ;   in Loop: Header=BB602_172 Depth=1
	v_add_co_u32_e64 v66, s[34:35], v132, v118
	v_addc_co_u32_e64 v67, s[34:35], v133, v119, s[34:35]
	s_barrier
	flat_store_dword v[132:133], v177
	flat_store_dword v[130:131], v176
	;; [unrolled: 1-line block ×8, first 2 shown]
	s_waitcnt lgkmcnt(0)
	s_barrier
	flat_load_dword v178, v[54:55]
	flat_load_dword v15, v[54:55] offset:256
	flat_load_dword v179, v[54:55] offset:512
	;; [unrolled: 1-line block ×7, first 2 shown]
	s_waitcnt lgkmcnt(0)
	s_barrier
	flat_store_dwordx2 v[66:67], v[50:51]
	v_add_co_u32_e64 v66, s[34:35], v130, v112
	v_addc_co_u32_e64 v67, s[34:35], v131, v113, s[34:35]
	flat_store_dwordx2 v[66:67], v[38:39]
	v_add_co_u32_e64 v66, s[34:35], v128, v98
	v_addc_co_u32_e64 v67, s[34:35], v129, v99, s[34:35]
	;; [unrolled: 3-line block ×7, first 2 shown]
	flat_store_dwordx2 v[66:67], v[26:27]
	s_waitcnt lgkmcnt(0)
	s_barrier
	flat_load_dwordx2 v[66:67], v[64:65]
	flat_load_dwordx2 v[68:69], v[64:65] offset:512
	flat_load_dwordx2 v[80:81], v[64:65] offset:1024
	;; [unrolled: 1-line block ×7, first 2 shown]
	v_add_u32_e32 v161, -8, v161
	s_xor_b64 s[44:45], exec, -1
	s_waitcnt lgkmcnt(0)
	s_barrier
	s_branch .LBB602_171
.LBB602_196:
	flat_load_dwordx2 v[16:17], v[4:5]
	s_or_b64 exec, exec, s[40:41]
                                        ; implicit-def: $vgpr130_vgpr131
	s_and_saveexec_b64 vcc, s[10:11]
	s_cbranch_execz .LBB602_36
.LBB602_197:
	flat_load_dwordx2 v[130:131], v[4:5] offset:512
	s_or_b64 exec, exec, vcc
                                        ; implicit-def: $vgpr146_vgpr147
	s_and_saveexec_b64 s[10:11], s[14:15]
	s_cbranch_execz .LBB602_37
.LBB602_198:
	flat_load_dwordx2 v[146:147], v[4:5] offset:1024
	s_or_b64 exec, exec, s[10:11]
                                        ; implicit-def: $vgpr192_vgpr193
	s_and_saveexec_b64 s[10:11], s[18:19]
	s_cbranch_execz .LBB602_38
.LBB602_199:
	flat_load_dwordx2 v[192:193], v[4:5] offset:1536
	s_or_b64 exec, exec, s[10:11]
                                        ; implicit-def: $vgpr196_vgpr197
	s_and_saveexec_b64 s[10:11], s[20:21]
	s_cbranch_execz .LBB602_39
.LBB602_200:
	flat_load_dwordx2 v[196:197], v[4:5] offset:2048
	s_or_b64 exec, exec, s[10:11]
                                        ; implicit-def: $vgpr198_vgpr199
	s_and_saveexec_b64 s[10:11], s[24:25]
	s_cbranch_execz .LBB602_40
.LBB602_201:
	flat_load_dwordx2 v[198:199], v[4:5] offset:2560
	s_or_b64 exec, exec, s[10:11]
                                        ; implicit-def: $vgpr208_vgpr209
	s_and_saveexec_b64 s[10:11], s[28:29]
	s_cbranch_execz .LBB602_41
.LBB602_202:
	flat_load_dwordx2 v[208:209], v[4:5] offset:3072
	s_or_b64 exec, exec, s[10:11]
                                        ; implicit-def: $vgpr210_vgpr211
	s_and_saveexec_b64 s[10:11], s[34:35]
	s_cbranch_execz .LBB602_42
.LBB602_203:
	flat_load_dwordx2 v[210:211], v[4:5] offset:3584
	s_or_b64 exec, exec, s[10:11]
                                        ; implicit-def: $vgpr212_vgpr213
	s_and_saveexec_b64 s[10:11], s[36:37]
	s_cbranch_execz .LBB602_43
.LBB602_204:
	v_add_co_u32_e32 v14, vcc, 0x1000, v4
	v_addc_co_u32_e32 v15, vcc, 0, v5, vcc
	flat_load_dwordx2 v[212:213], v[14:15]
	s_or_b64 exec, exec, s[10:11]
                                        ; implicit-def: $vgpr214_vgpr215
	s_and_saveexec_b64 s[10:11], s[30:31]
	s_cbranch_execz .LBB602_44
.LBB602_205:
	v_add_co_u32_e32 v14, vcc, 0x1000, v4
	v_addc_co_u32_e32 v15, vcc, 0, v5, vcc
	flat_load_dwordx2 v[214:215], v[14:15] offset:512
	s_or_b64 exec, exec, s[10:11]
                                        ; implicit-def: $vgpr224_vgpr225
	s_and_saveexec_b64 s[10:11], s[26:27]
	s_cbranch_execz .LBB602_45
.LBB602_206:
	v_add_co_u32_e32 v14, vcc, 0x1000, v4
	v_addc_co_u32_e32 v15, vcc, 0, v5, vcc
	flat_load_dwordx2 v[224:225], v[14:15] offset:1024
	s_or_b64 exec, exec, s[10:11]
                                        ; implicit-def: $vgpr226_vgpr227
	s_and_saveexec_b64 s[10:11], s[22:23]
	s_cbranch_execz .LBB602_46
.LBB602_207:
	v_add_co_u32_e32 v14, vcc, 0x1000, v4
	v_addc_co_u32_e32 v15, vcc, 0, v5, vcc
	flat_load_dwordx2 v[226:227], v[14:15] offset:1536
	s_or_b64 exec, exec, s[10:11]
                                        ; implicit-def: $vgpr228_vgpr229
	s_and_saveexec_b64 s[10:11], s[16:17]
	s_cbranch_execz .LBB602_47
.LBB602_208:
	v_add_co_u32_e32 v14, vcc, 0x1000, v4
	v_addc_co_u32_e32 v15, vcc, 0, v5, vcc
	flat_load_dwordx2 v[228:229], v[14:15] offset:2048
	s_or_b64 exec, exec, s[10:11]
                                        ; implicit-def: $vgpr246_vgpr247
	s_and_saveexec_b64 s[10:11], s[38:39]
	s_cbranch_execz .LBB602_48
.LBB602_209:
	v_add_co_u32_e32 v14, vcc, 0x1000, v4
	v_addc_co_u32_e32 v15, vcc, 0, v5, vcc
	flat_load_dwordx2 v[246:247], v[14:15] offset:2560
	s_or_b64 exec, exec, s[10:11]
                                        ; implicit-def: $agpr0_agpr1
	s_and_saveexec_b64 s[10:11], s[6:7]
	s_cbranch_execz .LBB602_49
.LBB602_210:
	v_add_co_u32_e32 v14, vcc, 0x1000, v4
	v_addc_co_u32_e32 v15, vcc, 0, v5, vcc
	flat_load_dwordx2 a[0:1], v[14:15] offset:3072
	s_or_b64 exec, exec, s[10:11]
                                        ; implicit-def: $agpr2_agpr3
	s_and_saveexec_b64 s[6:7], s[4:5]
	s_cbranch_execnz .LBB602_50
	s_branch .LBB602_51
.LBB602_211:
	s_waitcnt vmcnt(0)
	flat_store_dwordx2 v[0:1], v[50:51]
	s_or_b64 exec, exec, vcc
	s_and_saveexec_b64 s[4:5], s[10:11]
	s_cbranch_execz .LBB602_127
.LBB602_212:
	s_waitcnt vmcnt(0)
	flat_store_dwordx2 v[0:1], v[48:49] offset:2048
	s_or_b64 exec, exec, s[4:5]
	s_and_saveexec_b64 s[4:5], s[16:17]
	s_cbranch_execz .LBB602_128
.LBB602_213:
	v_add_co_u32_e32 v2, vcc, 0x1000, v0
	v_addc_co_u32_e32 v3, vcc, 0, v1, vcc
	s_waitcnt vmcnt(0)
	flat_store_dwordx2 v[2:3], v[38:39]
	s_or_b64 exec, exec, s[4:5]
	s_and_saveexec_b64 s[4:5], s[40:41]
	s_cbranch_execz .LBB602_129
.LBB602_214:
	v_add_co_u32_e32 v2, vcc, 0x1000, v0
	v_addc_co_u32_e32 v3, vcc, 0, v1, vcc
	s_waitcnt vmcnt(0)
	flat_store_dwordx2 v[2:3], v[34:35] offset:2048
	s_or_b64 exec, exec, s[4:5]
	s_and_saveexec_b64 s[4:5], s[6:7]
	s_cbranch_execz .LBB602_130
.LBB602_215:
	v_add_co_u32_e32 v2, vcc, 0x2000, v0
	v_addc_co_u32_e32 v3, vcc, 0, v1, vcc
	s_waitcnt vmcnt(0)
	flat_store_dwordx2 v[2:3], v[36:37]
	s_or_b64 exec, exec, s[4:5]
	s_and_saveexec_b64 s[4:5], s[14:15]
	s_cbranch_execz .LBB602_131
.LBB602_216:
	v_add_co_u32_e32 v2, vcc, 0x2000, v0
	v_addc_co_u32_e32 v3, vcc, 0, v1, vcc
	s_waitcnt vmcnt(0)
	flat_store_dwordx2 v[2:3], v[32:33] offset:2048
	s_or_b64 exec, exec, s[4:5]
	s_and_saveexec_b64 s[4:5], s[18:19]
	s_cbranch_execz .LBB602_132
.LBB602_217:
	v_add_co_u32_e32 v2, vcc, 0x3000, v0
	v_addc_co_u32_e32 v3, vcc, 0, v1, vcc
	s_waitcnt vmcnt(0)
	flat_store_dwordx2 v[2:3], v[30:31]
	s_or_b64 exec, exec, s[4:5]
	s_and_saveexec_b64 s[4:5], s[20:21]
	s_cbranch_execz .LBB602_133
.LBB602_218:
	v_add_co_u32_e32 v2, vcc, 0x3000, v0
	v_addc_co_u32_e32 v3, vcc, 0, v1, vcc
	s_waitcnt vmcnt(0)
	flat_store_dwordx2 v[2:3], v[26:27] offset:2048
	s_or_b64 exec, exec, s[4:5]
	s_and_saveexec_b64 s[4:5], s[22:23]
	s_cbranch_execz .LBB602_134
.LBB602_219:
	v_add_co_u32_e32 v2, vcc, 0x4000, v0
	v_addc_co_u32_e32 v3, vcc, 0, v1, vcc
	s_waitcnt vmcnt(0)
	flat_store_dwordx2 v[2:3], v[28:29]
	s_or_b64 exec, exec, s[4:5]
	s_and_saveexec_b64 s[4:5], s[24:25]
	s_cbranch_execz .LBB602_135
.LBB602_220:
	v_add_co_u32_e32 v2, vcc, 0x4000, v0
	v_addc_co_u32_e32 v3, vcc, 0, v1, vcc
	s_waitcnt vmcnt(0)
	flat_store_dwordx2 v[2:3], v[24:25] offset:2048
	s_or_b64 exec, exec, s[4:5]
	s_and_saveexec_b64 s[4:5], s[26:27]
	s_cbranch_execz .LBB602_136
.LBB602_221:
	v_add_co_u32_e32 v2, vcc, 0x5000, v0
	v_addc_co_u32_e32 v3, vcc, 0, v1, vcc
	s_waitcnt vmcnt(0)
	flat_store_dwordx2 v[2:3], v[18:19]
	s_or_b64 exec, exec, s[4:5]
	s_and_saveexec_b64 s[4:5], s[28:29]
	s_cbranch_execz .LBB602_137
.LBB602_222:
	v_add_co_u32_e32 v2, vcc, 0x5000, v0
	v_addc_co_u32_e32 v3, vcc, 0, v1, vcc
	s_waitcnt vmcnt(0)
	flat_store_dwordx2 v[2:3], v[14:15] offset:2048
	s_or_b64 exec, exec, s[4:5]
	s_and_saveexec_b64 s[4:5], s[30:31]
	s_cbranch_execz .LBB602_138
.LBB602_223:
	v_add_co_u32_e32 v2, vcc, 0x6000, v0
	v_addc_co_u32_e32 v3, vcc, 0, v1, vcc
	s_waitcnt vmcnt(0)
	flat_store_dwordx2 v[2:3], v[16:17]
	s_or_b64 exec, exec, s[4:5]
	s_and_saveexec_b64 s[4:5], s[34:35]
	s_cbranch_execz .LBB602_139
.LBB602_224:
	v_add_co_u32_e32 v2, vcc, 0x6000, v0
	v_addc_co_u32_e32 v3, vcc, 0, v1, vcc
	s_waitcnt vmcnt(0)
	flat_store_dwordx2 v[2:3], v[12:13] offset:2048
	s_or_b64 exec, exec, s[4:5]
	s_and_saveexec_b64 s[4:5], s[36:37]
	s_cbranch_execz .LBB602_140
.LBB602_225:
	v_add_co_u32_e32 v2, vcc, 0x7000, v0
	v_addc_co_u32_e32 v3, vcc, 0, v1, vcc
	s_waitcnt vmcnt(0)
	flat_store_dwordx2 v[2:3], v[10:11]
	s_or_b64 exec, exec, s[4:5]
	s_and_saveexec_b64 s[4:5], s[38:39]
	s_cbranch_execnz .LBB602_141
	s_branch .LBB602_142
.LBB602_226:
	s_or_b64 exec, exec, s[40:41]
	s_waitcnt vmcnt(0)
	v_or_b32_e32 v66, 0x1000, v1
	v_add_co_u32_e32 v10, vcc, v12, v66
	v_addc_co_u32_e32 v11, vcc, 0, v13, vcc
	s_movk_i32 s5, 0x1400
	v_add_co_u32_e32 v67, vcc, s5, v4
	s_movk_i32 s4, 0x1000
	v_addc_co_u32_e32 v68, vcc, 0, v5, vcc
	v_add_co_u32_e32 v14, vcc, s4, v4
	v_addc_co_u32_e32 v15, vcc, 0, v5, vcc
	s_movk_i32 s5, 0x1800
	v_add_co_u32_e32 v69, vcc, s5, v4
	v_addc_co_u32_e32 v80, vcc, 0, v5, vcc
	s_movk_i32 s5, 0x1c00
	v_add_co_u32_e32 v81, vcc, s5, v4
	v_addc_co_u32_e32 v114, vcc, 0, v5, vcc
	s_barrier
	flat_store_dword v[132:133], v177
	flat_store_dword v[130:131], v176
	;; [unrolled: 1-line block ×8, first 2 shown]
	s_waitcnt lgkmcnt(0)
	s_barrier
	flat_load_dword v65, v[4:5]
	flat_load_dword v64, v[4:5] offset:1024
	flat_load_dword v55, v[4:5] offset:2048
	;; [unrolled: 1-line block ×3, first 2 shown]
	flat_load_dword v53, v[10:11]
	flat_load_dword v52, v[14:15] offset:1024
	flat_load_dword v49, v[14:15] offset:2048
	;; [unrolled: 1-line block ×3, first 2 shown]
	v_add_co_u32_e32 v4, vcc, v132, v118
	v_addc_co_u32_e32 v5, vcc, v133, v119, vcc
	s_waitcnt lgkmcnt(0)
	s_barrier
	flat_store_dwordx2 v[4:5], v[50:51]
	v_add_co_u32_e32 v4, vcc, v130, v112
	v_addc_co_u32_e32 v5, vcc, v131, v113, vcc
	flat_store_dwordx2 v[4:5], v[38:39]
	v_add_co_u32_e32 v4, vcc, v128, v98
	v_addc_co_u32_e32 v5, vcc, v129, v99, vcc
	;; [unrolled: 3-line block ×7, first 2 shown]
	flat_store_dwordx2 v[4:5], v[26:27]
	v_lshlrev_b32_e32 v4, 3, v24
	v_add_co_u32_e32 v4, vcc, v12, v4
	v_addc_co_u32_e32 v5, vcc, 0, v13, vcc
	v_add_co_u32_e32 v12, vcc, s4, v4
	v_addc_co_u32_e32 v13, vcc, 0, v5, vcc
	v_add_co_u32_e32 v26, vcc, v10, v66
	s_waitcnt lgkmcnt(0)
	s_barrier
	flat_load_dwordx2 v[24:25], v[4:5]
	flat_load_dwordx2 v[20:21], v[4:5] offset:2048
	flat_load_dwordx2 v[18:19], v[12:13]
	flat_load_dwordx2 v[14:15], v[12:13] offset:2048
	v_addc_co_u32_e32 v27, vcc, 0, v11, vcc
	v_add_u32_e32 v4, 0x1400, v1
	v_add_co_u32_e32 v28, vcc, v67, v4
	v_addc_co_u32_e32 v29, vcc, 0, v68, vcc
	v_add_u32_e32 v4, 0x1800, v1
	v_add_co_u32_e32 v30, vcc, v69, v4
	;; [unrolled: 3-line block ×3, first 2 shown]
	v_addc_co_u32_e32 v33, vcc, 0, v114, vcc
	flat_load_dwordx2 v[16:17], v[26:27]
	flat_load_dwordx2 v[12:13], v[28:29]
	;; [unrolled: 1-line block ×4, first 2 shown]
	v_mov_b32_e32 v1, 0
	v_add_co_u32_e32 v22, vcc, v2, v22
	v_addc_co_u32_e32 v23, vcc, v3, v23, vcc
	v_lshlrev_b64 v[2:3], 2, v[0:1]
	v_add_co_u32_e32 v2, vcc, v22, v2
	v_addc_co_u32_e32 v3, vcc, v23, v3, vcc
	v_cmp_lt_u32_e64 s[4:5], v0, v152
	s_waitcnt lgkmcnt(0)
	s_barrier
	s_and_saveexec_b64 s[6:7], s[4:5]
	s_cbranch_execz .LBB602_228
; %bb.227:
	s_waitcnt vmcnt(0)
	v_xor_b32_e32 v22, 0x80000000, v65
	flat_store_dword v[2:3], v22
.LBB602_228:
	s_or_b64 exec, exec, s[6:7]
	v_add_u32_e32 v22, 0x100, v0
	v_cmp_lt_u32_e64 s[10:11], v22, v152
	s_and_saveexec_b64 s[6:7], s[10:11]
	s_cbranch_execz .LBB602_230
; %bb.229:
	s_waitcnt vmcnt(0)
	v_xor_b32_e32 v22, 0x80000000, v64
	flat_store_dword v[2:3], v22 offset:1024
.LBB602_230:
	s_or_b64 exec, exec, s[6:7]
	v_add_u32_e32 v22, 0x200, v0
	v_cmp_lt_u32_e64 s[16:17], v22, v152
	s_and_saveexec_b64 s[6:7], s[16:17]
	s_cbranch_execz .LBB602_232
; %bb.231:
	s_waitcnt vmcnt(0)
	v_xor_b32_e32 v22, 0x80000000, v55
	flat_store_dword v[2:3], v22 offset:2048
.LBB602_232:
	;; [unrolled: 10-line block ×3, first 2 shown]
	s_or_b64 exec, exec, s[6:7]
	v_add_u32_e32 v22, 0x400, v0
	v_cmp_lt_u32_e64 s[6:7], v22, v152
	s_and_saveexec_b64 s[14:15], s[6:7]
	s_cbranch_execz .LBB602_236
; %bb.235:
	v_add_co_u32_e32 v22, vcc, 0x1000, v2
	s_waitcnt vmcnt(0)
	v_xor_b32_e32 v26, 0x80000000, v53
	v_addc_co_u32_e32 v23, vcc, 0, v3, vcc
	flat_store_dword v[22:23], v26
.LBB602_236:
	s_or_b64 exec, exec, s[14:15]
	v_add_u32_e32 v22, 0x500, v0
	v_cmp_lt_u32_e64 s[14:15], v22, v152
	s_and_saveexec_b64 s[18:19], s[14:15]
	s_cbranch_execz .LBB602_238
; %bb.237:
	v_add_co_u32_e32 v22, vcc, 0x1000, v2
	s_waitcnt vmcnt(0)
	v_xor_b32_e32 v26, 0x80000000, v52
	v_addc_co_u32_e32 v23, vcc, 0, v3, vcc
	flat_store_dword v[22:23], v26 offset:1024
.LBB602_238:
	s_or_b64 exec, exec, s[18:19]
	v_add_u32_e32 v22, 0x600, v0
	v_cmp_lt_u32_e64 s[18:19], v22, v152
	s_and_saveexec_b64 s[20:21], s[18:19]
	s_cbranch_execz .LBB602_240
; %bb.239:
	v_add_co_u32_e32 v22, vcc, 0x1000, v2
	s_waitcnt vmcnt(0)
	v_xor_b32_e32 v26, 0x80000000, v49
	v_addc_co_u32_e32 v23, vcc, 0, v3, vcc
	flat_store_dword v[22:23], v26 offset:2048
.LBB602_240:
	;; [unrolled: 12-line block ×3, first 2 shown]
	s_or_b64 exec, exec, s[24:25]
	v_add_co_u32_e32 v2, vcc, v6, v8
	v_addc_co_u32_e32 v3, vcc, v7, v9, vcc
	v_lshlrev_b64 v[0:1], 3, v[0:1]
	v_add_co_u32_e32 v0, vcc, v2, v0
	v_addc_co_u32_e32 v1, vcc, v3, v1, vcc
	s_and_saveexec_b64 s[24:25], s[4:5]
	s_cbranch_execnz .LBB602_292
; %bb.243:
	s_or_b64 exec, exec, s[24:25]
	s_and_saveexec_b64 s[4:5], s[10:11]
	s_cbranch_execnz .LBB602_293
.LBB602_244:
	s_or_b64 exec, exec, s[4:5]
	s_and_saveexec_b64 s[4:5], s[16:17]
	s_cbranch_execnz .LBB602_294
.LBB602_245:
	s_or_b64 exec, exec, s[4:5]
	s_and_saveexec_b64 s[4:5], s[22:23]
	s_cbranch_execnz .LBB602_295
.LBB602_246:
	s_or_b64 exec, exec, s[4:5]
	s_and_saveexec_b64 s[4:5], s[6:7]
	s_cbranch_execnz .LBB602_296
.LBB602_247:
	s_or_b64 exec, exec, s[4:5]
	s_and_saveexec_b64 s[4:5], s[14:15]
	s_cbranch_execnz .LBB602_297
.LBB602_248:
	s_or_b64 exec, exec, s[4:5]
	s_and_saveexec_b64 s[4:5], s[18:19]
	s_cbranch_execnz .LBB602_298
.LBB602_249:
	s_or_b64 exec, exec, s[4:5]
	s_and_saveexec_b64 s[4:5], s[20:21]
	s_cbranch_execz .LBB602_251
.LBB602_250:
	v_add_co_u32_e32 v0, vcc, 0x3000, v0
	v_addc_co_u32_e32 v1, vcc, 0, v1, vcc
	s_waitcnt vmcnt(0)
	flat_store_dwordx2 v[0:1], v[4:5] offset:2048
.LBB602_251:
	s_or_b64 exec, exec, s[4:5]
                                        ; implicit-def: $vgpr152
                                        ; implicit-def: $vgpr0
                                        ; implicit-def: $vgpr1
                                        ; implicit-def: $vgpr2
                                        ; implicit-def: $vgpr3
                                        ; implicit-def: $vgpr4
                                        ; implicit-def: $vgpr5
                                        ; implicit-def: $vgpr6
                                        ; implicit-def: $vgpr7
                                        ; implicit-def: $vgpr8
                                        ; implicit-def: $vgpr10
                                        ; implicit-def: $vgpr11
                                        ; implicit-def: $vgpr12
                                        ; implicit-def: $vgpr13
                                        ; implicit-def: $vgpr31
                                        ; implicit-def: $vgpr14
                                        ; implicit-def: $vgpr16
                                        ; implicit-def: $vgpr15
.LBB602_252:
	s_andn2_saveexec_b64 s[4:5], s[38:39]
	s_cbranch_execz .LBB602_372
; %bb.253:
	s_movk_i32 s4, 0x200
	v_cmp_lt_u32_e32 vcc, s4, v152
	s_and_saveexec_b64 s[4:5], vcc
	s_xor_b64 s[38:39], exec, s[4:5]
	s_cbranch_execz .LBB602_313
; %bb.254:
	s_load_dwordx2 s[4:5], s[8:9], 0x0
	v_mov_b32_e32 v9, 0
	s_waitcnt vmcnt(0)
	v_mbcnt_hi_u32_b32 v32, -1, v15
	v_lshlrev_b64 v[24:25], 2, v[8:9]
	v_and_b32_e32 v34, 63, v32
	s_waitcnt lgkmcnt(0)
	s_cmp_lt_u32 s12, s4
	s_cselect_b32 s6, 12, 18
	s_cmp_lt_u32 s13, s5
	s_cselect_b32 s4, 14, 20
	s_add_u32 s4, s8, s4
	s_addc_u32 s5, s9, 0
	s_add_u32 s6, s8, s6
	global_load_ushort v17, v9, s[4:5]
	s_addc_u32 s7, s9, 0
	global_load_ushort v18, v9, s[6:7]
	v_add_co_u32_e32 v0, vcc, v0, v24
	v_addc_co_u32_e32 v1, vcc, v1, v25, vcc
	v_lshlrev_b32_e32 v15, 2, v34
	v_and_b32_e32 v22, 0x3ff, v31
	v_add_co_u32_e32 v20, vcc, v0, v15
	v_addc_co_u32_e32 v21, vcc, 0, v1, vcc
	v_mov_b32_e32 v19, v9
	s_brev_b32 s4, -2
	s_mov_b32 s6, s4
	s_mov_b32 s7, s4
	;; [unrolled: 1-line block ×3, first 2 shown]
	s_waitcnt vmcnt(1)
	v_mad_u32_u24 v0, v16, v17, v14
	s_waitcnt vmcnt(0)
	v_mad_u64_u32 v[0:1], s[10:11], v0, v18, v[22:23]
	v_lshlrev_b32_e32 v1, 2, v0
	v_and_b32_e32 v18, 0xffffff00, v1
	v_lshlrev_b64 v[14:15], 2, v[18:19]
	v_add_co_u32_e32 v20, vcc, v20, v14
	v_or_b32_e32 v1, v18, v34
	v_addc_co_u32_e32 v21, vcc, v21, v15, vcc
	v_pk_mov_b32 v[16:17], s[6:7], s[6:7] op_sel:[0,1]
	v_cmp_lt_u32_e32 vcc, v1, v152
	v_pk_mov_b32 v[14:15], s[4:5], s[4:5] op_sel:[0,1]
	s_and_saveexec_b64 s[4:5], vcc
	s_cbranch_execz .LBB602_256
; %bb.255:
	flat_load_dword v14, v[20:21]
	v_bfrev_b32_e32 v15, -2
	v_mov_b32_e32 v16, v15
	v_mov_b32_e32 v17, v15
.LBB602_256:
	s_or_b64 exec, exec, s[4:5]
	v_or_b32_e32 v23, 64, v1
	v_cmp_lt_u32_e64 s[4:5], v23, v152
	s_and_saveexec_b64 s[6:7], s[4:5]
	s_cbranch_execz .LBB602_258
; %bb.257:
	flat_load_dword v15, v[20:21] offset:256
.LBB602_258:
	s_or_b64 exec, exec, s[6:7]
	v_or_b32_e32 v23, 0x80, v1
	v_cmp_lt_u32_e64 s[6:7], v23, v152
	s_and_saveexec_b64 s[10:11], s[6:7]
	s_cbranch_execz .LBB602_260
; %bb.259:
	flat_load_dword v16, v[20:21] offset:512
.LBB602_260:
	;; [unrolled: 8-line block ×3, first 2 shown]
	s_or_b64 exec, exec, s[14:15]
	v_lshlrev_b64 v[8:9], 3, v[8:9]
	v_add_co_u32_e64 v1, s[14:15], v4, v8
	v_addc_co_u32_e64 v4, s[14:15], v5, v9, s[14:15]
	v_lshlrev_b32_e32 v5, 3, v34
	v_add_co_u32_e64 v1, s[14:15], v1, v5
	v_addc_co_u32_e64 v20, s[14:15], 0, v4, s[14:15]
	v_lshlrev_b64 v[4:5], 3, v[18:19]
	v_add_co_u32_e64 v4, s[14:15], v1, v4
	v_addc_co_u32_e64 v5, s[14:15], v20, v5, s[14:15]
                                        ; implicit-def: $vgpr18_vgpr19
	s_and_saveexec_b64 s[14:15], vcc
	s_cbranch_execnz .LBB602_337
; %bb.263:
	s_or_b64 exec, exec, s[14:15]
                                        ; implicit-def: $vgpr20_vgpr21
	s_and_saveexec_b64 s[14:15], s[4:5]
	s_cbranch_execnz .LBB602_338
.LBB602_264:
	s_or_b64 exec, exec, s[14:15]
                                        ; implicit-def: $vgpr54_vgpr55
	s_and_saveexec_b64 s[4:5], s[6:7]
	s_cbranch_execnz .LBB602_339
.LBB602_265:
	s_or_b64 exec, exec, s[4:5]
                                        ; implicit-def: $vgpr64_vgpr65
	s_and_saveexec_b64 s[4:5], s[10:11]
	s_cbranch_execz .LBB602_267
.LBB602_266:
	flat_load_dwordx2 v[64:65], v[4:5] offset:1536
.LBB602_267:
	s_or_b64 exec, exec, s[4:5]
	s_waitcnt vmcnt(0) lgkmcnt(0)
	v_xor_b32_e32 v113, 0x80000000, v14
	v_add_co_u32_e32 v1, vcc, 16, v12
	v_and_b32_e32 v14, 0x3c0, v22
	v_addc_co_u32_e32 v23, vcc, 0, v13, vcc
	v_lshlrev_b32_e32 v4, 4, v22
	v_min_u32_e32 v14, 0xc0, v14
	v_add_co_u32_e32 v26, vcc, v12, v4
	v_or_b32_e32 v14, 63, v14
	v_xor_b32_e32 v114, 0x80000000, v15
	s_getpc_b64 s[4:5]
	s_add_u32 s4, s4, _ZN7rocprim17ROCPRIM_400000_NS16block_radix_sortIiLj256ELj4ElLj1ELj1ELj8ELNS0_26block_radix_rank_algorithmE2ELNS0_18block_padding_hintE2ELNS0_4arch9wavefront6targetE1EE19radix_bits_per_passE@rel32@lo+4
	s_addc_u32 s5, s5, _ZN7rocprim17ROCPRIM_400000_NS16block_radix_sortIiLj256ELj4ElLj1ELj1ELj8ELNS0_26block_radix_rank_algorithmE2ELNS0_18block_padding_hintE2ELNS0_4arch9wavefront6targetE1EE19radix_bits_per_passE@rel32@hi+12
	v_addc_co_u32_e32 v27, vcc, 0, v13, vcc
	v_and_b32_e32 v4, 15, v32
	v_cmp_eq_u32_e64 s[16:17], v14, v22
	v_add_u32_e32 v14, -1, v32
	v_and_b32_e32 v15, 64, v32
	s_load_dword s46, s[4:5], 0x0
	v_cmp_eq_u32_e32 vcc, 0, v4
	v_cmp_lt_u32_e64 s[4:5], 1, v4
	v_cmp_lt_u32_e64 s[6:7], 3, v4
	;; [unrolled: 1-line block ×3, first 2 shown]
	v_and_b32_e32 v4, 16, v32
	v_cmp_lt_i32_e64 s[22:23], v14, v15
	v_cmp_eq_u32_e64 s[30:31], 0, v4
	v_lshrrev_b32_e32 v4, 6, v22
	v_cndmask_b32_e64 v14, v14, v32, s[22:23]
	v_lshlrev_b32_e32 v99, 2, v14
	v_lshlrev_b32_e32 v14, 2, v4
	v_add_co_u32_e64 v30, s[26:27], v12, v14
	v_xor_b32_e32 v115, 0x80000000, v16
	v_lshlrev_b32_e32 v16, 2, v22
	v_addc_co_u32_e64 v31, s[26:27], 0, v13, s[26:27]
	v_add_co_u32_e64 v28, s[26:27], v12, v16
	v_mov_b32_e32 v5, 0
	v_addc_co_u32_e64 v29, s[26:27], 0, v13, s[26:27]
	v_and_b32_e32 v14, 3, v32
	v_add_u32_e32 v4, -1, v4
	v_cmp_eq_u32_e64 s[26:27], 0, v14
	v_cmp_lt_u32_e64 s[28:29], 1, v14
	v_lshlrev_b64 v[14:15], 2, v[4:5]
	v_cmp_lt_u32_e64 s[14:15], 31, v32
	v_cmp_eq_u32_e64 s[22:23], 0, v32
	v_add_co_u32_e64 v32, s[34:35], v12, v14
	v_addc_co_u32_e64 v33, s[34:35], v13, v15, s[34:35]
	s_movk_i32 s34, 0xf00
	v_and_or_b32 v4, v16, s34, v34
	v_lshlrev_b32_e32 v4, 2, v4
	v_add_co_u32_e64 v38, s[34:35], v12, v4
	v_addc_co_u32_e64 v39, s[34:35], 0, v13, s[34:35]
	v_add_co_u32_e64 v50, s[34:35], v38, v4
	v_xor_b32_e32 v116, 0x80000000, v17
	v_lshrrev_b32_e32 v98, 6, v0
	v_cmp_gt_u32_e64 s[18:19], 4, v22
	v_cmp_lt_u32_e64 s[20:21], 63, v22
	v_cmp_eq_u32_e64 s[24:25], 0, v22
	v_addc_co_u32_e64 v51, s[34:35], 0, v39, s[34:35]
	v_sub_u32_e32 v100, v11, v10
	s_mov_b64 s[40:41], 0
	v_mov_b32_e32 v14, v5
	v_mov_b32_e32 v15, v5
	;; [unrolled: 1-line block ×4, first 2 shown]
	s_waitcnt lgkmcnt(0)
	s_barrier
	s_branch .LBB602_269
.LBB602_268:                            ;   in Loop: Header=BB602_269 Depth=1
	s_or_b64 exec, exec, s[36:37]
	s_and_b64 s[34:35], exec, s[44:45]
	s_or_b64 s[40:41], s[34:35], s[40:41]
	s_andn2_b64 exec, exec, s[40:41]
	s_cbranch_execz .LBB602_299
.LBB602_269:                            ; =>This Inner Loop Header: Depth=1
	v_min_u32_e32 v4, s46, v100
	s_waitcnt vmcnt(0)
	v_mov_b32_e32 v112, v113
	v_lshlrev_b32_e64 v4, v4, -1
	v_pk_mov_b32 v[48:49], v[20:21], v[20:21] op_sel:[0,1]
	v_not_b32_e32 v20, v4
	v_lshrrev_b32_e32 v4, v10, v112
	v_and_b32_e32 v21, v4, v20
	v_lshl_add_u32 v4, v21, 2, v98
	v_pk_mov_b32 v[52:53], v[18:19], v[18:19] op_sel:[0,1]
	v_lshlrev_b64 v[18:19], 2, v[4:5]
	v_pk_mov_b32 v[36:37], v[54:55], v[54:55] op_sel:[0,1]
	v_add_co_u32_e64 v54, s[34:35], v1, v18
	v_addc_co_u32_e64 v55, s[34:35], v23, v19, s[34:35]
	v_and_b32_e32 v4, 1, v21
	v_add_co_u32_e64 v18, s[34:35], -1, v4
	v_addc_co_u32_e64 v19, s[34:35], 0, -1, s[34:35]
	v_cmp_ne_u32_e64 s[34:35], 0, v4
	v_xor_b32_e32 v18, s34, v18
	v_pk_mov_b32 v[34:35], v[64:65], v[64:65] op_sel:[0,1]
	v_xor_b32_e32 v4, s35, v19
	v_and_b32_e32 v64, exec_lo, v18
	v_lshlrev_b32_e32 v19, 30, v21
	v_mov_b32_e32 v18, v5
	v_cmp_gt_i64_e64 s[34:35], 0, v[18:19]
	v_not_b32_e32 v18, v19
	v_ashrrev_i32_e32 v18, 31, v18
	v_and_b32_e32 v4, exec_hi, v4
	v_xor_b32_e32 v19, s35, v18
	v_xor_b32_e32 v18, s34, v18
	v_and_b32_e32 v4, v4, v19
	v_and_b32_e32 v64, v64, v18
	v_lshlrev_b32_e32 v19, 29, v21
	v_mov_b32_e32 v18, v5
	v_cmp_gt_i64_e64 s[34:35], 0, v[18:19]
	v_not_b32_e32 v18, v19
	v_ashrrev_i32_e32 v18, 31, v18
	v_xor_b32_e32 v19, s35, v18
	v_xor_b32_e32 v18, s34, v18
	v_and_b32_e32 v4, v4, v19
	v_and_b32_e32 v64, v64, v18
	v_lshlrev_b32_e32 v19, 28, v21
	v_mov_b32_e32 v18, v5
	v_cmp_gt_i64_e64 s[34:35], 0, v[18:19]
	v_not_b32_e32 v18, v19
	v_ashrrev_i32_e32 v18, 31, v18
	;; [unrolled: 9-line block ×6, first 2 shown]
	v_xor_b32_e32 v19, s35, v18
	v_xor_b32_e32 v18, s34, v18
	v_and_b32_e32 v18, v64, v18
	v_and_b32_e32 v19, v4, v19
	v_mbcnt_lo_u32_b32 v4, v18, 0
	v_mbcnt_hi_u32_b32 v70, v19, v4
	v_cmp_eq_u32_e64 s[34:35], 0, v70
	v_cmp_ne_u64_e64 s[36:37], 0, v[18:19]
	v_mov_b32_e32 v101, v116
	v_mov_b32_e32 v102, v115
	;; [unrolled: 1-line block ×3, first 2 shown]
	s_and_b64 s[36:37], s[36:37], s[34:35]
	flat_store_dwordx4 v[26:27], v[14:17] offset:16
	s_waitcnt lgkmcnt(0)
	s_barrier
	s_waitcnt lgkmcnt(0)
	; wave barrier
	s_and_saveexec_b64 s[34:35], s[36:37]
	s_cbranch_execz .LBB602_271
; %bb.270:                              ;   in Loop: Header=BB602_269 Depth=1
	v_bcnt_u32_b32 v4, v18, 0
	v_bcnt_u32_b32 v4, v19, v4
	flat_store_dword v[54:55], v4
.LBB602_271:                            ;   in Loop: Header=BB602_269 Depth=1
	s_or_b64 exec, exec, s[34:35]
	v_lshrrev_b32_e32 v4, v10, v103
	v_and_b32_e32 v21, v4, v20
	v_lshl_add_u32 v4, v21, 2, v98
	v_lshlrev_b64 v[18:19], 2, v[4:5]
	v_add_co_u32_e64 v64, s[34:35], v1, v18
	v_addc_co_u32_e64 v65, s[34:35], v23, v19, s[34:35]
	; wave barrier
	flat_load_dword v71, v[64:65]
	v_and_b32_e32 v4, 1, v21
	v_add_co_u32_e64 v18, s[34:35], -1, v4
	v_addc_co_u32_e64 v19, s[34:35], 0, -1, s[34:35]
	v_cmp_ne_u32_e64 s[34:35], 0, v4
	v_xor_b32_e32 v18, s34, v18
	v_xor_b32_e32 v4, s35, v19
	v_and_b32_e32 v66, exec_lo, v18
	v_lshlrev_b32_e32 v19, 30, v21
	v_mov_b32_e32 v18, v5
	v_cmp_gt_i64_e64 s[34:35], 0, v[18:19]
	v_not_b32_e32 v18, v19
	v_ashrrev_i32_e32 v18, 31, v18
	v_and_b32_e32 v4, exec_hi, v4
	v_xor_b32_e32 v19, s35, v18
	v_xor_b32_e32 v18, s34, v18
	v_and_b32_e32 v4, v4, v19
	v_and_b32_e32 v66, v66, v18
	v_lshlrev_b32_e32 v19, 29, v21
	v_mov_b32_e32 v18, v5
	v_cmp_gt_i64_e64 s[34:35], 0, v[18:19]
	v_not_b32_e32 v18, v19
	v_ashrrev_i32_e32 v18, 31, v18
	v_xor_b32_e32 v19, s35, v18
	v_xor_b32_e32 v18, s34, v18
	v_and_b32_e32 v4, v4, v19
	v_and_b32_e32 v66, v66, v18
	v_lshlrev_b32_e32 v19, 28, v21
	v_mov_b32_e32 v18, v5
	v_cmp_gt_i64_e64 s[34:35], 0, v[18:19]
	v_not_b32_e32 v18, v19
	v_ashrrev_i32_e32 v18, 31, v18
	;; [unrolled: 9-line block ×6, first 2 shown]
	v_xor_b32_e32 v19, s35, v18
	v_xor_b32_e32 v18, s34, v18
	v_and_b32_e32 v18, v66, v18
	v_and_b32_e32 v19, v4, v19
	v_mbcnt_lo_u32_b32 v4, v18, 0
	v_mbcnt_hi_u32_b32 v80, v19, v4
	v_cmp_eq_u32_e64 s[34:35], 0, v80
	v_cmp_ne_u64_e64 s[36:37], 0, v[18:19]
	s_and_b64 s[36:37], s[36:37], s[34:35]
	; wave barrier
	s_and_saveexec_b64 s[34:35], s[36:37]
	s_cbranch_execz .LBB602_273
; %bb.272:                              ;   in Loop: Header=BB602_269 Depth=1
	v_bcnt_u32_b32 v4, v18, 0
	v_bcnt_u32_b32 v4, v19, v4
	s_waitcnt vmcnt(0) lgkmcnt(0)
	v_add_u32_e32 v4, v71, v4
	flat_store_dword v[64:65], v4
.LBB602_273:                            ;   in Loop: Header=BB602_269 Depth=1
	s_or_b64 exec, exec, s[34:35]
	v_lshrrev_b32_e32 v4, v10, v102
	v_and_b32_e32 v21, v4, v20
	v_lshl_add_u32 v4, v21, 2, v98
	v_lshlrev_b64 v[18:19], 2, v[4:5]
	v_add_co_u32_e64 v66, s[34:35], v1, v18
	v_addc_co_u32_e64 v67, s[34:35], v23, v19, s[34:35]
	; wave barrier
	flat_load_dword v81, v[66:67]
	v_and_b32_e32 v4, 1, v21
	v_add_co_u32_e64 v18, s[34:35], -1, v4
	v_addc_co_u32_e64 v19, s[34:35], 0, -1, s[34:35]
	v_cmp_ne_u32_e64 s[34:35], 0, v4
	v_xor_b32_e32 v18, s34, v18
	v_xor_b32_e32 v4, s35, v19
	v_and_b32_e32 v68, exec_lo, v18
	v_lshlrev_b32_e32 v19, 30, v21
	v_mov_b32_e32 v18, v5
	v_cmp_gt_i64_e64 s[34:35], 0, v[18:19]
	v_not_b32_e32 v18, v19
	v_ashrrev_i32_e32 v18, 31, v18
	v_and_b32_e32 v4, exec_hi, v4
	v_xor_b32_e32 v19, s35, v18
	v_xor_b32_e32 v18, s34, v18
	v_and_b32_e32 v4, v4, v19
	v_and_b32_e32 v68, v68, v18
	v_lshlrev_b32_e32 v19, 29, v21
	v_mov_b32_e32 v18, v5
	v_cmp_gt_i64_e64 s[34:35], 0, v[18:19]
	v_not_b32_e32 v18, v19
	v_ashrrev_i32_e32 v18, 31, v18
	v_xor_b32_e32 v19, s35, v18
	v_xor_b32_e32 v18, s34, v18
	v_and_b32_e32 v4, v4, v19
	v_and_b32_e32 v68, v68, v18
	v_lshlrev_b32_e32 v19, 28, v21
	v_mov_b32_e32 v18, v5
	v_cmp_gt_i64_e64 s[34:35], 0, v[18:19]
	v_not_b32_e32 v18, v19
	v_ashrrev_i32_e32 v18, 31, v18
	;; [unrolled: 9-line block ×6, first 2 shown]
	v_xor_b32_e32 v19, s35, v18
	v_xor_b32_e32 v18, s34, v18
	v_and_b32_e32 v18, v68, v18
	v_and_b32_e32 v19, v4, v19
	v_mbcnt_lo_u32_b32 v4, v18, 0
	v_mbcnt_hi_u32_b32 v82, v19, v4
	v_cmp_eq_u32_e64 s[34:35], 0, v82
	v_cmp_ne_u64_e64 s[36:37], 0, v[18:19]
	s_and_b64 s[36:37], s[36:37], s[34:35]
	; wave barrier
	s_and_saveexec_b64 s[34:35], s[36:37]
	s_cbranch_execz .LBB602_275
; %bb.274:                              ;   in Loop: Header=BB602_269 Depth=1
	v_bcnt_u32_b32 v4, v18, 0
	v_bcnt_u32_b32 v4, v19, v4
	s_waitcnt vmcnt(0) lgkmcnt(0)
	v_add_u32_e32 v4, v81, v4
	flat_store_dword v[66:67], v4
.LBB602_275:                            ;   in Loop: Header=BB602_269 Depth=1
	s_or_b64 exec, exec, s[34:35]
	v_lshrrev_b32_e32 v4, v10, v101
	v_and_b32_e32 v20, v4, v20
	v_lshl_add_u32 v4, v20, 2, v98
	v_lshlrev_b64 v[18:19], 2, v[4:5]
	v_add_co_u32_e64 v68, s[34:35], v1, v18
	v_addc_co_u32_e64 v69, s[34:35], v23, v19, s[34:35]
	; wave barrier
	flat_load_dword v83, v[68:69]
	v_and_b32_e32 v4, 1, v20
	v_add_co_u32_e64 v18, s[34:35], -1, v4
	v_addc_co_u32_e64 v19, s[34:35], 0, -1, s[34:35]
	v_cmp_ne_u32_e64 s[34:35], 0, v4
	v_xor_b32_e32 v18, s34, v18
	v_xor_b32_e32 v4, s35, v19
	v_and_b32_e32 v21, exec_lo, v18
	v_lshlrev_b32_e32 v19, 30, v20
	v_mov_b32_e32 v18, v5
	v_cmp_gt_i64_e64 s[34:35], 0, v[18:19]
	v_not_b32_e32 v18, v19
	v_ashrrev_i32_e32 v18, 31, v18
	v_and_b32_e32 v4, exec_hi, v4
	v_xor_b32_e32 v19, s35, v18
	v_xor_b32_e32 v18, s34, v18
	v_and_b32_e32 v4, v4, v19
	v_and_b32_e32 v21, v21, v18
	v_lshlrev_b32_e32 v19, 29, v20
	v_mov_b32_e32 v18, v5
	v_cmp_gt_i64_e64 s[34:35], 0, v[18:19]
	v_not_b32_e32 v18, v19
	v_ashrrev_i32_e32 v18, 31, v18
	v_xor_b32_e32 v19, s35, v18
	v_xor_b32_e32 v18, s34, v18
	v_and_b32_e32 v4, v4, v19
	v_and_b32_e32 v21, v21, v18
	v_lshlrev_b32_e32 v19, 28, v20
	v_mov_b32_e32 v18, v5
	v_cmp_gt_i64_e64 s[34:35], 0, v[18:19]
	v_not_b32_e32 v18, v19
	v_ashrrev_i32_e32 v18, 31, v18
	;; [unrolled: 9-line block ×6, first 2 shown]
	v_xor_b32_e32 v19, s35, v18
	v_xor_b32_e32 v18, s34, v18
	v_and_b32_e32 v18, v21, v18
	v_and_b32_e32 v19, v4, v19
	v_mbcnt_lo_u32_b32 v4, v18, 0
	v_mbcnt_hi_u32_b32 v84, v19, v4
	v_cmp_eq_u32_e64 s[34:35], 0, v84
	v_cmp_ne_u64_e64 s[36:37], 0, v[18:19]
	s_and_b64 s[36:37], s[36:37], s[34:35]
	; wave barrier
	s_and_saveexec_b64 s[34:35], s[36:37]
	s_cbranch_execz .LBB602_277
; %bb.276:                              ;   in Loop: Header=BB602_269 Depth=1
	v_bcnt_u32_b32 v4, v18, 0
	v_bcnt_u32_b32 v4, v19, v4
	s_waitcnt vmcnt(0) lgkmcnt(0)
	v_add_u32_e32 v4, v83, v4
	flat_store_dword v[68:69], v4
.LBB602_277:                            ;   in Loop: Header=BB602_269 Depth=1
	s_or_b64 exec, exec, s[34:35]
	; wave barrier
	s_waitcnt lgkmcnt(0)
	s_barrier
	flat_load_dwordx4 v[18:21], v[26:27] offset:16
	s_waitcnt vmcnt(0) lgkmcnt(0)
	v_add_u32_e32 v4, v19, v18
	v_add3_u32 v4, v4, v20, v21
	s_nop 1
	v_mov_b32_dpp v21, v4 row_shr:1 row_mask:0xf bank_mask:0xf
	v_cndmask_b32_e64 v21, v21, 0, vcc
	v_add_u32_e32 v4, v21, v4
	s_nop 1
	v_mov_b32_dpp v21, v4 row_shr:2 row_mask:0xf bank_mask:0xf
	v_cndmask_b32_e64 v21, 0, v21, s[4:5]
	v_add_u32_e32 v4, v4, v21
	s_nop 1
	v_mov_b32_dpp v21, v4 row_shr:4 row_mask:0xf bank_mask:0xf
	v_cndmask_b32_e64 v21, 0, v21, s[6:7]
	;; [unrolled: 4-line block ×3, first 2 shown]
	v_add_u32_e32 v4, v4, v21
	s_nop 1
	v_mov_b32_dpp v21, v4 row_bcast:15 row_mask:0xf bank_mask:0xf
	v_cndmask_b32_e64 v21, v21, 0, s[30:31]
	v_add_u32_e32 v4, v4, v21
	s_nop 1
	v_mov_b32_dpp v21, v4 row_bcast:31 row_mask:0xf bank_mask:0xf
	v_cndmask_b32_e64 v21, 0, v21, s[14:15]
	v_add_u32_e32 v4, v4, v21
	s_and_saveexec_b64 s[34:35], s[16:17]
	s_cbranch_execz .LBB602_279
; %bb.278:                              ;   in Loop: Header=BB602_269 Depth=1
	flat_store_dword v[30:31], v4
.LBB602_279:                            ;   in Loop: Header=BB602_269 Depth=1
	s_or_b64 exec, exec, s[34:35]
	s_waitcnt lgkmcnt(0)
	s_barrier
	s_and_saveexec_b64 s[34:35], s[18:19]
	s_cbranch_execz .LBB602_281
; %bb.280:                              ;   in Loop: Header=BB602_269 Depth=1
	flat_load_dword v21, v[28:29]
	s_waitcnt vmcnt(0) lgkmcnt(0)
	s_nop 0
	v_mov_b32_dpp v85, v21 row_shr:1 row_mask:0xf bank_mask:0xf
	v_cndmask_b32_e64 v85, v85, 0, s[26:27]
	v_add_u32_e32 v21, v85, v21
	s_nop 1
	v_mov_b32_dpp v85, v21 row_shr:2 row_mask:0xf bank_mask:0xf
	v_cndmask_b32_e64 v85, 0, v85, s[28:29]
	v_add_u32_e32 v21, v21, v85
	flat_store_dword v[28:29], v21
.LBB602_281:                            ;   in Loop: Header=BB602_269 Depth=1
	s_or_b64 exec, exec, s[34:35]
	v_mov_b32_e32 v21, 0
	s_waitcnt lgkmcnt(0)
	s_barrier
	s_and_saveexec_b64 s[34:35], s[20:21]
	s_cbranch_execz .LBB602_283
; %bb.282:                              ;   in Loop: Header=BB602_269 Depth=1
	flat_load_dword v21, v[32:33]
.LBB602_283:                            ;   in Loop: Header=BB602_269 Depth=1
	s_or_b64 exec, exec, s[34:35]
	s_waitcnt vmcnt(0) lgkmcnt(0)
	v_add_u32_e32 v4, v21, v4
	ds_bpermute_b32 v4, v99, v4
	v_add_u32_e32 v10, 8, v10
	v_cmp_lt_u32_e64 s[34:35], v10, v11
	s_mov_b64 s[44:45], -1
                                        ; implicit-def: $vgpr113
	s_waitcnt lgkmcnt(0)
	v_cndmask_b32_e64 v4, v4, v21, s[22:23]
	v_cndmask_b32_e64 v114, v4, 0, s[24:25]
	v_add_u32_e32 v115, v114, v18
	v_add_u32_e32 v116, v115, v19
	;; [unrolled: 1-line block ×3, first 2 shown]
	flat_store_dwordx4 v[26:27], v[114:117] offset:16
	s_waitcnt lgkmcnt(0)
	s_barrier
	flat_load_dword v4, v[54:55]
	flat_load_dword v18, v[64:65]
	;; [unrolled: 1-line block ×4, first 2 shown]
	v_mov_b32_e32 v19, v5
	v_mov_b32_e32 v21, v5
	;; [unrolled: 1-line block ×3, first 2 shown]
	s_waitcnt lgkmcnt(0)
                                        ; implicit-def: $vgpr116
                                        ; implicit-def: $vgpr115
                                        ; implicit-def: $vgpr114
                                        ; implicit-def: $vgpr64_vgpr65
	s_waitcnt vmcnt(0) lgkmcnt(0)
	v_add_u32_e32 v4, v4, v70
	v_add3_u32 v18, v80, v71, v18
	v_add3_u32 v20, v82, v81, v20
	v_add3_u32 v54, v84, v83, v85
	v_lshlrev_b64 v[84:85], 2, v[4:5]
	v_add_co_u32_e64 v96, s[36:37], v12, v84
	v_lshlrev_b64 v[80:81], 2, v[18:19]
	v_addc_co_u32_e64 v97, s[36:37], v13, v85, s[36:37]
	v_add_co_u32_e64 v86, s[36:37], v12, v80
	v_lshlrev_b64 v[68:69], 2, v[20:21]
	v_addc_co_u32_e64 v87, s[36:37], v13, v81, s[36:37]
	;; [unrolled: 3-line block ×3, first 2 shown]
	v_add_co_u32_e64 v70, s[36:37], v12, v66
	v_addc_co_u32_e64 v71, s[36:37], v13, v67, s[36:37]
                                        ; implicit-def: $vgpr18_vgpr19
                                        ; implicit-def: $vgpr20_vgpr21
                                        ; implicit-def: $vgpr54_vgpr55
	s_and_saveexec_b64 s[36:37], s[34:35]
	s_cbranch_execz .LBB602_268
; %bb.284:                              ;   in Loop: Header=BB602_269 Depth=1
	v_add_co_u32_e64 v18, s[34:35], v96, v84
	v_addc_co_u32_e64 v19, s[34:35], v97, v85, s[34:35]
	s_barrier
	flat_store_dword v[96:97], v112
	flat_store_dword v[86:87], v103
	;; [unrolled: 1-line block ×4, first 2 shown]
	s_waitcnt lgkmcnt(0)
	s_barrier
	flat_load_dword v113, v[38:39]
	flat_load_dword v114, v[38:39] offset:256
	flat_load_dword v115, v[38:39] offset:512
	;; [unrolled: 1-line block ×3, first 2 shown]
	s_waitcnt lgkmcnt(0)
	s_barrier
	flat_store_dwordx2 v[18:19], v[52:53]
	v_add_co_u32_e64 v18, s[34:35], v86, v80
	v_addc_co_u32_e64 v19, s[34:35], v87, v81, s[34:35]
	flat_store_dwordx2 v[18:19], v[48:49]
	v_add_co_u32_e64 v18, s[34:35], v82, v68
	v_addc_co_u32_e64 v19, s[34:35], v83, v69, s[34:35]
	;; [unrolled: 3-line block ×3, first 2 shown]
	flat_store_dwordx2 v[18:19], v[34:35]
	s_waitcnt lgkmcnt(0)
	s_barrier
	flat_load_dwordx2 v[18:19], v[50:51]
	flat_load_dwordx2 v[20:21], v[50:51] offset:512
	flat_load_dwordx2 v[54:55], v[50:51] offset:1024
	;; [unrolled: 1-line block ×3, first 2 shown]
	v_add_u32_e32 v100, -8, v100
	s_xor_b64 s[44:45], exec, -1
	s_waitcnt lgkmcnt(0)
	s_barrier
	s_branch .LBB602_268
.LBB602_285:
	flat_load_dwordx2 v[66:67], v[4:5]
	s_or_b64 exec, exec, s[22:23]
                                        ; implicit-def: $vgpr68_vgpr69
	s_and_saveexec_b64 s[22:23], s[4:5]
	s_cbranch_execz .LBB602_163
.LBB602_286:
	flat_load_dwordx2 v[68:69], v[4:5] offset:512
	s_or_b64 exec, exec, s[22:23]
                                        ; implicit-def: $vgpr80_vgpr81
	s_and_saveexec_b64 s[4:5], s[6:7]
	s_cbranch_execz .LBB602_164
.LBB602_287:
	flat_load_dwordx2 v[80:81], v[4:5] offset:1024
	s_or_b64 exec, exec, s[4:5]
                                        ; implicit-def: $vgpr114_vgpr115
	s_and_saveexec_b64 s[4:5], s[10:11]
	s_cbranch_execz .LBB602_165
.LBB602_288:
	flat_load_dwordx2 v[114:115], v[4:5] offset:1536
	s_or_b64 exec, exec, s[4:5]
                                        ; implicit-def: $vgpr134_vgpr135
	s_and_saveexec_b64 s[4:5], s[20:21]
	s_cbranch_execz .LBB602_166
.LBB602_289:
	flat_load_dwordx2 v[134:135], v[4:5] offset:2048
	s_or_b64 exec, exec, s[4:5]
                                        ; implicit-def: $vgpr144_vgpr145
	s_and_saveexec_b64 s[4:5], s[14:15]
	s_cbranch_execz .LBB602_167
.LBB602_290:
	flat_load_dwordx2 v[144:145], v[4:5] offset:2560
	s_or_b64 exec, exec, s[4:5]
                                        ; implicit-def: $vgpr146_vgpr147
	s_and_saveexec_b64 s[4:5], s[16:17]
	s_cbranch_execz .LBB602_168
.LBB602_291:
	flat_load_dwordx2 v[146:147], v[4:5] offset:3072
	s_or_b64 exec, exec, s[4:5]
                                        ; implicit-def: $vgpr148_vgpr149
	s_and_saveexec_b64 s[4:5], s[18:19]
	s_cbranch_execnz .LBB602_169
	s_branch .LBB602_170
.LBB602_292:
	s_waitcnt vmcnt(0)
	flat_store_dwordx2 v[0:1], v[24:25]
	s_or_b64 exec, exec, s[24:25]
	s_and_saveexec_b64 s[4:5], s[10:11]
	s_cbranch_execz .LBB602_244
.LBB602_293:
	s_waitcnt vmcnt(0)
	flat_store_dwordx2 v[0:1], v[20:21] offset:2048
	s_or_b64 exec, exec, s[4:5]
	s_and_saveexec_b64 s[4:5], s[16:17]
	s_cbranch_execz .LBB602_245
.LBB602_294:
	v_add_co_u32_e32 v2, vcc, 0x1000, v0
	v_addc_co_u32_e32 v3, vcc, 0, v1, vcc
	s_waitcnt vmcnt(0)
	flat_store_dwordx2 v[2:3], v[18:19]
	s_or_b64 exec, exec, s[4:5]
	s_and_saveexec_b64 s[4:5], s[22:23]
	s_cbranch_execz .LBB602_246
.LBB602_295:
	v_add_co_u32_e32 v2, vcc, 0x1000, v0
	v_addc_co_u32_e32 v3, vcc, 0, v1, vcc
	s_waitcnt vmcnt(0)
	flat_store_dwordx2 v[2:3], v[14:15] offset:2048
	s_or_b64 exec, exec, s[4:5]
	s_and_saveexec_b64 s[4:5], s[6:7]
	s_cbranch_execz .LBB602_247
.LBB602_296:
	v_add_co_u32_e32 v2, vcc, 0x2000, v0
	v_addc_co_u32_e32 v3, vcc, 0, v1, vcc
	s_waitcnt vmcnt(0)
	flat_store_dwordx2 v[2:3], v[16:17]
	s_or_b64 exec, exec, s[4:5]
	s_and_saveexec_b64 s[4:5], s[14:15]
	s_cbranch_execz .LBB602_248
.LBB602_297:
	v_add_co_u32_e32 v2, vcc, 0x2000, v0
	v_addc_co_u32_e32 v3, vcc, 0, v1, vcc
	s_waitcnt vmcnt(0)
	flat_store_dwordx2 v[2:3], v[12:13] offset:2048
	s_or_b64 exec, exec, s[4:5]
	s_and_saveexec_b64 s[4:5], s[18:19]
	s_cbranch_execz .LBB602_249
.LBB602_298:
	v_add_co_u32_e32 v2, vcc, 0x3000, v0
	v_addc_co_u32_e32 v3, vcc, 0, v1, vcc
	s_waitcnt vmcnt(0)
	flat_store_dwordx2 v[2:3], v[10:11]
	s_or_b64 exec, exec, s[4:5]
	s_and_saveexec_b64 s[4:5], s[20:21]
	s_cbranch_execnz .LBB602_250
	s_branch .LBB602_251
.LBB602_299:
	s_or_b64 exec, exec, s[40:41]
	v_add_co_u32_e32 v4, vcc, v96, v84
	v_addc_co_u32_e32 v5, vcc, v97, v85, vcc
	s_barrier
	flat_store_dword v[96:97], v112
	flat_store_dword v[86:87], v103
	;; [unrolled: 1-line block ×4, first 2 shown]
	s_waitcnt lgkmcnt(0)
	s_barrier
	s_waitcnt vmcnt(0)
	flat_load_dword v19, v[28:29]
	flat_load_dword v18, v[28:29] offset:1024
	flat_load_dword v17, v[28:29] offset:2048
	;; [unrolled: 1-line block ×3, first 2 shown]
	s_waitcnt lgkmcnt(0)
	s_barrier
	flat_store_dwordx2 v[4:5], v[52:53]
	v_add_co_u32_e32 v4, vcc, v86, v80
	v_addc_co_u32_e32 v5, vcc, v87, v81, vcc
	flat_store_dwordx2 v[4:5], v[48:49]
	v_add_co_u32_e32 v4, vcc, v82, v68
	v_addc_co_u32_e32 v5, vcc, v83, v69, vcc
	;; [unrolled: 3-line block ×3, first 2 shown]
	v_lshlrev_b32_e32 v1, 3, v22
	v_add_co_u32_e32 v20, vcc, v12, v1
	v_addc_co_u32_e32 v21, vcc, 0, v13, vcc
	s_movk_i32 s4, 0x1000
	v_add_co_u32_e32 v22, vcc, s4, v20
	flat_store_dwordx2 v[4:5], v[34:35]
	s_waitcnt lgkmcnt(0)
	s_barrier
	v_addc_co_u32_e32 v23, vcc, 0, v21, vcc
	flat_load_dwordx2 v[14:15], v[20:21]
	flat_load_dwordx2 v[12:13], v[20:21] offset:2048
	flat_load_dwordx2 v[10:11], v[22:23]
	flat_load_dwordx2 v[4:5], v[22:23] offset:2048
	v_mov_b32_e32 v1, 0
	v_add_co_u32_e32 v20, vcc, v2, v24
	v_addc_co_u32_e32 v21, vcc, v3, v25, vcc
	v_lshlrev_b64 v[2:3], 2, v[0:1]
	v_add_co_u32_e32 v2, vcc, v20, v2
	v_addc_co_u32_e32 v3, vcc, v21, v3, vcc
	v_cmp_lt_u32_e32 vcc, v0, v152
	s_waitcnt lgkmcnt(0)
	s_barrier
	s_and_saveexec_b64 s[4:5], vcc
	s_cbranch_execz .LBB602_301
; %bb.300:
	s_waitcnt vmcnt(0)
	v_xor_b32_e32 v19, 0x80000000, v19
	flat_store_dword v[2:3], v19
.LBB602_301:
	s_or_b64 exec, exec, s[4:5]
	s_waitcnt vmcnt(0)
	v_add_u32_e32 v19, 0x100, v0
	v_cmp_lt_u32_e64 s[4:5], v19, v152
	s_and_saveexec_b64 s[6:7], s[4:5]
	s_cbranch_execz .LBB602_303
; %bb.302:
	v_xor_b32_e32 v18, 0x80000000, v18
	flat_store_dword v[2:3], v18 offset:1024
.LBB602_303:
	s_or_b64 exec, exec, s[6:7]
	v_add_u32_e32 v18, 0x200, v0
	v_cmp_lt_u32_e64 s[10:11], v18, v152
	s_and_saveexec_b64 s[6:7], s[10:11]
	s_cbranch_execz .LBB602_305
; %bb.304:
	v_xor_b32_e32 v17, 0x80000000, v17
	flat_store_dword v[2:3], v17 offset:2048
.LBB602_305:
	s_or_b64 exec, exec, s[6:7]
	;; [unrolled: 9-line block ×3, first 2 shown]
	v_add_co_u32_e64 v2, s[14:15], v6, v8
	v_addc_co_u32_e64 v3, s[14:15], v7, v9, s[14:15]
	v_lshlrev_b64 v[0:1], 3, v[0:1]
	v_add_co_u32_e64 v0, s[14:15], v2, v0
	v_addc_co_u32_e64 v1, s[14:15], v3, v1, s[14:15]
	s_and_saveexec_b64 s[14:15], vcc
	s_cbranch_execnz .LBB602_340
; %bb.308:
	s_or_b64 exec, exec, s[14:15]
	s_and_saveexec_b64 s[14:15], s[4:5]
	s_cbranch_execnz .LBB602_341
.LBB602_309:
	s_or_b64 exec, exec, s[14:15]
	s_and_saveexec_b64 s[4:5], s[10:11]
	s_cbranch_execnz .LBB602_342
.LBB602_310:
	s_or_b64 exec, exec, s[4:5]
	s_and_saveexec_b64 s[4:5], s[6:7]
	s_cbranch_execz .LBB602_312
.LBB602_311:
	v_add_co_u32_e32 v0, vcc, 0x1000, v0
	v_addc_co_u32_e32 v1, vcc, 0, v1, vcc
	flat_store_dwordx2 v[0:1], v[4:5] offset:2048
.LBB602_312:
	s_or_b64 exec, exec, s[4:5]
                                        ; implicit-def: $vgpr152
                                        ; implicit-def: $vgpr0
                                        ; implicit-def: $vgpr1
                                        ; implicit-def: $vgpr2
                                        ; implicit-def: $vgpr3
                                        ; implicit-def: $vgpr4
                                        ; implicit-def: $vgpr5
                                        ; implicit-def: $vgpr6
                                        ; implicit-def: $vgpr7
                                        ; implicit-def: $vgpr8
                                        ; implicit-def: $vgpr10
                                        ; implicit-def: $vgpr11
                                        ; implicit-def: $vgpr12
                                        ; implicit-def: $vgpr13
                                        ; implicit-def: $vgpr31
                                        ; implicit-def: $vgpr14
                                        ; implicit-def: $vgpr16
                                        ; implicit-def: $vgpr15
.LBB602_313:
	s_andn2_saveexec_b64 s[4:5], s[38:39]
	s_cbranch_execz .LBB602_372
; %bb.314:
	s_load_dwordx2 s[4:5], s[8:9], 0x0
	v_mov_b32_e32 v9, 0
	s_waitcnt vmcnt(0)
	v_and_b32_e32 v26, 0x3ff, v31
	v_lshlrev_b64 v[24:25], 2, v[8:9]
	s_waitcnt lgkmcnt(0)
	s_cmp_lt_u32 s12, s4
	s_cselect_b32 s6, 12, 18
	s_cmp_lt_u32 s13, s5
	s_cselect_b32 s4, 14, 20
	s_add_u32 s4, s8, s4
	s_addc_u32 s5, s9, 0
	s_add_u32 s6, s8, s6
	global_load_ushort v17, v9, s[4:5]
	s_addc_u32 s7, s9, 0
	global_load_ushort v18, v9, s[6:7]
	s_movk_i32 s4, 0x100
	v_cmp_lt_u32_e32 vcc, s4, v152
	s_waitcnt vmcnt(1)
	v_mad_u32_u24 v14, v16, v17, v14
	s_waitcnt vmcnt(0)
	v_mad_u64_u32 v[22:23], s[4:5], v14, v18, v[26:27]
	s_and_saveexec_b64 s[4:5], vcc
	s_xor_b64 s[34:35], exec, s[4:5]
	s_cbranch_execz .LBB602_352
; %bb.315:
	v_mbcnt_hi_u32_b32 v32, -1, v15
	v_add_co_u32_e32 v0, vcc, v0, v24
	v_and_b32_e32 v34, 63, v32
	v_lshlrev_b32_e32 v14, 1, v22
	v_addc_co_u32_e32 v1, vcc, v1, v25, vcc
	v_and_b32_e32 v16, 0xffffff80, v14
	v_lshlrev_b32_e32 v14, 2, v34
	v_add_co_u32_e32 v14, vcc, v0, v14
	v_mov_b32_e32 v17, v9
	v_addc_co_u32_e32 v15, vcc, 0, v1, vcc
	v_lshlrev_b64 v[0:1], 2, v[16:17]
	v_add_co_u32_e32 v0, vcc, v14, v0
	s_brev_b32 s4, -2
	v_addc_co_u32_e32 v1, vcc, v15, v1, vcc
	v_or_b32_e32 v18, v34, v16
	s_mov_b32 s5, s4
	v_cmp_lt_u32_e32 vcc, v18, v152
	v_pk_mov_b32 v[14:15], s[4:5], s[4:5] op_sel:[0,1]
	s_and_saveexec_b64 s[4:5], vcc
	s_cbranch_execz .LBB602_317
; %bb.316:
	flat_load_dword v14, v[0:1]
	v_bfrev_b32_e32 v15, -2
.LBB602_317:
	s_or_b64 exec, exec, s[4:5]
	v_or_b32_e32 v18, 64, v18
	v_cmp_lt_u32_e64 s[4:5], v18, v152
	s_and_saveexec_b64 s[6:7], s[4:5]
	s_cbranch_execz .LBB602_319
; %bb.318:
	flat_load_dword v15, v[0:1] offset:256
.LBB602_319:
	s_or_b64 exec, exec, s[6:7]
	v_lshlrev_b64 v[0:1], 3, v[8:9]
	v_add_co_u32_e64 v4, s[6:7], v4, v0
	v_addc_co_u32_e64 v5, s[6:7], v5, v1, s[6:7]
	v_lshlrev_b32_e32 v8, 3, v34
	v_add_co_u32_e64 v8, s[6:7], v4, v8
	v_addc_co_u32_e64 v9, s[6:7], 0, v5, s[6:7]
	v_lshlrev_b64 v[4:5], 3, v[16:17]
	v_add_co_u32_e64 v4, s[6:7], v8, v4
	v_addc_co_u32_e64 v5, s[6:7], v9, v5, s[6:7]
                                        ; implicit-def: $vgpr18_vgpr19
	s_and_saveexec_b64 s[6:7], vcc
	s_cbranch_execz .LBB602_321
; %bb.320:
	flat_load_dwordx2 v[18:19], v[4:5]
.LBB602_321:
	s_or_b64 exec, exec, s[6:7]
                                        ; implicit-def: $vgpr20_vgpr21
	s_and_saveexec_b64 s[6:7], s[4:5]
	s_cbranch_execz .LBB602_323
; %bb.322:
	flat_load_dwordx2 v[20:21], v[4:5] offset:512
.LBB602_323:
	s_or_b64 exec, exec, s[6:7]
	s_waitcnt vmcnt(0) lgkmcnt(0)
	v_xor_b32_e32 v80, 0x80000000, v15
	v_add_co_u32_e32 v23, vcc, 16, v12
	v_and_b32_e32 v15, 0x3c0, v26
	v_addc_co_u32_e32 v27, vcc, 0, v13, vcc
	v_lshlrev_b32_e32 v8, 4, v26
	v_min_u32_e32 v15, 0xc0, v15
	v_add_co_u32_e32 v8, vcc, v12, v8
	v_or_b32_e32 v15, 63, v15
	v_xor_b32_e32 v71, 0x80000000, v14
	s_getpc_b64 s[4:5]
	s_add_u32 s4, s4, _ZN7rocprim17ROCPRIM_400000_NS16block_radix_sortIiLj256ELj2ElLj1ELj1ELj8ELNS0_26block_radix_rank_algorithmE2ELNS0_18block_padding_hintE2ELNS0_4arch9wavefront6targetE1EE19radix_bits_per_passE@rel32@lo+4
	s_addc_u32 s5, s5, _ZN7rocprim17ROCPRIM_400000_NS16block_radix_sortIiLj256ELj2ElLj1ELj1ELj8ELNS0_26block_radix_rank_algorithmE2ELNS0_18block_padding_hintE2ELNS0_4arch9wavefront6targetE1EE19radix_bits_per_passE@rel32@hi+12
	v_addc_co_u32_e32 v9, vcc, 0, v13, vcc
	v_and_b32_e32 v14, 15, v32
	v_cmp_eq_u32_e64 s[14:15], v15, v26
	v_add_u32_e32 v15, -1, v32
	v_and_b32_e32 v16, 64, v32
	s_load_dword s40, s[4:5], 0x0
	v_cmp_eq_u32_e32 vcc, 0, v14
	v_cmp_lt_u32_e64 s[4:5], 1, v14
	v_cmp_lt_u32_e64 s[6:7], 3, v14
	;; [unrolled: 1-line block ×3, first 2 shown]
	v_and_b32_e32 v14, 16, v32
	v_cmp_lt_i32_e64 s[20:21], v15, v16
	v_cmp_eq_u32_e64 s[10:11], 0, v14
	v_lshrrev_b32_e32 v14, 6, v26
	v_cndmask_b32_e64 v15, v15, v32, s[20:21]
	v_lshlrev_b32_e32 v67, 2, v15
	v_lshlrev_b32_e32 v15, 2, v14
	v_add_co_u32_e64 v30, s[24:25], v12, v15
	v_lshlrev_b32_e32 v4, 2, v26
	v_addc_co_u32_e64 v31, s[24:25], 0, v13, s[24:25]
	v_add_co_u32_e64 v28, s[24:25], v12, v4
	v_addc_co_u32_e64 v29, s[24:25], 0, v13, s[24:25]
	v_and_b32_e32 v4, 3, v32
	v_mov_b32_e32 v5, 0
	v_cmp_eq_u32_e64 s[24:25], 0, v4
	v_cmp_lt_u32_e64 s[26:27], 1, v4
	v_add_u32_e32 v4, -1, v14
	v_lshlrev_b64 v[14:15], 2, v[4:5]
	v_cmp_lt_u32_e64 s[12:13], 31, v32
	v_cmp_eq_u32_e64 s[20:21], 0, v32
	v_add_co_u32_e64 v32, s[28:29], v12, v14
	v_addc_co_u32_e64 v33, s[28:29], v13, v15, s[28:29]
	v_lshlrev_b32_e32 v4, 1, v26
	s_movk_i32 s28, 0x780
	v_and_or_b32 v4, v4, s28, v34
	v_lshlrev_b32_e32 v4, 2, v4
	v_add_co_u32_e64 v36, s[28:29], v12, v4
	v_addc_co_u32_e64 v37, s[28:29], 0, v13, s[28:29]
	v_add_co_u32_e64 v38, s[28:29], v36, v4
	v_lshrrev_b32_e32 v66, 6, v22
	v_cmp_gt_u32_e64 s[16:17], 4, v26
	v_cmp_lt_u32_e64 s[18:19], 63, v26
	v_cmp_eq_u32_e64 s[22:23], 0, v26
	v_addc_co_u32_e64 v39, s[28:29], 0, v37, s[28:29]
	v_sub_u32_e32 v68, v11, v10
	s_mov_b64 s[36:37], 0
	v_mov_b32_e32 v14, v5
	v_mov_b32_e32 v15, v5
	;; [unrolled: 1-line block ×4, first 2 shown]
	s_waitcnt lgkmcnt(0)
	s_barrier
	s_branch .LBB602_325
.LBB602_324:                            ;   in Loop: Header=BB602_325 Depth=1
	s_or_b64 exec, exec, s[30:31]
	s_and_b64 s[28:29], exec, s[38:39]
	s_or_b64 s[36:37], s[28:29], s[36:37]
	s_andn2_b64 exec, exec, s[36:37]
	s_cbranch_execz .LBB602_343
.LBB602_325:                            ; =>This Inner Loop Header: Depth=1
	v_min_u32_e32 v4, s40, v68
	s_waitcnt vmcnt(0)
	v_mov_b32_e32 v70, v71
	v_lshlrev_b32_e64 v4, v4, -1
	v_pk_mov_b32 v[34:35], v[20:21], v[20:21] op_sel:[0,1]
	v_not_b32_e32 v20, v4
	v_lshrrev_b32_e32 v4, v10, v70
	v_and_b32_e32 v21, v4, v20
	v_lshl_add_u32 v4, v21, 2, v66
	v_pk_mov_b32 v[48:49], v[18:19], v[18:19] op_sel:[0,1]
	v_lshlrev_b64 v[18:19], 2, v[4:5]
	v_add_co_u32_e64 v50, s[28:29], v23, v18
	v_addc_co_u32_e64 v51, s[28:29], v27, v19, s[28:29]
	v_and_b32_e32 v4, 1, v21
	v_add_co_u32_e64 v18, s[28:29], -1, v4
	v_addc_co_u32_e64 v19, s[28:29], 0, -1, s[28:29]
	v_cmp_ne_u32_e64 s[28:29], 0, v4
	v_xor_b32_e32 v18, s28, v18
	v_xor_b32_e32 v4, s29, v19
	v_and_b32_e32 v52, exec_lo, v18
	v_lshlrev_b32_e32 v19, 30, v21
	v_mov_b32_e32 v18, v5
	v_cmp_gt_i64_e64 s[28:29], 0, v[18:19]
	v_not_b32_e32 v18, v19
	v_ashrrev_i32_e32 v18, 31, v18
	v_and_b32_e32 v4, exec_hi, v4
	v_xor_b32_e32 v19, s29, v18
	v_xor_b32_e32 v18, s28, v18
	v_and_b32_e32 v4, v4, v19
	v_and_b32_e32 v52, v52, v18
	v_lshlrev_b32_e32 v19, 29, v21
	v_mov_b32_e32 v18, v5
	v_cmp_gt_i64_e64 s[28:29], 0, v[18:19]
	v_not_b32_e32 v18, v19
	v_ashrrev_i32_e32 v18, 31, v18
	v_xor_b32_e32 v19, s29, v18
	v_xor_b32_e32 v18, s28, v18
	v_and_b32_e32 v4, v4, v19
	v_and_b32_e32 v52, v52, v18
	v_lshlrev_b32_e32 v19, 28, v21
	v_mov_b32_e32 v18, v5
	v_cmp_gt_i64_e64 s[28:29], 0, v[18:19]
	v_not_b32_e32 v18, v19
	v_ashrrev_i32_e32 v18, 31, v18
	;; [unrolled: 9-line block ×6, first 2 shown]
	v_xor_b32_e32 v19, s29, v18
	v_xor_b32_e32 v18, s28, v18
	v_and_b32_e32 v18, v52, v18
	v_and_b32_e32 v19, v4, v19
	v_mbcnt_lo_u32_b32 v4, v18, 0
	v_mbcnt_hi_u32_b32 v54, v19, v4
	v_cmp_eq_u32_e64 s[28:29], 0, v54
	v_cmp_ne_u64_e64 s[30:31], 0, v[18:19]
	v_mov_b32_e32 v69, v80
	s_and_b64 s[30:31], s[30:31], s[28:29]
	flat_store_dwordx4 v[8:9], v[14:17] offset:16
	s_waitcnt lgkmcnt(0)
	s_barrier
	s_waitcnt lgkmcnt(0)
	; wave barrier
	s_and_saveexec_b64 s[28:29], s[30:31]
	s_cbranch_execz .LBB602_327
; %bb.326:                              ;   in Loop: Header=BB602_325 Depth=1
	v_bcnt_u32_b32 v4, v18, 0
	v_bcnt_u32_b32 v4, v19, v4
	flat_store_dword v[50:51], v4
.LBB602_327:                            ;   in Loop: Header=BB602_325 Depth=1
	s_or_b64 exec, exec, s[28:29]
	v_lshrrev_b32_e32 v4, v10, v69
	v_and_b32_e32 v20, v4, v20
	v_lshl_add_u32 v4, v20, 2, v66
	v_lshlrev_b64 v[18:19], 2, v[4:5]
	v_add_co_u32_e64 v52, s[28:29], v23, v18
	v_addc_co_u32_e64 v53, s[28:29], v27, v19, s[28:29]
	; wave barrier
	flat_load_dword v55, v[52:53]
	v_and_b32_e32 v4, 1, v20
	v_add_co_u32_e64 v18, s[28:29], -1, v4
	v_addc_co_u32_e64 v19, s[28:29], 0, -1, s[28:29]
	v_cmp_ne_u32_e64 s[28:29], 0, v4
	v_xor_b32_e32 v18, s28, v18
	v_xor_b32_e32 v4, s29, v19
	v_and_b32_e32 v21, exec_lo, v18
	v_lshlrev_b32_e32 v19, 30, v20
	v_mov_b32_e32 v18, v5
	v_cmp_gt_i64_e64 s[28:29], 0, v[18:19]
	v_not_b32_e32 v18, v19
	v_ashrrev_i32_e32 v18, 31, v18
	v_and_b32_e32 v4, exec_hi, v4
	v_xor_b32_e32 v19, s29, v18
	v_xor_b32_e32 v18, s28, v18
	v_and_b32_e32 v4, v4, v19
	v_and_b32_e32 v21, v21, v18
	v_lshlrev_b32_e32 v19, 29, v20
	v_mov_b32_e32 v18, v5
	v_cmp_gt_i64_e64 s[28:29], 0, v[18:19]
	v_not_b32_e32 v18, v19
	v_ashrrev_i32_e32 v18, 31, v18
	v_xor_b32_e32 v19, s29, v18
	v_xor_b32_e32 v18, s28, v18
	v_and_b32_e32 v4, v4, v19
	v_and_b32_e32 v21, v21, v18
	v_lshlrev_b32_e32 v19, 28, v20
	v_mov_b32_e32 v18, v5
	v_cmp_gt_i64_e64 s[28:29], 0, v[18:19]
	v_not_b32_e32 v18, v19
	v_ashrrev_i32_e32 v18, 31, v18
	;; [unrolled: 9-line block ×6, first 2 shown]
	v_xor_b32_e32 v19, s29, v18
	v_xor_b32_e32 v18, s28, v18
	v_and_b32_e32 v18, v21, v18
	v_and_b32_e32 v19, v4, v19
	v_mbcnt_lo_u32_b32 v4, v18, 0
	v_mbcnt_hi_u32_b32 v64, v19, v4
	v_cmp_eq_u32_e64 s[28:29], 0, v64
	v_cmp_ne_u64_e64 s[30:31], 0, v[18:19]
	s_and_b64 s[30:31], s[30:31], s[28:29]
	; wave barrier
	s_and_saveexec_b64 s[28:29], s[30:31]
	s_cbranch_execz .LBB602_329
; %bb.328:                              ;   in Loop: Header=BB602_325 Depth=1
	v_bcnt_u32_b32 v4, v18, 0
	v_bcnt_u32_b32 v4, v19, v4
	s_waitcnt vmcnt(0) lgkmcnt(0)
	v_add_u32_e32 v4, v55, v4
	flat_store_dword v[52:53], v4
.LBB602_329:                            ;   in Loop: Header=BB602_325 Depth=1
	s_or_b64 exec, exec, s[28:29]
	; wave barrier
	s_waitcnt lgkmcnt(0)
	s_barrier
	flat_load_dwordx4 v[18:21], v[8:9] offset:16
	s_waitcnt vmcnt(0) lgkmcnt(0)
	v_add_u32_e32 v4, v19, v18
	v_add3_u32 v4, v4, v20, v21
	s_nop 1
	v_mov_b32_dpp v21, v4 row_shr:1 row_mask:0xf bank_mask:0xf
	v_cndmask_b32_e64 v21, v21, 0, vcc
	v_add_u32_e32 v4, v21, v4
	s_nop 1
	v_mov_b32_dpp v21, v4 row_shr:2 row_mask:0xf bank_mask:0xf
	v_cndmask_b32_e64 v21, 0, v21, s[4:5]
	v_add_u32_e32 v4, v4, v21
	s_nop 1
	v_mov_b32_dpp v21, v4 row_shr:4 row_mask:0xf bank_mask:0xf
	v_cndmask_b32_e64 v21, 0, v21, s[6:7]
	;; [unrolled: 4-line block ×3, first 2 shown]
	v_add_u32_e32 v4, v4, v21
	s_nop 1
	v_mov_b32_dpp v21, v4 row_bcast:15 row_mask:0xf bank_mask:0xf
	v_cndmask_b32_e64 v21, v21, 0, s[10:11]
	v_add_u32_e32 v4, v4, v21
	s_nop 1
	v_mov_b32_dpp v21, v4 row_bcast:31 row_mask:0xf bank_mask:0xf
	v_cndmask_b32_e64 v21, 0, v21, s[12:13]
	v_add_u32_e32 v4, v4, v21
	s_and_saveexec_b64 s[28:29], s[14:15]
	s_cbranch_execz .LBB602_331
; %bb.330:                              ;   in Loop: Header=BB602_325 Depth=1
	flat_store_dword v[30:31], v4
.LBB602_331:                            ;   in Loop: Header=BB602_325 Depth=1
	s_or_b64 exec, exec, s[28:29]
	s_waitcnt lgkmcnt(0)
	s_barrier
	s_and_saveexec_b64 s[28:29], s[16:17]
	s_cbranch_execz .LBB602_333
; %bb.332:                              ;   in Loop: Header=BB602_325 Depth=1
	flat_load_dword v21, v[28:29]
	s_waitcnt vmcnt(0) lgkmcnt(0)
	s_nop 0
	v_mov_b32_dpp v65, v21 row_shr:1 row_mask:0xf bank_mask:0xf
	v_cndmask_b32_e64 v65, v65, 0, s[24:25]
	v_add_u32_e32 v21, v65, v21
	s_nop 1
	v_mov_b32_dpp v65, v21 row_shr:2 row_mask:0xf bank_mask:0xf
	v_cndmask_b32_e64 v65, 0, v65, s[26:27]
	v_add_u32_e32 v21, v21, v65
	flat_store_dword v[28:29], v21
.LBB602_333:                            ;   in Loop: Header=BB602_325 Depth=1
	s_or_b64 exec, exec, s[28:29]
	v_mov_b32_e32 v21, 0
	s_waitcnt lgkmcnt(0)
	s_barrier
	s_and_saveexec_b64 s[28:29], s[18:19]
	s_cbranch_execz .LBB602_335
; %bb.334:                              ;   in Loop: Header=BB602_325 Depth=1
	flat_load_dword v21, v[32:33]
.LBB602_335:                            ;   in Loop: Header=BB602_325 Depth=1
	s_or_b64 exec, exec, s[28:29]
	s_waitcnt vmcnt(0) lgkmcnt(0)
	v_add_u32_e32 v4, v21, v4
	ds_bpermute_b32 v4, v67, v4
	v_add_u32_e32 v10, 8, v10
	v_cmp_lt_u32_e64 s[28:29], v10, v11
	s_mov_b64 s[38:39], -1
                                        ; implicit-def: $vgpr71
	s_waitcnt lgkmcnt(0)
	v_cndmask_b32_e64 v4, v4, v21, s[20:21]
	v_cndmask_b32_e64 v80, v4, 0, s[22:23]
	v_add_u32_e32 v81, v80, v18
	v_add_u32_e32 v82, v81, v19
	;; [unrolled: 1-line block ×3, first 2 shown]
	flat_store_dwordx4 v[8:9], v[80:83] offset:16
	s_waitcnt lgkmcnt(0)
	s_barrier
	flat_load_dword v4, v[50:51]
	flat_load_dword v18, v[52:53]
	v_mov_b32_e32 v19, v5
	s_waitcnt lgkmcnt(0)
                                        ; implicit-def: $vgpr80
                                        ; implicit-def: $vgpr20_vgpr21
	s_waitcnt vmcnt(0) lgkmcnt(0)
	v_add_u32_e32 v4, v4, v54
	v_add3_u32 v18, v64, v55, v18
	v_lshlrev_b64 v[54:55], 2, v[4:5]
	v_add_co_u32_e64 v64, s[30:31], v12, v54
	v_lshlrev_b64 v[50:51], 2, v[18:19]
	v_addc_co_u32_e64 v65, s[30:31], v13, v55, s[30:31]
	v_add_co_u32_e64 v52, s[30:31], v12, v50
	v_addc_co_u32_e64 v53, s[30:31], v13, v51, s[30:31]
                                        ; implicit-def: $vgpr18_vgpr19
	s_and_saveexec_b64 s[30:31], s[28:29]
	s_cbranch_execz .LBB602_324
; %bb.336:                              ;   in Loop: Header=BB602_325 Depth=1
	v_add_co_u32_e64 v18, s[28:29], v64, v54
	v_addc_co_u32_e64 v19, s[28:29], v65, v55, s[28:29]
	s_barrier
	flat_store_dword v[64:65], v70
	flat_store_dword v[52:53], v69
	s_waitcnt lgkmcnt(0)
	s_barrier
	flat_load_dword v71, v[36:37]
	flat_load_dword v80, v[36:37] offset:256
	s_waitcnt lgkmcnt(0)
	s_barrier
	flat_store_dwordx2 v[18:19], v[48:49]
	v_add_co_u32_e64 v18, s[28:29], v52, v50
	v_addc_co_u32_e64 v19, s[28:29], v53, v51, s[28:29]
	flat_store_dwordx2 v[18:19], v[34:35]
	s_waitcnt lgkmcnt(0)
	s_barrier
	flat_load_dwordx2 v[18:19], v[38:39]
	flat_load_dwordx2 v[20:21], v[38:39] offset:512
	v_add_u32_e32 v68, -8, v68
	s_xor_b64 s[38:39], exec, -1
	s_waitcnt lgkmcnt(0)
	s_barrier
	s_branch .LBB602_324
.LBB602_337:
	flat_load_dwordx2 v[18:19], v[4:5]
	s_or_b64 exec, exec, s[14:15]
                                        ; implicit-def: $vgpr20_vgpr21
	s_and_saveexec_b64 s[14:15], s[4:5]
	s_cbranch_execz .LBB602_264
.LBB602_338:
	flat_load_dwordx2 v[20:21], v[4:5] offset:512
	s_or_b64 exec, exec, s[14:15]
                                        ; implicit-def: $vgpr54_vgpr55
	s_and_saveexec_b64 s[4:5], s[6:7]
	s_cbranch_execz .LBB602_265
.LBB602_339:
	flat_load_dwordx2 v[54:55], v[4:5] offset:1024
	s_or_b64 exec, exec, s[4:5]
                                        ; implicit-def: $vgpr64_vgpr65
	s_and_saveexec_b64 s[4:5], s[10:11]
	s_cbranch_execnz .LBB602_266
	s_branch .LBB602_267
.LBB602_340:
	flat_store_dwordx2 v[0:1], v[14:15]
	s_or_b64 exec, exec, s[14:15]
	s_and_saveexec_b64 s[14:15], s[4:5]
	s_cbranch_execz .LBB602_309
.LBB602_341:
	flat_store_dwordx2 v[0:1], v[12:13] offset:2048
	s_or_b64 exec, exec, s[14:15]
	s_and_saveexec_b64 s[4:5], s[10:11]
	s_cbranch_execz .LBB602_310
.LBB602_342:
	v_add_co_u32_e32 v2, vcc, 0x1000, v0
	v_addc_co_u32_e32 v3, vcc, 0, v1, vcc
	flat_store_dwordx2 v[2:3], v[10:11]
	s_or_b64 exec, exec, s[4:5]
	s_and_saveexec_b64 s[4:5], s[6:7]
	s_cbranch_execnz .LBB602_311
	s_branch .LBB602_312
.LBB602_343:
	s_or_b64 exec, exec, s[36:37]
	v_add_co_u32_e32 v4, vcc, v64, v54
	v_addc_co_u32_e32 v5, vcc, v65, v55, vcc
	s_barrier
	flat_store_dword v[64:65], v70
	flat_store_dword v[52:53], v69
	s_waitcnt lgkmcnt(0)
	s_barrier
	flat_load_dword v11, v[28:29]
	flat_load_dword v10, v[28:29] offset:1024
	s_waitcnt lgkmcnt(0)
	s_barrier
	flat_store_dwordx2 v[4:5], v[48:49]
	v_add_co_u32_e32 v4, vcc, v52, v50
	v_addc_co_u32_e32 v5, vcc, v53, v51, vcc
	flat_store_dwordx2 v[4:5], v[34:35]
	v_lshlrev_b32_e32 v4, 3, v26
	v_add_co_u32_e32 v12, vcc, v12, v4
	v_addc_co_u32_e32 v13, vcc, 0, v13, vcc
	s_waitcnt lgkmcnt(0)
	s_barrier
	flat_load_dwordx2 v[8:9], v[12:13]
	flat_load_dwordx2 v[4:5], v[12:13] offset:2048
	v_mov_b32_e32 v23, 0
	v_add_co_u32_e32 v12, vcc, v2, v24
	v_addc_co_u32_e32 v13, vcc, v3, v25, vcc
	v_lshlrev_b64 v[2:3], 2, v[22:23]
	v_add_co_u32_e32 v2, vcc, v12, v2
	v_addc_co_u32_e32 v3, vcc, v13, v3, vcc
	v_cmp_lt_u32_e32 vcc, v22, v152
	s_waitcnt lgkmcnt(0)
	s_barrier
	s_and_saveexec_b64 s[4:5], vcc
	s_cbranch_execz .LBB602_345
; %bb.344:
	s_waitcnt vmcnt(0)
	v_xor_b32_e32 v11, 0x80000000, v11
	flat_store_dword v[2:3], v11
.LBB602_345:
	s_or_b64 exec, exec, s[4:5]
	s_waitcnt vmcnt(0)
	v_add_u32_e32 v11, 0x100, v22
	v_cmp_lt_u32_e64 s[4:5], v11, v152
	s_and_saveexec_b64 s[6:7], s[4:5]
	s_cbranch_execz .LBB602_347
; %bb.346:
	v_xor_b32_e32 v10, 0x80000000, v10
	flat_store_dword v[2:3], v10 offset:1024
.LBB602_347:
	s_or_b64 exec, exec, s[6:7]
	v_add_co_u32_e64 v2, s[6:7], v6, v0
	v_addc_co_u32_e64 v3, s[6:7], v7, v1, s[6:7]
	v_lshlrev_b64 v[0:1], 3, v[22:23]
	v_add_co_u32_e64 v0, s[6:7], v2, v0
	v_addc_co_u32_e64 v1, s[6:7], v3, v1, s[6:7]
	s_and_saveexec_b64 s[6:7], vcc
	s_cbranch_execz .LBB602_349
; %bb.348:
	flat_store_dwordx2 v[0:1], v[8:9]
.LBB602_349:
	s_or_b64 exec, exec, s[6:7]
	s_and_saveexec_b64 s[6:7], s[4:5]
	s_cbranch_execz .LBB602_351
; %bb.350:
	flat_store_dwordx2 v[0:1], v[4:5] offset:2048
.LBB602_351:
	s_or_b64 exec, exec, s[6:7]
                                        ; implicit-def: $vgpr26
                                        ; implicit-def: $vgpr22_vgpr23
                                        ; implicit-def: $vgpr8_vgpr9
                                        ; implicit-def: $vgpr24_vgpr25
                                        ; implicit-def: $vgpr152
                                        ; implicit-def: $vgpr0
                                        ; implicit-def: $vgpr1
                                        ; implicit-def: $vgpr2
                                        ; implicit-def: $vgpr3
                                        ; implicit-def: $vgpr4
                                        ; implicit-def: $vgpr5
                                        ; implicit-def: $vgpr6
                                        ; implicit-def: $vgpr7
                                        ; implicit-def: $vgpr10
                                        ; implicit-def: $vgpr11
                                        ; implicit-def: $vgpr12
                                        ; implicit-def: $vgpr13
                                        ; implicit-def: $vgpr15
.LBB602_352:
	s_andn2_saveexec_b64 s[4:5], s[34:35]
	s_cbranch_execz .LBB602_372
; %bb.353:
	v_mbcnt_hi_u32_b32 v17, -1, v15
	v_bfi_b32 v15, 63, v17, v22
	v_and_b32_e32 v16, 63, v17
	v_and_b32_e32 v14, 0xffffffc0, v22
	v_cmp_lt_u32_e32 vcc, v15, v152
	v_mov_b32_e32 v54, -1
	s_and_saveexec_b64 s[6:7], vcc
	s_cbranch_execz .LBB602_355
; %bb.354:
	v_add_co_u32_e64 v0, s[4:5], v0, v24
	v_addc_co_u32_e64 v1, s[4:5], v1, v25, s[4:5]
	v_lshlrev_b32_e32 v18, 2, v16
	v_mov_b32_e32 v15, 0
	v_add_co_u32_e64 v18, s[4:5], v0, v18
	v_addc_co_u32_e64 v19, s[4:5], 0, v1, s[4:5]
	v_lshlrev_b64 v[0:1], 2, v[14:15]
	v_add_co_u32_e64 v0, s[4:5], v18, v0
	v_addc_co_u32_e64 v1, s[4:5], v19, v1, s[4:5]
	flat_load_dword v0, v[0:1]
	s_waitcnt vmcnt(0) lgkmcnt(0)
	v_xor_b32_e32 v54, 0x80000000, v0
.LBB602_355:
	s_or_b64 exec, exec, s[6:7]
	v_lshlrev_b64 v[0:1], 3, v[8:9]
                                        ; implicit-def: $vgpr18_vgpr19
	s_and_saveexec_b64 s[4:5], vcc
	s_cbranch_execz .LBB602_357
; %bb.356:
	v_add_co_u32_e32 v4, vcc, v4, v0
	v_addc_co_u32_e32 v5, vcc, v5, v1, vcc
	v_lshlrev_b32_e32 v8, 3, v16
	v_mov_b32_e32 v15, 0
	v_add_co_u32_e32 v8, vcc, v4, v8
	v_addc_co_u32_e32 v9, vcc, 0, v5, vcc
	v_lshlrev_b64 v[4:5], 3, v[14:15]
	v_add_co_u32_e32 v4, vcc, v8, v4
	v_addc_co_u32_e32 v5, vcc, v9, v5, vcc
	flat_load_dwordx2 v[18:19], v[4:5]
.LBB602_357:
	s_or_b64 exec, exec, s[4:5]
	v_add_co_u32_e32 v23, vcc, 16, v12
	v_and_b32_e32 v20, 0x3c0, v26
	v_addc_co_u32_e32 v27, vcc, 0, v13, vcc
	v_lshlrev_b32_e32 v8, 4, v26
	v_min_u32_e32 v15, 0xc0, v20
	v_add_co_u32_e32 v8, vcc, v12, v8
	v_or_b32_e32 v15, 63, v15
	s_getpc_b64 s[4:5]
	s_add_u32 s4, s4, _ZN7rocprim17ROCPRIM_400000_NS16block_radix_sortIiLj256ELj1ElLj1ELj1ELj8ELNS0_26block_radix_rank_algorithmE2ELNS0_18block_padding_hintE2ELNS0_4arch9wavefront6targetE1EE19radix_bits_per_passE@rel32@lo+4
	s_addc_u32 s5, s5, _ZN7rocprim17ROCPRIM_400000_NS16block_radix_sortIiLj256ELj1ElLj1ELj1ELj8ELNS0_26block_radix_rank_algorithmE2ELNS0_18block_padding_hintE2ELNS0_4arch9wavefront6targetE1EE19radix_bits_per_passE@rel32@hi+12
	v_addc_co_u32_e32 v9, vcc, 0, v13, vcc
	v_and_b32_e32 v14, 15, v17
	v_cmp_eq_u32_e64 s[14:15], v15, v26
	v_add_u32_e32 v15, -1, v17
	v_and_b32_e32 v21, 64, v17
	s_load_dword s38, s[4:5], 0x0
	v_cmp_eq_u32_e32 vcc, 0, v14
	v_cmp_lt_u32_e64 s[4:5], 1, v14
	v_cmp_lt_u32_e64 s[6:7], 3, v14
	;; [unrolled: 1-line block ×3, first 2 shown]
	v_and_b32_e32 v14, 16, v17
	v_cmp_lt_i32_e64 s[20:21], v15, v21
	v_cmp_eq_u32_e64 s[10:11], 0, v14
	v_lshrrev_b32_e32 v14, 6, v26
	v_cndmask_b32_e64 v15, v15, v17, s[20:21]
	v_lshlrev_b32_e32 v51, 2, v15
	v_lshlrev_b32_e32 v15, 2, v14
	v_add_co_u32_e64 v30, s[24:25], v12, v15
	v_lshlrev_b32_e32 v4, 2, v26
	v_addc_co_u32_e64 v31, s[24:25], 0, v13, s[24:25]
	v_add_co_u32_e64 v28, s[24:25], v12, v4
	v_addc_co_u32_e64 v29, s[24:25], 0, v13, s[24:25]
	v_and_b32_e32 v4, 3, v17
	v_mov_b32_e32 v5, 0
	v_cmp_eq_u32_e64 s[24:25], 0, v4
	v_cmp_lt_u32_e64 s[26:27], 1, v4
	v_add_u32_e32 v4, -1, v14
	v_lshlrev_b64 v[14:15], 2, v[4:5]
	v_add_co_u32_e64 v32, s[28:29], v12, v14
	v_or_b32_e32 v4, v16, v20
	v_addc_co_u32_e64 v33, s[28:29], v13, v15, s[28:29]
	v_lshlrev_b32_e32 v4, 2, v4
	v_add_co_u32_e64 v34, s[28:29], v12, v4
	v_addc_co_u32_e64 v35, s[28:29], 0, v13, s[28:29]
	v_add_co_u32_e64 v36, s[28:29], v34, v4
	v_lshrrev_b32_e32 v50, 6, v22
	v_cmp_lt_u32_e64 s[12:13], 31, v17
	v_cmp_gt_u32_e64 s[16:17], 4, v26
	v_cmp_lt_u32_e64 s[18:19], 63, v26
	v_cmp_eq_u32_e64 s[20:21], 0, v17
	v_cmp_eq_u32_e64 s[22:23], 0, v26
	v_addc_co_u32_e64 v37, s[28:29], 0, v35, s[28:29]
	v_sub_u32_e32 v52, v11, v10
	s_mov_b64 s[34:35], 0
	v_mov_b32_e32 v14, v5
	v_mov_b32_e32 v15, v5
	;; [unrolled: 1-line block ×4, first 2 shown]
	s_waitcnt lgkmcnt(0)
	s_barrier
	s_branch .LBB602_359
.LBB602_358:                            ;   in Loop: Header=BB602_359 Depth=1
	s_or_b64 exec, exec, s[30:31]
	s_and_b64 s[28:29], exec, s[36:37]
	s_or_b64 s[34:35], s[28:29], s[34:35]
	s_andn2_b64 exec, exec, s[34:35]
	s_cbranch_execz .LBB602_369
.LBB602_359:                            ; =>This Inner Loop Header: Depth=1
	s_waitcnt vmcnt(0)
	v_mov_b32_e32 v53, v54
	s_waitcnt vmcnt(0)
	v_pk_mov_b32 v[38:39], v[18:19], v[18:19] op_sel:[0,1]
	v_min_u32_e32 v4, s38, v52
	v_lshrrev_b32_e32 v18, v10, v53
	v_bfe_u32 v20, v18, 0, v4
	v_lshl_add_u32 v4, v20, 2, v50
	v_lshlrev_b64 v[18:19], 2, v[4:5]
	v_add_co_u32_e64 v48, s[28:29], v23, v18
	v_addc_co_u32_e64 v49, s[28:29], v27, v19, s[28:29]
	v_and_b32_e32 v4, 1, v20
	v_add_co_u32_e64 v18, s[28:29], -1, v4
	v_addc_co_u32_e64 v19, s[28:29], 0, -1, s[28:29]
	v_cmp_ne_u32_e64 s[28:29], 0, v4
	v_xor_b32_e32 v18, s28, v18
	v_xor_b32_e32 v4, s29, v19
	v_and_b32_e32 v21, exec_lo, v18
	v_lshlrev_b32_e32 v19, 30, v20
	v_mov_b32_e32 v18, v5
	v_cmp_gt_i64_e64 s[28:29], 0, v[18:19]
	v_not_b32_e32 v18, v19
	v_ashrrev_i32_e32 v18, 31, v18
	v_and_b32_e32 v4, exec_hi, v4
	v_xor_b32_e32 v19, s29, v18
	v_xor_b32_e32 v18, s28, v18
	v_and_b32_e32 v4, v4, v19
	v_and_b32_e32 v21, v21, v18
	v_lshlrev_b32_e32 v19, 29, v20
	v_mov_b32_e32 v18, v5
	v_cmp_gt_i64_e64 s[28:29], 0, v[18:19]
	v_not_b32_e32 v18, v19
	v_ashrrev_i32_e32 v18, 31, v18
	v_xor_b32_e32 v19, s29, v18
	v_xor_b32_e32 v18, s28, v18
	v_and_b32_e32 v4, v4, v19
	v_and_b32_e32 v21, v21, v18
	v_lshlrev_b32_e32 v19, 28, v20
	v_mov_b32_e32 v18, v5
	v_cmp_gt_i64_e64 s[28:29], 0, v[18:19]
	v_not_b32_e32 v18, v19
	v_ashrrev_i32_e32 v18, 31, v18
	;; [unrolled: 9-line block ×6, first 2 shown]
	v_xor_b32_e32 v19, s29, v18
	v_xor_b32_e32 v18, s28, v18
	v_and_b32_e32 v18, v21, v18
	v_and_b32_e32 v19, v4, v19
	v_mbcnt_lo_u32_b32 v4, v18, 0
	v_mbcnt_hi_u32_b32 v4, v19, v4
	v_cmp_eq_u32_e64 s[28:29], 0, v4
	v_cmp_ne_u64_e64 s[30:31], 0, v[18:19]
	s_and_b64 s[30:31], s[30:31], s[28:29]
	flat_store_dwordx4 v[8:9], v[14:17] offset:16
	s_waitcnt lgkmcnt(0)
	s_barrier
	s_waitcnt lgkmcnt(0)
	; wave barrier
	s_and_saveexec_b64 s[28:29], s[30:31]
	s_cbranch_execz .LBB602_361
; %bb.360:                              ;   in Loop: Header=BB602_359 Depth=1
	v_bcnt_u32_b32 v18, v18, 0
	v_bcnt_u32_b32 v18, v19, v18
	flat_store_dword v[48:49], v18
.LBB602_361:                            ;   in Loop: Header=BB602_359 Depth=1
	s_or_b64 exec, exec, s[28:29]
	; wave barrier
	s_waitcnt lgkmcnt(0)
	s_barrier
	flat_load_dwordx4 v[18:21], v[8:9] offset:16
	s_waitcnt vmcnt(0) lgkmcnt(0)
	v_add_u32_e32 v54, v19, v18
	v_add3_u32 v21, v54, v20, v21
	s_nop 1
	v_mov_b32_dpp v54, v21 row_shr:1 row_mask:0xf bank_mask:0xf
	v_cndmask_b32_e64 v54, v54, 0, vcc
	v_add_u32_e32 v21, v54, v21
	s_nop 1
	v_mov_b32_dpp v54, v21 row_shr:2 row_mask:0xf bank_mask:0xf
	v_cndmask_b32_e64 v54, 0, v54, s[4:5]
	v_add_u32_e32 v21, v21, v54
	s_nop 1
	v_mov_b32_dpp v54, v21 row_shr:4 row_mask:0xf bank_mask:0xf
	v_cndmask_b32_e64 v54, 0, v54, s[6:7]
	;; [unrolled: 4-line block ×3, first 2 shown]
	v_add_u32_e32 v21, v21, v54
	s_nop 1
	v_mov_b32_dpp v54, v21 row_bcast:15 row_mask:0xf bank_mask:0xf
	v_cndmask_b32_e64 v54, v54, 0, s[10:11]
	v_add_u32_e32 v21, v21, v54
	s_nop 1
	v_mov_b32_dpp v54, v21 row_bcast:31 row_mask:0xf bank_mask:0xf
	v_cndmask_b32_e64 v54, 0, v54, s[12:13]
	v_add_u32_e32 v21, v21, v54
	s_and_saveexec_b64 s[28:29], s[14:15]
	s_cbranch_execz .LBB602_363
; %bb.362:                              ;   in Loop: Header=BB602_359 Depth=1
	flat_store_dword v[30:31], v21
.LBB602_363:                            ;   in Loop: Header=BB602_359 Depth=1
	s_or_b64 exec, exec, s[28:29]
	s_waitcnt lgkmcnt(0)
	s_barrier
	s_and_saveexec_b64 s[28:29], s[16:17]
	s_cbranch_execz .LBB602_365
; %bb.364:                              ;   in Loop: Header=BB602_359 Depth=1
	flat_load_dword v54, v[28:29]
	s_waitcnt vmcnt(0) lgkmcnt(0)
	s_nop 0
	v_mov_b32_dpp v55, v54 row_shr:1 row_mask:0xf bank_mask:0xf
	v_cndmask_b32_e64 v55, v55, 0, s[24:25]
	v_add_u32_e32 v54, v55, v54
	s_nop 1
	v_mov_b32_dpp v55, v54 row_shr:2 row_mask:0xf bank_mask:0xf
	v_cndmask_b32_e64 v55, 0, v55, s[26:27]
	v_add_u32_e32 v54, v54, v55
	flat_store_dword v[28:29], v54
.LBB602_365:                            ;   in Loop: Header=BB602_359 Depth=1
	s_or_b64 exec, exec, s[28:29]
	v_mov_b32_e32 v54, 0
	s_waitcnt lgkmcnt(0)
	s_barrier
	s_and_saveexec_b64 s[28:29], s[18:19]
	s_cbranch_execz .LBB602_367
; %bb.366:                              ;   in Loop: Header=BB602_359 Depth=1
	flat_load_dword v54, v[32:33]
.LBB602_367:                            ;   in Loop: Header=BB602_359 Depth=1
	s_or_b64 exec, exec, s[28:29]
	s_waitcnt vmcnt(0) lgkmcnt(0)
	v_add_u32_e32 v21, v54, v21
	ds_bpermute_b32 v21, v51, v21
	v_add_u32_e32 v10, 8, v10
	v_cmp_lt_u32_e64 s[28:29], v10, v11
	s_mov_b64 s[36:37], -1
	s_waitcnt lgkmcnt(0)
	v_cndmask_b32_e64 v21, v21, v54, s[20:21]
	v_cndmask_b32_e64 v64, v21, 0, s[22:23]
	v_add_u32_e32 v65, v64, v18
	v_add_u32_e32 v66, v65, v19
	;; [unrolled: 1-line block ×3, first 2 shown]
	flat_store_dwordx4 v[8:9], v[64:67] offset:16
	s_waitcnt lgkmcnt(0)
	s_barrier
	flat_load_dword v18, v[48:49]
	s_waitcnt lgkmcnt(0)
                                        ; implicit-def: $vgpr54
	s_waitcnt vmcnt(0) lgkmcnt(0)
	v_add_u32_e32 v4, v18, v4
	v_lshlrev_b64 v[18:19], 2, v[4:5]
	v_add_co_u32_e64 v48, s[30:31], v12, v18
	v_addc_co_u32_e64 v49, s[30:31], v13, v19, s[30:31]
	v_add_co_u32_e64 v20, s[30:31], v48, v18
	v_addc_co_u32_e64 v21, s[30:31], v49, v19, s[30:31]
                                        ; implicit-def: $vgpr18_vgpr19
	s_and_saveexec_b64 s[30:31], s[28:29]
	s_cbranch_execz .LBB602_358
; %bb.368:                              ;   in Loop: Header=BB602_359 Depth=1
	s_barrier
	flat_store_dword v[48:49], v53
	s_waitcnt lgkmcnt(0)
	s_barrier
	flat_load_dword v54, v[34:35]
	s_waitcnt lgkmcnt(0)
	s_barrier
	flat_store_dwordx2 v[20:21], v[38:39]
	s_waitcnt lgkmcnt(0)
	s_barrier
	flat_load_dwordx2 v[18:19], v[36:37]
	v_add_u32_e32 v52, -8, v52
	s_xor_b64 s[36:37], exec, -1
	s_waitcnt lgkmcnt(0)
	s_barrier
	s_branch .LBB602_358
.LBB602_369:
	s_or_b64 exec, exec, s[34:35]
	v_lshlrev_b32_e32 v4, 3, v26
	v_add_co_u32_e32 v4, vcc, v12, v4
	v_addc_co_u32_e32 v5, vcc, 0, v13, vcc
	s_barrier
	flat_store_dword v[48:49], v53
	s_waitcnt lgkmcnt(0)
	s_barrier
	flat_load_dword v8, v[28:29]
	s_waitcnt lgkmcnt(0)
	s_barrier
	flat_store_dwordx2 v[20:21], v[38:39]
	s_waitcnt lgkmcnt(0)
	s_barrier
	flat_load_dwordx2 v[4:5], v[4:5]
	v_mov_b32_e32 v23, 0
	v_cmp_lt_u32_e32 vcc, v22, v152
	s_waitcnt lgkmcnt(0)
	s_barrier
	s_and_saveexec_b64 s[4:5], vcc
	s_cbranch_execz .LBB602_371
; %bb.370:
	v_add_co_u32_e32 v9, vcc, v2, v24
	v_addc_co_u32_e32 v10, vcc, v3, v25, vcc
	v_lshlrev_b64 v[2:3], 2, v[22:23]
	v_add_co_u32_e32 v2, vcc, v9, v2
	v_addc_co_u32_e32 v3, vcc, v10, v3, vcc
	v_add_co_u32_e32 v6, vcc, v6, v0
	v_addc_co_u32_e32 v7, vcc, v7, v1, vcc
	v_lshlrev_b64 v[0:1], 3, v[22:23]
	s_waitcnt vmcnt(0)
	v_xor_b32_e32 v8, 0x80000000, v8
	v_add_co_u32_e32 v0, vcc, v6, v0
	v_addc_co_u32_e32 v1, vcc, v7, v1, vcc
	flat_store_dword v[2:3], v8
	flat_store_dwordx2 v[0:1], v[4:5]
.LBB602_371:
	s_or_b64 exec, exec, s[4:5]
.LBB602_372:
	s_or_b64 exec, exec, s[42:43]
	buffer_load_dword v219, off, s[0:3], s32 ; 4-byte Folded Reload
	buffer_load_dword v218, off, s[0:3], s32 offset:4 ; 4-byte Folded Reload
	buffer_load_dword v217, off, s[0:3], s32 offset:8 ; 4-byte Folded Reload
	;; [unrolled: 1-line block ×63, first 2 shown]
	v_readlane_b32 s30, v220, 14
	v_readlane_b32 s31, v220, 15
	v_readlane_b32 s47, v220, 13
	v_readlane_b32 s46, v220, 12
	v_readlane_b32 s45, v220, 11
	v_readlane_b32 s44, v220, 10
	v_readlane_b32 s43, v220, 9
	v_readlane_b32 s42, v220, 8
	v_readlane_b32 s41, v220, 7
	v_readlane_b32 s40, v220, 6
	v_readlane_b32 s39, v220, 5
	v_readlane_b32 s38, v220, 4
	v_readlane_b32 s37, v220, 3
	v_readlane_b32 s36, v220, 2
	v_readlane_b32 s35, v220, 1
	v_readlane_b32 s34, v220, 0
	v_accvgpr_read_b32 v91, a31             ;  Reload Reuse
	v_accvgpr_read_b32 v90, a30             ;  Reload Reuse
	;; [unrolled: 1-line block ×22, first 2 shown]
	v_accvgpr_read_b32 v45, a9              ;  Reload Reuse
	v_accvgpr_read_b32 v44, a8              ;  Reload Reuse
	;; [unrolled: 1-line block ×6, first 2 shown]
	s_or_saveexec_b64 s[4:5], -1
	buffer_load_dword v220, off, s[0:3], s32 offset:256 ; 4-byte Folded Reload
	s_mov_b64 exec, s[4:5]
	s_waitcnt vmcnt(0) lgkmcnt(0)
	s_setpc_b64 s[30:31]
.Lfunc_end602:
	.size	_ZN7rocprim17ROCPRIM_400000_NS6detail40segmented_radix_sort_single_block_helperIilLj256ELj16ELb0EE4sortIPKiPiPKlPlEEbT_T0_T1_T2_jjjjRNS3_12storage_typeE, .Lfunc_end602-_ZN7rocprim17ROCPRIM_400000_NS6detail40segmented_radix_sort_single_block_helperIilLj256ELj16ELb0EE4sortIPKiPiPKlPlEEbT_T0_T1_T2_jjjjRNS3_12storage_typeE
                                        ; -- End function
	.section	.AMDGPU.csdata,"",@progbits
; Function info:
; codeLenInByte = 32400
; NumSgprs: 52
; NumVgprs: 248
; NumAgprs: 32
; TotalNumVgprs: 280
; ScratchSize: 264
; MemoryBound: 1
	.section	.text._ZN7rocprim17ROCPRIM_400000_NS6detail17trampoline_kernelINS0_14default_configENS1_36segmented_radix_sort_config_selectorIilEEZNS1_25segmented_radix_sort_implIS3_Lb0EPKiPiPKlPlN2at6native12_GLOBAL__N_18offset_tEEE10hipError_tPvRmT1_PNSt15iterator_traitsISK_E10value_typeET2_T3_PNSL_ISQ_E10value_typeET4_jRbjT5_SW_jjP12ihipStream_tbEUlT_E_NS1_11comp_targetILNS1_3genE4ELNS1_11target_archE910ELNS1_3gpuE8ELNS1_3repE0EEENS1_30default_config_static_selectorELNS0_4arch9wavefront6targetE1EEEvSK_,"axG",@progbits,_ZN7rocprim17ROCPRIM_400000_NS6detail17trampoline_kernelINS0_14default_configENS1_36segmented_radix_sort_config_selectorIilEEZNS1_25segmented_radix_sort_implIS3_Lb0EPKiPiPKlPlN2at6native12_GLOBAL__N_18offset_tEEE10hipError_tPvRmT1_PNSt15iterator_traitsISK_E10value_typeET2_T3_PNSL_ISQ_E10value_typeET4_jRbjT5_SW_jjP12ihipStream_tbEUlT_E_NS1_11comp_targetILNS1_3genE4ELNS1_11target_archE910ELNS1_3gpuE8ELNS1_3repE0EEENS1_30default_config_static_selectorELNS0_4arch9wavefront6targetE1EEEvSK_,comdat
	.globl	_ZN7rocprim17ROCPRIM_400000_NS6detail17trampoline_kernelINS0_14default_configENS1_36segmented_radix_sort_config_selectorIilEEZNS1_25segmented_radix_sort_implIS3_Lb0EPKiPiPKlPlN2at6native12_GLOBAL__N_18offset_tEEE10hipError_tPvRmT1_PNSt15iterator_traitsISK_E10value_typeET2_T3_PNSL_ISQ_E10value_typeET4_jRbjT5_SW_jjP12ihipStream_tbEUlT_E_NS1_11comp_targetILNS1_3genE4ELNS1_11target_archE910ELNS1_3gpuE8ELNS1_3repE0EEENS1_30default_config_static_selectorELNS0_4arch9wavefront6targetE1EEEvSK_ ; -- Begin function _ZN7rocprim17ROCPRIM_400000_NS6detail17trampoline_kernelINS0_14default_configENS1_36segmented_radix_sort_config_selectorIilEEZNS1_25segmented_radix_sort_implIS3_Lb0EPKiPiPKlPlN2at6native12_GLOBAL__N_18offset_tEEE10hipError_tPvRmT1_PNSt15iterator_traitsISK_E10value_typeET2_T3_PNSL_ISQ_E10value_typeET4_jRbjT5_SW_jjP12ihipStream_tbEUlT_E_NS1_11comp_targetILNS1_3genE4ELNS1_11target_archE910ELNS1_3gpuE8ELNS1_3repE0EEENS1_30default_config_static_selectorELNS0_4arch9wavefront6targetE1EEEvSK_
	.p2align	8
	.type	_ZN7rocprim17ROCPRIM_400000_NS6detail17trampoline_kernelINS0_14default_configENS1_36segmented_radix_sort_config_selectorIilEEZNS1_25segmented_radix_sort_implIS3_Lb0EPKiPiPKlPlN2at6native12_GLOBAL__N_18offset_tEEE10hipError_tPvRmT1_PNSt15iterator_traitsISK_E10value_typeET2_T3_PNSL_ISQ_E10value_typeET4_jRbjT5_SW_jjP12ihipStream_tbEUlT_E_NS1_11comp_targetILNS1_3genE4ELNS1_11target_archE910ELNS1_3gpuE8ELNS1_3repE0EEENS1_30default_config_static_selectorELNS0_4arch9wavefront6targetE1EEEvSK_,@function
_ZN7rocprim17ROCPRIM_400000_NS6detail17trampoline_kernelINS0_14default_configENS1_36segmented_radix_sort_config_selectorIilEEZNS1_25segmented_radix_sort_implIS3_Lb0EPKiPiPKlPlN2at6native12_GLOBAL__N_18offset_tEEE10hipError_tPvRmT1_PNSt15iterator_traitsISK_E10value_typeET2_T3_PNSL_ISQ_E10value_typeET4_jRbjT5_SW_jjP12ihipStream_tbEUlT_E_NS1_11comp_targetILNS1_3genE4ELNS1_11target_archE910ELNS1_3gpuE8ELNS1_3repE0EEENS1_30default_config_static_selectorELNS0_4arch9wavefront6targetE1EEEvSK_: ; @_ZN7rocprim17ROCPRIM_400000_NS6detail17trampoline_kernelINS0_14default_configENS1_36segmented_radix_sort_config_selectorIilEEZNS1_25segmented_radix_sort_implIS3_Lb0EPKiPiPKlPlN2at6native12_GLOBAL__N_18offset_tEEE10hipError_tPvRmT1_PNSt15iterator_traitsISK_E10value_typeET2_T3_PNSL_ISQ_E10value_typeET4_jRbjT5_SW_jjP12ihipStream_tbEUlT_E_NS1_11comp_targetILNS1_3genE4ELNS1_11target_archE910ELNS1_3gpuE8ELNS1_3repE0EEENS1_30default_config_static_selectorELNS0_4arch9wavefront6targetE1EEEvSK_
; %bb.0:
	s_add_u32 flat_scratch_lo, s6, s10
	s_addc_u32 flat_scratch_hi, s7, 0
	s_mov_b32 s33, s9
	s_mov_b64 s[48:49], s[4:5]
	s_mov_b32 s68, s8
	s_load_dwordx2 s[8:9], s[4:5], 0x38
	s_nop 0
	s_load_dwordx4 s[4:7], s[4:5], 0x40
	s_add_u32 s0, s0, s10
	s_mov_b32 s11, 0
	s_mov_b32 s10, s68
	s_addc_u32 s1, s1, 0
	s_lshl_b64 s[10:11], s[10:11], 2
	s_waitcnt lgkmcnt(0)
	s_add_u32 s8, s8, s10
	s_addc_u32 s9, s9, s11
	s_load_dword s8, s[8:9], 0x0
	s_mov_b32 s32, 0
	s_waitcnt lgkmcnt(0)
	s_add_i32 s69, s8, s5
	s_add_i32 s92, s8, s7
	s_mul_i32 s69, s69, s4
	s_mul_i32 s92, s92, s6
	s_cmp_le_u32 s92, s69
	s_cbranch_scc1 .LBB603_1190
; %bb.1:
	s_load_dword s4, s[48:49], 0x30
	s_load_dwordx4 s[80:83], s[48:49], 0x20
	s_load_dwordx4 s[84:87], s[48:49], 0x50
	s_load_dwordx8 s[72:79], s[48:49], 0x0
	s_waitcnt lgkmcnt(0)
	s_bitcmp1_b32 s4, 0
	s_cselect_b64 s[70:71], -1, 0
	s_sub_i32 s87, s92, s69
	s_cmpk_lt_u32 s87, 0x1001
	s_mov_b64 s[4:5], -1
	s_cbranch_scc0 .LBB603_7
; %bb.2:
	s_and_b32 s4, s84, 1
	v_cndmask_b32_e64 v1, 0, 1, s[70:71]
	v_cmp_ne_u32_e32 vcc, s4, v1
	s_mov_b64 s[4:5], -1
	s_cbranch_vccnz .LBB603_4
; %bb.3:
	s_add_u32 s8, s48, 0x60
	s_mov_b64 s[4:5], src_shared_base
	s_addc_u32 s9, s49, 0
	s_mov_b32 s12, s68
	s_mov_b32 s13, s33
	v_mov_b32_e32 v31, v0
	v_mov_b32_e32 v40, v0
	;; [unrolled: 1-line block ×16, first 2 shown]
	s_getpc_b64 s[6:7]
	s_add_u32 s6, s6, _ZN7rocprim17ROCPRIM_400000_NS6detail40segmented_radix_sort_single_block_helperIilLj256ELj16ELb0EE4sortIPKiPiPKlPlEEbT_T0_T1_T2_jjjjRNS3_12storage_typeE@rel32@lo+4
	s_addc_u32 s7, s7, _ZN7rocprim17ROCPRIM_400000_NS6detail40segmented_radix_sort_single_block_helperIilLj256ELj16ELb0EE4sortIPKiPiPKlPlEEbT_T0_T1_T2_jjjjRNS3_12storage_typeE@rel32@hi+12
	s_swappc_b64 s[30:31], s[6:7]
	v_mov_b32_e32 v0, v40
	s_mov_b64 s[4:5], 0
.LBB603_4:
	s_andn2_b64 vcc, exec, s[4:5]
	s_cbranch_vccnz .LBB603_6
; %bb.5:
	s_add_u32 s8, s48, 0x60
	s_mov_b64 s[4:5], src_shared_base
	s_addc_u32 s9, s49, 0
	s_mov_b32 s12, s68
	s_mov_b32 s13, s33
	v_mov_b32_e32 v31, v0
	v_mov_b32_e32 v40, v0
	;; [unrolled: 1-line block ×16, first 2 shown]
	s_getpc_b64 s[6:7]
	s_add_u32 s6, s6, _ZN7rocprim17ROCPRIM_400000_NS6detail40segmented_radix_sort_single_block_helperIilLj256ELj16ELb0EE4sortIPKiPiPKlPlEEbT_T0_T1_T2_jjjjRNS3_12storage_typeE@rel32@lo+4
	s_addc_u32 s7, s7, _ZN7rocprim17ROCPRIM_400000_NS6detail40segmented_radix_sort_single_block_helperIilLj256ELj16ELb0EE4sortIPKiPiPKlPlEEbT_T0_T1_T2_jjjjRNS3_12storage_typeE@rel32@hi+12
	s_swappc_b64 s[30:31], s[6:7]
	v_mov_b32_e32 v0, v40
.LBB603_6:
	s_mov_b64 s[4:5], 0
.LBB603_7:
	s_andn2_b64 vcc, exec, s[4:5]
	s_cbranch_vccnz .LBB603_1190
; %bb.8:
	s_cmp_ge_u32 s85, s86
	s_cbranch_scc1 .LBB603_1190
; %bb.9:
	v_and_b32_e32 v2, 0x3ff, v0
	v_lshlrev_b32_e32 v3, 2, v2
	v_mov_b32_e32 v5, s77
	v_add_co_u32_e32 v13, vcc, s76, v3
	v_addc_co_u32_e32 v15, vcc, 0, v5, vcc
	v_or_b32_e32 v5, 63, v2
	v_cmp_eq_u32_e64 s[6:7], v5, v2
	v_lshrrev_b32_e32 v5, 4, v2
	v_and_b32_e32 v19, 12, v5
	v_lshlrev_b32_e32 v5, 4, v2
	v_and_b32_e32 v30, 0xc00, v5
	v_bfe_u32 v27, v0, 20, 10
	v_bfe_u32 v29, v0, 10, 10
	v_mul_u32_u24_e32 v0, 5, v2
	v_mov_b32_e32 v65, 0x410
	v_lshl_add_u32 v66, v0, 2, v65
	v_lshlrev_b32_e32 v0, 3, v30
	v_sub_u32_e32 v67, 0, v5
	v_mov_b32_e32 v5, s83
	v_add_co_u32_e32 v68, vcc, s82, v0
	v_addc_co_u32_e32 v69, vcc, 0, v5, vcc
	v_lshlrev_b32_e32 v5, 2, v30
	v_mov_b32_e32 v31, s77
	v_add_co_u32_e32 v70, vcc, s76, v5
	v_addc_co_u32_e32 v71, vcc, 0, v31, vcc
	v_mov_b32_e32 v31, s75
	v_add_co_u32_e32 v74, vcc, s74, v3
	v_addc_co_u32_e32 v75, vcc, 0, v31, vcc
	;; [unrolled: 3-line block ×7, first 2 shown]
	v_mbcnt_lo_u32_b32 v0, -1, 0
	v_mbcnt_hi_u32_b32 v101, -1, v0
	v_mad_u32_u24 v17, v2, 12, v3
	v_and_b32_e32 v0, 63, v101
	s_movk_i32 s4, 0x100
	v_and_b32_e32 v1, 3, v2
	v_or_b32_e32 v6, 0x400, v2
	v_or_b32_e32 v8, 0x500, v2
	;; [unrolled: 1-line block ×12, first 2 shown]
	s_add_u32 s90, s48, 0x60
	v_add_u32_e32 v64, v17, v3
	s_movk_i32 s14, 0xff
	v_or_b32_e32 v109, v0, v30
	s_mov_b32 s89, 0
	v_mov_b32_e32 v4, 0
	v_or_b32_e32 v7, 0x100, v2
	v_or_b32_e32 v9, 0x200, v2
	;; [unrolled: 1-line block ×3, first 2 shown]
	v_cmp_gt_u32_e64 s[4:5], s4, v2
	v_or_b32_e32 v21, 0x8400, v19
	v_cmp_gt_u32_e64 s[8:9], 4, v2
	v_add_u32_e32 v23, 0x8400, v3
	v_cmp_lt_u32_e64 s[10:11], 63, v2
	v_add_u32_e32 v25, 0x83fc, v19
	s_addc_u32 s91, s49, 0
	v_cmp_eq_u32_e64 s[12:13], 0, v2
	v_cmp_ne_u32_e64 s[14:15], s14, v2
	v_add_u32_e32 v72, 0x400, v3
	v_lshlrev_b32_e32 v73, 3, v2
	s_movk_i32 s84, 0x2000
	v_lshlrev_b32_e32 v86, 2, v1
	v_mov_b32_e32 v87, 1
	v_lshlrev_b32_e32 v88, 2, v2
	v_lshlrev_b32_e32 v89, 2, v6
	;; [unrolled: 1-line block ×13, first 2 shown]
	v_and_b32_e32 v102, 15, v101
	v_bfe_i32 v103, v101, 4, 1
	v_and_b32_e32 v104, 16, v101
	v_and_b32_e32 v105, 3, v101
	v_add_u32_e32 v106, -1, v101
	v_and_b32_e32 v107, 64, v101
	v_lshlrev_b32_e32 v108, 3, v0
	v_or_b32_e32 v110, 64, v109
	v_or_b32_e32 v111, 0x80, v109
	;; [unrolled: 1-line block ×15, first 2 shown]
	v_lshlrev_b32_e32 v125, 2, v0
	v_add_u32_e32 v126, 0x410, v64
	s_mov_b32 s93, s85
	s_branch .LBB603_12
.LBB603_10:                             ;   in Loop: Header=BB603_12 Depth=1
	s_waitcnt lgkmcnt(0)
	s_barrier
.LBB603_11:                             ;   in Loop: Header=BB603_12 Depth=1
	s_add_i32 s93, s93, 8
	s_cmp_ge_u32 s93, s86
	s_cbranch_scc1 .LBB603_1190
.LBB603_12:                             ; =>This Loop Header: Depth=1
                                        ;     Child Loop BB603_16 Depth 2
                                        ;     Child Loop BB603_98 Depth 2
	;; [unrolled: 1-line block ×8, first 2 shown]
	s_sub_i32 s16, s86, s93
	s_min_u32 s16, s16, 8
	s_lshl_b32 s16, -1, s16
	s_xor_b64 s[70:71], s[70:71], -1
	s_not_b32 s94, s16
	s_cmp_lg_u32 s93, s85
	s_mov_b64 s[16:17], -1
	ds_write2st64_b32 v3, v4, v4 offset1:4
	ds_write2st64_b32 v3, v4, v4 offset0:8 offset1:12
	s_waitcnt lgkmcnt(0)
	s_cbranch_scc0 .LBB603_602
; %bb.13:                               ;   in Loop: Header=BB603_12 Depth=1
	s_and_b64 vcc, exec, s[70:71]
	s_cbranch_vccz .LBB603_307
; %bb.14:                               ;   in Loop: Header=BB603_12 Depth=1
	s_mov_b32 s22, s87
	s_mov_b32 s88, s69
	s_barrier
	s_waitcnt lgkmcnt(0)
                                        ; implicit-def: $vgpr44
                                        ; implicit-def: $vgpr5
                                        ; implicit-def: $vgpr30
                                        ; implicit-def: $vgpr31
                                        ; implicit-def: $vgpr32
                                        ; implicit-def: $vgpr33
                                        ; implicit-def: $vgpr34
                                        ; implicit-def: $vgpr35
                                        ; implicit-def: $vgpr36
                                        ; implicit-def: $vgpr37
                                        ; implicit-def: $vgpr38
                                        ; implicit-def: $vgpr39
                                        ; implicit-def: $vgpr40
                                        ; implicit-def: $vgpr41
                                        ; implicit-def: $vgpr42
                                        ; implicit-def: $vgpr43
	s_branch .LBB603_16
.LBB603_15:                             ;   in Loop: Header=BB603_16 Depth=2
	s_or_b64 exec, exec, s[16:17]
	s_addk_i32 s22, 0xf000
	s_cmp_ge_u32 s23, s92
	s_mov_b32 s88, s23
	s_cbranch_scc1 .LBB603_86
.LBB603_16:                             ;   Parent Loop BB603_12 Depth=1
                                        ; =>  This Inner Loop Header: Depth=2
	s_add_i32 s23, s88, 0x1000
	s_cmp_gt_u32 s23, s92
	s_cbranch_scc1 .LBB603_19
; %bb.17:                               ;   in Loop: Header=BB603_16 Depth=2
	s_lshl_b64 s[16:17], s[88:89], 2
	v_mov_b32_e32 v1, s17
	v_add_co_u32_e32 v0, vcc, s16, v13
	v_addc_co_u32_e32 v1, vcc, v15, v1, vcc
	s_waitcnt vmcnt(6)
	v_add_co_u32_e32 v54, vcc, 0x1000, v0
	s_waitcnt vmcnt(5)
	v_addc_co_u32_e32 v55, vcc, 0, v1, vcc
	v_add_co_u32_e32 v62, vcc, s84, v0
	v_addc_co_u32_e32 v63, vcc, 0, v1, vcc
	global_load_dword v46, v[0:1], off
	global_load_dword v47, v[0:1], off offset:1024
	global_load_dword v48, v[0:1], off offset:2048
	;; [unrolled: 1-line block ×3, first 2 shown]
	global_load_dword v50, v[54:55], off
	global_load_dword v51, v[54:55], off offset:1024
	global_load_dword v52, v[54:55], off offset:2048
	;; [unrolled: 1-line block ×3, first 2 shown]
	v_add_co_u32_e32 v128, vcc, 0x3000, v0
	v_addc_co_u32_e32 v129, vcc, 0, v1, vcc
	global_load_dword v54, v[62:63], off
	global_load_dword v55, v[62:63], off offset:1024
	global_load_dword v56, v[62:63], off offset:2048
	;; [unrolled: 1-line block ×3, first 2 shown]
	global_load_dword v58, v[128:129], off
	global_load_dword v59, v[128:129], off offset:1024
	global_load_dword v60, v[128:129], off offset:2048
	v_add_co_u32_e32 v0, vcc, 0x3c00, v0
	s_movk_i32 s24, 0x1000
	v_addc_co_u32_e32 v1, vcc, 0, v1, vcc
	s_mov_b64 s[16:17], -1
	s_cbranch_execz .LBB603_20
; %bb.18:                               ;   in Loop: Header=BB603_16 Depth=2
                                        ; implicit-def: $vgpr43
                                        ; implicit-def: $vgpr42
                                        ; implicit-def: $vgpr41
                                        ; implicit-def: $vgpr40
                                        ; implicit-def: $vgpr39
                                        ; implicit-def: $vgpr38
                                        ; implicit-def: $vgpr37
                                        ; implicit-def: $vgpr36
                                        ; implicit-def: $vgpr35
                                        ; implicit-def: $vgpr34
                                        ; implicit-def: $vgpr33
                                        ; implicit-def: $vgpr32
                                        ; implicit-def: $vgpr31
                                        ; implicit-def: $vgpr30
                                        ; implicit-def: $vgpr5
                                        ; implicit-def: $vgpr44
	v_mov_b32_e32 v45, s22
	s_and_saveexec_b64 s[18:19], s[16:17]
	s_cbranch_execnz .LBB603_39
	s_branch .LBB603_40
.LBB603_19:                             ;   in Loop: Header=BB603_16 Depth=2
	s_mov_b64 s[16:17], 0
                                        ; implicit-def: $sgpr24
                                        ; implicit-def: $vgpr46
                                        ; implicit-def: $vgpr47
                                        ; implicit-def: $vgpr48
                                        ; implicit-def: $vgpr49
                                        ; implicit-def: $vgpr50
                                        ; implicit-def: $vgpr51
                                        ; implicit-def: $vgpr52
                                        ; implicit-def: $vgpr53
                                        ; implicit-def: $vgpr54
                                        ; implicit-def: $vgpr55
                                        ; implicit-def: $vgpr56
                                        ; implicit-def: $vgpr57
                                        ; implicit-def: $vgpr58
                                        ; implicit-def: $vgpr59
                                        ; implicit-def: $vgpr60
                                        ; implicit-def: $vgpr0_vgpr1
.LBB603_20:                             ;   in Loop: Header=BB603_16 Depth=2
	s_lshl_b64 s[18:19], s[88:89], 2
	s_add_u32 s18, s76, s18
	s_addc_u32 s19, s77, s19
	v_cmp_gt_u32_e32 vcc, s22, v2
	s_and_saveexec_b64 s[20:21], vcc
	s_cbranch_execz .LBB603_72
; %bb.21:                               ;   in Loop: Header=BB603_16 Depth=2
	global_load_dword v43, v88, s[18:19]
	s_or_b64 exec, exec, s[20:21]
	v_cmp_gt_u32_e32 vcc, s22, v7
	s_and_saveexec_b64 s[20:21], vcc
	s_cbranch_execnz .LBB603_73
.LBB603_22:                             ;   in Loop: Header=BB603_16 Depth=2
	s_or_b64 exec, exec, s[20:21]
	v_cmp_gt_u32_e32 vcc, s22, v9
	s_and_saveexec_b64 s[20:21], vcc
	s_cbranch_execz .LBB603_74
.LBB603_23:                             ;   in Loop: Header=BB603_16 Depth=2
	global_load_dword v41, v88, s[18:19] offset:2048
	s_or_b64 exec, exec, s[20:21]
	v_cmp_gt_u32_e32 vcc, s22, v11
	s_and_saveexec_b64 s[20:21], vcc
	s_cbranch_execnz .LBB603_75
.LBB603_24:                             ;   in Loop: Header=BB603_16 Depth=2
	s_or_b64 exec, exec, s[20:21]
	v_cmp_gt_u32_e32 vcc, s22, v6
	s_and_saveexec_b64 s[20:21], vcc
	s_cbranch_execz .LBB603_76
.LBB603_25:                             ;   in Loop: Header=BB603_16 Depth=2
	global_load_dword v39, v89, s[18:19]
	s_or_b64 exec, exec, s[20:21]
	v_cmp_gt_u32_e32 vcc, s22, v8
	s_and_saveexec_b64 s[20:21], vcc
	s_cbranch_execnz .LBB603_77
.LBB603_26:                             ;   in Loop: Header=BB603_16 Depth=2
	s_or_b64 exec, exec, s[20:21]
	v_cmp_gt_u32_e32 vcc, s22, v10
	s_and_saveexec_b64 s[20:21], vcc
	s_cbranch_execz .LBB603_78
.LBB603_27:                             ;   in Loop: Header=BB603_16 Depth=2
	global_load_dword v37, v91, s[18:19]
	s_or_b64 exec, exec, s[20:21]
	v_cmp_gt_u32_e32 vcc, s22, v12
	s_and_saveexec_b64 s[20:21], vcc
	s_cbranch_execnz .LBB603_79
.LBB603_28:                             ;   in Loop: Header=BB603_16 Depth=2
	s_or_b64 exec, exec, s[20:21]
	v_cmp_gt_u32_e32 vcc, s22, v14
	s_and_saveexec_b64 s[20:21], vcc
	s_cbranch_execz .LBB603_80
.LBB603_29:                             ;   in Loop: Header=BB603_16 Depth=2
	global_load_dword v35, v93, s[18:19]
	s_or_b64 exec, exec, s[20:21]
	v_cmp_gt_u32_e32 vcc, s22, v16
	s_and_saveexec_b64 s[20:21], vcc
	s_cbranch_execnz .LBB603_81
.LBB603_30:                             ;   in Loop: Header=BB603_16 Depth=2
	s_or_b64 exec, exec, s[20:21]
	v_cmp_gt_u32_e32 vcc, s22, v18
	s_and_saveexec_b64 s[20:21], vcc
	s_cbranch_execz .LBB603_82
.LBB603_31:                             ;   in Loop: Header=BB603_16 Depth=2
	global_load_dword v33, v95, s[18:19]
	s_or_b64 exec, exec, s[20:21]
	v_cmp_gt_u32_e32 vcc, s22, v20
	s_and_saveexec_b64 s[20:21], vcc
	s_cbranch_execnz .LBB603_83
.LBB603_32:                             ;   in Loop: Header=BB603_16 Depth=2
	s_or_b64 exec, exec, s[20:21]
	v_cmp_gt_u32_e32 vcc, s22, v22
	s_and_saveexec_b64 s[20:21], vcc
	s_cbranch_execz .LBB603_84
.LBB603_33:                             ;   in Loop: Header=BB603_16 Depth=2
	global_load_dword v31, v97, s[18:19]
	s_or_b64 exec, exec, s[20:21]
	v_cmp_gt_u32_e32 vcc, s22, v24
	s_and_saveexec_b64 s[20:21], vcc
	s_cbranch_execnz .LBB603_85
.LBB603_34:                             ;   in Loop: Header=BB603_16 Depth=2
	s_or_b64 exec, exec, s[20:21]
	v_cmp_gt_u32_e32 vcc, s22, v26
	s_and_saveexec_b64 s[20:21], vcc
	s_cbranch_execz .LBB603_36
.LBB603_35:                             ;   in Loop: Header=BB603_16 Depth=2
	global_load_dword v5, v99, s[18:19]
.LBB603_36:                             ;   in Loop: Header=BB603_16 Depth=2
	s_or_b64 exec, exec, s[20:21]
	v_cmp_gt_u32_e32 vcc, s22, v28
                                        ; implicit-def: $sgpr24
                                        ; implicit-def: $vgpr0_vgpr1
	s_and_saveexec_b64 s[20:21], vcc
; %bb.37:                               ;   in Loop: Header=BB603_16 Depth=2
	v_mov_b32_e32 v1, s19
	v_add_co_u32_e32 v0, vcc, s18, v100
	s_sub_i32 s24, s92, s88
	v_addc_co_u32_e32 v1, vcc, 0, v1, vcc
	s_or_b64 s[16:17], s[16:17], exec
                                        ; implicit-def: $vgpr44
; %bb.38:                               ;   in Loop: Header=BB603_16 Depth=2
	s_or_b64 exec, exec, s[20:21]
	s_waitcnt vmcnt(0)
	v_mov_b32_e32 v46, v43
	v_mov_b32_e32 v47, v42
	;; [unrolled: 1-line block ×16, first 2 shown]
	s_and_saveexec_b64 s[18:19], s[16:17]
	s_cbranch_execz .LBB603_40
.LBB603_39:                             ;   in Loop: Header=BB603_16 Depth=2
	global_load_dword v44, v[0:1], off
	v_mov_b32_e32 v45, s24
	s_waitcnt vmcnt(1)
	v_mov_b32_e32 v5, v60
	v_mov_b32_e32 v30, v59
	v_mov_b32_e32 v31, v58
	v_mov_b32_e32 v32, v57
	v_mov_b32_e32 v33, v56
	v_mov_b32_e32 v34, v55
	v_mov_b32_e32 v35, v54
	v_mov_b32_e32 v36, v53
	v_mov_b32_e32 v37, v52
	v_mov_b32_e32 v38, v51
	v_mov_b32_e32 v39, v50
	v_mov_b32_e32 v40, v49
	v_mov_b32_e32 v41, v48
	v_mov_b32_e32 v42, v47
	v_mov_b32_e32 v43, v46
.LBB603_40:                             ;   in Loop: Header=BB603_16 Depth=2
	s_or_b64 exec, exec, s[18:19]
	v_cmp_lt_u32_e32 vcc, v2, v45
	s_and_saveexec_b64 s[16:17], vcc
	s_cbranch_execz .LBB603_56
; %bb.41:                               ;   in Loop: Header=BB603_16 Depth=2
	v_xor_b32_e32 v0, 0x80000000, v43
	v_lshrrev_b32_e32 v0, s93, v0
	v_and_b32_e32 v0, s94, v0
	v_lshl_or_b32 v0, v0, 4, v86
	ds_add_u32 v0, v87
	s_or_b64 exec, exec, s[16:17]
	v_cmp_lt_u32_e32 vcc, v7, v45
	s_and_saveexec_b64 s[16:17], vcc
	s_cbranch_execnz .LBB603_57
.LBB603_42:                             ;   in Loop: Header=BB603_16 Depth=2
	s_or_b64 exec, exec, s[16:17]
	v_cmp_lt_u32_e32 vcc, v9, v45
	s_and_saveexec_b64 s[16:17], vcc
	s_cbranch_execz .LBB603_58
.LBB603_43:                             ;   in Loop: Header=BB603_16 Depth=2
	v_xor_b32_e32 v0, 0x80000000, v41
	v_lshrrev_b32_e32 v0, s93, v0
	v_and_b32_e32 v0, s94, v0
	v_lshl_or_b32 v0, v0, 4, v86
	ds_add_u32 v0, v87
	s_or_b64 exec, exec, s[16:17]
	v_cmp_lt_u32_e32 vcc, v11, v45
	s_and_saveexec_b64 s[16:17], vcc
	s_cbranch_execnz .LBB603_59
.LBB603_44:                             ;   in Loop: Header=BB603_16 Depth=2
	s_or_b64 exec, exec, s[16:17]
	v_cmp_lt_u32_e32 vcc, v6, v45
	s_and_saveexec_b64 s[16:17], vcc
	s_cbranch_execz .LBB603_60
.LBB603_45:                             ;   in Loop: Header=BB603_16 Depth=2
	v_xor_b32_e32 v0, 0x80000000, v39
	v_lshrrev_b32_e32 v0, s93, v0
	v_and_b32_e32 v0, s94, v0
	v_lshl_or_b32 v0, v0, 4, v86
	ds_add_u32 v0, v87
	s_or_b64 exec, exec, s[16:17]
	v_cmp_lt_u32_e32 vcc, v8, v45
	s_and_saveexec_b64 s[16:17], vcc
	s_cbranch_execnz .LBB603_61
.LBB603_46:                             ;   in Loop: Header=BB603_16 Depth=2
	s_or_b64 exec, exec, s[16:17]
	v_cmp_lt_u32_e32 vcc, v10, v45
	s_and_saveexec_b64 s[16:17], vcc
	s_cbranch_execz .LBB603_62
.LBB603_47:                             ;   in Loop: Header=BB603_16 Depth=2
	v_xor_b32_e32 v0, 0x80000000, v37
	v_lshrrev_b32_e32 v0, s93, v0
	v_and_b32_e32 v0, s94, v0
	v_lshl_or_b32 v0, v0, 4, v86
	ds_add_u32 v0, v87
	s_or_b64 exec, exec, s[16:17]
	v_cmp_lt_u32_e32 vcc, v12, v45
	s_and_saveexec_b64 s[16:17], vcc
	s_cbranch_execnz .LBB603_63
.LBB603_48:                             ;   in Loop: Header=BB603_16 Depth=2
	s_or_b64 exec, exec, s[16:17]
	v_cmp_lt_u32_e32 vcc, v14, v45
	s_and_saveexec_b64 s[16:17], vcc
	s_cbranch_execz .LBB603_64
.LBB603_49:                             ;   in Loop: Header=BB603_16 Depth=2
	v_xor_b32_e32 v0, 0x80000000, v35
	v_lshrrev_b32_e32 v0, s93, v0
	v_and_b32_e32 v0, s94, v0
	v_lshl_or_b32 v0, v0, 4, v86
	ds_add_u32 v0, v87
	s_or_b64 exec, exec, s[16:17]
	v_cmp_lt_u32_e32 vcc, v16, v45
	s_and_saveexec_b64 s[16:17], vcc
	s_cbranch_execnz .LBB603_65
.LBB603_50:                             ;   in Loop: Header=BB603_16 Depth=2
	s_or_b64 exec, exec, s[16:17]
	v_cmp_lt_u32_e32 vcc, v18, v45
	s_and_saveexec_b64 s[16:17], vcc
	s_cbranch_execz .LBB603_66
.LBB603_51:                             ;   in Loop: Header=BB603_16 Depth=2
	v_xor_b32_e32 v0, 0x80000000, v33
	v_lshrrev_b32_e32 v0, s93, v0
	v_and_b32_e32 v0, s94, v0
	v_lshl_or_b32 v0, v0, 4, v86
	ds_add_u32 v0, v87
	s_or_b64 exec, exec, s[16:17]
	v_cmp_lt_u32_e32 vcc, v20, v45
	s_and_saveexec_b64 s[16:17], vcc
	s_cbranch_execnz .LBB603_67
.LBB603_52:                             ;   in Loop: Header=BB603_16 Depth=2
	s_or_b64 exec, exec, s[16:17]
	v_cmp_lt_u32_e32 vcc, v22, v45
	s_and_saveexec_b64 s[16:17], vcc
	s_cbranch_execz .LBB603_68
.LBB603_53:                             ;   in Loop: Header=BB603_16 Depth=2
	v_xor_b32_e32 v0, 0x80000000, v31
	v_lshrrev_b32_e32 v0, s93, v0
	v_and_b32_e32 v0, s94, v0
	v_lshl_or_b32 v0, v0, 4, v86
	ds_add_u32 v0, v87
	s_or_b64 exec, exec, s[16:17]
	v_cmp_lt_u32_e32 vcc, v24, v45
	s_and_saveexec_b64 s[16:17], vcc
	s_cbranch_execnz .LBB603_69
.LBB603_54:                             ;   in Loop: Header=BB603_16 Depth=2
	s_or_b64 exec, exec, s[16:17]
	v_cmp_lt_u32_e32 vcc, v26, v45
	s_and_saveexec_b64 s[16:17], vcc
	s_cbranch_execz .LBB603_70
.LBB603_55:                             ;   in Loop: Header=BB603_16 Depth=2
	v_xor_b32_e32 v0, 0x80000000, v5
	v_lshrrev_b32_e32 v0, s93, v0
	v_and_b32_e32 v0, s94, v0
	v_lshl_or_b32 v0, v0, 4, v86
	ds_add_u32 v0, v87
	s_or_b64 exec, exec, s[16:17]
	v_cmp_lt_u32_e32 vcc, v28, v45
	s_and_saveexec_b64 s[16:17], vcc
	s_cbranch_execz .LBB603_15
	s_branch .LBB603_71
.LBB603_56:                             ;   in Loop: Header=BB603_16 Depth=2
	s_or_b64 exec, exec, s[16:17]
	v_cmp_lt_u32_e32 vcc, v7, v45
	s_and_saveexec_b64 s[16:17], vcc
	s_cbranch_execz .LBB603_42
.LBB603_57:                             ;   in Loop: Header=BB603_16 Depth=2
	v_xor_b32_e32 v0, 0x80000000, v42
	v_lshrrev_b32_e32 v0, s93, v0
	v_and_b32_e32 v0, s94, v0
	v_lshl_or_b32 v0, v0, 4, v86
	ds_add_u32 v0, v87
	s_or_b64 exec, exec, s[16:17]
	v_cmp_lt_u32_e32 vcc, v9, v45
	s_and_saveexec_b64 s[16:17], vcc
	s_cbranch_execnz .LBB603_43
.LBB603_58:                             ;   in Loop: Header=BB603_16 Depth=2
	s_or_b64 exec, exec, s[16:17]
	v_cmp_lt_u32_e32 vcc, v11, v45
	s_and_saveexec_b64 s[16:17], vcc
	s_cbranch_execz .LBB603_44
.LBB603_59:                             ;   in Loop: Header=BB603_16 Depth=2
	v_xor_b32_e32 v0, 0x80000000, v40
	v_lshrrev_b32_e32 v0, s93, v0
	v_and_b32_e32 v0, s94, v0
	v_lshl_or_b32 v0, v0, 4, v86
	ds_add_u32 v0, v87
	s_or_b64 exec, exec, s[16:17]
	v_cmp_lt_u32_e32 vcc, v6, v45
	s_and_saveexec_b64 s[16:17], vcc
	s_cbranch_execnz .LBB603_45
.LBB603_60:                             ;   in Loop: Header=BB603_16 Depth=2
	s_or_b64 exec, exec, s[16:17]
	v_cmp_lt_u32_e32 vcc, v8, v45
	s_and_saveexec_b64 s[16:17], vcc
	s_cbranch_execz .LBB603_46
.LBB603_61:                             ;   in Loop: Header=BB603_16 Depth=2
	v_xor_b32_e32 v0, 0x80000000, v38
	v_lshrrev_b32_e32 v0, s93, v0
	v_and_b32_e32 v0, s94, v0
	v_lshl_or_b32 v0, v0, 4, v86
	ds_add_u32 v0, v87
	s_or_b64 exec, exec, s[16:17]
	v_cmp_lt_u32_e32 vcc, v10, v45
	s_and_saveexec_b64 s[16:17], vcc
	s_cbranch_execnz .LBB603_47
.LBB603_62:                             ;   in Loop: Header=BB603_16 Depth=2
	s_or_b64 exec, exec, s[16:17]
	v_cmp_lt_u32_e32 vcc, v12, v45
	s_and_saveexec_b64 s[16:17], vcc
	s_cbranch_execz .LBB603_48
.LBB603_63:                             ;   in Loop: Header=BB603_16 Depth=2
	v_xor_b32_e32 v0, 0x80000000, v36
	v_lshrrev_b32_e32 v0, s93, v0
	v_and_b32_e32 v0, s94, v0
	v_lshl_or_b32 v0, v0, 4, v86
	ds_add_u32 v0, v87
	s_or_b64 exec, exec, s[16:17]
	v_cmp_lt_u32_e32 vcc, v14, v45
	s_and_saveexec_b64 s[16:17], vcc
	s_cbranch_execnz .LBB603_49
.LBB603_64:                             ;   in Loop: Header=BB603_16 Depth=2
	s_or_b64 exec, exec, s[16:17]
	v_cmp_lt_u32_e32 vcc, v16, v45
	s_and_saveexec_b64 s[16:17], vcc
	s_cbranch_execz .LBB603_50
.LBB603_65:                             ;   in Loop: Header=BB603_16 Depth=2
	v_xor_b32_e32 v0, 0x80000000, v34
	v_lshrrev_b32_e32 v0, s93, v0
	v_and_b32_e32 v0, s94, v0
	v_lshl_or_b32 v0, v0, 4, v86
	ds_add_u32 v0, v87
	s_or_b64 exec, exec, s[16:17]
	v_cmp_lt_u32_e32 vcc, v18, v45
	s_and_saveexec_b64 s[16:17], vcc
	s_cbranch_execnz .LBB603_51
.LBB603_66:                             ;   in Loop: Header=BB603_16 Depth=2
	s_or_b64 exec, exec, s[16:17]
	v_cmp_lt_u32_e32 vcc, v20, v45
	s_and_saveexec_b64 s[16:17], vcc
	s_cbranch_execz .LBB603_52
.LBB603_67:                             ;   in Loop: Header=BB603_16 Depth=2
	v_xor_b32_e32 v0, 0x80000000, v32
	v_lshrrev_b32_e32 v0, s93, v0
	v_and_b32_e32 v0, s94, v0
	v_lshl_or_b32 v0, v0, 4, v86
	ds_add_u32 v0, v87
	s_or_b64 exec, exec, s[16:17]
	v_cmp_lt_u32_e32 vcc, v22, v45
	s_and_saveexec_b64 s[16:17], vcc
	s_cbranch_execnz .LBB603_53
.LBB603_68:                             ;   in Loop: Header=BB603_16 Depth=2
	s_or_b64 exec, exec, s[16:17]
	v_cmp_lt_u32_e32 vcc, v24, v45
	s_and_saveexec_b64 s[16:17], vcc
	s_cbranch_execz .LBB603_54
.LBB603_69:                             ;   in Loop: Header=BB603_16 Depth=2
	v_xor_b32_e32 v0, 0x80000000, v30
	v_lshrrev_b32_e32 v0, s93, v0
	v_and_b32_e32 v0, s94, v0
	v_lshl_or_b32 v0, v0, 4, v86
	ds_add_u32 v0, v87
	s_or_b64 exec, exec, s[16:17]
	v_cmp_lt_u32_e32 vcc, v26, v45
	s_and_saveexec_b64 s[16:17], vcc
	s_cbranch_execnz .LBB603_55
.LBB603_70:                             ;   in Loop: Header=BB603_16 Depth=2
	s_or_b64 exec, exec, s[16:17]
	v_cmp_lt_u32_e32 vcc, v28, v45
	s_and_saveexec_b64 s[16:17], vcc
	s_cbranch_execz .LBB603_15
.LBB603_71:                             ;   in Loop: Header=BB603_16 Depth=2
	s_waitcnt vmcnt(0)
	v_xor_b32_e32 v0, 0x80000000, v44
	v_lshrrev_b32_e32 v0, s93, v0
	v_and_b32_e32 v0, s94, v0
	v_lshl_or_b32 v0, v0, 4, v86
	ds_add_u32 v0, v87
	s_branch .LBB603_15
.LBB603_72:                             ;   in Loop: Header=BB603_16 Depth=2
	s_or_b64 exec, exec, s[20:21]
	v_cmp_gt_u32_e32 vcc, s22, v7
	s_and_saveexec_b64 s[20:21], vcc
	s_cbranch_execz .LBB603_22
.LBB603_73:                             ;   in Loop: Header=BB603_16 Depth=2
	global_load_dword v42, v88, s[18:19] offset:1024
	s_or_b64 exec, exec, s[20:21]
	v_cmp_gt_u32_e32 vcc, s22, v9
	s_and_saveexec_b64 s[20:21], vcc
	s_cbranch_execnz .LBB603_23
.LBB603_74:                             ;   in Loop: Header=BB603_16 Depth=2
	s_or_b64 exec, exec, s[20:21]
	v_cmp_gt_u32_e32 vcc, s22, v11
	s_and_saveexec_b64 s[20:21], vcc
	s_cbranch_execz .LBB603_24
.LBB603_75:                             ;   in Loop: Header=BB603_16 Depth=2
	global_load_dword v40, v88, s[18:19] offset:3072
	s_or_b64 exec, exec, s[20:21]
	v_cmp_gt_u32_e32 vcc, s22, v6
	s_and_saveexec_b64 s[20:21], vcc
	s_cbranch_execnz .LBB603_25
.LBB603_76:                             ;   in Loop: Header=BB603_16 Depth=2
	s_or_b64 exec, exec, s[20:21]
	v_cmp_gt_u32_e32 vcc, s22, v8
	s_and_saveexec_b64 s[20:21], vcc
	s_cbranch_execz .LBB603_26
.LBB603_77:                             ;   in Loop: Header=BB603_16 Depth=2
	global_load_dword v38, v90, s[18:19]
	s_or_b64 exec, exec, s[20:21]
	v_cmp_gt_u32_e32 vcc, s22, v10
	s_and_saveexec_b64 s[20:21], vcc
	s_cbranch_execnz .LBB603_27
.LBB603_78:                             ;   in Loop: Header=BB603_16 Depth=2
	s_or_b64 exec, exec, s[20:21]
	v_cmp_gt_u32_e32 vcc, s22, v12
	s_and_saveexec_b64 s[20:21], vcc
	s_cbranch_execz .LBB603_28
.LBB603_79:                             ;   in Loop: Header=BB603_16 Depth=2
	global_load_dword v36, v92, s[18:19]
	s_or_b64 exec, exec, s[20:21]
	v_cmp_gt_u32_e32 vcc, s22, v14
	s_and_saveexec_b64 s[20:21], vcc
	s_cbranch_execnz .LBB603_29
.LBB603_80:                             ;   in Loop: Header=BB603_16 Depth=2
	s_or_b64 exec, exec, s[20:21]
	v_cmp_gt_u32_e32 vcc, s22, v16
	s_and_saveexec_b64 s[20:21], vcc
	s_cbranch_execz .LBB603_30
.LBB603_81:                             ;   in Loop: Header=BB603_16 Depth=2
	global_load_dword v34, v94, s[18:19]
	s_or_b64 exec, exec, s[20:21]
	v_cmp_gt_u32_e32 vcc, s22, v18
	s_and_saveexec_b64 s[20:21], vcc
	s_cbranch_execnz .LBB603_31
.LBB603_82:                             ;   in Loop: Header=BB603_16 Depth=2
	s_or_b64 exec, exec, s[20:21]
	v_cmp_gt_u32_e32 vcc, s22, v20
	s_and_saveexec_b64 s[20:21], vcc
	s_cbranch_execz .LBB603_32
.LBB603_83:                             ;   in Loop: Header=BB603_16 Depth=2
	global_load_dword v32, v96, s[18:19]
	s_or_b64 exec, exec, s[20:21]
	v_cmp_gt_u32_e32 vcc, s22, v22
	s_and_saveexec_b64 s[20:21], vcc
	s_cbranch_execnz .LBB603_33
.LBB603_84:                             ;   in Loop: Header=BB603_16 Depth=2
	s_or_b64 exec, exec, s[20:21]
	v_cmp_gt_u32_e32 vcc, s22, v24
	s_and_saveexec_b64 s[20:21], vcc
	s_cbranch_execz .LBB603_34
.LBB603_85:                             ;   in Loop: Header=BB603_16 Depth=2
	global_load_dword v30, v98, s[18:19]
	s_or_b64 exec, exec, s[20:21]
	v_cmp_gt_u32_e32 vcc, s22, v26
	s_and_saveexec_b64 s[20:21], vcc
	s_cbranch_execz .LBB603_36
	s_branch .LBB603_35
.LBB603_86:                             ;   in Loop: Header=BB603_12 Depth=1
	v_mov_b32_e32 v0, 0
	s_waitcnt lgkmcnt(0)
	s_barrier
	s_and_saveexec_b64 s[16:17], s[4:5]
	s_cbranch_execz .LBB603_88
; %bb.87:                               ;   in Loop: Header=BB603_12 Depth=1
	ds_read2_b64 v[30:33], v17 offset1:1
	s_waitcnt lgkmcnt(0)
	v_add_u32_e32 v0, v31, v30
	v_add3_u32 v0, v0, v32, v33
.LBB603_88:                             ;   in Loop: Header=BB603_12 Depth=1
	s_or_b64 exec, exec, s[16:17]
	s_nop 0
	v_mov_b32_dpp v1, v0 row_shr:1 row_mask:0xf bank_mask:0xf
	v_cmp_eq_u32_e64 s[16:17], 0, v102
	v_cndmask_b32_e64 v1, v1, 0, s[16:17]
	v_add_u32_e32 v0, v1, v0
	v_cmp_lt_u32_e64 s[18:19], 1, v102
	v_cmp_lt_u32_e64 s[20:21], 3, v102
	v_mov_b32_dpp v1, v0 row_shr:2 row_mask:0xf bank_mask:0xf
	v_cndmask_b32_e64 v1, 0, v1, s[18:19]
	v_add_u32_e32 v0, v0, v1
	v_cmp_lt_u32_e64 s[22:23], 7, v102
	v_cmp_lt_u32_e64 s[26:27], 31, v101
	v_mov_b32_dpp v1, v0 row_shr:4 row_mask:0xf bank_mask:0xf
	v_cndmask_b32_e64 v1, 0, v1, s[20:21]
	v_add_u32_e32 v0, v0, v1
	v_cmp_eq_u32_e64 s[24:25], 0, v104
	s_nop 0
	v_mov_b32_dpp v1, v0 row_shr:8 row_mask:0xf bank_mask:0xf
	v_cndmask_b32_e64 v1, 0, v1, s[22:23]
	v_add_u32_e32 v0, v0, v1
	s_nop 1
	v_mov_b32_dpp v1, v0 row_bcast:15 row_mask:0xf bank_mask:0xf
	v_and_b32_e32 v1, v103, v1
	v_add_u32_e32 v0, v0, v1
	s_nop 1
	v_mov_b32_dpp v1, v0 row_bcast:31 row_mask:0xf bank_mask:0xf
	v_cndmask_b32_e64 v1, 0, v1, s[26:27]
	v_add_u32_e32 v0, v0, v1
	s_and_saveexec_b64 s[28:29], s[6:7]
	s_cbranch_execz .LBB603_90
; %bb.89:                               ;   in Loop: Header=BB603_12 Depth=1
	ds_write_b32 v21, v0
.LBB603_90:                             ;   in Loop: Header=BB603_12 Depth=1
	s_or_b64 exec, exec, s[28:29]
	s_waitcnt lgkmcnt(0)
	s_barrier
	s_and_saveexec_b64 s[28:29], s[8:9]
	s_cbranch_execz .LBB603_92
; %bb.91:                               ;   in Loop: Header=BB603_12 Depth=1
	ds_read_b32 v1, v23
	v_cmp_ne_u32_e32 vcc, 0, v105
	s_waitcnt lgkmcnt(0)
	v_mov_b32_dpp v5, v1 row_shr:1 row_mask:0xf bank_mask:0xf
	v_cndmask_b32_e32 v5, 0, v5, vcc
	v_add_u32_e32 v1, v5, v1
	v_cmp_lt_u32_e32 vcc, 1, v105
	s_nop 0
	v_mov_b32_dpp v5, v1 row_shr:2 row_mask:0xf bank_mask:0xf
	v_cndmask_b32_e32 v5, 0, v5, vcc
	v_add_u32_e32 v1, v1, v5
	ds_write_b32 v23, v1
.LBB603_92:                             ;   in Loop: Header=BB603_12 Depth=1
	s_or_b64 exec, exec, s[28:29]
	v_mov_b32_e32 v1, 0
	s_waitcnt lgkmcnt(0)
	s_barrier
	s_and_saveexec_b64 s[28:29], s[10:11]
	s_cbranch_execz .LBB603_94
; %bb.93:                               ;   in Loop: Header=BB603_12 Depth=1
	ds_read_b32 v1, v25
.LBB603_94:                             ;   in Loop: Header=BB603_12 Depth=1
	s_or_b64 exec, exec, s[28:29]
	v_cmp_lt_i32_e32 vcc, v106, v107
	v_cndmask_b32_e32 v5, v106, v101, vcc
	s_waitcnt lgkmcnt(0)
	v_add_u32_e32 v0, v1, v0
	v_lshlrev_b32_e32 v127, 2, v5
	ds_bpermute_b32 v0, v127, v0
	v_cmp_eq_u32_e64 s[28:29], 0, v101
	s_waitcnt lgkmcnt(0)
	s_barrier
	s_and_saveexec_b64 s[30:31], s[4:5]
	s_cbranch_execz .LBB603_96
; %bb.95:                               ;   in Loop: Header=BB603_12 Depth=1
	v_cndmask_b32_e64 v0, v0, v1, s[28:29]
	v_add_u32_e32 v0, s69, v0
	ds_write_b32 v3, v0
.LBB603_96:                             ;   in Loop: Header=BB603_12 Depth=1
	s_or_b64 exec, exec, s[30:31]
	s_load_dword s30, s[90:91], 0x4
	s_load_dword s36, s[90:91], 0xc
	v_add_co_u32_e32 v128, vcc, v68, v108
	v_addc_co_u32_e32 v129, vcc, 0, v69, vcc
	s_waitcnt lgkmcnt(0)
	s_cmp_lt_u32 s33, s30
	s_cselect_b32 s30, 14, 20
	s_add_u32 s30, s90, s30
	s_addc_u32 s31, s91, 0
	global_load_ushort v5, v4, s[30:31]
	v_add_co_u32_e32 v130, vcc, v70, v125
	v_addc_co_u32_e32 v131, vcc, 0, v71, vcc
	s_and_b32 s36, s36, 0xffff
	v_add_co_u32_e32 v145, vcc, 0xf00, v130
	v_cmp_eq_u32_e64 s[30:31], 0, v105
	v_cmp_lt_u32_e64 s[34:35], 1, v105
	s_mov_b32 s95, s87
	v_addc_co_u32_e32 v148, vcc, 0, v131, vcc
	s_mov_b32 s88, s69
                                        ; implicit-def: $vgpr0_vgpr1
                                        ; implicit-def: $vgpr30_vgpr31
                                        ; implicit-def: $vgpr32_vgpr33
                                        ; implicit-def: $vgpr36_vgpr37
                                        ; implicit-def: $vgpr40_vgpr41
                                        ; implicit-def: $vgpr44_vgpr45
                                        ; implicit-def: $vgpr48_vgpr49
                                        ; implicit-def: $vgpr52_vgpr53
                                        ; implicit-def: $vgpr34_vgpr35
                                        ; implicit-def: $vgpr38_vgpr39
                                        ; implicit-def: $vgpr42_vgpr43
                                        ; implicit-def: $vgpr46_vgpr47
                                        ; implicit-def: $vgpr50_vgpr51
                                        ; implicit-def: $vgpr54_vgpr55
                                        ; implicit-def: $vgpr56_vgpr57
                                        ; implicit-def: $vgpr58_vgpr59
                                        ; implicit-def: $vgpr132
                                        ; implicit-def: $vgpr133
                                        ; implicit-def: $vgpr134
                                        ; implicit-def: $vgpr135
                                        ; implicit-def: $vgpr136
                                        ; implicit-def: $vgpr137
                                        ; implicit-def: $vgpr138
                                        ; implicit-def: $vgpr139
                                        ; implicit-def: $vgpr140
                                        ; implicit-def: $vgpr141
                                        ; implicit-def: $vgpr142
                                        ; implicit-def: $vgpr143
                                        ; implicit-def: $vgpr144
                                        ; implicit-def: $vgpr146
                                        ; implicit-def: $vgpr147
                                        ; implicit-def: $vgpr149
	s_waitcnt vmcnt(0)
	v_mad_u32_u24 v5, v27, v5, v29
	v_mad_u64_u32 v[60:61], s[36:37], v5, s36, v[2:3]
	v_lshrrev_b32_e32 v150, 6, v60
	s_branch .LBB603_98
.LBB603_97:                             ;   in Loop: Header=BB603_98 Depth=2
	s_or_b64 exec, exec, s[36:37]
	s_addk_i32 s95, 0xf000
	s_cmp_lt_u32 s96, s92
	s_mov_b32 s88, s96
	s_cbranch_scc0 .LBB603_306
.LBB603_98:                             ;   Parent Loop BB603_12 Depth=1
                                        ; =>  This Inner Loop Header: Depth=2
	s_add_i32 s96, s88, 0x1000
	s_cmp_gt_u32 s96, s92
	s_cbranch_scc1 .LBB603_101
; %bb.99:                               ;   in Loop: Header=BB603_98 Depth=2
	s_lshl_b64 s[36:37], s[88:89], 2
	v_mov_b32_e32 v5, s37
	v_add_co_u32_e32 v60, vcc, s36, v130
	v_addc_co_u32_e32 v61, vcc, v131, v5, vcc
	global_load_dword v5, v[60:61], off
	global_load_dword v154, v[60:61], off offset:256
	global_load_dword v159, v[60:61], off offset:512
	;; [unrolled: 1-line block ×14, first 2 shown]
	s_mov_b64 s[36:37], -1
	s_movk_i32 s40, 0x1000
	s_cbranch_execz .LBB603_102
; %bb.100:                              ;   in Loop: Header=BB603_98 Depth=2
                                        ; implicit-def: $sgpr38
	v_mov_b32_e32 v63, s38
	v_mov_b32_e32 v151, s95
	s_and_saveexec_b64 s[38:39], s[36:37]
	s_cbranch_execnz .LBB603_133
	s_branch .LBB603_134
.LBB603_101:                            ;   in Loop: Header=BB603_98 Depth=2
	s_mov_b64 s[36:37], 0
                                        ; implicit-def: $sgpr40
                                        ; implicit-def: $vgpr5
                                        ; implicit-def: $vgpr154
                                        ; implicit-def: $vgpr159
                                        ; implicit-def: $vgpr164
                                        ; implicit-def: $vgpr169
                                        ; implicit-def: $vgpr174
                                        ; implicit-def: $vgpr179
                                        ; implicit-def: $vgpr184
                                        ; implicit-def: $vgpr182
                                        ; implicit-def: $vgpr177
                                        ; implicit-def: $vgpr173
                                        ; implicit-def: $vgpr168
                                        ; implicit-def: $vgpr163
                                        ; implicit-def: $vgpr158
                                        ; implicit-def: $vgpr62
.LBB603_102:                            ;   in Loop: Header=BB603_98 Depth=2
	s_lshl_b64 s[36:37], s[88:89], 2
	s_waitcnt vmcnt(14)
	v_mov_b32_e32 v5, s37
	v_add_co_u32_e32 v60, vcc, s36, v130
	v_addc_co_u32_e32 v61, vcc, v131, v5, vcc
	v_cmp_gt_u32_e32 vcc, s95, v109
	s_waitcnt vmcnt(13)
	v_bfrev_b32_e32 v154, -2
	v_bfrev_b32_e32 v5, -2
	s_and_saveexec_b64 s[36:37], vcc
	s_cbranch_execz .LBB603_104
; %bb.103:                              ;   in Loop: Header=BB603_98 Depth=2
	global_load_dword v5, v[60:61], off
.LBB603_104:                            ;   in Loop: Header=BB603_98 Depth=2
	s_or_b64 exec, exec, s[36:37]
	v_cmp_gt_u32_e32 vcc, s95, v110
	s_and_saveexec_b64 s[36:37], vcc
	s_cbranch_execz .LBB603_106
; %bb.105:                              ;   in Loop: Header=BB603_98 Depth=2
	global_load_dword v154, v[60:61], off offset:256
.LBB603_106:                            ;   in Loop: Header=BB603_98 Depth=2
	s_or_b64 exec, exec, s[36:37]
	v_cmp_gt_u32_e32 vcc, s95, v111
	s_waitcnt vmcnt(11)
	v_bfrev_b32_e32 v164, -2
	v_bfrev_b32_e32 v159, -2
	s_and_saveexec_b64 s[36:37], vcc
	s_cbranch_execz .LBB603_108
; %bb.107:                              ;   in Loop: Header=BB603_98 Depth=2
	global_load_dword v159, v[60:61], off offset:512
.LBB603_108:                            ;   in Loop: Header=BB603_98 Depth=2
	s_or_b64 exec, exec, s[36:37]
	v_cmp_gt_u32_e32 vcc, s95, v112
	s_and_saveexec_b64 s[36:37], vcc
	s_cbranch_execz .LBB603_110
; %bb.109:                              ;   in Loop: Header=BB603_98 Depth=2
	global_load_dword v164, v[60:61], off offset:768
.LBB603_110:                            ;   in Loop: Header=BB603_98 Depth=2
	s_or_b64 exec, exec, s[36:37]
	v_cmp_gt_u32_e32 vcc, s95, v113
	s_waitcnt vmcnt(9)
	v_bfrev_b32_e32 v174, -2
	v_bfrev_b32_e32 v169, -2
	s_and_saveexec_b64 s[36:37], vcc
	s_cbranch_execz .LBB603_112
; %bb.111:                              ;   in Loop: Header=BB603_98 Depth=2
	global_load_dword v169, v[60:61], off offset:1024
.LBB603_112:                            ;   in Loop: Header=BB603_98 Depth=2
	;; [unrolled: 17-line block ×6, first 2 shown]
	s_or_b64 exec, exec, s[36:37]
	v_cmp_gt_u32_e32 vcc, s95, v122
	s_and_saveexec_b64 s[36:37], vcc
	s_cbranch_execz .LBB603_130
; %bb.129:                              ;   in Loop: Header=BB603_98 Depth=2
	global_load_dword v158, v[60:61], off offset:3328
.LBB603_130:                            ;   in Loop: Header=BB603_98 Depth=2
	s_or_b64 exec, exec, s[36:37]
	v_cmp_gt_u32_e32 vcc, s95, v123
	s_waitcnt vmcnt(0)
	v_bfrev_b32_e32 v62, -2
	s_and_saveexec_b64 s[36:37], vcc
	s_cbranch_execz .LBB603_132
; %bb.131:                              ;   in Loop: Header=BB603_98 Depth=2
	global_load_dword v62, v[60:61], off offset:3584
.LBB603_132:                            ;   in Loop: Header=BB603_98 Depth=2
	s_or_b64 exec, exec, s[36:37]
	s_sub_i32 s40, s92, s88
	v_cmp_gt_u32_e64 s[36:37], s95, v124
	s_brev_b32 s38, -2
	v_mov_b32_e32 v63, s38
	v_mov_b32_e32 v151, s95
	s_and_saveexec_b64 s[38:39], s[36:37]
	s_cbranch_execz .LBB603_134
.LBB603_133:                            ;   in Loop: Header=BB603_98 Depth=2
	s_lshl_b64 s[36:37], s[88:89], 2
	v_mov_b32_e32 v61, s37
	v_add_co_u32_e32 v60, vcc, s36, v145
	v_addc_co_u32_e32 v61, vcc, v148, v61, vcc
	global_load_dword v63, v[60:61], off
	v_mov_b32_e32 v151, s40
.LBB603_134:                            ;   in Loop: Header=BB603_98 Depth=2
	s_or_b64 exec, exec, s[38:39]
	s_waitcnt vmcnt(14)
	v_xor_b32_e32 v152, 0x80000000, v5
	v_lshrrev_b32_e32 v5, s93, v152
	v_and_b32_e32 v60, s94, v5
	v_mad_u32_u24 v5, v60, 5, v150
	v_lshl_add_u32 v153, v5, 2, v65
	v_and_b32_e32 v5, 1, v60
	v_add_co_u32_e32 v61, vcc, -1, v5
	v_addc_co_u32_e64 v155, s[36:37], 0, -1, vcc
	v_cmp_ne_u32_e32 vcc, 0, v5
	v_xor_b32_e32 v5, vcc_hi, v155
	v_and_b32_e32 v155, exec_hi, v5
	v_lshlrev_b32_e32 v5, 30, v60
	v_xor_b32_e32 v61, vcc_lo, v61
	v_cmp_gt_i64_e32 vcc, 0, v[4:5]
	v_not_b32_e32 v5, v5
	v_ashrrev_i32_e32 v5, 31, v5
	v_and_b32_e32 v61, exec_lo, v61
	v_xor_b32_e32 v156, vcc_hi, v5
	v_xor_b32_e32 v5, vcc_lo, v5
	v_and_b32_e32 v61, v61, v5
	v_lshlrev_b32_e32 v5, 29, v60
	v_cmp_gt_i64_e32 vcc, 0, v[4:5]
	v_not_b32_e32 v5, v5
	v_ashrrev_i32_e32 v5, 31, v5
	v_and_b32_e32 v155, v155, v156
	v_xor_b32_e32 v156, vcc_hi, v5
	v_xor_b32_e32 v5, vcc_lo, v5
	v_and_b32_e32 v61, v61, v5
	v_lshlrev_b32_e32 v5, 28, v60
	v_cmp_gt_i64_e32 vcc, 0, v[4:5]
	v_not_b32_e32 v5, v5
	v_ashrrev_i32_e32 v5, 31, v5
	v_and_b32_e32 v155, v155, v156
	v_xor_b32_e32 v156, vcc_hi, v5
	v_xor_b32_e32 v5, vcc_lo, v5
	v_and_b32_e32 v61, v61, v5
	v_lshlrev_b32_e32 v5, 27, v60
	v_cmp_gt_i64_e32 vcc, 0, v[4:5]
	v_not_b32_e32 v5, v5
	v_ashrrev_i32_e32 v5, 31, v5
	v_and_b32_e32 v155, v155, v156
	v_xor_b32_e32 v156, vcc_hi, v5
	v_xor_b32_e32 v5, vcc_lo, v5
	v_and_b32_e32 v61, v61, v5
	v_lshlrev_b32_e32 v5, 26, v60
	v_cmp_gt_i64_e32 vcc, 0, v[4:5]
	v_not_b32_e32 v5, v5
	v_ashrrev_i32_e32 v5, 31, v5
	v_and_b32_e32 v155, v155, v156
	v_xor_b32_e32 v156, vcc_hi, v5
	v_xor_b32_e32 v5, vcc_lo, v5
	v_and_b32_e32 v61, v61, v5
	v_lshlrev_b32_e32 v5, 25, v60
	v_cmp_gt_i64_e32 vcc, 0, v[4:5]
	v_not_b32_e32 v5, v5
	v_ashrrev_i32_e32 v5, 31, v5
	v_and_b32_e32 v155, v155, v156
	v_xor_b32_e32 v156, vcc_hi, v5
	v_xor_b32_e32 v5, vcc_lo, v5
	v_and_b32_e32 v155, v155, v156
	v_and_b32_e32 v156, v61, v5
	v_lshlrev_b32_e32 v5, 24, v60
	v_cmp_gt_i64_e32 vcc, 0, v[4:5]
	v_not_b32_e32 v5, v5
	v_ashrrev_i32_e32 v5, 31, v5
	v_xor_b32_e32 v60, vcc_hi, v5
	v_xor_b32_e32 v5, vcc_lo, v5
	v_and_b32_e32 v61, v155, v60
	v_and_b32_e32 v60, v156, v5
	v_mbcnt_lo_u32_b32 v5, v60, 0
	v_mbcnt_hi_u32_b32 v155, v61, v5
	v_cmp_eq_u32_e32 vcc, 0, v155
	v_cmp_ne_u64_e64 s[36:37], 0, v[60:61]
	s_and_b64 s[38:39], s[36:37], vcc
	ds_write2_b32 v126, v4, v4 offset1:1
	ds_write2_b32 v66, v4, v4 offset0:2 offset1:3
	ds_write_b32 v66, v4 offset:16
	s_waitcnt lgkmcnt(0)
	s_barrier
	s_waitcnt lgkmcnt(0)
	; wave barrier
	s_and_saveexec_b64 s[36:37], s[38:39]
	s_cbranch_execz .LBB603_136
; %bb.135:                              ;   in Loop: Header=BB603_98 Depth=2
	v_bcnt_u32_b32 v5, v60, 0
	v_bcnt_u32_b32 v5, v61, v5
	ds_write_b32 v153, v5
.LBB603_136:                            ;   in Loop: Header=BB603_98 Depth=2
	s_or_b64 exec, exec, s[36:37]
	s_waitcnt vmcnt(13)
	v_xor_b32_e32 v154, 0x80000000, v154
	v_lshrrev_b32_e32 v5, s93, v154
	v_and_b32_e32 v60, s94, v5
	v_mul_u32_u24_e32 v5, 5, v60
	v_add_lshl_u32 v5, v5, v150, 2
	; wave barrier
	v_add_u32_e32 v157, 0x410, v5
	ds_read_b32 v156, v5 offset:1040
	v_and_b32_e32 v5, 1, v60
	v_add_co_u32_e32 v61, vcc, -1, v5
	v_addc_co_u32_e64 v160, s[36:37], 0, -1, vcc
	v_cmp_ne_u32_e32 vcc, 0, v5
	v_xor_b32_e32 v5, vcc_hi, v160
	v_and_b32_e32 v160, exec_hi, v5
	v_lshlrev_b32_e32 v5, 30, v60
	v_xor_b32_e32 v61, vcc_lo, v61
	v_cmp_gt_i64_e32 vcc, 0, v[4:5]
	v_not_b32_e32 v5, v5
	v_ashrrev_i32_e32 v5, 31, v5
	v_and_b32_e32 v61, exec_lo, v61
	v_xor_b32_e32 v161, vcc_hi, v5
	v_xor_b32_e32 v5, vcc_lo, v5
	v_and_b32_e32 v61, v61, v5
	v_lshlrev_b32_e32 v5, 29, v60
	v_cmp_gt_i64_e32 vcc, 0, v[4:5]
	v_not_b32_e32 v5, v5
	v_ashrrev_i32_e32 v5, 31, v5
	v_and_b32_e32 v160, v160, v161
	v_xor_b32_e32 v161, vcc_hi, v5
	v_xor_b32_e32 v5, vcc_lo, v5
	v_and_b32_e32 v61, v61, v5
	v_lshlrev_b32_e32 v5, 28, v60
	v_cmp_gt_i64_e32 vcc, 0, v[4:5]
	v_not_b32_e32 v5, v5
	v_ashrrev_i32_e32 v5, 31, v5
	v_and_b32_e32 v160, v160, v161
	;; [unrolled: 8-line block ×5, first 2 shown]
	v_xor_b32_e32 v161, vcc_hi, v5
	v_xor_b32_e32 v5, vcc_lo, v5
	v_and_b32_e32 v160, v160, v161
	v_and_b32_e32 v161, v61, v5
	v_lshlrev_b32_e32 v5, 24, v60
	v_cmp_gt_i64_e32 vcc, 0, v[4:5]
	v_not_b32_e32 v5, v5
	v_ashrrev_i32_e32 v5, 31, v5
	v_xor_b32_e32 v60, vcc_hi, v5
	v_xor_b32_e32 v5, vcc_lo, v5
	v_and_b32_e32 v61, v160, v60
	v_and_b32_e32 v60, v161, v5
	v_mbcnt_lo_u32_b32 v5, v60, 0
	v_mbcnt_hi_u32_b32 v160, v61, v5
	v_cmp_eq_u32_e32 vcc, 0, v160
	v_cmp_ne_u64_e64 s[36:37], 0, v[60:61]
	s_and_b64 s[38:39], s[36:37], vcc
	; wave barrier
	s_and_saveexec_b64 s[36:37], s[38:39]
	s_cbranch_execz .LBB603_138
; %bb.137:                              ;   in Loop: Header=BB603_98 Depth=2
	v_bcnt_u32_b32 v5, v60, 0
	v_bcnt_u32_b32 v5, v61, v5
	s_waitcnt lgkmcnt(0)
	v_add_u32_e32 v5, v156, v5
	ds_write_b32 v157, v5
.LBB603_138:                            ;   in Loop: Header=BB603_98 Depth=2
	s_or_b64 exec, exec, s[36:37]
	s_waitcnt vmcnt(12)
	v_xor_b32_e32 v159, 0x80000000, v159
	v_lshrrev_b32_e32 v5, s93, v159
	v_and_b32_e32 v60, s94, v5
	v_mul_u32_u24_e32 v5, 5, v60
	v_add_lshl_u32 v5, v5, v150, 2
	; wave barrier
	v_add_u32_e32 v162, 0x410, v5
	ds_read_b32 v161, v5 offset:1040
	v_and_b32_e32 v5, 1, v60
	v_add_co_u32_e32 v61, vcc, -1, v5
	v_addc_co_u32_e64 v165, s[36:37], 0, -1, vcc
	v_cmp_ne_u32_e32 vcc, 0, v5
	v_xor_b32_e32 v5, vcc_hi, v165
	v_and_b32_e32 v165, exec_hi, v5
	v_lshlrev_b32_e32 v5, 30, v60
	v_xor_b32_e32 v61, vcc_lo, v61
	v_cmp_gt_i64_e32 vcc, 0, v[4:5]
	v_not_b32_e32 v5, v5
	v_ashrrev_i32_e32 v5, 31, v5
	v_and_b32_e32 v61, exec_lo, v61
	v_xor_b32_e32 v166, vcc_hi, v5
	v_xor_b32_e32 v5, vcc_lo, v5
	v_and_b32_e32 v61, v61, v5
	v_lshlrev_b32_e32 v5, 29, v60
	v_cmp_gt_i64_e32 vcc, 0, v[4:5]
	v_not_b32_e32 v5, v5
	v_ashrrev_i32_e32 v5, 31, v5
	v_and_b32_e32 v165, v165, v166
	v_xor_b32_e32 v166, vcc_hi, v5
	v_xor_b32_e32 v5, vcc_lo, v5
	v_and_b32_e32 v61, v61, v5
	v_lshlrev_b32_e32 v5, 28, v60
	v_cmp_gt_i64_e32 vcc, 0, v[4:5]
	v_not_b32_e32 v5, v5
	v_ashrrev_i32_e32 v5, 31, v5
	v_and_b32_e32 v165, v165, v166
	;; [unrolled: 8-line block ×5, first 2 shown]
	v_xor_b32_e32 v166, vcc_hi, v5
	v_xor_b32_e32 v5, vcc_lo, v5
	v_and_b32_e32 v165, v165, v166
	v_and_b32_e32 v166, v61, v5
	v_lshlrev_b32_e32 v5, 24, v60
	v_cmp_gt_i64_e32 vcc, 0, v[4:5]
	v_not_b32_e32 v5, v5
	v_ashrrev_i32_e32 v5, 31, v5
	v_xor_b32_e32 v60, vcc_hi, v5
	v_xor_b32_e32 v5, vcc_lo, v5
	v_and_b32_e32 v61, v165, v60
	v_and_b32_e32 v60, v166, v5
	v_mbcnt_lo_u32_b32 v5, v60, 0
	v_mbcnt_hi_u32_b32 v165, v61, v5
	v_cmp_eq_u32_e32 vcc, 0, v165
	v_cmp_ne_u64_e64 s[36:37], 0, v[60:61]
	s_and_b64 s[38:39], s[36:37], vcc
	; wave barrier
	s_and_saveexec_b64 s[36:37], s[38:39]
	s_cbranch_execz .LBB603_140
; %bb.139:                              ;   in Loop: Header=BB603_98 Depth=2
	v_bcnt_u32_b32 v5, v60, 0
	v_bcnt_u32_b32 v5, v61, v5
	s_waitcnt lgkmcnt(0)
	v_add_u32_e32 v5, v161, v5
	ds_write_b32 v162, v5
.LBB603_140:                            ;   in Loop: Header=BB603_98 Depth=2
	s_or_b64 exec, exec, s[36:37]
	s_waitcnt vmcnt(11)
	v_xor_b32_e32 v164, 0x80000000, v164
	v_lshrrev_b32_e32 v5, s93, v164
	v_and_b32_e32 v60, s94, v5
	v_mul_u32_u24_e32 v5, 5, v60
	v_add_lshl_u32 v5, v5, v150, 2
	; wave barrier
	v_add_u32_e32 v167, 0x410, v5
	ds_read_b32 v166, v5 offset:1040
	v_and_b32_e32 v5, 1, v60
	v_add_co_u32_e32 v61, vcc, -1, v5
	v_addc_co_u32_e64 v170, s[36:37], 0, -1, vcc
	v_cmp_ne_u32_e32 vcc, 0, v5
	v_xor_b32_e32 v5, vcc_hi, v170
	v_and_b32_e32 v170, exec_hi, v5
	v_lshlrev_b32_e32 v5, 30, v60
	v_xor_b32_e32 v61, vcc_lo, v61
	v_cmp_gt_i64_e32 vcc, 0, v[4:5]
	v_not_b32_e32 v5, v5
	v_ashrrev_i32_e32 v5, 31, v5
	v_and_b32_e32 v61, exec_lo, v61
	v_xor_b32_e32 v171, vcc_hi, v5
	v_xor_b32_e32 v5, vcc_lo, v5
	v_and_b32_e32 v61, v61, v5
	v_lshlrev_b32_e32 v5, 29, v60
	v_cmp_gt_i64_e32 vcc, 0, v[4:5]
	v_not_b32_e32 v5, v5
	v_ashrrev_i32_e32 v5, 31, v5
	v_and_b32_e32 v170, v170, v171
	v_xor_b32_e32 v171, vcc_hi, v5
	v_xor_b32_e32 v5, vcc_lo, v5
	v_and_b32_e32 v61, v61, v5
	v_lshlrev_b32_e32 v5, 28, v60
	v_cmp_gt_i64_e32 vcc, 0, v[4:5]
	v_not_b32_e32 v5, v5
	v_ashrrev_i32_e32 v5, 31, v5
	v_and_b32_e32 v170, v170, v171
	;; [unrolled: 8-line block ×5, first 2 shown]
	v_xor_b32_e32 v171, vcc_hi, v5
	v_xor_b32_e32 v5, vcc_lo, v5
	v_and_b32_e32 v170, v170, v171
	v_and_b32_e32 v171, v61, v5
	v_lshlrev_b32_e32 v5, 24, v60
	v_cmp_gt_i64_e32 vcc, 0, v[4:5]
	v_not_b32_e32 v5, v5
	v_ashrrev_i32_e32 v5, 31, v5
	v_xor_b32_e32 v60, vcc_hi, v5
	v_xor_b32_e32 v5, vcc_lo, v5
	v_and_b32_e32 v61, v170, v60
	v_and_b32_e32 v60, v171, v5
	v_mbcnt_lo_u32_b32 v5, v60, 0
	v_mbcnt_hi_u32_b32 v170, v61, v5
	v_cmp_eq_u32_e32 vcc, 0, v170
	v_cmp_ne_u64_e64 s[36:37], 0, v[60:61]
	s_and_b64 s[38:39], s[36:37], vcc
	; wave barrier
	s_and_saveexec_b64 s[36:37], s[38:39]
	s_cbranch_execz .LBB603_142
; %bb.141:                              ;   in Loop: Header=BB603_98 Depth=2
	v_bcnt_u32_b32 v5, v60, 0
	v_bcnt_u32_b32 v5, v61, v5
	s_waitcnt lgkmcnt(0)
	v_add_u32_e32 v5, v166, v5
	ds_write_b32 v167, v5
.LBB603_142:                            ;   in Loop: Header=BB603_98 Depth=2
	s_or_b64 exec, exec, s[36:37]
	s_waitcnt vmcnt(10)
	v_xor_b32_e32 v169, 0x80000000, v169
	v_lshrrev_b32_e32 v5, s93, v169
	v_and_b32_e32 v60, s94, v5
	v_mul_u32_u24_e32 v5, 5, v60
	v_add_lshl_u32 v5, v5, v150, 2
	; wave barrier
	v_add_u32_e32 v172, 0x410, v5
	ds_read_b32 v171, v5 offset:1040
	v_and_b32_e32 v5, 1, v60
	v_add_co_u32_e32 v61, vcc, -1, v5
	v_addc_co_u32_e64 v175, s[36:37], 0, -1, vcc
	v_cmp_ne_u32_e32 vcc, 0, v5
	v_xor_b32_e32 v5, vcc_hi, v175
	v_and_b32_e32 v175, exec_hi, v5
	v_lshlrev_b32_e32 v5, 30, v60
	v_xor_b32_e32 v61, vcc_lo, v61
	v_cmp_gt_i64_e32 vcc, 0, v[4:5]
	v_not_b32_e32 v5, v5
	v_ashrrev_i32_e32 v5, 31, v5
	v_and_b32_e32 v61, exec_lo, v61
	v_xor_b32_e32 v176, vcc_hi, v5
	v_xor_b32_e32 v5, vcc_lo, v5
	v_and_b32_e32 v61, v61, v5
	v_lshlrev_b32_e32 v5, 29, v60
	v_cmp_gt_i64_e32 vcc, 0, v[4:5]
	v_not_b32_e32 v5, v5
	v_ashrrev_i32_e32 v5, 31, v5
	v_and_b32_e32 v175, v175, v176
	v_xor_b32_e32 v176, vcc_hi, v5
	v_xor_b32_e32 v5, vcc_lo, v5
	v_and_b32_e32 v61, v61, v5
	v_lshlrev_b32_e32 v5, 28, v60
	v_cmp_gt_i64_e32 vcc, 0, v[4:5]
	v_not_b32_e32 v5, v5
	v_ashrrev_i32_e32 v5, 31, v5
	v_and_b32_e32 v175, v175, v176
	;; [unrolled: 8-line block ×5, first 2 shown]
	v_xor_b32_e32 v176, vcc_hi, v5
	v_xor_b32_e32 v5, vcc_lo, v5
	v_and_b32_e32 v175, v175, v176
	v_and_b32_e32 v176, v61, v5
	v_lshlrev_b32_e32 v5, 24, v60
	v_cmp_gt_i64_e32 vcc, 0, v[4:5]
	v_not_b32_e32 v5, v5
	v_ashrrev_i32_e32 v5, 31, v5
	v_xor_b32_e32 v60, vcc_hi, v5
	v_xor_b32_e32 v5, vcc_lo, v5
	v_and_b32_e32 v61, v175, v60
	v_and_b32_e32 v60, v176, v5
	v_mbcnt_lo_u32_b32 v5, v60, 0
	v_mbcnt_hi_u32_b32 v175, v61, v5
	v_cmp_eq_u32_e32 vcc, 0, v175
	v_cmp_ne_u64_e64 s[36:37], 0, v[60:61]
	s_and_b64 s[38:39], s[36:37], vcc
	; wave barrier
	s_and_saveexec_b64 s[36:37], s[38:39]
	s_cbranch_execz .LBB603_144
; %bb.143:                              ;   in Loop: Header=BB603_98 Depth=2
	v_bcnt_u32_b32 v5, v60, 0
	v_bcnt_u32_b32 v5, v61, v5
	s_waitcnt lgkmcnt(0)
	v_add_u32_e32 v5, v171, v5
	ds_write_b32 v172, v5
.LBB603_144:                            ;   in Loop: Header=BB603_98 Depth=2
	s_or_b64 exec, exec, s[36:37]
	s_waitcnt vmcnt(9)
	v_xor_b32_e32 v174, 0x80000000, v174
	v_lshrrev_b32_e32 v5, s93, v174
	v_and_b32_e32 v60, s94, v5
	v_mul_u32_u24_e32 v5, 5, v60
	v_add_lshl_u32 v5, v5, v150, 2
	; wave barrier
	v_add_u32_e32 v178, 0x410, v5
	ds_read_b32 v176, v5 offset:1040
	v_and_b32_e32 v5, 1, v60
	v_add_co_u32_e32 v61, vcc, -1, v5
	v_addc_co_u32_e64 v180, s[36:37], 0, -1, vcc
	v_cmp_ne_u32_e32 vcc, 0, v5
	v_xor_b32_e32 v5, vcc_hi, v180
	v_and_b32_e32 v180, exec_hi, v5
	v_lshlrev_b32_e32 v5, 30, v60
	v_xor_b32_e32 v61, vcc_lo, v61
	v_cmp_gt_i64_e32 vcc, 0, v[4:5]
	v_not_b32_e32 v5, v5
	v_ashrrev_i32_e32 v5, 31, v5
	v_and_b32_e32 v61, exec_lo, v61
	v_xor_b32_e32 v181, vcc_hi, v5
	v_xor_b32_e32 v5, vcc_lo, v5
	v_and_b32_e32 v61, v61, v5
	v_lshlrev_b32_e32 v5, 29, v60
	v_cmp_gt_i64_e32 vcc, 0, v[4:5]
	v_not_b32_e32 v5, v5
	v_ashrrev_i32_e32 v5, 31, v5
	v_and_b32_e32 v180, v180, v181
	v_xor_b32_e32 v181, vcc_hi, v5
	v_xor_b32_e32 v5, vcc_lo, v5
	v_and_b32_e32 v61, v61, v5
	v_lshlrev_b32_e32 v5, 28, v60
	v_cmp_gt_i64_e32 vcc, 0, v[4:5]
	v_not_b32_e32 v5, v5
	v_ashrrev_i32_e32 v5, 31, v5
	v_and_b32_e32 v180, v180, v181
	;; [unrolled: 8-line block ×5, first 2 shown]
	v_xor_b32_e32 v181, vcc_hi, v5
	v_xor_b32_e32 v5, vcc_lo, v5
	v_and_b32_e32 v180, v180, v181
	v_and_b32_e32 v181, v61, v5
	v_lshlrev_b32_e32 v5, 24, v60
	v_cmp_gt_i64_e32 vcc, 0, v[4:5]
	v_not_b32_e32 v5, v5
	v_ashrrev_i32_e32 v5, 31, v5
	v_xor_b32_e32 v60, vcc_hi, v5
	v_xor_b32_e32 v5, vcc_lo, v5
	v_and_b32_e32 v61, v180, v60
	v_and_b32_e32 v60, v181, v5
	v_mbcnt_lo_u32_b32 v5, v60, 0
	v_mbcnt_hi_u32_b32 v180, v61, v5
	v_cmp_eq_u32_e32 vcc, 0, v180
	v_cmp_ne_u64_e64 s[36:37], 0, v[60:61]
	s_and_b64 s[38:39], s[36:37], vcc
	; wave barrier
	s_and_saveexec_b64 s[36:37], s[38:39]
	s_cbranch_execz .LBB603_146
; %bb.145:                              ;   in Loop: Header=BB603_98 Depth=2
	v_bcnt_u32_b32 v5, v60, 0
	v_bcnt_u32_b32 v5, v61, v5
	s_waitcnt lgkmcnt(0)
	v_add_u32_e32 v5, v176, v5
	ds_write_b32 v178, v5
.LBB603_146:                            ;   in Loop: Header=BB603_98 Depth=2
	s_or_b64 exec, exec, s[36:37]
	s_waitcnt vmcnt(8)
	v_xor_b32_e32 v179, 0x80000000, v179
	v_lshrrev_b32_e32 v5, s93, v179
	v_and_b32_e32 v60, s94, v5
	v_mul_u32_u24_e32 v5, 5, v60
	v_add_lshl_u32 v5, v5, v150, 2
	; wave barrier
	v_add_u32_e32 v183, 0x410, v5
	ds_read_b32 v181, v5 offset:1040
	v_and_b32_e32 v5, 1, v60
	v_add_co_u32_e32 v61, vcc, -1, v5
	v_addc_co_u32_e64 v185, s[36:37], 0, -1, vcc
	v_cmp_ne_u32_e32 vcc, 0, v5
	v_xor_b32_e32 v5, vcc_hi, v185
	v_and_b32_e32 v185, exec_hi, v5
	v_lshlrev_b32_e32 v5, 30, v60
	v_xor_b32_e32 v61, vcc_lo, v61
	v_cmp_gt_i64_e32 vcc, 0, v[4:5]
	v_not_b32_e32 v5, v5
	v_ashrrev_i32_e32 v5, 31, v5
	v_and_b32_e32 v61, exec_lo, v61
	v_xor_b32_e32 v186, vcc_hi, v5
	v_xor_b32_e32 v5, vcc_lo, v5
	v_and_b32_e32 v61, v61, v5
	v_lshlrev_b32_e32 v5, 29, v60
	v_cmp_gt_i64_e32 vcc, 0, v[4:5]
	v_not_b32_e32 v5, v5
	v_ashrrev_i32_e32 v5, 31, v5
	v_and_b32_e32 v185, v185, v186
	v_xor_b32_e32 v186, vcc_hi, v5
	v_xor_b32_e32 v5, vcc_lo, v5
	v_and_b32_e32 v61, v61, v5
	v_lshlrev_b32_e32 v5, 28, v60
	v_cmp_gt_i64_e32 vcc, 0, v[4:5]
	v_not_b32_e32 v5, v5
	v_ashrrev_i32_e32 v5, 31, v5
	v_and_b32_e32 v185, v185, v186
	;; [unrolled: 8-line block ×5, first 2 shown]
	v_xor_b32_e32 v186, vcc_hi, v5
	v_xor_b32_e32 v5, vcc_lo, v5
	v_and_b32_e32 v185, v185, v186
	v_and_b32_e32 v186, v61, v5
	v_lshlrev_b32_e32 v5, 24, v60
	v_cmp_gt_i64_e32 vcc, 0, v[4:5]
	v_not_b32_e32 v5, v5
	v_ashrrev_i32_e32 v5, 31, v5
	v_xor_b32_e32 v60, vcc_hi, v5
	v_xor_b32_e32 v5, vcc_lo, v5
	v_and_b32_e32 v61, v185, v60
	v_and_b32_e32 v60, v186, v5
	v_mbcnt_lo_u32_b32 v5, v60, 0
	v_mbcnt_hi_u32_b32 v185, v61, v5
	v_cmp_eq_u32_e32 vcc, 0, v185
	v_cmp_ne_u64_e64 s[36:37], 0, v[60:61]
	s_and_b64 s[38:39], s[36:37], vcc
	; wave barrier
	s_and_saveexec_b64 s[36:37], s[38:39]
	s_cbranch_execz .LBB603_148
; %bb.147:                              ;   in Loop: Header=BB603_98 Depth=2
	v_bcnt_u32_b32 v5, v60, 0
	v_bcnt_u32_b32 v5, v61, v5
	s_waitcnt lgkmcnt(0)
	v_add_u32_e32 v5, v181, v5
	ds_write_b32 v183, v5
.LBB603_148:                            ;   in Loop: Header=BB603_98 Depth=2
	s_or_b64 exec, exec, s[36:37]
	s_waitcnt vmcnt(7)
	v_xor_b32_e32 v184, 0x80000000, v184
	v_lshrrev_b32_e32 v5, s93, v184
	v_and_b32_e32 v60, s94, v5
	v_mul_u32_u24_e32 v5, 5, v60
	v_add_lshl_u32 v5, v5, v150, 2
	; wave barrier
	v_add_u32_e32 v187, 0x410, v5
	ds_read_b32 v186, v5 offset:1040
	v_and_b32_e32 v5, 1, v60
	v_add_co_u32_e32 v61, vcc, -1, v5
	v_addc_co_u32_e64 v188, s[36:37], 0, -1, vcc
	v_cmp_ne_u32_e32 vcc, 0, v5
	v_xor_b32_e32 v5, vcc_hi, v188
	v_and_b32_e32 v188, exec_hi, v5
	v_lshlrev_b32_e32 v5, 30, v60
	v_xor_b32_e32 v61, vcc_lo, v61
	v_cmp_gt_i64_e32 vcc, 0, v[4:5]
	v_not_b32_e32 v5, v5
	v_ashrrev_i32_e32 v5, 31, v5
	v_and_b32_e32 v61, exec_lo, v61
	v_xor_b32_e32 v189, vcc_hi, v5
	v_xor_b32_e32 v5, vcc_lo, v5
	v_and_b32_e32 v61, v61, v5
	v_lshlrev_b32_e32 v5, 29, v60
	v_cmp_gt_i64_e32 vcc, 0, v[4:5]
	v_not_b32_e32 v5, v5
	v_ashrrev_i32_e32 v5, 31, v5
	v_and_b32_e32 v188, v188, v189
	v_xor_b32_e32 v189, vcc_hi, v5
	v_xor_b32_e32 v5, vcc_lo, v5
	v_and_b32_e32 v61, v61, v5
	v_lshlrev_b32_e32 v5, 28, v60
	v_cmp_gt_i64_e32 vcc, 0, v[4:5]
	v_not_b32_e32 v5, v5
	v_ashrrev_i32_e32 v5, 31, v5
	v_and_b32_e32 v188, v188, v189
	;; [unrolled: 8-line block ×5, first 2 shown]
	v_xor_b32_e32 v189, vcc_hi, v5
	v_xor_b32_e32 v5, vcc_lo, v5
	v_and_b32_e32 v188, v188, v189
	v_and_b32_e32 v189, v61, v5
	v_lshlrev_b32_e32 v5, 24, v60
	v_cmp_gt_i64_e32 vcc, 0, v[4:5]
	v_not_b32_e32 v5, v5
	v_ashrrev_i32_e32 v5, 31, v5
	v_xor_b32_e32 v60, vcc_hi, v5
	v_xor_b32_e32 v5, vcc_lo, v5
	v_and_b32_e32 v61, v188, v60
	v_and_b32_e32 v60, v189, v5
	v_mbcnt_lo_u32_b32 v5, v60, 0
	v_mbcnt_hi_u32_b32 v188, v61, v5
	v_cmp_eq_u32_e32 vcc, 0, v188
	v_cmp_ne_u64_e64 s[36:37], 0, v[60:61]
	s_and_b64 s[38:39], s[36:37], vcc
	; wave barrier
	s_and_saveexec_b64 s[36:37], s[38:39]
	s_cbranch_execz .LBB603_150
; %bb.149:                              ;   in Loop: Header=BB603_98 Depth=2
	v_bcnt_u32_b32 v5, v60, 0
	v_bcnt_u32_b32 v5, v61, v5
	s_waitcnt lgkmcnt(0)
	v_add_u32_e32 v5, v186, v5
	ds_write_b32 v187, v5
.LBB603_150:                            ;   in Loop: Header=BB603_98 Depth=2
	s_or_b64 exec, exec, s[36:37]
	s_waitcnt vmcnt(6)
	v_xor_b32_e32 v182, 0x80000000, v182
	v_lshrrev_b32_e32 v5, s93, v182
	v_and_b32_e32 v60, s94, v5
	v_mul_u32_u24_e32 v5, 5, v60
	v_add_lshl_u32 v5, v5, v150, 2
	; wave barrier
	v_add_u32_e32 v190, 0x410, v5
	ds_read_b32 v189, v5 offset:1040
	v_and_b32_e32 v5, 1, v60
	v_add_co_u32_e32 v61, vcc, -1, v5
	v_addc_co_u32_e64 v191, s[36:37], 0, -1, vcc
	v_cmp_ne_u32_e32 vcc, 0, v5
	v_xor_b32_e32 v5, vcc_hi, v191
	v_and_b32_e32 v191, exec_hi, v5
	v_lshlrev_b32_e32 v5, 30, v60
	v_xor_b32_e32 v61, vcc_lo, v61
	v_cmp_gt_i64_e32 vcc, 0, v[4:5]
	v_not_b32_e32 v5, v5
	v_ashrrev_i32_e32 v5, 31, v5
	v_and_b32_e32 v61, exec_lo, v61
	v_xor_b32_e32 v192, vcc_hi, v5
	v_xor_b32_e32 v5, vcc_lo, v5
	v_and_b32_e32 v61, v61, v5
	v_lshlrev_b32_e32 v5, 29, v60
	v_cmp_gt_i64_e32 vcc, 0, v[4:5]
	v_not_b32_e32 v5, v5
	v_ashrrev_i32_e32 v5, 31, v5
	v_and_b32_e32 v191, v191, v192
	v_xor_b32_e32 v192, vcc_hi, v5
	v_xor_b32_e32 v5, vcc_lo, v5
	v_and_b32_e32 v61, v61, v5
	v_lshlrev_b32_e32 v5, 28, v60
	v_cmp_gt_i64_e32 vcc, 0, v[4:5]
	v_not_b32_e32 v5, v5
	v_ashrrev_i32_e32 v5, 31, v5
	v_and_b32_e32 v191, v191, v192
	;; [unrolled: 8-line block ×5, first 2 shown]
	v_xor_b32_e32 v192, vcc_hi, v5
	v_xor_b32_e32 v5, vcc_lo, v5
	v_and_b32_e32 v191, v191, v192
	v_and_b32_e32 v192, v61, v5
	v_lshlrev_b32_e32 v5, 24, v60
	v_cmp_gt_i64_e32 vcc, 0, v[4:5]
	v_not_b32_e32 v5, v5
	v_ashrrev_i32_e32 v5, 31, v5
	v_xor_b32_e32 v60, vcc_hi, v5
	v_xor_b32_e32 v5, vcc_lo, v5
	v_and_b32_e32 v61, v191, v60
	v_and_b32_e32 v60, v192, v5
	v_mbcnt_lo_u32_b32 v5, v60, 0
	v_mbcnt_hi_u32_b32 v191, v61, v5
	v_cmp_eq_u32_e32 vcc, 0, v191
	v_cmp_ne_u64_e64 s[36:37], 0, v[60:61]
	s_and_b64 s[38:39], s[36:37], vcc
	; wave barrier
	s_and_saveexec_b64 s[36:37], s[38:39]
	s_cbranch_execz .LBB603_152
; %bb.151:                              ;   in Loop: Header=BB603_98 Depth=2
	v_bcnt_u32_b32 v5, v60, 0
	v_bcnt_u32_b32 v5, v61, v5
	s_waitcnt lgkmcnt(0)
	v_add_u32_e32 v5, v189, v5
	ds_write_b32 v190, v5
.LBB603_152:                            ;   in Loop: Header=BB603_98 Depth=2
	s_or_b64 exec, exec, s[36:37]
	s_waitcnt vmcnt(5)
	v_xor_b32_e32 v177, 0x80000000, v177
	v_lshrrev_b32_e32 v5, s93, v177
	v_and_b32_e32 v60, s94, v5
	v_mul_u32_u24_e32 v5, 5, v60
	v_add_lshl_u32 v5, v5, v150, 2
	; wave barrier
	v_add_u32_e32 v193, 0x410, v5
	ds_read_b32 v192, v5 offset:1040
	v_and_b32_e32 v5, 1, v60
	v_add_co_u32_e32 v61, vcc, -1, v5
	v_addc_co_u32_e64 v194, s[36:37], 0, -1, vcc
	v_cmp_ne_u32_e32 vcc, 0, v5
	v_xor_b32_e32 v5, vcc_hi, v194
	v_and_b32_e32 v194, exec_hi, v5
	v_lshlrev_b32_e32 v5, 30, v60
	v_xor_b32_e32 v61, vcc_lo, v61
	v_cmp_gt_i64_e32 vcc, 0, v[4:5]
	v_not_b32_e32 v5, v5
	v_ashrrev_i32_e32 v5, 31, v5
	v_and_b32_e32 v61, exec_lo, v61
	v_xor_b32_e32 v195, vcc_hi, v5
	v_xor_b32_e32 v5, vcc_lo, v5
	v_and_b32_e32 v61, v61, v5
	v_lshlrev_b32_e32 v5, 29, v60
	v_cmp_gt_i64_e32 vcc, 0, v[4:5]
	v_not_b32_e32 v5, v5
	v_ashrrev_i32_e32 v5, 31, v5
	v_and_b32_e32 v194, v194, v195
	v_xor_b32_e32 v195, vcc_hi, v5
	v_xor_b32_e32 v5, vcc_lo, v5
	v_and_b32_e32 v61, v61, v5
	v_lshlrev_b32_e32 v5, 28, v60
	v_cmp_gt_i64_e32 vcc, 0, v[4:5]
	v_not_b32_e32 v5, v5
	v_ashrrev_i32_e32 v5, 31, v5
	v_and_b32_e32 v194, v194, v195
	;; [unrolled: 8-line block ×5, first 2 shown]
	v_xor_b32_e32 v195, vcc_hi, v5
	v_xor_b32_e32 v5, vcc_lo, v5
	v_and_b32_e32 v194, v194, v195
	v_and_b32_e32 v195, v61, v5
	v_lshlrev_b32_e32 v5, 24, v60
	v_cmp_gt_i64_e32 vcc, 0, v[4:5]
	v_not_b32_e32 v5, v5
	v_ashrrev_i32_e32 v5, 31, v5
	v_xor_b32_e32 v60, vcc_hi, v5
	v_xor_b32_e32 v5, vcc_lo, v5
	v_and_b32_e32 v61, v194, v60
	v_and_b32_e32 v60, v195, v5
	v_mbcnt_lo_u32_b32 v5, v60, 0
	v_mbcnt_hi_u32_b32 v194, v61, v5
	v_cmp_eq_u32_e32 vcc, 0, v194
	v_cmp_ne_u64_e64 s[36:37], 0, v[60:61]
	s_and_b64 s[38:39], s[36:37], vcc
	; wave barrier
	s_and_saveexec_b64 s[36:37], s[38:39]
	s_cbranch_execz .LBB603_154
; %bb.153:                              ;   in Loop: Header=BB603_98 Depth=2
	v_bcnt_u32_b32 v5, v60, 0
	v_bcnt_u32_b32 v5, v61, v5
	s_waitcnt lgkmcnt(0)
	v_add_u32_e32 v5, v192, v5
	ds_write_b32 v193, v5
.LBB603_154:                            ;   in Loop: Header=BB603_98 Depth=2
	s_or_b64 exec, exec, s[36:37]
	s_waitcnt vmcnt(4)
	v_xor_b32_e32 v173, 0x80000000, v173
	v_lshrrev_b32_e32 v5, s93, v173
	v_and_b32_e32 v60, s94, v5
	v_mul_u32_u24_e32 v5, 5, v60
	v_add_lshl_u32 v5, v5, v150, 2
	; wave barrier
	v_add_u32_e32 v196, 0x410, v5
	ds_read_b32 v195, v5 offset:1040
	v_and_b32_e32 v5, 1, v60
	v_add_co_u32_e32 v61, vcc, -1, v5
	v_addc_co_u32_e64 v197, s[36:37], 0, -1, vcc
	v_cmp_ne_u32_e32 vcc, 0, v5
	v_xor_b32_e32 v5, vcc_hi, v197
	v_and_b32_e32 v197, exec_hi, v5
	v_lshlrev_b32_e32 v5, 30, v60
	v_xor_b32_e32 v61, vcc_lo, v61
	v_cmp_gt_i64_e32 vcc, 0, v[4:5]
	v_not_b32_e32 v5, v5
	v_ashrrev_i32_e32 v5, 31, v5
	v_and_b32_e32 v61, exec_lo, v61
	v_xor_b32_e32 v198, vcc_hi, v5
	v_xor_b32_e32 v5, vcc_lo, v5
	v_and_b32_e32 v61, v61, v5
	v_lshlrev_b32_e32 v5, 29, v60
	v_cmp_gt_i64_e32 vcc, 0, v[4:5]
	v_not_b32_e32 v5, v5
	v_ashrrev_i32_e32 v5, 31, v5
	v_and_b32_e32 v197, v197, v198
	v_xor_b32_e32 v198, vcc_hi, v5
	v_xor_b32_e32 v5, vcc_lo, v5
	v_and_b32_e32 v61, v61, v5
	v_lshlrev_b32_e32 v5, 28, v60
	v_cmp_gt_i64_e32 vcc, 0, v[4:5]
	v_not_b32_e32 v5, v5
	v_ashrrev_i32_e32 v5, 31, v5
	v_and_b32_e32 v197, v197, v198
	;; [unrolled: 8-line block ×5, first 2 shown]
	v_xor_b32_e32 v198, vcc_hi, v5
	v_xor_b32_e32 v5, vcc_lo, v5
	v_and_b32_e32 v197, v197, v198
	v_and_b32_e32 v198, v61, v5
	v_lshlrev_b32_e32 v5, 24, v60
	v_cmp_gt_i64_e32 vcc, 0, v[4:5]
	v_not_b32_e32 v5, v5
	v_ashrrev_i32_e32 v5, 31, v5
	v_xor_b32_e32 v60, vcc_hi, v5
	v_xor_b32_e32 v5, vcc_lo, v5
	v_and_b32_e32 v61, v197, v60
	v_and_b32_e32 v60, v198, v5
	v_mbcnt_lo_u32_b32 v5, v60, 0
	v_mbcnt_hi_u32_b32 v198, v61, v5
	v_cmp_eq_u32_e32 vcc, 0, v198
	v_cmp_ne_u64_e64 s[36:37], 0, v[60:61]
	s_and_b64 s[38:39], s[36:37], vcc
	; wave barrier
	s_and_saveexec_b64 s[36:37], s[38:39]
	s_cbranch_execz .LBB603_156
; %bb.155:                              ;   in Loop: Header=BB603_98 Depth=2
	v_bcnt_u32_b32 v5, v60, 0
	v_bcnt_u32_b32 v5, v61, v5
	s_waitcnt lgkmcnt(0)
	v_add_u32_e32 v5, v195, v5
	ds_write_b32 v196, v5
.LBB603_156:                            ;   in Loop: Header=BB603_98 Depth=2
	s_or_b64 exec, exec, s[36:37]
	s_waitcnt vmcnt(3)
	v_xor_b32_e32 v197, 0x80000000, v168
	v_lshrrev_b32_e32 v5, s93, v197
	v_and_b32_e32 v60, s94, v5
	v_mul_u32_u24_e32 v5, 5, v60
	v_add_lshl_u32 v5, v5, v150, 2
	; wave barrier
	v_add_u32_e32 v168, 0x410, v5
	ds_read_b32 v199, v5 offset:1040
	v_and_b32_e32 v5, 1, v60
	v_add_co_u32_e32 v61, vcc, -1, v5
	v_addc_co_u32_e64 v200, s[36:37], 0, -1, vcc
	v_cmp_ne_u32_e32 vcc, 0, v5
	v_xor_b32_e32 v5, vcc_hi, v200
	v_and_b32_e32 v200, exec_hi, v5
	v_lshlrev_b32_e32 v5, 30, v60
	v_xor_b32_e32 v61, vcc_lo, v61
	v_cmp_gt_i64_e32 vcc, 0, v[4:5]
	v_not_b32_e32 v5, v5
	v_ashrrev_i32_e32 v5, 31, v5
	v_and_b32_e32 v61, exec_lo, v61
	v_xor_b32_e32 v201, vcc_hi, v5
	v_xor_b32_e32 v5, vcc_lo, v5
	v_and_b32_e32 v61, v61, v5
	v_lshlrev_b32_e32 v5, 29, v60
	v_cmp_gt_i64_e32 vcc, 0, v[4:5]
	v_not_b32_e32 v5, v5
	v_ashrrev_i32_e32 v5, 31, v5
	v_and_b32_e32 v200, v200, v201
	v_xor_b32_e32 v201, vcc_hi, v5
	v_xor_b32_e32 v5, vcc_lo, v5
	v_and_b32_e32 v61, v61, v5
	v_lshlrev_b32_e32 v5, 28, v60
	v_cmp_gt_i64_e32 vcc, 0, v[4:5]
	v_not_b32_e32 v5, v5
	v_ashrrev_i32_e32 v5, 31, v5
	v_and_b32_e32 v200, v200, v201
	;; [unrolled: 8-line block ×5, first 2 shown]
	v_xor_b32_e32 v201, vcc_hi, v5
	v_xor_b32_e32 v5, vcc_lo, v5
	v_and_b32_e32 v200, v200, v201
	v_and_b32_e32 v201, v61, v5
	v_lshlrev_b32_e32 v5, 24, v60
	v_cmp_gt_i64_e32 vcc, 0, v[4:5]
	v_not_b32_e32 v5, v5
	v_ashrrev_i32_e32 v5, 31, v5
	v_xor_b32_e32 v60, vcc_hi, v5
	v_xor_b32_e32 v5, vcc_lo, v5
	v_and_b32_e32 v61, v200, v60
	v_and_b32_e32 v60, v201, v5
	v_mbcnt_lo_u32_b32 v5, v60, 0
	v_mbcnt_hi_u32_b32 v201, v61, v5
	v_cmp_eq_u32_e32 vcc, 0, v201
	v_cmp_ne_u64_e64 s[36:37], 0, v[60:61]
	s_and_b64 s[38:39], s[36:37], vcc
	; wave barrier
	s_and_saveexec_b64 s[36:37], s[38:39]
	s_cbranch_execz .LBB603_158
; %bb.157:                              ;   in Loop: Header=BB603_98 Depth=2
	v_bcnt_u32_b32 v5, v60, 0
	v_bcnt_u32_b32 v5, v61, v5
	s_waitcnt lgkmcnt(0)
	v_add_u32_e32 v5, v199, v5
	ds_write_b32 v168, v5
.LBB603_158:                            ;   in Loop: Header=BB603_98 Depth=2
	s_or_b64 exec, exec, s[36:37]
	s_waitcnt vmcnt(2)
	v_xor_b32_e32 v200, 0x80000000, v163
	v_lshrrev_b32_e32 v5, s93, v200
	v_and_b32_e32 v60, s94, v5
	v_mul_u32_u24_e32 v5, 5, v60
	v_add_lshl_u32 v5, v5, v150, 2
	; wave barrier
	v_add_u32_e32 v163, 0x410, v5
	ds_read_b32 v202, v5 offset:1040
	v_and_b32_e32 v5, 1, v60
	v_add_co_u32_e32 v61, vcc, -1, v5
	v_addc_co_u32_e64 v203, s[36:37], 0, -1, vcc
	v_cmp_ne_u32_e32 vcc, 0, v5
	v_xor_b32_e32 v5, vcc_hi, v203
	v_and_b32_e32 v203, exec_hi, v5
	v_lshlrev_b32_e32 v5, 30, v60
	v_xor_b32_e32 v61, vcc_lo, v61
	v_cmp_gt_i64_e32 vcc, 0, v[4:5]
	v_not_b32_e32 v5, v5
	v_ashrrev_i32_e32 v5, 31, v5
	v_and_b32_e32 v61, exec_lo, v61
	v_xor_b32_e32 v204, vcc_hi, v5
	v_xor_b32_e32 v5, vcc_lo, v5
	v_and_b32_e32 v61, v61, v5
	v_lshlrev_b32_e32 v5, 29, v60
	v_cmp_gt_i64_e32 vcc, 0, v[4:5]
	v_not_b32_e32 v5, v5
	v_ashrrev_i32_e32 v5, 31, v5
	v_and_b32_e32 v203, v203, v204
	v_xor_b32_e32 v204, vcc_hi, v5
	v_xor_b32_e32 v5, vcc_lo, v5
	v_and_b32_e32 v61, v61, v5
	v_lshlrev_b32_e32 v5, 28, v60
	v_cmp_gt_i64_e32 vcc, 0, v[4:5]
	v_not_b32_e32 v5, v5
	v_ashrrev_i32_e32 v5, 31, v5
	v_and_b32_e32 v203, v203, v204
	v_xor_b32_e32 v204, vcc_hi, v5
	v_xor_b32_e32 v5, vcc_lo, v5
	v_and_b32_e32 v61, v61, v5
	v_lshlrev_b32_e32 v5, 27, v60
	v_cmp_gt_i64_e32 vcc, 0, v[4:5]
	v_not_b32_e32 v5, v5
	v_ashrrev_i32_e32 v5, 31, v5
	v_and_b32_e32 v203, v203, v204
	v_xor_b32_e32 v204, vcc_hi, v5
	v_xor_b32_e32 v5, vcc_lo, v5
	v_and_b32_e32 v61, v61, v5
	v_lshlrev_b32_e32 v5, 26, v60
	v_cmp_gt_i64_e32 vcc, 0, v[4:5]
	v_not_b32_e32 v5, v5
	v_ashrrev_i32_e32 v5, 31, v5
	v_and_b32_e32 v203, v203, v204
	v_xor_b32_e32 v204, vcc_hi, v5
	v_xor_b32_e32 v5, vcc_lo, v5
	v_and_b32_e32 v61, v61, v5
	v_lshlrev_b32_e32 v5, 25, v60
	v_cmp_gt_i64_e32 vcc, 0, v[4:5]
	v_not_b32_e32 v5, v5
	v_ashrrev_i32_e32 v5, 31, v5
	v_and_b32_e32 v203, v203, v204
	v_xor_b32_e32 v204, vcc_hi, v5
	v_xor_b32_e32 v5, vcc_lo, v5
	v_and_b32_e32 v203, v203, v204
	v_and_b32_e32 v204, v61, v5
	v_lshlrev_b32_e32 v5, 24, v60
	v_cmp_gt_i64_e32 vcc, 0, v[4:5]
	v_not_b32_e32 v5, v5
	v_ashrrev_i32_e32 v5, 31, v5
	v_xor_b32_e32 v60, vcc_hi, v5
	v_xor_b32_e32 v5, vcc_lo, v5
	v_and_b32_e32 v61, v203, v60
	v_and_b32_e32 v60, v204, v5
	v_mbcnt_lo_u32_b32 v5, v60, 0
	v_mbcnt_hi_u32_b32 v204, v61, v5
	v_cmp_eq_u32_e32 vcc, 0, v204
	v_cmp_ne_u64_e64 s[36:37], 0, v[60:61]
	s_and_b64 s[38:39], s[36:37], vcc
	; wave barrier
	s_and_saveexec_b64 s[36:37], s[38:39]
	s_cbranch_execz .LBB603_160
; %bb.159:                              ;   in Loop: Header=BB603_98 Depth=2
	v_bcnt_u32_b32 v5, v60, 0
	v_bcnt_u32_b32 v5, v61, v5
	s_waitcnt lgkmcnt(0)
	v_add_u32_e32 v5, v202, v5
	ds_write_b32 v163, v5
.LBB603_160:                            ;   in Loop: Header=BB603_98 Depth=2
	s_or_b64 exec, exec, s[36:37]
	s_waitcnt vmcnt(1)
	v_xor_b32_e32 v203, 0x80000000, v158
	v_lshrrev_b32_e32 v5, s93, v203
	v_and_b32_e32 v60, s94, v5
	v_mul_u32_u24_e32 v5, 5, v60
	v_add_lshl_u32 v5, v5, v150, 2
	; wave barrier
	v_add_u32_e32 v158, 0x410, v5
	ds_read_b32 v205, v5 offset:1040
	v_and_b32_e32 v5, 1, v60
	v_add_co_u32_e32 v61, vcc, -1, v5
	v_addc_co_u32_e64 v206, s[36:37], 0, -1, vcc
	v_cmp_ne_u32_e32 vcc, 0, v5
	v_xor_b32_e32 v5, vcc_hi, v206
	v_and_b32_e32 v206, exec_hi, v5
	v_lshlrev_b32_e32 v5, 30, v60
	v_xor_b32_e32 v61, vcc_lo, v61
	v_cmp_gt_i64_e32 vcc, 0, v[4:5]
	v_not_b32_e32 v5, v5
	v_ashrrev_i32_e32 v5, 31, v5
	v_and_b32_e32 v61, exec_lo, v61
	v_xor_b32_e32 v207, vcc_hi, v5
	v_xor_b32_e32 v5, vcc_lo, v5
	v_and_b32_e32 v61, v61, v5
	v_lshlrev_b32_e32 v5, 29, v60
	v_cmp_gt_i64_e32 vcc, 0, v[4:5]
	v_not_b32_e32 v5, v5
	v_ashrrev_i32_e32 v5, 31, v5
	v_and_b32_e32 v206, v206, v207
	v_xor_b32_e32 v207, vcc_hi, v5
	v_xor_b32_e32 v5, vcc_lo, v5
	v_and_b32_e32 v61, v61, v5
	v_lshlrev_b32_e32 v5, 28, v60
	v_cmp_gt_i64_e32 vcc, 0, v[4:5]
	v_not_b32_e32 v5, v5
	v_ashrrev_i32_e32 v5, 31, v5
	v_and_b32_e32 v206, v206, v207
	;; [unrolled: 8-line block ×5, first 2 shown]
	v_xor_b32_e32 v207, vcc_hi, v5
	v_xor_b32_e32 v5, vcc_lo, v5
	v_and_b32_e32 v206, v206, v207
	v_and_b32_e32 v207, v61, v5
	v_lshlrev_b32_e32 v5, 24, v60
	v_cmp_gt_i64_e32 vcc, 0, v[4:5]
	v_not_b32_e32 v5, v5
	v_ashrrev_i32_e32 v5, 31, v5
	v_xor_b32_e32 v60, vcc_hi, v5
	v_xor_b32_e32 v5, vcc_lo, v5
	v_and_b32_e32 v61, v206, v60
	v_and_b32_e32 v60, v207, v5
	v_mbcnt_lo_u32_b32 v5, v60, 0
	v_mbcnt_hi_u32_b32 v207, v61, v5
	v_cmp_eq_u32_e32 vcc, 0, v207
	v_cmp_ne_u64_e64 s[36:37], 0, v[60:61]
	s_and_b64 s[38:39], s[36:37], vcc
	; wave barrier
	s_and_saveexec_b64 s[36:37], s[38:39]
	s_cbranch_execz .LBB603_162
; %bb.161:                              ;   in Loop: Header=BB603_98 Depth=2
	v_bcnt_u32_b32 v5, v60, 0
	v_bcnt_u32_b32 v5, v61, v5
	s_waitcnt lgkmcnt(0)
	v_add_u32_e32 v5, v205, v5
	ds_write_b32 v158, v5
.LBB603_162:                            ;   in Loop: Header=BB603_98 Depth=2
	s_or_b64 exec, exec, s[36:37]
	s_waitcnt vmcnt(0)
	v_xor_b32_e32 v206, 0x80000000, v62
	v_lshrrev_b32_e32 v5, s93, v206
	v_and_b32_e32 v60, s94, v5
	v_mul_u32_u24_e32 v5, 5, v60
	v_add_lshl_u32 v5, v5, v150, 2
	; wave barrier
	v_add_u32_e32 v209, 0x410, v5
	ds_read_b32 v208, v5 offset:1040
	v_and_b32_e32 v5, 1, v60
	v_add_co_u32_e32 v61, vcc, -1, v5
	v_addc_co_u32_e64 v62, s[36:37], 0, -1, vcc
	v_cmp_ne_u32_e32 vcc, 0, v5
	v_xor_b32_e32 v5, vcc_hi, v62
	v_and_b32_e32 v62, exec_hi, v5
	v_lshlrev_b32_e32 v5, 30, v60
	v_xor_b32_e32 v61, vcc_lo, v61
	v_cmp_gt_i64_e32 vcc, 0, v[4:5]
	v_not_b32_e32 v5, v5
	v_ashrrev_i32_e32 v5, 31, v5
	v_and_b32_e32 v61, exec_lo, v61
	v_xor_b32_e32 v210, vcc_hi, v5
	v_xor_b32_e32 v5, vcc_lo, v5
	v_and_b32_e32 v61, v61, v5
	v_lshlrev_b32_e32 v5, 29, v60
	v_cmp_gt_i64_e32 vcc, 0, v[4:5]
	v_not_b32_e32 v5, v5
	v_ashrrev_i32_e32 v5, 31, v5
	v_and_b32_e32 v62, v62, v210
	v_xor_b32_e32 v210, vcc_hi, v5
	v_xor_b32_e32 v5, vcc_lo, v5
	v_and_b32_e32 v61, v61, v5
	v_lshlrev_b32_e32 v5, 28, v60
	v_cmp_gt_i64_e32 vcc, 0, v[4:5]
	v_not_b32_e32 v5, v5
	v_ashrrev_i32_e32 v5, 31, v5
	v_and_b32_e32 v62, v62, v210
	;; [unrolled: 8-line block ×5, first 2 shown]
	v_xor_b32_e32 v210, vcc_hi, v5
	v_xor_b32_e32 v5, vcc_lo, v5
	v_and_b32_e32 v62, v62, v210
	v_and_b32_e32 v210, v61, v5
	v_lshlrev_b32_e32 v5, 24, v60
	v_cmp_gt_i64_e32 vcc, 0, v[4:5]
	v_not_b32_e32 v5, v5
	v_ashrrev_i32_e32 v5, 31, v5
	v_xor_b32_e32 v60, vcc_hi, v5
	v_xor_b32_e32 v5, vcc_lo, v5
	v_and_b32_e32 v61, v62, v60
	v_and_b32_e32 v60, v210, v5
	v_mbcnt_lo_u32_b32 v5, v60, 0
	v_mbcnt_hi_u32_b32 v211, v61, v5
	v_cmp_eq_u32_e32 vcc, 0, v211
	v_cmp_ne_u64_e64 s[36:37], 0, v[60:61]
	s_and_b64 s[38:39], s[36:37], vcc
	; wave barrier
	s_and_saveexec_b64 s[36:37], s[38:39]
	s_cbranch_execz .LBB603_164
; %bb.163:                              ;   in Loop: Header=BB603_98 Depth=2
	v_bcnt_u32_b32 v5, v60, 0
	v_bcnt_u32_b32 v5, v61, v5
	s_waitcnt lgkmcnt(0)
	v_add_u32_e32 v5, v208, v5
	ds_write_b32 v209, v5
.LBB603_164:                            ;   in Loop: Header=BB603_98 Depth=2
	s_or_b64 exec, exec, s[36:37]
	v_xor_b32_e32 v210, 0x80000000, v63
	v_lshrrev_b32_e32 v5, s93, v210
	v_and_b32_e32 v60, s94, v5
	v_mul_u32_u24_e32 v5, 5, v60
	v_add_lshl_u32 v5, v5, v150, 2
	; wave barrier
	v_add_u32_e32 v213, 0x410, v5
	ds_read_b32 v212, v5 offset:1040
	v_and_b32_e32 v5, 1, v60
	v_add_co_u32_e32 v61, vcc, -1, v5
	v_addc_co_u32_e64 v62, s[36:37], 0, -1, vcc
	v_cmp_ne_u32_e32 vcc, 0, v5
	v_xor_b32_e32 v5, vcc_hi, v62
	v_and_b32_e32 v62, exec_hi, v5
	v_lshlrev_b32_e32 v5, 30, v60
	v_xor_b32_e32 v61, vcc_lo, v61
	v_cmp_gt_i64_e32 vcc, 0, v[4:5]
	v_not_b32_e32 v5, v5
	v_ashrrev_i32_e32 v5, 31, v5
	v_and_b32_e32 v61, exec_lo, v61
	v_xor_b32_e32 v63, vcc_hi, v5
	v_xor_b32_e32 v5, vcc_lo, v5
	v_and_b32_e32 v61, v61, v5
	v_lshlrev_b32_e32 v5, 29, v60
	v_cmp_gt_i64_e32 vcc, 0, v[4:5]
	v_not_b32_e32 v5, v5
	v_ashrrev_i32_e32 v5, 31, v5
	v_and_b32_e32 v62, v62, v63
	v_xor_b32_e32 v63, vcc_hi, v5
	v_xor_b32_e32 v5, vcc_lo, v5
	v_and_b32_e32 v61, v61, v5
	v_lshlrev_b32_e32 v5, 28, v60
	v_cmp_gt_i64_e32 vcc, 0, v[4:5]
	v_not_b32_e32 v5, v5
	v_ashrrev_i32_e32 v5, 31, v5
	v_and_b32_e32 v62, v62, v63
	;; [unrolled: 8-line block ×5, first 2 shown]
	v_xor_b32_e32 v63, vcc_hi, v5
	v_xor_b32_e32 v5, vcc_lo, v5
	v_and_b32_e32 v62, v62, v63
	v_and_b32_e32 v63, v61, v5
	v_lshlrev_b32_e32 v5, 24, v60
	v_cmp_gt_i64_e32 vcc, 0, v[4:5]
	v_not_b32_e32 v5, v5
	v_ashrrev_i32_e32 v5, 31, v5
	v_xor_b32_e32 v60, vcc_hi, v5
	v_xor_b32_e32 v5, vcc_lo, v5
	v_and_b32_e32 v61, v62, v60
	v_and_b32_e32 v60, v63, v5
	v_mbcnt_lo_u32_b32 v5, v60, 0
	v_mbcnt_hi_u32_b32 v214, v61, v5
	v_cmp_eq_u32_e32 vcc, 0, v214
	v_cmp_ne_u64_e64 s[36:37], 0, v[60:61]
	s_and_b64 s[38:39], s[36:37], vcc
	; wave barrier
	s_and_saveexec_b64 s[36:37], s[38:39]
	s_cbranch_execz .LBB603_166
; %bb.165:                              ;   in Loop: Header=BB603_98 Depth=2
	v_bcnt_u32_b32 v5, v60, 0
	v_bcnt_u32_b32 v5, v61, v5
	s_waitcnt lgkmcnt(0)
	v_add_u32_e32 v5, v212, v5
	ds_write_b32 v213, v5
.LBB603_166:                            ;   in Loop: Header=BB603_98 Depth=2
	s_or_b64 exec, exec, s[36:37]
	; wave barrier
	s_waitcnt lgkmcnt(0)
	s_barrier
	ds_read_b32 v5, v64 offset:1040
	ds_read2_b32 v[62:63], v66 offset0:1 offset1:2
	ds_read2_b32 v[60:61], v66 offset0:3 offset1:4
	s_waitcnt lgkmcnt(1)
	v_add3_u32 v215, v62, v5, v63
	s_waitcnt lgkmcnt(0)
	v_add3_u32 v61, v215, v60, v61
	s_nop 1
	v_mov_b32_dpp v215, v61 row_shr:1 row_mask:0xf bank_mask:0xf
	v_cndmask_b32_e64 v215, v215, 0, s[16:17]
	v_add_u32_e32 v61, v215, v61
	s_nop 1
	v_mov_b32_dpp v215, v61 row_shr:2 row_mask:0xf bank_mask:0xf
	v_cndmask_b32_e64 v215, 0, v215, s[18:19]
	v_add_u32_e32 v61, v61, v215
	;; [unrolled: 4-line block ×4, first 2 shown]
	s_nop 1
	v_mov_b32_dpp v215, v61 row_bcast:15 row_mask:0xf bank_mask:0xf
	v_cndmask_b32_e64 v215, v215, 0, s[24:25]
	v_add_u32_e32 v61, v61, v215
	s_nop 1
	v_mov_b32_dpp v215, v61 row_bcast:31 row_mask:0xf bank_mask:0xf
	v_cndmask_b32_e64 v215, 0, v215, s[26:27]
	v_add_u32_e32 v61, v61, v215
	s_and_saveexec_b64 s[36:37], s[6:7]
	s_cbranch_execz .LBB603_168
; %bb.167:                              ;   in Loop: Header=BB603_98 Depth=2
	ds_write_b32 v19, v61 offset:1024
.LBB603_168:                            ;   in Loop: Header=BB603_98 Depth=2
	s_or_b64 exec, exec, s[36:37]
	s_waitcnt lgkmcnt(0)
	s_barrier
	s_and_saveexec_b64 s[36:37], s[8:9]
	s_cbranch_execz .LBB603_170
; %bb.169:                              ;   in Loop: Header=BB603_98 Depth=2
	v_add_u32_e32 v215, v64, v67
	ds_read_b32 v216, v215 offset:1024
	s_waitcnt lgkmcnt(0)
	s_nop 0
	v_mov_b32_dpp v217, v216 row_shr:1 row_mask:0xf bank_mask:0xf
	v_cndmask_b32_e64 v217, v217, 0, s[30:31]
	v_add_u32_e32 v216, v217, v216
	s_nop 1
	v_mov_b32_dpp v217, v216 row_shr:2 row_mask:0xf bank_mask:0xf
	v_cndmask_b32_e64 v217, 0, v217, s[34:35]
	v_add_u32_e32 v216, v216, v217
	ds_write_b32 v215, v216 offset:1024
.LBB603_170:                            ;   in Loop: Header=BB603_98 Depth=2
	s_or_b64 exec, exec, s[36:37]
	v_mov_b32_e32 v215, 0
	s_waitcnt lgkmcnt(0)
	s_barrier
	s_and_saveexec_b64 s[36:37], s[10:11]
	s_cbranch_execz .LBB603_172
; %bb.171:                              ;   in Loop: Header=BB603_98 Depth=2
	ds_read_b32 v215, v19 offset:1020
.LBB603_172:                            ;   in Loop: Header=BB603_98 Depth=2
	s_or_b64 exec, exec, s[36:37]
	s_waitcnt lgkmcnt(0)
	v_add_u32_e32 v61, v215, v61
	ds_bpermute_b32 v61, v127, v61
	s_waitcnt lgkmcnt(0)
	v_cndmask_b32_e64 v61, v61, v215, s[28:29]
	v_cndmask_b32_e64 v61, v61, 0, s[12:13]
	v_add_u32_e32 v5, v61, v5
	ds_write_b32 v64, v61 offset:1040
	v_add_u32_e32 v61, v5, v62
	v_add_u32_e32 v62, v61, v63
	ds_write2_b32 v66, v5, v61 offset0:1 offset1:2
	v_add_u32_e32 v5, v62, v60
	ds_write2_b32 v66, v62, v5 offset0:3 offset1:4
	s_waitcnt lgkmcnt(0)
	s_barrier
	ds_read_b32 v60, v157
	ds_read_b32 v61, v162
	;; [unrolled: 1-line block ×16, first 2 shown]
	ds_read_b32 v158, v64 offset:1040
	v_mov_b32_e32 v5, 0x1000
	s_and_saveexec_b64 s[36:37], s[14:15]
	s_cbranch_execz .LBB603_174
; %bb.173:                              ;   in Loop: Header=BB603_98 Depth=2
	ds_read_b32 v5, v64 offset:1060
.LBB603_174:                            ;   in Loop: Header=BB603_98 Depth=2
	s_or_b64 exec, exec, s[36:37]
	s_waitcnt lgkmcnt(0)
	s_barrier
	s_and_saveexec_b64 s[36:37], s[4:5]
	s_cbranch_execz .LBB603_176
; %bb.175:                              ;   in Loop: Header=BB603_98 Depth=2
	ds_read_b32 v163, v3
	s_waitcnt lgkmcnt(0)
	v_sub_u32_e32 v158, v163, v158
	ds_write_b32 v3, v158
.LBB603_176:                            ;   in Loop: Header=BB603_98 Depth=2
	s_or_b64 exec, exec, s[36:37]
	v_add_u32_e32 v172, v153, v155
	v_add3_u32 v168, v160, v156, v60
	v_lshlrev_b32_e32 v60, 2, v172
	v_add3_u32 v167, v165, v161, v61
	ds_write_b32 v60, v152 offset:1024
	v_lshlrev_b32_e32 v60, 2, v168
	v_add3_u32 v166, v170, v166, v62
	ds_write_b32 v60, v154 offset:1024
	;; [unrolled: 3-line block ×14, first 2 shown]
	v_lshlrev_b32_e32 v60, 2, v63
	ds_write_b32 v60, v206 offset:1024
	v_lshlrev_b32_e32 v60, 2, v62
	v_cmp_lt_u32_e64 s[36:37], v2, v151
	ds_write_b32 v60, v210 offset:1024
	s_waitcnt lgkmcnt(0)
	s_barrier
	s_and_saveexec_b64 s[38:39], s[36:37]
	s_cbranch_execz .LBB603_192
; %bb.177:                              ;   in Loop: Header=BB603_98 Depth=2
	v_add_u32_e32 v60, v64, v67
	ds_read_b32 v60, v60 offset:1024
	v_mov_b32_e32 v154, s75
	s_waitcnt lgkmcnt(0)
	v_lshrrev_b32_e32 v61, s93, v60
	v_and_b32_e32 v61, s94, v61
	v_lshlrev_b32_e32 v61, 2, v61
	ds_read_b32 v152, v61
	v_mov_b32_e32 v61, v4
	v_xor_b32_e32 v159, 0x80000000, v60
	s_waitcnt lgkmcnt(0)
	v_add_u32_e32 v60, v152, v2
	v_lshlrev_b64 v[60:61], 2, v[60:61]
	v_add_co_u32_e32 v60, vcc, s74, v60
	v_addc_co_u32_e32 v61, vcc, v154, v61, vcc
	global_store_dword v[60:61], v159, off
	s_or_b64 exec, exec, s[38:39]
	v_cmp_lt_u32_e64 s[38:39], v7, v151
	s_and_saveexec_b64 s[40:41], s[38:39]
	s_cbranch_execnz .LBB603_193
.LBB603_178:                            ;   in Loop: Header=BB603_98 Depth=2
	s_or_b64 exec, exec, s[40:41]
	v_cmp_lt_u32_e64 s[40:41], v9, v151
	s_and_saveexec_b64 s[42:43], s[40:41]
	s_cbranch_execz .LBB603_194
.LBB603_179:                            ;   in Loop: Header=BB603_98 Depth=2
	ds_read_b32 v60, v72 offset:2048
	v_mov_b32_e32 v154, s75
	s_waitcnt lgkmcnt(0)
	v_lshrrev_b32_e32 v61, s93, v60
	v_and_b32_e32 v61, s94, v61
	v_lshlrev_b32_e32 v61, 2, v61
	ds_read_b32 v152, v61
	v_mov_b32_e32 v61, v4
	v_xor_b32_e32 v159, 0x80000000, v60
	s_waitcnt lgkmcnt(0)
	v_add_u32_e32 v60, v152, v9
	v_lshlrev_b64 v[60:61], 2, v[60:61]
	v_add_co_u32_e32 v60, vcc, s74, v60
	v_addc_co_u32_e32 v61, vcc, v154, v61, vcc
	global_store_dword v[60:61], v159, off
	s_or_b64 exec, exec, s[42:43]
	v_cmp_lt_u32_e64 s[42:43], v11, v151
	s_and_saveexec_b64 s[44:45], s[42:43]
	s_cbranch_execnz .LBB603_195
.LBB603_180:                            ;   in Loop: Header=BB603_98 Depth=2
	s_or_b64 exec, exec, s[44:45]
	v_cmp_lt_u32_e64 s[44:45], v6, v151
	s_and_saveexec_b64 s[46:47], s[44:45]
	s_cbranch_execz .LBB603_196
.LBB603_181:                            ;   in Loop: Header=BB603_98 Depth=2
	ds_read_b32 v60, v72 offset:4096
	v_mov_b32_e32 v154, s75
	s_waitcnt lgkmcnt(0)
	v_lshrrev_b32_e32 v61, s93, v60
	v_and_b32_e32 v61, s94, v61
	v_lshlrev_b32_e32 v61, 2, v61
	ds_read_b32 v152, v61
	v_mov_b32_e32 v61, v4
	v_xor_b32_e32 v159, 0x80000000, v60
	s_waitcnt lgkmcnt(0)
	v_add_u32_e32 v60, v152, v6
	v_lshlrev_b64 v[60:61], 2, v[60:61]
	v_add_co_u32_e32 v60, vcc, s74, v60
	v_addc_co_u32_e32 v61, vcc, v154, v61, vcc
	global_store_dword v[60:61], v159, off
	s_or_b64 exec, exec, s[46:47]
	v_cmp_lt_u32_e64 s[46:47], v8, v151
	s_and_saveexec_b64 s[48:49], s[46:47]
	s_cbranch_execnz .LBB603_197
.LBB603_182:                            ;   in Loop: Header=BB603_98 Depth=2
	s_or_b64 exec, exec, s[48:49]
	v_cmp_lt_u32_e64 s[48:49], v10, v151
	s_and_saveexec_b64 s[50:51], s[48:49]
	s_cbranch_execz .LBB603_198
.LBB603_183:                            ;   in Loop: Header=BB603_98 Depth=2
	ds_read_b32 v60, v72 offset:6144
	v_mov_b32_e32 v154, s75
	s_waitcnt lgkmcnt(0)
	v_lshrrev_b32_e32 v61, s93, v60
	v_and_b32_e32 v61, s94, v61
	v_lshlrev_b32_e32 v61, 2, v61
	ds_read_b32 v152, v61
	v_mov_b32_e32 v61, v4
	v_xor_b32_e32 v159, 0x80000000, v60
	s_waitcnt lgkmcnt(0)
	v_add_u32_e32 v60, v152, v10
	v_lshlrev_b64 v[60:61], 2, v[60:61]
	v_add_co_u32_e32 v60, vcc, s74, v60
	v_addc_co_u32_e32 v61, vcc, v154, v61, vcc
	global_store_dword v[60:61], v159, off
	s_or_b64 exec, exec, s[50:51]
	v_cmp_lt_u32_e64 s[50:51], v12, v151
	s_and_saveexec_b64 s[52:53], s[50:51]
	s_cbranch_execnz .LBB603_199
.LBB603_184:                            ;   in Loop: Header=BB603_98 Depth=2
	s_or_b64 exec, exec, s[52:53]
	v_cmp_lt_u32_e64 s[52:53], v14, v151
	s_and_saveexec_b64 s[54:55], s[52:53]
	s_cbranch_execz .LBB603_200
.LBB603_185:                            ;   in Loop: Header=BB603_98 Depth=2
	ds_read_b32 v60, v72 offset:8192
	v_mov_b32_e32 v154, s75
	s_waitcnt lgkmcnt(0)
	v_lshrrev_b32_e32 v61, s93, v60
	v_and_b32_e32 v61, s94, v61
	v_lshlrev_b32_e32 v61, 2, v61
	ds_read_b32 v152, v61
	v_mov_b32_e32 v61, v4
	v_xor_b32_e32 v159, 0x80000000, v60
	s_waitcnt lgkmcnt(0)
	v_add_u32_e32 v60, v152, v14
	v_lshlrev_b64 v[60:61], 2, v[60:61]
	v_add_co_u32_e32 v60, vcc, s74, v60
	v_addc_co_u32_e32 v61, vcc, v154, v61, vcc
	global_store_dword v[60:61], v159, off
	s_or_b64 exec, exec, s[54:55]
	v_cmp_lt_u32_e64 s[54:55], v16, v151
	s_and_saveexec_b64 s[56:57], s[54:55]
	s_cbranch_execnz .LBB603_201
.LBB603_186:                            ;   in Loop: Header=BB603_98 Depth=2
	s_or_b64 exec, exec, s[56:57]
	v_cmp_lt_u32_e64 s[56:57], v18, v151
	s_and_saveexec_b64 s[58:59], s[56:57]
	s_cbranch_execz .LBB603_202
.LBB603_187:                            ;   in Loop: Header=BB603_98 Depth=2
	ds_read_b32 v60, v72 offset:10240
	v_mov_b32_e32 v154, s75
	s_waitcnt lgkmcnt(0)
	v_lshrrev_b32_e32 v61, s93, v60
	v_and_b32_e32 v61, s94, v61
	v_lshlrev_b32_e32 v61, 2, v61
	ds_read_b32 v152, v61
	v_mov_b32_e32 v61, v4
	v_xor_b32_e32 v159, 0x80000000, v60
	s_waitcnt lgkmcnt(0)
	v_add_u32_e32 v60, v152, v18
	v_lshlrev_b64 v[60:61], 2, v[60:61]
	v_add_co_u32_e32 v60, vcc, s74, v60
	v_addc_co_u32_e32 v61, vcc, v154, v61, vcc
	global_store_dword v[60:61], v159, off
	s_or_b64 exec, exec, s[58:59]
	v_cmp_lt_u32_e64 s[58:59], v20, v151
	s_and_saveexec_b64 s[60:61], s[58:59]
	s_cbranch_execnz .LBB603_203
.LBB603_188:                            ;   in Loop: Header=BB603_98 Depth=2
	s_or_b64 exec, exec, s[60:61]
	v_cmp_lt_u32_e64 s[60:61], v22, v151
	s_and_saveexec_b64 s[62:63], s[60:61]
	s_cbranch_execz .LBB603_204
.LBB603_189:                            ;   in Loop: Header=BB603_98 Depth=2
	ds_read_b32 v60, v72 offset:12288
	v_mov_b32_e32 v154, s75
	s_waitcnt lgkmcnt(0)
	v_lshrrev_b32_e32 v61, s93, v60
	v_and_b32_e32 v61, s94, v61
	v_lshlrev_b32_e32 v61, 2, v61
	ds_read_b32 v152, v61
	v_mov_b32_e32 v61, v4
	v_xor_b32_e32 v159, 0x80000000, v60
	s_waitcnt lgkmcnt(0)
	v_add_u32_e32 v60, v152, v22
	v_lshlrev_b64 v[60:61], 2, v[60:61]
	v_add_co_u32_e32 v60, vcc, s74, v60
	v_addc_co_u32_e32 v61, vcc, v154, v61, vcc
	global_store_dword v[60:61], v159, off
	s_or_b64 exec, exec, s[62:63]
	v_cmp_lt_u32_e64 s[62:63], v24, v151
	s_and_saveexec_b64 s[64:65], s[62:63]
	s_cbranch_execnz .LBB603_205
.LBB603_190:                            ;   in Loop: Header=BB603_98 Depth=2
	s_or_b64 exec, exec, s[64:65]
	v_cmp_lt_u32_e64 s[64:65], v26, v151
	s_and_saveexec_b64 s[66:67], s[64:65]
	s_cbranch_execz .LBB603_206
.LBB603_191:                            ;   in Loop: Header=BB603_98 Depth=2
	ds_read_b32 v60, v72 offset:14336
	v_mov_b32_e32 v154, s75
	s_waitcnt lgkmcnt(0)
	v_lshrrev_b32_e32 v61, s93, v60
	v_and_b32_e32 v61, s94, v61
	v_lshlrev_b32_e32 v61, 2, v61
	ds_read_b32 v152, v61
	v_mov_b32_e32 v61, v4
	v_xor_b32_e32 v159, 0x80000000, v60
	s_waitcnt lgkmcnt(0)
	v_add_u32_e32 v60, v152, v26
	v_lshlrev_b64 v[60:61], 2, v[60:61]
	v_add_co_u32_e32 v60, vcc, s74, v60
	v_addc_co_u32_e32 v61, vcc, v154, v61, vcc
	global_store_dword v[60:61], v159, off
	s_or_b64 exec, exec, s[66:67]
	v_cmp_lt_u32_e64 s[66:67], v28, v151
	s_and_saveexec_b64 s[78:79], s[66:67]
	s_cbranch_execnz .LBB603_207
	s_branch .LBB603_208
.LBB603_192:                            ;   in Loop: Header=BB603_98 Depth=2
	s_or_b64 exec, exec, s[38:39]
	v_cmp_lt_u32_e64 s[38:39], v7, v151
	s_and_saveexec_b64 s[40:41], s[38:39]
	s_cbranch_execz .LBB603_178
.LBB603_193:                            ;   in Loop: Header=BB603_98 Depth=2
	ds_read_b32 v60, v72 offset:1024
	v_mov_b32_e32 v154, s75
	s_waitcnt lgkmcnt(0)
	v_lshrrev_b32_e32 v61, s93, v60
	v_and_b32_e32 v61, s94, v61
	v_lshlrev_b32_e32 v61, 2, v61
	ds_read_b32 v152, v61
	v_mov_b32_e32 v61, v4
	v_xor_b32_e32 v159, 0x80000000, v60
	s_waitcnt lgkmcnt(0)
	v_add_u32_e32 v60, v152, v7
	v_lshlrev_b64 v[60:61], 2, v[60:61]
	v_add_co_u32_e32 v60, vcc, s74, v60
	v_addc_co_u32_e32 v61, vcc, v154, v61, vcc
	global_store_dword v[60:61], v159, off
	s_or_b64 exec, exec, s[40:41]
	v_cmp_lt_u32_e64 s[40:41], v9, v151
	s_and_saveexec_b64 s[42:43], s[40:41]
	s_cbranch_execnz .LBB603_179
.LBB603_194:                            ;   in Loop: Header=BB603_98 Depth=2
	s_or_b64 exec, exec, s[42:43]
	v_cmp_lt_u32_e64 s[42:43], v11, v151
	s_and_saveexec_b64 s[44:45], s[42:43]
	s_cbranch_execz .LBB603_180
.LBB603_195:                            ;   in Loop: Header=BB603_98 Depth=2
	ds_read_b32 v60, v72 offset:3072
	v_mov_b32_e32 v154, s75
	s_waitcnt lgkmcnt(0)
	v_lshrrev_b32_e32 v61, s93, v60
	v_and_b32_e32 v61, s94, v61
	v_lshlrev_b32_e32 v61, 2, v61
	ds_read_b32 v152, v61
	v_mov_b32_e32 v61, v4
	v_xor_b32_e32 v159, 0x80000000, v60
	s_waitcnt lgkmcnt(0)
	v_add_u32_e32 v60, v152, v11
	v_lshlrev_b64 v[60:61], 2, v[60:61]
	v_add_co_u32_e32 v60, vcc, s74, v60
	v_addc_co_u32_e32 v61, vcc, v154, v61, vcc
	global_store_dword v[60:61], v159, off
	s_or_b64 exec, exec, s[44:45]
	v_cmp_lt_u32_e64 s[44:45], v6, v151
	s_and_saveexec_b64 s[46:47], s[44:45]
	s_cbranch_execnz .LBB603_181
.LBB603_196:                            ;   in Loop: Header=BB603_98 Depth=2
	s_or_b64 exec, exec, s[46:47]
	v_cmp_lt_u32_e64 s[46:47], v8, v151
	s_and_saveexec_b64 s[48:49], s[46:47]
	s_cbranch_execz .LBB603_182
.LBB603_197:                            ;   in Loop: Header=BB603_98 Depth=2
	ds_read_b32 v60, v72 offset:5120
	v_mov_b32_e32 v154, s75
	s_waitcnt lgkmcnt(0)
	v_lshrrev_b32_e32 v61, s93, v60
	v_and_b32_e32 v61, s94, v61
	v_lshlrev_b32_e32 v61, 2, v61
	ds_read_b32 v152, v61
	v_mov_b32_e32 v61, v4
	v_xor_b32_e32 v159, 0x80000000, v60
	s_waitcnt lgkmcnt(0)
	v_add_u32_e32 v60, v152, v8
	v_lshlrev_b64 v[60:61], 2, v[60:61]
	v_add_co_u32_e32 v60, vcc, s74, v60
	v_addc_co_u32_e32 v61, vcc, v154, v61, vcc
	global_store_dword v[60:61], v159, off
	s_or_b64 exec, exec, s[48:49]
	v_cmp_lt_u32_e64 s[48:49], v10, v151
	s_and_saveexec_b64 s[50:51], s[48:49]
	s_cbranch_execnz .LBB603_183
.LBB603_198:                            ;   in Loop: Header=BB603_98 Depth=2
	s_or_b64 exec, exec, s[50:51]
	v_cmp_lt_u32_e64 s[50:51], v12, v151
	s_and_saveexec_b64 s[52:53], s[50:51]
	s_cbranch_execz .LBB603_184
.LBB603_199:                            ;   in Loop: Header=BB603_98 Depth=2
	ds_read_b32 v60, v72 offset:7168
	v_mov_b32_e32 v154, s75
	s_waitcnt lgkmcnt(0)
	v_lshrrev_b32_e32 v61, s93, v60
	v_and_b32_e32 v61, s94, v61
	v_lshlrev_b32_e32 v61, 2, v61
	ds_read_b32 v152, v61
	v_mov_b32_e32 v61, v4
	v_xor_b32_e32 v159, 0x80000000, v60
	s_waitcnt lgkmcnt(0)
	v_add_u32_e32 v60, v152, v12
	v_lshlrev_b64 v[60:61], 2, v[60:61]
	v_add_co_u32_e32 v60, vcc, s74, v60
	v_addc_co_u32_e32 v61, vcc, v154, v61, vcc
	global_store_dword v[60:61], v159, off
	s_or_b64 exec, exec, s[52:53]
	v_cmp_lt_u32_e64 s[52:53], v14, v151
	s_and_saveexec_b64 s[54:55], s[52:53]
	s_cbranch_execnz .LBB603_185
.LBB603_200:                            ;   in Loop: Header=BB603_98 Depth=2
	s_or_b64 exec, exec, s[54:55]
	v_cmp_lt_u32_e64 s[54:55], v16, v151
	s_and_saveexec_b64 s[56:57], s[54:55]
	s_cbranch_execz .LBB603_186
.LBB603_201:                            ;   in Loop: Header=BB603_98 Depth=2
	ds_read_b32 v60, v72 offset:9216
	v_mov_b32_e32 v154, s75
	s_waitcnt lgkmcnt(0)
	v_lshrrev_b32_e32 v61, s93, v60
	v_and_b32_e32 v61, s94, v61
	v_lshlrev_b32_e32 v61, 2, v61
	ds_read_b32 v152, v61
	v_mov_b32_e32 v61, v4
	v_xor_b32_e32 v159, 0x80000000, v60
	s_waitcnt lgkmcnt(0)
	v_add_u32_e32 v60, v152, v16
	v_lshlrev_b64 v[60:61], 2, v[60:61]
	v_add_co_u32_e32 v60, vcc, s74, v60
	v_addc_co_u32_e32 v61, vcc, v154, v61, vcc
	global_store_dword v[60:61], v159, off
	s_or_b64 exec, exec, s[56:57]
	v_cmp_lt_u32_e64 s[56:57], v18, v151
	s_and_saveexec_b64 s[58:59], s[56:57]
	s_cbranch_execnz .LBB603_187
.LBB603_202:                            ;   in Loop: Header=BB603_98 Depth=2
	s_or_b64 exec, exec, s[58:59]
	v_cmp_lt_u32_e64 s[58:59], v20, v151
	s_and_saveexec_b64 s[60:61], s[58:59]
	s_cbranch_execz .LBB603_188
.LBB603_203:                            ;   in Loop: Header=BB603_98 Depth=2
	ds_read_b32 v60, v72 offset:11264
	v_mov_b32_e32 v154, s75
	s_waitcnt lgkmcnt(0)
	v_lshrrev_b32_e32 v61, s93, v60
	v_and_b32_e32 v61, s94, v61
	v_lshlrev_b32_e32 v61, 2, v61
	ds_read_b32 v152, v61
	v_mov_b32_e32 v61, v4
	v_xor_b32_e32 v159, 0x80000000, v60
	s_waitcnt lgkmcnt(0)
	v_add_u32_e32 v60, v152, v20
	v_lshlrev_b64 v[60:61], 2, v[60:61]
	v_add_co_u32_e32 v60, vcc, s74, v60
	v_addc_co_u32_e32 v61, vcc, v154, v61, vcc
	global_store_dword v[60:61], v159, off
	s_or_b64 exec, exec, s[60:61]
	v_cmp_lt_u32_e64 s[60:61], v22, v151
	s_and_saveexec_b64 s[62:63], s[60:61]
	s_cbranch_execnz .LBB603_189
.LBB603_204:                            ;   in Loop: Header=BB603_98 Depth=2
	s_or_b64 exec, exec, s[62:63]
	v_cmp_lt_u32_e64 s[62:63], v24, v151
	s_and_saveexec_b64 s[64:65], s[62:63]
	s_cbranch_execz .LBB603_190
.LBB603_205:                            ;   in Loop: Header=BB603_98 Depth=2
	ds_read_b32 v60, v72 offset:13312
	v_mov_b32_e32 v154, s75
	s_waitcnt lgkmcnt(0)
	v_lshrrev_b32_e32 v61, s93, v60
	v_and_b32_e32 v61, s94, v61
	v_lshlrev_b32_e32 v61, 2, v61
	ds_read_b32 v152, v61
	v_mov_b32_e32 v61, v4
	v_xor_b32_e32 v159, 0x80000000, v60
	s_waitcnt lgkmcnt(0)
	v_add_u32_e32 v60, v152, v24
	v_lshlrev_b64 v[60:61], 2, v[60:61]
	v_add_co_u32_e32 v60, vcc, s74, v60
	v_addc_co_u32_e32 v61, vcc, v154, v61, vcc
	global_store_dword v[60:61], v159, off
	s_or_b64 exec, exec, s[64:65]
	v_cmp_lt_u32_e64 s[64:65], v26, v151
	s_and_saveexec_b64 s[66:67], s[64:65]
	s_cbranch_execnz .LBB603_191
.LBB603_206:                            ;   in Loop: Header=BB603_98 Depth=2
	s_or_b64 exec, exec, s[66:67]
	v_cmp_lt_u32_e64 s[66:67], v28, v151
	s_and_saveexec_b64 s[78:79], s[66:67]
	s_cbranch_execz .LBB603_208
.LBB603_207:                            ;   in Loop: Header=BB603_98 Depth=2
	ds_read_b32 v60, v72 offset:15360
	v_mov_b32_e32 v154, s75
	s_waitcnt lgkmcnt(0)
	v_lshrrev_b32_e32 v61, s93, v60
	v_and_b32_e32 v61, s94, v61
	v_lshlrev_b32_e32 v61, 2, v61
	ds_read_b32 v152, v61
	v_mov_b32_e32 v61, v4
	v_xor_b32_e32 v159, 0x80000000, v60
	s_waitcnt lgkmcnt(0)
	v_add_u32_e32 v60, v152, v28
	v_lshlrev_b64 v[60:61], 2, v[60:61]
	v_add_co_u32_e32 v60, vcc, s74, v60
	v_addc_co_u32_e32 v61, vcc, v154, v61, vcc
	global_store_dword v[60:61], v159, off
.LBB603_208:                            ;   in Loop: Header=BB603_98 Depth=2
	s_or_b64 exec, exec, s[78:79]
	s_lshl_b64 s[78:79], s[88:89], 3
	v_mov_b32_e32 v61, s79
	v_add_co_u32_e32 v60, vcc, s78, v128
	v_addc_co_u32_e32 v61, vcc, v129, v61, vcc
	v_cmp_lt_u32_e32 vcc, v109, v151
	s_and_saveexec_b64 s[78:79], vcc
	s_xor_b64 s[78:79], exec, s[78:79]
	s_cbranch_execz .LBB603_240
; %bb.209:                              ;   in Loop: Header=BB603_98 Depth=2
	global_load_dwordx2 v[58:59], v[60:61], off
	s_or_b64 exec, exec, s[78:79]
	v_cmp_lt_u32_e32 vcc, v110, v151
	s_and_saveexec_b64 s[78:79], vcc
	s_cbranch_execnz .LBB603_241
.LBB603_210:                            ;   in Loop: Header=BB603_98 Depth=2
	s_or_b64 exec, exec, s[78:79]
	v_cmp_lt_u32_e32 vcc, v111, v151
	s_and_saveexec_b64 s[78:79], vcc
	s_cbranch_execz .LBB603_242
.LBB603_211:                            ;   in Loop: Header=BB603_98 Depth=2
	global_load_dwordx2 v[54:55], v[60:61], off offset:1024
	s_or_b64 exec, exec, s[78:79]
	v_cmp_lt_u32_e32 vcc, v112, v151
	s_and_saveexec_b64 s[78:79], vcc
	s_cbranch_execnz .LBB603_243
.LBB603_212:                            ;   in Loop: Header=BB603_98 Depth=2
	s_or_b64 exec, exec, s[78:79]
	v_cmp_lt_u32_e32 vcc, v113, v151
	s_and_saveexec_b64 s[78:79], vcc
	s_cbranch_execz .LBB603_244
.LBB603_213:                            ;   in Loop: Header=BB603_98 Depth=2
	global_load_dwordx2 v[46:47], v[60:61], off offset:2048
	s_or_b64 exec, exec, s[78:79]
	v_cmp_lt_u32_e32 vcc, v114, v151
	s_and_saveexec_b64 s[78:79], vcc
	s_cbranch_execnz .LBB603_245
.LBB603_214:                            ;   in Loop: Header=BB603_98 Depth=2
	s_or_b64 exec, exec, s[78:79]
	v_cmp_lt_u32_e32 vcc, v115, v151
	s_and_saveexec_b64 s[78:79], vcc
	s_cbranch_execz .LBB603_246
.LBB603_215:                            ;   in Loop: Header=BB603_98 Depth=2
	global_load_dwordx2 v[38:39], v[60:61], off offset:3072
	s_or_b64 exec, exec, s[78:79]
	v_cmp_lt_u32_e32 vcc, v116, v151
	s_and_saveexec_b64 s[78:79], vcc
	s_cbranch_execnz .LBB603_247
.LBB603_216:                            ;   in Loop: Header=BB603_98 Depth=2
	s_or_b64 exec, exec, s[78:79]
	v_cmp_lt_u32_e32 vcc, v117, v151
	s_and_saveexec_b64 s[78:79], vcc
	s_cbranch_execz .LBB603_248
.LBB603_217:                            ;   in Loop: Header=BB603_98 Depth=2
	v_add_co_u32_e32 v52, vcc, 0x1000, v60
	v_addc_co_u32_e32 v53, vcc, 0, v61, vcc
	global_load_dwordx2 v[52:53], v[52:53], off
	s_or_b64 exec, exec, s[78:79]
	v_cmp_lt_u32_e32 vcc, v118, v151
	s_and_saveexec_b64 s[78:79], vcc
	s_cbranch_execnz .LBB603_249
.LBB603_218:                            ;   in Loop: Header=BB603_98 Depth=2
	s_or_b64 exec, exec, s[78:79]
	v_cmp_lt_u32_e32 vcc, v119, v151
	s_and_saveexec_b64 s[78:79], vcc
	s_cbranch_execz .LBB603_250
.LBB603_219:                            ;   in Loop: Header=BB603_98 Depth=2
	v_add_co_u32_e32 v44, vcc, 0x1000, v60
	v_addc_co_u32_e32 v45, vcc, 0, v61, vcc
	global_load_dwordx2 v[44:45], v[44:45], off offset:1024
	s_or_b64 exec, exec, s[78:79]
	v_cmp_lt_u32_e32 vcc, v120, v151
	s_and_saveexec_b64 s[78:79], vcc
	s_cbranch_execnz .LBB603_251
.LBB603_220:                            ;   in Loop: Header=BB603_98 Depth=2
	s_or_b64 exec, exec, s[78:79]
	v_cmp_lt_u32_e32 vcc, v121, v151
	s_and_saveexec_b64 s[78:79], vcc
	s_cbranch_execz .LBB603_252
.LBB603_221:                            ;   in Loop: Header=BB603_98 Depth=2
	v_add_co_u32_e32 v36, vcc, 0x1000, v60
	v_addc_co_u32_e32 v37, vcc, 0, v61, vcc
	global_load_dwordx2 v[36:37], v[36:37], off offset:2048
	s_or_b64 exec, exec, s[78:79]
	v_cmp_lt_u32_e32 vcc, v122, v151
	s_and_saveexec_b64 s[78:79], vcc
	s_cbranch_execnz .LBB603_253
.LBB603_222:                            ;   in Loop: Header=BB603_98 Depth=2
	s_or_b64 exec, exec, s[78:79]
	v_cmp_lt_u32_e32 vcc, v123, v151
	s_and_saveexec_b64 s[78:79], vcc
	s_cbranch_execz .LBB603_254
.LBB603_223:                            ;   in Loop: Header=BB603_98 Depth=2
	v_add_co_u32_e32 v30, vcc, 0x1000, v60
	v_addc_co_u32_e32 v31, vcc, 0, v61, vcc
	global_load_dwordx2 v[30:31], v[30:31], off offset:3072
	s_or_b64 exec, exec, s[78:79]
	v_cmp_lt_u32_e32 vcc, v124, v151
	s_and_saveexec_b64 s[78:79], vcc
	s_cbranch_execnz .LBB603_255
.LBB603_224:                            ;   in Loop: Header=BB603_98 Depth=2
	s_or_b64 exec, exec, s[78:79]
	s_and_saveexec_b64 s[78:79], s[36:37]
	s_cbranch_execz .LBB603_256
.LBB603_225:                            ;   in Loop: Header=BB603_98 Depth=2
	v_add_u32_e32 v60, v64, v67
	ds_read_b32 v60, v60 offset:1024
	s_waitcnt lgkmcnt(0)
	v_lshrrev_b32_e32 v60, s93, v60
	v_and_b32_e32 v149, s94, v60
	s_or_b64 exec, exec, s[78:79]
	s_and_saveexec_b64 s[78:79], s[38:39]
	s_cbranch_execnz .LBB603_257
.LBB603_226:                            ;   in Loop: Header=BB603_98 Depth=2
	s_or_b64 exec, exec, s[78:79]
	s_and_saveexec_b64 s[78:79], s[40:41]
	s_cbranch_execz .LBB603_258
.LBB603_227:                            ;   in Loop: Header=BB603_98 Depth=2
	ds_read_b32 v60, v72 offset:2048
	s_waitcnt lgkmcnt(0)
	v_lshrrev_b32_e32 v60, s93, v60
	v_and_b32_e32 v146, s94, v60
	s_or_b64 exec, exec, s[78:79]
	s_and_saveexec_b64 s[78:79], s[42:43]
	s_cbranch_execnz .LBB603_259
.LBB603_228:                            ;   in Loop: Header=BB603_98 Depth=2
	s_or_b64 exec, exec, s[78:79]
	s_and_saveexec_b64 s[78:79], s[44:45]
	s_cbranch_execz .LBB603_260
.LBB603_229:                            ;   in Loop: Header=BB603_98 Depth=2
	ds_read_b32 v60, v72 offset:4096
	s_waitcnt lgkmcnt(0)
	v_lshrrev_b32_e32 v60, s93, v60
	v_and_b32_e32 v143, s94, v60
	s_or_b64 exec, exec, s[78:79]
	s_and_saveexec_b64 s[78:79], s[46:47]
	s_cbranch_execnz .LBB603_261
.LBB603_230:                            ;   in Loop: Header=BB603_98 Depth=2
	s_or_b64 exec, exec, s[78:79]
	s_and_saveexec_b64 s[78:79], s[48:49]
	s_cbranch_execz .LBB603_262
.LBB603_231:                            ;   in Loop: Header=BB603_98 Depth=2
	ds_read_b32 v60, v72 offset:6144
	s_waitcnt lgkmcnt(0)
	v_lshrrev_b32_e32 v60, s93, v60
	v_and_b32_e32 v141, s94, v60
	s_or_b64 exec, exec, s[78:79]
	s_and_saveexec_b64 s[78:79], s[50:51]
	s_cbranch_execnz .LBB603_263
.LBB603_232:                            ;   in Loop: Header=BB603_98 Depth=2
	s_or_b64 exec, exec, s[78:79]
	s_and_saveexec_b64 s[78:79], s[52:53]
	s_cbranch_execz .LBB603_264
.LBB603_233:                            ;   in Loop: Header=BB603_98 Depth=2
	ds_read_b32 v60, v72 offset:8192
	s_waitcnt lgkmcnt(0)
	v_lshrrev_b32_e32 v60, s93, v60
	v_and_b32_e32 v139, s94, v60
	s_or_b64 exec, exec, s[78:79]
	s_and_saveexec_b64 s[78:79], s[54:55]
	s_cbranch_execnz .LBB603_265
.LBB603_234:                            ;   in Loop: Header=BB603_98 Depth=2
	s_or_b64 exec, exec, s[78:79]
	s_and_saveexec_b64 s[78:79], s[56:57]
	s_cbranch_execz .LBB603_266
.LBB603_235:                            ;   in Loop: Header=BB603_98 Depth=2
	ds_read_b32 v60, v72 offset:10240
	s_waitcnt lgkmcnt(0)
	v_lshrrev_b32_e32 v60, s93, v60
	v_and_b32_e32 v137, s94, v60
	s_or_b64 exec, exec, s[78:79]
	s_and_saveexec_b64 s[78:79], s[58:59]
	s_cbranch_execnz .LBB603_267
.LBB603_236:                            ;   in Loop: Header=BB603_98 Depth=2
	s_or_b64 exec, exec, s[78:79]
	s_and_saveexec_b64 s[78:79], s[60:61]
	s_cbranch_execz .LBB603_268
.LBB603_237:                            ;   in Loop: Header=BB603_98 Depth=2
	ds_read_b32 v60, v72 offset:12288
	s_waitcnt lgkmcnt(0)
	v_lshrrev_b32_e32 v60, s93, v60
	v_and_b32_e32 v135, s94, v60
	s_or_b64 exec, exec, s[78:79]
	s_and_saveexec_b64 s[78:79], s[62:63]
	s_cbranch_execnz .LBB603_269
.LBB603_238:                            ;   in Loop: Header=BB603_98 Depth=2
	s_or_b64 exec, exec, s[78:79]
	s_and_saveexec_b64 s[78:79], s[64:65]
	s_cbranch_execz .LBB603_270
.LBB603_239:                            ;   in Loop: Header=BB603_98 Depth=2
	ds_read_b32 v60, v72 offset:14336
	s_waitcnt lgkmcnt(0)
	v_lshrrev_b32_e32 v60, s93, v60
	v_and_b32_e32 v133, s94, v60
	s_or_b64 exec, exec, s[78:79]
	s_and_saveexec_b64 s[78:79], s[66:67]
	s_cbranch_execnz .LBB603_271
	s_branch .LBB603_272
.LBB603_240:                            ;   in Loop: Header=BB603_98 Depth=2
	s_or_b64 exec, exec, s[78:79]
	v_cmp_lt_u32_e32 vcc, v110, v151
	s_and_saveexec_b64 s[78:79], vcc
	s_cbranch_execz .LBB603_210
.LBB603_241:                            ;   in Loop: Header=BB603_98 Depth=2
	global_load_dwordx2 v[56:57], v[60:61], off offset:512
	s_or_b64 exec, exec, s[78:79]
	v_cmp_lt_u32_e32 vcc, v111, v151
	s_and_saveexec_b64 s[78:79], vcc
	s_cbranch_execnz .LBB603_211
.LBB603_242:                            ;   in Loop: Header=BB603_98 Depth=2
	s_or_b64 exec, exec, s[78:79]
	v_cmp_lt_u32_e32 vcc, v112, v151
	s_and_saveexec_b64 s[78:79], vcc
	s_cbranch_execz .LBB603_212
.LBB603_243:                            ;   in Loop: Header=BB603_98 Depth=2
	global_load_dwordx2 v[50:51], v[60:61], off offset:1536
	s_or_b64 exec, exec, s[78:79]
	v_cmp_lt_u32_e32 vcc, v113, v151
	s_and_saveexec_b64 s[78:79], vcc
	s_cbranch_execnz .LBB603_213
.LBB603_244:                            ;   in Loop: Header=BB603_98 Depth=2
	s_or_b64 exec, exec, s[78:79]
	v_cmp_lt_u32_e32 vcc, v114, v151
	s_and_saveexec_b64 s[78:79], vcc
	s_cbranch_execz .LBB603_214
.LBB603_245:                            ;   in Loop: Header=BB603_98 Depth=2
	global_load_dwordx2 v[42:43], v[60:61], off offset:2560
	s_or_b64 exec, exec, s[78:79]
	v_cmp_lt_u32_e32 vcc, v115, v151
	s_and_saveexec_b64 s[78:79], vcc
	s_cbranch_execnz .LBB603_215
.LBB603_246:                            ;   in Loop: Header=BB603_98 Depth=2
	s_or_b64 exec, exec, s[78:79]
	v_cmp_lt_u32_e32 vcc, v116, v151
	s_and_saveexec_b64 s[78:79], vcc
	s_cbranch_execz .LBB603_216
.LBB603_247:                            ;   in Loop: Header=BB603_98 Depth=2
	global_load_dwordx2 v[34:35], v[60:61], off offset:3584
	s_or_b64 exec, exec, s[78:79]
	v_cmp_lt_u32_e32 vcc, v117, v151
	s_and_saveexec_b64 s[78:79], vcc
	s_cbranch_execnz .LBB603_217
.LBB603_248:                            ;   in Loop: Header=BB603_98 Depth=2
	s_or_b64 exec, exec, s[78:79]
	v_cmp_lt_u32_e32 vcc, v118, v151
	s_and_saveexec_b64 s[78:79], vcc
	s_cbranch_execz .LBB603_218
.LBB603_249:                            ;   in Loop: Header=BB603_98 Depth=2
	v_add_co_u32_e32 v48, vcc, 0x1000, v60
	v_addc_co_u32_e32 v49, vcc, 0, v61, vcc
	global_load_dwordx2 v[48:49], v[48:49], off offset:512
	s_or_b64 exec, exec, s[78:79]
	v_cmp_lt_u32_e32 vcc, v119, v151
	s_and_saveexec_b64 s[78:79], vcc
	s_cbranch_execnz .LBB603_219
.LBB603_250:                            ;   in Loop: Header=BB603_98 Depth=2
	s_or_b64 exec, exec, s[78:79]
	v_cmp_lt_u32_e32 vcc, v120, v151
	s_and_saveexec_b64 s[78:79], vcc
	s_cbranch_execz .LBB603_220
.LBB603_251:                            ;   in Loop: Header=BB603_98 Depth=2
	v_add_co_u32_e32 v40, vcc, 0x1000, v60
	v_addc_co_u32_e32 v41, vcc, 0, v61, vcc
	global_load_dwordx2 v[40:41], v[40:41], off offset:1536
	s_or_b64 exec, exec, s[78:79]
	v_cmp_lt_u32_e32 vcc, v121, v151
	s_and_saveexec_b64 s[78:79], vcc
	s_cbranch_execnz .LBB603_221
.LBB603_252:                            ;   in Loop: Header=BB603_98 Depth=2
	s_or_b64 exec, exec, s[78:79]
	v_cmp_lt_u32_e32 vcc, v122, v151
	s_and_saveexec_b64 s[78:79], vcc
	s_cbranch_execz .LBB603_222
.LBB603_253:                            ;   in Loop: Header=BB603_98 Depth=2
	v_add_co_u32_e32 v32, vcc, 0x1000, v60
	v_addc_co_u32_e32 v33, vcc, 0, v61, vcc
	global_load_dwordx2 v[32:33], v[32:33], off offset:2560
	s_or_b64 exec, exec, s[78:79]
	v_cmp_lt_u32_e32 vcc, v123, v151
	s_and_saveexec_b64 s[78:79], vcc
	s_cbranch_execnz .LBB603_223
.LBB603_254:                            ;   in Loop: Header=BB603_98 Depth=2
	s_or_b64 exec, exec, s[78:79]
	v_cmp_lt_u32_e32 vcc, v124, v151
	s_and_saveexec_b64 s[78:79], vcc
	s_cbranch_execz .LBB603_224
.LBB603_255:                            ;   in Loop: Header=BB603_98 Depth=2
	v_add_co_u32_e32 v0, vcc, 0x1000, v60
	v_addc_co_u32_e32 v1, vcc, 0, v61, vcc
	global_load_dwordx2 v[0:1], v[0:1], off offset:3584
	s_or_b64 exec, exec, s[78:79]
	s_and_saveexec_b64 s[78:79], s[36:37]
	s_cbranch_execnz .LBB603_225
.LBB603_256:                            ;   in Loop: Header=BB603_98 Depth=2
	s_or_b64 exec, exec, s[78:79]
	s_and_saveexec_b64 s[78:79], s[38:39]
	s_cbranch_execz .LBB603_226
.LBB603_257:                            ;   in Loop: Header=BB603_98 Depth=2
	ds_read_b32 v60, v72 offset:1024
	s_waitcnt lgkmcnt(0)
	v_lshrrev_b32_e32 v60, s93, v60
	v_and_b32_e32 v147, s94, v60
	s_or_b64 exec, exec, s[78:79]
	s_and_saveexec_b64 s[78:79], s[40:41]
	s_cbranch_execnz .LBB603_227
.LBB603_258:                            ;   in Loop: Header=BB603_98 Depth=2
	s_or_b64 exec, exec, s[78:79]
	s_and_saveexec_b64 s[78:79], s[42:43]
	s_cbranch_execz .LBB603_228
.LBB603_259:                            ;   in Loop: Header=BB603_98 Depth=2
	ds_read_b32 v60, v72 offset:3072
	s_waitcnt lgkmcnt(0)
	v_lshrrev_b32_e32 v60, s93, v60
	v_and_b32_e32 v144, s94, v60
	s_or_b64 exec, exec, s[78:79]
	s_and_saveexec_b64 s[78:79], s[44:45]
	s_cbranch_execnz .LBB603_229
.LBB603_260:                            ;   in Loop: Header=BB603_98 Depth=2
	s_or_b64 exec, exec, s[78:79]
	s_and_saveexec_b64 s[78:79], s[46:47]
	s_cbranch_execz .LBB603_230
.LBB603_261:                            ;   in Loop: Header=BB603_98 Depth=2
	ds_read_b32 v60, v72 offset:5120
	s_waitcnt lgkmcnt(0)
	v_lshrrev_b32_e32 v60, s93, v60
	v_and_b32_e32 v142, s94, v60
	s_or_b64 exec, exec, s[78:79]
	s_and_saveexec_b64 s[78:79], s[48:49]
	s_cbranch_execnz .LBB603_231
.LBB603_262:                            ;   in Loop: Header=BB603_98 Depth=2
	s_or_b64 exec, exec, s[78:79]
	s_and_saveexec_b64 s[78:79], s[50:51]
	s_cbranch_execz .LBB603_232
.LBB603_263:                            ;   in Loop: Header=BB603_98 Depth=2
	ds_read_b32 v60, v72 offset:7168
	s_waitcnt lgkmcnt(0)
	v_lshrrev_b32_e32 v60, s93, v60
	v_and_b32_e32 v140, s94, v60
	s_or_b64 exec, exec, s[78:79]
	s_and_saveexec_b64 s[78:79], s[52:53]
	s_cbranch_execnz .LBB603_233
.LBB603_264:                            ;   in Loop: Header=BB603_98 Depth=2
	s_or_b64 exec, exec, s[78:79]
	s_and_saveexec_b64 s[78:79], s[54:55]
	s_cbranch_execz .LBB603_234
.LBB603_265:                            ;   in Loop: Header=BB603_98 Depth=2
	ds_read_b32 v60, v72 offset:9216
	s_waitcnt lgkmcnt(0)
	v_lshrrev_b32_e32 v60, s93, v60
	v_and_b32_e32 v138, s94, v60
	s_or_b64 exec, exec, s[78:79]
	s_and_saveexec_b64 s[78:79], s[56:57]
	s_cbranch_execnz .LBB603_235
.LBB603_266:                            ;   in Loop: Header=BB603_98 Depth=2
	s_or_b64 exec, exec, s[78:79]
	s_and_saveexec_b64 s[78:79], s[58:59]
	s_cbranch_execz .LBB603_236
.LBB603_267:                            ;   in Loop: Header=BB603_98 Depth=2
	ds_read_b32 v60, v72 offset:11264
	s_waitcnt lgkmcnt(0)
	v_lshrrev_b32_e32 v60, s93, v60
	v_and_b32_e32 v136, s94, v60
	s_or_b64 exec, exec, s[78:79]
	s_and_saveexec_b64 s[78:79], s[60:61]
	s_cbranch_execnz .LBB603_237
.LBB603_268:                            ;   in Loop: Header=BB603_98 Depth=2
	s_or_b64 exec, exec, s[78:79]
	s_and_saveexec_b64 s[78:79], s[62:63]
	s_cbranch_execz .LBB603_238
.LBB603_269:                            ;   in Loop: Header=BB603_98 Depth=2
	ds_read_b32 v60, v72 offset:13312
	s_waitcnt lgkmcnt(0)
	v_lshrrev_b32_e32 v60, s93, v60
	v_and_b32_e32 v134, s94, v60
	s_or_b64 exec, exec, s[78:79]
	s_and_saveexec_b64 s[78:79], s[64:65]
	s_cbranch_execnz .LBB603_239
.LBB603_270:                            ;   in Loop: Header=BB603_98 Depth=2
	s_or_b64 exec, exec, s[78:79]
	s_and_saveexec_b64 s[78:79], s[66:67]
	s_cbranch_execz .LBB603_272
.LBB603_271:                            ;   in Loop: Header=BB603_98 Depth=2
	ds_read_b32 v60, v72 offset:15360
	s_waitcnt lgkmcnt(0)
	v_lshrrev_b32_e32 v60, s93, v60
	v_and_b32_e32 v132, s94, v60
.LBB603_272:                            ;   in Loop: Header=BB603_98 Depth=2
	s_or_b64 exec, exec, s[78:79]
	v_lshlrev_b32_e32 v60, 3, v172
	s_barrier
	s_waitcnt vmcnt(0)
	ds_write_b64 v60, v[58:59] offset:1024
	v_lshlrev_b32_e32 v60, 3, v168
	ds_write_b64 v60, v[56:57] offset:1024
	v_lshlrev_b32_e32 v60, 3, v167
	;; [unrolled: 2-line block ×15, first 2 shown]
	ds_write_b64 v60, v[0:1] offset:1024
	s_waitcnt lgkmcnt(0)
	s_barrier
	s_and_saveexec_b64 s[78:79], s[36:37]
	s_cbranch_execz .LBB603_288
; %bb.273:                              ;   in Loop: Header=BB603_98 Depth=2
	v_lshlrev_b32_e32 v60, 2, v149
	ds_read_b32 v62, v60
	ds_read_b64 v[60:61], v73 offset:1024
	v_mov_b32_e32 v63, v4
	v_mov_b32_e32 v151, s81
	s_waitcnt lgkmcnt(1)
	v_add_u32_e32 v62, v62, v2
	v_lshlrev_b64 v[62:63], 3, v[62:63]
	v_add_co_u32_e32 v62, vcc, s80, v62
	v_addc_co_u32_e32 v63, vcc, v151, v63, vcc
	s_waitcnt lgkmcnt(0)
	global_store_dwordx2 v[62:63], v[60:61], off
	s_or_b64 exec, exec, s[78:79]
	s_and_saveexec_b64 s[36:37], s[38:39]
	s_cbranch_execnz .LBB603_289
.LBB603_274:                            ;   in Loop: Header=BB603_98 Depth=2
	s_or_b64 exec, exec, s[36:37]
	s_and_saveexec_b64 s[36:37], s[40:41]
	s_cbranch_execz .LBB603_290
.LBB603_275:                            ;   in Loop: Header=BB603_98 Depth=2
	v_lshlrev_b32_e32 v60, 2, v146
	ds_read_b32 v62, v60
	v_add_u32_e32 v60, v72, v3
	ds_read_b64 v[60:61], v60 offset:4096
	v_mov_b32_e32 v63, v4
	v_mov_b32_e32 v151, s81
	s_waitcnt lgkmcnt(1)
	v_add_u32_e32 v62, v62, v9
	v_lshlrev_b64 v[62:63], 3, v[62:63]
	v_add_co_u32_e32 v62, vcc, s80, v62
	v_addc_co_u32_e32 v63, vcc, v151, v63, vcc
	s_waitcnt lgkmcnt(0)
	global_store_dwordx2 v[62:63], v[60:61], off
	s_or_b64 exec, exec, s[36:37]
	s_and_saveexec_b64 s[36:37], s[42:43]
	s_cbranch_execnz .LBB603_291
.LBB603_276:                            ;   in Loop: Header=BB603_98 Depth=2
	s_or_b64 exec, exec, s[36:37]
	s_and_saveexec_b64 s[36:37], s[44:45]
	s_cbranch_execz .LBB603_292
.LBB603_277:                            ;   in Loop: Header=BB603_98 Depth=2
	v_lshlrev_b32_e32 v60, 2, v143
	ds_read_b32 v62, v60
	v_add_u32_e32 v60, v72, v3
	ds_read_b64 v[60:61], v60 offset:8192
	v_mov_b32_e32 v63, v4
	v_mov_b32_e32 v151, s81
	s_waitcnt lgkmcnt(1)
	v_add_u32_e32 v62, v62, v6
	v_lshlrev_b64 v[62:63], 3, v[62:63]
	v_add_co_u32_e32 v62, vcc, s80, v62
	v_addc_co_u32_e32 v63, vcc, v151, v63, vcc
	s_waitcnt lgkmcnt(0)
	global_store_dwordx2 v[62:63], v[60:61], off
	s_or_b64 exec, exec, s[36:37]
	s_and_saveexec_b64 s[36:37], s[46:47]
	s_cbranch_execnz .LBB603_293
.LBB603_278:                            ;   in Loop: Header=BB603_98 Depth=2
	s_or_b64 exec, exec, s[36:37]
	s_and_saveexec_b64 s[36:37], s[48:49]
	s_cbranch_execz .LBB603_294
.LBB603_279:                            ;   in Loop: Header=BB603_98 Depth=2
	v_lshlrev_b32_e32 v60, 2, v141
	ds_read_b32 v62, v60
	v_add_u32_e32 v60, v72, v3
	ds_read_b64 v[60:61], v60 offset:12288
	v_mov_b32_e32 v63, v4
	v_mov_b32_e32 v151, s81
	s_waitcnt lgkmcnt(1)
	v_add_u32_e32 v62, v62, v10
	v_lshlrev_b64 v[62:63], 3, v[62:63]
	v_add_co_u32_e32 v62, vcc, s80, v62
	v_addc_co_u32_e32 v63, vcc, v151, v63, vcc
	s_waitcnt lgkmcnt(0)
	global_store_dwordx2 v[62:63], v[60:61], off
	s_or_b64 exec, exec, s[36:37]
	s_and_saveexec_b64 s[36:37], s[50:51]
	s_cbranch_execnz .LBB603_295
.LBB603_280:                            ;   in Loop: Header=BB603_98 Depth=2
	s_or_b64 exec, exec, s[36:37]
	s_and_saveexec_b64 s[36:37], s[52:53]
	s_cbranch_execz .LBB603_296
.LBB603_281:                            ;   in Loop: Header=BB603_98 Depth=2
	v_lshlrev_b32_e32 v60, 2, v139
	ds_read_b32 v62, v60
	v_add_u32_e32 v60, v72, v3
	ds_read_b64 v[60:61], v60 offset:16384
	v_mov_b32_e32 v63, v4
	v_mov_b32_e32 v151, s81
	s_waitcnt lgkmcnt(1)
	v_add_u32_e32 v62, v62, v14
	v_lshlrev_b64 v[62:63], 3, v[62:63]
	v_add_co_u32_e32 v62, vcc, s80, v62
	v_addc_co_u32_e32 v63, vcc, v151, v63, vcc
	s_waitcnt lgkmcnt(0)
	global_store_dwordx2 v[62:63], v[60:61], off
	s_or_b64 exec, exec, s[36:37]
	s_and_saveexec_b64 s[36:37], s[54:55]
	s_cbranch_execnz .LBB603_297
.LBB603_282:                            ;   in Loop: Header=BB603_98 Depth=2
	s_or_b64 exec, exec, s[36:37]
	s_and_saveexec_b64 s[36:37], s[56:57]
	s_cbranch_execz .LBB603_298
.LBB603_283:                            ;   in Loop: Header=BB603_98 Depth=2
	v_lshlrev_b32_e32 v60, 2, v137
	ds_read_b32 v62, v60
	v_add_u32_e32 v60, v72, v3
	ds_read_b64 v[60:61], v60 offset:20480
	v_mov_b32_e32 v63, v4
	v_mov_b32_e32 v151, s81
	s_waitcnt lgkmcnt(1)
	v_add_u32_e32 v62, v62, v18
	v_lshlrev_b64 v[62:63], 3, v[62:63]
	v_add_co_u32_e32 v62, vcc, s80, v62
	v_addc_co_u32_e32 v63, vcc, v151, v63, vcc
	s_waitcnt lgkmcnt(0)
	global_store_dwordx2 v[62:63], v[60:61], off
	s_or_b64 exec, exec, s[36:37]
	s_and_saveexec_b64 s[36:37], s[58:59]
	s_cbranch_execnz .LBB603_299
.LBB603_284:                            ;   in Loop: Header=BB603_98 Depth=2
	s_or_b64 exec, exec, s[36:37]
	s_and_saveexec_b64 s[36:37], s[60:61]
	s_cbranch_execz .LBB603_300
.LBB603_285:                            ;   in Loop: Header=BB603_98 Depth=2
	v_lshlrev_b32_e32 v60, 2, v135
	ds_read_b32 v62, v60
	v_add_u32_e32 v60, v72, v3
	ds_read_b64 v[60:61], v60 offset:24576
	v_mov_b32_e32 v63, v4
	v_mov_b32_e32 v151, s81
	s_waitcnt lgkmcnt(1)
	v_add_u32_e32 v62, v62, v22
	v_lshlrev_b64 v[62:63], 3, v[62:63]
	v_add_co_u32_e32 v62, vcc, s80, v62
	v_addc_co_u32_e32 v63, vcc, v151, v63, vcc
	s_waitcnt lgkmcnt(0)
	global_store_dwordx2 v[62:63], v[60:61], off
	s_or_b64 exec, exec, s[36:37]
	s_and_saveexec_b64 s[36:37], s[62:63]
	s_cbranch_execnz .LBB603_301
.LBB603_286:                            ;   in Loop: Header=BB603_98 Depth=2
	s_or_b64 exec, exec, s[36:37]
	s_and_saveexec_b64 s[36:37], s[64:65]
	s_cbranch_execz .LBB603_302
.LBB603_287:                            ;   in Loop: Header=BB603_98 Depth=2
	v_lshlrev_b32_e32 v60, 2, v133
	ds_read_b32 v62, v60
	v_add_u32_e32 v60, v72, v3
	ds_read_b64 v[60:61], v60 offset:28672
	v_mov_b32_e32 v63, v4
	v_mov_b32_e32 v151, s81
	s_waitcnt lgkmcnt(1)
	v_add_u32_e32 v62, v62, v26
	v_lshlrev_b64 v[62:63], 3, v[62:63]
	v_add_co_u32_e32 v62, vcc, s80, v62
	v_addc_co_u32_e32 v63, vcc, v151, v63, vcc
	s_waitcnt lgkmcnt(0)
	global_store_dwordx2 v[62:63], v[60:61], off
	s_or_b64 exec, exec, s[36:37]
	s_and_saveexec_b64 s[36:37], s[66:67]
	s_cbranch_execnz .LBB603_303
	s_branch .LBB603_304
.LBB603_288:                            ;   in Loop: Header=BB603_98 Depth=2
	s_or_b64 exec, exec, s[78:79]
	s_and_saveexec_b64 s[36:37], s[38:39]
	s_cbranch_execz .LBB603_274
.LBB603_289:                            ;   in Loop: Header=BB603_98 Depth=2
	v_lshlrev_b32_e32 v60, 2, v147
	ds_read_b32 v62, v60
	v_add_u32_e32 v60, v72, v3
	ds_read_b64 v[60:61], v60 offset:2048
	v_mov_b32_e32 v63, v4
	v_mov_b32_e32 v151, s81
	s_waitcnt lgkmcnt(1)
	v_add_u32_e32 v62, v62, v7
	v_lshlrev_b64 v[62:63], 3, v[62:63]
	v_add_co_u32_e32 v62, vcc, s80, v62
	v_addc_co_u32_e32 v63, vcc, v151, v63, vcc
	s_waitcnt lgkmcnt(0)
	global_store_dwordx2 v[62:63], v[60:61], off
	s_or_b64 exec, exec, s[36:37]
	s_and_saveexec_b64 s[36:37], s[40:41]
	s_cbranch_execnz .LBB603_275
.LBB603_290:                            ;   in Loop: Header=BB603_98 Depth=2
	s_or_b64 exec, exec, s[36:37]
	s_and_saveexec_b64 s[36:37], s[42:43]
	s_cbranch_execz .LBB603_276
.LBB603_291:                            ;   in Loop: Header=BB603_98 Depth=2
	v_lshlrev_b32_e32 v60, 2, v144
	ds_read_b32 v62, v60
	v_add_u32_e32 v60, v72, v3
	ds_read_b64 v[60:61], v60 offset:6144
	v_mov_b32_e32 v63, v4
	v_mov_b32_e32 v151, s81
	s_waitcnt lgkmcnt(1)
	v_add_u32_e32 v62, v62, v11
	v_lshlrev_b64 v[62:63], 3, v[62:63]
	v_add_co_u32_e32 v62, vcc, s80, v62
	v_addc_co_u32_e32 v63, vcc, v151, v63, vcc
	s_waitcnt lgkmcnt(0)
	global_store_dwordx2 v[62:63], v[60:61], off
	s_or_b64 exec, exec, s[36:37]
	s_and_saveexec_b64 s[36:37], s[44:45]
	s_cbranch_execnz .LBB603_277
.LBB603_292:                            ;   in Loop: Header=BB603_98 Depth=2
	s_or_b64 exec, exec, s[36:37]
	s_and_saveexec_b64 s[36:37], s[46:47]
	s_cbranch_execz .LBB603_278
.LBB603_293:                            ;   in Loop: Header=BB603_98 Depth=2
	v_lshlrev_b32_e32 v60, 2, v142
	ds_read_b32 v62, v60
	v_add_u32_e32 v60, v72, v3
	ds_read_b64 v[60:61], v60 offset:10240
	v_mov_b32_e32 v63, v4
	v_mov_b32_e32 v151, s81
	s_waitcnt lgkmcnt(1)
	v_add_u32_e32 v62, v62, v8
	v_lshlrev_b64 v[62:63], 3, v[62:63]
	v_add_co_u32_e32 v62, vcc, s80, v62
	v_addc_co_u32_e32 v63, vcc, v151, v63, vcc
	s_waitcnt lgkmcnt(0)
	global_store_dwordx2 v[62:63], v[60:61], off
	s_or_b64 exec, exec, s[36:37]
	s_and_saveexec_b64 s[36:37], s[48:49]
	s_cbranch_execnz .LBB603_279
.LBB603_294:                            ;   in Loop: Header=BB603_98 Depth=2
	s_or_b64 exec, exec, s[36:37]
	s_and_saveexec_b64 s[36:37], s[50:51]
	s_cbranch_execz .LBB603_280
.LBB603_295:                            ;   in Loop: Header=BB603_98 Depth=2
	v_lshlrev_b32_e32 v60, 2, v140
	ds_read_b32 v62, v60
	v_add_u32_e32 v60, v72, v3
	ds_read_b64 v[60:61], v60 offset:14336
	v_mov_b32_e32 v63, v4
	v_mov_b32_e32 v151, s81
	s_waitcnt lgkmcnt(1)
	v_add_u32_e32 v62, v62, v12
	v_lshlrev_b64 v[62:63], 3, v[62:63]
	v_add_co_u32_e32 v62, vcc, s80, v62
	v_addc_co_u32_e32 v63, vcc, v151, v63, vcc
	s_waitcnt lgkmcnt(0)
	global_store_dwordx2 v[62:63], v[60:61], off
	s_or_b64 exec, exec, s[36:37]
	s_and_saveexec_b64 s[36:37], s[52:53]
	s_cbranch_execnz .LBB603_281
.LBB603_296:                            ;   in Loop: Header=BB603_98 Depth=2
	s_or_b64 exec, exec, s[36:37]
	s_and_saveexec_b64 s[36:37], s[54:55]
	s_cbranch_execz .LBB603_282
.LBB603_297:                            ;   in Loop: Header=BB603_98 Depth=2
	v_lshlrev_b32_e32 v60, 2, v138
	ds_read_b32 v62, v60
	v_add_u32_e32 v60, v72, v3
	ds_read_b64 v[60:61], v60 offset:18432
	v_mov_b32_e32 v63, v4
	v_mov_b32_e32 v151, s81
	s_waitcnt lgkmcnt(1)
	v_add_u32_e32 v62, v62, v16
	v_lshlrev_b64 v[62:63], 3, v[62:63]
	v_add_co_u32_e32 v62, vcc, s80, v62
	v_addc_co_u32_e32 v63, vcc, v151, v63, vcc
	s_waitcnt lgkmcnt(0)
	global_store_dwordx2 v[62:63], v[60:61], off
	s_or_b64 exec, exec, s[36:37]
	s_and_saveexec_b64 s[36:37], s[56:57]
	s_cbranch_execnz .LBB603_283
.LBB603_298:                            ;   in Loop: Header=BB603_98 Depth=2
	s_or_b64 exec, exec, s[36:37]
	s_and_saveexec_b64 s[36:37], s[58:59]
	s_cbranch_execz .LBB603_284
.LBB603_299:                            ;   in Loop: Header=BB603_98 Depth=2
	v_lshlrev_b32_e32 v60, 2, v136
	ds_read_b32 v62, v60
	v_add_u32_e32 v60, v72, v3
	ds_read_b64 v[60:61], v60 offset:22528
	v_mov_b32_e32 v63, v4
	v_mov_b32_e32 v151, s81
	s_waitcnt lgkmcnt(1)
	v_add_u32_e32 v62, v62, v20
	v_lshlrev_b64 v[62:63], 3, v[62:63]
	v_add_co_u32_e32 v62, vcc, s80, v62
	v_addc_co_u32_e32 v63, vcc, v151, v63, vcc
	s_waitcnt lgkmcnt(0)
	global_store_dwordx2 v[62:63], v[60:61], off
	s_or_b64 exec, exec, s[36:37]
	s_and_saveexec_b64 s[36:37], s[60:61]
	s_cbranch_execnz .LBB603_285
.LBB603_300:                            ;   in Loop: Header=BB603_98 Depth=2
	s_or_b64 exec, exec, s[36:37]
	s_and_saveexec_b64 s[36:37], s[62:63]
	s_cbranch_execz .LBB603_286
.LBB603_301:                            ;   in Loop: Header=BB603_98 Depth=2
	v_lshlrev_b32_e32 v60, 2, v134
	ds_read_b32 v62, v60
	v_add_u32_e32 v60, v72, v3
	ds_read_b64 v[60:61], v60 offset:26624
	v_mov_b32_e32 v63, v4
	v_mov_b32_e32 v151, s81
	s_waitcnt lgkmcnt(1)
	v_add_u32_e32 v62, v62, v24
	v_lshlrev_b64 v[62:63], 3, v[62:63]
	v_add_co_u32_e32 v62, vcc, s80, v62
	v_addc_co_u32_e32 v63, vcc, v151, v63, vcc
	s_waitcnt lgkmcnt(0)
	global_store_dwordx2 v[62:63], v[60:61], off
	s_or_b64 exec, exec, s[36:37]
	s_and_saveexec_b64 s[36:37], s[64:65]
	s_cbranch_execnz .LBB603_287
.LBB603_302:                            ;   in Loop: Header=BB603_98 Depth=2
	s_or_b64 exec, exec, s[36:37]
	s_and_saveexec_b64 s[36:37], s[66:67]
	s_cbranch_execz .LBB603_304
.LBB603_303:                            ;   in Loop: Header=BB603_98 Depth=2
	v_lshlrev_b32_e32 v60, 2, v132
	ds_read_b32 v62, v60
	v_add_u32_e32 v60, v72, v3
	ds_read_b64 v[60:61], v60 offset:30720
	v_mov_b32_e32 v63, v4
	v_mov_b32_e32 v151, s81
	s_waitcnt lgkmcnt(1)
	v_add_u32_e32 v62, v62, v28
	v_lshlrev_b64 v[62:63], 3, v[62:63]
	v_add_co_u32_e32 v62, vcc, s80, v62
	v_addc_co_u32_e32 v63, vcc, v151, v63, vcc
	s_waitcnt lgkmcnt(0)
	global_store_dwordx2 v[62:63], v[60:61], off
.LBB603_304:                            ;   in Loop: Header=BB603_98 Depth=2
	s_or_b64 exec, exec, s[36:37]
	s_barrier
	s_and_saveexec_b64 s[36:37], s[4:5]
	s_cbranch_execz .LBB603_97
; %bb.305:                              ;   in Loop: Header=BB603_98 Depth=2
	ds_read_b32 v60, v3
	s_waitcnt lgkmcnt(0)
	v_add_u32_e32 v5, v60, v5
	ds_write_b32 v3, v5
	s_branch .LBB603_97
.LBB603_306:                            ;   in Loop: Header=BB603_12 Depth=1
	s_waitcnt lgkmcnt(0)
	s_barrier
	s_mov_b64 s[16:17], 0
.LBB603_307:                            ;   in Loop: Header=BB603_12 Depth=1
	s_and_b64 vcc, exec, s[16:17]
	s_cbranch_vccz .LBB603_601
; %bb.308:                              ;   in Loop: Header=BB603_12 Depth=1
	s_mov_b32 s22, s87
	s_mov_b32 s88, s69
	s_barrier
	s_waitcnt lgkmcnt(0)
                                        ; implicit-def: $vgpr44
                                        ; implicit-def: $vgpr5
                                        ; implicit-def: $vgpr30
                                        ; implicit-def: $vgpr31
                                        ; implicit-def: $vgpr32
                                        ; implicit-def: $vgpr33
                                        ; implicit-def: $vgpr34
                                        ; implicit-def: $vgpr35
                                        ; implicit-def: $vgpr36
                                        ; implicit-def: $vgpr37
                                        ; implicit-def: $vgpr38
                                        ; implicit-def: $vgpr39
                                        ; implicit-def: $vgpr40
                                        ; implicit-def: $vgpr41
                                        ; implicit-def: $vgpr42
                                        ; implicit-def: $vgpr43
	s_branch .LBB603_310
.LBB603_309:                            ;   in Loop: Header=BB603_310 Depth=2
	s_or_b64 exec, exec, s[16:17]
	s_addk_i32 s22, 0xf000
	s_cmp_ge_u32 s23, s92
	s_mov_b32 s88, s23
	s_cbranch_scc1 .LBB603_380
.LBB603_310:                            ;   Parent Loop BB603_12 Depth=1
                                        ; =>  This Inner Loop Header: Depth=2
	s_add_i32 s23, s88, 0x1000
	s_cmp_gt_u32 s23, s92
	s_cbranch_scc1 .LBB603_313
; %bb.311:                              ;   in Loop: Header=BB603_310 Depth=2
	s_lshl_b64 s[16:17], s[88:89], 2
	v_mov_b32_e32 v1, s17
	v_add_co_u32_e32 v0, vcc, s16, v74
	v_addc_co_u32_e32 v1, vcc, v75, v1, vcc
	s_waitcnt vmcnt(6)
	v_add_co_u32_e32 v54, vcc, 0x1000, v0
	s_waitcnt vmcnt(5)
	v_addc_co_u32_e32 v55, vcc, 0, v1, vcc
	v_add_co_u32_e32 v62, vcc, s84, v0
	v_addc_co_u32_e32 v63, vcc, 0, v1, vcc
	global_load_dword v46, v[0:1], off
	global_load_dword v47, v[0:1], off offset:1024
	global_load_dword v48, v[0:1], off offset:2048
	;; [unrolled: 1-line block ×3, first 2 shown]
	global_load_dword v50, v[54:55], off
	global_load_dword v51, v[54:55], off offset:1024
	global_load_dword v52, v[54:55], off offset:2048
	;; [unrolled: 1-line block ×3, first 2 shown]
	v_add_co_u32_e32 v128, vcc, 0x3000, v0
	v_addc_co_u32_e32 v129, vcc, 0, v1, vcc
	global_load_dword v54, v[62:63], off
	global_load_dword v55, v[62:63], off offset:1024
	global_load_dword v56, v[62:63], off offset:2048
	;; [unrolled: 1-line block ×3, first 2 shown]
	global_load_dword v58, v[128:129], off
	global_load_dword v59, v[128:129], off offset:1024
	global_load_dword v60, v[128:129], off offset:2048
	v_add_co_u32_e32 v0, vcc, 0x3c00, v0
	s_movk_i32 s24, 0x1000
	v_addc_co_u32_e32 v1, vcc, 0, v1, vcc
	s_mov_b64 s[16:17], -1
	s_cbranch_execz .LBB603_314
; %bb.312:                              ;   in Loop: Header=BB603_310 Depth=2
                                        ; implicit-def: $vgpr43
                                        ; implicit-def: $vgpr42
                                        ; implicit-def: $vgpr41
                                        ; implicit-def: $vgpr40
                                        ; implicit-def: $vgpr39
                                        ; implicit-def: $vgpr38
                                        ; implicit-def: $vgpr37
                                        ; implicit-def: $vgpr36
                                        ; implicit-def: $vgpr35
                                        ; implicit-def: $vgpr34
                                        ; implicit-def: $vgpr33
                                        ; implicit-def: $vgpr32
                                        ; implicit-def: $vgpr31
                                        ; implicit-def: $vgpr30
                                        ; implicit-def: $vgpr5
                                        ; implicit-def: $vgpr44
	v_mov_b32_e32 v45, s22
	s_and_saveexec_b64 s[18:19], s[16:17]
	s_cbranch_execnz .LBB603_333
	s_branch .LBB603_334
.LBB603_313:                            ;   in Loop: Header=BB603_310 Depth=2
	s_mov_b64 s[16:17], 0
                                        ; implicit-def: $sgpr24
                                        ; implicit-def: $vgpr46
                                        ; implicit-def: $vgpr47
                                        ; implicit-def: $vgpr48
                                        ; implicit-def: $vgpr49
                                        ; implicit-def: $vgpr50
                                        ; implicit-def: $vgpr51
                                        ; implicit-def: $vgpr52
                                        ; implicit-def: $vgpr53
                                        ; implicit-def: $vgpr54
                                        ; implicit-def: $vgpr55
                                        ; implicit-def: $vgpr56
                                        ; implicit-def: $vgpr57
                                        ; implicit-def: $vgpr58
                                        ; implicit-def: $vgpr59
                                        ; implicit-def: $vgpr60
                                        ; implicit-def: $vgpr0_vgpr1
.LBB603_314:                            ;   in Loop: Header=BB603_310 Depth=2
	s_lshl_b64 s[18:19], s[88:89], 2
	s_add_u32 s18, s74, s18
	s_addc_u32 s19, s75, s19
	v_cmp_gt_u32_e32 vcc, s22, v2
	s_and_saveexec_b64 s[20:21], vcc
	s_cbranch_execz .LBB603_366
; %bb.315:                              ;   in Loop: Header=BB603_310 Depth=2
	global_load_dword v43, v88, s[18:19]
	s_or_b64 exec, exec, s[20:21]
	v_cmp_gt_u32_e32 vcc, s22, v7
	s_and_saveexec_b64 s[20:21], vcc
	s_cbranch_execnz .LBB603_367
.LBB603_316:                            ;   in Loop: Header=BB603_310 Depth=2
	s_or_b64 exec, exec, s[20:21]
	v_cmp_gt_u32_e32 vcc, s22, v9
	s_and_saveexec_b64 s[20:21], vcc
	s_cbranch_execz .LBB603_368
.LBB603_317:                            ;   in Loop: Header=BB603_310 Depth=2
	global_load_dword v41, v88, s[18:19] offset:2048
	s_or_b64 exec, exec, s[20:21]
	v_cmp_gt_u32_e32 vcc, s22, v11
	s_and_saveexec_b64 s[20:21], vcc
	s_cbranch_execnz .LBB603_369
.LBB603_318:                            ;   in Loop: Header=BB603_310 Depth=2
	s_or_b64 exec, exec, s[20:21]
	v_cmp_gt_u32_e32 vcc, s22, v6
	s_and_saveexec_b64 s[20:21], vcc
	s_cbranch_execz .LBB603_370
.LBB603_319:                            ;   in Loop: Header=BB603_310 Depth=2
	global_load_dword v39, v89, s[18:19]
	s_or_b64 exec, exec, s[20:21]
	v_cmp_gt_u32_e32 vcc, s22, v8
	s_and_saveexec_b64 s[20:21], vcc
	s_cbranch_execnz .LBB603_371
.LBB603_320:                            ;   in Loop: Header=BB603_310 Depth=2
	s_or_b64 exec, exec, s[20:21]
	v_cmp_gt_u32_e32 vcc, s22, v10
	s_and_saveexec_b64 s[20:21], vcc
	s_cbranch_execz .LBB603_372
.LBB603_321:                            ;   in Loop: Header=BB603_310 Depth=2
	global_load_dword v37, v91, s[18:19]
	s_or_b64 exec, exec, s[20:21]
	v_cmp_gt_u32_e32 vcc, s22, v12
	s_and_saveexec_b64 s[20:21], vcc
	s_cbranch_execnz .LBB603_373
.LBB603_322:                            ;   in Loop: Header=BB603_310 Depth=2
	s_or_b64 exec, exec, s[20:21]
	v_cmp_gt_u32_e32 vcc, s22, v14
	s_and_saveexec_b64 s[20:21], vcc
	s_cbranch_execz .LBB603_374
.LBB603_323:                            ;   in Loop: Header=BB603_310 Depth=2
	global_load_dword v35, v93, s[18:19]
	s_or_b64 exec, exec, s[20:21]
	v_cmp_gt_u32_e32 vcc, s22, v16
	s_and_saveexec_b64 s[20:21], vcc
	s_cbranch_execnz .LBB603_375
.LBB603_324:                            ;   in Loop: Header=BB603_310 Depth=2
	s_or_b64 exec, exec, s[20:21]
	v_cmp_gt_u32_e32 vcc, s22, v18
	s_and_saveexec_b64 s[20:21], vcc
	s_cbranch_execz .LBB603_376
.LBB603_325:                            ;   in Loop: Header=BB603_310 Depth=2
	global_load_dword v33, v95, s[18:19]
	s_or_b64 exec, exec, s[20:21]
	v_cmp_gt_u32_e32 vcc, s22, v20
	s_and_saveexec_b64 s[20:21], vcc
	s_cbranch_execnz .LBB603_377
.LBB603_326:                            ;   in Loop: Header=BB603_310 Depth=2
	s_or_b64 exec, exec, s[20:21]
	v_cmp_gt_u32_e32 vcc, s22, v22
	s_and_saveexec_b64 s[20:21], vcc
	s_cbranch_execz .LBB603_378
.LBB603_327:                            ;   in Loop: Header=BB603_310 Depth=2
	global_load_dword v31, v97, s[18:19]
	s_or_b64 exec, exec, s[20:21]
	v_cmp_gt_u32_e32 vcc, s22, v24
	s_and_saveexec_b64 s[20:21], vcc
	s_cbranch_execnz .LBB603_379
.LBB603_328:                            ;   in Loop: Header=BB603_310 Depth=2
	s_or_b64 exec, exec, s[20:21]
	v_cmp_gt_u32_e32 vcc, s22, v26
	s_and_saveexec_b64 s[20:21], vcc
	s_cbranch_execz .LBB603_330
.LBB603_329:                            ;   in Loop: Header=BB603_310 Depth=2
	global_load_dword v5, v99, s[18:19]
.LBB603_330:                            ;   in Loop: Header=BB603_310 Depth=2
	s_or_b64 exec, exec, s[20:21]
	v_cmp_gt_u32_e32 vcc, s22, v28
                                        ; implicit-def: $sgpr24
                                        ; implicit-def: $vgpr0_vgpr1
	s_and_saveexec_b64 s[20:21], vcc
; %bb.331:                              ;   in Loop: Header=BB603_310 Depth=2
	v_mov_b32_e32 v1, s19
	v_add_co_u32_e32 v0, vcc, s18, v100
	s_sub_i32 s24, s92, s88
	v_addc_co_u32_e32 v1, vcc, 0, v1, vcc
	s_or_b64 s[16:17], s[16:17], exec
                                        ; implicit-def: $vgpr44
; %bb.332:                              ;   in Loop: Header=BB603_310 Depth=2
	s_or_b64 exec, exec, s[20:21]
	s_waitcnt vmcnt(0)
	v_mov_b32_e32 v46, v43
	v_mov_b32_e32 v47, v42
	;; [unrolled: 1-line block ×16, first 2 shown]
	s_and_saveexec_b64 s[18:19], s[16:17]
	s_cbranch_execz .LBB603_334
.LBB603_333:                            ;   in Loop: Header=BB603_310 Depth=2
	global_load_dword v44, v[0:1], off
	v_mov_b32_e32 v45, s24
	s_waitcnt vmcnt(1)
	v_mov_b32_e32 v5, v60
	v_mov_b32_e32 v30, v59
	v_mov_b32_e32 v31, v58
	v_mov_b32_e32 v32, v57
	v_mov_b32_e32 v33, v56
	v_mov_b32_e32 v34, v55
	v_mov_b32_e32 v35, v54
	v_mov_b32_e32 v36, v53
	v_mov_b32_e32 v37, v52
	v_mov_b32_e32 v38, v51
	v_mov_b32_e32 v39, v50
	v_mov_b32_e32 v40, v49
	v_mov_b32_e32 v41, v48
	v_mov_b32_e32 v42, v47
	v_mov_b32_e32 v43, v46
.LBB603_334:                            ;   in Loop: Header=BB603_310 Depth=2
	s_or_b64 exec, exec, s[18:19]
	v_cmp_lt_u32_e32 vcc, v2, v45
	s_and_saveexec_b64 s[16:17], vcc
	s_cbranch_execz .LBB603_350
; %bb.335:                              ;   in Loop: Header=BB603_310 Depth=2
	v_xor_b32_e32 v0, 0x80000000, v43
	v_lshrrev_b32_e32 v0, s93, v0
	v_and_b32_e32 v0, s94, v0
	v_lshl_or_b32 v0, v0, 4, v86
	ds_add_u32 v0, v87
	s_or_b64 exec, exec, s[16:17]
	v_cmp_lt_u32_e32 vcc, v7, v45
	s_and_saveexec_b64 s[16:17], vcc
	s_cbranch_execnz .LBB603_351
.LBB603_336:                            ;   in Loop: Header=BB603_310 Depth=2
	s_or_b64 exec, exec, s[16:17]
	v_cmp_lt_u32_e32 vcc, v9, v45
	s_and_saveexec_b64 s[16:17], vcc
	s_cbranch_execz .LBB603_352
.LBB603_337:                            ;   in Loop: Header=BB603_310 Depth=2
	v_xor_b32_e32 v0, 0x80000000, v41
	v_lshrrev_b32_e32 v0, s93, v0
	v_and_b32_e32 v0, s94, v0
	v_lshl_or_b32 v0, v0, 4, v86
	ds_add_u32 v0, v87
	s_or_b64 exec, exec, s[16:17]
	v_cmp_lt_u32_e32 vcc, v11, v45
	s_and_saveexec_b64 s[16:17], vcc
	s_cbranch_execnz .LBB603_353
.LBB603_338:                            ;   in Loop: Header=BB603_310 Depth=2
	s_or_b64 exec, exec, s[16:17]
	v_cmp_lt_u32_e32 vcc, v6, v45
	s_and_saveexec_b64 s[16:17], vcc
	s_cbranch_execz .LBB603_354
.LBB603_339:                            ;   in Loop: Header=BB603_310 Depth=2
	v_xor_b32_e32 v0, 0x80000000, v39
	v_lshrrev_b32_e32 v0, s93, v0
	v_and_b32_e32 v0, s94, v0
	v_lshl_or_b32 v0, v0, 4, v86
	ds_add_u32 v0, v87
	s_or_b64 exec, exec, s[16:17]
	v_cmp_lt_u32_e32 vcc, v8, v45
	s_and_saveexec_b64 s[16:17], vcc
	s_cbranch_execnz .LBB603_355
.LBB603_340:                            ;   in Loop: Header=BB603_310 Depth=2
	s_or_b64 exec, exec, s[16:17]
	v_cmp_lt_u32_e32 vcc, v10, v45
	s_and_saveexec_b64 s[16:17], vcc
	s_cbranch_execz .LBB603_356
.LBB603_341:                            ;   in Loop: Header=BB603_310 Depth=2
	v_xor_b32_e32 v0, 0x80000000, v37
	v_lshrrev_b32_e32 v0, s93, v0
	v_and_b32_e32 v0, s94, v0
	v_lshl_or_b32 v0, v0, 4, v86
	ds_add_u32 v0, v87
	s_or_b64 exec, exec, s[16:17]
	v_cmp_lt_u32_e32 vcc, v12, v45
	s_and_saveexec_b64 s[16:17], vcc
	s_cbranch_execnz .LBB603_357
.LBB603_342:                            ;   in Loop: Header=BB603_310 Depth=2
	s_or_b64 exec, exec, s[16:17]
	v_cmp_lt_u32_e32 vcc, v14, v45
	s_and_saveexec_b64 s[16:17], vcc
	s_cbranch_execz .LBB603_358
.LBB603_343:                            ;   in Loop: Header=BB603_310 Depth=2
	v_xor_b32_e32 v0, 0x80000000, v35
	v_lshrrev_b32_e32 v0, s93, v0
	v_and_b32_e32 v0, s94, v0
	v_lshl_or_b32 v0, v0, 4, v86
	ds_add_u32 v0, v87
	s_or_b64 exec, exec, s[16:17]
	v_cmp_lt_u32_e32 vcc, v16, v45
	s_and_saveexec_b64 s[16:17], vcc
	s_cbranch_execnz .LBB603_359
.LBB603_344:                            ;   in Loop: Header=BB603_310 Depth=2
	s_or_b64 exec, exec, s[16:17]
	v_cmp_lt_u32_e32 vcc, v18, v45
	s_and_saveexec_b64 s[16:17], vcc
	s_cbranch_execz .LBB603_360
.LBB603_345:                            ;   in Loop: Header=BB603_310 Depth=2
	v_xor_b32_e32 v0, 0x80000000, v33
	v_lshrrev_b32_e32 v0, s93, v0
	v_and_b32_e32 v0, s94, v0
	v_lshl_or_b32 v0, v0, 4, v86
	ds_add_u32 v0, v87
	s_or_b64 exec, exec, s[16:17]
	v_cmp_lt_u32_e32 vcc, v20, v45
	s_and_saveexec_b64 s[16:17], vcc
	s_cbranch_execnz .LBB603_361
.LBB603_346:                            ;   in Loop: Header=BB603_310 Depth=2
	s_or_b64 exec, exec, s[16:17]
	v_cmp_lt_u32_e32 vcc, v22, v45
	s_and_saveexec_b64 s[16:17], vcc
	s_cbranch_execz .LBB603_362
.LBB603_347:                            ;   in Loop: Header=BB603_310 Depth=2
	v_xor_b32_e32 v0, 0x80000000, v31
	v_lshrrev_b32_e32 v0, s93, v0
	v_and_b32_e32 v0, s94, v0
	v_lshl_or_b32 v0, v0, 4, v86
	ds_add_u32 v0, v87
	s_or_b64 exec, exec, s[16:17]
	v_cmp_lt_u32_e32 vcc, v24, v45
	s_and_saveexec_b64 s[16:17], vcc
	s_cbranch_execnz .LBB603_363
.LBB603_348:                            ;   in Loop: Header=BB603_310 Depth=2
	s_or_b64 exec, exec, s[16:17]
	v_cmp_lt_u32_e32 vcc, v26, v45
	s_and_saveexec_b64 s[16:17], vcc
	s_cbranch_execz .LBB603_364
.LBB603_349:                            ;   in Loop: Header=BB603_310 Depth=2
	v_xor_b32_e32 v0, 0x80000000, v5
	v_lshrrev_b32_e32 v0, s93, v0
	v_and_b32_e32 v0, s94, v0
	v_lshl_or_b32 v0, v0, 4, v86
	ds_add_u32 v0, v87
	s_or_b64 exec, exec, s[16:17]
	v_cmp_lt_u32_e32 vcc, v28, v45
	s_and_saveexec_b64 s[16:17], vcc
	s_cbranch_execz .LBB603_309
	s_branch .LBB603_365
.LBB603_350:                            ;   in Loop: Header=BB603_310 Depth=2
	s_or_b64 exec, exec, s[16:17]
	v_cmp_lt_u32_e32 vcc, v7, v45
	s_and_saveexec_b64 s[16:17], vcc
	s_cbranch_execz .LBB603_336
.LBB603_351:                            ;   in Loop: Header=BB603_310 Depth=2
	v_xor_b32_e32 v0, 0x80000000, v42
	v_lshrrev_b32_e32 v0, s93, v0
	v_and_b32_e32 v0, s94, v0
	v_lshl_or_b32 v0, v0, 4, v86
	ds_add_u32 v0, v87
	s_or_b64 exec, exec, s[16:17]
	v_cmp_lt_u32_e32 vcc, v9, v45
	s_and_saveexec_b64 s[16:17], vcc
	s_cbranch_execnz .LBB603_337
.LBB603_352:                            ;   in Loop: Header=BB603_310 Depth=2
	s_or_b64 exec, exec, s[16:17]
	v_cmp_lt_u32_e32 vcc, v11, v45
	s_and_saveexec_b64 s[16:17], vcc
	s_cbranch_execz .LBB603_338
.LBB603_353:                            ;   in Loop: Header=BB603_310 Depth=2
	v_xor_b32_e32 v0, 0x80000000, v40
	v_lshrrev_b32_e32 v0, s93, v0
	v_and_b32_e32 v0, s94, v0
	v_lshl_or_b32 v0, v0, 4, v86
	ds_add_u32 v0, v87
	s_or_b64 exec, exec, s[16:17]
	v_cmp_lt_u32_e32 vcc, v6, v45
	s_and_saveexec_b64 s[16:17], vcc
	s_cbranch_execnz .LBB603_339
.LBB603_354:                            ;   in Loop: Header=BB603_310 Depth=2
	s_or_b64 exec, exec, s[16:17]
	v_cmp_lt_u32_e32 vcc, v8, v45
	s_and_saveexec_b64 s[16:17], vcc
	s_cbranch_execz .LBB603_340
.LBB603_355:                            ;   in Loop: Header=BB603_310 Depth=2
	v_xor_b32_e32 v0, 0x80000000, v38
	v_lshrrev_b32_e32 v0, s93, v0
	v_and_b32_e32 v0, s94, v0
	v_lshl_or_b32 v0, v0, 4, v86
	ds_add_u32 v0, v87
	s_or_b64 exec, exec, s[16:17]
	v_cmp_lt_u32_e32 vcc, v10, v45
	s_and_saveexec_b64 s[16:17], vcc
	s_cbranch_execnz .LBB603_341
.LBB603_356:                            ;   in Loop: Header=BB603_310 Depth=2
	s_or_b64 exec, exec, s[16:17]
	v_cmp_lt_u32_e32 vcc, v12, v45
	s_and_saveexec_b64 s[16:17], vcc
	s_cbranch_execz .LBB603_342
.LBB603_357:                            ;   in Loop: Header=BB603_310 Depth=2
	v_xor_b32_e32 v0, 0x80000000, v36
	v_lshrrev_b32_e32 v0, s93, v0
	v_and_b32_e32 v0, s94, v0
	v_lshl_or_b32 v0, v0, 4, v86
	ds_add_u32 v0, v87
	s_or_b64 exec, exec, s[16:17]
	v_cmp_lt_u32_e32 vcc, v14, v45
	s_and_saveexec_b64 s[16:17], vcc
	s_cbranch_execnz .LBB603_343
.LBB603_358:                            ;   in Loop: Header=BB603_310 Depth=2
	s_or_b64 exec, exec, s[16:17]
	v_cmp_lt_u32_e32 vcc, v16, v45
	s_and_saveexec_b64 s[16:17], vcc
	s_cbranch_execz .LBB603_344
.LBB603_359:                            ;   in Loop: Header=BB603_310 Depth=2
	v_xor_b32_e32 v0, 0x80000000, v34
	v_lshrrev_b32_e32 v0, s93, v0
	v_and_b32_e32 v0, s94, v0
	v_lshl_or_b32 v0, v0, 4, v86
	ds_add_u32 v0, v87
	s_or_b64 exec, exec, s[16:17]
	v_cmp_lt_u32_e32 vcc, v18, v45
	s_and_saveexec_b64 s[16:17], vcc
	s_cbranch_execnz .LBB603_345
.LBB603_360:                            ;   in Loop: Header=BB603_310 Depth=2
	s_or_b64 exec, exec, s[16:17]
	v_cmp_lt_u32_e32 vcc, v20, v45
	s_and_saveexec_b64 s[16:17], vcc
	s_cbranch_execz .LBB603_346
.LBB603_361:                            ;   in Loop: Header=BB603_310 Depth=2
	v_xor_b32_e32 v0, 0x80000000, v32
	v_lshrrev_b32_e32 v0, s93, v0
	v_and_b32_e32 v0, s94, v0
	v_lshl_or_b32 v0, v0, 4, v86
	ds_add_u32 v0, v87
	s_or_b64 exec, exec, s[16:17]
	v_cmp_lt_u32_e32 vcc, v22, v45
	s_and_saveexec_b64 s[16:17], vcc
	s_cbranch_execnz .LBB603_347
.LBB603_362:                            ;   in Loop: Header=BB603_310 Depth=2
	s_or_b64 exec, exec, s[16:17]
	v_cmp_lt_u32_e32 vcc, v24, v45
	s_and_saveexec_b64 s[16:17], vcc
	s_cbranch_execz .LBB603_348
.LBB603_363:                            ;   in Loop: Header=BB603_310 Depth=2
	v_xor_b32_e32 v0, 0x80000000, v30
	v_lshrrev_b32_e32 v0, s93, v0
	v_and_b32_e32 v0, s94, v0
	v_lshl_or_b32 v0, v0, 4, v86
	ds_add_u32 v0, v87
	s_or_b64 exec, exec, s[16:17]
	v_cmp_lt_u32_e32 vcc, v26, v45
	s_and_saveexec_b64 s[16:17], vcc
	s_cbranch_execnz .LBB603_349
.LBB603_364:                            ;   in Loop: Header=BB603_310 Depth=2
	s_or_b64 exec, exec, s[16:17]
	v_cmp_lt_u32_e32 vcc, v28, v45
	s_and_saveexec_b64 s[16:17], vcc
	s_cbranch_execz .LBB603_309
.LBB603_365:                            ;   in Loop: Header=BB603_310 Depth=2
	s_waitcnt vmcnt(0)
	v_xor_b32_e32 v0, 0x80000000, v44
	v_lshrrev_b32_e32 v0, s93, v0
	v_and_b32_e32 v0, s94, v0
	v_lshl_or_b32 v0, v0, 4, v86
	ds_add_u32 v0, v87
	s_branch .LBB603_309
.LBB603_366:                            ;   in Loop: Header=BB603_310 Depth=2
	s_or_b64 exec, exec, s[20:21]
	v_cmp_gt_u32_e32 vcc, s22, v7
	s_and_saveexec_b64 s[20:21], vcc
	s_cbranch_execz .LBB603_316
.LBB603_367:                            ;   in Loop: Header=BB603_310 Depth=2
	global_load_dword v42, v88, s[18:19] offset:1024
	s_or_b64 exec, exec, s[20:21]
	v_cmp_gt_u32_e32 vcc, s22, v9
	s_and_saveexec_b64 s[20:21], vcc
	s_cbranch_execnz .LBB603_317
.LBB603_368:                            ;   in Loop: Header=BB603_310 Depth=2
	s_or_b64 exec, exec, s[20:21]
	v_cmp_gt_u32_e32 vcc, s22, v11
	s_and_saveexec_b64 s[20:21], vcc
	s_cbranch_execz .LBB603_318
.LBB603_369:                            ;   in Loop: Header=BB603_310 Depth=2
	global_load_dword v40, v88, s[18:19] offset:3072
	s_or_b64 exec, exec, s[20:21]
	v_cmp_gt_u32_e32 vcc, s22, v6
	s_and_saveexec_b64 s[20:21], vcc
	s_cbranch_execnz .LBB603_319
.LBB603_370:                            ;   in Loop: Header=BB603_310 Depth=2
	s_or_b64 exec, exec, s[20:21]
	v_cmp_gt_u32_e32 vcc, s22, v8
	s_and_saveexec_b64 s[20:21], vcc
	s_cbranch_execz .LBB603_320
.LBB603_371:                            ;   in Loop: Header=BB603_310 Depth=2
	global_load_dword v38, v90, s[18:19]
	s_or_b64 exec, exec, s[20:21]
	v_cmp_gt_u32_e32 vcc, s22, v10
	s_and_saveexec_b64 s[20:21], vcc
	s_cbranch_execnz .LBB603_321
.LBB603_372:                            ;   in Loop: Header=BB603_310 Depth=2
	s_or_b64 exec, exec, s[20:21]
	v_cmp_gt_u32_e32 vcc, s22, v12
	s_and_saveexec_b64 s[20:21], vcc
	s_cbranch_execz .LBB603_322
.LBB603_373:                            ;   in Loop: Header=BB603_310 Depth=2
	global_load_dword v36, v92, s[18:19]
	s_or_b64 exec, exec, s[20:21]
	v_cmp_gt_u32_e32 vcc, s22, v14
	s_and_saveexec_b64 s[20:21], vcc
	s_cbranch_execnz .LBB603_323
.LBB603_374:                            ;   in Loop: Header=BB603_310 Depth=2
	s_or_b64 exec, exec, s[20:21]
	v_cmp_gt_u32_e32 vcc, s22, v16
	s_and_saveexec_b64 s[20:21], vcc
	s_cbranch_execz .LBB603_324
.LBB603_375:                            ;   in Loop: Header=BB603_310 Depth=2
	global_load_dword v34, v94, s[18:19]
	s_or_b64 exec, exec, s[20:21]
	v_cmp_gt_u32_e32 vcc, s22, v18
	s_and_saveexec_b64 s[20:21], vcc
	s_cbranch_execnz .LBB603_325
.LBB603_376:                            ;   in Loop: Header=BB603_310 Depth=2
	s_or_b64 exec, exec, s[20:21]
	v_cmp_gt_u32_e32 vcc, s22, v20
	s_and_saveexec_b64 s[20:21], vcc
	s_cbranch_execz .LBB603_326
.LBB603_377:                            ;   in Loop: Header=BB603_310 Depth=2
	global_load_dword v32, v96, s[18:19]
	s_or_b64 exec, exec, s[20:21]
	v_cmp_gt_u32_e32 vcc, s22, v22
	s_and_saveexec_b64 s[20:21], vcc
	s_cbranch_execnz .LBB603_327
.LBB603_378:                            ;   in Loop: Header=BB603_310 Depth=2
	s_or_b64 exec, exec, s[20:21]
	v_cmp_gt_u32_e32 vcc, s22, v24
	s_and_saveexec_b64 s[20:21], vcc
	s_cbranch_execz .LBB603_328
.LBB603_379:                            ;   in Loop: Header=BB603_310 Depth=2
	global_load_dword v30, v98, s[18:19]
	s_or_b64 exec, exec, s[20:21]
	v_cmp_gt_u32_e32 vcc, s22, v26
	s_and_saveexec_b64 s[20:21], vcc
	s_cbranch_execz .LBB603_330
	s_branch .LBB603_329
.LBB603_380:                            ;   in Loop: Header=BB603_12 Depth=1
	v_mov_b32_e32 v0, 0
	s_waitcnt lgkmcnt(0)
	s_barrier
	s_and_saveexec_b64 s[16:17], s[4:5]
	s_cbranch_execz .LBB603_382
; %bb.381:                              ;   in Loop: Header=BB603_12 Depth=1
	ds_read2_b64 v[30:33], v17 offset1:1
	s_waitcnt lgkmcnt(0)
	v_add_u32_e32 v0, v31, v30
	v_add3_u32 v0, v0, v32, v33
.LBB603_382:                            ;   in Loop: Header=BB603_12 Depth=1
	s_or_b64 exec, exec, s[16:17]
	s_nop 0
	v_mov_b32_dpp v1, v0 row_shr:1 row_mask:0xf bank_mask:0xf
	v_cmp_eq_u32_e64 s[16:17], 0, v102
	v_cndmask_b32_e64 v1, v1, 0, s[16:17]
	v_add_u32_e32 v0, v1, v0
	v_cmp_lt_u32_e64 s[18:19], 1, v102
	v_cmp_lt_u32_e64 s[20:21], 3, v102
	v_mov_b32_dpp v1, v0 row_shr:2 row_mask:0xf bank_mask:0xf
	v_cndmask_b32_e64 v1, 0, v1, s[18:19]
	v_add_u32_e32 v0, v0, v1
	v_cmp_lt_u32_e64 s[22:23], 7, v102
	v_cmp_lt_u32_e64 s[26:27], 31, v101
	v_mov_b32_dpp v1, v0 row_shr:4 row_mask:0xf bank_mask:0xf
	v_cndmask_b32_e64 v1, 0, v1, s[20:21]
	v_add_u32_e32 v0, v0, v1
	v_cmp_eq_u32_e64 s[24:25], 0, v104
	s_nop 0
	v_mov_b32_dpp v1, v0 row_shr:8 row_mask:0xf bank_mask:0xf
	v_cndmask_b32_e64 v1, 0, v1, s[22:23]
	v_add_u32_e32 v0, v0, v1
	s_nop 1
	v_mov_b32_dpp v1, v0 row_bcast:15 row_mask:0xf bank_mask:0xf
	v_and_b32_e32 v1, v103, v1
	v_add_u32_e32 v0, v0, v1
	s_nop 1
	v_mov_b32_dpp v1, v0 row_bcast:31 row_mask:0xf bank_mask:0xf
	v_cndmask_b32_e64 v1, 0, v1, s[26:27]
	v_add_u32_e32 v0, v0, v1
	s_and_saveexec_b64 s[28:29], s[6:7]
	s_cbranch_execz .LBB603_384
; %bb.383:                              ;   in Loop: Header=BB603_12 Depth=1
	ds_write_b32 v21, v0
.LBB603_384:                            ;   in Loop: Header=BB603_12 Depth=1
	s_or_b64 exec, exec, s[28:29]
	s_waitcnt lgkmcnt(0)
	s_barrier
	s_and_saveexec_b64 s[28:29], s[8:9]
	s_cbranch_execz .LBB603_386
; %bb.385:                              ;   in Loop: Header=BB603_12 Depth=1
	ds_read_b32 v1, v23
	v_cmp_ne_u32_e32 vcc, 0, v105
	s_waitcnt lgkmcnt(0)
	v_mov_b32_dpp v5, v1 row_shr:1 row_mask:0xf bank_mask:0xf
	v_cndmask_b32_e32 v5, 0, v5, vcc
	v_add_u32_e32 v1, v5, v1
	v_cmp_lt_u32_e32 vcc, 1, v105
	s_nop 0
	v_mov_b32_dpp v5, v1 row_shr:2 row_mask:0xf bank_mask:0xf
	v_cndmask_b32_e32 v5, 0, v5, vcc
	v_add_u32_e32 v1, v1, v5
	ds_write_b32 v23, v1
.LBB603_386:                            ;   in Loop: Header=BB603_12 Depth=1
	s_or_b64 exec, exec, s[28:29]
	v_mov_b32_e32 v1, 0
	s_waitcnt lgkmcnt(0)
	s_barrier
	s_and_saveexec_b64 s[28:29], s[10:11]
	s_cbranch_execz .LBB603_388
; %bb.387:                              ;   in Loop: Header=BB603_12 Depth=1
	ds_read_b32 v1, v25
.LBB603_388:                            ;   in Loop: Header=BB603_12 Depth=1
	s_or_b64 exec, exec, s[28:29]
	v_cmp_lt_i32_e32 vcc, v106, v107
	v_cndmask_b32_e32 v5, v106, v101, vcc
	s_waitcnt lgkmcnt(0)
	v_add_u32_e32 v0, v1, v0
	v_lshlrev_b32_e32 v127, 2, v5
	ds_bpermute_b32 v0, v127, v0
	v_cmp_eq_u32_e64 s[28:29], 0, v101
	s_waitcnt lgkmcnt(0)
	s_barrier
	s_and_saveexec_b64 s[30:31], s[4:5]
	s_cbranch_execz .LBB603_390
; %bb.389:                              ;   in Loop: Header=BB603_12 Depth=1
	v_cndmask_b32_e64 v0, v0, v1, s[28:29]
	v_add_u32_e32 v0, s69, v0
	ds_write_b32 v3, v0
.LBB603_390:                            ;   in Loop: Header=BB603_12 Depth=1
	s_or_b64 exec, exec, s[30:31]
	s_load_dwordx2 s[30:31], s[90:91], 0x0
	v_add_co_u32_e32 v128, vcc, v76, v108
	v_addc_co_u32_e32 v129, vcc, 0, v77, vcc
	s_waitcnt lgkmcnt(0)
	s_cmp_lt_u32 s68, s30
	s_cselect_b32 s34, 12, 18
	s_cmp_lt_u32 s33, s31
	s_cselect_b32 s30, 14, 20
	s_add_u32 s30, s90, s30
	s_addc_u32 s31, s91, 0
	s_add_u32 s34, s90, s34
	global_load_ushort v5, v4, s[30:31]
	s_addc_u32 s35, s91, 0
	global_load_ushort v60, v4, s[34:35]
	v_add_co_u32_e32 v130, vcc, v78, v125
	v_addc_co_u32_e32 v131, vcc, 0, v79, vcc
	v_add_co_u32_e32 v145, vcc, 0xf00, v130
	v_cmp_eq_u32_e64 s[30:31], 0, v105
	v_cmp_lt_u32_e64 s[34:35], 1, v105
	s_mov_b32 s95, s87
	v_addc_co_u32_e32 v148, vcc, 0, v131, vcc
	s_mov_b32 s88, s69
                                        ; implicit-def: $vgpr0_vgpr1
                                        ; implicit-def: $vgpr30_vgpr31
                                        ; implicit-def: $vgpr32_vgpr33
                                        ; implicit-def: $vgpr36_vgpr37
                                        ; implicit-def: $vgpr40_vgpr41
                                        ; implicit-def: $vgpr44_vgpr45
                                        ; implicit-def: $vgpr48_vgpr49
                                        ; implicit-def: $vgpr52_vgpr53
                                        ; implicit-def: $vgpr34_vgpr35
                                        ; implicit-def: $vgpr38_vgpr39
                                        ; implicit-def: $vgpr42_vgpr43
                                        ; implicit-def: $vgpr46_vgpr47
                                        ; implicit-def: $vgpr50_vgpr51
                                        ; implicit-def: $vgpr54_vgpr55
                                        ; implicit-def: $vgpr56_vgpr57
                                        ; implicit-def: $vgpr58_vgpr59
                                        ; implicit-def: $vgpr132
                                        ; implicit-def: $vgpr133
                                        ; implicit-def: $vgpr134
                                        ; implicit-def: $vgpr135
                                        ; implicit-def: $vgpr136
                                        ; implicit-def: $vgpr137
                                        ; implicit-def: $vgpr138
                                        ; implicit-def: $vgpr139
                                        ; implicit-def: $vgpr140
                                        ; implicit-def: $vgpr141
                                        ; implicit-def: $vgpr142
                                        ; implicit-def: $vgpr143
                                        ; implicit-def: $vgpr144
                                        ; implicit-def: $vgpr146
                                        ; implicit-def: $vgpr147
                                        ; implicit-def: $vgpr149
	s_waitcnt vmcnt(1)
	v_mad_u32_u24 v5, v27, v5, v29
	s_waitcnt vmcnt(0)
	v_mad_u64_u32 v[60:61], s[36:37], v5, v60, v[2:3]
	v_lshrrev_b32_e32 v150, 6, v60
	s_branch .LBB603_392
.LBB603_391:                            ;   in Loop: Header=BB603_392 Depth=2
	s_or_b64 exec, exec, s[36:37]
	s_addk_i32 s95, 0xf000
	s_cmp_lt_u32 s96, s92
	s_mov_b32 s88, s96
	s_cbranch_scc0 .LBB603_600
.LBB603_392:                            ;   Parent Loop BB603_12 Depth=1
                                        ; =>  This Inner Loop Header: Depth=2
	s_add_i32 s96, s88, 0x1000
	s_cmp_gt_u32 s96, s92
	s_cbranch_scc1 .LBB603_395
; %bb.393:                              ;   in Loop: Header=BB603_392 Depth=2
	s_lshl_b64 s[36:37], s[88:89], 2
	v_mov_b32_e32 v5, s37
	v_add_co_u32_e32 v60, vcc, s36, v130
	v_addc_co_u32_e32 v61, vcc, v131, v5, vcc
	global_load_dword v5, v[60:61], off
	global_load_dword v154, v[60:61], off offset:256
	global_load_dword v159, v[60:61], off offset:512
	;; [unrolled: 1-line block ×14, first 2 shown]
	s_mov_b64 s[36:37], -1
	s_movk_i32 s40, 0x1000
	s_cbranch_execz .LBB603_396
; %bb.394:                              ;   in Loop: Header=BB603_392 Depth=2
                                        ; implicit-def: $sgpr38
	v_mov_b32_e32 v63, s38
	v_mov_b32_e32 v151, s95
	s_and_saveexec_b64 s[38:39], s[36:37]
	s_cbranch_execnz .LBB603_427
	s_branch .LBB603_428
.LBB603_395:                            ;   in Loop: Header=BB603_392 Depth=2
	s_mov_b64 s[36:37], 0
                                        ; implicit-def: $sgpr40
                                        ; implicit-def: $vgpr5
                                        ; implicit-def: $vgpr154
                                        ; implicit-def: $vgpr159
                                        ; implicit-def: $vgpr164
                                        ; implicit-def: $vgpr169
                                        ; implicit-def: $vgpr174
                                        ; implicit-def: $vgpr179
                                        ; implicit-def: $vgpr184
                                        ; implicit-def: $vgpr182
                                        ; implicit-def: $vgpr177
                                        ; implicit-def: $vgpr173
                                        ; implicit-def: $vgpr168
                                        ; implicit-def: $vgpr163
                                        ; implicit-def: $vgpr158
                                        ; implicit-def: $vgpr62
.LBB603_396:                            ;   in Loop: Header=BB603_392 Depth=2
	s_lshl_b64 s[36:37], s[88:89], 2
	s_waitcnt vmcnt(14)
	v_mov_b32_e32 v5, s37
	v_add_co_u32_e32 v60, vcc, s36, v130
	v_addc_co_u32_e32 v61, vcc, v131, v5, vcc
	v_cmp_gt_u32_e32 vcc, s95, v109
	s_waitcnt vmcnt(13)
	v_bfrev_b32_e32 v154, -2
	v_bfrev_b32_e32 v5, -2
	s_and_saveexec_b64 s[36:37], vcc
	s_cbranch_execz .LBB603_398
; %bb.397:                              ;   in Loop: Header=BB603_392 Depth=2
	global_load_dword v5, v[60:61], off
.LBB603_398:                            ;   in Loop: Header=BB603_392 Depth=2
	s_or_b64 exec, exec, s[36:37]
	v_cmp_gt_u32_e32 vcc, s95, v110
	s_and_saveexec_b64 s[36:37], vcc
	s_cbranch_execz .LBB603_400
; %bb.399:                              ;   in Loop: Header=BB603_392 Depth=2
	global_load_dword v154, v[60:61], off offset:256
.LBB603_400:                            ;   in Loop: Header=BB603_392 Depth=2
	s_or_b64 exec, exec, s[36:37]
	v_cmp_gt_u32_e32 vcc, s95, v111
	s_waitcnt vmcnt(11)
	v_bfrev_b32_e32 v164, -2
	v_bfrev_b32_e32 v159, -2
	s_and_saveexec_b64 s[36:37], vcc
	s_cbranch_execz .LBB603_402
; %bb.401:                              ;   in Loop: Header=BB603_392 Depth=2
	global_load_dword v159, v[60:61], off offset:512
.LBB603_402:                            ;   in Loop: Header=BB603_392 Depth=2
	s_or_b64 exec, exec, s[36:37]
	v_cmp_gt_u32_e32 vcc, s95, v112
	s_and_saveexec_b64 s[36:37], vcc
	s_cbranch_execz .LBB603_404
; %bb.403:                              ;   in Loop: Header=BB603_392 Depth=2
	global_load_dword v164, v[60:61], off offset:768
.LBB603_404:                            ;   in Loop: Header=BB603_392 Depth=2
	s_or_b64 exec, exec, s[36:37]
	v_cmp_gt_u32_e32 vcc, s95, v113
	s_waitcnt vmcnt(9)
	v_bfrev_b32_e32 v174, -2
	v_bfrev_b32_e32 v169, -2
	s_and_saveexec_b64 s[36:37], vcc
	s_cbranch_execz .LBB603_406
; %bb.405:                              ;   in Loop: Header=BB603_392 Depth=2
	global_load_dword v169, v[60:61], off offset:1024
.LBB603_406:                            ;   in Loop: Header=BB603_392 Depth=2
	;; [unrolled: 17-line block ×6, first 2 shown]
	s_or_b64 exec, exec, s[36:37]
	v_cmp_gt_u32_e32 vcc, s95, v122
	s_and_saveexec_b64 s[36:37], vcc
	s_cbranch_execz .LBB603_424
; %bb.423:                              ;   in Loop: Header=BB603_392 Depth=2
	global_load_dword v158, v[60:61], off offset:3328
.LBB603_424:                            ;   in Loop: Header=BB603_392 Depth=2
	s_or_b64 exec, exec, s[36:37]
	v_cmp_gt_u32_e32 vcc, s95, v123
	s_waitcnt vmcnt(0)
	v_bfrev_b32_e32 v62, -2
	s_and_saveexec_b64 s[36:37], vcc
	s_cbranch_execz .LBB603_426
; %bb.425:                              ;   in Loop: Header=BB603_392 Depth=2
	global_load_dword v62, v[60:61], off offset:3584
.LBB603_426:                            ;   in Loop: Header=BB603_392 Depth=2
	s_or_b64 exec, exec, s[36:37]
	s_sub_i32 s40, s92, s88
	v_cmp_gt_u32_e64 s[36:37], s95, v124
	s_brev_b32 s38, -2
	v_mov_b32_e32 v63, s38
	v_mov_b32_e32 v151, s95
	s_and_saveexec_b64 s[38:39], s[36:37]
	s_cbranch_execz .LBB603_428
.LBB603_427:                            ;   in Loop: Header=BB603_392 Depth=2
	s_lshl_b64 s[36:37], s[88:89], 2
	v_mov_b32_e32 v61, s37
	v_add_co_u32_e32 v60, vcc, s36, v145
	v_addc_co_u32_e32 v61, vcc, v148, v61, vcc
	global_load_dword v63, v[60:61], off
	v_mov_b32_e32 v151, s40
.LBB603_428:                            ;   in Loop: Header=BB603_392 Depth=2
	s_or_b64 exec, exec, s[38:39]
	s_waitcnt vmcnt(14)
	v_xor_b32_e32 v152, 0x80000000, v5
	v_lshrrev_b32_e32 v5, s93, v152
	v_and_b32_e32 v60, s94, v5
	v_mad_u32_u24 v5, v60, 5, v150
	v_lshl_add_u32 v153, v5, 2, v65
	v_and_b32_e32 v5, 1, v60
	v_add_co_u32_e32 v61, vcc, -1, v5
	v_addc_co_u32_e64 v155, s[36:37], 0, -1, vcc
	v_cmp_ne_u32_e32 vcc, 0, v5
	v_xor_b32_e32 v5, vcc_hi, v155
	v_and_b32_e32 v155, exec_hi, v5
	v_lshlrev_b32_e32 v5, 30, v60
	v_xor_b32_e32 v61, vcc_lo, v61
	v_cmp_gt_i64_e32 vcc, 0, v[4:5]
	v_not_b32_e32 v5, v5
	v_ashrrev_i32_e32 v5, 31, v5
	v_and_b32_e32 v61, exec_lo, v61
	v_xor_b32_e32 v156, vcc_hi, v5
	v_xor_b32_e32 v5, vcc_lo, v5
	v_and_b32_e32 v61, v61, v5
	v_lshlrev_b32_e32 v5, 29, v60
	v_cmp_gt_i64_e32 vcc, 0, v[4:5]
	v_not_b32_e32 v5, v5
	v_ashrrev_i32_e32 v5, 31, v5
	v_and_b32_e32 v155, v155, v156
	v_xor_b32_e32 v156, vcc_hi, v5
	v_xor_b32_e32 v5, vcc_lo, v5
	v_and_b32_e32 v61, v61, v5
	v_lshlrev_b32_e32 v5, 28, v60
	v_cmp_gt_i64_e32 vcc, 0, v[4:5]
	v_not_b32_e32 v5, v5
	v_ashrrev_i32_e32 v5, 31, v5
	v_and_b32_e32 v155, v155, v156
	;; [unrolled: 8-line block ×5, first 2 shown]
	v_xor_b32_e32 v156, vcc_hi, v5
	v_xor_b32_e32 v5, vcc_lo, v5
	v_and_b32_e32 v155, v155, v156
	v_and_b32_e32 v156, v61, v5
	v_lshlrev_b32_e32 v5, 24, v60
	v_cmp_gt_i64_e32 vcc, 0, v[4:5]
	v_not_b32_e32 v5, v5
	v_ashrrev_i32_e32 v5, 31, v5
	v_xor_b32_e32 v60, vcc_hi, v5
	v_xor_b32_e32 v5, vcc_lo, v5
	v_and_b32_e32 v61, v155, v60
	v_and_b32_e32 v60, v156, v5
	v_mbcnt_lo_u32_b32 v5, v60, 0
	v_mbcnt_hi_u32_b32 v155, v61, v5
	v_cmp_eq_u32_e32 vcc, 0, v155
	v_cmp_ne_u64_e64 s[36:37], 0, v[60:61]
	s_and_b64 s[38:39], s[36:37], vcc
	ds_write2_b32 v126, v4, v4 offset1:1
	ds_write2_b32 v66, v4, v4 offset0:2 offset1:3
	ds_write_b32 v66, v4 offset:16
	s_waitcnt lgkmcnt(0)
	s_barrier
	s_waitcnt lgkmcnt(0)
	; wave barrier
	s_and_saveexec_b64 s[36:37], s[38:39]
	s_cbranch_execz .LBB603_430
; %bb.429:                              ;   in Loop: Header=BB603_392 Depth=2
	v_bcnt_u32_b32 v5, v60, 0
	v_bcnt_u32_b32 v5, v61, v5
	ds_write_b32 v153, v5
.LBB603_430:                            ;   in Loop: Header=BB603_392 Depth=2
	s_or_b64 exec, exec, s[36:37]
	s_waitcnt vmcnt(13)
	v_xor_b32_e32 v154, 0x80000000, v154
	v_lshrrev_b32_e32 v5, s93, v154
	v_and_b32_e32 v60, s94, v5
	v_mul_u32_u24_e32 v5, 5, v60
	v_add_lshl_u32 v5, v5, v150, 2
	; wave barrier
	v_add_u32_e32 v157, 0x410, v5
	ds_read_b32 v156, v5 offset:1040
	v_and_b32_e32 v5, 1, v60
	v_add_co_u32_e32 v61, vcc, -1, v5
	v_addc_co_u32_e64 v160, s[36:37], 0, -1, vcc
	v_cmp_ne_u32_e32 vcc, 0, v5
	v_xor_b32_e32 v5, vcc_hi, v160
	v_and_b32_e32 v160, exec_hi, v5
	v_lshlrev_b32_e32 v5, 30, v60
	v_xor_b32_e32 v61, vcc_lo, v61
	v_cmp_gt_i64_e32 vcc, 0, v[4:5]
	v_not_b32_e32 v5, v5
	v_ashrrev_i32_e32 v5, 31, v5
	v_and_b32_e32 v61, exec_lo, v61
	v_xor_b32_e32 v161, vcc_hi, v5
	v_xor_b32_e32 v5, vcc_lo, v5
	v_and_b32_e32 v61, v61, v5
	v_lshlrev_b32_e32 v5, 29, v60
	v_cmp_gt_i64_e32 vcc, 0, v[4:5]
	v_not_b32_e32 v5, v5
	v_ashrrev_i32_e32 v5, 31, v5
	v_and_b32_e32 v160, v160, v161
	v_xor_b32_e32 v161, vcc_hi, v5
	v_xor_b32_e32 v5, vcc_lo, v5
	v_and_b32_e32 v61, v61, v5
	v_lshlrev_b32_e32 v5, 28, v60
	v_cmp_gt_i64_e32 vcc, 0, v[4:5]
	v_not_b32_e32 v5, v5
	v_ashrrev_i32_e32 v5, 31, v5
	v_and_b32_e32 v160, v160, v161
	;; [unrolled: 8-line block ×5, first 2 shown]
	v_xor_b32_e32 v161, vcc_hi, v5
	v_xor_b32_e32 v5, vcc_lo, v5
	v_and_b32_e32 v160, v160, v161
	v_and_b32_e32 v161, v61, v5
	v_lshlrev_b32_e32 v5, 24, v60
	v_cmp_gt_i64_e32 vcc, 0, v[4:5]
	v_not_b32_e32 v5, v5
	v_ashrrev_i32_e32 v5, 31, v5
	v_xor_b32_e32 v60, vcc_hi, v5
	v_xor_b32_e32 v5, vcc_lo, v5
	v_and_b32_e32 v61, v160, v60
	v_and_b32_e32 v60, v161, v5
	v_mbcnt_lo_u32_b32 v5, v60, 0
	v_mbcnt_hi_u32_b32 v160, v61, v5
	v_cmp_eq_u32_e32 vcc, 0, v160
	v_cmp_ne_u64_e64 s[36:37], 0, v[60:61]
	s_and_b64 s[38:39], s[36:37], vcc
	; wave barrier
	s_and_saveexec_b64 s[36:37], s[38:39]
	s_cbranch_execz .LBB603_432
; %bb.431:                              ;   in Loop: Header=BB603_392 Depth=2
	v_bcnt_u32_b32 v5, v60, 0
	v_bcnt_u32_b32 v5, v61, v5
	s_waitcnt lgkmcnt(0)
	v_add_u32_e32 v5, v156, v5
	ds_write_b32 v157, v5
.LBB603_432:                            ;   in Loop: Header=BB603_392 Depth=2
	s_or_b64 exec, exec, s[36:37]
	s_waitcnt vmcnt(12)
	v_xor_b32_e32 v159, 0x80000000, v159
	v_lshrrev_b32_e32 v5, s93, v159
	v_and_b32_e32 v60, s94, v5
	v_mul_u32_u24_e32 v5, 5, v60
	v_add_lshl_u32 v5, v5, v150, 2
	; wave barrier
	v_add_u32_e32 v162, 0x410, v5
	ds_read_b32 v161, v5 offset:1040
	v_and_b32_e32 v5, 1, v60
	v_add_co_u32_e32 v61, vcc, -1, v5
	v_addc_co_u32_e64 v165, s[36:37], 0, -1, vcc
	v_cmp_ne_u32_e32 vcc, 0, v5
	v_xor_b32_e32 v5, vcc_hi, v165
	v_and_b32_e32 v165, exec_hi, v5
	v_lshlrev_b32_e32 v5, 30, v60
	v_xor_b32_e32 v61, vcc_lo, v61
	v_cmp_gt_i64_e32 vcc, 0, v[4:5]
	v_not_b32_e32 v5, v5
	v_ashrrev_i32_e32 v5, 31, v5
	v_and_b32_e32 v61, exec_lo, v61
	v_xor_b32_e32 v166, vcc_hi, v5
	v_xor_b32_e32 v5, vcc_lo, v5
	v_and_b32_e32 v61, v61, v5
	v_lshlrev_b32_e32 v5, 29, v60
	v_cmp_gt_i64_e32 vcc, 0, v[4:5]
	v_not_b32_e32 v5, v5
	v_ashrrev_i32_e32 v5, 31, v5
	v_and_b32_e32 v165, v165, v166
	v_xor_b32_e32 v166, vcc_hi, v5
	v_xor_b32_e32 v5, vcc_lo, v5
	v_and_b32_e32 v61, v61, v5
	v_lshlrev_b32_e32 v5, 28, v60
	v_cmp_gt_i64_e32 vcc, 0, v[4:5]
	v_not_b32_e32 v5, v5
	v_ashrrev_i32_e32 v5, 31, v5
	v_and_b32_e32 v165, v165, v166
	;; [unrolled: 8-line block ×5, first 2 shown]
	v_xor_b32_e32 v166, vcc_hi, v5
	v_xor_b32_e32 v5, vcc_lo, v5
	v_and_b32_e32 v165, v165, v166
	v_and_b32_e32 v166, v61, v5
	v_lshlrev_b32_e32 v5, 24, v60
	v_cmp_gt_i64_e32 vcc, 0, v[4:5]
	v_not_b32_e32 v5, v5
	v_ashrrev_i32_e32 v5, 31, v5
	v_xor_b32_e32 v60, vcc_hi, v5
	v_xor_b32_e32 v5, vcc_lo, v5
	v_and_b32_e32 v61, v165, v60
	v_and_b32_e32 v60, v166, v5
	v_mbcnt_lo_u32_b32 v5, v60, 0
	v_mbcnt_hi_u32_b32 v165, v61, v5
	v_cmp_eq_u32_e32 vcc, 0, v165
	v_cmp_ne_u64_e64 s[36:37], 0, v[60:61]
	s_and_b64 s[38:39], s[36:37], vcc
	; wave barrier
	s_and_saveexec_b64 s[36:37], s[38:39]
	s_cbranch_execz .LBB603_434
; %bb.433:                              ;   in Loop: Header=BB603_392 Depth=2
	v_bcnt_u32_b32 v5, v60, 0
	v_bcnt_u32_b32 v5, v61, v5
	s_waitcnt lgkmcnt(0)
	v_add_u32_e32 v5, v161, v5
	ds_write_b32 v162, v5
.LBB603_434:                            ;   in Loop: Header=BB603_392 Depth=2
	s_or_b64 exec, exec, s[36:37]
	s_waitcnt vmcnt(11)
	v_xor_b32_e32 v164, 0x80000000, v164
	v_lshrrev_b32_e32 v5, s93, v164
	v_and_b32_e32 v60, s94, v5
	v_mul_u32_u24_e32 v5, 5, v60
	v_add_lshl_u32 v5, v5, v150, 2
	; wave barrier
	v_add_u32_e32 v167, 0x410, v5
	ds_read_b32 v166, v5 offset:1040
	v_and_b32_e32 v5, 1, v60
	v_add_co_u32_e32 v61, vcc, -1, v5
	v_addc_co_u32_e64 v170, s[36:37], 0, -1, vcc
	v_cmp_ne_u32_e32 vcc, 0, v5
	v_xor_b32_e32 v5, vcc_hi, v170
	v_and_b32_e32 v170, exec_hi, v5
	v_lshlrev_b32_e32 v5, 30, v60
	v_xor_b32_e32 v61, vcc_lo, v61
	v_cmp_gt_i64_e32 vcc, 0, v[4:5]
	v_not_b32_e32 v5, v5
	v_ashrrev_i32_e32 v5, 31, v5
	v_and_b32_e32 v61, exec_lo, v61
	v_xor_b32_e32 v171, vcc_hi, v5
	v_xor_b32_e32 v5, vcc_lo, v5
	v_and_b32_e32 v61, v61, v5
	v_lshlrev_b32_e32 v5, 29, v60
	v_cmp_gt_i64_e32 vcc, 0, v[4:5]
	v_not_b32_e32 v5, v5
	v_ashrrev_i32_e32 v5, 31, v5
	v_and_b32_e32 v170, v170, v171
	v_xor_b32_e32 v171, vcc_hi, v5
	v_xor_b32_e32 v5, vcc_lo, v5
	v_and_b32_e32 v61, v61, v5
	v_lshlrev_b32_e32 v5, 28, v60
	v_cmp_gt_i64_e32 vcc, 0, v[4:5]
	v_not_b32_e32 v5, v5
	v_ashrrev_i32_e32 v5, 31, v5
	v_and_b32_e32 v170, v170, v171
	;; [unrolled: 8-line block ×5, first 2 shown]
	v_xor_b32_e32 v171, vcc_hi, v5
	v_xor_b32_e32 v5, vcc_lo, v5
	v_and_b32_e32 v170, v170, v171
	v_and_b32_e32 v171, v61, v5
	v_lshlrev_b32_e32 v5, 24, v60
	v_cmp_gt_i64_e32 vcc, 0, v[4:5]
	v_not_b32_e32 v5, v5
	v_ashrrev_i32_e32 v5, 31, v5
	v_xor_b32_e32 v60, vcc_hi, v5
	v_xor_b32_e32 v5, vcc_lo, v5
	v_and_b32_e32 v61, v170, v60
	v_and_b32_e32 v60, v171, v5
	v_mbcnt_lo_u32_b32 v5, v60, 0
	v_mbcnt_hi_u32_b32 v170, v61, v5
	v_cmp_eq_u32_e32 vcc, 0, v170
	v_cmp_ne_u64_e64 s[36:37], 0, v[60:61]
	s_and_b64 s[38:39], s[36:37], vcc
	; wave barrier
	s_and_saveexec_b64 s[36:37], s[38:39]
	s_cbranch_execz .LBB603_436
; %bb.435:                              ;   in Loop: Header=BB603_392 Depth=2
	v_bcnt_u32_b32 v5, v60, 0
	v_bcnt_u32_b32 v5, v61, v5
	s_waitcnt lgkmcnt(0)
	v_add_u32_e32 v5, v166, v5
	ds_write_b32 v167, v5
.LBB603_436:                            ;   in Loop: Header=BB603_392 Depth=2
	s_or_b64 exec, exec, s[36:37]
	s_waitcnt vmcnt(10)
	v_xor_b32_e32 v169, 0x80000000, v169
	v_lshrrev_b32_e32 v5, s93, v169
	v_and_b32_e32 v60, s94, v5
	v_mul_u32_u24_e32 v5, 5, v60
	v_add_lshl_u32 v5, v5, v150, 2
	; wave barrier
	v_add_u32_e32 v172, 0x410, v5
	ds_read_b32 v171, v5 offset:1040
	v_and_b32_e32 v5, 1, v60
	v_add_co_u32_e32 v61, vcc, -1, v5
	v_addc_co_u32_e64 v175, s[36:37], 0, -1, vcc
	v_cmp_ne_u32_e32 vcc, 0, v5
	v_xor_b32_e32 v5, vcc_hi, v175
	v_and_b32_e32 v175, exec_hi, v5
	v_lshlrev_b32_e32 v5, 30, v60
	v_xor_b32_e32 v61, vcc_lo, v61
	v_cmp_gt_i64_e32 vcc, 0, v[4:5]
	v_not_b32_e32 v5, v5
	v_ashrrev_i32_e32 v5, 31, v5
	v_and_b32_e32 v61, exec_lo, v61
	v_xor_b32_e32 v176, vcc_hi, v5
	v_xor_b32_e32 v5, vcc_lo, v5
	v_and_b32_e32 v61, v61, v5
	v_lshlrev_b32_e32 v5, 29, v60
	v_cmp_gt_i64_e32 vcc, 0, v[4:5]
	v_not_b32_e32 v5, v5
	v_ashrrev_i32_e32 v5, 31, v5
	v_and_b32_e32 v175, v175, v176
	v_xor_b32_e32 v176, vcc_hi, v5
	v_xor_b32_e32 v5, vcc_lo, v5
	v_and_b32_e32 v61, v61, v5
	v_lshlrev_b32_e32 v5, 28, v60
	v_cmp_gt_i64_e32 vcc, 0, v[4:5]
	v_not_b32_e32 v5, v5
	v_ashrrev_i32_e32 v5, 31, v5
	v_and_b32_e32 v175, v175, v176
	;; [unrolled: 8-line block ×5, first 2 shown]
	v_xor_b32_e32 v176, vcc_hi, v5
	v_xor_b32_e32 v5, vcc_lo, v5
	v_and_b32_e32 v175, v175, v176
	v_and_b32_e32 v176, v61, v5
	v_lshlrev_b32_e32 v5, 24, v60
	v_cmp_gt_i64_e32 vcc, 0, v[4:5]
	v_not_b32_e32 v5, v5
	v_ashrrev_i32_e32 v5, 31, v5
	v_xor_b32_e32 v60, vcc_hi, v5
	v_xor_b32_e32 v5, vcc_lo, v5
	v_and_b32_e32 v61, v175, v60
	v_and_b32_e32 v60, v176, v5
	v_mbcnt_lo_u32_b32 v5, v60, 0
	v_mbcnt_hi_u32_b32 v175, v61, v5
	v_cmp_eq_u32_e32 vcc, 0, v175
	v_cmp_ne_u64_e64 s[36:37], 0, v[60:61]
	s_and_b64 s[38:39], s[36:37], vcc
	; wave barrier
	s_and_saveexec_b64 s[36:37], s[38:39]
	s_cbranch_execz .LBB603_438
; %bb.437:                              ;   in Loop: Header=BB603_392 Depth=2
	v_bcnt_u32_b32 v5, v60, 0
	v_bcnt_u32_b32 v5, v61, v5
	s_waitcnt lgkmcnt(0)
	v_add_u32_e32 v5, v171, v5
	ds_write_b32 v172, v5
.LBB603_438:                            ;   in Loop: Header=BB603_392 Depth=2
	s_or_b64 exec, exec, s[36:37]
	s_waitcnt vmcnt(9)
	v_xor_b32_e32 v174, 0x80000000, v174
	v_lshrrev_b32_e32 v5, s93, v174
	v_and_b32_e32 v60, s94, v5
	v_mul_u32_u24_e32 v5, 5, v60
	v_add_lshl_u32 v5, v5, v150, 2
	; wave barrier
	v_add_u32_e32 v178, 0x410, v5
	ds_read_b32 v176, v5 offset:1040
	v_and_b32_e32 v5, 1, v60
	v_add_co_u32_e32 v61, vcc, -1, v5
	v_addc_co_u32_e64 v180, s[36:37], 0, -1, vcc
	v_cmp_ne_u32_e32 vcc, 0, v5
	v_xor_b32_e32 v5, vcc_hi, v180
	v_and_b32_e32 v180, exec_hi, v5
	v_lshlrev_b32_e32 v5, 30, v60
	v_xor_b32_e32 v61, vcc_lo, v61
	v_cmp_gt_i64_e32 vcc, 0, v[4:5]
	v_not_b32_e32 v5, v5
	v_ashrrev_i32_e32 v5, 31, v5
	v_and_b32_e32 v61, exec_lo, v61
	v_xor_b32_e32 v181, vcc_hi, v5
	v_xor_b32_e32 v5, vcc_lo, v5
	v_and_b32_e32 v61, v61, v5
	v_lshlrev_b32_e32 v5, 29, v60
	v_cmp_gt_i64_e32 vcc, 0, v[4:5]
	v_not_b32_e32 v5, v5
	v_ashrrev_i32_e32 v5, 31, v5
	v_and_b32_e32 v180, v180, v181
	v_xor_b32_e32 v181, vcc_hi, v5
	v_xor_b32_e32 v5, vcc_lo, v5
	v_and_b32_e32 v61, v61, v5
	v_lshlrev_b32_e32 v5, 28, v60
	v_cmp_gt_i64_e32 vcc, 0, v[4:5]
	v_not_b32_e32 v5, v5
	v_ashrrev_i32_e32 v5, 31, v5
	v_and_b32_e32 v180, v180, v181
	;; [unrolled: 8-line block ×5, first 2 shown]
	v_xor_b32_e32 v181, vcc_hi, v5
	v_xor_b32_e32 v5, vcc_lo, v5
	v_and_b32_e32 v180, v180, v181
	v_and_b32_e32 v181, v61, v5
	v_lshlrev_b32_e32 v5, 24, v60
	v_cmp_gt_i64_e32 vcc, 0, v[4:5]
	v_not_b32_e32 v5, v5
	v_ashrrev_i32_e32 v5, 31, v5
	v_xor_b32_e32 v60, vcc_hi, v5
	v_xor_b32_e32 v5, vcc_lo, v5
	v_and_b32_e32 v61, v180, v60
	v_and_b32_e32 v60, v181, v5
	v_mbcnt_lo_u32_b32 v5, v60, 0
	v_mbcnt_hi_u32_b32 v180, v61, v5
	v_cmp_eq_u32_e32 vcc, 0, v180
	v_cmp_ne_u64_e64 s[36:37], 0, v[60:61]
	s_and_b64 s[38:39], s[36:37], vcc
	; wave barrier
	s_and_saveexec_b64 s[36:37], s[38:39]
	s_cbranch_execz .LBB603_440
; %bb.439:                              ;   in Loop: Header=BB603_392 Depth=2
	v_bcnt_u32_b32 v5, v60, 0
	v_bcnt_u32_b32 v5, v61, v5
	s_waitcnt lgkmcnt(0)
	v_add_u32_e32 v5, v176, v5
	ds_write_b32 v178, v5
.LBB603_440:                            ;   in Loop: Header=BB603_392 Depth=2
	s_or_b64 exec, exec, s[36:37]
	s_waitcnt vmcnt(8)
	v_xor_b32_e32 v179, 0x80000000, v179
	v_lshrrev_b32_e32 v5, s93, v179
	v_and_b32_e32 v60, s94, v5
	v_mul_u32_u24_e32 v5, 5, v60
	v_add_lshl_u32 v5, v5, v150, 2
	; wave barrier
	v_add_u32_e32 v183, 0x410, v5
	ds_read_b32 v181, v5 offset:1040
	v_and_b32_e32 v5, 1, v60
	v_add_co_u32_e32 v61, vcc, -1, v5
	v_addc_co_u32_e64 v185, s[36:37], 0, -1, vcc
	v_cmp_ne_u32_e32 vcc, 0, v5
	v_xor_b32_e32 v5, vcc_hi, v185
	v_and_b32_e32 v185, exec_hi, v5
	v_lshlrev_b32_e32 v5, 30, v60
	v_xor_b32_e32 v61, vcc_lo, v61
	v_cmp_gt_i64_e32 vcc, 0, v[4:5]
	v_not_b32_e32 v5, v5
	v_ashrrev_i32_e32 v5, 31, v5
	v_and_b32_e32 v61, exec_lo, v61
	v_xor_b32_e32 v186, vcc_hi, v5
	v_xor_b32_e32 v5, vcc_lo, v5
	v_and_b32_e32 v61, v61, v5
	v_lshlrev_b32_e32 v5, 29, v60
	v_cmp_gt_i64_e32 vcc, 0, v[4:5]
	v_not_b32_e32 v5, v5
	v_ashrrev_i32_e32 v5, 31, v5
	v_and_b32_e32 v185, v185, v186
	v_xor_b32_e32 v186, vcc_hi, v5
	v_xor_b32_e32 v5, vcc_lo, v5
	v_and_b32_e32 v61, v61, v5
	v_lshlrev_b32_e32 v5, 28, v60
	v_cmp_gt_i64_e32 vcc, 0, v[4:5]
	v_not_b32_e32 v5, v5
	v_ashrrev_i32_e32 v5, 31, v5
	v_and_b32_e32 v185, v185, v186
	;; [unrolled: 8-line block ×5, first 2 shown]
	v_xor_b32_e32 v186, vcc_hi, v5
	v_xor_b32_e32 v5, vcc_lo, v5
	v_and_b32_e32 v185, v185, v186
	v_and_b32_e32 v186, v61, v5
	v_lshlrev_b32_e32 v5, 24, v60
	v_cmp_gt_i64_e32 vcc, 0, v[4:5]
	v_not_b32_e32 v5, v5
	v_ashrrev_i32_e32 v5, 31, v5
	v_xor_b32_e32 v60, vcc_hi, v5
	v_xor_b32_e32 v5, vcc_lo, v5
	v_and_b32_e32 v61, v185, v60
	v_and_b32_e32 v60, v186, v5
	v_mbcnt_lo_u32_b32 v5, v60, 0
	v_mbcnt_hi_u32_b32 v185, v61, v5
	v_cmp_eq_u32_e32 vcc, 0, v185
	v_cmp_ne_u64_e64 s[36:37], 0, v[60:61]
	s_and_b64 s[38:39], s[36:37], vcc
	; wave barrier
	s_and_saveexec_b64 s[36:37], s[38:39]
	s_cbranch_execz .LBB603_442
; %bb.441:                              ;   in Loop: Header=BB603_392 Depth=2
	v_bcnt_u32_b32 v5, v60, 0
	v_bcnt_u32_b32 v5, v61, v5
	s_waitcnt lgkmcnt(0)
	v_add_u32_e32 v5, v181, v5
	ds_write_b32 v183, v5
.LBB603_442:                            ;   in Loop: Header=BB603_392 Depth=2
	s_or_b64 exec, exec, s[36:37]
	s_waitcnt vmcnt(7)
	v_xor_b32_e32 v184, 0x80000000, v184
	v_lshrrev_b32_e32 v5, s93, v184
	v_and_b32_e32 v60, s94, v5
	v_mul_u32_u24_e32 v5, 5, v60
	v_add_lshl_u32 v5, v5, v150, 2
	; wave barrier
	v_add_u32_e32 v187, 0x410, v5
	ds_read_b32 v186, v5 offset:1040
	v_and_b32_e32 v5, 1, v60
	v_add_co_u32_e32 v61, vcc, -1, v5
	v_addc_co_u32_e64 v188, s[36:37], 0, -1, vcc
	v_cmp_ne_u32_e32 vcc, 0, v5
	v_xor_b32_e32 v5, vcc_hi, v188
	v_and_b32_e32 v188, exec_hi, v5
	v_lshlrev_b32_e32 v5, 30, v60
	v_xor_b32_e32 v61, vcc_lo, v61
	v_cmp_gt_i64_e32 vcc, 0, v[4:5]
	v_not_b32_e32 v5, v5
	v_ashrrev_i32_e32 v5, 31, v5
	v_and_b32_e32 v61, exec_lo, v61
	v_xor_b32_e32 v189, vcc_hi, v5
	v_xor_b32_e32 v5, vcc_lo, v5
	v_and_b32_e32 v61, v61, v5
	v_lshlrev_b32_e32 v5, 29, v60
	v_cmp_gt_i64_e32 vcc, 0, v[4:5]
	v_not_b32_e32 v5, v5
	v_ashrrev_i32_e32 v5, 31, v5
	v_and_b32_e32 v188, v188, v189
	v_xor_b32_e32 v189, vcc_hi, v5
	v_xor_b32_e32 v5, vcc_lo, v5
	v_and_b32_e32 v61, v61, v5
	v_lshlrev_b32_e32 v5, 28, v60
	v_cmp_gt_i64_e32 vcc, 0, v[4:5]
	v_not_b32_e32 v5, v5
	v_ashrrev_i32_e32 v5, 31, v5
	v_and_b32_e32 v188, v188, v189
	v_xor_b32_e32 v189, vcc_hi, v5
	v_xor_b32_e32 v5, vcc_lo, v5
	v_and_b32_e32 v61, v61, v5
	v_lshlrev_b32_e32 v5, 27, v60
	v_cmp_gt_i64_e32 vcc, 0, v[4:5]
	v_not_b32_e32 v5, v5
	v_ashrrev_i32_e32 v5, 31, v5
	v_and_b32_e32 v188, v188, v189
	v_xor_b32_e32 v189, vcc_hi, v5
	v_xor_b32_e32 v5, vcc_lo, v5
	v_and_b32_e32 v61, v61, v5
	v_lshlrev_b32_e32 v5, 26, v60
	v_cmp_gt_i64_e32 vcc, 0, v[4:5]
	v_not_b32_e32 v5, v5
	v_ashrrev_i32_e32 v5, 31, v5
	v_and_b32_e32 v188, v188, v189
	v_xor_b32_e32 v189, vcc_hi, v5
	v_xor_b32_e32 v5, vcc_lo, v5
	v_and_b32_e32 v61, v61, v5
	v_lshlrev_b32_e32 v5, 25, v60
	v_cmp_gt_i64_e32 vcc, 0, v[4:5]
	v_not_b32_e32 v5, v5
	v_ashrrev_i32_e32 v5, 31, v5
	v_and_b32_e32 v188, v188, v189
	v_xor_b32_e32 v189, vcc_hi, v5
	v_xor_b32_e32 v5, vcc_lo, v5
	v_and_b32_e32 v188, v188, v189
	v_and_b32_e32 v189, v61, v5
	v_lshlrev_b32_e32 v5, 24, v60
	v_cmp_gt_i64_e32 vcc, 0, v[4:5]
	v_not_b32_e32 v5, v5
	v_ashrrev_i32_e32 v5, 31, v5
	v_xor_b32_e32 v60, vcc_hi, v5
	v_xor_b32_e32 v5, vcc_lo, v5
	v_and_b32_e32 v61, v188, v60
	v_and_b32_e32 v60, v189, v5
	v_mbcnt_lo_u32_b32 v5, v60, 0
	v_mbcnt_hi_u32_b32 v188, v61, v5
	v_cmp_eq_u32_e32 vcc, 0, v188
	v_cmp_ne_u64_e64 s[36:37], 0, v[60:61]
	s_and_b64 s[38:39], s[36:37], vcc
	; wave barrier
	s_and_saveexec_b64 s[36:37], s[38:39]
	s_cbranch_execz .LBB603_444
; %bb.443:                              ;   in Loop: Header=BB603_392 Depth=2
	v_bcnt_u32_b32 v5, v60, 0
	v_bcnt_u32_b32 v5, v61, v5
	s_waitcnt lgkmcnt(0)
	v_add_u32_e32 v5, v186, v5
	ds_write_b32 v187, v5
.LBB603_444:                            ;   in Loop: Header=BB603_392 Depth=2
	s_or_b64 exec, exec, s[36:37]
	s_waitcnt vmcnt(6)
	v_xor_b32_e32 v182, 0x80000000, v182
	v_lshrrev_b32_e32 v5, s93, v182
	v_and_b32_e32 v60, s94, v5
	v_mul_u32_u24_e32 v5, 5, v60
	v_add_lshl_u32 v5, v5, v150, 2
	; wave barrier
	v_add_u32_e32 v190, 0x410, v5
	ds_read_b32 v189, v5 offset:1040
	v_and_b32_e32 v5, 1, v60
	v_add_co_u32_e32 v61, vcc, -1, v5
	v_addc_co_u32_e64 v191, s[36:37], 0, -1, vcc
	v_cmp_ne_u32_e32 vcc, 0, v5
	v_xor_b32_e32 v5, vcc_hi, v191
	v_and_b32_e32 v191, exec_hi, v5
	v_lshlrev_b32_e32 v5, 30, v60
	v_xor_b32_e32 v61, vcc_lo, v61
	v_cmp_gt_i64_e32 vcc, 0, v[4:5]
	v_not_b32_e32 v5, v5
	v_ashrrev_i32_e32 v5, 31, v5
	v_and_b32_e32 v61, exec_lo, v61
	v_xor_b32_e32 v192, vcc_hi, v5
	v_xor_b32_e32 v5, vcc_lo, v5
	v_and_b32_e32 v61, v61, v5
	v_lshlrev_b32_e32 v5, 29, v60
	v_cmp_gt_i64_e32 vcc, 0, v[4:5]
	v_not_b32_e32 v5, v5
	v_ashrrev_i32_e32 v5, 31, v5
	v_and_b32_e32 v191, v191, v192
	v_xor_b32_e32 v192, vcc_hi, v5
	v_xor_b32_e32 v5, vcc_lo, v5
	v_and_b32_e32 v61, v61, v5
	v_lshlrev_b32_e32 v5, 28, v60
	v_cmp_gt_i64_e32 vcc, 0, v[4:5]
	v_not_b32_e32 v5, v5
	v_ashrrev_i32_e32 v5, 31, v5
	v_and_b32_e32 v191, v191, v192
	;; [unrolled: 8-line block ×5, first 2 shown]
	v_xor_b32_e32 v192, vcc_hi, v5
	v_xor_b32_e32 v5, vcc_lo, v5
	v_and_b32_e32 v191, v191, v192
	v_and_b32_e32 v192, v61, v5
	v_lshlrev_b32_e32 v5, 24, v60
	v_cmp_gt_i64_e32 vcc, 0, v[4:5]
	v_not_b32_e32 v5, v5
	v_ashrrev_i32_e32 v5, 31, v5
	v_xor_b32_e32 v60, vcc_hi, v5
	v_xor_b32_e32 v5, vcc_lo, v5
	v_and_b32_e32 v61, v191, v60
	v_and_b32_e32 v60, v192, v5
	v_mbcnt_lo_u32_b32 v5, v60, 0
	v_mbcnt_hi_u32_b32 v191, v61, v5
	v_cmp_eq_u32_e32 vcc, 0, v191
	v_cmp_ne_u64_e64 s[36:37], 0, v[60:61]
	s_and_b64 s[38:39], s[36:37], vcc
	; wave barrier
	s_and_saveexec_b64 s[36:37], s[38:39]
	s_cbranch_execz .LBB603_446
; %bb.445:                              ;   in Loop: Header=BB603_392 Depth=2
	v_bcnt_u32_b32 v5, v60, 0
	v_bcnt_u32_b32 v5, v61, v5
	s_waitcnt lgkmcnt(0)
	v_add_u32_e32 v5, v189, v5
	ds_write_b32 v190, v5
.LBB603_446:                            ;   in Loop: Header=BB603_392 Depth=2
	s_or_b64 exec, exec, s[36:37]
	s_waitcnt vmcnt(5)
	v_xor_b32_e32 v177, 0x80000000, v177
	v_lshrrev_b32_e32 v5, s93, v177
	v_and_b32_e32 v60, s94, v5
	v_mul_u32_u24_e32 v5, 5, v60
	v_add_lshl_u32 v5, v5, v150, 2
	; wave barrier
	v_add_u32_e32 v193, 0x410, v5
	ds_read_b32 v192, v5 offset:1040
	v_and_b32_e32 v5, 1, v60
	v_add_co_u32_e32 v61, vcc, -1, v5
	v_addc_co_u32_e64 v194, s[36:37], 0, -1, vcc
	v_cmp_ne_u32_e32 vcc, 0, v5
	v_xor_b32_e32 v5, vcc_hi, v194
	v_and_b32_e32 v194, exec_hi, v5
	v_lshlrev_b32_e32 v5, 30, v60
	v_xor_b32_e32 v61, vcc_lo, v61
	v_cmp_gt_i64_e32 vcc, 0, v[4:5]
	v_not_b32_e32 v5, v5
	v_ashrrev_i32_e32 v5, 31, v5
	v_and_b32_e32 v61, exec_lo, v61
	v_xor_b32_e32 v195, vcc_hi, v5
	v_xor_b32_e32 v5, vcc_lo, v5
	v_and_b32_e32 v61, v61, v5
	v_lshlrev_b32_e32 v5, 29, v60
	v_cmp_gt_i64_e32 vcc, 0, v[4:5]
	v_not_b32_e32 v5, v5
	v_ashrrev_i32_e32 v5, 31, v5
	v_and_b32_e32 v194, v194, v195
	v_xor_b32_e32 v195, vcc_hi, v5
	v_xor_b32_e32 v5, vcc_lo, v5
	v_and_b32_e32 v61, v61, v5
	v_lshlrev_b32_e32 v5, 28, v60
	v_cmp_gt_i64_e32 vcc, 0, v[4:5]
	v_not_b32_e32 v5, v5
	v_ashrrev_i32_e32 v5, 31, v5
	v_and_b32_e32 v194, v194, v195
	;; [unrolled: 8-line block ×5, first 2 shown]
	v_xor_b32_e32 v195, vcc_hi, v5
	v_xor_b32_e32 v5, vcc_lo, v5
	v_and_b32_e32 v194, v194, v195
	v_and_b32_e32 v195, v61, v5
	v_lshlrev_b32_e32 v5, 24, v60
	v_cmp_gt_i64_e32 vcc, 0, v[4:5]
	v_not_b32_e32 v5, v5
	v_ashrrev_i32_e32 v5, 31, v5
	v_xor_b32_e32 v60, vcc_hi, v5
	v_xor_b32_e32 v5, vcc_lo, v5
	v_and_b32_e32 v61, v194, v60
	v_and_b32_e32 v60, v195, v5
	v_mbcnt_lo_u32_b32 v5, v60, 0
	v_mbcnt_hi_u32_b32 v194, v61, v5
	v_cmp_eq_u32_e32 vcc, 0, v194
	v_cmp_ne_u64_e64 s[36:37], 0, v[60:61]
	s_and_b64 s[38:39], s[36:37], vcc
	; wave barrier
	s_and_saveexec_b64 s[36:37], s[38:39]
	s_cbranch_execz .LBB603_448
; %bb.447:                              ;   in Loop: Header=BB603_392 Depth=2
	v_bcnt_u32_b32 v5, v60, 0
	v_bcnt_u32_b32 v5, v61, v5
	s_waitcnt lgkmcnt(0)
	v_add_u32_e32 v5, v192, v5
	ds_write_b32 v193, v5
.LBB603_448:                            ;   in Loop: Header=BB603_392 Depth=2
	s_or_b64 exec, exec, s[36:37]
	s_waitcnt vmcnt(4)
	v_xor_b32_e32 v173, 0x80000000, v173
	v_lshrrev_b32_e32 v5, s93, v173
	v_and_b32_e32 v60, s94, v5
	v_mul_u32_u24_e32 v5, 5, v60
	v_add_lshl_u32 v5, v5, v150, 2
	; wave barrier
	v_add_u32_e32 v196, 0x410, v5
	ds_read_b32 v195, v5 offset:1040
	v_and_b32_e32 v5, 1, v60
	v_add_co_u32_e32 v61, vcc, -1, v5
	v_addc_co_u32_e64 v197, s[36:37], 0, -1, vcc
	v_cmp_ne_u32_e32 vcc, 0, v5
	v_xor_b32_e32 v5, vcc_hi, v197
	v_and_b32_e32 v197, exec_hi, v5
	v_lshlrev_b32_e32 v5, 30, v60
	v_xor_b32_e32 v61, vcc_lo, v61
	v_cmp_gt_i64_e32 vcc, 0, v[4:5]
	v_not_b32_e32 v5, v5
	v_ashrrev_i32_e32 v5, 31, v5
	v_and_b32_e32 v61, exec_lo, v61
	v_xor_b32_e32 v198, vcc_hi, v5
	v_xor_b32_e32 v5, vcc_lo, v5
	v_and_b32_e32 v61, v61, v5
	v_lshlrev_b32_e32 v5, 29, v60
	v_cmp_gt_i64_e32 vcc, 0, v[4:5]
	v_not_b32_e32 v5, v5
	v_ashrrev_i32_e32 v5, 31, v5
	v_and_b32_e32 v197, v197, v198
	v_xor_b32_e32 v198, vcc_hi, v5
	v_xor_b32_e32 v5, vcc_lo, v5
	v_and_b32_e32 v61, v61, v5
	v_lshlrev_b32_e32 v5, 28, v60
	v_cmp_gt_i64_e32 vcc, 0, v[4:5]
	v_not_b32_e32 v5, v5
	v_ashrrev_i32_e32 v5, 31, v5
	v_and_b32_e32 v197, v197, v198
	;; [unrolled: 8-line block ×5, first 2 shown]
	v_xor_b32_e32 v198, vcc_hi, v5
	v_xor_b32_e32 v5, vcc_lo, v5
	v_and_b32_e32 v197, v197, v198
	v_and_b32_e32 v198, v61, v5
	v_lshlrev_b32_e32 v5, 24, v60
	v_cmp_gt_i64_e32 vcc, 0, v[4:5]
	v_not_b32_e32 v5, v5
	v_ashrrev_i32_e32 v5, 31, v5
	v_xor_b32_e32 v60, vcc_hi, v5
	v_xor_b32_e32 v5, vcc_lo, v5
	v_and_b32_e32 v61, v197, v60
	v_and_b32_e32 v60, v198, v5
	v_mbcnt_lo_u32_b32 v5, v60, 0
	v_mbcnt_hi_u32_b32 v198, v61, v5
	v_cmp_eq_u32_e32 vcc, 0, v198
	v_cmp_ne_u64_e64 s[36:37], 0, v[60:61]
	s_and_b64 s[38:39], s[36:37], vcc
	; wave barrier
	s_and_saveexec_b64 s[36:37], s[38:39]
	s_cbranch_execz .LBB603_450
; %bb.449:                              ;   in Loop: Header=BB603_392 Depth=2
	v_bcnt_u32_b32 v5, v60, 0
	v_bcnt_u32_b32 v5, v61, v5
	s_waitcnt lgkmcnt(0)
	v_add_u32_e32 v5, v195, v5
	ds_write_b32 v196, v5
.LBB603_450:                            ;   in Loop: Header=BB603_392 Depth=2
	s_or_b64 exec, exec, s[36:37]
	s_waitcnt vmcnt(3)
	v_xor_b32_e32 v197, 0x80000000, v168
	v_lshrrev_b32_e32 v5, s93, v197
	v_and_b32_e32 v60, s94, v5
	v_mul_u32_u24_e32 v5, 5, v60
	v_add_lshl_u32 v5, v5, v150, 2
	; wave barrier
	v_add_u32_e32 v168, 0x410, v5
	ds_read_b32 v199, v5 offset:1040
	v_and_b32_e32 v5, 1, v60
	v_add_co_u32_e32 v61, vcc, -1, v5
	v_addc_co_u32_e64 v200, s[36:37], 0, -1, vcc
	v_cmp_ne_u32_e32 vcc, 0, v5
	v_xor_b32_e32 v5, vcc_hi, v200
	v_and_b32_e32 v200, exec_hi, v5
	v_lshlrev_b32_e32 v5, 30, v60
	v_xor_b32_e32 v61, vcc_lo, v61
	v_cmp_gt_i64_e32 vcc, 0, v[4:5]
	v_not_b32_e32 v5, v5
	v_ashrrev_i32_e32 v5, 31, v5
	v_and_b32_e32 v61, exec_lo, v61
	v_xor_b32_e32 v201, vcc_hi, v5
	v_xor_b32_e32 v5, vcc_lo, v5
	v_and_b32_e32 v61, v61, v5
	v_lshlrev_b32_e32 v5, 29, v60
	v_cmp_gt_i64_e32 vcc, 0, v[4:5]
	v_not_b32_e32 v5, v5
	v_ashrrev_i32_e32 v5, 31, v5
	v_and_b32_e32 v200, v200, v201
	v_xor_b32_e32 v201, vcc_hi, v5
	v_xor_b32_e32 v5, vcc_lo, v5
	v_and_b32_e32 v61, v61, v5
	v_lshlrev_b32_e32 v5, 28, v60
	v_cmp_gt_i64_e32 vcc, 0, v[4:5]
	v_not_b32_e32 v5, v5
	v_ashrrev_i32_e32 v5, 31, v5
	v_and_b32_e32 v200, v200, v201
	;; [unrolled: 8-line block ×5, first 2 shown]
	v_xor_b32_e32 v201, vcc_hi, v5
	v_xor_b32_e32 v5, vcc_lo, v5
	v_and_b32_e32 v200, v200, v201
	v_and_b32_e32 v201, v61, v5
	v_lshlrev_b32_e32 v5, 24, v60
	v_cmp_gt_i64_e32 vcc, 0, v[4:5]
	v_not_b32_e32 v5, v5
	v_ashrrev_i32_e32 v5, 31, v5
	v_xor_b32_e32 v60, vcc_hi, v5
	v_xor_b32_e32 v5, vcc_lo, v5
	v_and_b32_e32 v61, v200, v60
	v_and_b32_e32 v60, v201, v5
	v_mbcnt_lo_u32_b32 v5, v60, 0
	v_mbcnt_hi_u32_b32 v201, v61, v5
	v_cmp_eq_u32_e32 vcc, 0, v201
	v_cmp_ne_u64_e64 s[36:37], 0, v[60:61]
	s_and_b64 s[38:39], s[36:37], vcc
	; wave barrier
	s_and_saveexec_b64 s[36:37], s[38:39]
	s_cbranch_execz .LBB603_452
; %bb.451:                              ;   in Loop: Header=BB603_392 Depth=2
	v_bcnt_u32_b32 v5, v60, 0
	v_bcnt_u32_b32 v5, v61, v5
	s_waitcnt lgkmcnt(0)
	v_add_u32_e32 v5, v199, v5
	ds_write_b32 v168, v5
.LBB603_452:                            ;   in Loop: Header=BB603_392 Depth=2
	s_or_b64 exec, exec, s[36:37]
	s_waitcnt vmcnt(2)
	v_xor_b32_e32 v200, 0x80000000, v163
	v_lshrrev_b32_e32 v5, s93, v200
	v_and_b32_e32 v60, s94, v5
	v_mul_u32_u24_e32 v5, 5, v60
	v_add_lshl_u32 v5, v5, v150, 2
	; wave barrier
	v_add_u32_e32 v163, 0x410, v5
	ds_read_b32 v202, v5 offset:1040
	v_and_b32_e32 v5, 1, v60
	v_add_co_u32_e32 v61, vcc, -1, v5
	v_addc_co_u32_e64 v203, s[36:37], 0, -1, vcc
	v_cmp_ne_u32_e32 vcc, 0, v5
	v_xor_b32_e32 v5, vcc_hi, v203
	v_and_b32_e32 v203, exec_hi, v5
	v_lshlrev_b32_e32 v5, 30, v60
	v_xor_b32_e32 v61, vcc_lo, v61
	v_cmp_gt_i64_e32 vcc, 0, v[4:5]
	v_not_b32_e32 v5, v5
	v_ashrrev_i32_e32 v5, 31, v5
	v_and_b32_e32 v61, exec_lo, v61
	v_xor_b32_e32 v204, vcc_hi, v5
	v_xor_b32_e32 v5, vcc_lo, v5
	v_and_b32_e32 v61, v61, v5
	v_lshlrev_b32_e32 v5, 29, v60
	v_cmp_gt_i64_e32 vcc, 0, v[4:5]
	v_not_b32_e32 v5, v5
	v_ashrrev_i32_e32 v5, 31, v5
	v_and_b32_e32 v203, v203, v204
	v_xor_b32_e32 v204, vcc_hi, v5
	v_xor_b32_e32 v5, vcc_lo, v5
	v_and_b32_e32 v61, v61, v5
	v_lshlrev_b32_e32 v5, 28, v60
	v_cmp_gt_i64_e32 vcc, 0, v[4:5]
	v_not_b32_e32 v5, v5
	v_ashrrev_i32_e32 v5, 31, v5
	v_and_b32_e32 v203, v203, v204
	;; [unrolled: 8-line block ×5, first 2 shown]
	v_xor_b32_e32 v204, vcc_hi, v5
	v_xor_b32_e32 v5, vcc_lo, v5
	v_and_b32_e32 v203, v203, v204
	v_and_b32_e32 v204, v61, v5
	v_lshlrev_b32_e32 v5, 24, v60
	v_cmp_gt_i64_e32 vcc, 0, v[4:5]
	v_not_b32_e32 v5, v5
	v_ashrrev_i32_e32 v5, 31, v5
	v_xor_b32_e32 v60, vcc_hi, v5
	v_xor_b32_e32 v5, vcc_lo, v5
	v_and_b32_e32 v61, v203, v60
	v_and_b32_e32 v60, v204, v5
	v_mbcnt_lo_u32_b32 v5, v60, 0
	v_mbcnt_hi_u32_b32 v204, v61, v5
	v_cmp_eq_u32_e32 vcc, 0, v204
	v_cmp_ne_u64_e64 s[36:37], 0, v[60:61]
	s_and_b64 s[38:39], s[36:37], vcc
	; wave barrier
	s_and_saveexec_b64 s[36:37], s[38:39]
	s_cbranch_execz .LBB603_454
; %bb.453:                              ;   in Loop: Header=BB603_392 Depth=2
	v_bcnt_u32_b32 v5, v60, 0
	v_bcnt_u32_b32 v5, v61, v5
	s_waitcnt lgkmcnt(0)
	v_add_u32_e32 v5, v202, v5
	ds_write_b32 v163, v5
.LBB603_454:                            ;   in Loop: Header=BB603_392 Depth=2
	s_or_b64 exec, exec, s[36:37]
	s_waitcnt vmcnt(1)
	v_xor_b32_e32 v203, 0x80000000, v158
	v_lshrrev_b32_e32 v5, s93, v203
	v_and_b32_e32 v60, s94, v5
	v_mul_u32_u24_e32 v5, 5, v60
	v_add_lshl_u32 v5, v5, v150, 2
	; wave barrier
	v_add_u32_e32 v158, 0x410, v5
	ds_read_b32 v205, v5 offset:1040
	v_and_b32_e32 v5, 1, v60
	v_add_co_u32_e32 v61, vcc, -1, v5
	v_addc_co_u32_e64 v206, s[36:37], 0, -1, vcc
	v_cmp_ne_u32_e32 vcc, 0, v5
	v_xor_b32_e32 v5, vcc_hi, v206
	v_and_b32_e32 v206, exec_hi, v5
	v_lshlrev_b32_e32 v5, 30, v60
	v_xor_b32_e32 v61, vcc_lo, v61
	v_cmp_gt_i64_e32 vcc, 0, v[4:5]
	v_not_b32_e32 v5, v5
	v_ashrrev_i32_e32 v5, 31, v5
	v_and_b32_e32 v61, exec_lo, v61
	v_xor_b32_e32 v207, vcc_hi, v5
	v_xor_b32_e32 v5, vcc_lo, v5
	v_and_b32_e32 v61, v61, v5
	v_lshlrev_b32_e32 v5, 29, v60
	v_cmp_gt_i64_e32 vcc, 0, v[4:5]
	v_not_b32_e32 v5, v5
	v_ashrrev_i32_e32 v5, 31, v5
	v_and_b32_e32 v206, v206, v207
	v_xor_b32_e32 v207, vcc_hi, v5
	v_xor_b32_e32 v5, vcc_lo, v5
	v_and_b32_e32 v61, v61, v5
	v_lshlrev_b32_e32 v5, 28, v60
	v_cmp_gt_i64_e32 vcc, 0, v[4:5]
	v_not_b32_e32 v5, v5
	v_ashrrev_i32_e32 v5, 31, v5
	v_and_b32_e32 v206, v206, v207
	;; [unrolled: 8-line block ×5, first 2 shown]
	v_xor_b32_e32 v207, vcc_hi, v5
	v_xor_b32_e32 v5, vcc_lo, v5
	v_and_b32_e32 v206, v206, v207
	v_and_b32_e32 v207, v61, v5
	v_lshlrev_b32_e32 v5, 24, v60
	v_cmp_gt_i64_e32 vcc, 0, v[4:5]
	v_not_b32_e32 v5, v5
	v_ashrrev_i32_e32 v5, 31, v5
	v_xor_b32_e32 v60, vcc_hi, v5
	v_xor_b32_e32 v5, vcc_lo, v5
	v_and_b32_e32 v61, v206, v60
	v_and_b32_e32 v60, v207, v5
	v_mbcnt_lo_u32_b32 v5, v60, 0
	v_mbcnt_hi_u32_b32 v207, v61, v5
	v_cmp_eq_u32_e32 vcc, 0, v207
	v_cmp_ne_u64_e64 s[36:37], 0, v[60:61]
	s_and_b64 s[38:39], s[36:37], vcc
	; wave barrier
	s_and_saveexec_b64 s[36:37], s[38:39]
	s_cbranch_execz .LBB603_456
; %bb.455:                              ;   in Loop: Header=BB603_392 Depth=2
	v_bcnt_u32_b32 v5, v60, 0
	v_bcnt_u32_b32 v5, v61, v5
	s_waitcnt lgkmcnt(0)
	v_add_u32_e32 v5, v205, v5
	ds_write_b32 v158, v5
.LBB603_456:                            ;   in Loop: Header=BB603_392 Depth=2
	s_or_b64 exec, exec, s[36:37]
	s_waitcnt vmcnt(0)
	v_xor_b32_e32 v206, 0x80000000, v62
	v_lshrrev_b32_e32 v5, s93, v206
	v_and_b32_e32 v60, s94, v5
	v_mul_u32_u24_e32 v5, 5, v60
	v_add_lshl_u32 v5, v5, v150, 2
	; wave barrier
	v_add_u32_e32 v209, 0x410, v5
	ds_read_b32 v208, v5 offset:1040
	v_and_b32_e32 v5, 1, v60
	v_add_co_u32_e32 v61, vcc, -1, v5
	v_addc_co_u32_e64 v62, s[36:37], 0, -1, vcc
	v_cmp_ne_u32_e32 vcc, 0, v5
	v_xor_b32_e32 v5, vcc_hi, v62
	v_and_b32_e32 v62, exec_hi, v5
	v_lshlrev_b32_e32 v5, 30, v60
	v_xor_b32_e32 v61, vcc_lo, v61
	v_cmp_gt_i64_e32 vcc, 0, v[4:5]
	v_not_b32_e32 v5, v5
	v_ashrrev_i32_e32 v5, 31, v5
	v_and_b32_e32 v61, exec_lo, v61
	v_xor_b32_e32 v210, vcc_hi, v5
	v_xor_b32_e32 v5, vcc_lo, v5
	v_and_b32_e32 v61, v61, v5
	v_lshlrev_b32_e32 v5, 29, v60
	v_cmp_gt_i64_e32 vcc, 0, v[4:5]
	v_not_b32_e32 v5, v5
	v_ashrrev_i32_e32 v5, 31, v5
	v_and_b32_e32 v62, v62, v210
	v_xor_b32_e32 v210, vcc_hi, v5
	v_xor_b32_e32 v5, vcc_lo, v5
	v_and_b32_e32 v61, v61, v5
	v_lshlrev_b32_e32 v5, 28, v60
	v_cmp_gt_i64_e32 vcc, 0, v[4:5]
	v_not_b32_e32 v5, v5
	v_ashrrev_i32_e32 v5, 31, v5
	v_and_b32_e32 v62, v62, v210
	;; [unrolled: 8-line block ×5, first 2 shown]
	v_xor_b32_e32 v210, vcc_hi, v5
	v_xor_b32_e32 v5, vcc_lo, v5
	v_and_b32_e32 v62, v62, v210
	v_and_b32_e32 v210, v61, v5
	v_lshlrev_b32_e32 v5, 24, v60
	v_cmp_gt_i64_e32 vcc, 0, v[4:5]
	v_not_b32_e32 v5, v5
	v_ashrrev_i32_e32 v5, 31, v5
	v_xor_b32_e32 v60, vcc_hi, v5
	v_xor_b32_e32 v5, vcc_lo, v5
	v_and_b32_e32 v61, v62, v60
	v_and_b32_e32 v60, v210, v5
	v_mbcnt_lo_u32_b32 v5, v60, 0
	v_mbcnt_hi_u32_b32 v211, v61, v5
	v_cmp_eq_u32_e32 vcc, 0, v211
	v_cmp_ne_u64_e64 s[36:37], 0, v[60:61]
	s_and_b64 s[38:39], s[36:37], vcc
	; wave barrier
	s_and_saveexec_b64 s[36:37], s[38:39]
	s_cbranch_execz .LBB603_458
; %bb.457:                              ;   in Loop: Header=BB603_392 Depth=2
	v_bcnt_u32_b32 v5, v60, 0
	v_bcnt_u32_b32 v5, v61, v5
	s_waitcnt lgkmcnt(0)
	v_add_u32_e32 v5, v208, v5
	ds_write_b32 v209, v5
.LBB603_458:                            ;   in Loop: Header=BB603_392 Depth=2
	s_or_b64 exec, exec, s[36:37]
	v_xor_b32_e32 v210, 0x80000000, v63
	v_lshrrev_b32_e32 v5, s93, v210
	v_and_b32_e32 v60, s94, v5
	v_mul_u32_u24_e32 v5, 5, v60
	v_add_lshl_u32 v5, v5, v150, 2
	; wave barrier
	v_add_u32_e32 v213, 0x410, v5
	ds_read_b32 v212, v5 offset:1040
	v_and_b32_e32 v5, 1, v60
	v_add_co_u32_e32 v61, vcc, -1, v5
	v_addc_co_u32_e64 v62, s[36:37], 0, -1, vcc
	v_cmp_ne_u32_e32 vcc, 0, v5
	v_xor_b32_e32 v5, vcc_hi, v62
	v_and_b32_e32 v62, exec_hi, v5
	v_lshlrev_b32_e32 v5, 30, v60
	v_xor_b32_e32 v61, vcc_lo, v61
	v_cmp_gt_i64_e32 vcc, 0, v[4:5]
	v_not_b32_e32 v5, v5
	v_ashrrev_i32_e32 v5, 31, v5
	v_and_b32_e32 v61, exec_lo, v61
	v_xor_b32_e32 v63, vcc_hi, v5
	v_xor_b32_e32 v5, vcc_lo, v5
	v_and_b32_e32 v61, v61, v5
	v_lshlrev_b32_e32 v5, 29, v60
	v_cmp_gt_i64_e32 vcc, 0, v[4:5]
	v_not_b32_e32 v5, v5
	v_ashrrev_i32_e32 v5, 31, v5
	v_and_b32_e32 v62, v62, v63
	v_xor_b32_e32 v63, vcc_hi, v5
	v_xor_b32_e32 v5, vcc_lo, v5
	v_and_b32_e32 v61, v61, v5
	v_lshlrev_b32_e32 v5, 28, v60
	v_cmp_gt_i64_e32 vcc, 0, v[4:5]
	v_not_b32_e32 v5, v5
	v_ashrrev_i32_e32 v5, 31, v5
	v_and_b32_e32 v62, v62, v63
	;; [unrolled: 8-line block ×5, first 2 shown]
	v_xor_b32_e32 v63, vcc_hi, v5
	v_xor_b32_e32 v5, vcc_lo, v5
	v_and_b32_e32 v62, v62, v63
	v_and_b32_e32 v63, v61, v5
	v_lshlrev_b32_e32 v5, 24, v60
	v_cmp_gt_i64_e32 vcc, 0, v[4:5]
	v_not_b32_e32 v5, v5
	v_ashrrev_i32_e32 v5, 31, v5
	v_xor_b32_e32 v60, vcc_hi, v5
	v_xor_b32_e32 v5, vcc_lo, v5
	v_and_b32_e32 v61, v62, v60
	v_and_b32_e32 v60, v63, v5
	v_mbcnt_lo_u32_b32 v5, v60, 0
	v_mbcnt_hi_u32_b32 v214, v61, v5
	v_cmp_eq_u32_e32 vcc, 0, v214
	v_cmp_ne_u64_e64 s[36:37], 0, v[60:61]
	s_and_b64 s[38:39], s[36:37], vcc
	; wave barrier
	s_and_saveexec_b64 s[36:37], s[38:39]
	s_cbranch_execz .LBB603_460
; %bb.459:                              ;   in Loop: Header=BB603_392 Depth=2
	v_bcnt_u32_b32 v5, v60, 0
	v_bcnt_u32_b32 v5, v61, v5
	s_waitcnt lgkmcnt(0)
	v_add_u32_e32 v5, v212, v5
	ds_write_b32 v213, v5
.LBB603_460:                            ;   in Loop: Header=BB603_392 Depth=2
	s_or_b64 exec, exec, s[36:37]
	; wave barrier
	s_waitcnt lgkmcnt(0)
	s_barrier
	ds_read_b32 v5, v64 offset:1040
	ds_read2_b32 v[62:63], v66 offset0:1 offset1:2
	ds_read2_b32 v[60:61], v66 offset0:3 offset1:4
	s_waitcnt lgkmcnt(1)
	v_add3_u32 v215, v62, v5, v63
	s_waitcnt lgkmcnt(0)
	v_add3_u32 v61, v215, v60, v61
	s_nop 1
	v_mov_b32_dpp v215, v61 row_shr:1 row_mask:0xf bank_mask:0xf
	v_cndmask_b32_e64 v215, v215, 0, s[16:17]
	v_add_u32_e32 v61, v215, v61
	s_nop 1
	v_mov_b32_dpp v215, v61 row_shr:2 row_mask:0xf bank_mask:0xf
	v_cndmask_b32_e64 v215, 0, v215, s[18:19]
	v_add_u32_e32 v61, v61, v215
	;; [unrolled: 4-line block ×4, first 2 shown]
	s_nop 1
	v_mov_b32_dpp v215, v61 row_bcast:15 row_mask:0xf bank_mask:0xf
	v_cndmask_b32_e64 v215, v215, 0, s[24:25]
	v_add_u32_e32 v61, v61, v215
	s_nop 1
	v_mov_b32_dpp v215, v61 row_bcast:31 row_mask:0xf bank_mask:0xf
	v_cndmask_b32_e64 v215, 0, v215, s[26:27]
	v_add_u32_e32 v61, v61, v215
	s_and_saveexec_b64 s[36:37], s[6:7]
	s_cbranch_execz .LBB603_462
; %bb.461:                              ;   in Loop: Header=BB603_392 Depth=2
	ds_write_b32 v19, v61 offset:1024
.LBB603_462:                            ;   in Loop: Header=BB603_392 Depth=2
	s_or_b64 exec, exec, s[36:37]
	s_waitcnt lgkmcnt(0)
	s_barrier
	s_and_saveexec_b64 s[36:37], s[8:9]
	s_cbranch_execz .LBB603_464
; %bb.463:                              ;   in Loop: Header=BB603_392 Depth=2
	v_add_u32_e32 v215, v64, v67
	ds_read_b32 v216, v215 offset:1024
	s_waitcnt lgkmcnt(0)
	s_nop 0
	v_mov_b32_dpp v217, v216 row_shr:1 row_mask:0xf bank_mask:0xf
	v_cndmask_b32_e64 v217, v217, 0, s[30:31]
	v_add_u32_e32 v216, v217, v216
	s_nop 1
	v_mov_b32_dpp v217, v216 row_shr:2 row_mask:0xf bank_mask:0xf
	v_cndmask_b32_e64 v217, 0, v217, s[34:35]
	v_add_u32_e32 v216, v216, v217
	ds_write_b32 v215, v216 offset:1024
.LBB603_464:                            ;   in Loop: Header=BB603_392 Depth=2
	s_or_b64 exec, exec, s[36:37]
	v_mov_b32_e32 v215, 0
	s_waitcnt lgkmcnt(0)
	s_barrier
	s_and_saveexec_b64 s[36:37], s[10:11]
	s_cbranch_execz .LBB603_466
; %bb.465:                              ;   in Loop: Header=BB603_392 Depth=2
	ds_read_b32 v215, v19 offset:1020
.LBB603_466:                            ;   in Loop: Header=BB603_392 Depth=2
	s_or_b64 exec, exec, s[36:37]
	s_waitcnt lgkmcnt(0)
	v_add_u32_e32 v61, v215, v61
	ds_bpermute_b32 v61, v127, v61
	s_waitcnt lgkmcnt(0)
	v_cndmask_b32_e64 v61, v61, v215, s[28:29]
	v_cndmask_b32_e64 v61, v61, 0, s[12:13]
	v_add_u32_e32 v5, v61, v5
	ds_write_b32 v64, v61 offset:1040
	v_add_u32_e32 v61, v5, v62
	v_add_u32_e32 v62, v61, v63
	ds_write2_b32 v66, v5, v61 offset0:1 offset1:2
	v_add_u32_e32 v5, v62, v60
	ds_write2_b32 v66, v62, v5 offset0:3 offset1:4
	s_waitcnt lgkmcnt(0)
	s_barrier
	ds_read_b32 v60, v157
	ds_read_b32 v61, v162
	;; [unrolled: 1-line block ×16, first 2 shown]
	ds_read_b32 v158, v64 offset:1040
	v_mov_b32_e32 v5, 0x1000
	s_and_saveexec_b64 s[36:37], s[14:15]
	s_cbranch_execz .LBB603_468
; %bb.467:                              ;   in Loop: Header=BB603_392 Depth=2
	ds_read_b32 v5, v64 offset:1060
.LBB603_468:                            ;   in Loop: Header=BB603_392 Depth=2
	s_or_b64 exec, exec, s[36:37]
	s_waitcnt lgkmcnt(0)
	s_barrier
	s_and_saveexec_b64 s[36:37], s[4:5]
	s_cbranch_execz .LBB603_470
; %bb.469:                              ;   in Loop: Header=BB603_392 Depth=2
	ds_read_b32 v163, v3
	s_waitcnt lgkmcnt(0)
	v_sub_u32_e32 v158, v163, v158
	ds_write_b32 v3, v158
.LBB603_470:                            ;   in Loop: Header=BB603_392 Depth=2
	s_or_b64 exec, exec, s[36:37]
	v_add_u32_e32 v172, v153, v155
	v_add3_u32 v168, v160, v156, v60
	v_lshlrev_b32_e32 v60, 2, v172
	v_add3_u32 v167, v165, v161, v61
	ds_write_b32 v60, v152 offset:1024
	v_lshlrev_b32_e32 v60, 2, v168
	v_add3_u32 v166, v170, v166, v62
	ds_write_b32 v60, v154 offset:1024
	;; [unrolled: 3-line block ×14, first 2 shown]
	v_lshlrev_b32_e32 v60, 2, v63
	ds_write_b32 v60, v206 offset:1024
	v_lshlrev_b32_e32 v60, 2, v62
	v_cmp_lt_u32_e64 s[36:37], v2, v151
	ds_write_b32 v60, v210 offset:1024
	s_waitcnt lgkmcnt(0)
	s_barrier
	s_and_saveexec_b64 s[38:39], s[36:37]
	s_cbranch_execz .LBB603_486
; %bb.471:                              ;   in Loop: Header=BB603_392 Depth=2
	v_add_u32_e32 v60, v64, v67
	ds_read_b32 v60, v60 offset:1024
	v_mov_b32_e32 v154, s77
	s_waitcnt lgkmcnt(0)
	v_lshrrev_b32_e32 v61, s93, v60
	v_and_b32_e32 v61, s94, v61
	v_lshlrev_b32_e32 v61, 2, v61
	ds_read_b32 v152, v61
	v_mov_b32_e32 v61, v4
	v_xor_b32_e32 v159, 0x80000000, v60
	s_waitcnt lgkmcnt(0)
	v_add_u32_e32 v60, v152, v2
	v_lshlrev_b64 v[60:61], 2, v[60:61]
	v_add_co_u32_e32 v60, vcc, s76, v60
	v_addc_co_u32_e32 v61, vcc, v154, v61, vcc
	global_store_dword v[60:61], v159, off
	s_or_b64 exec, exec, s[38:39]
	v_cmp_lt_u32_e64 s[38:39], v7, v151
	s_and_saveexec_b64 s[40:41], s[38:39]
	s_cbranch_execnz .LBB603_487
.LBB603_472:                            ;   in Loop: Header=BB603_392 Depth=2
	s_or_b64 exec, exec, s[40:41]
	v_cmp_lt_u32_e64 s[40:41], v9, v151
	s_and_saveexec_b64 s[42:43], s[40:41]
	s_cbranch_execz .LBB603_488
.LBB603_473:                            ;   in Loop: Header=BB603_392 Depth=2
	ds_read_b32 v60, v72 offset:2048
	v_mov_b32_e32 v154, s77
	s_waitcnt lgkmcnt(0)
	v_lshrrev_b32_e32 v61, s93, v60
	v_and_b32_e32 v61, s94, v61
	v_lshlrev_b32_e32 v61, 2, v61
	ds_read_b32 v152, v61
	v_mov_b32_e32 v61, v4
	v_xor_b32_e32 v159, 0x80000000, v60
	s_waitcnt lgkmcnt(0)
	v_add_u32_e32 v60, v152, v9
	v_lshlrev_b64 v[60:61], 2, v[60:61]
	v_add_co_u32_e32 v60, vcc, s76, v60
	v_addc_co_u32_e32 v61, vcc, v154, v61, vcc
	global_store_dword v[60:61], v159, off
	s_or_b64 exec, exec, s[42:43]
	v_cmp_lt_u32_e64 s[42:43], v11, v151
	s_and_saveexec_b64 s[44:45], s[42:43]
	s_cbranch_execnz .LBB603_489
.LBB603_474:                            ;   in Loop: Header=BB603_392 Depth=2
	s_or_b64 exec, exec, s[44:45]
	v_cmp_lt_u32_e64 s[44:45], v6, v151
	s_and_saveexec_b64 s[46:47], s[44:45]
	s_cbranch_execz .LBB603_490
.LBB603_475:                            ;   in Loop: Header=BB603_392 Depth=2
	ds_read_b32 v60, v72 offset:4096
	v_mov_b32_e32 v154, s77
	s_waitcnt lgkmcnt(0)
	v_lshrrev_b32_e32 v61, s93, v60
	v_and_b32_e32 v61, s94, v61
	v_lshlrev_b32_e32 v61, 2, v61
	ds_read_b32 v152, v61
	v_mov_b32_e32 v61, v4
	v_xor_b32_e32 v159, 0x80000000, v60
	s_waitcnt lgkmcnt(0)
	v_add_u32_e32 v60, v152, v6
	v_lshlrev_b64 v[60:61], 2, v[60:61]
	v_add_co_u32_e32 v60, vcc, s76, v60
	v_addc_co_u32_e32 v61, vcc, v154, v61, vcc
	global_store_dword v[60:61], v159, off
	s_or_b64 exec, exec, s[46:47]
	v_cmp_lt_u32_e64 s[46:47], v8, v151
	s_and_saveexec_b64 s[48:49], s[46:47]
	s_cbranch_execnz .LBB603_491
.LBB603_476:                            ;   in Loop: Header=BB603_392 Depth=2
	s_or_b64 exec, exec, s[48:49]
	v_cmp_lt_u32_e64 s[48:49], v10, v151
	s_and_saveexec_b64 s[50:51], s[48:49]
	s_cbranch_execz .LBB603_492
.LBB603_477:                            ;   in Loop: Header=BB603_392 Depth=2
	ds_read_b32 v60, v72 offset:6144
	v_mov_b32_e32 v154, s77
	s_waitcnt lgkmcnt(0)
	v_lshrrev_b32_e32 v61, s93, v60
	v_and_b32_e32 v61, s94, v61
	v_lshlrev_b32_e32 v61, 2, v61
	ds_read_b32 v152, v61
	v_mov_b32_e32 v61, v4
	v_xor_b32_e32 v159, 0x80000000, v60
	s_waitcnt lgkmcnt(0)
	v_add_u32_e32 v60, v152, v10
	v_lshlrev_b64 v[60:61], 2, v[60:61]
	v_add_co_u32_e32 v60, vcc, s76, v60
	v_addc_co_u32_e32 v61, vcc, v154, v61, vcc
	global_store_dword v[60:61], v159, off
	s_or_b64 exec, exec, s[50:51]
	v_cmp_lt_u32_e64 s[50:51], v12, v151
	s_and_saveexec_b64 s[52:53], s[50:51]
	s_cbranch_execnz .LBB603_493
.LBB603_478:                            ;   in Loop: Header=BB603_392 Depth=2
	s_or_b64 exec, exec, s[52:53]
	v_cmp_lt_u32_e64 s[52:53], v14, v151
	s_and_saveexec_b64 s[54:55], s[52:53]
	s_cbranch_execz .LBB603_494
.LBB603_479:                            ;   in Loop: Header=BB603_392 Depth=2
	ds_read_b32 v60, v72 offset:8192
	v_mov_b32_e32 v154, s77
	s_waitcnt lgkmcnt(0)
	v_lshrrev_b32_e32 v61, s93, v60
	v_and_b32_e32 v61, s94, v61
	v_lshlrev_b32_e32 v61, 2, v61
	ds_read_b32 v152, v61
	v_mov_b32_e32 v61, v4
	v_xor_b32_e32 v159, 0x80000000, v60
	s_waitcnt lgkmcnt(0)
	v_add_u32_e32 v60, v152, v14
	v_lshlrev_b64 v[60:61], 2, v[60:61]
	v_add_co_u32_e32 v60, vcc, s76, v60
	v_addc_co_u32_e32 v61, vcc, v154, v61, vcc
	global_store_dword v[60:61], v159, off
	s_or_b64 exec, exec, s[54:55]
	v_cmp_lt_u32_e64 s[54:55], v16, v151
	s_and_saveexec_b64 s[56:57], s[54:55]
	s_cbranch_execnz .LBB603_495
.LBB603_480:                            ;   in Loop: Header=BB603_392 Depth=2
	s_or_b64 exec, exec, s[56:57]
	v_cmp_lt_u32_e64 s[56:57], v18, v151
	s_and_saveexec_b64 s[58:59], s[56:57]
	s_cbranch_execz .LBB603_496
.LBB603_481:                            ;   in Loop: Header=BB603_392 Depth=2
	ds_read_b32 v60, v72 offset:10240
	v_mov_b32_e32 v154, s77
	s_waitcnt lgkmcnt(0)
	v_lshrrev_b32_e32 v61, s93, v60
	v_and_b32_e32 v61, s94, v61
	v_lshlrev_b32_e32 v61, 2, v61
	ds_read_b32 v152, v61
	v_mov_b32_e32 v61, v4
	v_xor_b32_e32 v159, 0x80000000, v60
	s_waitcnt lgkmcnt(0)
	v_add_u32_e32 v60, v152, v18
	v_lshlrev_b64 v[60:61], 2, v[60:61]
	v_add_co_u32_e32 v60, vcc, s76, v60
	v_addc_co_u32_e32 v61, vcc, v154, v61, vcc
	global_store_dword v[60:61], v159, off
	s_or_b64 exec, exec, s[58:59]
	v_cmp_lt_u32_e64 s[58:59], v20, v151
	s_and_saveexec_b64 s[60:61], s[58:59]
	s_cbranch_execnz .LBB603_497
.LBB603_482:                            ;   in Loop: Header=BB603_392 Depth=2
	s_or_b64 exec, exec, s[60:61]
	v_cmp_lt_u32_e64 s[60:61], v22, v151
	s_and_saveexec_b64 s[62:63], s[60:61]
	s_cbranch_execz .LBB603_498
.LBB603_483:                            ;   in Loop: Header=BB603_392 Depth=2
	ds_read_b32 v60, v72 offset:12288
	v_mov_b32_e32 v154, s77
	s_waitcnt lgkmcnt(0)
	v_lshrrev_b32_e32 v61, s93, v60
	v_and_b32_e32 v61, s94, v61
	v_lshlrev_b32_e32 v61, 2, v61
	ds_read_b32 v152, v61
	v_mov_b32_e32 v61, v4
	v_xor_b32_e32 v159, 0x80000000, v60
	s_waitcnt lgkmcnt(0)
	v_add_u32_e32 v60, v152, v22
	v_lshlrev_b64 v[60:61], 2, v[60:61]
	v_add_co_u32_e32 v60, vcc, s76, v60
	v_addc_co_u32_e32 v61, vcc, v154, v61, vcc
	global_store_dword v[60:61], v159, off
	s_or_b64 exec, exec, s[62:63]
	v_cmp_lt_u32_e64 s[62:63], v24, v151
	s_and_saveexec_b64 s[64:65], s[62:63]
	s_cbranch_execnz .LBB603_499
.LBB603_484:                            ;   in Loop: Header=BB603_392 Depth=2
	s_or_b64 exec, exec, s[64:65]
	v_cmp_lt_u32_e64 s[64:65], v26, v151
	s_and_saveexec_b64 s[66:67], s[64:65]
	s_cbranch_execz .LBB603_500
.LBB603_485:                            ;   in Loop: Header=BB603_392 Depth=2
	ds_read_b32 v60, v72 offset:14336
	v_mov_b32_e32 v154, s77
	s_waitcnt lgkmcnt(0)
	v_lshrrev_b32_e32 v61, s93, v60
	v_and_b32_e32 v61, s94, v61
	v_lshlrev_b32_e32 v61, 2, v61
	ds_read_b32 v152, v61
	v_mov_b32_e32 v61, v4
	v_xor_b32_e32 v159, 0x80000000, v60
	s_waitcnt lgkmcnt(0)
	v_add_u32_e32 v60, v152, v26
	v_lshlrev_b64 v[60:61], 2, v[60:61]
	v_add_co_u32_e32 v60, vcc, s76, v60
	v_addc_co_u32_e32 v61, vcc, v154, v61, vcc
	global_store_dword v[60:61], v159, off
	s_or_b64 exec, exec, s[66:67]
	v_cmp_lt_u32_e64 s[66:67], v28, v151
	s_and_saveexec_b64 s[78:79], s[66:67]
	s_cbranch_execnz .LBB603_501
	s_branch .LBB603_502
.LBB603_486:                            ;   in Loop: Header=BB603_392 Depth=2
	s_or_b64 exec, exec, s[38:39]
	v_cmp_lt_u32_e64 s[38:39], v7, v151
	s_and_saveexec_b64 s[40:41], s[38:39]
	s_cbranch_execz .LBB603_472
.LBB603_487:                            ;   in Loop: Header=BB603_392 Depth=2
	ds_read_b32 v60, v72 offset:1024
	v_mov_b32_e32 v154, s77
	s_waitcnt lgkmcnt(0)
	v_lshrrev_b32_e32 v61, s93, v60
	v_and_b32_e32 v61, s94, v61
	v_lshlrev_b32_e32 v61, 2, v61
	ds_read_b32 v152, v61
	v_mov_b32_e32 v61, v4
	v_xor_b32_e32 v159, 0x80000000, v60
	s_waitcnt lgkmcnt(0)
	v_add_u32_e32 v60, v152, v7
	v_lshlrev_b64 v[60:61], 2, v[60:61]
	v_add_co_u32_e32 v60, vcc, s76, v60
	v_addc_co_u32_e32 v61, vcc, v154, v61, vcc
	global_store_dword v[60:61], v159, off
	s_or_b64 exec, exec, s[40:41]
	v_cmp_lt_u32_e64 s[40:41], v9, v151
	s_and_saveexec_b64 s[42:43], s[40:41]
	s_cbranch_execnz .LBB603_473
.LBB603_488:                            ;   in Loop: Header=BB603_392 Depth=2
	s_or_b64 exec, exec, s[42:43]
	v_cmp_lt_u32_e64 s[42:43], v11, v151
	s_and_saveexec_b64 s[44:45], s[42:43]
	s_cbranch_execz .LBB603_474
.LBB603_489:                            ;   in Loop: Header=BB603_392 Depth=2
	ds_read_b32 v60, v72 offset:3072
	v_mov_b32_e32 v154, s77
	s_waitcnt lgkmcnt(0)
	v_lshrrev_b32_e32 v61, s93, v60
	v_and_b32_e32 v61, s94, v61
	v_lshlrev_b32_e32 v61, 2, v61
	ds_read_b32 v152, v61
	v_mov_b32_e32 v61, v4
	v_xor_b32_e32 v159, 0x80000000, v60
	s_waitcnt lgkmcnt(0)
	v_add_u32_e32 v60, v152, v11
	v_lshlrev_b64 v[60:61], 2, v[60:61]
	v_add_co_u32_e32 v60, vcc, s76, v60
	v_addc_co_u32_e32 v61, vcc, v154, v61, vcc
	global_store_dword v[60:61], v159, off
	s_or_b64 exec, exec, s[44:45]
	v_cmp_lt_u32_e64 s[44:45], v6, v151
	s_and_saveexec_b64 s[46:47], s[44:45]
	s_cbranch_execnz .LBB603_475
.LBB603_490:                            ;   in Loop: Header=BB603_392 Depth=2
	s_or_b64 exec, exec, s[46:47]
	v_cmp_lt_u32_e64 s[46:47], v8, v151
	s_and_saveexec_b64 s[48:49], s[46:47]
	s_cbranch_execz .LBB603_476
.LBB603_491:                            ;   in Loop: Header=BB603_392 Depth=2
	ds_read_b32 v60, v72 offset:5120
	v_mov_b32_e32 v154, s77
	s_waitcnt lgkmcnt(0)
	v_lshrrev_b32_e32 v61, s93, v60
	v_and_b32_e32 v61, s94, v61
	v_lshlrev_b32_e32 v61, 2, v61
	ds_read_b32 v152, v61
	v_mov_b32_e32 v61, v4
	v_xor_b32_e32 v159, 0x80000000, v60
	s_waitcnt lgkmcnt(0)
	v_add_u32_e32 v60, v152, v8
	v_lshlrev_b64 v[60:61], 2, v[60:61]
	v_add_co_u32_e32 v60, vcc, s76, v60
	v_addc_co_u32_e32 v61, vcc, v154, v61, vcc
	global_store_dword v[60:61], v159, off
	s_or_b64 exec, exec, s[48:49]
	v_cmp_lt_u32_e64 s[48:49], v10, v151
	s_and_saveexec_b64 s[50:51], s[48:49]
	s_cbranch_execnz .LBB603_477
.LBB603_492:                            ;   in Loop: Header=BB603_392 Depth=2
	s_or_b64 exec, exec, s[50:51]
	v_cmp_lt_u32_e64 s[50:51], v12, v151
	s_and_saveexec_b64 s[52:53], s[50:51]
	s_cbranch_execz .LBB603_478
.LBB603_493:                            ;   in Loop: Header=BB603_392 Depth=2
	ds_read_b32 v60, v72 offset:7168
	v_mov_b32_e32 v154, s77
	s_waitcnt lgkmcnt(0)
	v_lshrrev_b32_e32 v61, s93, v60
	v_and_b32_e32 v61, s94, v61
	v_lshlrev_b32_e32 v61, 2, v61
	ds_read_b32 v152, v61
	v_mov_b32_e32 v61, v4
	v_xor_b32_e32 v159, 0x80000000, v60
	s_waitcnt lgkmcnt(0)
	v_add_u32_e32 v60, v152, v12
	v_lshlrev_b64 v[60:61], 2, v[60:61]
	v_add_co_u32_e32 v60, vcc, s76, v60
	v_addc_co_u32_e32 v61, vcc, v154, v61, vcc
	global_store_dword v[60:61], v159, off
	s_or_b64 exec, exec, s[52:53]
	v_cmp_lt_u32_e64 s[52:53], v14, v151
	s_and_saveexec_b64 s[54:55], s[52:53]
	s_cbranch_execnz .LBB603_479
.LBB603_494:                            ;   in Loop: Header=BB603_392 Depth=2
	s_or_b64 exec, exec, s[54:55]
	v_cmp_lt_u32_e64 s[54:55], v16, v151
	s_and_saveexec_b64 s[56:57], s[54:55]
	s_cbranch_execz .LBB603_480
.LBB603_495:                            ;   in Loop: Header=BB603_392 Depth=2
	ds_read_b32 v60, v72 offset:9216
	v_mov_b32_e32 v154, s77
	s_waitcnt lgkmcnt(0)
	v_lshrrev_b32_e32 v61, s93, v60
	v_and_b32_e32 v61, s94, v61
	v_lshlrev_b32_e32 v61, 2, v61
	ds_read_b32 v152, v61
	v_mov_b32_e32 v61, v4
	v_xor_b32_e32 v159, 0x80000000, v60
	s_waitcnt lgkmcnt(0)
	v_add_u32_e32 v60, v152, v16
	v_lshlrev_b64 v[60:61], 2, v[60:61]
	v_add_co_u32_e32 v60, vcc, s76, v60
	v_addc_co_u32_e32 v61, vcc, v154, v61, vcc
	global_store_dword v[60:61], v159, off
	s_or_b64 exec, exec, s[56:57]
	v_cmp_lt_u32_e64 s[56:57], v18, v151
	s_and_saveexec_b64 s[58:59], s[56:57]
	s_cbranch_execnz .LBB603_481
.LBB603_496:                            ;   in Loop: Header=BB603_392 Depth=2
	s_or_b64 exec, exec, s[58:59]
	v_cmp_lt_u32_e64 s[58:59], v20, v151
	s_and_saveexec_b64 s[60:61], s[58:59]
	s_cbranch_execz .LBB603_482
.LBB603_497:                            ;   in Loop: Header=BB603_392 Depth=2
	ds_read_b32 v60, v72 offset:11264
	v_mov_b32_e32 v154, s77
	s_waitcnt lgkmcnt(0)
	v_lshrrev_b32_e32 v61, s93, v60
	v_and_b32_e32 v61, s94, v61
	v_lshlrev_b32_e32 v61, 2, v61
	ds_read_b32 v152, v61
	v_mov_b32_e32 v61, v4
	v_xor_b32_e32 v159, 0x80000000, v60
	s_waitcnt lgkmcnt(0)
	v_add_u32_e32 v60, v152, v20
	v_lshlrev_b64 v[60:61], 2, v[60:61]
	v_add_co_u32_e32 v60, vcc, s76, v60
	v_addc_co_u32_e32 v61, vcc, v154, v61, vcc
	global_store_dword v[60:61], v159, off
	s_or_b64 exec, exec, s[60:61]
	v_cmp_lt_u32_e64 s[60:61], v22, v151
	s_and_saveexec_b64 s[62:63], s[60:61]
	s_cbranch_execnz .LBB603_483
.LBB603_498:                            ;   in Loop: Header=BB603_392 Depth=2
	s_or_b64 exec, exec, s[62:63]
	v_cmp_lt_u32_e64 s[62:63], v24, v151
	s_and_saveexec_b64 s[64:65], s[62:63]
	s_cbranch_execz .LBB603_484
.LBB603_499:                            ;   in Loop: Header=BB603_392 Depth=2
	ds_read_b32 v60, v72 offset:13312
	v_mov_b32_e32 v154, s77
	s_waitcnt lgkmcnt(0)
	v_lshrrev_b32_e32 v61, s93, v60
	v_and_b32_e32 v61, s94, v61
	v_lshlrev_b32_e32 v61, 2, v61
	ds_read_b32 v152, v61
	v_mov_b32_e32 v61, v4
	v_xor_b32_e32 v159, 0x80000000, v60
	s_waitcnt lgkmcnt(0)
	v_add_u32_e32 v60, v152, v24
	v_lshlrev_b64 v[60:61], 2, v[60:61]
	v_add_co_u32_e32 v60, vcc, s76, v60
	v_addc_co_u32_e32 v61, vcc, v154, v61, vcc
	global_store_dword v[60:61], v159, off
	s_or_b64 exec, exec, s[64:65]
	v_cmp_lt_u32_e64 s[64:65], v26, v151
	s_and_saveexec_b64 s[66:67], s[64:65]
	s_cbranch_execnz .LBB603_485
.LBB603_500:                            ;   in Loop: Header=BB603_392 Depth=2
	s_or_b64 exec, exec, s[66:67]
	v_cmp_lt_u32_e64 s[66:67], v28, v151
	s_and_saveexec_b64 s[78:79], s[66:67]
	s_cbranch_execz .LBB603_502
.LBB603_501:                            ;   in Loop: Header=BB603_392 Depth=2
	ds_read_b32 v60, v72 offset:15360
	v_mov_b32_e32 v154, s77
	s_waitcnt lgkmcnt(0)
	v_lshrrev_b32_e32 v61, s93, v60
	v_and_b32_e32 v61, s94, v61
	v_lshlrev_b32_e32 v61, 2, v61
	ds_read_b32 v152, v61
	v_mov_b32_e32 v61, v4
	v_xor_b32_e32 v159, 0x80000000, v60
	s_waitcnt lgkmcnt(0)
	v_add_u32_e32 v60, v152, v28
	v_lshlrev_b64 v[60:61], 2, v[60:61]
	v_add_co_u32_e32 v60, vcc, s76, v60
	v_addc_co_u32_e32 v61, vcc, v154, v61, vcc
	global_store_dword v[60:61], v159, off
.LBB603_502:                            ;   in Loop: Header=BB603_392 Depth=2
	s_or_b64 exec, exec, s[78:79]
	s_lshl_b64 s[78:79], s[88:89], 3
	v_mov_b32_e32 v61, s79
	v_add_co_u32_e32 v60, vcc, s78, v128
	v_addc_co_u32_e32 v61, vcc, v129, v61, vcc
	v_cmp_lt_u32_e32 vcc, v109, v151
	s_and_saveexec_b64 s[78:79], vcc
	s_xor_b64 s[78:79], exec, s[78:79]
	s_cbranch_execz .LBB603_534
; %bb.503:                              ;   in Loop: Header=BB603_392 Depth=2
	global_load_dwordx2 v[58:59], v[60:61], off
	s_or_b64 exec, exec, s[78:79]
	v_cmp_lt_u32_e32 vcc, v110, v151
	s_and_saveexec_b64 s[78:79], vcc
	s_cbranch_execnz .LBB603_535
.LBB603_504:                            ;   in Loop: Header=BB603_392 Depth=2
	s_or_b64 exec, exec, s[78:79]
	v_cmp_lt_u32_e32 vcc, v111, v151
	s_and_saveexec_b64 s[78:79], vcc
	s_cbranch_execz .LBB603_536
.LBB603_505:                            ;   in Loop: Header=BB603_392 Depth=2
	global_load_dwordx2 v[54:55], v[60:61], off offset:1024
	s_or_b64 exec, exec, s[78:79]
	v_cmp_lt_u32_e32 vcc, v112, v151
	s_and_saveexec_b64 s[78:79], vcc
	s_cbranch_execnz .LBB603_537
.LBB603_506:                            ;   in Loop: Header=BB603_392 Depth=2
	s_or_b64 exec, exec, s[78:79]
	v_cmp_lt_u32_e32 vcc, v113, v151
	s_and_saveexec_b64 s[78:79], vcc
	s_cbranch_execz .LBB603_538
.LBB603_507:                            ;   in Loop: Header=BB603_392 Depth=2
	global_load_dwordx2 v[46:47], v[60:61], off offset:2048
	s_or_b64 exec, exec, s[78:79]
	v_cmp_lt_u32_e32 vcc, v114, v151
	s_and_saveexec_b64 s[78:79], vcc
	s_cbranch_execnz .LBB603_539
.LBB603_508:                            ;   in Loop: Header=BB603_392 Depth=2
	s_or_b64 exec, exec, s[78:79]
	v_cmp_lt_u32_e32 vcc, v115, v151
	s_and_saveexec_b64 s[78:79], vcc
	s_cbranch_execz .LBB603_540
.LBB603_509:                            ;   in Loop: Header=BB603_392 Depth=2
	global_load_dwordx2 v[38:39], v[60:61], off offset:3072
	s_or_b64 exec, exec, s[78:79]
	v_cmp_lt_u32_e32 vcc, v116, v151
	s_and_saveexec_b64 s[78:79], vcc
	s_cbranch_execnz .LBB603_541
.LBB603_510:                            ;   in Loop: Header=BB603_392 Depth=2
	s_or_b64 exec, exec, s[78:79]
	v_cmp_lt_u32_e32 vcc, v117, v151
	s_and_saveexec_b64 s[78:79], vcc
	s_cbranch_execz .LBB603_542
.LBB603_511:                            ;   in Loop: Header=BB603_392 Depth=2
	v_add_co_u32_e32 v52, vcc, 0x1000, v60
	v_addc_co_u32_e32 v53, vcc, 0, v61, vcc
	global_load_dwordx2 v[52:53], v[52:53], off
	s_or_b64 exec, exec, s[78:79]
	v_cmp_lt_u32_e32 vcc, v118, v151
	s_and_saveexec_b64 s[78:79], vcc
	s_cbranch_execnz .LBB603_543
.LBB603_512:                            ;   in Loop: Header=BB603_392 Depth=2
	s_or_b64 exec, exec, s[78:79]
	v_cmp_lt_u32_e32 vcc, v119, v151
	s_and_saveexec_b64 s[78:79], vcc
	s_cbranch_execz .LBB603_544
.LBB603_513:                            ;   in Loop: Header=BB603_392 Depth=2
	v_add_co_u32_e32 v44, vcc, 0x1000, v60
	v_addc_co_u32_e32 v45, vcc, 0, v61, vcc
	global_load_dwordx2 v[44:45], v[44:45], off offset:1024
	s_or_b64 exec, exec, s[78:79]
	v_cmp_lt_u32_e32 vcc, v120, v151
	s_and_saveexec_b64 s[78:79], vcc
	s_cbranch_execnz .LBB603_545
.LBB603_514:                            ;   in Loop: Header=BB603_392 Depth=2
	s_or_b64 exec, exec, s[78:79]
	v_cmp_lt_u32_e32 vcc, v121, v151
	s_and_saveexec_b64 s[78:79], vcc
	s_cbranch_execz .LBB603_546
.LBB603_515:                            ;   in Loop: Header=BB603_392 Depth=2
	v_add_co_u32_e32 v36, vcc, 0x1000, v60
	v_addc_co_u32_e32 v37, vcc, 0, v61, vcc
	global_load_dwordx2 v[36:37], v[36:37], off offset:2048
	s_or_b64 exec, exec, s[78:79]
	v_cmp_lt_u32_e32 vcc, v122, v151
	s_and_saveexec_b64 s[78:79], vcc
	s_cbranch_execnz .LBB603_547
.LBB603_516:                            ;   in Loop: Header=BB603_392 Depth=2
	s_or_b64 exec, exec, s[78:79]
	v_cmp_lt_u32_e32 vcc, v123, v151
	s_and_saveexec_b64 s[78:79], vcc
	s_cbranch_execz .LBB603_548
.LBB603_517:                            ;   in Loop: Header=BB603_392 Depth=2
	v_add_co_u32_e32 v30, vcc, 0x1000, v60
	v_addc_co_u32_e32 v31, vcc, 0, v61, vcc
	global_load_dwordx2 v[30:31], v[30:31], off offset:3072
	s_or_b64 exec, exec, s[78:79]
	v_cmp_lt_u32_e32 vcc, v124, v151
	s_and_saveexec_b64 s[78:79], vcc
	s_cbranch_execnz .LBB603_549
.LBB603_518:                            ;   in Loop: Header=BB603_392 Depth=2
	s_or_b64 exec, exec, s[78:79]
	s_and_saveexec_b64 s[78:79], s[36:37]
	s_cbranch_execz .LBB603_550
.LBB603_519:                            ;   in Loop: Header=BB603_392 Depth=2
	v_add_u32_e32 v60, v64, v67
	ds_read_b32 v60, v60 offset:1024
	s_waitcnt lgkmcnt(0)
	v_lshrrev_b32_e32 v60, s93, v60
	v_and_b32_e32 v149, s94, v60
	s_or_b64 exec, exec, s[78:79]
	s_and_saveexec_b64 s[78:79], s[38:39]
	s_cbranch_execnz .LBB603_551
.LBB603_520:                            ;   in Loop: Header=BB603_392 Depth=2
	s_or_b64 exec, exec, s[78:79]
	s_and_saveexec_b64 s[78:79], s[40:41]
	s_cbranch_execz .LBB603_552
.LBB603_521:                            ;   in Loop: Header=BB603_392 Depth=2
	ds_read_b32 v60, v72 offset:2048
	s_waitcnt lgkmcnt(0)
	v_lshrrev_b32_e32 v60, s93, v60
	v_and_b32_e32 v146, s94, v60
	s_or_b64 exec, exec, s[78:79]
	s_and_saveexec_b64 s[78:79], s[42:43]
	s_cbranch_execnz .LBB603_553
.LBB603_522:                            ;   in Loop: Header=BB603_392 Depth=2
	s_or_b64 exec, exec, s[78:79]
	s_and_saveexec_b64 s[78:79], s[44:45]
	s_cbranch_execz .LBB603_554
.LBB603_523:                            ;   in Loop: Header=BB603_392 Depth=2
	ds_read_b32 v60, v72 offset:4096
	s_waitcnt lgkmcnt(0)
	v_lshrrev_b32_e32 v60, s93, v60
	v_and_b32_e32 v143, s94, v60
	s_or_b64 exec, exec, s[78:79]
	s_and_saveexec_b64 s[78:79], s[46:47]
	s_cbranch_execnz .LBB603_555
.LBB603_524:                            ;   in Loop: Header=BB603_392 Depth=2
	s_or_b64 exec, exec, s[78:79]
	s_and_saveexec_b64 s[78:79], s[48:49]
	s_cbranch_execz .LBB603_556
.LBB603_525:                            ;   in Loop: Header=BB603_392 Depth=2
	ds_read_b32 v60, v72 offset:6144
	s_waitcnt lgkmcnt(0)
	v_lshrrev_b32_e32 v60, s93, v60
	v_and_b32_e32 v141, s94, v60
	s_or_b64 exec, exec, s[78:79]
	s_and_saveexec_b64 s[78:79], s[50:51]
	s_cbranch_execnz .LBB603_557
.LBB603_526:                            ;   in Loop: Header=BB603_392 Depth=2
	s_or_b64 exec, exec, s[78:79]
	s_and_saveexec_b64 s[78:79], s[52:53]
	s_cbranch_execz .LBB603_558
.LBB603_527:                            ;   in Loop: Header=BB603_392 Depth=2
	ds_read_b32 v60, v72 offset:8192
	s_waitcnt lgkmcnt(0)
	v_lshrrev_b32_e32 v60, s93, v60
	v_and_b32_e32 v139, s94, v60
	s_or_b64 exec, exec, s[78:79]
	s_and_saveexec_b64 s[78:79], s[54:55]
	s_cbranch_execnz .LBB603_559
.LBB603_528:                            ;   in Loop: Header=BB603_392 Depth=2
	s_or_b64 exec, exec, s[78:79]
	s_and_saveexec_b64 s[78:79], s[56:57]
	s_cbranch_execz .LBB603_560
.LBB603_529:                            ;   in Loop: Header=BB603_392 Depth=2
	ds_read_b32 v60, v72 offset:10240
	s_waitcnt lgkmcnt(0)
	v_lshrrev_b32_e32 v60, s93, v60
	v_and_b32_e32 v137, s94, v60
	s_or_b64 exec, exec, s[78:79]
	s_and_saveexec_b64 s[78:79], s[58:59]
	s_cbranch_execnz .LBB603_561
.LBB603_530:                            ;   in Loop: Header=BB603_392 Depth=2
	s_or_b64 exec, exec, s[78:79]
	s_and_saveexec_b64 s[78:79], s[60:61]
	s_cbranch_execz .LBB603_562
.LBB603_531:                            ;   in Loop: Header=BB603_392 Depth=2
	ds_read_b32 v60, v72 offset:12288
	s_waitcnt lgkmcnt(0)
	v_lshrrev_b32_e32 v60, s93, v60
	v_and_b32_e32 v135, s94, v60
	s_or_b64 exec, exec, s[78:79]
	s_and_saveexec_b64 s[78:79], s[62:63]
	s_cbranch_execnz .LBB603_563
.LBB603_532:                            ;   in Loop: Header=BB603_392 Depth=2
	s_or_b64 exec, exec, s[78:79]
	s_and_saveexec_b64 s[78:79], s[64:65]
	s_cbranch_execz .LBB603_564
.LBB603_533:                            ;   in Loop: Header=BB603_392 Depth=2
	ds_read_b32 v60, v72 offset:14336
	s_waitcnt lgkmcnt(0)
	v_lshrrev_b32_e32 v60, s93, v60
	v_and_b32_e32 v133, s94, v60
	s_or_b64 exec, exec, s[78:79]
	s_and_saveexec_b64 s[78:79], s[66:67]
	s_cbranch_execnz .LBB603_565
	s_branch .LBB603_566
.LBB603_534:                            ;   in Loop: Header=BB603_392 Depth=2
	s_or_b64 exec, exec, s[78:79]
	v_cmp_lt_u32_e32 vcc, v110, v151
	s_and_saveexec_b64 s[78:79], vcc
	s_cbranch_execz .LBB603_504
.LBB603_535:                            ;   in Loop: Header=BB603_392 Depth=2
	global_load_dwordx2 v[56:57], v[60:61], off offset:512
	s_or_b64 exec, exec, s[78:79]
	v_cmp_lt_u32_e32 vcc, v111, v151
	s_and_saveexec_b64 s[78:79], vcc
	s_cbranch_execnz .LBB603_505
.LBB603_536:                            ;   in Loop: Header=BB603_392 Depth=2
	s_or_b64 exec, exec, s[78:79]
	v_cmp_lt_u32_e32 vcc, v112, v151
	s_and_saveexec_b64 s[78:79], vcc
	s_cbranch_execz .LBB603_506
.LBB603_537:                            ;   in Loop: Header=BB603_392 Depth=2
	global_load_dwordx2 v[50:51], v[60:61], off offset:1536
	s_or_b64 exec, exec, s[78:79]
	v_cmp_lt_u32_e32 vcc, v113, v151
	s_and_saveexec_b64 s[78:79], vcc
	s_cbranch_execnz .LBB603_507
.LBB603_538:                            ;   in Loop: Header=BB603_392 Depth=2
	s_or_b64 exec, exec, s[78:79]
	v_cmp_lt_u32_e32 vcc, v114, v151
	s_and_saveexec_b64 s[78:79], vcc
	s_cbranch_execz .LBB603_508
.LBB603_539:                            ;   in Loop: Header=BB603_392 Depth=2
	global_load_dwordx2 v[42:43], v[60:61], off offset:2560
	s_or_b64 exec, exec, s[78:79]
	v_cmp_lt_u32_e32 vcc, v115, v151
	s_and_saveexec_b64 s[78:79], vcc
	s_cbranch_execnz .LBB603_509
.LBB603_540:                            ;   in Loop: Header=BB603_392 Depth=2
	s_or_b64 exec, exec, s[78:79]
	v_cmp_lt_u32_e32 vcc, v116, v151
	s_and_saveexec_b64 s[78:79], vcc
	s_cbranch_execz .LBB603_510
.LBB603_541:                            ;   in Loop: Header=BB603_392 Depth=2
	global_load_dwordx2 v[34:35], v[60:61], off offset:3584
	s_or_b64 exec, exec, s[78:79]
	v_cmp_lt_u32_e32 vcc, v117, v151
	s_and_saveexec_b64 s[78:79], vcc
	s_cbranch_execnz .LBB603_511
.LBB603_542:                            ;   in Loop: Header=BB603_392 Depth=2
	s_or_b64 exec, exec, s[78:79]
	v_cmp_lt_u32_e32 vcc, v118, v151
	s_and_saveexec_b64 s[78:79], vcc
	s_cbranch_execz .LBB603_512
.LBB603_543:                            ;   in Loop: Header=BB603_392 Depth=2
	v_add_co_u32_e32 v48, vcc, 0x1000, v60
	v_addc_co_u32_e32 v49, vcc, 0, v61, vcc
	global_load_dwordx2 v[48:49], v[48:49], off offset:512
	s_or_b64 exec, exec, s[78:79]
	v_cmp_lt_u32_e32 vcc, v119, v151
	s_and_saveexec_b64 s[78:79], vcc
	s_cbranch_execnz .LBB603_513
.LBB603_544:                            ;   in Loop: Header=BB603_392 Depth=2
	s_or_b64 exec, exec, s[78:79]
	v_cmp_lt_u32_e32 vcc, v120, v151
	s_and_saveexec_b64 s[78:79], vcc
	s_cbranch_execz .LBB603_514
.LBB603_545:                            ;   in Loop: Header=BB603_392 Depth=2
	v_add_co_u32_e32 v40, vcc, 0x1000, v60
	v_addc_co_u32_e32 v41, vcc, 0, v61, vcc
	global_load_dwordx2 v[40:41], v[40:41], off offset:1536
	s_or_b64 exec, exec, s[78:79]
	v_cmp_lt_u32_e32 vcc, v121, v151
	s_and_saveexec_b64 s[78:79], vcc
	s_cbranch_execnz .LBB603_515
.LBB603_546:                            ;   in Loop: Header=BB603_392 Depth=2
	s_or_b64 exec, exec, s[78:79]
	v_cmp_lt_u32_e32 vcc, v122, v151
	s_and_saveexec_b64 s[78:79], vcc
	s_cbranch_execz .LBB603_516
.LBB603_547:                            ;   in Loop: Header=BB603_392 Depth=2
	v_add_co_u32_e32 v32, vcc, 0x1000, v60
	v_addc_co_u32_e32 v33, vcc, 0, v61, vcc
	global_load_dwordx2 v[32:33], v[32:33], off offset:2560
	s_or_b64 exec, exec, s[78:79]
	v_cmp_lt_u32_e32 vcc, v123, v151
	s_and_saveexec_b64 s[78:79], vcc
	s_cbranch_execnz .LBB603_517
.LBB603_548:                            ;   in Loop: Header=BB603_392 Depth=2
	s_or_b64 exec, exec, s[78:79]
	v_cmp_lt_u32_e32 vcc, v124, v151
	s_and_saveexec_b64 s[78:79], vcc
	s_cbranch_execz .LBB603_518
.LBB603_549:                            ;   in Loop: Header=BB603_392 Depth=2
	v_add_co_u32_e32 v0, vcc, 0x1000, v60
	v_addc_co_u32_e32 v1, vcc, 0, v61, vcc
	global_load_dwordx2 v[0:1], v[0:1], off offset:3584
	s_or_b64 exec, exec, s[78:79]
	s_and_saveexec_b64 s[78:79], s[36:37]
	s_cbranch_execnz .LBB603_519
.LBB603_550:                            ;   in Loop: Header=BB603_392 Depth=2
	s_or_b64 exec, exec, s[78:79]
	s_and_saveexec_b64 s[78:79], s[38:39]
	s_cbranch_execz .LBB603_520
.LBB603_551:                            ;   in Loop: Header=BB603_392 Depth=2
	ds_read_b32 v60, v72 offset:1024
	s_waitcnt lgkmcnt(0)
	v_lshrrev_b32_e32 v60, s93, v60
	v_and_b32_e32 v147, s94, v60
	s_or_b64 exec, exec, s[78:79]
	s_and_saveexec_b64 s[78:79], s[40:41]
	s_cbranch_execnz .LBB603_521
.LBB603_552:                            ;   in Loop: Header=BB603_392 Depth=2
	s_or_b64 exec, exec, s[78:79]
	s_and_saveexec_b64 s[78:79], s[42:43]
	s_cbranch_execz .LBB603_522
.LBB603_553:                            ;   in Loop: Header=BB603_392 Depth=2
	ds_read_b32 v60, v72 offset:3072
	s_waitcnt lgkmcnt(0)
	v_lshrrev_b32_e32 v60, s93, v60
	v_and_b32_e32 v144, s94, v60
	s_or_b64 exec, exec, s[78:79]
	s_and_saveexec_b64 s[78:79], s[44:45]
	s_cbranch_execnz .LBB603_523
.LBB603_554:                            ;   in Loop: Header=BB603_392 Depth=2
	s_or_b64 exec, exec, s[78:79]
	s_and_saveexec_b64 s[78:79], s[46:47]
	s_cbranch_execz .LBB603_524
.LBB603_555:                            ;   in Loop: Header=BB603_392 Depth=2
	ds_read_b32 v60, v72 offset:5120
	s_waitcnt lgkmcnt(0)
	v_lshrrev_b32_e32 v60, s93, v60
	v_and_b32_e32 v142, s94, v60
	s_or_b64 exec, exec, s[78:79]
	s_and_saveexec_b64 s[78:79], s[48:49]
	s_cbranch_execnz .LBB603_525
.LBB603_556:                            ;   in Loop: Header=BB603_392 Depth=2
	s_or_b64 exec, exec, s[78:79]
	s_and_saveexec_b64 s[78:79], s[50:51]
	s_cbranch_execz .LBB603_526
.LBB603_557:                            ;   in Loop: Header=BB603_392 Depth=2
	ds_read_b32 v60, v72 offset:7168
	s_waitcnt lgkmcnt(0)
	v_lshrrev_b32_e32 v60, s93, v60
	v_and_b32_e32 v140, s94, v60
	s_or_b64 exec, exec, s[78:79]
	s_and_saveexec_b64 s[78:79], s[52:53]
	s_cbranch_execnz .LBB603_527
.LBB603_558:                            ;   in Loop: Header=BB603_392 Depth=2
	s_or_b64 exec, exec, s[78:79]
	s_and_saveexec_b64 s[78:79], s[54:55]
	s_cbranch_execz .LBB603_528
.LBB603_559:                            ;   in Loop: Header=BB603_392 Depth=2
	ds_read_b32 v60, v72 offset:9216
	s_waitcnt lgkmcnt(0)
	v_lshrrev_b32_e32 v60, s93, v60
	v_and_b32_e32 v138, s94, v60
	s_or_b64 exec, exec, s[78:79]
	s_and_saveexec_b64 s[78:79], s[56:57]
	s_cbranch_execnz .LBB603_529
.LBB603_560:                            ;   in Loop: Header=BB603_392 Depth=2
	s_or_b64 exec, exec, s[78:79]
	s_and_saveexec_b64 s[78:79], s[58:59]
	s_cbranch_execz .LBB603_530
.LBB603_561:                            ;   in Loop: Header=BB603_392 Depth=2
	ds_read_b32 v60, v72 offset:11264
	s_waitcnt lgkmcnt(0)
	v_lshrrev_b32_e32 v60, s93, v60
	v_and_b32_e32 v136, s94, v60
	s_or_b64 exec, exec, s[78:79]
	s_and_saveexec_b64 s[78:79], s[60:61]
	s_cbranch_execnz .LBB603_531
.LBB603_562:                            ;   in Loop: Header=BB603_392 Depth=2
	s_or_b64 exec, exec, s[78:79]
	s_and_saveexec_b64 s[78:79], s[62:63]
	s_cbranch_execz .LBB603_532
.LBB603_563:                            ;   in Loop: Header=BB603_392 Depth=2
	ds_read_b32 v60, v72 offset:13312
	s_waitcnt lgkmcnt(0)
	v_lshrrev_b32_e32 v60, s93, v60
	v_and_b32_e32 v134, s94, v60
	s_or_b64 exec, exec, s[78:79]
	s_and_saveexec_b64 s[78:79], s[64:65]
	s_cbranch_execnz .LBB603_533
.LBB603_564:                            ;   in Loop: Header=BB603_392 Depth=2
	s_or_b64 exec, exec, s[78:79]
	s_and_saveexec_b64 s[78:79], s[66:67]
	s_cbranch_execz .LBB603_566
.LBB603_565:                            ;   in Loop: Header=BB603_392 Depth=2
	ds_read_b32 v60, v72 offset:15360
	s_waitcnt lgkmcnt(0)
	v_lshrrev_b32_e32 v60, s93, v60
	v_and_b32_e32 v132, s94, v60
.LBB603_566:                            ;   in Loop: Header=BB603_392 Depth=2
	s_or_b64 exec, exec, s[78:79]
	v_lshlrev_b32_e32 v60, 3, v172
	s_barrier
	s_waitcnt vmcnt(0)
	ds_write_b64 v60, v[58:59] offset:1024
	v_lshlrev_b32_e32 v60, 3, v168
	ds_write_b64 v60, v[56:57] offset:1024
	v_lshlrev_b32_e32 v60, 3, v167
	;; [unrolled: 2-line block ×15, first 2 shown]
	ds_write_b64 v60, v[0:1] offset:1024
	s_waitcnt lgkmcnt(0)
	s_barrier
	s_and_saveexec_b64 s[78:79], s[36:37]
	s_cbranch_execz .LBB603_582
; %bb.567:                              ;   in Loop: Header=BB603_392 Depth=2
	v_lshlrev_b32_e32 v60, 2, v149
	ds_read_b32 v62, v60
	ds_read_b64 v[60:61], v73 offset:1024
	v_mov_b32_e32 v63, v4
	v_mov_b32_e32 v151, s83
	s_waitcnt lgkmcnt(1)
	v_add_u32_e32 v62, v62, v2
	v_lshlrev_b64 v[62:63], 3, v[62:63]
	v_add_co_u32_e32 v62, vcc, s82, v62
	v_addc_co_u32_e32 v63, vcc, v151, v63, vcc
	s_waitcnt lgkmcnt(0)
	global_store_dwordx2 v[62:63], v[60:61], off
	s_or_b64 exec, exec, s[78:79]
	s_and_saveexec_b64 s[36:37], s[38:39]
	s_cbranch_execnz .LBB603_583
.LBB603_568:                            ;   in Loop: Header=BB603_392 Depth=2
	s_or_b64 exec, exec, s[36:37]
	s_and_saveexec_b64 s[36:37], s[40:41]
	s_cbranch_execz .LBB603_584
.LBB603_569:                            ;   in Loop: Header=BB603_392 Depth=2
	v_lshlrev_b32_e32 v60, 2, v146
	ds_read_b32 v62, v60
	v_add_u32_e32 v60, v72, v3
	ds_read_b64 v[60:61], v60 offset:4096
	v_mov_b32_e32 v63, v4
	v_mov_b32_e32 v151, s83
	s_waitcnt lgkmcnt(1)
	v_add_u32_e32 v62, v62, v9
	v_lshlrev_b64 v[62:63], 3, v[62:63]
	v_add_co_u32_e32 v62, vcc, s82, v62
	v_addc_co_u32_e32 v63, vcc, v151, v63, vcc
	s_waitcnt lgkmcnt(0)
	global_store_dwordx2 v[62:63], v[60:61], off
	s_or_b64 exec, exec, s[36:37]
	s_and_saveexec_b64 s[36:37], s[42:43]
	s_cbranch_execnz .LBB603_585
.LBB603_570:                            ;   in Loop: Header=BB603_392 Depth=2
	s_or_b64 exec, exec, s[36:37]
	s_and_saveexec_b64 s[36:37], s[44:45]
	s_cbranch_execz .LBB603_586
.LBB603_571:                            ;   in Loop: Header=BB603_392 Depth=2
	v_lshlrev_b32_e32 v60, 2, v143
	ds_read_b32 v62, v60
	v_add_u32_e32 v60, v72, v3
	ds_read_b64 v[60:61], v60 offset:8192
	v_mov_b32_e32 v63, v4
	v_mov_b32_e32 v151, s83
	s_waitcnt lgkmcnt(1)
	v_add_u32_e32 v62, v62, v6
	v_lshlrev_b64 v[62:63], 3, v[62:63]
	v_add_co_u32_e32 v62, vcc, s82, v62
	v_addc_co_u32_e32 v63, vcc, v151, v63, vcc
	s_waitcnt lgkmcnt(0)
	global_store_dwordx2 v[62:63], v[60:61], off
	s_or_b64 exec, exec, s[36:37]
	s_and_saveexec_b64 s[36:37], s[46:47]
	s_cbranch_execnz .LBB603_587
.LBB603_572:                            ;   in Loop: Header=BB603_392 Depth=2
	s_or_b64 exec, exec, s[36:37]
	s_and_saveexec_b64 s[36:37], s[48:49]
	s_cbranch_execz .LBB603_588
.LBB603_573:                            ;   in Loop: Header=BB603_392 Depth=2
	v_lshlrev_b32_e32 v60, 2, v141
	ds_read_b32 v62, v60
	v_add_u32_e32 v60, v72, v3
	ds_read_b64 v[60:61], v60 offset:12288
	v_mov_b32_e32 v63, v4
	v_mov_b32_e32 v151, s83
	s_waitcnt lgkmcnt(1)
	v_add_u32_e32 v62, v62, v10
	v_lshlrev_b64 v[62:63], 3, v[62:63]
	v_add_co_u32_e32 v62, vcc, s82, v62
	v_addc_co_u32_e32 v63, vcc, v151, v63, vcc
	s_waitcnt lgkmcnt(0)
	global_store_dwordx2 v[62:63], v[60:61], off
	s_or_b64 exec, exec, s[36:37]
	s_and_saveexec_b64 s[36:37], s[50:51]
	s_cbranch_execnz .LBB603_589
.LBB603_574:                            ;   in Loop: Header=BB603_392 Depth=2
	s_or_b64 exec, exec, s[36:37]
	s_and_saveexec_b64 s[36:37], s[52:53]
	s_cbranch_execz .LBB603_590
.LBB603_575:                            ;   in Loop: Header=BB603_392 Depth=2
	v_lshlrev_b32_e32 v60, 2, v139
	ds_read_b32 v62, v60
	v_add_u32_e32 v60, v72, v3
	ds_read_b64 v[60:61], v60 offset:16384
	v_mov_b32_e32 v63, v4
	v_mov_b32_e32 v151, s83
	s_waitcnt lgkmcnt(1)
	v_add_u32_e32 v62, v62, v14
	v_lshlrev_b64 v[62:63], 3, v[62:63]
	v_add_co_u32_e32 v62, vcc, s82, v62
	v_addc_co_u32_e32 v63, vcc, v151, v63, vcc
	s_waitcnt lgkmcnt(0)
	global_store_dwordx2 v[62:63], v[60:61], off
	s_or_b64 exec, exec, s[36:37]
	s_and_saveexec_b64 s[36:37], s[54:55]
	s_cbranch_execnz .LBB603_591
.LBB603_576:                            ;   in Loop: Header=BB603_392 Depth=2
	s_or_b64 exec, exec, s[36:37]
	s_and_saveexec_b64 s[36:37], s[56:57]
	s_cbranch_execz .LBB603_592
.LBB603_577:                            ;   in Loop: Header=BB603_392 Depth=2
	v_lshlrev_b32_e32 v60, 2, v137
	ds_read_b32 v62, v60
	v_add_u32_e32 v60, v72, v3
	ds_read_b64 v[60:61], v60 offset:20480
	v_mov_b32_e32 v63, v4
	v_mov_b32_e32 v151, s83
	s_waitcnt lgkmcnt(1)
	v_add_u32_e32 v62, v62, v18
	v_lshlrev_b64 v[62:63], 3, v[62:63]
	v_add_co_u32_e32 v62, vcc, s82, v62
	v_addc_co_u32_e32 v63, vcc, v151, v63, vcc
	s_waitcnt lgkmcnt(0)
	global_store_dwordx2 v[62:63], v[60:61], off
	s_or_b64 exec, exec, s[36:37]
	s_and_saveexec_b64 s[36:37], s[58:59]
	s_cbranch_execnz .LBB603_593
.LBB603_578:                            ;   in Loop: Header=BB603_392 Depth=2
	s_or_b64 exec, exec, s[36:37]
	s_and_saveexec_b64 s[36:37], s[60:61]
	s_cbranch_execz .LBB603_594
.LBB603_579:                            ;   in Loop: Header=BB603_392 Depth=2
	v_lshlrev_b32_e32 v60, 2, v135
	ds_read_b32 v62, v60
	v_add_u32_e32 v60, v72, v3
	ds_read_b64 v[60:61], v60 offset:24576
	v_mov_b32_e32 v63, v4
	v_mov_b32_e32 v151, s83
	s_waitcnt lgkmcnt(1)
	v_add_u32_e32 v62, v62, v22
	v_lshlrev_b64 v[62:63], 3, v[62:63]
	v_add_co_u32_e32 v62, vcc, s82, v62
	v_addc_co_u32_e32 v63, vcc, v151, v63, vcc
	s_waitcnt lgkmcnt(0)
	global_store_dwordx2 v[62:63], v[60:61], off
	s_or_b64 exec, exec, s[36:37]
	s_and_saveexec_b64 s[36:37], s[62:63]
	s_cbranch_execnz .LBB603_595
.LBB603_580:                            ;   in Loop: Header=BB603_392 Depth=2
	s_or_b64 exec, exec, s[36:37]
	s_and_saveexec_b64 s[36:37], s[64:65]
	s_cbranch_execz .LBB603_596
.LBB603_581:                            ;   in Loop: Header=BB603_392 Depth=2
	v_lshlrev_b32_e32 v60, 2, v133
	ds_read_b32 v62, v60
	v_add_u32_e32 v60, v72, v3
	ds_read_b64 v[60:61], v60 offset:28672
	v_mov_b32_e32 v63, v4
	v_mov_b32_e32 v151, s83
	s_waitcnt lgkmcnt(1)
	v_add_u32_e32 v62, v62, v26
	v_lshlrev_b64 v[62:63], 3, v[62:63]
	v_add_co_u32_e32 v62, vcc, s82, v62
	v_addc_co_u32_e32 v63, vcc, v151, v63, vcc
	s_waitcnt lgkmcnt(0)
	global_store_dwordx2 v[62:63], v[60:61], off
	s_or_b64 exec, exec, s[36:37]
	s_and_saveexec_b64 s[36:37], s[66:67]
	s_cbranch_execnz .LBB603_597
	s_branch .LBB603_598
.LBB603_582:                            ;   in Loop: Header=BB603_392 Depth=2
	s_or_b64 exec, exec, s[78:79]
	s_and_saveexec_b64 s[36:37], s[38:39]
	s_cbranch_execz .LBB603_568
.LBB603_583:                            ;   in Loop: Header=BB603_392 Depth=2
	v_lshlrev_b32_e32 v60, 2, v147
	ds_read_b32 v62, v60
	v_add_u32_e32 v60, v72, v3
	ds_read_b64 v[60:61], v60 offset:2048
	v_mov_b32_e32 v63, v4
	v_mov_b32_e32 v151, s83
	s_waitcnt lgkmcnt(1)
	v_add_u32_e32 v62, v62, v7
	v_lshlrev_b64 v[62:63], 3, v[62:63]
	v_add_co_u32_e32 v62, vcc, s82, v62
	v_addc_co_u32_e32 v63, vcc, v151, v63, vcc
	s_waitcnt lgkmcnt(0)
	global_store_dwordx2 v[62:63], v[60:61], off
	s_or_b64 exec, exec, s[36:37]
	s_and_saveexec_b64 s[36:37], s[40:41]
	s_cbranch_execnz .LBB603_569
.LBB603_584:                            ;   in Loop: Header=BB603_392 Depth=2
	s_or_b64 exec, exec, s[36:37]
	s_and_saveexec_b64 s[36:37], s[42:43]
	s_cbranch_execz .LBB603_570
.LBB603_585:                            ;   in Loop: Header=BB603_392 Depth=2
	v_lshlrev_b32_e32 v60, 2, v144
	ds_read_b32 v62, v60
	v_add_u32_e32 v60, v72, v3
	ds_read_b64 v[60:61], v60 offset:6144
	v_mov_b32_e32 v63, v4
	v_mov_b32_e32 v151, s83
	s_waitcnt lgkmcnt(1)
	v_add_u32_e32 v62, v62, v11
	v_lshlrev_b64 v[62:63], 3, v[62:63]
	v_add_co_u32_e32 v62, vcc, s82, v62
	v_addc_co_u32_e32 v63, vcc, v151, v63, vcc
	s_waitcnt lgkmcnt(0)
	global_store_dwordx2 v[62:63], v[60:61], off
	s_or_b64 exec, exec, s[36:37]
	s_and_saveexec_b64 s[36:37], s[44:45]
	s_cbranch_execnz .LBB603_571
.LBB603_586:                            ;   in Loop: Header=BB603_392 Depth=2
	s_or_b64 exec, exec, s[36:37]
	s_and_saveexec_b64 s[36:37], s[46:47]
	s_cbranch_execz .LBB603_572
.LBB603_587:                            ;   in Loop: Header=BB603_392 Depth=2
	v_lshlrev_b32_e32 v60, 2, v142
	ds_read_b32 v62, v60
	v_add_u32_e32 v60, v72, v3
	ds_read_b64 v[60:61], v60 offset:10240
	v_mov_b32_e32 v63, v4
	v_mov_b32_e32 v151, s83
	s_waitcnt lgkmcnt(1)
	v_add_u32_e32 v62, v62, v8
	v_lshlrev_b64 v[62:63], 3, v[62:63]
	v_add_co_u32_e32 v62, vcc, s82, v62
	v_addc_co_u32_e32 v63, vcc, v151, v63, vcc
	s_waitcnt lgkmcnt(0)
	global_store_dwordx2 v[62:63], v[60:61], off
	s_or_b64 exec, exec, s[36:37]
	s_and_saveexec_b64 s[36:37], s[48:49]
	s_cbranch_execnz .LBB603_573
.LBB603_588:                            ;   in Loop: Header=BB603_392 Depth=2
	s_or_b64 exec, exec, s[36:37]
	s_and_saveexec_b64 s[36:37], s[50:51]
	s_cbranch_execz .LBB603_574
.LBB603_589:                            ;   in Loop: Header=BB603_392 Depth=2
	v_lshlrev_b32_e32 v60, 2, v140
	ds_read_b32 v62, v60
	v_add_u32_e32 v60, v72, v3
	ds_read_b64 v[60:61], v60 offset:14336
	v_mov_b32_e32 v63, v4
	v_mov_b32_e32 v151, s83
	s_waitcnt lgkmcnt(1)
	v_add_u32_e32 v62, v62, v12
	v_lshlrev_b64 v[62:63], 3, v[62:63]
	v_add_co_u32_e32 v62, vcc, s82, v62
	v_addc_co_u32_e32 v63, vcc, v151, v63, vcc
	s_waitcnt lgkmcnt(0)
	global_store_dwordx2 v[62:63], v[60:61], off
	s_or_b64 exec, exec, s[36:37]
	s_and_saveexec_b64 s[36:37], s[52:53]
	s_cbranch_execnz .LBB603_575
.LBB603_590:                            ;   in Loop: Header=BB603_392 Depth=2
	s_or_b64 exec, exec, s[36:37]
	s_and_saveexec_b64 s[36:37], s[54:55]
	s_cbranch_execz .LBB603_576
.LBB603_591:                            ;   in Loop: Header=BB603_392 Depth=2
	v_lshlrev_b32_e32 v60, 2, v138
	ds_read_b32 v62, v60
	v_add_u32_e32 v60, v72, v3
	ds_read_b64 v[60:61], v60 offset:18432
	v_mov_b32_e32 v63, v4
	v_mov_b32_e32 v151, s83
	s_waitcnt lgkmcnt(1)
	v_add_u32_e32 v62, v62, v16
	v_lshlrev_b64 v[62:63], 3, v[62:63]
	v_add_co_u32_e32 v62, vcc, s82, v62
	v_addc_co_u32_e32 v63, vcc, v151, v63, vcc
	s_waitcnt lgkmcnt(0)
	global_store_dwordx2 v[62:63], v[60:61], off
	s_or_b64 exec, exec, s[36:37]
	s_and_saveexec_b64 s[36:37], s[56:57]
	s_cbranch_execnz .LBB603_577
.LBB603_592:                            ;   in Loop: Header=BB603_392 Depth=2
	s_or_b64 exec, exec, s[36:37]
	s_and_saveexec_b64 s[36:37], s[58:59]
	s_cbranch_execz .LBB603_578
.LBB603_593:                            ;   in Loop: Header=BB603_392 Depth=2
	v_lshlrev_b32_e32 v60, 2, v136
	ds_read_b32 v62, v60
	v_add_u32_e32 v60, v72, v3
	ds_read_b64 v[60:61], v60 offset:22528
	v_mov_b32_e32 v63, v4
	v_mov_b32_e32 v151, s83
	s_waitcnt lgkmcnt(1)
	v_add_u32_e32 v62, v62, v20
	v_lshlrev_b64 v[62:63], 3, v[62:63]
	v_add_co_u32_e32 v62, vcc, s82, v62
	v_addc_co_u32_e32 v63, vcc, v151, v63, vcc
	s_waitcnt lgkmcnt(0)
	global_store_dwordx2 v[62:63], v[60:61], off
	s_or_b64 exec, exec, s[36:37]
	s_and_saveexec_b64 s[36:37], s[60:61]
	s_cbranch_execnz .LBB603_579
.LBB603_594:                            ;   in Loop: Header=BB603_392 Depth=2
	s_or_b64 exec, exec, s[36:37]
	s_and_saveexec_b64 s[36:37], s[62:63]
	s_cbranch_execz .LBB603_580
.LBB603_595:                            ;   in Loop: Header=BB603_392 Depth=2
	v_lshlrev_b32_e32 v60, 2, v134
	ds_read_b32 v62, v60
	v_add_u32_e32 v60, v72, v3
	ds_read_b64 v[60:61], v60 offset:26624
	v_mov_b32_e32 v63, v4
	v_mov_b32_e32 v151, s83
	s_waitcnt lgkmcnt(1)
	v_add_u32_e32 v62, v62, v24
	v_lshlrev_b64 v[62:63], 3, v[62:63]
	v_add_co_u32_e32 v62, vcc, s82, v62
	v_addc_co_u32_e32 v63, vcc, v151, v63, vcc
	s_waitcnt lgkmcnt(0)
	global_store_dwordx2 v[62:63], v[60:61], off
	s_or_b64 exec, exec, s[36:37]
	s_and_saveexec_b64 s[36:37], s[64:65]
	s_cbranch_execnz .LBB603_581
.LBB603_596:                            ;   in Loop: Header=BB603_392 Depth=2
	s_or_b64 exec, exec, s[36:37]
	s_and_saveexec_b64 s[36:37], s[66:67]
	s_cbranch_execz .LBB603_598
.LBB603_597:                            ;   in Loop: Header=BB603_392 Depth=2
	v_lshlrev_b32_e32 v60, 2, v132
	ds_read_b32 v62, v60
	v_add_u32_e32 v60, v72, v3
	ds_read_b64 v[60:61], v60 offset:30720
	v_mov_b32_e32 v63, v4
	v_mov_b32_e32 v151, s83
	s_waitcnt lgkmcnt(1)
	v_add_u32_e32 v62, v62, v28
	v_lshlrev_b64 v[62:63], 3, v[62:63]
	v_add_co_u32_e32 v62, vcc, s82, v62
	v_addc_co_u32_e32 v63, vcc, v151, v63, vcc
	s_waitcnt lgkmcnt(0)
	global_store_dwordx2 v[62:63], v[60:61], off
.LBB603_598:                            ;   in Loop: Header=BB603_392 Depth=2
	s_or_b64 exec, exec, s[36:37]
	s_barrier
	s_and_saveexec_b64 s[36:37], s[4:5]
	s_cbranch_execz .LBB603_391
; %bb.599:                              ;   in Loop: Header=BB603_392 Depth=2
	ds_read_b32 v60, v3
	s_waitcnt lgkmcnt(0)
	v_add_u32_e32 v5, v60, v5
	ds_write_b32 v3, v5
	s_branch .LBB603_391
.LBB603_600:                            ;   in Loop: Header=BB603_12 Depth=1
	s_waitcnt lgkmcnt(0)
	s_barrier
.LBB603_601:                            ;   in Loop: Header=BB603_12 Depth=1
	s_mov_b64 s[16:17], 0
.LBB603_602:                            ;   in Loop: Header=BB603_12 Depth=1
	s_andn2_b64 vcc, exec, s[16:17]
	s_cbranch_vccnz .LBB603_11
; %bb.603:                              ;   in Loop: Header=BB603_12 Depth=1
	s_mov_b64 s[16:17], -1
	s_and_b64 vcc, exec, s[70:71]
	s_cbranch_vccz .LBB603_897
; %bb.604:                              ;   in Loop: Header=BB603_12 Depth=1
	s_mov_b32 s22, s87
	s_mov_b32 s88, s69
	s_barrier
	s_waitcnt lgkmcnt(0)
                                        ; implicit-def: $vgpr44
                                        ; implicit-def: $vgpr5
                                        ; implicit-def: $vgpr30
                                        ; implicit-def: $vgpr31
                                        ; implicit-def: $vgpr32
                                        ; implicit-def: $vgpr33
                                        ; implicit-def: $vgpr34
                                        ; implicit-def: $vgpr35
                                        ; implicit-def: $vgpr36
                                        ; implicit-def: $vgpr37
                                        ; implicit-def: $vgpr38
                                        ; implicit-def: $vgpr39
                                        ; implicit-def: $vgpr40
                                        ; implicit-def: $vgpr41
                                        ; implicit-def: $vgpr42
                                        ; implicit-def: $vgpr43
	s_branch .LBB603_606
.LBB603_605:                            ;   in Loop: Header=BB603_606 Depth=2
	s_or_b64 exec, exec, s[16:17]
	s_addk_i32 s22, 0xf000
	s_cmp_ge_u32 s23, s92
	s_mov_b32 s88, s23
	s_cbranch_scc1 .LBB603_676
.LBB603_606:                            ;   Parent Loop BB603_12 Depth=1
                                        ; =>  This Inner Loop Header: Depth=2
	s_add_i32 s23, s88, 0x1000
	s_cmp_gt_u32 s23, s92
	s_cbranch_scc1 .LBB603_609
; %bb.607:                              ;   in Loop: Header=BB603_606 Depth=2
	s_lshl_b64 s[16:17], s[88:89], 2
	v_mov_b32_e32 v1, s17
	v_add_co_u32_e32 v0, vcc, s16, v80
	v_addc_co_u32_e32 v1, vcc, v81, v1, vcc
	s_waitcnt vmcnt(6)
	v_add_co_u32_e32 v54, vcc, 0x1000, v0
	s_waitcnt vmcnt(5)
	v_addc_co_u32_e32 v55, vcc, 0, v1, vcc
	v_add_co_u32_e32 v62, vcc, s84, v0
	v_addc_co_u32_e32 v63, vcc, 0, v1, vcc
	global_load_dword v46, v[0:1], off
	global_load_dword v47, v[0:1], off offset:1024
	global_load_dword v48, v[0:1], off offset:2048
	;; [unrolled: 1-line block ×3, first 2 shown]
	global_load_dword v50, v[54:55], off
	global_load_dword v51, v[54:55], off offset:1024
	global_load_dword v52, v[54:55], off offset:2048
	;; [unrolled: 1-line block ×3, first 2 shown]
	v_add_co_u32_e32 v128, vcc, 0x3000, v0
	v_addc_co_u32_e32 v129, vcc, 0, v1, vcc
	global_load_dword v54, v[62:63], off
	global_load_dword v55, v[62:63], off offset:1024
	global_load_dword v56, v[62:63], off offset:2048
	;; [unrolled: 1-line block ×3, first 2 shown]
	global_load_dword v58, v[128:129], off
	global_load_dword v59, v[128:129], off offset:1024
	global_load_dword v60, v[128:129], off offset:2048
	v_add_co_u32_e32 v0, vcc, 0x3c00, v0
	s_movk_i32 s24, 0x1000
	v_addc_co_u32_e32 v1, vcc, 0, v1, vcc
	s_mov_b64 s[16:17], -1
	s_cbranch_execz .LBB603_610
; %bb.608:                              ;   in Loop: Header=BB603_606 Depth=2
                                        ; implicit-def: $vgpr43
                                        ; implicit-def: $vgpr42
                                        ; implicit-def: $vgpr41
                                        ; implicit-def: $vgpr40
                                        ; implicit-def: $vgpr39
                                        ; implicit-def: $vgpr38
                                        ; implicit-def: $vgpr37
                                        ; implicit-def: $vgpr36
                                        ; implicit-def: $vgpr35
                                        ; implicit-def: $vgpr34
                                        ; implicit-def: $vgpr33
                                        ; implicit-def: $vgpr32
                                        ; implicit-def: $vgpr31
                                        ; implicit-def: $vgpr30
                                        ; implicit-def: $vgpr5
                                        ; implicit-def: $vgpr44
	v_mov_b32_e32 v45, s22
	s_and_saveexec_b64 s[18:19], s[16:17]
	s_cbranch_execnz .LBB603_629
	s_branch .LBB603_630
.LBB603_609:                            ;   in Loop: Header=BB603_606 Depth=2
	s_mov_b64 s[16:17], 0
                                        ; implicit-def: $sgpr24
                                        ; implicit-def: $vgpr46
                                        ; implicit-def: $vgpr47
                                        ; implicit-def: $vgpr48
                                        ; implicit-def: $vgpr49
                                        ; implicit-def: $vgpr50
                                        ; implicit-def: $vgpr51
                                        ; implicit-def: $vgpr52
                                        ; implicit-def: $vgpr53
                                        ; implicit-def: $vgpr54
                                        ; implicit-def: $vgpr55
                                        ; implicit-def: $vgpr56
                                        ; implicit-def: $vgpr57
                                        ; implicit-def: $vgpr58
                                        ; implicit-def: $vgpr59
                                        ; implicit-def: $vgpr60
                                        ; implicit-def: $vgpr0_vgpr1
.LBB603_610:                            ;   in Loop: Header=BB603_606 Depth=2
	s_lshl_b64 s[18:19], s[88:89], 2
	s_add_u32 s18, s72, s18
	s_addc_u32 s19, s73, s19
	v_cmp_gt_u32_e32 vcc, s22, v2
	s_and_saveexec_b64 s[20:21], vcc
	s_cbranch_execz .LBB603_662
; %bb.611:                              ;   in Loop: Header=BB603_606 Depth=2
	global_load_dword v43, v88, s[18:19]
	s_or_b64 exec, exec, s[20:21]
	v_cmp_gt_u32_e32 vcc, s22, v7
	s_and_saveexec_b64 s[20:21], vcc
	s_cbranch_execnz .LBB603_663
.LBB603_612:                            ;   in Loop: Header=BB603_606 Depth=2
	s_or_b64 exec, exec, s[20:21]
	v_cmp_gt_u32_e32 vcc, s22, v9
	s_and_saveexec_b64 s[20:21], vcc
	s_cbranch_execz .LBB603_664
.LBB603_613:                            ;   in Loop: Header=BB603_606 Depth=2
	global_load_dword v41, v88, s[18:19] offset:2048
	s_or_b64 exec, exec, s[20:21]
	v_cmp_gt_u32_e32 vcc, s22, v11
	s_and_saveexec_b64 s[20:21], vcc
	s_cbranch_execnz .LBB603_665
.LBB603_614:                            ;   in Loop: Header=BB603_606 Depth=2
	s_or_b64 exec, exec, s[20:21]
	v_cmp_gt_u32_e32 vcc, s22, v6
	s_and_saveexec_b64 s[20:21], vcc
	s_cbranch_execz .LBB603_666
.LBB603_615:                            ;   in Loop: Header=BB603_606 Depth=2
	global_load_dword v39, v89, s[18:19]
	s_or_b64 exec, exec, s[20:21]
	v_cmp_gt_u32_e32 vcc, s22, v8
	s_and_saveexec_b64 s[20:21], vcc
	s_cbranch_execnz .LBB603_667
.LBB603_616:                            ;   in Loop: Header=BB603_606 Depth=2
	s_or_b64 exec, exec, s[20:21]
	v_cmp_gt_u32_e32 vcc, s22, v10
	s_and_saveexec_b64 s[20:21], vcc
	s_cbranch_execz .LBB603_668
.LBB603_617:                            ;   in Loop: Header=BB603_606 Depth=2
	global_load_dword v37, v91, s[18:19]
	s_or_b64 exec, exec, s[20:21]
	v_cmp_gt_u32_e32 vcc, s22, v12
	s_and_saveexec_b64 s[20:21], vcc
	s_cbranch_execnz .LBB603_669
.LBB603_618:                            ;   in Loop: Header=BB603_606 Depth=2
	s_or_b64 exec, exec, s[20:21]
	v_cmp_gt_u32_e32 vcc, s22, v14
	s_and_saveexec_b64 s[20:21], vcc
	s_cbranch_execz .LBB603_670
.LBB603_619:                            ;   in Loop: Header=BB603_606 Depth=2
	global_load_dword v35, v93, s[18:19]
	s_or_b64 exec, exec, s[20:21]
	v_cmp_gt_u32_e32 vcc, s22, v16
	s_and_saveexec_b64 s[20:21], vcc
	s_cbranch_execnz .LBB603_671
.LBB603_620:                            ;   in Loop: Header=BB603_606 Depth=2
	s_or_b64 exec, exec, s[20:21]
	v_cmp_gt_u32_e32 vcc, s22, v18
	s_and_saveexec_b64 s[20:21], vcc
	s_cbranch_execz .LBB603_672
.LBB603_621:                            ;   in Loop: Header=BB603_606 Depth=2
	global_load_dword v33, v95, s[18:19]
	s_or_b64 exec, exec, s[20:21]
	v_cmp_gt_u32_e32 vcc, s22, v20
	s_and_saveexec_b64 s[20:21], vcc
	s_cbranch_execnz .LBB603_673
.LBB603_622:                            ;   in Loop: Header=BB603_606 Depth=2
	s_or_b64 exec, exec, s[20:21]
	v_cmp_gt_u32_e32 vcc, s22, v22
	s_and_saveexec_b64 s[20:21], vcc
	s_cbranch_execz .LBB603_674
.LBB603_623:                            ;   in Loop: Header=BB603_606 Depth=2
	global_load_dword v31, v97, s[18:19]
	s_or_b64 exec, exec, s[20:21]
	v_cmp_gt_u32_e32 vcc, s22, v24
	s_and_saveexec_b64 s[20:21], vcc
	s_cbranch_execnz .LBB603_675
.LBB603_624:                            ;   in Loop: Header=BB603_606 Depth=2
	s_or_b64 exec, exec, s[20:21]
	v_cmp_gt_u32_e32 vcc, s22, v26
	s_and_saveexec_b64 s[20:21], vcc
	s_cbranch_execz .LBB603_626
.LBB603_625:                            ;   in Loop: Header=BB603_606 Depth=2
	global_load_dword v5, v99, s[18:19]
.LBB603_626:                            ;   in Loop: Header=BB603_606 Depth=2
	s_or_b64 exec, exec, s[20:21]
	v_cmp_gt_u32_e32 vcc, s22, v28
                                        ; implicit-def: $sgpr24
                                        ; implicit-def: $vgpr0_vgpr1
	s_and_saveexec_b64 s[20:21], vcc
; %bb.627:                              ;   in Loop: Header=BB603_606 Depth=2
	v_mov_b32_e32 v1, s19
	v_add_co_u32_e32 v0, vcc, s18, v100
	s_sub_i32 s24, s92, s88
	v_addc_co_u32_e32 v1, vcc, 0, v1, vcc
	s_or_b64 s[16:17], s[16:17], exec
                                        ; implicit-def: $vgpr44
; %bb.628:                              ;   in Loop: Header=BB603_606 Depth=2
	s_or_b64 exec, exec, s[20:21]
	s_waitcnt vmcnt(0)
	v_mov_b32_e32 v46, v43
	v_mov_b32_e32 v47, v42
	;; [unrolled: 1-line block ×16, first 2 shown]
	s_and_saveexec_b64 s[18:19], s[16:17]
	s_cbranch_execz .LBB603_630
.LBB603_629:                            ;   in Loop: Header=BB603_606 Depth=2
	global_load_dword v44, v[0:1], off
	v_mov_b32_e32 v45, s24
	s_waitcnt vmcnt(1)
	v_mov_b32_e32 v5, v60
	v_mov_b32_e32 v30, v59
	;; [unrolled: 1-line block ×15, first 2 shown]
.LBB603_630:                            ;   in Loop: Header=BB603_606 Depth=2
	s_or_b64 exec, exec, s[18:19]
	v_cmp_lt_u32_e32 vcc, v2, v45
	s_and_saveexec_b64 s[16:17], vcc
	s_cbranch_execz .LBB603_646
; %bb.631:                              ;   in Loop: Header=BB603_606 Depth=2
	v_xor_b32_e32 v0, 0x80000000, v43
	v_lshrrev_b32_e32 v0, s85, v0
	v_and_b32_e32 v0, s94, v0
	v_lshl_or_b32 v0, v0, 4, v86
	ds_add_u32 v0, v87
	s_or_b64 exec, exec, s[16:17]
	v_cmp_lt_u32_e32 vcc, v7, v45
	s_and_saveexec_b64 s[16:17], vcc
	s_cbranch_execnz .LBB603_647
.LBB603_632:                            ;   in Loop: Header=BB603_606 Depth=2
	s_or_b64 exec, exec, s[16:17]
	v_cmp_lt_u32_e32 vcc, v9, v45
	s_and_saveexec_b64 s[16:17], vcc
	s_cbranch_execz .LBB603_648
.LBB603_633:                            ;   in Loop: Header=BB603_606 Depth=2
	v_xor_b32_e32 v0, 0x80000000, v41
	v_lshrrev_b32_e32 v0, s85, v0
	v_and_b32_e32 v0, s94, v0
	v_lshl_or_b32 v0, v0, 4, v86
	ds_add_u32 v0, v87
	s_or_b64 exec, exec, s[16:17]
	v_cmp_lt_u32_e32 vcc, v11, v45
	s_and_saveexec_b64 s[16:17], vcc
	s_cbranch_execnz .LBB603_649
.LBB603_634:                            ;   in Loop: Header=BB603_606 Depth=2
	s_or_b64 exec, exec, s[16:17]
	v_cmp_lt_u32_e32 vcc, v6, v45
	s_and_saveexec_b64 s[16:17], vcc
	s_cbranch_execz .LBB603_650
.LBB603_635:                            ;   in Loop: Header=BB603_606 Depth=2
	v_xor_b32_e32 v0, 0x80000000, v39
	v_lshrrev_b32_e32 v0, s85, v0
	v_and_b32_e32 v0, s94, v0
	v_lshl_or_b32 v0, v0, 4, v86
	ds_add_u32 v0, v87
	s_or_b64 exec, exec, s[16:17]
	v_cmp_lt_u32_e32 vcc, v8, v45
	s_and_saveexec_b64 s[16:17], vcc
	s_cbranch_execnz .LBB603_651
.LBB603_636:                            ;   in Loop: Header=BB603_606 Depth=2
	s_or_b64 exec, exec, s[16:17]
	v_cmp_lt_u32_e32 vcc, v10, v45
	s_and_saveexec_b64 s[16:17], vcc
	s_cbranch_execz .LBB603_652
.LBB603_637:                            ;   in Loop: Header=BB603_606 Depth=2
	v_xor_b32_e32 v0, 0x80000000, v37
	v_lshrrev_b32_e32 v0, s85, v0
	v_and_b32_e32 v0, s94, v0
	v_lshl_or_b32 v0, v0, 4, v86
	ds_add_u32 v0, v87
	s_or_b64 exec, exec, s[16:17]
	v_cmp_lt_u32_e32 vcc, v12, v45
	s_and_saveexec_b64 s[16:17], vcc
	s_cbranch_execnz .LBB603_653
.LBB603_638:                            ;   in Loop: Header=BB603_606 Depth=2
	s_or_b64 exec, exec, s[16:17]
	v_cmp_lt_u32_e32 vcc, v14, v45
	s_and_saveexec_b64 s[16:17], vcc
	s_cbranch_execz .LBB603_654
.LBB603_639:                            ;   in Loop: Header=BB603_606 Depth=2
	v_xor_b32_e32 v0, 0x80000000, v35
	v_lshrrev_b32_e32 v0, s85, v0
	v_and_b32_e32 v0, s94, v0
	v_lshl_or_b32 v0, v0, 4, v86
	ds_add_u32 v0, v87
	s_or_b64 exec, exec, s[16:17]
	v_cmp_lt_u32_e32 vcc, v16, v45
	s_and_saveexec_b64 s[16:17], vcc
	s_cbranch_execnz .LBB603_655
.LBB603_640:                            ;   in Loop: Header=BB603_606 Depth=2
	s_or_b64 exec, exec, s[16:17]
	v_cmp_lt_u32_e32 vcc, v18, v45
	s_and_saveexec_b64 s[16:17], vcc
	s_cbranch_execz .LBB603_656
.LBB603_641:                            ;   in Loop: Header=BB603_606 Depth=2
	v_xor_b32_e32 v0, 0x80000000, v33
	v_lshrrev_b32_e32 v0, s85, v0
	v_and_b32_e32 v0, s94, v0
	v_lshl_or_b32 v0, v0, 4, v86
	ds_add_u32 v0, v87
	s_or_b64 exec, exec, s[16:17]
	v_cmp_lt_u32_e32 vcc, v20, v45
	s_and_saveexec_b64 s[16:17], vcc
	s_cbranch_execnz .LBB603_657
.LBB603_642:                            ;   in Loop: Header=BB603_606 Depth=2
	s_or_b64 exec, exec, s[16:17]
	v_cmp_lt_u32_e32 vcc, v22, v45
	s_and_saveexec_b64 s[16:17], vcc
	s_cbranch_execz .LBB603_658
.LBB603_643:                            ;   in Loop: Header=BB603_606 Depth=2
	v_xor_b32_e32 v0, 0x80000000, v31
	v_lshrrev_b32_e32 v0, s85, v0
	v_and_b32_e32 v0, s94, v0
	v_lshl_or_b32 v0, v0, 4, v86
	ds_add_u32 v0, v87
	s_or_b64 exec, exec, s[16:17]
	v_cmp_lt_u32_e32 vcc, v24, v45
	s_and_saveexec_b64 s[16:17], vcc
	s_cbranch_execnz .LBB603_659
.LBB603_644:                            ;   in Loop: Header=BB603_606 Depth=2
	s_or_b64 exec, exec, s[16:17]
	v_cmp_lt_u32_e32 vcc, v26, v45
	s_and_saveexec_b64 s[16:17], vcc
	s_cbranch_execz .LBB603_660
.LBB603_645:                            ;   in Loop: Header=BB603_606 Depth=2
	v_xor_b32_e32 v0, 0x80000000, v5
	v_lshrrev_b32_e32 v0, s85, v0
	v_and_b32_e32 v0, s94, v0
	v_lshl_or_b32 v0, v0, 4, v86
	ds_add_u32 v0, v87
	s_or_b64 exec, exec, s[16:17]
	v_cmp_lt_u32_e32 vcc, v28, v45
	s_and_saveexec_b64 s[16:17], vcc
	s_cbranch_execz .LBB603_605
	s_branch .LBB603_661
.LBB603_646:                            ;   in Loop: Header=BB603_606 Depth=2
	s_or_b64 exec, exec, s[16:17]
	v_cmp_lt_u32_e32 vcc, v7, v45
	s_and_saveexec_b64 s[16:17], vcc
	s_cbranch_execz .LBB603_632
.LBB603_647:                            ;   in Loop: Header=BB603_606 Depth=2
	v_xor_b32_e32 v0, 0x80000000, v42
	v_lshrrev_b32_e32 v0, s85, v0
	v_and_b32_e32 v0, s94, v0
	v_lshl_or_b32 v0, v0, 4, v86
	ds_add_u32 v0, v87
	s_or_b64 exec, exec, s[16:17]
	v_cmp_lt_u32_e32 vcc, v9, v45
	s_and_saveexec_b64 s[16:17], vcc
	s_cbranch_execnz .LBB603_633
.LBB603_648:                            ;   in Loop: Header=BB603_606 Depth=2
	s_or_b64 exec, exec, s[16:17]
	v_cmp_lt_u32_e32 vcc, v11, v45
	s_and_saveexec_b64 s[16:17], vcc
	s_cbranch_execz .LBB603_634
.LBB603_649:                            ;   in Loop: Header=BB603_606 Depth=2
	v_xor_b32_e32 v0, 0x80000000, v40
	v_lshrrev_b32_e32 v0, s85, v0
	v_and_b32_e32 v0, s94, v0
	v_lshl_or_b32 v0, v0, 4, v86
	ds_add_u32 v0, v87
	s_or_b64 exec, exec, s[16:17]
	v_cmp_lt_u32_e32 vcc, v6, v45
	s_and_saveexec_b64 s[16:17], vcc
	s_cbranch_execnz .LBB603_635
.LBB603_650:                            ;   in Loop: Header=BB603_606 Depth=2
	s_or_b64 exec, exec, s[16:17]
	v_cmp_lt_u32_e32 vcc, v8, v45
	s_and_saveexec_b64 s[16:17], vcc
	s_cbranch_execz .LBB603_636
.LBB603_651:                            ;   in Loop: Header=BB603_606 Depth=2
	v_xor_b32_e32 v0, 0x80000000, v38
	v_lshrrev_b32_e32 v0, s85, v0
	v_and_b32_e32 v0, s94, v0
	v_lshl_or_b32 v0, v0, 4, v86
	ds_add_u32 v0, v87
	s_or_b64 exec, exec, s[16:17]
	v_cmp_lt_u32_e32 vcc, v10, v45
	s_and_saveexec_b64 s[16:17], vcc
	s_cbranch_execnz .LBB603_637
.LBB603_652:                            ;   in Loop: Header=BB603_606 Depth=2
	s_or_b64 exec, exec, s[16:17]
	v_cmp_lt_u32_e32 vcc, v12, v45
	s_and_saveexec_b64 s[16:17], vcc
	s_cbranch_execz .LBB603_638
.LBB603_653:                            ;   in Loop: Header=BB603_606 Depth=2
	v_xor_b32_e32 v0, 0x80000000, v36
	v_lshrrev_b32_e32 v0, s85, v0
	v_and_b32_e32 v0, s94, v0
	v_lshl_or_b32 v0, v0, 4, v86
	ds_add_u32 v0, v87
	s_or_b64 exec, exec, s[16:17]
	v_cmp_lt_u32_e32 vcc, v14, v45
	s_and_saveexec_b64 s[16:17], vcc
	s_cbranch_execnz .LBB603_639
.LBB603_654:                            ;   in Loop: Header=BB603_606 Depth=2
	s_or_b64 exec, exec, s[16:17]
	v_cmp_lt_u32_e32 vcc, v16, v45
	s_and_saveexec_b64 s[16:17], vcc
	s_cbranch_execz .LBB603_640
.LBB603_655:                            ;   in Loop: Header=BB603_606 Depth=2
	v_xor_b32_e32 v0, 0x80000000, v34
	v_lshrrev_b32_e32 v0, s85, v0
	v_and_b32_e32 v0, s94, v0
	v_lshl_or_b32 v0, v0, 4, v86
	ds_add_u32 v0, v87
	s_or_b64 exec, exec, s[16:17]
	v_cmp_lt_u32_e32 vcc, v18, v45
	s_and_saveexec_b64 s[16:17], vcc
	s_cbranch_execnz .LBB603_641
.LBB603_656:                            ;   in Loop: Header=BB603_606 Depth=2
	s_or_b64 exec, exec, s[16:17]
	v_cmp_lt_u32_e32 vcc, v20, v45
	s_and_saveexec_b64 s[16:17], vcc
	s_cbranch_execz .LBB603_642
.LBB603_657:                            ;   in Loop: Header=BB603_606 Depth=2
	v_xor_b32_e32 v0, 0x80000000, v32
	v_lshrrev_b32_e32 v0, s85, v0
	v_and_b32_e32 v0, s94, v0
	v_lshl_or_b32 v0, v0, 4, v86
	ds_add_u32 v0, v87
	s_or_b64 exec, exec, s[16:17]
	v_cmp_lt_u32_e32 vcc, v22, v45
	s_and_saveexec_b64 s[16:17], vcc
	s_cbranch_execnz .LBB603_643
.LBB603_658:                            ;   in Loop: Header=BB603_606 Depth=2
	s_or_b64 exec, exec, s[16:17]
	v_cmp_lt_u32_e32 vcc, v24, v45
	s_and_saveexec_b64 s[16:17], vcc
	s_cbranch_execz .LBB603_644
.LBB603_659:                            ;   in Loop: Header=BB603_606 Depth=2
	v_xor_b32_e32 v0, 0x80000000, v30
	v_lshrrev_b32_e32 v0, s85, v0
	v_and_b32_e32 v0, s94, v0
	v_lshl_or_b32 v0, v0, 4, v86
	ds_add_u32 v0, v87
	s_or_b64 exec, exec, s[16:17]
	v_cmp_lt_u32_e32 vcc, v26, v45
	s_and_saveexec_b64 s[16:17], vcc
	s_cbranch_execnz .LBB603_645
.LBB603_660:                            ;   in Loop: Header=BB603_606 Depth=2
	s_or_b64 exec, exec, s[16:17]
	v_cmp_lt_u32_e32 vcc, v28, v45
	s_and_saveexec_b64 s[16:17], vcc
	s_cbranch_execz .LBB603_605
.LBB603_661:                            ;   in Loop: Header=BB603_606 Depth=2
	s_waitcnt vmcnt(0)
	v_xor_b32_e32 v0, 0x80000000, v44
	v_lshrrev_b32_e32 v0, s85, v0
	v_and_b32_e32 v0, s94, v0
	v_lshl_or_b32 v0, v0, 4, v86
	ds_add_u32 v0, v87
	s_branch .LBB603_605
.LBB603_662:                            ;   in Loop: Header=BB603_606 Depth=2
	s_or_b64 exec, exec, s[20:21]
	v_cmp_gt_u32_e32 vcc, s22, v7
	s_and_saveexec_b64 s[20:21], vcc
	s_cbranch_execz .LBB603_612
.LBB603_663:                            ;   in Loop: Header=BB603_606 Depth=2
	global_load_dword v42, v88, s[18:19] offset:1024
	s_or_b64 exec, exec, s[20:21]
	v_cmp_gt_u32_e32 vcc, s22, v9
	s_and_saveexec_b64 s[20:21], vcc
	s_cbranch_execnz .LBB603_613
.LBB603_664:                            ;   in Loop: Header=BB603_606 Depth=2
	s_or_b64 exec, exec, s[20:21]
	v_cmp_gt_u32_e32 vcc, s22, v11
	s_and_saveexec_b64 s[20:21], vcc
	s_cbranch_execz .LBB603_614
.LBB603_665:                            ;   in Loop: Header=BB603_606 Depth=2
	global_load_dword v40, v88, s[18:19] offset:3072
	s_or_b64 exec, exec, s[20:21]
	v_cmp_gt_u32_e32 vcc, s22, v6
	s_and_saveexec_b64 s[20:21], vcc
	s_cbranch_execnz .LBB603_615
.LBB603_666:                            ;   in Loop: Header=BB603_606 Depth=2
	s_or_b64 exec, exec, s[20:21]
	v_cmp_gt_u32_e32 vcc, s22, v8
	s_and_saveexec_b64 s[20:21], vcc
	s_cbranch_execz .LBB603_616
.LBB603_667:                            ;   in Loop: Header=BB603_606 Depth=2
	global_load_dword v38, v90, s[18:19]
	s_or_b64 exec, exec, s[20:21]
	v_cmp_gt_u32_e32 vcc, s22, v10
	s_and_saveexec_b64 s[20:21], vcc
	s_cbranch_execnz .LBB603_617
.LBB603_668:                            ;   in Loop: Header=BB603_606 Depth=2
	s_or_b64 exec, exec, s[20:21]
	v_cmp_gt_u32_e32 vcc, s22, v12
	s_and_saveexec_b64 s[20:21], vcc
	s_cbranch_execz .LBB603_618
.LBB603_669:                            ;   in Loop: Header=BB603_606 Depth=2
	global_load_dword v36, v92, s[18:19]
	s_or_b64 exec, exec, s[20:21]
	v_cmp_gt_u32_e32 vcc, s22, v14
	s_and_saveexec_b64 s[20:21], vcc
	s_cbranch_execnz .LBB603_619
.LBB603_670:                            ;   in Loop: Header=BB603_606 Depth=2
	s_or_b64 exec, exec, s[20:21]
	v_cmp_gt_u32_e32 vcc, s22, v16
	s_and_saveexec_b64 s[20:21], vcc
	s_cbranch_execz .LBB603_620
.LBB603_671:                            ;   in Loop: Header=BB603_606 Depth=2
	global_load_dword v34, v94, s[18:19]
	s_or_b64 exec, exec, s[20:21]
	v_cmp_gt_u32_e32 vcc, s22, v18
	s_and_saveexec_b64 s[20:21], vcc
	s_cbranch_execnz .LBB603_621
.LBB603_672:                            ;   in Loop: Header=BB603_606 Depth=2
	s_or_b64 exec, exec, s[20:21]
	v_cmp_gt_u32_e32 vcc, s22, v20
	s_and_saveexec_b64 s[20:21], vcc
	s_cbranch_execz .LBB603_622
.LBB603_673:                            ;   in Loop: Header=BB603_606 Depth=2
	global_load_dword v32, v96, s[18:19]
	s_or_b64 exec, exec, s[20:21]
	v_cmp_gt_u32_e32 vcc, s22, v22
	s_and_saveexec_b64 s[20:21], vcc
	s_cbranch_execnz .LBB603_623
.LBB603_674:                            ;   in Loop: Header=BB603_606 Depth=2
	s_or_b64 exec, exec, s[20:21]
	v_cmp_gt_u32_e32 vcc, s22, v24
	s_and_saveexec_b64 s[20:21], vcc
	s_cbranch_execz .LBB603_624
.LBB603_675:                            ;   in Loop: Header=BB603_606 Depth=2
	global_load_dword v30, v98, s[18:19]
	s_or_b64 exec, exec, s[20:21]
	v_cmp_gt_u32_e32 vcc, s22, v26
	s_and_saveexec_b64 s[20:21], vcc
	s_cbranch_execz .LBB603_626
	s_branch .LBB603_625
.LBB603_676:                            ;   in Loop: Header=BB603_12 Depth=1
	v_mov_b32_e32 v0, 0
	s_waitcnt lgkmcnt(0)
	s_barrier
	s_and_saveexec_b64 s[16:17], s[4:5]
	s_cbranch_execz .LBB603_678
; %bb.677:                              ;   in Loop: Header=BB603_12 Depth=1
	ds_read2_b64 v[30:33], v17 offset1:1
	s_waitcnt lgkmcnt(0)
	v_add_u32_e32 v0, v31, v30
	v_add3_u32 v0, v0, v32, v33
.LBB603_678:                            ;   in Loop: Header=BB603_12 Depth=1
	s_or_b64 exec, exec, s[16:17]
	s_nop 0
	v_mov_b32_dpp v1, v0 row_shr:1 row_mask:0xf bank_mask:0xf
	v_cmp_eq_u32_e64 s[16:17], 0, v102
	v_cndmask_b32_e64 v1, v1, 0, s[16:17]
	v_add_u32_e32 v0, v1, v0
	v_cmp_lt_u32_e64 s[18:19], 1, v102
	v_cmp_lt_u32_e64 s[20:21], 3, v102
	v_mov_b32_dpp v1, v0 row_shr:2 row_mask:0xf bank_mask:0xf
	v_cndmask_b32_e64 v1, 0, v1, s[18:19]
	v_add_u32_e32 v0, v0, v1
	v_cmp_lt_u32_e64 s[22:23], 7, v102
	v_cmp_lt_u32_e64 s[26:27], 31, v101
	v_mov_b32_dpp v1, v0 row_shr:4 row_mask:0xf bank_mask:0xf
	v_cndmask_b32_e64 v1, 0, v1, s[20:21]
	v_add_u32_e32 v0, v0, v1
	v_cmp_eq_u32_e64 s[24:25], 0, v104
	s_nop 0
	v_mov_b32_dpp v1, v0 row_shr:8 row_mask:0xf bank_mask:0xf
	v_cndmask_b32_e64 v1, 0, v1, s[22:23]
	v_add_u32_e32 v0, v0, v1
	s_nop 1
	v_mov_b32_dpp v1, v0 row_bcast:15 row_mask:0xf bank_mask:0xf
	v_and_b32_e32 v1, v103, v1
	v_add_u32_e32 v0, v0, v1
	s_nop 1
	v_mov_b32_dpp v1, v0 row_bcast:31 row_mask:0xf bank_mask:0xf
	v_cndmask_b32_e64 v1, 0, v1, s[26:27]
	v_add_u32_e32 v0, v0, v1
	s_and_saveexec_b64 s[28:29], s[6:7]
	s_cbranch_execz .LBB603_680
; %bb.679:                              ;   in Loop: Header=BB603_12 Depth=1
	ds_write_b32 v21, v0
.LBB603_680:                            ;   in Loop: Header=BB603_12 Depth=1
	s_or_b64 exec, exec, s[28:29]
	s_waitcnt lgkmcnt(0)
	s_barrier
	s_and_saveexec_b64 s[28:29], s[8:9]
	s_cbranch_execz .LBB603_682
; %bb.681:                              ;   in Loop: Header=BB603_12 Depth=1
	ds_read_b32 v1, v23
	v_cmp_ne_u32_e32 vcc, 0, v105
	s_waitcnt lgkmcnt(0)
	v_mov_b32_dpp v5, v1 row_shr:1 row_mask:0xf bank_mask:0xf
	v_cndmask_b32_e32 v5, 0, v5, vcc
	v_add_u32_e32 v1, v5, v1
	v_cmp_lt_u32_e32 vcc, 1, v105
	s_nop 0
	v_mov_b32_dpp v5, v1 row_shr:2 row_mask:0xf bank_mask:0xf
	v_cndmask_b32_e32 v5, 0, v5, vcc
	v_add_u32_e32 v1, v1, v5
	ds_write_b32 v23, v1
.LBB603_682:                            ;   in Loop: Header=BB603_12 Depth=1
	s_or_b64 exec, exec, s[28:29]
	v_mov_b32_e32 v1, 0
	s_waitcnt lgkmcnt(0)
	s_barrier
	s_and_saveexec_b64 s[28:29], s[10:11]
	s_cbranch_execz .LBB603_684
; %bb.683:                              ;   in Loop: Header=BB603_12 Depth=1
	ds_read_b32 v1, v25
.LBB603_684:                            ;   in Loop: Header=BB603_12 Depth=1
	s_or_b64 exec, exec, s[28:29]
	v_cmp_lt_i32_e32 vcc, v106, v107
	v_cndmask_b32_e32 v5, v106, v101, vcc
	s_waitcnt lgkmcnt(0)
	v_add_u32_e32 v0, v1, v0
	v_lshlrev_b32_e32 v127, 2, v5
	ds_bpermute_b32 v0, v127, v0
	v_cmp_eq_u32_e64 s[28:29], 0, v101
	s_waitcnt lgkmcnt(0)
	s_barrier
	s_and_saveexec_b64 s[30:31], s[4:5]
	s_cbranch_execz .LBB603_686
; %bb.685:                              ;   in Loop: Header=BB603_12 Depth=1
	v_cndmask_b32_e64 v0, v0, v1, s[28:29]
	v_add_u32_e32 v0, s69, v0
	ds_write_b32 v3, v0
.LBB603_686:                            ;   in Loop: Header=BB603_12 Depth=1
	s_or_b64 exec, exec, s[30:31]
	s_load_dwordx2 s[30:31], s[90:91], 0x0
	v_add_co_u32_e32 v128, vcc, v82, v108
	v_addc_co_u32_e32 v129, vcc, 0, v83, vcc
	s_waitcnt lgkmcnt(0)
	s_cmp_lt_u32 s68, s30
	s_cselect_b32 s34, 12, 18
	s_cmp_lt_u32 s33, s31
	s_cselect_b32 s30, 14, 20
	s_add_u32 s30, s90, s30
	s_addc_u32 s31, s91, 0
	s_add_u32 s34, s90, s34
	global_load_ushort v5, v4, s[30:31]
	s_addc_u32 s35, s91, 0
	global_load_ushort v60, v4, s[34:35]
	v_add_co_u32_e32 v130, vcc, v84, v125
	v_addc_co_u32_e32 v131, vcc, 0, v85, vcc
	v_add_co_u32_e32 v145, vcc, 0xf00, v130
	v_cmp_eq_u32_e64 s[30:31], 0, v105
	v_cmp_lt_u32_e64 s[34:35], 1, v105
	s_mov_b32 s95, s87
	v_addc_co_u32_e32 v148, vcc, 0, v131, vcc
	s_mov_b32 s88, s69
                                        ; implicit-def: $vgpr0_vgpr1
                                        ; implicit-def: $vgpr30_vgpr31
                                        ; implicit-def: $vgpr32_vgpr33
                                        ; implicit-def: $vgpr36_vgpr37
                                        ; implicit-def: $vgpr40_vgpr41
                                        ; implicit-def: $vgpr44_vgpr45
                                        ; implicit-def: $vgpr48_vgpr49
                                        ; implicit-def: $vgpr52_vgpr53
                                        ; implicit-def: $vgpr34_vgpr35
                                        ; implicit-def: $vgpr38_vgpr39
                                        ; implicit-def: $vgpr42_vgpr43
                                        ; implicit-def: $vgpr46_vgpr47
                                        ; implicit-def: $vgpr50_vgpr51
                                        ; implicit-def: $vgpr54_vgpr55
                                        ; implicit-def: $vgpr56_vgpr57
                                        ; implicit-def: $vgpr58_vgpr59
                                        ; implicit-def: $vgpr132
                                        ; implicit-def: $vgpr133
                                        ; implicit-def: $vgpr134
                                        ; implicit-def: $vgpr135
                                        ; implicit-def: $vgpr136
                                        ; implicit-def: $vgpr137
                                        ; implicit-def: $vgpr138
                                        ; implicit-def: $vgpr139
                                        ; implicit-def: $vgpr140
                                        ; implicit-def: $vgpr141
                                        ; implicit-def: $vgpr142
                                        ; implicit-def: $vgpr143
                                        ; implicit-def: $vgpr144
                                        ; implicit-def: $vgpr146
                                        ; implicit-def: $vgpr147
                                        ; implicit-def: $vgpr149
	s_waitcnt vmcnt(1)
	v_mad_u32_u24 v5, v27, v5, v29
	s_waitcnt vmcnt(0)
	v_mad_u64_u32 v[60:61], s[36:37], v5, v60, v[2:3]
	v_lshrrev_b32_e32 v150, 6, v60
	s_branch .LBB603_688
.LBB603_687:                            ;   in Loop: Header=BB603_688 Depth=2
	s_or_b64 exec, exec, s[36:37]
	s_addk_i32 s95, 0xf000
	s_cmp_lt_u32 s96, s92
	s_mov_b32 s88, s96
	s_cbranch_scc0 .LBB603_896
.LBB603_688:                            ;   Parent Loop BB603_12 Depth=1
                                        ; =>  This Inner Loop Header: Depth=2
	s_add_i32 s96, s88, 0x1000
	s_cmp_gt_u32 s96, s92
	s_cbranch_scc1 .LBB603_691
; %bb.689:                              ;   in Loop: Header=BB603_688 Depth=2
	s_lshl_b64 s[36:37], s[88:89], 2
	v_mov_b32_e32 v5, s37
	v_add_co_u32_e32 v60, vcc, s36, v130
	v_addc_co_u32_e32 v61, vcc, v131, v5, vcc
	global_load_dword v5, v[60:61], off
	global_load_dword v154, v[60:61], off offset:256
	global_load_dword v159, v[60:61], off offset:512
	;; [unrolled: 1-line block ×14, first 2 shown]
	s_mov_b64 s[36:37], -1
	s_movk_i32 s40, 0x1000
	s_cbranch_execz .LBB603_692
; %bb.690:                              ;   in Loop: Header=BB603_688 Depth=2
                                        ; implicit-def: $sgpr38
	v_mov_b32_e32 v63, s38
	v_mov_b32_e32 v151, s95
	s_and_saveexec_b64 s[38:39], s[36:37]
	s_cbranch_execnz .LBB603_723
	s_branch .LBB603_724
.LBB603_691:                            ;   in Loop: Header=BB603_688 Depth=2
	s_mov_b64 s[36:37], 0
                                        ; implicit-def: $sgpr40
                                        ; implicit-def: $vgpr5
                                        ; implicit-def: $vgpr154
                                        ; implicit-def: $vgpr159
                                        ; implicit-def: $vgpr164
                                        ; implicit-def: $vgpr169
                                        ; implicit-def: $vgpr174
                                        ; implicit-def: $vgpr179
                                        ; implicit-def: $vgpr184
                                        ; implicit-def: $vgpr182
                                        ; implicit-def: $vgpr177
                                        ; implicit-def: $vgpr173
                                        ; implicit-def: $vgpr168
                                        ; implicit-def: $vgpr163
                                        ; implicit-def: $vgpr158
                                        ; implicit-def: $vgpr62
.LBB603_692:                            ;   in Loop: Header=BB603_688 Depth=2
	s_lshl_b64 s[36:37], s[88:89], 2
	s_waitcnt vmcnt(14)
	v_mov_b32_e32 v5, s37
	v_add_co_u32_e32 v60, vcc, s36, v130
	v_addc_co_u32_e32 v61, vcc, v131, v5, vcc
	v_cmp_gt_u32_e32 vcc, s95, v109
	s_waitcnt vmcnt(13)
	v_bfrev_b32_e32 v154, -2
	v_bfrev_b32_e32 v5, -2
	s_and_saveexec_b64 s[36:37], vcc
	s_cbranch_execz .LBB603_694
; %bb.693:                              ;   in Loop: Header=BB603_688 Depth=2
	global_load_dword v5, v[60:61], off
.LBB603_694:                            ;   in Loop: Header=BB603_688 Depth=2
	s_or_b64 exec, exec, s[36:37]
	v_cmp_gt_u32_e32 vcc, s95, v110
	s_and_saveexec_b64 s[36:37], vcc
	s_cbranch_execz .LBB603_696
; %bb.695:                              ;   in Loop: Header=BB603_688 Depth=2
	global_load_dword v154, v[60:61], off offset:256
.LBB603_696:                            ;   in Loop: Header=BB603_688 Depth=2
	s_or_b64 exec, exec, s[36:37]
	v_cmp_gt_u32_e32 vcc, s95, v111
	s_waitcnt vmcnt(11)
	v_bfrev_b32_e32 v164, -2
	v_bfrev_b32_e32 v159, -2
	s_and_saveexec_b64 s[36:37], vcc
	s_cbranch_execz .LBB603_698
; %bb.697:                              ;   in Loop: Header=BB603_688 Depth=2
	global_load_dword v159, v[60:61], off offset:512
.LBB603_698:                            ;   in Loop: Header=BB603_688 Depth=2
	s_or_b64 exec, exec, s[36:37]
	v_cmp_gt_u32_e32 vcc, s95, v112
	s_and_saveexec_b64 s[36:37], vcc
	s_cbranch_execz .LBB603_700
; %bb.699:                              ;   in Loop: Header=BB603_688 Depth=2
	global_load_dword v164, v[60:61], off offset:768
.LBB603_700:                            ;   in Loop: Header=BB603_688 Depth=2
	s_or_b64 exec, exec, s[36:37]
	v_cmp_gt_u32_e32 vcc, s95, v113
	s_waitcnt vmcnt(9)
	v_bfrev_b32_e32 v174, -2
	v_bfrev_b32_e32 v169, -2
	s_and_saveexec_b64 s[36:37], vcc
	s_cbranch_execz .LBB603_702
; %bb.701:                              ;   in Loop: Header=BB603_688 Depth=2
	global_load_dword v169, v[60:61], off offset:1024
.LBB603_702:                            ;   in Loop: Header=BB603_688 Depth=2
	s_or_b64 exec, exec, s[36:37]
	v_cmp_gt_u32_e32 vcc, s95, v114
	s_and_saveexec_b64 s[36:37], vcc
	s_cbranch_execz .LBB603_704
; %bb.703:                              ;   in Loop: Header=BB603_688 Depth=2
	global_load_dword v174, v[60:61], off offset:1280
.LBB603_704:                            ;   in Loop: Header=BB603_688 Depth=2
	s_or_b64 exec, exec, s[36:37]
	v_cmp_gt_u32_e32 vcc, s95, v115
	s_waitcnt vmcnt(7)
	v_bfrev_b32_e32 v184, -2
	v_bfrev_b32_e32 v179, -2
	s_and_saveexec_b64 s[36:37], vcc
	s_cbranch_execz .LBB603_706
; %bb.705:                              ;   in Loop: Header=BB603_688 Depth=2
	global_load_dword v179, v[60:61], off offset:1536
.LBB603_706:                            ;   in Loop: Header=BB603_688 Depth=2
	s_or_b64 exec, exec, s[36:37]
	v_cmp_gt_u32_e32 vcc, s95, v116
	s_and_saveexec_b64 s[36:37], vcc
	s_cbranch_execz .LBB603_708
; %bb.707:                              ;   in Loop: Header=BB603_688 Depth=2
	global_load_dword v184, v[60:61], off offset:1792
.LBB603_708:                            ;   in Loop: Header=BB603_688 Depth=2
	s_or_b64 exec, exec, s[36:37]
	v_cmp_gt_u32_e32 vcc, s95, v117
	s_waitcnt vmcnt(5)
	v_bfrev_b32_e32 v177, -2
	v_bfrev_b32_e32 v182, -2
	s_and_saveexec_b64 s[36:37], vcc
	s_cbranch_execz .LBB603_710
; %bb.709:                              ;   in Loop: Header=BB603_688 Depth=2
	global_load_dword v182, v[60:61], off offset:2048
.LBB603_710:                            ;   in Loop: Header=BB603_688 Depth=2
	s_or_b64 exec, exec, s[36:37]
	v_cmp_gt_u32_e32 vcc, s95, v118
	s_and_saveexec_b64 s[36:37], vcc
	s_cbranch_execz .LBB603_712
; %bb.711:                              ;   in Loop: Header=BB603_688 Depth=2
	global_load_dword v177, v[60:61], off offset:2304
.LBB603_712:                            ;   in Loop: Header=BB603_688 Depth=2
	s_or_b64 exec, exec, s[36:37]
	v_cmp_gt_u32_e32 vcc, s95, v119
	s_waitcnt vmcnt(3)
	v_bfrev_b32_e32 v168, -2
	v_bfrev_b32_e32 v173, -2
	s_and_saveexec_b64 s[36:37], vcc
	s_cbranch_execz .LBB603_714
; %bb.713:                              ;   in Loop: Header=BB603_688 Depth=2
	global_load_dword v173, v[60:61], off offset:2560
.LBB603_714:                            ;   in Loop: Header=BB603_688 Depth=2
	s_or_b64 exec, exec, s[36:37]
	v_cmp_gt_u32_e32 vcc, s95, v120
	s_and_saveexec_b64 s[36:37], vcc
	s_cbranch_execz .LBB603_716
; %bb.715:                              ;   in Loop: Header=BB603_688 Depth=2
	global_load_dword v168, v[60:61], off offset:2816
.LBB603_716:                            ;   in Loop: Header=BB603_688 Depth=2
	s_or_b64 exec, exec, s[36:37]
	v_cmp_gt_u32_e32 vcc, s95, v121
	s_waitcnt vmcnt(1)
	v_bfrev_b32_e32 v158, -2
	v_bfrev_b32_e32 v163, -2
	s_and_saveexec_b64 s[36:37], vcc
	s_cbranch_execz .LBB603_718
; %bb.717:                              ;   in Loop: Header=BB603_688 Depth=2
	global_load_dword v163, v[60:61], off offset:3072
.LBB603_718:                            ;   in Loop: Header=BB603_688 Depth=2
	s_or_b64 exec, exec, s[36:37]
	v_cmp_gt_u32_e32 vcc, s95, v122
	s_and_saveexec_b64 s[36:37], vcc
	s_cbranch_execz .LBB603_720
; %bb.719:                              ;   in Loop: Header=BB603_688 Depth=2
	global_load_dword v158, v[60:61], off offset:3328
.LBB603_720:                            ;   in Loop: Header=BB603_688 Depth=2
	s_or_b64 exec, exec, s[36:37]
	v_cmp_gt_u32_e32 vcc, s95, v123
	s_waitcnt vmcnt(0)
	v_bfrev_b32_e32 v62, -2
	s_and_saveexec_b64 s[36:37], vcc
	s_cbranch_execz .LBB603_722
; %bb.721:                              ;   in Loop: Header=BB603_688 Depth=2
	global_load_dword v62, v[60:61], off offset:3584
.LBB603_722:                            ;   in Loop: Header=BB603_688 Depth=2
	s_or_b64 exec, exec, s[36:37]
	s_sub_i32 s40, s92, s88
	v_cmp_gt_u32_e64 s[36:37], s95, v124
	s_brev_b32 s38, -2
	v_mov_b32_e32 v63, s38
	v_mov_b32_e32 v151, s95
	s_and_saveexec_b64 s[38:39], s[36:37]
	s_cbranch_execz .LBB603_724
.LBB603_723:                            ;   in Loop: Header=BB603_688 Depth=2
	s_lshl_b64 s[36:37], s[88:89], 2
	v_mov_b32_e32 v61, s37
	v_add_co_u32_e32 v60, vcc, s36, v145
	v_addc_co_u32_e32 v61, vcc, v148, v61, vcc
	global_load_dword v63, v[60:61], off
	v_mov_b32_e32 v151, s40
.LBB603_724:                            ;   in Loop: Header=BB603_688 Depth=2
	s_or_b64 exec, exec, s[38:39]
	s_waitcnt vmcnt(14)
	v_xor_b32_e32 v152, 0x80000000, v5
	v_lshrrev_b32_e32 v5, s85, v152
	v_and_b32_e32 v60, s94, v5
	v_mad_u32_u24 v5, v60, 5, v150
	v_lshl_add_u32 v153, v5, 2, v65
	v_and_b32_e32 v5, 1, v60
	v_add_co_u32_e32 v61, vcc, -1, v5
	v_addc_co_u32_e64 v155, s[36:37], 0, -1, vcc
	v_cmp_ne_u32_e32 vcc, 0, v5
	v_xor_b32_e32 v5, vcc_hi, v155
	v_and_b32_e32 v155, exec_hi, v5
	v_lshlrev_b32_e32 v5, 30, v60
	v_xor_b32_e32 v61, vcc_lo, v61
	v_cmp_gt_i64_e32 vcc, 0, v[4:5]
	v_not_b32_e32 v5, v5
	v_ashrrev_i32_e32 v5, 31, v5
	v_and_b32_e32 v61, exec_lo, v61
	v_xor_b32_e32 v156, vcc_hi, v5
	v_xor_b32_e32 v5, vcc_lo, v5
	v_and_b32_e32 v61, v61, v5
	v_lshlrev_b32_e32 v5, 29, v60
	v_cmp_gt_i64_e32 vcc, 0, v[4:5]
	v_not_b32_e32 v5, v5
	v_ashrrev_i32_e32 v5, 31, v5
	v_and_b32_e32 v155, v155, v156
	v_xor_b32_e32 v156, vcc_hi, v5
	v_xor_b32_e32 v5, vcc_lo, v5
	v_and_b32_e32 v61, v61, v5
	v_lshlrev_b32_e32 v5, 28, v60
	v_cmp_gt_i64_e32 vcc, 0, v[4:5]
	v_not_b32_e32 v5, v5
	v_ashrrev_i32_e32 v5, 31, v5
	v_and_b32_e32 v155, v155, v156
	;; [unrolled: 8-line block ×5, first 2 shown]
	v_xor_b32_e32 v156, vcc_hi, v5
	v_xor_b32_e32 v5, vcc_lo, v5
	v_and_b32_e32 v155, v155, v156
	v_and_b32_e32 v156, v61, v5
	v_lshlrev_b32_e32 v5, 24, v60
	v_cmp_gt_i64_e32 vcc, 0, v[4:5]
	v_not_b32_e32 v5, v5
	v_ashrrev_i32_e32 v5, 31, v5
	v_xor_b32_e32 v60, vcc_hi, v5
	v_xor_b32_e32 v5, vcc_lo, v5
	v_and_b32_e32 v61, v155, v60
	v_and_b32_e32 v60, v156, v5
	v_mbcnt_lo_u32_b32 v5, v60, 0
	v_mbcnt_hi_u32_b32 v155, v61, v5
	v_cmp_eq_u32_e32 vcc, 0, v155
	v_cmp_ne_u64_e64 s[36:37], 0, v[60:61]
	s_and_b64 s[38:39], s[36:37], vcc
	ds_write2_b32 v126, v4, v4 offset1:1
	ds_write2_b32 v66, v4, v4 offset0:2 offset1:3
	ds_write_b32 v66, v4 offset:16
	s_waitcnt lgkmcnt(0)
	s_barrier
	s_waitcnt lgkmcnt(0)
	; wave barrier
	s_and_saveexec_b64 s[36:37], s[38:39]
	s_cbranch_execz .LBB603_726
; %bb.725:                              ;   in Loop: Header=BB603_688 Depth=2
	v_bcnt_u32_b32 v5, v60, 0
	v_bcnt_u32_b32 v5, v61, v5
	ds_write_b32 v153, v5
.LBB603_726:                            ;   in Loop: Header=BB603_688 Depth=2
	s_or_b64 exec, exec, s[36:37]
	s_waitcnt vmcnt(13)
	v_xor_b32_e32 v154, 0x80000000, v154
	v_lshrrev_b32_e32 v5, s85, v154
	v_and_b32_e32 v60, s94, v5
	v_mul_u32_u24_e32 v5, 5, v60
	v_add_lshl_u32 v5, v5, v150, 2
	; wave barrier
	v_add_u32_e32 v157, 0x410, v5
	ds_read_b32 v156, v5 offset:1040
	v_and_b32_e32 v5, 1, v60
	v_add_co_u32_e32 v61, vcc, -1, v5
	v_addc_co_u32_e64 v160, s[36:37], 0, -1, vcc
	v_cmp_ne_u32_e32 vcc, 0, v5
	v_xor_b32_e32 v5, vcc_hi, v160
	v_and_b32_e32 v160, exec_hi, v5
	v_lshlrev_b32_e32 v5, 30, v60
	v_xor_b32_e32 v61, vcc_lo, v61
	v_cmp_gt_i64_e32 vcc, 0, v[4:5]
	v_not_b32_e32 v5, v5
	v_ashrrev_i32_e32 v5, 31, v5
	v_and_b32_e32 v61, exec_lo, v61
	v_xor_b32_e32 v161, vcc_hi, v5
	v_xor_b32_e32 v5, vcc_lo, v5
	v_and_b32_e32 v61, v61, v5
	v_lshlrev_b32_e32 v5, 29, v60
	v_cmp_gt_i64_e32 vcc, 0, v[4:5]
	v_not_b32_e32 v5, v5
	v_ashrrev_i32_e32 v5, 31, v5
	v_and_b32_e32 v160, v160, v161
	v_xor_b32_e32 v161, vcc_hi, v5
	v_xor_b32_e32 v5, vcc_lo, v5
	v_and_b32_e32 v61, v61, v5
	v_lshlrev_b32_e32 v5, 28, v60
	v_cmp_gt_i64_e32 vcc, 0, v[4:5]
	v_not_b32_e32 v5, v5
	v_ashrrev_i32_e32 v5, 31, v5
	v_and_b32_e32 v160, v160, v161
	;; [unrolled: 8-line block ×5, first 2 shown]
	v_xor_b32_e32 v161, vcc_hi, v5
	v_xor_b32_e32 v5, vcc_lo, v5
	v_and_b32_e32 v160, v160, v161
	v_and_b32_e32 v161, v61, v5
	v_lshlrev_b32_e32 v5, 24, v60
	v_cmp_gt_i64_e32 vcc, 0, v[4:5]
	v_not_b32_e32 v5, v5
	v_ashrrev_i32_e32 v5, 31, v5
	v_xor_b32_e32 v60, vcc_hi, v5
	v_xor_b32_e32 v5, vcc_lo, v5
	v_and_b32_e32 v61, v160, v60
	v_and_b32_e32 v60, v161, v5
	v_mbcnt_lo_u32_b32 v5, v60, 0
	v_mbcnt_hi_u32_b32 v160, v61, v5
	v_cmp_eq_u32_e32 vcc, 0, v160
	v_cmp_ne_u64_e64 s[36:37], 0, v[60:61]
	s_and_b64 s[38:39], s[36:37], vcc
	; wave barrier
	s_and_saveexec_b64 s[36:37], s[38:39]
	s_cbranch_execz .LBB603_728
; %bb.727:                              ;   in Loop: Header=BB603_688 Depth=2
	v_bcnt_u32_b32 v5, v60, 0
	v_bcnt_u32_b32 v5, v61, v5
	s_waitcnt lgkmcnt(0)
	v_add_u32_e32 v5, v156, v5
	ds_write_b32 v157, v5
.LBB603_728:                            ;   in Loop: Header=BB603_688 Depth=2
	s_or_b64 exec, exec, s[36:37]
	s_waitcnt vmcnt(12)
	v_xor_b32_e32 v159, 0x80000000, v159
	v_lshrrev_b32_e32 v5, s85, v159
	v_and_b32_e32 v60, s94, v5
	v_mul_u32_u24_e32 v5, 5, v60
	v_add_lshl_u32 v5, v5, v150, 2
	; wave barrier
	v_add_u32_e32 v162, 0x410, v5
	ds_read_b32 v161, v5 offset:1040
	v_and_b32_e32 v5, 1, v60
	v_add_co_u32_e32 v61, vcc, -1, v5
	v_addc_co_u32_e64 v165, s[36:37], 0, -1, vcc
	v_cmp_ne_u32_e32 vcc, 0, v5
	v_xor_b32_e32 v5, vcc_hi, v165
	v_and_b32_e32 v165, exec_hi, v5
	v_lshlrev_b32_e32 v5, 30, v60
	v_xor_b32_e32 v61, vcc_lo, v61
	v_cmp_gt_i64_e32 vcc, 0, v[4:5]
	v_not_b32_e32 v5, v5
	v_ashrrev_i32_e32 v5, 31, v5
	v_and_b32_e32 v61, exec_lo, v61
	v_xor_b32_e32 v166, vcc_hi, v5
	v_xor_b32_e32 v5, vcc_lo, v5
	v_and_b32_e32 v61, v61, v5
	v_lshlrev_b32_e32 v5, 29, v60
	v_cmp_gt_i64_e32 vcc, 0, v[4:5]
	v_not_b32_e32 v5, v5
	v_ashrrev_i32_e32 v5, 31, v5
	v_and_b32_e32 v165, v165, v166
	v_xor_b32_e32 v166, vcc_hi, v5
	v_xor_b32_e32 v5, vcc_lo, v5
	v_and_b32_e32 v61, v61, v5
	v_lshlrev_b32_e32 v5, 28, v60
	v_cmp_gt_i64_e32 vcc, 0, v[4:5]
	v_not_b32_e32 v5, v5
	v_ashrrev_i32_e32 v5, 31, v5
	v_and_b32_e32 v165, v165, v166
	v_xor_b32_e32 v166, vcc_hi, v5
	v_xor_b32_e32 v5, vcc_lo, v5
	v_and_b32_e32 v61, v61, v5
	v_lshlrev_b32_e32 v5, 27, v60
	v_cmp_gt_i64_e32 vcc, 0, v[4:5]
	v_not_b32_e32 v5, v5
	v_ashrrev_i32_e32 v5, 31, v5
	v_and_b32_e32 v165, v165, v166
	v_xor_b32_e32 v166, vcc_hi, v5
	v_xor_b32_e32 v5, vcc_lo, v5
	v_and_b32_e32 v61, v61, v5
	v_lshlrev_b32_e32 v5, 26, v60
	v_cmp_gt_i64_e32 vcc, 0, v[4:5]
	v_not_b32_e32 v5, v5
	v_ashrrev_i32_e32 v5, 31, v5
	v_and_b32_e32 v165, v165, v166
	v_xor_b32_e32 v166, vcc_hi, v5
	v_xor_b32_e32 v5, vcc_lo, v5
	v_and_b32_e32 v61, v61, v5
	v_lshlrev_b32_e32 v5, 25, v60
	v_cmp_gt_i64_e32 vcc, 0, v[4:5]
	v_not_b32_e32 v5, v5
	v_ashrrev_i32_e32 v5, 31, v5
	v_and_b32_e32 v165, v165, v166
	v_xor_b32_e32 v166, vcc_hi, v5
	v_xor_b32_e32 v5, vcc_lo, v5
	v_and_b32_e32 v165, v165, v166
	v_and_b32_e32 v166, v61, v5
	v_lshlrev_b32_e32 v5, 24, v60
	v_cmp_gt_i64_e32 vcc, 0, v[4:5]
	v_not_b32_e32 v5, v5
	v_ashrrev_i32_e32 v5, 31, v5
	v_xor_b32_e32 v60, vcc_hi, v5
	v_xor_b32_e32 v5, vcc_lo, v5
	v_and_b32_e32 v61, v165, v60
	v_and_b32_e32 v60, v166, v5
	v_mbcnt_lo_u32_b32 v5, v60, 0
	v_mbcnt_hi_u32_b32 v165, v61, v5
	v_cmp_eq_u32_e32 vcc, 0, v165
	v_cmp_ne_u64_e64 s[36:37], 0, v[60:61]
	s_and_b64 s[38:39], s[36:37], vcc
	; wave barrier
	s_and_saveexec_b64 s[36:37], s[38:39]
	s_cbranch_execz .LBB603_730
; %bb.729:                              ;   in Loop: Header=BB603_688 Depth=2
	v_bcnt_u32_b32 v5, v60, 0
	v_bcnt_u32_b32 v5, v61, v5
	s_waitcnt lgkmcnt(0)
	v_add_u32_e32 v5, v161, v5
	ds_write_b32 v162, v5
.LBB603_730:                            ;   in Loop: Header=BB603_688 Depth=2
	s_or_b64 exec, exec, s[36:37]
	s_waitcnt vmcnt(11)
	v_xor_b32_e32 v164, 0x80000000, v164
	v_lshrrev_b32_e32 v5, s85, v164
	v_and_b32_e32 v60, s94, v5
	v_mul_u32_u24_e32 v5, 5, v60
	v_add_lshl_u32 v5, v5, v150, 2
	; wave barrier
	v_add_u32_e32 v167, 0x410, v5
	ds_read_b32 v166, v5 offset:1040
	v_and_b32_e32 v5, 1, v60
	v_add_co_u32_e32 v61, vcc, -1, v5
	v_addc_co_u32_e64 v170, s[36:37], 0, -1, vcc
	v_cmp_ne_u32_e32 vcc, 0, v5
	v_xor_b32_e32 v5, vcc_hi, v170
	v_and_b32_e32 v170, exec_hi, v5
	v_lshlrev_b32_e32 v5, 30, v60
	v_xor_b32_e32 v61, vcc_lo, v61
	v_cmp_gt_i64_e32 vcc, 0, v[4:5]
	v_not_b32_e32 v5, v5
	v_ashrrev_i32_e32 v5, 31, v5
	v_and_b32_e32 v61, exec_lo, v61
	v_xor_b32_e32 v171, vcc_hi, v5
	v_xor_b32_e32 v5, vcc_lo, v5
	v_and_b32_e32 v61, v61, v5
	v_lshlrev_b32_e32 v5, 29, v60
	v_cmp_gt_i64_e32 vcc, 0, v[4:5]
	v_not_b32_e32 v5, v5
	v_ashrrev_i32_e32 v5, 31, v5
	v_and_b32_e32 v170, v170, v171
	v_xor_b32_e32 v171, vcc_hi, v5
	v_xor_b32_e32 v5, vcc_lo, v5
	v_and_b32_e32 v61, v61, v5
	v_lshlrev_b32_e32 v5, 28, v60
	v_cmp_gt_i64_e32 vcc, 0, v[4:5]
	v_not_b32_e32 v5, v5
	v_ashrrev_i32_e32 v5, 31, v5
	v_and_b32_e32 v170, v170, v171
	;; [unrolled: 8-line block ×5, first 2 shown]
	v_xor_b32_e32 v171, vcc_hi, v5
	v_xor_b32_e32 v5, vcc_lo, v5
	v_and_b32_e32 v170, v170, v171
	v_and_b32_e32 v171, v61, v5
	v_lshlrev_b32_e32 v5, 24, v60
	v_cmp_gt_i64_e32 vcc, 0, v[4:5]
	v_not_b32_e32 v5, v5
	v_ashrrev_i32_e32 v5, 31, v5
	v_xor_b32_e32 v60, vcc_hi, v5
	v_xor_b32_e32 v5, vcc_lo, v5
	v_and_b32_e32 v61, v170, v60
	v_and_b32_e32 v60, v171, v5
	v_mbcnt_lo_u32_b32 v5, v60, 0
	v_mbcnt_hi_u32_b32 v170, v61, v5
	v_cmp_eq_u32_e32 vcc, 0, v170
	v_cmp_ne_u64_e64 s[36:37], 0, v[60:61]
	s_and_b64 s[38:39], s[36:37], vcc
	; wave barrier
	s_and_saveexec_b64 s[36:37], s[38:39]
	s_cbranch_execz .LBB603_732
; %bb.731:                              ;   in Loop: Header=BB603_688 Depth=2
	v_bcnt_u32_b32 v5, v60, 0
	v_bcnt_u32_b32 v5, v61, v5
	s_waitcnt lgkmcnt(0)
	v_add_u32_e32 v5, v166, v5
	ds_write_b32 v167, v5
.LBB603_732:                            ;   in Loop: Header=BB603_688 Depth=2
	s_or_b64 exec, exec, s[36:37]
	s_waitcnt vmcnt(10)
	v_xor_b32_e32 v169, 0x80000000, v169
	v_lshrrev_b32_e32 v5, s85, v169
	v_and_b32_e32 v60, s94, v5
	v_mul_u32_u24_e32 v5, 5, v60
	v_add_lshl_u32 v5, v5, v150, 2
	; wave barrier
	v_add_u32_e32 v172, 0x410, v5
	ds_read_b32 v171, v5 offset:1040
	v_and_b32_e32 v5, 1, v60
	v_add_co_u32_e32 v61, vcc, -1, v5
	v_addc_co_u32_e64 v175, s[36:37], 0, -1, vcc
	v_cmp_ne_u32_e32 vcc, 0, v5
	v_xor_b32_e32 v5, vcc_hi, v175
	v_and_b32_e32 v175, exec_hi, v5
	v_lshlrev_b32_e32 v5, 30, v60
	v_xor_b32_e32 v61, vcc_lo, v61
	v_cmp_gt_i64_e32 vcc, 0, v[4:5]
	v_not_b32_e32 v5, v5
	v_ashrrev_i32_e32 v5, 31, v5
	v_and_b32_e32 v61, exec_lo, v61
	v_xor_b32_e32 v176, vcc_hi, v5
	v_xor_b32_e32 v5, vcc_lo, v5
	v_and_b32_e32 v61, v61, v5
	v_lshlrev_b32_e32 v5, 29, v60
	v_cmp_gt_i64_e32 vcc, 0, v[4:5]
	v_not_b32_e32 v5, v5
	v_ashrrev_i32_e32 v5, 31, v5
	v_and_b32_e32 v175, v175, v176
	v_xor_b32_e32 v176, vcc_hi, v5
	v_xor_b32_e32 v5, vcc_lo, v5
	v_and_b32_e32 v61, v61, v5
	v_lshlrev_b32_e32 v5, 28, v60
	v_cmp_gt_i64_e32 vcc, 0, v[4:5]
	v_not_b32_e32 v5, v5
	v_ashrrev_i32_e32 v5, 31, v5
	v_and_b32_e32 v175, v175, v176
	;; [unrolled: 8-line block ×5, first 2 shown]
	v_xor_b32_e32 v176, vcc_hi, v5
	v_xor_b32_e32 v5, vcc_lo, v5
	v_and_b32_e32 v175, v175, v176
	v_and_b32_e32 v176, v61, v5
	v_lshlrev_b32_e32 v5, 24, v60
	v_cmp_gt_i64_e32 vcc, 0, v[4:5]
	v_not_b32_e32 v5, v5
	v_ashrrev_i32_e32 v5, 31, v5
	v_xor_b32_e32 v60, vcc_hi, v5
	v_xor_b32_e32 v5, vcc_lo, v5
	v_and_b32_e32 v61, v175, v60
	v_and_b32_e32 v60, v176, v5
	v_mbcnt_lo_u32_b32 v5, v60, 0
	v_mbcnt_hi_u32_b32 v175, v61, v5
	v_cmp_eq_u32_e32 vcc, 0, v175
	v_cmp_ne_u64_e64 s[36:37], 0, v[60:61]
	s_and_b64 s[38:39], s[36:37], vcc
	; wave barrier
	s_and_saveexec_b64 s[36:37], s[38:39]
	s_cbranch_execz .LBB603_734
; %bb.733:                              ;   in Loop: Header=BB603_688 Depth=2
	v_bcnt_u32_b32 v5, v60, 0
	v_bcnt_u32_b32 v5, v61, v5
	s_waitcnt lgkmcnt(0)
	v_add_u32_e32 v5, v171, v5
	ds_write_b32 v172, v5
.LBB603_734:                            ;   in Loop: Header=BB603_688 Depth=2
	s_or_b64 exec, exec, s[36:37]
	s_waitcnt vmcnt(9)
	v_xor_b32_e32 v174, 0x80000000, v174
	v_lshrrev_b32_e32 v5, s85, v174
	v_and_b32_e32 v60, s94, v5
	v_mul_u32_u24_e32 v5, 5, v60
	v_add_lshl_u32 v5, v5, v150, 2
	; wave barrier
	v_add_u32_e32 v178, 0x410, v5
	ds_read_b32 v176, v5 offset:1040
	v_and_b32_e32 v5, 1, v60
	v_add_co_u32_e32 v61, vcc, -1, v5
	v_addc_co_u32_e64 v180, s[36:37], 0, -1, vcc
	v_cmp_ne_u32_e32 vcc, 0, v5
	v_xor_b32_e32 v5, vcc_hi, v180
	v_and_b32_e32 v180, exec_hi, v5
	v_lshlrev_b32_e32 v5, 30, v60
	v_xor_b32_e32 v61, vcc_lo, v61
	v_cmp_gt_i64_e32 vcc, 0, v[4:5]
	v_not_b32_e32 v5, v5
	v_ashrrev_i32_e32 v5, 31, v5
	v_and_b32_e32 v61, exec_lo, v61
	v_xor_b32_e32 v181, vcc_hi, v5
	v_xor_b32_e32 v5, vcc_lo, v5
	v_and_b32_e32 v61, v61, v5
	v_lshlrev_b32_e32 v5, 29, v60
	v_cmp_gt_i64_e32 vcc, 0, v[4:5]
	v_not_b32_e32 v5, v5
	v_ashrrev_i32_e32 v5, 31, v5
	v_and_b32_e32 v180, v180, v181
	v_xor_b32_e32 v181, vcc_hi, v5
	v_xor_b32_e32 v5, vcc_lo, v5
	v_and_b32_e32 v61, v61, v5
	v_lshlrev_b32_e32 v5, 28, v60
	v_cmp_gt_i64_e32 vcc, 0, v[4:5]
	v_not_b32_e32 v5, v5
	v_ashrrev_i32_e32 v5, 31, v5
	v_and_b32_e32 v180, v180, v181
	;; [unrolled: 8-line block ×5, first 2 shown]
	v_xor_b32_e32 v181, vcc_hi, v5
	v_xor_b32_e32 v5, vcc_lo, v5
	v_and_b32_e32 v180, v180, v181
	v_and_b32_e32 v181, v61, v5
	v_lshlrev_b32_e32 v5, 24, v60
	v_cmp_gt_i64_e32 vcc, 0, v[4:5]
	v_not_b32_e32 v5, v5
	v_ashrrev_i32_e32 v5, 31, v5
	v_xor_b32_e32 v60, vcc_hi, v5
	v_xor_b32_e32 v5, vcc_lo, v5
	v_and_b32_e32 v61, v180, v60
	v_and_b32_e32 v60, v181, v5
	v_mbcnt_lo_u32_b32 v5, v60, 0
	v_mbcnt_hi_u32_b32 v180, v61, v5
	v_cmp_eq_u32_e32 vcc, 0, v180
	v_cmp_ne_u64_e64 s[36:37], 0, v[60:61]
	s_and_b64 s[38:39], s[36:37], vcc
	; wave barrier
	s_and_saveexec_b64 s[36:37], s[38:39]
	s_cbranch_execz .LBB603_736
; %bb.735:                              ;   in Loop: Header=BB603_688 Depth=2
	v_bcnt_u32_b32 v5, v60, 0
	v_bcnt_u32_b32 v5, v61, v5
	s_waitcnt lgkmcnt(0)
	v_add_u32_e32 v5, v176, v5
	ds_write_b32 v178, v5
.LBB603_736:                            ;   in Loop: Header=BB603_688 Depth=2
	s_or_b64 exec, exec, s[36:37]
	s_waitcnt vmcnt(8)
	v_xor_b32_e32 v179, 0x80000000, v179
	v_lshrrev_b32_e32 v5, s85, v179
	v_and_b32_e32 v60, s94, v5
	v_mul_u32_u24_e32 v5, 5, v60
	v_add_lshl_u32 v5, v5, v150, 2
	; wave barrier
	v_add_u32_e32 v183, 0x410, v5
	ds_read_b32 v181, v5 offset:1040
	v_and_b32_e32 v5, 1, v60
	v_add_co_u32_e32 v61, vcc, -1, v5
	v_addc_co_u32_e64 v185, s[36:37], 0, -1, vcc
	v_cmp_ne_u32_e32 vcc, 0, v5
	v_xor_b32_e32 v5, vcc_hi, v185
	v_and_b32_e32 v185, exec_hi, v5
	v_lshlrev_b32_e32 v5, 30, v60
	v_xor_b32_e32 v61, vcc_lo, v61
	v_cmp_gt_i64_e32 vcc, 0, v[4:5]
	v_not_b32_e32 v5, v5
	v_ashrrev_i32_e32 v5, 31, v5
	v_and_b32_e32 v61, exec_lo, v61
	v_xor_b32_e32 v186, vcc_hi, v5
	v_xor_b32_e32 v5, vcc_lo, v5
	v_and_b32_e32 v61, v61, v5
	v_lshlrev_b32_e32 v5, 29, v60
	v_cmp_gt_i64_e32 vcc, 0, v[4:5]
	v_not_b32_e32 v5, v5
	v_ashrrev_i32_e32 v5, 31, v5
	v_and_b32_e32 v185, v185, v186
	v_xor_b32_e32 v186, vcc_hi, v5
	v_xor_b32_e32 v5, vcc_lo, v5
	v_and_b32_e32 v61, v61, v5
	v_lshlrev_b32_e32 v5, 28, v60
	v_cmp_gt_i64_e32 vcc, 0, v[4:5]
	v_not_b32_e32 v5, v5
	v_ashrrev_i32_e32 v5, 31, v5
	v_and_b32_e32 v185, v185, v186
	;; [unrolled: 8-line block ×5, first 2 shown]
	v_xor_b32_e32 v186, vcc_hi, v5
	v_xor_b32_e32 v5, vcc_lo, v5
	v_and_b32_e32 v185, v185, v186
	v_and_b32_e32 v186, v61, v5
	v_lshlrev_b32_e32 v5, 24, v60
	v_cmp_gt_i64_e32 vcc, 0, v[4:5]
	v_not_b32_e32 v5, v5
	v_ashrrev_i32_e32 v5, 31, v5
	v_xor_b32_e32 v60, vcc_hi, v5
	v_xor_b32_e32 v5, vcc_lo, v5
	v_and_b32_e32 v61, v185, v60
	v_and_b32_e32 v60, v186, v5
	v_mbcnt_lo_u32_b32 v5, v60, 0
	v_mbcnt_hi_u32_b32 v185, v61, v5
	v_cmp_eq_u32_e32 vcc, 0, v185
	v_cmp_ne_u64_e64 s[36:37], 0, v[60:61]
	s_and_b64 s[38:39], s[36:37], vcc
	; wave barrier
	s_and_saveexec_b64 s[36:37], s[38:39]
	s_cbranch_execz .LBB603_738
; %bb.737:                              ;   in Loop: Header=BB603_688 Depth=2
	v_bcnt_u32_b32 v5, v60, 0
	v_bcnt_u32_b32 v5, v61, v5
	s_waitcnt lgkmcnt(0)
	v_add_u32_e32 v5, v181, v5
	ds_write_b32 v183, v5
.LBB603_738:                            ;   in Loop: Header=BB603_688 Depth=2
	s_or_b64 exec, exec, s[36:37]
	s_waitcnt vmcnt(7)
	v_xor_b32_e32 v184, 0x80000000, v184
	v_lshrrev_b32_e32 v5, s85, v184
	v_and_b32_e32 v60, s94, v5
	v_mul_u32_u24_e32 v5, 5, v60
	v_add_lshl_u32 v5, v5, v150, 2
	; wave barrier
	v_add_u32_e32 v187, 0x410, v5
	ds_read_b32 v186, v5 offset:1040
	v_and_b32_e32 v5, 1, v60
	v_add_co_u32_e32 v61, vcc, -1, v5
	v_addc_co_u32_e64 v188, s[36:37], 0, -1, vcc
	v_cmp_ne_u32_e32 vcc, 0, v5
	v_xor_b32_e32 v5, vcc_hi, v188
	v_and_b32_e32 v188, exec_hi, v5
	v_lshlrev_b32_e32 v5, 30, v60
	v_xor_b32_e32 v61, vcc_lo, v61
	v_cmp_gt_i64_e32 vcc, 0, v[4:5]
	v_not_b32_e32 v5, v5
	v_ashrrev_i32_e32 v5, 31, v5
	v_and_b32_e32 v61, exec_lo, v61
	v_xor_b32_e32 v189, vcc_hi, v5
	v_xor_b32_e32 v5, vcc_lo, v5
	v_and_b32_e32 v61, v61, v5
	v_lshlrev_b32_e32 v5, 29, v60
	v_cmp_gt_i64_e32 vcc, 0, v[4:5]
	v_not_b32_e32 v5, v5
	v_ashrrev_i32_e32 v5, 31, v5
	v_and_b32_e32 v188, v188, v189
	v_xor_b32_e32 v189, vcc_hi, v5
	v_xor_b32_e32 v5, vcc_lo, v5
	v_and_b32_e32 v61, v61, v5
	v_lshlrev_b32_e32 v5, 28, v60
	v_cmp_gt_i64_e32 vcc, 0, v[4:5]
	v_not_b32_e32 v5, v5
	v_ashrrev_i32_e32 v5, 31, v5
	v_and_b32_e32 v188, v188, v189
	v_xor_b32_e32 v189, vcc_hi, v5
	v_xor_b32_e32 v5, vcc_lo, v5
	v_and_b32_e32 v61, v61, v5
	v_lshlrev_b32_e32 v5, 27, v60
	v_cmp_gt_i64_e32 vcc, 0, v[4:5]
	v_not_b32_e32 v5, v5
	v_ashrrev_i32_e32 v5, 31, v5
	v_and_b32_e32 v188, v188, v189
	v_xor_b32_e32 v189, vcc_hi, v5
	v_xor_b32_e32 v5, vcc_lo, v5
	v_and_b32_e32 v61, v61, v5
	v_lshlrev_b32_e32 v5, 26, v60
	v_cmp_gt_i64_e32 vcc, 0, v[4:5]
	v_not_b32_e32 v5, v5
	v_ashrrev_i32_e32 v5, 31, v5
	v_and_b32_e32 v188, v188, v189
	v_xor_b32_e32 v189, vcc_hi, v5
	v_xor_b32_e32 v5, vcc_lo, v5
	v_and_b32_e32 v61, v61, v5
	v_lshlrev_b32_e32 v5, 25, v60
	v_cmp_gt_i64_e32 vcc, 0, v[4:5]
	v_not_b32_e32 v5, v5
	v_ashrrev_i32_e32 v5, 31, v5
	v_and_b32_e32 v188, v188, v189
	v_xor_b32_e32 v189, vcc_hi, v5
	v_xor_b32_e32 v5, vcc_lo, v5
	v_and_b32_e32 v188, v188, v189
	v_and_b32_e32 v189, v61, v5
	v_lshlrev_b32_e32 v5, 24, v60
	v_cmp_gt_i64_e32 vcc, 0, v[4:5]
	v_not_b32_e32 v5, v5
	v_ashrrev_i32_e32 v5, 31, v5
	v_xor_b32_e32 v60, vcc_hi, v5
	v_xor_b32_e32 v5, vcc_lo, v5
	v_and_b32_e32 v61, v188, v60
	v_and_b32_e32 v60, v189, v5
	v_mbcnt_lo_u32_b32 v5, v60, 0
	v_mbcnt_hi_u32_b32 v188, v61, v5
	v_cmp_eq_u32_e32 vcc, 0, v188
	v_cmp_ne_u64_e64 s[36:37], 0, v[60:61]
	s_and_b64 s[38:39], s[36:37], vcc
	; wave barrier
	s_and_saveexec_b64 s[36:37], s[38:39]
	s_cbranch_execz .LBB603_740
; %bb.739:                              ;   in Loop: Header=BB603_688 Depth=2
	v_bcnt_u32_b32 v5, v60, 0
	v_bcnt_u32_b32 v5, v61, v5
	s_waitcnt lgkmcnt(0)
	v_add_u32_e32 v5, v186, v5
	ds_write_b32 v187, v5
.LBB603_740:                            ;   in Loop: Header=BB603_688 Depth=2
	s_or_b64 exec, exec, s[36:37]
	s_waitcnt vmcnt(6)
	v_xor_b32_e32 v182, 0x80000000, v182
	v_lshrrev_b32_e32 v5, s85, v182
	v_and_b32_e32 v60, s94, v5
	v_mul_u32_u24_e32 v5, 5, v60
	v_add_lshl_u32 v5, v5, v150, 2
	; wave barrier
	v_add_u32_e32 v190, 0x410, v5
	ds_read_b32 v189, v5 offset:1040
	v_and_b32_e32 v5, 1, v60
	v_add_co_u32_e32 v61, vcc, -1, v5
	v_addc_co_u32_e64 v191, s[36:37], 0, -1, vcc
	v_cmp_ne_u32_e32 vcc, 0, v5
	v_xor_b32_e32 v5, vcc_hi, v191
	v_and_b32_e32 v191, exec_hi, v5
	v_lshlrev_b32_e32 v5, 30, v60
	v_xor_b32_e32 v61, vcc_lo, v61
	v_cmp_gt_i64_e32 vcc, 0, v[4:5]
	v_not_b32_e32 v5, v5
	v_ashrrev_i32_e32 v5, 31, v5
	v_and_b32_e32 v61, exec_lo, v61
	v_xor_b32_e32 v192, vcc_hi, v5
	v_xor_b32_e32 v5, vcc_lo, v5
	v_and_b32_e32 v61, v61, v5
	v_lshlrev_b32_e32 v5, 29, v60
	v_cmp_gt_i64_e32 vcc, 0, v[4:5]
	v_not_b32_e32 v5, v5
	v_ashrrev_i32_e32 v5, 31, v5
	v_and_b32_e32 v191, v191, v192
	v_xor_b32_e32 v192, vcc_hi, v5
	v_xor_b32_e32 v5, vcc_lo, v5
	v_and_b32_e32 v61, v61, v5
	v_lshlrev_b32_e32 v5, 28, v60
	v_cmp_gt_i64_e32 vcc, 0, v[4:5]
	v_not_b32_e32 v5, v5
	v_ashrrev_i32_e32 v5, 31, v5
	v_and_b32_e32 v191, v191, v192
	;; [unrolled: 8-line block ×5, first 2 shown]
	v_xor_b32_e32 v192, vcc_hi, v5
	v_xor_b32_e32 v5, vcc_lo, v5
	v_and_b32_e32 v191, v191, v192
	v_and_b32_e32 v192, v61, v5
	v_lshlrev_b32_e32 v5, 24, v60
	v_cmp_gt_i64_e32 vcc, 0, v[4:5]
	v_not_b32_e32 v5, v5
	v_ashrrev_i32_e32 v5, 31, v5
	v_xor_b32_e32 v60, vcc_hi, v5
	v_xor_b32_e32 v5, vcc_lo, v5
	v_and_b32_e32 v61, v191, v60
	v_and_b32_e32 v60, v192, v5
	v_mbcnt_lo_u32_b32 v5, v60, 0
	v_mbcnt_hi_u32_b32 v191, v61, v5
	v_cmp_eq_u32_e32 vcc, 0, v191
	v_cmp_ne_u64_e64 s[36:37], 0, v[60:61]
	s_and_b64 s[38:39], s[36:37], vcc
	; wave barrier
	s_and_saveexec_b64 s[36:37], s[38:39]
	s_cbranch_execz .LBB603_742
; %bb.741:                              ;   in Loop: Header=BB603_688 Depth=2
	v_bcnt_u32_b32 v5, v60, 0
	v_bcnt_u32_b32 v5, v61, v5
	s_waitcnt lgkmcnt(0)
	v_add_u32_e32 v5, v189, v5
	ds_write_b32 v190, v5
.LBB603_742:                            ;   in Loop: Header=BB603_688 Depth=2
	s_or_b64 exec, exec, s[36:37]
	s_waitcnt vmcnt(5)
	v_xor_b32_e32 v177, 0x80000000, v177
	v_lshrrev_b32_e32 v5, s85, v177
	v_and_b32_e32 v60, s94, v5
	v_mul_u32_u24_e32 v5, 5, v60
	v_add_lshl_u32 v5, v5, v150, 2
	; wave barrier
	v_add_u32_e32 v193, 0x410, v5
	ds_read_b32 v192, v5 offset:1040
	v_and_b32_e32 v5, 1, v60
	v_add_co_u32_e32 v61, vcc, -1, v5
	v_addc_co_u32_e64 v194, s[36:37], 0, -1, vcc
	v_cmp_ne_u32_e32 vcc, 0, v5
	v_xor_b32_e32 v5, vcc_hi, v194
	v_and_b32_e32 v194, exec_hi, v5
	v_lshlrev_b32_e32 v5, 30, v60
	v_xor_b32_e32 v61, vcc_lo, v61
	v_cmp_gt_i64_e32 vcc, 0, v[4:5]
	v_not_b32_e32 v5, v5
	v_ashrrev_i32_e32 v5, 31, v5
	v_and_b32_e32 v61, exec_lo, v61
	v_xor_b32_e32 v195, vcc_hi, v5
	v_xor_b32_e32 v5, vcc_lo, v5
	v_and_b32_e32 v61, v61, v5
	v_lshlrev_b32_e32 v5, 29, v60
	v_cmp_gt_i64_e32 vcc, 0, v[4:5]
	v_not_b32_e32 v5, v5
	v_ashrrev_i32_e32 v5, 31, v5
	v_and_b32_e32 v194, v194, v195
	v_xor_b32_e32 v195, vcc_hi, v5
	v_xor_b32_e32 v5, vcc_lo, v5
	v_and_b32_e32 v61, v61, v5
	v_lshlrev_b32_e32 v5, 28, v60
	v_cmp_gt_i64_e32 vcc, 0, v[4:5]
	v_not_b32_e32 v5, v5
	v_ashrrev_i32_e32 v5, 31, v5
	v_and_b32_e32 v194, v194, v195
	;; [unrolled: 8-line block ×5, first 2 shown]
	v_xor_b32_e32 v195, vcc_hi, v5
	v_xor_b32_e32 v5, vcc_lo, v5
	v_and_b32_e32 v194, v194, v195
	v_and_b32_e32 v195, v61, v5
	v_lshlrev_b32_e32 v5, 24, v60
	v_cmp_gt_i64_e32 vcc, 0, v[4:5]
	v_not_b32_e32 v5, v5
	v_ashrrev_i32_e32 v5, 31, v5
	v_xor_b32_e32 v60, vcc_hi, v5
	v_xor_b32_e32 v5, vcc_lo, v5
	v_and_b32_e32 v61, v194, v60
	v_and_b32_e32 v60, v195, v5
	v_mbcnt_lo_u32_b32 v5, v60, 0
	v_mbcnt_hi_u32_b32 v194, v61, v5
	v_cmp_eq_u32_e32 vcc, 0, v194
	v_cmp_ne_u64_e64 s[36:37], 0, v[60:61]
	s_and_b64 s[38:39], s[36:37], vcc
	; wave barrier
	s_and_saveexec_b64 s[36:37], s[38:39]
	s_cbranch_execz .LBB603_744
; %bb.743:                              ;   in Loop: Header=BB603_688 Depth=2
	v_bcnt_u32_b32 v5, v60, 0
	v_bcnt_u32_b32 v5, v61, v5
	s_waitcnt lgkmcnt(0)
	v_add_u32_e32 v5, v192, v5
	ds_write_b32 v193, v5
.LBB603_744:                            ;   in Loop: Header=BB603_688 Depth=2
	s_or_b64 exec, exec, s[36:37]
	s_waitcnt vmcnt(4)
	v_xor_b32_e32 v173, 0x80000000, v173
	v_lshrrev_b32_e32 v5, s85, v173
	v_and_b32_e32 v60, s94, v5
	v_mul_u32_u24_e32 v5, 5, v60
	v_add_lshl_u32 v5, v5, v150, 2
	; wave barrier
	v_add_u32_e32 v196, 0x410, v5
	ds_read_b32 v195, v5 offset:1040
	v_and_b32_e32 v5, 1, v60
	v_add_co_u32_e32 v61, vcc, -1, v5
	v_addc_co_u32_e64 v197, s[36:37], 0, -1, vcc
	v_cmp_ne_u32_e32 vcc, 0, v5
	v_xor_b32_e32 v5, vcc_hi, v197
	v_and_b32_e32 v197, exec_hi, v5
	v_lshlrev_b32_e32 v5, 30, v60
	v_xor_b32_e32 v61, vcc_lo, v61
	v_cmp_gt_i64_e32 vcc, 0, v[4:5]
	v_not_b32_e32 v5, v5
	v_ashrrev_i32_e32 v5, 31, v5
	v_and_b32_e32 v61, exec_lo, v61
	v_xor_b32_e32 v198, vcc_hi, v5
	v_xor_b32_e32 v5, vcc_lo, v5
	v_and_b32_e32 v61, v61, v5
	v_lshlrev_b32_e32 v5, 29, v60
	v_cmp_gt_i64_e32 vcc, 0, v[4:5]
	v_not_b32_e32 v5, v5
	v_ashrrev_i32_e32 v5, 31, v5
	v_and_b32_e32 v197, v197, v198
	v_xor_b32_e32 v198, vcc_hi, v5
	v_xor_b32_e32 v5, vcc_lo, v5
	v_and_b32_e32 v61, v61, v5
	v_lshlrev_b32_e32 v5, 28, v60
	v_cmp_gt_i64_e32 vcc, 0, v[4:5]
	v_not_b32_e32 v5, v5
	v_ashrrev_i32_e32 v5, 31, v5
	v_and_b32_e32 v197, v197, v198
	;; [unrolled: 8-line block ×5, first 2 shown]
	v_xor_b32_e32 v198, vcc_hi, v5
	v_xor_b32_e32 v5, vcc_lo, v5
	v_and_b32_e32 v197, v197, v198
	v_and_b32_e32 v198, v61, v5
	v_lshlrev_b32_e32 v5, 24, v60
	v_cmp_gt_i64_e32 vcc, 0, v[4:5]
	v_not_b32_e32 v5, v5
	v_ashrrev_i32_e32 v5, 31, v5
	v_xor_b32_e32 v60, vcc_hi, v5
	v_xor_b32_e32 v5, vcc_lo, v5
	v_and_b32_e32 v61, v197, v60
	v_and_b32_e32 v60, v198, v5
	v_mbcnt_lo_u32_b32 v5, v60, 0
	v_mbcnt_hi_u32_b32 v198, v61, v5
	v_cmp_eq_u32_e32 vcc, 0, v198
	v_cmp_ne_u64_e64 s[36:37], 0, v[60:61]
	s_and_b64 s[38:39], s[36:37], vcc
	; wave barrier
	s_and_saveexec_b64 s[36:37], s[38:39]
	s_cbranch_execz .LBB603_746
; %bb.745:                              ;   in Loop: Header=BB603_688 Depth=2
	v_bcnt_u32_b32 v5, v60, 0
	v_bcnt_u32_b32 v5, v61, v5
	s_waitcnt lgkmcnt(0)
	v_add_u32_e32 v5, v195, v5
	ds_write_b32 v196, v5
.LBB603_746:                            ;   in Loop: Header=BB603_688 Depth=2
	s_or_b64 exec, exec, s[36:37]
	s_waitcnt vmcnt(3)
	v_xor_b32_e32 v197, 0x80000000, v168
	v_lshrrev_b32_e32 v5, s85, v197
	v_and_b32_e32 v60, s94, v5
	v_mul_u32_u24_e32 v5, 5, v60
	v_add_lshl_u32 v5, v5, v150, 2
	; wave barrier
	v_add_u32_e32 v168, 0x410, v5
	ds_read_b32 v199, v5 offset:1040
	v_and_b32_e32 v5, 1, v60
	v_add_co_u32_e32 v61, vcc, -1, v5
	v_addc_co_u32_e64 v200, s[36:37], 0, -1, vcc
	v_cmp_ne_u32_e32 vcc, 0, v5
	v_xor_b32_e32 v5, vcc_hi, v200
	v_and_b32_e32 v200, exec_hi, v5
	v_lshlrev_b32_e32 v5, 30, v60
	v_xor_b32_e32 v61, vcc_lo, v61
	v_cmp_gt_i64_e32 vcc, 0, v[4:5]
	v_not_b32_e32 v5, v5
	v_ashrrev_i32_e32 v5, 31, v5
	v_and_b32_e32 v61, exec_lo, v61
	v_xor_b32_e32 v201, vcc_hi, v5
	v_xor_b32_e32 v5, vcc_lo, v5
	v_and_b32_e32 v61, v61, v5
	v_lshlrev_b32_e32 v5, 29, v60
	v_cmp_gt_i64_e32 vcc, 0, v[4:5]
	v_not_b32_e32 v5, v5
	v_ashrrev_i32_e32 v5, 31, v5
	v_and_b32_e32 v200, v200, v201
	v_xor_b32_e32 v201, vcc_hi, v5
	v_xor_b32_e32 v5, vcc_lo, v5
	v_and_b32_e32 v61, v61, v5
	v_lshlrev_b32_e32 v5, 28, v60
	v_cmp_gt_i64_e32 vcc, 0, v[4:5]
	v_not_b32_e32 v5, v5
	v_ashrrev_i32_e32 v5, 31, v5
	v_and_b32_e32 v200, v200, v201
	;; [unrolled: 8-line block ×5, first 2 shown]
	v_xor_b32_e32 v201, vcc_hi, v5
	v_xor_b32_e32 v5, vcc_lo, v5
	v_and_b32_e32 v200, v200, v201
	v_and_b32_e32 v201, v61, v5
	v_lshlrev_b32_e32 v5, 24, v60
	v_cmp_gt_i64_e32 vcc, 0, v[4:5]
	v_not_b32_e32 v5, v5
	v_ashrrev_i32_e32 v5, 31, v5
	v_xor_b32_e32 v60, vcc_hi, v5
	v_xor_b32_e32 v5, vcc_lo, v5
	v_and_b32_e32 v61, v200, v60
	v_and_b32_e32 v60, v201, v5
	v_mbcnt_lo_u32_b32 v5, v60, 0
	v_mbcnt_hi_u32_b32 v201, v61, v5
	v_cmp_eq_u32_e32 vcc, 0, v201
	v_cmp_ne_u64_e64 s[36:37], 0, v[60:61]
	s_and_b64 s[38:39], s[36:37], vcc
	; wave barrier
	s_and_saveexec_b64 s[36:37], s[38:39]
	s_cbranch_execz .LBB603_748
; %bb.747:                              ;   in Loop: Header=BB603_688 Depth=2
	v_bcnt_u32_b32 v5, v60, 0
	v_bcnt_u32_b32 v5, v61, v5
	s_waitcnt lgkmcnt(0)
	v_add_u32_e32 v5, v199, v5
	ds_write_b32 v168, v5
.LBB603_748:                            ;   in Loop: Header=BB603_688 Depth=2
	s_or_b64 exec, exec, s[36:37]
	s_waitcnt vmcnt(2)
	v_xor_b32_e32 v200, 0x80000000, v163
	v_lshrrev_b32_e32 v5, s85, v200
	v_and_b32_e32 v60, s94, v5
	v_mul_u32_u24_e32 v5, 5, v60
	v_add_lshl_u32 v5, v5, v150, 2
	; wave barrier
	v_add_u32_e32 v163, 0x410, v5
	ds_read_b32 v202, v5 offset:1040
	v_and_b32_e32 v5, 1, v60
	v_add_co_u32_e32 v61, vcc, -1, v5
	v_addc_co_u32_e64 v203, s[36:37], 0, -1, vcc
	v_cmp_ne_u32_e32 vcc, 0, v5
	v_xor_b32_e32 v5, vcc_hi, v203
	v_and_b32_e32 v203, exec_hi, v5
	v_lshlrev_b32_e32 v5, 30, v60
	v_xor_b32_e32 v61, vcc_lo, v61
	v_cmp_gt_i64_e32 vcc, 0, v[4:5]
	v_not_b32_e32 v5, v5
	v_ashrrev_i32_e32 v5, 31, v5
	v_and_b32_e32 v61, exec_lo, v61
	v_xor_b32_e32 v204, vcc_hi, v5
	v_xor_b32_e32 v5, vcc_lo, v5
	v_and_b32_e32 v61, v61, v5
	v_lshlrev_b32_e32 v5, 29, v60
	v_cmp_gt_i64_e32 vcc, 0, v[4:5]
	v_not_b32_e32 v5, v5
	v_ashrrev_i32_e32 v5, 31, v5
	v_and_b32_e32 v203, v203, v204
	v_xor_b32_e32 v204, vcc_hi, v5
	v_xor_b32_e32 v5, vcc_lo, v5
	v_and_b32_e32 v61, v61, v5
	v_lshlrev_b32_e32 v5, 28, v60
	v_cmp_gt_i64_e32 vcc, 0, v[4:5]
	v_not_b32_e32 v5, v5
	v_ashrrev_i32_e32 v5, 31, v5
	v_and_b32_e32 v203, v203, v204
	;; [unrolled: 8-line block ×5, first 2 shown]
	v_xor_b32_e32 v204, vcc_hi, v5
	v_xor_b32_e32 v5, vcc_lo, v5
	v_and_b32_e32 v203, v203, v204
	v_and_b32_e32 v204, v61, v5
	v_lshlrev_b32_e32 v5, 24, v60
	v_cmp_gt_i64_e32 vcc, 0, v[4:5]
	v_not_b32_e32 v5, v5
	v_ashrrev_i32_e32 v5, 31, v5
	v_xor_b32_e32 v60, vcc_hi, v5
	v_xor_b32_e32 v5, vcc_lo, v5
	v_and_b32_e32 v61, v203, v60
	v_and_b32_e32 v60, v204, v5
	v_mbcnt_lo_u32_b32 v5, v60, 0
	v_mbcnt_hi_u32_b32 v204, v61, v5
	v_cmp_eq_u32_e32 vcc, 0, v204
	v_cmp_ne_u64_e64 s[36:37], 0, v[60:61]
	s_and_b64 s[38:39], s[36:37], vcc
	; wave barrier
	s_and_saveexec_b64 s[36:37], s[38:39]
	s_cbranch_execz .LBB603_750
; %bb.749:                              ;   in Loop: Header=BB603_688 Depth=2
	v_bcnt_u32_b32 v5, v60, 0
	v_bcnt_u32_b32 v5, v61, v5
	s_waitcnt lgkmcnt(0)
	v_add_u32_e32 v5, v202, v5
	ds_write_b32 v163, v5
.LBB603_750:                            ;   in Loop: Header=BB603_688 Depth=2
	s_or_b64 exec, exec, s[36:37]
	s_waitcnt vmcnt(1)
	v_xor_b32_e32 v203, 0x80000000, v158
	v_lshrrev_b32_e32 v5, s85, v203
	v_and_b32_e32 v60, s94, v5
	v_mul_u32_u24_e32 v5, 5, v60
	v_add_lshl_u32 v5, v5, v150, 2
	; wave barrier
	v_add_u32_e32 v158, 0x410, v5
	ds_read_b32 v205, v5 offset:1040
	v_and_b32_e32 v5, 1, v60
	v_add_co_u32_e32 v61, vcc, -1, v5
	v_addc_co_u32_e64 v206, s[36:37], 0, -1, vcc
	v_cmp_ne_u32_e32 vcc, 0, v5
	v_xor_b32_e32 v5, vcc_hi, v206
	v_and_b32_e32 v206, exec_hi, v5
	v_lshlrev_b32_e32 v5, 30, v60
	v_xor_b32_e32 v61, vcc_lo, v61
	v_cmp_gt_i64_e32 vcc, 0, v[4:5]
	v_not_b32_e32 v5, v5
	v_ashrrev_i32_e32 v5, 31, v5
	v_and_b32_e32 v61, exec_lo, v61
	v_xor_b32_e32 v207, vcc_hi, v5
	v_xor_b32_e32 v5, vcc_lo, v5
	v_and_b32_e32 v61, v61, v5
	v_lshlrev_b32_e32 v5, 29, v60
	v_cmp_gt_i64_e32 vcc, 0, v[4:5]
	v_not_b32_e32 v5, v5
	v_ashrrev_i32_e32 v5, 31, v5
	v_and_b32_e32 v206, v206, v207
	v_xor_b32_e32 v207, vcc_hi, v5
	v_xor_b32_e32 v5, vcc_lo, v5
	v_and_b32_e32 v61, v61, v5
	v_lshlrev_b32_e32 v5, 28, v60
	v_cmp_gt_i64_e32 vcc, 0, v[4:5]
	v_not_b32_e32 v5, v5
	v_ashrrev_i32_e32 v5, 31, v5
	v_and_b32_e32 v206, v206, v207
	;; [unrolled: 8-line block ×5, first 2 shown]
	v_xor_b32_e32 v207, vcc_hi, v5
	v_xor_b32_e32 v5, vcc_lo, v5
	v_and_b32_e32 v206, v206, v207
	v_and_b32_e32 v207, v61, v5
	v_lshlrev_b32_e32 v5, 24, v60
	v_cmp_gt_i64_e32 vcc, 0, v[4:5]
	v_not_b32_e32 v5, v5
	v_ashrrev_i32_e32 v5, 31, v5
	v_xor_b32_e32 v60, vcc_hi, v5
	v_xor_b32_e32 v5, vcc_lo, v5
	v_and_b32_e32 v61, v206, v60
	v_and_b32_e32 v60, v207, v5
	v_mbcnt_lo_u32_b32 v5, v60, 0
	v_mbcnt_hi_u32_b32 v207, v61, v5
	v_cmp_eq_u32_e32 vcc, 0, v207
	v_cmp_ne_u64_e64 s[36:37], 0, v[60:61]
	s_and_b64 s[38:39], s[36:37], vcc
	; wave barrier
	s_and_saveexec_b64 s[36:37], s[38:39]
	s_cbranch_execz .LBB603_752
; %bb.751:                              ;   in Loop: Header=BB603_688 Depth=2
	v_bcnt_u32_b32 v5, v60, 0
	v_bcnt_u32_b32 v5, v61, v5
	s_waitcnt lgkmcnt(0)
	v_add_u32_e32 v5, v205, v5
	ds_write_b32 v158, v5
.LBB603_752:                            ;   in Loop: Header=BB603_688 Depth=2
	s_or_b64 exec, exec, s[36:37]
	s_waitcnt vmcnt(0)
	v_xor_b32_e32 v206, 0x80000000, v62
	v_lshrrev_b32_e32 v5, s85, v206
	v_and_b32_e32 v60, s94, v5
	v_mul_u32_u24_e32 v5, 5, v60
	v_add_lshl_u32 v5, v5, v150, 2
	; wave barrier
	v_add_u32_e32 v209, 0x410, v5
	ds_read_b32 v208, v5 offset:1040
	v_and_b32_e32 v5, 1, v60
	v_add_co_u32_e32 v61, vcc, -1, v5
	v_addc_co_u32_e64 v62, s[36:37], 0, -1, vcc
	v_cmp_ne_u32_e32 vcc, 0, v5
	v_xor_b32_e32 v5, vcc_hi, v62
	v_and_b32_e32 v62, exec_hi, v5
	v_lshlrev_b32_e32 v5, 30, v60
	v_xor_b32_e32 v61, vcc_lo, v61
	v_cmp_gt_i64_e32 vcc, 0, v[4:5]
	v_not_b32_e32 v5, v5
	v_ashrrev_i32_e32 v5, 31, v5
	v_and_b32_e32 v61, exec_lo, v61
	v_xor_b32_e32 v210, vcc_hi, v5
	v_xor_b32_e32 v5, vcc_lo, v5
	v_and_b32_e32 v61, v61, v5
	v_lshlrev_b32_e32 v5, 29, v60
	v_cmp_gt_i64_e32 vcc, 0, v[4:5]
	v_not_b32_e32 v5, v5
	v_ashrrev_i32_e32 v5, 31, v5
	v_and_b32_e32 v62, v62, v210
	v_xor_b32_e32 v210, vcc_hi, v5
	v_xor_b32_e32 v5, vcc_lo, v5
	v_and_b32_e32 v61, v61, v5
	v_lshlrev_b32_e32 v5, 28, v60
	v_cmp_gt_i64_e32 vcc, 0, v[4:5]
	v_not_b32_e32 v5, v5
	v_ashrrev_i32_e32 v5, 31, v5
	v_and_b32_e32 v62, v62, v210
	;; [unrolled: 8-line block ×5, first 2 shown]
	v_xor_b32_e32 v210, vcc_hi, v5
	v_xor_b32_e32 v5, vcc_lo, v5
	v_and_b32_e32 v62, v62, v210
	v_and_b32_e32 v210, v61, v5
	v_lshlrev_b32_e32 v5, 24, v60
	v_cmp_gt_i64_e32 vcc, 0, v[4:5]
	v_not_b32_e32 v5, v5
	v_ashrrev_i32_e32 v5, 31, v5
	v_xor_b32_e32 v60, vcc_hi, v5
	v_xor_b32_e32 v5, vcc_lo, v5
	v_and_b32_e32 v61, v62, v60
	v_and_b32_e32 v60, v210, v5
	v_mbcnt_lo_u32_b32 v5, v60, 0
	v_mbcnt_hi_u32_b32 v211, v61, v5
	v_cmp_eq_u32_e32 vcc, 0, v211
	v_cmp_ne_u64_e64 s[36:37], 0, v[60:61]
	s_and_b64 s[38:39], s[36:37], vcc
	; wave barrier
	s_and_saveexec_b64 s[36:37], s[38:39]
	s_cbranch_execz .LBB603_754
; %bb.753:                              ;   in Loop: Header=BB603_688 Depth=2
	v_bcnt_u32_b32 v5, v60, 0
	v_bcnt_u32_b32 v5, v61, v5
	s_waitcnt lgkmcnt(0)
	v_add_u32_e32 v5, v208, v5
	ds_write_b32 v209, v5
.LBB603_754:                            ;   in Loop: Header=BB603_688 Depth=2
	s_or_b64 exec, exec, s[36:37]
	v_xor_b32_e32 v210, 0x80000000, v63
	v_lshrrev_b32_e32 v5, s85, v210
	v_and_b32_e32 v60, s94, v5
	v_mul_u32_u24_e32 v5, 5, v60
	v_add_lshl_u32 v5, v5, v150, 2
	; wave barrier
	v_add_u32_e32 v213, 0x410, v5
	ds_read_b32 v212, v5 offset:1040
	v_and_b32_e32 v5, 1, v60
	v_add_co_u32_e32 v61, vcc, -1, v5
	v_addc_co_u32_e64 v62, s[36:37], 0, -1, vcc
	v_cmp_ne_u32_e32 vcc, 0, v5
	v_xor_b32_e32 v5, vcc_hi, v62
	v_and_b32_e32 v62, exec_hi, v5
	v_lshlrev_b32_e32 v5, 30, v60
	v_xor_b32_e32 v61, vcc_lo, v61
	v_cmp_gt_i64_e32 vcc, 0, v[4:5]
	v_not_b32_e32 v5, v5
	v_ashrrev_i32_e32 v5, 31, v5
	v_and_b32_e32 v61, exec_lo, v61
	v_xor_b32_e32 v63, vcc_hi, v5
	v_xor_b32_e32 v5, vcc_lo, v5
	v_and_b32_e32 v61, v61, v5
	v_lshlrev_b32_e32 v5, 29, v60
	v_cmp_gt_i64_e32 vcc, 0, v[4:5]
	v_not_b32_e32 v5, v5
	v_ashrrev_i32_e32 v5, 31, v5
	v_and_b32_e32 v62, v62, v63
	v_xor_b32_e32 v63, vcc_hi, v5
	v_xor_b32_e32 v5, vcc_lo, v5
	v_and_b32_e32 v61, v61, v5
	v_lshlrev_b32_e32 v5, 28, v60
	v_cmp_gt_i64_e32 vcc, 0, v[4:5]
	v_not_b32_e32 v5, v5
	v_ashrrev_i32_e32 v5, 31, v5
	v_and_b32_e32 v62, v62, v63
	;; [unrolled: 8-line block ×5, first 2 shown]
	v_xor_b32_e32 v63, vcc_hi, v5
	v_xor_b32_e32 v5, vcc_lo, v5
	v_and_b32_e32 v62, v62, v63
	v_and_b32_e32 v63, v61, v5
	v_lshlrev_b32_e32 v5, 24, v60
	v_cmp_gt_i64_e32 vcc, 0, v[4:5]
	v_not_b32_e32 v5, v5
	v_ashrrev_i32_e32 v5, 31, v5
	v_xor_b32_e32 v60, vcc_hi, v5
	v_xor_b32_e32 v5, vcc_lo, v5
	v_and_b32_e32 v61, v62, v60
	v_and_b32_e32 v60, v63, v5
	v_mbcnt_lo_u32_b32 v5, v60, 0
	v_mbcnt_hi_u32_b32 v214, v61, v5
	v_cmp_eq_u32_e32 vcc, 0, v214
	v_cmp_ne_u64_e64 s[36:37], 0, v[60:61]
	s_and_b64 s[38:39], s[36:37], vcc
	; wave barrier
	s_and_saveexec_b64 s[36:37], s[38:39]
	s_cbranch_execz .LBB603_756
; %bb.755:                              ;   in Loop: Header=BB603_688 Depth=2
	v_bcnt_u32_b32 v5, v60, 0
	v_bcnt_u32_b32 v5, v61, v5
	s_waitcnt lgkmcnt(0)
	v_add_u32_e32 v5, v212, v5
	ds_write_b32 v213, v5
.LBB603_756:                            ;   in Loop: Header=BB603_688 Depth=2
	s_or_b64 exec, exec, s[36:37]
	; wave barrier
	s_waitcnt lgkmcnt(0)
	s_barrier
	ds_read_b32 v5, v64 offset:1040
	ds_read2_b32 v[62:63], v66 offset0:1 offset1:2
	ds_read2_b32 v[60:61], v66 offset0:3 offset1:4
	s_waitcnt lgkmcnt(1)
	v_add3_u32 v215, v62, v5, v63
	s_waitcnt lgkmcnt(0)
	v_add3_u32 v61, v215, v60, v61
	s_nop 1
	v_mov_b32_dpp v215, v61 row_shr:1 row_mask:0xf bank_mask:0xf
	v_cndmask_b32_e64 v215, v215, 0, s[16:17]
	v_add_u32_e32 v61, v215, v61
	s_nop 1
	v_mov_b32_dpp v215, v61 row_shr:2 row_mask:0xf bank_mask:0xf
	v_cndmask_b32_e64 v215, 0, v215, s[18:19]
	v_add_u32_e32 v61, v61, v215
	;; [unrolled: 4-line block ×4, first 2 shown]
	s_nop 1
	v_mov_b32_dpp v215, v61 row_bcast:15 row_mask:0xf bank_mask:0xf
	v_cndmask_b32_e64 v215, v215, 0, s[24:25]
	v_add_u32_e32 v61, v61, v215
	s_nop 1
	v_mov_b32_dpp v215, v61 row_bcast:31 row_mask:0xf bank_mask:0xf
	v_cndmask_b32_e64 v215, 0, v215, s[26:27]
	v_add_u32_e32 v61, v61, v215
	s_and_saveexec_b64 s[36:37], s[6:7]
	s_cbranch_execz .LBB603_758
; %bb.757:                              ;   in Loop: Header=BB603_688 Depth=2
	ds_write_b32 v19, v61 offset:1024
.LBB603_758:                            ;   in Loop: Header=BB603_688 Depth=2
	s_or_b64 exec, exec, s[36:37]
	s_waitcnt lgkmcnt(0)
	s_barrier
	s_and_saveexec_b64 s[36:37], s[8:9]
	s_cbranch_execz .LBB603_760
; %bb.759:                              ;   in Loop: Header=BB603_688 Depth=2
	v_add_u32_e32 v215, v64, v67
	ds_read_b32 v216, v215 offset:1024
	s_waitcnt lgkmcnt(0)
	s_nop 0
	v_mov_b32_dpp v217, v216 row_shr:1 row_mask:0xf bank_mask:0xf
	v_cndmask_b32_e64 v217, v217, 0, s[30:31]
	v_add_u32_e32 v216, v217, v216
	s_nop 1
	v_mov_b32_dpp v217, v216 row_shr:2 row_mask:0xf bank_mask:0xf
	v_cndmask_b32_e64 v217, 0, v217, s[34:35]
	v_add_u32_e32 v216, v216, v217
	ds_write_b32 v215, v216 offset:1024
.LBB603_760:                            ;   in Loop: Header=BB603_688 Depth=2
	s_or_b64 exec, exec, s[36:37]
	v_mov_b32_e32 v215, 0
	s_waitcnt lgkmcnt(0)
	s_barrier
	s_and_saveexec_b64 s[36:37], s[10:11]
	s_cbranch_execz .LBB603_762
; %bb.761:                              ;   in Loop: Header=BB603_688 Depth=2
	ds_read_b32 v215, v19 offset:1020
.LBB603_762:                            ;   in Loop: Header=BB603_688 Depth=2
	s_or_b64 exec, exec, s[36:37]
	s_waitcnt lgkmcnt(0)
	v_add_u32_e32 v61, v215, v61
	ds_bpermute_b32 v61, v127, v61
	s_waitcnt lgkmcnt(0)
	v_cndmask_b32_e64 v61, v61, v215, s[28:29]
	v_cndmask_b32_e64 v61, v61, 0, s[12:13]
	v_add_u32_e32 v5, v61, v5
	ds_write_b32 v64, v61 offset:1040
	v_add_u32_e32 v61, v5, v62
	v_add_u32_e32 v62, v61, v63
	ds_write2_b32 v66, v5, v61 offset0:1 offset1:2
	v_add_u32_e32 v5, v62, v60
	ds_write2_b32 v66, v62, v5 offset0:3 offset1:4
	s_waitcnt lgkmcnt(0)
	s_barrier
	ds_read_b32 v60, v157
	ds_read_b32 v61, v162
	;; [unrolled: 1-line block ×16, first 2 shown]
	ds_read_b32 v158, v64 offset:1040
	v_mov_b32_e32 v5, 0x1000
	s_and_saveexec_b64 s[36:37], s[14:15]
	s_cbranch_execz .LBB603_764
; %bb.763:                              ;   in Loop: Header=BB603_688 Depth=2
	ds_read_b32 v5, v64 offset:1060
.LBB603_764:                            ;   in Loop: Header=BB603_688 Depth=2
	s_or_b64 exec, exec, s[36:37]
	s_waitcnt lgkmcnt(0)
	s_barrier
	s_and_saveexec_b64 s[36:37], s[4:5]
	s_cbranch_execz .LBB603_766
; %bb.765:                              ;   in Loop: Header=BB603_688 Depth=2
	ds_read_b32 v163, v3
	s_waitcnt lgkmcnt(0)
	v_sub_u32_e32 v158, v163, v158
	ds_write_b32 v3, v158
.LBB603_766:                            ;   in Loop: Header=BB603_688 Depth=2
	s_or_b64 exec, exec, s[36:37]
	v_add_u32_e32 v172, v153, v155
	v_add3_u32 v168, v160, v156, v60
	v_lshlrev_b32_e32 v60, 2, v172
	v_add3_u32 v167, v165, v161, v61
	ds_write_b32 v60, v152 offset:1024
	v_lshlrev_b32_e32 v60, 2, v168
	v_add3_u32 v166, v170, v166, v62
	ds_write_b32 v60, v154 offset:1024
	;; [unrolled: 3-line block ×14, first 2 shown]
	v_lshlrev_b32_e32 v60, 2, v63
	ds_write_b32 v60, v206 offset:1024
	v_lshlrev_b32_e32 v60, 2, v62
	v_cmp_lt_u32_e64 s[36:37], v2, v151
	ds_write_b32 v60, v210 offset:1024
	s_waitcnt lgkmcnt(0)
	s_barrier
	s_and_saveexec_b64 s[38:39], s[36:37]
	s_cbranch_execz .LBB603_782
; %bb.767:                              ;   in Loop: Header=BB603_688 Depth=2
	v_add_u32_e32 v60, v64, v67
	ds_read_b32 v60, v60 offset:1024
	v_mov_b32_e32 v154, s75
	s_waitcnt lgkmcnt(0)
	v_lshrrev_b32_e32 v61, s85, v60
	v_and_b32_e32 v61, s94, v61
	v_lshlrev_b32_e32 v61, 2, v61
	ds_read_b32 v152, v61
	v_mov_b32_e32 v61, v4
	v_xor_b32_e32 v159, 0x80000000, v60
	s_waitcnt lgkmcnt(0)
	v_add_u32_e32 v60, v152, v2
	v_lshlrev_b64 v[60:61], 2, v[60:61]
	v_add_co_u32_e32 v60, vcc, s74, v60
	v_addc_co_u32_e32 v61, vcc, v154, v61, vcc
	global_store_dword v[60:61], v159, off
	s_or_b64 exec, exec, s[38:39]
	v_cmp_lt_u32_e64 s[38:39], v7, v151
	s_and_saveexec_b64 s[40:41], s[38:39]
	s_cbranch_execnz .LBB603_783
.LBB603_768:                            ;   in Loop: Header=BB603_688 Depth=2
	s_or_b64 exec, exec, s[40:41]
	v_cmp_lt_u32_e64 s[40:41], v9, v151
	s_and_saveexec_b64 s[42:43], s[40:41]
	s_cbranch_execz .LBB603_784
.LBB603_769:                            ;   in Loop: Header=BB603_688 Depth=2
	ds_read_b32 v60, v72 offset:2048
	v_mov_b32_e32 v154, s75
	s_waitcnt lgkmcnt(0)
	v_lshrrev_b32_e32 v61, s85, v60
	v_and_b32_e32 v61, s94, v61
	v_lshlrev_b32_e32 v61, 2, v61
	ds_read_b32 v152, v61
	v_mov_b32_e32 v61, v4
	v_xor_b32_e32 v159, 0x80000000, v60
	s_waitcnt lgkmcnt(0)
	v_add_u32_e32 v60, v152, v9
	v_lshlrev_b64 v[60:61], 2, v[60:61]
	v_add_co_u32_e32 v60, vcc, s74, v60
	v_addc_co_u32_e32 v61, vcc, v154, v61, vcc
	global_store_dword v[60:61], v159, off
	s_or_b64 exec, exec, s[42:43]
	v_cmp_lt_u32_e64 s[42:43], v11, v151
	s_and_saveexec_b64 s[44:45], s[42:43]
	s_cbranch_execnz .LBB603_785
.LBB603_770:                            ;   in Loop: Header=BB603_688 Depth=2
	s_or_b64 exec, exec, s[44:45]
	v_cmp_lt_u32_e64 s[44:45], v6, v151
	s_and_saveexec_b64 s[46:47], s[44:45]
	s_cbranch_execz .LBB603_786
.LBB603_771:                            ;   in Loop: Header=BB603_688 Depth=2
	ds_read_b32 v60, v72 offset:4096
	v_mov_b32_e32 v154, s75
	s_waitcnt lgkmcnt(0)
	v_lshrrev_b32_e32 v61, s85, v60
	v_and_b32_e32 v61, s94, v61
	v_lshlrev_b32_e32 v61, 2, v61
	ds_read_b32 v152, v61
	v_mov_b32_e32 v61, v4
	v_xor_b32_e32 v159, 0x80000000, v60
	s_waitcnt lgkmcnt(0)
	v_add_u32_e32 v60, v152, v6
	v_lshlrev_b64 v[60:61], 2, v[60:61]
	v_add_co_u32_e32 v60, vcc, s74, v60
	v_addc_co_u32_e32 v61, vcc, v154, v61, vcc
	global_store_dword v[60:61], v159, off
	s_or_b64 exec, exec, s[46:47]
	v_cmp_lt_u32_e64 s[46:47], v8, v151
	s_and_saveexec_b64 s[48:49], s[46:47]
	s_cbranch_execnz .LBB603_787
.LBB603_772:                            ;   in Loop: Header=BB603_688 Depth=2
	s_or_b64 exec, exec, s[48:49]
	v_cmp_lt_u32_e64 s[48:49], v10, v151
	s_and_saveexec_b64 s[50:51], s[48:49]
	s_cbranch_execz .LBB603_788
.LBB603_773:                            ;   in Loop: Header=BB603_688 Depth=2
	ds_read_b32 v60, v72 offset:6144
	v_mov_b32_e32 v154, s75
	s_waitcnt lgkmcnt(0)
	v_lshrrev_b32_e32 v61, s85, v60
	v_and_b32_e32 v61, s94, v61
	v_lshlrev_b32_e32 v61, 2, v61
	ds_read_b32 v152, v61
	v_mov_b32_e32 v61, v4
	v_xor_b32_e32 v159, 0x80000000, v60
	s_waitcnt lgkmcnt(0)
	v_add_u32_e32 v60, v152, v10
	v_lshlrev_b64 v[60:61], 2, v[60:61]
	v_add_co_u32_e32 v60, vcc, s74, v60
	v_addc_co_u32_e32 v61, vcc, v154, v61, vcc
	global_store_dword v[60:61], v159, off
	s_or_b64 exec, exec, s[50:51]
	v_cmp_lt_u32_e64 s[50:51], v12, v151
	s_and_saveexec_b64 s[52:53], s[50:51]
	s_cbranch_execnz .LBB603_789
.LBB603_774:                            ;   in Loop: Header=BB603_688 Depth=2
	s_or_b64 exec, exec, s[52:53]
	v_cmp_lt_u32_e64 s[52:53], v14, v151
	s_and_saveexec_b64 s[54:55], s[52:53]
	s_cbranch_execz .LBB603_790
.LBB603_775:                            ;   in Loop: Header=BB603_688 Depth=2
	ds_read_b32 v60, v72 offset:8192
	v_mov_b32_e32 v154, s75
	s_waitcnt lgkmcnt(0)
	v_lshrrev_b32_e32 v61, s85, v60
	v_and_b32_e32 v61, s94, v61
	v_lshlrev_b32_e32 v61, 2, v61
	ds_read_b32 v152, v61
	v_mov_b32_e32 v61, v4
	v_xor_b32_e32 v159, 0x80000000, v60
	s_waitcnt lgkmcnt(0)
	v_add_u32_e32 v60, v152, v14
	v_lshlrev_b64 v[60:61], 2, v[60:61]
	v_add_co_u32_e32 v60, vcc, s74, v60
	v_addc_co_u32_e32 v61, vcc, v154, v61, vcc
	global_store_dword v[60:61], v159, off
	s_or_b64 exec, exec, s[54:55]
	v_cmp_lt_u32_e64 s[54:55], v16, v151
	s_and_saveexec_b64 s[56:57], s[54:55]
	s_cbranch_execnz .LBB603_791
.LBB603_776:                            ;   in Loop: Header=BB603_688 Depth=2
	s_or_b64 exec, exec, s[56:57]
	v_cmp_lt_u32_e64 s[56:57], v18, v151
	s_and_saveexec_b64 s[58:59], s[56:57]
	s_cbranch_execz .LBB603_792
.LBB603_777:                            ;   in Loop: Header=BB603_688 Depth=2
	ds_read_b32 v60, v72 offset:10240
	v_mov_b32_e32 v154, s75
	s_waitcnt lgkmcnt(0)
	v_lshrrev_b32_e32 v61, s85, v60
	v_and_b32_e32 v61, s94, v61
	v_lshlrev_b32_e32 v61, 2, v61
	ds_read_b32 v152, v61
	v_mov_b32_e32 v61, v4
	v_xor_b32_e32 v159, 0x80000000, v60
	s_waitcnt lgkmcnt(0)
	v_add_u32_e32 v60, v152, v18
	v_lshlrev_b64 v[60:61], 2, v[60:61]
	v_add_co_u32_e32 v60, vcc, s74, v60
	v_addc_co_u32_e32 v61, vcc, v154, v61, vcc
	global_store_dword v[60:61], v159, off
	s_or_b64 exec, exec, s[58:59]
	v_cmp_lt_u32_e64 s[58:59], v20, v151
	s_and_saveexec_b64 s[60:61], s[58:59]
	s_cbranch_execnz .LBB603_793
.LBB603_778:                            ;   in Loop: Header=BB603_688 Depth=2
	s_or_b64 exec, exec, s[60:61]
	v_cmp_lt_u32_e64 s[60:61], v22, v151
	s_and_saveexec_b64 s[62:63], s[60:61]
	s_cbranch_execz .LBB603_794
.LBB603_779:                            ;   in Loop: Header=BB603_688 Depth=2
	ds_read_b32 v60, v72 offset:12288
	v_mov_b32_e32 v154, s75
	s_waitcnt lgkmcnt(0)
	v_lshrrev_b32_e32 v61, s85, v60
	v_and_b32_e32 v61, s94, v61
	v_lshlrev_b32_e32 v61, 2, v61
	ds_read_b32 v152, v61
	v_mov_b32_e32 v61, v4
	v_xor_b32_e32 v159, 0x80000000, v60
	s_waitcnt lgkmcnt(0)
	v_add_u32_e32 v60, v152, v22
	v_lshlrev_b64 v[60:61], 2, v[60:61]
	v_add_co_u32_e32 v60, vcc, s74, v60
	v_addc_co_u32_e32 v61, vcc, v154, v61, vcc
	global_store_dword v[60:61], v159, off
	s_or_b64 exec, exec, s[62:63]
	v_cmp_lt_u32_e64 s[62:63], v24, v151
	s_and_saveexec_b64 s[64:65], s[62:63]
	s_cbranch_execnz .LBB603_795
.LBB603_780:                            ;   in Loop: Header=BB603_688 Depth=2
	s_or_b64 exec, exec, s[64:65]
	v_cmp_lt_u32_e64 s[64:65], v26, v151
	s_and_saveexec_b64 s[66:67], s[64:65]
	s_cbranch_execz .LBB603_796
.LBB603_781:                            ;   in Loop: Header=BB603_688 Depth=2
	ds_read_b32 v60, v72 offset:14336
	v_mov_b32_e32 v154, s75
	s_waitcnt lgkmcnt(0)
	v_lshrrev_b32_e32 v61, s85, v60
	v_and_b32_e32 v61, s94, v61
	v_lshlrev_b32_e32 v61, 2, v61
	ds_read_b32 v152, v61
	v_mov_b32_e32 v61, v4
	v_xor_b32_e32 v159, 0x80000000, v60
	s_waitcnt lgkmcnt(0)
	v_add_u32_e32 v60, v152, v26
	v_lshlrev_b64 v[60:61], 2, v[60:61]
	v_add_co_u32_e32 v60, vcc, s74, v60
	v_addc_co_u32_e32 v61, vcc, v154, v61, vcc
	global_store_dword v[60:61], v159, off
	s_or_b64 exec, exec, s[66:67]
	v_cmp_lt_u32_e64 s[66:67], v28, v151
	s_and_saveexec_b64 s[78:79], s[66:67]
	s_cbranch_execnz .LBB603_797
	s_branch .LBB603_798
.LBB603_782:                            ;   in Loop: Header=BB603_688 Depth=2
	s_or_b64 exec, exec, s[38:39]
	v_cmp_lt_u32_e64 s[38:39], v7, v151
	s_and_saveexec_b64 s[40:41], s[38:39]
	s_cbranch_execz .LBB603_768
.LBB603_783:                            ;   in Loop: Header=BB603_688 Depth=2
	ds_read_b32 v60, v72 offset:1024
	v_mov_b32_e32 v154, s75
	s_waitcnt lgkmcnt(0)
	v_lshrrev_b32_e32 v61, s85, v60
	v_and_b32_e32 v61, s94, v61
	v_lshlrev_b32_e32 v61, 2, v61
	ds_read_b32 v152, v61
	v_mov_b32_e32 v61, v4
	v_xor_b32_e32 v159, 0x80000000, v60
	s_waitcnt lgkmcnt(0)
	v_add_u32_e32 v60, v152, v7
	v_lshlrev_b64 v[60:61], 2, v[60:61]
	v_add_co_u32_e32 v60, vcc, s74, v60
	v_addc_co_u32_e32 v61, vcc, v154, v61, vcc
	global_store_dword v[60:61], v159, off
	s_or_b64 exec, exec, s[40:41]
	v_cmp_lt_u32_e64 s[40:41], v9, v151
	s_and_saveexec_b64 s[42:43], s[40:41]
	s_cbranch_execnz .LBB603_769
.LBB603_784:                            ;   in Loop: Header=BB603_688 Depth=2
	s_or_b64 exec, exec, s[42:43]
	v_cmp_lt_u32_e64 s[42:43], v11, v151
	s_and_saveexec_b64 s[44:45], s[42:43]
	s_cbranch_execz .LBB603_770
.LBB603_785:                            ;   in Loop: Header=BB603_688 Depth=2
	ds_read_b32 v60, v72 offset:3072
	v_mov_b32_e32 v154, s75
	s_waitcnt lgkmcnt(0)
	v_lshrrev_b32_e32 v61, s85, v60
	v_and_b32_e32 v61, s94, v61
	v_lshlrev_b32_e32 v61, 2, v61
	ds_read_b32 v152, v61
	v_mov_b32_e32 v61, v4
	v_xor_b32_e32 v159, 0x80000000, v60
	s_waitcnt lgkmcnt(0)
	v_add_u32_e32 v60, v152, v11
	v_lshlrev_b64 v[60:61], 2, v[60:61]
	v_add_co_u32_e32 v60, vcc, s74, v60
	v_addc_co_u32_e32 v61, vcc, v154, v61, vcc
	global_store_dword v[60:61], v159, off
	s_or_b64 exec, exec, s[44:45]
	v_cmp_lt_u32_e64 s[44:45], v6, v151
	s_and_saveexec_b64 s[46:47], s[44:45]
	s_cbranch_execnz .LBB603_771
.LBB603_786:                            ;   in Loop: Header=BB603_688 Depth=2
	s_or_b64 exec, exec, s[46:47]
	v_cmp_lt_u32_e64 s[46:47], v8, v151
	s_and_saveexec_b64 s[48:49], s[46:47]
	s_cbranch_execz .LBB603_772
.LBB603_787:                            ;   in Loop: Header=BB603_688 Depth=2
	ds_read_b32 v60, v72 offset:5120
	v_mov_b32_e32 v154, s75
	s_waitcnt lgkmcnt(0)
	v_lshrrev_b32_e32 v61, s85, v60
	v_and_b32_e32 v61, s94, v61
	v_lshlrev_b32_e32 v61, 2, v61
	ds_read_b32 v152, v61
	v_mov_b32_e32 v61, v4
	v_xor_b32_e32 v159, 0x80000000, v60
	s_waitcnt lgkmcnt(0)
	v_add_u32_e32 v60, v152, v8
	v_lshlrev_b64 v[60:61], 2, v[60:61]
	v_add_co_u32_e32 v60, vcc, s74, v60
	v_addc_co_u32_e32 v61, vcc, v154, v61, vcc
	global_store_dword v[60:61], v159, off
	s_or_b64 exec, exec, s[48:49]
	v_cmp_lt_u32_e64 s[48:49], v10, v151
	s_and_saveexec_b64 s[50:51], s[48:49]
	s_cbranch_execnz .LBB603_773
.LBB603_788:                            ;   in Loop: Header=BB603_688 Depth=2
	s_or_b64 exec, exec, s[50:51]
	v_cmp_lt_u32_e64 s[50:51], v12, v151
	s_and_saveexec_b64 s[52:53], s[50:51]
	s_cbranch_execz .LBB603_774
.LBB603_789:                            ;   in Loop: Header=BB603_688 Depth=2
	ds_read_b32 v60, v72 offset:7168
	v_mov_b32_e32 v154, s75
	s_waitcnt lgkmcnt(0)
	v_lshrrev_b32_e32 v61, s85, v60
	v_and_b32_e32 v61, s94, v61
	v_lshlrev_b32_e32 v61, 2, v61
	ds_read_b32 v152, v61
	v_mov_b32_e32 v61, v4
	v_xor_b32_e32 v159, 0x80000000, v60
	s_waitcnt lgkmcnt(0)
	v_add_u32_e32 v60, v152, v12
	v_lshlrev_b64 v[60:61], 2, v[60:61]
	v_add_co_u32_e32 v60, vcc, s74, v60
	v_addc_co_u32_e32 v61, vcc, v154, v61, vcc
	global_store_dword v[60:61], v159, off
	s_or_b64 exec, exec, s[52:53]
	v_cmp_lt_u32_e64 s[52:53], v14, v151
	s_and_saveexec_b64 s[54:55], s[52:53]
	s_cbranch_execnz .LBB603_775
.LBB603_790:                            ;   in Loop: Header=BB603_688 Depth=2
	s_or_b64 exec, exec, s[54:55]
	v_cmp_lt_u32_e64 s[54:55], v16, v151
	s_and_saveexec_b64 s[56:57], s[54:55]
	s_cbranch_execz .LBB603_776
.LBB603_791:                            ;   in Loop: Header=BB603_688 Depth=2
	ds_read_b32 v60, v72 offset:9216
	v_mov_b32_e32 v154, s75
	s_waitcnt lgkmcnt(0)
	v_lshrrev_b32_e32 v61, s85, v60
	v_and_b32_e32 v61, s94, v61
	v_lshlrev_b32_e32 v61, 2, v61
	ds_read_b32 v152, v61
	v_mov_b32_e32 v61, v4
	v_xor_b32_e32 v159, 0x80000000, v60
	s_waitcnt lgkmcnt(0)
	v_add_u32_e32 v60, v152, v16
	v_lshlrev_b64 v[60:61], 2, v[60:61]
	v_add_co_u32_e32 v60, vcc, s74, v60
	v_addc_co_u32_e32 v61, vcc, v154, v61, vcc
	global_store_dword v[60:61], v159, off
	s_or_b64 exec, exec, s[56:57]
	v_cmp_lt_u32_e64 s[56:57], v18, v151
	s_and_saveexec_b64 s[58:59], s[56:57]
	s_cbranch_execnz .LBB603_777
.LBB603_792:                            ;   in Loop: Header=BB603_688 Depth=2
	s_or_b64 exec, exec, s[58:59]
	v_cmp_lt_u32_e64 s[58:59], v20, v151
	s_and_saveexec_b64 s[60:61], s[58:59]
	s_cbranch_execz .LBB603_778
.LBB603_793:                            ;   in Loop: Header=BB603_688 Depth=2
	ds_read_b32 v60, v72 offset:11264
	v_mov_b32_e32 v154, s75
	s_waitcnt lgkmcnt(0)
	v_lshrrev_b32_e32 v61, s85, v60
	v_and_b32_e32 v61, s94, v61
	v_lshlrev_b32_e32 v61, 2, v61
	ds_read_b32 v152, v61
	v_mov_b32_e32 v61, v4
	v_xor_b32_e32 v159, 0x80000000, v60
	s_waitcnt lgkmcnt(0)
	v_add_u32_e32 v60, v152, v20
	v_lshlrev_b64 v[60:61], 2, v[60:61]
	v_add_co_u32_e32 v60, vcc, s74, v60
	v_addc_co_u32_e32 v61, vcc, v154, v61, vcc
	global_store_dword v[60:61], v159, off
	s_or_b64 exec, exec, s[60:61]
	v_cmp_lt_u32_e64 s[60:61], v22, v151
	s_and_saveexec_b64 s[62:63], s[60:61]
	s_cbranch_execnz .LBB603_779
.LBB603_794:                            ;   in Loop: Header=BB603_688 Depth=2
	s_or_b64 exec, exec, s[62:63]
	v_cmp_lt_u32_e64 s[62:63], v24, v151
	s_and_saveexec_b64 s[64:65], s[62:63]
	s_cbranch_execz .LBB603_780
.LBB603_795:                            ;   in Loop: Header=BB603_688 Depth=2
	ds_read_b32 v60, v72 offset:13312
	v_mov_b32_e32 v154, s75
	s_waitcnt lgkmcnt(0)
	v_lshrrev_b32_e32 v61, s85, v60
	v_and_b32_e32 v61, s94, v61
	v_lshlrev_b32_e32 v61, 2, v61
	ds_read_b32 v152, v61
	v_mov_b32_e32 v61, v4
	v_xor_b32_e32 v159, 0x80000000, v60
	s_waitcnt lgkmcnt(0)
	v_add_u32_e32 v60, v152, v24
	v_lshlrev_b64 v[60:61], 2, v[60:61]
	v_add_co_u32_e32 v60, vcc, s74, v60
	v_addc_co_u32_e32 v61, vcc, v154, v61, vcc
	global_store_dword v[60:61], v159, off
	s_or_b64 exec, exec, s[64:65]
	v_cmp_lt_u32_e64 s[64:65], v26, v151
	s_and_saveexec_b64 s[66:67], s[64:65]
	s_cbranch_execnz .LBB603_781
.LBB603_796:                            ;   in Loop: Header=BB603_688 Depth=2
	s_or_b64 exec, exec, s[66:67]
	v_cmp_lt_u32_e64 s[66:67], v28, v151
	s_and_saveexec_b64 s[78:79], s[66:67]
	s_cbranch_execz .LBB603_798
.LBB603_797:                            ;   in Loop: Header=BB603_688 Depth=2
	ds_read_b32 v60, v72 offset:15360
	v_mov_b32_e32 v154, s75
	s_waitcnt lgkmcnt(0)
	v_lshrrev_b32_e32 v61, s85, v60
	v_and_b32_e32 v61, s94, v61
	v_lshlrev_b32_e32 v61, 2, v61
	ds_read_b32 v152, v61
	v_mov_b32_e32 v61, v4
	v_xor_b32_e32 v159, 0x80000000, v60
	s_waitcnt lgkmcnt(0)
	v_add_u32_e32 v60, v152, v28
	v_lshlrev_b64 v[60:61], 2, v[60:61]
	v_add_co_u32_e32 v60, vcc, s74, v60
	v_addc_co_u32_e32 v61, vcc, v154, v61, vcc
	global_store_dword v[60:61], v159, off
.LBB603_798:                            ;   in Loop: Header=BB603_688 Depth=2
	s_or_b64 exec, exec, s[78:79]
	s_lshl_b64 s[78:79], s[88:89], 3
	v_mov_b32_e32 v61, s79
	v_add_co_u32_e32 v60, vcc, s78, v128
	v_addc_co_u32_e32 v61, vcc, v129, v61, vcc
	v_cmp_lt_u32_e32 vcc, v109, v151
	s_and_saveexec_b64 s[78:79], vcc
	s_xor_b64 s[78:79], exec, s[78:79]
	s_cbranch_execz .LBB603_830
; %bb.799:                              ;   in Loop: Header=BB603_688 Depth=2
	global_load_dwordx2 v[58:59], v[60:61], off
	s_or_b64 exec, exec, s[78:79]
	v_cmp_lt_u32_e32 vcc, v110, v151
	s_and_saveexec_b64 s[78:79], vcc
	s_cbranch_execnz .LBB603_831
.LBB603_800:                            ;   in Loop: Header=BB603_688 Depth=2
	s_or_b64 exec, exec, s[78:79]
	v_cmp_lt_u32_e32 vcc, v111, v151
	s_and_saveexec_b64 s[78:79], vcc
	s_cbranch_execz .LBB603_832
.LBB603_801:                            ;   in Loop: Header=BB603_688 Depth=2
	global_load_dwordx2 v[54:55], v[60:61], off offset:1024
	s_or_b64 exec, exec, s[78:79]
	v_cmp_lt_u32_e32 vcc, v112, v151
	s_and_saveexec_b64 s[78:79], vcc
	s_cbranch_execnz .LBB603_833
.LBB603_802:                            ;   in Loop: Header=BB603_688 Depth=2
	s_or_b64 exec, exec, s[78:79]
	v_cmp_lt_u32_e32 vcc, v113, v151
	s_and_saveexec_b64 s[78:79], vcc
	s_cbranch_execz .LBB603_834
.LBB603_803:                            ;   in Loop: Header=BB603_688 Depth=2
	global_load_dwordx2 v[46:47], v[60:61], off offset:2048
	s_or_b64 exec, exec, s[78:79]
	v_cmp_lt_u32_e32 vcc, v114, v151
	s_and_saveexec_b64 s[78:79], vcc
	s_cbranch_execnz .LBB603_835
.LBB603_804:                            ;   in Loop: Header=BB603_688 Depth=2
	s_or_b64 exec, exec, s[78:79]
	v_cmp_lt_u32_e32 vcc, v115, v151
	s_and_saveexec_b64 s[78:79], vcc
	s_cbranch_execz .LBB603_836
.LBB603_805:                            ;   in Loop: Header=BB603_688 Depth=2
	global_load_dwordx2 v[38:39], v[60:61], off offset:3072
	s_or_b64 exec, exec, s[78:79]
	v_cmp_lt_u32_e32 vcc, v116, v151
	s_and_saveexec_b64 s[78:79], vcc
	s_cbranch_execnz .LBB603_837
.LBB603_806:                            ;   in Loop: Header=BB603_688 Depth=2
	s_or_b64 exec, exec, s[78:79]
	v_cmp_lt_u32_e32 vcc, v117, v151
	s_and_saveexec_b64 s[78:79], vcc
	s_cbranch_execz .LBB603_838
.LBB603_807:                            ;   in Loop: Header=BB603_688 Depth=2
	v_add_co_u32_e32 v52, vcc, 0x1000, v60
	v_addc_co_u32_e32 v53, vcc, 0, v61, vcc
	global_load_dwordx2 v[52:53], v[52:53], off
	s_or_b64 exec, exec, s[78:79]
	v_cmp_lt_u32_e32 vcc, v118, v151
	s_and_saveexec_b64 s[78:79], vcc
	s_cbranch_execnz .LBB603_839
.LBB603_808:                            ;   in Loop: Header=BB603_688 Depth=2
	s_or_b64 exec, exec, s[78:79]
	v_cmp_lt_u32_e32 vcc, v119, v151
	s_and_saveexec_b64 s[78:79], vcc
	s_cbranch_execz .LBB603_840
.LBB603_809:                            ;   in Loop: Header=BB603_688 Depth=2
	v_add_co_u32_e32 v44, vcc, 0x1000, v60
	v_addc_co_u32_e32 v45, vcc, 0, v61, vcc
	global_load_dwordx2 v[44:45], v[44:45], off offset:1024
	s_or_b64 exec, exec, s[78:79]
	v_cmp_lt_u32_e32 vcc, v120, v151
	s_and_saveexec_b64 s[78:79], vcc
	s_cbranch_execnz .LBB603_841
.LBB603_810:                            ;   in Loop: Header=BB603_688 Depth=2
	s_or_b64 exec, exec, s[78:79]
	v_cmp_lt_u32_e32 vcc, v121, v151
	s_and_saveexec_b64 s[78:79], vcc
	s_cbranch_execz .LBB603_842
.LBB603_811:                            ;   in Loop: Header=BB603_688 Depth=2
	v_add_co_u32_e32 v36, vcc, 0x1000, v60
	v_addc_co_u32_e32 v37, vcc, 0, v61, vcc
	global_load_dwordx2 v[36:37], v[36:37], off offset:2048
	s_or_b64 exec, exec, s[78:79]
	v_cmp_lt_u32_e32 vcc, v122, v151
	s_and_saveexec_b64 s[78:79], vcc
	s_cbranch_execnz .LBB603_843
.LBB603_812:                            ;   in Loop: Header=BB603_688 Depth=2
	s_or_b64 exec, exec, s[78:79]
	v_cmp_lt_u32_e32 vcc, v123, v151
	s_and_saveexec_b64 s[78:79], vcc
	s_cbranch_execz .LBB603_844
.LBB603_813:                            ;   in Loop: Header=BB603_688 Depth=2
	v_add_co_u32_e32 v30, vcc, 0x1000, v60
	v_addc_co_u32_e32 v31, vcc, 0, v61, vcc
	global_load_dwordx2 v[30:31], v[30:31], off offset:3072
	s_or_b64 exec, exec, s[78:79]
	v_cmp_lt_u32_e32 vcc, v124, v151
	s_and_saveexec_b64 s[78:79], vcc
	s_cbranch_execnz .LBB603_845
.LBB603_814:                            ;   in Loop: Header=BB603_688 Depth=2
	s_or_b64 exec, exec, s[78:79]
	s_and_saveexec_b64 s[78:79], s[36:37]
	s_cbranch_execz .LBB603_846
.LBB603_815:                            ;   in Loop: Header=BB603_688 Depth=2
	v_add_u32_e32 v60, v64, v67
	ds_read_b32 v60, v60 offset:1024
	s_waitcnt lgkmcnt(0)
	v_lshrrev_b32_e32 v60, s85, v60
	v_and_b32_e32 v149, s94, v60
	s_or_b64 exec, exec, s[78:79]
	s_and_saveexec_b64 s[78:79], s[38:39]
	s_cbranch_execnz .LBB603_847
.LBB603_816:                            ;   in Loop: Header=BB603_688 Depth=2
	s_or_b64 exec, exec, s[78:79]
	s_and_saveexec_b64 s[78:79], s[40:41]
	s_cbranch_execz .LBB603_848
.LBB603_817:                            ;   in Loop: Header=BB603_688 Depth=2
	ds_read_b32 v60, v72 offset:2048
	s_waitcnt lgkmcnt(0)
	v_lshrrev_b32_e32 v60, s85, v60
	v_and_b32_e32 v146, s94, v60
	s_or_b64 exec, exec, s[78:79]
	s_and_saveexec_b64 s[78:79], s[42:43]
	s_cbranch_execnz .LBB603_849
.LBB603_818:                            ;   in Loop: Header=BB603_688 Depth=2
	s_or_b64 exec, exec, s[78:79]
	s_and_saveexec_b64 s[78:79], s[44:45]
	s_cbranch_execz .LBB603_850
.LBB603_819:                            ;   in Loop: Header=BB603_688 Depth=2
	ds_read_b32 v60, v72 offset:4096
	s_waitcnt lgkmcnt(0)
	v_lshrrev_b32_e32 v60, s85, v60
	v_and_b32_e32 v143, s94, v60
	s_or_b64 exec, exec, s[78:79]
	s_and_saveexec_b64 s[78:79], s[46:47]
	s_cbranch_execnz .LBB603_851
.LBB603_820:                            ;   in Loop: Header=BB603_688 Depth=2
	s_or_b64 exec, exec, s[78:79]
	s_and_saveexec_b64 s[78:79], s[48:49]
	s_cbranch_execz .LBB603_852
.LBB603_821:                            ;   in Loop: Header=BB603_688 Depth=2
	ds_read_b32 v60, v72 offset:6144
	s_waitcnt lgkmcnt(0)
	v_lshrrev_b32_e32 v60, s85, v60
	v_and_b32_e32 v141, s94, v60
	s_or_b64 exec, exec, s[78:79]
	s_and_saveexec_b64 s[78:79], s[50:51]
	s_cbranch_execnz .LBB603_853
.LBB603_822:                            ;   in Loop: Header=BB603_688 Depth=2
	s_or_b64 exec, exec, s[78:79]
	s_and_saveexec_b64 s[78:79], s[52:53]
	s_cbranch_execz .LBB603_854
.LBB603_823:                            ;   in Loop: Header=BB603_688 Depth=2
	ds_read_b32 v60, v72 offset:8192
	s_waitcnt lgkmcnt(0)
	v_lshrrev_b32_e32 v60, s85, v60
	v_and_b32_e32 v139, s94, v60
	s_or_b64 exec, exec, s[78:79]
	s_and_saveexec_b64 s[78:79], s[54:55]
	s_cbranch_execnz .LBB603_855
.LBB603_824:                            ;   in Loop: Header=BB603_688 Depth=2
	s_or_b64 exec, exec, s[78:79]
	s_and_saveexec_b64 s[78:79], s[56:57]
	s_cbranch_execz .LBB603_856
.LBB603_825:                            ;   in Loop: Header=BB603_688 Depth=2
	ds_read_b32 v60, v72 offset:10240
	s_waitcnt lgkmcnt(0)
	v_lshrrev_b32_e32 v60, s85, v60
	v_and_b32_e32 v137, s94, v60
	s_or_b64 exec, exec, s[78:79]
	s_and_saveexec_b64 s[78:79], s[58:59]
	s_cbranch_execnz .LBB603_857
.LBB603_826:                            ;   in Loop: Header=BB603_688 Depth=2
	s_or_b64 exec, exec, s[78:79]
	s_and_saveexec_b64 s[78:79], s[60:61]
	s_cbranch_execz .LBB603_858
.LBB603_827:                            ;   in Loop: Header=BB603_688 Depth=2
	ds_read_b32 v60, v72 offset:12288
	s_waitcnt lgkmcnt(0)
	v_lshrrev_b32_e32 v60, s85, v60
	v_and_b32_e32 v135, s94, v60
	s_or_b64 exec, exec, s[78:79]
	s_and_saveexec_b64 s[78:79], s[62:63]
	s_cbranch_execnz .LBB603_859
.LBB603_828:                            ;   in Loop: Header=BB603_688 Depth=2
	s_or_b64 exec, exec, s[78:79]
	s_and_saveexec_b64 s[78:79], s[64:65]
	s_cbranch_execz .LBB603_860
.LBB603_829:                            ;   in Loop: Header=BB603_688 Depth=2
	ds_read_b32 v60, v72 offset:14336
	s_waitcnt lgkmcnt(0)
	v_lshrrev_b32_e32 v60, s85, v60
	v_and_b32_e32 v133, s94, v60
	s_or_b64 exec, exec, s[78:79]
	s_and_saveexec_b64 s[78:79], s[66:67]
	s_cbranch_execnz .LBB603_861
	s_branch .LBB603_862
.LBB603_830:                            ;   in Loop: Header=BB603_688 Depth=2
	s_or_b64 exec, exec, s[78:79]
	v_cmp_lt_u32_e32 vcc, v110, v151
	s_and_saveexec_b64 s[78:79], vcc
	s_cbranch_execz .LBB603_800
.LBB603_831:                            ;   in Loop: Header=BB603_688 Depth=2
	global_load_dwordx2 v[56:57], v[60:61], off offset:512
	s_or_b64 exec, exec, s[78:79]
	v_cmp_lt_u32_e32 vcc, v111, v151
	s_and_saveexec_b64 s[78:79], vcc
	s_cbranch_execnz .LBB603_801
.LBB603_832:                            ;   in Loop: Header=BB603_688 Depth=2
	s_or_b64 exec, exec, s[78:79]
	v_cmp_lt_u32_e32 vcc, v112, v151
	s_and_saveexec_b64 s[78:79], vcc
	s_cbranch_execz .LBB603_802
.LBB603_833:                            ;   in Loop: Header=BB603_688 Depth=2
	global_load_dwordx2 v[50:51], v[60:61], off offset:1536
	s_or_b64 exec, exec, s[78:79]
	v_cmp_lt_u32_e32 vcc, v113, v151
	s_and_saveexec_b64 s[78:79], vcc
	s_cbranch_execnz .LBB603_803
.LBB603_834:                            ;   in Loop: Header=BB603_688 Depth=2
	s_or_b64 exec, exec, s[78:79]
	v_cmp_lt_u32_e32 vcc, v114, v151
	s_and_saveexec_b64 s[78:79], vcc
	s_cbranch_execz .LBB603_804
.LBB603_835:                            ;   in Loop: Header=BB603_688 Depth=2
	global_load_dwordx2 v[42:43], v[60:61], off offset:2560
	s_or_b64 exec, exec, s[78:79]
	v_cmp_lt_u32_e32 vcc, v115, v151
	s_and_saveexec_b64 s[78:79], vcc
	s_cbranch_execnz .LBB603_805
.LBB603_836:                            ;   in Loop: Header=BB603_688 Depth=2
	s_or_b64 exec, exec, s[78:79]
	v_cmp_lt_u32_e32 vcc, v116, v151
	s_and_saveexec_b64 s[78:79], vcc
	s_cbranch_execz .LBB603_806
.LBB603_837:                            ;   in Loop: Header=BB603_688 Depth=2
	global_load_dwordx2 v[34:35], v[60:61], off offset:3584
	s_or_b64 exec, exec, s[78:79]
	v_cmp_lt_u32_e32 vcc, v117, v151
	s_and_saveexec_b64 s[78:79], vcc
	s_cbranch_execnz .LBB603_807
.LBB603_838:                            ;   in Loop: Header=BB603_688 Depth=2
	s_or_b64 exec, exec, s[78:79]
	v_cmp_lt_u32_e32 vcc, v118, v151
	s_and_saveexec_b64 s[78:79], vcc
	s_cbranch_execz .LBB603_808
.LBB603_839:                            ;   in Loop: Header=BB603_688 Depth=2
	v_add_co_u32_e32 v48, vcc, 0x1000, v60
	v_addc_co_u32_e32 v49, vcc, 0, v61, vcc
	global_load_dwordx2 v[48:49], v[48:49], off offset:512
	s_or_b64 exec, exec, s[78:79]
	v_cmp_lt_u32_e32 vcc, v119, v151
	s_and_saveexec_b64 s[78:79], vcc
	s_cbranch_execnz .LBB603_809
.LBB603_840:                            ;   in Loop: Header=BB603_688 Depth=2
	s_or_b64 exec, exec, s[78:79]
	v_cmp_lt_u32_e32 vcc, v120, v151
	s_and_saveexec_b64 s[78:79], vcc
	s_cbranch_execz .LBB603_810
.LBB603_841:                            ;   in Loop: Header=BB603_688 Depth=2
	v_add_co_u32_e32 v40, vcc, 0x1000, v60
	v_addc_co_u32_e32 v41, vcc, 0, v61, vcc
	global_load_dwordx2 v[40:41], v[40:41], off offset:1536
	s_or_b64 exec, exec, s[78:79]
	v_cmp_lt_u32_e32 vcc, v121, v151
	s_and_saveexec_b64 s[78:79], vcc
	s_cbranch_execnz .LBB603_811
.LBB603_842:                            ;   in Loop: Header=BB603_688 Depth=2
	s_or_b64 exec, exec, s[78:79]
	v_cmp_lt_u32_e32 vcc, v122, v151
	s_and_saveexec_b64 s[78:79], vcc
	s_cbranch_execz .LBB603_812
.LBB603_843:                            ;   in Loop: Header=BB603_688 Depth=2
	v_add_co_u32_e32 v32, vcc, 0x1000, v60
	v_addc_co_u32_e32 v33, vcc, 0, v61, vcc
	global_load_dwordx2 v[32:33], v[32:33], off offset:2560
	s_or_b64 exec, exec, s[78:79]
	v_cmp_lt_u32_e32 vcc, v123, v151
	s_and_saveexec_b64 s[78:79], vcc
	s_cbranch_execnz .LBB603_813
.LBB603_844:                            ;   in Loop: Header=BB603_688 Depth=2
	s_or_b64 exec, exec, s[78:79]
	v_cmp_lt_u32_e32 vcc, v124, v151
	s_and_saveexec_b64 s[78:79], vcc
	s_cbranch_execz .LBB603_814
.LBB603_845:                            ;   in Loop: Header=BB603_688 Depth=2
	v_add_co_u32_e32 v0, vcc, 0x1000, v60
	v_addc_co_u32_e32 v1, vcc, 0, v61, vcc
	global_load_dwordx2 v[0:1], v[0:1], off offset:3584
	s_or_b64 exec, exec, s[78:79]
	s_and_saveexec_b64 s[78:79], s[36:37]
	s_cbranch_execnz .LBB603_815
.LBB603_846:                            ;   in Loop: Header=BB603_688 Depth=2
	s_or_b64 exec, exec, s[78:79]
	s_and_saveexec_b64 s[78:79], s[38:39]
	s_cbranch_execz .LBB603_816
.LBB603_847:                            ;   in Loop: Header=BB603_688 Depth=2
	ds_read_b32 v60, v72 offset:1024
	s_waitcnt lgkmcnt(0)
	v_lshrrev_b32_e32 v60, s85, v60
	v_and_b32_e32 v147, s94, v60
	s_or_b64 exec, exec, s[78:79]
	s_and_saveexec_b64 s[78:79], s[40:41]
	s_cbranch_execnz .LBB603_817
.LBB603_848:                            ;   in Loop: Header=BB603_688 Depth=2
	s_or_b64 exec, exec, s[78:79]
	s_and_saveexec_b64 s[78:79], s[42:43]
	s_cbranch_execz .LBB603_818
.LBB603_849:                            ;   in Loop: Header=BB603_688 Depth=2
	ds_read_b32 v60, v72 offset:3072
	s_waitcnt lgkmcnt(0)
	v_lshrrev_b32_e32 v60, s85, v60
	v_and_b32_e32 v144, s94, v60
	s_or_b64 exec, exec, s[78:79]
	s_and_saveexec_b64 s[78:79], s[44:45]
	s_cbranch_execnz .LBB603_819
.LBB603_850:                            ;   in Loop: Header=BB603_688 Depth=2
	s_or_b64 exec, exec, s[78:79]
	s_and_saveexec_b64 s[78:79], s[46:47]
	s_cbranch_execz .LBB603_820
.LBB603_851:                            ;   in Loop: Header=BB603_688 Depth=2
	ds_read_b32 v60, v72 offset:5120
	s_waitcnt lgkmcnt(0)
	v_lshrrev_b32_e32 v60, s85, v60
	v_and_b32_e32 v142, s94, v60
	s_or_b64 exec, exec, s[78:79]
	s_and_saveexec_b64 s[78:79], s[48:49]
	s_cbranch_execnz .LBB603_821
.LBB603_852:                            ;   in Loop: Header=BB603_688 Depth=2
	s_or_b64 exec, exec, s[78:79]
	s_and_saveexec_b64 s[78:79], s[50:51]
	s_cbranch_execz .LBB603_822
.LBB603_853:                            ;   in Loop: Header=BB603_688 Depth=2
	ds_read_b32 v60, v72 offset:7168
	s_waitcnt lgkmcnt(0)
	v_lshrrev_b32_e32 v60, s85, v60
	v_and_b32_e32 v140, s94, v60
	s_or_b64 exec, exec, s[78:79]
	s_and_saveexec_b64 s[78:79], s[52:53]
	s_cbranch_execnz .LBB603_823
.LBB603_854:                            ;   in Loop: Header=BB603_688 Depth=2
	s_or_b64 exec, exec, s[78:79]
	s_and_saveexec_b64 s[78:79], s[54:55]
	s_cbranch_execz .LBB603_824
.LBB603_855:                            ;   in Loop: Header=BB603_688 Depth=2
	ds_read_b32 v60, v72 offset:9216
	s_waitcnt lgkmcnt(0)
	v_lshrrev_b32_e32 v60, s85, v60
	v_and_b32_e32 v138, s94, v60
	s_or_b64 exec, exec, s[78:79]
	s_and_saveexec_b64 s[78:79], s[56:57]
	s_cbranch_execnz .LBB603_825
.LBB603_856:                            ;   in Loop: Header=BB603_688 Depth=2
	s_or_b64 exec, exec, s[78:79]
	s_and_saveexec_b64 s[78:79], s[58:59]
	s_cbranch_execz .LBB603_826
.LBB603_857:                            ;   in Loop: Header=BB603_688 Depth=2
	ds_read_b32 v60, v72 offset:11264
	s_waitcnt lgkmcnt(0)
	v_lshrrev_b32_e32 v60, s85, v60
	v_and_b32_e32 v136, s94, v60
	s_or_b64 exec, exec, s[78:79]
	s_and_saveexec_b64 s[78:79], s[60:61]
	s_cbranch_execnz .LBB603_827
.LBB603_858:                            ;   in Loop: Header=BB603_688 Depth=2
	s_or_b64 exec, exec, s[78:79]
	s_and_saveexec_b64 s[78:79], s[62:63]
	s_cbranch_execz .LBB603_828
.LBB603_859:                            ;   in Loop: Header=BB603_688 Depth=2
	ds_read_b32 v60, v72 offset:13312
	s_waitcnt lgkmcnt(0)
	v_lshrrev_b32_e32 v60, s85, v60
	v_and_b32_e32 v134, s94, v60
	s_or_b64 exec, exec, s[78:79]
	s_and_saveexec_b64 s[78:79], s[64:65]
	s_cbranch_execnz .LBB603_829
.LBB603_860:                            ;   in Loop: Header=BB603_688 Depth=2
	s_or_b64 exec, exec, s[78:79]
	s_and_saveexec_b64 s[78:79], s[66:67]
	s_cbranch_execz .LBB603_862
.LBB603_861:                            ;   in Loop: Header=BB603_688 Depth=2
	ds_read_b32 v60, v72 offset:15360
	s_waitcnt lgkmcnt(0)
	v_lshrrev_b32_e32 v60, s85, v60
	v_and_b32_e32 v132, s94, v60
.LBB603_862:                            ;   in Loop: Header=BB603_688 Depth=2
	s_or_b64 exec, exec, s[78:79]
	v_lshlrev_b32_e32 v60, 3, v172
	s_barrier
	s_waitcnt vmcnt(0)
	ds_write_b64 v60, v[58:59] offset:1024
	v_lshlrev_b32_e32 v60, 3, v168
	ds_write_b64 v60, v[56:57] offset:1024
	v_lshlrev_b32_e32 v60, 3, v167
	;; [unrolled: 2-line block ×15, first 2 shown]
	ds_write_b64 v60, v[0:1] offset:1024
	s_waitcnt lgkmcnt(0)
	s_barrier
	s_and_saveexec_b64 s[78:79], s[36:37]
	s_cbranch_execz .LBB603_878
; %bb.863:                              ;   in Loop: Header=BB603_688 Depth=2
	v_lshlrev_b32_e32 v60, 2, v149
	ds_read_b32 v62, v60
	ds_read_b64 v[60:61], v73 offset:1024
	v_mov_b32_e32 v63, v4
	v_mov_b32_e32 v151, s81
	s_waitcnt lgkmcnt(1)
	v_add_u32_e32 v62, v62, v2
	v_lshlrev_b64 v[62:63], 3, v[62:63]
	v_add_co_u32_e32 v62, vcc, s80, v62
	v_addc_co_u32_e32 v63, vcc, v151, v63, vcc
	s_waitcnt lgkmcnt(0)
	global_store_dwordx2 v[62:63], v[60:61], off
	s_or_b64 exec, exec, s[78:79]
	s_and_saveexec_b64 s[36:37], s[38:39]
	s_cbranch_execnz .LBB603_879
.LBB603_864:                            ;   in Loop: Header=BB603_688 Depth=2
	s_or_b64 exec, exec, s[36:37]
	s_and_saveexec_b64 s[36:37], s[40:41]
	s_cbranch_execz .LBB603_880
.LBB603_865:                            ;   in Loop: Header=BB603_688 Depth=2
	v_lshlrev_b32_e32 v60, 2, v146
	ds_read_b32 v62, v60
	v_add_u32_e32 v60, v72, v3
	ds_read_b64 v[60:61], v60 offset:4096
	v_mov_b32_e32 v63, v4
	v_mov_b32_e32 v151, s81
	s_waitcnt lgkmcnt(1)
	v_add_u32_e32 v62, v62, v9
	v_lshlrev_b64 v[62:63], 3, v[62:63]
	v_add_co_u32_e32 v62, vcc, s80, v62
	v_addc_co_u32_e32 v63, vcc, v151, v63, vcc
	s_waitcnt lgkmcnt(0)
	global_store_dwordx2 v[62:63], v[60:61], off
	s_or_b64 exec, exec, s[36:37]
	s_and_saveexec_b64 s[36:37], s[42:43]
	s_cbranch_execnz .LBB603_881
.LBB603_866:                            ;   in Loop: Header=BB603_688 Depth=2
	s_or_b64 exec, exec, s[36:37]
	s_and_saveexec_b64 s[36:37], s[44:45]
	s_cbranch_execz .LBB603_882
.LBB603_867:                            ;   in Loop: Header=BB603_688 Depth=2
	v_lshlrev_b32_e32 v60, 2, v143
	ds_read_b32 v62, v60
	v_add_u32_e32 v60, v72, v3
	ds_read_b64 v[60:61], v60 offset:8192
	v_mov_b32_e32 v63, v4
	v_mov_b32_e32 v151, s81
	s_waitcnt lgkmcnt(1)
	v_add_u32_e32 v62, v62, v6
	v_lshlrev_b64 v[62:63], 3, v[62:63]
	v_add_co_u32_e32 v62, vcc, s80, v62
	v_addc_co_u32_e32 v63, vcc, v151, v63, vcc
	s_waitcnt lgkmcnt(0)
	global_store_dwordx2 v[62:63], v[60:61], off
	s_or_b64 exec, exec, s[36:37]
	s_and_saveexec_b64 s[36:37], s[46:47]
	s_cbranch_execnz .LBB603_883
.LBB603_868:                            ;   in Loop: Header=BB603_688 Depth=2
	s_or_b64 exec, exec, s[36:37]
	s_and_saveexec_b64 s[36:37], s[48:49]
	s_cbranch_execz .LBB603_884
.LBB603_869:                            ;   in Loop: Header=BB603_688 Depth=2
	v_lshlrev_b32_e32 v60, 2, v141
	ds_read_b32 v62, v60
	v_add_u32_e32 v60, v72, v3
	ds_read_b64 v[60:61], v60 offset:12288
	v_mov_b32_e32 v63, v4
	v_mov_b32_e32 v151, s81
	s_waitcnt lgkmcnt(1)
	v_add_u32_e32 v62, v62, v10
	v_lshlrev_b64 v[62:63], 3, v[62:63]
	v_add_co_u32_e32 v62, vcc, s80, v62
	v_addc_co_u32_e32 v63, vcc, v151, v63, vcc
	s_waitcnt lgkmcnt(0)
	global_store_dwordx2 v[62:63], v[60:61], off
	s_or_b64 exec, exec, s[36:37]
	s_and_saveexec_b64 s[36:37], s[50:51]
	s_cbranch_execnz .LBB603_885
.LBB603_870:                            ;   in Loop: Header=BB603_688 Depth=2
	s_or_b64 exec, exec, s[36:37]
	s_and_saveexec_b64 s[36:37], s[52:53]
	s_cbranch_execz .LBB603_886
.LBB603_871:                            ;   in Loop: Header=BB603_688 Depth=2
	v_lshlrev_b32_e32 v60, 2, v139
	ds_read_b32 v62, v60
	v_add_u32_e32 v60, v72, v3
	ds_read_b64 v[60:61], v60 offset:16384
	v_mov_b32_e32 v63, v4
	v_mov_b32_e32 v151, s81
	s_waitcnt lgkmcnt(1)
	v_add_u32_e32 v62, v62, v14
	v_lshlrev_b64 v[62:63], 3, v[62:63]
	v_add_co_u32_e32 v62, vcc, s80, v62
	v_addc_co_u32_e32 v63, vcc, v151, v63, vcc
	s_waitcnt lgkmcnt(0)
	global_store_dwordx2 v[62:63], v[60:61], off
	s_or_b64 exec, exec, s[36:37]
	s_and_saveexec_b64 s[36:37], s[54:55]
	s_cbranch_execnz .LBB603_887
.LBB603_872:                            ;   in Loop: Header=BB603_688 Depth=2
	s_or_b64 exec, exec, s[36:37]
	s_and_saveexec_b64 s[36:37], s[56:57]
	s_cbranch_execz .LBB603_888
.LBB603_873:                            ;   in Loop: Header=BB603_688 Depth=2
	v_lshlrev_b32_e32 v60, 2, v137
	ds_read_b32 v62, v60
	v_add_u32_e32 v60, v72, v3
	ds_read_b64 v[60:61], v60 offset:20480
	v_mov_b32_e32 v63, v4
	v_mov_b32_e32 v151, s81
	s_waitcnt lgkmcnt(1)
	v_add_u32_e32 v62, v62, v18
	v_lshlrev_b64 v[62:63], 3, v[62:63]
	v_add_co_u32_e32 v62, vcc, s80, v62
	v_addc_co_u32_e32 v63, vcc, v151, v63, vcc
	s_waitcnt lgkmcnt(0)
	global_store_dwordx2 v[62:63], v[60:61], off
	s_or_b64 exec, exec, s[36:37]
	s_and_saveexec_b64 s[36:37], s[58:59]
	s_cbranch_execnz .LBB603_889
.LBB603_874:                            ;   in Loop: Header=BB603_688 Depth=2
	s_or_b64 exec, exec, s[36:37]
	s_and_saveexec_b64 s[36:37], s[60:61]
	s_cbranch_execz .LBB603_890
.LBB603_875:                            ;   in Loop: Header=BB603_688 Depth=2
	v_lshlrev_b32_e32 v60, 2, v135
	ds_read_b32 v62, v60
	v_add_u32_e32 v60, v72, v3
	ds_read_b64 v[60:61], v60 offset:24576
	v_mov_b32_e32 v63, v4
	v_mov_b32_e32 v151, s81
	s_waitcnt lgkmcnt(1)
	v_add_u32_e32 v62, v62, v22
	v_lshlrev_b64 v[62:63], 3, v[62:63]
	v_add_co_u32_e32 v62, vcc, s80, v62
	v_addc_co_u32_e32 v63, vcc, v151, v63, vcc
	s_waitcnt lgkmcnt(0)
	global_store_dwordx2 v[62:63], v[60:61], off
	s_or_b64 exec, exec, s[36:37]
	s_and_saveexec_b64 s[36:37], s[62:63]
	s_cbranch_execnz .LBB603_891
.LBB603_876:                            ;   in Loop: Header=BB603_688 Depth=2
	s_or_b64 exec, exec, s[36:37]
	s_and_saveexec_b64 s[36:37], s[64:65]
	s_cbranch_execz .LBB603_892
.LBB603_877:                            ;   in Loop: Header=BB603_688 Depth=2
	v_lshlrev_b32_e32 v60, 2, v133
	ds_read_b32 v62, v60
	v_add_u32_e32 v60, v72, v3
	ds_read_b64 v[60:61], v60 offset:28672
	v_mov_b32_e32 v63, v4
	v_mov_b32_e32 v151, s81
	s_waitcnt lgkmcnt(1)
	v_add_u32_e32 v62, v62, v26
	v_lshlrev_b64 v[62:63], 3, v[62:63]
	v_add_co_u32_e32 v62, vcc, s80, v62
	v_addc_co_u32_e32 v63, vcc, v151, v63, vcc
	s_waitcnt lgkmcnt(0)
	global_store_dwordx2 v[62:63], v[60:61], off
	s_or_b64 exec, exec, s[36:37]
	s_and_saveexec_b64 s[36:37], s[66:67]
	s_cbranch_execnz .LBB603_893
	s_branch .LBB603_894
.LBB603_878:                            ;   in Loop: Header=BB603_688 Depth=2
	s_or_b64 exec, exec, s[78:79]
	s_and_saveexec_b64 s[36:37], s[38:39]
	s_cbranch_execz .LBB603_864
.LBB603_879:                            ;   in Loop: Header=BB603_688 Depth=2
	v_lshlrev_b32_e32 v60, 2, v147
	ds_read_b32 v62, v60
	v_add_u32_e32 v60, v72, v3
	ds_read_b64 v[60:61], v60 offset:2048
	v_mov_b32_e32 v63, v4
	v_mov_b32_e32 v151, s81
	s_waitcnt lgkmcnt(1)
	v_add_u32_e32 v62, v62, v7
	v_lshlrev_b64 v[62:63], 3, v[62:63]
	v_add_co_u32_e32 v62, vcc, s80, v62
	v_addc_co_u32_e32 v63, vcc, v151, v63, vcc
	s_waitcnt lgkmcnt(0)
	global_store_dwordx2 v[62:63], v[60:61], off
	s_or_b64 exec, exec, s[36:37]
	s_and_saveexec_b64 s[36:37], s[40:41]
	s_cbranch_execnz .LBB603_865
.LBB603_880:                            ;   in Loop: Header=BB603_688 Depth=2
	s_or_b64 exec, exec, s[36:37]
	s_and_saveexec_b64 s[36:37], s[42:43]
	s_cbranch_execz .LBB603_866
.LBB603_881:                            ;   in Loop: Header=BB603_688 Depth=2
	v_lshlrev_b32_e32 v60, 2, v144
	ds_read_b32 v62, v60
	v_add_u32_e32 v60, v72, v3
	ds_read_b64 v[60:61], v60 offset:6144
	v_mov_b32_e32 v63, v4
	v_mov_b32_e32 v151, s81
	s_waitcnt lgkmcnt(1)
	v_add_u32_e32 v62, v62, v11
	v_lshlrev_b64 v[62:63], 3, v[62:63]
	v_add_co_u32_e32 v62, vcc, s80, v62
	v_addc_co_u32_e32 v63, vcc, v151, v63, vcc
	s_waitcnt lgkmcnt(0)
	global_store_dwordx2 v[62:63], v[60:61], off
	s_or_b64 exec, exec, s[36:37]
	s_and_saveexec_b64 s[36:37], s[44:45]
	s_cbranch_execnz .LBB603_867
.LBB603_882:                            ;   in Loop: Header=BB603_688 Depth=2
	s_or_b64 exec, exec, s[36:37]
	s_and_saveexec_b64 s[36:37], s[46:47]
	s_cbranch_execz .LBB603_868
.LBB603_883:                            ;   in Loop: Header=BB603_688 Depth=2
	v_lshlrev_b32_e32 v60, 2, v142
	ds_read_b32 v62, v60
	v_add_u32_e32 v60, v72, v3
	ds_read_b64 v[60:61], v60 offset:10240
	v_mov_b32_e32 v63, v4
	v_mov_b32_e32 v151, s81
	s_waitcnt lgkmcnt(1)
	v_add_u32_e32 v62, v62, v8
	v_lshlrev_b64 v[62:63], 3, v[62:63]
	v_add_co_u32_e32 v62, vcc, s80, v62
	v_addc_co_u32_e32 v63, vcc, v151, v63, vcc
	s_waitcnt lgkmcnt(0)
	global_store_dwordx2 v[62:63], v[60:61], off
	s_or_b64 exec, exec, s[36:37]
	s_and_saveexec_b64 s[36:37], s[48:49]
	s_cbranch_execnz .LBB603_869
.LBB603_884:                            ;   in Loop: Header=BB603_688 Depth=2
	s_or_b64 exec, exec, s[36:37]
	s_and_saveexec_b64 s[36:37], s[50:51]
	s_cbranch_execz .LBB603_870
.LBB603_885:                            ;   in Loop: Header=BB603_688 Depth=2
	v_lshlrev_b32_e32 v60, 2, v140
	ds_read_b32 v62, v60
	v_add_u32_e32 v60, v72, v3
	ds_read_b64 v[60:61], v60 offset:14336
	v_mov_b32_e32 v63, v4
	v_mov_b32_e32 v151, s81
	s_waitcnt lgkmcnt(1)
	v_add_u32_e32 v62, v62, v12
	v_lshlrev_b64 v[62:63], 3, v[62:63]
	v_add_co_u32_e32 v62, vcc, s80, v62
	v_addc_co_u32_e32 v63, vcc, v151, v63, vcc
	s_waitcnt lgkmcnt(0)
	global_store_dwordx2 v[62:63], v[60:61], off
	s_or_b64 exec, exec, s[36:37]
	s_and_saveexec_b64 s[36:37], s[52:53]
	s_cbranch_execnz .LBB603_871
.LBB603_886:                            ;   in Loop: Header=BB603_688 Depth=2
	s_or_b64 exec, exec, s[36:37]
	s_and_saveexec_b64 s[36:37], s[54:55]
	s_cbranch_execz .LBB603_872
.LBB603_887:                            ;   in Loop: Header=BB603_688 Depth=2
	v_lshlrev_b32_e32 v60, 2, v138
	ds_read_b32 v62, v60
	v_add_u32_e32 v60, v72, v3
	ds_read_b64 v[60:61], v60 offset:18432
	v_mov_b32_e32 v63, v4
	v_mov_b32_e32 v151, s81
	s_waitcnt lgkmcnt(1)
	v_add_u32_e32 v62, v62, v16
	v_lshlrev_b64 v[62:63], 3, v[62:63]
	v_add_co_u32_e32 v62, vcc, s80, v62
	v_addc_co_u32_e32 v63, vcc, v151, v63, vcc
	s_waitcnt lgkmcnt(0)
	global_store_dwordx2 v[62:63], v[60:61], off
	s_or_b64 exec, exec, s[36:37]
	s_and_saveexec_b64 s[36:37], s[56:57]
	s_cbranch_execnz .LBB603_873
.LBB603_888:                            ;   in Loop: Header=BB603_688 Depth=2
	s_or_b64 exec, exec, s[36:37]
	s_and_saveexec_b64 s[36:37], s[58:59]
	s_cbranch_execz .LBB603_874
.LBB603_889:                            ;   in Loop: Header=BB603_688 Depth=2
	v_lshlrev_b32_e32 v60, 2, v136
	ds_read_b32 v62, v60
	v_add_u32_e32 v60, v72, v3
	ds_read_b64 v[60:61], v60 offset:22528
	v_mov_b32_e32 v63, v4
	v_mov_b32_e32 v151, s81
	s_waitcnt lgkmcnt(1)
	v_add_u32_e32 v62, v62, v20
	v_lshlrev_b64 v[62:63], 3, v[62:63]
	v_add_co_u32_e32 v62, vcc, s80, v62
	v_addc_co_u32_e32 v63, vcc, v151, v63, vcc
	s_waitcnt lgkmcnt(0)
	global_store_dwordx2 v[62:63], v[60:61], off
	s_or_b64 exec, exec, s[36:37]
	s_and_saveexec_b64 s[36:37], s[60:61]
	s_cbranch_execnz .LBB603_875
.LBB603_890:                            ;   in Loop: Header=BB603_688 Depth=2
	s_or_b64 exec, exec, s[36:37]
	s_and_saveexec_b64 s[36:37], s[62:63]
	s_cbranch_execz .LBB603_876
.LBB603_891:                            ;   in Loop: Header=BB603_688 Depth=2
	v_lshlrev_b32_e32 v60, 2, v134
	ds_read_b32 v62, v60
	v_add_u32_e32 v60, v72, v3
	ds_read_b64 v[60:61], v60 offset:26624
	v_mov_b32_e32 v63, v4
	v_mov_b32_e32 v151, s81
	s_waitcnt lgkmcnt(1)
	v_add_u32_e32 v62, v62, v24
	v_lshlrev_b64 v[62:63], 3, v[62:63]
	v_add_co_u32_e32 v62, vcc, s80, v62
	v_addc_co_u32_e32 v63, vcc, v151, v63, vcc
	s_waitcnt lgkmcnt(0)
	global_store_dwordx2 v[62:63], v[60:61], off
	s_or_b64 exec, exec, s[36:37]
	s_and_saveexec_b64 s[36:37], s[64:65]
	s_cbranch_execnz .LBB603_877
.LBB603_892:                            ;   in Loop: Header=BB603_688 Depth=2
	s_or_b64 exec, exec, s[36:37]
	s_and_saveexec_b64 s[36:37], s[66:67]
	s_cbranch_execz .LBB603_894
.LBB603_893:                            ;   in Loop: Header=BB603_688 Depth=2
	v_lshlrev_b32_e32 v60, 2, v132
	ds_read_b32 v62, v60
	v_add_u32_e32 v60, v72, v3
	ds_read_b64 v[60:61], v60 offset:30720
	v_mov_b32_e32 v63, v4
	v_mov_b32_e32 v151, s81
	s_waitcnt lgkmcnt(1)
	v_add_u32_e32 v62, v62, v28
	v_lshlrev_b64 v[62:63], 3, v[62:63]
	v_add_co_u32_e32 v62, vcc, s80, v62
	v_addc_co_u32_e32 v63, vcc, v151, v63, vcc
	s_waitcnt lgkmcnt(0)
	global_store_dwordx2 v[62:63], v[60:61], off
.LBB603_894:                            ;   in Loop: Header=BB603_688 Depth=2
	s_or_b64 exec, exec, s[36:37]
	s_barrier
	s_and_saveexec_b64 s[36:37], s[4:5]
	s_cbranch_execz .LBB603_687
; %bb.895:                              ;   in Loop: Header=BB603_688 Depth=2
	ds_read_b32 v60, v3
	s_waitcnt lgkmcnt(0)
	v_add_u32_e32 v5, v60, v5
	ds_write_b32 v3, v5
	s_branch .LBB603_687
.LBB603_896:                            ;   in Loop: Header=BB603_12 Depth=1
	s_waitcnt lgkmcnt(0)
	s_barrier
	s_mov_b64 s[16:17], 0
.LBB603_897:                            ;   in Loop: Header=BB603_12 Depth=1
	s_and_b64 vcc, exec, s[16:17]
	s_cbranch_vccz .LBB603_11
; %bb.898:                              ;   in Loop: Header=BB603_12 Depth=1
	s_mov_b32 s22, s87
	s_mov_b32 s88, s69
	s_barrier
	s_waitcnt lgkmcnt(0)
                                        ; implicit-def: $vgpr44
                                        ; implicit-def: $vgpr5
                                        ; implicit-def: $vgpr30
                                        ; implicit-def: $vgpr31
                                        ; implicit-def: $vgpr32
                                        ; implicit-def: $vgpr33
                                        ; implicit-def: $vgpr34
                                        ; implicit-def: $vgpr35
                                        ; implicit-def: $vgpr36
                                        ; implicit-def: $vgpr37
                                        ; implicit-def: $vgpr38
                                        ; implicit-def: $vgpr39
                                        ; implicit-def: $vgpr40
                                        ; implicit-def: $vgpr41
                                        ; implicit-def: $vgpr42
                                        ; implicit-def: $vgpr43
	s_branch .LBB603_900
.LBB603_899:                            ;   in Loop: Header=BB603_900 Depth=2
	s_or_b64 exec, exec, s[16:17]
	s_addk_i32 s22, 0xf000
	s_cmp_ge_u32 s23, s92
	s_mov_b32 s88, s23
	s_cbranch_scc1 .LBB603_970
.LBB603_900:                            ;   Parent Loop BB603_12 Depth=1
                                        ; =>  This Inner Loop Header: Depth=2
	s_add_i32 s23, s88, 0x1000
	s_cmp_gt_u32 s23, s92
	s_cbranch_scc1 .LBB603_903
; %bb.901:                              ;   in Loop: Header=BB603_900 Depth=2
	s_lshl_b64 s[16:17], s[88:89], 2
	v_mov_b32_e32 v1, s17
	v_add_co_u32_e32 v0, vcc, s16, v80
	v_addc_co_u32_e32 v1, vcc, v81, v1, vcc
	s_waitcnt vmcnt(6)
	v_add_co_u32_e32 v54, vcc, 0x1000, v0
	s_waitcnt vmcnt(5)
	v_addc_co_u32_e32 v55, vcc, 0, v1, vcc
	v_add_co_u32_e32 v62, vcc, s84, v0
	v_addc_co_u32_e32 v63, vcc, 0, v1, vcc
	global_load_dword v46, v[0:1], off
	global_load_dword v47, v[0:1], off offset:1024
	global_load_dword v48, v[0:1], off offset:2048
	;; [unrolled: 1-line block ×3, first 2 shown]
	global_load_dword v50, v[54:55], off
	global_load_dword v51, v[54:55], off offset:1024
	global_load_dword v52, v[54:55], off offset:2048
	;; [unrolled: 1-line block ×3, first 2 shown]
	v_add_co_u32_e32 v128, vcc, 0x3000, v0
	v_addc_co_u32_e32 v129, vcc, 0, v1, vcc
	global_load_dword v54, v[62:63], off
	global_load_dword v55, v[62:63], off offset:1024
	global_load_dword v56, v[62:63], off offset:2048
	;; [unrolled: 1-line block ×3, first 2 shown]
	global_load_dword v58, v[128:129], off
	global_load_dword v59, v[128:129], off offset:1024
	global_load_dword v60, v[128:129], off offset:2048
	v_add_co_u32_e32 v0, vcc, 0x3c00, v0
	s_movk_i32 s24, 0x1000
	v_addc_co_u32_e32 v1, vcc, 0, v1, vcc
	s_mov_b64 s[16:17], -1
	s_cbranch_execz .LBB603_904
; %bb.902:                              ;   in Loop: Header=BB603_900 Depth=2
                                        ; implicit-def: $vgpr43
                                        ; implicit-def: $vgpr42
                                        ; implicit-def: $vgpr41
                                        ; implicit-def: $vgpr40
                                        ; implicit-def: $vgpr39
                                        ; implicit-def: $vgpr38
                                        ; implicit-def: $vgpr37
                                        ; implicit-def: $vgpr36
                                        ; implicit-def: $vgpr35
                                        ; implicit-def: $vgpr34
                                        ; implicit-def: $vgpr33
                                        ; implicit-def: $vgpr32
                                        ; implicit-def: $vgpr31
                                        ; implicit-def: $vgpr30
                                        ; implicit-def: $vgpr5
                                        ; implicit-def: $vgpr44
	v_mov_b32_e32 v45, s22
	s_and_saveexec_b64 s[18:19], s[16:17]
	s_cbranch_execnz .LBB603_923
	s_branch .LBB603_924
.LBB603_903:                            ;   in Loop: Header=BB603_900 Depth=2
	s_mov_b64 s[16:17], 0
                                        ; implicit-def: $sgpr24
                                        ; implicit-def: $vgpr46
                                        ; implicit-def: $vgpr47
                                        ; implicit-def: $vgpr48
                                        ; implicit-def: $vgpr49
                                        ; implicit-def: $vgpr50
                                        ; implicit-def: $vgpr51
                                        ; implicit-def: $vgpr52
                                        ; implicit-def: $vgpr53
                                        ; implicit-def: $vgpr54
                                        ; implicit-def: $vgpr55
                                        ; implicit-def: $vgpr56
                                        ; implicit-def: $vgpr57
                                        ; implicit-def: $vgpr58
                                        ; implicit-def: $vgpr59
                                        ; implicit-def: $vgpr60
                                        ; implicit-def: $vgpr0_vgpr1
.LBB603_904:                            ;   in Loop: Header=BB603_900 Depth=2
	s_lshl_b64 s[18:19], s[88:89], 2
	s_add_u32 s18, s72, s18
	s_addc_u32 s19, s73, s19
	v_cmp_gt_u32_e32 vcc, s22, v2
	s_and_saveexec_b64 s[20:21], vcc
	s_cbranch_execz .LBB603_956
; %bb.905:                              ;   in Loop: Header=BB603_900 Depth=2
	global_load_dword v43, v88, s[18:19]
	s_or_b64 exec, exec, s[20:21]
	v_cmp_gt_u32_e32 vcc, s22, v7
	s_and_saveexec_b64 s[20:21], vcc
	s_cbranch_execnz .LBB603_957
.LBB603_906:                            ;   in Loop: Header=BB603_900 Depth=2
	s_or_b64 exec, exec, s[20:21]
	v_cmp_gt_u32_e32 vcc, s22, v9
	s_and_saveexec_b64 s[20:21], vcc
	s_cbranch_execz .LBB603_958
.LBB603_907:                            ;   in Loop: Header=BB603_900 Depth=2
	global_load_dword v41, v88, s[18:19] offset:2048
	s_or_b64 exec, exec, s[20:21]
	v_cmp_gt_u32_e32 vcc, s22, v11
	s_and_saveexec_b64 s[20:21], vcc
	s_cbranch_execnz .LBB603_959
.LBB603_908:                            ;   in Loop: Header=BB603_900 Depth=2
	s_or_b64 exec, exec, s[20:21]
	v_cmp_gt_u32_e32 vcc, s22, v6
	s_and_saveexec_b64 s[20:21], vcc
	s_cbranch_execz .LBB603_960
.LBB603_909:                            ;   in Loop: Header=BB603_900 Depth=2
	global_load_dword v39, v89, s[18:19]
	s_or_b64 exec, exec, s[20:21]
	v_cmp_gt_u32_e32 vcc, s22, v8
	s_and_saveexec_b64 s[20:21], vcc
	s_cbranch_execnz .LBB603_961
.LBB603_910:                            ;   in Loop: Header=BB603_900 Depth=2
	s_or_b64 exec, exec, s[20:21]
	v_cmp_gt_u32_e32 vcc, s22, v10
	s_and_saveexec_b64 s[20:21], vcc
	s_cbranch_execz .LBB603_962
.LBB603_911:                            ;   in Loop: Header=BB603_900 Depth=2
	global_load_dword v37, v91, s[18:19]
	s_or_b64 exec, exec, s[20:21]
	v_cmp_gt_u32_e32 vcc, s22, v12
	s_and_saveexec_b64 s[20:21], vcc
	s_cbranch_execnz .LBB603_963
.LBB603_912:                            ;   in Loop: Header=BB603_900 Depth=2
	s_or_b64 exec, exec, s[20:21]
	v_cmp_gt_u32_e32 vcc, s22, v14
	s_and_saveexec_b64 s[20:21], vcc
	s_cbranch_execz .LBB603_964
.LBB603_913:                            ;   in Loop: Header=BB603_900 Depth=2
	global_load_dword v35, v93, s[18:19]
	s_or_b64 exec, exec, s[20:21]
	v_cmp_gt_u32_e32 vcc, s22, v16
	s_and_saveexec_b64 s[20:21], vcc
	s_cbranch_execnz .LBB603_965
.LBB603_914:                            ;   in Loop: Header=BB603_900 Depth=2
	s_or_b64 exec, exec, s[20:21]
	v_cmp_gt_u32_e32 vcc, s22, v18
	s_and_saveexec_b64 s[20:21], vcc
	s_cbranch_execz .LBB603_966
.LBB603_915:                            ;   in Loop: Header=BB603_900 Depth=2
	global_load_dword v33, v95, s[18:19]
	s_or_b64 exec, exec, s[20:21]
	v_cmp_gt_u32_e32 vcc, s22, v20
	s_and_saveexec_b64 s[20:21], vcc
	s_cbranch_execnz .LBB603_967
.LBB603_916:                            ;   in Loop: Header=BB603_900 Depth=2
	s_or_b64 exec, exec, s[20:21]
	v_cmp_gt_u32_e32 vcc, s22, v22
	s_and_saveexec_b64 s[20:21], vcc
	s_cbranch_execz .LBB603_968
.LBB603_917:                            ;   in Loop: Header=BB603_900 Depth=2
	global_load_dword v31, v97, s[18:19]
	s_or_b64 exec, exec, s[20:21]
	v_cmp_gt_u32_e32 vcc, s22, v24
	s_and_saveexec_b64 s[20:21], vcc
	s_cbranch_execnz .LBB603_969
.LBB603_918:                            ;   in Loop: Header=BB603_900 Depth=2
	s_or_b64 exec, exec, s[20:21]
	v_cmp_gt_u32_e32 vcc, s22, v26
	s_and_saveexec_b64 s[20:21], vcc
	s_cbranch_execz .LBB603_920
.LBB603_919:                            ;   in Loop: Header=BB603_900 Depth=2
	global_load_dword v5, v99, s[18:19]
.LBB603_920:                            ;   in Loop: Header=BB603_900 Depth=2
	s_or_b64 exec, exec, s[20:21]
	v_cmp_gt_u32_e32 vcc, s22, v28
                                        ; implicit-def: $sgpr24
                                        ; implicit-def: $vgpr0_vgpr1
	s_and_saveexec_b64 s[20:21], vcc
; %bb.921:                              ;   in Loop: Header=BB603_900 Depth=2
	v_mov_b32_e32 v1, s19
	v_add_co_u32_e32 v0, vcc, s18, v100
	s_sub_i32 s24, s92, s88
	v_addc_co_u32_e32 v1, vcc, 0, v1, vcc
	s_or_b64 s[16:17], s[16:17], exec
                                        ; implicit-def: $vgpr44
; %bb.922:                              ;   in Loop: Header=BB603_900 Depth=2
	s_or_b64 exec, exec, s[20:21]
	s_waitcnt vmcnt(0)
	v_mov_b32_e32 v46, v43
	v_mov_b32_e32 v47, v42
	;; [unrolled: 1-line block ×16, first 2 shown]
	s_and_saveexec_b64 s[18:19], s[16:17]
	s_cbranch_execz .LBB603_924
.LBB603_923:                            ;   in Loop: Header=BB603_900 Depth=2
	global_load_dword v44, v[0:1], off
	v_mov_b32_e32 v45, s24
	s_waitcnt vmcnt(1)
	v_mov_b32_e32 v5, v60
	v_mov_b32_e32 v30, v59
	;; [unrolled: 1-line block ×15, first 2 shown]
.LBB603_924:                            ;   in Loop: Header=BB603_900 Depth=2
	s_or_b64 exec, exec, s[18:19]
	v_cmp_lt_u32_e32 vcc, v2, v45
	s_and_saveexec_b64 s[16:17], vcc
	s_cbranch_execz .LBB603_940
; %bb.925:                              ;   in Loop: Header=BB603_900 Depth=2
	v_xor_b32_e32 v0, 0x80000000, v43
	v_lshrrev_b32_e32 v0, s85, v0
	v_and_b32_e32 v0, s94, v0
	v_lshl_or_b32 v0, v0, 4, v86
	ds_add_u32 v0, v87
	s_or_b64 exec, exec, s[16:17]
	v_cmp_lt_u32_e32 vcc, v7, v45
	s_and_saveexec_b64 s[16:17], vcc
	s_cbranch_execnz .LBB603_941
.LBB603_926:                            ;   in Loop: Header=BB603_900 Depth=2
	s_or_b64 exec, exec, s[16:17]
	v_cmp_lt_u32_e32 vcc, v9, v45
	s_and_saveexec_b64 s[16:17], vcc
	s_cbranch_execz .LBB603_942
.LBB603_927:                            ;   in Loop: Header=BB603_900 Depth=2
	v_xor_b32_e32 v0, 0x80000000, v41
	v_lshrrev_b32_e32 v0, s85, v0
	v_and_b32_e32 v0, s94, v0
	v_lshl_or_b32 v0, v0, 4, v86
	ds_add_u32 v0, v87
	s_or_b64 exec, exec, s[16:17]
	v_cmp_lt_u32_e32 vcc, v11, v45
	s_and_saveexec_b64 s[16:17], vcc
	s_cbranch_execnz .LBB603_943
.LBB603_928:                            ;   in Loop: Header=BB603_900 Depth=2
	s_or_b64 exec, exec, s[16:17]
	v_cmp_lt_u32_e32 vcc, v6, v45
	s_and_saveexec_b64 s[16:17], vcc
	s_cbranch_execz .LBB603_944
.LBB603_929:                            ;   in Loop: Header=BB603_900 Depth=2
	v_xor_b32_e32 v0, 0x80000000, v39
	v_lshrrev_b32_e32 v0, s85, v0
	v_and_b32_e32 v0, s94, v0
	v_lshl_or_b32 v0, v0, 4, v86
	ds_add_u32 v0, v87
	s_or_b64 exec, exec, s[16:17]
	v_cmp_lt_u32_e32 vcc, v8, v45
	s_and_saveexec_b64 s[16:17], vcc
	s_cbranch_execnz .LBB603_945
.LBB603_930:                            ;   in Loop: Header=BB603_900 Depth=2
	s_or_b64 exec, exec, s[16:17]
	v_cmp_lt_u32_e32 vcc, v10, v45
	s_and_saveexec_b64 s[16:17], vcc
	s_cbranch_execz .LBB603_946
.LBB603_931:                            ;   in Loop: Header=BB603_900 Depth=2
	v_xor_b32_e32 v0, 0x80000000, v37
	v_lshrrev_b32_e32 v0, s85, v0
	v_and_b32_e32 v0, s94, v0
	v_lshl_or_b32 v0, v0, 4, v86
	ds_add_u32 v0, v87
	s_or_b64 exec, exec, s[16:17]
	v_cmp_lt_u32_e32 vcc, v12, v45
	s_and_saveexec_b64 s[16:17], vcc
	s_cbranch_execnz .LBB603_947
.LBB603_932:                            ;   in Loop: Header=BB603_900 Depth=2
	s_or_b64 exec, exec, s[16:17]
	v_cmp_lt_u32_e32 vcc, v14, v45
	s_and_saveexec_b64 s[16:17], vcc
	s_cbranch_execz .LBB603_948
.LBB603_933:                            ;   in Loop: Header=BB603_900 Depth=2
	v_xor_b32_e32 v0, 0x80000000, v35
	v_lshrrev_b32_e32 v0, s85, v0
	v_and_b32_e32 v0, s94, v0
	v_lshl_or_b32 v0, v0, 4, v86
	ds_add_u32 v0, v87
	s_or_b64 exec, exec, s[16:17]
	v_cmp_lt_u32_e32 vcc, v16, v45
	s_and_saveexec_b64 s[16:17], vcc
	s_cbranch_execnz .LBB603_949
.LBB603_934:                            ;   in Loop: Header=BB603_900 Depth=2
	s_or_b64 exec, exec, s[16:17]
	v_cmp_lt_u32_e32 vcc, v18, v45
	s_and_saveexec_b64 s[16:17], vcc
	s_cbranch_execz .LBB603_950
.LBB603_935:                            ;   in Loop: Header=BB603_900 Depth=2
	v_xor_b32_e32 v0, 0x80000000, v33
	v_lshrrev_b32_e32 v0, s85, v0
	v_and_b32_e32 v0, s94, v0
	v_lshl_or_b32 v0, v0, 4, v86
	ds_add_u32 v0, v87
	s_or_b64 exec, exec, s[16:17]
	v_cmp_lt_u32_e32 vcc, v20, v45
	s_and_saveexec_b64 s[16:17], vcc
	s_cbranch_execnz .LBB603_951
.LBB603_936:                            ;   in Loop: Header=BB603_900 Depth=2
	s_or_b64 exec, exec, s[16:17]
	v_cmp_lt_u32_e32 vcc, v22, v45
	s_and_saveexec_b64 s[16:17], vcc
	s_cbranch_execz .LBB603_952
.LBB603_937:                            ;   in Loop: Header=BB603_900 Depth=2
	v_xor_b32_e32 v0, 0x80000000, v31
	v_lshrrev_b32_e32 v0, s85, v0
	v_and_b32_e32 v0, s94, v0
	v_lshl_or_b32 v0, v0, 4, v86
	ds_add_u32 v0, v87
	s_or_b64 exec, exec, s[16:17]
	v_cmp_lt_u32_e32 vcc, v24, v45
	s_and_saveexec_b64 s[16:17], vcc
	s_cbranch_execnz .LBB603_953
.LBB603_938:                            ;   in Loop: Header=BB603_900 Depth=2
	s_or_b64 exec, exec, s[16:17]
	v_cmp_lt_u32_e32 vcc, v26, v45
	s_and_saveexec_b64 s[16:17], vcc
	s_cbranch_execz .LBB603_954
.LBB603_939:                            ;   in Loop: Header=BB603_900 Depth=2
	v_xor_b32_e32 v0, 0x80000000, v5
	v_lshrrev_b32_e32 v0, s85, v0
	v_and_b32_e32 v0, s94, v0
	v_lshl_or_b32 v0, v0, 4, v86
	ds_add_u32 v0, v87
	s_or_b64 exec, exec, s[16:17]
	v_cmp_lt_u32_e32 vcc, v28, v45
	s_and_saveexec_b64 s[16:17], vcc
	s_cbranch_execz .LBB603_899
	s_branch .LBB603_955
.LBB603_940:                            ;   in Loop: Header=BB603_900 Depth=2
	s_or_b64 exec, exec, s[16:17]
	v_cmp_lt_u32_e32 vcc, v7, v45
	s_and_saveexec_b64 s[16:17], vcc
	s_cbranch_execz .LBB603_926
.LBB603_941:                            ;   in Loop: Header=BB603_900 Depth=2
	v_xor_b32_e32 v0, 0x80000000, v42
	v_lshrrev_b32_e32 v0, s85, v0
	v_and_b32_e32 v0, s94, v0
	v_lshl_or_b32 v0, v0, 4, v86
	ds_add_u32 v0, v87
	s_or_b64 exec, exec, s[16:17]
	v_cmp_lt_u32_e32 vcc, v9, v45
	s_and_saveexec_b64 s[16:17], vcc
	s_cbranch_execnz .LBB603_927
.LBB603_942:                            ;   in Loop: Header=BB603_900 Depth=2
	s_or_b64 exec, exec, s[16:17]
	v_cmp_lt_u32_e32 vcc, v11, v45
	s_and_saveexec_b64 s[16:17], vcc
	s_cbranch_execz .LBB603_928
.LBB603_943:                            ;   in Loop: Header=BB603_900 Depth=2
	v_xor_b32_e32 v0, 0x80000000, v40
	v_lshrrev_b32_e32 v0, s85, v0
	v_and_b32_e32 v0, s94, v0
	v_lshl_or_b32 v0, v0, 4, v86
	ds_add_u32 v0, v87
	s_or_b64 exec, exec, s[16:17]
	v_cmp_lt_u32_e32 vcc, v6, v45
	s_and_saveexec_b64 s[16:17], vcc
	s_cbranch_execnz .LBB603_929
.LBB603_944:                            ;   in Loop: Header=BB603_900 Depth=2
	s_or_b64 exec, exec, s[16:17]
	v_cmp_lt_u32_e32 vcc, v8, v45
	s_and_saveexec_b64 s[16:17], vcc
	s_cbranch_execz .LBB603_930
.LBB603_945:                            ;   in Loop: Header=BB603_900 Depth=2
	v_xor_b32_e32 v0, 0x80000000, v38
	v_lshrrev_b32_e32 v0, s85, v0
	v_and_b32_e32 v0, s94, v0
	v_lshl_or_b32 v0, v0, 4, v86
	ds_add_u32 v0, v87
	s_or_b64 exec, exec, s[16:17]
	v_cmp_lt_u32_e32 vcc, v10, v45
	s_and_saveexec_b64 s[16:17], vcc
	s_cbranch_execnz .LBB603_931
.LBB603_946:                            ;   in Loop: Header=BB603_900 Depth=2
	s_or_b64 exec, exec, s[16:17]
	v_cmp_lt_u32_e32 vcc, v12, v45
	s_and_saveexec_b64 s[16:17], vcc
	s_cbranch_execz .LBB603_932
.LBB603_947:                            ;   in Loop: Header=BB603_900 Depth=2
	v_xor_b32_e32 v0, 0x80000000, v36
	v_lshrrev_b32_e32 v0, s85, v0
	v_and_b32_e32 v0, s94, v0
	v_lshl_or_b32 v0, v0, 4, v86
	ds_add_u32 v0, v87
	s_or_b64 exec, exec, s[16:17]
	v_cmp_lt_u32_e32 vcc, v14, v45
	s_and_saveexec_b64 s[16:17], vcc
	s_cbranch_execnz .LBB603_933
.LBB603_948:                            ;   in Loop: Header=BB603_900 Depth=2
	s_or_b64 exec, exec, s[16:17]
	v_cmp_lt_u32_e32 vcc, v16, v45
	s_and_saveexec_b64 s[16:17], vcc
	s_cbranch_execz .LBB603_934
.LBB603_949:                            ;   in Loop: Header=BB603_900 Depth=2
	v_xor_b32_e32 v0, 0x80000000, v34
	v_lshrrev_b32_e32 v0, s85, v0
	v_and_b32_e32 v0, s94, v0
	v_lshl_or_b32 v0, v0, 4, v86
	ds_add_u32 v0, v87
	s_or_b64 exec, exec, s[16:17]
	v_cmp_lt_u32_e32 vcc, v18, v45
	s_and_saveexec_b64 s[16:17], vcc
	s_cbranch_execnz .LBB603_935
.LBB603_950:                            ;   in Loop: Header=BB603_900 Depth=2
	s_or_b64 exec, exec, s[16:17]
	v_cmp_lt_u32_e32 vcc, v20, v45
	s_and_saveexec_b64 s[16:17], vcc
	s_cbranch_execz .LBB603_936
.LBB603_951:                            ;   in Loop: Header=BB603_900 Depth=2
	v_xor_b32_e32 v0, 0x80000000, v32
	v_lshrrev_b32_e32 v0, s85, v0
	v_and_b32_e32 v0, s94, v0
	v_lshl_or_b32 v0, v0, 4, v86
	ds_add_u32 v0, v87
	s_or_b64 exec, exec, s[16:17]
	v_cmp_lt_u32_e32 vcc, v22, v45
	s_and_saveexec_b64 s[16:17], vcc
	s_cbranch_execnz .LBB603_937
.LBB603_952:                            ;   in Loop: Header=BB603_900 Depth=2
	s_or_b64 exec, exec, s[16:17]
	v_cmp_lt_u32_e32 vcc, v24, v45
	s_and_saveexec_b64 s[16:17], vcc
	s_cbranch_execz .LBB603_938
.LBB603_953:                            ;   in Loop: Header=BB603_900 Depth=2
	v_xor_b32_e32 v0, 0x80000000, v30
	v_lshrrev_b32_e32 v0, s85, v0
	v_and_b32_e32 v0, s94, v0
	v_lshl_or_b32 v0, v0, 4, v86
	ds_add_u32 v0, v87
	s_or_b64 exec, exec, s[16:17]
	v_cmp_lt_u32_e32 vcc, v26, v45
	s_and_saveexec_b64 s[16:17], vcc
	s_cbranch_execnz .LBB603_939
.LBB603_954:                            ;   in Loop: Header=BB603_900 Depth=2
	s_or_b64 exec, exec, s[16:17]
	v_cmp_lt_u32_e32 vcc, v28, v45
	s_and_saveexec_b64 s[16:17], vcc
	s_cbranch_execz .LBB603_899
.LBB603_955:                            ;   in Loop: Header=BB603_900 Depth=2
	s_waitcnt vmcnt(0)
	v_xor_b32_e32 v0, 0x80000000, v44
	v_lshrrev_b32_e32 v0, s85, v0
	v_and_b32_e32 v0, s94, v0
	v_lshl_or_b32 v0, v0, 4, v86
	ds_add_u32 v0, v87
	s_branch .LBB603_899
.LBB603_956:                            ;   in Loop: Header=BB603_900 Depth=2
	s_or_b64 exec, exec, s[20:21]
	v_cmp_gt_u32_e32 vcc, s22, v7
	s_and_saveexec_b64 s[20:21], vcc
	s_cbranch_execz .LBB603_906
.LBB603_957:                            ;   in Loop: Header=BB603_900 Depth=2
	global_load_dword v42, v88, s[18:19] offset:1024
	s_or_b64 exec, exec, s[20:21]
	v_cmp_gt_u32_e32 vcc, s22, v9
	s_and_saveexec_b64 s[20:21], vcc
	s_cbranch_execnz .LBB603_907
.LBB603_958:                            ;   in Loop: Header=BB603_900 Depth=2
	s_or_b64 exec, exec, s[20:21]
	v_cmp_gt_u32_e32 vcc, s22, v11
	s_and_saveexec_b64 s[20:21], vcc
	s_cbranch_execz .LBB603_908
.LBB603_959:                            ;   in Loop: Header=BB603_900 Depth=2
	global_load_dword v40, v88, s[18:19] offset:3072
	s_or_b64 exec, exec, s[20:21]
	v_cmp_gt_u32_e32 vcc, s22, v6
	s_and_saveexec_b64 s[20:21], vcc
	s_cbranch_execnz .LBB603_909
.LBB603_960:                            ;   in Loop: Header=BB603_900 Depth=2
	s_or_b64 exec, exec, s[20:21]
	v_cmp_gt_u32_e32 vcc, s22, v8
	s_and_saveexec_b64 s[20:21], vcc
	s_cbranch_execz .LBB603_910
.LBB603_961:                            ;   in Loop: Header=BB603_900 Depth=2
	global_load_dword v38, v90, s[18:19]
	s_or_b64 exec, exec, s[20:21]
	v_cmp_gt_u32_e32 vcc, s22, v10
	s_and_saveexec_b64 s[20:21], vcc
	s_cbranch_execnz .LBB603_911
.LBB603_962:                            ;   in Loop: Header=BB603_900 Depth=2
	s_or_b64 exec, exec, s[20:21]
	v_cmp_gt_u32_e32 vcc, s22, v12
	s_and_saveexec_b64 s[20:21], vcc
	s_cbranch_execz .LBB603_912
.LBB603_963:                            ;   in Loop: Header=BB603_900 Depth=2
	global_load_dword v36, v92, s[18:19]
	s_or_b64 exec, exec, s[20:21]
	v_cmp_gt_u32_e32 vcc, s22, v14
	s_and_saveexec_b64 s[20:21], vcc
	s_cbranch_execnz .LBB603_913
.LBB603_964:                            ;   in Loop: Header=BB603_900 Depth=2
	s_or_b64 exec, exec, s[20:21]
	v_cmp_gt_u32_e32 vcc, s22, v16
	s_and_saveexec_b64 s[20:21], vcc
	s_cbranch_execz .LBB603_914
.LBB603_965:                            ;   in Loop: Header=BB603_900 Depth=2
	global_load_dword v34, v94, s[18:19]
	s_or_b64 exec, exec, s[20:21]
	v_cmp_gt_u32_e32 vcc, s22, v18
	s_and_saveexec_b64 s[20:21], vcc
	s_cbranch_execnz .LBB603_915
.LBB603_966:                            ;   in Loop: Header=BB603_900 Depth=2
	s_or_b64 exec, exec, s[20:21]
	v_cmp_gt_u32_e32 vcc, s22, v20
	s_and_saveexec_b64 s[20:21], vcc
	s_cbranch_execz .LBB603_916
.LBB603_967:                            ;   in Loop: Header=BB603_900 Depth=2
	global_load_dword v32, v96, s[18:19]
	s_or_b64 exec, exec, s[20:21]
	v_cmp_gt_u32_e32 vcc, s22, v22
	s_and_saveexec_b64 s[20:21], vcc
	s_cbranch_execnz .LBB603_917
.LBB603_968:                            ;   in Loop: Header=BB603_900 Depth=2
	s_or_b64 exec, exec, s[20:21]
	v_cmp_gt_u32_e32 vcc, s22, v24
	s_and_saveexec_b64 s[20:21], vcc
	s_cbranch_execz .LBB603_918
.LBB603_969:                            ;   in Loop: Header=BB603_900 Depth=2
	global_load_dword v30, v98, s[18:19]
	s_or_b64 exec, exec, s[20:21]
	v_cmp_gt_u32_e32 vcc, s22, v26
	s_and_saveexec_b64 s[20:21], vcc
	s_cbranch_execz .LBB603_920
	s_branch .LBB603_919
.LBB603_970:                            ;   in Loop: Header=BB603_12 Depth=1
	v_mov_b32_e32 v0, 0
	s_waitcnt lgkmcnt(0)
	s_barrier
	s_and_saveexec_b64 s[16:17], s[4:5]
	s_cbranch_execz .LBB603_972
; %bb.971:                              ;   in Loop: Header=BB603_12 Depth=1
	ds_read2_b64 v[30:33], v17 offset1:1
	s_waitcnt lgkmcnt(0)
	v_add_u32_e32 v0, v31, v30
	v_add3_u32 v0, v0, v32, v33
.LBB603_972:                            ;   in Loop: Header=BB603_12 Depth=1
	s_or_b64 exec, exec, s[16:17]
	s_nop 0
	v_mov_b32_dpp v1, v0 row_shr:1 row_mask:0xf bank_mask:0xf
	v_cmp_eq_u32_e64 s[16:17], 0, v102
	v_cndmask_b32_e64 v1, v1, 0, s[16:17]
	v_add_u32_e32 v0, v1, v0
	v_cmp_lt_u32_e64 s[18:19], 1, v102
	v_cmp_lt_u32_e64 s[20:21], 3, v102
	v_mov_b32_dpp v1, v0 row_shr:2 row_mask:0xf bank_mask:0xf
	v_cndmask_b32_e64 v1, 0, v1, s[18:19]
	v_add_u32_e32 v0, v0, v1
	v_cmp_lt_u32_e64 s[22:23], 7, v102
	v_cmp_lt_u32_e64 s[26:27], 31, v101
	v_mov_b32_dpp v1, v0 row_shr:4 row_mask:0xf bank_mask:0xf
	v_cndmask_b32_e64 v1, 0, v1, s[20:21]
	v_add_u32_e32 v0, v0, v1
	v_cmp_eq_u32_e64 s[24:25], 0, v104
	s_nop 0
	v_mov_b32_dpp v1, v0 row_shr:8 row_mask:0xf bank_mask:0xf
	v_cndmask_b32_e64 v1, 0, v1, s[22:23]
	v_add_u32_e32 v0, v0, v1
	s_nop 1
	v_mov_b32_dpp v1, v0 row_bcast:15 row_mask:0xf bank_mask:0xf
	v_and_b32_e32 v1, v103, v1
	v_add_u32_e32 v0, v0, v1
	s_nop 1
	v_mov_b32_dpp v1, v0 row_bcast:31 row_mask:0xf bank_mask:0xf
	v_cndmask_b32_e64 v1, 0, v1, s[26:27]
	v_add_u32_e32 v0, v0, v1
	s_and_saveexec_b64 s[28:29], s[6:7]
	s_cbranch_execz .LBB603_974
; %bb.973:                              ;   in Loop: Header=BB603_12 Depth=1
	ds_write_b32 v21, v0
.LBB603_974:                            ;   in Loop: Header=BB603_12 Depth=1
	s_or_b64 exec, exec, s[28:29]
	s_waitcnt lgkmcnt(0)
	s_barrier
	s_and_saveexec_b64 s[28:29], s[8:9]
	s_cbranch_execz .LBB603_976
; %bb.975:                              ;   in Loop: Header=BB603_12 Depth=1
	ds_read_b32 v1, v23
	v_cmp_ne_u32_e32 vcc, 0, v105
	s_waitcnt lgkmcnt(0)
	v_mov_b32_dpp v5, v1 row_shr:1 row_mask:0xf bank_mask:0xf
	v_cndmask_b32_e32 v5, 0, v5, vcc
	v_add_u32_e32 v1, v5, v1
	v_cmp_lt_u32_e32 vcc, 1, v105
	s_nop 0
	v_mov_b32_dpp v5, v1 row_shr:2 row_mask:0xf bank_mask:0xf
	v_cndmask_b32_e32 v5, 0, v5, vcc
	v_add_u32_e32 v1, v1, v5
	ds_write_b32 v23, v1
.LBB603_976:                            ;   in Loop: Header=BB603_12 Depth=1
	s_or_b64 exec, exec, s[28:29]
	v_mov_b32_e32 v1, 0
	s_waitcnt lgkmcnt(0)
	s_barrier
	s_and_saveexec_b64 s[28:29], s[10:11]
	s_cbranch_execz .LBB603_978
; %bb.977:                              ;   in Loop: Header=BB603_12 Depth=1
	ds_read_b32 v1, v25
.LBB603_978:                            ;   in Loop: Header=BB603_12 Depth=1
	s_or_b64 exec, exec, s[28:29]
	v_cmp_lt_i32_e32 vcc, v106, v107
	v_cndmask_b32_e32 v5, v106, v101, vcc
	s_waitcnt lgkmcnt(0)
	v_add_u32_e32 v0, v1, v0
	v_lshlrev_b32_e32 v127, 2, v5
	ds_bpermute_b32 v0, v127, v0
	v_cmp_eq_u32_e64 s[28:29], 0, v101
	s_waitcnt lgkmcnt(0)
	s_barrier
	s_and_saveexec_b64 s[30:31], s[4:5]
	s_cbranch_execz .LBB603_980
; %bb.979:                              ;   in Loop: Header=BB603_12 Depth=1
	v_cndmask_b32_e64 v0, v0, v1, s[28:29]
	v_add_u32_e32 v0, s69, v0
	ds_write_b32 v3, v0
.LBB603_980:                            ;   in Loop: Header=BB603_12 Depth=1
	s_or_b64 exec, exec, s[30:31]
	s_load_dwordx2 s[30:31], s[90:91], 0x0
	v_add_co_u32_e32 v128, vcc, v82, v108
	v_addc_co_u32_e32 v129, vcc, 0, v83, vcc
	s_waitcnt lgkmcnt(0)
	s_cmp_lt_u32 s68, s30
	s_cselect_b32 s34, 12, 18
	s_cmp_lt_u32 s33, s31
	s_cselect_b32 s30, 14, 20
	s_add_u32 s30, s90, s30
	s_addc_u32 s31, s91, 0
	s_add_u32 s34, s90, s34
	global_load_ushort v5, v4, s[30:31]
	s_addc_u32 s35, s91, 0
	global_load_ushort v60, v4, s[34:35]
	v_add_co_u32_e32 v130, vcc, v84, v125
	v_addc_co_u32_e32 v131, vcc, 0, v85, vcc
	v_add_co_u32_e32 v145, vcc, 0xf00, v130
	v_cmp_eq_u32_e64 s[30:31], 0, v105
	v_cmp_lt_u32_e64 s[34:35], 1, v105
	s_mov_b32 s95, s87
	v_addc_co_u32_e32 v148, vcc, 0, v131, vcc
	s_mov_b32 s88, s69
                                        ; implicit-def: $vgpr0_vgpr1
                                        ; implicit-def: $vgpr30_vgpr31
                                        ; implicit-def: $vgpr32_vgpr33
                                        ; implicit-def: $vgpr36_vgpr37
                                        ; implicit-def: $vgpr40_vgpr41
                                        ; implicit-def: $vgpr44_vgpr45
                                        ; implicit-def: $vgpr48_vgpr49
                                        ; implicit-def: $vgpr52_vgpr53
                                        ; implicit-def: $vgpr34_vgpr35
                                        ; implicit-def: $vgpr38_vgpr39
                                        ; implicit-def: $vgpr42_vgpr43
                                        ; implicit-def: $vgpr46_vgpr47
                                        ; implicit-def: $vgpr50_vgpr51
                                        ; implicit-def: $vgpr54_vgpr55
                                        ; implicit-def: $vgpr56_vgpr57
                                        ; implicit-def: $vgpr58_vgpr59
                                        ; implicit-def: $vgpr132
                                        ; implicit-def: $vgpr133
                                        ; implicit-def: $vgpr134
                                        ; implicit-def: $vgpr135
                                        ; implicit-def: $vgpr136
                                        ; implicit-def: $vgpr137
                                        ; implicit-def: $vgpr138
                                        ; implicit-def: $vgpr139
                                        ; implicit-def: $vgpr140
                                        ; implicit-def: $vgpr141
                                        ; implicit-def: $vgpr142
                                        ; implicit-def: $vgpr143
                                        ; implicit-def: $vgpr144
                                        ; implicit-def: $vgpr146
                                        ; implicit-def: $vgpr147
                                        ; implicit-def: $vgpr149
	s_waitcnt vmcnt(1)
	v_mad_u32_u24 v5, v27, v5, v29
	s_waitcnt vmcnt(0)
	v_mad_u64_u32 v[60:61], s[36:37], v5, v60, v[2:3]
	v_lshrrev_b32_e32 v150, 6, v60
	s_branch .LBB603_982
.LBB603_981:                            ;   in Loop: Header=BB603_982 Depth=2
	s_or_b64 exec, exec, s[36:37]
	s_addk_i32 s95, 0xf000
	s_cmp_lt_u32 s96, s92
	s_mov_b32 s88, s96
	s_cbranch_scc0 .LBB603_10
.LBB603_982:                            ;   Parent Loop BB603_12 Depth=1
                                        ; =>  This Inner Loop Header: Depth=2
	s_add_i32 s96, s88, 0x1000
	s_cmp_gt_u32 s96, s92
	s_cbranch_scc1 .LBB603_985
; %bb.983:                              ;   in Loop: Header=BB603_982 Depth=2
	s_lshl_b64 s[36:37], s[88:89], 2
	v_mov_b32_e32 v5, s37
	v_add_co_u32_e32 v60, vcc, s36, v130
	v_addc_co_u32_e32 v61, vcc, v131, v5, vcc
	global_load_dword v5, v[60:61], off
	global_load_dword v154, v[60:61], off offset:256
	global_load_dword v159, v[60:61], off offset:512
	;; [unrolled: 1-line block ×14, first 2 shown]
	s_mov_b64 s[36:37], -1
	s_movk_i32 s40, 0x1000
	s_cbranch_execz .LBB603_986
; %bb.984:                              ;   in Loop: Header=BB603_982 Depth=2
                                        ; implicit-def: $sgpr38
	v_mov_b32_e32 v63, s38
	v_mov_b32_e32 v151, s95
	s_and_saveexec_b64 s[38:39], s[36:37]
	s_cbranch_execnz .LBB603_1017
	s_branch .LBB603_1018
.LBB603_985:                            ;   in Loop: Header=BB603_982 Depth=2
	s_mov_b64 s[36:37], 0
                                        ; implicit-def: $sgpr40
                                        ; implicit-def: $vgpr5
                                        ; implicit-def: $vgpr154
                                        ; implicit-def: $vgpr159
                                        ; implicit-def: $vgpr164
                                        ; implicit-def: $vgpr169
                                        ; implicit-def: $vgpr174
                                        ; implicit-def: $vgpr179
                                        ; implicit-def: $vgpr184
                                        ; implicit-def: $vgpr182
                                        ; implicit-def: $vgpr177
                                        ; implicit-def: $vgpr173
                                        ; implicit-def: $vgpr168
                                        ; implicit-def: $vgpr163
                                        ; implicit-def: $vgpr158
                                        ; implicit-def: $vgpr62
.LBB603_986:                            ;   in Loop: Header=BB603_982 Depth=2
	s_lshl_b64 s[36:37], s[88:89], 2
	s_waitcnt vmcnt(14)
	v_mov_b32_e32 v5, s37
	v_add_co_u32_e32 v60, vcc, s36, v130
	v_addc_co_u32_e32 v61, vcc, v131, v5, vcc
	v_cmp_gt_u32_e32 vcc, s95, v109
	s_waitcnt vmcnt(13)
	v_bfrev_b32_e32 v154, -2
	v_bfrev_b32_e32 v5, -2
	s_and_saveexec_b64 s[36:37], vcc
	s_cbranch_execz .LBB603_988
; %bb.987:                              ;   in Loop: Header=BB603_982 Depth=2
	global_load_dword v5, v[60:61], off
.LBB603_988:                            ;   in Loop: Header=BB603_982 Depth=2
	s_or_b64 exec, exec, s[36:37]
	v_cmp_gt_u32_e32 vcc, s95, v110
	s_and_saveexec_b64 s[36:37], vcc
	s_cbranch_execz .LBB603_990
; %bb.989:                              ;   in Loop: Header=BB603_982 Depth=2
	global_load_dword v154, v[60:61], off offset:256
.LBB603_990:                            ;   in Loop: Header=BB603_982 Depth=2
	s_or_b64 exec, exec, s[36:37]
	v_cmp_gt_u32_e32 vcc, s95, v111
	s_waitcnt vmcnt(11)
	v_bfrev_b32_e32 v164, -2
	v_bfrev_b32_e32 v159, -2
	s_and_saveexec_b64 s[36:37], vcc
	s_cbranch_execz .LBB603_992
; %bb.991:                              ;   in Loop: Header=BB603_982 Depth=2
	global_load_dword v159, v[60:61], off offset:512
.LBB603_992:                            ;   in Loop: Header=BB603_982 Depth=2
	s_or_b64 exec, exec, s[36:37]
	v_cmp_gt_u32_e32 vcc, s95, v112
	s_and_saveexec_b64 s[36:37], vcc
	s_cbranch_execz .LBB603_994
; %bb.993:                              ;   in Loop: Header=BB603_982 Depth=2
	global_load_dword v164, v[60:61], off offset:768
.LBB603_994:                            ;   in Loop: Header=BB603_982 Depth=2
	s_or_b64 exec, exec, s[36:37]
	v_cmp_gt_u32_e32 vcc, s95, v113
	s_waitcnt vmcnt(9)
	v_bfrev_b32_e32 v174, -2
	v_bfrev_b32_e32 v169, -2
	s_and_saveexec_b64 s[36:37], vcc
	s_cbranch_execz .LBB603_996
; %bb.995:                              ;   in Loop: Header=BB603_982 Depth=2
	global_load_dword v169, v[60:61], off offset:1024
.LBB603_996:                            ;   in Loop: Header=BB603_982 Depth=2
	s_or_b64 exec, exec, s[36:37]
	v_cmp_gt_u32_e32 vcc, s95, v114
	s_and_saveexec_b64 s[36:37], vcc
	s_cbranch_execz .LBB603_998
; %bb.997:                              ;   in Loop: Header=BB603_982 Depth=2
	global_load_dword v174, v[60:61], off offset:1280
.LBB603_998:                            ;   in Loop: Header=BB603_982 Depth=2
	s_or_b64 exec, exec, s[36:37]
	v_cmp_gt_u32_e32 vcc, s95, v115
	s_waitcnt vmcnt(7)
	v_bfrev_b32_e32 v184, -2
	v_bfrev_b32_e32 v179, -2
	s_and_saveexec_b64 s[36:37], vcc
	s_cbranch_execz .LBB603_1000
; %bb.999:                              ;   in Loop: Header=BB603_982 Depth=2
	global_load_dword v179, v[60:61], off offset:1536
.LBB603_1000:                           ;   in Loop: Header=BB603_982 Depth=2
	s_or_b64 exec, exec, s[36:37]
	v_cmp_gt_u32_e32 vcc, s95, v116
	s_and_saveexec_b64 s[36:37], vcc
	s_cbranch_execz .LBB603_1002
; %bb.1001:                             ;   in Loop: Header=BB603_982 Depth=2
	global_load_dword v184, v[60:61], off offset:1792
.LBB603_1002:                           ;   in Loop: Header=BB603_982 Depth=2
	s_or_b64 exec, exec, s[36:37]
	v_cmp_gt_u32_e32 vcc, s95, v117
	s_waitcnt vmcnt(5)
	v_bfrev_b32_e32 v177, -2
	v_bfrev_b32_e32 v182, -2
	s_and_saveexec_b64 s[36:37], vcc
	s_cbranch_execz .LBB603_1004
; %bb.1003:                             ;   in Loop: Header=BB603_982 Depth=2
	global_load_dword v182, v[60:61], off offset:2048
.LBB603_1004:                           ;   in Loop: Header=BB603_982 Depth=2
	s_or_b64 exec, exec, s[36:37]
	v_cmp_gt_u32_e32 vcc, s95, v118
	s_and_saveexec_b64 s[36:37], vcc
	s_cbranch_execz .LBB603_1006
; %bb.1005:                             ;   in Loop: Header=BB603_982 Depth=2
	global_load_dword v177, v[60:61], off offset:2304
.LBB603_1006:                           ;   in Loop: Header=BB603_982 Depth=2
	s_or_b64 exec, exec, s[36:37]
	v_cmp_gt_u32_e32 vcc, s95, v119
	s_waitcnt vmcnt(3)
	v_bfrev_b32_e32 v168, -2
	v_bfrev_b32_e32 v173, -2
	s_and_saveexec_b64 s[36:37], vcc
	s_cbranch_execz .LBB603_1008
; %bb.1007:                             ;   in Loop: Header=BB603_982 Depth=2
	global_load_dword v173, v[60:61], off offset:2560
.LBB603_1008:                           ;   in Loop: Header=BB603_982 Depth=2
	;; [unrolled: 17-line block ×3, first 2 shown]
	s_or_b64 exec, exec, s[36:37]
	v_cmp_gt_u32_e32 vcc, s95, v122
	s_and_saveexec_b64 s[36:37], vcc
	s_cbranch_execz .LBB603_1014
; %bb.1013:                             ;   in Loop: Header=BB603_982 Depth=2
	global_load_dword v158, v[60:61], off offset:3328
.LBB603_1014:                           ;   in Loop: Header=BB603_982 Depth=2
	s_or_b64 exec, exec, s[36:37]
	v_cmp_gt_u32_e32 vcc, s95, v123
	s_waitcnt vmcnt(0)
	v_bfrev_b32_e32 v62, -2
	s_and_saveexec_b64 s[36:37], vcc
	s_cbranch_execz .LBB603_1016
; %bb.1015:                             ;   in Loop: Header=BB603_982 Depth=2
	global_load_dword v62, v[60:61], off offset:3584
.LBB603_1016:                           ;   in Loop: Header=BB603_982 Depth=2
	s_or_b64 exec, exec, s[36:37]
	s_sub_i32 s40, s92, s88
	v_cmp_gt_u32_e64 s[36:37], s95, v124
	s_brev_b32 s38, -2
	v_mov_b32_e32 v63, s38
	v_mov_b32_e32 v151, s95
	s_and_saveexec_b64 s[38:39], s[36:37]
	s_cbranch_execz .LBB603_1018
.LBB603_1017:                           ;   in Loop: Header=BB603_982 Depth=2
	s_lshl_b64 s[36:37], s[88:89], 2
	v_mov_b32_e32 v61, s37
	v_add_co_u32_e32 v60, vcc, s36, v145
	v_addc_co_u32_e32 v61, vcc, v148, v61, vcc
	global_load_dword v63, v[60:61], off
	v_mov_b32_e32 v151, s40
.LBB603_1018:                           ;   in Loop: Header=BB603_982 Depth=2
	s_or_b64 exec, exec, s[38:39]
	s_waitcnt vmcnt(14)
	v_xor_b32_e32 v152, 0x80000000, v5
	v_lshrrev_b32_e32 v5, s85, v152
	v_and_b32_e32 v60, s94, v5
	v_mad_u32_u24 v5, v60, 5, v150
	v_lshl_add_u32 v153, v5, 2, v65
	v_and_b32_e32 v5, 1, v60
	v_add_co_u32_e32 v61, vcc, -1, v5
	v_addc_co_u32_e64 v155, s[36:37], 0, -1, vcc
	v_cmp_ne_u32_e32 vcc, 0, v5
	v_xor_b32_e32 v5, vcc_hi, v155
	v_and_b32_e32 v155, exec_hi, v5
	v_lshlrev_b32_e32 v5, 30, v60
	v_xor_b32_e32 v61, vcc_lo, v61
	v_cmp_gt_i64_e32 vcc, 0, v[4:5]
	v_not_b32_e32 v5, v5
	v_ashrrev_i32_e32 v5, 31, v5
	v_and_b32_e32 v61, exec_lo, v61
	v_xor_b32_e32 v156, vcc_hi, v5
	v_xor_b32_e32 v5, vcc_lo, v5
	v_and_b32_e32 v61, v61, v5
	v_lshlrev_b32_e32 v5, 29, v60
	v_cmp_gt_i64_e32 vcc, 0, v[4:5]
	v_not_b32_e32 v5, v5
	v_ashrrev_i32_e32 v5, 31, v5
	v_and_b32_e32 v155, v155, v156
	v_xor_b32_e32 v156, vcc_hi, v5
	v_xor_b32_e32 v5, vcc_lo, v5
	v_and_b32_e32 v61, v61, v5
	v_lshlrev_b32_e32 v5, 28, v60
	v_cmp_gt_i64_e32 vcc, 0, v[4:5]
	v_not_b32_e32 v5, v5
	v_ashrrev_i32_e32 v5, 31, v5
	v_and_b32_e32 v155, v155, v156
	;; [unrolled: 8-line block ×5, first 2 shown]
	v_xor_b32_e32 v156, vcc_hi, v5
	v_xor_b32_e32 v5, vcc_lo, v5
	v_and_b32_e32 v155, v155, v156
	v_and_b32_e32 v156, v61, v5
	v_lshlrev_b32_e32 v5, 24, v60
	v_cmp_gt_i64_e32 vcc, 0, v[4:5]
	v_not_b32_e32 v5, v5
	v_ashrrev_i32_e32 v5, 31, v5
	v_xor_b32_e32 v60, vcc_hi, v5
	v_xor_b32_e32 v5, vcc_lo, v5
	v_and_b32_e32 v61, v155, v60
	v_and_b32_e32 v60, v156, v5
	v_mbcnt_lo_u32_b32 v5, v60, 0
	v_mbcnt_hi_u32_b32 v155, v61, v5
	v_cmp_eq_u32_e32 vcc, 0, v155
	v_cmp_ne_u64_e64 s[36:37], 0, v[60:61]
	s_and_b64 s[38:39], s[36:37], vcc
	ds_write2_b32 v126, v4, v4 offset1:1
	ds_write2_b32 v66, v4, v4 offset0:2 offset1:3
	ds_write_b32 v66, v4 offset:16
	s_waitcnt lgkmcnt(0)
	s_barrier
	s_waitcnt lgkmcnt(0)
	; wave barrier
	s_and_saveexec_b64 s[36:37], s[38:39]
	s_cbranch_execz .LBB603_1020
; %bb.1019:                             ;   in Loop: Header=BB603_982 Depth=2
	v_bcnt_u32_b32 v5, v60, 0
	v_bcnt_u32_b32 v5, v61, v5
	ds_write_b32 v153, v5
.LBB603_1020:                           ;   in Loop: Header=BB603_982 Depth=2
	s_or_b64 exec, exec, s[36:37]
	s_waitcnt vmcnt(13)
	v_xor_b32_e32 v154, 0x80000000, v154
	v_lshrrev_b32_e32 v5, s85, v154
	v_and_b32_e32 v60, s94, v5
	v_mul_u32_u24_e32 v5, 5, v60
	v_add_lshl_u32 v5, v5, v150, 2
	; wave barrier
	v_add_u32_e32 v157, 0x410, v5
	ds_read_b32 v156, v5 offset:1040
	v_and_b32_e32 v5, 1, v60
	v_add_co_u32_e32 v61, vcc, -1, v5
	v_addc_co_u32_e64 v160, s[36:37], 0, -1, vcc
	v_cmp_ne_u32_e32 vcc, 0, v5
	v_xor_b32_e32 v5, vcc_hi, v160
	v_and_b32_e32 v160, exec_hi, v5
	v_lshlrev_b32_e32 v5, 30, v60
	v_xor_b32_e32 v61, vcc_lo, v61
	v_cmp_gt_i64_e32 vcc, 0, v[4:5]
	v_not_b32_e32 v5, v5
	v_ashrrev_i32_e32 v5, 31, v5
	v_and_b32_e32 v61, exec_lo, v61
	v_xor_b32_e32 v161, vcc_hi, v5
	v_xor_b32_e32 v5, vcc_lo, v5
	v_and_b32_e32 v61, v61, v5
	v_lshlrev_b32_e32 v5, 29, v60
	v_cmp_gt_i64_e32 vcc, 0, v[4:5]
	v_not_b32_e32 v5, v5
	v_ashrrev_i32_e32 v5, 31, v5
	v_and_b32_e32 v160, v160, v161
	v_xor_b32_e32 v161, vcc_hi, v5
	v_xor_b32_e32 v5, vcc_lo, v5
	v_and_b32_e32 v61, v61, v5
	v_lshlrev_b32_e32 v5, 28, v60
	v_cmp_gt_i64_e32 vcc, 0, v[4:5]
	v_not_b32_e32 v5, v5
	v_ashrrev_i32_e32 v5, 31, v5
	v_and_b32_e32 v160, v160, v161
	;; [unrolled: 8-line block ×5, first 2 shown]
	v_xor_b32_e32 v161, vcc_hi, v5
	v_xor_b32_e32 v5, vcc_lo, v5
	v_and_b32_e32 v160, v160, v161
	v_and_b32_e32 v161, v61, v5
	v_lshlrev_b32_e32 v5, 24, v60
	v_cmp_gt_i64_e32 vcc, 0, v[4:5]
	v_not_b32_e32 v5, v5
	v_ashrrev_i32_e32 v5, 31, v5
	v_xor_b32_e32 v60, vcc_hi, v5
	v_xor_b32_e32 v5, vcc_lo, v5
	v_and_b32_e32 v61, v160, v60
	v_and_b32_e32 v60, v161, v5
	v_mbcnt_lo_u32_b32 v5, v60, 0
	v_mbcnt_hi_u32_b32 v160, v61, v5
	v_cmp_eq_u32_e32 vcc, 0, v160
	v_cmp_ne_u64_e64 s[36:37], 0, v[60:61]
	s_and_b64 s[38:39], s[36:37], vcc
	; wave barrier
	s_and_saveexec_b64 s[36:37], s[38:39]
	s_cbranch_execz .LBB603_1022
; %bb.1021:                             ;   in Loop: Header=BB603_982 Depth=2
	v_bcnt_u32_b32 v5, v60, 0
	v_bcnt_u32_b32 v5, v61, v5
	s_waitcnt lgkmcnt(0)
	v_add_u32_e32 v5, v156, v5
	ds_write_b32 v157, v5
.LBB603_1022:                           ;   in Loop: Header=BB603_982 Depth=2
	s_or_b64 exec, exec, s[36:37]
	s_waitcnt vmcnt(12)
	v_xor_b32_e32 v159, 0x80000000, v159
	v_lshrrev_b32_e32 v5, s85, v159
	v_and_b32_e32 v60, s94, v5
	v_mul_u32_u24_e32 v5, 5, v60
	v_add_lshl_u32 v5, v5, v150, 2
	; wave barrier
	v_add_u32_e32 v162, 0x410, v5
	ds_read_b32 v161, v5 offset:1040
	v_and_b32_e32 v5, 1, v60
	v_add_co_u32_e32 v61, vcc, -1, v5
	v_addc_co_u32_e64 v165, s[36:37], 0, -1, vcc
	v_cmp_ne_u32_e32 vcc, 0, v5
	v_xor_b32_e32 v5, vcc_hi, v165
	v_and_b32_e32 v165, exec_hi, v5
	v_lshlrev_b32_e32 v5, 30, v60
	v_xor_b32_e32 v61, vcc_lo, v61
	v_cmp_gt_i64_e32 vcc, 0, v[4:5]
	v_not_b32_e32 v5, v5
	v_ashrrev_i32_e32 v5, 31, v5
	v_and_b32_e32 v61, exec_lo, v61
	v_xor_b32_e32 v166, vcc_hi, v5
	v_xor_b32_e32 v5, vcc_lo, v5
	v_and_b32_e32 v61, v61, v5
	v_lshlrev_b32_e32 v5, 29, v60
	v_cmp_gt_i64_e32 vcc, 0, v[4:5]
	v_not_b32_e32 v5, v5
	v_ashrrev_i32_e32 v5, 31, v5
	v_and_b32_e32 v165, v165, v166
	v_xor_b32_e32 v166, vcc_hi, v5
	v_xor_b32_e32 v5, vcc_lo, v5
	v_and_b32_e32 v61, v61, v5
	v_lshlrev_b32_e32 v5, 28, v60
	v_cmp_gt_i64_e32 vcc, 0, v[4:5]
	v_not_b32_e32 v5, v5
	v_ashrrev_i32_e32 v5, 31, v5
	v_and_b32_e32 v165, v165, v166
	v_xor_b32_e32 v166, vcc_hi, v5
	v_xor_b32_e32 v5, vcc_lo, v5
	v_and_b32_e32 v61, v61, v5
	v_lshlrev_b32_e32 v5, 27, v60
	v_cmp_gt_i64_e32 vcc, 0, v[4:5]
	v_not_b32_e32 v5, v5
	v_ashrrev_i32_e32 v5, 31, v5
	v_and_b32_e32 v165, v165, v166
	v_xor_b32_e32 v166, vcc_hi, v5
	v_xor_b32_e32 v5, vcc_lo, v5
	v_and_b32_e32 v61, v61, v5
	v_lshlrev_b32_e32 v5, 26, v60
	v_cmp_gt_i64_e32 vcc, 0, v[4:5]
	v_not_b32_e32 v5, v5
	v_ashrrev_i32_e32 v5, 31, v5
	v_and_b32_e32 v165, v165, v166
	v_xor_b32_e32 v166, vcc_hi, v5
	v_xor_b32_e32 v5, vcc_lo, v5
	v_and_b32_e32 v61, v61, v5
	v_lshlrev_b32_e32 v5, 25, v60
	v_cmp_gt_i64_e32 vcc, 0, v[4:5]
	v_not_b32_e32 v5, v5
	v_ashrrev_i32_e32 v5, 31, v5
	v_and_b32_e32 v165, v165, v166
	v_xor_b32_e32 v166, vcc_hi, v5
	v_xor_b32_e32 v5, vcc_lo, v5
	v_and_b32_e32 v165, v165, v166
	v_and_b32_e32 v166, v61, v5
	v_lshlrev_b32_e32 v5, 24, v60
	v_cmp_gt_i64_e32 vcc, 0, v[4:5]
	v_not_b32_e32 v5, v5
	v_ashrrev_i32_e32 v5, 31, v5
	v_xor_b32_e32 v60, vcc_hi, v5
	v_xor_b32_e32 v5, vcc_lo, v5
	v_and_b32_e32 v61, v165, v60
	v_and_b32_e32 v60, v166, v5
	v_mbcnt_lo_u32_b32 v5, v60, 0
	v_mbcnt_hi_u32_b32 v165, v61, v5
	v_cmp_eq_u32_e32 vcc, 0, v165
	v_cmp_ne_u64_e64 s[36:37], 0, v[60:61]
	s_and_b64 s[38:39], s[36:37], vcc
	; wave barrier
	s_and_saveexec_b64 s[36:37], s[38:39]
	s_cbranch_execz .LBB603_1024
; %bb.1023:                             ;   in Loop: Header=BB603_982 Depth=2
	v_bcnt_u32_b32 v5, v60, 0
	v_bcnt_u32_b32 v5, v61, v5
	s_waitcnt lgkmcnt(0)
	v_add_u32_e32 v5, v161, v5
	ds_write_b32 v162, v5
.LBB603_1024:                           ;   in Loop: Header=BB603_982 Depth=2
	s_or_b64 exec, exec, s[36:37]
	s_waitcnt vmcnt(11)
	v_xor_b32_e32 v164, 0x80000000, v164
	v_lshrrev_b32_e32 v5, s85, v164
	v_and_b32_e32 v60, s94, v5
	v_mul_u32_u24_e32 v5, 5, v60
	v_add_lshl_u32 v5, v5, v150, 2
	; wave barrier
	v_add_u32_e32 v167, 0x410, v5
	ds_read_b32 v166, v5 offset:1040
	v_and_b32_e32 v5, 1, v60
	v_add_co_u32_e32 v61, vcc, -1, v5
	v_addc_co_u32_e64 v170, s[36:37], 0, -1, vcc
	v_cmp_ne_u32_e32 vcc, 0, v5
	v_xor_b32_e32 v5, vcc_hi, v170
	v_and_b32_e32 v170, exec_hi, v5
	v_lshlrev_b32_e32 v5, 30, v60
	v_xor_b32_e32 v61, vcc_lo, v61
	v_cmp_gt_i64_e32 vcc, 0, v[4:5]
	v_not_b32_e32 v5, v5
	v_ashrrev_i32_e32 v5, 31, v5
	v_and_b32_e32 v61, exec_lo, v61
	v_xor_b32_e32 v171, vcc_hi, v5
	v_xor_b32_e32 v5, vcc_lo, v5
	v_and_b32_e32 v61, v61, v5
	v_lshlrev_b32_e32 v5, 29, v60
	v_cmp_gt_i64_e32 vcc, 0, v[4:5]
	v_not_b32_e32 v5, v5
	v_ashrrev_i32_e32 v5, 31, v5
	v_and_b32_e32 v170, v170, v171
	v_xor_b32_e32 v171, vcc_hi, v5
	v_xor_b32_e32 v5, vcc_lo, v5
	v_and_b32_e32 v61, v61, v5
	v_lshlrev_b32_e32 v5, 28, v60
	v_cmp_gt_i64_e32 vcc, 0, v[4:5]
	v_not_b32_e32 v5, v5
	v_ashrrev_i32_e32 v5, 31, v5
	v_and_b32_e32 v170, v170, v171
	;; [unrolled: 8-line block ×5, first 2 shown]
	v_xor_b32_e32 v171, vcc_hi, v5
	v_xor_b32_e32 v5, vcc_lo, v5
	v_and_b32_e32 v170, v170, v171
	v_and_b32_e32 v171, v61, v5
	v_lshlrev_b32_e32 v5, 24, v60
	v_cmp_gt_i64_e32 vcc, 0, v[4:5]
	v_not_b32_e32 v5, v5
	v_ashrrev_i32_e32 v5, 31, v5
	v_xor_b32_e32 v60, vcc_hi, v5
	v_xor_b32_e32 v5, vcc_lo, v5
	v_and_b32_e32 v61, v170, v60
	v_and_b32_e32 v60, v171, v5
	v_mbcnt_lo_u32_b32 v5, v60, 0
	v_mbcnt_hi_u32_b32 v170, v61, v5
	v_cmp_eq_u32_e32 vcc, 0, v170
	v_cmp_ne_u64_e64 s[36:37], 0, v[60:61]
	s_and_b64 s[38:39], s[36:37], vcc
	; wave barrier
	s_and_saveexec_b64 s[36:37], s[38:39]
	s_cbranch_execz .LBB603_1026
; %bb.1025:                             ;   in Loop: Header=BB603_982 Depth=2
	v_bcnt_u32_b32 v5, v60, 0
	v_bcnt_u32_b32 v5, v61, v5
	s_waitcnt lgkmcnt(0)
	v_add_u32_e32 v5, v166, v5
	ds_write_b32 v167, v5
.LBB603_1026:                           ;   in Loop: Header=BB603_982 Depth=2
	s_or_b64 exec, exec, s[36:37]
	s_waitcnt vmcnt(10)
	v_xor_b32_e32 v169, 0x80000000, v169
	v_lshrrev_b32_e32 v5, s85, v169
	v_and_b32_e32 v60, s94, v5
	v_mul_u32_u24_e32 v5, 5, v60
	v_add_lshl_u32 v5, v5, v150, 2
	; wave barrier
	v_add_u32_e32 v172, 0x410, v5
	ds_read_b32 v171, v5 offset:1040
	v_and_b32_e32 v5, 1, v60
	v_add_co_u32_e32 v61, vcc, -1, v5
	v_addc_co_u32_e64 v175, s[36:37], 0, -1, vcc
	v_cmp_ne_u32_e32 vcc, 0, v5
	v_xor_b32_e32 v5, vcc_hi, v175
	v_and_b32_e32 v175, exec_hi, v5
	v_lshlrev_b32_e32 v5, 30, v60
	v_xor_b32_e32 v61, vcc_lo, v61
	v_cmp_gt_i64_e32 vcc, 0, v[4:5]
	v_not_b32_e32 v5, v5
	v_ashrrev_i32_e32 v5, 31, v5
	v_and_b32_e32 v61, exec_lo, v61
	v_xor_b32_e32 v176, vcc_hi, v5
	v_xor_b32_e32 v5, vcc_lo, v5
	v_and_b32_e32 v61, v61, v5
	v_lshlrev_b32_e32 v5, 29, v60
	v_cmp_gt_i64_e32 vcc, 0, v[4:5]
	v_not_b32_e32 v5, v5
	v_ashrrev_i32_e32 v5, 31, v5
	v_and_b32_e32 v175, v175, v176
	v_xor_b32_e32 v176, vcc_hi, v5
	v_xor_b32_e32 v5, vcc_lo, v5
	v_and_b32_e32 v61, v61, v5
	v_lshlrev_b32_e32 v5, 28, v60
	v_cmp_gt_i64_e32 vcc, 0, v[4:5]
	v_not_b32_e32 v5, v5
	v_ashrrev_i32_e32 v5, 31, v5
	v_and_b32_e32 v175, v175, v176
	;; [unrolled: 8-line block ×5, first 2 shown]
	v_xor_b32_e32 v176, vcc_hi, v5
	v_xor_b32_e32 v5, vcc_lo, v5
	v_and_b32_e32 v175, v175, v176
	v_and_b32_e32 v176, v61, v5
	v_lshlrev_b32_e32 v5, 24, v60
	v_cmp_gt_i64_e32 vcc, 0, v[4:5]
	v_not_b32_e32 v5, v5
	v_ashrrev_i32_e32 v5, 31, v5
	v_xor_b32_e32 v60, vcc_hi, v5
	v_xor_b32_e32 v5, vcc_lo, v5
	v_and_b32_e32 v61, v175, v60
	v_and_b32_e32 v60, v176, v5
	v_mbcnt_lo_u32_b32 v5, v60, 0
	v_mbcnt_hi_u32_b32 v175, v61, v5
	v_cmp_eq_u32_e32 vcc, 0, v175
	v_cmp_ne_u64_e64 s[36:37], 0, v[60:61]
	s_and_b64 s[38:39], s[36:37], vcc
	; wave barrier
	s_and_saveexec_b64 s[36:37], s[38:39]
	s_cbranch_execz .LBB603_1028
; %bb.1027:                             ;   in Loop: Header=BB603_982 Depth=2
	v_bcnt_u32_b32 v5, v60, 0
	v_bcnt_u32_b32 v5, v61, v5
	s_waitcnt lgkmcnt(0)
	v_add_u32_e32 v5, v171, v5
	ds_write_b32 v172, v5
.LBB603_1028:                           ;   in Loop: Header=BB603_982 Depth=2
	s_or_b64 exec, exec, s[36:37]
	s_waitcnt vmcnt(9)
	v_xor_b32_e32 v174, 0x80000000, v174
	v_lshrrev_b32_e32 v5, s85, v174
	v_and_b32_e32 v60, s94, v5
	v_mul_u32_u24_e32 v5, 5, v60
	v_add_lshl_u32 v5, v5, v150, 2
	; wave barrier
	v_add_u32_e32 v178, 0x410, v5
	ds_read_b32 v176, v5 offset:1040
	v_and_b32_e32 v5, 1, v60
	v_add_co_u32_e32 v61, vcc, -1, v5
	v_addc_co_u32_e64 v180, s[36:37], 0, -1, vcc
	v_cmp_ne_u32_e32 vcc, 0, v5
	v_xor_b32_e32 v5, vcc_hi, v180
	v_and_b32_e32 v180, exec_hi, v5
	v_lshlrev_b32_e32 v5, 30, v60
	v_xor_b32_e32 v61, vcc_lo, v61
	v_cmp_gt_i64_e32 vcc, 0, v[4:5]
	v_not_b32_e32 v5, v5
	v_ashrrev_i32_e32 v5, 31, v5
	v_and_b32_e32 v61, exec_lo, v61
	v_xor_b32_e32 v181, vcc_hi, v5
	v_xor_b32_e32 v5, vcc_lo, v5
	v_and_b32_e32 v61, v61, v5
	v_lshlrev_b32_e32 v5, 29, v60
	v_cmp_gt_i64_e32 vcc, 0, v[4:5]
	v_not_b32_e32 v5, v5
	v_ashrrev_i32_e32 v5, 31, v5
	v_and_b32_e32 v180, v180, v181
	v_xor_b32_e32 v181, vcc_hi, v5
	v_xor_b32_e32 v5, vcc_lo, v5
	v_and_b32_e32 v61, v61, v5
	v_lshlrev_b32_e32 v5, 28, v60
	v_cmp_gt_i64_e32 vcc, 0, v[4:5]
	v_not_b32_e32 v5, v5
	v_ashrrev_i32_e32 v5, 31, v5
	v_and_b32_e32 v180, v180, v181
	v_xor_b32_e32 v181, vcc_hi, v5
	v_xor_b32_e32 v5, vcc_lo, v5
	v_and_b32_e32 v61, v61, v5
	v_lshlrev_b32_e32 v5, 27, v60
	v_cmp_gt_i64_e32 vcc, 0, v[4:5]
	v_not_b32_e32 v5, v5
	v_ashrrev_i32_e32 v5, 31, v5
	v_and_b32_e32 v180, v180, v181
	v_xor_b32_e32 v181, vcc_hi, v5
	v_xor_b32_e32 v5, vcc_lo, v5
	v_and_b32_e32 v61, v61, v5
	v_lshlrev_b32_e32 v5, 26, v60
	v_cmp_gt_i64_e32 vcc, 0, v[4:5]
	v_not_b32_e32 v5, v5
	v_ashrrev_i32_e32 v5, 31, v5
	v_and_b32_e32 v180, v180, v181
	v_xor_b32_e32 v181, vcc_hi, v5
	v_xor_b32_e32 v5, vcc_lo, v5
	v_and_b32_e32 v61, v61, v5
	v_lshlrev_b32_e32 v5, 25, v60
	v_cmp_gt_i64_e32 vcc, 0, v[4:5]
	v_not_b32_e32 v5, v5
	v_ashrrev_i32_e32 v5, 31, v5
	v_and_b32_e32 v180, v180, v181
	v_xor_b32_e32 v181, vcc_hi, v5
	v_xor_b32_e32 v5, vcc_lo, v5
	v_and_b32_e32 v180, v180, v181
	v_and_b32_e32 v181, v61, v5
	v_lshlrev_b32_e32 v5, 24, v60
	v_cmp_gt_i64_e32 vcc, 0, v[4:5]
	v_not_b32_e32 v5, v5
	v_ashrrev_i32_e32 v5, 31, v5
	v_xor_b32_e32 v60, vcc_hi, v5
	v_xor_b32_e32 v5, vcc_lo, v5
	v_and_b32_e32 v61, v180, v60
	v_and_b32_e32 v60, v181, v5
	v_mbcnt_lo_u32_b32 v5, v60, 0
	v_mbcnt_hi_u32_b32 v180, v61, v5
	v_cmp_eq_u32_e32 vcc, 0, v180
	v_cmp_ne_u64_e64 s[36:37], 0, v[60:61]
	s_and_b64 s[38:39], s[36:37], vcc
	; wave barrier
	s_and_saveexec_b64 s[36:37], s[38:39]
	s_cbranch_execz .LBB603_1030
; %bb.1029:                             ;   in Loop: Header=BB603_982 Depth=2
	v_bcnt_u32_b32 v5, v60, 0
	v_bcnt_u32_b32 v5, v61, v5
	s_waitcnt lgkmcnt(0)
	v_add_u32_e32 v5, v176, v5
	ds_write_b32 v178, v5
.LBB603_1030:                           ;   in Loop: Header=BB603_982 Depth=2
	s_or_b64 exec, exec, s[36:37]
	s_waitcnt vmcnt(8)
	v_xor_b32_e32 v179, 0x80000000, v179
	v_lshrrev_b32_e32 v5, s85, v179
	v_and_b32_e32 v60, s94, v5
	v_mul_u32_u24_e32 v5, 5, v60
	v_add_lshl_u32 v5, v5, v150, 2
	; wave barrier
	v_add_u32_e32 v183, 0x410, v5
	ds_read_b32 v181, v5 offset:1040
	v_and_b32_e32 v5, 1, v60
	v_add_co_u32_e32 v61, vcc, -1, v5
	v_addc_co_u32_e64 v185, s[36:37], 0, -1, vcc
	v_cmp_ne_u32_e32 vcc, 0, v5
	v_xor_b32_e32 v5, vcc_hi, v185
	v_and_b32_e32 v185, exec_hi, v5
	v_lshlrev_b32_e32 v5, 30, v60
	v_xor_b32_e32 v61, vcc_lo, v61
	v_cmp_gt_i64_e32 vcc, 0, v[4:5]
	v_not_b32_e32 v5, v5
	v_ashrrev_i32_e32 v5, 31, v5
	v_and_b32_e32 v61, exec_lo, v61
	v_xor_b32_e32 v186, vcc_hi, v5
	v_xor_b32_e32 v5, vcc_lo, v5
	v_and_b32_e32 v61, v61, v5
	v_lshlrev_b32_e32 v5, 29, v60
	v_cmp_gt_i64_e32 vcc, 0, v[4:5]
	v_not_b32_e32 v5, v5
	v_ashrrev_i32_e32 v5, 31, v5
	v_and_b32_e32 v185, v185, v186
	v_xor_b32_e32 v186, vcc_hi, v5
	v_xor_b32_e32 v5, vcc_lo, v5
	v_and_b32_e32 v61, v61, v5
	v_lshlrev_b32_e32 v5, 28, v60
	v_cmp_gt_i64_e32 vcc, 0, v[4:5]
	v_not_b32_e32 v5, v5
	v_ashrrev_i32_e32 v5, 31, v5
	v_and_b32_e32 v185, v185, v186
	;; [unrolled: 8-line block ×5, first 2 shown]
	v_xor_b32_e32 v186, vcc_hi, v5
	v_xor_b32_e32 v5, vcc_lo, v5
	v_and_b32_e32 v185, v185, v186
	v_and_b32_e32 v186, v61, v5
	v_lshlrev_b32_e32 v5, 24, v60
	v_cmp_gt_i64_e32 vcc, 0, v[4:5]
	v_not_b32_e32 v5, v5
	v_ashrrev_i32_e32 v5, 31, v5
	v_xor_b32_e32 v60, vcc_hi, v5
	v_xor_b32_e32 v5, vcc_lo, v5
	v_and_b32_e32 v61, v185, v60
	v_and_b32_e32 v60, v186, v5
	v_mbcnt_lo_u32_b32 v5, v60, 0
	v_mbcnt_hi_u32_b32 v185, v61, v5
	v_cmp_eq_u32_e32 vcc, 0, v185
	v_cmp_ne_u64_e64 s[36:37], 0, v[60:61]
	s_and_b64 s[38:39], s[36:37], vcc
	; wave barrier
	s_and_saveexec_b64 s[36:37], s[38:39]
	s_cbranch_execz .LBB603_1032
; %bb.1031:                             ;   in Loop: Header=BB603_982 Depth=2
	v_bcnt_u32_b32 v5, v60, 0
	v_bcnt_u32_b32 v5, v61, v5
	s_waitcnt lgkmcnt(0)
	v_add_u32_e32 v5, v181, v5
	ds_write_b32 v183, v5
.LBB603_1032:                           ;   in Loop: Header=BB603_982 Depth=2
	s_or_b64 exec, exec, s[36:37]
	s_waitcnt vmcnt(7)
	v_xor_b32_e32 v184, 0x80000000, v184
	v_lshrrev_b32_e32 v5, s85, v184
	v_and_b32_e32 v60, s94, v5
	v_mul_u32_u24_e32 v5, 5, v60
	v_add_lshl_u32 v5, v5, v150, 2
	; wave barrier
	v_add_u32_e32 v187, 0x410, v5
	ds_read_b32 v186, v5 offset:1040
	v_and_b32_e32 v5, 1, v60
	v_add_co_u32_e32 v61, vcc, -1, v5
	v_addc_co_u32_e64 v188, s[36:37], 0, -1, vcc
	v_cmp_ne_u32_e32 vcc, 0, v5
	v_xor_b32_e32 v5, vcc_hi, v188
	v_and_b32_e32 v188, exec_hi, v5
	v_lshlrev_b32_e32 v5, 30, v60
	v_xor_b32_e32 v61, vcc_lo, v61
	v_cmp_gt_i64_e32 vcc, 0, v[4:5]
	v_not_b32_e32 v5, v5
	v_ashrrev_i32_e32 v5, 31, v5
	v_and_b32_e32 v61, exec_lo, v61
	v_xor_b32_e32 v189, vcc_hi, v5
	v_xor_b32_e32 v5, vcc_lo, v5
	v_and_b32_e32 v61, v61, v5
	v_lshlrev_b32_e32 v5, 29, v60
	v_cmp_gt_i64_e32 vcc, 0, v[4:5]
	v_not_b32_e32 v5, v5
	v_ashrrev_i32_e32 v5, 31, v5
	v_and_b32_e32 v188, v188, v189
	v_xor_b32_e32 v189, vcc_hi, v5
	v_xor_b32_e32 v5, vcc_lo, v5
	v_and_b32_e32 v61, v61, v5
	v_lshlrev_b32_e32 v5, 28, v60
	v_cmp_gt_i64_e32 vcc, 0, v[4:5]
	v_not_b32_e32 v5, v5
	v_ashrrev_i32_e32 v5, 31, v5
	v_and_b32_e32 v188, v188, v189
	;; [unrolled: 8-line block ×5, first 2 shown]
	v_xor_b32_e32 v189, vcc_hi, v5
	v_xor_b32_e32 v5, vcc_lo, v5
	v_and_b32_e32 v188, v188, v189
	v_and_b32_e32 v189, v61, v5
	v_lshlrev_b32_e32 v5, 24, v60
	v_cmp_gt_i64_e32 vcc, 0, v[4:5]
	v_not_b32_e32 v5, v5
	v_ashrrev_i32_e32 v5, 31, v5
	v_xor_b32_e32 v60, vcc_hi, v5
	v_xor_b32_e32 v5, vcc_lo, v5
	v_and_b32_e32 v61, v188, v60
	v_and_b32_e32 v60, v189, v5
	v_mbcnt_lo_u32_b32 v5, v60, 0
	v_mbcnt_hi_u32_b32 v188, v61, v5
	v_cmp_eq_u32_e32 vcc, 0, v188
	v_cmp_ne_u64_e64 s[36:37], 0, v[60:61]
	s_and_b64 s[38:39], s[36:37], vcc
	; wave barrier
	s_and_saveexec_b64 s[36:37], s[38:39]
	s_cbranch_execz .LBB603_1034
; %bb.1033:                             ;   in Loop: Header=BB603_982 Depth=2
	v_bcnt_u32_b32 v5, v60, 0
	v_bcnt_u32_b32 v5, v61, v5
	s_waitcnt lgkmcnt(0)
	v_add_u32_e32 v5, v186, v5
	ds_write_b32 v187, v5
.LBB603_1034:                           ;   in Loop: Header=BB603_982 Depth=2
	s_or_b64 exec, exec, s[36:37]
	s_waitcnt vmcnt(6)
	v_xor_b32_e32 v182, 0x80000000, v182
	v_lshrrev_b32_e32 v5, s85, v182
	v_and_b32_e32 v60, s94, v5
	v_mul_u32_u24_e32 v5, 5, v60
	v_add_lshl_u32 v5, v5, v150, 2
	; wave barrier
	v_add_u32_e32 v190, 0x410, v5
	ds_read_b32 v189, v5 offset:1040
	v_and_b32_e32 v5, 1, v60
	v_add_co_u32_e32 v61, vcc, -1, v5
	v_addc_co_u32_e64 v191, s[36:37], 0, -1, vcc
	v_cmp_ne_u32_e32 vcc, 0, v5
	v_xor_b32_e32 v5, vcc_hi, v191
	v_and_b32_e32 v191, exec_hi, v5
	v_lshlrev_b32_e32 v5, 30, v60
	v_xor_b32_e32 v61, vcc_lo, v61
	v_cmp_gt_i64_e32 vcc, 0, v[4:5]
	v_not_b32_e32 v5, v5
	v_ashrrev_i32_e32 v5, 31, v5
	v_and_b32_e32 v61, exec_lo, v61
	v_xor_b32_e32 v192, vcc_hi, v5
	v_xor_b32_e32 v5, vcc_lo, v5
	v_and_b32_e32 v61, v61, v5
	v_lshlrev_b32_e32 v5, 29, v60
	v_cmp_gt_i64_e32 vcc, 0, v[4:5]
	v_not_b32_e32 v5, v5
	v_ashrrev_i32_e32 v5, 31, v5
	v_and_b32_e32 v191, v191, v192
	v_xor_b32_e32 v192, vcc_hi, v5
	v_xor_b32_e32 v5, vcc_lo, v5
	v_and_b32_e32 v61, v61, v5
	v_lshlrev_b32_e32 v5, 28, v60
	v_cmp_gt_i64_e32 vcc, 0, v[4:5]
	v_not_b32_e32 v5, v5
	v_ashrrev_i32_e32 v5, 31, v5
	v_and_b32_e32 v191, v191, v192
	;; [unrolled: 8-line block ×5, first 2 shown]
	v_xor_b32_e32 v192, vcc_hi, v5
	v_xor_b32_e32 v5, vcc_lo, v5
	v_and_b32_e32 v191, v191, v192
	v_and_b32_e32 v192, v61, v5
	v_lshlrev_b32_e32 v5, 24, v60
	v_cmp_gt_i64_e32 vcc, 0, v[4:5]
	v_not_b32_e32 v5, v5
	v_ashrrev_i32_e32 v5, 31, v5
	v_xor_b32_e32 v60, vcc_hi, v5
	v_xor_b32_e32 v5, vcc_lo, v5
	v_and_b32_e32 v61, v191, v60
	v_and_b32_e32 v60, v192, v5
	v_mbcnt_lo_u32_b32 v5, v60, 0
	v_mbcnt_hi_u32_b32 v191, v61, v5
	v_cmp_eq_u32_e32 vcc, 0, v191
	v_cmp_ne_u64_e64 s[36:37], 0, v[60:61]
	s_and_b64 s[38:39], s[36:37], vcc
	; wave barrier
	s_and_saveexec_b64 s[36:37], s[38:39]
	s_cbranch_execz .LBB603_1036
; %bb.1035:                             ;   in Loop: Header=BB603_982 Depth=2
	v_bcnt_u32_b32 v5, v60, 0
	v_bcnt_u32_b32 v5, v61, v5
	s_waitcnt lgkmcnt(0)
	v_add_u32_e32 v5, v189, v5
	ds_write_b32 v190, v5
.LBB603_1036:                           ;   in Loop: Header=BB603_982 Depth=2
	s_or_b64 exec, exec, s[36:37]
	s_waitcnt vmcnt(5)
	v_xor_b32_e32 v177, 0x80000000, v177
	v_lshrrev_b32_e32 v5, s85, v177
	v_and_b32_e32 v60, s94, v5
	v_mul_u32_u24_e32 v5, 5, v60
	v_add_lshl_u32 v5, v5, v150, 2
	; wave barrier
	v_add_u32_e32 v193, 0x410, v5
	ds_read_b32 v192, v5 offset:1040
	v_and_b32_e32 v5, 1, v60
	v_add_co_u32_e32 v61, vcc, -1, v5
	v_addc_co_u32_e64 v194, s[36:37], 0, -1, vcc
	v_cmp_ne_u32_e32 vcc, 0, v5
	v_xor_b32_e32 v5, vcc_hi, v194
	v_and_b32_e32 v194, exec_hi, v5
	v_lshlrev_b32_e32 v5, 30, v60
	v_xor_b32_e32 v61, vcc_lo, v61
	v_cmp_gt_i64_e32 vcc, 0, v[4:5]
	v_not_b32_e32 v5, v5
	v_ashrrev_i32_e32 v5, 31, v5
	v_and_b32_e32 v61, exec_lo, v61
	v_xor_b32_e32 v195, vcc_hi, v5
	v_xor_b32_e32 v5, vcc_lo, v5
	v_and_b32_e32 v61, v61, v5
	v_lshlrev_b32_e32 v5, 29, v60
	v_cmp_gt_i64_e32 vcc, 0, v[4:5]
	v_not_b32_e32 v5, v5
	v_ashrrev_i32_e32 v5, 31, v5
	v_and_b32_e32 v194, v194, v195
	v_xor_b32_e32 v195, vcc_hi, v5
	v_xor_b32_e32 v5, vcc_lo, v5
	v_and_b32_e32 v61, v61, v5
	v_lshlrev_b32_e32 v5, 28, v60
	v_cmp_gt_i64_e32 vcc, 0, v[4:5]
	v_not_b32_e32 v5, v5
	v_ashrrev_i32_e32 v5, 31, v5
	v_and_b32_e32 v194, v194, v195
	;; [unrolled: 8-line block ×5, first 2 shown]
	v_xor_b32_e32 v195, vcc_hi, v5
	v_xor_b32_e32 v5, vcc_lo, v5
	v_and_b32_e32 v194, v194, v195
	v_and_b32_e32 v195, v61, v5
	v_lshlrev_b32_e32 v5, 24, v60
	v_cmp_gt_i64_e32 vcc, 0, v[4:5]
	v_not_b32_e32 v5, v5
	v_ashrrev_i32_e32 v5, 31, v5
	v_xor_b32_e32 v60, vcc_hi, v5
	v_xor_b32_e32 v5, vcc_lo, v5
	v_and_b32_e32 v61, v194, v60
	v_and_b32_e32 v60, v195, v5
	v_mbcnt_lo_u32_b32 v5, v60, 0
	v_mbcnt_hi_u32_b32 v195, v61, v5
	v_cmp_eq_u32_e32 vcc, 0, v195
	v_cmp_ne_u64_e64 s[36:37], 0, v[60:61]
	s_and_b64 s[38:39], s[36:37], vcc
	; wave barrier
	s_and_saveexec_b64 s[36:37], s[38:39]
	s_cbranch_execz .LBB603_1038
; %bb.1037:                             ;   in Loop: Header=BB603_982 Depth=2
	v_bcnt_u32_b32 v5, v60, 0
	v_bcnt_u32_b32 v5, v61, v5
	s_waitcnt lgkmcnt(0)
	v_add_u32_e32 v5, v192, v5
	ds_write_b32 v193, v5
.LBB603_1038:                           ;   in Loop: Header=BB603_982 Depth=2
	s_or_b64 exec, exec, s[36:37]
	s_waitcnt vmcnt(4)
	v_xor_b32_e32 v194, 0x80000000, v173
	v_lshrrev_b32_e32 v5, s85, v194
	v_and_b32_e32 v60, s94, v5
	v_mul_u32_u24_e32 v5, 5, v60
	v_add_lshl_u32 v5, v5, v150, 2
	; wave barrier
	v_add_u32_e32 v197, 0x410, v5
	ds_read_b32 v196, v5 offset:1040
	v_and_b32_e32 v5, 1, v60
	v_add_co_u32_e32 v61, vcc, -1, v5
	v_addc_co_u32_e64 v173, s[36:37], 0, -1, vcc
	v_cmp_ne_u32_e32 vcc, 0, v5
	v_xor_b32_e32 v5, vcc_hi, v173
	v_and_b32_e32 v173, exec_hi, v5
	v_lshlrev_b32_e32 v5, 30, v60
	v_xor_b32_e32 v61, vcc_lo, v61
	v_cmp_gt_i64_e32 vcc, 0, v[4:5]
	v_not_b32_e32 v5, v5
	v_ashrrev_i32_e32 v5, 31, v5
	v_and_b32_e32 v61, exec_lo, v61
	v_xor_b32_e32 v198, vcc_hi, v5
	v_xor_b32_e32 v5, vcc_lo, v5
	v_and_b32_e32 v61, v61, v5
	v_lshlrev_b32_e32 v5, 29, v60
	v_cmp_gt_i64_e32 vcc, 0, v[4:5]
	v_not_b32_e32 v5, v5
	v_ashrrev_i32_e32 v5, 31, v5
	v_and_b32_e32 v173, v173, v198
	v_xor_b32_e32 v198, vcc_hi, v5
	v_xor_b32_e32 v5, vcc_lo, v5
	v_and_b32_e32 v61, v61, v5
	v_lshlrev_b32_e32 v5, 28, v60
	v_cmp_gt_i64_e32 vcc, 0, v[4:5]
	v_not_b32_e32 v5, v5
	v_ashrrev_i32_e32 v5, 31, v5
	v_and_b32_e32 v173, v173, v198
	;; [unrolled: 8-line block ×5, first 2 shown]
	v_xor_b32_e32 v198, vcc_hi, v5
	v_xor_b32_e32 v5, vcc_lo, v5
	v_and_b32_e32 v173, v173, v198
	v_and_b32_e32 v198, v61, v5
	v_lshlrev_b32_e32 v5, 24, v60
	v_cmp_gt_i64_e32 vcc, 0, v[4:5]
	v_not_b32_e32 v5, v5
	v_ashrrev_i32_e32 v5, 31, v5
	v_xor_b32_e32 v60, vcc_hi, v5
	v_xor_b32_e32 v5, vcc_lo, v5
	v_and_b32_e32 v61, v173, v60
	v_and_b32_e32 v60, v198, v5
	v_mbcnt_lo_u32_b32 v5, v60, 0
	v_mbcnt_hi_u32_b32 v199, v61, v5
	v_cmp_eq_u32_e32 vcc, 0, v199
	v_cmp_ne_u64_e64 s[36:37], 0, v[60:61]
	s_and_b64 s[38:39], s[36:37], vcc
	; wave barrier
	s_and_saveexec_b64 s[36:37], s[38:39]
	s_cbranch_execz .LBB603_1040
; %bb.1039:                             ;   in Loop: Header=BB603_982 Depth=2
	v_bcnt_u32_b32 v5, v60, 0
	v_bcnt_u32_b32 v5, v61, v5
	s_waitcnt lgkmcnt(0)
	v_add_u32_e32 v5, v196, v5
	ds_write_b32 v197, v5
.LBB603_1040:                           ;   in Loop: Header=BB603_982 Depth=2
	s_or_b64 exec, exec, s[36:37]
	s_waitcnt vmcnt(3)
	v_xor_b32_e32 v198, 0x80000000, v168
	v_lshrrev_b32_e32 v5, s85, v198
	v_and_b32_e32 v60, s94, v5
	v_mul_u32_u24_e32 v5, 5, v60
	v_add_lshl_u32 v5, v5, v150, 2
	; wave barrier
	v_add_u32_e32 v168, 0x410, v5
	ds_read_b32 v200, v5 offset:1040
	v_and_b32_e32 v5, 1, v60
	v_add_co_u32_e32 v61, vcc, -1, v5
	v_addc_co_u32_e64 v173, s[36:37], 0, -1, vcc
	v_cmp_ne_u32_e32 vcc, 0, v5
	v_xor_b32_e32 v5, vcc_hi, v173
	v_and_b32_e32 v173, exec_hi, v5
	v_lshlrev_b32_e32 v5, 30, v60
	v_xor_b32_e32 v61, vcc_lo, v61
	v_cmp_gt_i64_e32 vcc, 0, v[4:5]
	v_not_b32_e32 v5, v5
	v_ashrrev_i32_e32 v5, 31, v5
	v_and_b32_e32 v61, exec_lo, v61
	v_xor_b32_e32 v201, vcc_hi, v5
	v_xor_b32_e32 v5, vcc_lo, v5
	v_and_b32_e32 v61, v61, v5
	v_lshlrev_b32_e32 v5, 29, v60
	v_cmp_gt_i64_e32 vcc, 0, v[4:5]
	v_not_b32_e32 v5, v5
	v_ashrrev_i32_e32 v5, 31, v5
	v_and_b32_e32 v173, v173, v201
	v_xor_b32_e32 v201, vcc_hi, v5
	v_xor_b32_e32 v5, vcc_lo, v5
	v_and_b32_e32 v61, v61, v5
	v_lshlrev_b32_e32 v5, 28, v60
	v_cmp_gt_i64_e32 vcc, 0, v[4:5]
	v_not_b32_e32 v5, v5
	v_ashrrev_i32_e32 v5, 31, v5
	v_and_b32_e32 v173, v173, v201
	;; [unrolled: 8-line block ×5, first 2 shown]
	v_xor_b32_e32 v201, vcc_hi, v5
	v_xor_b32_e32 v5, vcc_lo, v5
	v_and_b32_e32 v173, v173, v201
	v_and_b32_e32 v201, v61, v5
	v_lshlrev_b32_e32 v5, 24, v60
	v_cmp_gt_i64_e32 vcc, 0, v[4:5]
	v_not_b32_e32 v5, v5
	v_ashrrev_i32_e32 v5, 31, v5
	v_xor_b32_e32 v60, vcc_hi, v5
	v_xor_b32_e32 v5, vcc_lo, v5
	v_and_b32_e32 v61, v173, v60
	v_and_b32_e32 v60, v201, v5
	v_mbcnt_lo_u32_b32 v5, v60, 0
	v_mbcnt_hi_u32_b32 v202, v61, v5
	v_cmp_eq_u32_e32 vcc, 0, v202
	v_cmp_ne_u64_e64 s[36:37], 0, v[60:61]
	s_and_b64 s[38:39], s[36:37], vcc
	; wave barrier
	s_and_saveexec_b64 s[36:37], s[38:39]
	s_cbranch_execz .LBB603_1042
; %bb.1041:                             ;   in Loop: Header=BB603_982 Depth=2
	v_bcnt_u32_b32 v5, v60, 0
	v_bcnt_u32_b32 v5, v61, v5
	s_waitcnt lgkmcnt(0)
	v_add_u32_e32 v5, v200, v5
	ds_write_b32 v168, v5
.LBB603_1042:                           ;   in Loop: Header=BB603_982 Depth=2
	s_or_b64 exec, exec, s[36:37]
	s_waitcnt vmcnt(2)
	v_xor_b32_e32 v201, 0x80000000, v163
	v_lshrrev_b32_e32 v5, s85, v201
	v_and_b32_e32 v60, s94, v5
	v_mul_u32_u24_e32 v5, 5, v60
	v_add_lshl_u32 v5, v5, v150, 2
	; wave barrier
	v_add_u32_e32 v163, 0x410, v5
	ds_read_b32 v203, v5 offset:1040
	v_and_b32_e32 v5, 1, v60
	v_add_co_u32_e32 v61, vcc, -1, v5
	v_addc_co_u32_e64 v173, s[36:37], 0, -1, vcc
	v_cmp_ne_u32_e32 vcc, 0, v5
	v_xor_b32_e32 v5, vcc_hi, v173
	v_and_b32_e32 v173, exec_hi, v5
	v_lshlrev_b32_e32 v5, 30, v60
	v_xor_b32_e32 v61, vcc_lo, v61
	v_cmp_gt_i64_e32 vcc, 0, v[4:5]
	v_not_b32_e32 v5, v5
	v_ashrrev_i32_e32 v5, 31, v5
	v_and_b32_e32 v61, exec_lo, v61
	v_xor_b32_e32 v204, vcc_hi, v5
	v_xor_b32_e32 v5, vcc_lo, v5
	v_and_b32_e32 v61, v61, v5
	v_lshlrev_b32_e32 v5, 29, v60
	v_cmp_gt_i64_e32 vcc, 0, v[4:5]
	v_not_b32_e32 v5, v5
	v_ashrrev_i32_e32 v5, 31, v5
	v_and_b32_e32 v173, v173, v204
	v_xor_b32_e32 v204, vcc_hi, v5
	v_xor_b32_e32 v5, vcc_lo, v5
	v_and_b32_e32 v61, v61, v5
	v_lshlrev_b32_e32 v5, 28, v60
	v_cmp_gt_i64_e32 vcc, 0, v[4:5]
	v_not_b32_e32 v5, v5
	v_ashrrev_i32_e32 v5, 31, v5
	v_and_b32_e32 v173, v173, v204
	;; [unrolled: 8-line block ×5, first 2 shown]
	v_xor_b32_e32 v204, vcc_hi, v5
	v_xor_b32_e32 v5, vcc_lo, v5
	v_and_b32_e32 v173, v173, v204
	v_and_b32_e32 v204, v61, v5
	v_lshlrev_b32_e32 v5, 24, v60
	v_cmp_gt_i64_e32 vcc, 0, v[4:5]
	v_not_b32_e32 v5, v5
	v_ashrrev_i32_e32 v5, 31, v5
	v_xor_b32_e32 v60, vcc_hi, v5
	v_xor_b32_e32 v5, vcc_lo, v5
	v_and_b32_e32 v61, v173, v60
	v_and_b32_e32 v60, v204, v5
	v_mbcnt_lo_u32_b32 v5, v60, 0
	v_mbcnt_hi_u32_b32 v205, v61, v5
	v_cmp_eq_u32_e32 vcc, 0, v205
	v_cmp_ne_u64_e64 s[36:37], 0, v[60:61]
	s_and_b64 s[38:39], s[36:37], vcc
	; wave barrier
	s_and_saveexec_b64 s[36:37], s[38:39]
	s_cbranch_execz .LBB603_1044
; %bb.1043:                             ;   in Loop: Header=BB603_982 Depth=2
	v_bcnt_u32_b32 v5, v60, 0
	v_bcnt_u32_b32 v5, v61, v5
	s_waitcnt lgkmcnt(0)
	v_add_u32_e32 v5, v203, v5
	ds_write_b32 v163, v5
.LBB603_1044:                           ;   in Loop: Header=BB603_982 Depth=2
	s_or_b64 exec, exec, s[36:37]
	s_waitcnt vmcnt(1)
	v_xor_b32_e32 v204, 0x80000000, v158
	v_lshrrev_b32_e32 v5, s85, v204
	v_and_b32_e32 v60, s94, v5
	v_mul_u32_u24_e32 v5, 5, v60
	v_add_lshl_u32 v5, v5, v150, 2
	; wave barrier
	v_add_u32_e32 v158, 0x410, v5
	ds_read_b32 v206, v5 offset:1040
	v_and_b32_e32 v5, 1, v60
	v_add_co_u32_e32 v61, vcc, -1, v5
	v_addc_co_u32_e64 v173, s[36:37], 0, -1, vcc
	v_cmp_ne_u32_e32 vcc, 0, v5
	v_xor_b32_e32 v5, vcc_hi, v173
	v_and_b32_e32 v173, exec_hi, v5
	v_lshlrev_b32_e32 v5, 30, v60
	v_xor_b32_e32 v61, vcc_lo, v61
	v_cmp_gt_i64_e32 vcc, 0, v[4:5]
	v_not_b32_e32 v5, v5
	v_ashrrev_i32_e32 v5, 31, v5
	v_and_b32_e32 v61, exec_lo, v61
	v_xor_b32_e32 v207, vcc_hi, v5
	v_xor_b32_e32 v5, vcc_lo, v5
	v_and_b32_e32 v61, v61, v5
	v_lshlrev_b32_e32 v5, 29, v60
	v_cmp_gt_i64_e32 vcc, 0, v[4:5]
	v_not_b32_e32 v5, v5
	v_ashrrev_i32_e32 v5, 31, v5
	v_and_b32_e32 v173, v173, v207
	v_xor_b32_e32 v207, vcc_hi, v5
	v_xor_b32_e32 v5, vcc_lo, v5
	v_and_b32_e32 v61, v61, v5
	v_lshlrev_b32_e32 v5, 28, v60
	v_cmp_gt_i64_e32 vcc, 0, v[4:5]
	v_not_b32_e32 v5, v5
	v_ashrrev_i32_e32 v5, 31, v5
	v_and_b32_e32 v173, v173, v207
	;; [unrolled: 8-line block ×5, first 2 shown]
	v_xor_b32_e32 v207, vcc_hi, v5
	v_xor_b32_e32 v5, vcc_lo, v5
	v_and_b32_e32 v173, v173, v207
	v_and_b32_e32 v207, v61, v5
	v_lshlrev_b32_e32 v5, 24, v60
	v_cmp_gt_i64_e32 vcc, 0, v[4:5]
	v_not_b32_e32 v5, v5
	v_ashrrev_i32_e32 v5, 31, v5
	v_xor_b32_e32 v60, vcc_hi, v5
	v_xor_b32_e32 v5, vcc_lo, v5
	v_and_b32_e32 v61, v173, v60
	v_and_b32_e32 v60, v207, v5
	v_mbcnt_lo_u32_b32 v5, v60, 0
	v_mbcnt_hi_u32_b32 v208, v61, v5
	v_cmp_eq_u32_e32 vcc, 0, v208
	v_cmp_ne_u64_e64 s[36:37], 0, v[60:61]
	s_and_b64 s[38:39], s[36:37], vcc
	; wave barrier
	s_and_saveexec_b64 s[36:37], s[38:39]
	s_cbranch_execz .LBB603_1046
; %bb.1045:                             ;   in Loop: Header=BB603_982 Depth=2
	v_bcnt_u32_b32 v5, v60, 0
	v_bcnt_u32_b32 v5, v61, v5
	s_waitcnt lgkmcnt(0)
	v_add_u32_e32 v5, v206, v5
	ds_write_b32 v158, v5
.LBB603_1046:                           ;   in Loop: Header=BB603_982 Depth=2
	s_or_b64 exec, exec, s[36:37]
	s_waitcnt vmcnt(0)
	v_xor_b32_e32 v207, 0x80000000, v62
	v_lshrrev_b32_e32 v5, s85, v207
	v_and_b32_e32 v60, s94, v5
	v_mul_u32_u24_e32 v5, 5, v60
	v_add_lshl_u32 v5, v5, v150, 2
	; wave barrier
	v_add_u32_e32 v210, 0x410, v5
	ds_read_b32 v209, v5 offset:1040
	v_and_b32_e32 v5, 1, v60
	v_add_co_u32_e32 v61, vcc, -1, v5
	v_addc_co_u32_e64 v62, s[36:37], 0, -1, vcc
	v_cmp_ne_u32_e32 vcc, 0, v5
	v_xor_b32_e32 v5, vcc_hi, v62
	v_and_b32_e32 v62, exec_hi, v5
	v_lshlrev_b32_e32 v5, 30, v60
	v_xor_b32_e32 v61, vcc_lo, v61
	v_cmp_gt_i64_e32 vcc, 0, v[4:5]
	v_not_b32_e32 v5, v5
	v_ashrrev_i32_e32 v5, 31, v5
	v_and_b32_e32 v61, exec_lo, v61
	v_xor_b32_e32 v173, vcc_hi, v5
	v_xor_b32_e32 v5, vcc_lo, v5
	v_and_b32_e32 v61, v61, v5
	v_lshlrev_b32_e32 v5, 29, v60
	v_cmp_gt_i64_e32 vcc, 0, v[4:5]
	v_not_b32_e32 v5, v5
	v_ashrrev_i32_e32 v5, 31, v5
	v_and_b32_e32 v62, v62, v173
	v_xor_b32_e32 v173, vcc_hi, v5
	v_xor_b32_e32 v5, vcc_lo, v5
	v_and_b32_e32 v61, v61, v5
	v_lshlrev_b32_e32 v5, 28, v60
	v_cmp_gt_i64_e32 vcc, 0, v[4:5]
	v_not_b32_e32 v5, v5
	v_ashrrev_i32_e32 v5, 31, v5
	v_and_b32_e32 v62, v62, v173
	;; [unrolled: 8-line block ×5, first 2 shown]
	v_xor_b32_e32 v173, vcc_hi, v5
	v_xor_b32_e32 v5, vcc_lo, v5
	v_and_b32_e32 v62, v62, v173
	v_and_b32_e32 v173, v61, v5
	v_lshlrev_b32_e32 v5, 24, v60
	v_cmp_gt_i64_e32 vcc, 0, v[4:5]
	v_not_b32_e32 v5, v5
	v_ashrrev_i32_e32 v5, 31, v5
	v_xor_b32_e32 v60, vcc_hi, v5
	v_xor_b32_e32 v5, vcc_lo, v5
	v_and_b32_e32 v61, v62, v60
	v_and_b32_e32 v60, v173, v5
	v_mbcnt_lo_u32_b32 v5, v60, 0
	v_mbcnt_hi_u32_b32 v212, v61, v5
	v_cmp_eq_u32_e32 vcc, 0, v212
	v_cmp_ne_u64_e64 s[36:37], 0, v[60:61]
	s_and_b64 s[38:39], s[36:37], vcc
	; wave barrier
	s_and_saveexec_b64 s[36:37], s[38:39]
	s_cbranch_execz .LBB603_1048
; %bb.1047:                             ;   in Loop: Header=BB603_982 Depth=2
	v_bcnt_u32_b32 v5, v60, 0
	v_bcnt_u32_b32 v5, v61, v5
	s_waitcnt lgkmcnt(0)
	v_add_u32_e32 v5, v209, v5
	ds_write_b32 v210, v5
.LBB603_1048:                           ;   in Loop: Header=BB603_982 Depth=2
	s_or_b64 exec, exec, s[36:37]
	v_xor_b32_e32 v211, 0x80000000, v63
	v_lshrrev_b32_e32 v5, s85, v211
	v_and_b32_e32 v60, s94, v5
	v_mul_u32_u24_e32 v5, 5, v60
	v_add_lshl_u32 v5, v5, v150, 2
	; wave barrier
	v_add_u32_e32 v214, 0x410, v5
	ds_read_b32 v213, v5 offset:1040
	v_and_b32_e32 v5, 1, v60
	v_add_co_u32_e32 v61, vcc, -1, v5
	v_addc_co_u32_e64 v62, s[36:37], 0, -1, vcc
	v_cmp_ne_u32_e32 vcc, 0, v5
	v_xor_b32_e32 v5, vcc_hi, v62
	v_and_b32_e32 v62, exec_hi, v5
	v_lshlrev_b32_e32 v5, 30, v60
	v_xor_b32_e32 v61, vcc_lo, v61
	v_cmp_gt_i64_e32 vcc, 0, v[4:5]
	v_not_b32_e32 v5, v5
	v_ashrrev_i32_e32 v5, 31, v5
	v_and_b32_e32 v61, exec_lo, v61
	v_xor_b32_e32 v63, vcc_hi, v5
	v_xor_b32_e32 v5, vcc_lo, v5
	v_and_b32_e32 v61, v61, v5
	v_lshlrev_b32_e32 v5, 29, v60
	v_cmp_gt_i64_e32 vcc, 0, v[4:5]
	v_not_b32_e32 v5, v5
	v_ashrrev_i32_e32 v5, 31, v5
	v_and_b32_e32 v62, v62, v63
	v_xor_b32_e32 v63, vcc_hi, v5
	v_xor_b32_e32 v5, vcc_lo, v5
	v_and_b32_e32 v61, v61, v5
	v_lshlrev_b32_e32 v5, 28, v60
	v_cmp_gt_i64_e32 vcc, 0, v[4:5]
	v_not_b32_e32 v5, v5
	v_ashrrev_i32_e32 v5, 31, v5
	v_and_b32_e32 v62, v62, v63
	;; [unrolled: 8-line block ×5, first 2 shown]
	v_xor_b32_e32 v63, vcc_hi, v5
	v_xor_b32_e32 v5, vcc_lo, v5
	v_and_b32_e32 v62, v62, v63
	v_and_b32_e32 v63, v61, v5
	v_lshlrev_b32_e32 v5, 24, v60
	v_cmp_gt_i64_e32 vcc, 0, v[4:5]
	v_not_b32_e32 v5, v5
	v_ashrrev_i32_e32 v5, 31, v5
	v_xor_b32_e32 v60, vcc_hi, v5
	v_xor_b32_e32 v5, vcc_lo, v5
	v_and_b32_e32 v61, v62, v60
	v_and_b32_e32 v60, v63, v5
	v_mbcnt_lo_u32_b32 v5, v60, 0
	v_mbcnt_hi_u32_b32 v215, v61, v5
	v_cmp_eq_u32_e32 vcc, 0, v215
	v_cmp_ne_u64_e64 s[36:37], 0, v[60:61]
	s_and_b64 s[38:39], s[36:37], vcc
	; wave barrier
	s_and_saveexec_b64 s[36:37], s[38:39]
	s_cbranch_execz .LBB603_1050
; %bb.1049:                             ;   in Loop: Header=BB603_982 Depth=2
	v_bcnt_u32_b32 v5, v60, 0
	v_bcnt_u32_b32 v5, v61, v5
	s_waitcnt lgkmcnt(0)
	v_add_u32_e32 v5, v213, v5
	ds_write_b32 v214, v5
.LBB603_1050:                           ;   in Loop: Header=BB603_982 Depth=2
	s_or_b64 exec, exec, s[36:37]
	; wave barrier
	s_waitcnt lgkmcnt(0)
	s_barrier
	ds_read_b32 v5, v64 offset:1040
	ds_read2_b32 v[62:63], v66 offset0:1 offset1:2
	ds_read2_b32 v[60:61], v66 offset0:3 offset1:4
	s_waitcnt lgkmcnt(1)
	v_add3_u32 v173, v62, v5, v63
	s_waitcnt lgkmcnt(0)
	v_add3_u32 v61, v173, v60, v61
	s_nop 1
	v_mov_b32_dpp v173, v61 row_shr:1 row_mask:0xf bank_mask:0xf
	v_cndmask_b32_e64 v173, v173, 0, s[16:17]
	v_add_u32_e32 v61, v173, v61
	s_nop 1
	v_mov_b32_dpp v173, v61 row_shr:2 row_mask:0xf bank_mask:0xf
	v_cndmask_b32_e64 v173, 0, v173, s[18:19]
	v_add_u32_e32 v61, v61, v173
	;; [unrolled: 4-line block ×4, first 2 shown]
	s_nop 1
	v_mov_b32_dpp v173, v61 row_bcast:15 row_mask:0xf bank_mask:0xf
	v_cndmask_b32_e64 v173, v173, 0, s[24:25]
	v_add_u32_e32 v61, v61, v173
	s_nop 1
	v_mov_b32_dpp v173, v61 row_bcast:31 row_mask:0xf bank_mask:0xf
	v_cndmask_b32_e64 v173, 0, v173, s[26:27]
	v_add_u32_e32 v61, v61, v173
	s_and_saveexec_b64 s[36:37], s[6:7]
	s_cbranch_execz .LBB603_1052
; %bb.1051:                             ;   in Loop: Header=BB603_982 Depth=2
	ds_write_b32 v19, v61 offset:1024
.LBB603_1052:                           ;   in Loop: Header=BB603_982 Depth=2
	s_or_b64 exec, exec, s[36:37]
	v_add_u32_e32 v173, v64, v67
	s_waitcnt lgkmcnt(0)
	s_barrier
	s_and_saveexec_b64 s[36:37], s[8:9]
	s_cbranch_execz .LBB603_1054
; %bb.1053:                             ;   in Loop: Header=BB603_982 Depth=2
	ds_read_b32 v216, v173 offset:1024
	s_waitcnt lgkmcnt(0)
	s_nop 0
	v_mov_b32_dpp v217, v216 row_shr:1 row_mask:0xf bank_mask:0xf
	v_cndmask_b32_e64 v217, v217, 0, s[30:31]
	v_add_u32_e32 v216, v217, v216
	s_nop 1
	v_mov_b32_dpp v217, v216 row_shr:2 row_mask:0xf bank_mask:0xf
	v_cndmask_b32_e64 v217, 0, v217, s[34:35]
	v_add_u32_e32 v216, v216, v217
	ds_write_b32 v173, v216 offset:1024
.LBB603_1054:                           ;   in Loop: Header=BB603_982 Depth=2
	s_or_b64 exec, exec, s[36:37]
	v_mov_b32_e32 v216, 0
	s_waitcnt lgkmcnt(0)
	s_barrier
	s_and_saveexec_b64 s[36:37], s[10:11]
	s_cbranch_execz .LBB603_1056
; %bb.1055:                             ;   in Loop: Header=BB603_982 Depth=2
	ds_read_b32 v216, v19 offset:1020
.LBB603_1056:                           ;   in Loop: Header=BB603_982 Depth=2
	s_or_b64 exec, exec, s[36:37]
	s_waitcnt lgkmcnt(0)
	v_add_u32_e32 v61, v216, v61
	ds_bpermute_b32 v61, v127, v61
	s_waitcnt lgkmcnt(0)
	v_cndmask_b32_e64 v61, v61, v216, s[28:29]
	v_cndmask_b32_e64 v61, v61, 0, s[12:13]
	v_add_u32_e32 v5, v61, v5
	ds_write_b32 v64, v61 offset:1040
	v_add_u32_e32 v61, v5, v62
	v_add_u32_e32 v62, v61, v63
	ds_write2_b32 v66, v5, v61 offset0:1 offset1:2
	v_add_u32_e32 v5, v62, v60
	ds_write2_b32 v66, v62, v5 offset0:3 offset1:4
	s_waitcnt lgkmcnt(0)
	s_barrier
	ds_read_b32 v60, v157
	ds_read_b32 v61, v162
	;; [unrolled: 1-line block ×16, first 2 shown]
	ds_read_b32 v158, v64 offset:1040
	v_mov_b32_e32 v5, 0x1000
	s_and_saveexec_b64 s[36:37], s[14:15]
	s_cbranch_execz .LBB603_1058
; %bb.1057:                             ;   in Loop: Header=BB603_982 Depth=2
	ds_read_b32 v5, v64 offset:1060
.LBB603_1058:                           ;   in Loop: Header=BB603_982 Depth=2
	s_or_b64 exec, exec, s[36:37]
	s_waitcnt lgkmcnt(0)
	s_barrier
	s_and_saveexec_b64 s[36:37], s[4:5]
	s_cbranch_execz .LBB603_1060
; %bb.1059:                             ;   in Loop: Header=BB603_982 Depth=2
	ds_read_b32 v163, v3
	s_waitcnt lgkmcnt(0)
	v_sub_u32_e32 v158, v163, v158
	ds_write_b32 v3, v158
.LBB603_1060:                           ;   in Loop: Header=BB603_982 Depth=2
	s_or_b64 exec, exec, s[36:37]
	v_add_u32_e32 v172, v153, v155
	v_add3_u32 v168, v160, v156, v60
	v_lshlrev_b32_e32 v60, 2, v172
	v_add3_u32 v167, v165, v161, v61
	ds_write_b32 v60, v152 offset:1024
	v_lshlrev_b32_e32 v60, 2, v168
	v_add3_u32 v166, v170, v166, v62
	ds_write_b32 v60, v154 offset:1024
	;; [unrolled: 3-line block ×14, first 2 shown]
	v_lshlrev_b32_e32 v60, 2, v63
	ds_write_b32 v60, v207 offset:1024
	v_lshlrev_b32_e32 v60, 2, v62
	v_cmp_lt_u32_e64 s[36:37], v2, v151
	ds_write_b32 v60, v211 offset:1024
	s_waitcnt lgkmcnt(0)
	s_barrier
	s_and_saveexec_b64 s[38:39], s[36:37]
	s_cbranch_execz .LBB603_1076
; %bb.1061:                             ;   in Loop: Header=BB603_982 Depth=2
	ds_read_b32 v60, v173 offset:1024
	v_mov_b32_e32 v154, s77
	s_waitcnt lgkmcnt(0)
	v_lshrrev_b32_e32 v61, s85, v60
	v_and_b32_e32 v61, s94, v61
	v_lshlrev_b32_e32 v61, 2, v61
	ds_read_b32 v152, v61
	v_mov_b32_e32 v61, v4
	v_xor_b32_e32 v159, 0x80000000, v60
	s_waitcnt lgkmcnt(0)
	v_add_u32_e32 v60, v152, v2
	v_lshlrev_b64 v[60:61], 2, v[60:61]
	v_add_co_u32_e32 v60, vcc, s76, v60
	v_addc_co_u32_e32 v61, vcc, v154, v61, vcc
	global_store_dword v[60:61], v159, off
	s_or_b64 exec, exec, s[38:39]
	v_cmp_lt_u32_e64 s[38:39], v7, v151
	s_and_saveexec_b64 s[40:41], s[38:39]
	s_cbranch_execnz .LBB603_1077
.LBB603_1062:                           ;   in Loop: Header=BB603_982 Depth=2
	s_or_b64 exec, exec, s[40:41]
	v_cmp_lt_u32_e64 s[40:41], v9, v151
	s_and_saveexec_b64 s[42:43], s[40:41]
	s_cbranch_execz .LBB603_1078
.LBB603_1063:                           ;   in Loop: Header=BB603_982 Depth=2
	ds_read_b32 v60, v72 offset:2048
	v_mov_b32_e32 v154, s77
	s_waitcnt lgkmcnt(0)
	v_lshrrev_b32_e32 v61, s85, v60
	v_and_b32_e32 v61, s94, v61
	v_lshlrev_b32_e32 v61, 2, v61
	ds_read_b32 v152, v61
	v_mov_b32_e32 v61, v4
	v_xor_b32_e32 v159, 0x80000000, v60
	s_waitcnt lgkmcnt(0)
	v_add_u32_e32 v60, v152, v9
	v_lshlrev_b64 v[60:61], 2, v[60:61]
	v_add_co_u32_e32 v60, vcc, s76, v60
	v_addc_co_u32_e32 v61, vcc, v154, v61, vcc
	global_store_dword v[60:61], v159, off
	s_or_b64 exec, exec, s[42:43]
	v_cmp_lt_u32_e64 s[42:43], v11, v151
	s_and_saveexec_b64 s[44:45], s[42:43]
	s_cbranch_execnz .LBB603_1079
.LBB603_1064:                           ;   in Loop: Header=BB603_982 Depth=2
	s_or_b64 exec, exec, s[44:45]
	v_cmp_lt_u32_e64 s[44:45], v6, v151
	s_and_saveexec_b64 s[46:47], s[44:45]
	s_cbranch_execz .LBB603_1080
.LBB603_1065:                           ;   in Loop: Header=BB603_982 Depth=2
	ds_read_b32 v60, v72 offset:4096
	v_mov_b32_e32 v154, s77
	s_waitcnt lgkmcnt(0)
	v_lshrrev_b32_e32 v61, s85, v60
	v_and_b32_e32 v61, s94, v61
	v_lshlrev_b32_e32 v61, 2, v61
	ds_read_b32 v152, v61
	v_mov_b32_e32 v61, v4
	v_xor_b32_e32 v159, 0x80000000, v60
	s_waitcnt lgkmcnt(0)
	v_add_u32_e32 v60, v152, v6
	v_lshlrev_b64 v[60:61], 2, v[60:61]
	v_add_co_u32_e32 v60, vcc, s76, v60
	v_addc_co_u32_e32 v61, vcc, v154, v61, vcc
	global_store_dword v[60:61], v159, off
	s_or_b64 exec, exec, s[46:47]
	v_cmp_lt_u32_e64 s[46:47], v8, v151
	s_and_saveexec_b64 s[48:49], s[46:47]
	s_cbranch_execnz .LBB603_1081
.LBB603_1066:                           ;   in Loop: Header=BB603_982 Depth=2
	s_or_b64 exec, exec, s[48:49]
	v_cmp_lt_u32_e64 s[48:49], v10, v151
	s_and_saveexec_b64 s[50:51], s[48:49]
	s_cbranch_execz .LBB603_1082
.LBB603_1067:                           ;   in Loop: Header=BB603_982 Depth=2
	ds_read_b32 v60, v72 offset:6144
	v_mov_b32_e32 v154, s77
	s_waitcnt lgkmcnt(0)
	v_lshrrev_b32_e32 v61, s85, v60
	v_and_b32_e32 v61, s94, v61
	v_lshlrev_b32_e32 v61, 2, v61
	ds_read_b32 v152, v61
	v_mov_b32_e32 v61, v4
	v_xor_b32_e32 v159, 0x80000000, v60
	s_waitcnt lgkmcnt(0)
	v_add_u32_e32 v60, v152, v10
	v_lshlrev_b64 v[60:61], 2, v[60:61]
	v_add_co_u32_e32 v60, vcc, s76, v60
	v_addc_co_u32_e32 v61, vcc, v154, v61, vcc
	global_store_dword v[60:61], v159, off
	s_or_b64 exec, exec, s[50:51]
	v_cmp_lt_u32_e64 s[50:51], v12, v151
	s_and_saveexec_b64 s[52:53], s[50:51]
	s_cbranch_execnz .LBB603_1083
.LBB603_1068:                           ;   in Loop: Header=BB603_982 Depth=2
	s_or_b64 exec, exec, s[52:53]
	v_cmp_lt_u32_e64 s[52:53], v14, v151
	s_and_saveexec_b64 s[54:55], s[52:53]
	s_cbranch_execz .LBB603_1084
.LBB603_1069:                           ;   in Loop: Header=BB603_982 Depth=2
	ds_read_b32 v60, v72 offset:8192
	v_mov_b32_e32 v154, s77
	s_waitcnt lgkmcnt(0)
	v_lshrrev_b32_e32 v61, s85, v60
	v_and_b32_e32 v61, s94, v61
	v_lshlrev_b32_e32 v61, 2, v61
	ds_read_b32 v152, v61
	v_mov_b32_e32 v61, v4
	v_xor_b32_e32 v159, 0x80000000, v60
	s_waitcnt lgkmcnt(0)
	v_add_u32_e32 v60, v152, v14
	v_lshlrev_b64 v[60:61], 2, v[60:61]
	v_add_co_u32_e32 v60, vcc, s76, v60
	v_addc_co_u32_e32 v61, vcc, v154, v61, vcc
	global_store_dword v[60:61], v159, off
	s_or_b64 exec, exec, s[54:55]
	v_cmp_lt_u32_e64 s[54:55], v16, v151
	s_and_saveexec_b64 s[56:57], s[54:55]
	s_cbranch_execnz .LBB603_1085
.LBB603_1070:                           ;   in Loop: Header=BB603_982 Depth=2
	s_or_b64 exec, exec, s[56:57]
	v_cmp_lt_u32_e64 s[56:57], v18, v151
	s_and_saveexec_b64 s[58:59], s[56:57]
	s_cbranch_execz .LBB603_1086
.LBB603_1071:                           ;   in Loop: Header=BB603_982 Depth=2
	ds_read_b32 v60, v72 offset:10240
	v_mov_b32_e32 v154, s77
	s_waitcnt lgkmcnt(0)
	v_lshrrev_b32_e32 v61, s85, v60
	v_and_b32_e32 v61, s94, v61
	v_lshlrev_b32_e32 v61, 2, v61
	ds_read_b32 v152, v61
	v_mov_b32_e32 v61, v4
	v_xor_b32_e32 v159, 0x80000000, v60
	s_waitcnt lgkmcnt(0)
	v_add_u32_e32 v60, v152, v18
	v_lshlrev_b64 v[60:61], 2, v[60:61]
	v_add_co_u32_e32 v60, vcc, s76, v60
	v_addc_co_u32_e32 v61, vcc, v154, v61, vcc
	global_store_dword v[60:61], v159, off
	s_or_b64 exec, exec, s[58:59]
	v_cmp_lt_u32_e64 s[58:59], v20, v151
	s_and_saveexec_b64 s[60:61], s[58:59]
	s_cbranch_execnz .LBB603_1087
.LBB603_1072:                           ;   in Loop: Header=BB603_982 Depth=2
	s_or_b64 exec, exec, s[60:61]
	v_cmp_lt_u32_e64 s[60:61], v22, v151
	s_and_saveexec_b64 s[62:63], s[60:61]
	s_cbranch_execz .LBB603_1088
.LBB603_1073:                           ;   in Loop: Header=BB603_982 Depth=2
	ds_read_b32 v60, v72 offset:12288
	v_mov_b32_e32 v154, s77
	s_waitcnt lgkmcnt(0)
	v_lshrrev_b32_e32 v61, s85, v60
	v_and_b32_e32 v61, s94, v61
	v_lshlrev_b32_e32 v61, 2, v61
	ds_read_b32 v152, v61
	v_mov_b32_e32 v61, v4
	v_xor_b32_e32 v159, 0x80000000, v60
	s_waitcnt lgkmcnt(0)
	v_add_u32_e32 v60, v152, v22
	v_lshlrev_b64 v[60:61], 2, v[60:61]
	v_add_co_u32_e32 v60, vcc, s76, v60
	v_addc_co_u32_e32 v61, vcc, v154, v61, vcc
	global_store_dword v[60:61], v159, off
	s_or_b64 exec, exec, s[62:63]
	v_cmp_lt_u32_e64 s[62:63], v24, v151
	s_and_saveexec_b64 s[64:65], s[62:63]
	s_cbranch_execnz .LBB603_1089
.LBB603_1074:                           ;   in Loop: Header=BB603_982 Depth=2
	s_or_b64 exec, exec, s[64:65]
	v_cmp_lt_u32_e64 s[64:65], v26, v151
	s_and_saveexec_b64 s[66:67], s[64:65]
	s_cbranch_execz .LBB603_1090
.LBB603_1075:                           ;   in Loop: Header=BB603_982 Depth=2
	ds_read_b32 v60, v72 offset:14336
	v_mov_b32_e32 v154, s77
	s_waitcnt lgkmcnt(0)
	v_lshrrev_b32_e32 v61, s85, v60
	v_and_b32_e32 v61, s94, v61
	v_lshlrev_b32_e32 v61, 2, v61
	ds_read_b32 v152, v61
	v_mov_b32_e32 v61, v4
	v_xor_b32_e32 v159, 0x80000000, v60
	s_waitcnt lgkmcnt(0)
	v_add_u32_e32 v60, v152, v26
	v_lshlrev_b64 v[60:61], 2, v[60:61]
	v_add_co_u32_e32 v60, vcc, s76, v60
	v_addc_co_u32_e32 v61, vcc, v154, v61, vcc
	global_store_dword v[60:61], v159, off
	s_or_b64 exec, exec, s[66:67]
	v_cmp_lt_u32_e64 s[66:67], v28, v151
	s_and_saveexec_b64 s[78:79], s[66:67]
	s_cbranch_execnz .LBB603_1091
	s_branch .LBB603_1092
.LBB603_1076:                           ;   in Loop: Header=BB603_982 Depth=2
	s_or_b64 exec, exec, s[38:39]
	v_cmp_lt_u32_e64 s[38:39], v7, v151
	s_and_saveexec_b64 s[40:41], s[38:39]
	s_cbranch_execz .LBB603_1062
.LBB603_1077:                           ;   in Loop: Header=BB603_982 Depth=2
	ds_read_b32 v60, v72 offset:1024
	v_mov_b32_e32 v154, s77
	s_waitcnt lgkmcnt(0)
	v_lshrrev_b32_e32 v61, s85, v60
	v_and_b32_e32 v61, s94, v61
	v_lshlrev_b32_e32 v61, 2, v61
	ds_read_b32 v152, v61
	v_mov_b32_e32 v61, v4
	v_xor_b32_e32 v159, 0x80000000, v60
	s_waitcnt lgkmcnt(0)
	v_add_u32_e32 v60, v152, v7
	v_lshlrev_b64 v[60:61], 2, v[60:61]
	v_add_co_u32_e32 v60, vcc, s76, v60
	v_addc_co_u32_e32 v61, vcc, v154, v61, vcc
	global_store_dword v[60:61], v159, off
	s_or_b64 exec, exec, s[40:41]
	v_cmp_lt_u32_e64 s[40:41], v9, v151
	s_and_saveexec_b64 s[42:43], s[40:41]
	s_cbranch_execnz .LBB603_1063
.LBB603_1078:                           ;   in Loop: Header=BB603_982 Depth=2
	s_or_b64 exec, exec, s[42:43]
	v_cmp_lt_u32_e64 s[42:43], v11, v151
	s_and_saveexec_b64 s[44:45], s[42:43]
	s_cbranch_execz .LBB603_1064
.LBB603_1079:                           ;   in Loop: Header=BB603_982 Depth=2
	ds_read_b32 v60, v72 offset:3072
	v_mov_b32_e32 v154, s77
	s_waitcnt lgkmcnt(0)
	v_lshrrev_b32_e32 v61, s85, v60
	v_and_b32_e32 v61, s94, v61
	v_lshlrev_b32_e32 v61, 2, v61
	ds_read_b32 v152, v61
	v_mov_b32_e32 v61, v4
	v_xor_b32_e32 v159, 0x80000000, v60
	s_waitcnt lgkmcnt(0)
	v_add_u32_e32 v60, v152, v11
	v_lshlrev_b64 v[60:61], 2, v[60:61]
	v_add_co_u32_e32 v60, vcc, s76, v60
	v_addc_co_u32_e32 v61, vcc, v154, v61, vcc
	global_store_dword v[60:61], v159, off
	s_or_b64 exec, exec, s[44:45]
	v_cmp_lt_u32_e64 s[44:45], v6, v151
	s_and_saveexec_b64 s[46:47], s[44:45]
	s_cbranch_execnz .LBB603_1065
.LBB603_1080:                           ;   in Loop: Header=BB603_982 Depth=2
	s_or_b64 exec, exec, s[46:47]
	v_cmp_lt_u32_e64 s[46:47], v8, v151
	s_and_saveexec_b64 s[48:49], s[46:47]
	s_cbranch_execz .LBB603_1066
.LBB603_1081:                           ;   in Loop: Header=BB603_982 Depth=2
	ds_read_b32 v60, v72 offset:5120
	v_mov_b32_e32 v154, s77
	s_waitcnt lgkmcnt(0)
	v_lshrrev_b32_e32 v61, s85, v60
	v_and_b32_e32 v61, s94, v61
	v_lshlrev_b32_e32 v61, 2, v61
	ds_read_b32 v152, v61
	v_mov_b32_e32 v61, v4
	v_xor_b32_e32 v159, 0x80000000, v60
	s_waitcnt lgkmcnt(0)
	v_add_u32_e32 v60, v152, v8
	v_lshlrev_b64 v[60:61], 2, v[60:61]
	v_add_co_u32_e32 v60, vcc, s76, v60
	v_addc_co_u32_e32 v61, vcc, v154, v61, vcc
	global_store_dword v[60:61], v159, off
	s_or_b64 exec, exec, s[48:49]
	v_cmp_lt_u32_e64 s[48:49], v10, v151
	s_and_saveexec_b64 s[50:51], s[48:49]
	s_cbranch_execnz .LBB603_1067
.LBB603_1082:                           ;   in Loop: Header=BB603_982 Depth=2
	s_or_b64 exec, exec, s[50:51]
	v_cmp_lt_u32_e64 s[50:51], v12, v151
	s_and_saveexec_b64 s[52:53], s[50:51]
	s_cbranch_execz .LBB603_1068
.LBB603_1083:                           ;   in Loop: Header=BB603_982 Depth=2
	ds_read_b32 v60, v72 offset:7168
	v_mov_b32_e32 v154, s77
	s_waitcnt lgkmcnt(0)
	v_lshrrev_b32_e32 v61, s85, v60
	v_and_b32_e32 v61, s94, v61
	v_lshlrev_b32_e32 v61, 2, v61
	ds_read_b32 v152, v61
	v_mov_b32_e32 v61, v4
	v_xor_b32_e32 v159, 0x80000000, v60
	s_waitcnt lgkmcnt(0)
	v_add_u32_e32 v60, v152, v12
	v_lshlrev_b64 v[60:61], 2, v[60:61]
	v_add_co_u32_e32 v60, vcc, s76, v60
	v_addc_co_u32_e32 v61, vcc, v154, v61, vcc
	global_store_dword v[60:61], v159, off
	s_or_b64 exec, exec, s[52:53]
	v_cmp_lt_u32_e64 s[52:53], v14, v151
	s_and_saveexec_b64 s[54:55], s[52:53]
	s_cbranch_execnz .LBB603_1069
.LBB603_1084:                           ;   in Loop: Header=BB603_982 Depth=2
	s_or_b64 exec, exec, s[54:55]
	v_cmp_lt_u32_e64 s[54:55], v16, v151
	s_and_saveexec_b64 s[56:57], s[54:55]
	s_cbranch_execz .LBB603_1070
.LBB603_1085:                           ;   in Loop: Header=BB603_982 Depth=2
	ds_read_b32 v60, v72 offset:9216
	v_mov_b32_e32 v154, s77
	s_waitcnt lgkmcnt(0)
	v_lshrrev_b32_e32 v61, s85, v60
	v_and_b32_e32 v61, s94, v61
	v_lshlrev_b32_e32 v61, 2, v61
	ds_read_b32 v152, v61
	v_mov_b32_e32 v61, v4
	v_xor_b32_e32 v159, 0x80000000, v60
	s_waitcnt lgkmcnt(0)
	v_add_u32_e32 v60, v152, v16
	v_lshlrev_b64 v[60:61], 2, v[60:61]
	v_add_co_u32_e32 v60, vcc, s76, v60
	v_addc_co_u32_e32 v61, vcc, v154, v61, vcc
	global_store_dword v[60:61], v159, off
	s_or_b64 exec, exec, s[56:57]
	v_cmp_lt_u32_e64 s[56:57], v18, v151
	s_and_saveexec_b64 s[58:59], s[56:57]
	s_cbranch_execnz .LBB603_1071
.LBB603_1086:                           ;   in Loop: Header=BB603_982 Depth=2
	s_or_b64 exec, exec, s[58:59]
	v_cmp_lt_u32_e64 s[58:59], v20, v151
	s_and_saveexec_b64 s[60:61], s[58:59]
	s_cbranch_execz .LBB603_1072
.LBB603_1087:                           ;   in Loop: Header=BB603_982 Depth=2
	ds_read_b32 v60, v72 offset:11264
	v_mov_b32_e32 v154, s77
	s_waitcnt lgkmcnt(0)
	v_lshrrev_b32_e32 v61, s85, v60
	v_and_b32_e32 v61, s94, v61
	v_lshlrev_b32_e32 v61, 2, v61
	ds_read_b32 v152, v61
	v_mov_b32_e32 v61, v4
	v_xor_b32_e32 v159, 0x80000000, v60
	s_waitcnt lgkmcnt(0)
	v_add_u32_e32 v60, v152, v20
	v_lshlrev_b64 v[60:61], 2, v[60:61]
	v_add_co_u32_e32 v60, vcc, s76, v60
	v_addc_co_u32_e32 v61, vcc, v154, v61, vcc
	global_store_dword v[60:61], v159, off
	s_or_b64 exec, exec, s[60:61]
	v_cmp_lt_u32_e64 s[60:61], v22, v151
	s_and_saveexec_b64 s[62:63], s[60:61]
	s_cbranch_execnz .LBB603_1073
.LBB603_1088:                           ;   in Loop: Header=BB603_982 Depth=2
	s_or_b64 exec, exec, s[62:63]
	v_cmp_lt_u32_e64 s[62:63], v24, v151
	s_and_saveexec_b64 s[64:65], s[62:63]
	s_cbranch_execz .LBB603_1074
.LBB603_1089:                           ;   in Loop: Header=BB603_982 Depth=2
	ds_read_b32 v60, v72 offset:13312
	v_mov_b32_e32 v154, s77
	s_waitcnt lgkmcnt(0)
	v_lshrrev_b32_e32 v61, s85, v60
	v_and_b32_e32 v61, s94, v61
	v_lshlrev_b32_e32 v61, 2, v61
	ds_read_b32 v152, v61
	v_mov_b32_e32 v61, v4
	v_xor_b32_e32 v159, 0x80000000, v60
	s_waitcnt lgkmcnt(0)
	v_add_u32_e32 v60, v152, v24
	v_lshlrev_b64 v[60:61], 2, v[60:61]
	v_add_co_u32_e32 v60, vcc, s76, v60
	v_addc_co_u32_e32 v61, vcc, v154, v61, vcc
	global_store_dword v[60:61], v159, off
	s_or_b64 exec, exec, s[64:65]
	v_cmp_lt_u32_e64 s[64:65], v26, v151
	s_and_saveexec_b64 s[66:67], s[64:65]
	s_cbranch_execnz .LBB603_1075
.LBB603_1090:                           ;   in Loop: Header=BB603_982 Depth=2
	s_or_b64 exec, exec, s[66:67]
	v_cmp_lt_u32_e64 s[66:67], v28, v151
	s_and_saveexec_b64 s[78:79], s[66:67]
	s_cbranch_execz .LBB603_1092
.LBB603_1091:                           ;   in Loop: Header=BB603_982 Depth=2
	ds_read_b32 v60, v72 offset:15360
	v_mov_b32_e32 v154, s77
	s_waitcnt lgkmcnt(0)
	v_lshrrev_b32_e32 v61, s85, v60
	v_and_b32_e32 v61, s94, v61
	v_lshlrev_b32_e32 v61, 2, v61
	ds_read_b32 v152, v61
	v_mov_b32_e32 v61, v4
	v_xor_b32_e32 v159, 0x80000000, v60
	s_waitcnt lgkmcnt(0)
	v_add_u32_e32 v60, v152, v28
	v_lshlrev_b64 v[60:61], 2, v[60:61]
	v_add_co_u32_e32 v60, vcc, s76, v60
	v_addc_co_u32_e32 v61, vcc, v154, v61, vcc
	global_store_dword v[60:61], v159, off
.LBB603_1092:                           ;   in Loop: Header=BB603_982 Depth=2
	s_or_b64 exec, exec, s[78:79]
	s_lshl_b64 s[78:79], s[88:89], 3
	v_mov_b32_e32 v61, s79
	v_add_co_u32_e32 v60, vcc, s78, v128
	v_addc_co_u32_e32 v61, vcc, v129, v61, vcc
	v_cmp_lt_u32_e32 vcc, v109, v151
	s_and_saveexec_b64 s[78:79], vcc
	s_xor_b64 s[78:79], exec, s[78:79]
	s_cbranch_execz .LBB603_1124
; %bb.1093:                             ;   in Loop: Header=BB603_982 Depth=2
	global_load_dwordx2 v[58:59], v[60:61], off
	s_or_b64 exec, exec, s[78:79]
	v_cmp_lt_u32_e32 vcc, v110, v151
	s_and_saveexec_b64 s[78:79], vcc
	s_cbranch_execnz .LBB603_1125
.LBB603_1094:                           ;   in Loop: Header=BB603_982 Depth=2
	s_or_b64 exec, exec, s[78:79]
	v_cmp_lt_u32_e32 vcc, v111, v151
	s_and_saveexec_b64 s[78:79], vcc
	s_cbranch_execz .LBB603_1126
.LBB603_1095:                           ;   in Loop: Header=BB603_982 Depth=2
	global_load_dwordx2 v[54:55], v[60:61], off offset:1024
	s_or_b64 exec, exec, s[78:79]
	v_cmp_lt_u32_e32 vcc, v112, v151
	s_and_saveexec_b64 s[78:79], vcc
	s_cbranch_execnz .LBB603_1127
.LBB603_1096:                           ;   in Loop: Header=BB603_982 Depth=2
	s_or_b64 exec, exec, s[78:79]
	v_cmp_lt_u32_e32 vcc, v113, v151
	s_and_saveexec_b64 s[78:79], vcc
	s_cbranch_execz .LBB603_1128
.LBB603_1097:                           ;   in Loop: Header=BB603_982 Depth=2
	global_load_dwordx2 v[46:47], v[60:61], off offset:2048
	s_or_b64 exec, exec, s[78:79]
	v_cmp_lt_u32_e32 vcc, v114, v151
	s_and_saveexec_b64 s[78:79], vcc
	s_cbranch_execnz .LBB603_1129
.LBB603_1098:                           ;   in Loop: Header=BB603_982 Depth=2
	s_or_b64 exec, exec, s[78:79]
	v_cmp_lt_u32_e32 vcc, v115, v151
	s_and_saveexec_b64 s[78:79], vcc
	s_cbranch_execz .LBB603_1130
.LBB603_1099:                           ;   in Loop: Header=BB603_982 Depth=2
	global_load_dwordx2 v[38:39], v[60:61], off offset:3072
	s_or_b64 exec, exec, s[78:79]
	v_cmp_lt_u32_e32 vcc, v116, v151
	s_and_saveexec_b64 s[78:79], vcc
	s_cbranch_execnz .LBB603_1131
.LBB603_1100:                           ;   in Loop: Header=BB603_982 Depth=2
	s_or_b64 exec, exec, s[78:79]
	v_cmp_lt_u32_e32 vcc, v117, v151
	s_and_saveexec_b64 s[78:79], vcc
	s_cbranch_execz .LBB603_1132
.LBB603_1101:                           ;   in Loop: Header=BB603_982 Depth=2
	v_add_co_u32_e32 v52, vcc, 0x1000, v60
	v_addc_co_u32_e32 v53, vcc, 0, v61, vcc
	global_load_dwordx2 v[52:53], v[52:53], off
	s_or_b64 exec, exec, s[78:79]
	v_cmp_lt_u32_e32 vcc, v118, v151
	s_and_saveexec_b64 s[78:79], vcc
	s_cbranch_execnz .LBB603_1133
.LBB603_1102:                           ;   in Loop: Header=BB603_982 Depth=2
	s_or_b64 exec, exec, s[78:79]
	v_cmp_lt_u32_e32 vcc, v119, v151
	s_and_saveexec_b64 s[78:79], vcc
	s_cbranch_execz .LBB603_1134
.LBB603_1103:                           ;   in Loop: Header=BB603_982 Depth=2
	v_add_co_u32_e32 v44, vcc, 0x1000, v60
	v_addc_co_u32_e32 v45, vcc, 0, v61, vcc
	global_load_dwordx2 v[44:45], v[44:45], off offset:1024
	s_or_b64 exec, exec, s[78:79]
	v_cmp_lt_u32_e32 vcc, v120, v151
	s_and_saveexec_b64 s[78:79], vcc
	s_cbranch_execnz .LBB603_1135
.LBB603_1104:                           ;   in Loop: Header=BB603_982 Depth=2
	s_or_b64 exec, exec, s[78:79]
	v_cmp_lt_u32_e32 vcc, v121, v151
	s_and_saveexec_b64 s[78:79], vcc
	s_cbranch_execz .LBB603_1136
.LBB603_1105:                           ;   in Loop: Header=BB603_982 Depth=2
	v_add_co_u32_e32 v36, vcc, 0x1000, v60
	v_addc_co_u32_e32 v37, vcc, 0, v61, vcc
	global_load_dwordx2 v[36:37], v[36:37], off offset:2048
	s_or_b64 exec, exec, s[78:79]
	v_cmp_lt_u32_e32 vcc, v122, v151
	s_and_saveexec_b64 s[78:79], vcc
	s_cbranch_execnz .LBB603_1137
.LBB603_1106:                           ;   in Loop: Header=BB603_982 Depth=2
	s_or_b64 exec, exec, s[78:79]
	v_cmp_lt_u32_e32 vcc, v123, v151
	s_and_saveexec_b64 s[78:79], vcc
	s_cbranch_execz .LBB603_1138
.LBB603_1107:                           ;   in Loop: Header=BB603_982 Depth=2
	v_add_co_u32_e32 v30, vcc, 0x1000, v60
	v_addc_co_u32_e32 v31, vcc, 0, v61, vcc
	global_load_dwordx2 v[30:31], v[30:31], off offset:3072
	s_or_b64 exec, exec, s[78:79]
	v_cmp_lt_u32_e32 vcc, v124, v151
	s_and_saveexec_b64 s[78:79], vcc
	s_cbranch_execnz .LBB603_1139
.LBB603_1108:                           ;   in Loop: Header=BB603_982 Depth=2
	s_or_b64 exec, exec, s[78:79]
	s_and_saveexec_b64 s[78:79], s[36:37]
	s_cbranch_execz .LBB603_1140
.LBB603_1109:                           ;   in Loop: Header=BB603_982 Depth=2
	ds_read_b32 v60, v173 offset:1024
	s_waitcnt lgkmcnt(0)
	v_lshrrev_b32_e32 v60, s85, v60
	v_and_b32_e32 v149, s94, v60
	s_or_b64 exec, exec, s[78:79]
	s_and_saveexec_b64 s[78:79], s[38:39]
	s_cbranch_execnz .LBB603_1141
.LBB603_1110:                           ;   in Loop: Header=BB603_982 Depth=2
	s_or_b64 exec, exec, s[78:79]
	s_and_saveexec_b64 s[78:79], s[40:41]
	s_cbranch_execz .LBB603_1142
.LBB603_1111:                           ;   in Loop: Header=BB603_982 Depth=2
	ds_read_b32 v60, v72 offset:2048
	s_waitcnt lgkmcnt(0)
	v_lshrrev_b32_e32 v60, s85, v60
	v_and_b32_e32 v146, s94, v60
	s_or_b64 exec, exec, s[78:79]
	s_and_saveexec_b64 s[78:79], s[42:43]
	s_cbranch_execnz .LBB603_1143
.LBB603_1112:                           ;   in Loop: Header=BB603_982 Depth=2
	s_or_b64 exec, exec, s[78:79]
	s_and_saveexec_b64 s[78:79], s[44:45]
	s_cbranch_execz .LBB603_1144
.LBB603_1113:                           ;   in Loop: Header=BB603_982 Depth=2
	ds_read_b32 v60, v72 offset:4096
	s_waitcnt lgkmcnt(0)
	v_lshrrev_b32_e32 v60, s85, v60
	v_and_b32_e32 v143, s94, v60
	s_or_b64 exec, exec, s[78:79]
	s_and_saveexec_b64 s[78:79], s[46:47]
	s_cbranch_execnz .LBB603_1145
.LBB603_1114:                           ;   in Loop: Header=BB603_982 Depth=2
	s_or_b64 exec, exec, s[78:79]
	s_and_saveexec_b64 s[78:79], s[48:49]
	s_cbranch_execz .LBB603_1146
.LBB603_1115:                           ;   in Loop: Header=BB603_982 Depth=2
	ds_read_b32 v60, v72 offset:6144
	s_waitcnt lgkmcnt(0)
	v_lshrrev_b32_e32 v60, s85, v60
	v_and_b32_e32 v141, s94, v60
	s_or_b64 exec, exec, s[78:79]
	s_and_saveexec_b64 s[78:79], s[50:51]
	s_cbranch_execnz .LBB603_1147
.LBB603_1116:                           ;   in Loop: Header=BB603_982 Depth=2
	s_or_b64 exec, exec, s[78:79]
	s_and_saveexec_b64 s[78:79], s[52:53]
	s_cbranch_execz .LBB603_1148
.LBB603_1117:                           ;   in Loop: Header=BB603_982 Depth=2
	ds_read_b32 v60, v72 offset:8192
	s_waitcnt lgkmcnt(0)
	v_lshrrev_b32_e32 v60, s85, v60
	v_and_b32_e32 v139, s94, v60
	s_or_b64 exec, exec, s[78:79]
	s_and_saveexec_b64 s[78:79], s[54:55]
	s_cbranch_execnz .LBB603_1149
.LBB603_1118:                           ;   in Loop: Header=BB603_982 Depth=2
	s_or_b64 exec, exec, s[78:79]
	s_and_saveexec_b64 s[78:79], s[56:57]
	s_cbranch_execz .LBB603_1150
.LBB603_1119:                           ;   in Loop: Header=BB603_982 Depth=2
	ds_read_b32 v60, v72 offset:10240
	s_waitcnt lgkmcnt(0)
	v_lshrrev_b32_e32 v60, s85, v60
	v_and_b32_e32 v137, s94, v60
	s_or_b64 exec, exec, s[78:79]
	s_and_saveexec_b64 s[78:79], s[58:59]
	s_cbranch_execnz .LBB603_1151
.LBB603_1120:                           ;   in Loop: Header=BB603_982 Depth=2
	s_or_b64 exec, exec, s[78:79]
	s_and_saveexec_b64 s[78:79], s[60:61]
	s_cbranch_execz .LBB603_1152
.LBB603_1121:                           ;   in Loop: Header=BB603_982 Depth=2
	ds_read_b32 v60, v72 offset:12288
	s_waitcnt lgkmcnt(0)
	v_lshrrev_b32_e32 v60, s85, v60
	v_and_b32_e32 v135, s94, v60
	s_or_b64 exec, exec, s[78:79]
	s_and_saveexec_b64 s[78:79], s[62:63]
	s_cbranch_execnz .LBB603_1153
.LBB603_1122:                           ;   in Loop: Header=BB603_982 Depth=2
	s_or_b64 exec, exec, s[78:79]
	s_and_saveexec_b64 s[78:79], s[64:65]
	s_cbranch_execz .LBB603_1154
.LBB603_1123:                           ;   in Loop: Header=BB603_982 Depth=2
	ds_read_b32 v60, v72 offset:14336
	s_waitcnt lgkmcnt(0)
	v_lshrrev_b32_e32 v60, s85, v60
	v_and_b32_e32 v133, s94, v60
	s_or_b64 exec, exec, s[78:79]
	s_and_saveexec_b64 s[78:79], s[66:67]
	s_cbranch_execnz .LBB603_1155
	s_branch .LBB603_1156
.LBB603_1124:                           ;   in Loop: Header=BB603_982 Depth=2
	s_or_b64 exec, exec, s[78:79]
	v_cmp_lt_u32_e32 vcc, v110, v151
	s_and_saveexec_b64 s[78:79], vcc
	s_cbranch_execz .LBB603_1094
.LBB603_1125:                           ;   in Loop: Header=BB603_982 Depth=2
	global_load_dwordx2 v[56:57], v[60:61], off offset:512
	s_or_b64 exec, exec, s[78:79]
	v_cmp_lt_u32_e32 vcc, v111, v151
	s_and_saveexec_b64 s[78:79], vcc
	s_cbranch_execnz .LBB603_1095
.LBB603_1126:                           ;   in Loop: Header=BB603_982 Depth=2
	s_or_b64 exec, exec, s[78:79]
	v_cmp_lt_u32_e32 vcc, v112, v151
	s_and_saveexec_b64 s[78:79], vcc
	s_cbranch_execz .LBB603_1096
.LBB603_1127:                           ;   in Loop: Header=BB603_982 Depth=2
	global_load_dwordx2 v[50:51], v[60:61], off offset:1536
	s_or_b64 exec, exec, s[78:79]
	v_cmp_lt_u32_e32 vcc, v113, v151
	s_and_saveexec_b64 s[78:79], vcc
	s_cbranch_execnz .LBB603_1097
.LBB603_1128:                           ;   in Loop: Header=BB603_982 Depth=2
	s_or_b64 exec, exec, s[78:79]
	v_cmp_lt_u32_e32 vcc, v114, v151
	s_and_saveexec_b64 s[78:79], vcc
	s_cbranch_execz .LBB603_1098
.LBB603_1129:                           ;   in Loop: Header=BB603_982 Depth=2
	global_load_dwordx2 v[42:43], v[60:61], off offset:2560
	s_or_b64 exec, exec, s[78:79]
	v_cmp_lt_u32_e32 vcc, v115, v151
	s_and_saveexec_b64 s[78:79], vcc
	s_cbranch_execnz .LBB603_1099
.LBB603_1130:                           ;   in Loop: Header=BB603_982 Depth=2
	s_or_b64 exec, exec, s[78:79]
	v_cmp_lt_u32_e32 vcc, v116, v151
	s_and_saveexec_b64 s[78:79], vcc
	s_cbranch_execz .LBB603_1100
.LBB603_1131:                           ;   in Loop: Header=BB603_982 Depth=2
	global_load_dwordx2 v[34:35], v[60:61], off offset:3584
	s_or_b64 exec, exec, s[78:79]
	v_cmp_lt_u32_e32 vcc, v117, v151
	s_and_saveexec_b64 s[78:79], vcc
	s_cbranch_execnz .LBB603_1101
.LBB603_1132:                           ;   in Loop: Header=BB603_982 Depth=2
	s_or_b64 exec, exec, s[78:79]
	v_cmp_lt_u32_e32 vcc, v118, v151
	s_and_saveexec_b64 s[78:79], vcc
	s_cbranch_execz .LBB603_1102
.LBB603_1133:                           ;   in Loop: Header=BB603_982 Depth=2
	v_add_co_u32_e32 v48, vcc, 0x1000, v60
	v_addc_co_u32_e32 v49, vcc, 0, v61, vcc
	global_load_dwordx2 v[48:49], v[48:49], off offset:512
	s_or_b64 exec, exec, s[78:79]
	v_cmp_lt_u32_e32 vcc, v119, v151
	s_and_saveexec_b64 s[78:79], vcc
	s_cbranch_execnz .LBB603_1103
.LBB603_1134:                           ;   in Loop: Header=BB603_982 Depth=2
	s_or_b64 exec, exec, s[78:79]
	v_cmp_lt_u32_e32 vcc, v120, v151
	s_and_saveexec_b64 s[78:79], vcc
	s_cbranch_execz .LBB603_1104
.LBB603_1135:                           ;   in Loop: Header=BB603_982 Depth=2
	v_add_co_u32_e32 v40, vcc, 0x1000, v60
	v_addc_co_u32_e32 v41, vcc, 0, v61, vcc
	global_load_dwordx2 v[40:41], v[40:41], off offset:1536
	s_or_b64 exec, exec, s[78:79]
	v_cmp_lt_u32_e32 vcc, v121, v151
	s_and_saveexec_b64 s[78:79], vcc
	s_cbranch_execnz .LBB603_1105
.LBB603_1136:                           ;   in Loop: Header=BB603_982 Depth=2
	s_or_b64 exec, exec, s[78:79]
	v_cmp_lt_u32_e32 vcc, v122, v151
	s_and_saveexec_b64 s[78:79], vcc
	s_cbranch_execz .LBB603_1106
.LBB603_1137:                           ;   in Loop: Header=BB603_982 Depth=2
	v_add_co_u32_e32 v32, vcc, 0x1000, v60
	v_addc_co_u32_e32 v33, vcc, 0, v61, vcc
	global_load_dwordx2 v[32:33], v[32:33], off offset:2560
	s_or_b64 exec, exec, s[78:79]
	v_cmp_lt_u32_e32 vcc, v123, v151
	s_and_saveexec_b64 s[78:79], vcc
	s_cbranch_execnz .LBB603_1107
.LBB603_1138:                           ;   in Loop: Header=BB603_982 Depth=2
	s_or_b64 exec, exec, s[78:79]
	v_cmp_lt_u32_e32 vcc, v124, v151
	s_and_saveexec_b64 s[78:79], vcc
	s_cbranch_execz .LBB603_1108
.LBB603_1139:                           ;   in Loop: Header=BB603_982 Depth=2
	v_add_co_u32_e32 v0, vcc, 0x1000, v60
	v_addc_co_u32_e32 v1, vcc, 0, v61, vcc
	global_load_dwordx2 v[0:1], v[0:1], off offset:3584
	s_or_b64 exec, exec, s[78:79]
	s_and_saveexec_b64 s[78:79], s[36:37]
	s_cbranch_execnz .LBB603_1109
.LBB603_1140:                           ;   in Loop: Header=BB603_982 Depth=2
	s_or_b64 exec, exec, s[78:79]
	s_and_saveexec_b64 s[78:79], s[38:39]
	s_cbranch_execz .LBB603_1110
.LBB603_1141:                           ;   in Loop: Header=BB603_982 Depth=2
	ds_read_b32 v60, v72 offset:1024
	s_waitcnt lgkmcnt(0)
	v_lshrrev_b32_e32 v60, s85, v60
	v_and_b32_e32 v147, s94, v60
	s_or_b64 exec, exec, s[78:79]
	s_and_saveexec_b64 s[78:79], s[40:41]
	s_cbranch_execnz .LBB603_1111
.LBB603_1142:                           ;   in Loop: Header=BB603_982 Depth=2
	s_or_b64 exec, exec, s[78:79]
	s_and_saveexec_b64 s[78:79], s[42:43]
	s_cbranch_execz .LBB603_1112
.LBB603_1143:                           ;   in Loop: Header=BB603_982 Depth=2
	ds_read_b32 v60, v72 offset:3072
	s_waitcnt lgkmcnt(0)
	v_lshrrev_b32_e32 v60, s85, v60
	v_and_b32_e32 v144, s94, v60
	s_or_b64 exec, exec, s[78:79]
	s_and_saveexec_b64 s[78:79], s[44:45]
	s_cbranch_execnz .LBB603_1113
.LBB603_1144:                           ;   in Loop: Header=BB603_982 Depth=2
	s_or_b64 exec, exec, s[78:79]
	s_and_saveexec_b64 s[78:79], s[46:47]
	s_cbranch_execz .LBB603_1114
.LBB603_1145:                           ;   in Loop: Header=BB603_982 Depth=2
	ds_read_b32 v60, v72 offset:5120
	s_waitcnt lgkmcnt(0)
	v_lshrrev_b32_e32 v60, s85, v60
	v_and_b32_e32 v142, s94, v60
	s_or_b64 exec, exec, s[78:79]
	s_and_saveexec_b64 s[78:79], s[48:49]
	s_cbranch_execnz .LBB603_1115
.LBB603_1146:                           ;   in Loop: Header=BB603_982 Depth=2
	s_or_b64 exec, exec, s[78:79]
	s_and_saveexec_b64 s[78:79], s[50:51]
	s_cbranch_execz .LBB603_1116
.LBB603_1147:                           ;   in Loop: Header=BB603_982 Depth=2
	ds_read_b32 v60, v72 offset:7168
	s_waitcnt lgkmcnt(0)
	v_lshrrev_b32_e32 v60, s85, v60
	v_and_b32_e32 v140, s94, v60
	s_or_b64 exec, exec, s[78:79]
	s_and_saveexec_b64 s[78:79], s[52:53]
	s_cbranch_execnz .LBB603_1117
.LBB603_1148:                           ;   in Loop: Header=BB603_982 Depth=2
	s_or_b64 exec, exec, s[78:79]
	s_and_saveexec_b64 s[78:79], s[54:55]
	s_cbranch_execz .LBB603_1118
.LBB603_1149:                           ;   in Loop: Header=BB603_982 Depth=2
	ds_read_b32 v60, v72 offset:9216
	s_waitcnt lgkmcnt(0)
	v_lshrrev_b32_e32 v60, s85, v60
	v_and_b32_e32 v138, s94, v60
	s_or_b64 exec, exec, s[78:79]
	s_and_saveexec_b64 s[78:79], s[56:57]
	s_cbranch_execnz .LBB603_1119
.LBB603_1150:                           ;   in Loop: Header=BB603_982 Depth=2
	s_or_b64 exec, exec, s[78:79]
	s_and_saveexec_b64 s[78:79], s[58:59]
	s_cbranch_execz .LBB603_1120
.LBB603_1151:                           ;   in Loop: Header=BB603_982 Depth=2
	ds_read_b32 v60, v72 offset:11264
	s_waitcnt lgkmcnt(0)
	v_lshrrev_b32_e32 v60, s85, v60
	v_and_b32_e32 v136, s94, v60
	s_or_b64 exec, exec, s[78:79]
	s_and_saveexec_b64 s[78:79], s[60:61]
	s_cbranch_execnz .LBB603_1121
.LBB603_1152:                           ;   in Loop: Header=BB603_982 Depth=2
	s_or_b64 exec, exec, s[78:79]
	s_and_saveexec_b64 s[78:79], s[62:63]
	s_cbranch_execz .LBB603_1122
.LBB603_1153:                           ;   in Loop: Header=BB603_982 Depth=2
	ds_read_b32 v60, v72 offset:13312
	s_waitcnt lgkmcnt(0)
	v_lshrrev_b32_e32 v60, s85, v60
	v_and_b32_e32 v134, s94, v60
	s_or_b64 exec, exec, s[78:79]
	s_and_saveexec_b64 s[78:79], s[64:65]
	s_cbranch_execnz .LBB603_1123
.LBB603_1154:                           ;   in Loop: Header=BB603_982 Depth=2
	s_or_b64 exec, exec, s[78:79]
	s_and_saveexec_b64 s[78:79], s[66:67]
	s_cbranch_execz .LBB603_1156
.LBB603_1155:                           ;   in Loop: Header=BB603_982 Depth=2
	ds_read_b32 v60, v72 offset:15360
	s_waitcnt lgkmcnt(0)
	v_lshrrev_b32_e32 v60, s85, v60
	v_and_b32_e32 v132, s94, v60
.LBB603_1156:                           ;   in Loop: Header=BB603_982 Depth=2
	s_or_b64 exec, exec, s[78:79]
	v_lshlrev_b32_e32 v60, 3, v172
	s_barrier
	s_waitcnt vmcnt(0)
	ds_write_b64 v60, v[58:59] offset:1024
	v_lshlrev_b32_e32 v60, 3, v168
	ds_write_b64 v60, v[56:57] offset:1024
	v_lshlrev_b32_e32 v60, 3, v167
	;; [unrolled: 2-line block ×15, first 2 shown]
	ds_write_b64 v60, v[0:1] offset:1024
	s_waitcnt lgkmcnt(0)
	s_barrier
	s_and_saveexec_b64 s[78:79], s[36:37]
	s_cbranch_execz .LBB603_1172
; %bb.1157:                             ;   in Loop: Header=BB603_982 Depth=2
	v_lshlrev_b32_e32 v60, 2, v149
	ds_read_b32 v62, v60
	ds_read_b64 v[60:61], v73 offset:1024
	v_mov_b32_e32 v63, v4
	v_mov_b32_e32 v151, s83
	s_waitcnt lgkmcnt(1)
	v_add_u32_e32 v62, v62, v2
	v_lshlrev_b64 v[62:63], 3, v[62:63]
	v_add_co_u32_e32 v62, vcc, s82, v62
	v_addc_co_u32_e32 v63, vcc, v151, v63, vcc
	s_waitcnt lgkmcnt(0)
	global_store_dwordx2 v[62:63], v[60:61], off
	s_or_b64 exec, exec, s[78:79]
	v_add_u32_e32 v60, v72, v3
	s_and_saveexec_b64 s[36:37], s[38:39]
	s_cbranch_execnz .LBB603_1173
.LBB603_1158:                           ;   in Loop: Header=BB603_982 Depth=2
	s_or_b64 exec, exec, s[36:37]
	s_and_saveexec_b64 s[36:37], s[40:41]
	s_cbranch_execz .LBB603_1174
.LBB603_1159:                           ;   in Loop: Header=BB603_982 Depth=2
	v_lshlrev_b32_e32 v61, 2, v146
	ds_read_b32 v61, v61
	ds_read_b64 v[62:63], v60 offset:4096
	v_mov_b32_e32 v153, v4
	v_mov_b32_e32 v151, s83
	s_waitcnt lgkmcnt(1)
	v_add_u32_e32 v152, v61, v9
	v_lshlrev_b64 v[152:153], 3, v[152:153]
	v_add_co_u32_e32 v152, vcc, s82, v152
	v_addc_co_u32_e32 v153, vcc, v151, v153, vcc
	s_waitcnt lgkmcnt(0)
	global_store_dwordx2 v[152:153], v[62:63], off
	s_or_b64 exec, exec, s[36:37]
	s_and_saveexec_b64 s[36:37], s[42:43]
	s_cbranch_execnz .LBB603_1175
.LBB603_1160:                           ;   in Loop: Header=BB603_982 Depth=2
	s_or_b64 exec, exec, s[36:37]
	s_and_saveexec_b64 s[36:37], s[44:45]
	s_cbranch_execz .LBB603_1176
.LBB603_1161:                           ;   in Loop: Header=BB603_982 Depth=2
	v_lshlrev_b32_e32 v61, 2, v143
	ds_read_b32 v61, v61
	ds_read_b64 v[62:63], v60 offset:8192
	v_mov_b32_e32 v153, v4
	v_mov_b32_e32 v151, s83
	s_waitcnt lgkmcnt(1)
	v_add_u32_e32 v152, v61, v6
	v_lshlrev_b64 v[152:153], 3, v[152:153]
	v_add_co_u32_e32 v152, vcc, s82, v152
	v_addc_co_u32_e32 v153, vcc, v151, v153, vcc
	s_waitcnt lgkmcnt(0)
	global_store_dwordx2 v[152:153], v[62:63], off
	s_or_b64 exec, exec, s[36:37]
	s_and_saveexec_b64 s[36:37], s[46:47]
	s_cbranch_execnz .LBB603_1177
.LBB603_1162:                           ;   in Loop: Header=BB603_982 Depth=2
	s_or_b64 exec, exec, s[36:37]
	s_and_saveexec_b64 s[36:37], s[48:49]
	s_cbranch_execz .LBB603_1178
.LBB603_1163:                           ;   in Loop: Header=BB603_982 Depth=2
	v_lshlrev_b32_e32 v61, 2, v141
	ds_read_b32 v61, v61
	ds_read_b64 v[62:63], v60 offset:12288
	v_mov_b32_e32 v153, v4
	v_mov_b32_e32 v151, s83
	s_waitcnt lgkmcnt(1)
	v_add_u32_e32 v152, v61, v10
	v_lshlrev_b64 v[152:153], 3, v[152:153]
	v_add_co_u32_e32 v152, vcc, s82, v152
	v_addc_co_u32_e32 v153, vcc, v151, v153, vcc
	s_waitcnt lgkmcnt(0)
	global_store_dwordx2 v[152:153], v[62:63], off
	s_or_b64 exec, exec, s[36:37]
	s_and_saveexec_b64 s[36:37], s[50:51]
	s_cbranch_execnz .LBB603_1179
.LBB603_1164:                           ;   in Loop: Header=BB603_982 Depth=2
	s_or_b64 exec, exec, s[36:37]
	s_and_saveexec_b64 s[36:37], s[52:53]
	s_cbranch_execz .LBB603_1180
.LBB603_1165:                           ;   in Loop: Header=BB603_982 Depth=2
	v_lshlrev_b32_e32 v61, 2, v139
	ds_read_b32 v61, v61
	ds_read_b64 v[62:63], v60 offset:16384
	v_mov_b32_e32 v153, v4
	v_mov_b32_e32 v151, s83
	s_waitcnt lgkmcnt(1)
	v_add_u32_e32 v152, v61, v14
	v_lshlrev_b64 v[152:153], 3, v[152:153]
	v_add_co_u32_e32 v152, vcc, s82, v152
	v_addc_co_u32_e32 v153, vcc, v151, v153, vcc
	s_waitcnt lgkmcnt(0)
	global_store_dwordx2 v[152:153], v[62:63], off
	s_or_b64 exec, exec, s[36:37]
	s_and_saveexec_b64 s[36:37], s[54:55]
	s_cbranch_execnz .LBB603_1181
.LBB603_1166:                           ;   in Loop: Header=BB603_982 Depth=2
	s_or_b64 exec, exec, s[36:37]
	s_and_saveexec_b64 s[36:37], s[56:57]
	s_cbranch_execz .LBB603_1182
.LBB603_1167:                           ;   in Loop: Header=BB603_982 Depth=2
	v_lshlrev_b32_e32 v61, 2, v137
	ds_read_b32 v61, v61
	ds_read_b64 v[62:63], v60 offset:20480
	v_mov_b32_e32 v153, v4
	v_mov_b32_e32 v151, s83
	s_waitcnt lgkmcnt(1)
	v_add_u32_e32 v152, v61, v18
	v_lshlrev_b64 v[152:153], 3, v[152:153]
	v_add_co_u32_e32 v152, vcc, s82, v152
	v_addc_co_u32_e32 v153, vcc, v151, v153, vcc
	s_waitcnt lgkmcnt(0)
	global_store_dwordx2 v[152:153], v[62:63], off
	s_or_b64 exec, exec, s[36:37]
	s_and_saveexec_b64 s[36:37], s[58:59]
	s_cbranch_execnz .LBB603_1183
.LBB603_1168:                           ;   in Loop: Header=BB603_982 Depth=2
	s_or_b64 exec, exec, s[36:37]
	s_and_saveexec_b64 s[36:37], s[60:61]
	s_cbranch_execz .LBB603_1184
.LBB603_1169:                           ;   in Loop: Header=BB603_982 Depth=2
	v_lshlrev_b32_e32 v61, 2, v135
	ds_read_b32 v61, v61
	ds_read_b64 v[62:63], v60 offset:24576
	v_mov_b32_e32 v153, v4
	v_mov_b32_e32 v151, s83
	s_waitcnt lgkmcnt(1)
	v_add_u32_e32 v152, v61, v22
	v_lshlrev_b64 v[152:153], 3, v[152:153]
	v_add_co_u32_e32 v152, vcc, s82, v152
	v_addc_co_u32_e32 v153, vcc, v151, v153, vcc
	s_waitcnt lgkmcnt(0)
	global_store_dwordx2 v[152:153], v[62:63], off
	s_or_b64 exec, exec, s[36:37]
	s_and_saveexec_b64 s[36:37], s[62:63]
	s_cbranch_execnz .LBB603_1185
.LBB603_1170:                           ;   in Loop: Header=BB603_982 Depth=2
	s_or_b64 exec, exec, s[36:37]
	s_and_saveexec_b64 s[36:37], s[64:65]
	s_cbranch_execz .LBB603_1186
.LBB603_1171:                           ;   in Loop: Header=BB603_982 Depth=2
	v_lshlrev_b32_e32 v61, 2, v133
	ds_read_b32 v61, v61
	ds_read_b64 v[62:63], v60 offset:28672
	v_mov_b32_e32 v153, v4
	v_mov_b32_e32 v151, s83
	s_waitcnt lgkmcnt(1)
	v_add_u32_e32 v152, v61, v26
	v_lshlrev_b64 v[152:153], 3, v[152:153]
	v_add_co_u32_e32 v152, vcc, s82, v152
	v_addc_co_u32_e32 v153, vcc, v151, v153, vcc
	s_waitcnt lgkmcnt(0)
	global_store_dwordx2 v[152:153], v[62:63], off
	s_or_b64 exec, exec, s[36:37]
	s_and_saveexec_b64 s[36:37], s[66:67]
	s_cbranch_execnz .LBB603_1187
	s_branch .LBB603_1188
.LBB603_1172:                           ;   in Loop: Header=BB603_982 Depth=2
	s_or_b64 exec, exec, s[78:79]
	v_add_u32_e32 v60, v72, v3
	s_and_saveexec_b64 s[36:37], s[38:39]
	s_cbranch_execz .LBB603_1158
.LBB603_1173:                           ;   in Loop: Header=BB603_982 Depth=2
	v_lshlrev_b32_e32 v61, 2, v147
	ds_read_b32 v61, v61
	ds_read_b64 v[62:63], v60 offset:2048
	v_mov_b32_e32 v153, v4
	v_mov_b32_e32 v151, s83
	s_waitcnt lgkmcnt(1)
	v_add_u32_e32 v152, v61, v7
	v_lshlrev_b64 v[152:153], 3, v[152:153]
	v_add_co_u32_e32 v152, vcc, s82, v152
	v_addc_co_u32_e32 v153, vcc, v151, v153, vcc
	s_waitcnt lgkmcnt(0)
	global_store_dwordx2 v[152:153], v[62:63], off
	s_or_b64 exec, exec, s[36:37]
	s_and_saveexec_b64 s[36:37], s[40:41]
	s_cbranch_execnz .LBB603_1159
.LBB603_1174:                           ;   in Loop: Header=BB603_982 Depth=2
	s_or_b64 exec, exec, s[36:37]
	s_and_saveexec_b64 s[36:37], s[42:43]
	s_cbranch_execz .LBB603_1160
.LBB603_1175:                           ;   in Loop: Header=BB603_982 Depth=2
	v_lshlrev_b32_e32 v61, 2, v144
	ds_read_b32 v61, v61
	ds_read_b64 v[62:63], v60 offset:6144
	v_mov_b32_e32 v153, v4
	v_mov_b32_e32 v151, s83
	s_waitcnt lgkmcnt(1)
	v_add_u32_e32 v152, v61, v11
	v_lshlrev_b64 v[152:153], 3, v[152:153]
	v_add_co_u32_e32 v152, vcc, s82, v152
	v_addc_co_u32_e32 v153, vcc, v151, v153, vcc
	s_waitcnt lgkmcnt(0)
	global_store_dwordx2 v[152:153], v[62:63], off
	s_or_b64 exec, exec, s[36:37]
	s_and_saveexec_b64 s[36:37], s[44:45]
	s_cbranch_execnz .LBB603_1161
.LBB603_1176:                           ;   in Loop: Header=BB603_982 Depth=2
	s_or_b64 exec, exec, s[36:37]
	s_and_saveexec_b64 s[36:37], s[46:47]
	s_cbranch_execz .LBB603_1162
.LBB603_1177:                           ;   in Loop: Header=BB603_982 Depth=2
	v_lshlrev_b32_e32 v61, 2, v142
	ds_read_b32 v61, v61
	ds_read_b64 v[62:63], v60 offset:10240
	v_mov_b32_e32 v153, v4
	v_mov_b32_e32 v151, s83
	s_waitcnt lgkmcnt(1)
	v_add_u32_e32 v152, v61, v8
	v_lshlrev_b64 v[152:153], 3, v[152:153]
	v_add_co_u32_e32 v152, vcc, s82, v152
	v_addc_co_u32_e32 v153, vcc, v151, v153, vcc
	s_waitcnt lgkmcnt(0)
	global_store_dwordx2 v[152:153], v[62:63], off
	s_or_b64 exec, exec, s[36:37]
	s_and_saveexec_b64 s[36:37], s[48:49]
	s_cbranch_execnz .LBB603_1163
.LBB603_1178:                           ;   in Loop: Header=BB603_982 Depth=2
	s_or_b64 exec, exec, s[36:37]
	s_and_saveexec_b64 s[36:37], s[50:51]
	s_cbranch_execz .LBB603_1164
.LBB603_1179:                           ;   in Loop: Header=BB603_982 Depth=2
	v_lshlrev_b32_e32 v61, 2, v140
	ds_read_b32 v61, v61
	ds_read_b64 v[62:63], v60 offset:14336
	v_mov_b32_e32 v153, v4
	v_mov_b32_e32 v151, s83
	s_waitcnt lgkmcnt(1)
	v_add_u32_e32 v152, v61, v12
	v_lshlrev_b64 v[152:153], 3, v[152:153]
	v_add_co_u32_e32 v152, vcc, s82, v152
	v_addc_co_u32_e32 v153, vcc, v151, v153, vcc
	s_waitcnt lgkmcnt(0)
	global_store_dwordx2 v[152:153], v[62:63], off
	s_or_b64 exec, exec, s[36:37]
	s_and_saveexec_b64 s[36:37], s[52:53]
	s_cbranch_execnz .LBB603_1165
.LBB603_1180:                           ;   in Loop: Header=BB603_982 Depth=2
	s_or_b64 exec, exec, s[36:37]
	s_and_saveexec_b64 s[36:37], s[54:55]
	s_cbranch_execz .LBB603_1166
.LBB603_1181:                           ;   in Loop: Header=BB603_982 Depth=2
	v_lshlrev_b32_e32 v61, 2, v138
	ds_read_b32 v61, v61
	ds_read_b64 v[62:63], v60 offset:18432
	v_mov_b32_e32 v153, v4
	v_mov_b32_e32 v151, s83
	s_waitcnt lgkmcnt(1)
	v_add_u32_e32 v152, v61, v16
	v_lshlrev_b64 v[152:153], 3, v[152:153]
	v_add_co_u32_e32 v152, vcc, s82, v152
	v_addc_co_u32_e32 v153, vcc, v151, v153, vcc
	s_waitcnt lgkmcnt(0)
	global_store_dwordx2 v[152:153], v[62:63], off
	s_or_b64 exec, exec, s[36:37]
	s_and_saveexec_b64 s[36:37], s[56:57]
	s_cbranch_execnz .LBB603_1167
.LBB603_1182:                           ;   in Loop: Header=BB603_982 Depth=2
	s_or_b64 exec, exec, s[36:37]
	s_and_saveexec_b64 s[36:37], s[58:59]
	s_cbranch_execz .LBB603_1168
.LBB603_1183:                           ;   in Loop: Header=BB603_982 Depth=2
	v_lshlrev_b32_e32 v61, 2, v136
	ds_read_b32 v61, v61
	ds_read_b64 v[62:63], v60 offset:22528
	v_mov_b32_e32 v153, v4
	v_mov_b32_e32 v151, s83
	s_waitcnt lgkmcnt(1)
	v_add_u32_e32 v152, v61, v20
	v_lshlrev_b64 v[152:153], 3, v[152:153]
	v_add_co_u32_e32 v152, vcc, s82, v152
	v_addc_co_u32_e32 v153, vcc, v151, v153, vcc
	s_waitcnt lgkmcnt(0)
	global_store_dwordx2 v[152:153], v[62:63], off
	s_or_b64 exec, exec, s[36:37]
	s_and_saveexec_b64 s[36:37], s[60:61]
	s_cbranch_execnz .LBB603_1169
.LBB603_1184:                           ;   in Loop: Header=BB603_982 Depth=2
	s_or_b64 exec, exec, s[36:37]
	s_and_saveexec_b64 s[36:37], s[62:63]
	s_cbranch_execz .LBB603_1170
.LBB603_1185:                           ;   in Loop: Header=BB603_982 Depth=2
	v_lshlrev_b32_e32 v61, 2, v134
	ds_read_b32 v61, v61
	ds_read_b64 v[62:63], v60 offset:26624
	v_mov_b32_e32 v153, v4
	v_mov_b32_e32 v151, s83
	s_waitcnt lgkmcnt(1)
	v_add_u32_e32 v152, v61, v24
	v_lshlrev_b64 v[152:153], 3, v[152:153]
	v_add_co_u32_e32 v152, vcc, s82, v152
	v_addc_co_u32_e32 v153, vcc, v151, v153, vcc
	s_waitcnt lgkmcnt(0)
	global_store_dwordx2 v[152:153], v[62:63], off
	s_or_b64 exec, exec, s[36:37]
	s_and_saveexec_b64 s[36:37], s[64:65]
	s_cbranch_execnz .LBB603_1171
.LBB603_1186:                           ;   in Loop: Header=BB603_982 Depth=2
	s_or_b64 exec, exec, s[36:37]
	s_and_saveexec_b64 s[36:37], s[66:67]
	s_cbranch_execz .LBB603_1188
.LBB603_1187:                           ;   in Loop: Header=BB603_982 Depth=2
	v_lshlrev_b32_e32 v61, 2, v132
	ds_read_b32 v62, v61
	ds_read_b64 v[60:61], v60 offset:30720
	v_mov_b32_e32 v63, v4
	v_mov_b32_e32 v151, s83
	s_waitcnt lgkmcnt(1)
	v_add_u32_e32 v62, v62, v28
	v_lshlrev_b64 v[62:63], 3, v[62:63]
	v_add_co_u32_e32 v62, vcc, s82, v62
	v_addc_co_u32_e32 v63, vcc, v151, v63, vcc
	s_waitcnt lgkmcnt(0)
	global_store_dwordx2 v[62:63], v[60:61], off
.LBB603_1188:                           ;   in Loop: Header=BB603_982 Depth=2
	s_or_b64 exec, exec, s[36:37]
	s_barrier
	s_and_saveexec_b64 s[36:37], s[4:5]
	s_cbranch_execz .LBB603_981
; %bb.1189:                             ;   in Loop: Header=BB603_982 Depth=2
	ds_read_b32 v60, v3
	s_waitcnt lgkmcnt(0)
	v_add_u32_e32 v5, v60, v5
	ds_write_b32 v3, v5
	s_branch .LBB603_981
.LBB603_1190:
	s_endpgm
	.section	.rodata,"a",@progbits
	.p2align	6, 0x0
	.amdhsa_kernel _ZN7rocprim17ROCPRIM_400000_NS6detail17trampoline_kernelINS0_14default_configENS1_36segmented_radix_sort_config_selectorIilEEZNS1_25segmented_radix_sort_implIS3_Lb0EPKiPiPKlPlN2at6native12_GLOBAL__N_18offset_tEEE10hipError_tPvRmT1_PNSt15iterator_traitsISK_E10value_typeET2_T3_PNSL_ISQ_E10value_typeET4_jRbjT5_SW_jjP12ihipStream_tbEUlT_E_NS1_11comp_targetILNS1_3genE4ELNS1_11target_archE910ELNS1_3gpuE8ELNS1_3repE0EEENS1_30default_config_static_selectorELNS0_4arch9wavefront6targetE1EEEvSK_
		.amdhsa_group_segment_fixed_size 33808
		.amdhsa_private_segment_fixed_size 264
		.amdhsa_kernarg_size 352
		.amdhsa_user_sgpr_count 8
		.amdhsa_user_sgpr_private_segment_buffer 1
		.amdhsa_user_sgpr_dispatch_ptr 0
		.amdhsa_user_sgpr_queue_ptr 0
		.amdhsa_user_sgpr_kernarg_segment_ptr 1
		.amdhsa_user_sgpr_dispatch_id 0
		.amdhsa_user_sgpr_flat_scratch_init 1
		.amdhsa_user_sgpr_kernarg_preload_length 0
		.amdhsa_user_sgpr_kernarg_preload_offset 0
		.amdhsa_user_sgpr_private_segment_size 0
		.amdhsa_uses_dynamic_stack 0
		.amdhsa_system_sgpr_private_segment_wavefront_offset 1
		.amdhsa_system_sgpr_workgroup_id_x 1
		.amdhsa_system_sgpr_workgroup_id_y 1
		.amdhsa_system_sgpr_workgroup_id_z 0
		.amdhsa_system_sgpr_workgroup_info 0
		.amdhsa_system_vgpr_workitem_id 2
		.amdhsa_next_free_vgpr 280
		.amdhsa_next_free_sgpr 97
		.amdhsa_accum_offset 248
		.amdhsa_reserve_vcc 1
		.amdhsa_reserve_flat_scratch 1
		.amdhsa_float_round_mode_32 0
		.amdhsa_float_round_mode_16_64 0
		.amdhsa_float_denorm_mode_32 3
		.amdhsa_float_denorm_mode_16_64 3
		.amdhsa_dx10_clamp 1
		.amdhsa_ieee_mode 1
		.amdhsa_fp16_overflow 0
		.amdhsa_tg_split 0
		.amdhsa_exception_fp_ieee_invalid_op 0
		.amdhsa_exception_fp_denorm_src 0
		.amdhsa_exception_fp_ieee_div_zero 0
		.amdhsa_exception_fp_ieee_overflow 0
		.amdhsa_exception_fp_ieee_underflow 0
		.amdhsa_exception_fp_ieee_inexact 0
		.amdhsa_exception_int_div_zero 0
	.end_amdhsa_kernel
	.section	.text._ZN7rocprim17ROCPRIM_400000_NS6detail17trampoline_kernelINS0_14default_configENS1_36segmented_radix_sort_config_selectorIilEEZNS1_25segmented_radix_sort_implIS3_Lb0EPKiPiPKlPlN2at6native12_GLOBAL__N_18offset_tEEE10hipError_tPvRmT1_PNSt15iterator_traitsISK_E10value_typeET2_T3_PNSL_ISQ_E10value_typeET4_jRbjT5_SW_jjP12ihipStream_tbEUlT_E_NS1_11comp_targetILNS1_3genE4ELNS1_11target_archE910ELNS1_3gpuE8ELNS1_3repE0EEENS1_30default_config_static_selectorELNS0_4arch9wavefront6targetE1EEEvSK_,"axG",@progbits,_ZN7rocprim17ROCPRIM_400000_NS6detail17trampoline_kernelINS0_14default_configENS1_36segmented_radix_sort_config_selectorIilEEZNS1_25segmented_radix_sort_implIS3_Lb0EPKiPiPKlPlN2at6native12_GLOBAL__N_18offset_tEEE10hipError_tPvRmT1_PNSt15iterator_traitsISK_E10value_typeET2_T3_PNSL_ISQ_E10value_typeET4_jRbjT5_SW_jjP12ihipStream_tbEUlT_E_NS1_11comp_targetILNS1_3genE4ELNS1_11target_archE910ELNS1_3gpuE8ELNS1_3repE0EEENS1_30default_config_static_selectorELNS0_4arch9wavefront6targetE1EEEvSK_,comdat
.Lfunc_end603:
	.size	_ZN7rocprim17ROCPRIM_400000_NS6detail17trampoline_kernelINS0_14default_configENS1_36segmented_radix_sort_config_selectorIilEEZNS1_25segmented_radix_sort_implIS3_Lb0EPKiPiPKlPlN2at6native12_GLOBAL__N_18offset_tEEE10hipError_tPvRmT1_PNSt15iterator_traitsISK_E10value_typeET2_T3_PNSL_ISQ_E10value_typeET4_jRbjT5_SW_jjP12ihipStream_tbEUlT_E_NS1_11comp_targetILNS1_3genE4ELNS1_11target_archE910ELNS1_3gpuE8ELNS1_3repE0EEENS1_30default_config_static_selectorELNS0_4arch9wavefront6targetE1EEEvSK_, .Lfunc_end603-_ZN7rocprim17ROCPRIM_400000_NS6detail17trampoline_kernelINS0_14default_configENS1_36segmented_radix_sort_config_selectorIilEEZNS1_25segmented_radix_sort_implIS3_Lb0EPKiPiPKlPlN2at6native12_GLOBAL__N_18offset_tEEE10hipError_tPvRmT1_PNSt15iterator_traitsISK_E10value_typeET2_T3_PNSL_ISQ_E10value_typeET4_jRbjT5_SW_jjP12ihipStream_tbEUlT_E_NS1_11comp_targetILNS1_3genE4ELNS1_11target_archE910ELNS1_3gpuE8ELNS1_3repE0EEENS1_30default_config_static_selectorELNS0_4arch9wavefront6targetE1EEEvSK_
                                        ; -- End function
	.section	.AMDGPU.csdata,"",@progbits
; Kernel info:
; codeLenInByte = 63608
; NumSgprs: 103
; NumVgprs: 248
; NumAgprs: 32
; TotalNumVgprs: 280
; ScratchSize: 264
; MemoryBound: 0
; FloatMode: 240
; IeeeMode: 1
; LDSByteSize: 33808 bytes/workgroup (compile time only)
; SGPRBlocks: 12
; VGPRBlocks: 34
; NumSGPRsForWavesPerEU: 103
; NumVGPRsForWavesPerEU: 280
; AccumOffset: 248
; Occupancy: 1
; WaveLimiterHint : 1
; COMPUTE_PGM_RSRC2:SCRATCH_EN: 1
; COMPUTE_PGM_RSRC2:USER_SGPR: 8
; COMPUTE_PGM_RSRC2:TRAP_HANDLER: 0
; COMPUTE_PGM_RSRC2:TGID_X_EN: 1
; COMPUTE_PGM_RSRC2:TGID_Y_EN: 1
; COMPUTE_PGM_RSRC2:TGID_Z_EN: 0
; COMPUTE_PGM_RSRC2:TIDIG_COMP_CNT: 2
; COMPUTE_PGM_RSRC3_GFX90A:ACCUM_OFFSET: 61
; COMPUTE_PGM_RSRC3_GFX90A:TG_SPLIT: 0
	.section	.text._ZN7rocprim17ROCPRIM_400000_NS6detail17trampoline_kernelINS0_14default_configENS1_36segmented_radix_sort_config_selectorIilEEZNS1_25segmented_radix_sort_implIS3_Lb0EPKiPiPKlPlN2at6native12_GLOBAL__N_18offset_tEEE10hipError_tPvRmT1_PNSt15iterator_traitsISK_E10value_typeET2_T3_PNSL_ISQ_E10value_typeET4_jRbjT5_SW_jjP12ihipStream_tbEUlT_E_NS1_11comp_targetILNS1_3genE3ELNS1_11target_archE908ELNS1_3gpuE7ELNS1_3repE0EEENS1_30default_config_static_selectorELNS0_4arch9wavefront6targetE1EEEvSK_,"axG",@progbits,_ZN7rocprim17ROCPRIM_400000_NS6detail17trampoline_kernelINS0_14default_configENS1_36segmented_radix_sort_config_selectorIilEEZNS1_25segmented_radix_sort_implIS3_Lb0EPKiPiPKlPlN2at6native12_GLOBAL__N_18offset_tEEE10hipError_tPvRmT1_PNSt15iterator_traitsISK_E10value_typeET2_T3_PNSL_ISQ_E10value_typeET4_jRbjT5_SW_jjP12ihipStream_tbEUlT_E_NS1_11comp_targetILNS1_3genE3ELNS1_11target_archE908ELNS1_3gpuE7ELNS1_3repE0EEENS1_30default_config_static_selectorELNS0_4arch9wavefront6targetE1EEEvSK_,comdat
	.globl	_ZN7rocprim17ROCPRIM_400000_NS6detail17trampoline_kernelINS0_14default_configENS1_36segmented_radix_sort_config_selectorIilEEZNS1_25segmented_radix_sort_implIS3_Lb0EPKiPiPKlPlN2at6native12_GLOBAL__N_18offset_tEEE10hipError_tPvRmT1_PNSt15iterator_traitsISK_E10value_typeET2_T3_PNSL_ISQ_E10value_typeET4_jRbjT5_SW_jjP12ihipStream_tbEUlT_E_NS1_11comp_targetILNS1_3genE3ELNS1_11target_archE908ELNS1_3gpuE7ELNS1_3repE0EEENS1_30default_config_static_selectorELNS0_4arch9wavefront6targetE1EEEvSK_ ; -- Begin function _ZN7rocprim17ROCPRIM_400000_NS6detail17trampoline_kernelINS0_14default_configENS1_36segmented_radix_sort_config_selectorIilEEZNS1_25segmented_radix_sort_implIS3_Lb0EPKiPiPKlPlN2at6native12_GLOBAL__N_18offset_tEEE10hipError_tPvRmT1_PNSt15iterator_traitsISK_E10value_typeET2_T3_PNSL_ISQ_E10value_typeET4_jRbjT5_SW_jjP12ihipStream_tbEUlT_E_NS1_11comp_targetILNS1_3genE3ELNS1_11target_archE908ELNS1_3gpuE7ELNS1_3repE0EEENS1_30default_config_static_selectorELNS0_4arch9wavefront6targetE1EEEvSK_
	.p2align	8
	.type	_ZN7rocprim17ROCPRIM_400000_NS6detail17trampoline_kernelINS0_14default_configENS1_36segmented_radix_sort_config_selectorIilEEZNS1_25segmented_radix_sort_implIS3_Lb0EPKiPiPKlPlN2at6native12_GLOBAL__N_18offset_tEEE10hipError_tPvRmT1_PNSt15iterator_traitsISK_E10value_typeET2_T3_PNSL_ISQ_E10value_typeET4_jRbjT5_SW_jjP12ihipStream_tbEUlT_E_NS1_11comp_targetILNS1_3genE3ELNS1_11target_archE908ELNS1_3gpuE7ELNS1_3repE0EEENS1_30default_config_static_selectorELNS0_4arch9wavefront6targetE1EEEvSK_,@function
_ZN7rocprim17ROCPRIM_400000_NS6detail17trampoline_kernelINS0_14default_configENS1_36segmented_radix_sort_config_selectorIilEEZNS1_25segmented_radix_sort_implIS3_Lb0EPKiPiPKlPlN2at6native12_GLOBAL__N_18offset_tEEE10hipError_tPvRmT1_PNSt15iterator_traitsISK_E10value_typeET2_T3_PNSL_ISQ_E10value_typeET4_jRbjT5_SW_jjP12ihipStream_tbEUlT_E_NS1_11comp_targetILNS1_3genE3ELNS1_11target_archE908ELNS1_3gpuE7ELNS1_3repE0EEENS1_30default_config_static_selectorELNS0_4arch9wavefront6targetE1EEEvSK_: ; @_ZN7rocprim17ROCPRIM_400000_NS6detail17trampoline_kernelINS0_14default_configENS1_36segmented_radix_sort_config_selectorIilEEZNS1_25segmented_radix_sort_implIS3_Lb0EPKiPiPKlPlN2at6native12_GLOBAL__N_18offset_tEEE10hipError_tPvRmT1_PNSt15iterator_traitsISK_E10value_typeET2_T3_PNSL_ISQ_E10value_typeET4_jRbjT5_SW_jjP12ihipStream_tbEUlT_E_NS1_11comp_targetILNS1_3genE3ELNS1_11target_archE908ELNS1_3gpuE7ELNS1_3repE0EEENS1_30default_config_static_selectorELNS0_4arch9wavefront6targetE1EEEvSK_
; %bb.0:
	.section	.rodata,"a",@progbits
	.p2align	6, 0x0
	.amdhsa_kernel _ZN7rocprim17ROCPRIM_400000_NS6detail17trampoline_kernelINS0_14default_configENS1_36segmented_radix_sort_config_selectorIilEEZNS1_25segmented_radix_sort_implIS3_Lb0EPKiPiPKlPlN2at6native12_GLOBAL__N_18offset_tEEE10hipError_tPvRmT1_PNSt15iterator_traitsISK_E10value_typeET2_T3_PNSL_ISQ_E10value_typeET4_jRbjT5_SW_jjP12ihipStream_tbEUlT_E_NS1_11comp_targetILNS1_3genE3ELNS1_11target_archE908ELNS1_3gpuE7ELNS1_3repE0EEENS1_30default_config_static_selectorELNS0_4arch9wavefront6targetE1EEEvSK_
		.amdhsa_group_segment_fixed_size 0
		.amdhsa_private_segment_fixed_size 0
		.amdhsa_kernarg_size 96
		.amdhsa_user_sgpr_count 6
		.amdhsa_user_sgpr_private_segment_buffer 1
		.amdhsa_user_sgpr_dispatch_ptr 0
		.amdhsa_user_sgpr_queue_ptr 0
		.amdhsa_user_sgpr_kernarg_segment_ptr 1
		.amdhsa_user_sgpr_dispatch_id 0
		.amdhsa_user_sgpr_flat_scratch_init 0
		.amdhsa_user_sgpr_kernarg_preload_length 0
		.amdhsa_user_sgpr_kernarg_preload_offset 0
		.amdhsa_user_sgpr_private_segment_size 0
		.amdhsa_uses_dynamic_stack 0
		.amdhsa_system_sgpr_private_segment_wavefront_offset 0
		.amdhsa_system_sgpr_workgroup_id_x 1
		.amdhsa_system_sgpr_workgroup_id_y 0
		.amdhsa_system_sgpr_workgroup_id_z 0
		.amdhsa_system_sgpr_workgroup_info 0
		.amdhsa_system_vgpr_workitem_id 0
		.amdhsa_next_free_vgpr 1
		.amdhsa_next_free_sgpr 0
		.amdhsa_accum_offset 4
		.amdhsa_reserve_vcc 0
		.amdhsa_reserve_flat_scratch 0
		.amdhsa_float_round_mode_32 0
		.amdhsa_float_round_mode_16_64 0
		.amdhsa_float_denorm_mode_32 3
		.amdhsa_float_denorm_mode_16_64 3
		.amdhsa_dx10_clamp 1
		.amdhsa_ieee_mode 1
		.amdhsa_fp16_overflow 0
		.amdhsa_tg_split 0
		.amdhsa_exception_fp_ieee_invalid_op 0
		.amdhsa_exception_fp_denorm_src 0
		.amdhsa_exception_fp_ieee_div_zero 0
		.amdhsa_exception_fp_ieee_overflow 0
		.amdhsa_exception_fp_ieee_underflow 0
		.amdhsa_exception_fp_ieee_inexact 0
		.amdhsa_exception_int_div_zero 0
	.end_amdhsa_kernel
	.section	.text._ZN7rocprim17ROCPRIM_400000_NS6detail17trampoline_kernelINS0_14default_configENS1_36segmented_radix_sort_config_selectorIilEEZNS1_25segmented_radix_sort_implIS3_Lb0EPKiPiPKlPlN2at6native12_GLOBAL__N_18offset_tEEE10hipError_tPvRmT1_PNSt15iterator_traitsISK_E10value_typeET2_T3_PNSL_ISQ_E10value_typeET4_jRbjT5_SW_jjP12ihipStream_tbEUlT_E_NS1_11comp_targetILNS1_3genE3ELNS1_11target_archE908ELNS1_3gpuE7ELNS1_3repE0EEENS1_30default_config_static_selectorELNS0_4arch9wavefront6targetE1EEEvSK_,"axG",@progbits,_ZN7rocprim17ROCPRIM_400000_NS6detail17trampoline_kernelINS0_14default_configENS1_36segmented_radix_sort_config_selectorIilEEZNS1_25segmented_radix_sort_implIS3_Lb0EPKiPiPKlPlN2at6native12_GLOBAL__N_18offset_tEEE10hipError_tPvRmT1_PNSt15iterator_traitsISK_E10value_typeET2_T3_PNSL_ISQ_E10value_typeET4_jRbjT5_SW_jjP12ihipStream_tbEUlT_E_NS1_11comp_targetILNS1_3genE3ELNS1_11target_archE908ELNS1_3gpuE7ELNS1_3repE0EEENS1_30default_config_static_selectorELNS0_4arch9wavefront6targetE1EEEvSK_,comdat
.Lfunc_end604:
	.size	_ZN7rocprim17ROCPRIM_400000_NS6detail17trampoline_kernelINS0_14default_configENS1_36segmented_radix_sort_config_selectorIilEEZNS1_25segmented_radix_sort_implIS3_Lb0EPKiPiPKlPlN2at6native12_GLOBAL__N_18offset_tEEE10hipError_tPvRmT1_PNSt15iterator_traitsISK_E10value_typeET2_T3_PNSL_ISQ_E10value_typeET4_jRbjT5_SW_jjP12ihipStream_tbEUlT_E_NS1_11comp_targetILNS1_3genE3ELNS1_11target_archE908ELNS1_3gpuE7ELNS1_3repE0EEENS1_30default_config_static_selectorELNS0_4arch9wavefront6targetE1EEEvSK_, .Lfunc_end604-_ZN7rocprim17ROCPRIM_400000_NS6detail17trampoline_kernelINS0_14default_configENS1_36segmented_radix_sort_config_selectorIilEEZNS1_25segmented_radix_sort_implIS3_Lb0EPKiPiPKlPlN2at6native12_GLOBAL__N_18offset_tEEE10hipError_tPvRmT1_PNSt15iterator_traitsISK_E10value_typeET2_T3_PNSL_ISQ_E10value_typeET4_jRbjT5_SW_jjP12ihipStream_tbEUlT_E_NS1_11comp_targetILNS1_3genE3ELNS1_11target_archE908ELNS1_3gpuE7ELNS1_3repE0EEENS1_30default_config_static_selectorELNS0_4arch9wavefront6targetE1EEEvSK_
                                        ; -- End function
	.section	.AMDGPU.csdata,"",@progbits
; Kernel info:
; codeLenInByte = 0
; NumSgprs: 4
; NumVgprs: 0
; NumAgprs: 0
; TotalNumVgprs: 0
; ScratchSize: 0
; MemoryBound: 0
; FloatMode: 240
; IeeeMode: 1
; LDSByteSize: 0 bytes/workgroup (compile time only)
; SGPRBlocks: 0
; VGPRBlocks: 0
; NumSGPRsForWavesPerEU: 4
; NumVGPRsForWavesPerEU: 1
; AccumOffset: 4
; Occupancy: 8
; WaveLimiterHint : 0
; COMPUTE_PGM_RSRC2:SCRATCH_EN: 0
; COMPUTE_PGM_RSRC2:USER_SGPR: 6
; COMPUTE_PGM_RSRC2:TRAP_HANDLER: 0
; COMPUTE_PGM_RSRC2:TGID_X_EN: 1
; COMPUTE_PGM_RSRC2:TGID_Y_EN: 0
; COMPUTE_PGM_RSRC2:TGID_Z_EN: 0
; COMPUTE_PGM_RSRC2:TIDIG_COMP_CNT: 0
; COMPUTE_PGM_RSRC3_GFX90A:ACCUM_OFFSET: 0
; COMPUTE_PGM_RSRC3_GFX90A:TG_SPLIT: 0
	.section	.text._ZN7rocprim17ROCPRIM_400000_NS6detail17trampoline_kernelINS0_14default_configENS1_36segmented_radix_sort_config_selectorIilEEZNS1_25segmented_radix_sort_implIS3_Lb0EPKiPiPKlPlN2at6native12_GLOBAL__N_18offset_tEEE10hipError_tPvRmT1_PNSt15iterator_traitsISK_E10value_typeET2_T3_PNSL_ISQ_E10value_typeET4_jRbjT5_SW_jjP12ihipStream_tbEUlT_E_NS1_11comp_targetILNS1_3genE2ELNS1_11target_archE906ELNS1_3gpuE6ELNS1_3repE0EEENS1_30default_config_static_selectorELNS0_4arch9wavefront6targetE1EEEvSK_,"axG",@progbits,_ZN7rocprim17ROCPRIM_400000_NS6detail17trampoline_kernelINS0_14default_configENS1_36segmented_radix_sort_config_selectorIilEEZNS1_25segmented_radix_sort_implIS3_Lb0EPKiPiPKlPlN2at6native12_GLOBAL__N_18offset_tEEE10hipError_tPvRmT1_PNSt15iterator_traitsISK_E10value_typeET2_T3_PNSL_ISQ_E10value_typeET4_jRbjT5_SW_jjP12ihipStream_tbEUlT_E_NS1_11comp_targetILNS1_3genE2ELNS1_11target_archE906ELNS1_3gpuE6ELNS1_3repE0EEENS1_30default_config_static_selectorELNS0_4arch9wavefront6targetE1EEEvSK_,comdat
	.globl	_ZN7rocprim17ROCPRIM_400000_NS6detail17trampoline_kernelINS0_14default_configENS1_36segmented_radix_sort_config_selectorIilEEZNS1_25segmented_radix_sort_implIS3_Lb0EPKiPiPKlPlN2at6native12_GLOBAL__N_18offset_tEEE10hipError_tPvRmT1_PNSt15iterator_traitsISK_E10value_typeET2_T3_PNSL_ISQ_E10value_typeET4_jRbjT5_SW_jjP12ihipStream_tbEUlT_E_NS1_11comp_targetILNS1_3genE2ELNS1_11target_archE906ELNS1_3gpuE6ELNS1_3repE0EEENS1_30default_config_static_selectorELNS0_4arch9wavefront6targetE1EEEvSK_ ; -- Begin function _ZN7rocprim17ROCPRIM_400000_NS6detail17trampoline_kernelINS0_14default_configENS1_36segmented_radix_sort_config_selectorIilEEZNS1_25segmented_radix_sort_implIS3_Lb0EPKiPiPKlPlN2at6native12_GLOBAL__N_18offset_tEEE10hipError_tPvRmT1_PNSt15iterator_traitsISK_E10value_typeET2_T3_PNSL_ISQ_E10value_typeET4_jRbjT5_SW_jjP12ihipStream_tbEUlT_E_NS1_11comp_targetILNS1_3genE2ELNS1_11target_archE906ELNS1_3gpuE6ELNS1_3repE0EEENS1_30default_config_static_selectorELNS0_4arch9wavefront6targetE1EEEvSK_
	.p2align	8
	.type	_ZN7rocprim17ROCPRIM_400000_NS6detail17trampoline_kernelINS0_14default_configENS1_36segmented_radix_sort_config_selectorIilEEZNS1_25segmented_radix_sort_implIS3_Lb0EPKiPiPKlPlN2at6native12_GLOBAL__N_18offset_tEEE10hipError_tPvRmT1_PNSt15iterator_traitsISK_E10value_typeET2_T3_PNSL_ISQ_E10value_typeET4_jRbjT5_SW_jjP12ihipStream_tbEUlT_E_NS1_11comp_targetILNS1_3genE2ELNS1_11target_archE906ELNS1_3gpuE6ELNS1_3repE0EEENS1_30default_config_static_selectorELNS0_4arch9wavefront6targetE1EEEvSK_,@function
_ZN7rocprim17ROCPRIM_400000_NS6detail17trampoline_kernelINS0_14default_configENS1_36segmented_radix_sort_config_selectorIilEEZNS1_25segmented_radix_sort_implIS3_Lb0EPKiPiPKlPlN2at6native12_GLOBAL__N_18offset_tEEE10hipError_tPvRmT1_PNSt15iterator_traitsISK_E10value_typeET2_T3_PNSL_ISQ_E10value_typeET4_jRbjT5_SW_jjP12ihipStream_tbEUlT_E_NS1_11comp_targetILNS1_3genE2ELNS1_11target_archE906ELNS1_3gpuE6ELNS1_3repE0EEENS1_30default_config_static_selectorELNS0_4arch9wavefront6targetE1EEEvSK_: ; @_ZN7rocprim17ROCPRIM_400000_NS6detail17trampoline_kernelINS0_14default_configENS1_36segmented_radix_sort_config_selectorIilEEZNS1_25segmented_radix_sort_implIS3_Lb0EPKiPiPKlPlN2at6native12_GLOBAL__N_18offset_tEEE10hipError_tPvRmT1_PNSt15iterator_traitsISK_E10value_typeET2_T3_PNSL_ISQ_E10value_typeET4_jRbjT5_SW_jjP12ihipStream_tbEUlT_E_NS1_11comp_targetILNS1_3genE2ELNS1_11target_archE906ELNS1_3gpuE6ELNS1_3repE0EEENS1_30default_config_static_selectorELNS0_4arch9wavefront6targetE1EEEvSK_
; %bb.0:
	.section	.rodata,"a",@progbits
	.p2align	6, 0x0
	.amdhsa_kernel _ZN7rocprim17ROCPRIM_400000_NS6detail17trampoline_kernelINS0_14default_configENS1_36segmented_radix_sort_config_selectorIilEEZNS1_25segmented_radix_sort_implIS3_Lb0EPKiPiPKlPlN2at6native12_GLOBAL__N_18offset_tEEE10hipError_tPvRmT1_PNSt15iterator_traitsISK_E10value_typeET2_T3_PNSL_ISQ_E10value_typeET4_jRbjT5_SW_jjP12ihipStream_tbEUlT_E_NS1_11comp_targetILNS1_3genE2ELNS1_11target_archE906ELNS1_3gpuE6ELNS1_3repE0EEENS1_30default_config_static_selectorELNS0_4arch9wavefront6targetE1EEEvSK_
		.amdhsa_group_segment_fixed_size 0
		.amdhsa_private_segment_fixed_size 0
		.amdhsa_kernarg_size 96
		.amdhsa_user_sgpr_count 6
		.amdhsa_user_sgpr_private_segment_buffer 1
		.amdhsa_user_sgpr_dispatch_ptr 0
		.amdhsa_user_sgpr_queue_ptr 0
		.amdhsa_user_sgpr_kernarg_segment_ptr 1
		.amdhsa_user_sgpr_dispatch_id 0
		.amdhsa_user_sgpr_flat_scratch_init 0
		.amdhsa_user_sgpr_kernarg_preload_length 0
		.amdhsa_user_sgpr_kernarg_preload_offset 0
		.amdhsa_user_sgpr_private_segment_size 0
		.amdhsa_uses_dynamic_stack 0
		.amdhsa_system_sgpr_private_segment_wavefront_offset 0
		.amdhsa_system_sgpr_workgroup_id_x 1
		.amdhsa_system_sgpr_workgroup_id_y 0
		.amdhsa_system_sgpr_workgroup_id_z 0
		.amdhsa_system_sgpr_workgroup_info 0
		.amdhsa_system_vgpr_workitem_id 0
		.amdhsa_next_free_vgpr 1
		.amdhsa_next_free_sgpr 0
		.amdhsa_accum_offset 4
		.amdhsa_reserve_vcc 0
		.amdhsa_reserve_flat_scratch 0
		.amdhsa_float_round_mode_32 0
		.amdhsa_float_round_mode_16_64 0
		.amdhsa_float_denorm_mode_32 3
		.amdhsa_float_denorm_mode_16_64 3
		.amdhsa_dx10_clamp 1
		.amdhsa_ieee_mode 1
		.amdhsa_fp16_overflow 0
		.amdhsa_tg_split 0
		.amdhsa_exception_fp_ieee_invalid_op 0
		.amdhsa_exception_fp_denorm_src 0
		.amdhsa_exception_fp_ieee_div_zero 0
		.amdhsa_exception_fp_ieee_overflow 0
		.amdhsa_exception_fp_ieee_underflow 0
		.amdhsa_exception_fp_ieee_inexact 0
		.amdhsa_exception_int_div_zero 0
	.end_amdhsa_kernel
	.section	.text._ZN7rocprim17ROCPRIM_400000_NS6detail17trampoline_kernelINS0_14default_configENS1_36segmented_radix_sort_config_selectorIilEEZNS1_25segmented_radix_sort_implIS3_Lb0EPKiPiPKlPlN2at6native12_GLOBAL__N_18offset_tEEE10hipError_tPvRmT1_PNSt15iterator_traitsISK_E10value_typeET2_T3_PNSL_ISQ_E10value_typeET4_jRbjT5_SW_jjP12ihipStream_tbEUlT_E_NS1_11comp_targetILNS1_3genE2ELNS1_11target_archE906ELNS1_3gpuE6ELNS1_3repE0EEENS1_30default_config_static_selectorELNS0_4arch9wavefront6targetE1EEEvSK_,"axG",@progbits,_ZN7rocprim17ROCPRIM_400000_NS6detail17trampoline_kernelINS0_14default_configENS1_36segmented_radix_sort_config_selectorIilEEZNS1_25segmented_radix_sort_implIS3_Lb0EPKiPiPKlPlN2at6native12_GLOBAL__N_18offset_tEEE10hipError_tPvRmT1_PNSt15iterator_traitsISK_E10value_typeET2_T3_PNSL_ISQ_E10value_typeET4_jRbjT5_SW_jjP12ihipStream_tbEUlT_E_NS1_11comp_targetILNS1_3genE2ELNS1_11target_archE906ELNS1_3gpuE6ELNS1_3repE0EEENS1_30default_config_static_selectorELNS0_4arch9wavefront6targetE1EEEvSK_,comdat
.Lfunc_end605:
	.size	_ZN7rocprim17ROCPRIM_400000_NS6detail17trampoline_kernelINS0_14default_configENS1_36segmented_radix_sort_config_selectorIilEEZNS1_25segmented_radix_sort_implIS3_Lb0EPKiPiPKlPlN2at6native12_GLOBAL__N_18offset_tEEE10hipError_tPvRmT1_PNSt15iterator_traitsISK_E10value_typeET2_T3_PNSL_ISQ_E10value_typeET4_jRbjT5_SW_jjP12ihipStream_tbEUlT_E_NS1_11comp_targetILNS1_3genE2ELNS1_11target_archE906ELNS1_3gpuE6ELNS1_3repE0EEENS1_30default_config_static_selectorELNS0_4arch9wavefront6targetE1EEEvSK_, .Lfunc_end605-_ZN7rocprim17ROCPRIM_400000_NS6detail17trampoline_kernelINS0_14default_configENS1_36segmented_radix_sort_config_selectorIilEEZNS1_25segmented_radix_sort_implIS3_Lb0EPKiPiPKlPlN2at6native12_GLOBAL__N_18offset_tEEE10hipError_tPvRmT1_PNSt15iterator_traitsISK_E10value_typeET2_T3_PNSL_ISQ_E10value_typeET4_jRbjT5_SW_jjP12ihipStream_tbEUlT_E_NS1_11comp_targetILNS1_3genE2ELNS1_11target_archE906ELNS1_3gpuE6ELNS1_3repE0EEENS1_30default_config_static_selectorELNS0_4arch9wavefront6targetE1EEEvSK_
                                        ; -- End function
	.section	.AMDGPU.csdata,"",@progbits
; Kernel info:
; codeLenInByte = 0
; NumSgprs: 4
; NumVgprs: 0
; NumAgprs: 0
; TotalNumVgprs: 0
; ScratchSize: 0
; MemoryBound: 0
; FloatMode: 240
; IeeeMode: 1
; LDSByteSize: 0 bytes/workgroup (compile time only)
; SGPRBlocks: 0
; VGPRBlocks: 0
; NumSGPRsForWavesPerEU: 4
; NumVGPRsForWavesPerEU: 1
; AccumOffset: 4
; Occupancy: 8
; WaveLimiterHint : 0
; COMPUTE_PGM_RSRC2:SCRATCH_EN: 0
; COMPUTE_PGM_RSRC2:USER_SGPR: 6
; COMPUTE_PGM_RSRC2:TRAP_HANDLER: 0
; COMPUTE_PGM_RSRC2:TGID_X_EN: 1
; COMPUTE_PGM_RSRC2:TGID_Y_EN: 0
; COMPUTE_PGM_RSRC2:TGID_Z_EN: 0
; COMPUTE_PGM_RSRC2:TIDIG_COMP_CNT: 0
; COMPUTE_PGM_RSRC3_GFX90A:ACCUM_OFFSET: 0
; COMPUTE_PGM_RSRC3_GFX90A:TG_SPLIT: 0
	.section	.text._ZN7rocprim17ROCPRIM_400000_NS6detail17trampoline_kernelINS0_14default_configENS1_36segmented_radix_sort_config_selectorIilEEZNS1_25segmented_radix_sort_implIS3_Lb0EPKiPiPKlPlN2at6native12_GLOBAL__N_18offset_tEEE10hipError_tPvRmT1_PNSt15iterator_traitsISK_E10value_typeET2_T3_PNSL_ISQ_E10value_typeET4_jRbjT5_SW_jjP12ihipStream_tbEUlT_E_NS1_11comp_targetILNS1_3genE10ELNS1_11target_archE1201ELNS1_3gpuE5ELNS1_3repE0EEENS1_30default_config_static_selectorELNS0_4arch9wavefront6targetE1EEEvSK_,"axG",@progbits,_ZN7rocprim17ROCPRIM_400000_NS6detail17trampoline_kernelINS0_14default_configENS1_36segmented_radix_sort_config_selectorIilEEZNS1_25segmented_radix_sort_implIS3_Lb0EPKiPiPKlPlN2at6native12_GLOBAL__N_18offset_tEEE10hipError_tPvRmT1_PNSt15iterator_traitsISK_E10value_typeET2_T3_PNSL_ISQ_E10value_typeET4_jRbjT5_SW_jjP12ihipStream_tbEUlT_E_NS1_11comp_targetILNS1_3genE10ELNS1_11target_archE1201ELNS1_3gpuE5ELNS1_3repE0EEENS1_30default_config_static_selectorELNS0_4arch9wavefront6targetE1EEEvSK_,comdat
	.globl	_ZN7rocprim17ROCPRIM_400000_NS6detail17trampoline_kernelINS0_14default_configENS1_36segmented_radix_sort_config_selectorIilEEZNS1_25segmented_radix_sort_implIS3_Lb0EPKiPiPKlPlN2at6native12_GLOBAL__N_18offset_tEEE10hipError_tPvRmT1_PNSt15iterator_traitsISK_E10value_typeET2_T3_PNSL_ISQ_E10value_typeET4_jRbjT5_SW_jjP12ihipStream_tbEUlT_E_NS1_11comp_targetILNS1_3genE10ELNS1_11target_archE1201ELNS1_3gpuE5ELNS1_3repE0EEENS1_30default_config_static_selectorELNS0_4arch9wavefront6targetE1EEEvSK_ ; -- Begin function _ZN7rocprim17ROCPRIM_400000_NS6detail17trampoline_kernelINS0_14default_configENS1_36segmented_radix_sort_config_selectorIilEEZNS1_25segmented_radix_sort_implIS3_Lb0EPKiPiPKlPlN2at6native12_GLOBAL__N_18offset_tEEE10hipError_tPvRmT1_PNSt15iterator_traitsISK_E10value_typeET2_T3_PNSL_ISQ_E10value_typeET4_jRbjT5_SW_jjP12ihipStream_tbEUlT_E_NS1_11comp_targetILNS1_3genE10ELNS1_11target_archE1201ELNS1_3gpuE5ELNS1_3repE0EEENS1_30default_config_static_selectorELNS0_4arch9wavefront6targetE1EEEvSK_
	.p2align	8
	.type	_ZN7rocprim17ROCPRIM_400000_NS6detail17trampoline_kernelINS0_14default_configENS1_36segmented_radix_sort_config_selectorIilEEZNS1_25segmented_radix_sort_implIS3_Lb0EPKiPiPKlPlN2at6native12_GLOBAL__N_18offset_tEEE10hipError_tPvRmT1_PNSt15iterator_traitsISK_E10value_typeET2_T3_PNSL_ISQ_E10value_typeET4_jRbjT5_SW_jjP12ihipStream_tbEUlT_E_NS1_11comp_targetILNS1_3genE10ELNS1_11target_archE1201ELNS1_3gpuE5ELNS1_3repE0EEENS1_30default_config_static_selectorELNS0_4arch9wavefront6targetE1EEEvSK_,@function
_ZN7rocprim17ROCPRIM_400000_NS6detail17trampoline_kernelINS0_14default_configENS1_36segmented_radix_sort_config_selectorIilEEZNS1_25segmented_radix_sort_implIS3_Lb0EPKiPiPKlPlN2at6native12_GLOBAL__N_18offset_tEEE10hipError_tPvRmT1_PNSt15iterator_traitsISK_E10value_typeET2_T3_PNSL_ISQ_E10value_typeET4_jRbjT5_SW_jjP12ihipStream_tbEUlT_E_NS1_11comp_targetILNS1_3genE10ELNS1_11target_archE1201ELNS1_3gpuE5ELNS1_3repE0EEENS1_30default_config_static_selectorELNS0_4arch9wavefront6targetE1EEEvSK_: ; @_ZN7rocprim17ROCPRIM_400000_NS6detail17trampoline_kernelINS0_14default_configENS1_36segmented_radix_sort_config_selectorIilEEZNS1_25segmented_radix_sort_implIS3_Lb0EPKiPiPKlPlN2at6native12_GLOBAL__N_18offset_tEEE10hipError_tPvRmT1_PNSt15iterator_traitsISK_E10value_typeET2_T3_PNSL_ISQ_E10value_typeET4_jRbjT5_SW_jjP12ihipStream_tbEUlT_E_NS1_11comp_targetILNS1_3genE10ELNS1_11target_archE1201ELNS1_3gpuE5ELNS1_3repE0EEENS1_30default_config_static_selectorELNS0_4arch9wavefront6targetE1EEEvSK_
; %bb.0:
	.section	.rodata,"a",@progbits
	.p2align	6, 0x0
	.amdhsa_kernel _ZN7rocprim17ROCPRIM_400000_NS6detail17trampoline_kernelINS0_14default_configENS1_36segmented_radix_sort_config_selectorIilEEZNS1_25segmented_radix_sort_implIS3_Lb0EPKiPiPKlPlN2at6native12_GLOBAL__N_18offset_tEEE10hipError_tPvRmT1_PNSt15iterator_traitsISK_E10value_typeET2_T3_PNSL_ISQ_E10value_typeET4_jRbjT5_SW_jjP12ihipStream_tbEUlT_E_NS1_11comp_targetILNS1_3genE10ELNS1_11target_archE1201ELNS1_3gpuE5ELNS1_3repE0EEENS1_30default_config_static_selectorELNS0_4arch9wavefront6targetE1EEEvSK_
		.amdhsa_group_segment_fixed_size 0
		.amdhsa_private_segment_fixed_size 0
		.amdhsa_kernarg_size 96
		.amdhsa_user_sgpr_count 6
		.amdhsa_user_sgpr_private_segment_buffer 1
		.amdhsa_user_sgpr_dispatch_ptr 0
		.amdhsa_user_sgpr_queue_ptr 0
		.amdhsa_user_sgpr_kernarg_segment_ptr 1
		.amdhsa_user_sgpr_dispatch_id 0
		.amdhsa_user_sgpr_flat_scratch_init 0
		.amdhsa_user_sgpr_kernarg_preload_length 0
		.amdhsa_user_sgpr_kernarg_preload_offset 0
		.amdhsa_user_sgpr_private_segment_size 0
		.amdhsa_uses_dynamic_stack 0
		.amdhsa_system_sgpr_private_segment_wavefront_offset 0
		.amdhsa_system_sgpr_workgroup_id_x 1
		.amdhsa_system_sgpr_workgroup_id_y 0
		.amdhsa_system_sgpr_workgroup_id_z 0
		.amdhsa_system_sgpr_workgroup_info 0
		.amdhsa_system_vgpr_workitem_id 0
		.amdhsa_next_free_vgpr 1
		.amdhsa_next_free_sgpr 0
		.amdhsa_accum_offset 4
		.amdhsa_reserve_vcc 0
		.amdhsa_reserve_flat_scratch 0
		.amdhsa_float_round_mode_32 0
		.amdhsa_float_round_mode_16_64 0
		.amdhsa_float_denorm_mode_32 3
		.amdhsa_float_denorm_mode_16_64 3
		.amdhsa_dx10_clamp 1
		.amdhsa_ieee_mode 1
		.amdhsa_fp16_overflow 0
		.amdhsa_tg_split 0
		.amdhsa_exception_fp_ieee_invalid_op 0
		.amdhsa_exception_fp_denorm_src 0
		.amdhsa_exception_fp_ieee_div_zero 0
		.amdhsa_exception_fp_ieee_overflow 0
		.amdhsa_exception_fp_ieee_underflow 0
		.amdhsa_exception_fp_ieee_inexact 0
		.amdhsa_exception_int_div_zero 0
	.end_amdhsa_kernel
	.section	.text._ZN7rocprim17ROCPRIM_400000_NS6detail17trampoline_kernelINS0_14default_configENS1_36segmented_radix_sort_config_selectorIilEEZNS1_25segmented_radix_sort_implIS3_Lb0EPKiPiPKlPlN2at6native12_GLOBAL__N_18offset_tEEE10hipError_tPvRmT1_PNSt15iterator_traitsISK_E10value_typeET2_T3_PNSL_ISQ_E10value_typeET4_jRbjT5_SW_jjP12ihipStream_tbEUlT_E_NS1_11comp_targetILNS1_3genE10ELNS1_11target_archE1201ELNS1_3gpuE5ELNS1_3repE0EEENS1_30default_config_static_selectorELNS0_4arch9wavefront6targetE1EEEvSK_,"axG",@progbits,_ZN7rocprim17ROCPRIM_400000_NS6detail17trampoline_kernelINS0_14default_configENS1_36segmented_radix_sort_config_selectorIilEEZNS1_25segmented_radix_sort_implIS3_Lb0EPKiPiPKlPlN2at6native12_GLOBAL__N_18offset_tEEE10hipError_tPvRmT1_PNSt15iterator_traitsISK_E10value_typeET2_T3_PNSL_ISQ_E10value_typeET4_jRbjT5_SW_jjP12ihipStream_tbEUlT_E_NS1_11comp_targetILNS1_3genE10ELNS1_11target_archE1201ELNS1_3gpuE5ELNS1_3repE0EEENS1_30default_config_static_selectorELNS0_4arch9wavefront6targetE1EEEvSK_,comdat
.Lfunc_end606:
	.size	_ZN7rocprim17ROCPRIM_400000_NS6detail17trampoline_kernelINS0_14default_configENS1_36segmented_radix_sort_config_selectorIilEEZNS1_25segmented_radix_sort_implIS3_Lb0EPKiPiPKlPlN2at6native12_GLOBAL__N_18offset_tEEE10hipError_tPvRmT1_PNSt15iterator_traitsISK_E10value_typeET2_T3_PNSL_ISQ_E10value_typeET4_jRbjT5_SW_jjP12ihipStream_tbEUlT_E_NS1_11comp_targetILNS1_3genE10ELNS1_11target_archE1201ELNS1_3gpuE5ELNS1_3repE0EEENS1_30default_config_static_selectorELNS0_4arch9wavefront6targetE1EEEvSK_, .Lfunc_end606-_ZN7rocprim17ROCPRIM_400000_NS6detail17trampoline_kernelINS0_14default_configENS1_36segmented_radix_sort_config_selectorIilEEZNS1_25segmented_radix_sort_implIS3_Lb0EPKiPiPKlPlN2at6native12_GLOBAL__N_18offset_tEEE10hipError_tPvRmT1_PNSt15iterator_traitsISK_E10value_typeET2_T3_PNSL_ISQ_E10value_typeET4_jRbjT5_SW_jjP12ihipStream_tbEUlT_E_NS1_11comp_targetILNS1_3genE10ELNS1_11target_archE1201ELNS1_3gpuE5ELNS1_3repE0EEENS1_30default_config_static_selectorELNS0_4arch9wavefront6targetE1EEEvSK_
                                        ; -- End function
	.section	.AMDGPU.csdata,"",@progbits
; Kernel info:
; codeLenInByte = 0
; NumSgprs: 4
; NumVgprs: 0
; NumAgprs: 0
; TotalNumVgprs: 0
; ScratchSize: 0
; MemoryBound: 0
; FloatMode: 240
; IeeeMode: 1
; LDSByteSize: 0 bytes/workgroup (compile time only)
; SGPRBlocks: 0
; VGPRBlocks: 0
; NumSGPRsForWavesPerEU: 4
; NumVGPRsForWavesPerEU: 1
; AccumOffset: 4
; Occupancy: 8
; WaveLimiterHint : 0
; COMPUTE_PGM_RSRC2:SCRATCH_EN: 0
; COMPUTE_PGM_RSRC2:USER_SGPR: 6
; COMPUTE_PGM_RSRC2:TRAP_HANDLER: 0
; COMPUTE_PGM_RSRC2:TGID_X_EN: 1
; COMPUTE_PGM_RSRC2:TGID_Y_EN: 0
; COMPUTE_PGM_RSRC2:TGID_Z_EN: 0
; COMPUTE_PGM_RSRC2:TIDIG_COMP_CNT: 0
; COMPUTE_PGM_RSRC3_GFX90A:ACCUM_OFFSET: 0
; COMPUTE_PGM_RSRC3_GFX90A:TG_SPLIT: 0
	.section	.text._ZN7rocprim17ROCPRIM_400000_NS6detail17trampoline_kernelINS0_14default_configENS1_36segmented_radix_sort_config_selectorIilEEZNS1_25segmented_radix_sort_implIS3_Lb0EPKiPiPKlPlN2at6native12_GLOBAL__N_18offset_tEEE10hipError_tPvRmT1_PNSt15iterator_traitsISK_E10value_typeET2_T3_PNSL_ISQ_E10value_typeET4_jRbjT5_SW_jjP12ihipStream_tbEUlT_E_NS1_11comp_targetILNS1_3genE10ELNS1_11target_archE1200ELNS1_3gpuE4ELNS1_3repE0EEENS1_30default_config_static_selectorELNS0_4arch9wavefront6targetE1EEEvSK_,"axG",@progbits,_ZN7rocprim17ROCPRIM_400000_NS6detail17trampoline_kernelINS0_14default_configENS1_36segmented_radix_sort_config_selectorIilEEZNS1_25segmented_radix_sort_implIS3_Lb0EPKiPiPKlPlN2at6native12_GLOBAL__N_18offset_tEEE10hipError_tPvRmT1_PNSt15iterator_traitsISK_E10value_typeET2_T3_PNSL_ISQ_E10value_typeET4_jRbjT5_SW_jjP12ihipStream_tbEUlT_E_NS1_11comp_targetILNS1_3genE10ELNS1_11target_archE1200ELNS1_3gpuE4ELNS1_3repE0EEENS1_30default_config_static_selectorELNS0_4arch9wavefront6targetE1EEEvSK_,comdat
	.globl	_ZN7rocprim17ROCPRIM_400000_NS6detail17trampoline_kernelINS0_14default_configENS1_36segmented_radix_sort_config_selectorIilEEZNS1_25segmented_radix_sort_implIS3_Lb0EPKiPiPKlPlN2at6native12_GLOBAL__N_18offset_tEEE10hipError_tPvRmT1_PNSt15iterator_traitsISK_E10value_typeET2_T3_PNSL_ISQ_E10value_typeET4_jRbjT5_SW_jjP12ihipStream_tbEUlT_E_NS1_11comp_targetILNS1_3genE10ELNS1_11target_archE1200ELNS1_3gpuE4ELNS1_3repE0EEENS1_30default_config_static_selectorELNS0_4arch9wavefront6targetE1EEEvSK_ ; -- Begin function _ZN7rocprim17ROCPRIM_400000_NS6detail17trampoline_kernelINS0_14default_configENS1_36segmented_radix_sort_config_selectorIilEEZNS1_25segmented_radix_sort_implIS3_Lb0EPKiPiPKlPlN2at6native12_GLOBAL__N_18offset_tEEE10hipError_tPvRmT1_PNSt15iterator_traitsISK_E10value_typeET2_T3_PNSL_ISQ_E10value_typeET4_jRbjT5_SW_jjP12ihipStream_tbEUlT_E_NS1_11comp_targetILNS1_3genE10ELNS1_11target_archE1200ELNS1_3gpuE4ELNS1_3repE0EEENS1_30default_config_static_selectorELNS0_4arch9wavefront6targetE1EEEvSK_
	.p2align	8
	.type	_ZN7rocprim17ROCPRIM_400000_NS6detail17trampoline_kernelINS0_14default_configENS1_36segmented_radix_sort_config_selectorIilEEZNS1_25segmented_radix_sort_implIS3_Lb0EPKiPiPKlPlN2at6native12_GLOBAL__N_18offset_tEEE10hipError_tPvRmT1_PNSt15iterator_traitsISK_E10value_typeET2_T3_PNSL_ISQ_E10value_typeET4_jRbjT5_SW_jjP12ihipStream_tbEUlT_E_NS1_11comp_targetILNS1_3genE10ELNS1_11target_archE1200ELNS1_3gpuE4ELNS1_3repE0EEENS1_30default_config_static_selectorELNS0_4arch9wavefront6targetE1EEEvSK_,@function
_ZN7rocprim17ROCPRIM_400000_NS6detail17trampoline_kernelINS0_14default_configENS1_36segmented_radix_sort_config_selectorIilEEZNS1_25segmented_radix_sort_implIS3_Lb0EPKiPiPKlPlN2at6native12_GLOBAL__N_18offset_tEEE10hipError_tPvRmT1_PNSt15iterator_traitsISK_E10value_typeET2_T3_PNSL_ISQ_E10value_typeET4_jRbjT5_SW_jjP12ihipStream_tbEUlT_E_NS1_11comp_targetILNS1_3genE10ELNS1_11target_archE1200ELNS1_3gpuE4ELNS1_3repE0EEENS1_30default_config_static_selectorELNS0_4arch9wavefront6targetE1EEEvSK_: ; @_ZN7rocprim17ROCPRIM_400000_NS6detail17trampoline_kernelINS0_14default_configENS1_36segmented_radix_sort_config_selectorIilEEZNS1_25segmented_radix_sort_implIS3_Lb0EPKiPiPKlPlN2at6native12_GLOBAL__N_18offset_tEEE10hipError_tPvRmT1_PNSt15iterator_traitsISK_E10value_typeET2_T3_PNSL_ISQ_E10value_typeET4_jRbjT5_SW_jjP12ihipStream_tbEUlT_E_NS1_11comp_targetILNS1_3genE10ELNS1_11target_archE1200ELNS1_3gpuE4ELNS1_3repE0EEENS1_30default_config_static_selectorELNS0_4arch9wavefront6targetE1EEEvSK_
; %bb.0:
	.section	.rodata,"a",@progbits
	.p2align	6, 0x0
	.amdhsa_kernel _ZN7rocprim17ROCPRIM_400000_NS6detail17trampoline_kernelINS0_14default_configENS1_36segmented_radix_sort_config_selectorIilEEZNS1_25segmented_radix_sort_implIS3_Lb0EPKiPiPKlPlN2at6native12_GLOBAL__N_18offset_tEEE10hipError_tPvRmT1_PNSt15iterator_traitsISK_E10value_typeET2_T3_PNSL_ISQ_E10value_typeET4_jRbjT5_SW_jjP12ihipStream_tbEUlT_E_NS1_11comp_targetILNS1_3genE10ELNS1_11target_archE1200ELNS1_3gpuE4ELNS1_3repE0EEENS1_30default_config_static_selectorELNS0_4arch9wavefront6targetE1EEEvSK_
		.amdhsa_group_segment_fixed_size 0
		.amdhsa_private_segment_fixed_size 0
		.amdhsa_kernarg_size 96
		.amdhsa_user_sgpr_count 6
		.amdhsa_user_sgpr_private_segment_buffer 1
		.amdhsa_user_sgpr_dispatch_ptr 0
		.amdhsa_user_sgpr_queue_ptr 0
		.amdhsa_user_sgpr_kernarg_segment_ptr 1
		.amdhsa_user_sgpr_dispatch_id 0
		.amdhsa_user_sgpr_flat_scratch_init 0
		.amdhsa_user_sgpr_kernarg_preload_length 0
		.amdhsa_user_sgpr_kernarg_preload_offset 0
		.amdhsa_user_sgpr_private_segment_size 0
		.amdhsa_uses_dynamic_stack 0
		.amdhsa_system_sgpr_private_segment_wavefront_offset 0
		.amdhsa_system_sgpr_workgroup_id_x 1
		.amdhsa_system_sgpr_workgroup_id_y 0
		.amdhsa_system_sgpr_workgroup_id_z 0
		.amdhsa_system_sgpr_workgroup_info 0
		.amdhsa_system_vgpr_workitem_id 0
		.amdhsa_next_free_vgpr 1
		.amdhsa_next_free_sgpr 0
		.amdhsa_accum_offset 4
		.amdhsa_reserve_vcc 0
		.amdhsa_reserve_flat_scratch 0
		.amdhsa_float_round_mode_32 0
		.amdhsa_float_round_mode_16_64 0
		.amdhsa_float_denorm_mode_32 3
		.amdhsa_float_denorm_mode_16_64 3
		.amdhsa_dx10_clamp 1
		.amdhsa_ieee_mode 1
		.amdhsa_fp16_overflow 0
		.amdhsa_tg_split 0
		.amdhsa_exception_fp_ieee_invalid_op 0
		.amdhsa_exception_fp_denorm_src 0
		.amdhsa_exception_fp_ieee_div_zero 0
		.amdhsa_exception_fp_ieee_overflow 0
		.amdhsa_exception_fp_ieee_underflow 0
		.amdhsa_exception_fp_ieee_inexact 0
		.amdhsa_exception_int_div_zero 0
	.end_amdhsa_kernel
	.section	.text._ZN7rocprim17ROCPRIM_400000_NS6detail17trampoline_kernelINS0_14default_configENS1_36segmented_radix_sort_config_selectorIilEEZNS1_25segmented_radix_sort_implIS3_Lb0EPKiPiPKlPlN2at6native12_GLOBAL__N_18offset_tEEE10hipError_tPvRmT1_PNSt15iterator_traitsISK_E10value_typeET2_T3_PNSL_ISQ_E10value_typeET4_jRbjT5_SW_jjP12ihipStream_tbEUlT_E_NS1_11comp_targetILNS1_3genE10ELNS1_11target_archE1200ELNS1_3gpuE4ELNS1_3repE0EEENS1_30default_config_static_selectorELNS0_4arch9wavefront6targetE1EEEvSK_,"axG",@progbits,_ZN7rocprim17ROCPRIM_400000_NS6detail17trampoline_kernelINS0_14default_configENS1_36segmented_radix_sort_config_selectorIilEEZNS1_25segmented_radix_sort_implIS3_Lb0EPKiPiPKlPlN2at6native12_GLOBAL__N_18offset_tEEE10hipError_tPvRmT1_PNSt15iterator_traitsISK_E10value_typeET2_T3_PNSL_ISQ_E10value_typeET4_jRbjT5_SW_jjP12ihipStream_tbEUlT_E_NS1_11comp_targetILNS1_3genE10ELNS1_11target_archE1200ELNS1_3gpuE4ELNS1_3repE0EEENS1_30default_config_static_selectorELNS0_4arch9wavefront6targetE1EEEvSK_,comdat
.Lfunc_end607:
	.size	_ZN7rocprim17ROCPRIM_400000_NS6detail17trampoline_kernelINS0_14default_configENS1_36segmented_radix_sort_config_selectorIilEEZNS1_25segmented_radix_sort_implIS3_Lb0EPKiPiPKlPlN2at6native12_GLOBAL__N_18offset_tEEE10hipError_tPvRmT1_PNSt15iterator_traitsISK_E10value_typeET2_T3_PNSL_ISQ_E10value_typeET4_jRbjT5_SW_jjP12ihipStream_tbEUlT_E_NS1_11comp_targetILNS1_3genE10ELNS1_11target_archE1200ELNS1_3gpuE4ELNS1_3repE0EEENS1_30default_config_static_selectorELNS0_4arch9wavefront6targetE1EEEvSK_, .Lfunc_end607-_ZN7rocprim17ROCPRIM_400000_NS6detail17trampoline_kernelINS0_14default_configENS1_36segmented_radix_sort_config_selectorIilEEZNS1_25segmented_radix_sort_implIS3_Lb0EPKiPiPKlPlN2at6native12_GLOBAL__N_18offset_tEEE10hipError_tPvRmT1_PNSt15iterator_traitsISK_E10value_typeET2_T3_PNSL_ISQ_E10value_typeET4_jRbjT5_SW_jjP12ihipStream_tbEUlT_E_NS1_11comp_targetILNS1_3genE10ELNS1_11target_archE1200ELNS1_3gpuE4ELNS1_3repE0EEENS1_30default_config_static_selectorELNS0_4arch9wavefront6targetE1EEEvSK_
                                        ; -- End function
	.section	.AMDGPU.csdata,"",@progbits
; Kernel info:
; codeLenInByte = 0
; NumSgprs: 4
; NumVgprs: 0
; NumAgprs: 0
; TotalNumVgprs: 0
; ScratchSize: 0
; MemoryBound: 0
; FloatMode: 240
; IeeeMode: 1
; LDSByteSize: 0 bytes/workgroup (compile time only)
; SGPRBlocks: 0
; VGPRBlocks: 0
; NumSGPRsForWavesPerEU: 4
; NumVGPRsForWavesPerEU: 1
; AccumOffset: 4
; Occupancy: 8
; WaveLimiterHint : 0
; COMPUTE_PGM_RSRC2:SCRATCH_EN: 0
; COMPUTE_PGM_RSRC2:USER_SGPR: 6
; COMPUTE_PGM_RSRC2:TRAP_HANDLER: 0
; COMPUTE_PGM_RSRC2:TGID_X_EN: 1
; COMPUTE_PGM_RSRC2:TGID_Y_EN: 0
; COMPUTE_PGM_RSRC2:TGID_Z_EN: 0
; COMPUTE_PGM_RSRC2:TIDIG_COMP_CNT: 0
; COMPUTE_PGM_RSRC3_GFX90A:ACCUM_OFFSET: 0
; COMPUTE_PGM_RSRC3_GFX90A:TG_SPLIT: 0
	.section	.text._ZN7rocprim17ROCPRIM_400000_NS6detail17trampoline_kernelINS0_14default_configENS1_36segmented_radix_sort_config_selectorIilEEZNS1_25segmented_radix_sort_implIS3_Lb0EPKiPiPKlPlN2at6native12_GLOBAL__N_18offset_tEEE10hipError_tPvRmT1_PNSt15iterator_traitsISK_E10value_typeET2_T3_PNSL_ISQ_E10value_typeET4_jRbjT5_SW_jjP12ihipStream_tbEUlT_E_NS1_11comp_targetILNS1_3genE9ELNS1_11target_archE1100ELNS1_3gpuE3ELNS1_3repE0EEENS1_30default_config_static_selectorELNS0_4arch9wavefront6targetE1EEEvSK_,"axG",@progbits,_ZN7rocprim17ROCPRIM_400000_NS6detail17trampoline_kernelINS0_14default_configENS1_36segmented_radix_sort_config_selectorIilEEZNS1_25segmented_radix_sort_implIS3_Lb0EPKiPiPKlPlN2at6native12_GLOBAL__N_18offset_tEEE10hipError_tPvRmT1_PNSt15iterator_traitsISK_E10value_typeET2_T3_PNSL_ISQ_E10value_typeET4_jRbjT5_SW_jjP12ihipStream_tbEUlT_E_NS1_11comp_targetILNS1_3genE9ELNS1_11target_archE1100ELNS1_3gpuE3ELNS1_3repE0EEENS1_30default_config_static_selectorELNS0_4arch9wavefront6targetE1EEEvSK_,comdat
	.globl	_ZN7rocprim17ROCPRIM_400000_NS6detail17trampoline_kernelINS0_14default_configENS1_36segmented_radix_sort_config_selectorIilEEZNS1_25segmented_radix_sort_implIS3_Lb0EPKiPiPKlPlN2at6native12_GLOBAL__N_18offset_tEEE10hipError_tPvRmT1_PNSt15iterator_traitsISK_E10value_typeET2_T3_PNSL_ISQ_E10value_typeET4_jRbjT5_SW_jjP12ihipStream_tbEUlT_E_NS1_11comp_targetILNS1_3genE9ELNS1_11target_archE1100ELNS1_3gpuE3ELNS1_3repE0EEENS1_30default_config_static_selectorELNS0_4arch9wavefront6targetE1EEEvSK_ ; -- Begin function _ZN7rocprim17ROCPRIM_400000_NS6detail17trampoline_kernelINS0_14default_configENS1_36segmented_radix_sort_config_selectorIilEEZNS1_25segmented_radix_sort_implIS3_Lb0EPKiPiPKlPlN2at6native12_GLOBAL__N_18offset_tEEE10hipError_tPvRmT1_PNSt15iterator_traitsISK_E10value_typeET2_T3_PNSL_ISQ_E10value_typeET4_jRbjT5_SW_jjP12ihipStream_tbEUlT_E_NS1_11comp_targetILNS1_3genE9ELNS1_11target_archE1100ELNS1_3gpuE3ELNS1_3repE0EEENS1_30default_config_static_selectorELNS0_4arch9wavefront6targetE1EEEvSK_
	.p2align	8
	.type	_ZN7rocprim17ROCPRIM_400000_NS6detail17trampoline_kernelINS0_14default_configENS1_36segmented_radix_sort_config_selectorIilEEZNS1_25segmented_radix_sort_implIS3_Lb0EPKiPiPKlPlN2at6native12_GLOBAL__N_18offset_tEEE10hipError_tPvRmT1_PNSt15iterator_traitsISK_E10value_typeET2_T3_PNSL_ISQ_E10value_typeET4_jRbjT5_SW_jjP12ihipStream_tbEUlT_E_NS1_11comp_targetILNS1_3genE9ELNS1_11target_archE1100ELNS1_3gpuE3ELNS1_3repE0EEENS1_30default_config_static_selectorELNS0_4arch9wavefront6targetE1EEEvSK_,@function
_ZN7rocprim17ROCPRIM_400000_NS6detail17trampoline_kernelINS0_14default_configENS1_36segmented_radix_sort_config_selectorIilEEZNS1_25segmented_radix_sort_implIS3_Lb0EPKiPiPKlPlN2at6native12_GLOBAL__N_18offset_tEEE10hipError_tPvRmT1_PNSt15iterator_traitsISK_E10value_typeET2_T3_PNSL_ISQ_E10value_typeET4_jRbjT5_SW_jjP12ihipStream_tbEUlT_E_NS1_11comp_targetILNS1_3genE9ELNS1_11target_archE1100ELNS1_3gpuE3ELNS1_3repE0EEENS1_30default_config_static_selectorELNS0_4arch9wavefront6targetE1EEEvSK_: ; @_ZN7rocprim17ROCPRIM_400000_NS6detail17trampoline_kernelINS0_14default_configENS1_36segmented_radix_sort_config_selectorIilEEZNS1_25segmented_radix_sort_implIS3_Lb0EPKiPiPKlPlN2at6native12_GLOBAL__N_18offset_tEEE10hipError_tPvRmT1_PNSt15iterator_traitsISK_E10value_typeET2_T3_PNSL_ISQ_E10value_typeET4_jRbjT5_SW_jjP12ihipStream_tbEUlT_E_NS1_11comp_targetILNS1_3genE9ELNS1_11target_archE1100ELNS1_3gpuE3ELNS1_3repE0EEENS1_30default_config_static_selectorELNS0_4arch9wavefront6targetE1EEEvSK_
; %bb.0:
	.section	.rodata,"a",@progbits
	.p2align	6, 0x0
	.amdhsa_kernel _ZN7rocprim17ROCPRIM_400000_NS6detail17trampoline_kernelINS0_14default_configENS1_36segmented_radix_sort_config_selectorIilEEZNS1_25segmented_radix_sort_implIS3_Lb0EPKiPiPKlPlN2at6native12_GLOBAL__N_18offset_tEEE10hipError_tPvRmT1_PNSt15iterator_traitsISK_E10value_typeET2_T3_PNSL_ISQ_E10value_typeET4_jRbjT5_SW_jjP12ihipStream_tbEUlT_E_NS1_11comp_targetILNS1_3genE9ELNS1_11target_archE1100ELNS1_3gpuE3ELNS1_3repE0EEENS1_30default_config_static_selectorELNS0_4arch9wavefront6targetE1EEEvSK_
		.amdhsa_group_segment_fixed_size 0
		.amdhsa_private_segment_fixed_size 0
		.amdhsa_kernarg_size 96
		.amdhsa_user_sgpr_count 6
		.amdhsa_user_sgpr_private_segment_buffer 1
		.amdhsa_user_sgpr_dispatch_ptr 0
		.amdhsa_user_sgpr_queue_ptr 0
		.amdhsa_user_sgpr_kernarg_segment_ptr 1
		.amdhsa_user_sgpr_dispatch_id 0
		.amdhsa_user_sgpr_flat_scratch_init 0
		.amdhsa_user_sgpr_kernarg_preload_length 0
		.amdhsa_user_sgpr_kernarg_preload_offset 0
		.amdhsa_user_sgpr_private_segment_size 0
		.amdhsa_uses_dynamic_stack 0
		.amdhsa_system_sgpr_private_segment_wavefront_offset 0
		.amdhsa_system_sgpr_workgroup_id_x 1
		.amdhsa_system_sgpr_workgroup_id_y 0
		.amdhsa_system_sgpr_workgroup_id_z 0
		.amdhsa_system_sgpr_workgroup_info 0
		.amdhsa_system_vgpr_workitem_id 0
		.amdhsa_next_free_vgpr 1
		.amdhsa_next_free_sgpr 0
		.amdhsa_accum_offset 4
		.amdhsa_reserve_vcc 0
		.amdhsa_reserve_flat_scratch 0
		.amdhsa_float_round_mode_32 0
		.amdhsa_float_round_mode_16_64 0
		.amdhsa_float_denorm_mode_32 3
		.amdhsa_float_denorm_mode_16_64 3
		.amdhsa_dx10_clamp 1
		.amdhsa_ieee_mode 1
		.amdhsa_fp16_overflow 0
		.amdhsa_tg_split 0
		.amdhsa_exception_fp_ieee_invalid_op 0
		.amdhsa_exception_fp_denorm_src 0
		.amdhsa_exception_fp_ieee_div_zero 0
		.amdhsa_exception_fp_ieee_overflow 0
		.amdhsa_exception_fp_ieee_underflow 0
		.amdhsa_exception_fp_ieee_inexact 0
		.amdhsa_exception_int_div_zero 0
	.end_amdhsa_kernel
	.section	.text._ZN7rocprim17ROCPRIM_400000_NS6detail17trampoline_kernelINS0_14default_configENS1_36segmented_radix_sort_config_selectorIilEEZNS1_25segmented_radix_sort_implIS3_Lb0EPKiPiPKlPlN2at6native12_GLOBAL__N_18offset_tEEE10hipError_tPvRmT1_PNSt15iterator_traitsISK_E10value_typeET2_T3_PNSL_ISQ_E10value_typeET4_jRbjT5_SW_jjP12ihipStream_tbEUlT_E_NS1_11comp_targetILNS1_3genE9ELNS1_11target_archE1100ELNS1_3gpuE3ELNS1_3repE0EEENS1_30default_config_static_selectorELNS0_4arch9wavefront6targetE1EEEvSK_,"axG",@progbits,_ZN7rocprim17ROCPRIM_400000_NS6detail17trampoline_kernelINS0_14default_configENS1_36segmented_radix_sort_config_selectorIilEEZNS1_25segmented_radix_sort_implIS3_Lb0EPKiPiPKlPlN2at6native12_GLOBAL__N_18offset_tEEE10hipError_tPvRmT1_PNSt15iterator_traitsISK_E10value_typeET2_T3_PNSL_ISQ_E10value_typeET4_jRbjT5_SW_jjP12ihipStream_tbEUlT_E_NS1_11comp_targetILNS1_3genE9ELNS1_11target_archE1100ELNS1_3gpuE3ELNS1_3repE0EEENS1_30default_config_static_selectorELNS0_4arch9wavefront6targetE1EEEvSK_,comdat
.Lfunc_end608:
	.size	_ZN7rocprim17ROCPRIM_400000_NS6detail17trampoline_kernelINS0_14default_configENS1_36segmented_radix_sort_config_selectorIilEEZNS1_25segmented_radix_sort_implIS3_Lb0EPKiPiPKlPlN2at6native12_GLOBAL__N_18offset_tEEE10hipError_tPvRmT1_PNSt15iterator_traitsISK_E10value_typeET2_T3_PNSL_ISQ_E10value_typeET4_jRbjT5_SW_jjP12ihipStream_tbEUlT_E_NS1_11comp_targetILNS1_3genE9ELNS1_11target_archE1100ELNS1_3gpuE3ELNS1_3repE0EEENS1_30default_config_static_selectorELNS0_4arch9wavefront6targetE1EEEvSK_, .Lfunc_end608-_ZN7rocprim17ROCPRIM_400000_NS6detail17trampoline_kernelINS0_14default_configENS1_36segmented_radix_sort_config_selectorIilEEZNS1_25segmented_radix_sort_implIS3_Lb0EPKiPiPKlPlN2at6native12_GLOBAL__N_18offset_tEEE10hipError_tPvRmT1_PNSt15iterator_traitsISK_E10value_typeET2_T3_PNSL_ISQ_E10value_typeET4_jRbjT5_SW_jjP12ihipStream_tbEUlT_E_NS1_11comp_targetILNS1_3genE9ELNS1_11target_archE1100ELNS1_3gpuE3ELNS1_3repE0EEENS1_30default_config_static_selectorELNS0_4arch9wavefront6targetE1EEEvSK_
                                        ; -- End function
	.section	.AMDGPU.csdata,"",@progbits
; Kernel info:
; codeLenInByte = 0
; NumSgprs: 4
; NumVgprs: 0
; NumAgprs: 0
; TotalNumVgprs: 0
; ScratchSize: 0
; MemoryBound: 0
; FloatMode: 240
; IeeeMode: 1
; LDSByteSize: 0 bytes/workgroup (compile time only)
; SGPRBlocks: 0
; VGPRBlocks: 0
; NumSGPRsForWavesPerEU: 4
; NumVGPRsForWavesPerEU: 1
; AccumOffset: 4
; Occupancy: 8
; WaveLimiterHint : 0
; COMPUTE_PGM_RSRC2:SCRATCH_EN: 0
; COMPUTE_PGM_RSRC2:USER_SGPR: 6
; COMPUTE_PGM_RSRC2:TRAP_HANDLER: 0
; COMPUTE_PGM_RSRC2:TGID_X_EN: 1
; COMPUTE_PGM_RSRC2:TGID_Y_EN: 0
; COMPUTE_PGM_RSRC2:TGID_Z_EN: 0
; COMPUTE_PGM_RSRC2:TIDIG_COMP_CNT: 0
; COMPUTE_PGM_RSRC3_GFX90A:ACCUM_OFFSET: 0
; COMPUTE_PGM_RSRC3_GFX90A:TG_SPLIT: 0
	.section	.text._ZN7rocprim17ROCPRIM_400000_NS6detail17trampoline_kernelINS0_14default_configENS1_36segmented_radix_sort_config_selectorIilEEZNS1_25segmented_radix_sort_implIS3_Lb0EPKiPiPKlPlN2at6native12_GLOBAL__N_18offset_tEEE10hipError_tPvRmT1_PNSt15iterator_traitsISK_E10value_typeET2_T3_PNSL_ISQ_E10value_typeET4_jRbjT5_SW_jjP12ihipStream_tbEUlT_E_NS1_11comp_targetILNS1_3genE8ELNS1_11target_archE1030ELNS1_3gpuE2ELNS1_3repE0EEENS1_30default_config_static_selectorELNS0_4arch9wavefront6targetE1EEEvSK_,"axG",@progbits,_ZN7rocprim17ROCPRIM_400000_NS6detail17trampoline_kernelINS0_14default_configENS1_36segmented_radix_sort_config_selectorIilEEZNS1_25segmented_radix_sort_implIS3_Lb0EPKiPiPKlPlN2at6native12_GLOBAL__N_18offset_tEEE10hipError_tPvRmT1_PNSt15iterator_traitsISK_E10value_typeET2_T3_PNSL_ISQ_E10value_typeET4_jRbjT5_SW_jjP12ihipStream_tbEUlT_E_NS1_11comp_targetILNS1_3genE8ELNS1_11target_archE1030ELNS1_3gpuE2ELNS1_3repE0EEENS1_30default_config_static_selectorELNS0_4arch9wavefront6targetE1EEEvSK_,comdat
	.globl	_ZN7rocprim17ROCPRIM_400000_NS6detail17trampoline_kernelINS0_14default_configENS1_36segmented_radix_sort_config_selectorIilEEZNS1_25segmented_radix_sort_implIS3_Lb0EPKiPiPKlPlN2at6native12_GLOBAL__N_18offset_tEEE10hipError_tPvRmT1_PNSt15iterator_traitsISK_E10value_typeET2_T3_PNSL_ISQ_E10value_typeET4_jRbjT5_SW_jjP12ihipStream_tbEUlT_E_NS1_11comp_targetILNS1_3genE8ELNS1_11target_archE1030ELNS1_3gpuE2ELNS1_3repE0EEENS1_30default_config_static_selectorELNS0_4arch9wavefront6targetE1EEEvSK_ ; -- Begin function _ZN7rocprim17ROCPRIM_400000_NS6detail17trampoline_kernelINS0_14default_configENS1_36segmented_radix_sort_config_selectorIilEEZNS1_25segmented_radix_sort_implIS3_Lb0EPKiPiPKlPlN2at6native12_GLOBAL__N_18offset_tEEE10hipError_tPvRmT1_PNSt15iterator_traitsISK_E10value_typeET2_T3_PNSL_ISQ_E10value_typeET4_jRbjT5_SW_jjP12ihipStream_tbEUlT_E_NS1_11comp_targetILNS1_3genE8ELNS1_11target_archE1030ELNS1_3gpuE2ELNS1_3repE0EEENS1_30default_config_static_selectorELNS0_4arch9wavefront6targetE1EEEvSK_
	.p2align	8
	.type	_ZN7rocprim17ROCPRIM_400000_NS6detail17trampoline_kernelINS0_14default_configENS1_36segmented_radix_sort_config_selectorIilEEZNS1_25segmented_radix_sort_implIS3_Lb0EPKiPiPKlPlN2at6native12_GLOBAL__N_18offset_tEEE10hipError_tPvRmT1_PNSt15iterator_traitsISK_E10value_typeET2_T3_PNSL_ISQ_E10value_typeET4_jRbjT5_SW_jjP12ihipStream_tbEUlT_E_NS1_11comp_targetILNS1_3genE8ELNS1_11target_archE1030ELNS1_3gpuE2ELNS1_3repE0EEENS1_30default_config_static_selectorELNS0_4arch9wavefront6targetE1EEEvSK_,@function
_ZN7rocprim17ROCPRIM_400000_NS6detail17trampoline_kernelINS0_14default_configENS1_36segmented_radix_sort_config_selectorIilEEZNS1_25segmented_radix_sort_implIS3_Lb0EPKiPiPKlPlN2at6native12_GLOBAL__N_18offset_tEEE10hipError_tPvRmT1_PNSt15iterator_traitsISK_E10value_typeET2_T3_PNSL_ISQ_E10value_typeET4_jRbjT5_SW_jjP12ihipStream_tbEUlT_E_NS1_11comp_targetILNS1_3genE8ELNS1_11target_archE1030ELNS1_3gpuE2ELNS1_3repE0EEENS1_30default_config_static_selectorELNS0_4arch9wavefront6targetE1EEEvSK_: ; @_ZN7rocprim17ROCPRIM_400000_NS6detail17trampoline_kernelINS0_14default_configENS1_36segmented_radix_sort_config_selectorIilEEZNS1_25segmented_radix_sort_implIS3_Lb0EPKiPiPKlPlN2at6native12_GLOBAL__N_18offset_tEEE10hipError_tPvRmT1_PNSt15iterator_traitsISK_E10value_typeET2_T3_PNSL_ISQ_E10value_typeET4_jRbjT5_SW_jjP12ihipStream_tbEUlT_E_NS1_11comp_targetILNS1_3genE8ELNS1_11target_archE1030ELNS1_3gpuE2ELNS1_3repE0EEENS1_30default_config_static_selectorELNS0_4arch9wavefront6targetE1EEEvSK_
; %bb.0:
	.section	.rodata,"a",@progbits
	.p2align	6, 0x0
	.amdhsa_kernel _ZN7rocprim17ROCPRIM_400000_NS6detail17trampoline_kernelINS0_14default_configENS1_36segmented_radix_sort_config_selectorIilEEZNS1_25segmented_radix_sort_implIS3_Lb0EPKiPiPKlPlN2at6native12_GLOBAL__N_18offset_tEEE10hipError_tPvRmT1_PNSt15iterator_traitsISK_E10value_typeET2_T3_PNSL_ISQ_E10value_typeET4_jRbjT5_SW_jjP12ihipStream_tbEUlT_E_NS1_11comp_targetILNS1_3genE8ELNS1_11target_archE1030ELNS1_3gpuE2ELNS1_3repE0EEENS1_30default_config_static_selectorELNS0_4arch9wavefront6targetE1EEEvSK_
		.amdhsa_group_segment_fixed_size 0
		.amdhsa_private_segment_fixed_size 0
		.amdhsa_kernarg_size 96
		.amdhsa_user_sgpr_count 6
		.amdhsa_user_sgpr_private_segment_buffer 1
		.amdhsa_user_sgpr_dispatch_ptr 0
		.amdhsa_user_sgpr_queue_ptr 0
		.amdhsa_user_sgpr_kernarg_segment_ptr 1
		.amdhsa_user_sgpr_dispatch_id 0
		.amdhsa_user_sgpr_flat_scratch_init 0
		.amdhsa_user_sgpr_kernarg_preload_length 0
		.amdhsa_user_sgpr_kernarg_preload_offset 0
		.amdhsa_user_sgpr_private_segment_size 0
		.amdhsa_uses_dynamic_stack 0
		.amdhsa_system_sgpr_private_segment_wavefront_offset 0
		.amdhsa_system_sgpr_workgroup_id_x 1
		.amdhsa_system_sgpr_workgroup_id_y 0
		.amdhsa_system_sgpr_workgroup_id_z 0
		.amdhsa_system_sgpr_workgroup_info 0
		.amdhsa_system_vgpr_workitem_id 0
		.amdhsa_next_free_vgpr 1
		.amdhsa_next_free_sgpr 0
		.amdhsa_accum_offset 4
		.amdhsa_reserve_vcc 0
		.amdhsa_reserve_flat_scratch 0
		.amdhsa_float_round_mode_32 0
		.amdhsa_float_round_mode_16_64 0
		.amdhsa_float_denorm_mode_32 3
		.amdhsa_float_denorm_mode_16_64 3
		.amdhsa_dx10_clamp 1
		.amdhsa_ieee_mode 1
		.amdhsa_fp16_overflow 0
		.amdhsa_tg_split 0
		.amdhsa_exception_fp_ieee_invalid_op 0
		.amdhsa_exception_fp_denorm_src 0
		.amdhsa_exception_fp_ieee_div_zero 0
		.amdhsa_exception_fp_ieee_overflow 0
		.amdhsa_exception_fp_ieee_underflow 0
		.amdhsa_exception_fp_ieee_inexact 0
		.amdhsa_exception_int_div_zero 0
	.end_amdhsa_kernel
	.section	.text._ZN7rocprim17ROCPRIM_400000_NS6detail17trampoline_kernelINS0_14default_configENS1_36segmented_radix_sort_config_selectorIilEEZNS1_25segmented_radix_sort_implIS3_Lb0EPKiPiPKlPlN2at6native12_GLOBAL__N_18offset_tEEE10hipError_tPvRmT1_PNSt15iterator_traitsISK_E10value_typeET2_T3_PNSL_ISQ_E10value_typeET4_jRbjT5_SW_jjP12ihipStream_tbEUlT_E_NS1_11comp_targetILNS1_3genE8ELNS1_11target_archE1030ELNS1_3gpuE2ELNS1_3repE0EEENS1_30default_config_static_selectorELNS0_4arch9wavefront6targetE1EEEvSK_,"axG",@progbits,_ZN7rocprim17ROCPRIM_400000_NS6detail17trampoline_kernelINS0_14default_configENS1_36segmented_radix_sort_config_selectorIilEEZNS1_25segmented_radix_sort_implIS3_Lb0EPKiPiPKlPlN2at6native12_GLOBAL__N_18offset_tEEE10hipError_tPvRmT1_PNSt15iterator_traitsISK_E10value_typeET2_T3_PNSL_ISQ_E10value_typeET4_jRbjT5_SW_jjP12ihipStream_tbEUlT_E_NS1_11comp_targetILNS1_3genE8ELNS1_11target_archE1030ELNS1_3gpuE2ELNS1_3repE0EEENS1_30default_config_static_selectorELNS0_4arch9wavefront6targetE1EEEvSK_,comdat
.Lfunc_end609:
	.size	_ZN7rocprim17ROCPRIM_400000_NS6detail17trampoline_kernelINS0_14default_configENS1_36segmented_radix_sort_config_selectorIilEEZNS1_25segmented_radix_sort_implIS3_Lb0EPKiPiPKlPlN2at6native12_GLOBAL__N_18offset_tEEE10hipError_tPvRmT1_PNSt15iterator_traitsISK_E10value_typeET2_T3_PNSL_ISQ_E10value_typeET4_jRbjT5_SW_jjP12ihipStream_tbEUlT_E_NS1_11comp_targetILNS1_3genE8ELNS1_11target_archE1030ELNS1_3gpuE2ELNS1_3repE0EEENS1_30default_config_static_selectorELNS0_4arch9wavefront6targetE1EEEvSK_, .Lfunc_end609-_ZN7rocprim17ROCPRIM_400000_NS6detail17trampoline_kernelINS0_14default_configENS1_36segmented_radix_sort_config_selectorIilEEZNS1_25segmented_radix_sort_implIS3_Lb0EPKiPiPKlPlN2at6native12_GLOBAL__N_18offset_tEEE10hipError_tPvRmT1_PNSt15iterator_traitsISK_E10value_typeET2_T3_PNSL_ISQ_E10value_typeET4_jRbjT5_SW_jjP12ihipStream_tbEUlT_E_NS1_11comp_targetILNS1_3genE8ELNS1_11target_archE1030ELNS1_3gpuE2ELNS1_3repE0EEENS1_30default_config_static_selectorELNS0_4arch9wavefront6targetE1EEEvSK_
                                        ; -- End function
	.section	.AMDGPU.csdata,"",@progbits
; Kernel info:
; codeLenInByte = 0
; NumSgprs: 4
; NumVgprs: 0
; NumAgprs: 0
; TotalNumVgprs: 0
; ScratchSize: 0
; MemoryBound: 0
; FloatMode: 240
; IeeeMode: 1
; LDSByteSize: 0 bytes/workgroup (compile time only)
; SGPRBlocks: 0
; VGPRBlocks: 0
; NumSGPRsForWavesPerEU: 4
; NumVGPRsForWavesPerEU: 1
; AccumOffset: 4
; Occupancy: 8
; WaveLimiterHint : 0
; COMPUTE_PGM_RSRC2:SCRATCH_EN: 0
; COMPUTE_PGM_RSRC2:USER_SGPR: 6
; COMPUTE_PGM_RSRC2:TRAP_HANDLER: 0
; COMPUTE_PGM_RSRC2:TGID_X_EN: 1
; COMPUTE_PGM_RSRC2:TGID_Y_EN: 0
; COMPUTE_PGM_RSRC2:TGID_Z_EN: 0
; COMPUTE_PGM_RSRC2:TIDIG_COMP_CNT: 0
; COMPUTE_PGM_RSRC3_GFX90A:ACCUM_OFFSET: 0
; COMPUTE_PGM_RSRC3_GFX90A:TG_SPLIT: 0
	.section	.text._ZN7rocprim17ROCPRIM_400000_NS6detail17trampoline_kernelINS0_14default_configENS1_36segmented_radix_sort_config_selectorIilEEZNS1_25segmented_radix_sort_implIS3_Lb0EPKiPiPKlPlN2at6native12_GLOBAL__N_18offset_tEEE10hipError_tPvRmT1_PNSt15iterator_traitsISK_E10value_typeET2_T3_PNSL_ISQ_E10value_typeET4_jRbjT5_SW_jjP12ihipStream_tbEUlT_E0_NS1_11comp_targetILNS1_3genE0ELNS1_11target_archE4294967295ELNS1_3gpuE0ELNS1_3repE0EEENS1_60segmented_radix_sort_warp_sort_medium_config_static_selectorELNS0_4arch9wavefront6targetE1EEEvSK_,"axG",@progbits,_ZN7rocprim17ROCPRIM_400000_NS6detail17trampoline_kernelINS0_14default_configENS1_36segmented_radix_sort_config_selectorIilEEZNS1_25segmented_radix_sort_implIS3_Lb0EPKiPiPKlPlN2at6native12_GLOBAL__N_18offset_tEEE10hipError_tPvRmT1_PNSt15iterator_traitsISK_E10value_typeET2_T3_PNSL_ISQ_E10value_typeET4_jRbjT5_SW_jjP12ihipStream_tbEUlT_E0_NS1_11comp_targetILNS1_3genE0ELNS1_11target_archE4294967295ELNS1_3gpuE0ELNS1_3repE0EEENS1_60segmented_radix_sort_warp_sort_medium_config_static_selectorELNS0_4arch9wavefront6targetE1EEEvSK_,comdat
	.globl	_ZN7rocprim17ROCPRIM_400000_NS6detail17trampoline_kernelINS0_14default_configENS1_36segmented_radix_sort_config_selectorIilEEZNS1_25segmented_radix_sort_implIS3_Lb0EPKiPiPKlPlN2at6native12_GLOBAL__N_18offset_tEEE10hipError_tPvRmT1_PNSt15iterator_traitsISK_E10value_typeET2_T3_PNSL_ISQ_E10value_typeET4_jRbjT5_SW_jjP12ihipStream_tbEUlT_E0_NS1_11comp_targetILNS1_3genE0ELNS1_11target_archE4294967295ELNS1_3gpuE0ELNS1_3repE0EEENS1_60segmented_radix_sort_warp_sort_medium_config_static_selectorELNS0_4arch9wavefront6targetE1EEEvSK_ ; -- Begin function _ZN7rocprim17ROCPRIM_400000_NS6detail17trampoline_kernelINS0_14default_configENS1_36segmented_radix_sort_config_selectorIilEEZNS1_25segmented_radix_sort_implIS3_Lb0EPKiPiPKlPlN2at6native12_GLOBAL__N_18offset_tEEE10hipError_tPvRmT1_PNSt15iterator_traitsISK_E10value_typeET2_T3_PNSL_ISQ_E10value_typeET4_jRbjT5_SW_jjP12ihipStream_tbEUlT_E0_NS1_11comp_targetILNS1_3genE0ELNS1_11target_archE4294967295ELNS1_3gpuE0ELNS1_3repE0EEENS1_60segmented_radix_sort_warp_sort_medium_config_static_selectorELNS0_4arch9wavefront6targetE1EEEvSK_
	.p2align	8
	.type	_ZN7rocprim17ROCPRIM_400000_NS6detail17trampoline_kernelINS0_14default_configENS1_36segmented_radix_sort_config_selectorIilEEZNS1_25segmented_radix_sort_implIS3_Lb0EPKiPiPKlPlN2at6native12_GLOBAL__N_18offset_tEEE10hipError_tPvRmT1_PNSt15iterator_traitsISK_E10value_typeET2_T3_PNSL_ISQ_E10value_typeET4_jRbjT5_SW_jjP12ihipStream_tbEUlT_E0_NS1_11comp_targetILNS1_3genE0ELNS1_11target_archE4294967295ELNS1_3gpuE0ELNS1_3repE0EEENS1_60segmented_radix_sort_warp_sort_medium_config_static_selectorELNS0_4arch9wavefront6targetE1EEEvSK_,@function
_ZN7rocprim17ROCPRIM_400000_NS6detail17trampoline_kernelINS0_14default_configENS1_36segmented_radix_sort_config_selectorIilEEZNS1_25segmented_radix_sort_implIS3_Lb0EPKiPiPKlPlN2at6native12_GLOBAL__N_18offset_tEEE10hipError_tPvRmT1_PNSt15iterator_traitsISK_E10value_typeET2_T3_PNSL_ISQ_E10value_typeET4_jRbjT5_SW_jjP12ihipStream_tbEUlT_E0_NS1_11comp_targetILNS1_3genE0ELNS1_11target_archE4294967295ELNS1_3gpuE0ELNS1_3repE0EEENS1_60segmented_radix_sort_warp_sort_medium_config_static_selectorELNS0_4arch9wavefront6targetE1EEEvSK_: ; @_ZN7rocprim17ROCPRIM_400000_NS6detail17trampoline_kernelINS0_14default_configENS1_36segmented_radix_sort_config_selectorIilEEZNS1_25segmented_radix_sort_implIS3_Lb0EPKiPiPKlPlN2at6native12_GLOBAL__N_18offset_tEEE10hipError_tPvRmT1_PNSt15iterator_traitsISK_E10value_typeET2_T3_PNSL_ISQ_E10value_typeET4_jRbjT5_SW_jjP12ihipStream_tbEUlT_E0_NS1_11comp_targetILNS1_3genE0ELNS1_11target_archE4294967295ELNS1_3gpuE0ELNS1_3repE0EEENS1_60segmented_radix_sort_warp_sort_medium_config_static_selectorELNS0_4arch9wavefront6targetE1EEEvSK_
; %bb.0:
	.section	.rodata,"a",@progbits
	.p2align	6, 0x0
	.amdhsa_kernel _ZN7rocprim17ROCPRIM_400000_NS6detail17trampoline_kernelINS0_14default_configENS1_36segmented_radix_sort_config_selectorIilEEZNS1_25segmented_radix_sort_implIS3_Lb0EPKiPiPKlPlN2at6native12_GLOBAL__N_18offset_tEEE10hipError_tPvRmT1_PNSt15iterator_traitsISK_E10value_typeET2_T3_PNSL_ISQ_E10value_typeET4_jRbjT5_SW_jjP12ihipStream_tbEUlT_E0_NS1_11comp_targetILNS1_3genE0ELNS1_11target_archE4294967295ELNS1_3gpuE0ELNS1_3repE0EEENS1_60segmented_radix_sort_warp_sort_medium_config_static_selectorELNS0_4arch9wavefront6targetE1EEEvSK_
		.amdhsa_group_segment_fixed_size 0
		.amdhsa_private_segment_fixed_size 0
		.amdhsa_kernarg_size 88
		.amdhsa_user_sgpr_count 6
		.amdhsa_user_sgpr_private_segment_buffer 1
		.amdhsa_user_sgpr_dispatch_ptr 0
		.amdhsa_user_sgpr_queue_ptr 0
		.amdhsa_user_sgpr_kernarg_segment_ptr 1
		.amdhsa_user_sgpr_dispatch_id 0
		.amdhsa_user_sgpr_flat_scratch_init 0
		.amdhsa_user_sgpr_kernarg_preload_length 0
		.amdhsa_user_sgpr_kernarg_preload_offset 0
		.amdhsa_user_sgpr_private_segment_size 0
		.amdhsa_uses_dynamic_stack 0
		.amdhsa_system_sgpr_private_segment_wavefront_offset 0
		.amdhsa_system_sgpr_workgroup_id_x 1
		.amdhsa_system_sgpr_workgroup_id_y 0
		.amdhsa_system_sgpr_workgroup_id_z 0
		.amdhsa_system_sgpr_workgroup_info 0
		.amdhsa_system_vgpr_workitem_id 0
		.amdhsa_next_free_vgpr 1
		.amdhsa_next_free_sgpr 0
		.amdhsa_accum_offset 4
		.amdhsa_reserve_vcc 0
		.amdhsa_reserve_flat_scratch 0
		.amdhsa_float_round_mode_32 0
		.amdhsa_float_round_mode_16_64 0
		.amdhsa_float_denorm_mode_32 3
		.amdhsa_float_denorm_mode_16_64 3
		.amdhsa_dx10_clamp 1
		.amdhsa_ieee_mode 1
		.amdhsa_fp16_overflow 0
		.amdhsa_tg_split 0
		.amdhsa_exception_fp_ieee_invalid_op 0
		.amdhsa_exception_fp_denorm_src 0
		.amdhsa_exception_fp_ieee_div_zero 0
		.amdhsa_exception_fp_ieee_overflow 0
		.amdhsa_exception_fp_ieee_underflow 0
		.amdhsa_exception_fp_ieee_inexact 0
		.amdhsa_exception_int_div_zero 0
	.end_amdhsa_kernel
	.section	.text._ZN7rocprim17ROCPRIM_400000_NS6detail17trampoline_kernelINS0_14default_configENS1_36segmented_radix_sort_config_selectorIilEEZNS1_25segmented_radix_sort_implIS3_Lb0EPKiPiPKlPlN2at6native12_GLOBAL__N_18offset_tEEE10hipError_tPvRmT1_PNSt15iterator_traitsISK_E10value_typeET2_T3_PNSL_ISQ_E10value_typeET4_jRbjT5_SW_jjP12ihipStream_tbEUlT_E0_NS1_11comp_targetILNS1_3genE0ELNS1_11target_archE4294967295ELNS1_3gpuE0ELNS1_3repE0EEENS1_60segmented_radix_sort_warp_sort_medium_config_static_selectorELNS0_4arch9wavefront6targetE1EEEvSK_,"axG",@progbits,_ZN7rocprim17ROCPRIM_400000_NS6detail17trampoline_kernelINS0_14default_configENS1_36segmented_radix_sort_config_selectorIilEEZNS1_25segmented_radix_sort_implIS3_Lb0EPKiPiPKlPlN2at6native12_GLOBAL__N_18offset_tEEE10hipError_tPvRmT1_PNSt15iterator_traitsISK_E10value_typeET2_T3_PNSL_ISQ_E10value_typeET4_jRbjT5_SW_jjP12ihipStream_tbEUlT_E0_NS1_11comp_targetILNS1_3genE0ELNS1_11target_archE4294967295ELNS1_3gpuE0ELNS1_3repE0EEENS1_60segmented_radix_sort_warp_sort_medium_config_static_selectorELNS0_4arch9wavefront6targetE1EEEvSK_,comdat
.Lfunc_end610:
	.size	_ZN7rocprim17ROCPRIM_400000_NS6detail17trampoline_kernelINS0_14default_configENS1_36segmented_radix_sort_config_selectorIilEEZNS1_25segmented_radix_sort_implIS3_Lb0EPKiPiPKlPlN2at6native12_GLOBAL__N_18offset_tEEE10hipError_tPvRmT1_PNSt15iterator_traitsISK_E10value_typeET2_T3_PNSL_ISQ_E10value_typeET4_jRbjT5_SW_jjP12ihipStream_tbEUlT_E0_NS1_11comp_targetILNS1_3genE0ELNS1_11target_archE4294967295ELNS1_3gpuE0ELNS1_3repE0EEENS1_60segmented_radix_sort_warp_sort_medium_config_static_selectorELNS0_4arch9wavefront6targetE1EEEvSK_, .Lfunc_end610-_ZN7rocprim17ROCPRIM_400000_NS6detail17trampoline_kernelINS0_14default_configENS1_36segmented_radix_sort_config_selectorIilEEZNS1_25segmented_radix_sort_implIS3_Lb0EPKiPiPKlPlN2at6native12_GLOBAL__N_18offset_tEEE10hipError_tPvRmT1_PNSt15iterator_traitsISK_E10value_typeET2_T3_PNSL_ISQ_E10value_typeET4_jRbjT5_SW_jjP12ihipStream_tbEUlT_E0_NS1_11comp_targetILNS1_3genE0ELNS1_11target_archE4294967295ELNS1_3gpuE0ELNS1_3repE0EEENS1_60segmented_radix_sort_warp_sort_medium_config_static_selectorELNS0_4arch9wavefront6targetE1EEEvSK_
                                        ; -- End function
	.section	.AMDGPU.csdata,"",@progbits
; Kernel info:
; codeLenInByte = 0
; NumSgprs: 4
; NumVgprs: 0
; NumAgprs: 0
; TotalNumVgprs: 0
; ScratchSize: 0
; MemoryBound: 0
; FloatMode: 240
; IeeeMode: 1
; LDSByteSize: 0 bytes/workgroup (compile time only)
; SGPRBlocks: 0
; VGPRBlocks: 0
; NumSGPRsForWavesPerEU: 4
; NumVGPRsForWavesPerEU: 1
; AccumOffset: 4
; Occupancy: 8
; WaveLimiterHint : 0
; COMPUTE_PGM_RSRC2:SCRATCH_EN: 0
; COMPUTE_PGM_RSRC2:USER_SGPR: 6
; COMPUTE_PGM_RSRC2:TRAP_HANDLER: 0
; COMPUTE_PGM_RSRC2:TGID_X_EN: 1
; COMPUTE_PGM_RSRC2:TGID_Y_EN: 0
; COMPUTE_PGM_RSRC2:TGID_Z_EN: 0
; COMPUTE_PGM_RSRC2:TIDIG_COMP_CNT: 0
; COMPUTE_PGM_RSRC3_GFX90A:ACCUM_OFFSET: 0
; COMPUTE_PGM_RSRC3_GFX90A:TG_SPLIT: 0
	.section	.text._ZN7rocprim17ROCPRIM_400000_NS6detail17trampoline_kernelINS0_14default_configENS1_36segmented_radix_sort_config_selectorIilEEZNS1_25segmented_radix_sort_implIS3_Lb0EPKiPiPKlPlN2at6native12_GLOBAL__N_18offset_tEEE10hipError_tPvRmT1_PNSt15iterator_traitsISK_E10value_typeET2_T3_PNSL_ISQ_E10value_typeET4_jRbjT5_SW_jjP12ihipStream_tbEUlT_E0_NS1_11comp_targetILNS1_3genE5ELNS1_11target_archE942ELNS1_3gpuE9ELNS1_3repE0EEENS1_60segmented_radix_sort_warp_sort_medium_config_static_selectorELNS0_4arch9wavefront6targetE1EEEvSK_,"axG",@progbits,_ZN7rocprim17ROCPRIM_400000_NS6detail17trampoline_kernelINS0_14default_configENS1_36segmented_radix_sort_config_selectorIilEEZNS1_25segmented_radix_sort_implIS3_Lb0EPKiPiPKlPlN2at6native12_GLOBAL__N_18offset_tEEE10hipError_tPvRmT1_PNSt15iterator_traitsISK_E10value_typeET2_T3_PNSL_ISQ_E10value_typeET4_jRbjT5_SW_jjP12ihipStream_tbEUlT_E0_NS1_11comp_targetILNS1_3genE5ELNS1_11target_archE942ELNS1_3gpuE9ELNS1_3repE0EEENS1_60segmented_radix_sort_warp_sort_medium_config_static_selectorELNS0_4arch9wavefront6targetE1EEEvSK_,comdat
	.globl	_ZN7rocprim17ROCPRIM_400000_NS6detail17trampoline_kernelINS0_14default_configENS1_36segmented_radix_sort_config_selectorIilEEZNS1_25segmented_radix_sort_implIS3_Lb0EPKiPiPKlPlN2at6native12_GLOBAL__N_18offset_tEEE10hipError_tPvRmT1_PNSt15iterator_traitsISK_E10value_typeET2_T3_PNSL_ISQ_E10value_typeET4_jRbjT5_SW_jjP12ihipStream_tbEUlT_E0_NS1_11comp_targetILNS1_3genE5ELNS1_11target_archE942ELNS1_3gpuE9ELNS1_3repE0EEENS1_60segmented_radix_sort_warp_sort_medium_config_static_selectorELNS0_4arch9wavefront6targetE1EEEvSK_ ; -- Begin function _ZN7rocprim17ROCPRIM_400000_NS6detail17trampoline_kernelINS0_14default_configENS1_36segmented_radix_sort_config_selectorIilEEZNS1_25segmented_radix_sort_implIS3_Lb0EPKiPiPKlPlN2at6native12_GLOBAL__N_18offset_tEEE10hipError_tPvRmT1_PNSt15iterator_traitsISK_E10value_typeET2_T3_PNSL_ISQ_E10value_typeET4_jRbjT5_SW_jjP12ihipStream_tbEUlT_E0_NS1_11comp_targetILNS1_3genE5ELNS1_11target_archE942ELNS1_3gpuE9ELNS1_3repE0EEENS1_60segmented_radix_sort_warp_sort_medium_config_static_selectorELNS0_4arch9wavefront6targetE1EEEvSK_
	.p2align	8
	.type	_ZN7rocprim17ROCPRIM_400000_NS6detail17trampoline_kernelINS0_14default_configENS1_36segmented_radix_sort_config_selectorIilEEZNS1_25segmented_radix_sort_implIS3_Lb0EPKiPiPKlPlN2at6native12_GLOBAL__N_18offset_tEEE10hipError_tPvRmT1_PNSt15iterator_traitsISK_E10value_typeET2_T3_PNSL_ISQ_E10value_typeET4_jRbjT5_SW_jjP12ihipStream_tbEUlT_E0_NS1_11comp_targetILNS1_3genE5ELNS1_11target_archE942ELNS1_3gpuE9ELNS1_3repE0EEENS1_60segmented_radix_sort_warp_sort_medium_config_static_selectorELNS0_4arch9wavefront6targetE1EEEvSK_,@function
_ZN7rocprim17ROCPRIM_400000_NS6detail17trampoline_kernelINS0_14default_configENS1_36segmented_radix_sort_config_selectorIilEEZNS1_25segmented_radix_sort_implIS3_Lb0EPKiPiPKlPlN2at6native12_GLOBAL__N_18offset_tEEE10hipError_tPvRmT1_PNSt15iterator_traitsISK_E10value_typeET2_T3_PNSL_ISQ_E10value_typeET4_jRbjT5_SW_jjP12ihipStream_tbEUlT_E0_NS1_11comp_targetILNS1_3genE5ELNS1_11target_archE942ELNS1_3gpuE9ELNS1_3repE0EEENS1_60segmented_radix_sort_warp_sort_medium_config_static_selectorELNS0_4arch9wavefront6targetE1EEEvSK_: ; @_ZN7rocprim17ROCPRIM_400000_NS6detail17trampoline_kernelINS0_14default_configENS1_36segmented_radix_sort_config_selectorIilEEZNS1_25segmented_radix_sort_implIS3_Lb0EPKiPiPKlPlN2at6native12_GLOBAL__N_18offset_tEEE10hipError_tPvRmT1_PNSt15iterator_traitsISK_E10value_typeET2_T3_PNSL_ISQ_E10value_typeET4_jRbjT5_SW_jjP12ihipStream_tbEUlT_E0_NS1_11comp_targetILNS1_3genE5ELNS1_11target_archE942ELNS1_3gpuE9ELNS1_3repE0EEENS1_60segmented_radix_sort_warp_sort_medium_config_static_selectorELNS0_4arch9wavefront6targetE1EEEvSK_
; %bb.0:
	.section	.rodata,"a",@progbits
	.p2align	6, 0x0
	.amdhsa_kernel _ZN7rocprim17ROCPRIM_400000_NS6detail17trampoline_kernelINS0_14default_configENS1_36segmented_radix_sort_config_selectorIilEEZNS1_25segmented_radix_sort_implIS3_Lb0EPKiPiPKlPlN2at6native12_GLOBAL__N_18offset_tEEE10hipError_tPvRmT1_PNSt15iterator_traitsISK_E10value_typeET2_T3_PNSL_ISQ_E10value_typeET4_jRbjT5_SW_jjP12ihipStream_tbEUlT_E0_NS1_11comp_targetILNS1_3genE5ELNS1_11target_archE942ELNS1_3gpuE9ELNS1_3repE0EEENS1_60segmented_radix_sort_warp_sort_medium_config_static_selectorELNS0_4arch9wavefront6targetE1EEEvSK_
		.amdhsa_group_segment_fixed_size 0
		.amdhsa_private_segment_fixed_size 0
		.amdhsa_kernarg_size 88
		.amdhsa_user_sgpr_count 6
		.amdhsa_user_sgpr_private_segment_buffer 1
		.amdhsa_user_sgpr_dispatch_ptr 0
		.amdhsa_user_sgpr_queue_ptr 0
		.amdhsa_user_sgpr_kernarg_segment_ptr 1
		.amdhsa_user_sgpr_dispatch_id 0
		.amdhsa_user_sgpr_flat_scratch_init 0
		.amdhsa_user_sgpr_kernarg_preload_length 0
		.amdhsa_user_sgpr_kernarg_preload_offset 0
		.amdhsa_user_sgpr_private_segment_size 0
		.amdhsa_uses_dynamic_stack 0
		.amdhsa_system_sgpr_private_segment_wavefront_offset 0
		.amdhsa_system_sgpr_workgroup_id_x 1
		.amdhsa_system_sgpr_workgroup_id_y 0
		.amdhsa_system_sgpr_workgroup_id_z 0
		.amdhsa_system_sgpr_workgroup_info 0
		.amdhsa_system_vgpr_workitem_id 0
		.amdhsa_next_free_vgpr 1
		.amdhsa_next_free_sgpr 0
		.amdhsa_accum_offset 4
		.amdhsa_reserve_vcc 0
		.amdhsa_reserve_flat_scratch 0
		.amdhsa_float_round_mode_32 0
		.amdhsa_float_round_mode_16_64 0
		.amdhsa_float_denorm_mode_32 3
		.amdhsa_float_denorm_mode_16_64 3
		.amdhsa_dx10_clamp 1
		.amdhsa_ieee_mode 1
		.amdhsa_fp16_overflow 0
		.amdhsa_tg_split 0
		.amdhsa_exception_fp_ieee_invalid_op 0
		.amdhsa_exception_fp_denorm_src 0
		.amdhsa_exception_fp_ieee_div_zero 0
		.amdhsa_exception_fp_ieee_overflow 0
		.amdhsa_exception_fp_ieee_underflow 0
		.amdhsa_exception_fp_ieee_inexact 0
		.amdhsa_exception_int_div_zero 0
	.end_amdhsa_kernel
	.section	.text._ZN7rocprim17ROCPRIM_400000_NS6detail17trampoline_kernelINS0_14default_configENS1_36segmented_radix_sort_config_selectorIilEEZNS1_25segmented_radix_sort_implIS3_Lb0EPKiPiPKlPlN2at6native12_GLOBAL__N_18offset_tEEE10hipError_tPvRmT1_PNSt15iterator_traitsISK_E10value_typeET2_T3_PNSL_ISQ_E10value_typeET4_jRbjT5_SW_jjP12ihipStream_tbEUlT_E0_NS1_11comp_targetILNS1_3genE5ELNS1_11target_archE942ELNS1_3gpuE9ELNS1_3repE0EEENS1_60segmented_radix_sort_warp_sort_medium_config_static_selectorELNS0_4arch9wavefront6targetE1EEEvSK_,"axG",@progbits,_ZN7rocprim17ROCPRIM_400000_NS6detail17trampoline_kernelINS0_14default_configENS1_36segmented_radix_sort_config_selectorIilEEZNS1_25segmented_radix_sort_implIS3_Lb0EPKiPiPKlPlN2at6native12_GLOBAL__N_18offset_tEEE10hipError_tPvRmT1_PNSt15iterator_traitsISK_E10value_typeET2_T3_PNSL_ISQ_E10value_typeET4_jRbjT5_SW_jjP12ihipStream_tbEUlT_E0_NS1_11comp_targetILNS1_3genE5ELNS1_11target_archE942ELNS1_3gpuE9ELNS1_3repE0EEENS1_60segmented_radix_sort_warp_sort_medium_config_static_selectorELNS0_4arch9wavefront6targetE1EEEvSK_,comdat
.Lfunc_end611:
	.size	_ZN7rocprim17ROCPRIM_400000_NS6detail17trampoline_kernelINS0_14default_configENS1_36segmented_radix_sort_config_selectorIilEEZNS1_25segmented_radix_sort_implIS3_Lb0EPKiPiPKlPlN2at6native12_GLOBAL__N_18offset_tEEE10hipError_tPvRmT1_PNSt15iterator_traitsISK_E10value_typeET2_T3_PNSL_ISQ_E10value_typeET4_jRbjT5_SW_jjP12ihipStream_tbEUlT_E0_NS1_11comp_targetILNS1_3genE5ELNS1_11target_archE942ELNS1_3gpuE9ELNS1_3repE0EEENS1_60segmented_radix_sort_warp_sort_medium_config_static_selectorELNS0_4arch9wavefront6targetE1EEEvSK_, .Lfunc_end611-_ZN7rocprim17ROCPRIM_400000_NS6detail17trampoline_kernelINS0_14default_configENS1_36segmented_radix_sort_config_selectorIilEEZNS1_25segmented_radix_sort_implIS3_Lb0EPKiPiPKlPlN2at6native12_GLOBAL__N_18offset_tEEE10hipError_tPvRmT1_PNSt15iterator_traitsISK_E10value_typeET2_T3_PNSL_ISQ_E10value_typeET4_jRbjT5_SW_jjP12ihipStream_tbEUlT_E0_NS1_11comp_targetILNS1_3genE5ELNS1_11target_archE942ELNS1_3gpuE9ELNS1_3repE0EEENS1_60segmented_radix_sort_warp_sort_medium_config_static_selectorELNS0_4arch9wavefront6targetE1EEEvSK_
                                        ; -- End function
	.section	.AMDGPU.csdata,"",@progbits
; Kernel info:
; codeLenInByte = 0
; NumSgprs: 4
; NumVgprs: 0
; NumAgprs: 0
; TotalNumVgprs: 0
; ScratchSize: 0
; MemoryBound: 0
; FloatMode: 240
; IeeeMode: 1
; LDSByteSize: 0 bytes/workgroup (compile time only)
; SGPRBlocks: 0
; VGPRBlocks: 0
; NumSGPRsForWavesPerEU: 4
; NumVGPRsForWavesPerEU: 1
; AccumOffset: 4
; Occupancy: 8
; WaveLimiterHint : 0
; COMPUTE_PGM_RSRC2:SCRATCH_EN: 0
; COMPUTE_PGM_RSRC2:USER_SGPR: 6
; COMPUTE_PGM_RSRC2:TRAP_HANDLER: 0
; COMPUTE_PGM_RSRC2:TGID_X_EN: 1
; COMPUTE_PGM_RSRC2:TGID_Y_EN: 0
; COMPUTE_PGM_RSRC2:TGID_Z_EN: 0
; COMPUTE_PGM_RSRC2:TIDIG_COMP_CNT: 0
; COMPUTE_PGM_RSRC3_GFX90A:ACCUM_OFFSET: 0
; COMPUTE_PGM_RSRC3_GFX90A:TG_SPLIT: 0
	.text
	.p2align	2                               ; -- Begin function _ZN7rocprim17ROCPRIM_400000_NS6detail26segmented_warp_sort_helperINS1_20WarpSortHelperConfigILj16ELj8ELj256EEEilLi256ELb0EvE4sortIPKiPiPKlPlEEvT_T0_T1_T2_jjjjRNS5_12storage_typeE
	.type	_ZN7rocprim17ROCPRIM_400000_NS6detail26segmented_warp_sort_helperINS1_20WarpSortHelperConfigILj16ELj8ELj256EEEilLi256ELb0EvE4sortIPKiPiPKlPlEEvT_T0_T1_T2_jjjjRNS5_12storage_typeE,@function
_ZN7rocprim17ROCPRIM_400000_NS6detail26segmented_warp_sort_helperINS1_20WarpSortHelperConfigILj16ELj8ELj256EEEilLi256ELb0EvE4sortIPKiPiPKlPlEEvT_T0_T1_T2_jjjjRNS5_12storage_typeE: ; @_ZN7rocprim17ROCPRIM_400000_NS6detail26segmented_warp_sort_helperINS1_20WarpSortHelperConfigILj16ELj8ELj256EEEilLi256ELb0EvE4sortIPKiPiPKlPlEEvT_T0_T1_T2_jjjjRNS5_12storage_typeE
; %bb.0:
	s_waitcnt vmcnt(0) expcnt(0) lgkmcnt(0)
	s_or_saveexec_b64 s[4:5], -1
	buffer_store_dword v40, off, s[0:3], s32 ; 4-byte Folded Spill
	s_mov_b64 exec, s[4:5]
	v_writelane_b32 v40, s34, 0
	v_writelane_b32 v40, s35, 1
	;; [unrolled: 1-line block ×14, first 2 shown]
	v_mbcnt_lo_u32_b32 v13, -1, 0
	v_sub_u32_e32 v12, v9, v8
	v_mov_b32_e32 v9, 0
	v_mbcnt_hi_u32_b32 v13, -1, v13
	v_lshlrev_b64 v[54:55], 2, v[8:9]
	v_lshlrev_b32_e32 v82, 3, v13
	v_add_co_u32_e32 v0, vcc, v0, v54
	v_and_b32_e32 v83, 0x78, v82
	v_addc_co_u32_e32 v1, vcc, v1, v55, vcc
	v_lshlrev_b32_e32 v80, 2, v83
	s_brev_b32 s16, -2
	v_add_co_u32_e32 v0, vcc, v0, v80
	s_mov_b32 s22, s16
	s_mov_b32 s23, s16
	v_addc_co_u32_e32 v1, vcc, 0, v1, vcc
	s_mov_b32 s17, s16
	s_mov_b32 s18, s16
	;; [unrolled: 1-line block ×5, first 2 shown]
	v_pk_mov_b32 v[26:27], s[22:23], s[22:23] op_sel:[0,1]
	v_cmp_lt_u32_e32 vcc, v83, v12
	v_pk_mov_b32 v[24:25], s[20:21], s[20:21] op_sel:[0,1]
	v_pk_mov_b32 v[22:23], s[18:19], s[18:19] op_sel:[0,1]
	;; [unrolled: 1-line block ×3, first 2 shown]
	s_and_saveexec_b64 s[4:5], vcc
	s_cbranch_execz .LBB612_2
; %bb.1:
	flat_load_dword v20, v[0:1]
	v_bfrev_b32_e32 v21, -2
	v_mov_b32_e32 v22, v21
	v_mov_b32_e32 v23, v21
	;; [unrolled: 1-line block ×6, first 2 shown]
.LBB612_2:
	s_or_b64 exec, exec, s[4:5]
	v_or_b32_e32 v13, 1, v83
	v_cmp_lt_u32_e64 s[4:5], v13, v12
	s_and_saveexec_b64 s[6:7], s[4:5]
	s_cbranch_execz .LBB612_4
; %bb.3:
	flat_load_dword v21, v[0:1] offset:4
.LBB612_4:
	s_or_b64 exec, exec, s[6:7]
	v_or_b32_e32 v13, 2, v83
	v_cmp_lt_u32_e64 s[6:7], v13, v12
	s_and_saveexec_b64 s[10:11], s[6:7]
	s_cbranch_execz .LBB612_6
; %bb.5:
	flat_load_dword v22, v[0:1] offset:8
.LBB612_6:
	;; [unrolled: 8-line block ×7, first 2 shown]
	s_or_b64 exec, exec, s[20:21]
	v_lshlrev_b64 v[0:1], 3, v[8:9]
	v_add_co_u32_e64 v4, s[20:21], v4, v0
	v_addc_co_u32_e64 v5, s[20:21], v5, v1, s[20:21]
	v_lshlrev_b32_e32 v81, 3, v83
	v_add_co_u32_e64 v8, s[20:21], v4, v81
	v_addc_co_u32_e64 v9, s[20:21], 0, v5, s[20:21]
	; wave barrier
                                        ; implicit-def: $vgpr4_vgpr5
	s_and_saveexec_b64 s[20:21], vcc
	s_cbranch_execnz .LBB612_236
; %bb.17:
	s_or_b64 exec, exec, s[20:21]
	s_and_saveexec_b64 s[20:21], s[4:5]
                                        ; implicit-def: $vgpr32_vgpr33_vgpr34_vgpr35
	s_cbranch_execnz .LBB612_237
.LBB612_18:
	s_or_b64 exec, exec, s[20:21]
                                        ; implicit-def: $vgpr64_vgpr65
	s_and_saveexec_b64 s[20:21], s[6:7]
	s_cbranch_execnz .LBB612_238
.LBB612_19:
	s_or_b64 exec, exec, s[20:21]
	s_and_saveexec_b64 s[20:21], s[18:19]
                                        ; implicit-def: $vgpr50_vgpr51_vgpr52_vgpr53
	s_cbranch_execnz .LBB612_239
.LBB612_20:
	s_or_b64 exec, exec, s[20:21]
                                        ; implicit-def: $vgpr66_vgpr67
	s_and_saveexec_b64 s[20:21], s[10:11]
	s_cbranch_execnz .LBB612_240
.LBB612_21:
	s_or_b64 exec, exec, s[20:21]
	s_and_saveexec_b64 s[20:21], s[26:27]
                                        ; implicit-def: $vgpr48_vgpr49_vgpr50_vgpr51
	s_cbranch_execnz .LBB612_241
.LBB612_22:
	s_or_b64 exec, exec, s[20:21]
                                        ; implicit-def: $vgpr48_vgpr49
	s_and_saveexec_b64 s[20:21], s[14:15]
	s_cbranch_execnz .LBB612_242
.LBB612_23:
	s_or_b64 exec, exec, s[20:21]
	s_and_saveexec_b64 s[20:21], s[16:17]
                                        ; implicit-def: $vgpr36_vgpr37_vgpr38_vgpr39
	s_cbranch_execz .LBB612_25
.LBB612_24:
	flat_load_dwordx2 v[38:39], v[8:9] offset:56
.LBB612_25:
	s_or_b64 exec, exec, s[20:21]
	v_cmp_ne_u32_e64 s[20:21], 0, v10
	v_cmp_ne_u32_e64 s[22:23], 32, v11
	s_or_b64 s[20:21], s[20:21], s[22:23]
	v_bfe_u32 v8, v31, 10, 10
	v_bfe_u32 v9, v31, 20, 10
	; wave barrier
                                        ; implicit-def: $vgpr12_vgpr13_vgpr14_vgpr15_vgpr16_vgpr17_vgpr18_vgpr19
	s_and_saveexec_b64 s[22:23], s[20:21]
	s_xor_b64 s[42:43], exec, s[22:23]
	s_cbranch_execz .LBB612_121
; %bb.26:
	s_load_dwordx2 s[20:21], s[8:9], 0x0
	v_mov_b32_e32 v12, 0
	v_lshlrev_b32_e64 v11, v11, -1
	v_lshlrev_b32_e64 v10, v10, -1
	v_xor_b32_e32 v84, v11, v10
	s_waitcnt lgkmcnt(0)
	s_cmp_lt_u32 s12, s20
	s_cselect_b32 s22, 12, 18
	s_cmp_lt_u32 s13, s21
	s_cselect_b32 s20, 14, 20
	s_add_u32 s20, s8, s20
	s_addc_u32 s21, s9, 0
	s_add_u32 s22, s8, s22
	s_addc_u32 s23, s9, 0
	global_load_ushort v13, v12, s[20:21]
	global_load_ushort v14, v12, s[22:23]
	v_and_b32_e32 v12, 0x3ff, v31
	s_movk_i32 s20, 0x800
	s_waitcnt vmcnt(0)
	v_mad_u32_u24 v8, v9, v13, v8
	v_mul_lo_u32 v8, v8, v14
	v_add_lshl_u32 v85, v8, v12, 3
	v_pk_mov_b32 v[12:13], v[20:21], v[20:21] op_sel:[0,1]
	v_cmp_gt_u32_e64 s[20:21], s20, v85
	v_pk_mov_b32 v[14:15], v[22:23], v[22:23] op_sel:[0,1]
	v_pk_mov_b32 v[16:17], v[24:25], v[24:25] op_sel:[0,1]
	;; [unrolled: 1-line block ×3, first 2 shown]
	s_and_saveexec_b64 s[22:23], s[20:21]
	s_cbranch_execz .LBB612_80
; %bb.27:
	v_and_b32_e32 v8, v21, v84
	v_and_b32_e32 v9, v20, v84
	v_cmp_gt_u32_e64 s[20:21], v9, v8
	v_pk_mov_b32 v[8:9], v[20:21], v[20:21] op_sel:[0,1]
	v_pk_mov_b32 v[68:69], v[34:35], v[34:35] op_sel:[0,1]
	;; [unrolled: 1-line block ×5, first 2 shown]
	v_mov_b32_e32 v86, v20
	s_and_saveexec_b64 s[24:25], s[20:21]
	s_cbranch_execz .LBB612_29
; %bb.28:
	v_mov_b32_e32 v8, v21
	v_mov_b32_e32 v9, v20
	;; [unrolled: 1-line block ×8, first 2 shown]
	v_pk_mov_b32 v[68:69], v[4:5], v[4:5] op_sel:[0,1]
	v_pk_mov_b32 v[4:5], v[34:35], v[34:35] op_sel:[0,1]
	v_mov_b32_e32 v86, v21
	v_mov_b32_e32 v21, v20
.LBB612_29:
	s_or_b64 exec, exec, s[24:25]
	v_and_b32_e32 v16, v11, v84
	v_and_b32_e32 v17, v10, v84
	v_pk_mov_b32 v[28:29], v[14:15], v[14:15] op_sel:[0,1]
	v_cmp_gt_u32_e64 s[20:21], v17, v16
	v_pk_mov_b32 v[70:71], v[52:53], v[52:53] op_sel:[0,1]
	v_pk_mov_b32 v[26:27], v[12:13], v[12:13] op_sel:[0,1]
	;; [unrolled: 1-line block ×4, first 2 shown]
	v_mov_b32_e32 v20, v11
	s_and_saveexec_b64 s[24:25], s[20:21]
	s_cbranch_execz .LBB612_31
; %bb.30:
	v_mov_b32_e32 v22, v8
	v_mov_b32_e32 v23, v9
	;; [unrolled: 1-line block ×8, first 2 shown]
	v_pk_mov_b32 v[70:71], v[64:65], v[64:65] op_sel:[0,1]
	v_pk_mov_b32 v[64:65], v[52:53], v[52:53] op_sel:[0,1]
	v_mov_b32_e32 v20, v10
	v_mov_b32_e32 v10, v11
.LBB612_31:
	s_or_b64 exec, exec, s[24:25]
	v_and_b32_e32 v8, v27, v84
	v_and_b32_e32 v9, v26, v84
	v_pk_mov_b32 v[36:37], v[28:29], v[28:29] op_sel:[0,1]
	v_cmp_gt_u32_e64 s[20:21], v9, v8
	v_pk_mov_b32 v[8:9], v[66:67], v[66:67] op_sel:[0,1]
	v_pk_mov_b32 v[34:35], v[26:27], v[26:27] op_sel:[0,1]
	v_pk_mov_b32 v[32:33], v[24:25], v[24:25] op_sel:[0,1]
	v_pk_mov_b32 v[30:31], v[22:23], v[22:23] op_sel:[0,1]
	v_mov_b32_e32 v52, v27
	s_and_saveexec_b64 s[24:25], s[20:21]
	s_cbranch_execz .LBB612_33
; %bb.32:
	v_mov_b32_e32 v30, v22
	v_mov_b32_e32 v31, v23
	;; [unrolled: 1-line block ×8, first 2 shown]
	v_pk_mov_b32 v[8:9], v[50:51], v[50:51] op_sel:[0,1]
	v_pk_mov_b32 v[50:51], v[66:67], v[66:67] op_sel:[0,1]
	v_mov_b32_e32 v52, v26
	v_mov_b32_e32 v26, v27
.LBB612_33:
	s_or_b64 exec, exec, s[24:25]
	v_and_b32_e32 v11, v37, v84
	v_and_b32_e32 v12, v36, v84
	v_cmp_gt_u32_e64 s[20:21], v12, v11
	v_pk_mov_b32 v[12:13], v[30:31], v[30:31] op_sel:[0,1]
	v_pk_mov_b32 v[22:23], v[48:49], v[48:49] op_sel:[0,1]
	;; [unrolled: 1-line block ×5, first 2 shown]
	v_mov_b32_e32 v53, v37
	s_and_saveexec_b64 s[24:25], s[20:21]
	s_cbranch_execz .LBB612_35
; %bb.34:
	v_mov_b32_e32 v12, v30
	v_mov_b32_e32 v13, v31
	;; [unrolled: 1-line block ×8, first 2 shown]
	v_pk_mov_b32 v[22:23], v[38:39], v[38:39] op_sel:[0,1]
	v_pk_mov_b32 v[38:39], v[48:49], v[48:49] op_sel:[0,1]
	v_mov_b32_e32 v53, v36
	v_mov_b32_e32 v36, v37
.LBB612_35:
	s_or_b64 exec, exec, s[24:25]
	v_and_b32_e32 v11, v10, v84
	v_and_b32_e32 v24, v21, v84
	v_cmp_gt_u32_e64 s[20:21], v24, v11
	v_pk_mov_b32 v[24:25], v[64:65], v[64:65] op_sel:[0,1]
	v_mov_b32_e32 v35, v10
	s_and_saveexec_b64 s[24:25], s[20:21]
	s_xor_b64 s[20:21], exec, s[24:25]
; %bb.36:
	v_mov_b32_e32 v13, v10
	v_mov_b32_e32 v14, v21
	v_pk_mov_b32 v[24:25], v[68:69], v[68:69] op_sel:[0,1]
	v_pk_mov_b32 v[68:69], v[64:65], v[64:65] op_sel:[0,1]
	v_mov_b32_e32 v35, v21
	v_mov_b32_e32 v21, v10
; %bb.37:
	s_or_b64 exec, exec, s[20:21]
	v_and_b32_e32 v10, v26, v84
	v_and_b32_e32 v11, v20, v84
	v_cmp_gt_u32_e64 s[20:21], v11, v10
	v_pk_mov_b32 v[28:29], v[70:71], v[70:71] op_sel:[0,1]
	v_mov_b32_e32 v37, v26
	s_and_saveexec_b64 s[24:25], s[20:21]
; %bb.38:
	v_mov_b32_e32 v15, v26
	v_mov_b32_e32 v16, v20
	v_pk_mov_b32 v[28:29], v[8:9], v[8:9] op_sel:[0,1]
	v_pk_mov_b32 v[8:9], v[70:71], v[70:71] op_sel:[0,1]
	v_mov_b32_e32 v37, v20
	v_mov_b32_e32 v20, v26
; %bb.39:
	s_or_b64 exec, exec, s[24:25]
	v_and_b32_e32 v10, v36, v84
	v_and_b32_e32 v11, v52, v84
	v_cmp_gt_u32_e64 s[20:21], v11, v10
	v_pk_mov_b32 v[10:11], v[50:51], v[50:51] op_sel:[0,1]
	v_mov_b32_e32 v48, v36
	s_and_saveexec_b64 s[24:25], s[20:21]
	;; [unrolled: 15-line block ×19, first 2 shown]
; %bb.74:
	v_mov_b32_e32 v16, v36
	v_mov_b32_e32 v17, v68
	v_pk_mov_b32 v[24:25], v[50:51], v[50:51] op_sel:[0,1]
	v_pk_mov_b32 v[50:51], v[26:27], v[26:27] op_sel:[0,1]
	v_mov_b32_e32 v30, v68
	v_mov_b32_e32 v68, v36
; %bb.75:
	s_or_b64 exec, exec, s[24:25]
	v_and_b32_e32 v35, v34, v84
	v_and_b32_e32 v31, v32, v84
	v_cmp_gt_u32_e64 s[20:21], v31, v35
	v_pk_mov_b32 v[26:27], v[8:9], v[8:9] op_sel:[0,1]
	s_and_saveexec_b64 s[24:25], s[20:21]
; %bb.76:
	v_mov_b32_e32 v18, v34
	v_mov_b32_e32 v19, v32
	;; [unrolled: 1-line block ×3, first 2 shown]
	v_pk_mov_b32 v[26:27], v[38:39], v[38:39] op_sel:[0,1]
	v_pk_mov_b32 v[38:39], v[8:9], v[8:9] op_sel:[0,1]
	v_mov_b32_e32 v32, v34
; %bb.77:
	s_or_b64 exec, exec, s[24:25]
	v_and_b32_e32 v8, v49, v84
	v_and_b32_e32 v9, v21, v84
	v_cmp_gt_u32_e64 s[20:21], v9, v8
	v_and_b32_e32 v8, v68, v84
	v_and_b32_e32 v9, v33, v84
	v_cndmask_b32_e64 v65, v29, v23, s[20:21]
	v_cndmask_b32_e64 v64, v28, v22, s[20:21]
	;; [unrolled: 1-line block ×6, first 2 shown]
	v_cmp_gt_u32_e64 s[20:21], v9, v8
	v_and_b32_e32 v8, v30, v84
	v_cndmask_b32_e64 v53, v11, v25, s[20:21]
	v_cndmask_b32_e64 v52, v10, v24, s[20:21]
	;; [unrolled: 1-line block ×6, first 2 shown]
	v_cmp_gt_u32_e64 s[20:21], v8, v31
	v_pk_mov_b32 v[48:49], v[26:27], v[26:27] op_sel:[0,1]
	s_and_saveexec_b64 s[24:25], s[20:21]
; %bb.78:
	v_mov_b32_e32 v17, v32
	v_mov_b32_e32 v18, v30
	v_pk_mov_b32 v[48:49], v[50:51], v[50:51] op_sel:[0,1]
	v_pk_mov_b32 v[50:51], v[26:27], v[26:27] op_sel:[0,1]
; %bb.79:
	s_or_b64 exec, exec, s[24:25]
.LBB612_80:
	s_or_b64 exec, exec, s[22:23]
	v_and_b32_e32 v8, 0xfffffe00, v85
	s_movk_i32 s20, 0x800
	v_lshlrev_b32_e32 v9, 2, v8
	v_sub_u32_e64 v10, s20, v8 clamp
	v_add_u32_e32 v8, v9, v9
	v_lshl_add_u32 v22, v82, 3, v8
	v_add_u32_e32 v11, 0x2000, v22
	v_add_u32_e32 v23, 0x2010, v22
	v_lshl_add_u32 v21, v82, 2, v9
	ds_write2_b64 v11, v[4:5], v[34:35] offset1:1
	ds_write2_b32 v21, v13, v14 offset0:1 offset1:2
	ds_write2_b64 v23, v[64:65], v[52:53] offset1:1
	ds_write2_b32 v21, v15, v16 offset0:3 offset1:4
	v_add_u32_e32 v23, 0x2020, v22
	ds_write2_b64 v23, v[66:67], v[50:51] offset1:1
	ds_write2_b32 v21, v17, v18 offset0:5 offset1:6
	v_add_u32_e32 v23, 0x2030, v22
	ds_write2_b32 v21, v20, v19 offset1:7
	ds_write2_b64 v23, v[48:49], v[38:39] offset1:1
	v_or_b32_e32 v20, 8, v82
	v_min_u32_e32 v20, v10, v20
	v_add_u32_e32 v23, 8, v20
	v_and_b32_e32 v26, 0x3f0, v82
	v_min_u32_e32 v23, v10, v23
	v_and_b32_e32 v24, 8, v82
	v_min_u32_e32 v27, v10, v24
	v_sub_u32_e32 v28, v20, v26
	v_sub_u32_e32 v25, v23, v20
	v_sub_u32_e64 v25, v27, v25 clamp
	v_min_u32_e32 v28, v27, v28
	v_lshl_add_u32 v24, v26, 2, v9
	v_cmp_lt_u32_e64 s[20:21], v25, v28
	; wave barrier
	s_and_saveexec_b64 s[22:23], s[20:21]
	s_cbranch_execz .LBB612_84
; %bb.81:
	v_lshlrev_b32_e32 v29, 2, v20
	v_lshlrev_b32_e32 v30, 2, v27
	v_add3_u32 v29, v9, v29, v30
	s_mov_b64 s[24:25], 0
.LBB612_82:                             ; =>This Inner Loop Header: Depth=1
	v_add_u32_e32 v30, v28, v25
	v_lshrrev_b32_e32 v30, 1, v30
	v_not_b32_e32 v31, v30
	v_lshl_add_u32 v32, v30, 2, v24
	v_lshl_add_u32 v31, v31, 2, v29
	ds_read_b32 v32, v32
	ds_read_b32 v31, v31
	v_add_u32_e32 v33, 1, v30
	s_waitcnt lgkmcnt(1)
	v_and_b32_e32 v32, v32, v84
	s_waitcnt lgkmcnt(0)
	v_and_b32_e32 v31, v31, v84
	v_cmp_gt_u32_e64 s[20:21], v32, v31
	v_cndmask_b32_e64 v28, v28, v30, s[20:21]
	v_cndmask_b32_e64 v25, v33, v25, s[20:21]
	v_cmp_ge_u32_e64 s[20:21], v25, v28
	s_or_b64 s[24:25], s[20:21], s[24:25]
	s_andn2_b64 exec, exec, s[24:25]
	s_cbranch_execnz .LBB612_82
; %bb.83:
	s_or_b64 exec, exec, s[24:25]
.LBB612_84:
	s_or_b64 exec, exec, s[22:23]
	v_add_u32_e32 v27, v20, v27
	v_add_u32_e32 v26, v25, v26
	v_sub_u32_e32 v27, v27, v25
	v_cmp_le_u32_e64 s[20:21], v26, v20
	v_cmp_le_u32_e64 s[22:23], v27, v23
	s_or_b64 s[20:21], s[20:21], s[22:23]
	s_and_saveexec_b64 s[44:45], s[20:21]
	s_cbranch_execz .LBB612_90
; %bb.85:
	v_cmp_lt_u32_e64 s[20:21], v26, v20
                                        ; implicit-def: $vgpr12
	s_and_saveexec_b64 s[22:23], s[20:21]
	s_cbranch_execz .LBB612_87
; %bb.86:
	v_lshl_add_u32 v4, v25, 2, v24
	ds_read_b32 v12, v4
.LBB612_87:
	s_or_b64 exec, exec, s[22:23]
	v_cmp_ge_u32_e64 s[22:23], v27, v23
	v_cmp_lt_u32_e64 s[24:25], v27, v23
                                        ; implicit-def: $vgpr13
	s_and_saveexec_b64 s[28:29], s[24:25]
	s_cbranch_execz .LBB612_89
; %bb.88:
	v_lshl_add_u32 v4, v27, 2, v9
	ds_read_b32 v13, v4
.LBB612_89:
	s_or_b64 exec, exec, s[28:29]
	s_waitcnt lgkmcnt(0)
	v_and_b32_e32 v4, v13, v84
	v_and_b32_e32 v5, v12, v84
	v_cmp_le_u32_e64 s[24:25], v5, v4
	s_and_b64 s[20:21], s[20:21], s[24:25]
	s_or_b64 s[20:21], s[22:23], s[20:21]
	v_cndmask_b32_e64 v4, v27, v26, s[20:21]
	v_cndmask_b32_e64 v5, v23, v20, s[20:21]
	v_add_u32_e32 v14, 1, v4
	v_add_u32_e32 v5, -1, v5
	v_min_u32_e32 v5, v14, v5
	v_lshl_add_u32 v5, v5, 2, v9
	ds_read_b32 v5, v5
	v_lshl_add_u32 v4, v4, 3, v8
	s_waitcnt lgkmcnt(0)
	v_cndmask_b32_e64 v15, v5, v13, s[20:21]
	v_cndmask_b32_e64 v16, v12, v5, s[20:21]
	;; [unrolled: 1-line block ×4, first 2 shown]
	v_and_b32_e32 v17, v15, v84
	v_and_b32_e32 v18, v16, v84
	v_cmp_lt_u32_e64 s[24:25], v14, v20
	v_cmp_le_u32_e64 s[28:29], v18, v17
	v_cmp_ge_u32_e64 s[22:23], v5, v23
	s_and_b64 s[24:25], s[24:25], s[28:29]
	s_or_b64 s[22:23], s[22:23], s[24:25]
	v_cndmask_b32_e64 v17, v5, v14, s[22:23]
	v_cndmask_b32_e64 v18, v23, v20, s[22:23]
	v_add_u32_e32 v19, 1, v17
	v_add_u32_e32 v18, -1, v18
	v_min_u32_e32 v18, v19, v18
	v_lshl_add_u32 v18, v18, 2, v9
	ds_read_b32 v18, v18
	v_cndmask_b32_e64 v5, v19, v5, s[22:23]
	v_cndmask_b32_e64 v14, v14, v19, s[22:23]
	v_cmp_lt_u32_e64 s[28:29], v14, v20
	v_cmp_ge_u32_e64 s[24:25], v5, v23
	s_waitcnt lgkmcnt(0)
	v_cndmask_b32_e64 v24, v18, v15, s[22:23]
	v_cndmask_b32_e64 v18, v16, v18, s[22:23]
	v_and_b32_e32 v19, v24, v84
	v_and_b32_e32 v25, v18, v84
	v_cmp_le_u32_e64 s[30:31], v25, v19
	s_and_b64 s[28:29], s[28:29], s[30:31]
	s_or_b64 s[24:25], s[24:25], s[28:29]
	v_cndmask_b32_e64 v19, v5, v14, s[24:25]
	v_cndmask_b32_e64 v25, v23, v20, s[24:25]
	v_add_u32_e32 v26, 1, v19
	v_add_u32_e32 v25, -1, v25
	v_min_u32_e32 v25, v26, v25
	v_lshl_add_u32 v25, v25, 2, v9
	ds_read_b32 v25, v25
	v_cndmask_b32_e64 v28, v26, v5, s[24:25]
	v_cndmask_b32_e64 v14, v14, v26, s[24:25]
	v_cmp_lt_u32_e64 s[30:31], v14, v20
	v_cmp_ge_u32_e64 s[28:29], v28, v23
	s_waitcnt lgkmcnt(0)
	v_cndmask_b32_e64 v27, v25, v24, s[24:25]
	v_cndmask_b32_e64 v25, v18, v25, s[24:25]
	v_and_b32_e32 v5, v27, v84
	v_and_b32_e32 v26, v25, v84
	v_cmp_le_u32_e64 s[34:35], v26, v5
	s_and_b64 s[30:31], s[30:31], s[34:35]
	s_or_b64 s[28:29], s[28:29], s[30:31]
	v_cndmask_b32_e64 v26, v28, v14, s[28:29]
	v_cndmask_b32_e64 v5, v23, v20, s[28:29]
	v_add_u32_e32 v29, 1, v26
	v_add_u32_e32 v5, -1, v5
	v_min_u32_e32 v5, v29, v5
	v_lshl_add_u32 v5, v5, 2, v9
	ds_read_b32 v30, v5
	v_lshl_add_u32 v19, v19, 3, v8
	ds_read_b64 v[64:65], v19 offset:8192
	v_lshl_add_u32 v17, v17, 3, v8
	v_lshl_add_u32 v19, v26, 3, v8
	ds_read_b64 v[4:5], v4 offset:8192
	ds_read_b64 v[34:35], v17 offset:8192
	;; [unrolled: 1-line block ×3, first 2 shown]
	s_waitcnt lgkmcnt(4)
	v_cndmask_b32_e64 v17, v30, v27, s[28:29]
	v_cndmask_b32_e64 v30, v25, v30, s[28:29]
	;; [unrolled: 1-line block ×4, first 2 shown]
	v_and_b32_e32 v29, v17, v84
	v_and_b32_e32 v31, v30, v84
	v_cmp_lt_u32_e64 s[34:35], v14, v20
	v_cmp_le_u32_e64 s[36:37], v31, v29
	v_cmp_ge_u32_e64 s[30:31], v28, v23
	s_and_b64 s[34:35], s[34:35], s[36:37]
	s_or_b64 s[30:31], s[30:31], s[34:35]
	v_cndmask_b32_e64 v29, v28, v14, s[30:31]
	v_cndmask_b32_e64 v31, v23, v20, s[30:31]
	v_add_u32_e32 v32, 1, v29
	v_add_u32_e32 v31, -1, v31
	v_min_u32_e32 v31, v32, v31
	v_lshl_add_u32 v31, v31, 2, v9
	ds_read_b32 v31, v31
	v_lshl_add_u32 v29, v29, 3, v8
	ds_read_b64 v[66:67], v29 offset:8192
	v_cndmask_b32_e64 v28, v32, v28, s[30:31]
	v_cndmask_b32_e64 v14, v14, v32, s[30:31]
	s_waitcnt lgkmcnt(1)
	v_cndmask_b32_e64 v19, v31, v17, s[30:31]
	v_cndmask_b32_e64 v26, v30, v31, s[30:31]
	v_and_b32_e32 v31, v19, v84
	v_and_b32_e32 v32, v26, v84
	v_cmp_lt_u32_e64 s[36:37], v14, v20
	v_cmp_le_u32_e64 s[38:39], v32, v31
	v_cmp_ge_u32_e64 s[34:35], v28, v23
	s_and_b64 s[36:37], s[36:37], s[38:39]
	s_or_b64 s[34:35], s[34:35], s[36:37]
	v_cndmask_b32_e64 v31, v28, v14, s[34:35]
	v_cndmask_b32_e64 v32, v23, v20, s[34:35]
	v_add_u32_e32 v33, 1, v31
	v_add_u32_e32 v32, -1, v32
	v_min_u32_e32 v32, v33, v32
	v_lshl_add_u32 v32, v32, 2, v9
	ds_read_b32 v32, v32
	v_lshl_add_u32 v29, v31, 3, v8
	ds_read_b64 v[50:51], v29 offset:8192
	v_cndmask_b32_e64 v28, v33, v28, s[34:35]
	v_cmp_ge_u32_e64 s[36:37], v28, v23
	s_waitcnt lgkmcnt(1)
	v_cndmask_b32_e64 v29, v32, v19, s[34:35]
	v_cndmask_b32_e64 v31, v26, v32, s[34:35]
	;; [unrolled: 1-line block ×3, first 2 shown]
	v_and_b32_e32 v14, v29, v84
	v_and_b32_e32 v33, v31, v84
	v_cmp_lt_u32_e64 s[38:39], v32, v20
	v_cmp_le_u32_e64 s[40:41], v33, v14
	s_and_b64 s[38:39], s[38:39], s[40:41]
	s_or_b64 s[36:37], s[36:37], s[38:39]
	v_cndmask_b32_e64 v14, v28, v32, s[36:37]
	v_cndmask_b32_e64 v33, v23, v20, s[36:37]
	v_lshl_add_u32 v36, v14, 3, v8
	v_add_u32_e32 v37, 1, v14
	v_add_u32_e32 v14, -1, v33
	v_min_u32_e32 v14, v37, v14
	v_lshl_add_u32 v14, v14, 2, v9
	ds_read_b64 v[48:49], v36 offset:8192
	ds_read_b32 v33, v14
	v_cndmask_b32_e64 v12, v13, v12, s[20:21]
	v_cndmask_b32_e64 v13, v15, v16, s[22:23]
	v_cndmask_b32_e64 v14, v24, v18, s[24:25]
	v_cndmask_b32_e64 v15, v27, v25, s[28:29]
	s_waitcnt lgkmcnt(0)
	v_cndmask_b32_e64 v24, v33, v29, s[36:37]
	v_cndmask_b32_e64 v25, v31, v33, s[36:37]
	;; [unrolled: 1-line block ×4, first 2 shown]
	v_cmp_ge_u32_e64 s[20:21], v16, v23
	v_cmp_lt_u32_e64 s[22:23], v18, v20
	v_and_b32_e32 v20, v24, v84
	v_and_b32_e32 v23, v25, v84
	v_cmp_le_u32_e64 s[24:25], v23, v20
	s_and_b64 s[22:23], s[22:23], s[24:25]
	s_or_b64 s[20:21], s[20:21], s[22:23]
	v_cndmask_b32_e64 v16, v16, v18, s[20:21]
	v_lshl_add_u32 v16, v16, 3, v8
	ds_read_b64 v[38:39], v16 offset:8192
	v_cndmask_b32_e64 v16, v17, v30, s[30:31]
	v_cndmask_b32_e64 v17, v19, v26, s[34:35]
	;; [unrolled: 1-line block ×4, first 2 shown]
.LBB612_90:
	s_or_b64 exec, exec, s[44:45]
	v_add_u32_e32 v20, 0x2000, v22
	v_and_b32_e32 v26, 0x3e0, v82
	; wave barrier
	ds_write2_b64 v20, v[4:5], v[34:35] offset1:1
	ds_write2_b64 v21, v[12:13], v[14:15] offset1:1
	ds_write2_b64 v11, v[64:65], v[52:53] offset0:2 offset1:3
	ds_write2_b64 v11, v[66:67], v[50:51] offset0:4 offset1:5
	;; [unrolled: 1-line block ×3, first 2 shown]
	s_waitcnt lgkmcnt(5)
	ds_write2_b64 v11, v[48:49], v[38:39] offset0:6 offset1:7
	v_or_b32_e32 v20, 16, v26
	v_min_u32_e32 v20, v10, v20
	v_add_u32_e32 v23, 16, v20
	v_min_u32_e32 v23, v10, v23
	v_and_b32_e32 v24, 24, v82
	v_min_u32_e32 v27, v10, v24
	v_sub_u32_e32 v28, v20, v26
	v_sub_u32_e32 v25, v23, v20
	v_sub_u32_e64 v25, v27, v25 clamp
	v_min_u32_e32 v28, v27, v28
	v_lshl_add_u32 v24, v26, 2, v9
	v_cmp_lt_u32_e64 s[20:21], v25, v28
	; wave barrier
	s_and_saveexec_b64 s[22:23], s[20:21]
	s_cbranch_execz .LBB612_94
; %bb.91:
	v_lshlrev_b32_e32 v29, 2, v20
	v_lshlrev_b32_e32 v30, 2, v27
	v_add3_u32 v29, v9, v29, v30
	s_mov_b64 s[24:25], 0
.LBB612_92:                             ; =>This Inner Loop Header: Depth=1
	v_add_u32_e32 v30, v28, v25
	v_lshrrev_b32_e32 v30, 1, v30
	v_not_b32_e32 v31, v30
	v_lshl_add_u32 v32, v30, 2, v24
	v_lshl_add_u32 v31, v31, 2, v29
	ds_read_b32 v32, v32
	ds_read_b32 v31, v31
	v_add_u32_e32 v33, 1, v30
	s_waitcnt lgkmcnt(1)
	v_and_b32_e32 v32, v32, v84
	s_waitcnt lgkmcnt(0)
	v_and_b32_e32 v31, v31, v84
	v_cmp_gt_u32_e64 s[20:21], v32, v31
	v_cndmask_b32_e64 v28, v28, v30, s[20:21]
	v_cndmask_b32_e64 v25, v33, v25, s[20:21]
	v_cmp_ge_u32_e64 s[20:21], v25, v28
	s_or_b64 s[24:25], s[20:21], s[24:25]
	s_andn2_b64 exec, exec, s[24:25]
	s_cbranch_execnz .LBB612_92
; %bb.93:
	s_or_b64 exec, exec, s[24:25]
.LBB612_94:
	s_or_b64 exec, exec, s[22:23]
	v_add_u32_e32 v27, v20, v27
	v_add_u32_e32 v26, v25, v26
	v_sub_u32_e32 v27, v27, v25
	v_cmp_le_u32_e64 s[20:21], v26, v20
	v_cmp_le_u32_e64 s[22:23], v27, v23
	s_or_b64 s[20:21], s[20:21], s[22:23]
	s_and_saveexec_b64 s[44:45], s[20:21]
	s_cbranch_execz .LBB612_100
; %bb.95:
	v_cmp_lt_u32_e64 s[20:21], v26, v20
                                        ; implicit-def: $vgpr12
	s_and_saveexec_b64 s[22:23], s[20:21]
	s_cbranch_execz .LBB612_97
; %bb.96:
	v_lshl_add_u32 v4, v25, 2, v24
	ds_read_b32 v12, v4
.LBB612_97:
	s_or_b64 exec, exec, s[22:23]
	v_cmp_ge_u32_e64 s[22:23], v27, v23
	v_cmp_lt_u32_e64 s[24:25], v27, v23
                                        ; implicit-def: $vgpr13
	s_and_saveexec_b64 s[28:29], s[24:25]
	s_cbranch_execz .LBB612_99
; %bb.98:
	v_lshl_add_u32 v4, v27, 2, v9
	ds_read_b32 v13, v4
.LBB612_99:
	s_or_b64 exec, exec, s[28:29]
	s_waitcnt lgkmcnt(0)
	v_and_b32_e32 v4, v13, v84
	v_and_b32_e32 v5, v12, v84
	v_cmp_le_u32_e64 s[24:25], v5, v4
	s_and_b64 s[20:21], s[20:21], s[24:25]
	s_or_b64 s[20:21], s[22:23], s[20:21]
	v_cndmask_b32_e64 v4, v27, v26, s[20:21]
	v_cndmask_b32_e64 v5, v23, v20, s[20:21]
	v_add_u32_e32 v14, 1, v4
	v_add_u32_e32 v5, -1, v5
	v_min_u32_e32 v5, v14, v5
	v_lshl_add_u32 v5, v5, 2, v9
	ds_read_b32 v5, v5
	v_lshl_add_u32 v4, v4, 3, v8
	s_waitcnt lgkmcnt(0)
	v_cndmask_b32_e64 v15, v5, v13, s[20:21]
	v_cndmask_b32_e64 v16, v12, v5, s[20:21]
	v_cndmask_b32_e64 v5, v14, v27, s[20:21]
	v_cndmask_b32_e64 v14, v26, v14, s[20:21]
	v_and_b32_e32 v17, v15, v84
	v_and_b32_e32 v18, v16, v84
	v_cmp_lt_u32_e64 s[24:25], v14, v20
	v_cmp_le_u32_e64 s[28:29], v18, v17
	v_cmp_ge_u32_e64 s[22:23], v5, v23
	s_and_b64 s[24:25], s[24:25], s[28:29]
	s_or_b64 s[22:23], s[22:23], s[24:25]
	v_cndmask_b32_e64 v17, v5, v14, s[22:23]
	v_cndmask_b32_e64 v18, v23, v20, s[22:23]
	v_add_u32_e32 v19, 1, v17
	v_add_u32_e32 v18, -1, v18
	v_min_u32_e32 v18, v19, v18
	v_lshl_add_u32 v18, v18, 2, v9
	ds_read_b32 v18, v18
	v_cndmask_b32_e64 v5, v19, v5, s[22:23]
	v_cndmask_b32_e64 v14, v14, v19, s[22:23]
	v_cmp_lt_u32_e64 s[28:29], v14, v20
	v_cmp_ge_u32_e64 s[24:25], v5, v23
	s_waitcnt lgkmcnt(0)
	v_cndmask_b32_e64 v24, v18, v15, s[22:23]
	v_cndmask_b32_e64 v18, v16, v18, s[22:23]
	v_and_b32_e32 v19, v24, v84
	v_and_b32_e32 v25, v18, v84
	v_cmp_le_u32_e64 s[30:31], v25, v19
	s_and_b64 s[28:29], s[28:29], s[30:31]
	s_or_b64 s[24:25], s[24:25], s[28:29]
	v_cndmask_b32_e64 v19, v5, v14, s[24:25]
	v_cndmask_b32_e64 v25, v23, v20, s[24:25]
	v_add_u32_e32 v26, 1, v19
	v_add_u32_e32 v25, -1, v25
	v_min_u32_e32 v25, v26, v25
	v_lshl_add_u32 v25, v25, 2, v9
	ds_read_b32 v25, v25
	v_cndmask_b32_e64 v28, v26, v5, s[24:25]
	v_cndmask_b32_e64 v14, v14, v26, s[24:25]
	v_cmp_lt_u32_e64 s[30:31], v14, v20
	v_cmp_ge_u32_e64 s[28:29], v28, v23
	s_waitcnt lgkmcnt(0)
	v_cndmask_b32_e64 v27, v25, v24, s[24:25]
	v_cndmask_b32_e64 v25, v18, v25, s[24:25]
	v_and_b32_e32 v5, v27, v84
	v_and_b32_e32 v26, v25, v84
	v_cmp_le_u32_e64 s[34:35], v26, v5
	s_and_b64 s[30:31], s[30:31], s[34:35]
	s_or_b64 s[28:29], s[28:29], s[30:31]
	v_cndmask_b32_e64 v26, v28, v14, s[28:29]
	v_cndmask_b32_e64 v5, v23, v20, s[28:29]
	v_add_u32_e32 v29, 1, v26
	v_add_u32_e32 v5, -1, v5
	v_min_u32_e32 v5, v29, v5
	v_lshl_add_u32 v5, v5, 2, v9
	ds_read_b32 v30, v5
	v_lshl_add_u32 v19, v19, 3, v8
	ds_read_b64 v[64:65], v19 offset:8192
	v_lshl_add_u32 v17, v17, 3, v8
	v_lshl_add_u32 v19, v26, 3, v8
	ds_read_b64 v[4:5], v4 offset:8192
	ds_read_b64 v[34:35], v17 offset:8192
	;; [unrolled: 1-line block ×3, first 2 shown]
	s_waitcnt lgkmcnt(4)
	v_cndmask_b32_e64 v17, v30, v27, s[28:29]
	v_cndmask_b32_e64 v30, v25, v30, s[28:29]
	v_cndmask_b32_e64 v28, v29, v28, s[28:29]
	v_cndmask_b32_e64 v14, v14, v29, s[28:29]
	v_and_b32_e32 v29, v17, v84
	v_and_b32_e32 v31, v30, v84
	v_cmp_lt_u32_e64 s[34:35], v14, v20
	v_cmp_le_u32_e64 s[36:37], v31, v29
	v_cmp_ge_u32_e64 s[30:31], v28, v23
	s_and_b64 s[34:35], s[34:35], s[36:37]
	s_or_b64 s[30:31], s[30:31], s[34:35]
	v_cndmask_b32_e64 v29, v28, v14, s[30:31]
	v_cndmask_b32_e64 v31, v23, v20, s[30:31]
	v_add_u32_e32 v32, 1, v29
	v_add_u32_e32 v31, -1, v31
	v_min_u32_e32 v31, v32, v31
	v_lshl_add_u32 v31, v31, 2, v9
	ds_read_b32 v31, v31
	v_lshl_add_u32 v29, v29, 3, v8
	ds_read_b64 v[66:67], v29 offset:8192
	v_cndmask_b32_e64 v28, v32, v28, s[30:31]
	v_cndmask_b32_e64 v14, v14, v32, s[30:31]
	s_waitcnt lgkmcnt(1)
	v_cndmask_b32_e64 v19, v31, v17, s[30:31]
	v_cndmask_b32_e64 v26, v30, v31, s[30:31]
	v_and_b32_e32 v31, v19, v84
	v_and_b32_e32 v32, v26, v84
	v_cmp_lt_u32_e64 s[36:37], v14, v20
	v_cmp_le_u32_e64 s[38:39], v32, v31
	v_cmp_ge_u32_e64 s[34:35], v28, v23
	s_and_b64 s[36:37], s[36:37], s[38:39]
	s_or_b64 s[34:35], s[34:35], s[36:37]
	v_cndmask_b32_e64 v31, v28, v14, s[34:35]
	v_cndmask_b32_e64 v32, v23, v20, s[34:35]
	v_add_u32_e32 v33, 1, v31
	v_add_u32_e32 v32, -1, v32
	v_min_u32_e32 v32, v33, v32
	v_lshl_add_u32 v32, v32, 2, v9
	ds_read_b32 v32, v32
	v_lshl_add_u32 v29, v31, 3, v8
	ds_read_b64 v[50:51], v29 offset:8192
	v_cndmask_b32_e64 v28, v33, v28, s[34:35]
	v_cmp_ge_u32_e64 s[36:37], v28, v23
	s_waitcnt lgkmcnt(1)
	v_cndmask_b32_e64 v29, v32, v19, s[34:35]
	v_cndmask_b32_e64 v31, v26, v32, s[34:35]
	;; [unrolled: 1-line block ×3, first 2 shown]
	v_and_b32_e32 v14, v29, v84
	v_and_b32_e32 v33, v31, v84
	v_cmp_lt_u32_e64 s[38:39], v32, v20
	v_cmp_le_u32_e64 s[40:41], v33, v14
	s_and_b64 s[38:39], s[38:39], s[40:41]
	s_or_b64 s[36:37], s[36:37], s[38:39]
	v_cndmask_b32_e64 v14, v28, v32, s[36:37]
	v_cndmask_b32_e64 v33, v23, v20, s[36:37]
	v_lshl_add_u32 v36, v14, 3, v8
	v_add_u32_e32 v37, 1, v14
	v_add_u32_e32 v14, -1, v33
	v_min_u32_e32 v14, v37, v14
	v_lshl_add_u32 v14, v14, 2, v9
	ds_read_b64 v[48:49], v36 offset:8192
	ds_read_b32 v33, v14
	v_cndmask_b32_e64 v12, v13, v12, s[20:21]
	v_cndmask_b32_e64 v13, v15, v16, s[22:23]
	;; [unrolled: 1-line block ×4, first 2 shown]
	s_waitcnt lgkmcnt(0)
	v_cndmask_b32_e64 v24, v33, v29, s[36:37]
	v_cndmask_b32_e64 v25, v31, v33, s[36:37]
	;; [unrolled: 1-line block ×4, first 2 shown]
	v_cmp_ge_u32_e64 s[20:21], v16, v23
	v_cmp_lt_u32_e64 s[22:23], v18, v20
	v_and_b32_e32 v20, v24, v84
	v_and_b32_e32 v23, v25, v84
	v_cmp_le_u32_e64 s[24:25], v23, v20
	s_and_b64 s[22:23], s[22:23], s[24:25]
	s_or_b64 s[20:21], s[20:21], s[22:23]
	v_cndmask_b32_e64 v16, v16, v18, s[20:21]
	v_lshl_add_u32 v16, v16, 3, v8
	ds_read_b64 v[38:39], v16 offset:8192
	v_cndmask_b32_e64 v16, v17, v30, s[30:31]
	v_cndmask_b32_e64 v17, v19, v26, s[34:35]
	;; [unrolled: 1-line block ×4, first 2 shown]
.LBB612_100:
	s_or_b64 exec, exec, s[44:45]
	v_add_u32_e32 v20, 0x2000, v22
	v_and_b32_e32 v26, 0x3c0, v82
	; wave barrier
	ds_write2_b64 v20, v[4:5], v[34:35] offset1:1
	ds_write2_b64 v21, v[12:13], v[14:15] offset1:1
	ds_write2_b64 v11, v[64:65], v[52:53] offset0:2 offset1:3
	ds_write2_b64 v11, v[66:67], v[50:51] offset0:4 offset1:5
	;; [unrolled: 1-line block ×3, first 2 shown]
	s_waitcnt lgkmcnt(5)
	ds_write2_b64 v11, v[48:49], v[38:39] offset0:6 offset1:7
	v_or_b32_e32 v20, 32, v26
	v_min_u32_e32 v20, v10, v20
	v_add_u32_e32 v23, 32, v20
	v_min_u32_e32 v23, v10, v23
	v_and_b32_e32 v24, 56, v82
	v_min_u32_e32 v27, v10, v24
	v_sub_u32_e32 v28, v20, v26
	v_sub_u32_e32 v25, v23, v20
	v_sub_u32_e64 v25, v27, v25 clamp
	v_min_u32_e32 v28, v27, v28
	v_lshl_add_u32 v24, v26, 2, v9
	v_cmp_lt_u32_e64 s[20:21], v25, v28
	; wave barrier
	s_and_saveexec_b64 s[22:23], s[20:21]
	s_cbranch_execz .LBB612_104
; %bb.101:
	v_lshlrev_b32_e32 v29, 2, v20
	v_lshlrev_b32_e32 v30, 2, v27
	v_add3_u32 v29, v9, v29, v30
	s_mov_b64 s[24:25], 0
.LBB612_102:                            ; =>This Inner Loop Header: Depth=1
	v_add_u32_e32 v30, v28, v25
	v_lshrrev_b32_e32 v30, 1, v30
	v_not_b32_e32 v31, v30
	v_lshl_add_u32 v32, v30, 2, v24
	v_lshl_add_u32 v31, v31, 2, v29
	ds_read_b32 v32, v32
	ds_read_b32 v31, v31
	v_add_u32_e32 v33, 1, v30
	s_waitcnt lgkmcnt(1)
	v_and_b32_e32 v32, v32, v84
	s_waitcnt lgkmcnt(0)
	v_and_b32_e32 v31, v31, v84
	v_cmp_gt_u32_e64 s[20:21], v32, v31
	v_cndmask_b32_e64 v28, v28, v30, s[20:21]
	v_cndmask_b32_e64 v25, v33, v25, s[20:21]
	v_cmp_ge_u32_e64 s[20:21], v25, v28
	s_or_b64 s[24:25], s[20:21], s[24:25]
	s_andn2_b64 exec, exec, s[24:25]
	s_cbranch_execnz .LBB612_102
; %bb.103:
	s_or_b64 exec, exec, s[24:25]
.LBB612_104:
	s_or_b64 exec, exec, s[22:23]
	v_add_u32_e32 v27, v20, v27
	v_add_u32_e32 v26, v25, v26
	v_sub_u32_e32 v27, v27, v25
	v_cmp_le_u32_e64 s[20:21], v26, v20
	v_cmp_le_u32_e64 s[22:23], v27, v23
	s_or_b64 s[20:21], s[20:21], s[22:23]
	s_and_saveexec_b64 s[44:45], s[20:21]
	s_cbranch_execz .LBB612_110
; %bb.105:
	v_cmp_lt_u32_e64 s[20:21], v26, v20
                                        ; implicit-def: $vgpr12
	s_and_saveexec_b64 s[22:23], s[20:21]
	s_cbranch_execz .LBB612_107
; %bb.106:
	v_lshl_add_u32 v4, v25, 2, v24
	ds_read_b32 v12, v4
.LBB612_107:
	s_or_b64 exec, exec, s[22:23]
	v_cmp_ge_u32_e64 s[22:23], v27, v23
	v_cmp_lt_u32_e64 s[24:25], v27, v23
                                        ; implicit-def: $vgpr13
	s_and_saveexec_b64 s[28:29], s[24:25]
	s_cbranch_execz .LBB612_109
; %bb.108:
	v_lshl_add_u32 v4, v27, 2, v9
	ds_read_b32 v13, v4
.LBB612_109:
	s_or_b64 exec, exec, s[28:29]
	s_waitcnt lgkmcnt(0)
	v_and_b32_e32 v4, v13, v84
	v_and_b32_e32 v5, v12, v84
	v_cmp_le_u32_e64 s[24:25], v5, v4
	s_and_b64 s[20:21], s[20:21], s[24:25]
	s_or_b64 s[20:21], s[22:23], s[20:21]
	v_cndmask_b32_e64 v4, v27, v26, s[20:21]
	v_cndmask_b32_e64 v5, v23, v20, s[20:21]
	v_add_u32_e32 v14, 1, v4
	v_add_u32_e32 v5, -1, v5
	v_min_u32_e32 v5, v14, v5
	v_lshl_add_u32 v5, v5, 2, v9
	ds_read_b32 v5, v5
	v_lshl_add_u32 v4, v4, 3, v8
	s_waitcnt lgkmcnt(0)
	v_cndmask_b32_e64 v15, v5, v13, s[20:21]
	v_cndmask_b32_e64 v16, v12, v5, s[20:21]
	;; [unrolled: 1-line block ×4, first 2 shown]
	v_and_b32_e32 v17, v15, v84
	v_and_b32_e32 v18, v16, v84
	v_cmp_lt_u32_e64 s[24:25], v14, v20
	v_cmp_le_u32_e64 s[28:29], v18, v17
	v_cmp_ge_u32_e64 s[22:23], v5, v23
	s_and_b64 s[24:25], s[24:25], s[28:29]
	s_or_b64 s[22:23], s[22:23], s[24:25]
	v_cndmask_b32_e64 v17, v5, v14, s[22:23]
	v_cndmask_b32_e64 v18, v23, v20, s[22:23]
	v_add_u32_e32 v19, 1, v17
	v_add_u32_e32 v18, -1, v18
	v_min_u32_e32 v18, v19, v18
	v_lshl_add_u32 v18, v18, 2, v9
	ds_read_b32 v18, v18
	v_cndmask_b32_e64 v5, v19, v5, s[22:23]
	v_cndmask_b32_e64 v14, v14, v19, s[22:23]
	v_cmp_lt_u32_e64 s[28:29], v14, v20
	v_cmp_ge_u32_e64 s[24:25], v5, v23
	s_waitcnt lgkmcnt(0)
	v_cndmask_b32_e64 v24, v18, v15, s[22:23]
	v_cndmask_b32_e64 v18, v16, v18, s[22:23]
	v_and_b32_e32 v19, v24, v84
	v_and_b32_e32 v25, v18, v84
	v_cmp_le_u32_e64 s[30:31], v25, v19
	s_and_b64 s[28:29], s[28:29], s[30:31]
	s_or_b64 s[24:25], s[24:25], s[28:29]
	v_cndmask_b32_e64 v19, v5, v14, s[24:25]
	v_cndmask_b32_e64 v25, v23, v20, s[24:25]
	v_add_u32_e32 v26, 1, v19
	v_add_u32_e32 v25, -1, v25
	v_min_u32_e32 v25, v26, v25
	v_lshl_add_u32 v25, v25, 2, v9
	ds_read_b32 v25, v25
	v_cndmask_b32_e64 v28, v26, v5, s[24:25]
	v_cndmask_b32_e64 v14, v14, v26, s[24:25]
	v_cmp_lt_u32_e64 s[30:31], v14, v20
	v_cmp_ge_u32_e64 s[28:29], v28, v23
	s_waitcnt lgkmcnt(0)
	v_cndmask_b32_e64 v27, v25, v24, s[24:25]
	v_cndmask_b32_e64 v25, v18, v25, s[24:25]
	v_and_b32_e32 v5, v27, v84
	v_and_b32_e32 v26, v25, v84
	v_cmp_le_u32_e64 s[34:35], v26, v5
	s_and_b64 s[30:31], s[30:31], s[34:35]
	s_or_b64 s[28:29], s[28:29], s[30:31]
	v_cndmask_b32_e64 v26, v28, v14, s[28:29]
	v_cndmask_b32_e64 v5, v23, v20, s[28:29]
	v_add_u32_e32 v29, 1, v26
	v_add_u32_e32 v5, -1, v5
	v_min_u32_e32 v5, v29, v5
	v_lshl_add_u32 v5, v5, 2, v9
	ds_read_b32 v30, v5
	v_lshl_add_u32 v19, v19, 3, v8
	ds_read_b64 v[64:65], v19 offset:8192
	v_lshl_add_u32 v17, v17, 3, v8
	v_lshl_add_u32 v19, v26, 3, v8
	ds_read_b64 v[4:5], v4 offset:8192
	ds_read_b64 v[34:35], v17 offset:8192
	;; [unrolled: 1-line block ×3, first 2 shown]
	s_waitcnt lgkmcnt(4)
	v_cndmask_b32_e64 v17, v30, v27, s[28:29]
	v_cndmask_b32_e64 v30, v25, v30, s[28:29]
	;; [unrolled: 1-line block ×4, first 2 shown]
	v_and_b32_e32 v29, v17, v84
	v_and_b32_e32 v31, v30, v84
	v_cmp_lt_u32_e64 s[34:35], v14, v20
	v_cmp_le_u32_e64 s[36:37], v31, v29
	v_cmp_ge_u32_e64 s[30:31], v28, v23
	s_and_b64 s[34:35], s[34:35], s[36:37]
	s_or_b64 s[30:31], s[30:31], s[34:35]
	v_cndmask_b32_e64 v29, v28, v14, s[30:31]
	v_cndmask_b32_e64 v31, v23, v20, s[30:31]
	v_add_u32_e32 v32, 1, v29
	v_add_u32_e32 v31, -1, v31
	v_min_u32_e32 v31, v32, v31
	v_lshl_add_u32 v31, v31, 2, v9
	ds_read_b32 v31, v31
	v_lshl_add_u32 v29, v29, 3, v8
	ds_read_b64 v[66:67], v29 offset:8192
	v_cndmask_b32_e64 v28, v32, v28, s[30:31]
	v_cndmask_b32_e64 v14, v14, v32, s[30:31]
	s_waitcnt lgkmcnt(1)
	v_cndmask_b32_e64 v19, v31, v17, s[30:31]
	v_cndmask_b32_e64 v26, v30, v31, s[30:31]
	v_and_b32_e32 v31, v19, v84
	v_and_b32_e32 v32, v26, v84
	v_cmp_lt_u32_e64 s[36:37], v14, v20
	v_cmp_le_u32_e64 s[38:39], v32, v31
	v_cmp_ge_u32_e64 s[34:35], v28, v23
	s_and_b64 s[36:37], s[36:37], s[38:39]
	s_or_b64 s[34:35], s[34:35], s[36:37]
	v_cndmask_b32_e64 v31, v28, v14, s[34:35]
	v_cndmask_b32_e64 v32, v23, v20, s[34:35]
	v_add_u32_e32 v33, 1, v31
	v_add_u32_e32 v32, -1, v32
	v_min_u32_e32 v32, v33, v32
	v_lshl_add_u32 v32, v32, 2, v9
	ds_read_b32 v32, v32
	v_lshl_add_u32 v29, v31, 3, v8
	ds_read_b64 v[50:51], v29 offset:8192
	v_cndmask_b32_e64 v28, v33, v28, s[34:35]
	v_cmp_ge_u32_e64 s[36:37], v28, v23
	s_waitcnt lgkmcnt(1)
	v_cndmask_b32_e64 v29, v32, v19, s[34:35]
	v_cndmask_b32_e64 v31, v26, v32, s[34:35]
	;; [unrolled: 1-line block ×3, first 2 shown]
	v_and_b32_e32 v14, v29, v84
	v_and_b32_e32 v33, v31, v84
	v_cmp_lt_u32_e64 s[38:39], v32, v20
	v_cmp_le_u32_e64 s[40:41], v33, v14
	s_and_b64 s[38:39], s[38:39], s[40:41]
	s_or_b64 s[36:37], s[36:37], s[38:39]
	v_cndmask_b32_e64 v14, v28, v32, s[36:37]
	v_cndmask_b32_e64 v33, v23, v20, s[36:37]
	v_lshl_add_u32 v36, v14, 3, v8
	v_add_u32_e32 v37, 1, v14
	v_add_u32_e32 v14, -1, v33
	v_min_u32_e32 v14, v37, v14
	v_lshl_add_u32 v14, v14, 2, v9
	ds_read_b64 v[48:49], v36 offset:8192
	ds_read_b32 v33, v14
	v_cndmask_b32_e64 v12, v13, v12, s[20:21]
	v_cndmask_b32_e64 v13, v15, v16, s[22:23]
	;; [unrolled: 1-line block ×4, first 2 shown]
	s_waitcnt lgkmcnt(0)
	v_cndmask_b32_e64 v24, v33, v29, s[36:37]
	v_cndmask_b32_e64 v25, v31, v33, s[36:37]
	;; [unrolled: 1-line block ×4, first 2 shown]
	v_cmp_ge_u32_e64 s[20:21], v16, v23
	v_cmp_lt_u32_e64 s[22:23], v18, v20
	v_and_b32_e32 v20, v24, v84
	v_and_b32_e32 v23, v25, v84
	v_cmp_le_u32_e64 s[24:25], v23, v20
	s_and_b64 s[22:23], s[22:23], s[24:25]
	s_or_b64 s[20:21], s[20:21], s[22:23]
	v_cndmask_b32_e64 v16, v16, v18, s[20:21]
	v_lshl_add_u32 v16, v16, 3, v8
	ds_read_b64 v[38:39], v16 offset:8192
	v_cndmask_b32_e64 v16, v17, v30, s[30:31]
	v_cndmask_b32_e64 v17, v19, v26, s[34:35]
	;; [unrolled: 1-line block ×4, first 2 shown]
.LBB612_110:
	s_or_b64 exec, exec, s[44:45]
	v_add_u32_e32 v20, 0x2000, v22
	v_and_b32_e32 v23, 0x380, v82
	; wave barrier
	ds_write2_b64 v20, v[4:5], v[34:35] offset1:1
	ds_write2_b64 v21, v[12:13], v[14:15] offset1:1
	ds_write2_b64 v11, v[64:65], v[52:53] offset0:2 offset1:3
	ds_write2_b64 v11, v[66:67], v[50:51] offset0:4 offset1:5
	;; [unrolled: 1-line block ×3, first 2 shown]
	s_waitcnt lgkmcnt(5)
	ds_write2_b64 v11, v[48:49], v[38:39] offset0:6 offset1:7
	v_or_b32_e32 v11, 64, v23
	v_min_u32_e32 v11, v10, v11
	v_add_u32_e32 v20, 64, v11
	v_min_u32_e32 v20, v10, v20
	v_min_u32_e32 v10, v10, v83
	v_sub_u32_e32 v24, v11, v23
	v_sub_u32_e32 v22, v20, v11
	v_sub_u32_e64 v22, v10, v22 clamp
	v_min_u32_e32 v24, v10, v24
	v_lshl_add_u32 v21, v23, 2, v9
	v_cmp_lt_u32_e64 s[20:21], v22, v24
	; wave barrier
	s_and_saveexec_b64 s[22:23], s[20:21]
	s_cbranch_execz .LBB612_114
; %bb.111:
	v_lshlrev_b32_e32 v25, 2, v11
	v_lshlrev_b32_e32 v26, 2, v10
	v_add3_u32 v25, v9, v25, v26
	s_mov_b64 s[24:25], 0
.LBB612_112:                            ; =>This Inner Loop Header: Depth=1
	v_add_u32_e32 v26, v24, v22
	v_lshrrev_b32_e32 v26, 1, v26
	v_not_b32_e32 v27, v26
	v_lshl_add_u32 v28, v26, 2, v21
	v_lshl_add_u32 v27, v27, 2, v25
	ds_read_b32 v28, v28
	ds_read_b32 v27, v27
	v_add_u32_e32 v29, 1, v26
	s_waitcnt lgkmcnt(1)
	v_and_b32_e32 v28, v28, v84
	s_waitcnt lgkmcnt(0)
	v_and_b32_e32 v27, v27, v84
	v_cmp_gt_u32_e64 s[20:21], v28, v27
	v_cndmask_b32_e64 v24, v24, v26, s[20:21]
	v_cndmask_b32_e64 v22, v29, v22, s[20:21]
	v_cmp_ge_u32_e64 s[20:21], v22, v24
	s_or_b64 s[24:25], s[20:21], s[24:25]
	s_andn2_b64 exec, exec, s[24:25]
	s_cbranch_execnz .LBB612_112
; %bb.113:
	s_or_b64 exec, exec, s[24:25]
.LBB612_114:
	s_or_b64 exec, exec, s[22:23]
	v_add_u32_e32 v10, v11, v10
	v_add_u32_e32 v23, v22, v23
	v_sub_u32_e32 v24, v10, v22
	v_cmp_le_u32_e64 s[20:21], v23, v11
	v_cmp_le_u32_e64 s[22:23], v24, v20
	s_or_b64 s[20:21], s[20:21], s[22:23]
	s_and_saveexec_b64 s[44:45], s[20:21]
	s_cbranch_execz .LBB612_120
; %bb.115:
	v_cmp_lt_u32_e64 s[20:21], v23, v11
                                        ; implicit-def: $vgpr10
	s_and_saveexec_b64 s[22:23], s[20:21]
	s_cbranch_execz .LBB612_117
; %bb.116:
	v_lshl_add_u32 v4, v22, 2, v21
	ds_read_b32 v10, v4
.LBB612_117:
	s_or_b64 exec, exec, s[22:23]
	v_cmp_ge_u32_e64 s[22:23], v24, v20
	v_cmp_lt_u32_e64 s[24:25], v24, v20
                                        ; implicit-def: $vgpr12
	s_and_saveexec_b64 s[28:29], s[24:25]
	s_cbranch_execz .LBB612_119
; %bb.118:
	v_lshl_add_u32 v4, v24, 2, v9
	ds_read_b32 v12, v4
.LBB612_119:
	s_or_b64 exec, exec, s[28:29]
	s_waitcnt lgkmcnt(0)
	v_and_b32_e32 v4, v12, v84
	v_and_b32_e32 v5, v10, v84
	v_cmp_le_u32_e64 s[24:25], v5, v4
	s_and_b64 s[20:21], s[20:21], s[24:25]
	s_or_b64 s[20:21], s[22:23], s[20:21]
	v_cndmask_b32_e64 v4, v24, v23, s[20:21]
	v_cndmask_b32_e64 v5, v20, v11, s[20:21]
	v_add_u32_e32 v13, 1, v4
	v_add_u32_e32 v5, -1, v5
	v_min_u32_e32 v5, v13, v5
	v_lshl_add_u32 v5, v5, 2, v9
	ds_read_b32 v5, v5
	v_lshl_add_u32 v4, v4, 3, v8
	s_waitcnt lgkmcnt(0)
	v_cndmask_b32_e64 v14, v5, v12, s[20:21]
	v_cndmask_b32_e64 v15, v10, v5, s[20:21]
	;; [unrolled: 1-line block ×4, first 2 shown]
	v_and_b32_e32 v16, v14, v84
	v_and_b32_e32 v17, v15, v84
	v_cmp_lt_u32_e64 s[24:25], v13, v11
	v_cmp_le_u32_e64 s[28:29], v17, v16
	v_cmp_ge_u32_e64 s[22:23], v5, v20
	s_and_b64 s[24:25], s[24:25], s[28:29]
	s_or_b64 s[22:23], s[22:23], s[24:25]
	v_cndmask_b32_e64 v16, v5, v13, s[22:23]
	v_cndmask_b32_e64 v17, v20, v11, s[22:23]
	v_add_u32_e32 v18, 1, v16
	v_add_u32_e32 v17, -1, v17
	v_min_u32_e32 v17, v18, v17
	v_lshl_add_u32 v17, v17, 2, v9
	ds_read_b32 v17, v17
	v_cndmask_b32_e64 v5, v18, v5, s[22:23]
	v_cndmask_b32_e64 v13, v13, v18, s[22:23]
	v_cmp_lt_u32_e64 s[28:29], v13, v11
	v_cmp_ge_u32_e64 s[24:25], v5, v20
	s_waitcnt lgkmcnt(0)
	v_cndmask_b32_e64 v19, v17, v14, s[22:23]
	v_cndmask_b32_e64 v17, v15, v17, s[22:23]
	v_and_b32_e32 v18, v19, v84
	v_and_b32_e32 v21, v17, v84
	v_cmp_le_u32_e64 s[30:31], v21, v18
	s_and_b64 s[28:29], s[28:29], s[30:31]
	s_or_b64 s[24:25], s[24:25], s[28:29]
	v_cndmask_b32_e64 v18, v5, v13, s[24:25]
	v_cndmask_b32_e64 v21, v20, v11, s[24:25]
	v_add_u32_e32 v22, 1, v18
	v_add_u32_e32 v21, -1, v21
	v_min_u32_e32 v21, v22, v21
	v_lshl_add_u32 v21, v21, 2, v9
	ds_read_b32 v21, v21
	v_cndmask_b32_e64 v24, v22, v5, s[24:25]
	v_cndmask_b32_e64 v13, v13, v22, s[24:25]
	v_cmp_lt_u32_e64 s[30:31], v13, v11
	v_cmp_ge_u32_e64 s[28:29], v24, v20
	s_waitcnt lgkmcnt(0)
	v_cndmask_b32_e64 v23, v21, v19, s[24:25]
	v_cndmask_b32_e64 v21, v17, v21, s[24:25]
	v_and_b32_e32 v5, v23, v84
	v_and_b32_e32 v22, v21, v84
	v_cmp_le_u32_e64 s[34:35], v22, v5
	s_and_b64 s[30:31], s[30:31], s[34:35]
	s_or_b64 s[28:29], s[28:29], s[30:31]
	v_cndmask_b32_e64 v22, v24, v13, s[28:29]
	v_cndmask_b32_e64 v5, v20, v11, s[28:29]
	v_add_u32_e32 v25, 1, v22
	v_add_u32_e32 v5, -1, v5
	v_min_u32_e32 v5, v25, v5
	v_lshl_add_u32 v5, v5, 2, v9
	ds_read_b32 v26, v5
	v_lshl_add_u32 v18, v18, 3, v8
	ds_read_b64 v[64:65], v18 offset:8192
	v_lshl_add_u32 v16, v16, 3, v8
	v_lshl_add_u32 v18, v22, 3, v8
	ds_read_b64 v[4:5], v4 offset:8192
	ds_read_b64 v[34:35], v16 offset:8192
	;; [unrolled: 1-line block ×3, first 2 shown]
	s_waitcnt lgkmcnt(4)
	v_cndmask_b32_e64 v16, v26, v23, s[28:29]
	v_cndmask_b32_e64 v26, v21, v26, s[28:29]
	;; [unrolled: 1-line block ×4, first 2 shown]
	v_and_b32_e32 v25, v16, v84
	v_and_b32_e32 v27, v26, v84
	v_cmp_lt_u32_e64 s[34:35], v13, v11
	v_cmp_le_u32_e64 s[36:37], v27, v25
	v_cmp_ge_u32_e64 s[30:31], v24, v20
	s_and_b64 s[34:35], s[34:35], s[36:37]
	s_or_b64 s[30:31], s[30:31], s[34:35]
	v_cndmask_b32_e64 v25, v24, v13, s[30:31]
	v_cndmask_b32_e64 v27, v20, v11, s[30:31]
	v_add_u32_e32 v28, 1, v25
	v_add_u32_e32 v27, -1, v27
	v_min_u32_e32 v27, v28, v27
	v_lshl_add_u32 v27, v27, 2, v9
	ds_read_b32 v27, v27
	v_lshl_add_u32 v25, v25, 3, v8
	ds_read_b64 v[66:67], v25 offset:8192
	v_cndmask_b32_e64 v24, v28, v24, s[30:31]
	v_cndmask_b32_e64 v13, v13, v28, s[30:31]
	s_waitcnt lgkmcnt(1)
	v_cndmask_b32_e64 v18, v27, v16, s[30:31]
	v_cndmask_b32_e64 v22, v26, v27, s[30:31]
	v_and_b32_e32 v27, v18, v84
	v_and_b32_e32 v28, v22, v84
	v_cmp_lt_u32_e64 s[36:37], v13, v11
	v_cmp_le_u32_e64 s[38:39], v28, v27
	v_cmp_ge_u32_e64 s[34:35], v24, v20
	s_and_b64 s[36:37], s[36:37], s[38:39]
	s_or_b64 s[34:35], s[34:35], s[36:37]
	v_cndmask_b32_e64 v27, v24, v13, s[34:35]
	v_cndmask_b32_e64 v28, v20, v11, s[34:35]
	v_add_u32_e32 v29, 1, v27
	v_add_u32_e32 v28, -1, v28
	v_min_u32_e32 v28, v29, v28
	v_lshl_add_u32 v28, v28, 2, v9
	ds_read_b32 v28, v28
	v_lshl_add_u32 v25, v27, 3, v8
	ds_read_b64 v[50:51], v25 offset:8192
	v_cndmask_b32_e64 v24, v29, v24, s[34:35]
	v_cmp_ge_u32_e64 s[36:37], v24, v20
	s_waitcnt lgkmcnt(1)
	v_cndmask_b32_e64 v25, v28, v18, s[34:35]
	v_cndmask_b32_e64 v27, v22, v28, s[34:35]
	v_cndmask_b32_e64 v28, v13, v29, s[34:35]
	v_and_b32_e32 v13, v25, v84
	v_and_b32_e32 v29, v27, v84
	v_cmp_lt_u32_e64 s[38:39], v28, v11
	v_cmp_le_u32_e64 s[40:41], v29, v13
	s_and_b64 s[38:39], s[38:39], s[40:41]
	s_or_b64 s[36:37], s[36:37], s[38:39]
	v_cndmask_b32_e64 v13, v24, v28, s[36:37]
	v_cndmask_b32_e64 v29, v20, v11, s[36:37]
	v_lshl_add_u32 v30, v13, 3, v8
	v_add_u32_e32 v31, 1, v13
	v_add_u32_e32 v13, -1, v29
	v_min_u32_e32 v13, v31, v13
	v_lshl_add_u32 v9, v13, 2, v9
	ds_read_b64 v[48:49], v30 offset:8192
	ds_read_b32 v9, v9
	v_cndmask_b32_e64 v12, v12, v10, s[20:21]
	v_cndmask_b32_e64 v13, v14, v15, s[22:23]
	;; [unrolled: 1-line block ×4, first 2 shown]
	s_waitcnt lgkmcnt(0)
	v_cndmask_b32_e64 v10, v9, v25, s[36:37]
	v_cndmask_b32_e64 v9, v27, v9, s[36:37]
	;; [unrolled: 1-line block ×3, first 2 shown]
	v_cmp_ge_u32_e64 s[20:21], v17, v20
	v_cmp_lt_u32_e64 s[22:23], v19, v11
	v_and_b32_e32 v11, v10, v84
	v_and_b32_e32 v20, v9, v84
	v_cmp_le_u32_e64 s[24:25], v20, v11
	s_and_b64 s[22:23], s[22:23], s[24:25]
	s_or_b64 s[20:21], s[20:21], s[22:23]
	v_cndmask_b32_e64 v11, v17, v19, s[20:21]
	v_lshl_add_u32 v8, v11, 3, v8
	ds_read_b64 v[38:39], v8 offset:8192
	v_cndmask_b32_e64 v15, v23, v21, s[28:29]
	v_cndmask_b32_e64 v16, v16, v26, s[30:31]
	;; [unrolled: 1-line block ×5, first 2 shown]
.LBB612_120:
	s_or_b64 exec, exec, s[44:45]
	; wave barrier
	s_waitcnt lgkmcnt(0)
	s_barrier
                                        ; implicit-def: $vgpr82
                                        ; implicit-def: $vgpr20_vgpr21_vgpr22_vgpr23_vgpr24_vgpr25_vgpr26_vgpr27
                                        ; implicit-def: $vgpr83
                                        ; implicit-def: $vgpr31
                                        ; implicit-def: $vgpr8
                                        ; implicit-def: $vgpr9
.LBB612_121:
	s_andn2_saveexec_b64 s[38:39], s[42:43]
	s_cbranch_execz .LBB612_217
; %bb.122:
	s_load_dwordx2 s[20:21], s[8:9], 0x0
	v_mov_b32_e32 v10, 0
	s_waitcnt lgkmcnt(0)
	s_cmp_lt_u32 s12, s20
	s_cselect_b32 s20, 12, 18
	s_cmp_lt_u32 s13, s21
	s_cselect_b32 s12, 14, 20
	s_add_u32 s12, s8, s12
	s_addc_u32 s13, s9, 0
	s_add_u32 s8, s8, s20
	s_addc_u32 s9, s9, 0
	global_load_ushort v11, v10, s[12:13]
	global_load_ushort v12, v10, s[8:9]
	v_and_b32_e32 v10, 0x3ff, v31
	s_movk_i32 s8, 0x800
	s_waitcnt vmcnt(0)
	v_mad_u32_u24 v8, v9, v11, v8
	v_mul_lo_u32 v8, v8, v12
	v_add_lshl_u32 v84, v8, v10, 3
	v_pk_mov_b32 v[12:13], v[20:21], v[20:21] op_sel:[0,1]
	v_cmp_gt_u32_e64 s[8:9], s8, v84
	v_pk_mov_b32 v[14:15], v[22:23], v[22:23] op_sel:[0,1]
	v_pk_mov_b32 v[16:17], v[24:25], v[24:25] op_sel:[0,1]
	;; [unrolled: 1-line block ×3, first 2 shown]
	s_and_saveexec_b64 s[12:13], s[8:9]
	s_cbranch_execz .LBB612_176
; %bb.123:
	v_pk_mov_b32 v[8:9], v[20:21], v[20:21] op_sel:[0,1]
	v_cmp_gt_i32_e64 s[8:9], v20, v21
	v_pk_mov_b32 v[68:69], v[34:35], v[34:35] op_sel:[0,1]
	v_pk_mov_b32 v[10:11], v[22:23], v[22:23] op_sel:[0,1]
	v_pk_mov_b32 v[12:13], v[24:25], v[24:25] op_sel:[0,1]
	v_pk_mov_b32 v[14:15], v[26:27], v[26:27] op_sel:[0,1]
	v_mov_b32_e32 v85, v20
	s_and_saveexec_b64 s[20:21], s[8:9]
	s_cbranch_execz .LBB612_125
; %bb.124:
	v_mov_b32_e32 v8, v21
	v_mov_b32_e32 v9, v20
	v_mov_b32_e32 v10, v22
	v_mov_b32_e32 v11, v23
	v_mov_b32_e32 v12, v24
	v_mov_b32_e32 v13, v25
	v_mov_b32_e32 v14, v26
	v_mov_b32_e32 v15, v27
	v_pk_mov_b32 v[68:69], v[4:5], v[4:5] op_sel:[0,1]
	v_pk_mov_b32 v[4:5], v[34:35], v[34:35] op_sel:[0,1]
	v_mov_b32_e32 v85, v21
	v_mov_b32_e32 v21, v20
.LBB612_125:
	s_or_b64 exec, exec, s[20:21]
	v_pk_mov_b32 v[28:29], v[14:15], v[14:15] op_sel:[0,1]
	v_cmp_gt_i32_e64 s[8:9], v10, v11
	v_pk_mov_b32 v[70:71], v[52:53], v[52:53] op_sel:[0,1]
	v_pk_mov_b32 v[26:27], v[12:13], v[12:13] op_sel:[0,1]
	v_pk_mov_b32 v[24:25], v[10:11], v[10:11] op_sel:[0,1]
	v_pk_mov_b32 v[22:23], v[8:9], v[8:9] op_sel:[0,1]
	v_mov_b32_e32 v20, v11
	s_and_saveexec_b64 s[20:21], s[8:9]
	s_cbranch_execz .LBB612_127
; %bb.126:
	v_mov_b32_e32 v22, v8
	v_mov_b32_e32 v23, v9
	v_mov_b32_e32 v24, v11
	v_mov_b32_e32 v25, v10
	v_mov_b32_e32 v26, v12
	v_mov_b32_e32 v27, v13
	v_mov_b32_e32 v28, v14
	v_mov_b32_e32 v29, v15
	v_pk_mov_b32 v[70:71], v[64:65], v[64:65] op_sel:[0,1]
	v_pk_mov_b32 v[64:65], v[52:53], v[52:53] op_sel:[0,1]
	v_mov_b32_e32 v20, v10
	v_mov_b32_e32 v10, v11
.LBB612_127:
	s_or_b64 exec, exec, s[20:21]
	;; [unrolled: 24-line block ×4, first 2 shown]
	v_cmp_gt_i32_e64 s[8:9], v21, v10
	v_pk_mov_b32 v[24:25], v[64:65], v[64:65] op_sel:[0,1]
	v_mov_b32_e32 v32, v10
	s_and_saveexec_b64 s[20:21], s[8:9]
	s_xor_b64 s[8:9], exec, s[20:21]
; %bb.132:
	v_mov_b32_e32 v13, v10
	v_mov_b32_e32 v14, v21
	v_pk_mov_b32 v[24:25], v[68:69], v[68:69] op_sel:[0,1]
	v_pk_mov_b32 v[68:69], v[64:65], v[64:65] op_sel:[0,1]
	v_mov_b32_e32 v32, v21
	v_mov_b32_e32 v21, v10
; %bb.133:
	s_or_b64 exec, exec, s[8:9]
	v_cmp_gt_i32_e64 s[8:9], v20, v26
	v_pk_mov_b32 v[28:29], v[70:71], v[70:71] op_sel:[0,1]
	v_mov_b32_e32 v35, v26
	s_and_saveexec_b64 s[20:21], s[8:9]
; %bb.134:
	v_mov_b32_e32 v15, v26
	v_mov_b32_e32 v16, v20
	v_pk_mov_b32 v[28:29], v[8:9], v[8:9] op_sel:[0,1]
	v_pk_mov_b32 v[8:9], v[70:71], v[70:71] op_sel:[0,1]
	v_mov_b32_e32 v35, v20
	v_mov_b32_e32 v20, v26
; %bb.135:
	s_or_b64 exec, exec, s[20:21]
	v_cmp_gt_i32_e64 s[8:9], v52, v36
	v_pk_mov_b32 v[10:11], v[50:51], v[50:51] op_sel:[0,1]
	v_mov_b32_e32 v37, v36
	s_and_saveexec_b64 s[20:21], s[8:9]
	;; [unrolled: 13-line block ×19, first 2 shown]
; %bb.170:
	v_mov_b32_e32 v16, v36
	v_mov_b32_e32 v17, v49
	v_pk_mov_b32 v[24:25], v[50:51], v[50:51] op_sel:[0,1]
	v_pk_mov_b32 v[50:51], v[26:27], v[26:27] op_sel:[0,1]
	v_mov_b32_e32 v32, v49
	v_mov_b32_e32 v49, v36
; %bb.171:
	s_or_b64 exec, exec, s[20:21]
	v_cmp_gt_i32_e64 s[8:9], v30, v37
	v_pk_mov_b32 v[26:27], v[28:29], v[28:29] op_sel:[0,1]
	s_and_saveexec_b64 s[20:21], s[8:9]
; %bb.172:
	v_mov_b32_e32 v18, v37
	v_mov_b32_e32 v19, v30
	v_pk_mov_b32 v[26:27], v[38:39], v[38:39] op_sel:[0,1]
	v_pk_mov_b32 v[38:39], v[28:29], v[28:29] op_sel:[0,1]
	v_mov_b32_e32 v30, v37
; %bb.173:
	s_or_b64 exec, exec, s[20:21]
	v_cmp_gt_i32_e64 s[8:9], v21, v48
	v_cndmask_b32_e64 v65, v9, v23, s[8:9]
	v_cndmask_b32_e64 v64, v8, v22, s[8:9]
	;; [unrolled: 1-line block ×6, first 2 shown]
	v_cmp_gt_i32_e64 s[8:9], v31, v49
	v_cndmask_b32_e64 v53, v11, v25, s[8:9]
	v_cndmask_b32_e64 v52, v10, v24, s[8:9]
	;; [unrolled: 1-line block ×6, first 2 shown]
	v_cmp_gt_i32_e64 s[8:9], v32, v30
	v_pk_mov_b32 v[48:49], v[26:27], v[26:27] op_sel:[0,1]
	s_and_saveexec_b64 s[20:21], s[8:9]
; %bb.174:
	v_mov_b32_e32 v17, v30
	v_mov_b32_e32 v18, v32
	v_pk_mov_b32 v[48:49], v[50:51], v[50:51] op_sel:[0,1]
	v_pk_mov_b32 v[50:51], v[26:27], v[26:27] op_sel:[0,1]
; %bb.175:
	s_or_b64 exec, exec, s[20:21]
.LBB612_176:
	s_or_b64 exec, exec, s[12:13]
	v_and_b32_e32 v8, 0xfffffe00, v84
	s_movk_i32 s8, 0x800
	v_lshlrev_b32_e32 v9, 2, v8
	v_sub_u32_e64 v10, s8, v8 clamp
	v_add_u32_e32 v8, v9, v9
	v_lshl_add_u32 v22, v82, 3, v8
	v_add_u32_e32 v11, 0x2000, v22
	v_add_u32_e32 v23, 0x2010, v22
	v_lshl_add_u32 v21, v82, 2, v9
	ds_write2_b64 v11, v[4:5], v[34:35] offset1:1
	ds_write2_b32 v21, v13, v14 offset0:1 offset1:2
	ds_write2_b64 v23, v[64:65], v[52:53] offset1:1
	ds_write2_b32 v21, v15, v16 offset0:3 offset1:4
	v_add_u32_e32 v23, 0x2020, v22
	ds_write2_b64 v23, v[66:67], v[50:51] offset1:1
	ds_write2_b32 v21, v17, v18 offset0:5 offset1:6
	v_add_u32_e32 v23, 0x2030, v22
	ds_write2_b32 v21, v20, v19 offset1:7
	ds_write2_b64 v23, v[48:49], v[38:39] offset1:1
	v_or_b32_e32 v20, 8, v82
	v_min_u32_e32 v20, v10, v20
	v_add_u32_e32 v23, 8, v20
	v_and_b32_e32 v26, 0x3f0, v82
	v_min_u32_e32 v23, v10, v23
	v_and_b32_e32 v24, 8, v82
	v_min_u32_e32 v27, v10, v24
	v_sub_u32_e32 v28, v20, v26
	v_sub_u32_e32 v25, v23, v20
	v_sub_u32_e64 v25, v27, v25 clamp
	v_min_u32_e32 v28, v27, v28
	v_lshl_add_u32 v24, v26, 2, v9
	v_cmp_lt_u32_e64 s[8:9], v25, v28
	; wave barrier
	s_and_saveexec_b64 s[12:13], s[8:9]
	s_cbranch_execz .LBB612_180
; %bb.177:
	v_lshlrev_b32_e32 v29, 2, v20
	v_lshlrev_b32_e32 v30, 2, v27
	v_add3_u32 v29, v9, v29, v30
	s_mov_b64 s[20:21], 0
.LBB612_178:                            ; =>This Inner Loop Header: Depth=1
	v_add_u32_e32 v30, v28, v25
	v_lshrrev_b32_e32 v30, 1, v30
	v_not_b32_e32 v31, v30
	v_lshl_add_u32 v32, v30, 2, v24
	v_lshl_add_u32 v31, v31, 2, v29
	ds_read_b32 v32, v32
	ds_read_b32 v31, v31
	v_add_u32_e32 v33, 1, v30
	s_waitcnt lgkmcnt(0)
	v_cmp_gt_i32_e64 s[8:9], v32, v31
	v_cndmask_b32_e64 v28, v28, v30, s[8:9]
	v_cndmask_b32_e64 v25, v33, v25, s[8:9]
	v_cmp_ge_u32_e64 s[8:9], v25, v28
	s_or_b64 s[20:21], s[8:9], s[20:21]
	s_andn2_b64 exec, exec, s[20:21]
	s_cbranch_execnz .LBB612_178
; %bb.179:
	s_or_b64 exec, exec, s[20:21]
.LBB612_180:
	s_or_b64 exec, exec, s[12:13]
	v_add_u32_e32 v27, v20, v27
	v_add_u32_e32 v26, v25, v26
	v_sub_u32_e32 v27, v27, v25
	v_cmp_le_u32_e64 s[8:9], v26, v20
	v_cmp_le_u32_e64 s[12:13], v27, v23
	s_or_b64 s[8:9], s[8:9], s[12:13]
	s_and_saveexec_b64 s[40:41], s[8:9]
	s_cbranch_execz .LBB612_186
; %bb.181:
	v_cmp_lt_u32_e64 s[8:9], v26, v20
                                        ; implicit-def: $vgpr12
	s_and_saveexec_b64 s[12:13], s[8:9]
	s_cbranch_execz .LBB612_183
; %bb.182:
	v_lshl_add_u32 v4, v25, 2, v24
	ds_read_b32 v12, v4
.LBB612_183:
	s_or_b64 exec, exec, s[12:13]
	v_cmp_ge_u32_e64 s[20:21], v27, v23
	v_cmp_lt_u32_e64 s[12:13], v27, v23
                                        ; implicit-def: $vgpr13
	s_and_saveexec_b64 s[22:23], s[12:13]
	s_cbranch_execz .LBB612_185
; %bb.184:
	v_lshl_add_u32 v4, v27, 2, v9
	ds_read_b32 v13, v4
.LBB612_185:
	s_or_b64 exec, exec, s[22:23]
	s_waitcnt lgkmcnt(0)
	v_cmp_le_i32_e64 s[12:13], v12, v13
	s_and_b64 s[8:9], s[8:9], s[12:13]
	s_or_b64 s[8:9], s[20:21], s[8:9]
	v_cndmask_b32_e64 v4, v27, v26, s[8:9]
	v_cndmask_b32_e64 v5, v23, v20, s[8:9]
	v_add_u32_e32 v14, 1, v4
	v_add_u32_e32 v5, -1, v5
	v_min_u32_e32 v5, v14, v5
	v_lshl_add_u32 v5, v5, 2, v9
	ds_read_b32 v5, v5
	v_cndmask_b32_e64 v15, v14, v27, s[8:9]
	v_cmp_ge_u32_e64 s[12:13], v15, v23
	v_lshl_add_u32 v4, v4, 3, v8
	s_waitcnt lgkmcnt(0)
	v_cndmask_b32_e64 v16, v5, v13, s[8:9]
	v_cndmask_b32_e64 v17, v12, v5, s[8:9]
	v_cndmask_b32_e64 v5, v26, v14, s[8:9]
	v_cmp_lt_u32_e64 s[20:21], v5, v20
	v_cmp_le_i32_e64 s[22:23], v17, v16
	s_and_b64 s[20:21], s[20:21], s[22:23]
	s_or_b64 s[20:21], s[12:13], s[20:21]
	v_cndmask_b32_e64 v14, v15, v5, s[20:21]
	v_cndmask_b32_e64 v18, v23, v20, s[20:21]
	v_add_u32_e32 v19, 1, v14
	v_add_u32_e32 v18, -1, v18
	v_min_u32_e32 v18, v19, v18
	v_lshl_add_u32 v18, v18, 2, v9
	ds_read_b32 v18, v18
	v_cndmask_b32_e64 v5, v5, v19, s[20:21]
	v_cndmask_b32_e64 v15, v19, v15, s[20:21]
	v_cmp_lt_u32_e64 s[22:23], v5, v20
	v_cmp_ge_u32_e64 s[12:13], v15, v23
	s_waitcnt lgkmcnt(0)
	v_cndmask_b32_e64 v24, v18, v16, s[20:21]
	v_cndmask_b32_e64 v18, v17, v18, s[20:21]
	v_cmp_le_i32_e64 s[24:25], v18, v24
	s_and_b64 s[22:23], s[22:23], s[24:25]
	s_or_b64 s[22:23], s[12:13], s[22:23]
	v_cndmask_b32_e64 v19, v15, v5, s[22:23]
	v_cndmask_b32_e64 v25, v23, v20, s[22:23]
	v_add_u32_e32 v26, 1, v19
	v_add_u32_e32 v25, -1, v25
	v_min_u32_e32 v25, v26, v25
	v_lshl_add_u32 v25, v25, 2, v9
	ds_read_b32 v25, v25
	v_cndmask_b32_e64 v15, v26, v15, s[22:23]
	v_cndmask_b32_e64 v26, v5, v26, s[22:23]
	v_cmp_lt_u32_e64 s[24:25], v26, v20
	v_cmp_ge_u32_e64 s[12:13], v15, v23
	s_waitcnt lgkmcnt(0)
	v_cndmask_b32_e64 v27, v25, v24, s[22:23]
	v_cndmask_b32_e64 v25, v18, v25, s[22:23]
	v_cmp_le_i32_e64 s[28:29], v25, v27
	s_and_b64 s[24:25], s[24:25], s[28:29]
	s_or_b64 s[12:13], s[12:13], s[24:25]
	v_cndmask_b32_e64 v28, v15, v26, s[12:13]
	v_cndmask_b32_e64 v5, v23, v20, s[12:13]
	v_add_u32_e32 v29, 1, v28
	v_add_u32_e32 v5, -1, v5
	v_min_u32_e32 v5, v29, v5
	v_lshl_add_u32 v5, v5, 2, v9
	ds_read_b32 v30, v5
	v_lshl_add_u32 v19, v19, 3, v8
	ds_read_b64 v[64:65], v19 offset:8192
	v_lshl_add_u32 v14, v14, 3, v8
	v_lshl_add_u32 v19, v28, 3, v8
	ds_read_b64 v[4:5], v4 offset:8192
	ds_read_b64 v[34:35], v14 offset:8192
	;; [unrolled: 1-line block ×3, first 2 shown]
	s_waitcnt lgkmcnt(4)
	v_cndmask_b32_e64 v31, v30, v27, s[12:13]
	v_cndmask_b32_e64 v30, v25, v30, s[12:13]
	;; [unrolled: 1-line block ×4, first 2 shown]
	v_cmp_lt_u32_e64 s[28:29], v15, v20
	v_cmp_le_i32_e64 s[30:31], v30, v31
	v_cmp_ge_u32_e64 s[24:25], v14, v23
	s_and_b64 s[28:29], s[28:29], s[30:31]
	s_or_b64 s[24:25], s[24:25], s[28:29]
	v_cndmask_b32_e64 v26, v14, v15, s[24:25]
	v_cndmask_b32_e64 v29, v23, v20, s[24:25]
	v_add_u32_e32 v32, 1, v26
	v_add_u32_e32 v29, -1, v29
	v_min_u32_e32 v29, v32, v29
	v_lshl_add_u32 v29, v29, 2, v9
	ds_read_b32 v29, v29
	v_lshl_add_u32 v26, v26, 3, v8
	ds_read_b64 v[66:67], v26 offset:8192
	v_cndmask_b32_e64 v15, v15, v32, s[24:25]
	v_cndmask_b32_e64 v14, v32, v14, s[24:25]
	s_waitcnt lgkmcnt(1)
	v_cndmask_b32_e64 v19, v29, v31, s[24:25]
	v_cndmask_b32_e64 v28, v30, v29, s[24:25]
	v_cmp_lt_u32_e64 s[30:31], v15, v20
	v_cmp_le_i32_e64 s[34:35], v28, v19
	v_cmp_ge_u32_e64 s[28:29], v14, v23
	s_and_b64 s[30:31], s[30:31], s[34:35]
	s_or_b64 s[28:29], s[28:29], s[30:31]
	v_cndmask_b32_e64 v29, v14, v15, s[28:29]
	v_cndmask_b32_e64 v32, v23, v20, s[28:29]
	v_add_u32_e32 v33, 1, v29
	v_add_u32_e32 v32, -1, v32
	v_min_u32_e32 v32, v33, v32
	v_lshl_add_u32 v32, v32, 2, v9
	ds_read_b32 v32, v32
	v_lshl_add_u32 v26, v29, 3, v8
	ds_read_b64 v[50:51], v26 offset:8192
	v_cndmask_b32_e64 v12, v13, v12, s[8:9]
	v_cndmask_b32_e64 v13, v16, v17, s[20:21]
	s_waitcnt lgkmcnt(1)
	v_cndmask_b32_e64 v26, v32, v19, s[28:29]
	v_cndmask_b32_e64 v29, v28, v32, s[28:29]
	;; [unrolled: 1-line block ×4, first 2 shown]
	v_cmp_lt_u32_e64 s[34:35], v33, v20
	v_cmp_le_i32_e64 s[36:37], v29, v26
	v_cmp_ge_u32_e64 s[30:31], v32, v23
	s_and_b64 s[34:35], s[34:35], s[36:37]
	s_or_b64 s[30:31], s[30:31], s[34:35]
	v_cndmask_b32_e64 v14, v32, v33, s[30:31]
	v_cndmask_b32_e64 v15, v23, v20, s[30:31]
	v_lshl_add_u32 v36, v14, 3, v8
	v_add_u32_e32 v37, 1, v14
	v_add_u32_e32 v14, -1, v15
	v_min_u32_e32 v14, v37, v14
	v_lshl_add_u32 v14, v14, 2, v9
	ds_read_b64 v[48:49], v36 offset:8192
	ds_read_b32 v36, v14
	v_cndmask_b32_e64 v14, v24, v18, s[22:23]
	v_cndmask_b32_e64 v15, v27, v25, s[12:13]
	;; [unrolled: 1-line block ×4, first 2 shown]
	s_waitcnt lgkmcnt(0)
	v_cndmask_b32_e64 v24, v36, v26, s[30:31]
	v_cndmask_b32_e64 v25, v29, v36, s[30:31]
	v_cmp_lt_u32_e64 s[12:13], v17, v20
	v_cmp_le_i32_e64 s[20:21], v25, v24
	v_cmp_ge_u32_e64 s[8:9], v16, v23
	s_and_b64 s[12:13], s[12:13], s[20:21]
	s_or_b64 s[8:9], s[8:9], s[12:13]
	v_cndmask_b32_e64 v16, v16, v17, s[8:9]
	v_lshl_add_u32 v16, v16, 3, v8
	ds_read_b64 v[38:39], v16 offset:8192
	v_cndmask_b32_e64 v16, v31, v30, s[24:25]
	v_cndmask_b32_e64 v17, v19, v28, s[28:29]
	;; [unrolled: 1-line block ×4, first 2 shown]
.LBB612_186:
	s_or_b64 exec, exec, s[40:41]
	v_add_u32_e32 v20, 0x2000, v22
	v_and_b32_e32 v26, 0x3e0, v82
	; wave barrier
	ds_write2_b64 v20, v[4:5], v[34:35] offset1:1
	ds_write2_b64 v21, v[12:13], v[14:15] offset1:1
	ds_write2_b64 v11, v[64:65], v[52:53] offset0:2 offset1:3
	ds_write2_b64 v11, v[66:67], v[50:51] offset0:4 offset1:5
	ds_write2_b64 v21, v[16:17], v[18:19] offset0:2 offset1:3
	s_waitcnt lgkmcnt(5)
	ds_write2_b64 v11, v[48:49], v[38:39] offset0:6 offset1:7
	v_or_b32_e32 v20, 16, v26
	v_min_u32_e32 v20, v10, v20
	v_add_u32_e32 v23, 16, v20
	v_min_u32_e32 v23, v10, v23
	v_and_b32_e32 v24, 24, v82
	v_min_u32_e32 v27, v10, v24
	v_sub_u32_e32 v28, v20, v26
	v_sub_u32_e32 v25, v23, v20
	v_sub_u32_e64 v25, v27, v25 clamp
	v_min_u32_e32 v28, v27, v28
	v_lshl_add_u32 v24, v26, 2, v9
	v_cmp_lt_u32_e64 s[8:9], v25, v28
	; wave barrier
	s_and_saveexec_b64 s[12:13], s[8:9]
	s_cbranch_execz .LBB612_190
; %bb.187:
	v_lshlrev_b32_e32 v29, 2, v20
	v_lshlrev_b32_e32 v30, 2, v27
	v_add3_u32 v29, v9, v29, v30
	s_mov_b64 s[20:21], 0
.LBB612_188:                            ; =>This Inner Loop Header: Depth=1
	v_add_u32_e32 v30, v28, v25
	v_lshrrev_b32_e32 v30, 1, v30
	v_not_b32_e32 v31, v30
	v_lshl_add_u32 v32, v30, 2, v24
	v_lshl_add_u32 v31, v31, 2, v29
	ds_read_b32 v32, v32
	ds_read_b32 v31, v31
	v_add_u32_e32 v33, 1, v30
	s_waitcnt lgkmcnt(0)
	v_cmp_gt_i32_e64 s[8:9], v32, v31
	v_cndmask_b32_e64 v28, v28, v30, s[8:9]
	v_cndmask_b32_e64 v25, v33, v25, s[8:9]
	v_cmp_ge_u32_e64 s[8:9], v25, v28
	s_or_b64 s[20:21], s[8:9], s[20:21]
	s_andn2_b64 exec, exec, s[20:21]
	s_cbranch_execnz .LBB612_188
; %bb.189:
	s_or_b64 exec, exec, s[20:21]
.LBB612_190:
	s_or_b64 exec, exec, s[12:13]
	v_add_u32_e32 v27, v20, v27
	v_add_u32_e32 v26, v25, v26
	v_sub_u32_e32 v27, v27, v25
	v_cmp_le_u32_e64 s[8:9], v26, v20
	v_cmp_le_u32_e64 s[12:13], v27, v23
	s_or_b64 s[8:9], s[8:9], s[12:13]
	s_and_saveexec_b64 s[40:41], s[8:9]
	s_cbranch_execz .LBB612_196
; %bb.191:
	v_cmp_lt_u32_e64 s[8:9], v26, v20
                                        ; implicit-def: $vgpr12
	s_and_saveexec_b64 s[12:13], s[8:9]
	s_cbranch_execz .LBB612_193
; %bb.192:
	v_lshl_add_u32 v4, v25, 2, v24
	ds_read_b32 v12, v4
.LBB612_193:
	s_or_b64 exec, exec, s[12:13]
	v_cmp_ge_u32_e64 s[20:21], v27, v23
	v_cmp_lt_u32_e64 s[12:13], v27, v23
                                        ; implicit-def: $vgpr13
	s_and_saveexec_b64 s[22:23], s[12:13]
	s_cbranch_execz .LBB612_195
; %bb.194:
	v_lshl_add_u32 v4, v27, 2, v9
	ds_read_b32 v13, v4
.LBB612_195:
	s_or_b64 exec, exec, s[22:23]
	s_waitcnt lgkmcnt(0)
	v_cmp_le_i32_e64 s[12:13], v12, v13
	s_and_b64 s[8:9], s[8:9], s[12:13]
	s_or_b64 s[8:9], s[20:21], s[8:9]
	v_cndmask_b32_e64 v4, v27, v26, s[8:9]
	v_cndmask_b32_e64 v5, v23, v20, s[8:9]
	v_add_u32_e32 v14, 1, v4
	v_add_u32_e32 v5, -1, v5
	v_min_u32_e32 v5, v14, v5
	v_lshl_add_u32 v5, v5, 2, v9
	ds_read_b32 v5, v5
	v_cndmask_b32_e64 v15, v14, v27, s[8:9]
	v_cmp_ge_u32_e64 s[12:13], v15, v23
	v_lshl_add_u32 v4, v4, 3, v8
	s_waitcnt lgkmcnt(0)
	v_cndmask_b32_e64 v16, v5, v13, s[8:9]
	v_cndmask_b32_e64 v17, v12, v5, s[8:9]
	v_cndmask_b32_e64 v5, v26, v14, s[8:9]
	v_cmp_lt_u32_e64 s[20:21], v5, v20
	v_cmp_le_i32_e64 s[22:23], v17, v16
	s_and_b64 s[20:21], s[20:21], s[22:23]
	s_or_b64 s[20:21], s[12:13], s[20:21]
	v_cndmask_b32_e64 v14, v15, v5, s[20:21]
	v_cndmask_b32_e64 v18, v23, v20, s[20:21]
	v_add_u32_e32 v19, 1, v14
	v_add_u32_e32 v18, -1, v18
	v_min_u32_e32 v18, v19, v18
	v_lshl_add_u32 v18, v18, 2, v9
	ds_read_b32 v18, v18
	v_cndmask_b32_e64 v5, v5, v19, s[20:21]
	v_cndmask_b32_e64 v15, v19, v15, s[20:21]
	v_cmp_lt_u32_e64 s[22:23], v5, v20
	v_cmp_ge_u32_e64 s[12:13], v15, v23
	s_waitcnt lgkmcnt(0)
	v_cndmask_b32_e64 v24, v18, v16, s[20:21]
	v_cndmask_b32_e64 v18, v17, v18, s[20:21]
	v_cmp_le_i32_e64 s[24:25], v18, v24
	s_and_b64 s[22:23], s[22:23], s[24:25]
	s_or_b64 s[22:23], s[12:13], s[22:23]
	v_cndmask_b32_e64 v19, v15, v5, s[22:23]
	v_cndmask_b32_e64 v25, v23, v20, s[22:23]
	v_add_u32_e32 v26, 1, v19
	v_add_u32_e32 v25, -1, v25
	v_min_u32_e32 v25, v26, v25
	v_lshl_add_u32 v25, v25, 2, v9
	ds_read_b32 v25, v25
	v_cndmask_b32_e64 v15, v26, v15, s[22:23]
	v_cndmask_b32_e64 v26, v5, v26, s[22:23]
	v_cmp_lt_u32_e64 s[24:25], v26, v20
	v_cmp_ge_u32_e64 s[12:13], v15, v23
	s_waitcnt lgkmcnt(0)
	v_cndmask_b32_e64 v27, v25, v24, s[22:23]
	v_cndmask_b32_e64 v25, v18, v25, s[22:23]
	v_cmp_le_i32_e64 s[28:29], v25, v27
	s_and_b64 s[24:25], s[24:25], s[28:29]
	s_or_b64 s[12:13], s[12:13], s[24:25]
	v_cndmask_b32_e64 v28, v15, v26, s[12:13]
	v_cndmask_b32_e64 v5, v23, v20, s[12:13]
	v_add_u32_e32 v29, 1, v28
	v_add_u32_e32 v5, -1, v5
	v_min_u32_e32 v5, v29, v5
	v_lshl_add_u32 v5, v5, 2, v9
	ds_read_b32 v30, v5
	v_lshl_add_u32 v19, v19, 3, v8
	ds_read_b64 v[64:65], v19 offset:8192
	v_lshl_add_u32 v14, v14, 3, v8
	v_lshl_add_u32 v19, v28, 3, v8
	ds_read_b64 v[4:5], v4 offset:8192
	ds_read_b64 v[34:35], v14 offset:8192
	;; [unrolled: 1-line block ×3, first 2 shown]
	s_waitcnt lgkmcnt(4)
	v_cndmask_b32_e64 v31, v30, v27, s[12:13]
	v_cndmask_b32_e64 v30, v25, v30, s[12:13]
	;; [unrolled: 1-line block ×4, first 2 shown]
	v_cmp_lt_u32_e64 s[28:29], v15, v20
	v_cmp_le_i32_e64 s[30:31], v30, v31
	v_cmp_ge_u32_e64 s[24:25], v14, v23
	s_and_b64 s[28:29], s[28:29], s[30:31]
	s_or_b64 s[24:25], s[24:25], s[28:29]
	v_cndmask_b32_e64 v26, v14, v15, s[24:25]
	v_cndmask_b32_e64 v29, v23, v20, s[24:25]
	v_add_u32_e32 v32, 1, v26
	v_add_u32_e32 v29, -1, v29
	v_min_u32_e32 v29, v32, v29
	v_lshl_add_u32 v29, v29, 2, v9
	ds_read_b32 v29, v29
	v_lshl_add_u32 v26, v26, 3, v8
	ds_read_b64 v[66:67], v26 offset:8192
	v_cndmask_b32_e64 v15, v15, v32, s[24:25]
	v_cndmask_b32_e64 v14, v32, v14, s[24:25]
	s_waitcnt lgkmcnt(1)
	v_cndmask_b32_e64 v19, v29, v31, s[24:25]
	v_cndmask_b32_e64 v28, v30, v29, s[24:25]
	v_cmp_lt_u32_e64 s[30:31], v15, v20
	v_cmp_le_i32_e64 s[34:35], v28, v19
	v_cmp_ge_u32_e64 s[28:29], v14, v23
	s_and_b64 s[30:31], s[30:31], s[34:35]
	s_or_b64 s[28:29], s[28:29], s[30:31]
	v_cndmask_b32_e64 v29, v14, v15, s[28:29]
	v_cndmask_b32_e64 v32, v23, v20, s[28:29]
	v_add_u32_e32 v33, 1, v29
	v_add_u32_e32 v32, -1, v32
	v_min_u32_e32 v32, v33, v32
	v_lshl_add_u32 v32, v32, 2, v9
	ds_read_b32 v32, v32
	v_lshl_add_u32 v26, v29, 3, v8
	ds_read_b64 v[50:51], v26 offset:8192
	v_cndmask_b32_e64 v12, v13, v12, s[8:9]
	v_cndmask_b32_e64 v13, v16, v17, s[20:21]
	s_waitcnt lgkmcnt(1)
	v_cndmask_b32_e64 v26, v32, v19, s[28:29]
	v_cndmask_b32_e64 v29, v28, v32, s[28:29]
	;; [unrolled: 1-line block ×4, first 2 shown]
	v_cmp_lt_u32_e64 s[34:35], v33, v20
	v_cmp_le_i32_e64 s[36:37], v29, v26
	v_cmp_ge_u32_e64 s[30:31], v32, v23
	s_and_b64 s[34:35], s[34:35], s[36:37]
	s_or_b64 s[30:31], s[30:31], s[34:35]
	v_cndmask_b32_e64 v14, v32, v33, s[30:31]
	v_cndmask_b32_e64 v15, v23, v20, s[30:31]
	v_lshl_add_u32 v36, v14, 3, v8
	v_add_u32_e32 v37, 1, v14
	v_add_u32_e32 v14, -1, v15
	v_min_u32_e32 v14, v37, v14
	v_lshl_add_u32 v14, v14, 2, v9
	ds_read_b64 v[48:49], v36 offset:8192
	ds_read_b32 v36, v14
	v_cndmask_b32_e64 v14, v24, v18, s[22:23]
	v_cndmask_b32_e64 v15, v27, v25, s[12:13]
	;; [unrolled: 1-line block ×4, first 2 shown]
	s_waitcnt lgkmcnt(0)
	v_cndmask_b32_e64 v24, v36, v26, s[30:31]
	v_cndmask_b32_e64 v25, v29, v36, s[30:31]
	v_cmp_lt_u32_e64 s[12:13], v17, v20
	v_cmp_le_i32_e64 s[20:21], v25, v24
	v_cmp_ge_u32_e64 s[8:9], v16, v23
	s_and_b64 s[12:13], s[12:13], s[20:21]
	s_or_b64 s[8:9], s[8:9], s[12:13]
	v_cndmask_b32_e64 v16, v16, v17, s[8:9]
	v_lshl_add_u32 v16, v16, 3, v8
	ds_read_b64 v[38:39], v16 offset:8192
	v_cndmask_b32_e64 v16, v31, v30, s[24:25]
	v_cndmask_b32_e64 v17, v19, v28, s[28:29]
	;; [unrolled: 1-line block ×4, first 2 shown]
.LBB612_196:
	s_or_b64 exec, exec, s[40:41]
	v_add_u32_e32 v20, 0x2000, v22
	v_and_b32_e32 v26, 0x3c0, v82
	; wave barrier
	ds_write2_b64 v20, v[4:5], v[34:35] offset1:1
	ds_write2_b64 v21, v[12:13], v[14:15] offset1:1
	ds_write2_b64 v11, v[64:65], v[52:53] offset0:2 offset1:3
	ds_write2_b64 v11, v[66:67], v[50:51] offset0:4 offset1:5
	;; [unrolled: 1-line block ×3, first 2 shown]
	s_waitcnt lgkmcnt(5)
	ds_write2_b64 v11, v[48:49], v[38:39] offset0:6 offset1:7
	v_or_b32_e32 v20, 32, v26
	v_min_u32_e32 v20, v10, v20
	v_add_u32_e32 v23, 32, v20
	v_min_u32_e32 v23, v10, v23
	v_and_b32_e32 v24, 56, v82
	v_min_u32_e32 v27, v10, v24
	v_sub_u32_e32 v28, v20, v26
	v_sub_u32_e32 v25, v23, v20
	v_sub_u32_e64 v25, v27, v25 clamp
	v_min_u32_e32 v28, v27, v28
	v_lshl_add_u32 v24, v26, 2, v9
	v_cmp_lt_u32_e64 s[8:9], v25, v28
	; wave barrier
	s_and_saveexec_b64 s[12:13], s[8:9]
	s_cbranch_execz .LBB612_200
; %bb.197:
	v_lshlrev_b32_e32 v29, 2, v20
	v_lshlrev_b32_e32 v30, 2, v27
	v_add3_u32 v29, v9, v29, v30
	s_mov_b64 s[20:21], 0
.LBB612_198:                            ; =>This Inner Loop Header: Depth=1
	v_add_u32_e32 v30, v28, v25
	v_lshrrev_b32_e32 v30, 1, v30
	v_not_b32_e32 v31, v30
	v_lshl_add_u32 v32, v30, 2, v24
	v_lshl_add_u32 v31, v31, 2, v29
	ds_read_b32 v32, v32
	ds_read_b32 v31, v31
	v_add_u32_e32 v33, 1, v30
	s_waitcnt lgkmcnt(0)
	v_cmp_gt_i32_e64 s[8:9], v32, v31
	v_cndmask_b32_e64 v28, v28, v30, s[8:9]
	v_cndmask_b32_e64 v25, v33, v25, s[8:9]
	v_cmp_ge_u32_e64 s[8:9], v25, v28
	s_or_b64 s[20:21], s[8:9], s[20:21]
	s_andn2_b64 exec, exec, s[20:21]
	s_cbranch_execnz .LBB612_198
; %bb.199:
	s_or_b64 exec, exec, s[20:21]
.LBB612_200:
	s_or_b64 exec, exec, s[12:13]
	v_add_u32_e32 v27, v20, v27
	v_add_u32_e32 v26, v25, v26
	v_sub_u32_e32 v27, v27, v25
	v_cmp_le_u32_e64 s[8:9], v26, v20
	v_cmp_le_u32_e64 s[12:13], v27, v23
	s_or_b64 s[8:9], s[8:9], s[12:13]
	s_and_saveexec_b64 s[40:41], s[8:9]
	s_cbranch_execz .LBB612_206
; %bb.201:
	v_cmp_lt_u32_e64 s[8:9], v26, v20
                                        ; implicit-def: $vgpr12
	s_and_saveexec_b64 s[12:13], s[8:9]
	s_cbranch_execz .LBB612_203
; %bb.202:
	v_lshl_add_u32 v4, v25, 2, v24
	ds_read_b32 v12, v4
.LBB612_203:
	s_or_b64 exec, exec, s[12:13]
	v_cmp_ge_u32_e64 s[20:21], v27, v23
	v_cmp_lt_u32_e64 s[12:13], v27, v23
                                        ; implicit-def: $vgpr13
	s_and_saveexec_b64 s[22:23], s[12:13]
	s_cbranch_execz .LBB612_205
; %bb.204:
	v_lshl_add_u32 v4, v27, 2, v9
	ds_read_b32 v13, v4
.LBB612_205:
	s_or_b64 exec, exec, s[22:23]
	s_waitcnt lgkmcnt(0)
	v_cmp_le_i32_e64 s[12:13], v12, v13
	s_and_b64 s[8:9], s[8:9], s[12:13]
	s_or_b64 s[8:9], s[20:21], s[8:9]
	v_cndmask_b32_e64 v4, v27, v26, s[8:9]
	v_cndmask_b32_e64 v5, v23, v20, s[8:9]
	v_add_u32_e32 v14, 1, v4
	v_add_u32_e32 v5, -1, v5
	v_min_u32_e32 v5, v14, v5
	v_lshl_add_u32 v5, v5, 2, v9
	ds_read_b32 v5, v5
	v_cndmask_b32_e64 v15, v14, v27, s[8:9]
	v_cmp_ge_u32_e64 s[12:13], v15, v23
	v_lshl_add_u32 v4, v4, 3, v8
	s_waitcnt lgkmcnt(0)
	v_cndmask_b32_e64 v16, v5, v13, s[8:9]
	v_cndmask_b32_e64 v17, v12, v5, s[8:9]
	;; [unrolled: 1-line block ×3, first 2 shown]
	v_cmp_lt_u32_e64 s[20:21], v5, v20
	v_cmp_le_i32_e64 s[22:23], v17, v16
	s_and_b64 s[20:21], s[20:21], s[22:23]
	s_or_b64 s[20:21], s[12:13], s[20:21]
	v_cndmask_b32_e64 v14, v15, v5, s[20:21]
	v_cndmask_b32_e64 v18, v23, v20, s[20:21]
	v_add_u32_e32 v19, 1, v14
	v_add_u32_e32 v18, -1, v18
	v_min_u32_e32 v18, v19, v18
	v_lshl_add_u32 v18, v18, 2, v9
	ds_read_b32 v18, v18
	v_cndmask_b32_e64 v5, v5, v19, s[20:21]
	v_cndmask_b32_e64 v15, v19, v15, s[20:21]
	v_cmp_lt_u32_e64 s[22:23], v5, v20
	v_cmp_ge_u32_e64 s[12:13], v15, v23
	s_waitcnt lgkmcnt(0)
	v_cndmask_b32_e64 v24, v18, v16, s[20:21]
	v_cndmask_b32_e64 v18, v17, v18, s[20:21]
	v_cmp_le_i32_e64 s[24:25], v18, v24
	s_and_b64 s[22:23], s[22:23], s[24:25]
	s_or_b64 s[22:23], s[12:13], s[22:23]
	v_cndmask_b32_e64 v19, v15, v5, s[22:23]
	v_cndmask_b32_e64 v25, v23, v20, s[22:23]
	v_add_u32_e32 v26, 1, v19
	v_add_u32_e32 v25, -1, v25
	v_min_u32_e32 v25, v26, v25
	v_lshl_add_u32 v25, v25, 2, v9
	ds_read_b32 v25, v25
	v_cndmask_b32_e64 v15, v26, v15, s[22:23]
	v_cndmask_b32_e64 v26, v5, v26, s[22:23]
	v_cmp_lt_u32_e64 s[24:25], v26, v20
	v_cmp_ge_u32_e64 s[12:13], v15, v23
	s_waitcnt lgkmcnt(0)
	v_cndmask_b32_e64 v27, v25, v24, s[22:23]
	v_cndmask_b32_e64 v25, v18, v25, s[22:23]
	v_cmp_le_i32_e64 s[28:29], v25, v27
	s_and_b64 s[24:25], s[24:25], s[28:29]
	s_or_b64 s[12:13], s[12:13], s[24:25]
	v_cndmask_b32_e64 v28, v15, v26, s[12:13]
	v_cndmask_b32_e64 v5, v23, v20, s[12:13]
	v_add_u32_e32 v29, 1, v28
	v_add_u32_e32 v5, -1, v5
	v_min_u32_e32 v5, v29, v5
	v_lshl_add_u32 v5, v5, 2, v9
	ds_read_b32 v30, v5
	v_lshl_add_u32 v19, v19, 3, v8
	ds_read_b64 v[64:65], v19 offset:8192
	v_lshl_add_u32 v14, v14, 3, v8
	v_lshl_add_u32 v19, v28, 3, v8
	ds_read_b64 v[4:5], v4 offset:8192
	ds_read_b64 v[34:35], v14 offset:8192
	;; [unrolled: 1-line block ×3, first 2 shown]
	s_waitcnt lgkmcnt(4)
	v_cndmask_b32_e64 v31, v30, v27, s[12:13]
	v_cndmask_b32_e64 v30, v25, v30, s[12:13]
	;; [unrolled: 1-line block ×4, first 2 shown]
	v_cmp_lt_u32_e64 s[28:29], v15, v20
	v_cmp_le_i32_e64 s[30:31], v30, v31
	v_cmp_ge_u32_e64 s[24:25], v14, v23
	s_and_b64 s[28:29], s[28:29], s[30:31]
	s_or_b64 s[24:25], s[24:25], s[28:29]
	v_cndmask_b32_e64 v26, v14, v15, s[24:25]
	v_cndmask_b32_e64 v29, v23, v20, s[24:25]
	v_add_u32_e32 v32, 1, v26
	v_add_u32_e32 v29, -1, v29
	v_min_u32_e32 v29, v32, v29
	v_lshl_add_u32 v29, v29, 2, v9
	ds_read_b32 v29, v29
	v_lshl_add_u32 v26, v26, 3, v8
	ds_read_b64 v[66:67], v26 offset:8192
	v_cndmask_b32_e64 v15, v15, v32, s[24:25]
	v_cndmask_b32_e64 v14, v32, v14, s[24:25]
	s_waitcnt lgkmcnt(1)
	v_cndmask_b32_e64 v19, v29, v31, s[24:25]
	v_cndmask_b32_e64 v28, v30, v29, s[24:25]
	v_cmp_lt_u32_e64 s[30:31], v15, v20
	v_cmp_le_i32_e64 s[34:35], v28, v19
	v_cmp_ge_u32_e64 s[28:29], v14, v23
	s_and_b64 s[30:31], s[30:31], s[34:35]
	s_or_b64 s[28:29], s[28:29], s[30:31]
	v_cndmask_b32_e64 v29, v14, v15, s[28:29]
	v_cndmask_b32_e64 v32, v23, v20, s[28:29]
	v_add_u32_e32 v33, 1, v29
	v_add_u32_e32 v32, -1, v32
	v_min_u32_e32 v32, v33, v32
	v_lshl_add_u32 v32, v32, 2, v9
	ds_read_b32 v32, v32
	v_lshl_add_u32 v26, v29, 3, v8
	ds_read_b64 v[50:51], v26 offset:8192
	v_cndmask_b32_e64 v12, v13, v12, s[8:9]
	v_cndmask_b32_e64 v13, v16, v17, s[20:21]
	s_waitcnt lgkmcnt(1)
	v_cndmask_b32_e64 v26, v32, v19, s[28:29]
	v_cndmask_b32_e64 v29, v28, v32, s[28:29]
	;; [unrolled: 1-line block ×4, first 2 shown]
	v_cmp_lt_u32_e64 s[34:35], v33, v20
	v_cmp_le_i32_e64 s[36:37], v29, v26
	v_cmp_ge_u32_e64 s[30:31], v32, v23
	s_and_b64 s[34:35], s[34:35], s[36:37]
	s_or_b64 s[30:31], s[30:31], s[34:35]
	v_cndmask_b32_e64 v14, v32, v33, s[30:31]
	v_cndmask_b32_e64 v15, v23, v20, s[30:31]
	v_lshl_add_u32 v36, v14, 3, v8
	v_add_u32_e32 v37, 1, v14
	v_add_u32_e32 v14, -1, v15
	v_min_u32_e32 v14, v37, v14
	v_lshl_add_u32 v14, v14, 2, v9
	ds_read_b64 v[48:49], v36 offset:8192
	ds_read_b32 v36, v14
	v_cndmask_b32_e64 v14, v24, v18, s[22:23]
	v_cndmask_b32_e64 v15, v27, v25, s[12:13]
	;; [unrolled: 1-line block ×4, first 2 shown]
	s_waitcnt lgkmcnt(0)
	v_cndmask_b32_e64 v24, v36, v26, s[30:31]
	v_cndmask_b32_e64 v25, v29, v36, s[30:31]
	v_cmp_lt_u32_e64 s[12:13], v17, v20
	v_cmp_le_i32_e64 s[20:21], v25, v24
	v_cmp_ge_u32_e64 s[8:9], v16, v23
	s_and_b64 s[12:13], s[12:13], s[20:21]
	s_or_b64 s[8:9], s[8:9], s[12:13]
	v_cndmask_b32_e64 v16, v16, v17, s[8:9]
	v_lshl_add_u32 v16, v16, 3, v8
	ds_read_b64 v[38:39], v16 offset:8192
	v_cndmask_b32_e64 v16, v31, v30, s[24:25]
	v_cndmask_b32_e64 v17, v19, v28, s[28:29]
	;; [unrolled: 1-line block ×4, first 2 shown]
.LBB612_206:
	s_or_b64 exec, exec, s[40:41]
	v_add_u32_e32 v20, 0x2000, v22
	v_and_b32_e32 v23, 0x380, v82
	; wave barrier
	ds_write2_b64 v20, v[4:5], v[34:35] offset1:1
	ds_write2_b64 v21, v[12:13], v[14:15] offset1:1
	ds_write2_b64 v11, v[64:65], v[52:53] offset0:2 offset1:3
	ds_write2_b64 v11, v[66:67], v[50:51] offset0:4 offset1:5
	;; [unrolled: 1-line block ×3, first 2 shown]
	s_waitcnt lgkmcnt(5)
	ds_write2_b64 v11, v[48:49], v[38:39] offset0:6 offset1:7
	v_or_b32_e32 v11, 64, v23
	v_min_u32_e32 v11, v10, v11
	v_add_u32_e32 v20, 64, v11
	v_min_u32_e32 v20, v10, v20
	v_min_u32_e32 v10, v10, v83
	v_sub_u32_e32 v24, v11, v23
	v_sub_u32_e32 v22, v20, v11
	v_sub_u32_e64 v22, v10, v22 clamp
	v_min_u32_e32 v24, v10, v24
	v_lshl_add_u32 v21, v23, 2, v9
	v_cmp_lt_u32_e64 s[8:9], v22, v24
	; wave barrier
	s_and_saveexec_b64 s[12:13], s[8:9]
	s_cbranch_execz .LBB612_210
; %bb.207:
	v_lshlrev_b32_e32 v25, 2, v11
	v_lshlrev_b32_e32 v26, 2, v10
	v_add3_u32 v25, v9, v25, v26
	s_mov_b64 s[20:21], 0
.LBB612_208:                            ; =>This Inner Loop Header: Depth=1
	v_add_u32_e32 v26, v24, v22
	v_lshrrev_b32_e32 v26, 1, v26
	v_not_b32_e32 v27, v26
	v_lshl_add_u32 v28, v26, 2, v21
	v_lshl_add_u32 v27, v27, 2, v25
	ds_read_b32 v28, v28
	ds_read_b32 v27, v27
	v_add_u32_e32 v29, 1, v26
	s_waitcnt lgkmcnt(0)
	v_cmp_gt_i32_e64 s[8:9], v28, v27
	v_cndmask_b32_e64 v24, v24, v26, s[8:9]
	v_cndmask_b32_e64 v22, v29, v22, s[8:9]
	v_cmp_ge_u32_e64 s[8:9], v22, v24
	s_or_b64 s[20:21], s[8:9], s[20:21]
	s_andn2_b64 exec, exec, s[20:21]
	s_cbranch_execnz .LBB612_208
; %bb.209:
	s_or_b64 exec, exec, s[20:21]
.LBB612_210:
	s_or_b64 exec, exec, s[12:13]
	v_add_u32_e32 v10, v11, v10
	v_add_u32_e32 v23, v22, v23
	v_sub_u32_e32 v24, v10, v22
	v_cmp_le_u32_e64 s[8:9], v23, v11
	v_cmp_le_u32_e64 s[12:13], v24, v20
	s_or_b64 s[8:9], s[8:9], s[12:13]
	s_and_saveexec_b64 s[40:41], s[8:9]
	s_cbranch_execz .LBB612_216
; %bb.211:
	v_cmp_lt_u32_e64 s[8:9], v23, v11
                                        ; implicit-def: $vgpr10
	s_and_saveexec_b64 s[12:13], s[8:9]
	s_cbranch_execz .LBB612_213
; %bb.212:
	v_lshl_add_u32 v4, v22, 2, v21
	ds_read_b32 v10, v4
.LBB612_213:
	s_or_b64 exec, exec, s[12:13]
	v_cmp_ge_u32_e64 s[20:21], v24, v20
	v_cmp_lt_u32_e64 s[12:13], v24, v20
                                        ; implicit-def: $vgpr12
	s_and_saveexec_b64 s[22:23], s[12:13]
	s_cbranch_execz .LBB612_215
; %bb.214:
	v_lshl_add_u32 v4, v24, 2, v9
	ds_read_b32 v12, v4
.LBB612_215:
	s_or_b64 exec, exec, s[22:23]
	s_waitcnt lgkmcnt(0)
	v_cmp_le_i32_e64 s[12:13], v10, v12
	s_and_b64 s[8:9], s[8:9], s[12:13]
	s_or_b64 s[8:9], s[20:21], s[8:9]
	v_cndmask_b32_e64 v4, v24, v23, s[8:9]
	v_cndmask_b32_e64 v5, v20, v11, s[8:9]
	v_add_u32_e32 v13, 1, v4
	v_add_u32_e32 v5, -1, v5
	v_min_u32_e32 v5, v13, v5
	v_lshl_add_u32 v5, v5, 2, v9
	ds_read_b32 v5, v5
	v_cndmask_b32_e64 v14, v13, v24, s[8:9]
	v_cmp_ge_u32_e64 s[12:13], v14, v20
	v_lshl_add_u32 v4, v4, 3, v8
	s_waitcnt lgkmcnt(0)
	v_cndmask_b32_e64 v15, v5, v12, s[8:9]
	v_cndmask_b32_e64 v16, v10, v5, s[8:9]
	;; [unrolled: 1-line block ×3, first 2 shown]
	v_cmp_lt_u32_e64 s[20:21], v5, v11
	v_cmp_le_i32_e64 s[22:23], v16, v15
	s_and_b64 s[20:21], s[20:21], s[22:23]
	s_or_b64 s[20:21], s[12:13], s[20:21]
	v_cndmask_b32_e64 v13, v14, v5, s[20:21]
	v_cndmask_b32_e64 v17, v20, v11, s[20:21]
	v_add_u32_e32 v18, 1, v13
	v_add_u32_e32 v17, -1, v17
	v_min_u32_e32 v17, v18, v17
	v_lshl_add_u32 v17, v17, 2, v9
	ds_read_b32 v17, v17
	v_cndmask_b32_e64 v5, v5, v18, s[20:21]
	v_cndmask_b32_e64 v14, v18, v14, s[20:21]
	v_cmp_lt_u32_e64 s[22:23], v5, v11
	v_cmp_ge_u32_e64 s[12:13], v14, v20
	s_waitcnt lgkmcnt(0)
	v_cndmask_b32_e64 v19, v17, v15, s[20:21]
	v_cndmask_b32_e64 v17, v16, v17, s[20:21]
	v_cmp_le_i32_e64 s[24:25], v17, v19
	s_and_b64 s[22:23], s[22:23], s[24:25]
	s_or_b64 s[22:23], s[12:13], s[22:23]
	v_cndmask_b32_e64 v18, v14, v5, s[22:23]
	v_cndmask_b32_e64 v21, v20, v11, s[22:23]
	v_add_u32_e32 v22, 1, v18
	v_add_u32_e32 v21, -1, v21
	v_min_u32_e32 v21, v22, v21
	v_lshl_add_u32 v21, v21, 2, v9
	ds_read_b32 v21, v21
	v_cndmask_b32_e64 v14, v22, v14, s[22:23]
	v_cndmask_b32_e64 v22, v5, v22, s[22:23]
	v_cmp_lt_u32_e64 s[24:25], v22, v11
	v_cmp_ge_u32_e64 s[12:13], v14, v20
	s_waitcnt lgkmcnt(0)
	v_cndmask_b32_e64 v23, v21, v19, s[22:23]
	v_cndmask_b32_e64 v21, v17, v21, s[22:23]
	v_cmp_le_i32_e64 s[28:29], v21, v23
	s_and_b64 s[24:25], s[24:25], s[28:29]
	s_or_b64 s[12:13], s[12:13], s[24:25]
	v_cndmask_b32_e64 v24, v14, v22, s[12:13]
	v_cndmask_b32_e64 v5, v20, v11, s[12:13]
	v_add_u32_e32 v25, 1, v24
	v_add_u32_e32 v5, -1, v5
	v_min_u32_e32 v5, v25, v5
	v_lshl_add_u32 v5, v5, 2, v9
	ds_read_b32 v26, v5
	v_lshl_add_u32 v18, v18, 3, v8
	ds_read_b64 v[64:65], v18 offset:8192
	v_lshl_add_u32 v13, v13, 3, v8
	v_lshl_add_u32 v18, v24, 3, v8
	ds_read_b64 v[4:5], v4 offset:8192
	ds_read_b64 v[34:35], v13 offset:8192
	;; [unrolled: 1-line block ×3, first 2 shown]
	s_waitcnt lgkmcnt(4)
	v_cndmask_b32_e64 v27, v26, v23, s[12:13]
	v_cndmask_b32_e64 v26, v21, v26, s[12:13]
	;; [unrolled: 1-line block ×4, first 2 shown]
	v_cmp_lt_u32_e64 s[28:29], v14, v11
	v_cmp_le_i32_e64 s[30:31], v26, v27
	v_cmp_ge_u32_e64 s[24:25], v13, v20
	s_and_b64 s[28:29], s[28:29], s[30:31]
	s_or_b64 s[24:25], s[24:25], s[28:29]
	v_cndmask_b32_e64 v22, v13, v14, s[24:25]
	v_cndmask_b32_e64 v25, v20, v11, s[24:25]
	v_add_u32_e32 v28, 1, v22
	v_add_u32_e32 v25, -1, v25
	v_min_u32_e32 v25, v28, v25
	v_lshl_add_u32 v25, v25, 2, v9
	ds_read_b32 v25, v25
	v_lshl_add_u32 v22, v22, 3, v8
	ds_read_b64 v[66:67], v22 offset:8192
	v_cndmask_b32_e64 v14, v14, v28, s[24:25]
	v_cndmask_b32_e64 v13, v28, v13, s[24:25]
	s_waitcnt lgkmcnt(1)
	v_cndmask_b32_e64 v18, v25, v27, s[24:25]
	v_cndmask_b32_e64 v24, v26, v25, s[24:25]
	v_cmp_lt_u32_e64 s[30:31], v14, v11
	v_cmp_le_i32_e64 s[34:35], v24, v18
	v_cmp_ge_u32_e64 s[28:29], v13, v20
	s_and_b64 s[30:31], s[30:31], s[34:35]
	s_or_b64 s[28:29], s[28:29], s[30:31]
	v_cndmask_b32_e64 v25, v13, v14, s[28:29]
	v_cndmask_b32_e64 v28, v20, v11, s[28:29]
	v_add_u32_e32 v29, 1, v25
	v_add_u32_e32 v28, -1, v28
	v_min_u32_e32 v28, v29, v28
	v_lshl_add_u32 v28, v28, 2, v9
	ds_read_b32 v28, v28
	v_lshl_add_u32 v22, v25, 3, v8
	ds_read_b64 v[50:51], v22 offset:8192
	v_cndmask_b32_e64 v12, v12, v10, s[8:9]
	s_waitcnt lgkmcnt(1)
	v_cndmask_b32_e64 v22, v28, v18, s[28:29]
	v_cndmask_b32_e64 v25, v24, v28, s[28:29]
	;; [unrolled: 1-line block ×4, first 2 shown]
	v_cmp_lt_u32_e64 s[34:35], v29, v11
	v_cmp_le_i32_e64 s[36:37], v25, v22
	v_cmp_ge_u32_e64 s[30:31], v28, v20
	s_and_b64 s[34:35], s[34:35], s[36:37]
	s_or_b64 s[30:31], s[30:31], s[34:35]
	v_cndmask_b32_e64 v13, v28, v29, s[30:31]
	v_cndmask_b32_e64 v14, v20, v11, s[30:31]
	v_lshl_add_u32 v30, v13, 3, v8
	v_add_u32_e32 v31, 1, v13
	v_add_u32_e32 v13, -1, v14
	v_min_u32_e32 v13, v31, v13
	v_lshl_add_u32 v9, v13, 2, v9
	ds_read_b64 v[48:49], v30 offset:8192
	ds_read_b32 v9, v9
	v_cndmask_b32_e64 v14, v19, v17, s[22:23]
	v_cndmask_b32_e64 v17, v29, v31, s[30:31]
	;; [unrolled: 1-line block ×4, first 2 shown]
	s_waitcnt lgkmcnt(0)
	v_cndmask_b32_e64 v10, v9, v22, s[30:31]
	v_cndmask_b32_e64 v9, v25, v9, s[30:31]
	;; [unrolled: 1-line block ×3, first 2 shown]
	v_cmp_lt_u32_e64 s[12:13], v17, v11
	v_cmp_le_i32_e64 s[20:21], v9, v10
	v_cmp_ge_u32_e64 s[8:9], v16, v20
	s_and_b64 s[12:13], s[12:13], s[20:21]
	s_or_b64 s[8:9], s[8:9], s[12:13]
	v_cndmask_b32_e64 v11, v16, v17, s[8:9]
	v_lshl_add_u32 v8, v11, 3, v8
	ds_read_b64 v[38:39], v8 offset:8192
	v_cndmask_b32_e64 v16, v27, v26, s[24:25]
	v_cndmask_b32_e64 v17, v18, v24, s[28:29]
	;; [unrolled: 1-line block ×4, first 2 shown]
.LBB612_216:
	s_or_b64 exec, exec, s[40:41]
	; wave barrier
	s_waitcnt lgkmcnt(0)
	s_barrier
.LBB612_217:
	s_or_b64 exec, exec, s[38:39]
	v_add_co_u32_e64 v2, s[8:9], v2, v54
	v_addc_co_u32_e64 v3, s[8:9], v3, v55, s[8:9]
	v_add_co_u32_e64 v2, s[8:9], v2, v80
	v_addc_co_u32_e64 v3, s[8:9], 0, v3, s[8:9]
	s_waitcnt lgkmcnt(0)
	; wave barrier
	s_and_saveexec_b64 s[8:9], vcc
	s_cbranch_execnz .LBB612_243
; %bb.218:
	s_or_b64 exec, exec, s[8:9]
	s_and_saveexec_b64 s[8:9], s[4:5]
	s_cbranch_execnz .LBB612_244
.LBB612_219:
	s_or_b64 exec, exec, s[8:9]
	s_and_saveexec_b64 s[8:9], s[6:7]
	s_cbranch_execnz .LBB612_245
.LBB612_220:
	s_or_b64 exec, exec, s[8:9]
	s_and_saveexec_b64 s[8:9], s[18:19]
	s_cbranch_execnz .LBB612_246
.LBB612_221:
	s_or_b64 exec, exec, s[8:9]
	s_and_saveexec_b64 s[8:9], s[10:11]
	s_cbranch_execnz .LBB612_247
.LBB612_222:
	s_or_b64 exec, exec, s[8:9]
	s_and_saveexec_b64 s[8:9], s[26:27]
	s_cbranch_execnz .LBB612_248
.LBB612_223:
	s_or_b64 exec, exec, s[8:9]
	s_and_saveexec_b64 s[8:9], s[14:15]
	s_cbranch_execnz .LBB612_249
.LBB612_224:
	s_or_b64 exec, exec, s[8:9]
	s_and_saveexec_b64 s[8:9], s[16:17]
	s_cbranch_execz .LBB612_226
.LBB612_225:
	flat_store_dword v[2:3], v19 offset:28
.LBB612_226:
	s_or_b64 exec, exec, s[8:9]
	v_add_co_u32_e64 v0, s[8:9], v6, v0
	v_addc_co_u32_e64 v1, s[8:9], v7, v1, s[8:9]
	v_add_co_u32_e64 v0, s[8:9], v0, v81
	v_addc_co_u32_e64 v1, s[8:9], 0, v1, s[8:9]
	; wave barrier
	s_and_saveexec_b64 s[8:9], vcc
	s_cbranch_execnz .LBB612_250
; %bb.227:
	s_or_b64 exec, exec, s[8:9]
	s_and_saveexec_b64 s[8:9], s[4:5]
	s_cbranch_execnz .LBB612_251
.LBB612_228:
	s_or_b64 exec, exec, s[8:9]
	s_and_saveexec_b64 s[4:5], s[6:7]
	s_cbranch_execnz .LBB612_252
.LBB612_229:
	s_or_b64 exec, exec, s[4:5]
	s_and_saveexec_b64 s[4:5], s[18:19]
	s_cbranch_execnz .LBB612_253
.LBB612_230:
	s_or_b64 exec, exec, s[4:5]
	s_and_saveexec_b64 s[4:5], s[10:11]
	s_cbranch_execnz .LBB612_254
.LBB612_231:
	s_or_b64 exec, exec, s[4:5]
	s_and_saveexec_b64 s[4:5], s[26:27]
	s_cbranch_execnz .LBB612_255
.LBB612_232:
	s_or_b64 exec, exec, s[4:5]
	s_and_saveexec_b64 s[4:5], s[14:15]
	s_cbranch_execnz .LBB612_256
.LBB612_233:
	s_or_b64 exec, exec, s[4:5]
	s_and_saveexec_b64 s[4:5], s[16:17]
	s_cbranch_execz .LBB612_235
.LBB612_234:
	s_waitcnt vmcnt(0) lgkmcnt(0)
	flat_store_dwordx2 v[0:1], v[38:39] offset:56
.LBB612_235:
	s_or_b64 exec, exec, s[4:5]
	v_readlane_b32 s30, v40, 12
	v_readlane_b32 s31, v40, 13
	;; [unrolled: 1-line block ×14, first 2 shown]
	s_or_saveexec_b64 s[4:5], -1
	buffer_load_dword v40, off, s[0:3], s32 ; 4-byte Folded Reload
	s_mov_b64 exec, s[4:5]
	s_waitcnt vmcnt(0) lgkmcnt(0)
	s_setpc_b64 s[30:31]
.LBB612_236:
	flat_load_dwordx2 v[4:5], v[8:9]
	s_or_b64 exec, exec, s[20:21]
	s_and_saveexec_b64 s[20:21], s[4:5]
                                        ; implicit-def: $vgpr32_vgpr33_vgpr34_vgpr35
	s_cbranch_execz .LBB612_18
.LBB612_237:
	flat_load_dwordx2 v[34:35], v[8:9] offset:8
	s_or_b64 exec, exec, s[20:21]
                                        ; implicit-def: $vgpr64_vgpr65
	s_and_saveexec_b64 s[20:21], s[6:7]
	s_cbranch_execz .LBB612_19
.LBB612_238:
	flat_load_dwordx2 v[64:65], v[8:9] offset:16
	s_or_b64 exec, exec, s[20:21]
	s_and_saveexec_b64 s[20:21], s[18:19]
                                        ; implicit-def: $vgpr50_vgpr51_vgpr52_vgpr53
	s_cbranch_execz .LBB612_20
.LBB612_239:
	flat_load_dwordx2 v[52:53], v[8:9] offset:24
	s_or_b64 exec, exec, s[20:21]
                                        ; implicit-def: $vgpr66_vgpr67
	s_and_saveexec_b64 s[20:21], s[10:11]
	s_cbranch_execz .LBB612_21
.LBB612_240:
	flat_load_dwordx2 v[66:67], v[8:9] offset:32
	s_or_b64 exec, exec, s[20:21]
	s_and_saveexec_b64 s[20:21], s[26:27]
                                        ; implicit-def: $vgpr48_vgpr49_vgpr50_vgpr51
	s_cbranch_execz .LBB612_22
.LBB612_241:
	flat_load_dwordx2 v[50:51], v[8:9] offset:40
	s_or_b64 exec, exec, s[20:21]
                                        ; implicit-def: $vgpr48_vgpr49
	s_and_saveexec_b64 s[20:21], s[14:15]
	s_cbranch_execz .LBB612_23
.LBB612_242:
	flat_load_dwordx2 v[48:49], v[8:9] offset:48
	s_or_b64 exec, exec, s[20:21]
	s_and_saveexec_b64 s[20:21], s[16:17]
                                        ; implicit-def: $vgpr36_vgpr37_vgpr38_vgpr39
	s_cbranch_execnz .LBB612_24
	s_branch .LBB612_25
.LBB612_243:
	flat_store_dword v[2:3], v12
	s_or_b64 exec, exec, s[8:9]
	s_and_saveexec_b64 s[8:9], s[4:5]
	s_cbranch_execz .LBB612_219
.LBB612_244:
	flat_store_dword v[2:3], v13 offset:4
	s_or_b64 exec, exec, s[8:9]
	s_and_saveexec_b64 s[8:9], s[6:7]
	s_cbranch_execz .LBB612_220
.LBB612_245:
	flat_store_dword v[2:3], v14 offset:8
	s_or_b64 exec, exec, s[8:9]
	s_and_saveexec_b64 s[8:9], s[18:19]
	s_cbranch_execz .LBB612_221
.LBB612_246:
	flat_store_dword v[2:3], v15 offset:12
	s_or_b64 exec, exec, s[8:9]
	s_and_saveexec_b64 s[8:9], s[10:11]
	s_cbranch_execz .LBB612_222
.LBB612_247:
	flat_store_dword v[2:3], v16 offset:16
	s_or_b64 exec, exec, s[8:9]
	s_and_saveexec_b64 s[8:9], s[26:27]
	s_cbranch_execz .LBB612_223
.LBB612_248:
	flat_store_dword v[2:3], v17 offset:20
	s_or_b64 exec, exec, s[8:9]
	s_and_saveexec_b64 s[8:9], s[14:15]
	s_cbranch_execz .LBB612_224
.LBB612_249:
	flat_store_dword v[2:3], v18 offset:24
	s_or_b64 exec, exec, s[8:9]
	s_and_saveexec_b64 s[8:9], s[16:17]
	s_cbranch_execnz .LBB612_225
	s_branch .LBB612_226
.LBB612_250:
	s_waitcnt vmcnt(0) lgkmcnt(0)
	flat_store_dwordx2 v[0:1], v[4:5]
	s_or_b64 exec, exec, s[8:9]
	s_and_saveexec_b64 s[8:9], s[4:5]
	s_cbranch_execz .LBB612_228
.LBB612_251:
	s_waitcnt vmcnt(0) lgkmcnt(0)
	flat_store_dwordx2 v[0:1], v[34:35] offset:8
	s_or_b64 exec, exec, s[8:9]
	s_and_saveexec_b64 s[4:5], s[6:7]
	s_cbranch_execz .LBB612_229
.LBB612_252:
	s_waitcnt vmcnt(0) lgkmcnt(0)
	flat_store_dwordx2 v[0:1], v[64:65] offset:16
	s_or_b64 exec, exec, s[4:5]
	s_and_saveexec_b64 s[4:5], s[18:19]
	s_cbranch_execz .LBB612_230
.LBB612_253:
	s_waitcnt vmcnt(0) lgkmcnt(0)
	flat_store_dwordx2 v[0:1], v[52:53] offset:24
	s_or_b64 exec, exec, s[4:5]
	s_and_saveexec_b64 s[4:5], s[10:11]
	s_cbranch_execz .LBB612_231
.LBB612_254:
	s_waitcnt vmcnt(0) lgkmcnt(0)
	flat_store_dwordx2 v[0:1], v[66:67] offset:32
	s_or_b64 exec, exec, s[4:5]
	s_and_saveexec_b64 s[4:5], s[26:27]
	s_cbranch_execz .LBB612_232
.LBB612_255:
	s_waitcnt vmcnt(0) lgkmcnt(0)
	flat_store_dwordx2 v[0:1], v[50:51] offset:40
	s_or_b64 exec, exec, s[4:5]
	s_and_saveexec_b64 s[4:5], s[14:15]
	s_cbranch_execz .LBB612_233
.LBB612_256:
	s_waitcnt vmcnt(0) lgkmcnt(0)
	flat_store_dwordx2 v[0:1], v[48:49] offset:48
	s_or_b64 exec, exec, s[4:5]
	s_and_saveexec_b64 s[4:5], s[16:17]
	s_cbranch_execnz .LBB612_234
	s_branch .LBB612_235
.Lfunc_end612:
	.size	_ZN7rocprim17ROCPRIM_400000_NS6detail26segmented_warp_sort_helperINS1_20WarpSortHelperConfigILj16ELj8ELj256EEEilLi256ELb0EvE4sortIPKiPiPKlPlEEvT_T0_T1_T2_jjjjRNS5_12storage_typeE, .Lfunc_end612-_ZN7rocprim17ROCPRIM_400000_NS6detail26segmented_warp_sort_helperINS1_20WarpSortHelperConfigILj16ELj8ELj256EEEilLi256ELb0EvE4sortIPKiPiPKlPlEEvT_T0_T1_T2_jjjjRNS5_12storage_typeE
                                        ; -- End function
	.section	.AMDGPU.csdata,"",@progbits
; Function info:
; codeLenInByte = 17544
; NumSgprs: 50
; NumVgprs: 87
; NumAgprs: 0
; TotalNumVgprs: 87
; ScratchSize: 8
; MemoryBound: 0
	.section	.text._ZN7rocprim17ROCPRIM_400000_NS6detail17trampoline_kernelINS0_14default_configENS1_36segmented_radix_sort_config_selectorIilEEZNS1_25segmented_radix_sort_implIS3_Lb0EPKiPiPKlPlN2at6native12_GLOBAL__N_18offset_tEEE10hipError_tPvRmT1_PNSt15iterator_traitsISK_E10value_typeET2_T3_PNSL_ISQ_E10value_typeET4_jRbjT5_SW_jjP12ihipStream_tbEUlT_E0_NS1_11comp_targetILNS1_3genE4ELNS1_11target_archE910ELNS1_3gpuE8ELNS1_3repE0EEENS1_60segmented_radix_sort_warp_sort_medium_config_static_selectorELNS0_4arch9wavefront6targetE1EEEvSK_,"axG",@progbits,_ZN7rocprim17ROCPRIM_400000_NS6detail17trampoline_kernelINS0_14default_configENS1_36segmented_radix_sort_config_selectorIilEEZNS1_25segmented_radix_sort_implIS3_Lb0EPKiPiPKlPlN2at6native12_GLOBAL__N_18offset_tEEE10hipError_tPvRmT1_PNSt15iterator_traitsISK_E10value_typeET2_T3_PNSL_ISQ_E10value_typeET4_jRbjT5_SW_jjP12ihipStream_tbEUlT_E0_NS1_11comp_targetILNS1_3genE4ELNS1_11target_archE910ELNS1_3gpuE8ELNS1_3repE0EEENS1_60segmented_radix_sort_warp_sort_medium_config_static_selectorELNS0_4arch9wavefront6targetE1EEEvSK_,comdat
	.globl	_ZN7rocprim17ROCPRIM_400000_NS6detail17trampoline_kernelINS0_14default_configENS1_36segmented_radix_sort_config_selectorIilEEZNS1_25segmented_radix_sort_implIS3_Lb0EPKiPiPKlPlN2at6native12_GLOBAL__N_18offset_tEEE10hipError_tPvRmT1_PNSt15iterator_traitsISK_E10value_typeET2_T3_PNSL_ISQ_E10value_typeET4_jRbjT5_SW_jjP12ihipStream_tbEUlT_E0_NS1_11comp_targetILNS1_3genE4ELNS1_11target_archE910ELNS1_3gpuE8ELNS1_3repE0EEENS1_60segmented_radix_sort_warp_sort_medium_config_static_selectorELNS0_4arch9wavefront6targetE1EEEvSK_ ; -- Begin function _ZN7rocprim17ROCPRIM_400000_NS6detail17trampoline_kernelINS0_14default_configENS1_36segmented_radix_sort_config_selectorIilEEZNS1_25segmented_radix_sort_implIS3_Lb0EPKiPiPKlPlN2at6native12_GLOBAL__N_18offset_tEEE10hipError_tPvRmT1_PNSt15iterator_traitsISK_E10value_typeET2_T3_PNSL_ISQ_E10value_typeET4_jRbjT5_SW_jjP12ihipStream_tbEUlT_E0_NS1_11comp_targetILNS1_3genE4ELNS1_11target_archE910ELNS1_3gpuE8ELNS1_3repE0EEENS1_60segmented_radix_sort_warp_sort_medium_config_static_selectorELNS0_4arch9wavefront6targetE1EEEvSK_
	.p2align	8
	.type	_ZN7rocprim17ROCPRIM_400000_NS6detail17trampoline_kernelINS0_14default_configENS1_36segmented_radix_sort_config_selectorIilEEZNS1_25segmented_radix_sort_implIS3_Lb0EPKiPiPKlPlN2at6native12_GLOBAL__N_18offset_tEEE10hipError_tPvRmT1_PNSt15iterator_traitsISK_E10value_typeET2_T3_PNSL_ISQ_E10value_typeET4_jRbjT5_SW_jjP12ihipStream_tbEUlT_E0_NS1_11comp_targetILNS1_3genE4ELNS1_11target_archE910ELNS1_3gpuE8ELNS1_3repE0EEENS1_60segmented_radix_sort_warp_sort_medium_config_static_selectorELNS0_4arch9wavefront6targetE1EEEvSK_,@function
_ZN7rocprim17ROCPRIM_400000_NS6detail17trampoline_kernelINS0_14default_configENS1_36segmented_radix_sort_config_selectorIilEEZNS1_25segmented_radix_sort_implIS3_Lb0EPKiPiPKlPlN2at6native12_GLOBAL__N_18offset_tEEE10hipError_tPvRmT1_PNSt15iterator_traitsISK_E10value_typeET2_T3_PNSL_ISQ_E10value_typeET4_jRbjT5_SW_jjP12ihipStream_tbEUlT_E0_NS1_11comp_targetILNS1_3genE4ELNS1_11target_archE910ELNS1_3gpuE8ELNS1_3repE0EEENS1_60segmented_radix_sort_warp_sort_medium_config_static_selectorELNS0_4arch9wavefront6targetE1EEEvSK_: ; @_ZN7rocprim17ROCPRIM_400000_NS6detail17trampoline_kernelINS0_14default_configENS1_36segmented_radix_sort_config_selectorIilEEZNS1_25segmented_radix_sort_implIS3_Lb0EPKiPiPKlPlN2at6native12_GLOBAL__N_18offset_tEEE10hipError_tPvRmT1_PNSt15iterator_traitsISK_E10value_typeET2_T3_PNSL_ISQ_E10value_typeET4_jRbjT5_SW_jjP12ihipStream_tbEUlT_E0_NS1_11comp_targetILNS1_3genE4ELNS1_11target_archE910ELNS1_3gpuE8ELNS1_3repE0EEENS1_60segmented_radix_sort_warp_sort_medium_config_static_selectorELNS0_4arch9wavefront6targetE1EEEvSK_
; %bb.0:
	s_add_u32 flat_scratch_lo, s6, s10
	s_addc_u32 flat_scratch_hi, s7, 0
	s_add_u32 s0, s0, s10
	s_load_dword s6, s[4:5], 0x64
	s_load_dword s10, s[4:5], 0x34
	s_addc_u32 s1, s1, 0
	v_bfe_u32 v1, v0, 10, 10
	v_bfe_u32 v2, v0, 20, 10
	s_waitcnt lgkmcnt(0)
	s_lshr_b32 s7, s6, 16
	s_and_b32 s6, s6, 0xffff
	v_mad_u32_u24 v1, v2, s7, v1
	v_and_b32_e32 v2, 0x3ff, v0
	v_mad_u64_u32 v[2:3], s[6:7], v1, s6, v[2:3]
	v_lshrrev_b32_e32 v1, 4, v2
	v_lshl_add_u32 v2, s8, 4, v1
	v_cmp_gt_u32_e32 vcc, s10, v2
	s_mov_b32 s32, 0
	s_and_saveexec_b64 s[6:7], vcc
	s_cbranch_execz .LBB613_6
; %bb.1:
	s_load_dwordx2 s[6:7], s[4:5], 0x38
	s_load_dwordx4 s[12:15], s[4:5], 0x40
	v_mov_b32_e32 v3, 0
	v_lshlrev_b64 v[2:3], 2, v[2:3]
	s_waitcnt lgkmcnt(0)
	v_mov_b32_e32 v1, s7
	v_add_co_u32_e32 v2, vcc, s6, v2
	v_addc_co_u32_e32 v3, vcc, v1, v3, vcc
	global_load_dword v1, v[2:3], off
	s_waitcnt vmcnt(0)
	v_add_u32_e32 v2, s13, v1
	v_add_u32_e32 v1, s15, v1
	v_mul_lo_u32 v41, v2, s12
	v_mul_lo_u32 v42, v1, s14
	v_cmp_gt_u32_e32 vcc, v42, v41
	s_and_b64 exec, exec, vcc
	s_cbranch_execz .LBB613_6
; %bb.2:
	s_load_dwordx4 s[56:59], s[4:5], 0x20
	s_load_dword s6, s[4:5], 0x30
	s_load_dwordx8 s[48:55], s[4:5], 0x0
	s_load_dwordx2 s[60:61], s[4:5], 0x50
	s_mov_b32 s46, s8
	s_mov_b32 s33, s9
	s_waitcnt lgkmcnt(0)
	s_bitcmp0_b32 s6, 0
	s_mov_b64 s[6:7], -1
	s_cbranch_scc0 .LBB613_4
; %bb.3:
	s_add_u32 s8, s4, 0x58
	s_addc_u32 s9, s5, 0
	s_mov_b32 s12, s46
	s_mov_b32 s13, s33
	v_mov_b32_e32 v31, v0
	v_mov_b32_e32 v43, v0
	;; [unrolled: 1-line block ×14, first 2 shown]
	s_getpc_b64 s[6:7]
	s_add_u32 s6, s6, _ZN7rocprim17ROCPRIM_400000_NS6detail26segmented_warp_sort_helperINS1_20WarpSortHelperConfigILj16ELj8ELj256EEEilLi256ELb0EvE4sortIPKiPiPKlPlEEvT_T0_T1_T2_jjjjRNS5_12storage_typeE@rel32@lo+4
	s_addc_u32 s7, s7, _ZN7rocprim17ROCPRIM_400000_NS6detail26segmented_warp_sort_helperINS1_20WarpSortHelperConfigILj16ELj8ELj256EEEilLi256ELb0EvE4sortIPKiPiPKlPlEEvT_T0_T1_T2_jjjjRNS5_12storage_typeE@rel32@hi+12
	s_mov_b64 s[50:51], s[4:5]
	s_swappc_b64 s[30:31], s[6:7]
	v_mov_b32_e32 v0, v43
	s_mov_b64 s[4:5], s[50:51]
	s_mov_b64 s[6:7], 0
.LBB613_4:
	s_andn2_b64 vcc, exec, s[6:7]
	s_cbranch_vccnz .LBB613_6
; %bb.5:
	s_add_u32 s8, s4, 0x58
	s_addc_u32 s9, s5, 0
	s_mov_b32 s12, s46
	s_mov_b32 s13, s33
	v_mov_b32_e32 v31, v0
	v_mov_b32_e32 v0, s48
	;; [unrolled: 1-line block ×13, first 2 shown]
	s_getpc_b64 s[4:5]
	s_add_u32 s4, s4, _ZN7rocprim17ROCPRIM_400000_NS6detail26segmented_warp_sort_helperINS1_20WarpSortHelperConfigILj16ELj8ELj256EEEilLi256ELb0EvE4sortIPKiPiPKlPlEEvT_T0_T1_T2_jjjjRNS5_12storage_typeE@rel32@lo+4
	s_addc_u32 s5, s5, _ZN7rocprim17ROCPRIM_400000_NS6detail26segmented_warp_sort_helperINS1_20WarpSortHelperConfigILj16ELj8ELj256EEEilLi256ELb0EvE4sortIPKiPiPKlPlEEvT_T0_T1_T2_jjjjRNS5_12storage_typeE@rel32@hi+12
	s_swappc_b64 s[30:31], s[4:5]
.LBB613_6:
	s_endpgm
	.section	.rodata,"a",@progbits
	.p2align	6, 0x0
	.amdhsa_kernel _ZN7rocprim17ROCPRIM_400000_NS6detail17trampoline_kernelINS0_14default_configENS1_36segmented_radix_sort_config_selectorIilEEZNS1_25segmented_radix_sort_implIS3_Lb0EPKiPiPKlPlN2at6native12_GLOBAL__N_18offset_tEEE10hipError_tPvRmT1_PNSt15iterator_traitsISK_E10value_typeET2_T3_PNSL_ISQ_E10value_typeET4_jRbjT5_SW_jjP12ihipStream_tbEUlT_E0_NS1_11comp_targetILNS1_3genE4ELNS1_11target_archE910ELNS1_3gpuE8ELNS1_3repE0EEENS1_60segmented_radix_sort_warp_sort_medium_config_static_selectorELNS0_4arch9wavefront6targetE1EEEvSK_
		.amdhsa_group_segment_fixed_size 24576
		.amdhsa_private_segment_fixed_size 8
		.amdhsa_kernarg_size 344
		.amdhsa_user_sgpr_count 8
		.amdhsa_user_sgpr_private_segment_buffer 1
		.amdhsa_user_sgpr_dispatch_ptr 0
		.amdhsa_user_sgpr_queue_ptr 0
		.amdhsa_user_sgpr_kernarg_segment_ptr 1
		.amdhsa_user_sgpr_dispatch_id 0
		.amdhsa_user_sgpr_flat_scratch_init 1
		.amdhsa_user_sgpr_kernarg_preload_length 0
		.amdhsa_user_sgpr_kernarg_preload_offset 0
		.amdhsa_user_sgpr_private_segment_size 0
		.amdhsa_uses_dynamic_stack 0
		.amdhsa_system_sgpr_private_segment_wavefront_offset 1
		.amdhsa_system_sgpr_workgroup_id_x 1
		.amdhsa_system_sgpr_workgroup_id_y 1
		.amdhsa_system_sgpr_workgroup_id_z 0
		.amdhsa_system_sgpr_workgroup_info 0
		.amdhsa_system_vgpr_workitem_id 2
		.amdhsa_next_free_vgpr 87
		.amdhsa_next_free_sgpr 62
		.amdhsa_accum_offset 88
		.amdhsa_reserve_vcc 1
		.amdhsa_reserve_flat_scratch 1
		.amdhsa_float_round_mode_32 0
		.amdhsa_float_round_mode_16_64 0
		.amdhsa_float_denorm_mode_32 3
		.amdhsa_float_denorm_mode_16_64 3
		.amdhsa_dx10_clamp 1
		.amdhsa_ieee_mode 1
		.amdhsa_fp16_overflow 0
		.amdhsa_tg_split 0
		.amdhsa_exception_fp_ieee_invalid_op 0
		.amdhsa_exception_fp_denorm_src 0
		.amdhsa_exception_fp_ieee_div_zero 0
		.amdhsa_exception_fp_ieee_overflow 0
		.amdhsa_exception_fp_ieee_underflow 0
		.amdhsa_exception_fp_ieee_inexact 0
		.amdhsa_exception_int_div_zero 0
	.end_amdhsa_kernel
	.section	.text._ZN7rocprim17ROCPRIM_400000_NS6detail17trampoline_kernelINS0_14default_configENS1_36segmented_radix_sort_config_selectorIilEEZNS1_25segmented_radix_sort_implIS3_Lb0EPKiPiPKlPlN2at6native12_GLOBAL__N_18offset_tEEE10hipError_tPvRmT1_PNSt15iterator_traitsISK_E10value_typeET2_T3_PNSL_ISQ_E10value_typeET4_jRbjT5_SW_jjP12ihipStream_tbEUlT_E0_NS1_11comp_targetILNS1_3genE4ELNS1_11target_archE910ELNS1_3gpuE8ELNS1_3repE0EEENS1_60segmented_radix_sort_warp_sort_medium_config_static_selectorELNS0_4arch9wavefront6targetE1EEEvSK_,"axG",@progbits,_ZN7rocprim17ROCPRIM_400000_NS6detail17trampoline_kernelINS0_14default_configENS1_36segmented_radix_sort_config_selectorIilEEZNS1_25segmented_radix_sort_implIS3_Lb0EPKiPiPKlPlN2at6native12_GLOBAL__N_18offset_tEEE10hipError_tPvRmT1_PNSt15iterator_traitsISK_E10value_typeET2_T3_PNSL_ISQ_E10value_typeET4_jRbjT5_SW_jjP12ihipStream_tbEUlT_E0_NS1_11comp_targetILNS1_3genE4ELNS1_11target_archE910ELNS1_3gpuE8ELNS1_3repE0EEENS1_60segmented_radix_sort_warp_sort_medium_config_static_selectorELNS0_4arch9wavefront6targetE1EEEvSK_,comdat
.Lfunc_end613:
	.size	_ZN7rocprim17ROCPRIM_400000_NS6detail17trampoline_kernelINS0_14default_configENS1_36segmented_radix_sort_config_selectorIilEEZNS1_25segmented_radix_sort_implIS3_Lb0EPKiPiPKlPlN2at6native12_GLOBAL__N_18offset_tEEE10hipError_tPvRmT1_PNSt15iterator_traitsISK_E10value_typeET2_T3_PNSL_ISQ_E10value_typeET4_jRbjT5_SW_jjP12ihipStream_tbEUlT_E0_NS1_11comp_targetILNS1_3genE4ELNS1_11target_archE910ELNS1_3gpuE8ELNS1_3repE0EEENS1_60segmented_radix_sort_warp_sort_medium_config_static_selectorELNS0_4arch9wavefront6targetE1EEEvSK_, .Lfunc_end613-_ZN7rocprim17ROCPRIM_400000_NS6detail17trampoline_kernelINS0_14default_configENS1_36segmented_radix_sort_config_selectorIilEEZNS1_25segmented_radix_sort_implIS3_Lb0EPKiPiPKlPlN2at6native12_GLOBAL__N_18offset_tEEE10hipError_tPvRmT1_PNSt15iterator_traitsISK_E10value_typeET2_T3_PNSL_ISQ_E10value_typeET4_jRbjT5_SW_jjP12ihipStream_tbEUlT_E0_NS1_11comp_targetILNS1_3genE4ELNS1_11target_archE910ELNS1_3gpuE8ELNS1_3repE0EEENS1_60segmented_radix_sort_warp_sort_medium_config_static_selectorELNS0_4arch9wavefront6targetE1EEEvSK_
                                        ; -- End function
	.section	.AMDGPU.csdata,"",@progbits
; Kernel info:
; codeLenInByte = 488
; NumSgprs: 68
; NumVgprs: 87
; NumAgprs: 0
; TotalNumVgprs: 87
; ScratchSize: 8
; MemoryBound: 0
; FloatMode: 240
; IeeeMode: 1
; LDSByteSize: 24576 bytes/workgroup (compile time only)
; SGPRBlocks: 8
; VGPRBlocks: 10
; NumSGPRsForWavesPerEU: 68
; NumVGPRsForWavesPerEU: 87
; AccumOffset: 88
; Occupancy: 2
; WaveLimiterHint : 0
; COMPUTE_PGM_RSRC2:SCRATCH_EN: 1
; COMPUTE_PGM_RSRC2:USER_SGPR: 8
; COMPUTE_PGM_RSRC2:TRAP_HANDLER: 0
; COMPUTE_PGM_RSRC2:TGID_X_EN: 1
; COMPUTE_PGM_RSRC2:TGID_Y_EN: 1
; COMPUTE_PGM_RSRC2:TGID_Z_EN: 0
; COMPUTE_PGM_RSRC2:TIDIG_COMP_CNT: 2
; COMPUTE_PGM_RSRC3_GFX90A:ACCUM_OFFSET: 21
; COMPUTE_PGM_RSRC3_GFX90A:TG_SPLIT: 0
	.section	.text._ZN7rocprim17ROCPRIM_400000_NS6detail17trampoline_kernelINS0_14default_configENS1_36segmented_radix_sort_config_selectorIilEEZNS1_25segmented_radix_sort_implIS3_Lb0EPKiPiPKlPlN2at6native12_GLOBAL__N_18offset_tEEE10hipError_tPvRmT1_PNSt15iterator_traitsISK_E10value_typeET2_T3_PNSL_ISQ_E10value_typeET4_jRbjT5_SW_jjP12ihipStream_tbEUlT_E0_NS1_11comp_targetILNS1_3genE3ELNS1_11target_archE908ELNS1_3gpuE7ELNS1_3repE0EEENS1_60segmented_radix_sort_warp_sort_medium_config_static_selectorELNS0_4arch9wavefront6targetE1EEEvSK_,"axG",@progbits,_ZN7rocprim17ROCPRIM_400000_NS6detail17trampoline_kernelINS0_14default_configENS1_36segmented_radix_sort_config_selectorIilEEZNS1_25segmented_radix_sort_implIS3_Lb0EPKiPiPKlPlN2at6native12_GLOBAL__N_18offset_tEEE10hipError_tPvRmT1_PNSt15iterator_traitsISK_E10value_typeET2_T3_PNSL_ISQ_E10value_typeET4_jRbjT5_SW_jjP12ihipStream_tbEUlT_E0_NS1_11comp_targetILNS1_3genE3ELNS1_11target_archE908ELNS1_3gpuE7ELNS1_3repE0EEENS1_60segmented_radix_sort_warp_sort_medium_config_static_selectorELNS0_4arch9wavefront6targetE1EEEvSK_,comdat
	.globl	_ZN7rocprim17ROCPRIM_400000_NS6detail17trampoline_kernelINS0_14default_configENS1_36segmented_radix_sort_config_selectorIilEEZNS1_25segmented_radix_sort_implIS3_Lb0EPKiPiPKlPlN2at6native12_GLOBAL__N_18offset_tEEE10hipError_tPvRmT1_PNSt15iterator_traitsISK_E10value_typeET2_T3_PNSL_ISQ_E10value_typeET4_jRbjT5_SW_jjP12ihipStream_tbEUlT_E0_NS1_11comp_targetILNS1_3genE3ELNS1_11target_archE908ELNS1_3gpuE7ELNS1_3repE0EEENS1_60segmented_radix_sort_warp_sort_medium_config_static_selectorELNS0_4arch9wavefront6targetE1EEEvSK_ ; -- Begin function _ZN7rocprim17ROCPRIM_400000_NS6detail17trampoline_kernelINS0_14default_configENS1_36segmented_radix_sort_config_selectorIilEEZNS1_25segmented_radix_sort_implIS3_Lb0EPKiPiPKlPlN2at6native12_GLOBAL__N_18offset_tEEE10hipError_tPvRmT1_PNSt15iterator_traitsISK_E10value_typeET2_T3_PNSL_ISQ_E10value_typeET4_jRbjT5_SW_jjP12ihipStream_tbEUlT_E0_NS1_11comp_targetILNS1_3genE3ELNS1_11target_archE908ELNS1_3gpuE7ELNS1_3repE0EEENS1_60segmented_radix_sort_warp_sort_medium_config_static_selectorELNS0_4arch9wavefront6targetE1EEEvSK_
	.p2align	8
	.type	_ZN7rocprim17ROCPRIM_400000_NS6detail17trampoline_kernelINS0_14default_configENS1_36segmented_radix_sort_config_selectorIilEEZNS1_25segmented_radix_sort_implIS3_Lb0EPKiPiPKlPlN2at6native12_GLOBAL__N_18offset_tEEE10hipError_tPvRmT1_PNSt15iterator_traitsISK_E10value_typeET2_T3_PNSL_ISQ_E10value_typeET4_jRbjT5_SW_jjP12ihipStream_tbEUlT_E0_NS1_11comp_targetILNS1_3genE3ELNS1_11target_archE908ELNS1_3gpuE7ELNS1_3repE0EEENS1_60segmented_radix_sort_warp_sort_medium_config_static_selectorELNS0_4arch9wavefront6targetE1EEEvSK_,@function
_ZN7rocprim17ROCPRIM_400000_NS6detail17trampoline_kernelINS0_14default_configENS1_36segmented_radix_sort_config_selectorIilEEZNS1_25segmented_radix_sort_implIS3_Lb0EPKiPiPKlPlN2at6native12_GLOBAL__N_18offset_tEEE10hipError_tPvRmT1_PNSt15iterator_traitsISK_E10value_typeET2_T3_PNSL_ISQ_E10value_typeET4_jRbjT5_SW_jjP12ihipStream_tbEUlT_E0_NS1_11comp_targetILNS1_3genE3ELNS1_11target_archE908ELNS1_3gpuE7ELNS1_3repE0EEENS1_60segmented_radix_sort_warp_sort_medium_config_static_selectorELNS0_4arch9wavefront6targetE1EEEvSK_: ; @_ZN7rocprim17ROCPRIM_400000_NS6detail17trampoline_kernelINS0_14default_configENS1_36segmented_radix_sort_config_selectorIilEEZNS1_25segmented_radix_sort_implIS3_Lb0EPKiPiPKlPlN2at6native12_GLOBAL__N_18offset_tEEE10hipError_tPvRmT1_PNSt15iterator_traitsISK_E10value_typeET2_T3_PNSL_ISQ_E10value_typeET4_jRbjT5_SW_jjP12ihipStream_tbEUlT_E0_NS1_11comp_targetILNS1_3genE3ELNS1_11target_archE908ELNS1_3gpuE7ELNS1_3repE0EEENS1_60segmented_radix_sort_warp_sort_medium_config_static_selectorELNS0_4arch9wavefront6targetE1EEEvSK_
; %bb.0:
	.section	.rodata,"a",@progbits
	.p2align	6, 0x0
	.amdhsa_kernel _ZN7rocprim17ROCPRIM_400000_NS6detail17trampoline_kernelINS0_14default_configENS1_36segmented_radix_sort_config_selectorIilEEZNS1_25segmented_radix_sort_implIS3_Lb0EPKiPiPKlPlN2at6native12_GLOBAL__N_18offset_tEEE10hipError_tPvRmT1_PNSt15iterator_traitsISK_E10value_typeET2_T3_PNSL_ISQ_E10value_typeET4_jRbjT5_SW_jjP12ihipStream_tbEUlT_E0_NS1_11comp_targetILNS1_3genE3ELNS1_11target_archE908ELNS1_3gpuE7ELNS1_3repE0EEENS1_60segmented_radix_sort_warp_sort_medium_config_static_selectorELNS0_4arch9wavefront6targetE1EEEvSK_
		.amdhsa_group_segment_fixed_size 0
		.amdhsa_private_segment_fixed_size 0
		.amdhsa_kernarg_size 88
		.amdhsa_user_sgpr_count 6
		.amdhsa_user_sgpr_private_segment_buffer 1
		.amdhsa_user_sgpr_dispatch_ptr 0
		.amdhsa_user_sgpr_queue_ptr 0
		.amdhsa_user_sgpr_kernarg_segment_ptr 1
		.amdhsa_user_sgpr_dispatch_id 0
		.amdhsa_user_sgpr_flat_scratch_init 0
		.amdhsa_user_sgpr_kernarg_preload_length 0
		.amdhsa_user_sgpr_kernarg_preload_offset 0
		.amdhsa_user_sgpr_private_segment_size 0
		.amdhsa_uses_dynamic_stack 0
		.amdhsa_system_sgpr_private_segment_wavefront_offset 0
		.amdhsa_system_sgpr_workgroup_id_x 1
		.amdhsa_system_sgpr_workgroup_id_y 0
		.amdhsa_system_sgpr_workgroup_id_z 0
		.amdhsa_system_sgpr_workgroup_info 0
		.amdhsa_system_vgpr_workitem_id 0
		.amdhsa_next_free_vgpr 1
		.amdhsa_next_free_sgpr 0
		.amdhsa_accum_offset 4
		.amdhsa_reserve_vcc 0
		.amdhsa_reserve_flat_scratch 0
		.amdhsa_float_round_mode_32 0
		.amdhsa_float_round_mode_16_64 0
		.amdhsa_float_denorm_mode_32 3
		.amdhsa_float_denorm_mode_16_64 3
		.amdhsa_dx10_clamp 1
		.amdhsa_ieee_mode 1
		.amdhsa_fp16_overflow 0
		.amdhsa_tg_split 0
		.amdhsa_exception_fp_ieee_invalid_op 0
		.amdhsa_exception_fp_denorm_src 0
		.amdhsa_exception_fp_ieee_div_zero 0
		.amdhsa_exception_fp_ieee_overflow 0
		.amdhsa_exception_fp_ieee_underflow 0
		.amdhsa_exception_fp_ieee_inexact 0
		.amdhsa_exception_int_div_zero 0
	.end_amdhsa_kernel
	.section	.text._ZN7rocprim17ROCPRIM_400000_NS6detail17trampoline_kernelINS0_14default_configENS1_36segmented_radix_sort_config_selectorIilEEZNS1_25segmented_radix_sort_implIS3_Lb0EPKiPiPKlPlN2at6native12_GLOBAL__N_18offset_tEEE10hipError_tPvRmT1_PNSt15iterator_traitsISK_E10value_typeET2_T3_PNSL_ISQ_E10value_typeET4_jRbjT5_SW_jjP12ihipStream_tbEUlT_E0_NS1_11comp_targetILNS1_3genE3ELNS1_11target_archE908ELNS1_3gpuE7ELNS1_3repE0EEENS1_60segmented_radix_sort_warp_sort_medium_config_static_selectorELNS0_4arch9wavefront6targetE1EEEvSK_,"axG",@progbits,_ZN7rocprim17ROCPRIM_400000_NS6detail17trampoline_kernelINS0_14default_configENS1_36segmented_radix_sort_config_selectorIilEEZNS1_25segmented_radix_sort_implIS3_Lb0EPKiPiPKlPlN2at6native12_GLOBAL__N_18offset_tEEE10hipError_tPvRmT1_PNSt15iterator_traitsISK_E10value_typeET2_T3_PNSL_ISQ_E10value_typeET4_jRbjT5_SW_jjP12ihipStream_tbEUlT_E0_NS1_11comp_targetILNS1_3genE3ELNS1_11target_archE908ELNS1_3gpuE7ELNS1_3repE0EEENS1_60segmented_radix_sort_warp_sort_medium_config_static_selectorELNS0_4arch9wavefront6targetE1EEEvSK_,comdat
.Lfunc_end614:
	.size	_ZN7rocprim17ROCPRIM_400000_NS6detail17trampoline_kernelINS0_14default_configENS1_36segmented_radix_sort_config_selectorIilEEZNS1_25segmented_radix_sort_implIS3_Lb0EPKiPiPKlPlN2at6native12_GLOBAL__N_18offset_tEEE10hipError_tPvRmT1_PNSt15iterator_traitsISK_E10value_typeET2_T3_PNSL_ISQ_E10value_typeET4_jRbjT5_SW_jjP12ihipStream_tbEUlT_E0_NS1_11comp_targetILNS1_3genE3ELNS1_11target_archE908ELNS1_3gpuE7ELNS1_3repE0EEENS1_60segmented_radix_sort_warp_sort_medium_config_static_selectorELNS0_4arch9wavefront6targetE1EEEvSK_, .Lfunc_end614-_ZN7rocprim17ROCPRIM_400000_NS6detail17trampoline_kernelINS0_14default_configENS1_36segmented_radix_sort_config_selectorIilEEZNS1_25segmented_radix_sort_implIS3_Lb0EPKiPiPKlPlN2at6native12_GLOBAL__N_18offset_tEEE10hipError_tPvRmT1_PNSt15iterator_traitsISK_E10value_typeET2_T3_PNSL_ISQ_E10value_typeET4_jRbjT5_SW_jjP12ihipStream_tbEUlT_E0_NS1_11comp_targetILNS1_3genE3ELNS1_11target_archE908ELNS1_3gpuE7ELNS1_3repE0EEENS1_60segmented_radix_sort_warp_sort_medium_config_static_selectorELNS0_4arch9wavefront6targetE1EEEvSK_
                                        ; -- End function
	.section	.AMDGPU.csdata,"",@progbits
; Kernel info:
; codeLenInByte = 0
; NumSgprs: 4
; NumVgprs: 0
; NumAgprs: 0
; TotalNumVgprs: 0
; ScratchSize: 0
; MemoryBound: 0
; FloatMode: 240
; IeeeMode: 1
; LDSByteSize: 0 bytes/workgroup (compile time only)
; SGPRBlocks: 0
; VGPRBlocks: 0
; NumSGPRsForWavesPerEU: 4
; NumVGPRsForWavesPerEU: 1
; AccumOffset: 4
; Occupancy: 8
; WaveLimiterHint : 0
; COMPUTE_PGM_RSRC2:SCRATCH_EN: 0
; COMPUTE_PGM_RSRC2:USER_SGPR: 6
; COMPUTE_PGM_RSRC2:TRAP_HANDLER: 0
; COMPUTE_PGM_RSRC2:TGID_X_EN: 1
; COMPUTE_PGM_RSRC2:TGID_Y_EN: 0
; COMPUTE_PGM_RSRC2:TGID_Z_EN: 0
; COMPUTE_PGM_RSRC2:TIDIG_COMP_CNT: 0
; COMPUTE_PGM_RSRC3_GFX90A:ACCUM_OFFSET: 0
; COMPUTE_PGM_RSRC3_GFX90A:TG_SPLIT: 0
	.section	.text._ZN7rocprim17ROCPRIM_400000_NS6detail17trampoline_kernelINS0_14default_configENS1_36segmented_radix_sort_config_selectorIilEEZNS1_25segmented_radix_sort_implIS3_Lb0EPKiPiPKlPlN2at6native12_GLOBAL__N_18offset_tEEE10hipError_tPvRmT1_PNSt15iterator_traitsISK_E10value_typeET2_T3_PNSL_ISQ_E10value_typeET4_jRbjT5_SW_jjP12ihipStream_tbEUlT_E0_NS1_11comp_targetILNS1_3genE2ELNS1_11target_archE906ELNS1_3gpuE6ELNS1_3repE0EEENS1_60segmented_radix_sort_warp_sort_medium_config_static_selectorELNS0_4arch9wavefront6targetE1EEEvSK_,"axG",@progbits,_ZN7rocprim17ROCPRIM_400000_NS6detail17trampoline_kernelINS0_14default_configENS1_36segmented_radix_sort_config_selectorIilEEZNS1_25segmented_radix_sort_implIS3_Lb0EPKiPiPKlPlN2at6native12_GLOBAL__N_18offset_tEEE10hipError_tPvRmT1_PNSt15iterator_traitsISK_E10value_typeET2_T3_PNSL_ISQ_E10value_typeET4_jRbjT5_SW_jjP12ihipStream_tbEUlT_E0_NS1_11comp_targetILNS1_3genE2ELNS1_11target_archE906ELNS1_3gpuE6ELNS1_3repE0EEENS1_60segmented_radix_sort_warp_sort_medium_config_static_selectorELNS0_4arch9wavefront6targetE1EEEvSK_,comdat
	.globl	_ZN7rocprim17ROCPRIM_400000_NS6detail17trampoline_kernelINS0_14default_configENS1_36segmented_radix_sort_config_selectorIilEEZNS1_25segmented_radix_sort_implIS3_Lb0EPKiPiPKlPlN2at6native12_GLOBAL__N_18offset_tEEE10hipError_tPvRmT1_PNSt15iterator_traitsISK_E10value_typeET2_T3_PNSL_ISQ_E10value_typeET4_jRbjT5_SW_jjP12ihipStream_tbEUlT_E0_NS1_11comp_targetILNS1_3genE2ELNS1_11target_archE906ELNS1_3gpuE6ELNS1_3repE0EEENS1_60segmented_radix_sort_warp_sort_medium_config_static_selectorELNS0_4arch9wavefront6targetE1EEEvSK_ ; -- Begin function _ZN7rocprim17ROCPRIM_400000_NS6detail17trampoline_kernelINS0_14default_configENS1_36segmented_radix_sort_config_selectorIilEEZNS1_25segmented_radix_sort_implIS3_Lb0EPKiPiPKlPlN2at6native12_GLOBAL__N_18offset_tEEE10hipError_tPvRmT1_PNSt15iterator_traitsISK_E10value_typeET2_T3_PNSL_ISQ_E10value_typeET4_jRbjT5_SW_jjP12ihipStream_tbEUlT_E0_NS1_11comp_targetILNS1_3genE2ELNS1_11target_archE906ELNS1_3gpuE6ELNS1_3repE0EEENS1_60segmented_radix_sort_warp_sort_medium_config_static_selectorELNS0_4arch9wavefront6targetE1EEEvSK_
	.p2align	8
	.type	_ZN7rocprim17ROCPRIM_400000_NS6detail17trampoline_kernelINS0_14default_configENS1_36segmented_radix_sort_config_selectorIilEEZNS1_25segmented_radix_sort_implIS3_Lb0EPKiPiPKlPlN2at6native12_GLOBAL__N_18offset_tEEE10hipError_tPvRmT1_PNSt15iterator_traitsISK_E10value_typeET2_T3_PNSL_ISQ_E10value_typeET4_jRbjT5_SW_jjP12ihipStream_tbEUlT_E0_NS1_11comp_targetILNS1_3genE2ELNS1_11target_archE906ELNS1_3gpuE6ELNS1_3repE0EEENS1_60segmented_radix_sort_warp_sort_medium_config_static_selectorELNS0_4arch9wavefront6targetE1EEEvSK_,@function
_ZN7rocprim17ROCPRIM_400000_NS6detail17trampoline_kernelINS0_14default_configENS1_36segmented_radix_sort_config_selectorIilEEZNS1_25segmented_radix_sort_implIS3_Lb0EPKiPiPKlPlN2at6native12_GLOBAL__N_18offset_tEEE10hipError_tPvRmT1_PNSt15iterator_traitsISK_E10value_typeET2_T3_PNSL_ISQ_E10value_typeET4_jRbjT5_SW_jjP12ihipStream_tbEUlT_E0_NS1_11comp_targetILNS1_3genE2ELNS1_11target_archE906ELNS1_3gpuE6ELNS1_3repE0EEENS1_60segmented_radix_sort_warp_sort_medium_config_static_selectorELNS0_4arch9wavefront6targetE1EEEvSK_: ; @_ZN7rocprim17ROCPRIM_400000_NS6detail17trampoline_kernelINS0_14default_configENS1_36segmented_radix_sort_config_selectorIilEEZNS1_25segmented_radix_sort_implIS3_Lb0EPKiPiPKlPlN2at6native12_GLOBAL__N_18offset_tEEE10hipError_tPvRmT1_PNSt15iterator_traitsISK_E10value_typeET2_T3_PNSL_ISQ_E10value_typeET4_jRbjT5_SW_jjP12ihipStream_tbEUlT_E0_NS1_11comp_targetILNS1_3genE2ELNS1_11target_archE906ELNS1_3gpuE6ELNS1_3repE0EEENS1_60segmented_radix_sort_warp_sort_medium_config_static_selectorELNS0_4arch9wavefront6targetE1EEEvSK_
; %bb.0:
	.section	.rodata,"a",@progbits
	.p2align	6, 0x0
	.amdhsa_kernel _ZN7rocprim17ROCPRIM_400000_NS6detail17trampoline_kernelINS0_14default_configENS1_36segmented_radix_sort_config_selectorIilEEZNS1_25segmented_radix_sort_implIS3_Lb0EPKiPiPKlPlN2at6native12_GLOBAL__N_18offset_tEEE10hipError_tPvRmT1_PNSt15iterator_traitsISK_E10value_typeET2_T3_PNSL_ISQ_E10value_typeET4_jRbjT5_SW_jjP12ihipStream_tbEUlT_E0_NS1_11comp_targetILNS1_3genE2ELNS1_11target_archE906ELNS1_3gpuE6ELNS1_3repE0EEENS1_60segmented_radix_sort_warp_sort_medium_config_static_selectorELNS0_4arch9wavefront6targetE1EEEvSK_
		.amdhsa_group_segment_fixed_size 0
		.amdhsa_private_segment_fixed_size 0
		.amdhsa_kernarg_size 88
		.amdhsa_user_sgpr_count 6
		.amdhsa_user_sgpr_private_segment_buffer 1
		.amdhsa_user_sgpr_dispatch_ptr 0
		.amdhsa_user_sgpr_queue_ptr 0
		.amdhsa_user_sgpr_kernarg_segment_ptr 1
		.amdhsa_user_sgpr_dispatch_id 0
		.amdhsa_user_sgpr_flat_scratch_init 0
		.amdhsa_user_sgpr_kernarg_preload_length 0
		.amdhsa_user_sgpr_kernarg_preload_offset 0
		.amdhsa_user_sgpr_private_segment_size 0
		.amdhsa_uses_dynamic_stack 0
		.amdhsa_system_sgpr_private_segment_wavefront_offset 0
		.amdhsa_system_sgpr_workgroup_id_x 1
		.amdhsa_system_sgpr_workgroup_id_y 0
		.amdhsa_system_sgpr_workgroup_id_z 0
		.amdhsa_system_sgpr_workgroup_info 0
		.amdhsa_system_vgpr_workitem_id 0
		.amdhsa_next_free_vgpr 1
		.amdhsa_next_free_sgpr 0
		.amdhsa_accum_offset 4
		.amdhsa_reserve_vcc 0
		.amdhsa_reserve_flat_scratch 0
		.amdhsa_float_round_mode_32 0
		.amdhsa_float_round_mode_16_64 0
		.amdhsa_float_denorm_mode_32 3
		.amdhsa_float_denorm_mode_16_64 3
		.amdhsa_dx10_clamp 1
		.amdhsa_ieee_mode 1
		.amdhsa_fp16_overflow 0
		.amdhsa_tg_split 0
		.amdhsa_exception_fp_ieee_invalid_op 0
		.amdhsa_exception_fp_denorm_src 0
		.amdhsa_exception_fp_ieee_div_zero 0
		.amdhsa_exception_fp_ieee_overflow 0
		.amdhsa_exception_fp_ieee_underflow 0
		.amdhsa_exception_fp_ieee_inexact 0
		.amdhsa_exception_int_div_zero 0
	.end_amdhsa_kernel
	.section	.text._ZN7rocprim17ROCPRIM_400000_NS6detail17trampoline_kernelINS0_14default_configENS1_36segmented_radix_sort_config_selectorIilEEZNS1_25segmented_radix_sort_implIS3_Lb0EPKiPiPKlPlN2at6native12_GLOBAL__N_18offset_tEEE10hipError_tPvRmT1_PNSt15iterator_traitsISK_E10value_typeET2_T3_PNSL_ISQ_E10value_typeET4_jRbjT5_SW_jjP12ihipStream_tbEUlT_E0_NS1_11comp_targetILNS1_3genE2ELNS1_11target_archE906ELNS1_3gpuE6ELNS1_3repE0EEENS1_60segmented_radix_sort_warp_sort_medium_config_static_selectorELNS0_4arch9wavefront6targetE1EEEvSK_,"axG",@progbits,_ZN7rocprim17ROCPRIM_400000_NS6detail17trampoline_kernelINS0_14default_configENS1_36segmented_radix_sort_config_selectorIilEEZNS1_25segmented_radix_sort_implIS3_Lb0EPKiPiPKlPlN2at6native12_GLOBAL__N_18offset_tEEE10hipError_tPvRmT1_PNSt15iterator_traitsISK_E10value_typeET2_T3_PNSL_ISQ_E10value_typeET4_jRbjT5_SW_jjP12ihipStream_tbEUlT_E0_NS1_11comp_targetILNS1_3genE2ELNS1_11target_archE906ELNS1_3gpuE6ELNS1_3repE0EEENS1_60segmented_radix_sort_warp_sort_medium_config_static_selectorELNS0_4arch9wavefront6targetE1EEEvSK_,comdat
.Lfunc_end615:
	.size	_ZN7rocprim17ROCPRIM_400000_NS6detail17trampoline_kernelINS0_14default_configENS1_36segmented_radix_sort_config_selectorIilEEZNS1_25segmented_radix_sort_implIS3_Lb0EPKiPiPKlPlN2at6native12_GLOBAL__N_18offset_tEEE10hipError_tPvRmT1_PNSt15iterator_traitsISK_E10value_typeET2_T3_PNSL_ISQ_E10value_typeET4_jRbjT5_SW_jjP12ihipStream_tbEUlT_E0_NS1_11comp_targetILNS1_3genE2ELNS1_11target_archE906ELNS1_3gpuE6ELNS1_3repE0EEENS1_60segmented_radix_sort_warp_sort_medium_config_static_selectorELNS0_4arch9wavefront6targetE1EEEvSK_, .Lfunc_end615-_ZN7rocprim17ROCPRIM_400000_NS6detail17trampoline_kernelINS0_14default_configENS1_36segmented_radix_sort_config_selectorIilEEZNS1_25segmented_radix_sort_implIS3_Lb0EPKiPiPKlPlN2at6native12_GLOBAL__N_18offset_tEEE10hipError_tPvRmT1_PNSt15iterator_traitsISK_E10value_typeET2_T3_PNSL_ISQ_E10value_typeET4_jRbjT5_SW_jjP12ihipStream_tbEUlT_E0_NS1_11comp_targetILNS1_3genE2ELNS1_11target_archE906ELNS1_3gpuE6ELNS1_3repE0EEENS1_60segmented_radix_sort_warp_sort_medium_config_static_selectorELNS0_4arch9wavefront6targetE1EEEvSK_
                                        ; -- End function
	.section	.AMDGPU.csdata,"",@progbits
; Kernel info:
; codeLenInByte = 0
; NumSgprs: 4
; NumVgprs: 0
; NumAgprs: 0
; TotalNumVgprs: 0
; ScratchSize: 0
; MemoryBound: 0
; FloatMode: 240
; IeeeMode: 1
; LDSByteSize: 0 bytes/workgroup (compile time only)
; SGPRBlocks: 0
; VGPRBlocks: 0
; NumSGPRsForWavesPerEU: 4
; NumVGPRsForWavesPerEU: 1
; AccumOffset: 4
; Occupancy: 8
; WaveLimiterHint : 0
; COMPUTE_PGM_RSRC2:SCRATCH_EN: 0
; COMPUTE_PGM_RSRC2:USER_SGPR: 6
; COMPUTE_PGM_RSRC2:TRAP_HANDLER: 0
; COMPUTE_PGM_RSRC2:TGID_X_EN: 1
; COMPUTE_PGM_RSRC2:TGID_Y_EN: 0
; COMPUTE_PGM_RSRC2:TGID_Z_EN: 0
; COMPUTE_PGM_RSRC2:TIDIG_COMP_CNT: 0
; COMPUTE_PGM_RSRC3_GFX90A:ACCUM_OFFSET: 0
; COMPUTE_PGM_RSRC3_GFX90A:TG_SPLIT: 0
	.section	.text._ZN7rocprim17ROCPRIM_400000_NS6detail17trampoline_kernelINS0_14default_configENS1_36segmented_radix_sort_config_selectorIilEEZNS1_25segmented_radix_sort_implIS3_Lb0EPKiPiPKlPlN2at6native12_GLOBAL__N_18offset_tEEE10hipError_tPvRmT1_PNSt15iterator_traitsISK_E10value_typeET2_T3_PNSL_ISQ_E10value_typeET4_jRbjT5_SW_jjP12ihipStream_tbEUlT_E0_NS1_11comp_targetILNS1_3genE10ELNS1_11target_archE1201ELNS1_3gpuE5ELNS1_3repE0EEENS1_60segmented_radix_sort_warp_sort_medium_config_static_selectorELNS0_4arch9wavefront6targetE1EEEvSK_,"axG",@progbits,_ZN7rocprim17ROCPRIM_400000_NS6detail17trampoline_kernelINS0_14default_configENS1_36segmented_radix_sort_config_selectorIilEEZNS1_25segmented_radix_sort_implIS3_Lb0EPKiPiPKlPlN2at6native12_GLOBAL__N_18offset_tEEE10hipError_tPvRmT1_PNSt15iterator_traitsISK_E10value_typeET2_T3_PNSL_ISQ_E10value_typeET4_jRbjT5_SW_jjP12ihipStream_tbEUlT_E0_NS1_11comp_targetILNS1_3genE10ELNS1_11target_archE1201ELNS1_3gpuE5ELNS1_3repE0EEENS1_60segmented_radix_sort_warp_sort_medium_config_static_selectorELNS0_4arch9wavefront6targetE1EEEvSK_,comdat
	.globl	_ZN7rocprim17ROCPRIM_400000_NS6detail17trampoline_kernelINS0_14default_configENS1_36segmented_radix_sort_config_selectorIilEEZNS1_25segmented_radix_sort_implIS3_Lb0EPKiPiPKlPlN2at6native12_GLOBAL__N_18offset_tEEE10hipError_tPvRmT1_PNSt15iterator_traitsISK_E10value_typeET2_T3_PNSL_ISQ_E10value_typeET4_jRbjT5_SW_jjP12ihipStream_tbEUlT_E0_NS1_11comp_targetILNS1_3genE10ELNS1_11target_archE1201ELNS1_3gpuE5ELNS1_3repE0EEENS1_60segmented_radix_sort_warp_sort_medium_config_static_selectorELNS0_4arch9wavefront6targetE1EEEvSK_ ; -- Begin function _ZN7rocprim17ROCPRIM_400000_NS6detail17trampoline_kernelINS0_14default_configENS1_36segmented_radix_sort_config_selectorIilEEZNS1_25segmented_radix_sort_implIS3_Lb0EPKiPiPKlPlN2at6native12_GLOBAL__N_18offset_tEEE10hipError_tPvRmT1_PNSt15iterator_traitsISK_E10value_typeET2_T3_PNSL_ISQ_E10value_typeET4_jRbjT5_SW_jjP12ihipStream_tbEUlT_E0_NS1_11comp_targetILNS1_3genE10ELNS1_11target_archE1201ELNS1_3gpuE5ELNS1_3repE0EEENS1_60segmented_radix_sort_warp_sort_medium_config_static_selectorELNS0_4arch9wavefront6targetE1EEEvSK_
	.p2align	8
	.type	_ZN7rocprim17ROCPRIM_400000_NS6detail17trampoline_kernelINS0_14default_configENS1_36segmented_radix_sort_config_selectorIilEEZNS1_25segmented_radix_sort_implIS3_Lb0EPKiPiPKlPlN2at6native12_GLOBAL__N_18offset_tEEE10hipError_tPvRmT1_PNSt15iterator_traitsISK_E10value_typeET2_T3_PNSL_ISQ_E10value_typeET4_jRbjT5_SW_jjP12ihipStream_tbEUlT_E0_NS1_11comp_targetILNS1_3genE10ELNS1_11target_archE1201ELNS1_3gpuE5ELNS1_3repE0EEENS1_60segmented_radix_sort_warp_sort_medium_config_static_selectorELNS0_4arch9wavefront6targetE1EEEvSK_,@function
_ZN7rocprim17ROCPRIM_400000_NS6detail17trampoline_kernelINS0_14default_configENS1_36segmented_radix_sort_config_selectorIilEEZNS1_25segmented_radix_sort_implIS3_Lb0EPKiPiPKlPlN2at6native12_GLOBAL__N_18offset_tEEE10hipError_tPvRmT1_PNSt15iterator_traitsISK_E10value_typeET2_T3_PNSL_ISQ_E10value_typeET4_jRbjT5_SW_jjP12ihipStream_tbEUlT_E0_NS1_11comp_targetILNS1_3genE10ELNS1_11target_archE1201ELNS1_3gpuE5ELNS1_3repE0EEENS1_60segmented_radix_sort_warp_sort_medium_config_static_selectorELNS0_4arch9wavefront6targetE1EEEvSK_: ; @_ZN7rocprim17ROCPRIM_400000_NS6detail17trampoline_kernelINS0_14default_configENS1_36segmented_radix_sort_config_selectorIilEEZNS1_25segmented_radix_sort_implIS3_Lb0EPKiPiPKlPlN2at6native12_GLOBAL__N_18offset_tEEE10hipError_tPvRmT1_PNSt15iterator_traitsISK_E10value_typeET2_T3_PNSL_ISQ_E10value_typeET4_jRbjT5_SW_jjP12ihipStream_tbEUlT_E0_NS1_11comp_targetILNS1_3genE10ELNS1_11target_archE1201ELNS1_3gpuE5ELNS1_3repE0EEENS1_60segmented_radix_sort_warp_sort_medium_config_static_selectorELNS0_4arch9wavefront6targetE1EEEvSK_
; %bb.0:
	.section	.rodata,"a",@progbits
	.p2align	6, 0x0
	.amdhsa_kernel _ZN7rocprim17ROCPRIM_400000_NS6detail17trampoline_kernelINS0_14default_configENS1_36segmented_radix_sort_config_selectorIilEEZNS1_25segmented_radix_sort_implIS3_Lb0EPKiPiPKlPlN2at6native12_GLOBAL__N_18offset_tEEE10hipError_tPvRmT1_PNSt15iterator_traitsISK_E10value_typeET2_T3_PNSL_ISQ_E10value_typeET4_jRbjT5_SW_jjP12ihipStream_tbEUlT_E0_NS1_11comp_targetILNS1_3genE10ELNS1_11target_archE1201ELNS1_3gpuE5ELNS1_3repE0EEENS1_60segmented_radix_sort_warp_sort_medium_config_static_selectorELNS0_4arch9wavefront6targetE1EEEvSK_
		.amdhsa_group_segment_fixed_size 0
		.amdhsa_private_segment_fixed_size 0
		.amdhsa_kernarg_size 88
		.amdhsa_user_sgpr_count 6
		.amdhsa_user_sgpr_private_segment_buffer 1
		.amdhsa_user_sgpr_dispatch_ptr 0
		.amdhsa_user_sgpr_queue_ptr 0
		.amdhsa_user_sgpr_kernarg_segment_ptr 1
		.amdhsa_user_sgpr_dispatch_id 0
		.amdhsa_user_sgpr_flat_scratch_init 0
		.amdhsa_user_sgpr_kernarg_preload_length 0
		.amdhsa_user_sgpr_kernarg_preload_offset 0
		.amdhsa_user_sgpr_private_segment_size 0
		.amdhsa_uses_dynamic_stack 0
		.amdhsa_system_sgpr_private_segment_wavefront_offset 0
		.amdhsa_system_sgpr_workgroup_id_x 1
		.amdhsa_system_sgpr_workgroup_id_y 0
		.amdhsa_system_sgpr_workgroup_id_z 0
		.amdhsa_system_sgpr_workgroup_info 0
		.amdhsa_system_vgpr_workitem_id 0
		.amdhsa_next_free_vgpr 1
		.amdhsa_next_free_sgpr 0
		.amdhsa_accum_offset 4
		.amdhsa_reserve_vcc 0
		.amdhsa_reserve_flat_scratch 0
		.amdhsa_float_round_mode_32 0
		.amdhsa_float_round_mode_16_64 0
		.amdhsa_float_denorm_mode_32 3
		.amdhsa_float_denorm_mode_16_64 3
		.amdhsa_dx10_clamp 1
		.amdhsa_ieee_mode 1
		.amdhsa_fp16_overflow 0
		.amdhsa_tg_split 0
		.amdhsa_exception_fp_ieee_invalid_op 0
		.amdhsa_exception_fp_denorm_src 0
		.amdhsa_exception_fp_ieee_div_zero 0
		.amdhsa_exception_fp_ieee_overflow 0
		.amdhsa_exception_fp_ieee_underflow 0
		.amdhsa_exception_fp_ieee_inexact 0
		.amdhsa_exception_int_div_zero 0
	.end_amdhsa_kernel
	.section	.text._ZN7rocprim17ROCPRIM_400000_NS6detail17trampoline_kernelINS0_14default_configENS1_36segmented_radix_sort_config_selectorIilEEZNS1_25segmented_radix_sort_implIS3_Lb0EPKiPiPKlPlN2at6native12_GLOBAL__N_18offset_tEEE10hipError_tPvRmT1_PNSt15iterator_traitsISK_E10value_typeET2_T3_PNSL_ISQ_E10value_typeET4_jRbjT5_SW_jjP12ihipStream_tbEUlT_E0_NS1_11comp_targetILNS1_3genE10ELNS1_11target_archE1201ELNS1_3gpuE5ELNS1_3repE0EEENS1_60segmented_radix_sort_warp_sort_medium_config_static_selectorELNS0_4arch9wavefront6targetE1EEEvSK_,"axG",@progbits,_ZN7rocprim17ROCPRIM_400000_NS6detail17trampoline_kernelINS0_14default_configENS1_36segmented_radix_sort_config_selectorIilEEZNS1_25segmented_radix_sort_implIS3_Lb0EPKiPiPKlPlN2at6native12_GLOBAL__N_18offset_tEEE10hipError_tPvRmT1_PNSt15iterator_traitsISK_E10value_typeET2_T3_PNSL_ISQ_E10value_typeET4_jRbjT5_SW_jjP12ihipStream_tbEUlT_E0_NS1_11comp_targetILNS1_3genE10ELNS1_11target_archE1201ELNS1_3gpuE5ELNS1_3repE0EEENS1_60segmented_radix_sort_warp_sort_medium_config_static_selectorELNS0_4arch9wavefront6targetE1EEEvSK_,comdat
.Lfunc_end616:
	.size	_ZN7rocprim17ROCPRIM_400000_NS6detail17trampoline_kernelINS0_14default_configENS1_36segmented_radix_sort_config_selectorIilEEZNS1_25segmented_radix_sort_implIS3_Lb0EPKiPiPKlPlN2at6native12_GLOBAL__N_18offset_tEEE10hipError_tPvRmT1_PNSt15iterator_traitsISK_E10value_typeET2_T3_PNSL_ISQ_E10value_typeET4_jRbjT5_SW_jjP12ihipStream_tbEUlT_E0_NS1_11comp_targetILNS1_3genE10ELNS1_11target_archE1201ELNS1_3gpuE5ELNS1_3repE0EEENS1_60segmented_radix_sort_warp_sort_medium_config_static_selectorELNS0_4arch9wavefront6targetE1EEEvSK_, .Lfunc_end616-_ZN7rocprim17ROCPRIM_400000_NS6detail17trampoline_kernelINS0_14default_configENS1_36segmented_radix_sort_config_selectorIilEEZNS1_25segmented_radix_sort_implIS3_Lb0EPKiPiPKlPlN2at6native12_GLOBAL__N_18offset_tEEE10hipError_tPvRmT1_PNSt15iterator_traitsISK_E10value_typeET2_T3_PNSL_ISQ_E10value_typeET4_jRbjT5_SW_jjP12ihipStream_tbEUlT_E0_NS1_11comp_targetILNS1_3genE10ELNS1_11target_archE1201ELNS1_3gpuE5ELNS1_3repE0EEENS1_60segmented_radix_sort_warp_sort_medium_config_static_selectorELNS0_4arch9wavefront6targetE1EEEvSK_
                                        ; -- End function
	.section	.AMDGPU.csdata,"",@progbits
; Kernel info:
; codeLenInByte = 0
; NumSgprs: 4
; NumVgprs: 0
; NumAgprs: 0
; TotalNumVgprs: 0
; ScratchSize: 0
; MemoryBound: 0
; FloatMode: 240
; IeeeMode: 1
; LDSByteSize: 0 bytes/workgroup (compile time only)
; SGPRBlocks: 0
; VGPRBlocks: 0
; NumSGPRsForWavesPerEU: 4
; NumVGPRsForWavesPerEU: 1
; AccumOffset: 4
; Occupancy: 8
; WaveLimiterHint : 0
; COMPUTE_PGM_RSRC2:SCRATCH_EN: 0
; COMPUTE_PGM_RSRC2:USER_SGPR: 6
; COMPUTE_PGM_RSRC2:TRAP_HANDLER: 0
; COMPUTE_PGM_RSRC2:TGID_X_EN: 1
; COMPUTE_PGM_RSRC2:TGID_Y_EN: 0
; COMPUTE_PGM_RSRC2:TGID_Z_EN: 0
; COMPUTE_PGM_RSRC2:TIDIG_COMP_CNT: 0
; COMPUTE_PGM_RSRC3_GFX90A:ACCUM_OFFSET: 0
; COMPUTE_PGM_RSRC3_GFX90A:TG_SPLIT: 0
	.section	.text._ZN7rocprim17ROCPRIM_400000_NS6detail17trampoline_kernelINS0_14default_configENS1_36segmented_radix_sort_config_selectorIilEEZNS1_25segmented_radix_sort_implIS3_Lb0EPKiPiPKlPlN2at6native12_GLOBAL__N_18offset_tEEE10hipError_tPvRmT1_PNSt15iterator_traitsISK_E10value_typeET2_T3_PNSL_ISQ_E10value_typeET4_jRbjT5_SW_jjP12ihipStream_tbEUlT_E0_NS1_11comp_targetILNS1_3genE10ELNS1_11target_archE1200ELNS1_3gpuE4ELNS1_3repE0EEENS1_60segmented_radix_sort_warp_sort_medium_config_static_selectorELNS0_4arch9wavefront6targetE1EEEvSK_,"axG",@progbits,_ZN7rocprim17ROCPRIM_400000_NS6detail17trampoline_kernelINS0_14default_configENS1_36segmented_radix_sort_config_selectorIilEEZNS1_25segmented_radix_sort_implIS3_Lb0EPKiPiPKlPlN2at6native12_GLOBAL__N_18offset_tEEE10hipError_tPvRmT1_PNSt15iterator_traitsISK_E10value_typeET2_T3_PNSL_ISQ_E10value_typeET4_jRbjT5_SW_jjP12ihipStream_tbEUlT_E0_NS1_11comp_targetILNS1_3genE10ELNS1_11target_archE1200ELNS1_3gpuE4ELNS1_3repE0EEENS1_60segmented_radix_sort_warp_sort_medium_config_static_selectorELNS0_4arch9wavefront6targetE1EEEvSK_,comdat
	.globl	_ZN7rocprim17ROCPRIM_400000_NS6detail17trampoline_kernelINS0_14default_configENS1_36segmented_radix_sort_config_selectorIilEEZNS1_25segmented_radix_sort_implIS3_Lb0EPKiPiPKlPlN2at6native12_GLOBAL__N_18offset_tEEE10hipError_tPvRmT1_PNSt15iterator_traitsISK_E10value_typeET2_T3_PNSL_ISQ_E10value_typeET4_jRbjT5_SW_jjP12ihipStream_tbEUlT_E0_NS1_11comp_targetILNS1_3genE10ELNS1_11target_archE1200ELNS1_3gpuE4ELNS1_3repE0EEENS1_60segmented_radix_sort_warp_sort_medium_config_static_selectorELNS0_4arch9wavefront6targetE1EEEvSK_ ; -- Begin function _ZN7rocprim17ROCPRIM_400000_NS6detail17trampoline_kernelINS0_14default_configENS1_36segmented_radix_sort_config_selectorIilEEZNS1_25segmented_radix_sort_implIS3_Lb0EPKiPiPKlPlN2at6native12_GLOBAL__N_18offset_tEEE10hipError_tPvRmT1_PNSt15iterator_traitsISK_E10value_typeET2_T3_PNSL_ISQ_E10value_typeET4_jRbjT5_SW_jjP12ihipStream_tbEUlT_E0_NS1_11comp_targetILNS1_3genE10ELNS1_11target_archE1200ELNS1_3gpuE4ELNS1_3repE0EEENS1_60segmented_radix_sort_warp_sort_medium_config_static_selectorELNS0_4arch9wavefront6targetE1EEEvSK_
	.p2align	8
	.type	_ZN7rocprim17ROCPRIM_400000_NS6detail17trampoline_kernelINS0_14default_configENS1_36segmented_radix_sort_config_selectorIilEEZNS1_25segmented_radix_sort_implIS3_Lb0EPKiPiPKlPlN2at6native12_GLOBAL__N_18offset_tEEE10hipError_tPvRmT1_PNSt15iterator_traitsISK_E10value_typeET2_T3_PNSL_ISQ_E10value_typeET4_jRbjT5_SW_jjP12ihipStream_tbEUlT_E0_NS1_11comp_targetILNS1_3genE10ELNS1_11target_archE1200ELNS1_3gpuE4ELNS1_3repE0EEENS1_60segmented_radix_sort_warp_sort_medium_config_static_selectorELNS0_4arch9wavefront6targetE1EEEvSK_,@function
_ZN7rocprim17ROCPRIM_400000_NS6detail17trampoline_kernelINS0_14default_configENS1_36segmented_radix_sort_config_selectorIilEEZNS1_25segmented_radix_sort_implIS3_Lb0EPKiPiPKlPlN2at6native12_GLOBAL__N_18offset_tEEE10hipError_tPvRmT1_PNSt15iterator_traitsISK_E10value_typeET2_T3_PNSL_ISQ_E10value_typeET4_jRbjT5_SW_jjP12ihipStream_tbEUlT_E0_NS1_11comp_targetILNS1_3genE10ELNS1_11target_archE1200ELNS1_3gpuE4ELNS1_3repE0EEENS1_60segmented_radix_sort_warp_sort_medium_config_static_selectorELNS0_4arch9wavefront6targetE1EEEvSK_: ; @_ZN7rocprim17ROCPRIM_400000_NS6detail17trampoline_kernelINS0_14default_configENS1_36segmented_radix_sort_config_selectorIilEEZNS1_25segmented_radix_sort_implIS3_Lb0EPKiPiPKlPlN2at6native12_GLOBAL__N_18offset_tEEE10hipError_tPvRmT1_PNSt15iterator_traitsISK_E10value_typeET2_T3_PNSL_ISQ_E10value_typeET4_jRbjT5_SW_jjP12ihipStream_tbEUlT_E0_NS1_11comp_targetILNS1_3genE10ELNS1_11target_archE1200ELNS1_3gpuE4ELNS1_3repE0EEENS1_60segmented_radix_sort_warp_sort_medium_config_static_selectorELNS0_4arch9wavefront6targetE1EEEvSK_
; %bb.0:
	.section	.rodata,"a",@progbits
	.p2align	6, 0x0
	.amdhsa_kernel _ZN7rocprim17ROCPRIM_400000_NS6detail17trampoline_kernelINS0_14default_configENS1_36segmented_radix_sort_config_selectorIilEEZNS1_25segmented_radix_sort_implIS3_Lb0EPKiPiPKlPlN2at6native12_GLOBAL__N_18offset_tEEE10hipError_tPvRmT1_PNSt15iterator_traitsISK_E10value_typeET2_T3_PNSL_ISQ_E10value_typeET4_jRbjT5_SW_jjP12ihipStream_tbEUlT_E0_NS1_11comp_targetILNS1_3genE10ELNS1_11target_archE1200ELNS1_3gpuE4ELNS1_3repE0EEENS1_60segmented_radix_sort_warp_sort_medium_config_static_selectorELNS0_4arch9wavefront6targetE1EEEvSK_
		.amdhsa_group_segment_fixed_size 0
		.amdhsa_private_segment_fixed_size 0
		.amdhsa_kernarg_size 88
		.amdhsa_user_sgpr_count 6
		.amdhsa_user_sgpr_private_segment_buffer 1
		.amdhsa_user_sgpr_dispatch_ptr 0
		.amdhsa_user_sgpr_queue_ptr 0
		.amdhsa_user_sgpr_kernarg_segment_ptr 1
		.amdhsa_user_sgpr_dispatch_id 0
		.amdhsa_user_sgpr_flat_scratch_init 0
		.amdhsa_user_sgpr_kernarg_preload_length 0
		.amdhsa_user_sgpr_kernarg_preload_offset 0
		.amdhsa_user_sgpr_private_segment_size 0
		.amdhsa_uses_dynamic_stack 0
		.amdhsa_system_sgpr_private_segment_wavefront_offset 0
		.amdhsa_system_sgpr_workgroup_id_x 1
		.amdhsa_system_sgpr_workgroup_id_y 0
		.amdhsa_system_sgpr_workgroup_id_z 0
		.amdhsa_system_sgpr_workgroup_info 0
		.amdhsa_system_vgpr_workitem_id 0
		.amdhsa_next_free_vgpr 1
		.amdhsa_next_free_sgpr 0
		.amdhsa_accum_offset 4
		.amdhsa_reserve_vcc 0
		.amdhsa_reserve_flat_scratch 0
		.amdhsa_float_round_mode_32 0
		.amdhsa_float_round_mode_16_64 0
		.amdhsa_float_denorm_mode_32 3
		.amdhsa_float_denorm_mode_16_64 3
		.amdhsa_dx10_clamp 1
		.amdhsa_ieee_mode 1
		.amdhsa_fp16_overflow 0
		.amdhsa_tg_split 0
		.amdhsa_exception_fp_ieee_invalid_op 0
		.amdhsa_exception_fp_denorm_src 0
		.amdhsa_exception_fp_ieee_div_zero 0
		.amdhsa_exception_fp_ieee_overflow 0
		.amdhsa_exception_fp_ieee_underflow 0
		.amdhsa_exception_fp_ieee_inexact 0
		.amdhsa_exception_int_div_zero 0
	.end_amdhsa_kernel
	.section	.text._ZN7rocprim17ROCPRIM_400000_NS6detail17trampoline_kernelINS0_14default_configENS1_36segmented_radix_sort_config_selectorIilEEZNS1_25segmented_radix_sort_implIS3_Lb0EPKiPiPKlPlN2at6native12_GLOBAL__N_18offset_tEEE10hipError_tPvRmT1_PNSt15iterator_traitsISK_E10value_typeET2_T3_PNSL_ISQ_E10value_typeET4_jRbjT5_SW_jjP12ihipStream_tbEUlT_E0_NS1_11comp_targetILNS1_3genE10ELNS1_11target_archE1200ELNS1_3gpuE4ELNS1_3repE0EEENS1_60segmented_radix_sort_warp_sort_medium_config_static_selectorELNS0_4arch9wavefront6targetE1EEEvSK_,"axG",@progbits,_ZN7rocprim17ROCPRIM_400000_NS6detail17trampoline_kernelINS0_14default_configENS1_36segmented_radix_sort_config_selectorIilEEZNS1_25segmented_radix_sort_implIS3_Lb0EPKiPiPKlPlN2at6native12_GLOBAL__N_18offset_tEEE10hipError_tPvRmT1_PNSt15iterator_traitsISK_E10value_typeET2_T3_PNSL_ISQ_E10value_typeET4_jRbjT5_SW_jjP12ihipStream_tbEUlT_E0_NS1_11comp_targetILNS1_3genE10ELNS1_11target_archE1200ELNS1_3gpuE4ELNS1_3repE0EEENS1_60segmented_radix_sort_warp_sort_medium_config_static_selectorELNS0_4arch9wavefront6targetE1EEEvSK_,comdat
.Lfunc_end617:
	.size	_ZN7rocprim17ROCPRIM_400000_NS6detail17trampoline_kernelINS0_14default_configENS1_36segmented_radix_sort_config_selectorIilEEZNS1_25segmented_radix_sort_implIS3_Lb0EPKiPiPKlPlN2at6native12_GLOBAL__N_18offset_tEEE10hipError_tPvRmT1_PNSt15iterator_traitsISK_E10value_typeET2_T3_PNSL_ISQ_E10value_typeET4_jRbjT5_SW_jjP12ihipStream_tbEUlT_E0_NS1_11comp_targetILNS1_3genE10ELNS1_11target_archE1200ELNS1_3gpuE4ELNS1_3repE0EEENS1_60segmented_radix_sort_warp_sort_medium_config_static_selectorELNS0_4arch9wavefront6targetE1EEEvSK_, .Lfunc_end617-_ZN7rocprim17ROCPRIM_400000_NS6detail17trampoline_kernelINS0_14default_configENS1_36segmented_radix_sort_config_selectorIilEEZNS1_25segmented_radix_sort_implIS3_Lb0EPKiPiPKlPlN2at6native12_GLOBAL__N_18offset_tEEE10hipError_tPvRmT1_PNSt15iterator_traitsISK_E10value_typeET2_T3_PNSL_ISQ_E10value_typeET4_jRbjT5_SW_jjP12ihipStream_tbEUlT_E0_NS1_11comp_targetILNS1_3genE10ELNS1_11target_archE1200ELNS1_3gpuE4ELNS1_3repE0EEENS1_60segmented_radix_sort_warp_sort_medium_config_static_selectorELNS0_4arch9wavefront6targetE1EEEvSK_
                                        ; -- End function
	.section	.AMDGPU.csdata,"",@progbits
; Kernel info:
; codeLenInByte = 0
; NumSgprs: 4
; NumVgprs: 0
; NumAgprs: 0
; TotalNumVgprs: 0
; ScratchSize: 0
; MemoryBound: 0
; FloatMode: 240
; IeeeMode: 1
; LDSByteSize: 0 bytes/workgroup (compile time only)
; SGPRBlocks: 0
; VGPRBlocks: 0
; NumSGPRsForWavesPerEU: 4
; NumVGPRsForWavesPerEU: 1
; AccumOffset: 4
; Occupancy: 8
; WaveLimiterHint : 0
; COMPUTE_PGM_RSRC2:SCRATCH_EN: 0
; COMPUTE_PGM_RSRC2:USER_SGPR: 6
; COMPUTE_PGM_RSRC2:TRAP_HANDLER: 0
; COMPUTE_PGM_RSRC2:TGID_X_EN: 1
; COMPUTE_PGM_RSRC2:TGID_Y_EN: 0
; COMPUTE_PGM_RSRC2:TGID_Z_EN: 0
; COMPUTE_PGM_RSRC2:TIDIG_COMP_CNT: 0
; COMPUTE_PGM_RSRC3_GFX90A:ACCUM_OFFSET: 0
; COMPUTE_PGM_RSRC3_GFX90A:TG_SPLIT: 0
	.section	.text._ZN7rocprim17ROCPRIM_400000_NS6detail17trampoline_kernelINS0_14default_configENS1_36segmented_radix_sort_config_selectorIilEEZNS1_25segmented_radix_sort_implIS3_Lb0EPKiPiPKlPlN2at6native12_GLOBAL__N_18offset_tEEE10hipError_tPvRmT1_PNSt15iterator_traitsISK_E10value_typeET2_T3_PNSL_ISQ_E10value_typeET4_jRbjT5_SW_jjP12ihipStream_tbEUlT_E0_NS1_11comp_targetILNS1_3genE9ELNS1_11target_archE1100ELNS1_3gpuE3ELNS1_3repE0EEENS1_60segmented_radix_sort_warp_sort_medium_config_static_selectorELNS0_4arch9wavefront6targetE1EEEvSK_,"axG",@progbits,_ZN7rocprim17ROCPRIM_400000_NS6detail17trampoline_kernelINS0_14default_configENS1_36segmented_radix_sort_config_selectorIilEEZNS1_25segmented_radix_sort_implIS3_Lb0EPKiPiPKlPlN2at6native12_GLOBAL__N_18offset_tEEE10hipError_tPvRmT1_PNSt15iterator_traitsISK_E10value_typeET2_T3_PNSL_ISQ_E10value_typeET4_jRbjT5_SW_jjP12ihipStream_tbEUlT_E0_NS1_11comp_targetILNS1_3genE9ELNS1_11target_archE1100ELNS1_3gpuE3ELNS1_3repE0EEENS1_60segmented_radix_sort_warp_sort_medium_config_static_selectorELNS0_4arch9wavefront6targetE1EEEvSK_,comdat
	.globl	_ZN7rocprim17ROCPRIM_400000_NS6detail17trampoline_kernelINS0_14default_configENS1_36segmented_radix_sort_config_selectorIilEEZNS1_25segmented_radix_sort_implIS3_Lb0EPKiPiPKlPlN2at6native12_GLOBAL__N_18offset_tEEE10hipError_tPvRmT1_PNSt15iterator_traitsISK_E10value_typeET2_T3_PNSL_ISQ_E10value_typeET4_jRbjT5_SW_jjP12ihipStream_tbEUlT_E0_NS1_11comp_targetILNS1_3genE9ELNS1_11target_archE1100ELNS1_3gpuE3ELNS1_3repE0EEENS1_60segmented_radix_sort_warp_sort_medium_config_static_selectorELNS0_4arch9wavefront6targetE1EEEvSK_ ; -- Begin function _ZN7rocprim17ROCPRIM_400000_NS6detail17trampoline_kernelINS0_14default_configENS1_36segmented_radix_sort_config_selectorIilEEZNS1_25segmented_radix_sort_implIS3_Lb0EPKiPiPKlPlN2at6native12_GLOBAL__N_18offset_tEEE10hipError_tPvRmT1_PNSt15iterator_traitsISK_E10value_typeET2_T3_PNSL_ISQ_E10value_typeET4_jRbjT5_SW_jjP12ihipStream_tbEUlT_E0_NS1_11comp_targetILNS1_3genE9ELNS1_11target_archE1100ELNS1_3gpuE3ELNS1_3repE0EEENS1_60segmented_radix_sort_warp_sort_medium_config_static_selectorELNS0_4arch9wavefront6targetE1EEEvSK_
	.p2align	8
	.type	_ZN7rocprim17ROCPRIM_400000_NS6detail17trampoline_kernelINS0_14default_configENS1_36segmented_radix_sort_config_selectorIilEEZNS1_25segmented_radix_sort_implIS3_Lb0EPKiPiPKlPlN2at6native12_GLOBAL__N_18offset_tEEE10hipError_tPvRmT1_PNSt15iterator_traitsISK_E10value_typeET2_T3_PNSL_ISQ_E10value_typeET4_jRbjT5_SW_jjP12ihipStream_tbEUlT_E0_NS1_11comp_targetILNS1_3genE9ELNS1_11target_archE1100ELNS1_3gpuE3ELNS1_3repE0EEENS1_60segmented_radix_sort_warp_sort_medium_config_static_selectorELNS0_4arch9wavefront6targetE1EEEvSK_,@function
_ZN7rocprim17ROCPRIM_400000_NS6detail17trampoline_kernelINS0_14default_configENS1_36segmented_radix_sort_config_selectorIilEEZNS1_25segmented_radix_sort_implIS3_Lb0EPKiPiPKlPlN2at6native12_GLOBAL__N_18offset_tEEE10hipError_tPvRmT1_PNSt15iterator_traitsISK_E10value_typeET2_T3_PNSL_ISQ_E10value_typeET4_jRbjT5_SW_jjP12ihipStream_tbEUlT_E0_NS1_11comp_targetILNS1_3genE9ELNS1_11target_archE1100ELNS1_3gpuE3ELNS1_3repE0EEENS1_60segmented_radix_sort_warp_sort_medium_config_static_selectorELNS0_4arch9wavefront6targetE1EEEvSK_: ; @_ZN7rocprim17ROCPRIM_400000_NS6detail17trampoline_kernelINS0_14default_configENS1_36segmented_radix_sort_config_selectorIilEEZNS1_25segmented_radix_sort_implIS3_Lb0EPKiPiPKlPlN2at6native12_GLOBAL__N_18offset_tEEE10hipError_tPvRmT1_PNSt15iterator_traitsISK_E10value_typeET2_T3_PNSL_ISQ_E10value_typeET4_jRbjT5_SW_jjP12ihipStream_tbEUlT_E0_NS1_11comp_targetILNS1_3genE9ELNS1_11target_archE1100ELNS1_3gpuE3ELNS1_3repE0EEENS1_60segmented_radix_sort_warp_sort_medium_config_static_selectorELNS0_4arch9wavefront6targetE1EEEvSK_
; %bb.0:
	.section	.rodata,"a",@progbits
	.p2align	6, 0x0
	.amdhsa_kernel _ZN7rocprim17ROCPRIM_400000_NS6detail17trampoline_kernelINS0_14default_configENS1_36segmented_radix_sort_config_selectorIilEEZNS1_25segmented_radix_sort_implIS3_Lb0EPKiPiPKlPlN2at6native12_GLOBAL__N_18offset_tEEE10hipError_tPvRmT1_PNSt15iterator_traitsISK_E10value_typeET2_T3_PNSL_ISQ_E10value_typeET4_jRbjT5_SW_jjP12ihipStream_tbEUlT_E0_NS1_11comp_targetILNS1_3genE9ELNS1_11target_archE1100ELNS1_3gpuE3ELNS1_3repE0EEENS1_60segmented_radix_sort_warp_sort_medium_config_static_selectorELNS0_4arch9wavefront6targetE1EEEvSK_
		.amdhsa_group_segment_fixed_size 0
		.amdhsa_private_segment_fixed_size 0
		.amdhsa_kernarg_size 88
		.amdhsa_user_sgpr_count 6
		.amdhsa_user_sgpr_private_segment_buffer 1
		.amdhsa_user_sgpr_dispatch_ptr 0
		.amdhsa_user_sgpr_queue_ptr 0
		.amdhsa_user_sgpr_kernarg_segment_ptr 1
		.amdhsa_user_sgpr_dispatch_id 0
		.amdhsa_user_sgpr_flat_scratch_init 0
		.amdhsa_user_sgpr_kernarg_preload_length 0
		.amdhsa_user_sgpr_kernarg_preload_offset 0
		.amdhsa_user_sgpr_private_segment_size 0
		.amdhsa_uses_dynamic_stack 0
		.amdhsa_system_sgpr_private_segment_wavefront_offset 0
		.amdhsa_system_sgpr_workgroup_id_x 1
		.amdhsa_system_sgpr_workgroup_id_y 0
		.amdhsa_system_sgpr_workgroup_id_z 0
		.amdhsa_system_sgpr_workgroup_info 0
		.amdhsa_system_vgpr_workitem_id 0
		.amdhsa_next_free_vgpr 1
		.amdhsa_next_free_sgpr 0
		.amdhsa_accum_offset 4
		.amdhsa_reserve_vcc 0
		.amdhsa_reserve_flat_scratch 0
		.amdhsa_float_round_mode_32 0
		.amdhsa_float_round_mode_16_64 0
		.amdhsa_float_denorm_mode_32 3
		.amdhsa_float_denorm_mode_16_64 3
		.amdhsa_dx10_clamp 1
		.amdhsa_ieee_mode 1
		.amdhsa_fp16_overflow 0
		.amdhsa_tg_split 0
		.amdhsa_exception_fp_ieee_invalid_op 0
		.amdhsa_exception_fp_denorm_src 0
		.amdhsa_exception_fp_ieee_div_zero 0
		.amdhsa_exception_fp_ieee_overflow 0
		.amdhsa_exception_fp_ieee_underflow 0
		.amdhsa_exception_fp_ieee_inexact 0
		.amdhsa_exception_int_div_zero 0
	.end_amdhsa_kernel
	.section	.text._ZN7rocprim17ROCPRIM_400000_NS6detail17trampoline_kernelINS0_14default_configENS1_36segmented_radix_sort_config_selectorIilEEZNS1_25segmented_radix_sort_implIS3_Lb0EPKiPiPKlPlN2at6native12_GLOBAL__N_18offset_tEEE10hipError_tPvRmT1_PNSt15iterator_traitsISK_E10value_typeET2_T3_PNSL_ISQ_E10value_typeET4_jRbjT5_SW_jjP12ihipStream_tbEUlT_E0_NS1_11comp_targetILNS1_3genE9ELNS1_11target_archE1100ELNS1_3gpuE3ELNS1_3repE0EEENS1_60segmented_radix_sort_warp_sort_medium_config_static_selectorELNS0_4arch9wavefront6targetE1EEEvSK_,"axG",@progbits,_ZN7rocprim17ROCPRIM_400000_NS6detail17trampoline_kernelINS0_14default_configENS1_36segmented_radix_sort_config_selectorIilEEZNS1_25segmented_radix_sort_implIS3_Lb0EPKiPiPKlPlN2at6native12_GLOBAL__N_18offset_tEEE10hipError_tPvRmT1_PNSt15iterator_traitsISK_E10value_typeET2_T3_PNSL_ISQ_E10value_typeET4_jRbjT5_SW_jjP12ihipStream_tbEUlT_E0_NS1_11comp_targetILNS1_3genE9ELNS1_11target_archE1100ELNS1_3gpuE3ELNS1_3repE0EEENS1_60segmented_radix_sort_warp_sort_medium_config_static_selectorELNS0_4arch9wavefront6targetE1EEEvSK_,comdat
.Lfunc_end618:
	.size	_ZN7rocprim17ROCPRIM_400000_NS6detail17trampoline_kernelINS0_14default_configENS1_36segmented_radix_sort_config_selectorIilEEZNS1_25segmented_radix_sort_implIS3_Lb0EPKiPiPKlPlN2at6native12_GLOBAL__N_18offset_tEEE10hipError_tPvRmT1_PNSt15iterator_traitsISK_E10value_typeET2_T3_PNSL_ISQ_E10value_typeET4_jRbjT5_SW_jjP12ihipStream_tbEUlT_E0_NS1_11comp_targetILNS1_3genE9ELNS1_11target_archE1100ELNS1_3gpuE3ELNS1_3repE0EEENS1_60segmented_radix_sort_warp_sort_medium_config_static_selectorELNS0_4arch9wavefront6targetE1EEEvSK_, .Lfunc_end618-_ZN7rocprim17ROCPRIM_400000_NS6detail17trampoline_kernelINS0_14default_configENS1_36segmented_radix_sort_config_selectorIilEEZNS1_25segmented_radix_sort_implIS3_Lb0EPKiPiPKlPlN2at6native12_GLOBAL__N_18offset_tEEE10hipError_tPvRmT1_PNSt15iterator_traitsISK_E10value_typeET2_T3_PNSL_ISQ_E10value_typeET4_jRbjT5_SW_jjP12ihipStream_tbEUlT_E0_NS1_11comp_targetILNS1_3genE9ELNS1_11target_archE1100ELNS1_3gpuE3ELNS1_3repE0EEENS1_60segmented_radix_sort_warp_sort_medium_config_static_selectorELNS0_4arch9wavefront6targetE1EEEvSK_
                                        ; -- End function
	.section	.AMDGPU.csdata,"",@progbits
; Kernel info:
; codeLenInByte = 0
; NumSgprs: 4
; NumVgprs: 0
; NumAgprs: 0
; TotalNumVgprs: 0
; ScratchSize: 0
; MemoryBound: 0
; FloatMode: 240
; IeeeMode: 1
; LDSByteSize: 0 bytes/workgroup (compile time only)
; SGPRBlocks: 0
; VGPRBlocks: 0
; NumSGPRsForWavesPerEU: 4
; NumVGPRsForWavesPerEU: 1
; AccumOffset: 4
; Occupancy: 8
; WaveLimiterHint : 0
; COMPUTE_PGM_RSRC2:SCRATCH_EN: 0
; COMPUTE_PGM_RSRC2:USER_SGPR: 6
; COMPUTE_PGM_RSRC2:TRAP_HANDLER: 0
; COMPUTE_PGM_RSRC2:TGID_X_EN: 1
; COMPUTE_PGM_RSRC2:TGID_Y_EN: 0
; COMPUTE_PGM_RSRC2:TGID_Z_EN: 0
; COMPUTE_PGM_RSRC2:TIDIG_COMP_CNT: 0
; COMPUTE_PGM_RSRC3_GFX90A:ACCUM_OFFSET: 0
; COMPUTE_PGM_RSRC3_GFX90A:TG_SPLIT: 0
	.section	.text._ZN7rocprim17ROCPRIM_400000_NS6detail17trampoline_kernelINS0_14default_configENS1_36segmented_radix_sort_config_selectorIilEEZNS1_25segmented_radix_sort_implIS3_Lb0EPKiPiPKlPlN2at6native12_GLOBAL__N_18offset_tEEE10hipError_tPvRmT1_PNSt15iterator_traitsISK_E10value_typeET2_T3_PNSL_ISQ_E10value_typeET4_jRbjT5_SW_jjP12ihipStream_tbEUlT_E0_NS1_11comp_targetILNS1_3genE8ELNS1_11target_archE1030ELNS1_3gpuE2ELNS1_3repE0EEENS1_60segmented_radix_sort_warp_sort_medium_config_static_selectorELNS0_4arch9wavefront6targetE1EEEvSK_,"axG",@progbits,_ZN7rocprim17ROCPRIM_400000_NS6detail17trampoline_kernelINS0_14default_configENS1_36segmented_radix_sort_config_selectorIilEEZNS1_25segmented_radix_sort_implIS3_Lb0EPKiPiPKlPlN2at6native12_GLOBAL__N_18offset_tEEE10hipError_tPvRmT1_PNSt15iterator_traitsISK_E10value_typeET2_T3_PNSL_ISQ_E10value_typeET4_jRbjT5_SW_jjP12ihipStream_tbEUlT_E0_NS1_11comp_targetILNS1_3genE8ELNS1_11target_archE1030ELNS1_3gpuE2ELNS1_3repE0EEENS1_60segmented_radix_sort_warp_sort_medium_config_static_selectorELNS0_4arch9wavefront6targetE1EEEvSK_,comdat
	.globl	_ZN7rocprim17ROCPRIM_400000_NS6detail17trampoline_kernelINS0_14default_configENS1_36segmented_radix_sort_config_selectorIilEEZNS1_25segmented_radix_sort_implIS3_Lb0EPKiPiPKlPlN2at6native12_GLOBAL__N_18offset_tEEE10hipError_tPvRmT1_PNSt15iterator_traitsISK_E10value_typeET2_T3_PNSL_ISQ_E10value_typeET4_jRbjT5_SW_jjP12ihipStream_tbEUlT_E0_NS1_11comp_targetILNS1_3genE8ELNS1_11target_archE1030ELNS1_3gpuE2ELNS1_3repE0EEENS1_60segmented_radix_sort_warp_sort_medium_config_static_selectorELNS0_4arch9wavefront6targetE1EEEvSK_ ; -- Begin function _ZN7rocprim17ROCPRIM_400000_NS6detail17trampoline_kernelINS0_14default_configENS1_36segmented_radix_sort_config_selectorIilEEZNS1_25segmented_radix_sort_implIS3_Lb0EPKiPiPKlPlN2at6native12_GLOBAL__N_18offset_tEEE10hipError_tPvRmT1_PNSt15iterator_traitsISK_E10value_typeET2_T3_PNSL_ISQ_E10value_typeET4_jRbjT5_SW_jjP12ihipStream_tbEUlT_E0_NS1_11comp_targetILNS1_3genE8ELNS1_11target_archE1030ELNS1_3gpuE2ELNS1_3repE0EEENS1_60segmented_radix_sort_warp_sort_medium_config_static_selectorELNS0_4arch9wavefront6targetE1EEEvSK_
	.p2align	8
	.type	_ZN7rocprim17ROCPRIM_400000_NS6detail17trampoline_kernelINS0_14default_configENS1_36segmented_radix_sort_config_selectorIilEEZNS1_25segmented_radix_sort_implIS3_Lb0EPKiPiPKlPlN2at6native12_GLOBAL__N_18offset_tEEE10hipError_tPvRmT1_PNSt15iterator_traitsISK_E10value_typeET2_T3_PNSL_ISQ_E10value_typeET4_jRbjT5_SW_jjP12ihipStream_tbEUlT_E0_NS1_11comp_targetILNS1_3genE8ELNS1_11target_archE1030ELNS1_3gpuE2ELNS1_3repE0EEENS1_60segmented_radix_sort_warp_sort_medium_config_static_selectorELNS0_4arch9wavefront6targetE1EEEvSK_,@function
_ZN7rocprim17ROCPRIM_400000_NS6detail17trampoline_kernelINS0_14default_configENS1_36segmented_radix_sort_config_selectorIilEEZNS1_25segmented_radix_sort_implIS3_Lb0EPKiPiPKlPlN2at6native12_GLOBAL__N_18offset_tEEE10hipError_tPvRmT1_PNSt15iterator_traitsISK_E10value_typeET2_T3_PNSL_ISQ_E10value_typeET4_jRbjT5_SW_jjP12ihipStream_tbEUlT_E0_NS1_11comp_targetILNS1_3genE8ELNS1_11target_archE1030ELNS1_3gpuE2ELNS1_3repE0EEENS1_60segmented_radix_sort_warp_sort_medium_config_static_selectorELNS0_4arch9wavefront6targetE1EEEvSK_: ; @_ZN7rocprim17ROCPRIM_400000_NS6detail17trampoline_kernelINS0_14default_configENS1_36segmented_radix_sort_config_selectorIilEEZNS1_25segmented_radix_sort_implIS3_Lb0EPKiPiPKlPlN2at6native12_GLOBAL__N_18offset_tEEE10hipError_tPvRmT1_PNSt15iterator_traitsISK_E10value_typeET2_T3_PNSL_ISQ_E10value_typeET4_jRbjT5_SW_jjP12ihipStream_tbEUlT_E0_NS1_11comp_targetILNS1_3genE8ELNS1_11target_archE1030ELNS1_3gpuE2ELNS1_3repE0EEENS1_60segmented_radix_sort_warp_sort_medium_config_static_selectorELNS0_4arch9wavefront6targetE1EEEvSK_
; %bb.0:
	.section	.rodata,"a",@progbits
	.p2align	6, 0x0
	.amdhsa_kernel _ZN7rocprim17ROCPRIM_400000_NS6detail17trampoline_kernelINS0_14default_configENS1_36segmented_radix_sort_config_selectorIilEEZNS1_25segmented_radix_sort_implIS3_Lb0EPKiPiPKlPlN2at6native12_GLOBAL__N_18offset_tEEE10hipError_tPvRmT1_PNSt15iterator_traitsISK_E10value_typeET2_T3_PNSL_ISQ_E10value_typeET4_jRbjT5_SW_jjP12ihipStream_tbEUlT_E0_NS1_11comp_targetILNS1_3genE8ELNS1_11target_archE1030ELNS1_3gpuE2ELNS1_3repE0EEENS1_60segmented_radix_sort_warp_sort_medium_config_static_selectorELNS0_4arch9wavefront6targetE1EEEvSK_
		.amdhsa_group_segment_fixed_size 0
		.amdhsa_private_segment_fixed_size 0
		.amdhsa_kernarg_size 88
		.amdhsa_user_sgpr_count 6
		.amdhsa_user_sgpr_private_segment_buffer 1
		.amdhsa_user_sgpr_dispatch_ptr 0
		.amdhsa_user_sgpr_queue_ptr 0
		.amdhsa_user_sgpr_kernarg_segment_ptr 1
		.amdhsa_user_sgpr_dispatch_id 0
		.amdhsa_user_sgpr_flat_scratch_init 0
		.amdhsa_user_sgpr_kernarg_preload_length 0
		.amdhsa_user_sgpr_kernarg_preload_offset 0
		.amdhsa_user_sgpr_private_segment_size 0
		.amdhsa_uses_dynamic_stack 0
		.amdhsa_system_sgpr_private_segment_wavefront_offset 0
		.amdhsa_system_sgpr_workgroup_id_x 1
		.amdhsa_system_sgpr_workgroup_id_y 0
		.amdhsa_system_sgpr_workgroup_id_z 0
		.amdhsa_system_sgpr_workgroup_info 0
		.amdhsa_system_vgpr_workitem_id 0
		.amdhsa_next_free_vgpr 1
		.amdhsa_next_free_sgpr 0
		.amdhsa_accum_offset 4
		.amdhsa_reserve_vcc 0
		.amdhsa_reserve_flat_scratch 0
		.amdhsa_float_round_mode_32 0
		.amdhsa_float_round_mode_16_64 0
		.amdhsa_float_denorm_mode_32 3
		.amdhsa_float_denorm_mode_16_64 3
		.amdhsa_dx10_clamp 1
		.amdhsa_ieee_mode 1
		.amdhsa_fp16_overflow 0
		.amdhsa_tg_split 0
		.amdhsa_exception_fp_ieee_invalid_op 0
		.amdhsa_exception_fp_denorm_src 0
		.amdhsa_exception_fp_ieee_div_zero 0
		.amdhsa_exception_fp_ieee_overflow 0
		.amdhsa_exception_fp_ieee_underflow 0
		.amdhsa_exception_fp_ieee_inexact 0
		.amdhsa_exception_int_div_zero 0
	.end_amdhsa_kernel
	.section	.text._ZN7rocprim17ROCPRIM_400000_NS6detail17trampoline_kernelINS0_14default_configENS1_36segmented_radix_sort_config_selectorIilEEZNS1_25segmented_radix_sort_implIS3_Lb0EPKiPiPKlPlN2at6native12_GLOBAL__N_18offset_tEEE10hipError_tPvRmT1_PNSt15iterator_traitsISK_E10value_typeET2_T3_PNSL_ISQ_E10value_typeET4_jRbjT5_SW_jjP12ihipStream_tbEUlT_E0_NS1_11comp_targetILNS1_3genE8ELNS1_11target_archE1030ELNS1_3gpuE2ELNS1_3repE0EEENS1_60segmented_radix_sort_warp_sort_medium_config_static_selectorELNS0_4arch9wavefront6targetE1EEEvSK_,"axG",@progbits,_ZN7rocprim17ROCPRIM_400000_NS6detail17trampoline_kernelINS0_14default_configENS1_36segmented_radix_sort_config_selectorIilEEZNS1_25segmented_radix_sort_implIS3_Lb0EPKiPiPKlPlN2at6native12_GLOBAL__N_18offset_tEEE10hipError_tPvRmT1_PNSt15iterator_traitsISK_E10value_typeET2_T3_PNSL_ISQ_E10value_typeET4_jRbjT5_SW_jjP12ihipStream_tbEUlT_E0_NS1_11comp_targetILNS1_3genE8ELNS1_11target_archE1030ELNS1_3gpuE2ELNS1_3repE0EEENS1_60segmented_radix_sort_warp_sort_medium_config_static_selectorELNS0_4arch9wavefront6targetE1EEEvSK_,comdat
.Lfunc_end619:
	.size	_ZN7rocprim17ROCPRIM_400000_NS6detail17trampoline_kernelINS0_14default_configENS1_36segmented_radix_sort_config_selectorIilEEZNS1_25segmented_radix_sort_implIS3_Lb0EPKiPiPKlPlN2at6native12_GLOBAL__N_18offset_tEEE10hipError_tPvRmT1_PNSt15iterator_traitsISK_E10value_typeET2_T3_PNSL_ISQ_E10value_typeET4_jRbjT5_SW_jjP12ihipStream_tbEUlT_E0_NS1_11comp_targetILNS1_3genE8ELNS1_11target_archE1030ELNS1_3gpuE2ELNS1_3repE0EEENS1_60segmented_radix_sort_warp_sort_medium_config_static_selectorELNS0_4arch9wavefront6targetE1EEEvSK_, .Lfunc_end619-_ZN7rocprim17ROCPRIM_400000_NS6detail17trampoline_kernelINS0_14default_configENS1_36segmented_radix_sort_config_selectorIilEEZNS1_25segmented_radix_sort_implIS3_Lb0EPKiPiPKlPlN2at6native12_GLOBAL__N_18offset_tEEE10hipError_tPvRmT1_PNSt15iterator_traitsISK_E10value_typeET2_T3_PNSL_ISQ_E10value_typeET4_jRbjT5_SW_jjP12ihipStream_tbEUlT_E0_NS1_11comp_targetILNS1_3genE8ELNS1_11target_archE1030ELNS1_3gpuE2ELNS1_3repE0EEENS1_60segmented_radix_sort_warp_sort_medium_config_static_selectorELNS0_4arch9wavefront6targetE1EEEvSK_
                                        ; -- End function
	.section	.AMDGPU.csdata,"",@progbits
; Kernel info:
; codeLenInByte = 0
; NumSgprs: 4
; NumVgprs: 0
; NumAgprs: 0
; TotalNumVgprs: 0
; ScratchSize: 0
; MemoryBound: 0
; FloatMode: 240
; IeeeMode: 1
; LDSByteSize: 0 bytes/workgroup (compile time only)
; SGPRBlocks: 0
; VGPRBlocks: 0
; NumSGPRsForWavesPerEU: 4
; NumVGPRsForWavesPerEU: 1
; AccumOffset: 4
; Occupancy: 8
; WaveLimiterHint : 0
; COMPUTE_PGM_RSRC2:SCRATCH_EN: 0
; COMPUTE_PGM_RSRC2:USER_SGPR: 6
; COMPUTE_PGM_RSRC2:TRAP_HANDLER: 0
; COMPUTE_PGM_RSRC2:TGID_X_EN: 1
; COMPUTE_PGM_RSRC2:TGID_Y_EN: 0
; COMPUTE_PGM_RSRC2:TGID_Z_EN: 0
; COMPUTE_PGM_RSRC2:TIDIG_COMP_CNT: 0
; COMPUTE_PGM_RSRC3_GFX90A:ACCUM_OFFSET: 0
; COMPUTE_PGM_RSRC3_GFX90A:TG_SPLIT: 0
	.section	.text._ZN7rocprim17ROCPRIM_400000_NS6detail17trampoline_kernelINS0_14default_configENS1_36segmented_radix_sort_config_selectorIilEEZNS1_25segmented_radix_sort_implIS3_Lb0EPKiPiPKlPlN2at6native12_GLOBAL__N_18offset_tEEE10hipError_tPvRmT1_PNSt15iterator_traitsISK_E10value_typeET2_T3_PNSL_ISQ_E10value_typeET4_jRbjT5_SW_jjP12ihipStream_tbEUlT_E1_NS1_11comp_targetILNS1_3genE0ELNS1_11target_archE4294967295ELNS1_3gpuE0ELNS1_3repE0EEENS1_59segmented_radix_sort_warp_sort_small_config_static_selectorELNS0_4arch9wavefront6targetE1EEEvSK_,"axG",@progbits,_ZN7rocprim17ROCPRIM_400000_NS6detail17trampoline_kernelINS0_14default_configENS1_36segmented_radix_sort_config_selectorIilEEZNS1_25segmented_radix_sort_implIS3_Lb0EPKiPiPKlPlN2at6native12_GLOBAL__N_18offset_tEEE10hipError_tPvRmT1_PNSt15iterator_traitsISK_E10value_typeET2_T3_PNSL_ISQ_E10value_typeET4_jRbjT5_SW_jjP12ihipStream_tbEUlT_E1_NS1_11comp_targetILNS1_3genE0ELNS1_11target_archE4294967295ELNS1_3gpuE0ELNS1_3repE0EEENS1_59segmented_radix_sort_warp_sort_small_config_static_selectorELNS0_4arch9wavefront6targetE1EEEvSK_,comdat
	.globl	_ZN7rocprim17ROCPRIM_400000_NS6detail17trampoline_kernelINS0_14default_configENS1_36segmented_radix_sort_config_selectorIilEEZNS1_25segmented_radix_sort_implIS3_Lb0EPKiPiPKlPlN2at6native12_GLOBAL__N_18offset_tEEE10hipError_tPvRmT1_PNSt15iterator_traitsISK_E10value_typeET2_T3_PNSL_ISQ_E10value_typeET4_jRbjT5_SW_jjP12ihipStream_tbEUlT_E1_NS1_11comp_targetILNS1_3genE0ELNS1_11target_archE4294967295ELNS1_3gpuE0ELNS1_3repE0EEENS1_59segmented_radix_sort_warp_sort_small_config_static_selectorELNS0_4arch9wavefront6targetE1EEEvSK_ ; -- Begin function _ZN7rocprim17ROCPRIM_400000_NS6detail17trampoline_kernelINS0_14default_configENS1_36segmented_radix_sort_config_selectorIilEEZNS1_25segmented_radix_sort_implIS3_Lb0EPKiPiPKlPlN2at6native12_GLOBAL__N_18offset_tEEE10hipError_tPvRmT1_PNSt15iterator_traitsISK_E10value_typeET2_T3_PNSL_ISQ_E10value_typeET4_jRbjT5_SW_jjP12ihipStream_tbEUlT_E1_NS1_11comp_targetILNS1_3genE0ELNS1_11target_archE4294967295ELNS1_3gpuE0ELNS1_3repE0EEENS1_59segmented_radix_sort_warp_sort_small_config_static_selectorELNS0_4arch9wavefront6targetE1EEEvSK_
	.p2align	8
	.type	_ZN7rocprim17ROCPRIM_400000_NS6detail17trampoline_kernelINS0_14default_configENS1_36segmented_radix_sort_config_selectorIilEEZNS1_25segmented_radix_sort_implIS3_Lb0EPKiPiPKlPlN2at6native12_GLOBAL__N_18offset_tEEE10hipError_tPvRmT1_PNSt15iterator_traitsISK_E10value_typeET2_T3_PNSL_ISQ_E10value_typeET4_jRbjT5_SW_jjP12ihipStream_tbEUlT_E1_NS1_11comp_targetILNS1_3genE0ELNS1_11target_archE4294967295ELNS1_3gpuE0ELNS1_3repE0EEENS1_59segmented_radix_sort_warp_sort_small_config_static_selectorELNS0_4arch9wavefront6targetE1EEEvSK_,@function
_ZN7rocprim17ROCPRIM_400000_NS6detail17trampoline_kernelINS0_14default_configENS1_36segmented_radix_sort_config_selectorIilEEZNS1_25segmented_radix_sort_implIS3_Lb0EPKiPiPKlPlN2at6native12_GLOBAL__N_18offset_tEEE10hipError_tPvRmT1_PNSt15iterator_traitsISK_E10value_typeET2_T3_PNSL_ISQ_E10value_typeET4_jRbjT5_SW_jjP12ihipStream_tbEUlT_E1_NS1_11comp_targetILNS1_3genE0ELNS1_11target_archE4294967295ELNS1_3gpuE0ELNS1_3repE0EEENS1_59segmented_radix_sort_warp_sort_small_config_static_selectorELNS0_4arch9wavefront6targetE1EEEvSK_: ; @_ZN7rocprim17ROCPRIM_400000_NS6detail17trampoline_kernelINS0_14default_configENS1_36segmented_radix_sort_config_selectorIilEEZNS1_25segmented_radix_sort_implIS3_Lb0EPKiPiPKlPlN2at6native12_GLOBAL__N_18offset_tEEE10hipError_tPvRmT1_PNSt15iterator_traitsISK_E10value_typeET2_T3_PNSL_ISQ_E10value_typeET4_jRbjT5_SW_jjP12ihipStream_tbEUlT_E1_NS1_11comp_targetILNS1_3genE0ELNS1_11target_archE4294967295ELNS1_3gpuE0ELNS1_3repE0EEENS1_59segmented_radix_sort_warp_sort_small_config_static_selectorELNS0_4arch9wavefront6targetE1EEEvSK_
; %bb.0:
	.section	.rodata,"a",@progbits
	.p2align	6, 0x0
	.amdhsa_kernel _ZN7rocprim17ROCPRIM_400000_NS6detail17trampoline_kernelINS0_14default_configENS1_36segmented_radix_sort_config_selectorIilEEZNS1_25segmented_radix_sort_implIS3_Lb0EPKiPiPKlPlN2at6native12_GLOBAL__N_18offset_tEEE10hipError_tPvRmT1_PNSt15iterator_traitsISK_E10value_typeET2_T3_PNSL_ISQ_E10value_typeET4_jRbjT5_SW_jjP12ihipStream_tbEUlT_E1_NS1_11comp_targetILNS1_3genE0ELNS1_11target_archE4294967295ELNS1_3gpuE0ELNS1_3repE0EEENS1_59segmented_radix_sort_warp_sort_small_config_static_selectorELNS0_4arch9wavefront6targetE1EEEvSK_
		.amdhsa_group_segment_fixed_size 0
		.amdhsa_private_segment_fixed_size 0
		.amdhsa_kernarg_size 88
		.amdhsa_user_sgpr_count 6
		.amdhsa_user_sgpr_private_segment_buffer 1
		.amdhsa_user_sgpr_dispatch_ptr 0
		.amdhsa_user_sgpr_queue_ptr 0
		.amdhsa_user_sgpr_kernarg_segment_ptr 1
		.amdhsa_user_sgpr_dispatch_id 0
		.amdhsa_user_sgpr_flat_scratch_init 0
		.amdhsa_user_sgpr_kernarg_preload_length 0
		.amdhsa_user_sgpr_kernarg_preload_offset 0
		.amdhsa_user_sgpr_private_segment_size 0
		.amdhsa_uses_dynamic_stack 0
		.amdhsa_system_sgpr_private_segment_wavefront_offset 0
		.amdhsa_system_sgpr_workgroup_id_x 1
		.amdhsa_system_sgpr_workgroup_id_y 0
		.amdhsa_system_sgpr_workgroup_id_z 0
		.amdhsa_system_sgpr_workgroup_info 0
		.amdhsa_system_vgpr_workitem_id 0
		.amdhsa_next_free_vgpr 1
		.amdhsa_next_free_sgpr 0
		.amdhsa_accum_offset 4
		.amdhsa_reserve_vcc 0
		.amdhsa_reserve_flat_scratch 0
		.amdhsa_float_round_mode_32 0
		.amdhsa_float_round_mode_16_64 0
		.amdhsa_float_denorm_mode_32 3
		.amdhsa_float_denorm_mode_16_64 3
		.amdhsa_dx10_clamp 1
		.amdhsa_ieee_mode 1
		.amdhsa_fp16_overflow 0
		.amdhsa_tg_split 0
		.amdhsa_exception_fp_ieee_invalid_op 0
		.amdhsa_exception_fp_denorm_src 0
		.amdhsa_exception_fp_ieee_div_zero 0
		.amdhsa_exception_fp_ieee_overflow 0
		.amdhsa_exception_fp_ieee_underflow 0
		.amdhsa_exception_fp_ieee_inexact 0
		.amdhsa_exception_int_div_zero 0
	.end_amdhsa_kernel
	.section	.text._ZN7rocprim17ROCPRIM_400000_NS6detail17trampoline_kernelINS0_14default_configENS1_36segmented_radix_sort_config_selectorIilEEZNS1_25segmented_radix_sort_implIS3_Lb0EPKiPiPKlPlN2at6native12_GLOBAL__N_18offset_tEEE10hipError_tPvRmT1_PNSt15iterator_traitsISK_E10value_typeET2_T3_PNSL_ISQ_E10value_typeET4_jRbjT5_SW_jjP12ihipStream_tbEUlT_E1_NS1_11comp_targetILNS1_3genE0ELNS1_11target_archE4294967295ELNS1_3gpuE0ELNS1_3repE0EEENS1_59segmented_radix_sort_warp_sort_small_config_static_selectorELNS0_4arch9wavefront6targetE1EEEvSK_,"axG",@progbits,_ZN7rocprim17ROCPRIM_400000_NS6detail17trampoline_kernelINS0_14default_configENS1_36segmented_radix_sort_config_selectorIilEEZNS1_25segmented_radix_sort_implIS3_Lb0EPKiPiPKlPlN2at6native12_GLOBAL__N_18offset_tEEE10hipError_tPvRmT1_PNSt15iterator_traitsISK_E10value_typeET2_T3_PNSL_ISQ_E10value_typeET4_jRbjT5_SW_jjP12ihipStream_tbEUlT_E1_NS1_11comp_targetILNS1_3genE0ELNS1_11target_archE4294967295ELNS1_3gpuE0ELNS1_3repE0EEENS1_59segmented_radix_sort_warp_sort_small_config_static_selectorELNS0_4arch9wavefront6targetE1EEEvSK_,comdat
.Lfunc_end620:
	.size	_ZN7rocprim17ROCPRIM_400000_NS6detail17trampoline_kernelINS0_14default_configENS1_36segmented_radix_sort_config_selectorIilEEZNS1_25segmented_radix_sort_implIS3_Lb0EPKiPiPKlPlN2at6native12_GLOBAL__N_18offset_tEEE10hipError_tPvRmT1_PNSt15iterator_traitsISK_E10value_typeET2_T3_PNSL_ISQ_E10value_typeET4_jRbjT5_SW_jjP12ihipStream_tbEUlT_E1_NS1_11comp_targetILNS1_3genE0ELNS1_11target_archE4294967295ELNS1_3gpuE0ELNS1_3repE0EEENS1_59segmented_radix_sort_warp_sort_small_config_static_selectorELNS0_4arch9wavefront6targetE1EEEvSK_, .Lfunc_end620-_ZN7rocprim17ROCPRIM_400000_NS6detail17trampoline_kernelINS0_14default_configENS1_36segmented_radix_sort_config_selectorIilEEZNS1_25segmented_radix_sort_implIS3_Lb0EPKiPiPKlPlN2at6native12_GLOBAL__N_18offset_tEEE10hipError_tPvRmT1_PNSt15iterator_traitsISK_E10value_typeET2_T3_PNSL_ISQ_E10value_typeET4_jRbjT5_SW_jjP12ihipStream_tbEUlT_E1_NS1_11comp_targetILNS1_3genE0ELNS1_11target_archE4294967295ELNS1_3gpuE0ELNS1_3repE0EEENS1_59segmented_radix_sort_warp_sort_small_config_static_selectorELNS0_4arch9wavefront6targetE1EEEvSK_
                                        ; -- End function
	.section	.AMDGPU.csdata,"",@progbits
; Kernel info:
; codeLenInByte = 0
; NumSgprs: 4
; NumVgprs: 0
; NumAgprs: 0
; TotalNumVgprs: 0
; ScratchSize: 0
; MemoryBound: 0
; FloatMode: 240
; IeeeMode: 1
; LDSByteSize: 0 bytes/workgroup (compile time only)
; SGPRBlocks: 0
; VGPRBlocks: 0
; NumSGPRsForWavesPerEU: 4
; NumVGPRsForWavesPerEU: 1
; AccumOffset: 4
; Occupancy: 8
; WaveLimiterHint : 0
; COMPUTE_PGM_RSRC2:SCRATCH_EN: 0
; COMPUTE_PGM_RSRC2:USER_SGPR: 6
; COMPUTE_PGM_RSRC2:TRAP_HANDLER: 0
; COMPUTE_PGM_RSRC2:TGID_X_EN: 1
; COMPUTE_PGM_RSRC2:TGID_Y_EN: 0
; COMPUTE_PGM_RSRC2:TGID_Z_EN: 0
; COMPUTE_PGM_RSRC2:TIDIG_COMP_CNT: 0
; COMPUTE_PGM_RSRC3_GFX90A:ACCUM_OFFSET: 0
; COMPUTE_PGM_RSRC3_GFX90A:TG_SPLIT: 0
	.section	.text._ZN7rocprim17ROCPRIM_400000_NS6detail17trampoline_kernelINS0_14default_configENS1_36segmented_radix_sort_config_selectorIilEEZNS1_25segmented_radix_sort_implIS3_Lb0EPKiPiPKlPlN2at6native12_GLOBAL__N_18offset_tEEE10hipError_tPvRmT1_PNSt15iterator_traitsISK_E10value_typeET2_T3_PNSL_ISQ_E10value_typeET4_jRbjT5_SW_jjP12ihipStream_tbEUlT_E1_NS1_11comp_targetILNS1_3genE5ELNS1_11target_archE942ELNS1_3gpuE9ELNS1_3repE0EEENS1_59segmented_radix_sort_warp_sort_small_config_static_selectorELNS0_4arch9wavefront6targetE1EEEvSK_,"axG",@progbits,_ZN7rocprim17ROCPRIM_400000_NS6detail17trampoline_kernelINS0_14default_configENS1_36segmented_radix_sort_config_selectorIilEEZNS1_25segmented_radix_sort_implIS3_Lb0EPKiPiPKlPlN2at6native12_GLOBAL__N_18offset_tEEE10hipError_tPvRmT1_PNSt15iterator_traitsISK_E10value_typeET2_T3_PNSL_ISQ_E10value_typeET4_jRbjT5_SW_jjP12ihipStream_tbEUlT_E1_NS1_11comp_targetILNS1_3genE5ELNS1_11target_archE942ELNS1_3gpuE9ELNS1_3repE0EEENS1_59segmented_radix_sort_warp_sort_small_config_static_selectorELNS0_4arch9wavefront6targetE1EEEvSK_,comdat
	.globl	_ZN7rocprim17ROCPRIM_400000_NS6detail17trampoline_kernelINS0_14default_configENS1_36segmented_radix_sort_config_selectorIilEEZNS1_25segmented_radix_sort_implIS3_Lb0EPKiPiPKlPlN2at6native12_GLOBAL__N_18offset_tEEE10hipError_tPvRmT1_PNSt15iterator_traitsISK_E10value_typeET2_T3_PNSL_ISQ_E10value_typeET4_jRbjT5_SW_jjP12ihipStream_tbEUlT_E1_NS1_11comp_targetILNS1_3genE5ELNS1_11target_archE942ELNS1_3gpuE9ELNS1_3repE0EEENS1_59segmented_radix_sort_warp_sort_small_config_static_selectorELNS0_4arch9wavefront6targetE1EEEvSK_ ; -- Begin function _ZN7rocprim17ROCPRIM_400000_NS6detail17trampoline_kernelINS0_14default_configENS1_36segmented_radix_sort_config_selectorIilEEZNS1_25segmented_radix_sort_implIS3_Lb0EPKiPiPKlPlN2at6native12_GLOBAL__N_18offset_tEEE10hipError_tPvRmT1_PNSt15iterator_traitsISK_E10value_typeET2_T3_PNSL_ISQ_E10value_typeET4_jRbjT5_SW_jjP12ihipStream_tbEUlT_E1_NS1_11comp_targetILNS1_3genE5ELNS1_11target_archE942ELNS1_3gpuE9ELNS1_3repE0EEENS1_59segmented_radix_sort_warp_sort_small_config_static_selectorELNS0_4arch9wavefront6targetE1EEEvSK_
	.p2align	8
	.type	_ZN7rocprim17ROCPRIM_400000_NS6detail17trampoline_kernelINS0_14default_configENS1_36segmented_radix_sort_config_selectorIilEEZNS1_25segmented_radix_sort_implIS3_Lb0EPKiPiPKlPlN2at6native12_GLOBAL__N_18offset_tEEE10hipError_tPvRmT1_PNSt15iterator_traitsISK_E10value_typeET2_T3_PNSL_ISQ_E10value_typeET4_jRbjT5_SW_jjP12ihipStream_tbEUlT_E1_NS1_11comp_targetILNS1_3genE5ELNS1_11target_archE942ELNS1_3gpuE9ELNS1_3repE0EEENS1_59segmented_radix_sort_warp_sort_small_config_static_selectorELNS0_4arch9wavefront6targetE1EEEvSK_,@function
_ZN7rocprim17ROCPRIM_400000_NS6detail17trampoline_kernelINS0_14default_configENS1_36segmented_radix_sort_config_selectorIilEEZNS1_25segmented_radix_sort_implIS3_Lb0EPKiPiPKlPlN2at6native12_GLOBAL__N_18offset_tEEE10hipError_tPvRmT1_PNSt15iterator_traitsISK_E10value_typeET2_T3_PNSL_ISQ_E10value_typeET4_jRbjT5_SW_jjP12ihipStream_tbEUlT_E1_NS1_11comp_targetILNS1_3genE5ELNS1_11target_archE942ELNS1_3gpuE9ELNS1_3repE0EEENS1_59segmented_radix_sort_warp_sort_small_config_static_selectorELNS0_4arch9wavefront6targetE1EEEvSK_: ; @_ZN7rocprim17ROCPRIM_400000_NS6detail17trampoline_kernelINS0_14default_configENS1_36segmented_radix_sort_config_selectorIilEEZNS1_25segmented_radix_sort_implIS3_Lb0EPKiPiPKlPlN2at6native12_GLOBAL__N_18offset_tEEE10hipError_tPvRmT1_PNSt15iterator_traitsISK_E10value_typeET2_T3_PNSL_ISQ_E10value_typeET4_jRbjT5_SW_jjP12ihipStream_tbEUlT_E1_NS1_11comp_targetILNS1_3genE5ELNS1_11target_archE942ELNS1_3gpuE9ELNS1_3repE0EEENS1_59segmented_radix_sort_warp_sort_small_config_static_selectorELNS0_4arch9wavefront6targetE1EEEvSK_
; %bb.0:
	.section	.rodata,"a",@progbits
	.p2align	6, 0x0
	.amdhsa_kernel _ZN7rocprim17ROCPRIM_400000_NS6detail17trampoline_kernelINS0_14default_configENS1_36segmented_radix_sort_config_selectorIilEEZNS1_25segmented_radix_sort_implIS3_Lb0EPKiPiPKlPlN2at6native12_GLOBAL__N_18offset_tEEE10hipError_tPvRmT1_PNSt15iterator_traitsISK_E10value_typeET2_T3_PNSL_ISQ_E10value_typeET4_jRbjT5_SW_jjP12ihipStream_tbEUlT_E1_NS1_11comp_targetILNS1_3genE5ELNS1_11target_archE942ELNS1_3gpuE9ELNS1_3repE0EEENS1_59segmented_radix_sort_warp_sort_small_config_static_selectorELNS0_4arch9wavefront6targetE1EEEvSK_
		.amdhsa_group_segment_fixed_size 0
		.amdhsa_private_segment_fixed_size 0
		.amdhsa_kernarg_size 88
		.amdhsa_user_sgpr_count 6
		.amdhsa_user_sgpr_private_segment_buffer 1
		.amdhsa_user_sgpr_dispatch_ptr 0
		.amdhsa_user_sgpr_queue_ptr 0
		.amdhsa_user_sgpr_kernarg_segment_ptr 1
		.amdhsa_user_sgpr_dispatch_id 0
		.amdhsa_user_sgpr_flat_scratch_init 0
		.amdhsa_user_sgpr_kernarg_preload_length 0
		.amdhsa_user_sgpr_kernarg_preload_offset 0
		.amdhsa_user_sgpr_private_segment_size 0
		.amdhsa_uses_dynamic_stack 0
		.amdhsa_system_sgpr_private_segment_wavefront_offset 0
		.amdhsa_system_sgpr_workgroup_id_x 1
		.amdhsa_system_sgpr_workgroup_id_y 0
		.amdhsa_system_sgpr_workgroup_id_z 0
		.amdhsa_system_sgpr_workgroup_info 0
		.amdhsa_system_vgpr_workitem_id 0
		.amdhsa_next_free_vgpr 1
		.amdhsa_next_free_sgpr 0
		.amdhsa_accum_offset 4
		.amdhsa_reserve_vcc 0
		.amdhsa_reserve_flat_scratch 0
		.amdhsa_float_round_mode_32 0
		.amdhsa_float_round_mode_16_64 0
		.amdhsa_float_denorm_mode_32 3
		.amdhsa_float_denorm_mode_16_64 3
		.amdhsa_dx10_clamp 1
		.amdhsa_ieee_mode 1
		.amdhsa_fp16_overflow 0
		.amdhsa_tg_split 0
		.amdhsa_exception_fp_ieee_invalid_op 0
		.amdhsa_exception_fp_denorm_src 0
		.amdhsa_exception_fp_ieee_div_zero 0
		.amdhsa_exception_fp_ieee_overflow 0
		.amdhsa_exception_fp_ieee_underflow 0
		.amdhsa_exception_fp_ieee_inexact 0
		.amdhsa_exception_int_div_zero 0
	.end_amdhsa_kernel
	.section	.text._ZN7rocprim17ROCPRIM_400000_NS6detail17trampoline_kernelINS0_14default_configENS1_36segmented_radix_sort_config_selectorIilEEZNS1_25segmented_radix_sort_implIS3_Lb0EPKiPiPKlPlN2at6native12_GLOBAL__N_18offset_tEEE10hipError_tPvRmT1_PNSt15iterator_traitsISK_E10value_typeET2_T3_PNSL_ISQ_E10value_typeET4_jRbjT5_SW_jjP12ihipStream_tbEUlT_E1_NS1_11comp_targetILNS1_3genE5ELNS1_11target_archE942ELNS1_3gpuE9ELNS1_3repE0EEENS1_59segmented_radix_sort_warp_sort_small_config_static_selectorELNS0_4arch9wavefront6targetE1EEEvSK_,"axG",@progbits,_ZN7rocprim17ROCPRIM_400000_NS6detail17trampoline_kernelINS0_14default_configENS1_36segmented_radix_sort_config_selectorIilEEZNS1_25segmented_radix_sort_implIS3_Lb0EPKiPiPKlPlN2at6native12_GLOBAL__N_18offset_tEEE10hipError_tPvRmT1_PNSt15iterator_traitsISK_E10value_typeET2_T3_PNSL_ISQ_E10value_typeET4_jRbjT5_SW_jjP12ihipStream_tbEUlT_E1_NS1_11comp_targetILNS1_3genE5ELNS1_11target_archE942ELNS1_3gpuE9ELNS1_3repE0EEENS1_59segmented_radix_sort_warp_sort_small_config_static_selectorELNS0_4arch9wavefront6targetE1EEEvSK_,comdat
.Lfunc_end621:
	.size	_ZN7rocprim17ROCPRIM_400000_NS6detail17trampoline_kernelINS0_14default_configENS1_36segmented_radix_sort_config_selectorIilEEZNS1_25segmented_radix_sort_implIS3_Lb0EPKiPiPKlPlN2at6native12_GLOBAL__N_18offset_tEEE10hipError_tPvRmT1_PNSt15iterator_traitsISK_E10value_typeET2_T3_PNSL_ISQ_E10value_typeET4_jRbjT5_SW_jjP12ihipStream_tbEUlT_E1_NS1_11comp_targetILNS1_3genE5ELNS1_11target_archE942ELNS1_3gpuE9ELNS1_3repE0EEENS1_59segmented_radix_sort_warp_sort_small_config_static_selectorELNS0_4arch9wavefront6targetE1EEEvSK_, .Lfunc_end621-_ZN7rocprim17ROCPRIM_400000_NS6detail17trampoline_kernelINS0_14default_configENS1_36segmented_radix_sort_config_selectorIilEEZNS1_25segmented_radix_sort_implIS3_Lb0EPKiPiPKlPlN2at6native12_GLOBAL__N_18offset_tEEE10hipError_tPvRmT1_PNSt15iterator_traitsISK_E10value_typeET2_T3_PNSL_ISQ_E10value_typeET4_jRbjT5_SW_jjP12ihipStream_tbEUlT_E1_NS1_11comp_targetILNS1_3genE5ELNS1_11target_archE942ELNS1_3gpuE9ELNS1_3repE0EEENS1_59segmented_radix_sort_warp_sort_small_config_static_selectorELNS0_4arch9wavefront6targetE1EEEvSK_
                                        ; -- End function
	.section	.AMDGPU.csdata,"",@progbits
; Kernel info:
; codeLenInByte = 0
; NumSgprs: 4
; NumVgprs: 0
; NumAgprs: 0
; TotalNumVgprs: 0
; ScratchSize: 0
; MemoryBound: 0
; FloatMode: 240
; IeeeMode: 1
; LDSByteSize: 0 bytes/workgroup (compile time only)
; SGPRBlocks: 0
; VGPRBlocks: 0
; NumSGPRsForWavesPerEU: 4
; NumVGPRsForWavesPerEU: 1
; AccumOffset: 4
; Occupancy: 8
; WaveLimiterHint : 0
; COMPUTE_PGM_RSRC2:SCRATCH_EN: 0
; COMPUTE_PGM_RSRC2:USER_SGPR: 6
; COMPUTE_PGM_RSRC2:TRAP_HANDLER: 0
; COMPUTE_PGM_RSRC2:TGID_X_EN: 1
; COMPUTE_PGM_RSRC2:TGID_Y_EN: 0
; COMPUTE_PGM_RSRC2:TGID_Z_EN: 0
; COMPUTE_PGM_RSRC2:TIDIG_COMP_CNT: 0
; COMPUTE_PGM_RSRC3_GFX90A:ACCUM_OFFSET: 0
; COMPUTE_PGM_RSRC3_GFX90A:TG_SPLIT: 0
	.text
	.p2align	2                               ; -- Begin function _ZN7rocprim17ROCPRIM_400000_NS6detail26segmented_warp_sort_helperINS1_20WarpSortHelperConfigILj8ELj4ELj256EEEilLi256ELb0EvE4sortIPKiPiPKlPlEEvT_T0_T1_T2_jjjjRNS5_12storage_typeE
	.type	_ZN7rocprim17ROCPRIM_400000_NS6detail26segmented_warp_sort_helperINS1_20WarpSortHelperConfigILj8ELj4ELj256EEEilLi256ELb0EvE4sortIPKiPiPKlPlEEvT_T0_T1_T2_jjjjRNS5_12storage_typeE,@function
_ZN7rocprim17ROCPRIM_400000_NS6detail26segmented_warp_sort_helperINS1_20WarpSortHelperConfigILj8ELj4ELj256EEEilLi256ELb0EvE4sortIPKiPiPKlPlEEvT_T0_T1_T2_jjjjRNS5_12storage_typeE: ; @_ZN7rocprim17ROCPRIM_400000_NS6detail26segmented_warp_sort_helperINS1_20WarpSortHelperConfigILj8ELj4ELj256EEEilLi256ELb0EvE4sortIPKiPiPKlPlEEvT_T0_T1_T2_jjjjRNS5_12storage_typeE
; %bb.0:
	s_waitcnt vmcnt(0) expcnt(0) lgkmcnt(0)
	v_mbcnt_lo_u32_b32 v15, -1, 0
	v_sub_u32_e32 v14, v9, v8
	v_mov_b32_e32 v9, 0
	v_mbcnt_hi_u32_b32 v15, -1, v15
	v_lshlrev_b64 v[84:85], 2, v[8:9]
	v_lshlrev_b32_e32 v97, 2, v15
	v_add_co_u32_e32 v0, vcc, v0, v84
	v_and_b32_e32 v98, 28, v97
	v_addc_co_u32_e32 v1, vcc, v1, v85, vcc
	v_lshlrev_b32_e32 v30, 2, v98
	v_add_co_u32_e32 v0, vcc, v0, v30
	v_addc_co_u32_e32 v1, vcc, 0, v1, vcc
	v_cmp_lt_u32_e64 s[4:5], v98, v14
	v_bfrev_b32_e32 v81, -2
	v_bfrev_b32_e32 v80, -2
	s_and_saveexec_b64 s[6:7], s[4:5]
	s_cbranch_execz .LBB622_2
; %bb.1:
	flat_load_dword v80, v[0:1]
.LBB622_2:
	s_or_b64 exec, exec, s[6:7]
	v_or_b32_e32 v15, 1, v98
	v_cmp_lt_u32_e64 s[6:7], v15, v14
	s_and_saveexec_b64 s[10:11], s[6:7]
	s_cbranch_execz .LBB622_4
; %bb.3:
	flat_load_dword v81, v[0:1] offset:4
.LBB622_4:
	s_or_b64 exec, exec, s[10:11]
	v_or_b32_e32 v15, 2, v98
	v_cmp_lt_u32_e64 s[16:17], v15, v14
	v_bfrev_b32_e32 v83, -2
	v_bfrev_b32_e32 v82, -2
	s_and_saveexec_b64 s[10:11], s[16:17]
	s_cbranch_execz .LBB622_6
; %bb.5:
	flat_load_dword v82, v[0:1] offset:8
.LBB622_6:
	s_or_b64 exec, exec, s[10:11]
	v_or_b32_e32 v15, 3, v98
	v_cmp_lt_u32_e64 s[10:11], v15, v14
	s_and_saveexec_b64 s[14:15], s[10:11]
	s_cbranch_execz .LBB622_8
; %bb.7:
	flat_load_dword v83, v[0:1] offset:12
.LBB622_8:
	s_or_b64 exec, exec, s[14:15]
	v_lshlrev_b64 v[86:87], 3, v[8:9]
	v_add_co_u32_e32 v0, vcc, v4, v86
	v_addc_co_u32_e32 v1, vcc, v5, v87, vcc
	v_lshlrev_b32_e32 v96, 3, v98
	v_add_co_u32_e32 v0, vcc, v0, v96
	v_addc_co_u32_e32 v1, vcc, 0, v1, vcc
	; wave barrier
                                        ; implicit-def: $vgpr14_vgpr15
	s_and_saveexec_b64 s[14:15], s[4:5]
	s_cbranch_execz .LBB622_10
; %bb.9:
	flat_load_dwordx2 v[14:15], v[0:1]
.LBB622_10:
	s_or_b64 exec, exec, s[14:15]
	s_and_saveexec_b64 s[14:15], s[6:7]
                                        ; implicit-def: $vgpr32_vgpr33_vgpr34_vgpr35_vgpr36_vgpr37_vgpr38_vgpr39
                                        ; implicit-def: $vgpr22_vgpr23_vgpr24_vgpr25_vgpr26_vgpr27_vgpr28_vgpr29
	s_cbranch_execz .LBB622_98
; %bb.11:
	flat_load_dwordx2 v[16:17], v[0:1] offset:8
                                        ; implicit-def: $vgpr32_vgpr33_vgpr34_vgpr35_vgpr36_vgpr37_vgpr38_vgpr39
                                        ; implicit-def: $vgpr22_vgpr23_vgpr24_vgpr25_vgpr26_vgpr27_vgpr28_vgpr29
	s_or_b64 exec, exec, s[14:15]
                                        ; implicit-def: $vgpr18_vgpr19
	s_and_saveexec_b64 s[14:15], s[16:17]
	s_cbranch_execnz .LBB622_99
.LBB622_12:
	s_or_b64 exec, exec, s[14:15]
	s_and_saveexec_b64 s[14:15], s[10:11]
	s_cbranch_execz .LBB622_14
.LBB622_13:
	flat_load_dwordx2 v[28:29], v[0:1] offset:24
	s_waitcnt vmcnt(0) lgkmcnt(0)
	v_pk_mov_b32 v[20:21], v[28:29], v[28:29] op_sel:[0,1]
.LBB622_14:
	s_or_b64 exec, exec, s[14:15]
	v_cmp_ne_u32_e32 vcc, 0, v10
	v_cmp_ne_u32_e64 s[14:15], 32, v11
	s_or_b64 s[14:15], vcc, s[14:15]
	v_bfe_u32 v0, v31, 10, 10
	v_bfe_u32 v4, v31, 20, 10
	; wave barrier
	s_and_saveexec_b64 s[18:19], s[14:15]
	s_xor_b64 s[26:27], exec, s[18:19]
	s_cbranch_execz .LBB622_58
; %bb.15:
	s_load_dwordx2 s[14:15], s[8:9], 0x0
	v_mov_b32_e32 v1, 0
	v_lshlrev_b32_e64 v9, v10, -1
	s_waitcnt vmcnt(0) lgkmcnt(0)
	v_mov_b32_e32 v10, v82
	s_cmp_lt_u32 s12, s14
	s_cselect_b32 s18, 12, 18
	s_cmp_lt_u32 s13, s15
	s_cselect_b32 s14, 14, 20
	s_add_u32 s14, s8, s14
	s_addc_u32 s15, s9, 0
	s_add_u32 s18, s8, s18
	s_addc_u32 s19, s9, 0
	global_load_ushort v5, v1, s[14:15]
	global_load_ushort v8, v1, s[18:19]
	v_lshlrev_b32_e64 v1, v11, -1
	v_and_b32_e32 v11, 0x3ff, v31
	s_movk_i32 s14, 0x400
	v_xor_b32_e32 v31, v1, v9
	s_waitcnt vmcnt(1)
	v_mad_u32_u24 v0, v4, v5, v0
	s_waitcnt vmcnt(0)
	v_mul_lo_u32 v0, v0, v8
	v_add_lshl_u32 v32, v0, v11, 2
	v_cmp_gt_u32_e32 vcc, s14, v32
	v_mov_b32_e32 v11, v81
	s_and_saveexec_b64 s[18:19], vcc
	s_cbranch_execz .LBB622_27
; %bb.16:
	v_and_b32_e32 v0, v81, v31
	v_and_b32_e32 v1, v80, v31
	v_cmp_gt_u32_e32 vcc, v1, v0
	v_and_b32_e32 v9, v83, v31
	v_and_b32_e32 v11, v82, v31
	v_cndmask_b32_e32 v5, v17, v15, vcc
	v_cndmask_b32_e32 v4, v16, v14, vcc
	;; [unrolled: 1-line block ×4, first 2 shown]
	v_cmp_gt_u32_e64 s[14:15], v11, v9
	v_mov_b32_e32 v8, v82
	s_and_saveexec_b64 s[20:21], s[14:15]
; %bb.17:
	v_pk_mov_b32 v[14:15], v[36:37], v[36:37] op_sel:[0,1]
	v_mov_b32_e32 v8, v83
	v_mov_b32_e32 v83, v82
	;; [unrolled: 1-line block ×3, first 2 shown]
	v_pk_mov_b32 v[36:37], v[28:29], v[28:29] op_sel:[0,1]
	v_pk_mov_b32 v[28:29], v[14:15], v[14:15] op_sel:[0,1]
; %bb.18:
	s_or_b64 exec, exec, s[20:21]
	v_cndmask_b32_e32 v33, v81, v80, vcc
	v_and_b32_e32 v10, v33, v31
	v_cmp_le_i32_e64 s[14:15], v10, v11
                                        ; implicit-def: $vgpr9
	s_and_saveexec_b64 s[20:21], s[14:15]
	s_xor_b64 s[14:15], exec, s[20:21]
                                        ; implicit-def: $vgpr48_vgpr49_vgpr50_vgpr51_vgpr52_vgpr53_vgpr54_vgpr55
                                        ; implicit-def: $vgpr64_vgpr65_vgpr66_vgpr67_vgpr68_vgpr69_vgpr70_vgpr71
                                        ; implicit-def: $vgpr14_vgpr15_vgpr16_vgpr17_vgpr18_vgpr19_vgpr20_vgpr21
; %bb.19:
	v_mov_b32_e32 v50, v4
	v_mov_b32_e32 v67, v5
	;; [unrolled: 1-line block ×6, first 2 shown]
	v_and_b32_e32 v9, v8, v31
                                        ; implicit-def: $vgpr36_vgpr37
                                        ; implicit-def: $vgpr11
                                        ; implicit-def: $vgpr22_vgpr23_vgpr24_vgpr25_vgpr26_vgpr27_vgpr28_vgpr29
; %bb.20:
	s_or_saveexec_b64 s[14:15], s[14:15]
	v_mov_b32_e32 v18, v33
	s_xor_b64 exec, exec, s[14:15]
; %bb.21:
	v_mov_b32_e32 v50, v36
	v_mov_b32_e32 v67, v37
	;; [unrolled: 1-line block ×8, first 2 shown]
; %bb.22:
	s_or_b64 exec, exec, s[14:15]
	v_cndmask_b32_e32 v19, v80, v81, vcc
	v_and_b32_e32 v11, v19, v31
	v_cmp_gt_i32_e32 vcc, v11, v10
	v_cndmask_b32_e32 v17, v67, v1, vcc
	v_cndmask_b32_e32 v15, v1, v67, vcc
	v_and_b32_e32 v1, v83, v31
	v_cndmask_b32_e32 v16, v50, v0, vcc
	v_cndmask_b32_e32 v14, v0, v50, vcc
	v_cmp_gt_u32_e64 s[14:15], v9, v1
	v_mov_b32_e32 v0, v8
	s_and_saveexec_b64 s[20:21], s[14:15]
; %bb.23:
	v_pk_mov_b32 v[10:11], v[4:5], v[4:5] op_sel:[0,1]
	v_mov_b32_e32 v0, v83
	v_mov_b32_e32 v83, v8
	;; [unrolled: 1-line block ×3, first 2 shown]
	v_pk_mov_b32 v[4:5], v[20:21], v[20:21] op_sel:[0,1]
	v_pk_mov_b32 v[20:21], v[10:11], v[10:11] op_sel:[0,1]
; %bb.24:
	s_or_b64 exec, exec, s[20:21]
	v_cndmask_b32_e32 v1, v18, v19, vcc
	v_and_b32_e32 v8, v1, v31
	v_cmp_gt_i32_e64 s[14:15], v8, v9
	v_mov_b32_e32 v81, v1
	v_pk_mov_b32 v[8:9], v[4:5], v[4:5] op_sel:[0,1]
	v_pk_mov_b32 v[10:11], v[0:1], v[0:1] op_sel:[0,1]
	s_and_saveexec_b64 s[20:21], s[14:15]
; %bb.25:
	v_mov_b32_e32 v10, v1
	v_mov_b32_e32 v11, v0
	;; [unrolled: 1-line block ×4, first 2 shown]
	v_pk_mov_b32 v[8:9], v[16:17], v[16:17] op_sel:[0,1]
	v_pk_mov_b32 v[16:17], v[4:5], v[4:5] op_sel:[0,1]
; %bb.26:
	s_or_b64 exec, exec, s[20:21]
	v_cndmask_b32_e32 v80, v19, v18, vcc
	v_mov_b32_e32 v82, v0
	v_pk_mov_b32 v[18:19], v[8:9], v[8:9] op_sel:[0,1]
.LBB622_27:
	s_or_b64 exec, exec, s[18:19]
	v_and_b32_e32 v22, 0xffffff00, v32
	v_mov_b32_e32 v23, 0
	v_lshlrev_b64 v[0:1], 2, v[22:23]
	v_add_co_u32_e32 v24, vcc, v12, v0
	v_addc_co_u32_e32 v25, vcc, v13, v1, vcc
	v_lshlrev_b64 v[0:1], 3, v[22:23]
	v_add_co_u32_e32 v0, vcc, v12, v0
	v_addc_co_u32_e32 v1, vcc, v13, v1, vcc
	v_add_co_u32_e32 v12, vcc, 0x1000, v0
	v_addc_co_u32_e32 v13, vcc, 0, v1, vcc
	v_lshlrev_b32_e32 v0, 2, v97
	v_add_co_u32_e32 v4, vcc, v24, v0
	v_addc_co_u32_e32 v5, vcc, 0, v25, vcc
	v_lshlrev_b32_e32 v0, 3, v97
	v_add_co_u32_e32 v0, vcc, v12, v0
	s_movk_i32 s14, 0x400
	v_addc_co_u32_e32 v1, vcc, 0, v13, vcc
	v_mov_b32_e32 v8, v80
	v_mov_b32_e32 v9, v11
	;; [unrolled: 1-line block ×3, first 2 shown]
	v_sub_u32_e64 v26, s14, v22 clamp
	flat_store_dwordx4 v[0:1], v[14:17]
	flat_store_dwordx4 v[4:5], v[8:11]
	flat_store_dwordx4 v[0:1], v[18:21] offset:16
	v_or_b32_e32 v9, 4, v97
	v_min_u32_e32 v27, v26, v9
	v_add_u32_e32 v9, 4, v27
	v_and_b32_e32 v8, 0x1f8, v97
	v_min_u32_e32 v28, v26, v9
	v_and_b32_e32 v9, 4, v97
	v_min_u32_e32 v9, v26, v9
	v_sub_u32_e32 v11, v27, v8
	v_sub_u32_e32 v10, v28, v27
	v_sub_u32_e64 v10, v9, v10 clamp
	v_min_u32_e32 v11, v9, v11
	v_cmp_lt_u32_e32 vcc, v10, v11
	; wave barrier
	s_and_saveexec_b64 s[14:15], vcc
	s_cbranch_execz .LBB622_31
; %bb.28:
	v_lshlrev_b32_e32 v22, 2, v8
	v_add_co_u32_e32 v29, vcc, v24, v22
	v_addc_co_u32_e32 v32, vcc, 0, v25, vcc
	v_lshlrev_b32_e32 v22, 2, v27
	v_add_co_u32_e32 v33, vcc, v24, v22
	v_addc_co_u32_e32 v34, vcc, 0, v25, vcc
	s_mov_b64 s[18:19], 0
.LBB622_29:                             ; =>This Inner Loop Header: Depth=1
	v_add_u32_e32 v22, v11, v10
	v_lshrrev_b32_e32 v22, 1, v22
	v_lshlrev_b64 v[38:39], 2, v[22:23]
	v_mov_b32_e32 v37, v23
	v_xad_u32 v36, v22, -1, v9
	v_add_co_u32_e32 v38, vcc, v29, v38
	v_addc_co_u32_e32 v39, vcc, v32, v39, vcc
	v_lshlrev_b64 v[36:37], 2, v[36:37]
	v_add_co_u32_e32 v36, vcc, v33, v36
	v_addc_co_u32_e32 v37, vcc, v34, v37, vcc
	flat_load_dword v35, v[38:39]
	flat_load_dword v48, v[36:37]
	v_add_u32_e32 v36, 1, v22
	s_waitcnt vmcnt(0) lgkmcnt(0)
	v_and_b32_e32 v35, v35, v31
	v_and_b32_e32 v37, v48, v31
	v_cmp_gt_u32_e32 vcc, v35, v37
	v_cndmask_b32_e32 v11, v11, v22, vcc
	v_cndmask_b32_e32 v10, v36, v10, vcc
	v_cmp_ge_u32_e32 vcc, v10, v11
	s_or_b64 s[18:19], vcc, s[18:19]
	s_andn2_b64 exec, exec, s[18:19]
	s_cbranch_execnz .LBB622_29
; %bb.30:
	s_or_b64 exec, exec, s[18:19]
.LBB622_31:
	s_or_b64 exec, exec, s[14:15]
	v_add_u32_e32 v9, v27, v9
	v_add_u32_e32 v8, v10, v8
	v_sub_u32_e32 v10, v9, v10
	v_cmp_le_u32_e32 vcc, v8, v27
	v_cmp_le_u32_e64 s[14:15], v10, v28
	s_or_b64 s[14:15], vcc, s[14:15]
	s_and_saveexec_b64 s[28:29], s[14:15]
	s_cbranch_execz .LBB622_37
; %bb.32:
	v_cmp_lt_u32_e32 vcc, v8, v27
                                        ; implicit-def: $vgpr9
	s_and_saveexec_b64 s[18:19], vcc
	s_cbranch_execz .LBB622_34
; %bb.33:
	v_mov_b32_e32 v9, 0
	v_lshlrev_b64 v[14:15], 2, v[8:9]
	v_add_co_u32_e64 v14, s[14:15], v24, v14
	v_addc_co_u32_e64 v15, s[14:15], v25, v15, s[14:15]
	flat_load_dword v9, v[14:15]
.LBB622_34:
	s_or_b64 exec, exec, s[18:19]
	v_cmp_ge_u32_e64 s[14:15], v10, v28
	v_cmp_lt_u32_e64 s[18:19], v10, v28
                                        ; implicit-def: $vgpr11
	s_and_saveexec_b64 s[20:21], s[18:19]
	s_cbranch_execz .LBB622_36
; %bb.35:
	v_mov_b32_e32 v11, 0
	v_lshlrev_b64 v[14:15], 2, v[10:11]
	v_add_co_u32_e64 v14, s[18:19], v24, v14
	v_addc_co_u32_e64 v15, s[18:19], v25, v15, s[18:19]
	flat_load_dword v11, v[14:15]
.LBB622_36:
	s_or_b64 exec, exec, s[20:21]
	s_waitcnt vmcnt(0) lgkmcnt(0)
	v_and_b32_e32 v14, v11, v31
	v_and_b32_e32 v15, v9, v31
	v_cmp_le_u32_e64 s[18:19], v15, v14
	s_and_b64 s[18:19], vcc, s[18:19]
	s_or_b64 vcc, s[14:15], s[18:19]
	v_cndmask_b32_e32 v20, v10, v8, vcc
	v_cndmask_b32_e32 v16, v28, v27, vcc
	v_mov_b32_e32 v21, 0
	v_add_u32_e32 v18, 1, v20
	v_add_u32_e32 v16, -1, v16
	v_lshlrev_b64 v[14:15], 3, v[20:21]
	v_min_u32_e32 v20, v18, v16
	v_lshlrev_b64 v[16:17], 2, v[20:21]
	v_add_co_u32_e64 v16, s[14:15], v24, v16
	v_addc_co_u32_e64 v17, s[14:15], v25, v17, s[14:15]
	flat_load_dword v16, v[16:17]
	v_cndmask_b32_e32 v8, v8, v18, vcc
	v_cndmask_b32_e32 v10, v18, v10, vcc
	v_cmp_lt_u32_e64 s[18:19], v8, v27
	v_cmp_ge_u32_e64 s[14:15], v10, v28
	v_cndmask_b32_e32 v80, v11, v9, vcc
	s_waitcnt vmcnt(0) lgkmcnt(0)
	v_cndmask_b32_e32 v29, v16, v11, vcc
	v_cndmask_b32_e32 v32, v9, v16, vcc
	v_and_b32_e32 v16, v29, v31
	v_and_b32_e32 v17, v32, v31
	v_cmp_le_u32_e64 s[20:21], v17, v16
	s_and_b64 s[18:19], s[18:19], s[20:21]
	s_or_b64 s[14:15], s[14:15], s[18:19]
	v_cndmask_b32_e64 v20, v10, v8, s[14:15]
	v_cndmask_b32_e64 v18, v28, v27, s[14:15]
	v_add_u32_e32 v22, 1, v20
	v_add_u32_e32 v18, -1, v18
	v_lshlrev_b64 v[16:17], 3, v[20:21]
	v_min_u32_e32 v20, v22, v18
	v_lshlrev_b64 v[18:19], 2, v[20:21]
	v_add_co_u32_e64 v18, s[18:19], v24, v18
	v_addc_co_u32_e64 v19, s[18:19], v25, v19, s[18:19]
	flat_load_dword v18, v[18:19]
	v_cndmask_b32_e64 v8, v8, v22, s[14:15]
	v_cndmask_b32_e64 v10, v22, v10, s[14:15]
	v_cmp_lt_u32_e64 s[20:21], v8, v27
	v_cmp_ge_u32_e64 s[18:19], v10, v28
	v_cndmask_b32_e64 v81, v29, v32, s[14:15]
	s_waitcnt vmcnt(0) lgkmcnt(0)
	v_cndmask_b32_e64 v33, v18, v29, s[14:15]
	v_cndmask_b32_e64 v34, v32, v18, s[14:15]
	v_and_b32_e32 v18, v33, v31
	v_and_b32_e32 v19, v34, v31
	v_cmp_le_u32_e64 s[22:23], v19, v18
	s_and_b64 s[20:21], s[20:21], s[22:23]
	s_or_b64 s[18:19], s[18:19], s[20:21]
	v_cndmask_b32_e64 v20, v10, v8, s[18:19]
	v_cndmask_b32_e64 v22, v28, v27, s[18:19]
	v_lshlrev_b64 v[18:19], 3, v[20:21]
	v_add_u32_e32 v35, 1, v20
	v_add_u32_e32 v20, -1, v22
	v_min_u32_e32 v20, v35, v20
	v_lshlrev_b64 v[22:23], 2, v[20:21]
	v_add_co_u32_e64 v22, s[20:21], v24, v22
	v_addc_co_u32_e64 v23, s[20:21], v25, v23, s[20:21]
	flat_load_dword v20, v[22:23]
	v_add_co_u32_e64 v14, s[20:21], v12, v14
	v_addc_co_u32_e64 v15, s[20:21], v13, v15, s[20:21]
	v_add_co_u32_e64 v16, s[20:21], v12, v16
	v_addc_co_u32_e64 v17, s[20:21], v13, v17, s[20:21]
	v_cndmask_b32_e64 v8, v8, v35, s[18:19]
	v_add_co_u32_e64 v18, s[20:21], v12, v18
	v_cmp_lt_u32_e64 s[22:23], v8, v27
	v_addc_co_u32_e64 v19, s[20:21], v13, v19, s[20:21]
	v_cndmask_b32_e64 v10, v35, v10, s[18:19]
	v_cmp_ge_u32_e64 s[20:21], v10, v28
	flat_load_dwordx2 v[14:15], v[14:15]
	v_cndmask_b32_e64 v82, v33, v34, s[18:19]
	flat_load_dwordx2 v[16:17], v[16:17]
	s_waitcnt vmcnt(0) lgkmcnt(0)
	v_cndmask_b32_e64 v22, v20, v33, s[18:19]
	flat_load_dwordx2 v[18:19], v[18:19]
	v_cndmask_b32_e64 v23, v34, v20, s[18:19]
	v_and_b32_e32 v20, v22, v31
	v_and_b32_e32 v27, v23, v31
	v_cmp_le_u32_e64 s[24:25], v27, v20
	s_and_b64 s[22:23], s[22:23], s[24:25]
	s_or_b64 s[20:21], s[20:21], s[22:23]
	v_cndmask_b32_e64 v20, v10, v8, s[20:21]
	v_lshlrev_b64 v[20:21], 3, v[20:21]
	v_add_co_u32_e64 v20, s[22:23], v12, v20
	v_addc_co_u32_e64 v21, s[22:23], v13, v21, s[22:23]
	flat_load_dwordx2 v[20:21], v[20:21]
	v_cndmask_b32_e64 v83, v22, v23, s[20:21]
.LBB622_37:
	s_or_b64 exec, exec, s[28:29]
	v_and_b32_e32 v10, 0x1f0, v97
	v_or_b32_e32 v8, 8, v10
	v_min_u32_e32 v22, v26, v8
	v_add_u32_e32 v8, 8, v22
	v_min_u32_e32 v23, v26, v8
	v_and_b32_e32 v8, 12, v97
	v_min_u32_e32 v11, v26, v8
	v_sub_u32_e32 v8, v22, v10
	v_sub_u32_e32 v9, v23, v22
	v_sub_u32_e64 v27, v11, v9 clamp
	v_min_u32_e32 v28, v11, v8
	v_cmp_lt_u32_e32 vcc, v27, v28
	; wave barrier
	flat_store_dwordx4 v[0:1], v[14:17]
	flat_store_dwordx4 v[4:5], v[80:83]
	s_waitcnt vmcnt(0) lgkmcnt(0)
	flat_store_dwordx4 v[0:1], v[18:21] offset:16
	; wave barrier
	s_and_saveexec_b64 s[14:15], vcc
	s_cbranch_execz .LBB622_41
; %bb.38:
	v_lshlrev_b32_e32 v8, 2, v10
	v_add_co_u32_e32 v29, vcc, v24, v8
	v_addc_co_u32_e32 v32, vcc, 0, v25, vcc
	v_lshlrev_b32_e32 v8, 2, v22
	v_add_co_u32_e32 v33, vcc, v24, v8
	v_addc_co_u32_e32 v34, vcc, 0, v25, vcc
	s_mov_b64 s[18:19], 0
	v_mov_b32_e32 v9, 0
.LBB622_39:                             ; =>This Inner Loop Header: Depth=1
	v_add_u32_e32 v8, v28, v27
	v_lshrrev_b32_e32 v8, 1, v8
	v_lshlrev_b64 v[38:39], 2, v[8:9]
	v_mov_b32_e32 v37, v9
	v_xad_u32 v36, v8, -1, v11
	v_add_co_u32_e32 v38, vcc, v29, v38
	v_addc_co_u32_e32 v39, vcc, v32, v39, vcc
	v_lshlrev_b64 v[36:37], 2, v[36:37]
	v_add_co_u32_e32 v36, vcc, v33, v36
	v_addc_co_u32_e32 v37, vcc, v34, v37, vcc
	flat_load_dword v35, v[38:39]
	flat_load_dword v48, v[36:37]
	v_add_u32_e32 v36, 1, v8
	s_waitcnt vmcnt(0) lgkmcnt(0)
	v_and_b32_e32 v35, v35, v31
	v_and_b32_e32 v37, v48, v31
	v_cmp_gt_u32_e32 vcc, v35, v37
	v_cndmask_b32_e32 v28, v28, v8, vcc
	v_cndmask_b32_e32 v27, v36, v27, vcc
	v_cmp_ge_u32_e32 vcc, v27, v28
	s_or_b64 s[18:19], vcc, s[18:19]
	s_andn2_b64 exec, exec, s[18:19]
	s_cbranch_execnz .LBB622_39
; %bb.40:
	s_or_b64 exec, exec, s[18:19]
.LBB622_41:
	s_or_b64 exec, exec, s[14:15]
	v_add_u32_e32 v9, v22, v11
	v_add_u32_e32 v8, v27, v10
	v_sub_u32_e32 v10, v9, v27
	v_cmp_le_u32_e32 vcc, v8, v22
	v_cmp_le_u32_e64 s[14:15], v10, v23
	s_or_b64 s[14:15], vcc, s[14:15]
	s_and_saveexec_b64 s[28:29], s[14:15]
	s_cbranch_execz .LBB622_47
; %bb.42:
	v_cmp_lt_u32_e32 vcc, v8, v22
                                        ; implicit-def: $vgpr9
	s_and_saveexec_b64 s[18:19], vcc
	s_cbranch_execz .LBB622_44
; %bb.43:
	v_mov_b32_e32 v9, 0
	v_lshlrev_b64 v[14:15], 2, v[8:9]
	v_add_co_u32_e64 v14, s[14:15], v24, v14
	v_addc_co_u32_e64 v15, s[14:15], v25, v15, s[14:15]
	flat_load_dword v9, v[14:15]
.LBB622_44:
	s_or_b64 exec, exec, s[18:19]
	v_cmp_ge_u32_e64 s[14:15], v10, v23
	v_cmp_lt_u32_e64 s[18:19], v10, v23
                                        ; implicit-def: $vgpr11
	s_and_saveexec_b64 s[20:21], s[18:19]
	s_cbranch_execz .LBB622_46
; %bb.45:
	v_mov_b32_e32 v11, 0
	v_lshlrev_b64 v[14:15], 2, v[10:11]
	v_add_co_u32_e64 v14, s[18:19], v24, v14
	v_addc_co_u32_e64 v15, s[18:19], v25, v15, s[18:19]
	flat_load_dword v11, v[14:15]
.LBB622_46:
	s_or_b64 exec, exec, s[20:21]
	s_waitcnt vmcnt(0) lgkmcnt(0)
	v_and_b32_e32 v14, v11, v31
	v_and_b32_e32 v15, v9, v31
	v_cmp_le_u32_e64 s[18:19], v15, v14
	s_and_b64 s[18:19], vcc, s[18:19]
	s_or_b64 vcc, s[14:15], s[18:19]
	v_cndmask_b32_e32 v20, v10, v8, vcc
	v_cndmask_b32_e32 v16, v23, v22, vcc
	v_mov_b32_e32 v21, 0
	v_add_u32_e32 v18, 1, v20
	v_add_u32_e32 v16, -1, v16
	v_lshlrev_b64 v[14:15], 3, v[20:21]
	v_min_u32_e32 v20, v18, v16
	v_lshlrev_b64 v[16:17], 2, v[20:21]
	v_add_co_u32_e64 v16, s[14:15], v24, v16
	v_addc_co_u32_e64 v17, s[14:15], v25, v17, s[14:15]
	flat_load_dword v16, v[16:17]
	v_cndmask_b32_e32 v8, v8, v18, vcc
	v_cndmask_b32_e32 v10, v18, v10, vcc
	v_cmp_lt_u32_e64 s[18:19], v8, v22
	v_cmp_ge_u32_e64 s[14:15], v10, v23
	v_cndmask_b32_e32 v80, v11, v9, vcc
	s_waitcnt vmcnt(0) lgkmcnt(0)
	v_cndmask_b32_e32 v27, v16, v11, vcc
	v_cndmask_b32_e32 v32, v9, v16, vcc
	v_and_b32_e32 v16, v27, v31
	v_and_b32_e32 v17, v32, v31
	v_cmp_le_u32_e64 s[20:21], v17, v16
	s_and_b64 s[18:19], s[18:19], s[20:21]
	s_or_b64 s[14:15], s[14:15], s[18:19]
	v_cndmask_b32_e64 v20, v10, v8, s[14:15]
	v_cndmask_b32_e64 v18, v23, v22, s[14:15]
	v_add_u32_e32 v28, 1, v20
	v_add_u32_e32 v18, -1, v18
	v_lshlrev_b64 v[16:17], 3, v[20:21]
	v_min_u32_e32 v20, v28, v18
	v_lshlrev_b64 v[18:19], 2, v[20:21]
	v_add_co_u32_e64 v18, s[18:19], v24, v18
	v_addc_co_u32_e64 v19, s[18:19], v25, v19, s[18:19]
	flat_load_dword v18, v[18:19]
	v_cndmask_b32_e64 v8, v8, v28, s[14:15]
	v_cndmask_b32_e64 v10, v28, v10, s[14:15]
	v_cmp_lt_u32_e64 s[20:21], v8, v22
	v_cmp_ge_u32_e64 s[18:19], v10, v23
	v_cndmask_b32_e64 v81, v27, v32, s[14:15]
	s_waitcnt vmcnt(0) lgkmcnt(0)
	v_cndmask_b32_e64 v33, v18, v27, s[14:15]
	v_cndmask_b32_e64 v34, v32, v18, s[14:15]
	v_and_b32_e32 v18, v33, v31
	v_and_b32_e32 v19, v34, v31
	v_cmp_le_u32_e64 s[22:23], v19, v18
	s_and_b64 s[20:21], s[20:21], s[22:23]
	s_or_b64 s[18:19], s[18:19], s[20:21]
	v_cndmask_b32_e64 v20, v10, v8, s[18:19]
	v_cndmask_b32_e64 v28, v23, v22, s[18:19]
	v_lshlrev_b64 v[18:19], 3, v[20:21]
	v_add_u32_e32 v35, 1, v20
	v_add_u32_e32 v20, -1, v28
	v_min_u32_e32 v20, v35, v20
	v_lshlrev_b64 v[28:29], 2, v[20:21]
	v_add_co_u32_e64 v28, s[20:21], v24, v28
	v_addc_co_u32_e64 v29, s[20:21], v25, v29, s[20:21]
	flat_load_dword v20, v[28:29]
	v_add_co_u32_e64 v14, s[20:21], v12, v14
	v_addc_co_u32_e64 v15, s[20:21], v13, v15, s[20:21]
	v_add_co_u32_e64 v16, s[20:21], v12, v16
	v_addc_co_u32_e64 v17, s[20:21], v13, v17, s[20:21]
	;; [unrolled: 2-line block ×3, first 2 shown]
	v_cndmask_b32_e64 v10, v35, v10, s[18:19]
	v_cndmask_b32_e64 v8, v8, v35, s[18:19]
	v_cmp_ge_u32_e64 s[20:21], v10, v23
	v_cmp_lt_u32_e64 s[22:23], v8, v22
	flat_load_dwordx2 v[14:15], v[14:15]
	v_cndmask_b32_e64 v82, v33, v34, s[18:19]
	flat_load_dwordx2 v[16:17], v[16:17]
	s_waitcnt vmcnt(0) lgkmcnt(0)
	v_cndmask_b32_e64 v22, v20, v33, s[18:19]
	flat_load_dwordx2 v[18:19], v[18:19]
	v_cndmask_b32_e64 v23, v34, v20, s[18:19]
	v_and_b32_e32 v20, v22, v31
	v_and_b32_e32 v28, v23, v31
	v_cmp_le_u32_e64 s[24:25], v28, v20
	s_and_b64 s[22:23], s[22:23], s[24:25]
	s_or_b64 s[20:21], s[20:21], s[22:23]
	v_cndmask_b32_e64 v20, v10, v8, s[20:21]
	v_lshlrev_b64 v[20:21], 3, v[20:21]
	v_add_co_u32_e64 v20, s[22:23], v12, v20
	v_addc_co_u32_e64 v21, s[22:23], v13, v21, s[22:23]
	flat_load_dwordx2 v[20:21], v[20:21]
	v_cndmask_b32_e64 v83, v22, v23, s[20:21]
.LBB622_47:
	s_or_b64 exec, exec, s[28:29]
	; wave barrier
	flat_store_dwordx4 v[0:1], v[14:17]
	flat_store_dwordx4 v[4:5], v[80:83]
	s_waitcnt vmcnt(0) lgkmcnt(0)
	flat_store_dwordx4 v[0:1], v[18:21] offset:16
	v_and_b32_e32 v4, 0x1e0, v97
	v_or_b32_e32 v0, 16, v4
	v_min_u32_e32 v8, v26, v0
	v_add_u32_e32 v0, 16, v8
	v_min_u32_e32 v9, v26, v0
	v_min_u32_e32 v5, v26, v98
	v_sub_u32_e32 v0, v8, v4
	v_sub_u32_e32 v1, v9, v8
	v_sub_u32_e64 v10, v5, v1 clamp
	v_min_u32_e32 v11, v5, v0
	v_cmp_lt_u32_e32 vcc, v10, v11
	; wave barrier
	s_and_saveexec_b64 s[14:15], vcc
	s_cbranch_execz .LBB622_51
; %bb.48:
	v_lshlrev_b32_e32 v0, 2, v4
	v_add_co_u32_e32 v22, vcc, v24, v0
	v_addc_co_u32_e32 v23, vcc, 0, v25, vcc
	v_lshlrev_b32_e32 v0, 2, v8
	v_add_co_u32_e32 v26, vcc, v24, v0
	v_addc_co_u32_e32 v27, vcc, 0, v25, vcc
	s_mov_b64 s[18:19], 0
	v_mov_b32_e32 v1, 0
.LBB622_49:                             ; =>This Inner Loop Header: Depth=1
	v_add_u32_e32 v0, v11, v10
	v_lshrrev_b32_e32 v0, 1, v0
	v_lshlrev_b64 v[32:33], 2, v[0:1]
	v_mov_b32_e32 v29, v1
	v_xad_u32 v28, v0, -1, v5
	v_add_co_u32_e32 v32, vcc, v22, v32
	v_addc_co_u32_e32 v33, vcc, v23, v33, vcc
	v_lshlrev_b64 v[28:29], 2, v[28:29]
	v_add_co_u32_e32 v28, vcc, v26, v28
	v_addc_co_u32_e32 v29, vcc, v27, v29, vcc
	flat_load_dword v34, v[32:33]
	flat_load_dword v35, v[28:29]
	v_add_u32_e32 v28, 1, v0
	s_waitcnt vmcnt(0) lgkmcnt(0)
	v_and_b32_e32 v29, v34, v31
	v_and_b32_e32 v32, v35, v31
	v_cmp_gt_u32_e32 vcc, v29, v32
	v_cndmask_b32_e32 v11, v11, v0, vcc
	v_cndmask_b32_e32 v10, v28, v10, vcc
	v_cmp_ge_u32_e32 vcc, v10, v11
	s_or_b64 s[18:19], vcc, s[18:19]
	s_andn2_b64 exec, exec, s[18:19]
	s_cbranch_execnz .LBB622_49
; %bb.50:
	s_or_b64 exec, exec, s[18:19]
.LBB622_51:
	s_or_b64 exec, exec, s[14:15]
	v_add_u32_e32 v1, v8, v5
	v_add_u32_e32 v0, v10, v4
	v_sub_u32_e32 v4, v1, v10
	v_cmp_le_u32_e32 vcc, v0, v8
	v_cmp_le_u32_e64 s[14:15], v4, v9
	s_or_b64 s[14:15], vcc, s[14:15]
	s_and_saveexec_b64 s[28:29], s[14:15]
	s_cbranch_execz .LBB622_57
; %bb.52:
	v_cmp_lt_u32_e32 vcc, v0, v8
                                        ; implicit-def: $vgpr1
	s_and_saveexec_b64 s[18:19], vcc
	s_cbranch_execz .LBB622_54
; %bb.53:
	v_mov_b32_e32 v1, 0
	v_lshlrev_b64 v[10:11], 2, v[0:1]
	v_add_co_u32_e64 v10, s[14:15], v24, v10
	v_addc_co_u32_e64 v11, s[14:15], v25, v11, s[14:15]
	flat_load_dword v1, v[10:11]
.LBB622_54:
	s_or_b64 exec, exec, s[18:19]
	v_cmp_ge_u32_e64 s[14:15], v4, v9
	v_cmp_lt_u32_e64 s[18:19], v4, v9
                                        ; implicit-def: $vgpr5
	s_and_saveexec_b64 s[20:21], s[18:19]
	s_cbranch_execz .LBB622_56
; %bb.55:
	v_mov_b32_e32 v5, 0
	v_lshlrev_b64 v[10:11], 2, v[4:5]
	v_add_co_u32_e64 v10, s[18:19], v24, v10
	v_addc_co_u32_e64 v11, s[18:19], v25, v11, s[18:19]
	flat_load_dword v5, v[10:11]
.LBB622_56:
	s_or_b64 exec, exec, s[20:21]
	s_waitcnt vmcnt(0) lgkmcnt(0)
	v_and_b32_e32 v10, v5, v31
	v_and_b32_e32 v11, v1, v31
	v_cmp_le_u32_e64 s[18:19], v11, v10
	s_and_b64 s[18:19], vcc, s[18:19]
	s_or_b64 vcc, s[14:15], s[18:19]
	v_cndmask_b32_e32 v10, v4, v0, vcc
	v_cndmask_b32_e32 v16, v9, v8, vcc
	v_mov_b32_e32 v11, 0
	v_lshlrev_b64 v[14:15], 3, v[10:11]
	v_add_u32_e32 v18, 1, v10
	v_add_u32_e32 v10, -1, v16
	v_min_u32_e32 v10, v18, v10
	v_lshlrev_b64 v[16:17], 2, v[10:11]
	v_add_co_u32_e64 v16, s[14:15], v24, v16
	v_addc_co_u32_e64 v17, s[14:15], v25, v17, s[14:15]
	flat_load_dword v10, v[16:17]
	v_cndmask_b32_e32 v0, v0, v18, vcc
	v_cndmask_b32_e32 v4, v18, v4, vcc
	v_cmp_lt_u32_e64 s[18:19], v0, v8
	v_cmp_ge_u32_e64 s[14:15], v4, v9
	v_cndmask_b32_e32 v80, v5, v1, vcc
	s_waitcnt vmcnt(0) lgkmcnt(0)
	v_cndmask_b32_e32 v22, v10, v5, vcc
	v_cndmask_b32_e32 v23, v1, v10, vcc
	v_and_b32_e32 v10, v22, v31
	v_and_b32_e32 v16, v23, v31
	v_cmp_le_u32_e64 s[20:21], v16, v10
	s_and_b64 s[18:19], s[18:19], s[20:21]
	s_or_b64 s[14:15], s[14:15], s[18:19]
	v_cndmask_b32_e64 v10, v4, v0, s[14:15]
	v_cndmask_b32_e64 v18, v9, v8, s[14:15]
	v_lshlrev_b64 v[16:17], 3, v[10:11]
	v_add_u32_e32 v20, 1, v10
	v_add_u32_e32 v10, -1, v18
	v_min_u32_e32 v10, v20, v10
	v_lshlrev_b64 v[18:19], 2, v[10:11]
	v_add_co_u32_e64 v18, s[18:19], v24, v18
	v_addc_co_u32_e64 v19, s[18:19], v25, v19, s[18:19]
	flat_load_dword v10, v[18:19]
	v_cndmask_b32_e64 v0, v0, v20, s[14:15]
	v_cndmask_b32_e64 v4, v20, v4, s[14:15]
	v_cmp_lt_u32_e64 s[20:21], v0, v8
	v_cmp_ge_u32_e64 s[18:19], v4, v9
	v_cndmask_b32_e64 v81, v22, v23, s[14:15]
	s_waitcnt vmcnt(0) lgkmcnt(0)
	v_cndmask_b32_e64 v26, v10, v22, s[14:15]
	v_cndmask_b32_e64 v27, v23, v10, s[14:15]
	v_and_b32_e32 v10, v26, v31
	v_and_b32_e32 v18, v27, v31
	v_cmp_le_u32_e64 s[22:23], v18, v10
	s_and_b64 s[20:21], s[20:21], s[22:23]
	s_or_b64 s[18:19], s[18:19], s[20:21]
	v_cndmask_b32_e64 v10, v4, v0, s[18:19]
	v_cndmask_b32_e64 v20, v9, v8, s[18:19]
	v_lshlrev_b64 v[18:19], 3, v[10:11]
	v_add_u32_e32 v28, 1, v10
	v_add_u32_e32 v10, -1, v20
	v_min_u32_e32 v10, v28, v10
	v_lshlrev_b64 v[20:21], 2, v[10:11]
	v_add_co_u32_e64 v20, s[20:21], v24, v20
	v_addc_co_u32_e64 v21, s[20:21], v25, v21, s[20:21]
	flat_load_dword v10, v[20:21]
	v_add_co_u32_e64 v14, s[20:21], v12, v14
	v_addc_co_u32_e64 v15, s[20:21], v13, v15, s[20:21]
	v_add_co_u32_e64 v16, s[20:21], v12, v16
	v_addc_co_u32_e64 v17, s[20:21], v13, v17, s[20:21]
	;; [unrolled: 2-line block ×3, first 2 shown]
	v_cndmask_b32_e64 v4, v28, v4, s[18:19]
	v_cndmask_b32_e64 v0, v0, v28, s[18:19]
	v_cmp_ge_u32_e64 s[20:21], v4, v9
	v_cmp_lt_u32_e64 s[22:23], v0, v8
	flat_load_dwordx2 v[14:15], v[14:15]
	v_cndmask_b32_e64 v82, v26, v27, s[18:19]
	flat_load_dwordx2 v[16:17], v[16:17]
	s_waitcnt vmcnt(0) lgkmcnt(0)
	v_cndmask_b32_e64 v24, v10, v26, s[18:19]
	flat_load_dwordx2 v[18:19], v[18:19]
	v_cndmask_b32_e64 v25, v27, v10, s[18:19]
	v_and_b32_e32 v8, v24, v31
	v_and_b32_e32 v9, v25, v31
	v_cmp_le_u32_e64 s[24:25], v9, v8
	s_and_b64 s[22:23], s[22:23], s[24:25]
	s_or_b64 s[20:21], s[20:21], s[22:23]
	v_cndmask_b32_e64 v10, v4, v0, s[20:21]
	v_lshlrev_b64 v[8:9], 3, v[10:11]
	v_add_co_u32_e64 v8, s[22:23], v12, v8
	v_addc_co_u32_e64 v9, s[22:23], v13, v9, s[22:23]
	flat_load_dwordx2 v[20:21], v[8:9]
	v_cndmask_b32_e64 v83, v24, v25, s[20:21]
.LBB622_57:
	s_or_b64 exec, exec, s[28:29]
	; wave barrier
	s_waitcnt lgkmcnt(0)
	s_barrier
                                        ; implicit-def: $vgpr97
                                        ; implicit-def: $vgpr12
                                        ; implicit-def: $vgpr13
                                        ; implicit-def: $vgpr98
                                        ; implicit-def: $vgpr31
                                        ; implicit-def: $vgpr0
                                        ; implicit-def: $vgpr4
                                        ; implicit-def: $vgpr32_vgpr33_vgpr34_vgpr35_vgpr36_vgpr37_vgpr38_vgpr39
                                        ; implicit-def: $vgpr22_vgpr23_vgpr24_vgpr25_vgpr26_vgpr27_vgpr28_vgpr29
.LBB622_58:
	s_andn2_saveexec_b64 s[22:23], s[26:27]
	s_cbranch_execz .LBB622_94
; %bb.59:
	s_load_dwordx2 s[14:15], s[8:9], 0x0
	v_mov_b32_e32 v1, 0
	v_and_b32_e32 v9, 0x3ff, v31
	s_movk_i32 s20, 0x400
	s_waitcnt lgkmcnt(0)
	s_cmp_lt_u32 s12, s14
	s_cselect_b32 s14, 12, 18
	s_cmp_lt_u32 s13, s15
	s_cselect_b32 s12, 14, 20
	s_add_u32 s12, s8, s12
	s_addc_u32 s13, s9, 0
	s_add_u32 s8, s8, s14
	s_addc_u32 s9, s9, 0
	global_load_ushort v5, v1, s[12:13]
	global_load_ushort v8, v1, s[8:9]
	s_waitcnt vmcnt(0)
	v_mad_u32_u24 v0, v4, v5, v0
	v_mul_lo_u32 v0, v0, v8
	v_add_lshl_u32 v0, v0, v9, 2
	v_cmp_gt_u32_e32 vcc, s20, v0
	s_and_saveexec_b64 s[14:15], vcc
	s_cbranch_execz .LBB622_63
; %bb.60:
	v_cmp_gt_i32_e32 vcc, v80, v81
	v_max_i32_e32 v10, v80, v81
	v_cndmask_b32_e32 v11, v14, v16, vcc
	v_cndmask_b32_e32 v18, v15, v17, vcc
	;; [unrolled: 1-line block ×4, first 2 shown]
	v_min_i32_e32 v16, v82, v83
	v_cmp_gt_i32_e32 vcc, v82, v83
	v_min_i32_e32 v4, v80, v81
	v_max_i32_e32 v5, v82, v83
	v_cndmask_b32_e32 v22, v28, v36, vcc
	v_cndmask_b32_e32 v19, v29, v37, vcc
	;; [unrolled: 1-line block ×4, first 2 shown]
	v_cmp_gt_i32_e32 vcc, v10, v16
	v_min_i32_e32 v8, v10, v16
	v_max_i32_e32 v9, v10, v16
	v_cndmask_b32_e32 v23, v20, v14, vcc
	v_cndmask_b32_e32 v24, v17, v15, vcc
	;; [unrolled: 1-line block ×4, first 2 shown]
	v_cmp_lt_i32_e32 vcc, v16, v4
	v_cmp_gt_i32_e64 s[8:9], v10, v5
	v_cndmask_b32_e32 v81, v8, v4, vcc
	v_cndmask_b32_e64 v10, v9, v5, s[8:9]
	v_cndmask_b32_e32 v15, v18, v17, vcc
	v_cndmask_b32_e32 v14, v11, v20, vcc
	;; [unrolled: 1-line block ×4, first 2 shown]
	v_cndmask_b32_e64 v21, v19, v24, s[8:9]
	v_cndmask_b32_e64 v20, v22, v23, s[8:9]
	;; [unrolled: 1-line block ×4, first 2 shown]
	v_cmp_gt_i32_e64 s[12:13], v81, v10
	v_mov_b32_e32 v82, v10
	s_and_saveexec_b64 s[18:19], s[12:13]
; %bb.61:
	v_pk_mov_b32 v[22:23], v[18:19], v[18:19] op_sel:[0,1]
	v_pk_mov_b32 v[18:19], v[16:17], v[16:17] op_sel:[0,1]
	;; [unrolled: 1-line block ×3, first 2 shown]
	v_mov_b32_e32 v82, v81
	v_mov_b32_e32 v81, v10
; %bb.62:
	s_or_b64 exec, exec, s[18:19]
	v_cndmask_b32_e32 v80, v4, v8, vcc
	v_cndmask_b32_e64 v83, v5, v9, s[8:9]
.LBB622_63:
	s_or_b64 exec, exec, s[14:15]
	v_and_b32_e32 v0, 0xffffff00, v0
	v_lshlrev_b64 v[4:5], 2, v[0:1]
	v_add_co_u32_e32 v22, vcc, v12, v4
	v_sub_u32_e64 v24, s20, v0 clamp
	v_addc_co_u32_e32 v23, vcc, v13, v5, vcc
	v_lshlrev_b64 v[0:1], 3, v[0:1]
	v_add_co_u32_e32 v0, vcc, v12, v0
	v_addc_co_u32_e32 v1, vcc, v13, v1, vcc
	s_movk_i32 s8, 0x1000
	v_add_co_u32_e32 v12, vcc, s8, v0
	v_or_b32_e32 v8, 4, v97
	v_addc_co_u32_e32 v13, vcc, 0, v1, vcc
	v_lshlrev_b32_e32 v0, 2, v97
	v_min_u32_e32 v25, v24, v8
	v_add_co_u32_e32 v4, vcc, v22, v0
	v_add_u32_e32 v8, 4, v25
	v_addc_co_u32_e32 v5, vcc, 0, v23, vcc
	v_lshlrev_b32_e32 v0, 3, v97
	v_and_b32_e32 v10, 0x1f8, v97
	v_min_u32_e32 v26, v24, v8
	v_and_b32_e32 v8, 4, v97
	v_add_co_u32_e32 v0, vcc, v12, v0
	v_min_u32_e32 v11, v24, v8
	v_sub_u32_e32 v8, v25, v10
	v_sub_u32_e32 v9, v26, v25
	v_addc_co_u32_e32 v1, vcc, 0, v13, vcc
	v_sub_u32_e64 v27, v11, v9 clamp
	v_min_u32_e32 v28, v11, v8
	v_cmp_lt_u32_e32 vcc, v27, v28
	flat_store_dwordx4 v[0:1], v[14:17]
	flat_store_dwordx4 v[4:5], v[80:83]
	flat_store_dwordx4 v[0:1], v[18:21] offset:16
	; wave barrier
	s_and_saveexec_b64 s[8:9], vcc
	s_cbranch_execz .LBB622_67
; %bb.64:
	v_lshlrev_b32_e32 v8, 2, v10
	v_add_co_u32_e32 v29, vcc, v22, v8
	v_addc_co_u32_e32 v31, vcc, 0, v23, vcc
	v_lshlrev_b32_e32 v8, 2, v25
	v_add_co_u32_e32 v32, vcc, v22, v8
	v_addc_co_u32_e32 v33, vcc, 0, v23, vcc
	s_mov_b64 s[12:13], 0
	v_mov_b32_e32 v9, 0
.LBB622_65:                             ; =>This Inner Loop Header: Depth=1
	v_add_u32_e32 v8, v28, v27
	v_lshrrev_b32_e32 v8, 1, v8
	v_lshlrev_b64 v[36:37], 2, v[8:9]
	v_mov_b32_e32 v35, v9
	v_xad_u32 v34, v8, -1, v11
	v_add_co_u32_e32 v36, vcc, v29, v36
	v_addc_co_u32_e32 v37, vcc, v31, v37, vcc
	v_lshlrev_b64 v[34:35], 2, v[34:35]
	v_add_co_u32_e32 v34, vcc, v32, v34
	v_addc_co_u32_e32 v35, vcc, v33, v35, vcc
	flat_load_dword v38, v[36:37]
	flat_load_dword v39, v[34:35]
	v_add_u32_e32 v34, 1, v8
	s_waitcnt vmcnt(0) lgkmcnt(0)
	v_cmp_gt_i32_e32 vcc, v38, v39
	v_cndmask_b32_e32 v28, v28, v8, vcc
	v_cndmask_b32_e32 v27, v34, v27, vcc
	v_cmp_ge_u32_e32 vcc, v27, v28
	s_or_b64 s[12:13], vcc, s[12:13]
	s_andn2_b64 exec, exec, s[12:13]
	s_cbranch_execnz .LBB622_65
; %bb.66:
	s_or_b64 exec, exec, s[12:13]
.LBB622_67:
	s_or_b64 exec, exec, s[8:9]
	v_add_u32_e32 v9, v25, v11
	v_add_u32_e32 v8, v27, v10
	v_sub_u32_e32 v10, v9, v27
	v_cmp_le_u32_e32 vcc, v8, v25
	v_cmp_le_u32_e64 s[8:9], v10, v26
	s_or_b64 s[8:9], vcc, s[8:9]
	s_and_saveexec_b64 s[24:25], s[8:9]
	s_cbranch_execz .LBB622_73
; %bb.68:
	v_cmp_lt_u32_e32 vcc, v8, v25
                                        ; implicit-def: $vgpr9
	s_and_saveexec_b64 s[12:13], vcc
	s_cbranch_execz .LBB622_70
; %bb.69:
	v_mov_b32_e32 v9, 0
	v_lshlrev_b64 v[14:15], 2, v[8:9]
	v_add_co_u32_e64 v14, s[8:9], v22, v14
	v_addc_co_u32_e64 v15, s[8:9], v23, v15, s[8:9]
	flat_load_dword v9, v[14:15]
.LBB622_70:
	s_or_b64 exec, exec, s[12:13]
	v_cmp_ge_u32_e64 s[8:9], v10, v26
	v_cmp_lt_u32_e64 s[12:13], v10, v26
                                        ; implicit-def: $vgpr11
	s_and_saveexec_b64 s[14:15], s[12:13]
	s_cbranch_execz .LBB622_72
; %bb.71:
	v_mov_b32_e32 v11, 0
	v_lshlrev_b64 v[14:15], 2, v[10:11]
	v_add_co_u32_e64 v14, s[12:13], v22, v14
	v_addc_co_u32_e64 v15, s[12:13], v23, v15, s[12:13]
	flat_load_dword v11, v[14:15]
.LBB622_72:
	s_or_b64 exec, exec, s[14:15]
	s_waitcnt vmcnt(0) lgkmcnt(0)
	v_cmp_le_i32_e64 s[12:13], v9, v11
	s_and_b64 s[12:13], vcc, s[12:13]
	s_or_b64 vcc, s[8:9], s[12:13]
	v_cndmask_b32_e32 v20, v10, v8, vcc
	v_cndmask_b32_e32 v16, v26, v25, vcc
	v_mov_b32_e32 v21, 0
	v_add_u32_e32 v18, 1, v20
	v_add_u32_e32 v16, -1, v16
	v_lshlrev_b64 v[14:15], 3, v[20:21]
	v_min_u32_e32 v20, v18, v16
	v_lshlrev_b64 v[16:17], 2, v[20:21]
	v_add_co_u32_e64 v16, s[8:9], v22, v16
	v_addc_co_u32_e64 v17, s[8:9], v23, v17, s[8:9]
	flat_load_dword v16, v[16:17]
	v_cndmask_b32_e32 v8, v8, v18, vcc
	v_cndmask_b32_e32 v10, v18, v10, vcc
	v_cmp_lt_u32_e64 s[12:13], v8, v25
	v_cmp_ge_u32_e64 s[8:9], v10, v26
	v_cndmask_b32_e32 v80, v11, v9, vcc
	s_waitcnt vmcnt(0) lgkmcnt(0)
	v_cndmask_b32_e32 v27, v16, v11, vcc
	v_cndmask_b32_e32 v31, v9, v16, vcc
	v_cmp_le_i32_e64 s[14:15], v31, v27
	s_and_b64 s[12:13], s[12:13], s[14:15]
	s_or_b64 s[8:9], s[8:9], s[12:13]
	v_cndmask_b32_e64 v20, v10, v8, s[8:9]
	v_cndmask_b32_e64 v18, v26, v25, s[8:9]
	v_add_u32_e32 v28, 1, v20
	v_add_u32_e32 v18, -1, v18
	v_lshlrev_b64 v[16:17], 3, v[20:21]
	v_min_u32_e32 v20, v28, v18
	v_lshlrev_b64 v[18:19], 2, v[20:21]
	v_add_co_u32_e64 v18, s[12:13], v22, v18
	v_addc_co_u32_e64 v19, s[12:13], v23, v19, s[12:13]
	flat_load_dword v18, v[18:19]
	v_cndmask_b32_e64 v8, v8, v28, s[8:9]
	v_cndmask_b32_e64 v10, v28, v10, s[8:9]
	v_cmp_lt_u32_e64 s[14:15], v8, v25
	v_cmp_ge_u32_e64 s[12:13], v10, v26
	v_cndmask_b32_e64 v81, v27, v31, s[8:9]
	s_waitcnt vmcnt(0) lgkmcnt(0)
	v_cndmask_b32_e64 v32, v18, v27, s[8:9]
	v_cndmask_b32_e64 v33, v31, v18, s[8:9]
	v_cmp_le_i32_e64 s[18:19], v33, v32
	s_and_b64 s[14:15], s[14:15], s[18:19]
	s_or_b64 s[12:13], s[12:13], s[14:15]
	v_cndmask_b32_e64 v20, v10, v8, s[12:13]
	v_cndmask_b32_e64 v28, v26, v25, s[12:13]
	v_lshlrev_b64 v[18:19], 3, v[20:21]
	v_add_u32_e32 v34, 1, v20
	v_add_u32_e32 v20, -1, v28
	v_min_u32_e32 v20, v34, v20
	v_lshlrev_b64 v[28:29], 2, v[20:21]
	v_add_co_u32_e64 v28, s[14:15], v22, v28
	v_addc_co_u32_e64 v29, s[14:15], v23, v29, s[14:15]
	flat_load_dword v20, v[28:29]
	v_add_co_u32_e64 v14, s[14:15], v12, v14
	v_addc_co_u32_e64 v15, s[14:15], v13, v15, s[14:15]
	v_add_co_u32_e64 v16, s[14:15], v12, v16
	v_addc_co_u32_e64 v17, s[14:15], v13, v17, s[14:15]
	;; [unrolled: 2-line block ×3, first 2 shown]
	v_cndmask_b32_e64 v10, v34, v10, s[12:13]
	v_cndmask_b32_e64 v8, v8, v34, s[12:13]
	v_cmp_ge_u32_e64 s[14:15], v10, v26
	v_cmp_lt_u32_e64 s[18:19], v8, v25
	flat_load_dwordx2 v[14:15], v[14:15]
	v_cndmask_b32_e64 v82, v32, v33, s[12:13]
	flat_load_dwordx2 v[16:17], v[16:17]
	s_waitcnt vmcnt(0) lgkmcnt(0)
	v_cndmask_b32_e64 v25, v20, v32, s[12:13]
	flat_load_dwordx2 v[18:19], v[18:19]
	v_cndmask_b32_e64 v26, v33, v20, s[12:13]
	v_cmp_le_i32_e64 s[20:21], v26, v25
	s_and_b64 s[18:19], s[18:19], s[20:21]
	s_or_b64 s[14:15], s[14:15], s[18:19]
	v_cndmask_b32_e64 v20, v10, v8, s[14:15]
	v_lshlrev_b64 v[20:21], 3, v[20:21]
	v_add_co_u32_e64 v20, s[18:19], v12, v20
	v_addc_co_u32_e64 v21, s[18:19], v13, v21, s[18:19]
	flat_load_dwordx2 v[20:21], v[20:21]
	v_cndmask_b32_e64 v83, v25, v26, s[14:15]
.LBB622_73:
	s_or_b64 exec, exec, s[24:25]
	v_and_b32_e32 v10, 0x1f0, v97
	v_or_b32_e32 v8, 8, v10
	v_min_u32_e32 v25, v24, v8
	v_add_u32_e32 v8, 8, v25
	v_min_u32_e32 v26, v24, v8
	v_and_b32_e32 v8, 12, v97
	v_min_u32_e32 v11, v24, v8
	v_sub_u32_e32 v8, v25, v10
	v_sub_u32_e32 v9, v26, v25
	v_sub_u32_e64 v27, v11, v9 clamp
	v_min_u32_e32 v28, v11, v8
	v_cmp_lt_u32_e32 vcc, v27, v28
	; wave barrier
	flat_store_dwordx4 v[0:1], v[14:17]
	flat_store_dwordx4 v[4:5], v[80:83]
	s_waitcnt vmcnt(0) lgkmcnt(0)
	flat_store_dwordx4 v[0:1], v[18:21] offset:16
	; wave barrier
	s_and_saveexec_b64 s[8:9], vcc
	s_cbranch_execz .LBB622_77
; %bb.74:
	v_lshlrev_b32_e32 v8, 2, v10
	v_add_co_u32_e32 v29, vcc, v22, v8
	v_addc_co_u32_e32 v31, vcc, 0, v23, vcc
	v_lshlrev_b32_e32 v8, 2, v25
	v_add_co_u32_e32 v32, vcc, v22, v8
	v_addc_co_u32_e32 v33, vcc, 0, v23, vcc
	s_mov_b64 s[12:13], 0
	v_mov_b32_e32 v9, 0
.LBB622_75:                             ; =>This Inner Loop Header: Depth=1
	v_add_u32_e32 v8, v28, v27
	v_lshrrev_b32_e32 v8, 1, v8
	v_lshlrev_b64 v[36:37], 2, v[8:9]
	v_mov_b32_e32 v35, v9
	v_xad_u32 v34, v8, -1, v11
	v_add_co_u32_e32 v36, vcc, v29, v36
	v_addc_co_u32_e32 v37, vcc, v31, v37, vcc
	v_lshlrev_b64 v[34:35], 2, v[34:35]
	v_add_co_u32_e32 v34, vcc, v32, v34
	v_addc_co_u32_e32 v35, vcc, v33, v35, vcc
	flat_load_dword v38, v[36:37]
	flat_load_dword v39, v[34:35]
	v_add_u32_e32 v34, 1, v8
	s_waitcnt vmcnt(0) lgkmcnt(0)
	v_cmp_gt_i32_e32 vcc, v38, v39
	v_cndmask_b32_e32 v28, v28, v8, vcc
	v_cndmask_b32_e32 v27, v34, v27, vcc
	v_cmp_ge_u32_e32 vcc, v27, v28
	s_or_b64 s[12:13], vcc, s[12:13]
	s_andn2_b64 exec, exec, s[12:13]
	s_cbranch_execnz .LBB622_75
; %bb.76:
	s_or_b64 exec, exec, s[12:13]
.LBB622_77:
	s_or_b64 exec, exec, s[8:9]
	v_add_u32_e32 v9, v25, v11
	v_add_u32_e32 v8, v27, v10
	v_sub_u32_e32 v10, v9, v27
	v_cmp_le_u32_e32 vcc, v8, v25
	v_cmp_le_u32_e64 s[8:9], v10, v26
	s_or_b64 s[8:9], vcc, s[8:9]
	s_and_saveexec_b64 s[24:25], s[8:9]
	s_cbranch_execz .LBB622_83
; %bb.78:
	v_cmp_lt_u32_e32 vcc, v8, v25
                                        ; implicit-def: $vgpr9
	s_and_saveexec_b64 s[12:13], vcc
	s_cbranch_execz .LBB622_80
; %bb.79:
	v_mov_b32_e32 v9, 0
	v_lshlrev_b64 v[14:15], 2, v[8:9]
	v_add_co_u32_e64 v14, s[8:9], v22, v14
	v_addc_co_u32_e64 v15, s[8:9], v23, v15, s[8:9]
	flat_load_dword v9, v[14:15]
.LBB622_80:
	s_or_b64 exec, exec, s[12:13]
	v_cmp_ge_u32_e64 s[8:9], v10, v26
	v_cmp_lt_u32_e64 s[12:13], v10, v26
                                        ; implicit-def: $vgpr11
	s_and_saveexec_b64 s[14:15], s[12:13]
	s_cbranch_execz .LBB622_82
; %bb.81:
	v_mov_b32_e32 v11, 0
	v_lshlrev_b64 v[14:15], 2, v[10:11]
	v_add_co_u32_e64 v14, s[12:13], v22, v14
	v_addc_co_u32_e64 v15, s[12:13], v23, v15, s[12:13]
	flat_load_dword v11, v[14:15]
.LBB622_82:
	s_or_b64 exec, exec, s[14:15]
	s_waitcnt vmcnt(0) lgkmcnt(0)
	v_cmp_le_i32_e64 s[12:13], v9, v11
	s_and_b64 s[12:13], vcc, s[12:13]
	s_or_b64 vcc, s[8:9], s[12:13]
	v_cndmask_b32_e32 v20, v10, v8, vcc
	v_cndmask_b32_e32 v16, v26, v25, vcc
	v_mov_b32_e32 v21, 0
	v_add_u32_e32 v18, 1, v20
	v_add_u32_e32 v16, -1, v16
	v_lshlrev_b64 v[14:15], 3, v[20:21]
	v_min_u32_e32 v20, v18, v16
	v_lshlrev_b64 v[16:17], 2, v[20:21]
	v_add_co_u32_e64 v16, s[8:9], v22, v16
	v_addc_co_u32_e64 v17, s[8:9], v23, v17, s[8:9]
	flat_load_dword v16, v[16:17]
	v_cndmask_b32_e32 v8, v8, v18, vcc
	v_cndmask_b32_e32 v10, v18, v10, vcc
	v_cmp_lt_u32_e64 s[12:13], v8, v25
	v_cmp_ge_u32_e64 s[8:9], v10, v26
	v_cndmask_b32_e32 v80, v11, v9, vcc
	s_waitcnt vmcnt(0) lgkmcnt(0)
	v_cndmask_b32_e32 v27, v16, v11, vcc
	v_cndmask_b32_e32 v31, v9, v16, vcc
	v_cmp_le_i32_e64 s[14:15], v31, v27
	s_and_b64 s[12:13], s[12:13], s[14:15]
	s_or_b64 s[8:9], s[8:9], s[12:13]
	v_cndmask_b32_e64 v20, v10, v8, s[8:9]
	v_cndmask_b32_e64 v18, v26, v25, s[8:9]
	v_add_u32_e32 v28, 1, v20
	v_add_u32_e32 v18, -1, v18
	v_lshlrev_b64 v[16:17], 3, v[20:21]
	v_min_u32_e32 v20, v28, v18
	v_lshlrev_b64 v[18:19], 2, v[20:21]
	v_add_co_u32_e64 v18, s[12:13], v22, v18
	v_addc_co_u32_e64 v19, s[12:13], v23, v19, s[12:13]
	flat_load_dword v18, v[18:19]
	v_cndmask_b32_e64 v8, v8, v28, s[8:9]
	v_cndmask_b32_e64 v10, v28, v10, s[8:9]
	v_cmp_lt_u32_e64 s[14:15], v8, v25
	v_cmp_ge_u32_e64 s[12:13], v10, v26
	v_cndmask_b32_e64 v81, v27, v31, s[8:9]
	s_waitcnt vmcnt(0) lgkmcnt(0)
	v_cndmask_b32_e64 v32, v18, v27, s[8:9]
	v_cndmask_b32_e64 v33, v31, v18, s[8:9]
	v_cmp_le_i32_e64 s[18:19], v33, v32
	s_and_b64 s[14:15], s[14:15], s[18:19]
	s_or_b64 s[12:13], s[12:13], s[14:15]
	v_cndmask_b32_e64 v20, v10, v8, s[12:13]
	v_cndmask_b32_e64 v28, v26, v25, s[12:13]
	v_lshlrev_b64 v[18:19], 3, v[20:21]
	v_add_u32_e32 v34, 1, v20
	v_add_u32_e32 v20, -1, v28
	v_min_u32_e32 v20, v34, v20
	v_lshlrev_b64 v[28:29], 2, v[20:21]
	v_add_co_u32_e64 v28, s[14:15], v22, v28
	v_addc_co_u32_e64 v29, s[14:15], v23, v29, s[14:15]
	flat_load_dword v20, v[28:29]
	v_add_co_u32_e64 v14, s[14:15], v12, v14
	v_addc_co_u32_e64 v15, s[14:15], v13, v15, s[14:15]
	v_add_co_u32_e64 v16, s[14:15], v12, v16
	v_addc_co_u32_e64 v17, s[14:15], v13, v17, s[14:15]
	;; [unrolled: 2-line block ×3, first 2 shown]
	v_cndmask_b32_e64 v10, v34, v10, s[12:13]
	v_cndmask_b32_e64 v8, v8, v34, s[12:13]
	v_cmp_ge_u32_e64 s[14:15], v10, v26
	v_cmp_lt_u32_e64 s[18:19], v8, v25
	flat_load_dwordx2 v[14:15], v[14:15]
	v_cndmask_b32_e64 v82, v32, v33, s[12:13]
	flat_load_dwordx2 v[16:17], v[16:17]
	s_waitcnt vmcnt(0) lgkmcnt(0)
	v_cndmask_b32_e64 v25, v20, v32, s[12:13]
	flat_load_dwordx2 v[18:19], v[18:19]
	v_cndmask_b32_e64 v26, v33, v20, s[12:13]
	v_cmp_le_i32_e64 s[20:21], v26, v25
	s_and_b64 s[18:19], s[18:19], s[20:21]
	s_or_b64 s[14:15], s[14:15], s[18:19]
	v_cndmask_b32_e64 v20, v10, v8, s[14:15]
	v_lshlrev_b64 v[20:21], 3, v[20:21]
	v_add_co_u32_e64 v20, s[18:19], v12, v20
	v_addc_co_u32_e64 v21, s[18:19], v13, v21, s[18:19]
	flat_load_dwordx2 v[20:21], v[20:21]
	v_cndmask_b32_e64 v83, v25, v26, s[14:15]
.LBB622_83:
	s_or_b64 exec, exec, s[24:25]
	; wave barrier
	flat_store_dwordx4 v[0:1], v[14:17]
	flat_store_dwordx4 v[4:5], v[80:83]
	s_waitcnt vmcnt(0) lgkmcnt(0)
	flat_store_dwordx4 v[0:1], v[18:21] offset:16
	v_and_b32_e32 v4, 0x1e0, v97
	v_or_b32_e32 v0, 16, v4
	v_min_u32_e32 v8, v24, v0
	v_add_u32_e32 v0, 16, v8
	v_min_u32_e32 v9, v24, v0
	v_min_u32_e32 v5, v24, v98
	v_sub_u32_e32 v0, v8, v4
	v_sub_u32_e32 v1, v9, v8
	v_sub_u32_e64 v10, v5, v1 clamp
	v_min_u32_e32 v11, v5, v0
	v_cmp_lt_u32_e32 vcc, v10, v11
	; wave barrier
	s_and_saveexec_b64 s[8:9], vcc
	s_cbranch_execz .LBB622_87
; %bb.84:
	v_lshlrev_b32_e32 v0, 2, v4
	v_add_co_u32_e32 v24, vcc, v22, v0
	v_addc_co_u32_e32 v25, vcc, 0, v23, vcc
	v_lshlrev_b32_e32 v0, 2, v8
	v_add_co_u32_e32 v26, vcc, v22, v0
	v_addc_co_u32_e32 v27, vcc, 0, v23, vcc
	s_mov_b64 s[12:13], 0
	v_mov_b32_e32 v1, 0
.LBB622_85:                             ; =>This Inner Loop Header: Depth=1
	v_add_u32_e32 v0, v11, v10
	v_lshrrev_b32_e32 v0, 1, v0
	v_lshlrev_b64 v[32:33], 2, v[0:1]
	v_mov_b32_e32 v29, v1
	v_xad_u32 v28, v0, -1, v5
	v_add_co_u32_e32 v32, vcc, v24, v32
	v_addc_co_u32_e32 v33, vcc, v25, v33, vcc
	v_lshlrev_b64 v[28:29], 2, v[28:29]
	v_add_co_u32_e32 v28, vcc, v26, v28
	v_addc_co_u32_e32 v29, vcc, v27, v29, vcc
	flat_load_dword v31, v[32:33]
	flat_load_dword v34, v[28:29]
	v_add_u32_e32 v28, 1, v0
	s_waitcnt vmcnt(0) lgkmcnt(0)
	v_cmp_gt_i32_e32 vcc, v31, v34
	v_cndmask_b32_e32 v11, v11, v0, vcc
	v_cndmask_b32_e32 v10, v28, v10, vcc
	v_cmp_ge_u32_e32 vcc, v10, v11
	s_or_b64 s[12:13], vcc, s[12:13]
	s_andn2_b64 exec, exec, s[12:13]
	s_cbranch_execnz .LBB622_85
; %bb.86:
	s_or_b64 exec, exec, s[12:13]
.LBB622_87:
	s_or_b64 exec, exec, s[8:9]
	v_add_u32_e32 v1, v8, v5
	v_add_u32_e32 v0, v10, v4
	v_sub_u32_e32 v4, v1, v10
	v_cmp_le_u32_e32 vcc, v0, v8
	v_cmp_le_u32_e64 s[8:9], v4, v9
	s_or_b64 s[8:9], vcc, s[8:9]
	s_and_saveexec_b64 s[24:25], s[8:9]
	s_cbranch_execz .LBB622_93
; %bb.88:
	v_cmp_lt_u32_e32 vcc, v0, v8
                                        ; implicit-def: $vgpr1
	s_and_saveexec_b64 s[12:13], vcc
	s_cbranch_execz .LBB622_90
; %bb.89:
	v_mov_b32_e32 v1, 0
	v_lshlrev_b64 v[10:11], 2, v[0:1]
	v_add_co_u32_e64 v10, s[8:9], v22, v10
	v_addc_co_u32_e64 v11, s[8:9], v23, v11, s[8:9]
	flat_load_dword v1, v[10:11]
.LBB622_90:
	s_or_b64 exec, exec, s[12:13]
	v_cmp_ge_u32_e64 s[8:9], v4, v9
	v_cmp_lt_u32_e64 s[12:13], v4, v9
                                        ; implicit-def: $vgpr5
	s_and_saveexec_b64 s[14:15], s[12:13]
	s_cbranch_execz .LBB622_92
; %bb.91:
	v_mov_b32_e32 v5, 0
	v_lshlrev_b64 v[10:11], 2, v[4:5]
	v_add_co_u32_e64 v10, s[12:13], v22, v10
	v_addc_co_u32_e64 v11, s[12:13], v23, v11, s[12:13]
	flat_load_dword v5, v[10:11]
.LBB622_92:
	s_or_b64 exec, exec, s[14:15]
	s_waitcnt vmcnt(0) lgkmcnt(0)
	v_cmp_le_i32_e64 s[12:13], v1, v5
	s_and_b64 s[12:13], vcc, s[12:13]
	s_or_b64 vcc, s[8:9], s[12:13]
	v_cndmask_b32_e32 v10, v4, v0, vcc
	v_cndmask_b32_e32 v16, v9, v8, vcc
	v_mov_b32_e32 v11, 0
	v_lshlrev_b64 v[14:15], 3, v[10:11]
	v_add_u32_e32 v18, 1, v10
	v_add_u32_e32 v10, -1, v16
	v_min_u32_e32 v10, v18, v10
	v_lshlrev_b64 v[16:17], 2, v[10:11]
	v_add_co_u32_e64 v16, s[8:9], v22, v16
	v_addc_co_u32_e64 v17, s[8:9], v23, v17, s[8:9]
	flat_load_dword v10, v[16:17]
	v_cndmask_b32_e32 v0, v0, v18, vcc
	v_cndmask_b32_e32 v4, v18, v4, vcc
	v_cmp_lt_u32_e64 s[12:13], v0, v8
	v_cmp_ge_u32_e64 s[8:9], v4, v9
	v_cndmask_b32_e32 v80, v5, v1, vcc
	s_waitcnt vmcnt(0) lgkmcnt(0)
	v_cndmask_b32_e32 v24, v10, v5, vcc
	v_cndmask_b32_e32 v25, v1, v10, vcc
	v_cmp_le_i32_e64 s[14:15], v25, v24
	s_and_b64 s[12:13], s[12:13], s[14:15]
	s_or_b64 s[8:9], s[8:9], s[12:13]
	v_cndmask_b32_e64 v10, v4, v0, s[8:9]
	v_cndmask_b32_e64 v18, v9, v8, s[8:9]
	v_lshlrev_b64 v[16:17], 3, v[10:11]
	v_add_u32_e32 v20, 1, v10
	v_add_u32_e32 v10, -1, v18
	v_min_u32_e32 v10, v20, v10
	v_lshlrev_b64 v[18:19], 2, v[10:11]
	v_add_co_u32_e64 v18, s[12:13], v22, v18
	v_addc_co_u32_e64 v19, s[12:13], v23, v19, s[12:13]
	flat_load_dword v10, v[18:19]
	v_cndmask_b32_e64 v0, v0, v20, s[8:9]
	v_cndmask_b32_e64 v4, v20, v4, s[8:9]
	v_cmp_lt_u32_e64 s[14:15], v0, v8
	v_cmp_ge_u32_e64 s[12:13], v4, v9
	v_cndmask_b32_e64 v81, v24, v25, s[8:9]
	s_waitcnt vmcnt(0) lgkmcnt(0)
	v_cndmask_b32_e64 v26, v10, v24, s[8:9]
	v_cndmask_b32_e64 v27, v25, v10, s[8:9]
	v_cmp_le_i32_e64 s[18:19], v27, v26
	s_and_b64 s[14:15], s[14:15], s[18:19]
	s_or_b64 s[12:13], s[12:13], s[14:15]
	v_cndmask_b32_e64 v10, v4, v0, s[12:13]
	v_cndmask_b32_e64 v20, v9, v8, s[12:13]
	v_lshlrev_b64 v[18:19], 3, v[10:11]
	v_add_u32_e32 v28, 1, v10
	v_add_u32_e32 v10, -1, v20
	v_min_u32_e32 v10, v28, v10
	v_lshlrev_b64 v[20:21], 2, v[10:11]
	v_add_co_u32_e64 v20, s[14:15], v22, v20
	v_addc_co_u32_e64 v21, s[14:15], v23, v21, s[14:15]
	flat_load_dword v10, v[20:21]
	v_add_co_u32_e64 v14, s[14:15], v12, v14
	v_addc_co_u32_e64 v15, s[14:15], v13, v15, s[14:15]
	v_add_co_u32_e64 v16, s[14:15], v12, v16
	v_addc_co_u32_e64 v17, s[14:15], v13, v17, s[14:15]
	v_add_co_u32_e64 v18, s[14:15], v12, v18
	v_cndmask_b32_e64 v0, v0, v28, s[12:13]
	v_addc_co_u32_e64 v19, s[14:15], v13, v19, s[14:15]
	v_cndmask_b32_e64 v4, v28, v4, s[12:13]
	v_cmp_lt_u32_e64 s[18:19], v0, v8
	v_cmp_ge_u32_e64 s[14:15], v4, v9
	flat_load_dwordx2 v[14:15], v[14:15]
	v_cndmask_b32_e64 v82, v26, v27, s[12:13]
	flat_load_dwordx2 v[16:17], v[16:17]
	s_waitcnt vmcnt(0) lgkmcnt(0)
	v_cndmask_b32_e64 v22, v10, v26, s[12:13]
	flat_load_dwordx2 v[18:19], v[18:19]
	v_cndmask_b32_e64 v23, v27, v10, s[12:13]
	v_cmp_le_i32_e64 s[20:21], v23, v22
	s_and_b64 s[18:19], s[18:19], s[20:21]
	s_or_b64 s[14:15], s[14:15], s[18:19]
	v_cndmask_b32_e64 v10, v4, v0, s[14:15]
	v_lshlrev_b64 v[8:9], 3, v[10:11]
	v_add_co_u32_e64 v8, s[18:19], v12, v8
	v_addc_co_u32_e64 v9, s[18:19], v13, v9, s[18:19]
	flat_load_dwordx2 v[20:21], v[8:9]
	v_cndmask_b32_e64 v83, v22, v23, s[14:15]
.LBB622_93:
	s_or_b64 exec, exec, s[24:25]
	; wave barrier
	s_waitcnt lgkmcnt(0)
	s_barrier
.LBB622_94:
	s_or_b64 exec, exec, s[22:23]
	v_add_co_u32_e32 v0, vcc, v2, v84
	v_addc_co_u32_e32 v1, vcc, v3, v85, vcc
	v_add_co_u32_e32 v0, vcc, v0, v30
	v_addc_co_u32_e32 v1, vcc, 0, v1, vcc
	s_waitcnt lgkmcnt(0)
	; wave barrier
	s_and_saveexec_b64 s[8:9], s[4:5]
	s_cbranch_execz .LBB622_100
; %bb.95:
	s_waitcnt vmcnt(0) lgkmcnt(0)
	flat_store_dword v[0:1], v80
	s_or_b64 exec, exec, s[8:9]
	s_and_saveexec_b64 s[8:9], s[6:7]
	s_cbranch_execnz .LBB622_101
.LBB622_96:
	s_or_b64 exec, exec, s[8:9]
	s_and_saveexec_b64 s[8:9], s[16:17]
	s_cbranch_execz .LBB622_102
.LBB622_97:
	s_waitcnt vmcnt(0) lgkmcnt(0)
	flat_store_dword v[0:1], v82 offset:8
	s_or_b64 exec, exec, s[8:9]
	s_and_saveexec_b64 s[8:9], s[10:11]
	s_cbranch_execnz .LBB622_103
	s_branch .LBB622_104
.LBB622_98:
	s_or_b64 exec, exec, s[14:15]
                                        ; implicit-def: $vgpr18_vgpr19
	s_and_saveexec_b64 s[14:15], s[16:17]
	s_cbranch_execz .LBB622_12
.LBB622_99:
	flat_load_dwordx2 v[36:37], v[0:1] offset:16
	s_waitcnt vmcnt(0) lgkmcnt(0)
	v_pk_mov_b32 v[18:19], v[36:37], v[36:37] op_sel:[0,1]
	s_or_b64 exec, exec, s[14:15]
	s_and_saveexec_b64 s[14:15], s[10:11]
	s_cbranch_execnz .LBB622_13
	s_branch .LBB622_14
.LBB622_100:
	s_or_b64 exec, exec, s[8:9]
	s_and_saveexec_b64 s[8:9], s[6:7]
	s_cbranch_execz .LBB622_96
.LBB622_101:
	s_waitcnt vmcnt(0) lgkmcnt(0)
	flat_store_dword v[0:1], v81 offset:4
	s_or_b64 exec, exec, s[8:9]
	s_and_saveexec_b64 s[8:9], s[16:17]
	s_cbranch_execnz .LBB622_97
.LBB622_102:
	s_or_b64 exec, exec, s[8:9]
	s_and_saveexec_b64 s[8:9], s[10:11]
	s_cbranch_execz .LBB622_104
.LBB622_103:
	s_waitcnt vmcnt(0) lgkmcnt(0)
	flat_store_dword v[0:1], v83 offset:12
.LBB622_104:
	s_or_b64 exec, exec, s[8:9]
	v_add_co_u32_e32 v0, vcc, v6, v86
	v_addc_co_u32_e32 v1, vcc, v7, v87, vcc
	v_add_co_u32_e32 v0, vcc, v0, v96
	v_addc_co_u32_e32 v1, vcc, 0, v1, vcc
	; wave barrier
	s_and_saveexec_b64 s[8:9], s[4:5]
	s_cbranch_execz .LBB622_109
; %bb.105:
	s_waitcnt vmcnt(0) lgkmcnt(0)
	flat_store_dwordx2 v[0:1], v[14:15]
	s_or_b64 exec, exec, s[8:9]
	s_and_saveexec_b64 s[4:5], s[6:7]
	s_cbranch_execnz .LBB622_110
.LBB622_106:
	s_or_b64 exec, exec, s[4:5]
	s_and_saveexec_b64 s[4:5], s[16:17]
	s_cbranch_execz .LBB622_111
.LBB622_107:
	s_waitcnt vmcnt(0)
	flat_store_dwordx2 v[0:1], v[18:19] offset:16
	s_or_b64 exec, exec, s[4:5]
	s_and_saveexec_b64 s[4:5], s[10:11]
	s_cbranch_execnz .LBB622_112
.LBB622_108:
	s_or_b64 exec, exec, s[4:5]
	s_waitcnt vmcnt(0) lgkmcnt(0)
	s_setpc_b64 s[30:31]
.LBB622_109:
	s_or_b64 exec, exec, s[8:9]
	s_and_saveexec_b64 s[4:5], s[6:7]
	s_cbranch_execz .LBB622_106
.LBB622_110:
	s_waitcnt vmcnt(0) lgkmcnt(0)
	flat_store_dwordx2 v[0:1], v[16:17] offset:8
	s_or_b64 exec, exec, s[4:5]
	s_and_saveexec_b64 s[4:5], s[16:17]
	s_cbranch_execnz .LBB622_107
.LBB622_111:
	s_or_b64 exec, exec, s[4:5]
	s_and_saveexec_b64 s[4:5], s[10:11]
	s_cbranch_execz .LBB622_108
.LBB622_112:
	s_waitcnt vmcnt(0)
	flat_store_dwordx2 v[0:1], v[20:21] offset:24
	s_or_b64 exec, exec, s[4:5]
	s_waitcnt vmcnt(0) lgkmcnt(0)
	s_setpc_b64 s[30:31]
.Lfunc_end622:
	.size	_ZN7rocprim17ROCPRIM_400000_NS6detail26segmented_warp_sort_helperINS1_20WarpSortHelperConfigILj8ELj4ELj256EEEilLi256ELb0EvE4sortIPKiPiPKlPlEEvT_T0_T1_T2_jjjjRNS5_12storage_typeE, .Lfunc_end622-_ZN7rocprim17ROCPRIM_400000_NS6detail26segmented_warp_sort_helperINS1_20WarpSortHelperConfigILj8ELj4ELj256EEEilLi256ELb0EvE4sortIPKiPiPKlPlEEvT_T0_T1_T2_jjjjRNS5_12storage_typeE
                                        ; -- End function
	.section	.AMDGPU.csdata,"",@progbits
; Function info:
; codeLenInByte = 7552
; NumSgprs: 36
; NumVgprs: 99
; NumAgprs: 0
; TotalNumVgprs: 99
; ScratchSize: 0
; MemoryBound: 1
	.section	.text._ZN7rocprim17ROCPRIM_400000_NS6detail17trampoline_kernelINS0_14default_configENS1_36segmented_radix_sort_config_selectorIilEEZNS1_25segmented_radix_sort_implIS3_Lb0EPKiPiPKlPlN2at6native12_GLOBAL__N_18offset_tEEE10hipError_tPvRmT1_PNSt15iterator_traitsISK_E10value_typeET2_T3_PNSL_ISQ_E10value_typeET4_jRbjT5_SW_jjP12ihipStream_tbEUlT_E1_NS1_11comp_targetILNS1_3genE4ELNS1_11target_archE910ELNS1_3gpuE8ELNS1_3repE0EEENS1_59segmented_radix_sort_warp_sort_small_config_static_selectorELNS0_4arch9wavefront6targetE1EEEvSK_,"axG",@progbits,_ZN7rocprim17ROCPRIM_400000_NS6detail17trampoline_kernelINS0_14default_configENS1_36segmented_radix_sort_config_selectorIilEEZNS1_25segmented_radix_sort_implIS3_Lb0EPKiPiPKlPlN2at6native12_GLOBAL__N_18offset_tEEE10hipError_tPvRmT1_PNSt15iterator_traitsISK_E10value_typeET2_T3_PNSL_ISQ_E10value_typeET4_jRbjT5_SW_jjP12ihipStream_tbEUlT_E1_NS1_11comp_targetILNS1_3genE4ELNS1_11target_archE910ELNS1_3gpuE8ELNS1_3repE0EEENS1_59segmented_radix_sort_warp_sort_small_config_static_selectorELNS0_4arch9wavefront6targetE1EEEvSK_,comdat
	.globl	_ZN7rocprim17ROCPRIM_400000_NS6detail17trampoline_kernelINS0_14default_configENS1_36segmented_radix_sort_config_selectorIilEEZNS1_25segmented_radix_sort_implIS3_Lb0EPKiPiPKlPlN2at6native12_GLOBAL__N_18offset_tEEE10hipError_tPvRmT1_PNSt15iterator_traitsISK_E10value_typeET2_T3_PNSL_ISQ_E10value_typeET4_jRbjT5_SW_jjP12ihipStream_tbEUlT_E1_NS1_11comp_targetILNS1_3genE4ELNS1_11target_archE910ELNS1_3gpuE8ELNS1_3repE0EEENS1_59segmented_radix_sort_warp_sort_small_config_static_selectorELNS0_4arch9wavefront6targetE1EEEvSK_ ; -- Begin function _ZN7rocprim17ROCPRIM_400000_NS6detail17trampoline_kernelINS0_14default_configENS1_36segmented_radix_sort_config_selectorIilEEZNS1_25segmented_radix_sort_implIS3_Lb0EPKiPiPKlPlN2at6native12_GLOBAL__N_18offset_tEEE10hipError_tPvRmT1_PNSt15iterator_traitsISK_E10value_typeET2_T3_PNSL_ISQ_E10value_typeET4_jRbjT5_SW_jjP12ihipStream_tbEUlT_E1_NS1_11comp_targetILNS1_3genE4ELNS1_11target_archE910ELNS1_3gpuE8ELNS1_3repE0EEENS1_59segmented_radix_sort_warp_sort_small_config_static_selectorELNS0_4arch9wavefront6targetE1EEEvSK_
	.p2align	8
	.type	_ZN7rocprim17ROCPRIM_400000_NS6detail17trampoline_kernelINS0_14default_configENS1_36segmented_radix_sort_config_selectorIilEEZNS1_25segmented_radix_sort_implIS3_Lb0EPKiPiPKlPlN2at6native12_GLOBAL__N_18offset_tEEE10hipError_tPvRmT1_PNSt15iterator_traitsISK_E10value_typeET2_T3_PNSL_ISQ_E10value_typeET4_jRbjT5_SW_jjP12ihipStream_tbEUlT_E1_NS1_11comp_targetILNS1_3genE4ELNS1_11target_archE910ELNS1_3gpuE8ELNS1_3repE0EEENS1_59segmented_radix_sort_warp_sort_small_config_static_selectorELNS0_4arch9wavefront6targetE1EEEvSK_,@function
_ZN7rocprim17ROCPRIM_400000_NS6detail17trampoline_kernelINS0_14default_configENS1_36segmented_radix_sort_config_selectorIilEEZNS1_25segmented_radix_sort_implIS3_Lb0EPKiPiPKlPlN2at6native12_GLOBAL__N_18offset_tEEE10hipError_tPvRmT1_PNSt15iterator_traitsISK_E10value_typeET2_T3_PNSL_ISQ_E10value_typeET4_jRbjT5_SW_jjP12ihipStream_tbEUlT_E1_NS1_11comp_targetILNS1_3genE4ELNS1_11target_archE910ELNS1_3gpuE8ELNS1_3repE0EEENS1_59segmented_radix_sort_warp_sort_small_config_static_selectorELNS0_4arch9wavefront6targetE1EEEvSK_: ; @_ZN7rocprim17ROCPRIM_400000_NS6detail17trampoline_kernelINS0_14default_configENS1_36segmented_radix_sort_config_selectorIilEEZNS1_25segmented_radix_sort_implIS3_Lb0EPKiPiPKlPlN2at6native12_GLOBAL__N_18offset_tEEE10hipError_tPvRmT1_PNSt15iterator_traitsISK_E10value_typeET2_T3_PNSL_ISQ_E10value_typeET4_jRbjT5_SW_jjP12ihipStream_tbEUlT_E1_NS1_11comp_targetILNS1_3genE4ELNS1_11target_archE910ELNS1_3gpuE8ELNS1_3repE0EEENS1_59segmented_radix_sort_warp_sort_small_config_static_selectorELNS0_4arch9wavefront6targetE1EEEvSK_
; %bb.0:
	s_add_u32 flat_scratch_lo, s6, s10
	s_addc_u32 flat_scratch_hi, s7, 0
	s_add_u32 s0, s0, s10
	s_load_dword s6, s[4:5], 0x64
	s_load_dword s10, s[4:5], 0x34
	s_addc_u32 s1, s1, 0
	v_bfe_u32 v1, v0, 10, 10
	v_bfe_u32 v2, v0, 20, 10
	s_waitcnt lgkmcnt(0)
	s_lshr_b32 s7, s6, 16
	s_and_b32 s6, s6, 0xffff
	v_mad_u32_u24 v1, v2, s7, v1
	v_and_b32_e32 v2, 0x3ff, v0
	v_mad_u64_u32 v[2:3], s[6:7], v1, s6, v[2:3]
	v_lshrrev_b32_e32 v1, 3, v2
	v_lshl_add_u32 v2, s8, 5, v1
	v_cmp_gt_u32_e32 vcc, s10, v2
	s_mov_b32 s32, 0
	s_and_saveexec_b64 s[6:7], vcc
	s_cbranch_execz .LBB623_6
; %bb.1:
	s_load_dwordx2 s[6:7], s[4:5], 0x38
	s_load_dwordx4 s[12:15], s[4:5], 0x40
	v_mov_b32_e32 v3, 0
	v_lshlrev_b64 v[2:3], 2, v[2:3]
	s_waitcnt lgkmcnt(0)
	v_mov_b32_e32 v1, s7
	v_sub_co_u32_e32 v2, vcc, s6, v2
	v_subb_co_u32_e32 v3, vcc, v1, v3, vcc
	global_load_dword v1, v[2:3], off offset:-4
	s_waitcnt vmcnt(0)
	v_add_u32_e32 v2, s13, v1
	v_add_u32_e32 v1, s15, v1
	v_mul_lo_u32 v40, v2, s12
	v_mul_lo_u32 v41, v1, s14
	v_cmp_gt_u32_e32 vcc, v41, v40
	s_and_b64 exec, exec, vcc
	s_cbranch_execz .LBB623_6
; %bb.2:
	s_load_dwordx4 s[44:47], s[4:5], 0x20
	s_load_dword s6, s[4:5], 0x30
	s_load_dwordx8 s[36:43], s[4:5], 0x0
	s_load_dwordx2 s[48:49], s[4:5], 0x50
	s_mov_b32 s34, s8
	s_mov_b32 s33, s9
	s_waitcnt lgkmcnt(0)
	s_bitcmp0_b32 s6, 0
	s_mov_b64 s[6:7], -1
	s_cbranch_scc0 .LBB623_4
; %bb.3:
	s_add_u32 s8, s4, 0x58
	s_mov_b64 s[6:7], src_shared_base
	s_addc_u32 s9, s5, 0
	s_mov_b32 s12, s34
	s_mov_b32 s13, s33
	v_mov_b32_e32 v31, v0
	v_mov_b32_e32 v42, v0
	;; [unrolled: 1-line block ×16, first 2 shown]
	s_getpc_b64 s[10:11]
	s_add_u32 s10, s10, _ZN7rocprim17ROCPRIM_400000_NS6detail26segmented_warp_sort_helperINS1_20WarpSortHelperConfigILj8ELj4ELj256EEEilLi256ELb0EvE4sortIPKiPiPKlPlEEvT_T0_T1_T2_jjjjRNS5_12storage_typeE@rel32@lo+4
	s_addc_u32 s11, s11, _ZN7rocprim17ROCPRIM_400000_NS6detail26segmented_warp_sort_helperINS1_20WarpSortHelperConfigILj8ELj4ELj256EEEilLi256ELb0EvE4sortIPKiPiPKlPlEEvT_T0_T1_T2_jjjjRNS5_12storage_typeE@rel32@hi+12
	s_mov_b64 s[38:39], s[4:5]
	s_swappc_b64 s[30:31], s[10:11]
	v_mov_b32_e32 v0, v42
	s_mov_b64 s[4:5], s[38:39]
	s_mov_b64 s[6:7], 0
.LBB623_4:
	s_andn2_b64 vcc, exec, s[6:7]
	s_cbranch_vccnz .LBB623_6
; %bb.5:
	s_add_u32 s8, s4, 0x58
	s_addc_u32 s9, s5, 0
	s_mov_b64 s[4:5], src_shared_base
	s_mov_b32 s12, s34
	s_mov_b32 s13, s33
	v_mov_b32_e32 v31, v0
	v_mov_b32_e32 v0, s36
	v_mov_b32_e32 v1, s37
	v_mov_b32_e32 v2, s40
	v_mov_b32_e32 v3, s41
	v_mov_b32_e32 v4, s42
	v_mov_b32_e32 v5, s43
	v_mov_b32_e32 v6, s46
	v_mov_b32_e32 v7, s47
	v_mov_b32_e32 v8, v40
	v_mov_b32_e32 v9, v41
	v_mov_b32_e32 v10, s48
	v_mov_b32_e32 v11, s49
	v_mov_b32_e32 v12, 0
	v_mov_b32_e32 v13, s5
	s_getpc_b64 s[6:7]
	s_add_u32 s6, s6, _ZN7rocprim17ROCPRIM_400000_NS6detail26segmented_warp_sort_helperINS1_20WarpSortHelperConfigILj8ELj4ELj256EEEilLi256ELb0EvE4sortIPKiPiPKlPlEEvT_T0_T1_T2_jjjjRNS5_12storage_typeE@rel32@lo+4
	s_addc_u32 s7, s7, _ZN7rocprim17ROCPRIM_400000_NS6detail26segmented_warp_sort_helperINS1_20WarpSortHelperConfigILj8ELj4ELj256EEEilLi256ELb0EvE4sortIPKiPiPKlPlEEvT_T0_T1_T2_jjjjRNS5_12storage_typeE@rel32@hi+12
	s_swappc_b64 s[30:31], s[6:7]
.LBB623_6:
	s_endpgm
	.section	.rodata,"a",@progbits
	.p2align	6, 0x0
	.amdhsa_kernel _ZN7rocprim17ROCPRIM_400000_NS6detail17trampoline_kernelINS0_14default_configENS1_36segmented_radix_sort_config_selectorIilEEZNS1_25segmented_radix_sort_implIS3_Lb0EPKiPiPKlPlN2at6native12_GLOBAL__N_18offset_tEEE10hipError_tPvRmT1_PNSt15iterator_traitsISK_E10value_typeET2_T3_PNSL_ISQ_E10value_typeET4_jRbjT5_SW_jjP12ihipStream_tbEUlT_E1_NS1_11comp_targetILNS1_3genE4ELNS1_11target_archE910ELNS1_3gpuE8ELNS1_3repE0EEENS1_59segmented_radix_sort_warp_sort_small_config_static_selectorELNS0_4arch9wavefront6targetE1EEEvSK_
		.amdhsa_group_segment_fixed_size 12288
		.amdhsa_private_segment_fixed_size 0
		.amdhsa_kernarg_size 344
		.amdhsa_user_sgpr_count 8
		.amdhsa_user_sgpr_private_segment_buffer 1
		.amdhsa_user_sgpr_dispatch_ptr 0
		.amdhsa_user_sgpr_queue_ptr 0
		.amdhsa_user_sgpr_kernarg_segment_ptr 1
		.amdhsa_user_sgpr_dispatch_id 0
		.amdhsa_user_sgpr_flat_scratch_init 1
		.amdhsa_user_sgpr_kernarg_preload_length 0
		.amdhsa_user_sgpr_kernarg_preload_offset 0
		.amdhsa_user_sgpr_private_segment_size 0
		.amdhsa_uses_dynamic_stack 0
		.amdhsa_system_sgpr_private_segment_wavefront_offset 0
		.amdhsa_system_sgpr_workgroup_id_x 1
		.amdhsa_system_sgpr_workgroup_id_y 1
		.amdhsa_system_sgpr_workgroup_id_z 0
		.amdhsa_system_sgpr_workgroup_info 0
		.amdhsa_system_vgpr_workitem_id 2
		.amdhsa_next_free_vgpr 99
		.amdhsa_next_free_sgpr 50
		.amdhsa_accum_offset 100
		.amdhsa_reserve_vcc 1
		.amdhsa_reserve_flat_scratch 1
		.amdhsa_float_round_mode_32 0
		.amdhsa_float_round_mode_16_64 0
		.amdhsa_float_denorm_mode_32 3
		.amdhsa_float_denorm_mode_16_64 3
		.amdhsa_dx10_clamp 1
		.amdhsa_ieee_mode 1
		.amdhsa_fp16_overflow 0
		.amdhsa_tg_split 0
		.amdhsa_exception_fp_ieee_invalid_op 0
		.amdhsa_exception_fp_denorm_src 0
		.amdhsa_exception_fp_ieee_div_zero 0
		.amdhsa_exception_fp_ieee_overflow 0
		.amdhsa_exception_fp_ieee_underflow 0
		.amdhsa_exception_fp_ieee_inexact 0
		.amdhsa_exception_int_div_zero 0
	.end_amdhsa_kernel
	.section	.text._ZN7rocprim17ROCPRIM_400000_NS6detail17trampoline_kernelINS0_14default_configENS1_36segmented_radix_sort_config_selectorIilEEZNS1_25segmented_radix_sort_implIS3_Lb0EPKiPiPKlPlN2at6native12_GLOBAL__N_18offset_tEEE10hipError_tPvRmT1_PNSt15iterator_traitsISK_E10value_typeET2_T3_PNSL_ISQ_E10value_typeET4_jRbjT5_SW_jjP12ihipStream_tbEUlT_E1_NS1_11comp_targetILNS1_3genE4ELNS1_11target_archE910ELNS1_3gpuE8ELNS1_3repE0EEENS1_59segmented_radix_sort_warp_sort_small_config_static_selectorELNS0_4arch9wavefront6targetE1EEEvSK_,"axG",@progbits,_ZN7rocprim17ROCPRIM_400000_NS6detail17trampoline_kernelINS0_14default_configENS1_36segmented_radix_sort_config_selectorIilEEZNS1_25segmented_radix_sort_implIS3_Lb0EPKiPiPKlPlN2at6native12_GLOBAL__N_18offset_tEEE10hipError_tPvRmT1_PNSt15iterator_traitsISK_E10value_typeET2_T3_PNSL_ISQ_E10value_typeET4_jRbjT5_SW_jjP12ihipStream_tbEUlT_E1_NS1_11comp_targetILNS1_3genE4ELNS1_11target_archE910ELNS1_3gpuE8ELNS1_3repE0EEENS1_59segmented_radix_sort_warp_sort_small_config_static_selectorELNS0_4arch9wavefront6targetE1EEEvSK_,comdat
.Lfunc_end623:
	.size	_ZN7rocprim17ROCPRIM_400000_NS6detail17trampoline_kernelINS0_14default_configENS1_36segmented_radix_sort_config_selectorIilEEZNS1_25segmented_radix_sort_implIS3_Lb0EPKiPiPKlPlN2at6native12_GLOBAL__N_18offset_tEEE10hipError_tPvRmT1_PNSt15iterator_traitsISK_E10value_typeET2_T3_PNSL_ISQ_E10value_typeET4_jRbjT5_SW_jjP12ihipStream_tbEUlT_E1_NS1_11comp_targetILNS1_3genE4ELNS1_11target_archE910ELNS1_3gpuE8ELNS1_3repE0EEENS1_59segmented_radix_sort_warp_sort_small_config_static_selectorELNS0_4arch9wavefront6targetE1EEEvSK_, .Lfunc_end623-_ZN7rocprim17ROCPRIM_400000_NS6detail17trampoline_kernelINS0_14default_configENS1_36segmented_radix_sort_config_selectorIilEEZNS1_25segmented_radix_sort_implIS3_Lb0EPKiPiPKlPlN2at6native12_GLOBAL__N_18offset_tEEE10hipError_tPvRmT1_PNSt15iterator_traitsISK_E10value_typeET2_T3_PNSL_ISQ_E10value_typeET4_jRbjT5_SW_jjP12ihipStream_tbEUlT_E1_NS1_11comp_targetILNS1_3genE4ELNS1_11target_archE910ELNS1_3gpuE8ELNS1_3repE0EEENS1_59segmented_radix_sort_warp_sort_small_config_static_selectorELNS0_4arch9wavefront6targetE1EEEvSK_
                                        ; -- End function
	.section	.AMDGPU.csdata,"",@progbits
; Kernel info:
; codeLenInByte = 512
; NumSgprs: 56
; NumVgprs: 99
; NumAgprs: 0
; TotalNumVgprs: 99
; ScratchSize: 0
; MemoryBound: 0
; FloatMode: 240
; IeeeMode: 1
; LDSByteSize: 12288 bytes/workgroup (compile time only)
; SGPRBlocks: 6
; VGPRBlocks: 12
; NumSGPRsForWavesPerEU: 56
; NumVGPRsForWavesPerEU: 99
; AccumOffset: 100
; Occupancy: 4
; WaveLimiterHint : 0
; COMPUTE_PGM_RSRC2:SCRATCH_EN: 0
; COMPUTE_PGM_RSRC2:USER_SGPR: 8
; COMPUTE_PGM_RSRC2:TRAP_HANDLER: 0
; COMPUTE_PGM_RSRC2:TGID_X_EN: 1
; COMPUTE_PGM_RSRC2:TGID_Y_EN: 1
; COMPUTE_PGM_RSRC2:TGID_Z_EN: 0
; COMPUTE_PGM_RSRC2:TIDIG_COMP_CNT: 2
; COMPUTE_PGM_RSRC3_GFX90A:ACCUM_OFFSET: 24
; COMPUTE_PGM_RSRC3_GFX90A:TG_SPLIT: 0
	.section	.text._ZN7rocprim17ROCPRIM_400000_NS6detail17trampoline_kernelINS0_14default_configENS1_36segmented_radix_sort_config_selectorIilEEZNS1_25segmented_radix_sort_implIS3_Lb0EPKiPiPKlPlN2at6native12_GLOBAL__N_18offset_tEEE10hipError_tPvRmT1_PNSt15iterator_traitsISK_E10value_typeET2_T3_PNSL_ISQ_E10value_typeET4_jRbjT5_SW_jjP12ihipStream_tbEUlT_E1_NS1_11comp_targetILNS1_3genE3ELNS1_11target_archE908ELNS1_3gpuE7ELNS1_3repE0EEENS1_59segmented_radix_sort_warp_sort_small_config_static_selectorELNS0_4arch9wavefront6targetE1EEEvSK_,"axG",@progbits,_ZN7rocprim17ROCPRIM_400000_NS6detail17trampoline_kernelINS0_14default_configENS1_36segmented_radix_sort_config_selectorIilEEZNS1_25segmented_radix_sort_implIS3_Lb0EPKiPiPKlPlN2at6native12_GLOBAL__N_18offset_tEEE10hipError_tPvRmT1_PNSt15iterator_traitsISK_E10value_typeET2_T3_PNSL_ISQ_E10value_typeET4_jRbjT5_SW_jjP12ihipStream_tbEUlT_E1_NS1_11comp_targetILNS1_3genE3ELNS1_11target_archE908ELNS1_3gpuE7ELNS1_3repE0EEENS1_59segmented_radix_sort_warp_sort_small_config_static_selectorELNS0_4arch9wavefront6targetE1EEEvSK_,comdat
	.globl	_ZN7rocprim17ROCPRIM_400000_NS6detail17trampoline_kernelINS0_14default_configENS1_36segmented_radix_sort_config_selectorIilEEZNS1_25segmented_radix_sort_implIS3_Lb0EPKiPiPKlPlN2at6native12_GLOBAL__N_18offset_tEEE10hipError_tPvRmT1_PNSt15iterator_traitsISK_E10value_typeET2_T3_PNSL_ISQ_E10value_typeET4_jRbjT5_SW_jjP12ihipStream_tbEUlT_E1_NS1_11comp_targetILNS1_3genE3ELNS1_11target_archE908ELNS1_3gpuE7ELNS1_3repE0EEENS1_59segmented_radix_sort_warp_sort_small_config_static_selectorELNS0_4arch9wavefront6targetE1EEEvSK_ ; -- Begin function _ZN7rocprim17ROCPRIM_400000_NS6detail17trampoline_kernelINS0_14default_configENS1_36segmented_radix_sort_config_selectorIilEEZNS1_25segmented_radix_sort_implIS3_Lb0EPKiPiPKlPlN2at6native12_GLOBAL__N_18offset_tEEE10hipError_tPvRmT1_PNSt15iterator_traitsISK_E10value_typeET2_T3_PNSL_ISQ_E10value_typeET4_jRbjT5_SW_jjP12ihipStream_tbEUlT_E1_NS1_11comp_targetILNS1_3genE3ELNS1_11target_archE908ELNS1_3gpuE7ELNS1_3repE0EEENS1_59segmented_radix_sort_warp_sort_small_config_static_selectorELNS0_4arch9wavefront6targetE1EEEvSK_
	.p2align	8
	.type	_ZN7rocprim17ROCPRIM_400000_NS6detail17trampoline_kernelINS0_14default_configENS1_36segmented_radix_sort_config_selectorIilEEZNS1_25segmented_radix_sort_implIS3_Lb0EPKiPiPKlPlN2at6native12_GLOBAL__N_18offset_tEEE10hipError_tPvRmT1_PNSt15iterator_traitsISK_E10value_typeET2_T3_PNSL_ISQ_E10value_typeET4_jRbjT5_SW_jjP12ihipStream_tbEUlT_E1_NS1_11comp_targetILNS1_3genE3ELNS1_11target_archE908ELNS1_3gpuE7ELNS1_3repE0EEENS1_59segmented_radix_sort_warp_sort_small_config_static_selectorELNS0_4arch9wavefront6targetE1EEEvSK_,@function
_ZN7rocprim17ROCPRIM_400000_NS6detail17trampoline_kernelINS0_14default_configENS1_36segmented_radix_sort_config_selectorIilEEZNS1_25segmented_radix_sort_implIS3_Lb0EPKiPiPKlPlN2at6native12_GLOBAL__N_18offset_tEEE10hipError_tPvRmT1_PNSt15iterator_traitsISK_E10value_typeET2_T3_PNSL_ISQ_E10value_typeET4_jRbjT5_SW_jjP12ihipStream_tbEUlT_E1_NS1_11comp_targetILNS1_3genE3ELNS1_11target_archE908ELNS1_3gpuE7ELNS1_3repE0EEENS1_59segmented_radix_sort_warp_sort_small_config_static_selectorELNS0_4arch9wavefront6targetE1EEEvSK_: ; @_ZN7rocprim17ROCPRIM_400000_NS6detail17trampoline_kernelINS0_14default_configENS1_36segmented_radix_sort_config_selectorIilEEZNS1_25segmented_radix_sort_implIS3_Lb0EPKiPiPKlPlN2at6native12_GLOBAL__N_18offset_tEEE10hipError_tPvRmT1_PNSt15iterator_traitsISK_E10value_typeET2_T3_PNSL_ISQ_E10value_typeET4_jRbjT5_SW_jjP12ihipStream_tbEUlT_E1_NS1_11comp_targetILNS1_3genE3ELNS1_11target_archE908ELNS1_3gpuE7ELNS1_3repE0EEENS1_59segmented_radix_sort_warp_sort_small_config_static_selectorELNS0_4arch9wavefront6targetE1EEEvSK_
; %bb.0:
	.section	.rodata,"a",@progbits
	.p2align	6, 0x0
	.amdhsa_kernel _ZN7rocprim17ROCPRIM_400000_NS6detail17trampoline_kernelINS0_14default_configENS1_36segmented_radix_sort_config_selectorIilEEZNS1_25segmented_radix_sort_implIS3_Lb0EPKiPiPKlPlN2at6native12_GLOBAL__N_18offset_tEEE10hipError_tPvRmT1_PNSt15iterator_traitsISK_E10value_typeET2_T3_PNSL_ISQ_E10value_typeET4_jRbjT5_SW_jjP12ihipStream_tbEUlT_E1_NS1_11comp_targetILNS1_3genE3ELNS1_11target_archE908ELNS1_3gpuE7ELNS1_3repE0EEENS1_59segmented_radix_sort_warp_sort_small_config_static_selectorELNS0_4arch9wavefront6targetE1EEEvSK_
		.amdhsa_group_segment_fixed_size 0
		.amdhsa_private_segment_fixed_size 0
		.amdhsa_kernarg_size 88
		.amdhsa_user_sgpr_count 6
		.amdhsa_user_sgpr_private_segment_buffer 1
		.amdhsa_user_sgpr_dispatch_ptr 0
		.amdhsa_user_sgpr_queue_ptr 0
		.amdhsa_user_sgpr_kernarg_segment_ptr 1
		.amdhsa_user_sgpr_dispatch_id 0
		.amdhsa_user_sgpr_flat_scratch_init 0
		.amdhsa_user_sgpr_kernarg_preload_length 0
		.amdhsa_user_sgpr_kernarg_preload_offset 0
		.amdhsa_user_sgpr_private_segment_size 0
		.amdhsa_uses_dynamic_stack 0
		.amdhsa_system_sgpr_private_segment_wavefront_offset 0
		.amdhsa_system_sgpr_workgroup_id_x 1
		.amdhsa_system_sgpr_workgroup_id_y 0
		.amdhsa_system_sgpr_workgroup_id_z 0
		.amdhsa_system_sgpr_workgroup_info 0
		.amdhsa_system_vgpr_workitem_id 0
		.amdhsa_next_free_vgpr 1
		.amdhsa_next_free_sgpr 0
		.amdhsa_accum_offset 4
		.amdhsa_reserve_vcc 0
		.amdhsa_reserve_flat_scratch 0
		.amdhsa_float_round_mode_32 0
		.amdhsa_float_round_mode_16_64 0
		.amdhsa_float_denorm_mode_32 3
		.amdhsa_float_denorm_mode_16_64 3
		.amdhsa_dx10_clamp 1
		.amdhsa_ieee_mode 1
		.amdhsa_fp16_overflow 0
		.amdhsa_tg_split 0
		.amdhsa_exception_fp_ieee_invalid_op 0
		.amdhsa_exception_fp_denorm_src 0
		.amdhsa_exception_fp_ieee_div_zero 0
		.amdhsa_exception_fp_ieee_overflow 0
		.amdhsa_exception_fp_ieee_underflow 0
		.amdhsa_exception_fp_ieee_inexact 0
		.amdhsa_exception_int_div_zero 0
	.end_amdhsa_kernel
	.section	.text._ZN7rocprim17ROCPRIM_400000_NS6detail17trampoline_kernelINS0_14default_configENS1_36segmented_radix_sort_config_selectorIilEEZNS1_25segmented_radix_sort_implIS3_Lb0EPKiPiPKlPlN2at6native12_GLOBAL__N_18offset_tEEE10hipError_tPvRmT1_PNSt15iterator_traitsISK_E10value_typeET2_T3_PNSL_ISQ_E10value_typeET4_jRbjT5_SW_jjP12ihipStream_tbEUlT_E1_NS1_11comp_targetILNS1_3genE3ELNS1_11target_archE908ELNS1_3gpuE7ELNS1_3repE0EEENS1_59segmented_radix_sort_warp_sort_small_config_static_selectorELNS0_4arch9wavefront6targetE1EEEvSK_,"axG",@progbits,_ZN7rocprim17ROCPRIM_400000_NS6detail17trampoline_kernelINS0_14default_configENS1_36segmented_radix_sort_config_selectorIilEEZNS1_25segmented_radix_sort_implIS3_Lb0EPKiPiPKlPlN2at6native12_GLOBAL__N_18offset_tEEE10hipError_tPvRmT1_PNSt15iterator_traitsISK_E10value_typeET2_T3_PNSL_ISQ_E10value_typeET4_jRbjT5_SW_jjP12ihipStream_tbEUlT_E1_NS1_11comp_targetILNS1_3genE3ELNS1_11target_archE908ELNS1_3gpuE7ELNS1_3repE0EEENS1_59segmented_radix_sort_warp_sort_small_config_static_selectorELNS0_4arch9wavefront6targetE1EEEvSK_,comdat
.Lfunc_end624:
	.size	_ZN7rocprim17ROCPRIM_400000_NS6detail17trampoline_kernelINS0_14default_configENS1_36segmented_radix_sort_config_selectorIilEEZNS1_25segmented_radix_sort_implIS3_Lb0EPKiPiPKlPlN2at6native12_GLOBAL__N_18offset_tEEE10hipError_tPvRmT1_PNSt15iterator_traitsISK_E10value_typeET2_T3_PNSL_ISQ_E10value_typeET4_jRbjT5_SW_jjP12ihipStream_tbEUlT_E1_NS1_11comp_targetILNS1_3genE3ELNS1_11target_archE908ELNS1_3gpuE7ELNS1_3repE0EEENS1_59segmented_radix_sort_warp_sort_small_config_static_selectorELNS0_4arch9wavefront6targetE1EEEvSK_, .Lfunc_end624-_ZN7rocprim17ROCPRIM_400000_NS6detail17trampoline_kernelINS0_14default_configENS1_36segmented_radix_sort_config_selectorIilEEZNS1_25segmented_radix_sort_implIS3_Lb0EPKiPiPKlPlN2at6native12_GLOBAL__N_18offset_tEEE10hipError_tPvRmT1_PNSt15iterator_traitsISK_E10value_typeET2_T3_PNSL_ISQ_E10value_typeET4_jRbjT5_SW_jjP12ihipStream_tbEUlT_E1_NS1_11comp_targetILNS1_3genE3ELNS1_11target_archE908ELNS1_3gpuE7ELNS1_3repE0EEENS1_59segmented_radix_sort_warp_sort_small_config_static_selectorELNS0_4arch9wavefront6targetE1EEEvSK_
                                        ; -- End function
	.section	.AMDGPU.csdata,"",@progbits
; Kernel info:
; codeLenInByte = 0
; NumSgprs: 4
; NumVgprs: 0
; NumAgprs: 0
; TotalNumVgprs: 0
; ScratchSize: 0
; MemoryBound: 0
; FloatMode: 240
; IeeeMode: 1
; LDSByteSize: 0 bytes/workgroup (compile time only)
; SGPRBlocks: 0
; VGPRBlocks: 0
; NumSGPRsForWavesPerEU: 4
; NumVGPRsForWavesPerEU: 1
; AccumOffset: 4
; Occupancy: 8
; WaveLimiterHint : 0
; COMPUTE_PGM_RSRC2:SCRATCH_EN: 0
; COMPUTE_PGM_RSRC2:USER_SGPR: 6
; COMPUTE_PGM_RSRC2:TRAP_HANDLER: 0
; COMPUTE_PGM_RSRC2:TGID_X_EN: 1
; COMPUTE_PGM_RSRC2:TGID_Y_EN: 0
; COMPUTE_PGM_RSRC2:TGID_Z_EN: 0
; COMPUTE_PGM_RSRC2:TIDIG_COMP_CNT: 0
; COMPUTE_PGM_RSRC3_GFX90A:ACCUM_OFFSET: 0
; COMPUTE_PGM_RSRC3_GFX90A:TG_SPLIT: 0
	.section	.text._ZN7rocprim17ROCPRIM_400000_NS6detail17trampoline_kernelINS0_14default_configENS1_36segmented_radix_sort_config_selectorIilEEZNS1_25segmented_radix_sort_implIS3_Lb0EPKiPiPKlPlN2at6native12_GLOBAL__N_18offset_tEEE10hipError_tPvRmT1_PNSt15iterator_traitsISK_E10value_typeET2_T3_PNSL_ISQ_E10value_typeET4_jRbjT5_SW_jjP12ihipStream_tbEUlT_E1_NS1_11comp_targetILNS1_3genE2ELNS1_11target_archE906ELNS1_3gpuE6ELNS1_3repE0EEENS1_59segmented_radix_sort_warp_sort_small_config_static_selectorELNS0_4arch9wavefront6targetE1EEEvSK_,"axG",@progbits,_ZN7rocprim17ROCPRIM_400000_NS6detail17trampoline_kernelINS0_14default_configENS1_36segmented_radix_sort_config_selectorIilEEZNS1_25segmented_radix_sort_implIS3_Lb0EPKiPiPKlPlN2at6native12_GLOBAL__N_18offset_tEEE10hipError_tPvRmT1_PNSt15iterator_traitsISK_E10value_typeET2_T3_PNSL_ISQ_E10value_typeET4_jRbjT5_SW_jjP12ihipStream_tbEUlT_E1_NS1_11comp_targetILNS1_3genE2ELNS1_11target_archE906ELNS1_3gpuE6ELNS1_3repE0EEENS1_59segmented_radix_sort_warp_sort_small_config_static_selectorELNS0_4arch9wavefront6targetE1EEEvSK_,comdat
	.globl	_ZN7rocprim17ROCPRIM_400000_NS6detail17trampoline_kernelINS0_14default_configENS1_36segmented_radix_sort_config_selectorIilEEZNS1_25segmented_radix_sort_implIS3_Lb0EPKiPiPKlPlN2at6native12_GLOBAL__N_18offset_tEEE10hipError_tPvRmT1_PNSt15iterator_traitsISK_E10value_typeET2_T3_PNSL_ISQ_E10value_typeET4_jRbjT5_SW_jjP12ihipStream_tbEUlT_E1_NS1_11comp_targetILNS1_3genE2ELNS1_11target_archE906ELNS1_3gpuE6ELNS1_3repE0EEENS1_59segmented_radix_sort_warp_sort_small_config_static_selectorELNS0_4arch9wavefront6targetE1EEEvSK_ ; -- Begin function _ZN7rocprim17ROCPRIM_400000_NS6detail17trampoline_kernelINS0_14default_configENS1_36segmented_radix_sort_config_selectorIilEEZNS1_25segmented_radix_sort_implIS3_Lb0EPKiPiPKlPlN2at6native12_GLOBAL__N_18offset_tEEE10hipError_tPvRmT1_PNSt15iterator_traitsISK_E10value_typeET2_T3_PNSL_ISQ_E10value_typeET4_jRbjT5_SW_jjP12ihipStream_tbEUlT_E1_NS1_11comp_targetILNS1_3genE2ELNS1_11target_archE906ELNS1_3gpuE6ELNS1_3repE0EEENS1_59segmented_radix_sort_warp_sort_small_config_static_selectorELNS0_4arch9wavefront6targetE1EEEvSK_
	.p2align	8
	.type	_ZN7rocprim17ROCPRIM_400000_NS6detail17trampoline_kernelINS0_14default_configENS1_36segmented_radix_sort_config_selectorIilEEZNS1_25segmented_radix_sort_implIS3_Lb0EPKiPiPKlPlN2at6native12_GLOBAL__N_18offset_tEEE10hipError_tPvRmT1_PNSt15iterator_traitsISK_E10value_typeET2_T3_PNSL_ISQ_E10value_typeET4_jRbjT5_SW_jjP12ihipStream_tbEUlT_E1_NS1_11comp_targetILNS1_3genE2ELNS1_11target_archE906ELNS1_3gpuE6ELNS1_3repE0EEENS1_59segmented_radix_sort_warp_sort_small_config_static_selectorELNS0_4arch9wavefront6targetE1EEEvSK_,@function
_ZN7rocprim17ROCPRIM_400000_NS6detail17trampoline_kernelINS0_14default_configENS1_36segmented_radix_sort_config_selectorIilEEZNS1_25segmented_radix_sort_implIS3_Lb0EPKiPiPKlPlN2at6native12_GLOBAL__N_18offset_tEEE10hipError_tPvRmT1_PNSt15iterator_traitsISK_E10value_typeET2_T3_PNSL_ISQ_E10value_typeET4_jRbjT5_SW_jjP12ihipStream_tbEUlT_E1_NS1_11comp_targetILNS1_3genE2ELNS1_11target_archE906ELNS1_3gpuE6ELNS1_3repE0EEENS1_59segmented_radix_sort_warp_sort_small_config_static_selectorELNS0_4arch9wavefront6targetE1EEEvSK_: ; @_ZN7rocprim17ROCPRIM_400000_NS6detail17trampoline_kernelINS0_14default_configENS1_36segmented_radix_sort_config_selectorIilEEZNS1_25segmented_radix_sort_implIS3_Lb0EPKiPiPKlPlN2at6native12_GLOBAL__N_18offset_tEEE10hipError_tPvRmT1_PNSt15iterator_traitsISK_E10value_typeET2_T3_PNSL_ISQ_E10value_typeET4_jRbjT5_SW_jjP12ihipStream_tbEUlT_E1_NS1_11comp_targetILNS1_3genE2ELNS1_11target_archE906ELNS1_3gpuE6ELNS1_3repE0EEENS1_59segmented_radix_sort_warp_sort_small_config_static_selectorELNS0_4arch9wavefront6targetE1EEEvSK_
; %bb.0:
	.section	.rodata,"a",@progbits
	.p2align	6, 0x0
	.amdhsa_kernel _ZN7rocprim17ROCPRIM_400000_NS6detail17trampoline_kernelINS0_14default_configENS1_36segmented_radix_sort_config_selectorIilEEZNS1_25segmented_radix_sort_implIS3_Lb0EPKiPiPKlPlN2at6native12_GLOBAL__N_18offset_tEEE10hipError_tPvRmT1_PNSt15iterator_traitsISK_E10value_typeET2_T3_PNSL_ISQ_E10value_typeET4_jRbjT5_SW_jjP12ihipStream_tbEUlT_E1_NS1_11comp_targetILNS1_3genE2ELNS1_11target_archE906ELNS1_3gpuE6ELNS1_3repE0EEENS1_59segmented_radix_sort_warp_sort_small_config_static_selectorELNS0_4arch9wavefront6targetE1EEEvSK_
		.amdhsa_group_segment_fixed_size 0
		.amdhsa_private_segment_fixed_size 0
		.amdhsa_kernarg_size 88
		.amdhsa_user_sgpr_count 6
		.amdhsa_user_sgpr_private_segment_buffer 1
		.amdhsa_user_sgpr_dispatch_ptr 0
		.amdhsa_user_sgpr_queue_ptr 0
		.amdhsa_user_sgpr_kernarg_segment_ptr 1
		.amdhsa_user_sgpr_dispatch_id 0
		.amdhsa_user_sgpr_flat_scratch_init 0
		.amdhsa_user_sgpr_kernarg_preload_length 0
		.amdhsa_user_sgpr_kernarg_preload_offset 0
		.amdhsa_user_sgpr_private_segment_size 0
		.amdhsa_uses_dynamic_stack 0
		.amdhsa_system_sgpr_private_segment_wavefront_offset 0
		.amdhsa_system_sgpr_workgroup_id_x 1
		.amdhsa_system_sgpr_workgroup_id_y 0
		.amdhsa_system_sgpr_workgroup_id_z 0
		.amdhsa_system_sgpr_workgroup_info 0
		.amdhsa_system_vgpr_workitem_id 0
		.amdhsa_next_free_vgpr 1
		.amdhsa_next_free_sgpr 0
		.amdhsa_accum_offset 4
		.amdhsa_reserve_vcc 0
		.amdhsa_reserve_flat_scratch 0
		.amdhsa_float_round_mode_32 0
		.amdhsa_float_round_mode_16_64 0
		.amdhsa_float_denorm_mode_32 3
		.amdhsa_float_denorm_mode_16_64 3
		.amdhsa_dx10_clamp 1
		.amdhsa_ieee_mode 1
		.amdhsa_fp16_overflow 0
		.amdhsa_tg_split 0
		.amdhsa_exception_fp_ieee_invalid_op 0
		.amdhsa_exception_fp_denorm_src 0
		.amdhsa_exception_fp_ieee_div_zero 0
		.amdhsa_exception_fp_ieee_overflow 0
		.amdhsa_exception_fp_ieee_underflow 0
		.amdhsa_exception_fp_ieee_inexact 0
		.amdhsa_exception_int_div_zero 0
	.end_amdhsa_kernel
	.section	.text._ZN7rocprim17ROCPRIM_400000_NS6detail17trampoline_kernelINS0_14default_configENS1_36segmented_radix_sort_config_selectorIilEEZNS1_25segmented_radix_sort_implIS3_Lb0EPKiPiPKlPlN2at6native12_GLOBAL__N_18offset_tEEE10hipError_tPvRmT1_PNSt15iterator_traitsISK_E10value_typeET2_T3_PNSL_ISQ_E10value_typeET4_jRbjT5_SW_jjP12ihipStream_tbEUlT_E1_NS1_11comp_targetILNS1_3genE2ELNS1_11target_archE906ELNS1_3gpuE6ELNS1_3repE0EEENS1_59segmented_radix_sort_warp_sort_small_config_static_selectorELNS0_4arch9wavefront6targetE1EEEvSK_,"axG",@progbits,_ZN7rocprim17ROCPRIM_400000_NS6detail17trampoline_kernelINS0_14default_configENS1_36segmented_radix_sort_config_selectorIilEEZNS1_25segmented_radix_sort_implIS3_Lb0EPKiPiPKlPlN2at6native12_GLOBAL__N_18offset_tEEE10hipError_tPvRmT1_PNSt15iterator_traitsISK_E10value_typeET2_T3_PNSL_ISQ_E10value_typeET4_jRbjT5_SW_jjP12ihipStream_tbEUlT_E1_NS1_11comp_targetILNS1_3genE2ELNS1_11target_archE906ELNS1_3gpuE6ELNS1_3repE0EEENS1_59segmented_radix_sort_warp_sort_small_config_static_selectorELNS0_4arch9wavefront6targetE1EEEvSK_,comdat
.Lfunc_end625:
	.size	_ZN7rocprim17ROCPRIM_400000_NS6detail17trampoline_kernelINS0_14default_configENS1_36segmented_radix_sort_config_selectorIilEEZNS1_25segmented_radix_sort_implIS3_Lb0EPKiPiPKlPlN2at6native12_GLOBAL__N_18offset_tEEE10hipError_tPvRmT1_PNSt15iterator_traitsISK_E10value_typeET2_T3_PNSL_ISQ_E10value_typeET4_jRbjT5_SW_jjP12ihipStream_tbEUlT_E1_NS1_11comp_targetILNS1_3genE2ELNS1_11target_archE906ELNS1_3gpuE6ELNS1_3repE0EEENS1_59segmented_radix_sort_warp_sort_small_config_static_selectorELNS0_4arch9wavefront6targetE1EEEvSK_, .Lfunc_end625-_ZN7rocprim17ROCPRIM_400000_NS6detail17trampoline_kernelINS0_14default_configENS1_36segmented_radix_sort_config_selectorIilEEZNS1_25segmented_radix_sort_implIS3_Lb0EPKiPiPKlPlN2at6native12_GLOBAL__N_18offset_tEEE10hipError_tPvRmT1_PNSt15iterator_traitsISK_E10value_typeET2_T3_PNSL_ISQ_E10value_typeET4_jRbjT5_SW_jjP12ihipStream_tbEUlT_E1_NS1_11comp_targetILNS1_3genE2ELNS1_11target_archE906ELNS1_3gpuE6ELNS1_3repE0EEENS1_59segmented_radix_sort_warp_sort_small_config_static_selectorELNS0_4arch9wavefront6targetE1EEEvSK_
                                        ; -- End function
	.section	.AMDGPU.csdata,"",@progbits
; Kernel info:
; codeLenInByte = 0
; NumSgprs: 4
; NumVgprs: 0
; NumAgprs: 0
; TotalNumVgprs: 0
; ScratchSize: 0
; MemoryBound: 0
; FloatMode: 240
; IeeeMode: 1
; LDSByteSize: 0 bytes/workgroup (compile time only)
; SGPRBlocks: 0
; VGPRBlocks: 0
; NumSGPRsForWavesPerEU: 4
; NumVGPRsForWavesPerEU: 1
; AccumOffset: 4
; Occupancy: 8
; WaveLimiterHint : 0
; COMPUTE_PGM_RSRC2:SCRATCH_EN: 0
; COMPUTE_PGM_RSRC2:USER_SGPR: 6
; COMPUTE_PGM_RSRC2:TRAP_HANDLER: 0
; COMPUTE_PGM_RSRC2:TGID_X_EN: 1
; COMPUTE_PGM_RSRC2:TGID_Y_EN: 0
; COMPUTE_PGM_RSRC2:TGID_Z_EN: 0
; COMPUTE_PGM_RSRC2:TIDIG_COMP_CNT: 0
; COMPUTE_PGM_RSRC3_GFX90A:ACCUM_OFFSET: 0
; COMPUTE_PGM_RSRC3_GFX90A:TG_SPLIT: 0
	.section	.text._ZN7rocprim17ROCPRIM_400000_NS6detail17trampoline_kernelINS0_14default_configENS1_36segmented_radix_sort_config_selectorIilEEZNS1_25segmented_radix_sort_implIS3_Lb0EPKiPiPKlPlN2at6native12_GLOBAL__N_18offset_tEEE10hipError_tPvRmT1_PNSt15iterator_traitsISK_E10value_typeET2_T3_PNSL_ISQ_E10value_typeET4_jRbjT5_SW_jjP12ihipStream_tbEUlT_E1_NS1_11comp_targetILNS1_3genE10ELNS1_11target_archE1201ELNS1_3gpuE5ELNS1_3repE0EEENS1_59segmented_radix_sort_warp_sort_small_config_static_selectorELNS0_4arch9wavefront6targetE1EEEvSK_,"axG",@progbits,_ZN7rocprim17ROCPRIM_400000_NS6detail17trampoline_kernelINS0_14default_configENS1_36segmented_radix_sort_config_selectorIilEEZNS1_25segmented_radix_sort_implIS3_Lb0EPKiPiPKlPlN2at6native12_GLOBAL__N_18offset_tEEE10hipError_tPvRmT1_PNSt15iterator_traitsISK_E10value_typeET2_T3_PNSL_ISQ_E10value_typeET4_jRbjT5_SW_jjP12ihipStream_tbEUlT_E1_NS1_11comp_targetILNS1_3genE10ELNS1_11target_archE1201ELNS1_3gpuE5ELNS1_3repE0EEENS1_59segmented_radix_sort_warp_sort_small_config_static_selectorELNS0_4arch9wavefront6targetE1EEEvSK_,comdat
	.globl	_ZN7rocprim17ROCPRIM_400000_NS6detail17trampoline_kernelINS0_14default_configENS1_36segmented_radix_sort_config_selectorIilEEZNS1_25segmented_radix_sort_implIS3_Lb0EPKiPiPKlPlN2at6native12_GLOBAL__N_18offset_tEEE10hipError_tPvRmT1_PNSt15iterator_traitsISK_E10value_typeET2_T3_PNSL_ISQ_E10value_typeET4_jRbjT5_SW_jjP12ihipStream_tbEUlT_E1_NS1_11comp_targetILNS1_3genE10ELNS1_11target_archE1201ELNS1_3gpuE5ELNS1_3repE0EEENS1_59segmented_radix_sort_warp_sort_small_config_static_selectorELNS0_4arch9wavefront6targetE1EEEvSK_ ; -- Begin function _ZN7rocprim17ROCPRIM_400000_NS6detail17trampoline_kernelINS0_14default_configENS1_36segmented_radix_sort_config_selectorIilEEZNS1_25segmented_radix_sort_implIS3_Lb0EPKiPiPKlPlN2at6native12_GLOBAL__N_18offset_tEEE10hipError_tPvRmT1_PNSt15iterator_traitsISK_E10value_typeET2_T3_PNSL_ISQ_E10value_typeET4_jRbjT5_SW_jjP12ihipStream_tbEUlT_E1_NS1_11comp_targetILNS1_3genE10ELNS1_11target_archE1201ELNS1_3gpuE5ELNS1_3repE0EEENS1_59segmented_radix_sort_warp_sort_small_config_static_selectorELNS0_4arch9wavefront6targetE1EEEvSK_
	.p2align	8
	.type	_ZN7rocprim17ROCPRIM_400000_NS6detail17trampoline_kernelINS0_14default_configENS1_36segmented_radix_sort_config_selectorIilEEZNS1_25segmented_radix_sort_implIS3_Lb0EPKiPiPKlPlN2at6native12_GLOBAL__N_18offset_tEEE10hipError_tPvRmT1_PNSt15iterator_traitsISK_E10value_typeET2_T3_PNSL_ISQ_E10value_typeET4_jRbjT5_SW_jjP12ihipStream_tbEUlT_E1_NS1_11comp_targetILNS1_3genE10ELNS1_11target_archE1201ELNS1_3gpuE5ELNS1_3repE0EEENS1_59segmented_radix_sort_warp_sort_small_config_static_selectorELNS0_4arch9wavefront6targetE1EEEvSK_,@function
_ZN7rocprim17ROCPRIM_400000_NS6detail17trampoline_kernelINS0_14default_configENS1_36segmented_radix_sort_config_selectorIilEEZNS1_25segmented_radix_sort_implIS3_Lb0EPKiPiPKlPlN2at6native12_GLOBAL__N_18offset_tEEE10hipError_tPvRmT1_PNSt15iterator_traitsISK_E10value_typeET2_T3_PNSL_ISQ_E10value_typeET4_jRbjT5_SW_jjP12ihipStream_tbEUlT_E1_NS1_11comp_targetILNS1_3genE10ELNS1_11target_archE1201ELNS1_3gpuE5ELNS1_3repE0EEENS1_59segmented_radix_sort_warp_sort_small_config_static_selectorELNS0_4arch9wavefront6targetE1EEEvSK_: ; @_ZN7rocprim17ROCPRIM_400000_NS6detail17trampoline_kernelINS0_14default_configENS1_36segmented_radix_sort_config_selectorIilEEZNS1_25segmented_radix_sort_implIS3_Lb0EPKiPiPKlPlN2at6native12_GLOBAL__N_18offset_tEEE10hipError_tPvRmT1_PNSt15iterator_traitsISK_E10value_typeET2_T3_PNSL_ISQ_E10value_typeET4_jRbjT5_SW_jjP12ihipStream_tbEUlT_E1_NS1_11comp_targetILNS1_3genE10ELNS1_11target_archE1201ELNS1_3gpuE5ELNS1_3repE0EEENS1_59segmented_radix_sort_warp_sort_small_config_static_selectorELNS0_4arch9wavefront6targetE1EEEvSK_
; %bb.0:
	.section	.rodata,"a",@progbits
	.p2align	6, 0x0
	.amdhsa_kernel _ZN7rocprim17ROCPRIM_400000_NS6detail17trampoline_kernelINS0_14default_configENS1_36segmented_radix_sort_config_selectorIilEEZNS1_25segmented_radix_sort_implIS3_Lb0EPKiPiPKlPlN2at6native12_GLOBAL__N_18offset_tEEE10hipError_tPvRmT1_PNSt15iterator_traitsISK_E10value_typeET2_T3_PNSL_ISQ_E10value_typeET4_jRbjT5_SW_jjP12ihipStream_tbEUlT_E1_NS1_11comp_targetILNS1_3genE10ELNS1_11target_archE1201ELNS1_3gpuE5ELNS1_3repE0EEENS1_59segmented_radix_sort_warp_sort_small_config_static_selectorELNS0_4arch9wavefront6targetE1EEEvSK_
		.amdhsa_group_segment_fixed_size 0
		.amdhsa_private_segment_fixed_size 0
		.amdhsa_kernarg_size 88
		.amdhsa_user_sgpr_count 6
		.amdhsa_user_sgpr_private_segment_buffer 1
		.amdhsa_user_sgpr_dispatch_ptr 0
		.amdhsa_user_sgpr_queue_ptr 0
		.amdhsa_user_sgpr_kernarg_segment_ptr 1
		.amdhsa_user_sgpr_dispatch_id 0
		.amdhsa_user_sgpr_flat_scratch_init 0
		.amdhsa_user_sgpr_kernarg_preload_length 0
		.amdhsa_user_sgpr_kernarg_preload_offset 0
		.amdhsa_user_sgpr_private_segment_size 0
		.amdhsa_uses_dynamic_stack 0
		.amdhsa_system_sgpr_private_segment_wavefront_offset 0
		.amdhsa_system_sgpr_workgroup_id_x 1
		.amdhsa_system_sgpr_workgroup_id_y 0
		.amdhsa_system_sgpr_workgroup_id_z 0
		.amdhsa_system_sgpr_workgroup_info 0
		.amdhsa_system_vgpr_workitem_id 0
		.amdhsa_next_free_vgpr 1
		.amdhsa_next_free_sgpr 0
		.amdhsa_accum_offset 4
		.amdhsa_reserve_vcc 0
		.amdhsa_reserve_flat_scratch 0
		.amdhsa_float_round_mode_32 0
		.amdhsa_float_round_mode_16_64 0
		.amdhsa_float_denorm_mode_32 3
		.amdhsa_float_denorm_mode_16_64 3
		.amdhsa_dx10_clamp 1
		.amdhsa_ieee_mode 1
		.amdhsa_fp16_overflow 0
		.amdhsa_tg_split 0
		.amdhsa_exception_fp_ieee_invalid_op 0
		.amdhsa_exception_fp_denorm_src 0
		.amdhsa_exception_fp_ieee_div_zero 0
		.amdhsa_exception_fp_ieee_overflow 0
		.amdhsa_exception_fp_ieee_underflow 0
		.amdhsa_exception_fp_ieee_inexact 0
		.amdhsa_exception_int_div_zero 0
	.end_amdhsa_kernel
	.section	.text._ZN7rocprim17ROCPRIM_400000_NS6detail17trampoline_kernelINS0_14default_configENS1_36segmented_radix_sort_config_selectorIilEEZNS1_25segmented_radix_sort_implIS3_Lb0EPKiPiPKlPlN2at6native12_GLOBAL__N_18offset_tEEE10hipError_tPvRmT1_PNSt15iterator_traitsISK_E10value_typeET2_T3_PNSL_ISQ_E10value_typeET4_jRbjT5_SW_jjP12ihipStream_tbEUlT_E1_NS1_11comp_targetILNS1_3genE10ELNS1_11target_archE1201ELNS1_3gpuE5ELNS1_3repE0EEENS1_59segmented_radix_sort_warp_sort_small_config_static_selectorELNS0_4arch9wavefront6targetE1EEEvSK_,"axG",@progbits,_ZN7rocprim17ROCPRIM_400000_NS6detail17trampoline_kernelINS0_14default_configENS1_36segmented_radix_sort_config_selectorIilEEZNS1_25segmented_radix_sort_implIS3_Lb0EPKiPiPKlPlN2at6native12_GLOBAL__N_18offset_tEEE10hipError_tPvRmT1_PNSt15iterator_traitsISK_E10value_typeET2_T3_PNSL_ISQ_E10value_typeET4_jRbjT5_SW_jjP12ihipStream_tbEUlT_E1_NS1_11comp_targetILNS1_3genE10ELNS1_11target_archE1201ELNS1_3gpuE5ELNS1_3repE0EEENS1_59segmented_radix_sort_warp_sort_small_config_static_selectorELNS0_4arch9wavefront6targetE1EEEvSK_,comdat
.Lfunc_end626:
	.size	_ZN7rocprim17ROCPRIM_400000_NS6detail17trampoline_kernelINS0_14default_configENS1_36segmented_radix_sort_config_selectorIilEEZNS1_25segmented_radix_sort_implIS3_Lb0EPKiPiPKlPlN2at6native12_GLOBAL__N_18offset_tEEE10hipError_tPvRmT1_PNSt15iterator_traitsISK_E10value_typeET2_T3_PNSL_ISQ_E10value_typeET4_jRbjT5_SW_jjP12ihipStream_tbEUlT_E1_NS1_11comp_targetILNS1_3genE10ELNS1_11target_archE1201ELNS1_3gpuE5ELNS1_3repE0EEENS1_59segmented_radix_sort_warp_sort_small_config_static_selectorELNS0_4arch9wavefront6targetE1EEEvSK_, .Lfunc_end626-_ZN7rocprim17ROCPRIM_400000_NS6detail17trampoline_kernelINS0_14default_configENS1_36segmented_radix_sort_config_selectorIilEEZNS1_25segmented_radix_sort_implIS3_Lb0EPKiPiPKlPlN2at6native12_GLOBAL__N_18offset_tEEE10hipError_tPvRmT1_PNSt15iterator_traitsISK_E10value_typeET2_T3_PNSL_ISQ_E10value_typeET4_jRbjT5_SW_jjP12ihipStream_tbEUlT_E1_NS1_11comp_targetILNS1_3genE10ELNS1_11target_archE1201ELNS1_3gpuE5ELNS1_3repE0EEENS1_59segmented_radix_sort_warp_sort_small_config_static_selectorELNS0_4arch9wavefront6targetE1EEEvSK_
                                        ; -- End function
	.section	.AMDGPU.csdata,"",@progbits
; Kernel info:
; codeLenInByte = 0
; NumSgprs: 4
; NumVgprs: 0
; NumAgprs: 0
; TotalNumVgprs: 0
; ScratchSize: 0
; MemoryBound: 0
; FloatMode: 240
; IeeeMode: 1
; LDSByteSize: 0 bytes/workgroup (compile time only)
; SGPRBlocks: 0
; VGPRBlocks: 0
; NumSGPRsForWavesPerEU: 4
; NumVGPRsForWavesPerEU: 1
; AccumOffset: 4
; Occupancy: 8
; WaveLimiterHint : 0
; COMPUTE_PGM_RSRC2:SCRATCH_EN: 0
; COMPUTE_PGM_RSRC2:USER_SGPR: 6
; COMPUTE_PGM_RSRC2:TRAP_HANDLER: 0
; COMPUTE_PGM_RSRC2:TGID_X_EN: 1
; COMPUTE_PGM_RSRC2:TGID_Y_EN: 0
; COMPUTE_PGM_RSRC2:TGID_Z_EN: 0
; COMPUTE_PGM_RSRC2:TIDIG_COMP_CNT: 0
; COMPUTE_PGM_RSRC3_GFX90A:ACCUM_OFFSET: 0
; COMPUTE_PGM_RSRC3_GFX90A:TG_SPLIT: 0
	.section	.text._ZN7rocprim17ROCPRIM_400000_NS6detail17trampoline_kernelINS0_14default_configENS1_36segmented_radix_sort_config_selectorIilEEZNS1_25segmented_radix_sort_implIS3_Lb0EPKiPiPKlPlN2at6native12_GLOBAL__N_18offset_tEEE10hipError_tPvRmT1_PNSt15iterator_traitsISK_E10value_typeET2_T3_PNSL_ISQ_E10value_typeET4_jRbjT5_SW_jjP12ihipStream_tbEUlT_E1_NS1_11comp_targetILNS1_3genE10ELNS1_11target_archE1200ELNS1_3gpuE4ELNS1_3repE0EEENS1_59segmented_radix_sort_warp_sort_small_config_static_selectorELNS0_4arch9wavefront6targetE1EEEvSK_,"axG",@progbits,_ZN7rocprim17ROCPRIM_400000_NS6detail17trampoline_kernelINS0_14default_configENS1_36segmented_radix_sort_config_selectorIilEEZNS1_25segmented_radix_sort_implIS3_Lb0EPKiPiPKlPlN2at6native12_GLOBAL__N_18offset_tEEE10hipError_tPvRmT1_PNSt15iterator_traitsISK_E10value_typeET2_T3_PNSL_ISQ_E10value_typeET4_jRbjT5_SW_jjP12ihipStream_tbEUlT_E1_NS1_11comp_targetILNS1_3genE10ELNS1_11target_archE1200ELNS1_3gpuE4ELNS1_3repE0EEENS1_59segmented_radix_sort_warp_sort_small_config_static_selectorELNS0_4arch9wavefront6targetE1EEEvSK_,comdat
	.globl	_ZN7rocprim17ROCPRIM_400000_NS6detail17trampoline_kernelINS0_14default_configENS1_36segmented_radix_sort_config_selectorIilEEZNS1_25segmented_radix_sort_implIS3_Lb0EPKiPiPKlPlN2at6native12_GLOBAL__N_18offset_tEEE10hipError_tPvRmT1_PNSt15iterator_traitsISK_E10value_typeET2_T3_PNSL_ISQ_E10value_typeET4_jRbjT5_SW_jjP12ihipStream_tbEUlT_E1_NS1_11comp_targetILNS1_3genE10ELNS1_11target_archE1200ELNS1_3gpuE4ELNS1_3repE0EEENS1_59segmented_radix_sort_warp_sort_small_config_static_selectorELNS0_4arch9wavefront6targetE1EEEvSK_ ; -- Begin function _ZN7rocprim17ROCPRIM_400000_NS6detail17trampoline_kernelINS0_14default_configENS1_36segmented_radix_sort_config_selectorIilEEZNS1_25segmented_radix_sort_implIS3_Lb0EPKiPiPKlPlN2at6native12_GLOBAL__N_18offset_tEEE10hipError_tPvRmT1_PNSt15iterator_traitsISK_E10value_typeET2_T3_PNSL_ISQ_E10value_typeET4_jRbjT5_SW_jjP12ihipStream_tbEUlT_E1_NS1_11comp_targetILNS1_3genE10ELNS1_11target_archE1200ELNS1_3gpuE4ELNS1_3repE0EEENS1_59segmented_radix_sort_warp_sort_small_config_static_selectorELNS0_4arch9wavefront6targetE1EEEvSK_
	.p2align	8
	.type	_ZN7rocprim17ROCPRIM_400000_NS6detail17trampoline_kernelINS0_14default_configENS1_36segmented_radix_sort_config_selectorIilEEZNS1_25segmented_radix_sort_implIS3_Lb0EPKiPiPKlPlN2at6native12_GLOBAL__N_18offset_tEEE10hipError_tPvRmT1_PNSt15iterator_traitsISK_E10value_typeET2_T3_PNSL_ISQ_E10value_typeET4_jRbjT5_SW_jjP12ihipStream_tbEUlT_E1_NS1_11comp_targetILNS1_3genE10ELNS1_11target_archE1200ELNS1_3gpuE4ELNS1_3repE0EEENS1_59segmented_radix_sort_warp_sort_small_config_static_selectorELNS0_4arch9wavefront6targetE1EEEvSK_,@function
_ZN7rocprim17ROCPRIM_400000_NS6detail17trampoline_kernelINS0_14default_configENS1_36segmented_radix_sort_config_selectorIilEEZNS1_25segmented_radix_sort_implIS3_Lb0EPKiPiPKlPlN2at6native12_GLOBAL__N_18offset_tEEE10hipError_tPvRmT1_PNSt15iterator_traitsISK_E10value_typeET2_T3_PNSL_ISQ_E10value_typeET4_jRbjT5_SW_jjP12ihipStream_tbEUlT_E1_NS1_11comp_targetILNS1_3genE10ELNS1_11target_archE1200ELNS1_3gpuE4ELNS1_3repE0EEENS1_59segmented_radix_sort_warp_sort_small_config_static_selectorELNS0_4arch9wavefront6targetE1EEEvSK_: ; @_ZN7rocprim17ROCPRIM_400000_NS6detail17trampoline_kernelINS0_14default_configENS1_36segmented_radix_sort_config_selectorIilEEZNS1_25segmented_radix_sort_implIS3_Lb0EPKiPiPKlPlN2at6native12_GLOBAL__N_18offset_tEEE10hipError_tPvRmT1_PNSt15iterator_traitsISK_E10value_typeET2_T3_PNSL_ISQ_E10value_typeET4_jRbjT5_SW_jjP12ihipStream_tbEUlT_E1_NS1_11comp_targetILNS1_3genE10ELNS1_11target_archE1200ELNS1_3gpuE4ELNS1_3repE0EEENS1_59segmented_radix_sort_warp_sort_small_config_static_selectorELNS0_4arch9wavefront6targetE1EEEvSK_
; %bb.0:
	.section	.rodata,"a",@progbits
	.p2align	6, 0x0
	.amdhsa_kernel _ZN7rocprim17ROCPRIM_400000_NS6detail17trampoline_kernelINS0_14default_configENS1_36segmented_radix_sort_config_selectorIilEEZNS1_25segmented_radix_sort_implIS3_Lb0EPKiPiPKlPlN2at6native12_GLOBAL__N_18offset_tEEE10hipError_tPvRmT1_PNSt15iterator_traitsISK_E10value_typeET2_T3_PNSL_ISQ_E10value_typeET4_jRbjT5_SW_jjP12ihipStream_tbEUlT_E1_NS1_11comp_targetILNS1_3genE10ELNS1_11target_archE1200ELNS1_3gpuE4ELNS1_3repE0EEENS1_59segmented_radix_sort_warp_sort_small_config_static_selectorELNS0_4arch9wavefront6targetE1EEEvSK_
		.amdhsa_group_segment_fixed_size 0
		.amdhsa_private_segment_fixed_size 0
		.amdhsa_kernarg_size 88
		.amdhsa_user_sgpr_count 6
		.amdhsa_user_sgpr_private_segment_buffer 1
		.amdhsa_user_sgpr_dispatch_ptr 0
		.amdhsa_user_sgpr_queue_ptr 0
		.amdhsa_user_sgpr_kernarg_segment_ptr 1
		.amdhsa_user_sgpr_dispatch_id 0
		.amdhsa_user_sgpr_flat_scratch_init 0
		.amdhsa_user_sgpr_kernarg_preload_length 0
		.amdhsa_user_sgpr_kernarg_preload_offset 0
		.amdhsa_user_sgpr_private_segment_size 0
		.amdhsa_uses_dynamic_stack 0
		.amdhsa_system_sgpr_private_segment_wavefront_offset 0
		.amdhsa_system_sgpr_workgroup_id_x 1
		.amdhsa_system_sgpr_workgroup_id_y 0
		.amdhsa_system_sgpr_workgroup_id_z 0
		.amdhsa_system_sgpr_workgroup_info 0
		.amdhsa_system_vgpr_workitem_id 0
		.amdhsa_next_free_vgpr 1
		.amdhsa_next_free_sgpr 0
		.amdhsa_accum_offset 4
		.amdhsa_reserve_vcc 0
		.amdhsa_reserve_flat_scratch 0
		.amdhsa_float_round_mode_32 0
		.amdhsa_float_round_mode_16_64 0
		.amdhsa_float_denorm_mode_32 3
		.amdhsa_float_denorm_mode_16_64 3
		.amdhsa_dx10_clamp 1
		.amdhsa_ieee_mode 1
		.amdhsa_fp16_overflow 0
		.amdhsa_tg_split 0
		.amdhsa_exception_fp_ieee_invalid_op 0
		.amdhsa_exception_fp_denorm_src 0
		.amdhsa_exception_fp_ieee_div_zero 0
		.amdhsa_exception_fp_ieee_overflow 0
		.amdhsa_exception_fp_ieee_underflow 0
		.amdhsa_exception_fp_ieee_inexact 0
		.amdhsa_exception_int_div_zero 0
	.end_amdhsa_kernel
	.section	.text._ZN7rocprim17ROCPRIM_400000_NS6detail17trampoline_kernelINS0_14default_configENS1_36segmented_radix_sort_config_selectorIilEEZNS1_25segmented_radix_sort_implIS3_Lb0EPKiPiPKlPlN2at6native12_GLOBAL__N_18offset_tEEE10hipError_tPvRmT1_PNSt15iterator_traitsISK_E10value_typeET2_T3_PNSL_ISQ_E10value_typeET4_jRbjT5_SW_jjP12ihipStream_tbEUlT_E1_NS1_11comp_targetILNS1_3genE10ELNS1_11target_archE1200ELNS1_3gpuE4ELNS1_3repE0EEENS1_59segmented_radix_sort_warp_sort_small_config_static_selectorELNS0_4arch9wavefront6targetE1EEEvSK_,"axG",@progbits,_ZN7rocprim17ROCPRIM_400000_NS6detail17trampoline_kernelINS0_14default_configENS1_36segmented_radix_sort_config_selectorIilEEZNS1_25segmented_radix_sort_implIS3_Lb0EPKiPiPKlPlN2at6native12_GLOBAL__N_18offset_tEEE10hipError_tPvRmT1_PNSt15iterator_traitsISK_E10value_typeET2_T3_PNSL_ISQ_E10value_typeET4_jRbjT5_SW_jjP12ihipStream_tbEUlT_E1_NS1_11comp_targetILNS1_3genE10ELNS1_11target_archE1200ELNS1_3gpuE4ELNS1_3repE0EEENS1_59segmented_radix_sort_warp_sort_small_config_static_selectorELNS0_4arch9wavefront6targetE1EEEvSK_,comdat
.Lfunc_end627:
	.size	_ZN7rocprim17ROCPRIM_400000_NS6detail17trampoline_kernelINS0_14default_configENS1_36segmented_radix_sort_config_selectorIilEEZNS1_25segmented_radix_sort_implIS3_Lb0EPKiPiPKlPlN2at6native12_GLOBAL__N_18offset_tEEE10hipError_tPvRmT1_PNSt15iterator_traitsISK_E10value_typeET2_T3_PNSL_ISQ_E10value_typeET4_jRbjT5_SW_jjP12ihipStream_tbEUlT_E1_NS1_11comp_targetILNS1_3genE10ELNS1_11target_archE1200ELNS1_3gpuE4ELNS1_3repE0EEENS1_59segmented_radix_sort_warp_sort_small_config_static_selectorELNS0_4arch9wavefront6targetE1EEEvSK_, .Lfunc_end627-_ZN7rocprim17ROCPRIM_400000_NS6detail17trampoline_kernelINS0_14default_configENS1_36segmented_radix_sort_config_selectorIilEEZNS1_25segmented_radix_sort_implIS3_Lb0EPKiPiPKlPlN2at6native12_GLOBAL__N_18offset_tEEE10hipError_tPvRmT1_PNSt15iterator_traitsISK_E10value_typeET2_T3_PNSL_ISQ_E10value_typeET4_jRbjT5_SW_jjP12ihipStream_tbEUlT_E1_NS1_11comp_targetILNS1_3genE10ELNS1_11target_archE1200ELNS1_3gpuE4ELNS1_3repE0EEENS1_59segmented_radix_sort_warp_sort_small_config_static_selectorELNS0_4arch9wavefront6targetE1EEEvSK_
                                        ; -- End function
	.section	.AMDGPU.csdata,"",@progbits
; Kernel info:
; codeLenInByte = 0
; NumSgprs: 4
; NumVgprs: 0
; NumAgprs: 0
; TotalNumVgprs: 0
; ScratchSize: 0
; MemoryBound: 0
; FloatMode: 240
; IeeeMode: 1
; LDSByteSize: 0 bytes/workgroup (compile time only)
; SGPRBlocks: 0
; VGPRBlocks: 0
; NumSGPRsForWavesPerEU: 4
; NumVGPRsForWavesPerEU: 1
; AccumOffset: 4
; Occupancy: 8
; WaveLimiterHint : 0
; COMPUTE_PGM_RSRC2:SCRATCH_EN: 0
; COMPUTE_PGM_RSRC2:USER_SGPR: 6
; COMPUTE_PGM_RSRC2:TRAP_HANDLER: 0
; COMPUTE_PGM_RSRC2:TGID_X_EN: 1
; COMPUTE_PGM_RSRC2:TGID_Y_EN: 0
; COMPUTE_PGM_RSRC2:TGID_Z_EN: 0
; COMPUTE_PGM_RSRC2:TIDIG_COMP_CNT: 0
; COMPUTE_PGM_RSRC3_GFX90A:ACCUM_OFFSET: 0
; COMPUTE_PGM_RSRC3_GFX90A:TG_SPLIT: 0
	.section	.text._ZN7rocprim17ROCPRIM_400000_NS6detail17trampoline_kernelINS0_14default_configENS1_36segmented_radix_sort_config_selectorIilEEZNS1_25segmented_radix_sort_implIS3_Lb0EPKiPiPKlPlN2at6native12_GLOBAL__N_18offset_tEEE10hipError_tPvRmT1_PNSt15iterator_traitsISK_E10value_typeET2_T3_PNSL_ISQ_E10value_typeET4_jRbjT5_SW_jjP12ihipStream_tbEUlT_E1_NS1_11comp_targetILNS1_3genE9ELNS1_11target_archE1100ELNS1_3gpuE3ELNS1_3repE0EEENS1_59segmented_radix_sort_warp_sort_small_config_static_selectorELNS0_4arch9wavefront6targetE1EEEvSK_,"axG",@progbits,_ZN7rocprim17ROCPRIM_400000_NS6detail17trampoline_kernelINS0_14default_configENS1_36segmented_radix_sort_config_selectorIilEEZNS1_25segmented_radix_sort_implIS3_Lb0EPKiPiPKlPlN2at6native12_GLOBAL__N_18offset_tEEE10hipError_tPvRmT1_PNSt15iterator_traitsISK_E10value_typeET2_T3_PNSL_ISQ_E10value_typeET4_jRbjT5_SW_jjP12ihipStream_tbEUlT_E1_NS1_11comp_targetILNS1_3genE9ELNS1_11target_archE1100ELNS1_3gpuE3ELNS1_3repE0EEENS1_59segmented_radix_sort_warp_sort_small_config_static_selectorELNS0_4arch9wavefront6targetE1EEEvSK_,comdat
	.globl	_ZN7rocprim17ROCPRIM_400000_NS6detail17trampoline_kernelINS0_14default_configENS1_36segmented_radix_sort_config_selectorIilEEZNS1_25segmented_radix_sort_implIS3_Lb0EPKiPiPKlPlN2at6native12_GLOBAL__N_18offset_tEEE10hipError_tPvRmT1_PNSt15iterator_traitsISK_E10value_typeET2_T3_PNSL_ISQ_E10value_typeET4_jRbjT5_SW_jjP12ihipStream_tbEUlT_E1_NS1_11comp_targetILNS1_3genE9ELNS1_11target_archE1100ELNS1_3gpuE3ELNS1_3repE0EEENS1_59segmented_radix_sort_warp_sort_small_config_static_selectorELNS0_4arch9wavefront6targetE1EEEvSK_ ; -- Begin function _ZN7rocprim17ROCPRIM_400000_NS6detail17trampoline_kernelINS0_14default_configENS1_36segmented_radix_sort_config_selectorIilEEZNS1_25segmented_radix_sort_implIS3_Lb0EPKiPiPKlPlN2at6native12_GLOBAL__N_18offset_tEEE10hipError_tPvRmT1_PNSt15iterator_traitsISK_E10value_typeET2_T3_PNSL_ISQ_E10value_typeET4_jRbjT5_SW_jjP12ihipStream_tbEUlT_E1_NS1_11comp_targetILNS1_3genE9ELNS1_11target_archE1100ELNS1_3gpuE3ELNS1_3repE0EEENS1_59segmented_radix_sort_warp_sort_small_config_static_selectorELNS0_4arch9wavefront6targetE1EEEvSK_
	.p2align	8
	.type	_ZN7rocprim17ROCPRIM_400000_NS6detail17trampoline_kernelINS0_14default_configENS1_36segmented_radix_sort_config_selectorIilEEZNS1_25segmented_radix_sort_implIS3_Lb0EPKiPiPKlPlN2at6native12_GLOBAL__N_18offset_tEEE10hipError_tPvRmT1_PNSt15iterator_traitsISK_E10value_typeET2_T3_PNSL_ISQ_E10value_typeET4_jRbjT5_SW_jjP12ihipStream_tbEUlT_E1_NS1_11comp_targetILNS1_3genE9ELNS1_11target_archE1100ELNS1_3gpuE3ELNS1_3repE0EEENS1_59segmented_radix_sort_warp_sort_small_config_static_selectorELNS0_4arch9wavefront6targetE1EEEvSK_,@function
_ZN7rocprim17ROCPRIM_400000_NS6detail17trampoline_kernelINS0_14default_configENS1_36segmented_radix_sort_config_selectorIilEEZNS1_25segmented_radix_sort_implIS3_Lb0EPKiPiPKlPlN2at6native12_GLOBAL__N_18offset_tEEE10hipError_tPvRmT1_PNSt15iterator_traitsISK_E10value_typeET2_T3_PNSL_ISQ_E10value_typeET4_jRbjT5_SW_jjP12ihipStream_tbEUlT_E1_NS1_11comp_targetILNS1_3genE9ELNS1_11target_archE1100ELNS1_3gpuE3ELNS1_3repE0EEENS1_59segmented_radix_sort_warp_sort_small_config_static_selectorELNS0_4arch9wavefront6targetE1EEEvSK_: ; @_ZN7rocprim17ROCPRIM_400000_NS6detail17trampoline_kernelINS0_14default_configENS1_36segmented_radix_sort_config_selectorIilEEZNS1_25segmented_radix_sort_implIS3_Lb0EPKiPiPKlPlN2at6native12_GLOBAL__N_18offset_tEEE10hipError_tPvRmT1_PNSt15iterator_traitsISK_E10value_typeET2_T3_PNSL_ISQ_E10value_typeET4_jRbjT5_SW_jjP12ihipStream_tbEUlT_E1_NS1_11comp_targetILNS1_3genE9ELNS1_11target_archE1100ELNS1_3gpuE3ELNS1_3repE0EEENS1_59segmented_radix_sort_warp_sort_small_config_static_selectorELNS0_4arch9wavefront6targetE1EEEvSK_
; %bb.0:
	.section	.rodata,"a",@progbits
	.p2align	6, 0x0
	.amdhsa_kernel _ZN7rocprim17ROCPRIM_400000_NS6detail17trampoline_kernelINS0_14default_configENS1_36segmented_radix_sort_config_selectorIilEEZNS1_25segmented_radix_sort_implIS3_Lb0EPKiPiPKlPlN2at6native12_GLOBAL__N_18offset_tEEE10hipError_tPvRmT1_PNSt15iterator_traitsISK_E10value_typeET2_T3_PNSL_ISQ_E10value_typeET4_jRbjT5_SW_jjP12ihipStream_tbEUlT_E1_NS1_11comp_targetILNS1_3genE9ELNS1_11target_archE1100ELNS1_3gpuE3ELNS1_3repE0EEENS1_59segmented_radix_sort_warp_sort_small_config_static_selectorELNS0_4arch9wavefront6targetE1EEEvSK_
		.amdhsa_group_segment_fixed_size 0
		.amdhsa_private_segment_fixed_size 0
		.amdhsa_kernarg_size 88
		.amdhsa_user_sgpr_count 6
		.amdhsa_user_sgpr_private_segment_buffer 1
		.amdhsa_user_sgpr_dispatch_ptr 0
		.amdhsa_user_sgpr_queue_ptr 0
		.amdhsa_user_sgpr_kernarg_segment_ptr 1
		.amdhsa_user_sgpr_dispatch_id 0
		.amdhsa_user_sgpr_flat_scratch_init 0
		.amdhsa_user_sgpr_kernarg_preload_length 0
		.amdhsa_user_sgpr_kernarg_preload_offset 0
		.amdhsa_user_sgpr_private_segment_size 0
		.amdhsa_uses_dynamic_stack 0
		.amdhsa_system_sgpr_private_segment_wavefront_offset 0
		.amdhsa_system_sgpr_workgroup_id_x 1
		.amdhsa_system_sgpr_workgroup_id_y 0
		.amdhsa_system_sgpr_workgroup_id_z 0
		.amdhsa_system_sgpr_workgroup_info 0
		.amdhsa_system_vgpr_workitem_id 0
		.amdhsa_next_free_vgpr 1
		.amdhsa_next_free_sgpr 0
		.amdhsa_accum_offset 4
		.amdhsa_reserve_vcc 0
		.amdhsa_reserve_flat_scratch 0
		.amdhsa_float_round_mode_32 0
		.amdhsa_float_round_mode_16_64 0
		.amdhsa_float_denorm_mode_32 3
		.amdhsa_float_denorm_mode_16_64 3
		.amdhsa_dx10_clamp 1
		.amdhsa_ieee_mode 1
		.amdhsa_fp16_overflow 0
		.amdhsa_tg_split 0
		.amdhsa_exception_fp_ieee_invalid_op 0
		.amdhsa_exception_fp_denorm_src 0
		.amdhsa_exception_fp_ieee_div_zero 0
		.amdhsa_exception_fp_ieee_overflow 0
		.amdhsa_exception_fp_ieee_underflow 0
		.amdhsa_exception_fp_ieee_inexact 0
		.amdhsa_exception_int_div_zero 0
	.end_amdhsa_kernel
	.section	.text._ZN7rocprim17ROCPRIM_400000_NS6detail17trampoline_kernelINS0_14default_configENS1_36segmented_radix_sort_config_selectorIilEEZNS1_25segmented_radix_sort_implIS3_Lb0EPKiPiPKlPlN2at6native12_GLOBAL__N_18offset_tEEE10hipError_tPvRmT1_PNSt15iterator_traitsISK_E10value_typeET2_T3_PNSL_ISQ_E10value_typeET4_jRbjT5_SW_jjP12ihipStream_tbEUlT_E1_NS1_11comp_targetILNS1_3genE9ELNS1_11target_archE1100ELNS1_3gpuE3ELNS1_3repE0EEENS1_59segmented_radix_sort_warp_sort_small_config_static_selectorELNS0_4arch9wavefront6targetE1EEEvSK_,"axG",@progbits,_ZN7rocprim17ROCPRIM_400000_NS6detail17trampoline_kernelINS0_14default_configENS1_36segmented_radix_sort_config_selectorIilEEZNS1_25segmented_radix_sort_implIS3_Lb0EPKiPiPKlPlN2at6native12_GLOBAL__N_18offset_tEEE10hipError_tPvRmT1_PNSt15iterator_traitsISK_E10value_typeET2_T3_PNSL_ISQ_E10value_typeET4_jRbjT5_SW_jjP12ihipStream_tbEUlT_E1_NS1_11comp_targetILNS1_3genE9ELNS1_11target_archE1100ELNS1_3gpuE3ELNS1_3repE0EEENS1_59segmented_radix_sort_warp_sort_small_config_static_selectorELNS0_4arch9wavefront6targetE1EEEvSK_,comdat
.Lfunc_end628:
	.size	_ZN7rocprim17ROCPRIM_400000_NS6detail17trampoline_kernelINS0_14default_configENS1_36segmented_radix_sort_config_selectorIilEEZNS1_25segmented_radix_sort_implIS3_Lb0EPKiPiPKlPlN2at6native12_GLOBAL__N_18offset_tEEE10hipError_tPvRmT1_PNSt15iterator_traitsISK_E10value_typeET2_T3_PNSL_ISQ_E10value_typeET4_jRbjT5_SW_jjP12ihipStream_tbEUlT_E1_NS1_11comp_targetILNS1_3genE9ELNS1_11target_archE1100ELNS1_3gpuE3ELNS1_3repE0EEENS1_59segmented_radix_sort_warp_sort_small_config_static_selectorELNS0_4arch9wavefront6targetE1EEEvSK_, .Lfunc_end628-_ZN7rocprim17ROCPRIM_400000_NS6detail17trampoline_kernelINS0_14default_configENS1_36segmented_radix_sort_config_selectorIilEEZNS1_25segmented_radix_sort_implIS3_Lb0EPKiPiPKlPlN2at6native12_GLOBAL__N_18offset_tEEE10hipError_tPvRmT1_PNSt15iterator_traitsISK_E10value_typeET2_T3_PNSL_ISQ_E10value_typeET4_jRbjT5_SW_jjP12ihipStream_tbEUlT_E1_NS1_11comp_targetILNS1_3genE9ELNS1_11target_archE1100ELNS1_3gpuE3ELNS1_3repE0EEENS1_59segmented_radix_sort_warp_sort_small_config_static_selectorELNS0_4arch9wavefront6targetE1EEEvSK_
                                        ; -- End function
	.section	.AMDGPU.csdata,"",@progbits
; Kernel info:
; codeLenInByte = 0
; NumSgprs: 4
; NumVgprs: 0
; NumAgprs: 0
; TotalNumVgprs: 0
; ScratchSize: 0
; MemoryBound: 0
; FloatMode: 240
; IeeeMode: 1
; LDSByteSize: 0 bytes/workgroup (compile time only)
; SGPRBlocks: 0
; VGPRBlocks: 0
; NumSGPRsForWavesPerEU: 4
; NumVGPRsForWavesPerEU: 1
; AccumOffset: 4
; Occupancy: 8
; WaveLimiterHint : 0
; COMPUTE_PGM_RSRC2:SCRATCH_EN: 0
; COMPUTE_PGM_RSRC2:USER_SGPR: 6
; COMPUTE_PGM_RSRC2:TRAP_HANDLER: 0
; COMPUTE_PGM_RSRC2:TGID_X_EN: 1
; COMPUTE_PGM_RSRC2:TGID_Y_EN: 0
; COMPUTE_PGM_RSRC2:TGID_Z_EN: 0
; COMPUTE_PGM_RSRC2:TIDIG_COMP_CNT: 0
; COMPUTE_PGM_RSRC3_GFX90A:ACCUM_OFFSET: 0
; COMPUTE_PGM_RSRC3_GFX90A:TG_SPLIT: 0
	.section	.text._ZN7rocprim17ROCPRIM_400000_NS6detail17trampoline_kernelINS0_14default_configENS1_36segmented_radix_sort_config_selectorIilEEZNS1_25segmented_radix_sort_implIS3_Lb0EPKiPiPKlPlN2at6native12_GLOBAL__N_18offset_tEEE10hipError_tPvRmT1_PNSt15iterator_traitsISK_E10value_typeET2_T3_PNSL_ISQ_E10value_typeET4_jRbjT5_SW_jjP12ihipStream_tbEUlT_E1_NS1_11comp_targetILNS1_3genE8ELNS1_11target_archE1030ELNS1_3gpuE2ELNS1_3repE0EEENS1_59segmented_radix_sort_warp_sort_small_config_static_selectorELNS0_4arch9wavefront6targetE1EEEvSK_,"axG",@progbits,_ZN7rocprim17ROCPRIM_400000_NS6detail17trampoline_kernelINS0_14default_configENS1_36segmented_radix_sort_config_selectorIilEEZNS1_25segmented_radix_sort_implIS3_Lb0EPKiPiPKlPlN2at6native12_GLOBAL__N_18offset_tEEE10hipError_tPvRmT1_PNSt15iterator_traitsISK_E10value_typeET2_T3_PNSL_ISQ_E10value_typeET4_jRbjT5_SW_jjP12ihipStream_tbEUlT_E1_NS1_11comp_targetILNS1_3genE8ELNS1_11target_archE1030ELNS1_3gpuE2ELNS1_3repE0EEENS1_59segmented_radix_sort_warp_sort_small_config_static_selectorELNS0_4arch9wavefront6targetE1EEEvSK_,comdat
	.globl	_ZN7rocprim17ROCPRIM_400000_NS6detail17trampoline_kernelINS0_14default_configENS1_36segmented_radix_sort_config_selectorIilEEZNS1_25segmented_radix_sort_implIS3_Lb0EPKiPiPKlPlN2at6native12_GLOBAL__N_18offset_tEEE10hipError_tPvRmT1_PNSt15iterator_traitsISK_E10value_typeET2_T3_PNSL_ISQ_E10value_typeET4_jRbjT5_SW_jjP12ihipStream_tbEUlT_E1_NS1_11comp_targetILNS1_3genE8ELNS1_11target_archE1030ELNS1_3gpuE2ELNS1_3repE0EEENS1_59segmented_radix_sort_warp_sort_small_config_static_selectorELNS0_4arch9wavefront6targetE1EEEvSK_ ; -- Begin function _ZN7rocprim17ROCPRIM_400000_NS6detail17trampoline_kernelINS0_14default_configENS1_36segmented_radix_sort_config_selectorIilEEZNS1_25segmented_radix_sort_implIS3_Lb0EPKiPiPKlPlN2at6native12_GLOBAL__N_18offset_tEEE10hipError_tPvRmT1_PNSt15iterator_traitsISK_E10value_typeET2_T3_PNSL_ISQ_E10value_typeET4_jRbjT5_SW_jjP12ihipStream_tbEUlT_E1_NS1_11comp_targetILNS1_3genE8ELNS1_11target_archE1030ELNS1_3gpuE2ELNS1_3repE0EEENS1_59segmented_radix_sort_warp_sort_small_config_static_selectorELNS0_4arch9wavefront6targetE1EEEvSK_
	.p2align	8
	.type	_ZN7rocprim17ROCPRIM_400000_NS6detail17trampoline_kernelINS0_14default_configENS1_36segmented_radix_sort_config_selectorIilEEZNS1_25segmented_radix_sort_implIS3_Lb0EPKiPiPKlPlN2at6native12_GLOBAL__N_18offset_tEEE10hipError_tPvRmT1_PNSt15iterator_traitsISK_E10value_typeET2_T3_PNSL_ISQ_E10value_typeET4_jRbjT5_SW_jjP12ihipStream_tbEUlT_E1_NS1_11comp_targetILNS1_3genE8ELNS1_11target_archE1030ELNS1_3gpuE2ELNS1_3repE0EEENS1_59segmented_radix_sort_warp_sort_small_config_static_selectorELNS0_4arch9wavefront6targetE1EEEvSK_,@function
_ZN7rocprim17ROCPRIM_400000_NS6detail17trampoline_kernelINS0_14default_configENS1_36segmented_radix_sort_config_selectorIilEEZNS1_25segmented_radix_sort_implIS3_Lb0EPKiPiPKlPlN2at6native12_GLOBAL__N_18offset_tEEE10hipError_tPvRmT1_PNSt15iterator_traitsISK_E10value_typeET2_T3_PNSL_ISQ_E10value_typeET4_jRbjT5_SW_jjP12ihipStream_tbEUlT_E1_NS1_11comp_targetILNS1_3genE8ELNS1_11target_archE1030ELNS1_3gpuE2ELNS1_3repE0EEENS1_59segmented_radix_sort_warp_sort_small_config_static_selectorELNS0_4arch9wavefront6targetE1EEEvSK_: ; @_ZN7rocprim17ROCPRIM_400000_NS6detail17trampoline_kernelINS0_14default_configENS1_36segmented_radix_sort_config_selectorIilEEZNS1_25segmented_radix_sort_implIS3_Lb0EPKiPiPKlPlN2at6native12_GLOBAL__N_18offset_tEEE10hipError_tPvRmT1_PNSt15iterator_traitsISK_E10value_typeET2_T3_PNSL_ISQ_E10value_typeET4_jRbjT5_SW_jjP12ihipStream_tbEUlT_E1_NS1_11comp_targetILNS1_3genE8ELNS1_11target_archE1030ELNS1_3gpuE2ELNS1_3repE0EEENS1_59segmented_radix_sort_warp_sort_small_config_static_selectorELNS0_4arch9wavefront6targetE1EEEvSK_
; %bb.0:
	.section	.rodata,"a",@progbits
	.p2align	6, 0x0
	.amdhsa_kernel _ZN7rocprim17ROCPRIM_400000_NS6detail17trampoline_kernelINS0_14default_configENS1_36segmented_radix_sort_config_selectorIilEEZNS1_25segmented_radix_sort_implIS3_Lb0EPKiPiPKlPlN2at6native12_GLOBAL__N_18offset_tEEE10hipError_tPvRmT1_PNSt15iterator_traitsISK_E10value_typeET2_T3_PNSL_ISQ_E10value_typeET4_jRbjT5_SW_jjP12ihipStream_tbEUlT_E1_NS1_11comp_targetILNS1_3genE8ELNS1_11target_archE1030ELNS1_3gpuE2ELNS1_3repE0EEENS1_59segmented_radix_sort_warp_sort_small_config_static_selectorELNS0_4arch9wavefront6targetE1EEEvSK_
		.amdhsa_group_segment_fixed_size 0
		.amdhsa_private_segment_fixed_size 0
		.amdhsa_kernarg_size 88
		.amdhsa_user_sgpr_count 6
		.amdhsa_user_sgpr_private_segment_buffer 1
		.amdhsa_user_sgpr_dispatch_ptr 0
		.amdhsa_user_sgpr_queue_ptr 0
		.amdhsa_user_sgpr_kernarg_segment_ptr 1
		.amdhsa_user_sgpr_dispatch_id 0
		.amdhsa_user_sgpr_flat_scratch_init 0
		.amdhsa_user_sgpr_kernarg_preload_length 0
		.amdhsa_user_sgpr_kernarg_preload_offset 0
		.amdhsa_user_sgpr_private_segment_size 0
		.amdhsa_uses_dynamic_stack 0
		.amdhsa_system_sgpr_private_segment_wavefront_offset 0
		.amdhsa_system_sgpr_workgroup_id_x 1
		.amdhsa_system_sgpr_workgroup_id_y 0
		.amdhsa_system_sgpr_workgroup_id_z 0
		.amdhsa_system_sgpr_workgroup_info 0
		.amdhsa_system_vgpr_workitem_id 0
		.amdhsa_next_free_vgpr 1
		.amdhsa_next_free_sgpr 0
		.amdhsa_accum_offset 4
		.amdhsa_reserve_vcc 0
		.amdhsa_reserve_flat_scratch 0
		.amdhsa_float_round_mode_32 0
		.amdhsa_float_round_mode_16_64 0
		.amdhsa_float_denorm_mode_32 3
		.amdhsa_float_denorm_mode_16_64 3
		.amdhsa_dx10_clamp 1
		.amdhsa_ieee_mode 1
		.amdhsa_fp16_overflow 0
		.amdhsa_tg_split 0
		.amdhsa_exception_fp_ieee_invalid_op 0
		.amdhsa_exception_fp_denorm_src 0
		.amdhsa_exception_fp_ieee_div_zero 0
		.amdhsa_exception_fp_ieee_overflow 0
		.amdhsa_exception_fp_ieee_underflow 0
		.amdhsa_exception_fp_ieee_inexact 0
		.amdhsa_exception_int_div_zero 0
	.end_amdhsa_kernel
	.section	.text._ZN7rocprim17ROCPRIM_400000_NS6detail17trampoline_kernelINS0_14default_configENS1_36segmented_radix_sort_config_selectorIilEEZNS1_25segmented_radix_sort_implIS3_Lb0EPKiPiPKlPlN2at6native12_GLOBAL__N_18offset_tEEE10hipError_tPvRmT1_PNSt15iterator_traitsISK_E10value_typeET2_T3_PNSL_ISQ_E10value_typeET4_jRbjT5_SW_jjP12ihipStream_tbEUlT_E1_NS1_11comp_targetILNS1_3genE8ELNS1_11target_archE1030ELNS1_3gpuE2ELNS1_3repE0EEENS1_59segmented_radix_sort_warp_sort_small_config_static_selectorELNS0_4arch9wavefront6targetE1EEEvSK_,"axG",@progbits,_ZN7rocprim17ROCPRIM_400000_NS6detail17trampoline_kernelINS0_14default_configENS1_36segmented_radix_sort_config_selectorIilEEZNS1_25segmented_radix_sort_implIS3_Lb0EPKiPiPKlPlN2at6native12_GLOBAL__N_18offset_tEEE10hipError_tPvRmT1_PNSt15iterator_traitsISK_E10value_typeET2_T3_PNSL_ISQ_E10value_typeET4_jRbjT5_SW_jjP12ihipStream_tbEUlT_E1_NS1_11comp_targetILNS1_3genE8ELNS1_11target_archE1030ELNS1_3gpuE2ELNS1_3repE0EEENS1_59segmented_radix_sort_warp_sort_small_config_static_selectorELNS0_4arch9wavefront6targetE1EEEvSK_,comdat
.Lfunc_end629:
	.size	_ZN7rocprim17ROCPRIM_400000_NS6detail17trampoline_kernelINS0_14default_configENS1_36segmented_radix_sort_config_selectorIilEEZNS1_25segmented_radix_sort_implIS3_Lb0EPKiPiPKlPlN2at6native12_GLOBAL__N_18offset_tEEE10hipError_tPvRmT1_PNSt15iterator_traitsISK_E10value_typeET2_T3_PNSL_ISQ_E10value_typeET4_jRbjT5_SW_jjP12ihipStream_tbEUlT_E1_NS1_11comp_targetILNS1_3genE8ELNS1_11target_archE1030ELNS1_3gpuE2ELNS1_3repE0EEENS1_59segmented_radix_sort_warp_sort_small_config_static_selectorELNS0_4arch9wavefront6targetE1EEEvSK_, .Lfunc_end629-_ZN7rocprim17ROCPRIM_400000_NS6detail17trampoline_kernelINS0_14default_configENS1_36segmented_radix_sort_config_selectorIilEEZNS1_25segmented_radix_sort_implIS3_Lb0EPKiPiPKlPlN2at6native12_GLOBAL__N_18offset_tEEE10hipError_tPvRmT1_PNSt15iterator_traitsISK_E10value_typeET2_T3_PNSL_ISQ_E10value_typeET4_jRbjT5_SW_jjP12ihipStream_tbEUlT_E1_NS1_11comp_targetILNS1_3genE8ELNS1_11target_archE1030ELNS1_3gpuE2ELNS1_3repE0EEENS1_59segmented_radix_sort_warp_sort_small_config_static_selectorELNS0_4arch9wavefront6targetE1EEEvSK_
                                        ; -- End function
	.section	.AMDGPU.csdata,"",@progbits
; Kernel info:
; codeLenInByte = 0
; NumSgprs: 4
; NumVgprs: 0
; NumAgprs: 0
; TotalNumVgprs: 0
; ScratchSize: 0
; MemoryBound: 0
; FloatMode: 240
; IeeeMode: 1
; LDSByteSize: 0 bytes/workgroup (compile time only)
; SGPRBlocks: 0
; VGPRBlocks: 0
; NumSGPRsForWavesPerEU: 4
; NumVGPRsForWavesPerEU: 1
; AccumOffset: 4
; Occupancy: 8
; WaveLimiterHint : 0
; COMPUTE_PGM_RSRC2:SCRATCH_EN: 0
; COMPUTE_PGM_RSRC2:USER_SGPR: 6
; COMPUTE_PGM_RSRC2:TRAP_HANDLER: 0
; COMPUTE_PGM_RSRC2:TGID_X_EN: 1
; COMPUTE_PGM_RSRC2:TGID_Y_EN: 0
; COMPUTE_PGM_RSRC2:TGID_Z_EN: 0
; COMPUTE_PGM_RSRC2:TIDIG_COMP_CNT: 0
; COMPUTE_PGM_RSRC3_GFX90A:ACCUM_OFFSET: 0
; COMPUTE_PGM_RSRC3_GFX90A:TG_SPLIT: 0
	.section	.text._ZN7rocprim17ROCPRIM_400000_NS6detail17trampoline_kernelINS0_14default_configENS1_36segmented_radix_sort_config_selectorIilEEZNS1_25segmented_radix_sort_implIS3_Lb0EPKiPiPKlPlN2at6native12_GLOBAL__N_18offset_tEEE10hipError_tPvRmT1_PNSt15iterator_traitsISK_E10value_typeET2_T3_PNSL_ISQ_E10value_typeET4_jRbjT5_SW_jjP12ihipStream_tbEUlT_E2_NS1_11comp_targetILNS1_3genE0ELNS1_11target_archE4294967295ELNS1_3gpuE0ELNS1_3repE0EEENS1_30default_config_static_selectorELNS0_4arch9wavefront6targetE1EEEvSK_,"axG",@progbits,_ZN7rocprim17ROCPRIM_400000_NS6detail17trampoline_kernelINS0_14default_configENS1_36segmented_radix_sort_config_selectorIilEEZNS1_25segmented_radix_sort_implIS3_Lb0EPKiPiPKlPlN2at6native12_GLOBAL__N_18offset_tEEE10hipError_tPvRmT1_PNSt15iterator_traitsISK_E10value_typeET2_T3_PNSL_ISQ_E10value_typeET4_jRbjT5_SW_jjP12ihipStream_tbEUlT_E2_NS1_11comp_targetILNS1_3genE0ELNS1_11target_archE4294967295ELNS1_3gpuE0ELNS1_3repE0EEENS1_30default_config_static_selectorELNS0_4arch9wavefront6targetE1EEEvSK_,comdat
	.globl	_ZN7rocprim17ROCPRIM_400000_NS6detail17trampoline_kernelINS0_14default_configENS1_36segmented_radix_sort_config_selectorIilEEZNS1_25segmented_radix_sort_implIS3_Lb0EPKiPiPKlPlN2at6native12_GLOBAL__N_18offset_tEEE10hipError_tPvRmT1_PNSt15iterator_traitsISK_E10value_typeET2_T3_PNSL_ISQ_E10value_typeET4_jRbjT5_SW_jjP12ihipStream_tbEUlT_E2_NS1_11comp_targetILNS1_3genE0ELNS1_11target_archE4294967295ELNS1_3gpuE0ELNS1_3repE0EEENS1_30default_config_static_selectorELNS0_4arch9wavefront6targetE1EEEvSK_ ; -- Begin function _ZN7rocprim17ROCPRIM_400000_NS6detail17trampoline_kernelINS0_14default_configENS1_36segmented_radix_sort_config_selectorIilEEZNS1_25segmented_radix_sort_implIS3_Lb0EPKiPiPKlPlN2at6native12_GLOBAL__N_18offset_tEEE10hipError_tPvRmT1_PNSt15iterator_traitsISK_E10value_typeET2_T3_PNSL_ISQ_E10value_typeET4_jRbjT5_SW_jjP12ihipStream_tbEUlT_E2_NS1_11comp_targetILNS1_3genE0ELNS1_11target_archE4294967295ELNS1_3gpuE0ELNS1_3repE0EEENS1_30default_config_static_selectorELNS0_4arch9wavefront6targetE1EEEvSK_
	.p2align	8
	.type	_ZN7rocprim17ROCPRIM_400000_NS6detail17trampoline_kernelINS0_14default_configENS1_36segmented_radix_sort_config_selectorIilEEZNS1_25segmented_radix_sort_implIS3_Lb0EPKiPiPKlPlN2at6native12_GLOBAL__N_18offset_tEEE10hipError_tPvRmT1_PNSt15iterator_traitsISK_E10value_typeET2_T3_PNSL_ISQ_E10value_typeET4_jRbjT5_SW_jjP12ihipStream_tbEUlT_E2_NS1_11comp_targetILNS1_3genE0ELNS1_11target_archE4294967295ELNS1_3gpuE0ELNS1_3repE0EEENS1_30default_config_static_selectorELNS0_4arch9wavefront6targetE1EEEvSK_,@function
_ZN7rocprim17ROCPRIM_400000_NS6detail17trampoline_kernelINS0_14default_configENS1_36segmented_radix_sort_config_selectorIilEEZNS1_25segmented_radix_sort_implIS3_Lb0EPKiPiPKlPlN2at6native12_GLOBAL__N_18offset_tEEE10hipError_tPvRmT1_PNSt15iterator_traitsISK_E10value_typeET2_T3_PNSL_ISQ_E10value_typeET4_jRbjT5_SW_jjP12ihipStream_tbEUlT_E2_NS1_11comp_targetILNS1_3genE0ELNS1_11target_archE4294967295ELNS1_3gpuE0ELNS1_3repE0EEENS1_30default_config_static_selectorELNS0_4arch9wavefront6targetE1EEEvSK_: ; @_ZN7rocprim17ROCPRIM_400000_NS6detail17trampoline_kernelINS0_14default_configENS1_36segmented_radix_sort_config_selectorIilEEZNS1_25segmented_radix_sort_implIS3_Lb0EPKiPiPKlPlN2at6native12_GLOBAL__N_18offset_tEEE10hipError_tPvRmT1_PNSt15iterator_traitsISK_E10value_typeET2_T3_PNSL_ISQ_E10value_typeET4_jRbjT5_SW_jjP12ihipStream_tbEUlT_E2_NS1_11comp_targetILNS1_3genE0ELNS1_11target_archE4294967295ELNS1_3gpuE0ELNS1_3repE0EEENS1_30default_config_static_selectorELNS0_4arch9wavefront6targetE1EEEvSK_
; %bb.0:
	.section	.rodata,"a",@progbits
	.p2align	6, 0x0
	.amdhsa_kernel _ZN7rocprim17ROCPRIM_400000_NS6detail17trampoline_kernelINS0_14default_configENS1_36segmented_radix_sort_config_selectorIilEEZNS1_25segmented_radix_sort_implIS3_Lb0EPKiPiPKlPlN2at6native12_GLOBAL__N_18offset_tEEE10hipError_tPvRmT1_PNSt15iterator_traitsISK_E10value_typeET2_T3_PNSL_ISQ_E10value_typeET4_jRbjT5_SW_jjP12ihipStream_tbEUlT_E2_NS1_11comp_targetILNS1_3genE0ELNS1_11target_archE4294967295ELNS1_3gpuE0ELNS1_3repE0EEENS1_30default_config_static_selectorELNS0_4arch9wavefront6targetE1EEEvSK_
		.amdhsa_group_segment_fixed_size 0
		.amdhsa_private_segment_fixed_size 0
		.amdhsa_kernarg_size 80
		.amdhsa_user_sgpr_count 6
		.amdhsa_user_sgpr_private_segment_buffer 1
		.amdhsa_user_sgpr_dispatch_ptr 0
		.amdhsa_user_sgpr_queue_ptr 0
		.amdhsa_user_sgpr_kernarg_segment_ptr 1
		.amdhsa_user_sgpr_dispatch_id 0
		.amdhsa_user_sgpr_flat_scratch_init 0
		.amdhsa_user_sgpr_kernarg_preload_length 0
		.amdhsa_user_sgpr_kernarg_preload_offset 0
		.amdhsa_user_sgpr_private_segment_size 0
		.amdhsa_uses_dynamic_stack 0
		.amdhsa_system_sgpr_private_segment_wavefront_offset 0
		.amdhsa_system_sgpr_workgroup_id_x 1
		.amdhsa_system_sgpr_workgroup_id_y 0
		.amdhsa_system_sgpr_workgroup_id_z 0
		.amdhsa_system_sgpr_workgroup_info 0
		.amdhsa_system_vgpr_workitem_id 0
		.amdhsa_next_free_vgpr 1
		.amdhsa_next_free_sgpr 0
		.amdhsa_accum_offset 4
		.amdhsa_reserve_vcc 0
		.amdhsa_reserve_flat_scratch 0
		.amdhsa_float_round_mode_32 0
		.amdhsa_float_round_mode_16_64 0
		.amdhsa_float_denorm_mode_32 3
		.amdhsa_float_denorm_mode_16_64 3
		.amdhsa_dx10_clamp 1
		.amdhsa_ieee_mode 1
		.amdhsa_fp16_overflow 0
		.amdhsa_tg_split 0
		.amdhsa_exception_fp_ieee_invalid_op 0
		.amdhsa_exception_fp_denorm_src 0
		.amdhsa_exception_fp_ieee_div_zero 0
		.amdhsa_exception_fp_ieee_overflow 0
		.amdhsa_exception_fp_ieee_underflow 0
		.amdhsa_exception_fp_ieee_inexact 0
		.amdhsa_exception_int_div_zero 0
	.end_amdhsa_kernel
	.section	.text._ZN7rocprim17ROCPRIM_400000_NS6detail17trampoline_kernelINS0_14default_configENS1_36segmented_radix_sort_config_selectorIilEEZNS1_25segmented_radix_sort_implIS3_Lb0EPKiPiPKlPlN2at6native12_GLOBAL__N_18offset_tEEE10hipError_tPvRmT1_PNSt15iterator_traitsISK_E10value_typeET2_T3_PNSL_ISQ_E10value_typeET4_jRbjT5_SW_jjP12ihipStream_tbEUlT_E2_NS1_11comp_targetILNS1_3genE0ELNS1_11target_archE4294967295ELNS1_3gpuE0ELNS1_3repE0EEENS1_30default_config_static_selectorELNS0_4arch9wavefront6targetE1EEEvSK_,"axG",@progbits,_ZN7rocprim17ROCPRIM_400000_NS6detail17trampoline_kernelINS0_14default_configENS1_36segmented_radix_sort_config_selectorIilEEZNS1_25segmented_radix_sort_implIS3_Lb0EPKiPiPKlPlN2at6native12_GLOBAL__N_18offset_tEEE10hipError_tPvRmT1_PNSt15iterator_traitsISK_E10value_typeET2_T3_PNSL_ISQ_E10value_typeET4_jRbjT5_SW_jjP12ihipStream_tbEUlT_E2_NS1_11comp_targetILNS1_3genE0ELNS1_11target_archE4294967295ELNS1_3gpuE0ELNS1_3repE0EEENS1_30default_config_static_selectorELNS0_4arch9wavefront6targetE1EEEvSK_,comdat
.Lfunc_end630:
	.size	_ZN7rocprim17ROCPRIM_400000_NS6detail17trampoline_kernelINS0_14default_configENS1_36segmented_radix_sort_config_selectorIilEEZNS1_25segmented_radix_sort_implIS3_Lb0EPKiPiPKlPlN2at6native12_GLOBAL__N_18offset_tEEE10hipError_tPvRmT1_PNSt15iterator_traitsISK_E10value_typeET2_T3_PNSL_ISQ_E10value_typeET4_jRbjT5_SW_jjP12ihipStream_tbEUlT_E2_NS1_11comp_targetILNS1_3genE0ELNS1_11target_archE4294967295ELNS1_3gpuE0ELNS1_3repE0EEENS1_30default_config_static_selectorELNS0_4arch9wavefront6targetE1EEEvSK_, .Lfunc_end630-_ZN7rocprim17ROCPRIM_400000_NS6detail17trampoline_kernelINS0_14default_configENS1_36segmented_radix_sort_config_selectorIilEEZNS1_25segmented_radix_sort_implIS3_Lb0EPKiPiPKlPlN2at6native12_GLOBAL__N_18offset_tEEE10hipError_tPvRmT1_PNSt15iterator_traitsISK_E10value_typeET2_T3_PNSL_ISQ_E10value_typeET4_jRbjT5_SW_jjP12ihipStream_tbEUlT_E2_NS1_11comp_targetILNS1_3genE0ELNS1_11target_archE4294967295ELNS1_3gpuE0ELNS1_3repE0EEENS1_30default_config_static_selectorELNS0_4arch9wavefront6targetE1EEEvSK_
                                        ; -- End function
	.section	.AMDGPU.csdata,"",@progbits
; Kernel info:
; codeLenInByte = 0
; NumSgprs: 4
; NumVgprs: 0
; NumAgprs: 0
; TotalNumVgprs: 0
; ScratchSize: 0
; MemoryBound: 0
; FloatMode: 240
; IeeeMode: 1
; LDSByteSize: 0 bytes/workgroup (compile time only)
; SGPRBlocks: 0
; VGPRBlocks: 0
; NumSGPRsForWavesPerEU: 4
; NumVGPRsForWavesPerEU: 1
; AccumOffset: 4
; Occupancy: 8
; WaveLimiterHint : 0
; COMPUTE_PGM_RSRC2:SCRATCH_EN: 0
; COMPUTE_PGM_RSRC2:USER_SGPR: 6
; COMPUTE_PGM_RSRC2:TRAP_HANDLER: 0
; COMPUTE_PGM_RSRC2:TGID_X_EN: 1
; COMPUTE_PGM_RSRC2:TGID_Y_EN: 0
; COMPUTE_PGM_RSRC2:TGID_Z_EN: 0
; COMPUTE_PGM_RSRC2:TIDIG_COMP_CNT: 0
; COMPUTE_PGM_RSRC3_GFX90A:ACCUM_OFFSET: 0
; COMPUTE_PGM_RSRC3_GFX90A:TG_SPLIT: 0
	.section	.text._ZN7rocprim17ROCPRIM_400000_NS6detail17trampoline_kernelINS0_14default_configENS1_36segmented_radix_sort_config_selectorIilEEZNS1_25segmented_radix_sort_implIS3_Lb0EPKiPiPKlPlN2at6native12_GLOBAL__N_18offset_tEEE10hipError_tPvRmT1_PNSt15iterator_traitsISK_E10value_typeET2_T3_PNSL_ISQ_E10value_typeET4_jRbjT5_SW_jjP12ihipStream_tbEUlT_E2_NS1_11comp_targetILNS1_3genE5ELNS1_11target_archE942ELNS1_3gpuE9ELNS1_3repE0EEENS1_30default_config_static_selectorELNS0_4arch9wavefront6targetE1EEEvSK_,"axG",@progbits,_ZN7rocprim17ROCPRIM_400000_NS6detail17trampoline_kernelINS0_14default_configENS1_36segmented_radix_sort_config_selectorIilEEZNS1_25segmented_radix_sort_implIS3_Lb0EPKiPiPKlPlN2at6native12_GLOBAL__N_18offset_tEEE10hipError_tPvRmT1_PNSt15iterator_traitsISK_E10value_typeET2_T3_PNSL_ISQ_E10value_typeET4_jRbjT5_SW_jjP12ihipStream_tbEUlT_E2_NS1_11comp_targetILNS1_3genE5ELNS1_11target_archE942ELNS1_3gpuE9ELNS1_3repE0EEENS1_30default_config_static_selectorELNS0_4arch9wavefront6targetE1EEEvSK_,comdat
	.globl	_ZN7rocprim17ROCPRIM_400000_NS6detail17trampoline_kernelINS0_14default_configENS1_36segmented_radix_sort_config_selectorIilEEZNS1_25segmented_radix_sort_implIS3_Lb0EPKiPiPKlPlN2at6native12_GLOBAL__N_18offset_tEEE10hipError_tPvRmT1_PNSt15iterator_traitsISK_E10value_typeET2_T3_PNSL_ISQ_E10value_typeET4_jRbjT5_SW_jjP12ihipStream_tbEUlT_E2_NS1_11comp_targetILNS1_3genE5ELNS1_11target_archE942ELNS1_3gpuE9ELNS1_3repE0EEENS1_30default_config_static_selectorELNS0_4arch9wavefront6targetE1EEEvSK_ ; -- Begin function _ZN7rocprim17ROCPRIM_400000_NS6detail17trampoline_kernelINS0_14default_configENS1_36segmented_radix_sort_config_selectorIilEEZNS1_25segmented_radix_sort_implIS3_Lb0EPKiPiPKlPlN2at6native12_GLOBAL__N_18offset_tEEE10hipError_tPvRmT1_PNSt15iterator_traitsISK_E10value_typeET2_T3_PNSL_ISQ_E10value_typeET4_jRbjT5_SW_jjP12ihipStream_tbEUlT_E2_NS1_11comp_targetILNS1_3genE5ELNS1_11target_archE942ELNS1_3gpuE9ELNS1_3repE0EEENS1_30default_config_static_selectorELNS0_4arch9wavefront6targetE1EEEvSK_
	.p2align	8
	.type	_ZN7rocprim17ROCPRIM_400000_NS6detail17trampoline_kernelINS0_14default_configENS1_36segmented_radix_sort_config_selectorIilEEZNS1_25segmented_radix_sort_implIS3_Lb0EPKiPiPKlPlN2at6native12_GLOBAL__N_18offset_tEEE10hipError_tPvRmT1_PNSt15iterator_traitsISK_E10value_typeET2_T3_PNSL_ISQ_E10value_typeET4_jRbjT5_SW_jjP12ihipStream_tbEUlT_E2_NS1_11comp_targetILNS1_3genE5ELNS1_11target_archE942ELNS1_3gpuE9ELNS1_3repE0EEENS1_30default_config_static_selectorELNS0_4arch9wavefront6targetE1EEEvSK_,@function
_ZN7rocprim17ROCPRIM_400000_NS6detail17trampoline_kernelINS0_14default_configENS1_36segmented_radix_sort_config_selectorIilEEZNS1_25segmented_radix_sort_implIS3_Lb0EPKiPiPKlPlN2at6native12_GLOBAL__N_18offset_tEEE10hipError_tPvRmT1_PNSt15iterator_traitsISK_E10value_typeET2_T3_PNSL_ISQ_E10value_typeET4_jRbjT5_SW_jjP12ihipStream_tbEUlT_E2_NS1_11comp_targetILNS1_3genE5ELNS1_11target_archE942ELNS1_3gpuE9ELNS1_3repE0EEENS1_30default_config_static_selectorELNS0_4arch9wavefront6targetE1EEEvSK_: ; @_ZN7rocprim17ROCPRIM_400000_NS6detail17trampoline_kernelINS0_14default_configENS1_36segmented_radix_sort_config_selectorIilEEZNS1_25segmented_radix_sort_implIS3_Lb0EPKiPiPKlPlN2at6native12_GLOBAL__N_18offset_tEEE10hipError_tPvRmT1_PNSt15iterator_traitsISK_E10value_typeET2_T3_PNSL_ISQ_E10value_typeET4_jRbjT5_SW_jjP12ihipStream_tbEUlT_E2_NS1_11comp_targetILNS1_3genE5ELNS1_11target_archE942ELNS1_3gpuE9ELNS1_3repE0EEENS1_30default_config_static_selectorELNS0_4arch9wavefront6targetE1EEEvSK_
; %bb.0:
	.section	.rodata,"a",@progbits
	.p2align	6, 0x0
	.amdhsa_kernel _ZN7rocprim17ROCPRIM_400000_NS6detail17trampoline_kernelINS0_14default_configENS1_36segmented_radix_sort_config_selectorIilEEZNS1_25segmented_radix_sort_implIS3_Lb0EPKiPiPKlPlN2at6native12_GLOBAL__N_18offset_tEEE10hipError_tPvRmT1_PNSt15iterator_traitsISK_E10value_typeET2_T3_PNSL_ISQ_E10value_typeET4_jRbjT5_SW_jjP12ihipStream_tbEUlT_E2_NS1_11comp_targetILNS1_3genE5ELNS1_11target_archE942ELNS1_3gpuE9ELNS1_3repE0EEENS1_30default_config_static_selectorELNS0_4arch9wavefront6targetE1EEEvSK_
		.amdhsa_group_segment_fixed_size 0
		.amdhsa_private_segment_fixed_size 0
		.amdhsa_kernarg_size 80
		.amdhsa_user_sgpr_count 6
		.amdhsa_user_sgpr_private_segment_buffer 1
		.amdhsa_user_sgpr_dispatch_ptr 0
		.amdhsa_user_sgpr_queue_ptr 0
		.amdhsa_user_sgpr_kernarg_segment_ptr 1
		.amdhsa_user_sgpr_dispatch_id 0
		.amdhsa_user_sgpr_flat_scratch_init 0
		.amdhsa_user_sgpr_kernarg_preload_length 0
		.amdhsa_user_sgpr_kernarg_preload_offset 0
		.amdhsa_user_sgpr_private_segment_size 0
		.amdhsa_uses_dynamic_stack 0
		.amdhsa_system_sgpr_private_segment_wavefront_offset 0
		.amdhsa_system_sgpr_workgroup_id_x 1
		.amdhsa_system_sgpr_workgroup_id_y 0
		.amdhsa_system_sgpr_workgroup_id_z 0
		.amdhsa_system_sgpr_workgroup_info 0
		.amdhsa_system_vgpr_workitem_id 0
		.amdhsa_next_free_vgpr 1
		.amdhsa_next_free_sgpr 0
		.amdhsa_accum_offset 4
		.amdhsa_reserve_vcc 0
		.amdhsa_reserve_flat_scratch 0
		.amdhsa_float_round_mode_32 0
		.amdhsa_float_round_mode_16_64 0
		.amdhsa_float_denorm_mode_32 3
		.amdhsa_float_denorm_mode_16_64 3
		.amdhsa_dx10_clamp 1
		.amdhsa_ieee_mode 1
		.amdhsa_fp16_overflow 0
		.amdhsa_tg_split 0
		.amdhsa_exception_fp_ieee_invalid_op 0
		.amdhsa_exception_fp_denorm_src 0
		.amdhsa_exception_fp_ieee_div_zero 0
		.amdhsa_exception_fp_ieee_overflow 0
		.amdhsa_exception_fp_ieee_underflow 0
		.amdhsa_exception_fp_ieee_inexact 0
		.amdhsa_exception_int_div_zero 0
	.end_amdhsa_kernel
	.section	.text._ZN7rocprim17ROCPRIM_400000_NS6detail17trampoline_kernelINS0_14default_configENS1_36segmented_radix_sort_config_selectorIilEEZNS1_25segmented_radix_sort_implIS3_Lb0EPKiPiPKlPlN2at6native12_GLOBAL__N_18offset_tEEE10hipError_tPvRmT1_PNSt15iterator_traitsISK_E10value_typeET2_T3_PNSL_ISQ_E10value_typeET4_jRbjT5_SW_jjP12ihipStream_tbEUlT_E2_NS1_11comp_targetILNS1_3genE5ELNS1_11target_archE942ELNS1_3gpuE9ELNS1_3repE0EEENS1_30default_config_static_selectorELNS0_4arch9wavefront6targetE1EEEvSK_,"axG",@progbits,_ZN7rocprim17ROCPRIM_400000_NS6detail17trampoline_kernelINS0_14default_configENS1_36segmented_radix_sort_config_selectorIilEEZNS1_25segmented_radix_sort_implIS3_Lb0EPKiPiPKlPlN2at6native12_GLOBAL__N_18offset_tEEE10hipError_tPvRmT1_PNSt15iterator_traitsISK_E10value_typeET2_T3_PNSL_ISQ_E10value_typeET4_jRbjT5_SW_jjP12ihipStream_tbEUlT_E2_NS1_11comp_targetILNS1_3genE5ELNS1_11target_archE942ELNS1_3gpuE9ELNS1_3repE0EEENS1_30default_config_static_selectorELNS0_4arch9wavefront6targetE1EEEvSK_,comdat
.Lfunc_end631:
	.size	_ZN7rocprim17ROCPRIM_400000_NS6detail17trampoline_kernelINS0_14default_configENS1_36segmented_radix_sort_config_selectorIilEEZNS1_25segmented_radix_sort_implIS3_Lb0EPKiPiPKlPlN2at6native12_GLOBAL__N_18offset_tEEE10hipError_tPvRmT1_PNSt15iterator_traitsISK_E10value_typeET2_T3_PNSL_ISQ_E10value_typeET4_jRbjT5_SW_jjP12ihipStream_tbEUlT_E2_NS1_11comp_targetILNS1_3genE5ELNS1_11target_archE942ELNS1_3gpuE9ELNS1_3repE0EEENS1_30default_config_static_selectorELNS0_4arch9wavefront6targetE1EEEvSK_, .Lfunc_end631-_ZN7rocprim17ROCPRIM_400000_NS6detail17trampoline_kernelINS0_14default_configENS1_36segmented_radix_sort_config_selectorIilEEZNS1_25segmented_radix_sort_implIS3_Lb0EPKiPiPKlPlN2at6native12_GLOBAL__N_18offset_tEEE10hipError_tPvRmT1_PNSt15iterator_traitsISK_E10value_typeET2_T3_PNSL_ISQ_E10value_typeET4_jRbjT5_SW_jjP12ihipStream_tbEUlT_E2_NS1_11comp_targetILNS1_3genE5ELNS1_11target_archE942ELNS1_3gpuE9ELNS1_3repE0EEENS1_30default_config_static_selectorELNS0_4arch9wavefront6targetE1EEEvSK_
                                        ; -- End function
	.section	.AMDGPU.csdata,"",@progbits
; Kernel info:
; codeLenInByte = 0
; NumSgprs: 4
; NumVgprs: 0
; NumAgprs: 0
; TotalNumVgprs: 0
; ScratchSize: 0
; MemoryBound: 0
; FloatMode: 240
; IeeeMode: 1
; LDSByteSize: 0 bytes/workgroup (compile time only)
; SGPRBlocks: 0
; VGPRBlocks: 0
; NumSGPRsForWavesPerEU: 4
; NumVGPRsForWavesPerEU: 1
; AccumOffset: 4
; Occupancy: 8
; WaveLimiterHint : 0
; COMPUTE_PGM_RSRC2:SCRATCH_EN: 0
; COMPUTE_PGM_RSRC2:USER_SGPR: 6
; COMPUTE_PGM_RSRC2:TRAP_HANDLER: 0
; COMPUTE_PGM_RSRC2:TGID_X_EN: 1
; COMPUTE_PGM_RSRC2:TGID_Y_EN: 0
; COMPUTE_PGM_RSRC2:TGID_Z_EN: 0
; COMPUTE_PGM_RSRC2:TIDIG_COMP_CNT: 0
; COMPUTE_PGM_RSRC3_GFX90A:ACCUM_OFFSET: 0
; COMPUTE_PGM_RSRC3_GFX90A:TG_SPLIT: 0
	.section	.text._ZN7rocprim17ROCPRIM_400000_NS6detail17trampoline_kernelINS0_14default_configENS1_36segmented_radix_sort_config_selectorIilEEZNS1_25segmented_radix_sort_implIS3_Lb0EPKiPiPKlPlN2at6native12_GLOBAL__N_18offset_tEEE10hipError_tPvRmT1_PNSt15iterator_traitsISK_E10value_typeET2_T3_PNSL_ISQ_E10value_typeET4_jRbjT5_SW_jjP12ihipStream_tbEUlT_E2_NS1_11comp_targetILNS1_3genE4ELNS1_11target_archE910ELNS1_3gpuE8ELNS1_3repE0EEENS1_30default_config_static_selectorELNS0_4arch9wavefront6targetE1EEEvSK_,"axG",@progbits,_ZN7rocprim17ROCPRIM_400000_NS6detail17trampoline_kernelINS0_14default_configENS1_36segmented_radix_sort_config_selectorIilEEZNS1_25segmented_radix_sort_implIS3_Lb0EPKiPiPKlPlN2at6native12_GLOBAL__N_18offset_tEEE10hipError_tPvRmT1_PNSt15iterator_traitsISK_E10value_typeET2_T3_PNSL_ISQ_E10value_typeET4_jRbjT5_SW_jjP12ihipStream_tbEUlT_E2_NS1_11comp_targetILNS1_3genE4ELNS1_11target_archE910ELNS1_3gpuE8ELNS1_3repE0EEENS1_30default_config_static_selectorELNS0_4arch9wavefront6targetE1EEEvSK_,comdat
	.globl	_ZN7rocprim17ROCPRIM_400000_NS6detail17trampoline_kernelINS0_14default_configENS1_36segmented_radix_sort_config_selectorIilEEZNS1_25segmented_radix_sort_implIS3_Lb0EPKiPiPKlPlN2at6native12_GLOBAL__N_18offset_tEEE10hipError_tPvRmT1_PNSt15iterator_traitsISK_E10value_typeET2_T3_PNSL_ISQ_E10value_typeET4_jRbjT5_SW_jjP12ihipStream_tbEUlT_E2_NS1_11comp_targetILNS1_3genE4ELNS1_11target_archE910ELNS1_3gpuE8ELNS1_3repE0EEENS1_30default_config_static_selectorELNS0_4arch9wavefront6targetE1EEEvSK_ ; -- Begin function _ZN7rocprim17ROCPRIM_400000_NS6detail17trampoline_kernelINS0_14default_configENS1_36segmented_radix_sort_config_selectorIilEEZNS1_25segmented_radix_sort_implIS3_Lb0EPKiPiPKlPlN2at6native12_GLOBAL__N_18offset_tEEE10hipError_tPvRmT1_PNSt15iterator_traitsISK_E10value_typeET2_T3_PNSL_ISQ_E10value_typeET4_jRbjT5_SW_jjP12ihipStream_tbEUlT_E2_NS1_11comp_targetILNS1_3genE4ELNS1_11target_archE910ELNS1_3gpuE8ELNS1_3repE0EEENS1_30default_config_static_selectorELNS0_4arch9wavefront6targetE1EEEvSK_
	.p2align	8
	.type	_ZN7rocprim17ROCPRIM_400000_NS6detail17trampoline_kernelINS0_14default_configENS1_36segmented_radix_sort_config_selectorIilEEZNS1_25segmented_radix_sort_implIS3_Lb0EPKiPiPKlPlN2at6native12_GLOBAL__N_18offset_tEEE10hipError_tPvRmT1_PNSt15iterator_traitsISK_E10value_typeET2_T3_PNSL_ISQ_E10value_typeET4_jRbjT5_SW_jjP12ihipStream_tbEUlT_E2_NS1_11comp_targetILNS1_3genE4ELNS1_11target_archE910ELNS1_3gpuE8ELNS1_3repE0EEENS1_30default_config_static_selectorELNS0_4arch9wavefront6targetE1EEEvSK_,@function
_ZN7rocprim17ROCPRIM_400000_NS6detail17trampoline_kernelINS0_14default_configENS1_36segmented_radix_sort_config_selectorIilEEZNS1_25segmented_radix_sort_implIS3_Lb0EPKiPiPKlPlN2at6native12_GLOBAL__N_18offset_tEEE10hipError_tPvRmT1_PNSt15iterator_traitsISK_E10value_typeET2_T3_PNSL_ISQ_E10value_typeET4_jRbjT5_SW_jjP12ihipStream_tbEUlT_E2_NS1_11comp_targetILNS1_3genE4ELNS1_11target_archE910ELNS1_3gpuE8ELNS1_3repE0EEENS1_30default_config_static_selectorELNS0_4arch9wavefront6targetE1EEEvSK_: ; @_ZN7rocprim17ROCPRIM_400000_NS6detail17trampoline_kernelINS0_14default_configENS1_36segmented_radix_sort_config_selectorIilEEZNS1_25segmented_radix_sort_implIS3_Lb0EPKiPiPKlPlN2at6native12_GLOBAL__N_18offset_tEEE10hipError_tPvRmT1_PNSt15iterator_traitsISK_E10value_typeET2_T3_PNSL_ISQ_E10value_typeET4_jRbjT5_SW_jjP12ihipStream_tbEUlT_E2_NS1_11comp_targetILNS1_3genE4ELNS1_11target_archE910ELNS1_3gpuE8ELNS1_3repE0EEENS1_30default_config_static_selectorELNS0_4arch9wavefront6targetE1EEEvSK_
; %bb.0:
	s_add_u32 flat_scratch_lo, s6, s10
	s_addc_u32 flat_scratch_hi, s7, 0
	s_add_u32 s0, s0, s10
	s_mov_b32 s33, s9
	s_mov_b32 s68, s8
	s_load_dwordx4 s[8:11], s[4:5], 0x34
	s_addc_u32 s1, s1, 0
	s_mov_b32 s32, 0
	s_waitcnt lgkmcnt(0)
	s_add_i32 s69, s9, s68
	s_add_i32 s92, s11, s68
	s_mul_i32 s69, s69, s8
	s_mul_i32 s92, s92, s10
	s_cmp_le_u32 s92, s69
	s_cbranch_scc1 .LBB632_1198
; %bb.1:
	s_load_dword s6, s[4:5], 0x30
	s_load_dwordx4 s[80:83], s[4:5], 0x20
	s_load_dwordx4 s[84:87], s[4:5], 0x44
	s_load_dwordx8 s[72:79], s[4:5], 0x0
	s_waitcnt lgkmcnt(0)
	s_bitcmp1_b32 s6, 0
	s_cselect_b64 s[70:71], -1, 0
	s_sub_i32 s87, s92, s69
	s_cmpk_lt_u32 s87, 0x1001
	s_mov_b64 s[6:7], -1
	s_cbranch_scc0 .LBB632_15
; %bb.2:
	s_cmp_lt_u32 s87, 33
	s_cbranch_scc0 .LBB632_9
; %bb.3:
	s_load_dword s6, s[4:5], 0x5c
	v_bfe_u32 v1, v0, 10, 10
	v_bfe_u32 v3, v0, 20, 10
	v_and_b32_e32 v2, 0x3ff, v0
	s_waitcnt lgkmcnt(0)
	s_lshr_b32 s7, s6, 16
	s_and_b32 s6, s6, 0xffff
	v_mad_u32_u24 v1, v3, s7, v1
	v_mad_u64_u32 v[2:3], s[6:7], v1, s6, v[2:3]
	v_cmp_gt_u32_e32 vcc, 8, v2
	s_and_saveexec_b64 s[34:35], vcc
	s_cbranch_execz .LBB632_8
; %bb.4:
	s_and_b32 s6, s84, 1
	v_cndmask_b32_e64 v1, 0, 1, s[70:71]
	v_cmp_ne_u32_e32 vcc, s6, v1
	s_mov_b64 s[6:7], -1
	s_cbranch_vccnz .LBB632_6
; %bb.5:
	s_add_u32 s8, s4, 0x50
	s_mov_b64 s[6:7], src_shared_base
	s_addc_u32 s9, s5, 0
	s_mov_b32 s12, s68
	s_mov_b32 s13, s33
	v_mov_b32_e32 v31, v0
	v_mov_b32_e32 v40, v0
	;; [unrolled: 1-line block ×16, first 2 shown]
	s_getpc_b64 s[10:11]
	s_add_u32 s10, s10, _ZN7rocprim17ROCPRIM_400000_NS6detail26segmented_warp_sort_helperINS1_20WarpSortHelperConfigILj8ELj4ELj256EEEilLi256ELb0EvE4sortIPKiPiPKlPlEEvT_T0_T1_T2_jjjjRNS5_12storage_typeE@rel32@lo+4
	s_addc_u32 s11, s11, _ZN7rocprim17ROCPRIM_400000_NS6detail26segmented_warp_sort_helperINS1_20WarpSortHelperConfigILj8ELj4ELj256EEEilLi256ELb0EvE4sortIPKiPiPKlPlEEvT_T0_T1_T2_jjjjRNS5_12storage_typeE@rel32@hi+12
	s_mov_b64 s[36:37], s[4:5]
	s_swappc_b64 s[30:31], s[10:11]
	v_mov_b32_e32 v0, v40
	s_mov_b64 s[4:5], s[36:37]
	s_mov_b64 s[6:7], 0
.LBB632_6:
	s_andn2_b64 vcc, exec, s[6:7]
	s_cbranch_vccnz .LBB632_8
; %bb.7:
	s_add_u32 s8, s4, 0x50
	s_mov_b64 s[6:7], src_shared_base
	s_addc_u32 s9, s5, 0
	s_mov_b32 s12, s68
	s_mov_b32 s13, s33
	v_mov_b32_e32 v31, v0
	v_mov_b32_e32 v40, v0
	;; [unrolled: 1-line block ×16, first 2 shown]
	s_getpc_b64 s[10:11]
	s_add_u32 s10, s10, _ZN7rocprim17ROCPRIM_400000_NS6detail26segmented_warp_sort_helperINS1_20WarpSortHelperConfigILj8ELj4ELj256EEEilLi256ELb0EvE4sortIPKiPiPKlPlEEvT_T0_T1_T2_jjjjRNS5_12storage_typeE@rel32@lo+4
	s_addc_u32 s11, s11, _ZN7rocprim17ROCPRIM_400000_NS6detail26segmented_warp_sort_helperINS1_20WarpSortHelperConfigILj8ELj4ELj256EEEilLi256ELb0EvE4sortIPKiPiPKlPlEEvT_T0_T1_T2_jjjjRNS5_12storage_typeE@rel32@hi+12
	s_mov_b64 s[36:37], s[4:5]
	s_swappc_b64 s[30:31], s[10:11]
	v_mov_b32_e32 v0, v40
	s_mov_b64 s[4:5], s[36:37]
.LBB632_8:
	s_or_b64 exec, exec, s[34:35]
	s_mov_b64 s[6:7], 0
.LBB632_9:
	s_andn2_b64 vcc, exec, s[6:7]
	s_cbranch_vccnz .LBB632_14
; %bb.10:
	s_and_b32 s6, s84, 1
	v_cndmask_b32_e64 v1, 0, 1, s[70:71]
	v_cmp_ne_u32_e32 vcc, s6, v1
	s_mov_b64 s[6:7], -1
	s_cbranch_vccnz .LBB632_12
; %bb.11:
	s_add_u32 s8, s4, 0x50
	s_mov_b64 s[6:7], src_shared_base
	s_addc_u32 s9, s5, 0
	s_mov_b32 s12, s68
	s_mov_b32 s13, s33
	v_mov_b32_e32 v31, v0
	v_mov_b32_e32 v40, v0
	;; [unrolled: 1-line block ×16, first 2 shown]
	s_getpc_b64 s[10:11]
	s_add_u32 s10, s10, _ZN7rocprim17ROCPRIM_400000_NS6detail40segmented_radix_sort_single_block_helperIilLj256ELj16ELb0EE4sortIPKiPiPKlPlEEbT_T0_T1_T2_jjjjRNS3_12storage_typeE@rel32@lo+4
	s_addc_u32 s11, s11, _ZN7rocprim17ROCPRIM_400000_NS6detail40segmented_radix_sort_single_block_helperIilLj256ELj16ELb0EE4sortIPKiPiPKlPlEEbT_T0_T1_T2_jjjjRNS3_12storage_typeE@rel32@hi+12
	s_mov_b64 s[48:49], s[4:5]
	s_swappc_b64 s[30:31], s[10:11]
	v_mov_b32_e32 v0, v40
	s_mov_b64 s[4:5], s[48:49]
	s_mov_b64 s[6:7], 0
.LBB632_12:
	s_andn2_b64 vcc, exec, s[6:7]
	s_cbranch_vccnz .LBB632_14
; %bb.13:
	s_add_u32 s8, s4, 0x50
	s_mov_b64 s[6:7], src_shared_base
	s_addc_u32 s9, s5, 0
	s_mov_b32 s12, s68
	s_mov_b32 s13, s33
	v_mov_b32_e32 v31, v0
	v_mov_b32_e32 v40, v0
	;; [unrolled: 1-line block ×16, first 2 shown]
	s_getpc_b64 s[10:11]
	s_add_u32 s10, s10, _ZN7rocprim17ROCPRIM_400000_NS6detail40segmented_radix_sort_single_block_helperIilLj256ELj16ELb0EE4sortIPKiPiPKlPlEEbT_T0_T1_T2_jjjjRNS3_12storage_typeE@rel32@lo+4
	s_addc_u32 s11, s11, _ZN7rocprim17ROCPRIM_400000_NS6detail40segmented_radix_sort_single_block_helperIilLj256ELj16ELb0EE4sortIPKiPiPKlPlEEbT_T0_T1_T2_jjjjRNS3_12storage_typeE@rel32@hi+12
	s_mov_b64 s[48:49], s[4:5]
	s_swappc_b64 s[30:31], s[10:11]
	v_mov_b32_e32 v0, v40
	s_mov_b64 s[4:5], s[48:49]
.LBB632_14:
	s_mov_b64 s[6:7], 0
.LBB632_15:
	s_andn2_b64 vcc, exec, s[6:7]
	s_cbranch_vccnz .LBB632_1198
; %bb.16:
	s_cmp_ge_u32 s85, s86
	s_cbranch_scc1 .LBB632_1198
; %bb.17:
	v_and_b32_e32 v2, 0x3ff, v0
	v_lshlrev_b32_e32 v3, 2, v2
	v_mov_b32_e32 v5, s77
	v_add_co_u32_e32 v13, vcc, s76, v3
	s_movk_i32 s6, 0x100
	v_addc_co_u32_e32 v15, vcc, 0, v5, vcc
	v_or_b32_e32 v5, 63, v2
	s_mov_b64 s[12:13], s[4:5]
	v_cmp_gt_u32_e64 s[4:5], s6, v2
	v_cmp_eq_u32_e64 s[6:7], v5, v2
	v_lshrrev_b32_e32 v5, 4, v2
	v_and_b32_e32 v19, 12, v5
	v_lshlrev_b32_e32 v5, 4, v2
	v_and_b32_e32 v30, 0xc00, v5
	v_bfe_u32 v27, v0, 20, 10
	v_bfe_u32 v29, v0, 10, 10
	v_mul_u32_u24_e32 v0, 5, v2
	v_mov_b32_e32 v65, 0x410
	v_lshl_add_u32 v66, v0, 2, v65
	v_lshlrev_b32_e32 v0, 3, v30
	v_sub_u32_e32 v67, 0, v5
	v_mov_b32_e32 v5, s83
	v_add_co_u32_e32 v68, vcc, s82, v0
	v_addc_co_u32_e32 v69, vcc, 0, v5, vcc
	v_lshlrev_b32_e32 v5, 2, v30
	v_mov_b32_e32 v31, s77
	v_add_co_u32_e32 v70, vcc, s76, v5
	v_addc_co_u32_e32 v71, vcc, 0, v31, vcc
	v_mov_b32_e32 v31, s75
	v_add_co_u32_e32 v74, vcc, s74, v3
	v_addc_co_u32_e32 v75, vcc, 0, v31, vcc
	;; [unrolled: 3-line block ×7, first 2 shown]
	v_mbcnt_lo_u32_b32 v0, -1, 0
	v_mbcnt_hi_u32_b32 v101, -1, v0
	v_mad_u32_u24 v17, v2, 12, v3
	v_and_b32_e32 v0, 63, v101
	v_and_b32_e32 v1, 3, v2
	v_or_b32_e32 v6, 0x400, v2
	v_or_b32_e32 v8, 0x500, v2
	;; [unrolled: 1-line block ×12, first 2 shown]
	s_add_u32 s90, s12, 0x50
	v_add_u32_e32 v64, v17, v3
	s_movk_i32 s14, 0xff
	v_or_b32_e32 v109, v0, v30
	s_mov_b32 s89, 0
	v_mov_b32_e32 v4, 0
	v_or_b32_e32 v7, 0x100, v2
	v_or_b32_e32 v9, 0x200, v2
	;; [unrolled: 1-line block ×4, first 2 shown]
	v_cmp_gt_u32_e64 s[8:9], 4, v2
	v_add_u32_e32 v23, 0x8400, v3
	v_cmp_lt_u32_e64 s[10:11], 63, v2
	v_add_u32_e32 v25, 0x83fc, v19
	s_addc_u32 s91, s13, 0
	v_cmp_eq_u32_e64 s[12:13], 0, v2
	v_cmp_ne_u32_e64 s[14:15], s14, v2
	v_add_u32_e32 v72, 0x400, v3
	v_lshlrev_b32_e32 v73, 3, v2
	s_movk_i32 s84, 0x2000
	v_lshlrev_b32_e32 v86, 2, v1
	v_mov_b32_e32 v87, 1
	v_lshlrev_b32_e32 v88, 2, v2
	v_lshlrev_b32_e32 v89, 2, v6
	;; [unrolled: 1-line block ×13, first 2 shown]
	v_and_b32_e32 v102, 15, v101
	v_bfe_i32 v103, v101, 4, 1
	v_and_b32_e32 v104, 16, v101
	v_and_b32_e32 v105, 3, v101
	v_add_u32_e32 v106, -1, v101
	v_and_b32_e32 v107, 64, v101
	v_lshlrev_b32_e32 v108, 3, v0
	v_or_b32_e32 v110, 64, v109
	v_or_b32_e32 v111, 0x80, v109
	;; [unrolled: 1-line block ×15, first 2 shown]
	v_lshlrev_b32_e32 v125, 2, v0
	v_add_u32_e32 v126, 0x410, v64
	s_mov_b32 s93, s85
	s_branch .LBB632_20
.LBB632_18:                             ;   in Loop: Header=BB632_20 Depth=1
	s_waitcnt lgkmcnt(0)
	s_barrier
.LBB632_19:                             ;   in Loop: Header=BB632_20 Depth=1
	s_add_i32 s93, s93, 8
	s_cmp_ge_u32 s93, s86
	s_cbranch_scc1 .LBB632_1198
.LBB632_20:                             ; =>This Loop Header: Depth=1
                                        ;     Child Loop BB632_24 Depth 2
                                        ;     Child Loop BB632_106 Depth 2
	;; [unrolled: 1-line block ×8, first 2 shown]
	s_sub_i32 s16, s86, s93
	s_min_u32 s16, s16, 8
	s_lshl_b32 s16, -1, s16
	s_xor_b64 s[70:71], s[70:71], -1
	s_not_b32 s94, s16
	s_cmp_lg_u32 s93, s85
	s_mov_b64 s[16:17], -1
	ds_write2st64_b32 v3, v4, v4 offset1:4
	ds_write2st64_b32 v3, v4, v4 offset0:8 offset1:12
	s_waitcnt lgkmcnt(0)
	s_cbranch_scc0 .LBB632_610
; %bb.21:                               ;   in Loop: Header=BB632_20 Depth=1
	s_and_b64 vcc, exec, s[70:71]
	s_cbranch_vccz .LBB632_315
; %bb.22:                               ;   in Loop: Header=BB632_20 Depth=1
	s_mov_b32 s22, s87
	s_mov_b32 s88, s69
	s_barrier
	s_waitcnt lgkmcnt(0)
                                        ; implicit-def: $vgpr44
                                        ; implicit-def: $vgpr5
                                        ; implicit-def: $vgpr30
                                        ; implicit-def: $vgpr31
                                        ; implicit-def: $vgpr32
                                        ; implicit-def: $vgpr33
                                        ; implicit-def: $vgpr34
                                        ; implicit-def: $vgpr35
                                        ; implicit-def: $vgpr36
                                        ; implicit-def: $vgpr37
                                        ; implicit-def: $vgpr38
                                        ; implicit-def: $vgpr39
                                        ; implicit-def: $vgpr40
                                        ; implicit-def: $vgpr41
                                        ; implicit-def: $vgpr42
                                        ; implicit-def: $vgpr43
	s_branch .LBB632_24
.LBB632_23:                             ;   in Loop: Header=BB632_24 Depth=2
	s_or_b64 exec, exec, s[16:17]
	s_addk_i32 s22, 0xf000
	s_cmp_ge_u32 s23, s92
	s_mov_b32 s88, s23
	s_cbranch_scc1 .LBB632_94
.LBB632_24:                             ;   Parent Loop BB632_20 Depth=1
                                        ; =>  This Inner Loop Header: Depth=2
	s_add_i32 s23, s88, 0x1000
	s_cmp_gt_u32 s23, s92
	s_cbranch_scc1 .LBB632_27
; %bb.25:                               ;   in Loop: Header=BB632_24 Depth=2
	s_lshl_b64 s[16:17], s[88:89], 2
	v_mov_b32_e32 v1, s17
	v_add_co_u32_e32 v0, vcc, s16, v13
	v_addc_co_u32_e32 v1, vcc, v15, v1, vcc
	s_waitcnt vmcnt(6)
	v_add_co_u32_e32 v54, vcc, 0x1000, v0
	s_waitcnt vmcnt(5)
	v_addc_co_u32_e32 v55, vcc, 0, v1, vcc
	v_add_co_u32_e32 v62, vcc, s84, v0
	v_addc_co_u32_e32 v63, vcc, 0, v1, vcc
	global_load_dword v46, v[0:1], off
	global_load_dword v47, v[0:1], off offset:1024
	global_load_dword v48, v[0:1], off offset:2048
	;; [unrolled: 1-line block ×3, first 2 shown]
	global_load_dword v50, v[54:55], off
	global_load_dword v51, v[54:55], off offset:1024
	global_load_dword v52, v[54:55], off offset:2048
	;; [unrolled: 1-line block ×3, first 2 shown]
	v_add_co_u32_e32 v128, vcc, 0x3000, v0
	v_addc_co_u32_e32 v129, vcc, 0, v1, vcc
	global_load_dword v54, v[62:63], off
	global_load_dword v55, v[62:63], off offset:1024
	global_load_dword v56, v[62:63], off offset:2048
	;; [unrolled: 1-line block ×3, first 2 shown]
	global_load_dword v58, v[128:129], off
	global_load_dword v59, v[128:129], off offset:1024
	global_load_dword v60, v[128:129], off offset:2048
	v_add_co_u32_e32 v0, vcc, 0x3c00, v0
	s_movk_i32 s24, 0x1000
	v_addc_co_u32_e32 v1, vcc, 0, v1, vcc
	s_mov_b64 s[16:17], -1
	s_cbranch_execz .LBB632_28
; %bb.26:                               ;   in Loop: Header=BB632_24 Depth=2
                                        ; implicit-def: $vgpr43
                                        ; implicit-def: $vgpr42
                                        ; implicit-def: $vgpr41
                                        ; implicit-def: $vgpr40
                                        ; implicit-def: $vgpr39
                                        ; implicit-def: $vgpr38
                                        ; implicit-def: $vgpr37
                                        ; implicit-def: $vgpr36
                                        ; implicit-def: $vgpr35
                                        ; implicit-def: $vgpr34
                                        ; implicit-def: $vgpr33
                                        ; implicit-def: $vgpr32
                                        ; implicit-def: $vgpr31
                                        ; implicit-def: $vgpr30
                                        ; implicit-def: $vgpr5
                                        ; implicit-def: $vgpr44
	v_mov_b32_e32 v45, s22
	s_and_saveexec_b64 s[18:19], s[16:17]
	s_cbranch_execnz .LBB632_47
	s_branch .LBB632_48
.LBB632_27:                             ;   in Loop: Header=BB632_24 Depth=2
	s_mov_b64 s[16:17], 0
                                        ; implicit-def: $sgpr24
                                        ; implicit-def: $vgpr46
                                        ; implicit-def: $vgpr47
                                        ; implicit-def: $vgpr48
                                        ; implicit-def: $vgpr49
                                        ; implicit-def: $vgpr50
                                        ; implicit-def: $vgpr51
                                        ; implicit-def: $vgpr52
                                        ; implicit-def: $vgpr53
                                        ; implicit-def: $vgpr54
                                        ; implicit-def: $vgpr55
                                        ; implicit-def: $vgpr56
                                        ; implicit-def: $vgpr57
                                        ; implicit-def: $vgpr58
                                        ; implicit-def: $vgpr59
                                        ; implicit-def: $vgpr60
                                        ; implicit-def: $vgpr0_vgpr1
.LBB632_28:                             ;   in Loop: Header=BB632_24 Depth=2
	s_lshl_b64 s[18:19], s[88:89], 2
	s_add_u32 s18, s76, s18
	s_addc_u32 s19, s77, s19
	v_cmp_gt_u32_e32 vcc, s22, v2
	s_and_saveexec_b64 s[20:21], vcc
	s_cbranch_execz .LBB632_80
; %bb.29:                               ;   in Loop: Header=BB632_24 Depth=2
	global_load_dword v43, v88, s[18:19]
	s_or_b64 exec, exec, s[20:21]
	v_cmp_gt_u32_e32 vcc, s22, v7
	s_and_saveexec_b64 s[20:21], vcc
	s_cbranch_execnz .LBB632_81
.LBB632_30:                             ;   in Loop: Header=BB632_24 Depth=2
	s_or_b64 exec, exec, s[20:21]
	v_cmp_gt_u32_e32 vcc, s22, v9
	s_and_saveexec_b64 s[20:21], vcc
	s_cbranch_execz .LBB632_82
.LBB632_31:                             ;   in Loop: Header=BB632_24 Depth=2
	global_load_dword v41, v88, s[18:19] offset:2048
	s_or_b64 exec, exec, s[20:21]
	v_cmp_gt_u32_e32 vcc, s22, v11
	s_and_saveexec_b64 s[20:21], vcc
	s_cbranch_execnz .LBB632_83
.LBB632_32:                             ;   in Loop: Header=BB632_24 Depth=2
	s_or_b64 exec, exec, s[20:21]
	v_cmp_gt_u32_e32 vcc, s22, v6
	s_and_saveexec_b64 s[20:21], vcc
	s_cbranch_execz .LBB632_84
.LBB632_33:                             ;   in Loop: Header=BB632_24 Depth=2
	global_load_dword v39, v89, s[18:19]
	s_or_b64 exec, exec, s[20:21]
	v_cmp_gt_u32_e32 vcc, s22, v8
	s_and_saveexec_b64 s[20:21], vcc
	s_cbranch_execnz .LBB632_85
.LBB632_34:                             ;   in Loop: Header=BB632_24 Depth=2
	s_or_b64 exec, exec, s[20:21]
	v_cmp_gt_u32_e32 vcc, s22, v10
	s_and_saveexec_b64 s[20:21], vcc
	s_cbranch_execz .LBB632_86
.LBB632_35:                             ;   in Loop: Header=BB632_24 Depth=2
	global_load_dword v37, v91, s[18:19]
	s_or_b64 exec, exec, s[20:21]
	v_cmp_gt_u32_e32 vcc, s22, v12
	s_and_saveexec_b64 s[20:21], vcc
	s_cbranch_execnz .LBB632_87
.LBB632_36:                             ;   in Loop: Header=BB632_24 Depth=2
	s_or_b64 exec, exec, s[20:21]
	v_cmp_gt_u32_e32 vcc, s22, v14
	s_and_saveexec_b64 s[20:21], vcc
	s_cbranch_execz .LBB632_88
.LBB632_37:                             ;   in Loop: Header=BB632_24 Depth=2
	global_load_dword v35, v93, s[18:19]
	s_or_b64 exec, exec, s[20:21]
	v_cmp_gt_u32_e32 vcc, s22, v16
	s_and_saveexec_b64 s[20:21], vcc
	s_cbranch_execnz .LBB632_89
.LBB632_38:                             ;   in Loop: Header=BB632_24 Depth=2
	s_or_b64 exec, exec, s[20:21]
	v_cmp_gt_u32_e32 vcc, s22, v18
	s_and_saveexec_b64 s[20:21], vcc
	s_cbranch_execz .LBB632_90
.LBB632_39:                             ;   in Loop: Header=BB632_24 Depth=2
	global_load_dword v33, v95, s[18:19]
	s_or_b64 exec, exec, s[20:21]
	v_cmp_gt_u32_e32 vcc, s22, v20
	s_and_saveexec_b64 s[20:21], vcc
	s_cbranch_execnz .LBB632_91
.LBB632_40:                             ;   in Loop: Header=BB632_24 Depth=2
	s_or_b64 exec, exec, s[20:21]
	v_cmp_gt_u32_e32 vcc, s22, v22
	s_and_saveexec_b64 s[20:21], vcc
	s_cbranch_execz .LBB632_92
.LBB632_41:                             ;   in Loop: Header=BB632_24 Depth=2
	global_load_dword v31, v97, s[18:19]
	s_or_b64 exec, exec, s[20:21]
	v_cmp_gt_u32_e32 vcc, s22, v24
	s_and_saveexec_b64 s[20:21], vcc
	s_cbranch_execnz .LBB632_93
.LBB632_42:                             ;   in Loop: Header=BB632_24 Depth=2
	s_or_b64 exec, exec, s[20:21]
	v_cmp_gt_u32_e32 vcc, s22, v26
	s_and_saveexec_b64 s[20:21], vcc
	s_cbranch_execz .LBB632_44
.LBB632_43:                             ;   in Loop: Header=BB632_24 Depth=2
	global_load_dword v5, v99, s[18:19]
.LBB632_44:                             ;   in Loop: Header=BB632_24 Depth=2
	s_or_b64 exec, exec, s[20:21]
	v_cmp_gt_u32_e32 vcc, s22, v28
                                        ; implicit-def: $sgpr24
                                        ; implicit-def: $vgpr0_vgpr1
	s_and_saveexec_b64 s[20:21], vcc
; %bb.45:                               ;   in Loop: Header=BB632_24 Depth=2
	v_mov_b32_e32 v1, s19
	v_add_co_u32_e32 v0, vcc, s18, v100
	s_sub_i32 s24, s92, s88
	v_addc_co_u32_e32 v1, vcc, 0, v1, vcc
	s_or_b64 s[16:17], s[16:17], exec
                                        ; implicit-def: $vgpr44
; %bb.46:                               ;   in Loop: Header=BB632_24 Depth=2
	s_or_b64 exec, exec, s[20:21]
	s_waitcnt vmcnt(0)
	v_mov_b32_e32 v46, v43
	v_mov_b32_e32 v47, v42
	;; [unrolled: 1-line block ×16, first 2 shown]
	s_and_saveexec_b64 s[18:19], s[16:17]
	s_cbranch_execz .LBB632_48
.LBB632_47:                             ;   in Loop: Header=BB632_24 Depth=2
	global_load_dword v44, v[0:1], off
	v_mov_b32_e32 v45, s24
	s_waitcnt vmcnt(1)
	v_mov_b32_e32 v5, v60
	v_mov_b32_e32 v30, v59
	;; [unrolled: 1-line block ×15, first 2 shown]
.LBB632_48:                             ;   in Loop: Header=BB632_24 Depth=2
	s_or_b64 exec, exec, s[18:19]
	v_cmp_lt_u32_e32 vcc, v2, v45
	s_and_saveexec_b64 s[16:17], vcc
	s_cbranch_execz .LBB632_64
; %bb.49:                               ;   in Loop: Header=BB632_24 Depth=2
	v_xor_b32_e32 v0, 0x80000000, v43
	v_lshrrev_b32_e32 v0, s93, v0
	v_and_b32_e32 v0, s94, v0
	v_lshl_or_b32 v0, v0, 4, v86
	ds_add_u32 v0, v87
	s_or_b64 exec, exec, s[16:17]
	v_cmp_lt_u32_e32 vcc, v7, v45
	s_and_saveexec_b64 s[16:17], vcc
	s_cbranch_execnz .LBB632_65
.LBB632_50:                             ;   in Loop: Header=BB632_24 Depth=2
	s_or_b64 exec, exec, s[16:17]
	v_cmp_lt_u32_e32 vcc, v9, v45
	s_and_saveexec_b64 s[16:17], vcc
	s_cbranch_execz .LBB632_66
.LBB632_51:                             ;   in Loop: Header=BB632_24 Depth=2
	v_xor_b32_e32 v0, 0x80000000, v41
	v_lshrrev_b32_e32 v0, s93, v0
	v_and_b32_e32 v0, s94, v0
	v_lshl_or_b32 v0, v0, 4, v86
	ds_add_u32 v0, v87
	s_or_b64 exec, exec, s[16:17]
	v_cmp_lt_u32_e32 vcc, v11, v45
	s_and_saveexec_b64 s[16:17], vcc
	s_cbranch_execnz .LBB632_67
.LBB632_52:                             ;   in Loop: Header=BB632_24 Depth=2
	s_or_b64 exec, exec, s[16:17]
	v_cmp_lt_u32_e32 vcc, v6, v45
	s_and_saveexec_b64 s[16:17], vcc
	s_cbranch_execz .LBB632_68
.LBB632_53:                             ;   in Loop: Header=BB632_24 Depth=2
	v_xor_b32_e32 v0, 0x80000000, v39
	v_lshrrev_b32_e32 v0, s93, v0
	v_and_b32_e32 v0, s94, v0
	v_lshl_or_b32 v0, v0, 4, v86
	ds_add_u32 v0, v87
	s_or_b64 exec, exec, s[16:17]
	v_cmp_lt_u32_e32 vcc, v8, v45
	s_and_saveexec_b64 s[16:17], vcc
	s_cbranch_execnz .LBB632_69
.LBB632_54:                             ;   in Loop: Header=BB632_24 Depth=2
	s_or_b64 exec, exec, s[16:17]
	v_cmp_lt_u32_e32 vcc, v10, v45
	s_and_saveexec_b64 s[16:17], vcc
	s_cbranch_execz .LBB632_70
.LBB632_55:                             ;   in Loop: Header=BB632_24 Depth=2
	v_xor_b32_e32 v0, 0x80000000, v37
	v_lshrrev_b32_e32 v0, s93, v0
	v_and_b32_e32 v0, s94, v0
	v_lshl_or_b32 v0, v0, 4, v86
	ds_add_u32 v0, v87
	s_or_b64 exec, exec, s[16:17]
	v_cmp_lt_u32_e32 vcc, v12, v45
	s_and_saveexec_b64 s[16:17], vcc
	s_cbranch_execnz .LBB632_71
.LBB632_56:                             ;   in Loop: Header=BB632_24 Depth=2
	s_or_b64 exec, exec, s[16:17]
	v_cmp_lt_u32_e32 vcc, v14, v45
	s_and_saveexec_b64 s[16:17], vcc
	s_cbranch_execz .LBB632_72
.LBB632_57:                             ;   in Loop: Header=BB632_24 Depth=2
	v_xor_b32_e32 v0, 0x80000000, v35
	v_lshrrev_b32_e32 v0, s93, v0
	v_and_b32_e32 v0, s94, v0
	v_lshl_or_b32 v0, v0, 4, v86
	ds_add_u32 v0, v87
	s_or_b64 exec, exec, s[16:17]
	v_cmp_lt_u32_e32 vcc, v16, v45
	s_and_saveexec_b64 s[16:17], vcc
	s_cbranch_execnz .LBB632_73
.LBB632_58:                             ;   in Loop: Header=BB632_24 Depth=2
	s_or_b64 exec, exec, s[16:17]
	v_cmp_lt_u32_e32 vcc, v18, v45
	s_and_saveexec_b64 s[16:17], vcc
	s_cbranch_execz .LBB632_74
.LBB632_59:                             ;   in Loop: Header=BB632_24 Depth=2
	v_xor_b32_e32 v0, 0x80000000, v33
	v_lshrrev_b32_e32 v0, s93, v0
	v_and_b32_e32 v0, s94, v0
	v_lshl_or_b32 v0, v0, 4, v86
	ds_add_u32 v0, v87
	s_or_b64 exec, exec, s[16:17]
	v_cmp_lt_u32_e32 vcc, v20, v45
	s_and_saveexec_b64 s[16:17], vcc
	s_cbranch_execnz .LBB632_75
.LBB632_60:                             ;   in Loop: Header=BB632_24 Depth=2
	s_or_b64 exec, exec, s[16:17]
	v_cmp_lt_u32_e32 vcc, v22, v45
	s_and_saveexec_b64 s[16:17], vcc
	s_cbranch_execz .LBB632_76
.LBB632_61:                             ;   in Loop: Header=BB632_24 Depth=2
	v_xor_b32_e32 v0, 0x80000000, v31
	v_lshrrev_b32_e32 v0, s93, v0
	v_and_b32_e32 v0, s94, v0
	v_lshl_or_b32 v0, v0, 4, v86
	ds_add_u32 v0, v87
	s_or_b64 exec, exec, s[16:17]
	v_cmp_lt_u32_e32 vcc, v24, v45
	s_and_saveexec_b64 s[16:17], vcc
	s_cbranch_execnz .LBB632_77
.LBB632_62:                             ;   in Loop: Header=BB632_24 Depth=2
	s_or_b64 exec, exec, s[16:17]
	v_cmp_lt_u32_e32 vcc, v26, v45
	s_and_saveexec_b64 s[16:17], vcc
	s_cbranch_execz .LBB632_78
.LBB632_63:                             ;   in Loop: Header=BB632_24 Depth=2
	v_xor_b32_e32 v0, 0x80000000, v5
	v_lshrrev_b32_e32 v0, s93, v0
	v_and_b32_e32 v0, s94, v0
	v_lshl_or_b32 v0, v0, 4, v86
	ds_add_u32 v0, v87
	s_or_b64 exec, exec, s[16:17]
	v_cmp_lt_u32_e32 vcc, v28, v45
	s_and_saveexec_b64 s[16:17], vcc
	s_cbranch_execz .LBB632_23
	s_branch .LBB632_79
.LBB632_64:                             ;   in Loop: Header=BB632_24 Depth=2
	s_or_b64 exec, exec, s[16:17]
	v_cmp_lt_u32_e32 vcc, v7, v45
	s_and_saveexec_b64 s[16:17], vcc
	s_cbranch_execz .LBB632_50
.LBB632_65:                             ;   in Loop: Header=BB632_24 Depth=2
	v_xor_b32_e32 v0, 0x80000000, v42
	v_lshrrev_b32_e32 v0, s93, v0
	v_and_b32_e32 v0, s94, v0
	v_lshl_or_b32 v0, v0, 4, v86
	ds_add_u32 v0, v87
	s_or_b64 exec, exec, s[16:17]
	v_cmp_lt_u32_e32 vcc, v9, v45
	s_and_saveexec_b64 s[16:17], vcc
	s_cbranch_execnz .LBB632_51
.LBB632_66:                             ;   in Loop: Header=BB632_24 Depth=2
	s_or_b64 exec, exec, s[16:17]
	v_cmp_lt_u32_e32 vcc, v11, v45
	s_and_saveexec_b64 s[16:17], vcc
	s_cbranch_execz .LBB632_52
.LBB632_67:                             ;   in Loop: Header=BB632_24 Depth=2
	v_xor_b32_e32 v0, 0x80000000, v40
	v_lshrrev_b32_e32 v0, s93, v0
	v_and_b32_e32 v0, s94, v0
	v_lshl_or_b32 v0, v0, 4, v86
	ds_add_u32 v0, v87
	s_or_b64 exec, exec, s[16:17]
	v_cmp_lt_u32_e32 vcc, v6, v45
	s_and_saveexec_b64 s[16:17], vcc
	s_cbranch_execnz .LBB632_53
.LBB632_68:                             ;   in Loop: Header=BB632_24 Depth=2
	s_or_b64 exec, exec, s[16:17]
	v_cmp_lt_u32_e32 vcc, v8, v45
	s_and_saveexec_b64 s[16:17], vcc
	s_cbranch_execz .LBB632_54
.LBB632_69:                             ;   in Loop: Header=BB632_24 Depth=2
	v_xor_b32_e32 v0, 0x80000000, v38
	v_lshrrev_b32_e32 v0, s93, v0
	v_and_b32_e32 v0, s94, v0
	v_lshl_or_b32 v0, v0, 4, v86
	ds_add_u32 v0, v87
	s_or_b64 exec, exec, s[16:17]
	v_cmp_lt_u32_e32 vcc, v10, v45
	s_and_saveexec_b64 s[16:17], vcc
	s_cbranch_execnz .LBB632_55
.LBB632_70:                             ;   in Loop: Header=BB632_24 Depth=2
	s_or_b64 exec, exec, s[16:17]
	v_cmp_lt_u32_e32 vcc, v12, v45
	s_and_saveexec_b64 s[16:17], vcc
	s_cbranch_execz .LBB632_56
.LBB632_71:                             ;   in Loop: Header=BB632_24 Depth=2
	v_xor_b32_e32 v0, 0x80000000, v36
	v_lshrrev_b32_e32 v0, s93, v0
	v_and_b32_e32 v0, s94, v0
	v_lshl_or_b32 v0, v0, 4, v86
	ds_add_u32 v0, v87
	s_or_b64 exec, exec, s[16:17]
	v_cmp_lt_u32_e32 vcc, v14, v45
	s_and_saveexec_b64 s[16:17], vcc
	s_cbranch_execnz .LBB632_57
.LBB632_72:                             ;   in Loop: Header=BB632_24 Depth=2
	s_or_b64 exec, exec, s[16:17]
	v_cmp_lt_u32_e32 vcc, v16, v45
	s_and_saveexec_b64 s[16:17], vcc
	s_cbranch_execz .LBB632_58
.LBB632_73:                             ;   in Loop: Header=BB632_24 Depth=2
	v_xor_b32_e32 v0, 0x80000000, v34
	v_lshrrev_b32_e32 v0, s93, v0
	v_and_b32_e32 v0, s94, v0
	v_lshl_or_b32 v0, v0, 4, v86
	ds_add_u32 v0, v87
	s_or_b64 exec, exec, s[16:17]
	v_cmp_lt_u32_e32 vcc, v18, v45
	s_and_saveexec_b64 s[16:17], vcc
	s_cbranch_execnz .LBB632_59
.LBB632_74:                             ;   in Loop: Header=BB632_24 Depth=2
	s_or_b64 exec, exec, s[16:17]
	v_cmp_lt_u32_e32 vcc, v20, v45
	s_and_saveexec_b64 s[16:17], vcc
	s_cbranch_execz .LBB632_60
.LBB632_75:                             ;   in Loop: Header=BB632_24 Depth=2
	v_xor_b32_e32 v0, 0x80000000, v32
	v_lshrrev_b32_e32 v0, s93, v0
	v_and_b32_e32 v0, s94, v0
	v_lshl_or_b32 v0, v0, 4, v86
	ds_add_u32 v0, v87
	s_or_b64 exec, exec, s[16:17]
	v_cmp_lt_u32_e32 vcc, v22, v45
	s_and_saveexec_b64 s[16:17], vcc
	s_cbranch_execnz .LBB632_61
.LBB632_76:                             ;   in Loop: Header=BB632_24 Depth=2
	s_or_b64 exec, exec, s[16:17]
	v_cmp_lt_u32_e32 vcc, v24, v45
	s_and_saveexec_b64 s[16:17], vcc
	s_cbranch_execz .LBB632_62
.LBB632_77:                             ;   in Loop: Header=BB632_24 Depth=2
	v_xor_b32_e32 v0, 0x80000000, v30
	v_lshrrev_b32_e32 v0, s93, v0
	v_and_b32_e32 v0, s94, v0
	v_lshl_or_b32 v0, v0, 4, v86
	ds_add_u32 v0, v87
	s_or_b64 exec, exec, s[16:17]
	v_cmp_lt_u32_e32 vcc, v26, v45
	s_and_saveexec_b64 s[16:17], vcc
	s_cbranch_execnz .LBB632_63
.LBB632_78:                             ;   in Loop: Header=BB632_24 Depth=2
	s_or_b64 exec, exec, s[16:17]
	v_cmp_lt_u32_e32 vcc, v28, v45
	s_and_saveexec_b64 s[16:17], vcc
	s_cbranch_execz .LBB632_23
.LBB632_79:                             ;   in Loop: Header=BB632_24 Depth=2
	s_waitcnt vmcnt(0)
	v_xor_b32_e32 v0, 0x80000000, v44
	v_lshrrev_b32_e32 v0, s93, v0
	v_and_b32_e32 v0, s94, v0
	v_lshl_or_b32 v0, v0, 4, v86
	ds_add_u32 v0, v87
	s_branch .LBB632_23
.LBB632_80:                             ;   in Loop: Header=BB632_24 Depth=2
	s_or_b64 exec, exec, s[20:21]
	v_cmp_gt_u32_e32 vcc, s22, v7
	s_and_saveexec_b64 s[20:21], vcc
	s_cbranch_execz .LBB632_30
.LBB632_81:                             ;   in Loop: Header=BB632_24 Depth=2
	global_load_dword v42, v88, s[18:19] offset:1024
	s_or_b64 exec, exec, s[20:21]
	v_cmp_gt_u32_e32 vcc, s22, v9
	s_and_saveexec_b64 s[20:21], vcc
	s_cbranch_execnz .LBB632_31
.LBB632_82:                             ;   in Loop: Header=BB632_24 Depth=2
	s_or_b64 exec, exec, s[20:21]
	v_cmp_gt_u32_e32 vcc, s22, v11
	s_and_saveexec_b64 s[20:21], vcc
	s_cbranch_execz .LBB632_32
.LBB632_83:                             ;   in Loop: Header=BB632_24 Depth=2
	global_load_dword v40, v88, s[18:19] offset:3072
	s_or_b64 exec, exec, s[20:21]
	v_cmp_gt_u32_e32 vcc, s22, v6
	s_and_saveexec_b64 s[20:21], vcc
	s_cbranch_execnz .LBB632_33
.LBB632_84:                             ;   in Loop: Header=BB632_24 Depth=2
	s_or_b64 exec, exec, s[20:21]
	v_cmp_gt_u32_e32 vcc, s22, v8
	s_and_saveexec_b64 s[20:21], vcc
	s_cbranch_execz .LBB632_34
.LBB632_85:                             ;   in Loop: Header=BB632_24 Depth=2
	global_load_dword v38, v90, s[18:19]
	s_or_b64 exec, exec, s[20:21]
	v_cmp_gt_u32_e32 vcc, s22, v10
	s_and_saveexec_b64 s[20:21], vcc
	s_cbranch_execnz .LBB632_35
.LBB632_86:                             ;   in Loop: Header=BB632_24 Depth=2
	s_or_b64 exec, exec, s[20:21]
	v_cmp_gt_u32_e32 vcc, s22, v12
	s_and_saveexec_b64 s[20:21], vcc
	s_cbranch_execz .LBB632_36
.LBB632_87:                             ;   in Loop: Header=BB632_24 Depth=2
	global_load_dword v36, v92, s[18:19]
	s_or_b64 exec, exec, s[20:21]
	v_cmp_gt_u32_e32 vcc, s22, v14
	s_and_saveexec_b64 s[20:21], vcc
	s_cbranch_execnz .LBB632_37
.LBB632_88:                             ;   in Loop: Header=BB632_24 Depth=2
	s_or_b64 exec, exec, s[20:21]
	v_cmp_gt_u32_e32 vcc, s22, v16
	s_and_saveexec_b64 s[20:21], vcc
	s_cbranch_execz .LBB632_38
.LBB632_89:                             ;   in Loop: Header=BB632_24 Depth=2
	global_load_dword v34, v94, s[18:19]
	s_or_b64 exec, exec, s[20:21]
	v_cmp_gt_u32_e32 vcc, s22, v18
	s_and_saveexec_b64 s[20:21], vcc
	s_cbranch_execnz .LBB632_39
.LBB632_90:                             ;   in Loop: Header=BB632_24 Depth=2
	s_or_b64 exec, exec, s[20:21]
	v_cmp_gt_u32_e32 vcc, s22, v20
	s_and_saveexec_b64 s[20:21], vcc
	s_cbranch_execz .LBB632_40
.LBB632_91:                             ;   in Loop: Header=BB632_24 Depth=2
	global_load_dword v32, v96, s[18:19]
	s_or_b64 exec, exec, s[20:21]
	v_cmp_gt_u32_e32 vcc, s22, v22
	s_and_saveexec_b64 s[20:21], vcc
	s_cbranch_execnz .LBB632_41
.LBB632_92:                             ;   in Loop: Header=BB632_24 Depth=2
	s_or_b64 exec, exec, s[20:21]
	v_cmp_gt_u32_e32 vcc, s22, v24
	s_and_saveexec_b64 s[20:21], vcc
	s_cbranch_execz .LBB632_42
.LBB632_93:                             ;   in Loop: Header=BB632_24 Depth=2
	global_load_dword v30, v98, s[18:19]
	s_or_b64 exec, exec, s[20:21]
	v_cmp_gt_u32_e32 vcc, s22, v26
	s_and_saveexec_b64 s[20:21], vcc
	s_cbranch_execz .LBB632_44
	s_branch .LBB632_43
.LBB632_94:                             ;   in Loop: Header=BB632_20 Depth=1
	v_mov_b32_e32 v0, 0
	s_waitcnt lgkmcnt(0)
	s_barrier
	s_and_saveexec_b64 s[16:17], s[4:5]
	s_cbranch_execz .LBB632_96
; %bb.95:                               ;   in Loop: Header=BB632_20 Depth=1
	ds_read2_b64 v[30:33], v17 offset1:1
	s_waitcnt lgkmcnt(0)
	v_add_u32_e32 v0, v31, v30
	v_add3_u32 v0, v0, v32, v33
.LBB632_96:                             ;   in Loop: Header=BB632_20 Depth=1
	s_or_b64 exec, exec, s[16:17]
	s_nop 0
	v_mov_b32_dpp v1, v0 row_shr:1 row_mask:0xf bank_mask:0xf
	v_cmp_eq_u32_e64 s[16:17], 0, v102
	v_cndmask_b32_e64 v1, v1, 0, s[16:17]
	v_add_u32_e32 v0, v1, v0
	v_cmp_lt_u32_e64 s[18:19], 1, v102
	v_cmp_lt_u32_e64 s[20:21], 3, v102
	v_mov_b32_dpp v1, v0 row_shr:2 row_mask:0xf bank_mask:0xf
	v_cndmask_b32_e64 v1, 0, v1, s[18:19]
	v_add_u32_e32 v0, v0, v1
	v_cmp_lt_u32_e64 s[22:23], 7, v102
	v_cmp_lt_u32_e64 s[26:27], 31, v101
	v_mov_b32_dpp v1, v0 row_shr:4 row_mask:0xf bank_mask:0xf
	v_cndmask_b32_e64 v1, 0, v1, s[20:21]
	v_add_u32_e32 v0, v0, v1
	v_cmp_eq_u32_e64 s[24:25], 0, v104
	s_nop 0
	v_mov_b32_dpp v1, v0 row_shr:8 row_mask:0xf bank_mask:0xf
	v_cndmask_b32_e64 v1, 0, v1, s[22:23]
	v_add_u32_e32 v0, v0, v1
	s_nop 1
	v_mov_b32_dpp v1, v0 row_bcast:15 row_mask:0xf bank_mask:0xf
	v_and_b32_e32 v1, v103, v1
	v_add_u32_e32 v0, v0, v1
	s_nop 1
	v_mov_b32_dpp v1, v0 row_bcast:31 row_mask:0xf bank_mask:0xf
	v_cndmask_b32_e64 v1, 0, v1, s[26:27]
	v_add_u32_e32 v0, v0, v1
	s_and_saveexec_b64 s[28:29], s[6:7]
	s_cbranch_execz .LBB632_98
; %bb.97:                               ;   in Loop: Header=BB632_20 Depth=1
	ds_write_b32 v21, v0
.LBB632_98:                             ;   in Loop: Header=BB632_20 Depth=1
	s_or_b64 exec, exec, s[28:29]
	s_waitcnt lgkmcnt(0)
	s_barrier
	s_and_saveexec_b64 s[28:29], s[8:9]
	s_cbranch_execz .LBB632_100
; %bb.99:                               ;   in Loop: Header=BB632_20 Depth=1
	ds_read_b32 v1, v23
	v_cmp_ne_u32_e32 vcc, 0, v105
	s_waitcnt lgkmcnt(0)
	v_mov_b32_dpp v5, v1 row_shr:1 row_mask:0xf bank_mask:0xf
	v_cndmask_b32_e32 v5, 0, v5, vcc
	v_add_u32_e32 v1, v5, v1
	v_cmp_lt_u32_e32 vcc, 1, v105
	s_nop 0
	v_mov_b32_dpp v5, v1 row_shr:2 row_mask:0xf bank_mask:0xf
	v_cndmask_b32_e32 v5, 0, v5, vcc
	v_add_u32_e32 v1, v1, v5
	ds_write_b32 v23, v1
.LBB632_100:                            ;   in Loop: Header=BB632_20 Depth=1
	s_or_b64 exec, exec, s[28:29]
	v_mov_b32_e32 v1, 0
	s_waitcnt lgkmcnt(0)
	s_barrier
	s_and_saveexec_b64 s[28:29], s[10:11]
	s_cbranch_execz .LBB632_102
; %bb.101:                              ;   in Loop: Header=BB632_20 Depth=1
	ds_read_b32 v1, v25
.LBB632_102:                            ;   in Loop: Header=BB632_20 Depth=1
	s_or_b64 exec, exec, s[28:29]
	v_cmp_lt_i32_e32 vcc, v106, v107
	v_cndmask_b32_e32 v5, v106, v101, vcc
	s_waitcnt lgkmcnt(0)
	v_add_u32_e32 v0, v1, v0
	v_lshlrev_b32_e32 v127, 2, v5
	ds_bpermute_b32 v0, v127, v0
	v_cmp_eq_u32_e64 s[28:29], 0, v101
	s_waitcnt lgkmcnt(0)
	s_barrier
	s_and_saveexec_b64 s[30:31], s[4:5]
	s_cbranch_execz .LBB632_104
; %bb.103:                              ;   in Loop: Header=BB632_20 Depth=1
	v_cndmask_b32_e64 v0, v0, v1, s[28:29]
	v_add_u32_e32 v0, s69, v0
	ds_write_b32 v3, v0
.LBB632_104:                            ;   in Loop: Header=BB632_20 Depth=1
	s_or_b64 exec, exec, s[30:31]
	s_load_dword s30, s[90:91], 0x4
	s_load_dword s36, s[90:91], 0xc
	v_add_co_u32_e32 v128, vcc, v68, v108
	v_addc_co_u32_e32 v129, vcc, 0, v69, vcc
	s_waitcnt lgkmcnt(0)
	s_cmp_lt_u32 s33, s30
	s_cselect_b32 s30, 14, 20
	s_add_u32 s30, s90, s30
	s_addc_u32 s31, s91, 0
	global_load_ushort v5, v4, s[30:31]
	v_add_co_u32_e32 v130, vcc, v70, v125
	v_addc_co_u32_e32 v131, vcc, 0, v71, vcc
	s_and_b32 s36, s36, 0xffff
	v_add_co_u32_e32 v145, vcc, 0xf00, v130
	v_cmp_eq_u32_e64 s[30:31], 0, v105
	v_cmp_lt_u32_e64 s[34:35], 1, v105
	s_mov_b32 s95, s87
	v_addc_co_u32_e32 v148, vcc, 0, v131, vcc
	s_mov_b32 s88, s69
                                        ; implicit-def: $vgpr0_vgpr1
                                        ; implicit-def: $vgpr30_vgpr31
                                        ; implicit-def: $vgpr32_vgpr33
                                        ; implicit-def: $vgpr36_vgpr37
                                        ; implicit-def: $vgpr40_vgpr41
                                        ; implicit-def: $vgpr44_vgpr45
                                        ; implicit-def: $vgpr48_vgpr49
                                        ; implicit-def: $vgpr52_vgpr53
                                        ; implicit-def: $vgpr34_vgpr35
                                        ; implicit-def: $vgpr38_vgpr39
                                        ; implicit-def: $vgpr42_vgpr43
                                        ; implicit-def: $vgpr46_vgpr47
                                        ; implicit-def: $vgpr50_vgpr51
                                        ; implicit-def: $vgpr54_vgpr55
                                        ; implicit-def: $vgpr56_vgpr57
                                        ; implicit-def: $vgpr58_vgpr59
                                        ; implicit-def: $vgpr132
                                        ; implicit-def: $vgpr133
                                        ; implicit-def: $vgpr134
                                        ; implicit-def: $vgpr135
                                        ; implicit-def: $vgpr136
                                        ; implicit-def: $vgpr137
                                        ; implicit-def: $vgpr138
                                        ; implicit-def: $vgpr139
                                        ; implicit-def: $vgpr140
                                        ; implicit-def: $vgpr141
                                        ; implicit-def: $vgpr142
                                        ; implicit-def: $vgpr143
                                        ; implicit-def: $vgpr144
                                        ; implicit-def: $vgpr146
                                        ; implicit-def: $vgpr147
                                        ; implicit-def: $vgpr149
	s_waitcnt vmcnt(0)
	v_mad_u32_u24 v5, v27, v5, v29
	v_mad_u64_u32 v[60:61], s[36:37], v5, s36, v[2:3]
	v_lshrrev_b32_e32 v150, 6, v60
	s_branch .LBB632_106
.LBB632_105:                            ;   in Loop: Header=BB632_106 Depth=2
	s_or_b64 exec, exec, s[36:37]
	s_addk_i32 s95, 0xf000
	s_cmp_lt_u32 s96, s92
	s_mov_b32 s88, s96
	s_cbranch_scc0 .LBB632_314
.LBB632_106:                            ;   Parent Loop BB632_20 Depth=1
                                        ; =>  This Inner Loop Header: Depth=2
	s_add_i32 s96, s88, 0x1000
	s_cmp_gt_u32 s96, s92
	s_cbranch_scc1 .LBB632_109
; %bb.107:                              ;   in Loop: Header=BB632_106 Depth=2
	s_lshl_b64 s[36:37], s[88:89], 2
	v_mov_b32_e32 v5, s37
	v_add_co_u32_e32 v60, vcc, s36, v130
	v_addc_co_u32_e32 v61, vcc, v131, v5, vcc
	global_load_dword v5, v[60:61], off
	global_load_dword v154, v[60:61], off offset:256
	global_load_dword v159, v[60:61], off offset:512
	;; [unrolled: 1-line block ×14, first 2 shown]
	s_mov_b64 s[36:37], -1
	s_movk_i32 s40, 0x1000
	s_cbranch_execz .LBB632_110
; %bb.108:                              ;   in Loop: Header=BB632_106 Depth=2
                                        ; implicit-def: $sgpr38
	v_mov_b32_e32 v63, s38
	v_mov_b32_e32 v151, s95
	s_and_saveexec_b64 s[38:39], s[36:37]
	s_cbranch_execnz .LBB632_141
	s_branch .LBB632_142
.LBB632_109:                            ;   in Loop: Header=BB632_106 Depth=2
	s_mov_b64 s[36:37], 0
                                        ; implicit-def: $sgpr40
                                        ; implicit-def: $vgpr5
                                        ; implicit-def: $vgpr154
                                        ; implicit-def: $vgpr159
                                        ; implicit-def: $vgpr164
                                        ; implicit-def: $vgpr169
                                        ; implicit-def: $vgpr174
                                        ; implicit-def: $vgpr179
                                        ; implicit-def: $vgpr184
                                        ; implicit-def: $vgpr182
                                        ; implicit-def: $vgpr177
                                        ; implicit-def: $vgpr173
                                        ; implicit-def: $vgpr168
                                        ; implicit-def: $vgpr163
                                        ; implicit-def: $vgpr158
                                        ; implicit-def: $vgpr62
.LBB632_110:                            ;   in Loop: Header=BB632_106 Depth=2
	s_lshl_b64 s[36:37], s[88:89], 2
	s_waitcnt vmcnt(14)
	v_mov_b32_e32 v5, s37
	v_add_co_u32_e32 v60, vcc, s36, v130
	v_addc_co_u32_e32 v61, vcc, v131, v5, vcc
	v_cmp_gt_u32_e32 vcc, s95, v109
	s_waitcnt vmcnt(13)
	v_bfrev_b32_e32 v154, -2
	v_bfrev_b32_e32 v5, -2
	s_and_saveexec_b64 s[36:37], vcc
	s_cbranch_execz .LBB632_112
; %bb.111:                              ;   in Loop: Header=BB632_106 Depth=2
	global_load_dword v5, v[60:61], off
.LBB632_112:                            ;   in Loop: Header=BB632_106 Depth=2
	s_or_b64 exec, exec, s[36:37]
	v_cmp_gt_u32_e32 vcc, s95, v110
	s_and_saveexec_b64 s[36:37], vcc
	s_cbranch_execz .LBB632_114
; %bb.113:                              ;   in Loop: Header=BB632_106 Depth=2
	global_load_dword v154, v[60:61], off offset:256
.LBB632_114:                            ;   in Loop: Header=BB632_106 Depth=2
	s_or_b64 exec, exec, s[36:37]
	v_cmp_gt_u32_e32 vcc, s95, v111
	s_waitcnt vmcnt(11)
	v_bfrev_b32_e32 v164, -2
	v_bfrev_b32_e32 v159, -2
	s_and_saveexec_b64 s[36:37], vcc
	s_cbranch_execz .LBB632_116
; %bb.115:                              ;   in Loop: Header=BB632_106 Depth=2
	global_load_dword v159, v[60:61], off offset:512
.LBB632_116:                            ;   in Loop: Header=BB632_106 Depth=2
	s_or_b64 exec, exec, s[36:37]
	v_cmp_gt_u32_e32 vcc, s95, v112
	s_and_saveexec_b64 s[36:37], vcc
	s_cbranch_execz .LBB632_118
; %bb.117:                              ;   in Loop: Header=BB632_106 Depth=2
	global_load_dword v164, v[60:61], off offset:768
.LBB632_118:                            ;   in Loop: Header=BB632_106 Depth=2
	s_or_b64 exec, exec, s[36:37]
	v_cmp_gt_u32_e32 vcc, s95, v113
	s_waitcnt vmcnt(9)
	v_bfrev_b32_e32 v174, -2
	v_bfrev_b32_e32 v169, -2
	s_and_saveexec_b64 s[36:37], vcc
	s_cbranch_execz .LBB632_120
; %bb.119:                              ;   in Loop: Header=BB632_106 Depth=2
	global_load_dword v169, v[60:61], off offset:1024
.LBB632_120:                            ;   in Loop: Header=BB632_106 Depth=2
	;; [unrolled: 17-line block ×6, first 2 shown]
	s_or_b64 exec, exec, s[36:37]
	v_cmp_gt_u32_e32 vcc, s95, v122
	s_and_saveexec_b64 s[36:37], vcc
	s_cbranch_execz .LBB632_138
; %bb.137:                              ;   in Loop: Header=BB632_106 Depth=2
	global_load_dword v158, v[60:61], off offset:3328
.LBB632_138:                            ;   in Loop: Header=BB632_106 Depth=2
	s_or_b64 exec, exec, s[36:37]
	v_cmp_gt_u32_e32 vcc, s95, v123
	s_waitcnt vmcnt(0)
	v_bfrev_b32_e32 v62, -2
	s_and_saveexec_b64 s[36:37], vcc
	s_cbranch_execz .LBB632_140
; %bb.139:                              ;   in Loop: Header=BB632_106 Depth=2
	global_load_dword v62, v[60:61], off offset:3584
.LBB632_140:                            ;   in Loop: Header=BB632_106 Depth=2
	s_or_b64 exec, exec, s[36:37]
	s_sub_i32 s40, s92, s88
	v_cmp_gt_u32_e64 s[36:37], s95, v124
	s_brev_b32 s38, -2
	v_mov_b32_e32 v63, s38
	v_mov_b32_e32 v151, s95
	s_and_saveexec_b64 s[38:39], s[36:37]
	s_cbranch_execz .LBB632_142
.LBB632_141:                            ;   in Loop: Header=BB632_106 Depth=2
	s_lshl_b64 s[36:37], s[88:89], 2
	v_mov_b32_e32 v61, s37
	v_add_co_u32_e32 v60, vcc, s36, v145
	v_addc_co_u32_e32 v61, vcc, v148, v61, vcc
	global_load_dword v63, v[60:61], off
	v_mov_b32_e32 v151, s40
.LBB632_142:                            ;   in Loop: Header=BB632_106 Depth=2
	s_or_b64 exec, exec, s[38:39]
	s_waitcnt vmcnt(14)
	v_xor_b32_e32 v152, 0x80000000, v5
	v_lshrrev_b32_e32 v5, s93, v152
	v_and_b32_e32 v60, s94, v5
	v_mad_u32_u24 v5, v60, 5, v150
	v_lshl_add_u32 v153, v5, 2, v65
	v_and_b32_e32 v5, 1, v60
	v_add_co_u32_e32 v61, vcc, -1, v5
	v_addc_co_u32_e64 v155, s[36:37], 0, -1, vcc
	v_cmp_ne_u32_e32 vcc, 0, v5
	v_xor_b32_e32 v5, vcc_hi, v155
	v_and_b32_e32 v155, exec_hi, v5
	v_lshlrev_b32_e32 v5, 30, v60
	v_xor_b32_e32 v61, vcc_lo, v61
	v_cmp_gt_i64_e32 vcc, 0, v[4:5]
	v_not_b32_e32 v5, v5
	v_ashrrev_i32_e32 v5, 31, v5
	v_and_b32_e32 v61, exec_lo, v61
	v_xor_b32_e32 v156, vcc_hi, v5
	v_xor_b32_e32 v5, vcc_lo, v5
	v_and_b32_e32 v61, v61, v5
	v_lshlrev_b32_e32 v5, 29, v60
	v_cmp_gt_i64_e32 vcc, 0, v[4:5]
	v_not_b32_e32 v5, v5
	v_ashrrev_i32_e32 v5, 31, v5
	v_and_b32_e32 v155, v155, v156
	v_xor_b32_e32 v156, vcc_hi, v5
	v_xor_b32_e32 v5, vcc_lo, v5
	v_and_b32_e32 v61, v61, v5
	v_lshlrev_b32_e32 v5, 28, v60
	v_cmp_gt_i64_e32 vcc, 0, v[4:5]
	v_not_b32_e32 v5, v5
	v_ashrrev_i32_e32 v5, 31, v5
	v_and_b32_e32 v155, v155, v156
	v_xor_b32_e32 v156, vcc_hi, v5
	v_xor_b32_e32 v5, vcc_lo, v5
	v_and_b32_e32 v61, v61, v5
	v_lshlrev_b32_e32 v5, 27, v60
	v_cmp_gt_i64_e32 vcc, 0, v[4:5]
	v_not_b32_e32 v5, v5
	v_ashrrev_i32_e32 v5, 31, v5
	v_and_b32_e32 v155, v155, v156
	v_xor_b32_e32 v156, vcc_hi, v5
	v_xor_b32_e32 v5, vcc_lo, v5
	v_and_b32_e32 v61, v61, v5
	v_lshlrev_b32_e32 v5, 26, v60
	v_cmp_gt_i64_e32 vcc, 0, v[4:5]
	v_not_b32_e32 v5, v5
	v_ashrrev_i32_e32 v5, 31, v5
	v_and_b32_e32 v155, v155, v156
	v_xor_b32_e32 v156, vcc_hi, v5
	v_xor_b32_e32 v5, vcc_lo, v5
	v_and_b32_e32 v61, v61, v5
	v_lshlrev_b32_e32 v5, 25, v60
	v_cmp_gt_i64_e32 vcc, 0, v[4:5]
	v_not_b32_e32 v5, v5
	v_ashrrev_i32_e32 v5, 31, v5
	v_and_b32_e32 v155, v155, v156
	v_xor_b32_e32 v156, vcc_hi, v5
	v_xor_b32_e32 v5, vcc_lo, v5
	v_and_b32_e32 v155, v155, v156
	v_and_b32_e32 v156, v61, v5
	v_lshlrev_b32_e32 v5, 24, v60
	v_cmp_gt_i64_e32 vcc, 0, v[4:5]
	v_not_b32_e32 v5, v5
	v_ashrrev_i32_e32 v5, 31, v5
	v_xor_b32_e32 v60, vcc_hi, v5
	v_xor_b32_e32 v5, vcc_lo, v5
	v_and_b32_e32 v61, v155, v60
	v_and_b32_e32 v60, v156, v5
	v_mbcnt_lo_u32_b32 v5, v60, 0
	v_mbcnt_hi_u32_b32 v155, v61, v5
	v_cmp_eq_u32_e32 vcc, 0, v155
	v_cmp_ne_u64_e64 s[36:37], 0, v[60:61]
	s_and_b64 s[38:39], s[36:37], vcc
	ds_write2_b32 v126, v4, v4 offset1:1
	ds_write2_b32 v66, v4, v4 offset0:2 offset1:3
	ds_write_b32 v66, v4 offset:16
	s_waitcnt lgkmcnt(0)
	s_barrier
	s_waitcnt lgkmcnt(0)
	; wave barrier
	s_and_saveexec_b64 s[36:37], s[38:39]
	s_cbranch_execz .LBB632_144
; %bb.143:                              ;   in Loop: Header=BB632_106 Depth=2
	v_bcnt_u32_b32 v5, v60, 0
	v_bcnt_u32_b32 v5, v61, v5
	ds_write_b32 v153, v5
.LBB632_144:                            ;   in Loop: Header=BB632_106 Depth=2
	s_or_b64 exec, exec, s[36:37]
	s_waitcnt vmcnt(13)
	v_xor_b32_e32 v154, 0x80000000, v154
	v_lshrrev_b32_e32 v5, s93, v154
	v_and_b32_e32 v60, s94, v5
	v_mul_u32_u24_e32 v5, 5, v60
	v_add_lshl_u32 v5, v5, v150, 2
	; wave barrier
	v_add_u32_e32 v157, 0x410, v5
	ds_read_b32 v156, v5 offset:1040
	v_and_b32_e32 v5, 1, v60
	v_add_co_u32_e32 v61, vcc, -1, v5
	v_addc_co_u32_e64 v160, s[36:37], 0, -1, vcc
	v_cmp_ne_u32_e32 vcc, 0, v5
	v_xor_b32_e32 v5, vcc_hi, v160
	v_and_b32_e32 v160, exec_hi, v5
	v_lshlrev_b32_e32 v5, 30, v60
	v_xor_b32_e32 v61, vcc_lo, v61
	v_cmp_gt_i64_e32 vcc, 0, v[4:5]
	v_not_b32_e32 v5, v5
	v_ashrrev_i32_e32 v5, 31, v5
	v_and_b32_e32 v61, exec_lo, v61
	v_xor_b32_e32 v161, vcc_hi, v5
	v_xor_b32_e32 v5, vcc_lo, v5
	v_and_b32_e32 v61, v61, v5
	v_lshlrev_b32_e32 v5, 29, v60
	v_cmp_gt_i64_e32 vcc, 0, v[4:5]
	v_not_b32_e32 v5, v5
	v_ashrrev_i32_e32 v5, 31, v5
	v_and_b32_e32 v160, v160, v161
	v_xor_b32_e32 v161, vcc_hi, v5
	v_xor_b32_e32 v5, vcc_lo, v5
	v_and_b32_e32 v61, v61, v5
	v_lshlrev_b32_e32 v5, 28, v60
	v_cmp_gt_i64_e32 vcc, 0, v[4:5]
	v_not_b32_e32 v5, v5
	v_ashrrev_i32_e32 v5, 31, v5
	v_and_b32_e32 v160, v160, v161
	;; [unrolled: 8-line block ×5, first 2 shown]
	v_xor_b32_e32 v161, vcc_hi, v5
	v_xor_b32_e32 v5, vcc_lo, v5
	v_and_b32_e32 v160, v160, v161
	v_and_b32_e32 v161, v61, v5
	v_lshlrev_b32_e32 v5, 24, v60
	v_cmp_gt_i64_e32 vcc, 0, v[4:5]
	v_not_b32_e32 v5, v5
	v_ashrrev_i32_e32 v5, 31, v5
	v_xor_b32_e32 v60, vcc_hi, v5
	v_xor_b32_e32 v5, vcc_lo, v5
	v_and_b32_e32 v61, v160, v60
	v_and_b32_e32 v60, v161, v5
	v_mbcnt_lo_u32_b32 v5, v60, 0
	v_mbcnt_hi_u32_b32 v160, v61, v5
	v_cmp_eq_u32_e32 vcc, 0, v160
	v_cmp_ne_u64_e64 s[36:37], 0, v[60:61]
	s_and_b64 s[38:39], s[36:37], vcc
	; wave barrier
	s_and_saveexec_b64 s[36:37], s[38:39]
	s_cbranch_execz .LBB632_146
; %bb.145:                              ;   in Loop: Header=BB632_106 Depth=2
	v_bcnt_u32_b32 v5, v60, 0
	v_bcnt_u32_b32 v5, v61, v5
	s_waitcnt lgkmcnt(0)
	v_add_u32_e32 v5, v156, v5
	ds_write_b32 v157, v5
.LBB632_146:                            ;   in Loop: Header=BB632_106 Depth=2
	s_or_b64 exec, exec, s[36:37]
	s_waitcnt vmcnt(12)
	v_xor_b32_e32 v159, 0x80000000, v159
	v_lshrrev_b32_e32 v5, s93, v159
	v_and_b32_e32 v60, s94, v5
	v_mul_u32_u24_e32 v5, 5, v60
	v_add_lshl_u32 v5, v5, v150, 2
	; wave barrier
	v_add_u32_e32 v162, 0x410, v5
	ds_read_b32 v161, v5 offset:1040
	v_and_b32_e32 v5, 1, v60
	v_add_co_u32_e32 v61, vcc, -1, v5
	v_addc_co_u32_e64 v165, s[36:37], 0, -1, vcc
	v_cmp_ne_u32_e32 vcc, 0, v5
	v_xor_b32_e32 v5, vcc_hi, v165
	v_and_b32_e32 v165, exec_hi, v5
	v_lshlrev_b32_e32 v5, 30, v60
	v_xor_b32_e32 v61, vcc_lo, v61
	v_cmp_gt_i64_e32 vcc, 0, v[4:5]
	v_not_b32_e32 v5, v5
	v_ashrrev_i32_e32 v5, 31, v5
	v_and_b32_e32 v61, exec_lo, v61
	v_xor_b32_e32 v166, vcc_hi, v5
	v_xor_b32_e32 v5, vcc_lo, v5
	v_and_b32_e32 v61, v61, v5
	v_lshlrev_b32_e32 v5, 29, v60
	v_cmp_gt_i64_e32 vcc, 0, v[4:5]
	v_not_b32_e32 v5, v5
	v_ashrrev_i32_e32 v5, 31, v5
	v_and_b32_e32 v165, v165, v166
	v_xor_b32_e32 v166, vcc_hi, v5
	v_xor_b32_e32 v5, vcc_lo, v5
	v_and_b32_e32 v61, v61, v5
	v_lshlrev_b32_e32 v5, 28, v60
	v_cmp_gt_i64_e32 vcc, 0, v[4:5]
	v_not_b32_e32 v5, v5
	v_ashrrev_i32_e32 v5, 31, v5
	v_and_b32_e32 v165, v165, v166
	;; [unrolled: 8-line block ×5, first 2 shown]
	v_xor_b32_e32 v166, vcc_hi, v5
	v_xor_b32_e32 v5, vcc_lo, v5
	v_and_b32_e32 v165, v165, v166
	v_and_b32_e32 v166, v61, v5
	v_lshlrev_b32_e32 v5, 24, v60
	v_cmp_gt_i64_e32 vcc, 0, v[4:5]
	v_not_b32_e32 v5, v5
	v_ashrrev_i32_e32 v5, 31, v5
	v_xor_b32_e32 v60, vcc_hi, v5
	v_xor_b32_e32 v5, vcc_lo, v5
	v_and_b32_e32 v61, v165, v60
	v_and_b32_e32 v60, v166, v5
	v_mbcnt_lo_u32_b32 v5, v60, 0
	v_mbcnt_hi_u32_b32 v165, v61, v5
	v_cmp_eq_u32_e32 vcc, 0, v165
	v_cmp_ne_u64_e64 s[36:37], 0, v[60:61]
	s_and_b64 s[38:39], s[36:37], vcc
	; wave barrier
	s_and_saveexec_b64 s[36:37], s[38:39]
	s_cbranch_execz .LBB632_148
; %bb.147:                              ;   in Loop: Header=BB632_106 Depth=2
	v_bcnt_u32_b32 v5, v60, 0
	v_bcnt_u32_b32 v5, v61, v5
	s_waitcnt lgkmcnt(0)
	v_add_u32_e32 v5, v161, v5
	ds_write_b32 v162, v5
.LBB632_148:                            ;   in Loop: Header=BB632_106 Depth=2
	s_or_b64 exec, exec, s[36:37]
	s_waitcnt vmcnt(11)
	v_xor_b32_e32 v164, 0x80000000, v164
	v_lshrrev_b32_e32 v5, s93, v164
	v_and_b32_e32 v60, s94, v5
	v_mul_u32_u24_e32 v5, 5, v60
	v_add_lshl_u32 v5, v5, v150, 2
	; wave barrier
	v_add_u32_e32 v167, 0x410, v5
	ds_read_b32 v166, v5 offset:1040
	v_and_b32_e32 v5, 1, v60
	v_add_co_u32_e32 v61, vcc, -1, v5
	v_addc_co_u32_e64 v170, s[36:37], 0, -1, vcc
	v_cmp_ne_u32_e32 vcc, 0, v5
	v_xor_b32_e32 v5, vcc_hi, v170
	v_and_b32_e32 v170, exec_hi, v5
	v_lshlrev_b32_e32 v5, 30, v60
	v_xor_b32_e32 v61, vcc_lo, v61
	v_cmp_gt_i64_e32 vcc, 0, v[4:5]
	v_not_b32_e32 v5, v5
	v_ashrrev_i32_e32 v5, 31, v5
	v_and_b32_e32 v61, exec_lo, v61
	v_xor_b32_e32 v171, vcc_hi, v5
	v_xor_b32_e32 v5, vcc_lo, v5
	v_and_b32_e32 v61, v61, v5
	v_lshlrev_b32_e32 v5, 29, v60
	v_cmp_gt_i64_e32 vcc, 0, v[4:5]
	v_not_b32_e32 v5, v5
	v_ashrrev_i32_e32 v5, 31, v5
	v_and_b32_e32 v170, v170, v171
	v_xor_b32_e32 v171, vcc_hi, v5
	v_xor_b32_e32 v5, vcc_lo, v5
	v_and_b32_e32 v61, v61, v5
	v_lshlrev_b32_e32 v5, 28, v60
	v_cmp_gt_i64_e32 vcc, 0, v[4:5]
	v_not_b32_e32 v5, v5
	v_ashrrev_i32_e32 v5, 31, v5
	v_and_b32_e32 v170, v170, v171
	;; [unrolled: 8-line block ×5, first 2 shown]
	v_xor_b32_e32 v171, vcc_hi, v5
	v_xor_b32_e32 v5, vcc_lo, v5
	v_and_b32_e32 v170, v170, v171
	v_and_b32_e32 v171, v61, v5
	v_lshlrev_b32_e32 v5, 24, v60
	v_cmp_gt_i64_e32 vcc, 0, v[4:5]
	v_not_b32_e32 v5, v5
	v_ashrrev_i32_e32 v5, 31, v5
	v_xor_b32_e32 v60, vcc_hi, v5
	v_xor_b32_e32 v5, vcc_lo, v5
	v_and_b32_e32 v61, v170, v60
	v_and_b32_e32 v60, v171, v5
	v_mbcnt_lo_u32_b32 v5, v60, 0
	v_mbcnt_hi_u32_b32 v170, v61, v5
	v_cmp_eq_u32_e32 vcc, 0, v170
	v_cmp_ne_u64_e64 s[36:37], 0, v[60:61]
	s_and_b64 s[38:39], s[36:37], vcc
	; wave barrier
	s_and_saveexec_b64 s[36:37], s[38:39]
	s_cbranch_execz .LBB632_150
; %bb.149:                              ;   in Loop: Header=BB632_106 Depth=2
	v_bcnt_u32_b32 v5, v60, 0
	v_bcnt_u32_b32 v5, v61, v5
	s_waitcnt lgkmcnt(0)
	v_add_u32_e32 v5, v166, v5
	ds_write_b32 v167, v5
.LBB632_150:                            ;   in Loop: Header=BB632_106 Depth=2
	s_or_b64 exec, exec, s[36:37]
	s_waitcnt vmcnt(10)
	v_xor_b32_e32 v169, 0x80000000, v169
	v_lshrrev_b32_e32 v5, s93, v169
	v_and_b32_e32 v60, s94, v5
	v_mul_u32_u24_e32 v5, 5, v60
	v_add_lshl_u32 v5, v5, v150, 2
	; wave barrier
	v_add_u32_e32 v172, 0x410, v5
	ds_read_b32 v171, v5 offset:1040
	v_and_b32_e32 v5, 1, v60
	v_add_co_u32_e32 v61, vcc, -1, v5
	v_addc_co_u32_e64 v175, s[36:37], 0, -1, vcc
	v_cmp_ne_u32_e32 vcc, 0, v5
	v_xor_b32_e32 v5, vcc_hi, v175
	v_and_b32_e32 v175, exec_hi, v5
	v_lshlrev_b32_e32 v5, 30, v60
	v_xor_b32_e32 v61, vcc_lo, v61
	v_cmp_gt_i64_e32 vcc, 0, v[4:5]
	v_not_b32_e32 v5, v5
	v_ashrrev_i32_e32 v5, 31, v5
	v_and_b32_e32 v61, exec_lo, v61
	v_xor_b32_e32 v176, vcc_hi, v5
	v_xor_b32_e32 v5, vcc_lo, v5
	v_and_b32_e32 v61, v61, v5
	v_lshlrev_b32_e32 v5, 29, v60
	v_cmp_gt_i64_e32 vcc, 0, v[4:5]
	v_not_b32_e32 v5, v5
	v_ashrrev_i32_e32 v5, 31, v5
	v_and_b32_e32 v175, v175, v176
	v_xor_b32_e32 v176, vcc_hi, v5
	v_xor_b32_e32 v5, vcc_lo, v5
	v_and_b32_e32 v61, v61, v5
	v_lshlrev_b32_e32 v5, 28, v60
	v_cmp_gt_i64_e32 vcc, 0, v[4:5]
	v_not_b32_e32 v5, v5
	v_ashrrev_i32_e32 v5, 31, v5
	v_and_b32_e32 v175, v175, v176
	v_xor_b32_e32 v176, vcc_hi, v5
	v_xor_b32_e32 v5, vcc_lo, v5
	v_and_b32_e32 v61, v61, v5
	v_lshlrev_b32_e32 v5, 27, v60
	v_cmp_gt_i64_e32 vcc, 0, v[4:5]
	v_not_b32_e32 v5, v5
	v_ashrrev_i32_e32 v5, 31, v5
	v_and_b32_e32 v175, v175, v176
	v_xor_b32_e32 v176, vcc_hi, v5
	v_xor_b32_e32 v5, vcc_lo, v5
	v_and_b32_e32 v61, v61, v5
	v_lshlrev_b32_e32 v5, 26, v60
	v_cmp_gt_i64_e32 vcc, 0, v[4:5]
	v_not_b32_e32 v5, v5
	v_ashrrev_i32_e32 v5, 31, v5
	v_and_b32_e32 v175, v175, v176
	v_xor_b32_e32 v176, vcc_hi, v5
	v_xor_b32_e32 v5, vcc_lo, v5
	v_and_b32_e32 v61, v61, v5
	v_lshlrev_b32_e32 v5, 25, v60
	v_cmp_gt_i64_e32 vcc, 0, v[4:5]
	v_not_b32_e32 v5, v5
	v_ashrrev_i32_e32 v5, 31, v5
	v_and_b32_e32 v175, v175, v176
	v_xor_b32_e32 v176, vcc_hi, v5
	v_xor_b32_e32 v5, vcc_lo, v5
	v_and_b32_e32 v175, v175, v176
	v_and_b32_e32 v176, v61, v5
	v_lshlrev_b32_e32 v5, 24, v60
	v_cmp_gt_i64_e32 vcc, 0, v[4:5]
	v_not_b32_e32 v5, v5
	v_ashrrev_i32_e32 v5, 31, v5
	v_xor_b32_e32 v60, vcc_hi, v5
	v_xor_b32_e32 v5, vcc_lo, v5
	v_and_b32_e32 v61, v175, v60
	v_and_b32_e32 v60, v176, v5
	v_mbcnt_lo_u32_b32 v5, v60, 0
	v_mbcnt_hi_u32_b32 v175, v61, v5
	v_cmp_eq_u32_e32 vcc, 0, v175
	v_cmp_ne_u64_e64 s[36:37], 0, v[60:61]
	s_and_b64 s[38:39], s[36:37], vcc
	; wave barrier
	s_and_saveexec_b64 s[36:37], s[38:39]
	s_cbranch_execz .LBB632_152
; %bb.151:                              ;   in Loop: Header=BB632_106 Depth=2
	v_bcnt_u32_b32 v5, v60, 0
	v_bcnt_u32_b32 v5, v61, v5
	s_waitcnt lgkmcnt(0)
	v_add_u32_e32 v5, v171, v5
	ds_write_b32 v172, v5
.LBB632_152:                            ;   in Loop: Header=BB632_106 Depth=2
	s_or_b64 exec, exec, s[36:37]
	s_waitcnt vmcnt(9)
	v_xor_b32_e32 v174, 0x80000000, v174
	v_lshrrev_b32_e32 v5, s93, v174
	v_and_b32_e32 v60, s94, v5
	v_mul_u32_u24_e32 v5, 5, v60
	v_add_lshl_u32 v5, v5, v150, 2
	; wave barrier
	v_add_u32_e32 v178, 0x410, v5
	ds_read_b32 v176, v5 offset:1040
	v_and_b32_e32 v5, 1, v60
	v_add_co_u32_e32 v61, vcc, -1, v5
	v_addc_co_u32_e64 v180, s[36:37], 0, -1, vcc
	v_cmp_ne_u32_e32 vcc, 0, v5
	v_xor_b32_e32 v5, vcc_hi, v180
	v_and_b32_e32 v180, exec_hi, v5
	v_lshlrev_b32_e32 v5, 30, v60
	v_xor_b32_e32 v61, vcc_lo, v61
	v_cmp_gt_i64_e32 vcc, 0, v[4:5]
	v_not_b32_e32 v5, v5
	v_ashrrev_i32_e32 v5, 31, v5
	v_and_b32_e32 v61, exec_lo, v61
	v_xor_b32_e32 v181, vcc_hi, v5
	v_xor_b32_e32 v5, vcc_lo, v5
	v_and_b32_e32 v61, v61, v5
	v_lshlrev_b32_e32 v5, 29, v60
	v_cmp_gt_i64_e32 vcc, 0, v[4:5]
	v_not_b32_e32 v5, v5
	v_ashrrev_i32_e32 v5, 31, v5
	v_and_b32_e32 v180, v180, v181
	v_xor_b32_e32 v181, vcc_hi, v5
	v_xor_b32_e32 v5, vcc_lo, v5
	v_and_b32_e32 v61, v61, v5
	v_lshlrev_b32_e32 v5, 28, v60
	v_cmp_gt_i64_e32 vcc, 0, v[4:5]
	v_not_b32_e32 v5, v5
	v_ashrrev_i32_e32 v5, 31, v5
	v_and_b32_e32 v180, v180, v181
	;; [unrolled: 8-line block ×5, first 2 shown]
	v_xor_b32_e32 v181, vcc_hi, v5
	v_xor_b32_e32 v5, vcc_lo, v5
	v_and_b32_e32 v180, v180, v181
	v_and_b32_e32 v181, v61, v5
	v_lshlrev_b32_e32 v5, 24, v60
	v_cmp_gt_i64_e32 vcc, 0, v[4:5]
	v_not_b32_e32 v5, v5
	v_ashrrev_i32_e32 v5, 31, v5
	v_xor_b32_e32 v60, vcc_hi, v5
	v_xor_b32_e32 v5, vcc_lo, v5
	v_and_b32_e32 v61, v180, v60
	v_and_b32_e32 v60, v181, v5
	v_mbcnt_lo_u32_b32 v5, v60, 0
	v_mbcnt_hi_u32_b32 v180, v61, v5
	v_cmp_eq_u32_e32 vcc, 0, v180
	v_cmp_ne_u64_e64 s[36:37], 0, v[60:61]
	s_and_b64 s[38:39], s[36:37], vcc
	; wave barrier
	s_and_saveexec_b64 s[36:37], s[38:39]
	s_cbranch_execz .LBB632_154
; %bb.153:                              ;   in Loop: Header=BB632_106 Depth=2
	v_bcnt_u32_b32 v5, v60, 0
	v_bcnt_u32_b32 v5, v61, v5
	s_waitcnt lgkmcnt(0)
	v_add_u32_e32 v5, v176, v5
	ds_write_b32 v178, v5
.LBB632_154:                            ;   in Loop: Header=BB632_106 Depth=2
	s_or_b64 exec, exec, s[36:37]
	s_waitcnt vmcnt(8)
	v_xor_b32_e32 v179, 0x80000000, v179
	v_lshrrev_b32_e32 v5, s93, v179
	v_and_b32_e32 v60, s94, v5
	v_mul_u32_u24_e32 v5, 5, v60
	v_add_lshl_u32 v5, v5, v150, 2
	; wave barrier
	v_add_u32_e32 v183, 0x410, v5
	ds_read_b32 v181, v5 offset:1040
	v_and_b32_e32 v5, 1, v60
	v_add_co_u32_e32 v61, vcc, -1, v5
	v_addc_co_u32_e64 v185, s[36:37], 0, -1, vcc
	v_cmp_ne_u32_e32 vcc, 0, v5
	v_xor_b32_e32 v5, vcc_hi, v185
	v_and_b32_e32 v185, exec_hi, v5
	v_lshlrev_b32_e32 v5, 30, v60
	v_xor_b32_e32 v61, vcc_lo, v61
	v_cmp_gt_i64_e32 vcc, 0, v[4:5]
	v_not_b32_e32 v5, v5
	v_ashrrev_i32_e32 v5, 31, v5
	v_and_b32_e32 v61, exec_lo, v61
	v_xor_b32_e32 v186, vcc_hi, v5
	v_xor_b32_e32 v5, vcc_lo, v5
	v_and_b32_e32 v61, v61, v5
	v_lshlrev_b32_e32 v5, 29, v60
	v_cmp_gt_i64_e32 vcc, 0, v[4:5]
	v_not_b32_e32 v5, v5
	v_ashrrev_i32_e32 v5, 31, v5
	v_and_b32_e32 v185, v185, v186
	v_xor_b32_e32 v186, vcc_hi, v5
	v_xor_b32_e32 v5, vcc_lo, v5
	v_and_b32_e32 v61, v61, v5
	v_lshlrev_b32_e32 v5, 28, v60
	v_cmp_gt_i64_e32 vcc, 0, v[4:5]
	v_not_b32_e32 v5, v5
	v_ashrrev_i32_e32 v5, 31, v5
	v_and_b32_e32 v185, v185, v186
	;; [unrolled: 8-line block ×5, first 2 shown]
	v_xor_b32_e32 v186, vcc_hi, v5
	v_xor_b32_e32 v5, vcc_lo, v5
	v_and_b32_e32 v185, v185, v186
	v_and_b32_e32 v186, v61, v5
	v_lshlrev_b32_e32 v5, 24, v60
	v_cmp_gt_i64_e32 vcc, 0, v[4:5]
	v_not_b32_e32 v5, v5
	v_ashrrev_i32_e32 v5, 31, v5
	v_xor_b32_e32 v60, vcc_hi, v5
	v_xor_b32_e32 v5, vcc_lo, v5
	v_and_b32_e32 v61, v185, v60
	v_and_b32_e32 v60, v186, v5
	v_mbcnt_lo_u32_b32 v5, v60, 0
	v_mbcnt_hi_u32_b32 v185, v61, v5
	v_cmp_eq_u32_e32 vcc, 0, v185
	v_cmp_ne_u64_e64 s[36:37], 0, v[60:61]
	s_and_b64 s[38:39], s[36:37], vcc
	; wave barrier
	s_and_saveexec_b64 s[36:37], s[38:39]
	s_cbranch_execz .LBB632_156
; %bb.155:                              ;   in Loop: Header=BB632_106 Depth=2
	v_bcnt_u32_b32 v5, v60, 0
	v_bcnt_u32_b32 v5, v61, v5
	s_waitcnt lgkmcnt(0)
	v_add_u32_e32 v5, v181, v5
	ds_write_b32 v183, v5
.LBB632_156:                            ;   in Loop: Header=BB632_106 Depth=2
	s_or_b64 exec, exec, s[36:37]
	s_waitcnt vmcnt(7)
	v_xor_b32_e32 v184, 0x80000000, v184
	v_lshrrev_b32_e32 v5, s93, v184
	v_and_b32_e32 v60, s94, v5
	v_mul_u32_u24_e32 v5, 5, v60
	v_add_lshl_u32 v5, v5, v150, 2
	; wave barrier
	v_add_u32_e32 v187, 0x410, v5
	ds_read_b32 v186, v5 offset:1040
	v_and_b32_e32 v5, 1, v60
	v_add_co_u32_e32 v61, vcc, -1, v5
	v_addc_co_u32_e64 v188, s[36:37], 0, -1, vcc
	v_cmp_ne_u32_e32 vcc, 0, v5
	v_xor_b32_e32 v5, vcc_hi, v188
	v_and_b32_e32 v188, exec_hi, v5
	v_lshlrev_b32_e32 v5, 30, v60
	v_xor_b32_e32 v61, vcc_lo, v61
	v_cmp_gt_i64_e32 vcc, 0, v[4:5]
	v_not_b32_e32 v5, v5
	v_ashrrev_i32_e32 v5, 31, v5
	v_and_b32_e32 v61, exec_lo, v61
	v_xor_b32_e32 v189, vcc_hi, v5
	v_xor_b32_e32 v5, vcc_lo, v5
	v_and_b32_e32 v61, v61, v5
	v_lshlrev_b32_e32 v5, 29, v60
	v_cmp_gt_i64_e32 vcc, 0, v[4:5]
	v_not_b32_e32 v5, v5
	v_ashrrev_i32_e32 v5, 31, v5
	v_and_b32_e32 v188, v188, v189
	v_xor_b32_e32 v189, vcc_hi, v5
	v_xor_b32_e32 v5, vcc_lo, v5
	v_and_b32_e32 v61, v61, v5
	v_lshlrev_b32_e32 v5, 28, v60
	v_cmp_gt_i64_e32 vcc, 0, v[4:5]
	v_not_b32_e32 v5, v5
	v_ashrrev_i32_e32 v5, 31, v5
	v_and_b32_e32 v188, v188, v189
	;; [unrolled: 8-line block ×5, first 2 shown]
	v_xor_b32_e32 v189, vcc_hi, v5
	v_xor_b32_e32 v5, vcc_lo, v5
	v_and_b32_e32 v188, v188, v189
	v_and_b32_e32 v189, v61, v5
	v_lshlrev_b32_e32 v5, 24, v60
	v_cmp_gt_i64_e32 vcc, 0, v[4:5]
	v_not_b32_e32 v5, v5
	v_ashrrev_i32_e32 v5, 31, v5
	v_xor_b32_e32 v60, vcc_hi, v5
	v_xor_b32_e32 v5, vcc_lo, v5
	v_and_b32_e32 v61, v188, v60
	v_and_b32_e32 v60, v189, v5
	v_mbcnt_lo_u32_b32 v5, v60, 0
	v_mbcnt_hi_u32_b32 v188, v61, v5
	v_cmp_eq_u32_e32 vcc, 0, v188
	v_cmp_ne_u64_e64 s[36:37], 0, v[60:61]
	s_and_b64 s[38:39], s[36:37], vcc
	; wave barrier
	s_and_saveexec_b64 s[36:37], s[38:39]
	s_cbranch_execz .LBB632_158
; %bb.157:                              ;   in Loop: Header=BB632_106 Depth=2
	v_bcnt_u32_b32 v5, v60, 0
	v_bcnt_u32_b32 v5, v61, v5
	s_waitcnt lgkmcnt(0)
	v_add_u32_e32 v5, v186, v5
	ds_write_b32 v187, v5
.LBB632_158:                            ;   in Loop: Header=BB632_106 Depth=2
	s_or_b64 exec, exec, s[36:37]
	s_waitcnt vmcnt(6)
	v_xor_b32_e32 v182, 0x80000000, v182
	v_lshrrev_b32_e32 v5, s93, v182
	v_and_b32_e32 v60, s94, v5
	v_mul_u32_u24_e32 v5, 5, v60
	v_add_lshl_u32 v5, v5, v150, 2
	; wave barrier
	v_add_u32_e32 v190, 0x410, v5
	ds_read_b32 v189, v5 offset:1040
	v_and_b32_e32 v5, 1, v60
	v_add_co_u32_e32 v61, vcc, -1, v5
	v_addc_co_u32_e64 v191, s[36:37], 0, -1, vcc
	v_cmp_ne_u32_e32 vcc, 0, v5
	v_xor_b32_e32 v5, vcc_hi, v191
	v_and_b32_e32 v191, exec_hi, v5
	v_lshlrev_b32_e32 v5, 30, v60
	v_xor_b32_e32 v61, vcc_lo, v61
	v_cmp_gt_i64_e32 vcc, 0, v[4:5]
	v_not_b32_e32 v5, v5
	v_ashrrev_i32_e32 v5, 31, v5
	v_and_b32_e32 v61, exec_lo, v61
	v_xor_b32_e32 v192, vcc_hi, v5
	v_xor_b32_e32 v5, vcc_lo, v5
	v_and_b32_e32 v61, v61, v5
	v_lshlrev_b32_e32 v5, 29, v60
	v_cmp_gt_i64_e32 vcc, 0, v[4:5]
	v_not_b32_e32 v5, v5
	v_ashrrev_i32_e32 v5, 31, v5
	v_and_b32_e32 v191, v191, v192
	v_xor_b32_e32 v192, vcc_hi, v5
	v_xor_b32_e32 v5, vcc_lo, v5
	v_and_b32_e32 v61, v61, v5
	v_lshlrev_b32_e32 v5, 28, v60
	v_cmp_gt_i64_e32 vcc, 0, v[4:5]
	v_not_b32_e32 v5, v5
	v_ashrrev_i32_e32 v5, 31, v5
	v_and_b32_e32 v191, v191, v192
	;; [unrolled: 8-line block ×5, first 2 shown]
	v_xor_b32_e32 v192, vcc_hi, v5
	v_xor_b32_e32 v5, vcc_lo, v5
	v_and_b32_e32 v191, v191, v192
	v_and_b32_e32 v192, v61, v5
	v_lshlrev_b32_e32 v5, 24, v60
	v_cmp_gt_i64_e32 vcc, 0, v[4:5]
	v_not_b32_e32 v5, v5
	v_ashrrev_i32_e32 v5, 31, v5
	v_xor_b32_e32 v60, vcc_hi, v5
	v_xor_b32_e32 v5, vcc_lo, v5
	v_and_b32_e32 v61, v191, v60
	v_and_b32_e32 v60, v192, v5
	v_mbcnt_lo_u32_b32 v5, v60, 0
	v_mbcnt_hi_u32_b32 v191, v61, v5
	v_cmp_eq_u32_e32 vcc, 0, v191
	v_cmp_ne_u64_e64 s[36:37], 0, v[60:61]
	s_and_b64 s[38:39], s[36:37], vcc
	; wave barrier
	s_and_saveexec_b64 s[36:37], s[38:39]
	s_cbranch_execz .LBB632_160
; %bb.159:                              ;   in Loop: Header=BB632_106 Depth=2
	v_bcnt_u32_b32 v5, v60, 0
	v_bcnt_u32_b32 v5, v61, v5
	s_waitcnt lgkmcnt(0)
	v_add_u32_e32 v5, v189, v5
	ds_write_b32 v190, v5
.LBB632_160:                            ;   in Loop: Header=BB632_106 Depth=2
	s_or_b64 exec, exec, s[36:37]
	s_waitcnt vmcnt(5)
	v_xor_b32_e32 v177, 0x80000000, v177
	v_lshrrev_b32_e32 v5, s93, v177
	v_and_b32_e32 v60, s94, v5
	v_mul_u32_u24_e32 v5, 5, v60
	v_add_lshl_u32 v5, v5, v150, 2
	; wave barrier
	v_add_u32_e32 v193, 0x410, v5
	ds_read_b32 v192, v5 offset:1040
	v_and_b32_e32 v5, 1, v60
	v_add_co_u32_e32 v61, vcc, -1, v5
	v_addc_co_u32_e64 v194, s[36:37], 0, -1, vcc
	v_cmp_ne_u32_e32 vcc, 0, v5
	v_xor_b32_e32 v5, vcc_hi, v194
	v_and_b32_e32 v194, exec_hi, v5
	v_lshlrev_b32_e32 v5, 30, v60
	v_xor_b32_e32 v61, vcc_lo, v61
	v_cmp_gt_i64_e32 vcc, 0, v[4:5]
	v_not_b32_e32 v5, v5
	v_ashrrev_i32_e32 v5, 31, v5
	v_and_b32_e32 v61, exec_lo, v61
	v_xor_b32_e32 v195, vcc_hi, v5
	v_xor_b32_e32 v5, vcc_lo, v5
	v_and_b32_e32 v61, v61, v5
	v_lshlrev_b32_e32 v5, 29, v60
	v_cmp_gt_i64_e32 vcc, 0, v[4:5]
	v_not_b32_e32 v5, v5
	v_ashrrev_i32_e32 v5, 31, v5
	v_and_b32_e32 v194, v194, v195
	v_xor_b32_e32 v195, vcc_hi, v5
	v_xor_b32_e32 v5, vcc_lo, v5
	v_and_b32_e32 v61, v61, v5
	v_lshlrev_b32_e32 v5, 28, v60
	v_cmp_gt_i64_e32 vcc, 0, v[4:5]
	v_not_b32_e32 v5, v5
	v_ashrrev_i32_e32 v5, 31, v5
	v_and_b32_e32 v194, v194, v195
	;; [unrolled: 8-line block ×5, first 2 shown]
	v_xor_b32_e32 v195, vcc_hi, v5
	v_xor_b32_e32 v5, vcc_lo, v5
	v_and_b32_e32 v194, v194, v195
	v_and_b32_e32 v195, v61, v5
	v_lshlrev_b32_e32 v5, 24, v60
	v_cmp_gt_i64_e32 vcc, 0, v[4:5]
	v_not_b32_e32 v5, v5
	v_ashrrev_i32_e32 v5, 31, v5
	v_xor_b32_e32 v60, vcc_hi, v5
	v_xor_b32_e32 v5, vcc_lo, v5
	v_and_b32_e32 v61, v194, v60
	v_and_b32_e32 v60, v195, v5
	v_mbcnt_lo_u32_b32 v5, v60, 0
	v_mbcnt_hi_u32_b32 v194, v61, v5
	v_cmp_eq_u32_e32 vcc, 0, v194
	v_cmp_ne_u64_e64 s[36:37], 0, v[60:61]
	s_and_b64 s[38:39], s[36:37], vcc
	; wave barrier
	s_and_saveexec_b64 s[36:37], s[38:39]
	s_cbranch_execz .LBB632_162
; %bb.161:                              ;   in Loop: Header=BB632_106 Depth=2
	v_bcnt_u32_b32 v5, v60, 0
	v_bcnt_u32_b32 v5, v61, v5
	s_waitcnt lgkmcnt(0)
	v_add_u32_e32 v5, v192, v5
	ds_write_b32 v193, v5
.LBB632_162:                            ;   in Loop: Header=BB632_106 Depth=2
	s_or_b64 exec, exec, s[36:37]
	s_waitcnt vmcnt(4)
	v_xor_b32_e32 v173, 0x80000000, v173
	v_lshrrev_b32_e32 v5, s93, v173
	v_and_b32_e32 v60, s94, v5
	v_mul_u32_u24_e32 v5, 5, v60
	v_add_lshl_u32 v5, v5, v150, 2
	; wave barrier
	v_add_u32_e32 v196, 0x410, v5
	ds_read_b32 v195, v5 offset:1040
	v_and_b32_e32 v5, 1, v60
	v_add_co_u32_e32 v61, vcc, -1, v5
	v_addc_co_u32_e64 v197, s[36:37], 0, -1, vcc
	v_cmp_ne_u32_e32 vcc, 0, v5
	v_xor_b32_e32 v5, vcc_hi, v197
	v_and_b32_e32 v197, exec_hi, v5
	v_lshlrev_b32_e32 v5, 30, v60
	v_xor_b32_e32 v61, vcc_lo, v61
	v_cmp_gt_i64_e32 vcc, 0, v[4:5]
	v_not_b32_e32 v5, v5
	v_ashrrev_i32_e32 v5, 31, v5
	v_and_b32_e32 v61, exec_lo, v61
	v_xor_b32_e32 v198, vcc_hi, v5
	v_xor_b32_e32 v5, vcc_lo, v5
	v_and_b32_e32 v61, v61, v5
	v_lshlrev_b32_e32 v5, 29, v60
	v_cmp_gt_i64_e32 vcc, 0, v[4:5]
	v_not_b32_e32 v5, v5
	v_ashrrev_i32_e32 v5, 31, v5
	v_and_b32_e32 v197, v197, v198
	v_xor_b32_e32 v198, vcc_hi, v5
	v_xor_b32_e32 v5, vcc_lo, v5
	v_and_b32_e32 v61, v61, v5
	v_lshlrev_b32_e32 v5, 28, v60
	v_cmp_gt_i64_e32 vcc, 0, v[4:5]
	v_not_b32_e32 v5, v5
	v_ashrrev_i32_e32 v5, 31, v5
	v_and_b32_e32 v197, v197, v198
	;; [unrolled: 8-line block ×5, first 2 shown]
	v_xor_b32_e32 v198, vcc_hi, v5
	v_xor_b32_e32 v5, vcc_lo, v5
	v_and_b32_e32 v197, v197, v198
	v_and_b32_e32 v198, v61, v5
	v_lshlrev_b32_e32 v5, 24, v60
	v_cmp_gt_i64_e32 vcc, 0, v[4:5]
	v_not_b32_e32 v5, v5
	v_ashrrev_i32_e32 v5, 31, v5
	v_xor_b32_e32 v60, vcc_hi, v5
	v_xor_b32_e32 v5, vcc_lo, v5
	v_and_b32_e32 v61, v197, v60
	v_and_b32_e32 v60, v198, v5
	v_mbcnt_lo_u32_b32 v5, v60, 0
	v_mbcnt_hi_u32_b32 v198, v61, v5
	v_cmp_eq_u32_e32 vcc, 0, v198
	v_cmp_ne_u64_e64 s[36:37], 0, v[60:61]
	s_and_b64 s[38:39], s[36:37], vcc
	; wave barrier
	s_and_saveexec_b64 s[36:37], s[38:39]
	s_cbranch_execz .LBB632_164
; %bb.163:                              ;   in Loop: Header=BB632_106 Depth=2
	v_bcnt_u32_b32 v5, v60, 0
	v_bcnt_u32_b32 v5, v61, v5
	s_waitcnt lgkmcnt(0)
	v_add_u32_e32 v5, v195, v5
	ds_write_b32 v196, v5
.LBB632_164:                            ;   in Loop: Header=BB632_106 Depth=2
	s_or_b64 exec, exec, s[36:37]
	s_waitcnt vmcnt(3)
	v_xor_b32_e32 v197, 0x80000000, v168
	v_lshrrev_b32_e32 v5, s93, v197
	v_and_b32_e32 v60, s94, v5
	v_mul_u32_u24_e32 v5, 5, v60
	v_add_lshl_u32 v5, v5, v150, 2
	; wave barrier
	v_add_u32_e32 v168, 0x410, v5
	ds_read_b32 v199, v5 offset:1040
	v_and_b32_e32 v5, 1, v60
	v_add_co_u32_e32 v61, vcc, -1, v5
	v_addc_co_u32_e64 v200, s[36:37], 0, -1, vcc
	v_cmp_ne_u32_e32 vcc, 0, v5
	v_xor_b32_e32 v5, vcc_hi, v200
	v_and_b32_e32 v200, exec_hi, v5
	v_lshlrev_b32_e32 v5, 30, v60
	v_xor_b32_e32 v61, vcc_lo, v61
	v_cmp_gt_i64_e32 vcc, 0, v[4:5]
	v_not_b32_e32 v5, v5
	v_ashrrev_i32_e32 v5, 31, v5
	v_and_b32_e32 v61, exec_lo, v61
	v_xor_b32_e32 v201, vcc_hi, v5
	v_xor_b32_e32 v5, vcc_lo, v5
	v_and_b32_e32 v61, v61, v5
	v_lshlrev_b32_e32 v5, 29, v60
	v_cmp_gt_i64_e32 vcc, 0, v[4:5]
	v_not_b32_e32 v5, v5
	v_ashrrev_i32_e32 v5, 31, v5
	v_and_b32_e32 v200, v200, v201
	v_xor_b32_e32 v201, vcc_hi, v5
	v_xor_b32_e32 v5, vcc_lo, v5
	v_and_b32_e32 v61, v61, v5
	v_lshlrev_b32_e32 v5, 28, v60
	v_cmp_gt_i64_e32 vcc, 0, v[4:5]
	v_not_b32_e32 v5, v5
	v_ashrrev_i32_e32 v5, 31, v5
	v_and_b32_e32 v200, v200, v201
	;; [unrolled: 8-line block ×5, first 2 shown]
	v_xor_b32_e32 v201, vcc_hi, v5
	v_xor_b32_e32 v5, vcc_lo, v5
	v_and_b32_e32 v200, v200, v201
	v_and_b32_e32 v201, v61, v5
	v_lshlrev_b32_e32 v5, 24, v60
	v_cmp_gt_i64_e32 vcc, 0, v[4:5]
	v_not_b32_e32 v5, v5
	v_ashrrev_i32_e32 v5, 31, v5
	v_xor_b32_e32 v60, vcc_hi, v5
	v_xor_b32_e32 v5, vcc_lo, v5
	v_and_b32_e32 v61, v200, v60
	v_and_b32_e32 v60, v201, v5
	v_mbcnt_lo_u32_b32 v5, v60, 0
	v_mbcnt_hi_u32_b32 v201, v61, v5
	v_cmp_eq_u32_e32 vcc, 0, v201
	v_cmp_ne_u64_e64 s[36:37], 0, v[60:61]
	s_and_b64 s[38:39], s[36:37], vcc
	; wave barrier
	s_and_saveexec_b64 s[36:37], s[38:39]
	s_cbranch_execz .LBB632_166
; %bb.165:                              ;   in Loop: Header=BB632_106 Depth=2
	v_bcnt_u32_b32 v5, v60, 0
	v_bcnt_u32_b32 v5, v61, v5
	s_waitcnt lgkmcnt(0)
	v_add_u32_e32 v5, v199, v5
	ds_write_b32 v168, v5
.LBB632_166:                            ;   in Loop: Header=BB632_106 Depth=2
	s_or_b64 exec, exec, s[36:37]
	s_waitcnt vmcnt(2)
	v_xor_b32_e32 v200, 0x80000000, v163
	v_lshrrev_b32_e32 v5, s93, v200
	v_and_b32_e32 v60, s94, v5
	v_mul_u32_u24_e32 v5, 5, v60
	v_add_lshl_u32 v5, v5, v150, 2
	; wave barrier
	v_add_u32_e32 v163, 0x410, v5
	ds_read_b32 v202, v5 offset:1040
	v_and_b32_e32 v5, 1, v60
	v_add_co_u32_e32 v61, vcc, -1, v5
	v_addc_co_u32_e64 v203, s[36:37], 0, -1, vcc
	v_cmp_ne_u32_e32 vcc, 0, v5
	v_xor_b32_e32 v5, vcc_hi, v203
	v_and_b32_e32 v203, exec_hi, v5
	v_lshlrev_b32_e32 v5, 30, v60
	v_xor_b32_e32 v61, vcc_lo, v61
	v_cmp_gt_i64_e32 vcc, 0, v[4:5]
	v_not_b32_e32 v5, v5
	v_ashrrev_i32_e32 v5, 31, v5
	v_and_b32_e32 v61, exec_lo, v61
	v_xor_b32_e32 v204, vcc_hi, v5
	v_xor_b32_e32 v5, vcc_lo, v5
	v_and_b32_e32 v61, v61, v5
	v_lshlrev_b32_e32 v5, 29, v60
	v_cmp_gt_i64_e32 vcc, 0, v[4:5]
	v_not_b32_e32 v5, v5
	v_ashrrev_i32_e32 v5, 31, v5
	v_and_b32_e32 v203, v203, v204
	v_xor_b32_e32 v204, vcc_hi, v5
	v_xor_b32_e32 v5, vcc_lo, v5
	v_and_b32_e32 v61, v61, v5
	v_lshlrev_b32_e32 v5, 28, v60
	v_cmp_gt_i64_e32 vcc, 0, v[4:5]
	v_not_b32_e32 v5, v5
	v_ashrrev_i32_e32 v5, 31, v5
	v_and_b32_e32 v203, v203, v204
	;; [unrolled: 8-line block ×5, first 2 shown]
	v_xor_b32_e32 v204, vcc_hi, v5
	v_xor_b32_e32 v5, vcc_lo, v5
	v_and_b32_e32 v203, v203, v204
	v_and_b32_e32 v204, v61, v5
	v_lshlrev_b32_e32 v5, 24, v60
	v_cmp_gt_i64_e32 vcc, 0, v[4:5]
	v_not_b32_e32 v5, v5
	v_ashrrev_i32_e32 v5, 31, v5
	v_xor_b32_e32 v60, vcc_hi, v5
	v_xor_b32_e32 v5, vcc_lo, v5
	v_and_b32_e32 v61, v203, v60
	v_and_b32_e32 v60, v204, v5
	v_mbcnt_lo_u32_b32 v5, v60, 0
	v_mbcnt_hi_u32_b32 v204, v61, v5
	v_cmp_eq_u32_e32 vcc, 0, v204
	v_cmp_ne_u64_e64 s[36:37], 0, v[60:61]
	s_and_b64 s[38:39], s[36:37], vcc
	; wave barrier
	s_and_saveexec_b64 s[36:37], s[38:39]
	s_cbranch_execz .LBB632_168
; %bb.167:                              ;   in Loop: Header=BB632_106 Depth=2
	v_bcnt_u32_b32 v5, v60, 0
	v_bcnt_u32_b32 v5, v61, v5
	s_waitcnt lgkmcnt(0)
	v_add_u32_e32 v5, v202, v5
	ds_write_b32 v163, v5
.LBB632_168:                            ;   in Loop: Header=BB632_106 Depth=2
	s_or_b64 exec, exec, s[36:37]
	s_waitcnt vmcnt(1)
	v_xor_b32_e32 v203, 0x80000000, v158
	v_lshrrev_b32_e32 v5, s93, v203
	v_and_b32_e32 v60, s94, v5
	v_mul_u32_u24_e32 v5, 5, v60
	v_add_lshl_u32 v5, v5, v150, 2
	; wave barrier
	v_add_u32_e32 v158, 0x410, v5
	ds_read_b32 v205, v5 offset:1040
	v_and_b32_e32 v5, 1, v60
	v_add_co_u32_e32 v61, vcc, -1, v5
	v_addc_co_u32_e64 v206, s[36:37], 0, -1, vcc
	v_cmp_ne_u32_e32 vcc, 0, v5
	v_xor_b32_e32 v5, vcc_hi, v206
	v_and_b32_e32 v206, exec_hi, v5
	v_lshlrev_b32_e32 v5, 30, v60
	v_xor_b32_e32 v61, vcc_lo, v61
	v_cmp_gt_i64_e32 vcc, 0, v[4:5]
	v_not_b32_e32 v5, v5
	v_ashrrev_i32_e32 v5, 31, v5
	v_and_b32_e32 v61, exec_lo, v61
	v_xor_b32_e32 v207, vcc_hi, v5
	v_xor_b32_e32 v5, vcc_lo, v5
	v_and_b32_e32 v61, v61, v5
	v_lshlrev_b32_e32 v5, 29, v60
	v_cmp_gt_i64_e32 vcc, 0, v[4:5]
	v_not_b32_e32 v5, v5
	v_ashrrev_i32_e32 v5, 31, v5
	v_and_b32_e32 v206, v206, v207
	v_xor_b32_e32 v207, vcc_hi, v5
	v_xor_b32_e32 v5, vcc_lo, v5
	v_and_b32_e32 v61, v61, v5
	v_lshlrev_b32_e32 v5, 28, v60
	v_cmp_gt_i64_e32 vcc, 0, v[4:5]
	v_not_b32_e32 v5, v5
	v_ashrrev_i32_e32 v5, 31, v5
	v_and_b32_e32 v206, v206, v207
	;; [unrolled: 8-line block ×5, first 2 shown]
	v_xor_b32_e32 v207, vcc_hi, v5
	v_xor_b32_e32 v5, vcc_lo, v5
	v_and_b32_e32 v206, v206, v207
	v_and_b32_e32 v207, v61, v5
	v_lshlrev_b32_e32 v5, 24, v60
	v_cmp_gt_i64_e32 vcc, 0, v[4:5]
	v_not_b32_e32 v5, v5
	v_ashrrev_i32_e32 v5, 31, v5
	v_xor_b32_e32 v60, vcc_hi, v5
	v_xor_b32_e32 v5, vcc_lo, v5
	v_and_b32_e32 v61, v206, v60
	v_and_b32_e32 v60, v207, v5
	v_mbcnt_lo_u32_b32 v5, v60, 0
	v_mbcnt_hi_u32_b32 v207, v61, v5
	v_cmp_eq_u32_e32 vcc, 0, v207
	v_cmp_ne_u64_e64 s[36:37], 0, v[60:61]
	s_and_b64 s[38:39], s[36:37], vcc
	; wave barrier
	s_and_saveexec_b64 s[36:37], s[38:39]
	s_cbranch_execz .LBB632_170
; %bb.169:                              ;   in Loop: Header=BB632_106 Depth=2
	v_bcnt_u32_b32 v5, v60, 0
	v_bcnt_u32_b32 v5, v61, v5
	s_waitcnt lgkmcnt(0)
	v_add_u32_e32 v5, v205, v5
	ds_write_b32 v158, v5
.LBB632_170:                            ;   in Loop: Header=BB632_106 Depth=2
	s_or_b64 exec, exec, s[36:37]
	s_waitcnt vmcnt(0)
	v_xor_b32_e32 v206, 0x80000000, v62
	v_lshrrev_b32_e32 v5, s93, v206
	v_and_b32_e32 v60, s94, v5
	v_mul_u32_u24_e32 v5, 5, v60
	v_add_lshl_u32 v5, v5, v150, 2
	; wave barrier
	v_add_u32_e32 v209, 0x410, v5
	ds_read_b32 v208, v5 offset:1040
	v_and_b32_e32 v5, 1, v60
	v_add_co_u32_e32 v61, vcc, -1, v5
	v_addc_co_u32_e64 v62, s[36:37], 0, -1, vcc
	v_cmp_ne_u32_e32 vcc, 0, v5
	v_xor_b32_e32 v5, vcc_hi, v62
	v_and_b32_e32 v62, exec_hi, v5
	v_lshlrev_b32_e32 v5, 30, v60
	v_xor_b32_e32 v61, vcc_lo, v61
	v_cmp_gt_i64_e32 vcc, 0, v[4:5]
	v_not_b32_e32 v5, v5
	v_ashrrev_i32_e32 v5, 31, v5
	v_and_b32_e32 v61, exec_lo, v61
	v_xor_b32_e32 v210, vcc_hi, v5
	v_xor_b32_e32 v5, vcc_lo, v5
	v_and_b32_e32 v61, v61, v5
	v_lshlrev_b32_e32 v5, 29, v60
	v_cmp_gt_i64_e32 vcc, 0, v[4:5]
	v_not_b32_e32 v5, v5
	v_ashrrev_i32_e32 v5, 31, v5
	v_and_b32_e32 v62, v62, v210
	v_xor_b32_e32 v210, vcc_hi, v5
	v_xor_b32_e32 v5, vcc_lo, v5
	v_and_b32_e32 v61, v61, v5
	v_lshlrev_b32_e32 v5, 28, v60
	v_cmp_gt_i64_e32 vcc, 0, v[4:5]
	v_not_b32_e32 v5, v5
	v_ashrrev_i32_e32 v5, 31, v5
	v_and_b32_e32 v62, v62, v210
	;; [unrolled: 8-line block ×5, first 2 shown]
	v_xor_b32_e32 v210, vcc_hi, v5
	v_xor_b32_e32 v5, vcc_lo, v5
	v_and_b32_e32 v62, v62, v210
	v_and_b32_e32 v210, v61, v5
	v_lshlrev_b32_e32 v5, 24, v60
	v_cmp_gt_i64_e32 vcc, 0, v[4:5]
	v_not_b32_e32 v5, v5
	v_ashrrev_i32_e32 v5, 31, v5
	v_xor_b32_e32 v60, vcc_hi, v5
	v_xor_b32_e32 v5, vcc_lo, v5
	v_and_b32_e32 v61, v62, v60
	v_and_b32_e32 v60, v210, v5
	v_mbcnt_lo_u32_b32 v5, v60, 0
	v_mbcnt_hi_u32_b32 v211, v61, v5
	v_cmp_eq_u32_e32 vcc, 0, v211
	v_cmp_ne_u64_e64 s[36:37], 0, v[60:61]
	s_and_b64 s[38:39], s[36:37], vcc
	; wave barrier
	s_and_saveexec_b64 s[36:37], s[38:39]
	s_cbranch_execz .LBB632_172
; %bb.171:                              ;   in Loop: Header=BB632_106 Depth=2
	v_bcnt_u32_b32 v5, v60, 0
	v_bcnt_u32_b32 v5, v61, v5
	s_waitcnt lgkmcnt(0)
	v_add_u32_e32 v5, v208, v5
	ds_write_b32 v209, v5
.LBB632_172:                            ;   in Loop: Header=BB632_106 Depth=2
	s_or_b64 exec, exec, s[36:37]
	v_xor_b32_e32 v210, 0x80000000, v63
	v_lshrrev_b32_e32 v5, s93, v210
	v_and_b32_e32 v60, s94, v5
	v_mul_u32_u24_e32 v5, 5, v60
	v_add_lshl_u32 v5, v5, v150, 2
	; wave barrier
	v_add_u32_e32 v213, 0x410, v5
	ds_read_b32 v212, v5 offset:1040
	v_and_b32_e32 v5, 1, v60
	v_add_co_u32_e32 v61, vcc, -1, v5
	v_addc_co_u32_e64 v62, s[36:37], 0, -1, vcc
	v_cmp_ne_u32_e32 vcc, 0, v5
	v_xor_b32_e32 v5, vcc_hi, v62
	v_and_b32_e32 v62, exec_hi, v5
	v_lshlrev_b32_e32 v5, 30, v60
	v_xor_b32_e32 v61, vcc_lo, v61
	v_cmp_gt_i64_e32 vcc, 0, v[4:5]
	v_not_b32_e32 v5, v5
	v_ashrrev_i32_e32 v5, 31, v5
	v_and_b32_e32 v61, exec_lo, v61
	v_xor_b32_e32 v63, vcc_hi, v5
	v_xor_b32_e32 v5, vcc_lo, v5
	v_and_b32_e32 v61, v61, v5
	v_lshlrev_b32_e32 v5, 29, v60
	v_cmp_gt_i64_e32 vcc, 0, v[4:5]
	v_not_b32_e32 v5, v5
	v_ashrrev_i32_e32 v5, 31, v5
	v_and_b32_e32 v62, v62, v63
	v_xor_b32_e32 v63, vcc_hi, v5
	v_xor_b32_e32 v5, vcc_lo, v5
	v_and_b32_e32 v61, v61, v5
	v_lshlrev_b32_e32 v5, 28, v60
	v_cmp_gt_i64_e32 vcc, 0, v[4:5]
	v_not_b32_e32 v5, v5
	v_ashrrev_i32_e32 v5, 31, v5
	v_and_b32_e32 v62, v62, v63
	;; [unrolled: 8-line block ×5, first 2 shown]
	v_xor_b32_e32 v63, vcc_hi, v5
	v_xor_b32_e32 v5, vcc_lo, v5
	v_and_b32_e32 v62, v62, v63
	v_and_b32_e32 v63, v61, v5
	v_lshlrev_b32_e32 v5, 24, v60
	v_cmp_gt_i64_e32 vcc, 0, v[4:5]
	v_not_b32_e32 v5, v5
	v_ashrrev_i32_e32 v5, 31, v5
	v_xor_b32_e32 v60, vcc_hi, v5
	v_xor_b32_e32 v5, vcc_lo, v5
	v_and_b32_e32 v61, v62, v60
	v_and_b32_e32 v60, v63, v5
	v_mbcnt_lo_u32_b32 v5, v60, 0
	v_mbcnt_hi_u32_b32 v214, v61, v5
	v_cmp_eq_u32_e32 vcc, 0, v214
	v_cmp_ne_u64_e64 s[36:37], 0, v[60:61]
	s_and_b64 s[38:39], s[36:37], vcc
	; wave barrier
	s_and_saveexec_b64 s[36:37], s[38:39]
	s_cbranch_execz .LBB632_174
; %bb.173:                              ;   in Loop: Header=BB632_106 Depth=2
	v_bcnt_u32_b32 v5, v60, 0
	v_bcnt_u32_b32 v5, v61, v5
	s_waitcnt lgkmcnt(0)
	v_add_u32_e32 v5, v212, v5
	ds_write_b32 v213, v5
.LBB632_174:                            ;   in Loop: Header=BB632_106 Depth=2
	s_or_b64 exec, exec, s[36:37]
	; wave barrier
	s_waitcnt lgkmcnt(0)
	s_barrier
	ds_read_b32 v5, v64 offset:1040
	ds_read2_b32 v[62:63], v66 offset0:1 offset1:2
	ds_read2_b32 v[60:61], v66 offset0:3 offset1:4
	s_waitcnt lgkmcnt(1)
	v_add3_u32 v215, v62, v5, v63
	s_waitcnt lgkmcnt(0)
	v_add3_u32 v61, v215, v60, v61
	s_nop 1
	v_mov_b32_dpp v215, v61 row_shr:1 row_mask:0xf bank_mask:0xf
	v_cndmask_b32_e64 v215, v215, 0, s[16:17]
	v_add_u32_e32 v61, v215, v61
	s_nop 1
	v_mov_b32_dpp v215, v61 row_shr:2 row_mask:0xf bank_mask:0xf
	v_cndmask_b32_e64 v215, 0, v215, s[18:19]
	v_add_u32_e32 v61, v61, v215
	;; [unrolled: 4-line block ×4, first 2 shown]
	s_nop 1
	v_mov_b32_dpp v215, v61 row_bcast:15 row_mask:0xf bank_mask:0xf
	v_cndmask_b32_e64 v215, v215, 0, s[24:25]
	v_add_u32_e32 v61, v61, v215
	s_nop 1
	v_mov_b32_dpp v215, v61 row_bcast:31 row_mask:0xf bank_mask:0xf
	v_cndmask_b32_e64 v215, 0, v215, s[26:27]
	v_add_u32_e32 v61, v61, v215
	s_and_saveexec_b64 s[36:37], s[6:7]
	s_cbranch_execz .LBB632_176
; %bb.175:                              ;   in Loop: Header=BB632_106 Depth=2
	ds_write_b32 v19, v61 offset:1024
.LBB632_176:                            ;   in Loop: Header=BB632_106 Depth=2
	s_or_b64 exec, exec, s[36:37]
	s_waitcnt lgkmcnt(0)
	s_barrier
	s_and_saveexec_b64 s[36:37], s[8:9]
	s_cbranch_execz .LBB632_178
; %bb.177:                              ;   in Loop: Header=BB632_106 Depth=2
	v_add_u32_e32 v215, v64, v67
	ds_read_b32 v216, v215 offset:1024
	s_waitcnt lgkmcnt(0)
	s_nop 0
	v_mov_b32_dpp v217, v216 row_shr:1 row_mask:0xf bank_mask:0xf
	v_cndmask_b32_e64 v217, v217, 0, s[30:31]
	v_add_u32_e32 v216, v217, v216
	s_nop 1
	v_mov_b32_dpp v217, v216 row_shr:2 row_mask:0xf bank_mask:0xf
	v_cndmask_b32_e64 v217, 0, v217, s[34:35]
	v_add_u32_e32 v216, v216, v217
	ds_write_b32 v215, v216 offset:1024
.LBB632_178:                            ;   in Loop: Header=BB632_106 Depth=2
	s_or_b64 exec, exec, s[36:37]
	v_mov_b32_e32 v215, 0
	s_waitcnt lgkmcnt(0)
	s_barrier
	s_and_saveexec_b64 s[36:37], s[10:11]
	s_cbranch_execz .LBB632_180
; %bb.179:                              ;   in Loop: Header=BB632_106 Depth=2
	ds_read_b32 v215, v19 offset:1020
.LBB632_180:                            ;   in Loop: Header=BB632_106 Depth=2
	s_or_b64 exec, exec, s[36:37]
	s_waitcnt lgkmcnt(0)
	v_add_u32_e32 v61, v215, v61
	ds_bpermute_b32 v61, v127, v61
	s_waitcnt lgkmcnt(0)
	v_cndmask_b32_e64 v61, v61, v215, s[28:29]
	v_cndmask_b32_e64 v61, v61, 0, s[12:13]
	v_add_u32_e32 v5, v61, v5
	ds_write_b32 v64, v61 offset:1040
	v_add_u32_e32 v61, v5, v62
	v_add_u32_e32 v62, v61, v63
	ds_write2_b32 v66, v5, v61 offset0:1 offset1:2
	v_add_u32_e32 v5, v62, v60
	ds_write2_b32 v66, v62, v5 offset0:3 offset1:4
	s_waitcnt lgkmcnt(0)
	s_barrier
	ds_read_b32 v60, v157
	ds_read_b32 v61, v162
	;; [unrolled: 1-line block ×16, first 2 shown]
	ds_read_b32 v158, v64 offset:1040
	v_mov_b32_e32 v5, 0x1000
	s_and_saveexec_b64 s[36:37], s[14:15]
	s_cbranch_execz .LBB632_182
; %bb.181:                              ;   in Loop: Header=BB632_106 Depth=2
	ds_read_b32 v5, v64 offset:1060
.LBB632_182:                            ;   in Loop: Header=BB632_106 Depth=2
	s_or_b64 exec, exec, s[36:37]
	s_waitcnt lgkmcnt(0)
	s_barrier
	s_and_saveexec_b64 s[36:37], s[4:5]
	s_cbranch_execz .LBB632_184
; %bb.183:                              ;   in Loop: Header=BB632_106 Depth=2
	ds_read_b32 v163, v3
	s_waitcnt lgkmcnt(0)
	v_sub_u32_e32 v158, v163, v158
	ds_write_b32 v3, v158
.LBB632_184:                            ;   in Loop: Header=BB632_106 Depth=2
	s_or_b64 exec, exec, s[36:37]
	v_add_u32_e32 v172, v153, v155
	v_add3_u32 v168, v160, v156, v60
	v_lshlrev_b32_e32 v60, 2, v172
	v_add3_u32 v167, v165, v161, v61
	ds_write_b32 v60, v152 offset:1024
	v_lshlrev_b32_e32 v60, 2, v168
	v_add3_u32 v166, v170, v166, v62
	ds_write_b32 v60, v154 offset:1024
	v_lshlrev_b32_e32 v60, 2, v167
	v_add3_u32 v165, v175, v171, v63
	ds_write_b32 v60, v159 offset:1024
	v_lshlrev_b32_e32 v60, 2, v166
	v_add3_u32 v163, v180, v176, v157
	ds_write_b32 v60, v164 offset:1024
	v_lshlrev_b32_e32 v60, 2, v165
	v_add3_u32 v162, v185, v181, v162
	ds_write_b32 v60, v169 offset:1024
	v_lshlrev_b32_e32 v60, 2, v163
	v_add3_u32 v161, v188, v186, v178
	ds_write_b32 v60, v174 offset:1024
	v_lshlrev_b32_e32 v60, 2, v162
	v_add3_u32 v160, v191, v189, v183
	ds_write_b32 v60, v179 offset:1024
	v_lshlrev_b32_e32 v60, 2, v161
	v_add3_u32 v158, v194, v192, v187
	ds_write_b32 v60, v184 offset:1024
	v_lshlrev_b32_e32 v60, 2, v160
	v_add3_u32 v157, v198, v195, v190
	ds_write_b32 v60, v182 offset:1024
	v_lshlrev_b32_e32 v60, 2, v158
	v_add3_u32 v156, v201, v199, v193
	ds_write_b32 v60, v177 offset:1024
	v_lshlrev_b32_e32 v60, 2, v157
	v_add3_u32 v155, v204, v202, v196
	ds_write_b32 v60, v173 offset:1024
	v_lshlrev_b32_e32 v60, 2, v156
	v_add3_u32 v153, v207, v205, v215
	ds_write_b32 v60, v197 offset:1024
	v_lshlrev_b32_e32 v60, 2, v155
	v_add3_u32 v63, v211, v208, v209
	ds_write_b32 v60, v200 offset:1024
	v_lshlrev_b32_e32 v60, 2, v153
	v_add3_u32 v62, v214, v212, v213
	ds_write_b32 v60, v203 offset:1024
	v_lshlrev_b32_e32 v60, 2, v63
	ds_write_b32 v60, v206 offset:1024
	v_lshlrev_b32_e32 v60, 2, v62
	v_cmp_lt_u32_e64 s[36:37], v2, v151
	ds_write_b32 v60, v210 offset:1024
	s_waitcnt lgkmcnt(0)
	s_barrier
	s_and_saveexec_b64 s[38:39], s[36:37]
	s_cbranch_execz .LBB632_200
; %bb.185:                              ;   in Loop: Header=BB632_106 Depth=2
	v_add_u32_e32 v60, v64, v67
	ds_read_b32 v60, v60 offset:1024
	v_mov_b32_e32 v154, s75
	s_waitcnt lgkmcnt(0)
	v_lshrrev_b32_e32 v61, s93, v60
	v_and_b32_e32 v61, s94, v61
	v_lshlrev_b32_e32 v61, 2, v61
	ds_read_b32 v152, v61
	v_mov_b32_e32 v61, v4
	v_xor_b32_e32 v159, 0x80000000, v60
	s_waitcnt lgkmcnt(0)
	v_add_u32_e32 v60, v152, v2
	v_lshlrev_b64 v[60:61], 2, v[60:61]
	v_add_co_u32_e32 v60, vcc, s74, v60
	v_addc_co_u32_e32 v61, vcc, v154, v61, vcc
	global_store_dword v[60:61], v159, off
	s_or_b64 exec, exec, s[38:39]
	v_cmp_lt_u32_e64 s[38:39], v7, v151
	s_and_saveexec_b64 s[40:41], s[38:39]
	s_cbranch_execnz .LBB632_201
.LBB632_186:                            ;   in Loop: Header=BB632_106 Depth=2
	s_or_b64 exec, exec, s[40:41]
	v_cmp_lt_u32_e64 s[40:41], v9, v151
	s_and_saveexec_b64 s[42:43], s[40:41]
	s_cbranch_execz .LBB632_202
.LBB632_187:                            ;   in Loop: Header=BB632_106 Depth=2
	ds_read_b32 v60, v72 offset:2048
	v_mov_b32_e32 v154, s75
	s_waitcnt lgkmcnt(0)
	v_lshrrev_b32_e32 v61, s93, v60
	v_and_b32_e32 v61, s94, v61
	v_lshlrev_b32_e32 v61, 2, v61
	ds_read_b32 v152, v61
	v_mov_b32_e32 v61, v4
	v_xor_b32_e32 v159, 0x80000000, v60
	s_waitcnt lgkmcnt(0)
	v_add_u32_e32 v60, v152, v9
	v_lshlrev_b64 v[60:61], 2, v[60:61]
	v_add_co_u32_e32 v60, vcc, s74, v60
	v_addc_co_u32_e32 v61, vcc, v154, v61, vcc
	global_store_dword v[60:61], v159, off
	s_or_b64 exec, exec, s[42:43]
	v_cmp_lt_u32_e64 s[42:43], v11, v151
	s_and_saveexec_b64 s[44:45], s[42:43]
	s_cbranch_execnz .LBB632_203
.LBB632_188:                            ;   in Loop: Header=BB632_106 Depth=2
	s_or_b64 exec, exec, s[44:45]
	v_cmp_lt_u32_e64 s[44:45], v6, v151
	s_and_saveexec_b64 s[46:47], s[44:45]
	s_cbranch_execz .LBB632_204
.LBB632_189:                            ;   in Loop: Header=BB632_106 Depth=2
	ds_read_b32 v60, v72 offset:4096
	v_mov_b32_e32 v154, s75
	s_waitcnt lgkmcnt(0)
	v_lshrrev_b32_e32 v61, s93, v60
	v_and_b32_e32 v61, s94, v61
	v_lshlrev_b32_e32 v61, 2, v61
	ds_read_b32 v152, v61
	v_mov_b32_e32 v61, v4
	v_xor_b32_e32 v159, 0x80000000, v60
	s_waitcnt lgkmcnt(0)
	v_add_u32_e32 v60, v152, v6
	v_lshlrev_b64 v[60:61], 2, v[60:61]
	v_add_co_u32_e32 v60, vcc, s74, v60
	v_addc_co_u32_e32 v61, vcc, v154, v61, vcc
	global_store_dword v[60:61], v159, off
	s_or_b64 exec, exec, s[46:47]
	v_cmp_lt_u32_e64 s[46:47], v8, v151
	s_and_saveexec_b64 s[48:49], s[46:47]
	s_cbranch_execnz .LBB632_205
.LBB632_190:                            ;   in Loop: Header=BB632_106 Depth=2
	s_or_b64 exec, exec, s[48:49]
	v_cmp_lt_u32_e64 s[48:49], v10, v151
	s_and_saveexec_b64 s[50:51], s[48:49]
	s_cbranch_execz .LBB632_206
.LBB632_191:                            ;   in Loop: Header=BB632_106 Depth=2
	ds_read_b32 v60, v72 offset:6144
	v_mov_b32_e32 v154, s75
	s_waitcnt lgkmcnt(0)
	v_lshrrev_b32_e32 v61, s93, v60
	v_and_b32_e32 v61, s94, v61
	v_lshlrev_b32_e32 v61, 2, v61
	ds_read_b32 v152, v61
	v_mov_b32_e32 v61, v4
	v_xor_b32_e32 v159, 0x80000000, v60
	s_waitcnt lgkmcnt(0)
	v_add_u32_e32 v60, v152, v10
	v_lshlrev_b64 v[60:61], 2, v[60:61]
	v_add_co_u32_e32 v60, vcc, s74, v60
	v_addc_co_u32_e32 v61, vcc, v154, v61, vcc
	global_store_dword v[60:61], v159, off
	s_or_b64 exec, exec, s[50:51]
	v_cmp_lt_u32_e64 s[50:51], v12, v151
	s_and_saveexec_b64 s[52:53], s[50:51]
	s_cbranch_execnz .LBB632_207
.LBB632_192:                            ;   in Loop: Header=BB632_106 Depth=2
	s_or_b64 exec, exec, s[52:53]
	v_cmp_lt_u32_e64 s[52:53], v14, v151
	s_and_saveexec_b64 s[54:55], s[52:53]
	s_cbranch_execz .LBB632_208
.LBB632_193:                            ;   in Loop: Header=BB632_106 Depth=2
	ds_read_b32 v60, v72 offset:8192
	v_mov_b32_e32 v154, s75
	s_waitcnt lgkmcnt(0)
	v_lshrrev_b32_e32 v61, s93, v60
	v_and_b32_e32 v61, s94, v61
	v_lshlrev_b32_e32 v61, 2, v61
	ds_read_b32 v152, v61
	v_mov_b32_e32 v61, v4
	v_xor_b32_e32 v159, 0x80000000, v60
	s_waitcnt lgkmcnt(0)
	v_add_u32_e32 v60, v152, v14
	v_lshlrev_b64 v[60:61], 2, v[60:61]
	v_add_co_u32_e32 v60, vcc, s74, v60
	v_addc_co_u32_e32 v61, vcc, v154, v61, vcc
	global_store_dword v[60:61], v159, off
	s_or_b64 exec, exec, s[54:55]
	v_cmp_lt_u32_e64 s[54:55], v16, v151
	s_and_saveexec_b64 s[56:57], s[54:55]
	s_cbranch_execnz .LBB632_209
.LBB632_194:                            ;   in Loop: Header=BB632_106 Depth=2
	s_or_b64 exec, exec, s[56:57]
	v_cmp_lt_u32_e64 s[56:57], v18, v151
	s_and_saveexec_b64 s[58:59], s[56:57]
	s_cbranch_execz .LBB632_210
.LBB632_195:                            ;   in Loop: Header=BB632_106 Depth=2
	ds_read_b32 v60, v72 offset:10240
	v_mov_b32_e32 v154, s75
	s_waitcnt lgkmcnt(0)
	v_lshrrev_b32_e32 v61, s93, v60
	v_and_b32_e32 v61, s94, v61
	v_lshlrev_b32_e32 v61, 2, v61
	ds_read_b32 v152, v61
	v_mov_b32_e32 v61, v4
	v_xor_b32_e32 v159, 0x80000000, v60
	s_waitcnt lgkmcnt(0)
	v_add_u32_e32 v60, v152, v18
	v_lshlrev_b64 v[60:61], 2, v[60:61]
	v_add_co_u32_e32 v60, vcc, s74, v60
	v_addc_co_u32_e32 v61, vcc, v154, v61, vcc
	global_store_dword v[60:61], v159, off
	s_or_b64 exec, exec, s[58:59]
	v_cmp_lt_u32_e64 s[58:59], v20, v151
	s_and_saveexec_b64 s[60:61], s[58:59]
	s_cbranch_execnz .LBB632_211
.LBB632_196:                            ;   in Loop: Header=BB632_106 Depth=2
	s_or_b64 exec, exec, s[60:61]
	v_cmp_lt_u32_e64 s[60:61], v22, v151
	s_and_saveexec_b64 s[62:63], s[60:61]
	s_cbranch_execz .LBB632_212
.LBB632_197:                            ;   in Loop: Header=BB632_106 Depth=2
	ds_read_b32 v60, v72 offset:12288
	v_mov_b32_e32 v154, s75
	s_waitcnt lgkmcnt(0)
	v_lshrrev_b32_e32 v61, s93, v60
	v_and_b32_e32 v61, s94, v61
	v_lshlrev_b32_e32 v61, 2, v61
	ds_read_b32 v152, v61
	v_mov_b32_e32 v61, v4
	v_xor_b32_e32 v159, 0x80000000, v60
	s_waitcnt lgkmcnt(0)
	v_add_u32_e32 v60, v152, v22
	v_lshlrev_b64 v[60:61], 2, v[60:61]
	v_add_co_u32_e32 v60, vcc, s74, v60
	v_addc_co_u32_e32 v61, vcc, v154, v61, vcc
	global_store_dword v[60:61], v159, off
	s_or_b64 exec, exec, s[62:63]
	v_cmp_lt_u32_e64 s[62:63], v24, v151
	s_and_saveexec_b64 s[64:65], s[62:63]
	s_cbranch_execnz .LBB632_213
.LBB632_198:                            ;   in Loop: Header=BB632_106 Depth=2
	s_or_b64 exec, exec, s[64:65]
	v_cmp_lt_u32_e64 s[64:65], v26, v151
	s_and_saveexec_b64 s[66:67], s[64:65]
	s_cbranch_execz .LBB632_214
.LBB632_199:                            ;   in Loop: Header=BB632_106 Depth=2
	ds_read_b32 v60, v72 offset:14336
	v_mov_b32_e32 v154, s75
	s_waitcnt lgkmcnt(0)
	v_lshrrev_b32_e32 v61, s93, v60
	v_and_b32_e32 v61, s94, v61
	v_lshlrev_b32_e32 v61, 2, v61
	ds_read_b32 v152, v61
	v_mov_b32_e32 v61, v4
	v_xor_b32_e32 v159, 0x80000000, v60
	s_waitcnt lgkmcnt(0)
	v_add_u32_e32 v60, v152, v26
	v_lshlrev_b64 v[60:61], 2, v[60:61]
	v_add_co_u32_e32 v60, vcc, s74, v60
	v_addc_co_u32_e32 v61, vcc, v154, v61, vcc
	global_store_dword v[60:61], v159, off
	s_or_b64 exec, exec, s[66:67]
	v_cmp_lt_u32_e64 s[66:67], v28, v151
	s_and_saveexec_b64 s[78:79], s[66:67]
	s_cbranch_execnz .LBB632_215
	s_branch .LBB632_216
.LBB632_200:                            ;   in Loop: Header=BB632_106 Depth=2
	s_or_b64 exec, exec, s[38:39]
	v_cmp_lt_u32_e64 s[38:39], v7, v151
	s_and_saveexec_b64 s[40:41], s[38:39]
	s_cbranch_execz .LBB632_186
.LBB632_201:                            ;   in Loop: Header=BB632_106 Depth=2
	ds_read_b32 v60, v72 offset:1024
	v_mov_b32_e32 v154, s75
	s_waitcnt lgkmcnt(0)
	v_lshrrev_b32_e32 v61, s93, v60
	v_and_b32_e32 v61, s94, v61
	v_lshlrev_b32_e32 v61, 2, v61
	ds_read_b32 v152, v61
	v_mov_b32_e32 v61, v4
	v_xor_b32_e32 v159, 0x80000000, v60
	s_waitcnt lgkmcnt(0)
	v_add_u32_e32 v60, v152, v7
	v_lshlrev_b64 v[60:61], 2, v[60:61]
	v_add_co_u32_e32 v60, vcc, s74, v60
	v_addc_co_u32_e32 v61, vcc, v154, v61, vcc
	global_store_dword v[60:61], v159, off
	s_or_b64 exec, exec, s[40:41]
	v_cmp_lt_u32_e64 s[40:41], v9, v151
	s_and_saveexec_b64 s[42:43], s[40:41]
	s_cbranch_execnz .LBB632_187
.LBB632_202:                            ;   in Loop: Header=BB632_106 Depth=2
	s_or_b64 exec, exec, s[42:43]
	v_cmp_lt_u32_e64 s[42:43], v11, v151
	s_and_saveexec_b64 s[44:45], s[42:43]
	s_cbranch_execz .LBB632_188
.LBB632_203:                            ;   in Loop: Header=BB632_106 Depth=2
	ds_read_b32 v60, v72 offset:3072
	v_mov_b32_e32 v154, s75
	s_waitcnt lgkmcnt(0)
	v_lshrrev_b32_e32 v61, s93, v60
	v_and_b32_e32 v61, s94, v61
	v_lshlrev_b32_e32 v61, 2, v61
	ds_read_b32 v152, v61
	v_mov_b32_e32 v61, v4
	v_xor_b32_e32 v159, 0x80000000, v60
	s_waitcnt lgkmcnt(0)
	v_add_u32_e32 v60, v152, v11
	v_lshlrev_b64 v[60:61], 2, v[60:61]
	v_add_co_u32_e32 v60, vcc, s74, v60
	v_addc_co_u32_e32 v61, vcc, v154, v61, vcc
	global_store_dword v[60:61], v159, off
	s_or_b64 exec, exec, s[44:45]
	v_cmp_lt_u32_e64 s[44:45], v6, v151
	s_and_saveexec_b64 s[46:47], s[44:45]
	s_cbranch_execnz .LBB632_189
.LBB632_204:                            ;   in Loop: Header=BB632_106 Depth=2
	s_or_b64 exec, exec, s[46:47]
	v_cmp_lt_u32_e64 s[46:47], v8, v151
	s_and_saveexec_b64 s[48:49], s[46:47]
	s_cbranch_execz .LBB632_190
.LBB632_205:                            ;   in Loop: Header=BB632_106 Depth=2
	ds_read_b32 v60, v72 offset:5120
	v_mov_b32_e32 v154, s75
	s_waitcnt lgkmcnt(0)
	v_lshrrev_b32_e32 v61, s93, v60
	v_and_b32_e32 v61, s94, v61
	v_lshlrev_b32_e32 v61, 2, v61
	ds_read_b32 v152, v61
	v_mov_b32_e32 v61, v4
	v_xor_b32_e32 v159, 0x80000000, v60
	s_waitcnt lgkmcnt(0)
	v_add_u32_e32 v60, v152, v8
	v_lshlrev_b64 v[60:61], 2, v[60:61]
	v_add_co_u32_e32 v60, vcc, s74, v60
	v_addc_co_u32_e32 v61, vcc, v154, v61, vcc
	global_store_dword v[60:61], v159, off
	s_or_b64 exec, exec, s[48:49]
	v_cmp_lt_u32_e64 s[48:49], v10, v151
	s_and_saveexec_b64 s[50:51], s[48:49]
	s_cbranch_execnz .LBB632_191
.LBB632_206:                            ;   in Loop: Header=BB632_106 Depth=2
	s_or_b64 exec, exec, s[50:51]
	v_cmp_lt_u32_e64 s[50:51], v12, v151
	s_and_saveexec_b64 s[52:53], s[50:51]
	s_cbranch_execz .LBB632_192
.LBB632_207:                            ;   in Loop: Header=BB632_106 Depth=2
	ds_read_b32 v60, v72 offset:7168
	v_mov_b32_e32 v154, s75
	s_waitcnt lgkmcnt(0)
	v_lshrrev_b32_e32 v61, s93, v60
	v_and_b32_e32 v61, s94, v61
	v_lshlrev_b32_e32 v61, 2, v61
	ds_read_b32 v152, v61
	v_mov_b32_e32 v61, v4
	v_xor_b32_e32 v159, 0x80000000, v60
	s_waitcnt lgkmcnt(0)
	v_add_u32_e32 v60, v152, v12
	v_lshlrev_b64 v[60:61], 2, v[60:61]
	v_add_co_u32_e32 v60, vcc, s74, v60
	v_addc_co_u32_e32 v61, vcc, v154, v61, vcc
	global_store_dword v[60:61], v159, off
	s_or_b64 exec, exec, s[52:53]
	v_cmp_lt_u32_e64 s[52:53], v14, v151
	s_and_saveexec_b64 s[54:55], s[52:53]
	s_cbranch_execnz .LBB632_193
.LBB632_208:                            ;   in Loop: Header=BB632_106 Depth=2
	s_or_b64 exec, exec, s[54:55]
	v_cmp_lt_u32_e64 s[54:55], v16, v151
	s_and_saveexec_b64 s[56:57], s[54:55]
	s_cbranch_execz .LBB632_194
.LBB632_209:                            ;   in Loop: Header=BB632_106 Depth=2
	ds_read_b32 v60, v72 offset:9216
	v_mov_b32_e32 v154, s75
	s_waitcnt lgkmcnt(0)
	v_lshrrev_b32_e32 v61, s93, v60
	v_and_b32_e32 v61, s94, v61
	v_lshlrev_b32_e32 v61, 2, v61
	ds_read_b32 v152, v61
	v_mov_b32_e32 v61, v4
	v_xor_b32_e32 v159, 0x80000000, v60
	s_waitcnt lgkmcnt(0)
	v_add_u32_e32 v60, v152, v16
	v_lshlrev_b64 v[60:61], 2, v[60:61]
	v_add_co_u32_e32 v60, vcc, s74, v60
	v_addc_co_u32_e32 v61, vcc, v154, v61, vcc
	global_store_dword v[60:61], v159, off
	s_or_b64 exec, exec, s[56:57]
	v_cmp_lt_u32_e64 s[56:57], v18, v151
	s_and_saveexec_b64 s[58:59], s[56:57]
	s_cbranch_execnz .LBB632_195
.LBB632_210:                            ;   in Loop: Header=BB632_106 Depth=2
	s_or_b64 exec, exec, s[58:59]
	v_cmp_lt_u32_e64 s[58:59], v20, v151
	s_and_saveexec_b64 s[60:61], s[58:59]
	s_cbranch_execz .LBB632_196
.LBB632_211:                            ;   in Loop: Header=BB632_106 Depth=2
	ds_read_b32 v60, v72 offset:11264
	v_mov_b32_e32 v154, s75
	s_waitcnt lgkmcnt(0)
	v_lshrrev_b32_e32 v61, s93, v60
	v_and_b32_e32 v61, s94, v61
	v_lshlrev_b32_e32 v61, 2, v61
	ds_read_b32 v152, v61
	v_mov_b32_e32 v61, v4
	v_xor_b32_e32 v159, 0x80000000, v60
	s_waitcnt lgkmcnt(0)
	v_add_u32_e32 v60, v152, v20
	v_lshlrev_b64 v[60:61], 2, v[60:61]
	v_add_co_u32_e32 v60, vcc, s74, v60
	v_addc_co_u32_e32 v61, vcc, v154, v61, vcc
	global_store_dword v[60:61], v159, off
	s_or_b64 exec, exec, s[60:61]
	v_cmp_lt_u32_e64 s[60:61], v22, v151
	s_and_saveexec_b64 s[62:63], s[60:61]
	s_cbranch_execnz .LBB632_197
.LBB632_212:                            ;   in Loop: Header=BB632_106 Depth=2
	s_or_b64 exec, exec, s[62:63]
	v_cmp_lt_u32_e64 s[62:63], v24, v151
	s_and_saveexec_b64 s[64:65], s[62:63]
	s_cbranch_execz .LBB632_198
.LBB632_213:                            ;   in Loop: Header=BB632_106 Depth=2
	ds_read_b32 v60, v72 offset:13312
	v_mov_b32_e32 v154, s75
	s_waitcnt lgkmcnt(0)
	v_lshrrev_b32_e32 v61, s93, v60
	v_and_b32_e32 v61, s94, v61
	v_lshlrev_b32_e32 v61, 2, v61
	ds_read_b32 v152, v61
	v_mov_b32_e32 v61, v4
	v_xor_b32_e32 v159, 0x80000000, v60
	s_waitcnt lgkmcnt(0)
	v_add_u32_e32 v60, v152, v24
	v_lshlrev_b64 v[60:61], 2, v[60:61]
	v_add_co_u32_e32 v60, vcc, s74, v60
	v_addc_co_u32_e32 v61, vcc, v154, v61, vcc
	global_store_dword v[60:61], v159, off
	s_or_b64 exec, exec, s[64:65]
	v_cmp_lt_u32_e64 s[64:65], v26, v151
	s_and_saveexec_b64 s[66:67], s[64:65]
	s_cbranch_execnz .LBB632_199
.LBB632_214:                            ;   in Loop: Header=BB632_106 Depth=2
	s_or_b64 exec, exec, s[66:67]
	v_cmp_lt_u32_e64 s[66:67], v28, v151
	s_and_saveexec_b64 s[78:79], s[66:67]
	s_cbranch_execz .LBB632_216
.LBB632_215:                            ;   in Loop: Header=BB632_106 Depth=2
	ds_read_b32 v60, v72 offset:15360
	v_mov_b32_e32 v154, s75
	s_waitcnt lgkmcnt(0)
	v_lshrrev_b32_e32 v61, s93, v60
	v_and_b32_e32 v61, s94, v61
	v_lshlrev_b32_e32 v61, 2, v61
	ds_read_b32 v152, v61
	v_mov_b32_e32 v61, v4
	v_xor_b32_e32 v159, 0x80000000, v60
	s_waitcnt lgkmcnt(0)
	v_add_u32_e32 v60, v152, v28
	v_lshlrev_b64 v[60:61], 2, v[60:61]
	v_add_co_u32_e32 v60, vcc, s74, v60
	v_addc_co_u32_e32 v61, vcc, v154, v61, vcc
	global_store_dword v[60:61], v159, off
.LBB632_216:                            ;   in Loop: Header=BB632_106 Depth=2
	s_or_b64 exec, exec, s[78:79]
	s_lshl_b64 s[78:79], s[88:89], 3
	v_mov_b32_e32 v61, s79
	v_add_co_u32_e32 v60, vcc, s78, v128
	v_addc_co_u32_e32 v61, vcc, v129, v61, vcc
	v_cmp_lt_u32_e32 vcc, v109, v151
	s_and_saveexec_b64 s[78:79], vcc
	s_xor_b64 s[78:79], exec, s[78:79]
	s_cbranch_execz .LBB632_248
; %bb.217:                              ;   in Loop: Header=BB632_106 Depth=2
	global_load_dwordx2 v[58:59], v[60:61], off
	s_or_b64 exec, exec, s[78:79]
	v_cmp_lt_u32_e32 vcc, v110, v151
	s_and_saveexec_b64 s[78:79], vcc
	s_cbranch_execnz .LBB632_249
.LBB632_218:                            ;   in Loop: Header=BB632_106 Depth=2
	s_or_b64 exec, exec, s[78:79]
	v_cmp_lt_u32_e32 vcc, v111, v151
	s_and_saveexec_b64 s[78:79], vcc
	s_cbranch_execz .LBB632_250
.LBB632_219:                            ;   in Loop: Header=BB632_106 Depth=2
	global_load_dwordx2 v[54:55], v[60:61], off offset:1024
	s_or_b64 exec, exec, s[78:79]
	v_cmp_lt_u32_e32 vcc, v112, v151
	s_and_saveexec_b64 s[78:79], vcc
	s_cbranch_execnz .LBB632_251
.LBB632_220:                            ;   in Loop: Header=BB632_106 Depth=2
	s_or_b64 exec, exec, s[78:79]
	v_cmp_lt_u32_e32 vcc, v113, v151
	s_and_saveexec_b64 s[78:79], vcc
	s_cbranch_execz .LBB632_252
.LBB632_221:                            ;   in Loop: Header=BB632_106 Depth=2
	global_load_dwordx2 v[46:47], v[60:61], off offset:2048
	s_or_b64 exec, exec, s[78:79]
	v_cmp_lt_u32_e32 vcc, v114, v151
	s_and_saveexec_b64 s[78:79], vcc
	s_cbranch_execnz .LBB632_253
.LBB632_222:                            ;   in Loop: Header=BB632_106 Depth=2
	s_or_b64 exec, exec, s[78:79]
	v_cmp_lt_u32_e32 vcc, v115, v151
	s_and_saveexec_b64 s[78:79], vcc
	s_cbranch_execz .LBB632_254
.LBB632_223:                            ;   in Loop: Header=BB632_106 Depth=2
	global_load_dwordx2 v[38:39], v[60:61], off offset:3072
	s_or_b64 exec, exec, s[78:79]
	v_cmp_lt_u32_e32 vcc, v116, v151
	s_and_saveexec_b64 s[78:79], vcc
	s_cbranch_execnz .LBB632_255
.LBB632_224:                            ;   in Loop: Header=BB632_106 Depth=2
	s_or_b64 exec, exec, s[78:79]
	v_cmp_lt_u32_e32 vcc, v117, v151
	s_and_saveexec_b64 s[78:79], vcc
	s_cbranch_execz .LBB632_256
.LBB632_225:                            ;   in Loop: Header=BB632_106 Depth=2
	v_add_co_u32_e32 v52, vcc, 0x1000, v60
	v_addc_co_u32_e32 v53, vcc, 0, v61, vcc
	global_load_dwordx2 v[52:53], v[52:53], off
	s_or_b64 exec, exec, s[78:79]
	v_cmp_lt_u32_e32 vcc, v118, v151
	s_and_saveexec_b64 s[78:79], vcc
	s_cbranch_execnz .LBB632_257
.LBB632_226:                            ;   in Loop: Header=BB632_106 Depth=2
	s_or_b64 exec, exec, s[78:79]
	v_cmp_lt_u32_e32 vcc, v119, v151
	s_and_saveexec_b64 s[78:79], vcc
	s_cbranch_execz .LBB632_258
.LBB632_227:                            ;   in Loop: Header=BB632_106 Depth=2
	v_add_co_u32_e32 v44, vcc, 0x1000, v60
	v_addc_co_u32_e32 v45, vcc, 0, v61, vcc
	global_load_dwordx2 v[44:45], v[44:45], off offset:1024
	s_or_b64 exec, exec, s[78:79]
	v_cmp_lt_u32_e32 vcc, v120, v151
	s_and_saveexec_b64 s[78:79], vcc
	s_cbranch_execnz .LBB632_259
.LBB632_228:                            ;   in Loop: Header=BB632_106 Depth=2
	s_or_b64 exec, exec, s[78:79]
	v_cmp_lt_u32_e32 vcc, v121, v151
	s_and_saveexec_b64 s[78:79], vcc
	s_cbranch_execz .LBB632_260
.LBB632_229:                            ;   in Loop: Header=BB632_106 Depth=2
	v_add_co_u32_e32 v36, vcc, 0x1000, v60
	v_addc_co_u32_e32 v37, vcc, 0, v61, vcc
	global_load_dwordx2 v[36:37], v[36:37], off offset:2048
	s_or_b64 exec, exec, s[78:79]
	v_cmp_lt_u32_e32 vcc, v122, v151
	s_and_saveexec_b64 s[78:79], vcc
	s_cbranch_execnz .LBB632_261
.LBB632_230:                            ;   in Loop: Header=BB632_106 Depth=2
	s_or_b64 exec, exec, s[78:79]
	v_cmp_lt_u32_e32 vcc, v123, v151
	s_and_saveexec_b64 s[78:79], vcc
	s_cbranch_execz .LBB632_262
.LBB632_231:                            ;   in Loop: Header=BB632_106 Depth=2
	v_add_co_u32_e32 v30, vcc, 0x1000, v60
	v_addc_co_u32_e32 v31, vcc, 0, v61, vcc
	global_load_dwordx2 v[30:31], v[30:31], off offset:3072
	s_or_b64 exec, exec, s[78:79]
	v_cmp_lt_u32_e32 vcc, v124, v151
	s_and_saveexec_b64 s[78:79], vcc
	s_cbranch_execnz .LBB632_263
.LBB632_232:                            ;   in Loop: Header=BB632_106 Depth=2
	s_or_b64 exec, exec, s[78:79]
	s_and_saveexec_b64 s[78:79], s[36:37]
	s_cbranch_execz .LBB632_264
.LBB632_233:                            ;   in Loop: Header=BB632_106 Depth=2
	v_add_u32_e32 v60, v64, v67
	ds_read_b32 v60, v60 offset:1024
	s_waitcnt lgkmcnt(0)
	v_lshrrev_b32_e32 v60, s93, v60
	v_and_b32_e32 v149, s94, v60
	s_or_b64 exec, exec, s[78:79]
	s_and_saveexec_b64 s[78:79], s[38:39]
	s_cbranch_execnz .LBB632_265
.LBB632_234:                            ;   in Loop: Header=BB632_106 Depth=2
	s_or_b64 exec, exec, s[78:79]
	s_and_saveexec_b64 s[78:79], s[40:41]
	s_cbranch_execz .LBB632_266
.LBB632_235:                            ;   in Loop: Header=BB632_106 Depth=2
	ds_read_b32 v60, v72 offset:2048
	s_waitcnt lgkmcnt(0)
	v_lshrrev_b32_e32 v60, s93, v60
	v_and_b32_e32 v146, s94, v60
	s_or_b64 exec, exec, s[78:79]
	s_and_saveexec_b64 s[78:79], s[42:43]
	s_cbranch_execnz .LBB632_267
.LBB632_236:                            ;   in Loop: Header=BB632_106 Depth=2
	s_or_b64 exec, exec, s[78:79]
	s_and_saveexec_b64 s[78:79], s[44:45]
	s_cbranch_execz .LBB632_268
.LBB632_237:                            ;   in Loop: Header=BB632_106 Depth=2
	ds_read_b32 v60, v72 offset:4096
	s_waitcnt lgkmcnt(0)
	v_lshrrev_b32_e32 v60, s93, v60
	v_and_b32_e32 v143, s94, v60
	s_or_b64 exec, exec, s[78:79]
	s_and_saveexec_b64 s[78:79], s[46:47]
	s_cbranch_execnz .LBB632_269
.LBB632_238:                            ;   in Loop: Header=BB632_106 Depth=2
	s_or_b64 exec, exec, s[78:79]
	s_and_saveexec_b64 s[78:79], s[48:49]
	s_cbranch_execz .LBB632_270
.LBB632_239:                            ;   in Loop: Header=BB632_106 Depth=2
	ds_read_b32 v60, v72 offset:6144
	s_waitcnt lgkmcnt(0)
	v_lshrrev_b32_e32 v60, s93, v60
	v_and_b32_e32 v141, s94, v60
	s_or_b64 exec, exec, s[78:79]
	s_and_saveexec_b64 s[78:79], s[50:51]
	s_cbranch_execnz .LBB632_271
.LBB632_240:                            ;   in Loop: Header=BB632_106 Depth=2
	s_or_b64 exec, exec, s[78:79]
	s_and_saveexec_b64 s[78:79], s[52:53]
	s_cbranch_execz .LBB632_272
.LBB632_241:                            ;   in Loop: Header=BB632_106 Depth=2
	ds_read_b32 v60, v72 offset:8192
	s_waitcnt lgkmcnt(0)
	v_lshrrev_b32_e32 v60, s93, v60
	v_and_b32_e32 v139, s94, v60
	s_or_b64 exec, exec, s[78:79]
	s_and_saveexec_b64 s[78:79], s[54:55]
	s_cbranch_execnz .LBB632_273
.LBB632_242:                            ;   in Loop: Header=BB632_106 Depth=2
	s_or_b64 exec, exec, s[78:79]
	s_and_saveexec_b64 s[78:79], s[56:57]
	s_cbranch_execz .LBB632_274
.LBB632_243:                            ;   in Loop: Header=BB632_106 Depth=2
	ds_read_b32 v60, v72 offset:10240
	s_waitcnt lgkmcnt(0)
	v_lshrrev_b32_e32 v60, s93, v60
	v_and_b32_e32 v137, s94, v60
	s_or_b64 exec, exec, s[78:79]
	s_and_saveexec_b64 s[78:79], s[58:59]
	s_cbranch_execnz .LBB632_275
.LBB632_244:                            ;   in Loop: Header=BB632_106 Depth=2
	s_or_b64 exec, exec, s[78:79]
	s_and_saveexec_b64 s[78:79], s[60:61]
	s_cbranch_execz .LBB632_276
.LBB632_245:                            ;   in Loop: Header=BB632_106 Depth=2
	ds_read_b32 v60, v72 offset:12288
	s_waitcnt lgkmcnt(0)
	v_lshrrev_b32_e32 v60, s93, v60
	v_and_b32_e32 v135, s94, v60
	s_or_b64 exec, exec, s[78:79]
	s_and_saveexec_b64 s[78:79], s[62:63]
	s_cbranch_execnz .LBB632_277
.LBB632_246:                            ;   in Loop: Header=BB632_106 Depth=2
	s_or_b64 exec, exec, s[78:79]
	s_and_saveexec_b64 s[78:79], s[64:65]
	s_cbranch_execz .LBB632_278
.LBB632_247:                            ;   in Loop: Header=BB632_106 Depth=2
	ds_read_b32 v60, v72 offset:14336
	s_waitcnt lgkmcnt(0)
	v_lshrrev_b32_e32 v60, s93, v60
	v_and_b32_e32 v133, s94, v60
	s_or_b64 exec, exec, s[78:79]
	s_and_saveexec_b64 s[78:79], s[66:67]
	s_cbranch_execnz .LBB632_279
	s_branch .LBB632_280
.LBB632_248:                            ;   in Loop: Header=BB632_106 Depth=2
	s_or_b64 exec, exec, s[78:79]
	v_cmp_lt_u32_e32 vcc, v110, v151
	s_and_saveexec_b64 s[78:79], vcc
	s_cbranch_execz .LBB632_218
.LBB632_249:                            ;   in Loop: Header=BB632_106 Depth=2
	global_load_dwordx2 v[56:57], v[60:61], off offset:512
	s_or_b64 exec, exec, s[78:79]
	v_cmp_lt_u32_e32 vcc, v111, v151
	s_and_saveexec_b64 s[78:79], vcc
	s_cbranch_execnz .LBB632_219
.LBB632_250:                            ;   in Loop: Header=BB632_106 Depth=2
	s_or_b64 exec, exec, s[78:79]
	v_cmp_lt_u32_e32 vcc, v112, v151
	s_and_saveexec_b64 s[78:79], vcc
	s_cbranch_execz .LBB632_220
.LBB632_251:                            ;   in Loop: Header=BB632_106 Depth=2
	global_load_dwordx2 v[50:51], v[60:61], off offset:1536
	s_or_b64 exec, exec, s[78:79]
	v_cmp_lt_u32_e32 vcc, v113, v151
	s_and_saveexec_b64 s[78:79], vcc
	s_cbranch_execnz .LBB632_221
.LBB632_252:                            ;   in Loop: Header=BB632_106 Depth=2
	s_or_b64 exec, exec, s[78:79]
	v_cmp_lt_u32_e32 vcc, v114, v151
	s_and_saveexec_b64 s[78:79], vcc
	s_cbranch_execz .LBB632_222
.LBB632_253:                            ;   in Loop: Header=BB632_106 Depth=2
	global_load_dwordx2 v[42:43], v[60:61], off offset:2560
	s_or_b64 exec, exec, s[78:79]
	v_cmp_lt_u32_e32 vcc, v115, v151
	s_and_saveexec_b64 s[78:79], vcc
	s_cbranch_execnz .LBB632_223
.LBB632_254:                            ;   in Loop: Header=BB632_106 Depth=2
	s_or_b64 exec, exec, s[78:79]
	v_cmp_lt_u32_e32 vcc, v116, v151
	s_and_saveexec_b64 s[78:79], vcc
	s_cbranch_execz .LBB632_224
.LBB632_255:                            ;   in Loop: Header=BB632_106 Depth=2
	global_load_dwordx2 v[34:35], v[60:61], off offset:3584
	s_or_b64 exec, exec, s[78:79]
	v_cmp_lt_u32_e32 vcc, v117, v151
	s_and_saveexec_b64 s[78:79], vcc
	s_cbranch_execnz .LBB632_225
.LBB632_256:                            ;   in Loop: Header=BB632_106 Depth=2
	s_or_b64 exec, exec, s[78:79]
	v_cmp_lt_u32_e32 vcc, v118, v151
	s_and_saveexec_b64 s[78:79], vcc
	s_cbranch_execz .LBB632_226
.LBB632_257:                            ;   in Loop: Header=BB632_106 Depth=2
	v_add_co_u32_e32 v48, vcc, 0x1000, v60
	v_addc_co_u32_e32 v49, vcc, 0, v61, vcc
	global_load_dwordx2 v[48:49], v[48:49], off offset:512
	s_or_b64 exec, exec, s[78:79]
	v_cmp_lt_u32_e32 vcc, v119, v151
	s_and_saveexec_b64 s[78:79], vcc
	s_cbranch_execnz .LBB632_227
.LBB632_258:                            ;   in Loop: Header=BB632_106 Depth=2
	s_or_b64 exec, exec, s[78:79]
	v_cmp_lt_u32_e32 vcc, v120, v151
	s_and_saveexec_b64 s[78:79], vcc
	s_cbranch_execz .LBB632_228
.LBB632_259:                            ;   in Loop: Header=BB632_106 Depth=2
	v_add_co_u32_e32 v40, vcc, 0x1000, v60
	v_addc_co_u32_e32 v41, vcc, 0, v61, vcc
	global_load_dwordx2 v[40:41], v[40:41], off offset:1536
	s_or_b64 exec, exec, s[78:79]
	v_cmp_lt_u32_e32 vcc, v121, v151
	s_and_saveexec_b64 s[78:79], vcc
	s_cbranch_execnz .LBB632_229
.LBB632_260:                            ;   in Loop: Header=BB632_106 Depth=2
	s_or_b64 exec, exec, s[78:79]
	v_cmp_lt_u32_e32 vcc, v122, v151
	s_and_saveexec_b64 s[78:79], vcc
	s_cbranch_execz .LBB632_230
.LBB632_261:                            ;   in Loop: Header=BB632_106 Depth=2
	v_add_co_u32_e32 v32, vcc, 0x1000, v60
	v_addc_co_u32_e32 v33, vcc, 0, v61, vcc
	global_load_dwordx2 v[32:33], v[32:33], off offset:2560
	s_or_b64 exec, exec, s[78:79]
	v_cmp_lt_u32_e32 vcc, v123, v151
	s_and_saveexec_b64 s[78:79], vcc
	s_cbranch_execnz .LBB632_231
.LBB632_262:                            ;   in Loop: Header=BB632_106 Depth=2
	s_or_b64 exec, exec, s[78:79]
	v_cmp_lt_u32_e32 vcc, v124, v151
	s_and_saveexec_b64 s[78:79], vcc
	s_cbranch_execz .LBB632_232
.LBB632_263:                            ;   in Loop: Header=BB632_106 Depth=2
	v_add_co_u32_e32 v0, vcc, 0x1000, v60
	v_addc_co_u32_e32 v1, vcc, 0, v61, vcc
	global_load_dwordx2 v[0:1], v[0:1], off offset:3584
	s_or_b64 exec, exec, s[78:79]
	s_and_saveexec_b64 s[78:79], s[36:37]
	s_cbranch_execnz .LBB632_233
.LBB632_264:                            ;   in Loop: Header=BB632_106 Depth=2
	s_or_b64 exec, exec, s[78:79]
	s_and_saveexec_b64 s[78:79], s[38:39]
	s_cbranch_execz .LBB632_234
.LBB632_265:                            ;   in Loop: Header=BB632_106 Depth=2
	ds_read_b32 v60, v72 offset:1024
	s_waitcnt lgkmcnt(0)
	v_lshrrev_b32_e32 v60, s93, v60
	v_and_b32_e32 v147, s94, v60
	s_or_b64 exec, exec, s[78:79]
	s_and_saveexec_b64 s[78:79], s[40:41]
	s_cbranch_execnz .LBB632_235
.LBB632_266:                            ;   in Loop: Header=BB632_106 Depth=2
	s_or_b64 exec, exec, s[78:79]
	s_and_saveexec_b64 s[78:79], s[42:43]
	s_cbranch_execz .LBB632_236
.LBB632_267:                            ;   in Loop: Header=BB632_106 Depth=2
	ds_read_b32 v60, v72 offset:3072
	s_waitcnt lgkmcnt(0)
	v_lshrrev_b32_e32 v60, s93, v60
	v_and_b32_e32 v144, s94, v60
	s_or_b64 exec, exec, s[78:79]
	s_and_saveexec_b64 s[78:79], s[44:45]
	s_cbranch_execnz .LBB632_237
.LBB632_268:                            ;   in Loop: Header=BB632_106 Depth=2
	s_or_b64 exec, exec, s[78:79]
	s_and_saveexec_b64 s[78:79], s[46:47]
	s_cbranch_execz .LBB632_238
.LBB632_269:                            ;   in Loop: Header=BB632_106 Depth=2
	ds_read_b32 v60, v72 offset:5120
	s_waitcnt lgkmcnt(0)
	v_lshrrev_b32_e32 v60, s93, v60
	v_and_b32_e32 v142, s94, v60
	s_or_b64 exec, exec, s[78:79]
	s_and_saveexec_b64 s[78:79], s[48:49]
	s_cbranch_execnz .LBB632_239
.LBB632_270:                            ;   in Loop: Header=BB632_106 Depth=2
	s_or_b64 exec, exec, s[78:79]
	s_and_saveexec_b64 s[78:79], s[50:51]
	s_cbranch_execz .LBB632_240
.LBB632_271:                            ;   in Loop: Header=BB632_106 Depth=2
	ds_read_b32 v60, v72 offset:7168
	s_waitcnt lgkmcnt(0)
	v_lshrrev_b32_e32 v60, s93, v60
	v_and_b32_e32 v140, s94, v60
	s_or_b64 exec, exec, s[78:79]
	s_and_saveexec_b64 s[78:79], s[52:53]
	s_cbranch_execnz .LBB632_241
.LBB632_272:                            ;   in Loop: Header=BB632_106 Depth=2
	s_or_b64 exec, exec, s[78:79]
	s_and_saveexec_b64 s[78:79], s[54:55]
	s_cbranch_execz .LBB632_242
.LBB632_273:                            ;   in Loop: Header=BB632_106 Depth=2
	ds_read_b32 v60, v72 offset:9216
	s_waitcnt lgkmcnt(0)
	v_lshrrev_b32_e32 v60, s93, v60
	v_and_b32_e32 v138, s94, v60
	s_or_b64 exec, exec, s[78:79]
	s_and_saveexec_b64 s[78:79], s[56:57]
	s_cbranch_execnz .LBB632_243
.LBB632_274:                            ;   in Loop: Header=BB632_106 Depth=2
	s_or_b64 exec, exec, s[78:79]
	s_and_saveexec_b64 s[78:79], s[58:59]
	s_cbranch_execz .LBB632_244
.LBB632_275:                            ;   in Loop: Header=BB632_106 Depth=2
	ds_read_b32 v60, v72 offset:11264
	s_waitcnt lgkmcnt(0)
	v_lshrrev_b32_e32 v60, s93, v60
	v_and_b32_e32 v136, s94, v60
	s_or_b64 exec, exec, s[78:79]
	s_and_saveexec_b64 s[78:79], s[60:61]
	s_cbranch_execnz .LBB632_245
.LBB632_276:                            ;   in Loop: Header=BB632_106 Depth=2
	s_or_b64 exec, exec, s[78:79]
	s_and_saveexec_b64 s[78:79], s[62:63]
	s_cbranch_execz .LBB632_246
.LBB632_277:                            ;   in Loop: Header=BB632_106 Depth=2
	ds_read_b32 v60, v72 offset:13312
	s_waitcnt lgkmcnt(0)
	v_lshrrev_b32_e32 v60, s93, v60
	v_and_b32_e32 v134, s94, v60
	s_or_b64 exec, exec, s[78:79]
	s_and_saveexec_b64 s[78:79], s[64:65]
	s_cbranch_execnz .LBB632_247
.LBB632_278:                            ;   in Loop: Header=BB632_106 Depth=2
	s_or_b64 exec, exec, s[78:79]
	s_and_saveexec_b64 s[78:79], s[66:67]
	s_cbranch_execz .LBB632_280
.LBB632_279:                            ;   in Loop: Header=BB632_106 Depth=2
	ds_read_b32 v60, v72 offset:15360
	s_waitcnt lgkmcnt(0)
	v_lshrrev_b32_e32 v60, s93, v60
	v_and_b32_e32 v132, s94, v60
.LBB632_280:                            ;   in Loop: Header=BB632_106 Depth=2
	s_or_b64 exec, exec, s[78:79]
	v_lshlrev_b32_e32 v60, 3, v172
	s_barrier
	s_waitcnt vmcnt(0)
	ds_write_b64 v60, v[58:59] offset:1024
	v_lshlrev_b32_e32 v60, 3, v168
	ds_write_b64 v60, v[56:57] offset:1024
	v_lshlrev_b32_e32 v60, 3, v167
	;; [unrolled: 2-line block ×15, first 2 shown]
	ds_write_b64 v60, v[0:1] offset:1024
	s_waitcnt lgkmcnt(0)
	s_barrier
	s_and_saveexec_b64 s[78:79], s[36:37]
	s_cbranch_execz .LBB632_296
; %bb.281:                              ;   in Loop: Header=BB632_106 Depth=2
	v_lshlrev_b32_e32 v60, 2, v149
	ds_read_b32 v62, v60
	ds_read_b64 v[60:61], v73 offset:1024
	v_mov_b32_e32 v63, v4
	v_mov_b32_e32 v151, s81
	s_waitcnt lgkmcnt(1)
	v_add_u32_e32 v62, v62, v2
	v_lshlrev_b64 v[62:63], 3, v[62:63]
	v_add_co_u32_e32 v62, vcc, s80, v62
	v_addc_co_u32_e32 v63, vcc, v151, v63, vcc
	s_waitcnt lgkmcnt(0)
	global_store_dwordx2 v[62:63], v[60:61], off
	s_or_b64 exec, exec, s[78:79]
	s_and_saveexec_b64 s[36:37], s[38:39]
	s_cbranch_execnz .LBB632_297
.LBB632_282:                            ;   in Loop: Header=BB632_106 Depth=2
	s_or_b64 exec, exec, s[36:37]
	s_and_saveexec_b64 s[36:37], s[40:41]
	s_cbranch_execz .LBB632_298
.LBB632_283:                            ;   in Loop: Header=BB632_106 Depth=2
	v_lshlrev_b32_e32 v60, 2, v146
	ds_read_b32 v62, v60
	v_add_u32_e32 v60, v72, v3
	ds_read_b64 v[60:61], v60 offset:4096
	v_mov_b32_e32 v63, v4
	v_mov_b32_e32 v151, s81
	s_waitcnt lgkmcnt(1)
	v_add_u32_e32 v62, v62, v9
	v_lshlrev_b64 v[62:63], 3, v[62:63]
	v_add_co_u32_e32 v62, vcc, s80, v62
	v_addc_co_u32_e32 v63, vcc, v151, v63, vcc
	s_waitcnt lgkmcnt(0)
	global_store_dwordx2 v[62:63], v[60:61], off
	s_or_b64 exec, exec, s[36:37]
	s_and_saveexec_b64 s[36:37], s[42:43]
	s_cbranch_execnz .LBB632_299
.LBB632_284:                            ;   in Loop: Header=BB632_106 Depth=2
	s_or_b64 exec, exec, s[36:37]
	s_and_saveexec_b64 s[36:37], s[44:45]
	s_cbranch_execz .LBB632_300
.LBB632_285:                            ;   in Loop: Header=BB632_106 Depth=2
	v_lshlrev_b32_e32 v60, 2, v143
	ds_read_b32 v62, v60
	v_add_u32_e32 v60, v72, v3
	ds_read_b64 v[60:61], v60 offset:8192
	v_mov_b32_e32 v63, v4
	v_mov_b32_e32 v151, s81
	s_waitcnt lgkmcnt(1)
	v_add_u32_e32 v62, v62, v6
	v_lshlrev_b64 v[62:63], 3, v[62:63]
	v_add_co_u32_e32 v62, vcc, s80, v62
	v_addc_co_u32_e32 v63, vcc, v151, v63, vcc
	s_waitcnt lgkmcnt(0)
	global_store_dwordx2 v[62:63], v[60:61], off
	s_or_b64 exec, exec, s[36:37]
	s_and_saveexec_b64 s[36:37], s[46:47]
	s_cbranch_execnz .LBB632_301
.LBB632_286:                            ;   in Loop: Header=BB632_106 Depth=2
	s_or_b64 exec, exec, s[36:37]
	s_and_saveexec_b64 s[36:37], s[48:49]
	s_cbranch_execz .LBB632_302
.LBB632_287:                            ;   in Loop: Header=BB632_106 Depth=2
	v_lshlrev_b32_e32 v60, 2, v141
	ds_read_b32 v62, v60
	v_add_u32_e32 v60, v72, v3
	ds_read_b64 v[60:61], v60 offset:12288
	v_mov_b32_e32 v63, v4
	v_mov_b32_e32 v151, s81
	s_waitcnt lgkmcnt(1)
	v_add_u32_e32 v62, v62, v10
	v_lshlrev_b64 v[62:63], 3, v[62:63]
	v_add_co_u32_e32 v62, vcc, s80, v62
	v_addc_co_u32_e32 v63, vcc, v151, v63, vcc
	s_waitcnt lgkmcnt(0)
	global_store_dwordx2 v[62:63], v[60:61], off
	s_or_b64 exec, exec, s[36:37]
	s_and_saveexec_b64 s[36:37], s[50:51]
	s_cbranch_execnz .LBB632_303
.LBB632_288:                            ;   in Loop: Header=BB632_106 Depth=2
	s_or_b64 exec, exec, s[36:37]
	s_and_saveexec_b64 s[36:37], s[52:53]
	s_cbranch_execz .LBB632_304
.LBB632_289:                            ;   in Loop: Header=BB632_106 Depth=2
	v_lshlrev_b32_e32 v60, 2, v139
	ds_read_b32 v62, v60
	v_add_u32_e32 v60, v72, v3
	ds_read_b64 v[60:61], v60 offset:16384
	v_mov_b32_e32 v63, v4
	v_mov_b32_e32 v151, s81
	s_waitcnt lgkmcnt(1)
	v_add_u32_e32 v62, v62, v14
	v_lshlrev_b64 v[62:63], 3, v[62:63]
	v_add_co_u32_e32 v62, vcc, s80, v62
	v_addc_co_u32_e32 v63, vcc, v151, v63, vcc
	s_waitcnt lgkmcnt(0)
	global_store_dwordx2 v[62:63], v[60:61], off
	s_or_b64 exec, exec, s[36:37]
	s_and_saveexec_b64 s[36:37], s[54:55]
	s_cbranch_execnz .LBB632_305
.LBB632_290:                            ;   in Loop: Header=BB632_106 Depth=2
	s_or_b64 exec, exec, s[36:37]
	s_and_saveexec_b64 s[36:37], s[56:57]
	s_cbranch_execz .LBB632_306
.LBB632_291:                            ;   in Loop: Header=BB632_106 Depth=2
	v_lshlrev_b32_e32 v60, 2, v137
	ds_read_b32 v62, v60
	v_add_u32_e32 v60, v72, v3
	ds_read_b64 v[60:61], v60 offset:20480
	v_mov_b32_e32 v63, v4
	v_mov_b32_e32 v151, s81
	s_waitcnt lgkmcnt(1)
	v_add_u32_e32 v62, v62, v18
	v_lshlrev_b64 v[62:63], 3, v[62:63]
	v_add_co_u32_e32 v62, vcc, s80, v62
	v_addc_co_u32_e32 v63, vcc, v151, v63, vcc
	s_waitcnt lgkmcnt(0)
	global_store_dwordx2 v[62:63], v[60:61], off
	s_or_b64 exec, exec, s[36:37]
	s_and_saveexec_b64 s[36:37], s[58:59]
	s_cbranch_execnz .LBB632_307
.LBB632_292:                            ;   in Loop: Header=BB632_106 Depth=2
	s_or_b64 exec, exec, s[36:37]
	s_and_saveexec_b64 s[36:37], s[60:61]
	s_cbranch_execz .LBB632_308
.LBB632_293:                            ;   in Loop: Header=BB632_106 Depth=2
	v_lshlrev_b32_e32 v60, 2, v135
	ds_read_b32 v62, v60
	v_add_u32_e32 v60, v72, v3
	ds_read_b64 v[60:61], v60 offset:24576
	v_mov_b32_e32 v63, v4
	v_mov_b32_e32 v151, s81
	s_waitcnt lgkmcnt(1)
	v_add_u32_e32 v62, v62, v22
	v_lshlrev_b64 v[62:63], 3, v[62:63]
	v_add_co_u32_e32 v62, vcc, s80, v62
	v_addc_co_u32_e32 v63, vcc, v151, v63, vcc
	s_waitcnt lgkmcnt(0)
	global_store_dwordx2 v[62:63], v[60:61], off
	s_or_b64 exec, exec, s[36:37]
	s_and_saveexec_b64 s[36:37], s[62:63]
	s_cbranch_execnz .LBB632_309
.LBB632_294:                            ;   in Loop: Header=BB632_106 Depth=2
	s_or_b64 exec, exec, s[36:37]
	s_and_saveexec_b64 s[36:37], s[64:65]
	s_cbranch_execz .LBB632_310
.LBB632_295:                            ;   in Loop: Header=BB632_106 Depth=2
	v_lshlrev_b32_e32 v60, 2, v133
	ds_read_b32 v62, v60
	v_add_u32_e32 v60, v72, v3
	ds_read_b64 v[60:61], v60 offset:28672
	v_mov_b32_e32 v63, v4
	v_mov_b32_e32 v151, s81
	s_waitcnt lgkmcnt(1)
	v_add_u32_e32 v62, v62, v26
	v_lshlrev_b64 v[62:63], 3, v[62:63]
	v_add_co_u32_e32 v62, vcc, s80, v62
	v_addc_co_u32_e32 v63, vcc, v151, v63, vcc
	s_waitcnt lgkmcnt(0)
	global_store_dwordx2 v[62:63], v[60:61], off
	s_or_b64 exec, exec, s[36:37]
	s_and_saveexec_b64 s[36:37], s[66:67]
	s_cbranch_execnz .LBB632_311
	s_branch .LBB632_312
.LBB632_296:                            ;   in Loop: Header=BB632_106 Depth=2
	s_or_b64 exec, exec, s[78:79]
	s_and_saveexec_b64 s[36:37], s[38:39]
	s_cbranch_execz .LBB632_282
.LBB632_297:                            ;   in Loop: Header=BB632_106 Depth=2
	v_lshlrev_b32_e32 v60, 2, v147
	ds_read_b32 v62, v60
	v_add_u32_e32 v60, v72, v3
	ds_read_b64 v[60:61], v60 offset:2048
	v_mov_b32_e32 v63, v4
	v_mov_b32_e32 v151, s81
	s_waitcnt lgkmcnt(1)
	v_add_u32_e32 v62, v62, v7
	v_lshlrev_b64 v[62:63], 3, v[62:63]
	v_add_co_u32_e32 v62, vcc, s80, v62
	v_addc_co_u32_e32 v63, vcc, v151, v63, vcc
	s_waitcnt lgkmcnt(0)
	global_store_dwordx2 v[62:63], v[60:61], off
	s_or_b64 exec, exec, s[36:37]
	s_and_saveexec_b64 s[36:37], s[40:41]
	s_cbranch_execnz .LBB632_283
.LBB632_298:                            ;   in Loop: Header=BB632_106 Depth=2
	s_or_b64 exec, exec, s[36:37]
	s_and_saveexec_b64 s[36:37], s[42:43]
	s_cbranch_execz .LBB632_284
.LBB632_299:                            ;   in Loop: Header=BB632_106 Depth=2
	v_lshlrev_b32_e32 v60, 2, v144
	ds_read_b32 v62, v60
	v_add_u32_e32 v60, v72, v3
	ds_read_b64 v[60:61], v60 offset:6144
	v_mov_b32_e32 v63, v4
	v_mov_b32_e32 v151, s81
	s_waitcnt lgkmcnt(1)
	v_add_u32_e32 v62, v62, v11
	v_lshlrev_b64 v[62:63], 3, v[62:63]
	v_add_co_u32_e32 v62, vcc, s80, v62
	v_addc_co_u32_e32 v63, vcc, v151, v63, vcc
	s_waitcnt lgkmcnt(0)
	global_store_dwordx2 v[62:63], v[60:61], off
	s_or_b64 exec, exec, s[36:37]
	s_and_saveexec_b64 s[36:37], s[44:45]
	s_cbranch_execnz .LBB632_285
.LBB632_300:                            ;   in Loop: Header=BB632_106 Depth=2
	s_or_b64 exec, exec, s[36:37]
	s_and_saveexec_b64 s[36:37], s[46:47]
	s_cbranch_execz .LBB632_286
.LBB632_301:                            ;   in Loop: Header=BB632_106 Depth=2
	v_lshlrev_b32_e32 v60, 2, v142
	ds_read_b32 v62, v60
	v_add_u32_e32 v60, v72, v3
	ds_read_b64 v[60:61], v60 offset:10240
	v_mov_b32_e32 v63, v4
	v_mov_b32_e32 v151, s81
	s_waitcnt lgkmcnt(1)
	v_add_u32_e32 v62, v62, v8
	v_lshlrev_b64 v[62:63], 3, v[62:63]
	v_add_co_u32_e32 v62, vcc, s80, v62
	v_addc_co_u32_e32 v63, vcc, v151, v63, vcc
	s_waitcnt lgkmcnt(0)
	global_store_dwordx2 v[62:63], v[60:61], off
	s_or_b64 exec, exec, s[36:37]
	s_and_saveexec_b64 s[36:37], s[48:49]
	s_cbranch_execnz .LBB632_287
.LBB632_302:                            ;   in Loop: Header=BB632_106 Depth=2
	s_or_b64 exec, exec, s[36:37]
	s_and_saveexec_b64 s[36:37], s[50:51]
	s_cbranch_execz .LBB632_288
.LBB632_303:                            ;   in Loop: Header=BB632_106 Depth=2
	v_lshlrev_b32_e32 v60, 2, v140
	ds_read_b32 v62, v60
	v_add_u32_e32 v60, v72, v3
	ds_read_b64 v[60:61], v60 offset:14336
	v_mov_b32_e32 v63, v4
	v_mov_b32_e32 v151, s81
	s_waitcnt lgkmcnt(1)
	v_add_u32_e32 v62, v62, v12
	v_lshlrev_b64 v[62:63], 3, v[62:63]
	v_add_co_u32_e32 v62, vcc, s80, v62
	v_addc_co_u32_e32 v63, vcc, v151, v63, vcc
	s_waitcnt lgkmcnt(0)
	global_store_dwordx2 v[62:63], v[60:61], off
	s_or_b64 exec, exec, s[36:37]
	s_and_saveexec_b64 s[36:37], s[52:53]
	s_cbranch_execnz .LBB632_289
.LBB632_304:                            ;   in Loop: Header=BB632_106 Depth=2
	s_or_b64 exec, exec, s[36:37]
	s_and_saveexec_b64 s[36:37], s[54:55]
	s_cbranch_execz .LBB632_290
.LBB632_305:                            ;   in Loop: Header=BB632_106 Depth=2
	v_lshlrev_b32_e32 v60, 2, v138
	ds_read_b32 v62, v60
	v_add_u32_e32 v60, v72, v3
	ds_read_b64 v[60:61], v60 offset:18432
	v_mov_b32_e32 v63, v4
	v_mov_b32_e32 v151, s81
	s_waitcnt lgkmcnt(1)
	v_add_u32_e32 v62, v62, v16
	v_lshlrev_b64 v[62:63], 3, v[62:63]
	v_add_co_u32_e32 v62, vcc, s80, v62
	v_addc_co_u32_e32 v63, vcc, v151, v63, vcc
	s_waitcnt lgkmcnt(0)
	global_store_dwordx2 v[62:63], v[60:61], off
	s_or_b64 exec, exec, s[36:37]
	s_and_saveexec_b64 s[36:37], s[56:57]
	s_cbranch_execnz .LBB632_291
.LBB632_306:                            ;   in Loop: Header=BB632_106 Depth=2
	s_or_b64 exec, exec, s[36:37]
	s_and_saveexec_b64 s[36:37], s[58:59]
	s_cbranch_execz .LBB632_292
.LBB632_307:                            ;   in Loop: Header=BB632_106 Depth=2
	v_lshlrev_b32_e32 v60, 2, v136
	ds_read_b32 v62, v60
	v_add_u32_e32 v60, v72, v3
	ds_read_b64 v[60:61], v60 offset:22528
	v_mov_b32_e32 v63, v4
	v_mov_b32_e32 v151, s81
	s_waitcnt lgkmcnt(1)
	v_add_u32_e32 v62, v62, v20
	v_lshlrev_b64 v[62:63], 3, v[62:63]
	v_add_co_u32_e32 v62, vcc, s80, v62
	v_addc_co_u32_e32 v63, vcc, v151, v63, vcc
	s_waitcnt lgkmcnt(0)
	global_store_dwordx2 v[62:63], v[60:61], off
	s_or_b64 exec, exec, s[36:37]
	s_and_saveexec_b64 s[36:37], s[60:61]
	s_cbranch_execnz .LBB632_293
.LBB632_308:                            ;   in Loop: Header=BB632_106 Depth=2
	s_or_b64 exec, exec, s[36:37]
	s_and_saveexec_b64 s[36:37], s[62:63]
	s_cbranch_execz .LBB632_294
.LBB632_309:                            ;   in Loop: Header=BB632_106 Depth=2
	v_lshlrev_b32_e32 v60, 2, v134
	ds_read_b32 v62, v60
	v_add_u32_e32 v60, v72, v3
	ds_read_b64 v[60:61], v60 offset:26624
	v_mov_b32_e32 v63, v4
	v_mov_b32_e32 v151, s81
	s_waitcnt lgkmcnt(1)
	v_add_u32_e32 v62, v62, v24
	v_lshlrev_b64 v[62:63], 3, v[62:63]
	v_add_co_u32_e32 v62, vcc, s80, v62
	v_addc_co_u32_e32 v63, vcc, v151, v63, vcc
	s_waitcnt lgkmcnt(0)
	global_store_dwordx2 v[62:63], v[60:61], off
	s_or_b64 exec, exec, s[36:37]
	s_and_saveexec_b64 s[36:37], s[64:65]
	s_cbranch_execnz .LBB632_295
.LBB632_310:                            ;   in Loop: Header=BB632_106 Depth=2
	s_or_b64 exec, exec, s[36:37]
	s_and_saveexec_b64 s[36:37], s[66:67]
	s_cbranch_execz .LBB632_312
.LBB632_311:                            ;   in Loop: Header=BB632_106 Depth=2
	v_lshlrev_b32_e32 v60, 2, v132
	ds_read_b32 v62, v60
	v_add_u32_e32 v60, v72, v3
	ds_read_b64 v[60:61], v60 offset:30720
	v_mov_b32_e32 v63, v4
	v_mov_b32_e32 v151, s81
	s_waitcnt lgkmcnt(1)
	v_add_u32_e32 v62, v62, v28
	v_lshlrev_b64 v[62:63], 3, v[62:63]
	v_add_co_u32_e32 v62, vcc, s80, v62
	v_addc_co_u32_e32 v63, vcc, v151, v63, vcc
	s_waitcnt lgkmcnt(0)
	global_store_dwordx2 v[62:63], v[60:61], off
.LBB632_312:                            ;   in Loop: Header=BB632_106 Depth=2
	s_or_b64 exec, exec, s[36:37]
	s_barrier
	s_and_saveexec_b64 s[36:37], s[4:5]
	s_cbranch_execz .LBB632_105
; %bb.313:                              ;   in Loop: Header=BB632_106 Depth=2
	ds_read_b32 v60, v3
	s_waitcnt lgkmcnt(0)
	v_add_u32_e32 v5, v60, v5
	ds_write_b32 v3, v5
	s_branch .LBB632_105
.LBB632_314:                            ;   in Loop: Header=BB632_20 Depth=1
	s_waitcnt lgkmcnt(0)
	s_barrier
	s_mov_b64 s[16:17], 0
.LBB632_315:                            ;   in Loop: Header=BB632_20 Depth=1
	s_and_b64 vcc, exec, s[16:17]
	s_cbranch_vccz .LBB632_609
; %bb.316:                              ;   in Loop: Header=BB632_20 Depth=1
	s_mov_b32 s22, s87
	s_mov_b32 s88, s69
	s_barrier
	s_waitcnt lgkmcnt(0)
                                        ; implicit-def: $vgpr44
                                        ; implicit-def: $vgpr5
                                        ; implicit-def: $vgpr30
                                        ; implicit-def: $vgpr31
                                        ; implicit-def: $vgpr32
                                        ; implicit-def: $vgpr33
                                        ; implicit-def: $vgpr34
                                        ; implicit-def: $vgpr35
                                        ; implicit-def: $vgpr36
                                        ; implicit-def: $vgpr37
                                        ; implicit-def: $vgpr38
                                        ; implicit-def: $vgpr39
                                        ; implicit-def: $vgpr40
                                        ; implicit-def: $vgpr41
                                        ; implicit-def: $vgpr42
                                        ; implicit-def: $vgpr43
	s_branch .LBB632_318
.LBB632_317:                            ;   in Loop: Header=BB632_318 Depth=2
	s_or_b64 exec, exec, s[16:17]
	s_addk_i32 s22, 0xf000
	s_cmp_ge_u32 s23, s92
	s_mov_b32 s88, s23
	s_cbranch_scc1 .LBB632_388
.LBB632_318:                            ;   Parent Loop BB632_20 Depth=1
                                        ; =>  This Inner Loop Header: Depth=2
	s_add_i32 s23, s88, 0x1000
	s_cmp_gt_u32 s23, s92
	s_cbranch_scc1 .LBB632_321
; %bb.319:                              ;   in Loop: Header=BB632_318 Depth=2
	s_lshl_b64 s[16:17], s[88:89], 2
	v_mov_b32_e32 v1, s17
	v_add_co_u32_e32 v0, vcc, s16, v74
	v_addc_co_u32_e32 v1, vcc, v75, v1, vcc
	s_waitcnt vmcnt(6)
	v_add_co_u32_e32 v54, vcc, 0x1000, v0
	s_waitcnt vmcnt(5)
	v_addc_co_u32_e32 v55, vcc, 0, v1, vcc
	v_add_co_u32_e32 v62, vcc, s84, v0
	v_addc_co_u32_e32 v63, vcc, 0, v1, vcc
	global_load_dword v46, v[0:1], off
	global_load_dword v47, v[0:1], off offset:1024
	global_load_dword v48, v[0:1], off offset:2048
	;; [unrolled: 1-line block ×3, first 2 shown]
	global_load_dword v50, v[54:55], off
	global_load_dword v51, v[54:55], off offset:1024
	global_load_dword v52, v[54:55], off offset:2048
	;; [unrolled: 1-line block ×3, first 2 shown]
	v_add_co_u32_e32 v128, vcc, 0x3000, v0
	v_addc_co_u32_e32 v129, vcc, 0, v1, vcc
	global_load_dword v54, v[62:63], off
	global_load_dword v55, v[62:63], off offset:1024
	global_load_dword v56, v[62:63], off offset:2048
	;; [unrolled: 1-line block ×3, first 2 shown]
	global_load_dword v58, v[128:129], off
	global_load_dword v59, v[128:129], off offset:1024
	global_load_dword v60, v[128:129], off offset:2048
	v_add_co_u32_e32 v0, vcc, 0x3c00, v0
	s_movk_i32 s24, 0x1000
	v_addc_co_u32_e32 v1, vcc, 0, v1, vcc
	s_mov_b64 s[16:17], -1
	s_cbranch_execz .LBB632_322
; %bb.320:                              ;   in Loop: Header=BB632_318 Depth=2
                                        ; implicit-def: $vgpr43
                                        ; implicit-def: $vgpr42
                                        ; implicit-def: $vgpr41
                                        ; implicit-def: $vgpr40
                                        ; implicit-def: $vgpr39
                                        ; implicit-def: $vgpr38
                                        ; implicit-def: $vgpr37
                                        ; implicit-def: $vgpr36
                                        ; implicit-def: $vgpr35
                                        ; implicit-def: $vgpr34
                                        ; implicit-def: $vgpr33
                                        ; implicit-def: $vgpr32
                                        ; implicit-def: $vgpr31
                                        ; implicit-def: $vgpr30
                                        ; implicit-def: $vgpr5
                                        ; implicit-def: $vgpr44
	v_mov_b32_e32 v45, s22
	s_and_saveexec_b64 s[18:19], s[16:17]
	s_cbranch_execnz .LBB632_341
	s_branch .LBB632_342
.LBB632_321:                            ;   in Loop: Header=BB632_318 Depth=2
	s_mov_b64 s[16:17], 0
                                        ; implicit-def: $sgpr24
                                        ; implicit-def: $vgpr46
                                        ; implicit-def: $vgpr47
                                        ; implicit-def: $vgpr48
                                        ; implicit-def: $vgpr49
                                        ; implicit-def: $vgpr50
                                        ; implicit-def: $vgpr51
                                        ; implicit-def: $vgpr52
                                        ; implicit-def: $vgpr53
                                        ; implicit-def: $vgpr54
                                        ; implicit-def: $vgpr55
                                        ; implicit-def: $vgpr56
                                        ; implicit-def: $vgpr57
                                        ; implicit-def: $vgpr58
                                        ; implicit-def: $vgpr59
                                        ; implicit-def: $vgpr60
                                        ; implicit-def: $vgpr0_vgpr1
.LBB632_322:                            ;   in Loop: Header=BB632_318 Depth=2
	s_lshl_b64 s[18:19], s[88:89], 2
	s_add_u32 s18, s74, s18
	s_addc_u32 s19, s75, s19
	v_cmp_gt_u32_e32 vcc, s22, v2
	s_and_saveexec_b64 s[20:21], vcc
	s_cbranch_execz .LBB632_374
; %bb.323:                              ;   in Loop: Header=BB632_318 Depth=2
	global_load_dword v43, v88, s[18:19]
	s_or_b64 exec, exec, s[20:21]
	v_cmp_gt_u32_e32 vcc, s22, v7
	s_and_saveexec_b64 s[20:21], vcc
	s_cbranch_execnz .LBB632_375
.LBB632_324:                            ;   in Loop: Header=BB632_318 Depth=2
	s_or_b64 exec, exec, s[20:21]
	v_cmp_gt_u32_e32 vcc, s22, v9
	s_and_saveexec_b64 s[20:21], vcc
	s_cbranch_execz .LBB632_376
.LBB632_325:                            ;   in Loop: Header=BB632_318 Depth=2
	global_load_dword v41, v88, s[18:19] offset:2048
	s_or_b64 exec, exec, s[20:21]
	v_cmp_gt_u32_e32 vcc, s22, v11
	s_and_saveexec_b64 s[20:21], vcc
	s_cbranch_execnz .LBB632_377
.LBB632_326:                            ;   in Loop: Header=BB632_318 Depth=2
	s_or_b64 exec, exec, s[20:21]
	v_cmp_gt_u32_e32 vcc, s22, v6
	s_and_saveexec_b64 s[20:21], vcc
	s_cbranch_execz .LBB632_378
.LBB632_327:                            ;   in Loop: Header=BB632_318 Depth=2
	global_load_dword v39, v89, s[18:19]
	s_or_b64 exec, exec, s[20:21]
	v_cmp_gt_u32_e32 vcc, s22, v8
	s_and_saveexec_b64 s[20:21], vcc
	s_cbranch_execnz .LBB632_379
.LBB632_328:                            ;   in Loop: Header=BB632_318 Depth=2
	s_or_b64 exec, exec, s[20:21]
	v_cmp_gt_u32_e32 vcc, s22, v10
	s_and_saveexec_b64 s[20:21], vcc
	s_cbranch_execz .LBB632_380
.LBB632_329:                            ;   in Loop: Header=BB632_318 Depth=2
	global_load_dword v37, v91, s[18:19]
	s_or_b64 exec, exec, s[20:21]
	v_cmp_gt_u32_e32 vcc, s22, v12
	s_and_saveexec_b64 s[20:21], vcc
	s_cbranch_execnz .LBB632_381
.LBB632_330:                            ;   in Loop: Header=BB632_318 Depth=2
	s_or_b64 exec, exec, s[20:21]
	v_cmp_gt_u32_e32 vcc, s22, v14
	s_and_saveexec_b64 s[20:21], vcc
	s_cbranch_execz .LBB632_382
.LBB632_331:                            ;   in Loop: Header=BB632_318 Depth=2
	global_load_dword v35, v93, s[18:19]
	s_or_b64 exec, exec, s[20:21]
	v_cmp_gt_u32_e32 vcc, s22, v16
	s_and_saveexec_b64 s[20:21], vcc
	s_cbranch_execnz .LBB632_383
.LBB632_332:                            ;   in Loop: Header=BB632_318 Depth=2
	s_or_b64 exec, exec, s[20:21]
	v_cmp_gt_u32_e32 vcc, s22, v18
	s_and_saveexec_b64 s[20:21], vcc
	s_cbranch_execz .LBB632_384
.LBB632_333:                            ;   in Loop: Header=BB632_318 Depth=2
	global_load_dword v33, v95, s[18:19]
	s_or_b64 exec, exec, s[20:21]
	v_cmp_gt_u32_e32 vcc, s22, v20
	s_and_saveexec_b64 s[20:21], vcc
	s_cbranch_execnz .LBB632_385
.LBB632_334:                            ;   in Loop: Header=BB632_318 Depth=2
	s_or_b64 exec, exec, s[20:21]
	v_cmp_gt_u32_e32 vcc, s22, v22
	s_and_saveexec_b64 s[20:21], vcc
	s_cbranch_execz .LBB632_386
.LBB632_335:                            ;   in Loop: Header=BB632_318 Depth=2
	global_load_dword v31, v97, s[18:19]
	s_or_b64 exec, exec, s[20:21]
	v_cmp_gt_u32_e32 vcc, s22, v24
	s_and_saveexec_b64 s[20:21], vcc
	s_cbranch_execnz .LBB632_387
.LBB632_336:                            ;   in Loop: Header=BB632_318 Depth=2
	s_or_b64 exec, exec, s[20:21]
	v_cmp_gt_u32_e32 vcc, s22, v26
	s_and_saveexec_b64 s[20:21], vcc
	s_cbranch_execz .LBB632_338
.LBB632_337:                            ;   in Loop: Header=BB632_318 Depth=2
	global_load_dword v5, v99, s[18:19]
.LBB632_338:                            ;   in Loop: Header=BB632_318 Depth=2
	s_or_b64 exec, exec, s[20:21]
	v_cmp_gt_u32_e32 vcc, s22, v28
                                        ; implicit-def: $sgpr24
                                        ; implicit-def: $vgpr0_vgpr1
	s_and_saveexec_b64 s[20:21], vcc
; %bb.339:                              ;   in Loop: Header=BB632_318 Depth=2
	v_mov_b32_e32 v1, s19
	v_add_co_u32_e32 v0, vcc, s18, v100
	s_sub_i32 s24, s92, s88
	v_addc_co_u32_e32 v1, vcc, 0, v1, vcc
	s_or_b64 s[16:17], s[16:17], exec
                                        ; implicit-def: $vgpr44
; %bb.340:                              ;   in Loop: Header=BB632_318 Depth=2
	s_or_b64 exec, exec, s[20:21]
	s_waitcnt vmcnt(0)
	v_mov_b32_e32 v46, v43
	v_mov_b32_e32 v47, v42
	;; [unrolled: 1-line block ×16, first 2 shown]
	s_and_saveexec_b64 s[18:19], s[16:17]
	s_cbranch_execz .LBB632_342
.LBB632_341:                            ;   in Loop: Header=BB632_318 Depth=2
	global_load_dword v44, v[0:1], off
	v_mov_b32_e32 v45, s24
	s_waitcnt vmcnt(1)
	v_mov_b32_e32 v5, v60
	v_mov_b32_e32 v30, v59
	v_mov_b32_e32 v31, v58
	v_mov_b32_e32 v32, v57
	v_mov_b32_e32 v33, v56
	v_mov_b32_e32 v34, v55
	v_mov_b32_e32 v35, v54
	v_mov_b32_e32 v36, v53
	v_mov_b32_e32 v37, v52
	v_mov_b32_e32 v38, v51
	v_mov_b32_e32 v39, v50
	v_mov_b32_e32 v40, v49
	v_mov_b32_e32 v41, v48
	v_mov_b32_e32 v42, v47
	v_mov_b32_e32 v43, v46
.LBB632_342:                            ;   in Loop: Header=BB632_318 Depth=2
	s_or_b64 exec, exec, s[18:19]
	v_cmp_lt_u32_e32 vcc, v2, v45
	s_and_saveexec_b64 s[16:17], vcc
	s_cbranch_execz .LBB632_358
; %bb.343:                              ;   in Loop: Header=BB632_318 Depth=2
	v_xor_b32_e32 v0, 0x80000000, v43
	v_lshrrev_b32_e32 v0, s93, v0
	v_and_b32_e32 v0, s94, v0
	v_lshl_or_b32 v0, v0, 4, v86
	ds_add_u32 v0, v87
	s_or_b64 exec, exec, s[16:17]
	v_cmp_lt_u32_e32 vcc, v7, v45
	s_and_saveexec_b64 s[16:17], vcc
	s_cbranch_execnz .LBB632_359
.LBB632_344:                            ;   in Loop: Header=BB632_318 Depth=2
	s_or_b64 exec, exec, s[16:17]
	v_cmp_lt_u32_e32 vcc, v9, v45
	s_and_saveexec_b64 s[16:17], vcc
	s_cbranch_execz .LBB632_360
.LBB632_345:                            ;   in Loop: Header=BB632_318 Depth=2
	v_xor_b32_e32 v0, 0x80000000, v41
	v_lshrrev_b32_e32 v0, s93, v0
	v_and_b32_e32 v0, s94, v0
	v_lshl_or_b32 v0, v0, 4, v86
	ds_add_u32 v0, v87
	s_or_b64 exec, exec, s[16:17]
	v_cmp_lt_u32_e32 vcc, v11, v45
	s_and_saveexec_b64 s[16:17], vcc
	s_cbranch_execnz .LBB632_361
.LBB632_346:                            ;   in Loop: Header=BB632_318 Depth=2
	s_or_b64 exec, exec, s[16:17]
	v_cmp_lt_u32_e32 vcc, v6, v45
	s_and_saveexec_b64 s[16:17], vcc
	s_cbranch_execz .LBB632_362
.LBB632_347:                            ;   in Loop: Header=BB632_318 Depth=2
	v_xor_b32_e32 v0, 0x80000000, v39
	v_lshrrev_b32_e32 v0, s93, v0
	v_and_b32_e32 v0, s94, v0
	v_lshl_or_b32 v0, v0, 4, v86
	ds_add_u32 v0, v87
	s_or_b64 exec, exec, s[16:17]
	v_cmp_lt_u32_e32 vcc, v8, v45
	s_and_saveexec_b64 s[16:17], vcc
	s_cbranch_execnz .LBB632_363
.LBB632_348:                            ;   in Loop: Header=BB632_318 Depth=2
	s_or_b64 exec, exec, s[16:17]
	v_cmp_lt_u32_e32 vcc, v10, v45
	s_and_saveexec_b64 s[16:17], vcc
	s_cbranch_execz .LBB632_364
.LBB632_349:                            ;   in Loop: Header=BB632_318 Depth=2
	v_xor_b32_e32 v0, 0x80000000, v37
	v_lshrrev_b32_e32 v0, s93, v0
	v_and_b32_e32 v0, s94, v0
	v_lshl_or_b32 v0, v0, 4, v86
	ds_add_u32 v0, v87
	s_or_b64 exec, exec, s[16:17]
	v_cmp_lt_u32_e32 vcc, v12, v45
	s_and_saveexec_b64 s[16:17], vcc
	s_cbranch_execnz .LBB632_365
.LBB632_350:                            ;   in Loop: Header=BB632_318 Depth=2
	s_or_b64 exec, exec, s[16:17]
	v_cmp_lt_u32_e32 vcc, v14, v45
	s_and_saveexec_b64 s[16:17], vcc
	s_cbranch_execz .LBB632_366
.LBB632_351:                            ;   in Loop: Header=BB632_318 Depth=2
	v_xor_b32_e32 v0, 0x80000000, v35
	v_lshrrev_b32_e32 v0, s93, v0
	v_and_b32_e32 v0, s94, v0
	v_lshl_or_b32 v0, v0, 4, v86
	ds_add_u32 v0, v87
	s_or_b64 exec, exec, s[16:17]
	v_cmp_lt_u32_e32 vcc, v16, v45
	s_and_saveexec_b64 s[16:17], vcc
	s_cbranch_execnz .LBB632_367
.LBB632_352:                            ;   in Loop: Header=BB632_318 Depth=2
	s_or_b64 exec, exec, s[16:17]
	v_cmp_lt_u32_e32 vcc, v18, v45
	s_and_saveexec_b64 s[16:17], vcc
	s_cbranch_execz .LBB632_368
.LBB632_353:                            ;   in Loop: Header=BB632_318 Depth=2
	v_xor_b32_e32 v0, 0x80000000, v33
	v_lshrrev_b32_e32 v0, s93, v0
	v_and_b32_e32 v0, s94, v0
	v_lshl_or_b32 v0, v0, 4, v86
	ds_add_u32 v0, v87
	s_or_b64 exec, exec, s[16:17]
	v_cmp_lt_u32_e32 vcc, v20, v45
	s_and_saveexec_b64 s[16:17], vcc
	s_cbranch_execnz .LBB632_369
.LBB632_354:                            ;   in Loop: Header=BB632_318 Depth=2
	s_or_b64 exec, exec, s[16:17]
	v_cmp_lt_u32_e32 vcc, v22, v45
	s_and_saveexec_b64 s[16:17], vcc
	s_cbranch_execz .LBB632_370
.LBB632_355:                            ;   in Loop: Header=BB632_318 Depth=2
	v_xor_b32_e32 v0, 0x80000000, v31
	v_lshrrev_b32_e32 v0, s93, v0
	v_and_b32_e32 v0, s94, v0
	v_lshl_or_b32 v0, v0, 4, v86
	ds_add_u32 v0, v87
	s_or_b64 exec, exec, s[16:17]
	v_cmp_lt_u32_e32 vcc, v24, v45
	s_and_saveexec_b64 s[16:17], vcc
	s_cbranch_execnz .LBB632_371
.LBB632_356:                            ;   in Loop: Header=BB632_318 Depth=2
	s_or_b64 exec, exec, s[16:17]
	v_cmp_lt_u32_e32 vcc, v26, v45
	s_and_saveexec_b64 s[16:17], vcc
	s_cbranch_execz .LBB632_372
.LBB632_357:                            ;   in Loop: Header=BB632_318 Depth=2
	v_xor_b32_e32 v0, 0x80000000, v5
	v_lshrrev_b32_e32 v0, s93, v0
	v_and_b32_e32 v0, s94, v0
	v_lshl_or_b32 v0, v0, 4, v86
	ds_add_u32 v0, v87
	s_or_b64 exec, exec, s[16:17]
	v_cmp_lt_u32_e32 vcc, v28, v45
	s_and_saveexec_b64 s[16:17], vcc
	s_cbranch_execz .LBB632_317
	s_branch .LBB632_373
.LBB632_358:                            ;   in Loop: Header=BB632_318 Depth=2
	s_or_b64 exec, exec, s[16:17]
	v_cmp_lt_u32_e32 vcc, v7, v45
	s_and_saveexec_b64 s[16:17], vcc
	s_cbranch_execz .LBB632_344
.LBB632_359:                            ;   in Loop: Header=BB632_318 Depth=2
	v_xor_b32_e32 v0, 0x80000000, v42
	v_lshrrev_b32_e32 v0, s93, v0
	v_and_b32_e32 v0, s94, v0
	v_lshl_or_b32 v0, v0, 4, v86
	ds_add_u32 v0, v87
	s_or_b64 exec, exec, s[16:17]
	v_cmp_lt_u32_e32 vcc, v9, v45
	s_and_saveexec_b64 s[16:17], vcc
	s_cbranch_execnz .LBB632_345
.LBB632_360:                            ;   in Loop: Header=BB632_318 Depth=2
	s_or_b64 exec, exec, s[16:17]
	v_cmp_lt_u32_e32 vcc, v11, v45
	s_and_saveexec_b64 s[16:17], vcc
	s_cbranch_execz .LBB632_346
.LBB632_361:                            ;   in Loop: Header=BB632_318 Depth=2
	v_xor_b32_e32 v0, 0x80000000, v40
	v_lshrrev_b32_e32 v0, s93, v0
	v_and_b32_e32 v0, s94, v0
	v_lshl_or_b32 v0, v0, 4, v86
	ds_add_u32 v0, v87
	s_or_b64 exec, exec, s[16:17]
	v_cmp_lt_u32_e32 vcc, v6, v45
	s_and_saveexec_b64 s[16:17], vcc
	s_cbranch_execnz .LBB632_347
.LBB632_362:                            ;   in Loop: Header=BB632_318 Depth=2
	s_or_b64 exec, exec, s[16:17]
	v_cmp_lt_u32_e32 vcc, v8, v45
	s_and_saveexec_b64 s[16:17], vcc
	s_cbranch_execz .LBB632_348
.LBB632_363:                            ;   in Loop: Header=BB632_318 Depth=2
	v_xor_b32_e32 v0, 0x80000000, v38
	v_lshrrev_b32_e32 v0, s93, v0
	v_and_b32_e32 v0, s94, v0
	v_lshl_or_b32 v0, v0, 4, v86
	ds_add_u32 v0, v87
	s_or_b64 exec, exec, s[16:17]
	v_cmp_lt_u32_e32 vcc, v10, v45
	s_and_saveexec_b64 s[16:17], vcc
	s_cbranch_execnz .LBB632_349
.LBB632_364:                            ;   in Loop: Header=BB632_318 Depth=2
	s_or_b64 exec, exec, s[16:17]
	v_cmp_lt_u32_e32 vcc, v12, v45
	s_and_saveexec_b64 s[16:17], vcc
	s_cbranch_execz .LBB632_350
.LBB632_365:                            ;   in Loop: Header=BB632_318 Depth=2
	v_xor_b32_e32 v0, 0x80000000, v36
	v_lshrrev_b32_e32 v0, s93, v0
	v_and_b32_e32 v0, s94, v0
	v_lshl_or_b32 v0, v0, 4, v86
	ds_add_u32 v0, v87
	s_or_b64 exec, exec, s[16:17]
	v_cmp_lt_u32_e32 vcc, v14, v45
	s_and_saveexec_b64 s[16:17], vcc
	s_cbranch_execnz .LBB632_351
.LBB632_366:                            ;   in Loop: Header=BB632_318 Depth=2
	s_or_b64 exec, exec, s[16:17]
	v_cmp_lt_u32_e32 vcc, v16, v45
	s_and_saveexec_b64 s[16:17], vcc
	s_cbranch_execz .LBB632_352
.LBB632_367:                            ;   in Loop: Header=BB632_318 Depth=2
	v_xor_b32_e32 v0, 0x80000000, v34
	v_lshrrev_b32_e32 v0, s93, v0
	v_and_b32_e32 v0, s94, v0
	v_lshl_or_b32 v0, v0, 4, v86
	ds_add_u32 v0, v87
	s_or_b64 exec, exec, s[16:17]
	v_cmp_lt_u32_e32 vcc, v18, v45
	s_and_saveexec_b64 s[16:17], vcc
	s_cbranch_execnz .LBB632_353
.LBB632_368:                            ;   in Loop: Header=BB632_318 Depth=2
	s_or_b64 exec, exec, s[16:17]
	v_cmp_lt_u32_e32 vcc, v20, v45
	s_and_saveexec_b64 s[16:17], vcc
	s_cbranch_execz .LBB632_354
.LBB632_369:                            ;   in Loop: Header=BB632_318 Depth=2
	v_xor_b32_e32 v0, 0x80000000, v32
	v_lshrrev_b32_e32 v0, s93, v0
	v_and_b32_e32 v0, s94, v0
	v_lshl_or_b32 v0, v0, 4, v86
	ds_add_u32 v0, v87
	s_or_b64 exec, exec, s[16:17]
	v_cmp_lt_u32_e32 vcc, v22, v45
	s_and_saveexec_b64 s[16:17], vcc
	s_cbranch_execnz .LBB632_355
.LBB632_370:                            ;   in Loop: Header=BB632_318 Depth=2
	s_or_b64 exec, exec, s[16:17]
	v_cmp_lt_u32_e32 vcc, v24, v45
	s_and_saveexec_b64 s[16:17], vcc
	s_cbranch_execz .LBB632_356
.LBB632_371:                            ;   in Loop: Header=BB632_318 Depth=2
	v_xor_b32_e32 v0, 0x80000000, v30
	v_lshrrev_b32_e32 v0, s93, v0
	v_and_b32_e32 v0, s94, v0
	v_lshl_or_b32 v0, v0, 4, v86
	ds_add_u32 v0, v87
	s_or_b64 exec, exec, s[16:17]
	v_cmp_lt_u32_e32 vcc, v26, v45
	s_and_saveexec_b64 s[16:17], vcc
	s_cbranch_execnz .LBB632_357
.LBB632_372:                            ;   in Loop: Header=BB632_318 Depth=2
	s_or_b64 exec, exec, s[16:17]
	v_cmp_lt_u32_e32 vcc, v28, v45
	s_and_saveexec_b64 s[16:17], vcc
	s_cbranch_execz .LBB632_317
.LBB632_373:                            ;   in Loop: Header=BB632_318 Depth=2
	s_waitcnt vmcnt(0)
	v_xor_b32_e32 v0, 0x80000000, v44
	v_lshrrev_b32_e32 v0, s93, v0
	v_and_b32_e32 v0, s94, v0
	v_lshl_or_b32 v0, v0, 4, v86
	ds_add_u32 v0, v87
	s_branch .LBB632_317
.LBB632_374:                            ;   in Loop: Header=BB632_318 Depth=2
	s_or_b64 exec, exec, s[20:21]
	v_cmp_gt_u32_e32 vcc, s22, v7
	s_and_saveexec_b64 s[20:21], vcc
	s_cbranch_execz .LBB632_324
.LBB632_375:                            ;   in Loop: Header=BB632_318 Depth=2
	global_load_dword v42, v88, s[18:19] offset:1024
	s_or_b64 exec, exec, s[20:21]
	v_cmp_gt_u32_e32 vcc, s22, v9
	s_and_saveexec_b64 s[20:21], vcc
	s_cbranch_execnz .LBB632_325
.LBB632_376:                            ;   in Loop: Header=BB632_318 Depth=2
	s_or_b64 exec, exec, s[20:21]
	v_cmp_gt_u32_e32 vcc, s22, v11
	s_and_saveexec_b64 s[20:21], vcc
	s_cbranch_execz .LBB632_326
.LBB632_377:                            ;   in Loop: Header=BB632_318 Depth=2
	global_load_dword v40, v88, s[18:19] offset:3072
	s_or_b64 exec, exec, s[20:21]
	v_cmp_gt_u32_e32 vcc, s22, v6
	s_and_saveexec_b64 s[20:21], vcc
	s_cbranch_execnz .LBB632_327
.LBB632_378:                            ;   in Loop: Header=BB632_318 Depth=2
	s_or_b64 exec, exec, s[20:21]
	v_cmp_gt_u32_e32 vcc, s22, v8
	s_and_saveexec_b64 s[20:21], vcc
	s_cbranch_execz .LBB632_328
.LBB632_379:                            ;   in Loop: Header=BB632_318 Depth=2
	global_load_dword v38, v90, s[18:19]
	s_or_b64 exec, exec, s[20:21]
	v_cmp_gt_u32_e32 vcc, s22, v10
	s_and_saveexec_b64 s[20:21], vcc
	s_cbranch_execnz .LBB632_329
.LBB632_380:                            ;   in Loop: Header=BB632_318 Depth=2
	s_or_b64 exec, exec, s[20:21]
	v_cmp_gt_u32_e32 vcc, s22, v12
	s_and_saveexec_b64 s[20:21], vcc
	s_cbranch_execz .LBB632_330
.LBB632_381:                            ;   in Loop: Header=BB632_318 Depth=2
	global_load_dword v36, v92, s[18:19]
	s_or_b64 exec, exec, s[20:21]
	v_cmp_gt_u32_e32 vcc, s22, v14
	s_and_saveexec_b64 s[20:21], vcc
	s_cbranch_execnz .LBB632_331
.LBB632_382:                            ;   in Loop: Header=BB632_318 Depth=2
	s_or_b64 exec, exec, s[20:21]
	v_cmp_gt_u32_e32 vcc, s22, v16
	s_and_saveexec_b64 s[20:21], vcc
	s_cbranch_execz .LBB632_332
.LBB632_383:                            ;   in Loop: Header=BB632_318 Depth=2
	global_load_dword v34, v94, s[18:19]
	s_or_b64 exec, exec, s[20:21]
	v_cmp_gt_u32_e32 vcc, s22, v18
	s_and_saveexec_b64 s[20:21], vcc
	s_cbranch_execnz .LBB632_333
.LBB632_384:                            ;   in Loop: Header=BB632_318 Depth=2
	s_or_b64 exec, exec, s[20:21]
	v_cmp_gt_u32_e32 vcc, s22, v20
	s_and_saveexec_b64 s[20:21], vcc
	s_cbranch_execz .LBB632_334
.LBB632_385:                            ;   in Loop: Header=BB632_318 Depth=2
	global_load_dword v32, v96, s[18:19]
	s_or_b64 exec, exec, s[20:21]
	v_cmp_gt_u32_e32 vcc, s22, v22
	s_and_saveexec_b64 s[20:21], vcc
	s_cbranch_execnz .LBB632_335
.LBB632_386:                            ;   in Loop: Header=BB632_318 Depth=2
	s_or_b64 exec, exec, s[20:21]
	v_cmp_gt_u32_e32 vcc, s22, v24
	s_and_saveexec_b64 s[20:21], vcc
	s_cbranch_execz .LBB632_336
.LBB632_387:                            ;   in Loop: Header=BB632_318 Depth=2
	global_load_dword v30, v98, s[18:19]
	s_or_b64 exec, exec, s[20:21]
	v_cmp_gt_u32_e32 vcc, s22, v26
	s_and_saveexec_b64 s[20:21], vcc
	s_cbranch_execz .LBB632_338
	s_branch .LBB632_337
.LBB632_388:                            ;   in Loop: Header=BB632_20 Depth=1
	v_mov_b32_e32 v0, 0
	s_waitcnt lgkmcnt(0)
	s_barrier
	s_and_saveexec_b64 s[16:17], s[4:5]
	s_cbranch_execz .LBB632_390
; %bb.389:                              ;   in Loop: Header=BB632_20 Depth=1
	ds_read2_b64 v[30:33], v17 offset1:1
	s_waitcnt lgkmcnt(0)
	v_add_u32_e32 v0, v31, v30
	v_add3_u32 v0, v0, v32, v33
.LBB632_390:                            ;   in Loop: Header=BB632_20 Depth=1
	s_or_b64 exec, exec, s[16:17]
	s_nop 0
	v_mov_b32_dpp v1, v0 row_shr:1 row_mask:0xf bank_mask:0xf
	v_cmp_eq_u32_e64 s[16:17], 0, v102
	v_cndmask_b32_e64 v1, v1, 0, s[16:17]
	v_add_u32_e32 v0, v1, v0
	v_cmp_lt_u32_e64 s[18:19], 1, v102
	v_cmp_lt_u32_e64 s[20:21], 3, v102
	v_mov_b32_dpp v1, v0 row_shr:2 row_mask:0xf bank_mask:0xf
	v_cndmask_b32_e64 v1, 0, v1, s[18:19]
	v_add_u32_e32 v0, v0, v1
	v_cmp_lt_u32_e64 s[22:23], 7, v102
	v_cmp_lt_u32_e64 s[26:27], 31, v101
	v_mov_b32_dpp v1, v0 row_shr:4 row_mask:0xf bank_mask:0xf
	v_cndmask_b32_e64 v1, 0, v1, s[20:21]
	v_add_u32_e32 v0, v0, v1
	v_cmp_eq_u32_e64 s[24:25], 0, v104
	s_nop 0
	v_mov_b32_dpp v1, v0 row_shr:8 row_mask:0xf bank_mask:0xf
	v_cndmask_b32_e64 v1, 0, v1, s[22:23]
	v_add_u32_e32 v0, v0, v1
	s_nop 1
	v_mov_b32_dpp v1, v0 row_bcast:15 row_mask:0xf bank_mask:0xf
	v_and_b32_e32 v1, v103, v1
	v_add_u32_e32 v0, v0, v1
	s_nop 1
	v_mov_b32_dpp v1, v0 row_bcast:31 row_mask:0xf bank_mask:0xf
	v_cndmask_b32_e64 v1, 0, v1, s[26:27]
	v_add_u32_e32 v0, v0, v1
	s_and_saveexec_b64 s[28:29], s[6:7]
	s_cbranch_execz .LBB632_392
; %bb.391:                              ;   in Loop: Header=BB632_20 Depth=1
	ds_write_b32 v21, v0
.LBB632_392:                            ;   in Loop: Header=BB632_20 Depth=1
	s_or_b64 exec, exec, s[28:29]
	s_waitcnt lgkmcnt(0)
	s_barrier
	s_and_saveexec_b64 s[28:29], s[8:9]
	s_cbranch_execz .LBB632_394
; %bb.393:                              ;   in Loop: Header=BB632_20 Depth=1
	ds_read_b32 v1, v23
	v_cmp_ne_u32_e32 vcc, 0, v105
	s_waitcnt lgkmcnt(0)
	v_mov_b32_dpp v5, v1 row_shr:1 row_mask:0xf bank_mask:0xf
	v_cndmask_b32_e32 v5, 0, v5, vcc
	v_add_u32_e32 v1, v5, v1
	v_cmp_lt_u32_e32 vcc, 1, v105
	s_nop 0
	v_mov_b32_dpp v5, v1 row_shr:2 row_mask:0xf bank_mask:0xf
	v_cndmask_b32_e32 v5, 0, v5, vcc
	v_add_u32_e32 v1, v1, v5
	ds_write_b32 v23, v1
.LBB632_394:                            ;   in Loop: Header=BB632_20 Depth=1
	s_or_b64 exec, exec, s[28:29]
	v_mov_b32_e32 v1, 0
	s_waitcnt lgkmcnt(0)
	s_barrier
	s_and_saveexec_b64 s[28:29], s[10:11]
	s_cbranch_execz .LBB632_396
; %bb.395:                              ;   in Loop: Header=BB632_20 Depth=1
	ds_read_b32 v1, v25
.LBB632_396:                            ;   in Loop: Header=BB632_20 Depth=1
	s_or_b64 exec, exec, s[28:29]
	v_cmp_lt_i32_e32 vcc, v106, v107
	v_cndmask_b32_e32 v5, v106, v101, vcc
	s_waitcnt lgkmcnt(0)
	v_add_u32_e32 v0, v1, v0
	v_lshlrev_b32_e32 v127, 2, v5
	ds_bpermute_b32 v0, v127, v0
	v_cmp_eq_u32_e64 s[28:29], 0, v101
	s_waitcnt lgkmcnt(0)
	s_barrier
	s_and_saveexec_b64 s[30:31], s[4:5]
	s_cbranch_execz .LBB632_398
; %bb.397:                              ;   in Loop: Header=BB632_20 Depth=1
	v_cndmask_b32_e64 v0, v0, v1, s[28:29]
	v_add_u32_e32 v0, s69, v0
	ds_write_b32 v3, v0
.LBB632_398:                            ;   in Loop: Header=BB632_20 Depth=1
	s_or_b64 exec, exec, s[30:31]
	s_load_dwordx2 s[30:31], s[90:91], 0x0
	v_add_co_u32_e32 v128, vcc, v76, v108
	v_addc_co_u32_e32 v129, vcc, 0, v77, vcc
	s_waitcnt lgkmcnt(0)
	s_cmp_lt_u32 s68, s30
	s_cselect_b32 s34, 12, 18
	s_cmp_lt_u32 s33, s31
	s_cselect_b32 s30, 14, 20
	s_add_u32 s30, s90, s30
	s_addc_u32 s31, s91, 0
	s_add_u32 s34, s90, s34
	global_load_ushort v5, v4, s[30:31]
	s_addc_u32 s35, s91, 0
	global_load_ushort v60, v4, s[34:35]
	v_add_co_u32_e32 v130, vcc, v78, v125
	v_addc_co_u32_e32 v131, vcc, 0, v79, vcc
	v_add_co_u32_e32 v145, vcc, 0xf00, v130
	v_cmp_eq_u32_e64 s[30:31], 0, v105
	v_cmp_lt_u32_e64 s[34:35], 1, v105
	s_mov_b32 s95, s87
	v_addc_co_u32_e32 v148, vcc, 0, v131, vcc
	s_mov_b32 s88, s69
                                        ; implicit-def: $vgpr0_vgpr1
                                        ; implicit-def: $vgpr30_vgpr31
                                        ; implicit-def: $vgpr32_vgpr33
                                        ; implicit-def: $vgpr36_vgpr37
                                        ; implicit-def: $vgpr40_vgpr41
                                        ; implicit-def: $vgpr44_vgpr45
                                        ; implicit-def: $vgpr48_vgpr49
                                        ; implicit-def: $vgpr52_vgpr53
                                        ; implicit-def: $vgpr34_vgpr35
                                        ; implicit-def: $vgpr38_vgpr39
                                        ; implicit-def: $vgpr42_vgpr43
                                        ; implicit-def: $vgpr46_vgpr47
                                        ; implicit-def: $vgpr50_vgpr51
                                        ; implicit-def: $vgpr54_vgpr55
                                        ; implicit-def: $vgpr56_vgpr57
                                        ; implicit-def: $vgpr58_vgpr59
                                        ; implicit-def: $vgpr132
                                        ; implicit-def: $vgpr133
                                        ; implicit-def: $vgpr134
                                        ; implicit-def: $vgpr135
                                        ; implicit-def: $vgpr136
                                        ; implicit-def: $vgpr137
                                        ; implicit-def: $vgpr138
                                        ; implicit-def: $vgpr139
                                        ; implicit-def: $vgpr140
                                        ; implicit-def: $vgpr141
                                        ; implicit-def: $vgpr142
                                        ; implicit-def: $vgpr143
                                        ; implicit-def: $vgpr144
                                        ; implicit-def: $vgpr146
                                        ; implicit-def: $vgpr147
                                        ; implicit-def: $vgpr149
	s_waitcnt vmcnt(1)
	v_mad_u32_u24 v5, v27, v5, v29
	s_waitcnt vmcnt(0)
	v_mad_u64_u32 v[60:61], s[36:37], v5, v60, v[2:3]
	v_lshrrev_b32_e32 v150, 6, v60
	s_branch .LBB632_400
.LBB632_399:                            ;   in Loop: Header=BB632_400 Depth=2
	s_or_b64 exec, exec, s[36:37]
	s_addk_i32 s95, 0xf000
	s_cmp_lt_u32 s96, s92
	s_mov_b32 s88, s96
	s_cbranch_scc0 .LBB632_608
.LBB632_400:                            ;   Parent Loop BB632_20 Depth=1
                                        ; =>  This Inner Loop Header: Depth=2
	s_add_i32 s96, s88, 0x1000
	s_cmp_gt_u32 s96, s92
	s_cbranch_scc1 .LBB632_403
; %bb.401:                              ;   in Loop: Header=BB632_400 Depth=2
	s_lshl_b64 s[36:37], s[88:89], 2
	v_mov_b32_e32 v5, s37
	v_add_co_u32_e32 v60, vcc, s36, v130
	v_addc_co_u32_e32 v61, vcc, v131, v5, vcc
	global_load_dword v5, v[60:61], off
	global_load_dword v154, v[60:61], off offset:256
	global_load_dword v159, v[60:61], off offset:512
	;; [unrolled: 1-line block ×14, first 2 shown]
	s_mov_b64 s[36:37], -1
	s_movk_i32 s40, 0x1000
	s_cbranch_execz .LBB632_404
; %bb.402:                              ;   in Loop: Header=BB632_400 Depth=2
                                        ; implicit-def: $sgpr38
	v_mov_b32_e32 v63, s38
	v_mov_b32_e32 v151, s95
	s_and_saveexec_b64 s[38:39], s[36:37]
	s_cbranch_execnz .LBB632_435
	s_branch .LBB632_436
.LBB632_403:                            ;   in Loop: Header=BB632_400 Depth=2
	s_mov_b64 s[36:37], 0
                                        ; implicit-def: $sgpr40
                                        ; implicit-def: $vgpr5
                                        ; implicit-def: $vgpr154
                                        ; implicit-def: $vgpr159
                                        ; implicit-def: $vgpr164
                                        ; implicit-def: $vgpr169
                                        ; implicit-def: $vgpr174
                                        ; implicit-def: $vgpr179
                                        ; implicit-def: $vgpr184
                                        ; implicit-def: $vgpr182
                                        ; implicit-def: $vgpr177
                                        ; implicit-def: $vgpr173
                                        ; implicit-def: $vgpr168
                                        ; implicit-def: $vgpr163
                                        ; implicit-def: $vgpr158
                                        ; implicit-def: $vgpr62
.LBB632_404:                            ;   in Loop: Header=BB632_400 Depth=2
	s_lshl_b64 s[36:37], s[88:89], 2
	s_waitcnt vmcnt(14)
	v_mov_b32_e32 v5, s37
	v_add_co_u32_e32 v60, vcc, s36, v130
	v_addc_co_u32_e32 v61, vcc, v131, v5, vcc
	v_cmp_gt_u32_e32 vcc, s95, v109
	s_waitcnt vmcnt(13)
	v_bfrev_b32_e32 v154, -2
	v_bfrev_b32_e32 v5, -2
	s_and_saveexec_b64 s[36:37], vcc
	s_cbranch_execz .LBB632_406
; %bb.405:                              ;   in Loop: Header=BB632_400 Depth=2
	global_load_dword v5, v[60:61], off
.LBB632_406:                            ;   in Loop: Header=BB632_400 Depth=2
	s_or_b64 exec, exec, s[36:37]
	v_cmp_gt_u32_e32 vcc, s95, v110
	s_and_saveexec_b64 s[36:37], vcc
	s_cbranch_execz .LBB632_408
; %bb.407:                              ;   in Loop: Header=BB632_400 Depth=2
	global_load_dword v154, v[60:61], off offset:256
.LBB632_408:                            ;   in Loop: Header=BB632_400 Depth=2
	s_or_b64 exec, exec, s[36:37]
	v_cmp_gt_u32_e32 vcc, s95, v111
	s_waitcnt vmcnt(11)
	v_bfrev_b32_e32 v164, -2
	v_bfrev_b32_e32 v159, -2
	s_and_saveexec_b64 s[36:37], vcc
	s_cbranch_execz .LBB632_410
; %bb.409:                              ;   in Loop: Header=BB632_400 Depth=2
	global_load_dword v159, v[60:61], off offset:512
.LBB632_410:                            ;   in Loop: Header=BB632_400 Depth=2
	s_or_b64 exec, exec, s[36:37]
	v_cmp_gt_u32_e32 vcc, s95, v112
	s_and_saveexec_b64 s[36:37], vcc
	s_cbranch_execz .LBB632_412
; %bb.411:                              ;   in Loop: Header=BB632_400 Depth=2
	global_load_dword v164, v[60:61], off offset:768
.LBB632_412:                            ;   in Loop: Header=BB632_400 Depth=2
	s_or_b64 exec, exec, s[36:37]
	v_cmp_gt_u32_e32 vcc, s95, v113
	s_waitcnt vmcnt(9)
	v_bfrev_b32_e32 v174, -2
	v_bfrev_b32_e32 v169, -2
	s_and_saveexec_b64 s[36:37], vcc
	s_cbranch_execz .LBB632_414
; %bb.413:                              ;   in Loop: Header=BB632_400 Depth=2
	global_load_dword v169, v[60:61], off offset:1024
.LBB632_414:                            ;   in Loop: Header=BB632_400 Depth=2
	;; [unrolled: 17-line block ×6, first 2 shown]
	s_or_b64 exec, exec, s[36:37]
	v_cmp_gt_u32_e32 vcc, s95, v122
	s_and_saveexec_b64 s[36:37], vcc
	s_cbranch_execz .LBB632_432
; %bb.431:                              ;   in Loop: Header=BB632_400 Depth=2
	global_load_dword v158, v[60:61], off offset:3328
.LBB632_432:                            ;   in Loop: Header=BB632_400 Depth=2
	s_or_b64 exec, exec, s[36:37]
	v_cmp_gt_u32_e32 vcc, s95, v123
	s_waitcnt vmcnt(0)
	v_bfrev_b32_e32 v62, -2
	s_and_saveexec_b64 s[36:37], vcc
	s_cbranch_execz .LBB632_434
; %bb.433:                              ;   in Loop: Header=BB632_400 Depth=2
	global_load_dword v62, v[60:61], off offset:3584
.LBB632_434:                            ;   in Loop: Header=BB632_400 Depth=2
	s_or_b64 exec, exec, s[36:37]
	s_sub_i32 s40, s92, s88
	v_cmp_gt_u32_e64 s[36:37], s95, v124
	s_brev_b32 s38, -2
	v_mov_b32_e32 v63, s38
	v_mov_b32_e32 v151, s95
	s_and_saveexec_b64 s[38:39], s[36:37]
	s_cbranch_execz .LBB632_436
.LBB632_435:                            ;   in Loop: Header=BB632_400 Depth=2
	s_lshl_b64 s[36:37], s[88:89], 2
	v_mov_b32_e32 v61, s37
	v_add_co_u32_e32 v60, vcc, s36, v145
	v_addc_co_u32_e32 v61, vcc, v148, v61, vcc
	global_load_dword v63, v[60:61], off
	v_mov_b32_e32 v151, s40
.LBB632_436:                            ;   in Loop: Header=BB632_400 Depth=2
	s_or_b64 exec, exec, s[38:39]
	s_waitcnt vmcnt(14)
	v_xor_b32_e32 v152, 0x80000000, v5
	v_lshrrev_b32_e32 v5, s93, v152
	v_and_b32_e32 v60, s94, v5
	v_mad_u32_u24 v5, v60, 5, v150
	v_lshl_add_u32 v153, v5, 2, v65
	v_and_b32_e32 v5, 1, v60
	v_add_co_u32_e32 v61, vcc, -1, v5
	v_addc_co_u32_e64 v155, s[36:37], 0, -1, vcc
	v_cmp_ne_u32_e32 vcc, 0, v5
	v_xor_b32_e32 v5, vcc_hi, v155
	v_and_b32_e32 v155, exec_hi, v5
	v_lshlrev_b32_e32 v5, 30, v60
	v_xor_b32_e32 v61, vcc_lo, v61
	v_cmp_gt_i64_e32 vcc, 0, v[4:5]
	v_not_b32_e32 v5, v5
	v_ashrrev_i32_e32 v5, 31, v5
	v_and_b32_e32 v61, exec_lo, v61
	v_xor_b32_e32 v156, vcc_hi, v5
	v_xor_b32_e32 v5, vcc_lo, v5
	v_and_b32_e32 v61, v61, v5
	v_lshlrev_b32_e32 v5, 29, v60
	v_cmp_gt_i64_e32 vcc, 0, v[4:5]
	v_not_b32_e32 v5, v5
	v_ashrrev_i32_e32 v5, 31, v5
	v_and_b32_e32 v155, v155, v156
	v_xor_b32_e32 v156, vcc_hi, v5
	v_xor_b32_e32 v5, vcc_lo, v5
	v_and_b32_e32 v61, v61, v5
	v_lshlrev_b32_e32 v5, 28, v60
	v_cmp_gt_i64_e32 vcc, 0, v[4:5]
	v_not_b32_e32 v5, v5
	v_ashrrev_i32_e32 v5, 31, v5
	v_and_b32_e32 v155, v155, v156
	;; [unrolled: 8-line block ×5, first 2 shown]
	v_xor_b32_e32 v156, vcc_hi, v5
	v_xor_b32_e32 v5, vcc_lo, v5
	v_and_b32_e32 v155, v155, v156
	v_and_b32_e32 v156, v61, v5
	v_lshlrev_b32_e32 v5, 24, v60
	v_cmp_gt_i64_e32 vcc, 0, v[4:5]
	v_not_b32_e32 v5, v5
	v_ashrrev_i32_e32 v5, 31, v5
	v_xor_b32_e32 v60, vcc_hi, v5
	v_xor_b32_e32 v5, vcc_lo, v5
	v_and_b32_e32 v61, v155, v60
	v_and_b32_e32 v60, v156, v5
	v_mbcnt_lo_u32_b32 v5, v60, 0
	v_mbcnt_hi_u32_b32 v155, v61, v5
	v_cmp_eq_u32_e32 vcc, 0, v155
	v_cmp_ne_u64_e64 s[36:37], 0, v[60:61]
	s_and_b64 s[38:39], s[36:37], vcc
	ds_write2_b32 v126, v4, v4 offset1:1
	ds_write2_b32 v66, v4, v4 offset0:2 offset1:3
	ds_write_b32 v66, v4 offset:16
	s_waitcnt lgkmcnt(0)
	s_barrier
	s_waitcnt lgkmcnt(0)
	; wave barrier
	s_and_saveexec_b64 s[36:37], s[38:39]
	s_cbranch_execz .LBB632_438
; %bb.437:                              ;   in Loop: Header=BB632_400 Depth=2
	v_bcnt_u32_b32 v5, v60, 0
	v_bcnt_u32_b32 v5, v61, v5
	ds_write_b32 v153, v5
.LBB632_438:                            ;   in Loop: Header=BB632_400 Depth=2
	s_or_b64 exec, exec, s[36:37]
	s_waitcnt vmcnt(13)
	v_xor_b32_e32 v154, 0x80000000, v154
	v_lshrrev_b32_e32 v5, s93, v154
	v_and_b32_e32 v60, s94, v5
	v_mul_u32_u24_e32 v5, 5, v60
	v_add_lshl_u32 v5, v5, v150, 2
	; wave barrier
	v_add_u32_e32 v157, 0x410, v5
	ds_read_b32 v156, v5 offset:1040
	v_and_b32_e32 v5, 1, v60
	v_add_co_u32_e32 v61, vcc, -1, v5
	v_addc_co_u32_e64 v160, s[36:37], 0, -1, vcc
	v_cmp_ne_u32_e32 vcc, 0, v5
	v_xor_b32_e32 v5, vcc_hi, v160
	v_and_b32_e32 v160, exec_hi, v5
	v_lshlrev_b32_e32 v5, 30, v60
	v_xor_b32_e32 v61, vcc_lo, v61
	v_cmp_gt_i64_e32 vcc, 0, v[4:5]
	v_not_b32_e32 v5, v5
	v_ashrrev_i32_e32 v5, 31, v5
	v_and_b32_e32 v61, exec_lo, v61
	v_xor_b32_e32 v161, vcc_hi, v5
	v_xor_b32_e32 v5, vcc_lo, v5
	v_and_b32_e32 v61, v61, v5
	v_lshlrev_b32_e32 v5, 29, v60
	v_cmp_gt_i64_e32 vcc, 0, v[4:5]
	v_not_b32_e32 v5, v5
	v_ashrrev_i32_e32 v5, 31, v5
	v_and_b32_e32 v160, v160, v161
	v_xor_b32_e32 v161, vcc_hi, v5
	v_xor_b32_e32 v5, vcc_lo, v5
	v_and_b32_e32 v61, v61, v5
	v_lshlrev_b32_e32 v5, 28, v60
	v_cmp_gt_i64_e32 vcc, 0, v[4:5]
	v_not_b32_e32 v5, v5
	v_ashrrev_i32_e32 v5, 31, v5
	v_and_b32_e32 v160, v160, v161
	;; [unrolled: 8-line block ×5, first 2 shown]
	v_xor_b32_e32 v161, vcc_hi, v5
	v_xor_b32_e32 v5, vcc_lo, v5
	v_and_b32_e32 v160, v160, v161
	v_and_b32_e32 v161, v61, v5
	v_lshlrev_b32_e32 v5, 24, v60
	v_cmp_gt_i64_e32 vcc, 0, v[4:5]
	v_not_b32_e32 v5, v5
	v_ashrrev_i32_e32 v5, 31, v5
	v_xor_b32_e32 v60, vcc_hi, v5
	v_xor_b32_e32 v5, vcc_lo, v5
	v_and_b32_e32 v61, v160, v60
	v_and_b32_e32 v60, v161, v5
	v_mbcnt_lo_u32_b32 v5, v60, 0
	v_mbcnt_hi_u32_b32 v160, v61, v5
	v_cmp_eq_u32_e32 vcc, 0, v160
	v_cmp_ne_u64_e64 s[36:37], 0, v[60:61]
	s_and_b64 s[38:39], s[36:37], vcc
	; wave barrier
	s_and_saveexec_b64 s[36:37], s[38:39]
	s_cbranch_execz .LBB632_440
; %bb.439:                              ;   in Loop: Header=BB632_400 Depth=2
	v_bcnt_u32_b32 v5, v60, 0
	v_bcnt_u32_b32 v5, v61, v5
	s_waitcnt lgkmcnt(0)
	v_add_u32_e32 v5, v156, v5
	ds_write_b32 v157, v5
.LBB632_440:                            ;   in Loop: Header=BB632_400 Depth=2
	s_or_b64 exec, exec, s[36:37]
	s_waitcnt vmcnt(12)
	v_xor_b32_e32 v159, 0x80000000, v159
	v_lshrrev_b32_e32 v5, s93, v159
	v_and_b32_e32 v60, s94, v5
	v_mul_u32_u24_e32 v5, 5, v60
	v_add_lshl_u32 v5, v5, v150, 2
	; wave barrier
	v_add_u32_e32 v162, 0x410, v5
	ds_read_b32 v161, v5 offset:1040
	v_and_b32_e32 v5, 1, v60
	v_add_co_u32_e32 v61, vcc, -1, v5
	v_addc_co_u32_e64 v165, s[36:37], 0, -1, vcc
	v_cmp_ne_u32_e32 vcc, 0, v5
	v_xor_b32_e32 v5, vcc_hi, v165
	v_and_b32_e32 v165, exec_hi, v5
	v_lshlrev_b32_e32 v5, 30, v60
	v_xor_b32_e32 v61, vcc_lo, v61
	v_cmp_gt_i64_e32 vcc, 0, v[4:5]
	v_not_b32_e32 v5, v5
	v_ashrrev_i32_e32 v5, 31, v5
	v_and_b32_e32 v61, exec_lo, v61
	v_xor_b32_e32 v166, vcc_hi, v5
	v_xor_b32_e32 v5, vcc_lo, v5
	v_and_b32_e32 v61, v61, v5
	v_lshlrev_b32_e32 v5, 29, v60
	v_cmp_gt_i64_e32 vcc, 0, v[4:5]
	v_not_b32_e32 v5, v5
	v_ashrrev_i32_e32 v5, 31, v5
	v_and_b32_e32 v165, v165, v166
	v_xor_b32_e32 v166, vcc_hi, v5
	v_xor_b32_e32 v5, vcc_lo, v5
	v_and_b32_e32 v61, v61, v5
	v_lshlrev_b32_e32 v5, 28, v60
	v_cmp_gt_i64_e32 vcc, 0, v[4:5]
	v_not_b32_e32 v5, v5
	v_ashrrev_i32_e32 v5, 31, v5
	v_and_b32_e32 v165, v165, v166
	;; [unrolled: 8-line block ×5, first 2 shown]
	v_xor_b32_e32 v166, vcc_hi, v5
	v_xor_b32_e32 v5, vcc_lo, v5
	v_and_b32_e32 v165, v165, v166
	v_and_b32_e32 v166, v61, v5
	v_lshlrev_b32_e32 v5, 24, v60
	v_cmp_gt_i64_e32 vcc, 0, v[4:5]
	v_not_b32_e32 v5, v5
	v_ashrrev_i32_e32 v5, 31, v5
	v_xor_b32_e32 v60, vcc_hi, v5
	v_xor_b32_e32 v5, vcc_lo, v5
	v_and_b32_e32 v61, v165, v60
	v_and_b32_e32 v60, v166, v5
	v_mbcnt_lo_u32_b32 v5, v60, 0
	v_mbcnt_hi_u32_b32 v165, v61, v5
	v_cmp_eq_u32_e32 vcc, 0, v165
	v_cmp_ne_u64_e64 s[36:37], 0, v[60:61]
	s_and_b64 s[38:39], s[36:37], vcc
	; wave barrier
	s_and_saveexec_b64 s[36:37], s[38:39]
	s_cbranch_execz .LBB632_442
; %bb.441:                              ;   in Loop: Header=BB632_400 Depth=2
	v_bcnt_u32_b32 v5, v60, 0
	v_bcnt_u32_b32 v5, v61, v5
	s_waitcnt lgkmcnt(0)
	v_add_u32_e32 v5, v161, v5
	ds_write_b32 v162, v5
.LBB632_442:                            ;   in Loop: Header=BB632_400 Depth=2
	s_or_b64 exec, exec, s[36:37]
	s_waitcnt vmcnt(11)
	v_xor_b32_e32 v164, 0x80000000, v164
	v_lshrrev_b32_e32 v5, s93, v164
	v_and_b32_e32 v60, s94, v5
	v_mul_u32_u24_e32 v5, 5, v60
	v_add_lshl_u32 v5, v5, v150, 2
	; wave barrier
	v_add_u32_e32 v167, 0x410, v5
	ds_read_b32 v166, v5 offset:1040
	v_and_b32_e32 v5, 1, v60
	v_add_co_u32_e32 v61, vcc, -1, v5
	v_addc_co_u32_e64 v170, s[36:37], 0, -1, vcc
	v_cmp_ne_u32_e32 vcc, 0, v5
	v_xor_b32_e32 v5, vcc_hi, v170
	v_and_b32_e32 v170, exec_hi, v5
	v_lshlrev_b32_e32 v5, 30, v60
	v_xor_b32_e32 v61, vcc_lo, v61
	v_cmp_gt_i64_e32 vcc, 0, v[4:5]
	v_not_b32_e32 v5, v5
	v_ashrrev_i32_e32 v5, 31, v5
	v_and_b32_e32 v61, exec_lo, v61
	v_xor_b32_e32 v171, vcc_hi, v5
	v_xor_b32_e32 v5, vcc_lo, v5
	v_and_b32_e32 v61, v61, v5
	v_lshlrev_b32_e32 v5, 29, v60
	v_cmp_gt_i64_e32 vcc, 0, v[4:5]
	v_not_b32_e32 v5, v5
	v_ashrrev_i32_e32 v5, 31, v5
	v_and_b32_e32 v170, v170, v171
	v_xor_b32_e32 v171, vcc_hi, v5
	v_xor_b32_e32 v5, vcc_lo, v5
	v_and_b32_e32 v61, v61, v5
	v_lshlrev_b32_e32 v5, 28, v60
	v_cmp_gt_i64_e32 vcc, 0, v[4:5]
	v_not_b32_e32 v5, v5
	v_ashrrev_i32_e32 v5, 31, v5
	v_and_b32_e32 v170, v170, v171
	;; [unrolled: 8-line block ×5, first 2 shown]
	v_xor_b32_e32 v171, vcc_hi, v5
	v_xor_b32_e32 v5, vcc_lo, v5
	v_and_b32_e32 v170, v170, v171
	v_and_b32_e32 v171, v61, v5
	v_lshlrev_b32_e32 v5, 24, v60
	v_cmp_gt_i64_e32 vcc, 0, v[4:5]
	v_not_b32_e32 v5, v5
	v_ashrrev_i32_e32 v5, 31, v5
	v_xor_b32_e32 v60, vcc_hi, v5
	v_xor_b32_e32 v5, vcc_lo, v5
	v_and_b32_e32 v61, v170, v60
	v_and_b32_e32 v60, v171, v5
	v_mbcnt_lo_u32_b32 v5, v60, 0
	v_mbcnt_hi_u32_b32 v170, v61, v5
	v_cmp_eq_u32_e32 vcc, 0, v170
	v_cmp_ne_u64_e64 s[36:37], 0, v[60:61]
	s_and_b64 s[38:39], s[36:37], vcc
	; wave barrier
	s_and_saveexec_b64 s[36:37], s[38:39]
	s_cbranch_execz .LBB632_444
; %bb.443:                              ;   in Loop: Header=BB632_400 Depth=2
	v_bcnt_u32_b32 v5, v60, 0
	v_bcnt_u32_b32 v5, v61, v5
	s_waitcnt lgkmcnt(0)
	v_add_u32_e32 v5, v166, v5
	ds_write_b32 v167, v5
.LBB632_444:                            ;   in Loop: Header=BB632_400 Depth=2
	s_or_b64 exec, exec, s[36:37]
	s_waitcnt vmcnt(10)
	v_xor_b32_e32 v169, 0x80000000, v169
	v_lshrrev_b32_e32 v5, s93, v169
	v_and_b32_e32 v60, s94, v5
	v_mul_u32_u24_e32 v5, 5, v60
	v_add_lshl_u32 v5, v5, v150, 2
	; wave barrier
	v_add_u32_e32 v172, 0x410, v5
	ds_read_b32 v171, v5 offset:1040
	v_and_b32_e32 v5, 1, v60
	v_add_co_u32_e32 v61, vcc, -1, v5
	v_addc_co_u32_e64 v175, s[36:37], 0, -1, vcc
	v_cmp_ne_u32_e32 vcc, 0, v5
	v_xor_b32_e32 v5, vcc_hi, v175
	v_and_b32_e32 v175, exec_hi, v5
	v_lshlrev_b32_e32 v5, 30, v60
	v_xor_b32_e32 v61, vcc_lo, v61
	v_cmp_gt_i64_e32 vcc, 0, v[4:5]
	v_not_b32_e32 v5, v5
	v_ashrrev_i32_e32 v5, 31, v5
	v_and_b32_e32 v61, exec_lo, v61
	v_xor_b32_e32 v176, vcc_hi, v5
	v_xor_b32_e32 v5, vcc_lo, v5
	v_and_b32_e32 v61, v61, v5
	v_lshlrev_b32_e32 v5, 29, v60
	v_cmp_gt_i64_e32 vcc, 0, v[4:5]
	v_not_b32_e32 v5, v5
	v_ashrrev_i32_e32 v5, 31, v5
	v_and_b32_e32 v175, v175, v176
	v_xor_b32_e32 v176, vcc_hi, v5
	v_xor_b32_e32 v5, vcc_lo, v5
	v_and_b32_e32 v61, v61, v5
	v_lshlrev_b32_e32 v5, 28, v60
	v_cmp_gt_i64_e32 vcc, 0, v[4:5]
	v_not_b32_e32 v5, v5
	v_ashrrev_i32_e32 v5, 31, v5
	v_and_b32_e32 v175, v175, v176
	;; [unrolled: 8-line block ×5, first 2 shown]
	v_xor_b32_e32 v176, vcc_hi, v5
	v_xor_b32_e32 v5, vcc_lo, v5
	v_and_b32_e32 v175, v175, v176
	v_and_b32_e32 v176, v61, v5
	v_lshlrev_b32_e32 v5, 24, v60
	v_cmp_gt_i64_e32 vcc, 0, v[4:5]
	v_not_b32_e32 v5, v5
	v_ashrrev_i32_e32 v5, 31, v5
	v_xor_b32_e32 v60, vcc_hi, v5
	v_xor_b32_e32 v5, vcc_lo, v5
	v_and_b32_e32 v61, v175, v60
	v_and_b32_e32 v60, v176, v5
	v_mbcnt_lo_u32_b32 v5, v60, 0
	v_mbcnt_hi_u32_b32 v175, v61, v5
	v_cmp_eq_u32_e32 vcc, 0, v175
	v_cmp_ne_u64_e64 s[36:37], 0, v[60:61]
	s_and_b64 s[38:39], s[36:37], vcc
	; wave barrier
	s_and_saveexec_b64 s[36:37], s[38:39]
	s_cbranch_execz .LBB632_446
; %bb.445:                              ;   in Loop: Header=BB632_400 Depth=2
	v_bcnt_u32_b32 v5, v60, 0
	v_bcnt_u32_b32 v5, v61, v5
	s_waitcnt lgkmcnt(0)
	v_add_u32_e32 v5, v171, v5
	ds_write_b32 v172, v5
.LBB632_446:                            ;   in Loop: Header=BB632_400 Depth=2
	s_or_b64 exec, exec, s[36:37]
	s_waitcnt vmcnt(9)
	v_xor_b32_e32 v174, 0x80000000, v174
	v_lshrrev_b32_e32 v5, s93, v174
	v_and_b32_e32 v60, s94, v5
	v_mul_u32_u24_e32 v5, 5, v60
	v_add_lshl_u32 v5, v5, v150, 2
	; wave barrier
	v_add_u32_e32 v178, 0x410, v5
	ds_read_b32 v176, v5 offset:1040
	v_and_b32_e32 v5, 1, v60
	v_add_co_u32_e32 v61, vcc, -1, v5
	v_addc_co_u32_e64 v180, s[36:37], 0, -1, vcc
	v_cmp_ne_u32_e32 vcc, 0, v5
	v_xor_b32_e32 v5, vcc_hi, v180
	v_and_b32_e32 v180, exec_hi, v5
	v_lshlrev_b32_e32 v5, 30, v60
	v_xor_b32_e32 v61, vcc_lo, v61
	v_cmp_gt_i64_e32 vcc, 0, v[4:5]
	v_not_b32_e32 v5, v5
	v_ashrrev_i32_e32 v5, 31, v5
	v_and_b32_e32 v61, exec_lo, v61
	v_xor_b32_e32 v181, vcc_hi, v5
	v_xor_b32_e32 v5, vcc_lo, v5
	v_and_b32_e32 v61, v61, v5
	v_lshlrev_b32_e32 v5, 29, v60
	v_cmp_gt_i64_e32 vcc, 0, v[4:5]
	v_not_b32_e32 v5, v5
	v_ashrrev_i32_e32 v5, 31, v5
	v_and_b32_e32 v180, v180, v181
	v_xor_b32_e32 v181, vcc_hi, v5
	v_xor_b32_e32 v5, vcc_lo, v5
	v_and_b32_e32 v61, v61, v5
	v_lshlrev_b32_e32 v5, 28, v60
	v_cmp_gt_i64_e32 vcc, 0, v[4:5]
	v_not_b32_e32 v5, v5
	v_ashrrev_i32_e32 v5, 31, v5
	v_and_b32_e32 v180, v180, v181
	;; [unrolled: 8-line block ×5, first 2 shown]
	v_xor_b32_e32 v181, vcc_hi, v5
	v_xor_b32_e32 v5, vcc_lo, v5
	v_and_b32_e32 v180, v180, v181
	v_and_b32_e32 v181, v61, v5
	v_lshlrev_b32_e32 v5, 24, v60
	v_cmp_gt_i64_e32 vcc, 0, v[4:5]
	v_not_b32_e32 v5, v5
	v_ashrrev_i32_e32 v5, 31, v5
	v_xor_b32_e32 v60, vcc_hi, v5
	v_xor_b32_e32 v5, vcc_lo, v5
	v_and_b32_e32 v61, v180, v60
	v_and_b32_e32 v60, v181, v5
	v_mbcnt_lo_u32_b32 v5, v60, 0
	v_mbcnt_hi_u32_b32 v180, v61, v5
	v_cmp_eq_u32_e32 vcc, 0, v180
	v_cmp_ne_u64_e64 s[36:37], 0, v[60:61]
	s_and_b64 s[38:39], s[36:37], vcc
	; wave barrier
	s_and_saveexec_b64 s[36:37], s[38:39]
	s_cbranch_execz .LBB632_448
; %bb.447:                              ;   in Loop: Header=BB632_400 Depth=2
	v_bcnt_u32_b32 v5, v60, 0
	v_bcnt_u32_b32 v5, v61, v5
	s_waitcnt lgkmcnt(0)
	v_add_u32_e32 v5, v176, v5
	ds_write_b32 v178, v5
.LBB632_448:                            ;   in Loop: Header=BB632_400 Depth=2
	s_or_b64 exec, exec, s[36:37]
	s_waitcnt vmcnt(8)
	v_xor_b32_e32 v179, 0x80000000, v179
	v_lshrrev_b32_e32 v5, s93, v179
	v_and_b32_e32 v60, s94, v5
	v_mul_u32_u24_e32 v5, 5, v60
	v_add_lshl_u32 v5, v5, v150, 2
	; wave barrier
	v_add_u32_e32 v183, 0x410, v5
	ds_read_b32 v181, v5 offset:1040
	v_and_b32_e32 v5, 1, v60
	v_add_co_u32_e32 v61, vcc, -1, v5
	v_addc_co_u32_e64 v185, s[36:37], 0, -1, vcc
	v_cmp_ne_u32_e32 vcc, 0, v5
	v_xor_b32_e32 v5, vcc_hi, v185
	v_and_b32_e32 v185, exec_hi, v5
	v_lshlrev_b32_e32 v5, 30, v60
	v_xor_b32_e32 v61, vcc_lo, v61
	v_cmp_gt_i64_e32 vcc, 0, v[4:5]
	v_not_b32_e32 v5, v5
	v_ashrrev_i32_e32 v5, 31, v5
	v_and_b32_e32 v61, exec_lo, v61
	v_xor_b32_e32 v186, vcc_hi, v5
	v_xor_b32_e32 v5, vcc_lo, v5
	v_and_b32_e32 v61, v61, v5
	v_lshlrev_b32_e32 v5, 29, v60
	v_cmp_gt_i64_e32 vcc, 0, v[4:5]
	v_not_b32_e32 v5, v5
	v_ashrrev_i32_e32 v5, 31, v5
	v_and_b32_e32 v185, v185, v186
	v_xor_b32_e32 v186, vcc_hi, v5
	v_xor_b32_e32 v5, vcc_lo, v5
	v_and_b32_e32 v61, v61, v5
	v_lshlrev_b32_e32 v5, 28, v60
	v_cmp_gt_i64_e32 vcc, 0, v[4:5]
	v_not_b32_e32 v5, v5
	v_ashrrev_i32_e32 v5, 31, v5
	v_and_b32_e32 v185, v185, v186
	;; [unrolled: 8-line block ×5, first 2 shown]
	v_xor_b32_e32 v186, vcc_hi, v5
	v_xor_b32_e32 v5, vcc_lo, v5
	v_and_b32_e32 v185, v185, v186
	v_and_b32_e32 v186, v61, v5
	v_lshlrev_b32_e32 v5, 24, v60
	v_cmp_gt_i64_e32 vcc, 0, v[4:5]
	v_not_b32_e32 v5, v5
	v_ashrrev_i32_e32 v5, 31, v5
	v_xor_b32_e32 v60, vcc_hi, v5
	v_xor_b32_e32 v5, vcc_lo, v5
	v_and_b32_e32 v61, v185, v60
	v_and_b32_e32 v60, v186, v5
	v_mbcnt_lo_u32_b32 v5, v60, 0
	v_mbcnt_hi_u32_b32 v185, v61, v5
	v_cmp_eq_u32_e32 vcc, 0, v185
	v_cmp_ne_u64_e64 s[36:37], 0, v[60:61]
	s_and_b64 s[38:39], s[36:37], vcc
	; wave barrier
	s_and_saveexec_b64 s[36:37], s[38:39]
	s_cbranch_execz .LBB632_450
; %bb.449:                              ;   in Loop: Header=BB632_400 Depth=2
	v_bcnt_u32_b32 v5, v60, 0
	v_bcnt_u32_b32 v5, v61, v5
	s_waitcnt lgkmcnt(0)
	v_add_u32_e32 v5, v181, v5
	ds_write_b32 v183, v5
.LBB632_450:                            ;   in Loop: Header=BB632_400 Depth=2
	s_or_b64 exec, exec, s[36:37]
	s_waitcnt vmcnt(7)
	v_xor_b32_e32 v184, 0x80000000, v184
	v_lshrrev_b32_e32 v5, s93, v184
	v_and_b32_e32 v60, s94, v5
	v_mul_u32_u24_e32 v5, 5, v60
	v_add_lshl_u32 v5, v5, v150, 2
	; wave barrier
	v_add_u32_e32 v187, 0x410, v5
	ds_read_b32 v186, v5 offset:1040
	v_and_b32_e32 v5, 1, v60
	v_add_co_u32_e32 v61, vcc, -1, v5
	v_addc_co_u32_e64 v188, s[36:37], 0, -1, vcc
	v_cmp_ne_u32_e32 vcc, 0, v5
	v_xor_b32_e32 v5, vcc_hi, v188
	v_and_b32_e32 v188, exec_hi, v5
	v_lshlrev_b32_e32 v5, 30, v60
	v_xor_b32_e32 v61, vcc_lo, v61
	v_cmp_gt_i64_e32 vcc, 0, v[4:5]
	v_not_b32_e32 v5, v5
	v_ashrrev_i32_e32 v5, 31, v5
	v_and_b32_e32 v61, exec_lo, v61
	v_xor_b32_e32 v189, vcc_hi, v5
	v_xor_b32_e32 v5, vcc_lo, v5
	v_and_b32_e32 v61, v61, v5
	v_lshlrev_b32_e32 v5, 29, v60
	v_cmp_gt_i64_e32 vcc, 0, v[4:5]
	v_not_b32_e32 v5, v5
	v_ashrrev_i32_e32 v5, 31, v5
	v_and_b32_e32 v188, v188, v189
	v_xor_b32_e32 v189, vcc_hi, v5
	v_xor_b32_e32 v5, vcc_lo, v5
	v_and_b32_e32 v61, v61, v5
	v_lshlrev_b32_e32 v5, 28, v60
	v_cmp_gt_i64_e32 vcc, 0, v[4:5]
	v_not_b32_e32 v5, v5
	v_ashrrev_i32_e32 v5, 31, v5
	v_and_b32_e32 v188, v188, v189
	;; [unrolled: 8-line block ×5, first 2 shown]
	v_xor_b32_e32 v189, vcc_hi, v5
	v_xor_b32_e32 v5, vcc_lo, v5
	v_and_b32_e32 v188, v188, v189
	v_and_b32_e32 v189, v61, v5
	v_lshlrev_b32_e32 v5, 24, v60
	v_cmp_gt_i64_e32 vcc, 0, v[4:5]
	v_not_b32_e32 v5, v5
	v_ashrrev_i32_e32 v5, 31, v5
	v_xor_b32_e32 v60, vcc_hi, v5
	v_xor_b32_e32 v5, vcc_lo, v5
	v_and_b32_e32 v61, v188, v60
	v_and_b32_e32 v60, v189, v5
	v_mbcnt_lo_u32_b32 v5, v60, 0
	v_mbcnt_hi_u32_b32 v188, v61, v5
	v_cmp_eq_u32_e32 vcc, 0, v188
	v_cmp_ne_u64_e64 s[36:37], 0, v[60:61]
	s_and_b64 s[38:39], s[36:37], vcc
	; wave barrier
	s_and_saveexec_b64 s[36:37], s[38:39]
	s_cbranch_execz .LBB632_452
; %bb.451:                              ;   in Loop: Header=BB632_400 Depth=2
	v_bcnt_u32_b32 v5, v60, 0
	v_bcnt_u32_b32 v5, v61, v5
	s_waitcnt lgkmcnt(0)
	v_add_u32_e32 v5, v186, v5
	ds_write_b32 v187, v5
.LBB632_452:                            ;   in Loop: Header=BB632_400 Depth=2
	s_or_b64 exec, exec, s[36:37]
	s_waitcnt vmcnt(6)
	v_xor_b32_e32 v182, 0x80000000, v182
	v_lshrrev_b32_e32 v5, s93, v182
	v_and_b32_e32 v60, s94, v5
	v_mul_u32_u24_e32 v5, 5, v60
	v_add_lshl_u32 v5, v5, v150, 2
	; wave barrier
	v_add_u32_e32 v190, 0x410, v5
	ds_read_b32 v189, v5 offset:1040
	v_and_b32_e32 v5, 1, v60
	v_add_co_u32_e32 v61, vcc, -1, v5
	v_addc_co_u32_e64 v191, s[36:37], 0, -1, vcc
	v_cmp_ne_u32_e32 vcc, 0, v5
	v_xor_b32_e32 v5, vcc_hi, v191
	v_and_b32_e32 v191, exec_hi, v5
	v_lshlrev_b32_e32 v5, 30, v60
	v_xor_b32_e32 v61, vcc_lo, v61
	v_cmp_gt_i64_e32 vcc, 0, v[4:5]
	v_not_b32_e32 v5, v5
	v_ashrrev_i32_e32 v5, 31, v5
	v_and_b32_e32 v61, exec_lo, v61
	v_xor_b32_e32 v192, vcc_hi, v5
	v_xor_b32_e32 v5, vcc_lo, v5
	v_and_b32_e32 v61, v61, v5
	v_lshlrev_b32_e32 v5, 29, v60
	v_cmp_gt_i64_e32 vcc, 0, v[4:5]
	v_not_b32_e32 v5, v5
	v_ashrrev_i32_e32 v5, 31, v5
	v_and_b32_e32 v191, v191, v192
	v_xor_b32_e32 v192, vcc_hi, v5
	v_xor_b32_e32 v5, vcc_lo, v5
	v_and_b32_e32 v61, v61, v5
	v_lshlrev_b32_e32 v5, 28, v60
	v_cmp_gt_i64_e32 vcc, 0, v[4:5]
	v_not_b32_e32 v5, v5
	v_ashrrev_i32_e32 v5, 31, v5
	v_and_b32_e32 v191, v191, v192
	;; [unrolled: 8-line block ×5, first 2 shown]
	v_xor_b32_e32 v192, vcc_hi, v5
	v_xor_b32_e32 v5, vcc_lo, v5
	v_and_b32_e32 v191, v191, v192
	v_and_b32_e32 v192, v61, v5
	v_lshlrev_b32_e32 v5, 24, v60
	v_cmp_gt_i64_e32 vcc, 0, v[4:5]
	v_not_b32_e32 v5, v5
	v_ashrrev_i32_e32 v5, 31, v5
	v_xor_b32_e32 v60, vcc_hi, v5
	v_xor_b32_e32 v5, vcc_lo, v5
	v_and_b32_e32 v61, v191, v60
	v_and_b32_e32 v60, v192, v5
	v_mbcnt_lo_u32_b32 v5, v60, 0
	v_mbcnt_hi_u32_b32 v191, v61, v5
	v_cmp_eq_u32_e32 vcc, 0, v191
	v_cmp_ne_u64_e64 s[36:37], 0, v[60:61]
	s_and_b64 s[38:39], s[36:37], vcc
	; wave barrier
	s_and_saveexec_b64 s[36:37], s[38:39]
	s_cbranch_execz .LBB632_454
; %bb.453:                              ;   in Loop: Header=BB632_400 Depth=2
	v_bcnt_u32_b32 v5, v60, 0
	v_bcnt_u32_b32 v5, v61, v5
	s_waitcnt lgkmcnt(0)
	v_add_u32_e32 v5, v189, v5
	ds_write_b32 v190, v5
.LBB632_454:                            ;   in Loop: Header=BB632_400 Depth=2
	s_or_b64 exec, exec, s[36:37]
	s_waitcnt vmcnt(5)
	v_xor_b32_e32 v177, 0x80000000, v177
	v_lshrrev_b32_e32 v5, s93, v177
	v_and_b32_e32 v60, s94, v5
	v_mul_u32_u24_e32 v5, 5, v60
	v_add_lshl_u32 v5, v5, v150, 2
	; wave barrier
	v_add_u32_e32 v193, 0x410, v5
	ds_read_b32 v192, v5 offset:1040
	v_and_b32_e32 v5, 1, v60
	v_add_co_u32_e32 v61, vcc, -1, v5
	v_addc_co_u32_e64 v194, s[36:37], 0, -1, vcc
	v_cmp_ne_u32_e32 vcc, 0, v5
	v_xor_b32_e32 v5, vcc_hi, v194
	v_and_b32_e32 v194, exec_hi, v5
	v_lshlrev_b32_e32 v5, 30, v60
	v_xor_b32_e32 v61, vcc_lo, v61
	v_cmp_gt_i64_e32 vcc, 0, v[4:5]
	v_not_b32_e32 v5, v5
	v_ashrrev_i32_e32 v5, 31, v5
	v_and_b32_e32 v61, exec_lo, v61
	v_xor_b32_e32 v195, vcc_hi, v5
	v_xor_b32_e32 v5, vcc_lo, v5
	v_and_b32_e32 v61, v61, v5
	v_lshlrev_b32_e32 v5, 29, v60
	v_cmp_gt_i64_e32 vcc, 0, v[4:5]
	v_not_b32_e32 v5, v5
	v_ashrrev_i32_e32 v5, 31, v5
	v_and_b32_e32 v194, v194, v195
	v_xor_b32_e32 v195, vcc_hi, v5
	v_xor_b32_e32 v5, vcc_lo, v5
	v_and_b32_e32 v61, v61, v5
	v_lshlrev_b32_e32 v5, 28, v60
	v_cmp_gt_i64_e32 vcc, 0, v[4:5]
	v_not_b32_e32 v5, v5
	v_ashrrev_i32_e32 v5, 31, v5
	v_and_b32_e32 v194, v194, v195
	;; [unrolled: 8-line block ×5, first 2 shown]
	v_xor_b32_e32 v195, vcc_hi, v5
	v_xor_b32_e32 v5, vcc_lo, v5
	v_and_b32_e32 v194, v194, v195
	v_and_b32_e32 v195, v61, v5
	v_lshlrev_b32_e32 v5, 24, v60
	v_cmp_gt_i64_e32 vcc, 0, v[4:5]
	v_not_b32_e32 v5, v5
	v_ashrrev_i32_e32 v5, 31, v5
	v_xor_b32_e32 v60, vcc_hi, v5
	v_xor_b32_e32 v5, vcc_lo, v5
	v_and_b32_e32 v61, v194, v60
	v_and_b32_e32 v60, v195, v5
	v_mbcnt_lo_u32_b32 v5, v60, 0
	v_mbcnt_hi_u32_b32 v194, v61, v5
	v_cmp_eq_u32_e32 vcc, 0, v194
	v_cmp_ne_u64_e64 s[36:37], 0, v[60:61]
	s_and_b64 s[38:39], s[36:37], vcc
	; wave barrier
	s_and_saveexec_b64 s[36:37], s[38:39]
	s_cbranch_execz .LBB632_456
; %bb.455:                              ;   in Loop: Header=BB632_400 Depth=2
	v_bcnt_u32_b32 v5, v60, 0
	v_bcnt_u32_b32 v5, v61, v5
	s_waitcnt lgkmcnt(0)
	v_add_u32_e32 v5, v192, v5
	ds_write_b32 v193, v5
.LBB632_456:                            ;   in Loop: Header=BB632_400 Depth=2
	s_or_b64 exec, exec, s[36:37]
	s_waitcnt vmcnt(4)
	v_xor_b32_e32 v173, 0x80000000, v173
	v_lshrrev_b32_e32 v5, s93, v173
	v_and_b32_e32 v60, s94, v5
	v_mul_u32_u24_e32 v5, 5, v60
	v_add_lshl_u32 v5, v5, v150, 2
	; wave barrier
	v_add_u32_e32 v196, 0x410, v5
	ds_read_b32 v195, v5 offset:1040
	v_and_b32_e32 v5, 1, v60
	v_add_co_u32_e32 v61, vcc, -1, v5
	v_addc_co_u32_e64 v197, s[36:37], 0, -1, vcc
	v_cmp_ne_u32_e32 vcc, 0, v5
	v_xor_b32_e32 v5, vcc_hi, v197
	v_and_b32_e32 v197, exec_hi, v5
	v_lshlrev_b32_e32 v5, 30, v60
	v_xor_b32_e32 v61, vcc_lo, v61
	v_cmp_gt_i64_e32 vcc, 0, v[4:5]
	v_not_b32_e32 v5, v5
	v_ashrrev_i32_e32 v5, 31, v5
	v_and_b32_e32 v61, exec_lo, v61
	v_xor_b32_e32 v198, vcc_hi, v5
	v_xor_b32_e32 v5, vcc_lo, v5
	v_and_b32_e32 v61, v61, v5
	v_lshlrev_b32_e32 v5, 29, v60
	v_cmp_gt_i64_e32 vcc, 0, v[4:5]
	v_not_b32_e32 v5, v5
	v_ashrrev_i32_e32 v5, 31, v5
	v_and_b32_e32 v197, v197, v198
	v_xor_b32_e32 v198, vcc_hi, v5
	v_xor_b32_e32 v5, vcc_lo, v5
	v_and_b32_e32 v61, v61, v5
	v_lshlrev_b32_e32 v5, 28, v60
	v_cmp_gt_i64_e32 vcc, 0, v[4:5]
	v_not_b32_e32 v5, v5
	v_ashrrev_i32_e32 v5, 31, v5
	v_and_b32_e32 v197, v197, v198
	;; [unrolled: 8-line block ×5, first 2 shown]
	v_xor_b32_e32 v198, vcc_hi, v5
	v_xor_b32_e32 v5, vcc_lo, v5
	v_and_b32_e32 v197, v197, v198
	v_and_b32_e32 v198, v61, v5
	v_lshlrev_b32_e32 v5, 24, v60
	v_cmp_gt_i64_e32 vcc, 0, v[4:5]
	v_not_b32_e32 v5, v5
	v_ashrrev_i32_e32 v5, 31, v5
	v_xor_b32_e32 v60, vcc_hi, v5
	v_xor_b32_e32 v5, vcc_lo, v5
	v_and_b32_e32 v61, v197, v60
	v_and_b32_e32 v60, v198, v5
	v_mbcnt_lo_u32_b32 v5, v60, 0
	v_mbcnt_hi_u32_b32 v198, v61, v5
	v_cmp_eq_u32_e32 vcc, 0, v198
	v_cmp_ne_u64_e64 s[36:37], 0, v[60:61]
	s_and_b64 s[38:39], s[36:37], vcc
	; wave barrier
	s_and_saveexec_b64 s[36:37], s[38:39]
	s_cbranch_execz .LBB632_458
; %bb.457:                              ;   in Loop: Header=BB632_400 Depth=2
	v_bcnt_u32_b32 v5, v60, 0
	v_bcnt_u32_b32 v5, v61, v5
	s_waitcnt lgkmcnt(0)
	v_add_u32_e32 v5, v195, v5
	ds_write_b32 v196, v5
.LBB632_458:                            ;   in Loop: Header=BB632_400 Depth=2
	s_or_b64 exec, exec, s[36:37]
	s_waitcnt vmcnt(3)
	v_xor_b32_e32 v197, 0x80000000, v168
	v_lshrrev_b32_e32 v5, s93, v197
	v_and_b32_e32 v60, s94, v5
	v_mul_u32_u24_e32 v5, 5, v60
	v_add_lshl_u32 v5, v5, v150, 2
	; wave barrier
	v_add_u32_e32 v168, 0x410, v5
	ds_read_b32 v199, v5 offset:1040
	v_and_b32_e32 v5, 1, v60
	v_add_co_u32_e32 v61, vcc, -1, v5
	v_addc_co_u32_e64 v200, s[36:37], 0, -1, vcc
	v_cmp_ne_u32_e32 vcc, 0, v5
	v_xor_b32_e32 v5, vcc_hi, v200
	v_and_b32_e32 v200, exec_hi, v5
	v_lshlrev_b32_e32 v5, 30, v60
	v_xor_b32_e32 v61, vcc_lo, v61
	v_cmp_gt_i64_e32 vcc, 0, v[4:5]
	v_not_b32_e32 v5, v5
	v_ashrrev_i32_e32 v5, 31, v5
	v_and_b32_e32 v61, exec_lo, v61
	v_xor_b32_e32 v201, vcc_hi, v5
	v_xor_b32_e32 v5, vcc_lo, v5
	v_and_b32_e32 v61, v61, v5
	v_lshlrev_b32_e32 v5, 29, v60
	v_cmp_gt_i64_e32 vcc, 0, v[4:5]
	v_not_b32_e32 v5, v5
	v_ashrrev_i32_e32 v5, 31, v5
	v_and_b32_e32 v200, v200, v201
	v_xor_b32_e32 v201, vcc_hi, v5
	v_xor_b32_e32 v5, vcc_lo, v5
	v_and_b32_e32 v61, v61, v5
	v_lshlrev_b32_e32 v5, 28, v60
	v_cmp_gt_i64_e32 vcc, 0, v[4:5]
	v_not_b32_e32 v5, v5
	v_ashrrev_i32_e32 v5, 31, v5
	v_and_b32_e32 v200, v200, v201
	;; [unrolled: 8-line block ×5, first 2 shown]
	v_xor_b32_e32 v201, vcc_hi, v5
	v_xor_b32_e32 v5, vcc_lo, v5
	v_and_b32_e32 v200, v200, v201
	v_and_b32_e32 v201, v61, v5
	v_lshlrev_b32_e32 v5, 24, v60
	v_cmp_gt_i64_e32 vcc, 0, v[4:5]
	v_not_b32_e32 v5, v5
	v_ashrrev_i32_e32 v5, 31, v5
	v_xor_b32_e32 v60, vcc_hi, v5
	v_xor_b32_e32 v5, vcc_lo, v5
	v_and_b32_e32 v61, v200, v60
	v_and_b32_e32 v60, v201, v5
	v_mbcnt_lo_u32_b32 v5, v60, 0
	v_mbcnt_hi_u32_b32 v201, v61, v5
	v_cmp_eq_u32_e32 vcc, 0, v201
	v_cmp_ne_u64_e64 s[36:37], 0, v[60:61]
	s_and_b64 s[38:39], s[36:37], vcc
	; wave barrier
	s_and_saveexec_b64 s[36:37], s[38:39]
	s_cbranch_execz .LBB632_460
; %bb.459:                              ;   in Loop: Header=BB632_400 Depth=2
	v_bcnt_u32_b32 v5, v60, 0
	v_bcnt_u32_b32 v5, v61, v5
	s_waitcnt lgkmcnt(0)
	v_add_u32_e32 v5, v199, v5
	ds_write_b32 v168, v5
.LBB632_460:                            ;   in Loop: Header=BB632_400 Depth=2
	s_or_b64 exec, exec, s[36:37]
	s_waitcnt vmcnt(2)
	v_xor_b32_e32 v200, 0x80000000, v163
	v_lshrrev_b32_e32 v5, s93, v200
	v_and_b32_e32 v60, s94, v5
	v_mul_u32_u24_e32 v5, 5, v60
	v_add_lshl_u32 v5, v5, v150, 2
	; wave barrier
	v_add_u32_e32 v163, 0x410, v5
	ds_read_b32 v202, v5 offset:1040
	v_and_b32_e32 v5, 1, v60
	v_add_co_u32_e32 v61, vcc, -1, v5
	v_addc_co_u32_e64 v203, s[36:37], 0, -1, vcc
	v_cmp_ne_u32_e32 vcc, 0, v5
	v_xor_b32_e32 v5, vcc_hi, v203
	v_and_b32_e32 v203, exec_hi, v5
	v_lshlrev_b32_e32 v5, 30, v60
	v_xor_b32_e32 v61, vcc_lo, v61
	v_cmp_gt_i64_e32 vcc, 0, v[4:5]
	v_not_b32_e32 v5, v5
	v_ashrrev_i32_e32 v5, 31, v5
	v_and_b32_e32 v61, exec_lo, v61
	v_xor_b32_e32 v204, vcc_hi, v5
	v_xor_b32_e32 v5, vcc_lo, v5
	v_and_b32_e32 v61, v61, v5
	v_lshlrev_b32_e32 v5, 29, v60
	v_cmp_gt_i64_e32 vcc, 0, v[4:5]
	v_not_b32_e32 v5, v5
	v_ashrrev_i32_e32 v5, 31, v5
	v_and_b32_e32 v203, v203, v204
	v_xor_b32_e32 v204, vcc_hi, v5
	v_xor_b32_e32 v5, vcc_lo, v5
	v_and_b32_e32 v61, v61, v5
	v_lshlrev_b32_e32 v5, 28, v60
	v_cmp_gt_i64_e32 vcc, 0, v[4:5]
	v_not_b32_e32 v5, v5
	v_ashrrev_i32_e32 v5, 31, v5
	v_and_b32_e32 v203, v203, v204
	;; [unrolled: 8-line block ×5, first 2 shown]
	v_xor_b32_e32 v204, vcc_hi, v5
	v_xor_b32_e32 v5, vcc_lo, v5
	v_and_b32_e32 v203, v203, v204
	v_and_b32_e32 v204, v61, v5
	v_lshlrev_b32_e32 v5, 24, v60
	v_cmp_gt_i64_e32 vcc, 0, v[4:5]
	v_not_b32_e32 v5, v5
	v_ashrrev_i32_e32 v5, 31, v5
	v_xor_b32_e32 v60, vcc_hi, v5
	v_xor_b32_e32 v5, vcc_lo, v5
	v_and_b32_e32 v61, v203, v60
	v_and_b32_e32 v60, v204, v5
	v_mbcnt_lo_u32_b32 v5, v60, 0
	v_mbcnt_hi_u32_b32 v204, v61, v5
	v_cmp_eq_u32_e32 vcc, 0, v204
	v_cmp_ne_u64_e64 s[36:37], 0, v[60:61]
	s_and_b64 s[38:39], s[36:37], vcc
	; wave barrier
	s_and_saveexec_b64 s[36:37], s[38:39]
	s_cbranch_execz .LBB632_462
; %bb.461:                              ;   in Loop: Header=BB632_400 Depth=2
	v_bcnt_u32_b32 v5, v60, 0
	v_bcnt_u32_b32 v5, v61, v5
	s_waitcnt lgkmcnt(0)
	v_add_u32_e32 v5, v202, v5
	ds_write_b32 v163, v5
.LBB632_462:                            ;   in Loop: Header=BB632_400 Depth=2
	s_or_b64 exec, exec, s[36:37]
	s_waitcnt vmcnt(1)
	v_xor_b32_e32 v203, 0x80000000, v158
	v_lshrrev_b32_e32 v5, s93, v203
	v_and_b32_e32 v60, s94, v5
	v_mul_u32_u24_e32 v5, 5, v60
	v_add_lshl_u32 v5, v5, v150, 2
	; wave barrier
	v_add_u32_e32 v158, 0x410, v5
	ds_read_b32 v205, v5 offset:1040
	v_and_b32_e32 v5, 1, v60
	v_add_co_u32_e32 v61, vcc, -1, v5
	v_addc_co_u32_e64 v206, s[36:37], 0, -1, vcc
	v_cmp_ne_u32_e32 vcc, 0, v5
	v_xor_b32_e32 v5, vcc_hi, v206
	v_and_b32_e32 v206, exec_hi, v5
	v_lshlrev_b32_e32 v5, 30, v60
	v_xor_b32_e32 v61, vcc_lo, v61
	v_cmp_gt_i64_e32 vcc, 0, v[4:5]
	v_not_b32_e32 v5, v5
	v_ashrrev_i32_e32 v5, 31, v5
	v_and_b32_e32 v61, exec_lo, v61
	v_xor_b32_e32 v207, vcc_hi, v5
	v_xor_b32_e32 v5, vcc_lo, v5
	v_and_b32_e32 v61, v61, v5
	v_lshlrev_b32_e32 v5, 29, v60
	v_cmp_gt_i64_e32 vcc, 0, v[4:5]
	v_not_b32_e32 v5, v5
	v_ashrrev_i32_e32 v5, 31, v5
	v_and_b32_e32 v206, v206, v207
	v_xor_b32_e32 v207, vcc_hi, v5
	v_xor_b32_e32 v5, vcc_lo, v5
	v_and_b32_e32 v61, v61, v5
	v_lshlrev_b32_e32 v5, 28, v60
	v_cmp_gt_i64_e32 vcc, 0, v[4:5]
	v_not_b32_e32 v5, v5
	v_ashrrev_i32_e32 v5, 31, v5
	v_and_b32_e32 v206, v206, v207
	;; [unrolled: 8-line block ×5, first 2 shown]
	v_xor_b32_e32 v207, vcc_hi, v5
	v_xor_b32_e32 v5, vcc_lo, v5
	v_and_b32_e32 v206, v206, v207
	v_and_b32_e32 v207, v61, v5
	v_lshlrev_b32_e32 v5, 24, v60
	v_cmp_gt_i64_e32 vcc, 0, v[4:5]
	v_not_b32_e32 v5, v5
	v_ashrrev_i32_e32 v5, 31, v5
	v_xor_b32_e32 v60, vcc_hi, v5
	v_xor_b32_e32 v5, vcc_lo, v5
	v_and_b32_e32 v61, v206, v60
	v_and_b32_e32 v60, v207, v5
	v_mbcnt_lo_u32_b32 v5, v60, 0
	v_mbcnt_hi_u32_b32 v207, v61, v5
	v_cmp_eq_u32_e32 vcc, 0, v207
	v_cmp_ne_u64_e64 s[36:37], 0, v[60:61]
	s_and_b64 s[38:39], s[36:37], vcc
	; wave barrier
	s_and_saveexec_b64 s[36:37], s[38:39]
	s_cbranch_execz .LBB632_464
; %bb.463:                              ;   in Loop: Header=BB632_400 Depth=2
	v_bcnt_u32_b32 v5, v60, 0
	v_bcnt_u32_b32 v5, v61, v5
	s_waitcnt lgkmcnt(0)
	v_add_u32_e32 v5, v205, v5
	ds_write_b32 v158, v5
.LBB632_464:                            ;   in Loop: Header=BB632_400 Depth=2
	s_or_b64 exec, exec, s[36:37]
	s_waitcnt vmcnt(0)
	v_xor_b32_e32 v206, 0x80000000, v62
	v_lshrrev_b32_e32 v5, s93, v206
	v_and_b32_e32 v60, s94, v5
	v_mul_u32_u24_e32 v5, 5, v60
	v_add_lshl_u32 v5, v5, v150, 2
	; wave barrier
	v_add_u32_e32 v209, 0x410, v5
	ds_read_b32 v208, v5 offset:1040
	v_and_b32_e32 v5, 1, v60
	v_add_co_u32_e32 v61, vcc, -1, v5
	v_addc_co_u32_e64 v62, s[36:37], 0, -1, vcc
	v_cmp_ne_u32_e32 vcc, 0, v5
	v_xor_b32_e32 v5, vcc_hi, v62
	v_and_b32_e32 v62, exec_hi, v5
	v_lshlrev_b32_e32 v5, 30, v60
	v_xor_b32_e32 v61, vcc_lo, v61
	v_cmp_gt_i64_e32 vcc, 0, v[4:5]
	v_not_b32_e32 v5, v5
	v_ashrrev_i32_e32 v5, 31, v5
	v_and_b32_e32 v61, exec_lo, v61
	v_xor_b32_e32 v210, vcc_hi, v5
	v_xor_b32_e32 v5, vcc_lo, v5
	v_and_b32_e32 v61, v61, v5
	v_lshlrev_b32_e32 v5, 29, v60
	v_cmp_gt_i64_e32 vcc, 0, v[4:5]
	v_not_b32_e32 v5, v5
	v_ashrrev_i32_e32 v5, 31, v5
	v_and_b32_e32 v62, v62, v210
	v_xor_b32_e32 v210, vcc_hi, v5
	v_xor_b32_e32 v5, vcc_lo, v5
	v_and_b32_e32 v61, v61, v5
	v_lshlrev_b32_e32 v5, 28, v60
	v_cmp_gt_i64_e32 vcc, 0, v[4:5]
	v_not_b32_e32 v5, v5
	v_ashrrev_i32_e32 v5, 31, v5
	v_and_b32_e32 v62, v62, v210
	v_xor_b32_e32 v210, vcc_hi, v5
	v_xor_b32_e32 v5, vcc_lo, v5
	v_and_b32_e32 v61, v61, v5
	v_lshlrev_b32_e32 v5, 27, v60
	v_cmp_gt_i64_e32 vcc, 0, v[4:5]
	v_not_b32_e32 v5, v5
	v_ashrrev_i32_e32 v5, 31, v5
	v_and_b32_e32 v62, v62, v210
	v_xor_b32_e32 v210, vcc_hi, v5
	v_xor_b32_e32 v5, vcc_lo, v5
	v_and_b32_e32 v61, v61, v5
	v_lshlrev_b32_e32 v5, 26, v60
	v_cmp_gt_i64_e32 vcc, 0, v[4:5]
	v_not_b32_e32 v5, v5
	v_ashrrev_i32_e32 v5, 31, v5
	v_and_b32_e32 v62, v62, v210
	v_xor_b32_e32 v210, vcc_hi, v5
	v_xor_b32_e32 v5, vcc_lo, v5
	v_and_b32_e32 v61, v61, v5
	v_lshlrev_b32_e32 v5, 25, v60
	v_cmp_gt_i64_e32 vcc, 0, v[4:5]
	v_not_b32_e32 v5, v5
	v_ashrrev_i32_e32 v5, 31, v5
	v_and_b32_e32 v62, v62, v210
	v_xor_b32_e32 v210, vcc_hi, v5
	v_xor_b32_e32 v5, vcc_lo, v5
	v_and_b32_e32 v62, v62, v210
	v_and_b32_e32 v210, v61, v5
	v_lshlrev_b32_e32 v5, 24, v60
	v_cmp_gt_i64_e32 vcc, 0, v[4:5]
	v_not_b32_e32 v5, v5
	v_ashrrev_i32_e32 v5, 31, v5
	v_xor_b32_e32 v60, vcc_hi, v5
	v_xor_b32_e32 v5, vcc_lo, v5
	v_and_b32_e32 v61, v62, v60
	v_and_b32_e32 v60, v210, v5
	v_mbcnt_lo_u32_b32 v5, v60, 0
	v_mbcnt_hi_u32_b32 v211, v61, v5
	v_cmp_eq_u32_e32 vcc, 0, v211
	v_cmp_ne_u64_e64 s[36:37], 0, v[60:61]
	s_and_b64 s[38:39], s[36:37], vcc
	; wave barrier
	s_and_saveexec_b64 s[36:37], s[38:39]
	s_cbranch_execz .LBB632_466
; %bb.465:                              ;   in Loop: Header=BB632_400 Depth=2
	v_bcnt_u32_b32 v5, v60, 0
	v_bcnt_u32_b32 v5, v61, v5
	s_waitcnt lgkmcnt(0)
	v_add_u32_e32 v5, v208, v5
	ds_write_b32 v209, v5
.LBB632_466:                            ;   in Loop: Header=BB632_400 Depth=2
	s_or_b64 exec, exec, s[36:37]
	v_xor_b32_e32 v210, 0x80000000, v63
	v_lshrrev_b32_e32 v5, s93, v210
	v_and_b32_e32 v60, s94, v5
	v_mul_u32_u24_e32 v5, 5, v60
	v_add_lshl_u32 v5, v5, v150, 2
	; wave barrier
	v_add_u32_e32 v213, 0x410, v5
	ds_read_b32 v212, v5 offset:1040
	v_and_b32_e32 v5, 1, v60
	v_add_co_u32_e32 v61, vcc, -1, v5
	v_addc_co_u32_e64 v62, s[36:37], 0, -1, vcc
	v_cmp_ne_u32_e32 vcc, 0, v5
	v_xor_b32_e32 v5, vcc_hi, v62
	v_and_b32_e32 v62, exec_hi, v5
	v_lshlrev_b32_e32 v5, 30, v60
	v_xor_b32_e32 v61, vcc_lo, v61
	v_cmp_gt_i64_e32 vcc, 0, v[4:5]
	v_not_b32_e32 v5, v5
	v_ashrrev_i32_e32 v5, 31, v5
	v_and_b32_e32 v61, exec_lo, v61
	v_xor_b32_e32 v63, vcc_hi, v5
	v_xor_b32_e32 v5, vcc_lo, v5
	v_and_b32_e32 v61, v61, v5
	v_lshlrev_b32_e32 v5, 29, v60
	v_cmp_gt_i64_e32 vcc, 0, v[4:5]
	v_not_b32_e32 v5, v5
	v_ashrrev_i32_e32 v5, 31, v5
	v_and_b32_e32 v62, v62, v63
	v_xor_b32_e32 v63, vcc_hi, v5
	v_xor_b32_e32 v5, vcc_lo, v5
	v_and_b32_e32 v61, v61, v5
	v_lshlrev_b32_e32 v5, 28, v60
	v_cmp_gt_i64_e32 vcc, 0, v[4:5]
	v_not_b32_e32 v5, v5
	v_ashrrev_i32_e32 v5, 31, v5
	v_and_b32_e32 v62, v62, v63
	;; [unrolled: 8-line block ×5, first 2 shown]
	v_xor_b32_e32 v63, vcc_hi, v5
	v_xor_b32_e32 v5, vcc_lo, v5
	v_and_b32_e32 v62, v62, v63
	v_and_b32_e32 v63, v61, v5
	v_lshlrev_b32_e32 v5, 24, v60
	v_cmp_gt_i64_e32 vcc, 0, v[4:5]
	v_not_b32_e32 v5, v5
	v_ashrrev_i32_e32 v5, 31, v5
	v_xor_b32_e32 v60, vcc_hi, v5
	v_xor_b32_e32 v5, vcc_lo, v5
	v_and_b32_e32 v61, v62, v60
	v_and_b32_e32 v60, v63, v5
	v_mbcnt_lo_u32_b32 v5, v60, 0
	v_mbcnt_hi_u32_b32 v214, v61, v5
	v_cmp_eq_u32_e32 vcc, 0, v214
	v_cmp_ne_u64_e64 s[36:37], 0, v[60:61]
	s_and_b64 s[38:39], s[36:37], vcc
	; wave barrier
	s_and_saveexec_b64 s[36:37], s[38:39]
	s_cbranch_execz .LBB632_468
; %bb.467:                              ;   in Loop: Header=BB632_400 Depth=2
	v_bcnt_u32_b32 v5, v60, 0
	v_bcnt_u32_b32 v5, v61, v5
	s_waitcnt lgkmcnt(0)
	v_add_u32_e32 v5, v212, v5
	ds_write_b32 v213, v5
.LBB632_468:                            ;   in Loop: Header=BB632_400 Depth=2
	s_or_b64 exec, exec, s[36:37]
	; wave barrier
	s_waitcnt lgkmcnt(0)
	s_barrier
	ds_read_b32 v5, v64 offset:1040
	ds_read2_b32 v[62:63], v66 offset0:1 offset1:2
	ds_read2_b32 v[60:61], v66 offset0:3 offset1:4
	s_waitcnt lgkmcnt(1)
	v_add3_u32 v215, v62, v5, v63
	s_waitcnt lgkmcnt(0)
	v_add3_u32 v61, v215, v60, v61
	s_nop 1
	v_mov_b32_dpp v215, v61 row_shr:1 row_mask:0xf bank_mask:0xf
	v_cndmask_b32_e64 v215, v215, 0, s[16:17]
	v_add_u32_e32 v61, v215, v61
	s_nop 1
	v_mov_b32_dpp v215, v61 row_shr:2 row_mask:0xf bank_mask:0xf
	v_cndmask_b32_e64 v215, 0, v215, s[18:19]
	v_add_u32_e32 v61, v61, v215
	s_nop 1
	v_mov_b32_dpp v215, v61 row_shr:4 row_mask:0xf bank_mask:0xf
	v_cndmask_b32_e64 v215, 0, v215, s[20:21]
	v_add_u32_e32 v61, v61, v215
	s_nop 1
	v_mov_b32_dpp v215, v61 row_shr:8 row_mask:0xf bank_mask:0xf
	v_cndmask_b32_e64 v215, 0, v215, s[22:23]
	v_add_u32_e32 v61, v61, v215
	s_nop 1
	v_mov_b32_dpp v215, v61 row_bcast:15 row_mask:0xf bank_mask:0xf
	v_cndmask_b32_e64 v215, v215, 0, s[24:25]
	v_add_u32_e32 v61, v61, v215
	s_nop 1
	v_mov_b32_dpp v215, v61 row_bcast:31 row_mask:0xf bank_mask:0xf
	v_cndmask_b32_e64 v215, 0, v215, s[26:27]
	v_add_u32_e32 v61, v61, v215
	s_and_saveexec_b64 s[36:37], s[6:7]
	s_cbranch_execz .LBB632_470
; %bb.469:                              ;   in Loop: Header=BB632_400 Depth=2
	ds_write_b32 v19, v61 offset:1024
.LBB632_470:                            ;   in Loop: Header=BB632_400 Depth=2
	s_or_b64 exec, exec, s[36:37]
	s_waitcnt lgkmcnt(0)
	s_barrier
	s_and_saveexec_b64 s[36:37], s[8:9]
	s_cbranch_execz .LBB632_472
; %bb.471:                              ;   in Loop: Header=BB632_400 Depth=2
	v_add_u32_e32 v215, v64, v67
	ds_read_b32 v216, v215 offset:1024
	s_waitcnt lgkmcnt(0)
	s_nop 0
	v_mov_b32_dpp v217, v216 row_shr:1 row_mask:0xf bank_mask:0xf
	v_cndmask_b32_e64 v217, v217, 0, s[30:31]
	v_add_u32_e32 v216, v217, v216
	s_nop 1
	v_mov_b32_dpp v217, v216 row_shr:2 row_mask:0xf bank_mask:0xf
	v_cndmask_b32_e64 v217, 0, v217, s[34:35]
	v_add_u32_e32 v216, v216, v217
	ds_write_b32 v215, v216 offset:1024
.LBB632_472:                            ;   in Loop: Header=BB632_400 Depth=2
	s_or_b64 exec, exec, s[36:37]
	v_mov_b32_e32 v215, 0
	s_waitcnt lgkmcnt(0)
	s_barrier
	s_and_saveexec_b64 s[36:37], s[10:11]
	s_cbranch_execz .LBB632_474
; %bb.473:                              ;   in Loop: Header=BB632_400 Depth=2
	ds_read_b32 v215, v19 offset:1020
.LBB632_474:                            ;   in Loop: Header=BB632_400 Depth=2
	s_or_b64 exec, exec, s[36:37]
	s_waitcnt lgkmcnt(0)
	v_add_u32_e32 v61, v215, v61
	ds_bpermute_b32 v61, v127, v61
	s_waitcnt lgkmcnt(0)
	v_cndmask_b32_e64 v61, v61, v215, s[28:29]
	v_cndmask_b32_e64 v61, v61, 0, s[12:13]
	v_add_u32_e32 v5, v61, v5
	ds_write_b32 v64, v61 offset:1040
	v_add_u32_e32 v61, v5, v62
	v_add_u32_e32 v62, v61, v63
	ds_write2_b32 v66, v5, v61 offset0:1 offset1:2
	v_add_u32_e32 v5, v62, v60
	ds_write2_b32 v66, v62, v5 offset0:3 offset1:4
	s_waitcnt lgkmcnt(0)
	s_barrier
	ds_read_b32 v60, v157
	ds_read_b32 v61, v162
	;; [unrolled: 1-line block ×16, first 2 shown]
	ds_read_b32 v158, v64 offset:1040
	v_mov_b32_e32 v5, 0x1000
	s_and_saveexec_b64 s[36:37], s[14:15]
	s_cbranch_execz .LBB632_476
; %bb.475:                              ;   in Loop: Header=BB632_400 Depth=2
	ds_read_b32 v5, v64 offset:1060
.LBB632_476:                            ;   in Loop: Header=BB632_400 Depth=2
	s_or_b64 exec, exec, s[36:37]
	s_waitcnt lgkmcnt(0)
	s_barrier
	s_and_saveexec_b64 s[36:37], s[4:5]
	s_cbranch_execz .LBB632_478
; %bb.477:                              ;   in Loop: Header=BB632_400 Depth=2
	ds_read_b32 v163, v3
	s_waitcnt lgkmcnt(0)
	v_sub_u32_e32 v158, v163, v158
	ds_write_b32 v3, v158
.LBB632_478:                            ;   in Loop: Header=BB632_400 Depth=2
	s_or_b64 exec, exec, s[36:37]
	v_add_u32_e32 v172, v153, v155
	v_add3_u32 v168, v160, v156, v60
	v_lshlrev_b32_e32 v60, 2, v172
	v_add3_u32 v167, v165, v161, v61
	ds_write_b32 v60, v152 offset:1024
	v_lshlrev_b32_e32 v60, 2, v168
	v_add3_u32 v166, v170, v166, v62
	ds_write_b32 v60, v154 offset:1024
	;; [unrolled: 3-line block ×14, first 2 shown]
	v_lshlrev_b32_e32 v60, 2, v63
	ds_write_b32 v60, v206 offset:1024
	v_lshlrev_b32_e32 v60, 2, v62
	v_cmp_lt_u32_e64 s[36:37], v2, v151
	ds_write_b32 v60, v210 offset:1024
	s_waitcnt lgkmcnt(0)
	s_barrier
	s_and_saveexec_b64 s[38:39], s[36:37]
	s_cbranch_execz .LBB632_494
; %bb.479:                              ;   in Loop: Header=BB632_400 Depth=2
	v_add_u32_e32 v60, v64, v67
	ds_read_b32 v60, v60 offset:1024
	v_mov_b32_e32 v154, s77
	s_waitcnt lgkmcnt(0)
	v_lshrrev_b32_e32 v61, s93, v60
	v_and_b32_e32 v61, s94, v61
	v_lshlrev_b32_e32 v61, 2, v61
	ds_read_b32 v152, v61
	v_mov_b32_e32 v61, v4
	v_xor_b32_e32 v159, 0x80000000, v60
	s_waitcnt lgkmcnt(0)
	v_add_u32_e32 v60, v152, v2
	v_lshlrev_b64 v[60:61], 2, v[60:61]
	v_add_co_u32_e32 v60, vcc, s76, v60
	v_addc_co_u32_e32 v61, vcc, v154, v61, vcc
	global_store_dword v[60:61], v159, off
	s_or_b64 exec, exec, s[38:39]
	v_cmp_lt_u32_e64 s[38:39], v7, v151
	s_and_saveexec_b64 s[40:41], s[38:39]
	s_cbranch_execnz .LBB632_495
.LBB632_480:                            ;   in Loop: Header=BB632_400 Depth=2
	s_or_b64 exec, exec, s[40:41]
	v_cmp_lt_u32_e64 s[40:41], v9, v151
	s_and_saveexec_b64 s[42:43], s[40:41]
	s_cbranch_execz .LBB632_496
.LBB632_481:                            ;   in Loop: Header=BB632_400 Depth=2
	ds_read_b32 v60, v72 offset:2048
	v_mov_b32_e32 v154, s77
	s_waitcnt lgkmcnt(0)
	v_lshrrev_b32_e32 v61, s93, v60
	v_and_b32_e32 v61, s94, v61
	v_lshlrev_b32_e32 v61, 2, v61
	ds_read_b32 v152, v61
	v_mov_b32_e32 v61, v4
	v_xor_b32_e32 v159, 0x80000000, v60
	s_waitcnt lgkmcnt(0)
	v_add_u32_e32 v60, v152, v9
	v_lshlrev_b64 v[60:61], 2, v[60:61]
	v_add_co_u32_e32 v60, vcc, s76, v60
	v_addc_co_u32_e32 v61, vcc, v154, v61, vcc
	global_store_dword v[60:61], v159, off
	s_or_b64 exec, exec, s[42:43]
	v_cmp_lt_u32_e64 s[42:43], v11, v151
	s_and_saveexec_b64 s[44:45], s[42:43]
	s_cbranch_execnz .LBB632_497
.LBB632_482:                            ;   in Loop: Header=BB632_400 Depth=2
	s_or_b64 exec, exec, s[44:45]
	v_cmp_lt_u32_e64 s[44:45], v6, v151
	s_and_saveexec_b64 s[46:47], s[44:45]
	s_cbranch_execz .LBB632_498
.LBB632_483:                            ;   in Loop: Header=BB632_400 Depth=2
	ds_read_b32 v60, v72 offset:4096
	v_mov_b32_e32 v154, s77
	s_waitcnt lgkmcnt(0)
	v_lshrrev_b32_e32 v61, s93, v60
	v_and_b32_e32 v61, s94, v61
	v_lshlrev_b32_e32 v61, 2, v61
	ds_read_b32 v152, v61
	v_mov_b32_e32 v61, v4
	v_xor_b32_e32 v159, 0x80000000, v60
	s_waitcnt lgkmcnt(0)
	v_add_u32_e32 v60, v152, v6
	v_lshlrev_b64 v[60:61], 2, v[60:61]
	v_add_co_u32_e32 v60, vcc, s76, v60
	v_addc_co_u32_e32 v61, vcc, v154, v61, vcc
	global_store_dword v[60:61], v159, off
	s_or_b64 exec, exec, s[46:47]
	v_cmp_lt_u32_e64 s[46:47], v8, v151
	s_and_saveexec_b64 s[48:49], s[46:47]
	s_cbranch_execnz .LBB632_499
.LBB632_484:                            ;   in Loop: Header=BB632_400 Depth=2
	s_or_b64 exec, exec, s[48:49]
	v_cmp_lt_u32_e64 s[48:49], v10, v151
	s_and_saveexec_b64 s[50:51], s[48:49]
	s_cbranch_execz .LBB632_500
.LBB632_485:                            ;   in Loop: Header=BB632_400 Depth=2
	ds_read_b32 v60, v72 offset:6144
	v_mov_b32_e32 v154, s77
	s_waitcnt lgkmcnt(0)
	v_lshrrev_b32_e32 v61, s93, v60
	v_and_b32_e32 v61, s94, v61
	v_lshlrev_b32_e32 v61, 2, v61
	ds_read_b32 v152, v61
	v_mov_b32_e32 v61, v4
	v_xor_b32_e32 v159, 0x80000000, v60
	s_waitcnt lgkmcnt(0)
	v_add_u32_e32 v60, v152, v10
	v_lshlrev_b64 v[60:61], 2, v[60:61]
	v_add_co_u32_e32 v60, vcc, s76, v60
	v_addc_co_u32_e32 v61, vcc, v154, v61, vcc
	global_store_dword v[60:61], v159, off
	s_or_b64 exec, exec, s[50:51]
	v_cmp_lt_u32_e64 s[50:51], v12, v151
	s_and_saveexec_b64 s[52:53], s[50:51]
	s_cbranch_execnz .LBB632_501
.LBB632_486:                            ;   in Loop: Header=BB632_400 Depth=2
	s_or_b64 exec, exec, s[52:53]
	v_cmp_lt_u32_e64 s[52:53], v14, v151
	s_and_saveexec_b64 s[54:55], s[52:53]
	s_cbranch_execz .LBB632_502
.LBB632_487:                            ;   in Loop: Header=BB632_400 Depth=2
	ds_read_b32 v60, v72 offset:8192
	v_mov_b32_e32 v154, s77
	s_waitcnt lgkmcnt(0)
	v_lshrrev_b32_e32 v61, s93, v60
	v_and_b32_e32 v61, s94, v61
	v_lshlrev_b32_e32 v61, 2, v61
	ds_read_b32 v152, v61
	v_mov_b32_e32 v61, v4
	v_xor_b32_e32 v159, 0x80000000, v60
	s_waitcnt lgkmcnt(0)
	v_add_u32_e32 v60, v152, v14
	v_lshlrev_b64 v[60:61], 2, v[60:61]
	v_add_co_u32_e32 v60, vcc, s76, v60
	v_addc_co_u32_e32 v61, vcc, v154, v61, vcc
	global_store_dword v[60:61], v159, off
	s_or_b64 exec, exec, s[54:55]
	v_cmp_lt_u32_e64 s[54:55], v16, v151
	s_and_saveexec_b64 s[56:57], s[54:55]
	s_cbranch_execnz .LBB632_503
.LBB632_488:                            ;   in Loop: Header=BB632_400 Depth=2
	s_or_b64 exec, exec, s[56:57]
	v_cmp_lt_u32_e64 s[56:57], v18, v151
	s_and_saveexec_b64 s[58:59], s[56:57]
	s_cbranch_execz .LBB632_504
.LBB632_489:                            ;   in Loop: Header=BB632_400 Depth=2
	ds_read_b32 v60, v72 offset:10240
	v_mov_b32_e32 v154, s77
	s_waitcnt lgkmcnt(0)
	v_lshrrev_b32_e32 v61, s93, v60
	v_and_b32_e32 v61, s94, v61
	v_lshlrev_b32_e32 v61, 2, v61
	ds_read_b32 v152, v61
	v_mov_b32_e32 v61, v4
	v_xor_b32_e32 v159, 0x80000000, v60
	s_waitcnt lgkmcnt(0)
	v_add_u32_e32 v60, v152, v18
	v_lshlrev_b64 v[60:61], 2, v[60:61]
	v_add_co_u32_e32 v60, vcc, s76, v60
	v_addc_co_u32_e32 v61, vcc, v154, v61, vcc
	global_store_dword v[60:61], v159, off
	s_or_b64 exec, exec, s[58:59]
	v_cmp_lt_u32_e64 s[58:59], v20, v151
	s_and_saveexec_b64 s[60:61], s[58:59]
	s_cbranch_execnz .LBB632_505
.LBB632_490:                            ;   in Loop: Header=BB632_400 Depth=2
	s_or_b64 exec, exec, s[60:61]
	v_cmp_lt_u32_e64 s[60:61], v22, v151
	s_and_saveexec_b64 s[62:63], s[60:61]
	s_cbranch_execz .LBB632_506
.LBB632_491:                            ;   in Loop: Header=BB632_400 Depth=2
	ds_read_b32 v60, v72 offset:12288
	v_mov_b32_e32 v154, s77
	s_waitcnt lgkmcnt(0)
	v_lshrrev_b32_e32 v61, s93, v60
	v_and_b32_e32 v61, s94, v61
	v_lshlrev_b32_e32 v61, 2, v61
	ds_read_b32 v152, v61
	v_mov_b32_e32 v61, v4
	v_xor_b32_e32 v159, 0x80000000, v60
	s_waitcnt lgkmcnt(0)
	v_add_u32_e32 v60, v152, v22
	v_lshlrev_b64 v[60:61], 2, v[60:61]
	v_add_co_u32_e32 v60, vcc, s76, v60
	v_addc_co_u32_e32 v61, vcc, v154, v61, vcc
	global_store_dword v[60:61], v159, off
	s_or_b64 exec, exec, s[62:63]
	v_cmp_lt_u32_e64 s[62:63], v24, v151
	s_and_saveexec_b64 s[64:65], s[62:63]
	s_cbranch_execnz .LBB632_507
.LBB632_492:                            ;   in Loop: Header=BB632_400 Depth=2
	s_or_b64 exec, exec, s[64:65]
	v_cmp_lt_u32_e64 s[64:65], v26, v151
	s_and_saveexec_b64 s[66:67], s[64:65]
	s_cbranch_execz .LBB632_508
.LBB632_493:                            ;   in Loop: Header=BB632_400 Depth=2
	ds_read_b32 v60, v72 offset:14336
	v_mov_b32_e32 v154, s77
	s_waitcnt lgkmcnt(0)
	v_lshrrev_b32_e32 v61, s93, v60
	v_and_b32_e32 v61, s94, v61
	v_lshlrev_b32_e32 v61, 2, v61
	ds_read_b32 v152, v61
	v_mov_b32_e32 v61, v4
	v_xor_b32_e32 v159, 0x80000000, v60
	s_waitcnt lgkmcnt(0)
	v_add_u32_e32 v60, v152, v26
	v_lshlrev_b64 v[60:61], 2, v[60:61]
	v_add_co_u32_e32 v60, vcc, s76, v60
	v_addc_co_u32_e32 v61, vcc, v154, v61, vcc
	global_store_dword v[60:61], v159, off
	s_or_b64 exec, exec, s[66:67]
	v_cmp_lt_u32_e64 s[66:67], v28, v151
	s_and_saveexec_b64 s[78:79], s[66:67]
	s_cbranch_execnz .LBB632_509
	s_branch .LBB632_510
.LBB632_494:                            ;   in Loop: Header=BB632_400 Depth=2
	s_or_b64 exec, exec, s[38:39]
	v_cmp_lt_u32_e64 s[38:39], v7, v151
	s_and_saveexec_b64 s[40:41], s[38:39]
	s_cbranch_execz .LBB632_480
.LBB632_495:                            ;   in Loop: Header=BB632_400 Depth=2
	ds_read_b32 v60, v72 offset:1024
	v_mov_b32_e32 v154, s77
	s_waitcnt lgkmcnt(0)
	v_lshrrev_b32_e32 v61, s93, v60
	v_and_b32_e32 v61, s94, v61
	v_lshlrev_b32_e32 v61, 2, v61
	ds_read_b32 v152, v61
	v_mov_b32_e32 v61, v4
	v_xor_b32_e32 v159, 0x80000000, v60
	s_waitcnt lgkmcnt(0)
	v_add_u32_e32 v60, v152, v7
	v_lshlrev_b64 v[60:61], 2, v[60:61]
	v_add_co_u32_e32 v60, vcc, s76, v60
	v_addc_co_u32_e32 v61, vcc, v154, v61, vcc
	global_store_dword v[60:61], v159, off
	s_or_b64 exec, exec, s[40:41]
	v_cmp_lt_u32_e64 s[40:41], v9, v151
	s_and_saveexec_b64 s[42:43], s[40:41]
	s_cbranch_execnz .LBB632_481
.LBB632_496:                            ;   in Loop: Header=BB632_400 Depth=2
	s_or_b64 exec, exec, s[42:43]
	v_cmp_lt_u32_e64 s[42:43], v11, v151
	s_and_saveexec_b64 s[44:45], s[42:43]
	s_cbranch_execz .LBB632_482
.LBB632_497:                            ;   in Loop: Header=BB632_400 Depth=2
	ds_read_b32 v60, v72 offset:3072
	v_mov_b32_e32 v154, s77
	s_waitcnt lgkmcnt(0)
	v_lshrrev_b32_e32 v61, s93, v60
	v_and_b32_e32 v61, s94, v61
	v_lshlrev_b32_e32 v61, 2, v61
	ds_read_b32 v152, v61
	v_mov_b32_e32 v61, v4
	v_xor_b32_e32 v159, 0x80000000, v60
	s_waitcnt lgkmcnt(0)
	v_add_u32_e32 v60, v152, v11
	v_lshlrev_b64 v[60:61], 2, v[60:61]
	v_add_co_u32_e32 v60, vcc, s76, v60
	v_addc_co_u32_e32 v61, vcc, v154, v61, vcc
	global_store_dword v[60:61], v159, off
	s_or_b64 exec, exec, s[44:45]
	v_cmp_lt_u32_e64 s[44:45], v6, v151
	s_and_saveexec_b64 s[46:47], s[44:45]
	s_cbranch_execnz .LBB632_483
.LBB632_498:                            ;   in Loop: Header=BB632_400 Depth=2
	s_or_b64 exec, exec, s[46:47]
	v_cmp_lt_u32_e64 s[46:47], v8, v151
	s_and_saveexec_b64 s[48:49], s[46:47]
	s_cbranch_execz .LBB632_484
.LBB632_499:                            ;   in Loop: Header=BB632_400 Depth=2
	ds_read_b32 v60, v72 offset:5120
	v_mov_b32_e32 v154, s77
	s_waitcnt lgkmcnt(0)
	v_lshrrev_b32_e32 v61, s93, v60
	v_and_b32_e32 v61, s94, v61
	v_lshlrev_b32_e32 v61, 2, v61
	ds_read_b32 v152, v61
	v_mov_b32_e32 v61, v4
	v_xor_b32_e32 v159, 0x80000000, v60
	s_waitcnt lgkmcnt(0)
	v_add_u32_e32 v60, v152, v8
	v_lshlrev_b64 v[60:61], 2, v[60:61]
	v_add_co_u32_e32 v60, vcc, s76, v60
	v_addc_co_u32_e32 v61, vcc, v154, v61, vcc
	global_store_dword v[60:61], v159, off
	s_or_b64 exec, exec, s[48:49]
	v_cmp_lt_u32_e64 s[48:49], v10, v151
	s_and_saveexec_b64 s[50:51], s[48:49]
	s_cbranch_execnz .LBB632_485
.LBB632_500:                            ;   in Loop: Header=BB632_400 Depth=2
	s_or_b64 exec, exec, s[50:51]
	v_cmp_lt_u32_e64 s[50:51], v12, v151
	s_and_saveexec_b64 s[52:53], s[50:51]
	s_cbranch_execz .LBB632_486
.LBB632_501:                            ;   in Loop: Header=BB632_400 Depth=2
	ds_read_b32 v60, v72 offset:7168
	v_mov_b32_e32 v154, s77
	s_waitcnt lgkmcnt(0)
	v_lshrrev_b32_e32 v61, s93, v60
	v_and_b32_e32 v61, s94, v61
	v_lshlrev_b32_e32 v61, 2, v61
	ds_read_b32 v152, v61
	v_mov_b32_e32 v61, v4
	v_xor_b32_e32 v159, 0x80000000, v60
	s_waitcnt lgkmcnt(0)
	v_add_u32_e32 v60, v152, v12
	v_lshlrev_b64 v[60:61], 2, v[60:61]
	v_add_co_u32_e32 v60, vcc, s76, v60
	v_addc_co_u32_e32 v61, vcc, v154, v61, vcc
	global_store_dword v[60:61], v159, off
	s_or_b64 exec, exec, s[52:53]
	v_cmp_lt_u32_e64 s[52:53], v14, v151
	s_and_saveexec_b64 s[54:55], s[52:53]
	s_cbranch_execnz .LBB632_487
.LBB632_502:                            ;   in Loop: Header=BB632_400 Depth=2
	s_or_b64 exec, exec, s[54:55]
	v_cmp_lt_u32_e64 s[54:55], v16, v151
	s_and_saveexec_b64 s[56:57], s[54:55]
	s_cbranch_execz .LBB632_488
.LBB632_503:                            ;   in Loop: Header=BB632_400 Depth=2
	ds_read_b32 v60, v72 offset:9216
	v_mov_b32_e32 v154, s77
	s_waitcnt lgkmcnt(0)
	v_lshrrev_b32_e32 v61, s93, v60
	v_and_b32_e32 v61, s94, v61
	v_lshlrev_b32_e32 v61, 2, v61
	ds_read_b32 v152, v61
	v_mov_b32_e32 v61, v4
	v_xor_b32_e32 v159, 0x80000000, v60
	s_waitcnt lgkmcnt(0)
	v_add_u32_e32 v60, v152, v16
	v_lshlrev_b64 v[60:61], 2, v[60:61]
	v_add_co_u32_e32 v60, vcc, s76, v60
	v_addc_co_u32_e32 v61, vcc, v154, v61, vcc
	global_store_dword v[60:61], v159, off
	s_or_b64 exec, exec, s[56:57]
	v_cmp_lt_u32_e64 s[56:57], v18, v151
	s_and_saveexec_b64 s[58:59], s[56:57]
	s_cbranch_execnz .LBB632_489
.LBB632_504:                            ;   in Loop: Header=BB632_400 Depth=2
	s_or_b64 exec, exec, s[58:59]
	v_cmp_lt_u32_e64 s[58:59], v20, v151
	s_and_saveexec_b64 s[60:61], s[58:59]
	s_cbranch_execz .LBB632_490
.LBB632_505:                            ;   in Loop: Header=BB632_400 Depth=2
	ds_read_b32 v60, v72 offset:11264
	v_mov_b32_e32 v154, s77
	s_waitcnt lgkmcnt(0)
	v_lshrrev_b32_e32 v61, s93, v60
	v_and_b32_e32 v61, s94, v61
	v_lshlrev_b32_e32 v61, 2, v61
	ds_read_b32 v152, v61
	v_mov_b32_e32 v61, v4
	v_xor_b32_e32 v159, 0x80000000, v60
	s_waitcnt lgkmcnt(0)
	v_add_u32_e32 v60, v152, v20
	v_lshlrev_b64 v[60:61], 2, v[60:61]
	v_add_co_u32_e32 v60, vcc, s76, v60
	v_addc_co_u32_e32 v61, vcc, v154, v61, vcc
	global_store_dword v[60:61], v159, off
	s_or_b64 exec, exec, s[60:61]
	v_cmp_lt_u32_e64 s[60:61], v22, v151
	s_and_saveexec_b64 s[62:63], s[60:61]
	s_cbranch_execnz .LBB632_491
.LBB632_506:                            ;   in Loop: Header=BB632_400 Depth=2
	s_or_b64 exec, exec, s[62:63]
	v_cmp_lt_u32_e64 s[62:63], v24, v151
	s_and_saveexec_b64 s[64:65], s[62:63]
	s_cbranch_execz .LBB632_492
.LBB632_507:                            ;   in Loop: Header=BB632_400 Depth=2
	ds_read_b32 v60, v72 offset:13312
	v_mov_b32_e32 v154, s77
	s_waitcnt lgkmcnt(0)
	v_lshrrev_b32_e32 v61, s93, v60
	v_and_b32_e32 v61, s94, v61
	v_lshlrev_b32_e32 v61, 2, v61
	ds_read_b32 v152, v61
	v_mov_b32_e32 v61, v4
	v_xor_b32_e32 v159, 0x80000000, v60
	s_waitcnt lgkmcnt(0)
	v_add_u32_e32 v60, v152, v24
	v_lshlrev_b64 v[60:61], 2, v[60:61]
	v_add_co_u32_e32 v60, vcc, s76, v60
	v_addc_co_u32_e32 v61, vcc, v154, v61, vcc
	global_store_dword v[60:61], v159, off
	s_or_b64 exec, exec, s[64:65]
	v_cmp_lt_u32_e64 s[64:65], v26, v151
	s_and_saveexec_b64 s[66:67], s[64:65]
	s_cbranch_execnz .LBB632_493
.LBB632_508:                            ;   in Loop: Header=BB632_400 Depth=2
	s_or_b64 exec, exec, s[66:67]
	v_cmp_lt_u32_e64 s[66:67], v28, v151
	s_and_saveexec_b64 s[78:79], s[66:67]
	s_cbranch_execz .LBB632_510
.LBB632_509:                            ;   in Loop: Header=BB632_400 Depth=2
	ds_read_b32 v60, v72 offset:15360
	v_mov_b32_e32 v154, s77
	s_waitcnt lgkmcnt(0)
	v_lshrrev_b32_e32 v61, s93, v60
	v_and_b32_e32 v61, s94, v61
	v_lshlrev_b32_e32 v61, 2, v61
	ds_read_b32 v152, v61
	v_mov_b32_e32 v61, v4
	v_xor_b32_e32 v159, 0x80000000, v60
	s_waitcnt lgkmcnt(0)
	v_add_u32_e32 v60, v152, v28
	v_lshlrev_b64 v[60:61], 2, v[60:61]
	v_add_co_u32_e32 v60, vcc, s76, v60
	v_addc_co_u32_e32 v61, vcc, v154, v61, vcc
	global_store_dword v[60:61], v159, off
.LBB632_510:                            ;   in Loop: Header=BB632_400 Depth=2
	s_or_b64 exec, exec, s[78:79]
	s_lshl_b64 s[78:79], s[88:89], 3
	v_mov_b32_e32 v61, s79
	v_add_co_u32_e32 v60, vcc, s78, v128
	v_addc_co_u32_e32 v61, vcc, v129, v61, vcc
	v_cmp_lt_u32_e32 vcc, v109, v151
	s_and_saveexec_b64 s[78:79], vcc
	s_xor_b64 s[78:79], exec, s[78:79]
	s_cbranch_execz .LBB632_542
; %bb.511:                              ;   in Loop: Header=BB632_400 Depth=2
	global_load_dwordx2 v[58:59], v[60:61], off
	s_or_b64 exec, exec, s[78:79]
	v_cmp_lt_u32_e32 vcc, v110, v151
	s_and_saveexec_b64 s[78:79], vcc
	s_cbranch_execnz .LBB632_543
.LBB632_512:                            ;   in Loop: Header=BB632_400 Depth=2
	s_or_b64 exec, exec, s[78:79]
	v_cmp_lt_u32_e32 vcc, v111, v151
	s_and_saveexec_b64 s[78:79], vcc
	s_cbranch_execz .LBB632_544
.LBB632_513:                            ;   in Loop: Header=BB632_400 Depth=2
	global_load_dwordx2 v[54:55], v[60:61], off offset:1024
	s_or_b64 exec, exec, s[78:79]
	v_cmp_lt_u32_e32 vcc, v112, v151
	s_and_saveexec_b64 s[78:79], vcc
	s_cbranch_execnz .LBB632_545
.LBB632_514:                            ;   in Loop: Header=BB632_400 Depth=2
	s_or_b64 exec, exec, s[78:79]
	v_cmp_lt_u32_e32 vcc, v113, v151
	s_and_saveexec_b64 s[78:79], vcc
	s_cbranch_execz .LBB632_546
.LBB632_515:                            ;   in Loop: Header=BB632_400 Depth=2
	global_load_dwordx2 v[46:47], v[60:61], off offset:2048
	s_or_b64 exec, exec, s[78:79]
	v_cmp_lt_u32_e32 vcc, v114, v151
	s_and_saveexec_b64 s[78:79], vcc
	s_cbranch_execnz .LBB632_547
.LBB632_516:                            ;   in Loop: Header=BB632_400 Depth=2
	s_or_b64 exec, exec, s[78:79]
	v_cmp_lt_u32_e32 vcc, v115, v151
	s_and_saveexec_b64 s[78:79], vcc
	s_cbranch_execz .LBB632_548
.LBB632_517:                            ;   in Loop: Header=BB632_400 Depth=2
	global_load_dwordx2 v[38:39], v[60:61], off offset:3072
	s_or_b64 exec, exec, s[78:79]
	v_cmp_lt_u32_e32 vcc, v116, v151
	s_and_saveexec_b64 s[78:79], vcc
	s_cbranch_execnz .LBB632_549
.LBB632_518:                            ;   in Loop: Header=BB632_400 Depth=2
	s_or_b64 exec, exec, s[78:79]
	v_cmp_lt_u32_e32 vcc, v117, v151
	s_and_saveexec_b64 s[78:79], vcc
	s_cbranch_execz .LBB632_550
.LBB632_519:                            ;   in Loop: Header=BB632_400 Depth=2
	v_add_co_u32_e32 v52, vcc, 0x1000, v60
	v_addc_co_u32_e32 v53, vcc, 0, v61, vcc
	global_load_dwordx2 v[52:53], v[52:53], off
	s_or_b64 exec, exec, s[78:79]
	v_cmp_lt_u32_e32 vcc, v118, v151
	s_and_saveexec_b64 s[78:79], vcc
	s_cbranch_execnz .LBB632_551
.LBB632_520:                            ;   in Loop: Header=BB632_400 Depth=2
	s_or_b64 exec, exec, s[78:79]
	v_cmp_lt_u32_e32 vcc, v119, v151
	s_and_saveexec_b64 s[78:79], vcc
	s_cbranch_execz .LBB632_552
.LBB632_521:                            ;   in Loop: Header=BB632_400 Depth=2
	v_add_co_u32_e32 v44, vcc, 0x1000, v60
	v_addc_co_u32_e32 v45, vcc, 0, v61, vcc
	global_load_dwordx2 v[44:45], v[44:45], off offset:1024
	s_or_b64 exec, exec, s[78:79]
	v_cmp_lt_u32_e32 vcc, v120, v151
	s_and_saveexec_b64 s[78:79], vcc
	s_cbranch_execnz .LBB632_553
.LBB632_522:                            ;   in Loop: Header=BB632_400 Depth=2
	s_or_b64 exec, exec, s[78:79]
	v_cmp_lt_u32_e32 vcc, v121, v151
	s_and_saveexec_b64 s[78:79], vcc
	s_cbranch_execz .LBB632_554
.LBB632_523:                            ;   in Loop: Header=BB632_400 Depth=2
	v_add_co_u32_e32 v36, vcc, 0x1000, v60
	v_addc_co_u32_e32 v37, vcc, 0, v61, vcc
	global_load_dwordx2 v[36:37], v[36:37], off offset:2048
	s_or_b64 exec, exec, s[78:79]
	v_cmp_lt_u32_e32 vcc, v122, v151
	s_and_saveexec_b64 s[78:79], vcc
	s_cbranch_execnz .LBB632_555
.LBB632_524:                            ;   in Loop: Header=BB632_400 Depth=2
	s_or_b64 exec, exec, s[78:79]
	v_cmp_lt_u32_e32 vcc, v123, v151
	s_and_saveexec_b64 s[78:79], vcc
	s_cbranch_execz .LBB632_556
.LBB632_525:                            ;   in Loop: Header=BB632_400 Depth=2
	v_add_co_u32_e32 v30, vcc, 0x1000, v60
	v_addc_co_u32_e32 v31, vcc, 0, v61, vcc
	global_load_dwordx2 v[30:31], v[30:31], off offset:3072
	s_or_b64 exec, exec, s[78:79]
	v_cmp_lt_u32_e32 vcc, v124, v151
	s_and_saveexec_b64 s[78:79], vcc
	s_cbranch_execnz .LBB632_557
.LBB632_526:                            ;   in Loop: Header=BB632_400 Depth=2
	s_or_b64 exec, exec, s[78:79]
	s_and_saveexec_b64 s[78:79], s[36:37]
	s_cbranch_execz .LBB632_558
.LBB632_527:                            ;   in Loop: Header=BB632_400 Depth=2
	v_add_u32_e32 v60, v64, v67
	ds_read_b32 v60, v60 offset:1024
	s_waitcnt lgkmcnt(0)
	v_lshrrev_b32_e32 v60, s93, v60
	v_and_b32_e32 v149, s94, v60
	s_or_b64 exec, exec, s[78:79]
	s_and_saveexec_b64 s[78:79], s[38:39]
	s_cbranch_execnz .LBB632_559
.LBB632_528:                            ;   in Loop: Header=BB632_400 Depth=2
	s_or_b64 exec, exec, s[78:79]
	s_and_saveexec_b64 s[78:79], s[40:41]
	s_cbranch_execz .LBB632_560
.LBB632_529:                            ;   in Loop: Header=BB632_400 Depth=2
	ds_read_b32 v60, v72 offset:2048
	s_waitcnt lgkmcnt(0)
	v_lshrrev_b32_e32 v60, s93, v60
	v_and_b32_e32 v146, s94, v60
	s_or_b64 exec, exec, s[78:79]
	s_and_saveexec_b64 s[78:79], s[42:43]
	s_cbranch_execnz .LBB632_561
.LBB632_530:                            ;   in Loop: Header=BB632_400 Depth=2
	s_or_b64 exec, exec, s[78:79]
	s_and_saveexec_b64 s[78:79], s[44:45]
	s_cbranch_execz .LBB632_562
.LBB632_531:                            ;   in Loop: Header=BB632_400 Depth=2
	ds_read_b32 v60, v72 offset:4096
	s_waitcnt lgkmcnt(0)
	v_lshrrev_b32_e32 v60, s93, v60
	v_and_b32_e32 v143, s94, v60
	s_or_b64 exec, exec, s[78:79]
	s_and_saveexec_b64 s[78:79], s[46:47]
	s_cbranch_execnz .LBB632_563
.LBB632_532:                            ;   in Loop: Header=BB632_400 Depth=2
	s_or_b64 exec, exec, s[78:79]
	s_and_saveexec_b64 s[78:79], s[48:49]
	s_cbranch_execz .LBB632_564
.LBB632_533:                            ;   in Loop: Header=BB632_400 Depth=2
	ds_read_b32 v60, v72 offset:6144
	s_waitcnt lgkmcnt(0)
	v_lshrrev_b32_e32 v60, s93, v60
	v_and_b32_e32 v141, s94, v60
	s_or_b64 exec, exec, s[78:79]
	s_and_saveexec_b64 s[78:79], s[50:51]
	s_cbranch_execnz .LBB632_565
.LBB632_534:                            ;   in Loop: Header=BB632_400 Depth=2
	s_or_b64 exec, exec, s[78:79]
	s_and_saveexec_b64 s[78:79], s[52:53]
	s_cbranch_execz .LBB632_566
.LBB632_535:                            ;   in Loop: Header=BB632_400 Depth=2
	ds_read_b32 v60, v72 offset:8192
	s_waitcnt lgkmcnt(0)
	v_lshrrev_b32_e32 v60, s93, v60
	v_and_b32_e32 v139, s94, v60
	s_or_b64 exec, exec, s[78:79]
	s_and_saveexec_b64 s[78:79], s[54:55]
	s_cbranch_execnz .LBB632_567
.LBB632_536:                            ;   in Loop: Header=BB632_400 Depth=2
	s_or_b64 exec, exec, s[78:79]
	s_and_saveexec_b64 s[78:79], s[56:57]
	s_cbranch_execz .LBB632_568
.LBB632_537:                            ;   in Loop: Header=BB632_400 Depth=2
	ds_read_b32 v60, v72 offset:10240
	s_waitcnt lgkmcnt(0)
	v_lshrrev_b32_e32 v60, s93, v60
	v_and_b32_e32 v137, s94, v60
	s_or_b64 exec, exec, s[78:79]
	s_and_saveexec_b64 s[78:79], s[58:59]
	s_cbranch_execnz .LBB632_569
.LBB632_538:                            ;   in Loop: Header=BB632_400 Depth=2
	s_or_b64 exec, exec, s[78:79]
	s_and_saveexec_b64 s[78:79], s[60:61]
	s_cbranch_execz .LBB632_570
.LBB632_539:                            ;   in Loop: Header=BB632_400 Depth=2
	ds_read_b32 v60, v72 offset:12288
	s_waitcnt lgkmcnt(0)
	v_lshrrev_b32_e32 v60, s93, v60
	v_and_b32_e32 v135, s94, v60
	s_or_b64 exec, exec, s[78:79]
	s_and_saveexec_b64 s[78:79], s[62:63]
	s_cbranch_execnz .LBB632_571
.LBB632_540:                            ;   in Loop: Header=BB632_400 Depth=2
	s_or_b64 exec, exec, s[78:79]
	s_and_saveexec_b64 s[78:79], s[64:65]
	s_cbranch_execz .LBB632_572
.LBB632_541:                            ;   in Loop: Header=BB632_400 Depth=2
	ds_read_b32 v60, v72 offset:14336
	s_waitcnt lgkmcnt(0)
	v_lshrrev_b32_e32 v60, s93, v60
	v_and_b32_e32 v133, s94, v60
	s_or_b64 exec, exec, s[78:79]
	s_and_saveexec_b64 s[78:79], s[66:67]
	s_cbranch_execnz .LBB632_573
	s_branch .LBB632_574
.LBB632_542:                            ;   in Loop: Header=BB632_400 Depth=2
	s_or_b64 exec, exec, s[78:79]
	v_cmp_lt_u32_e32 vcc, v110, v151
	s_and_saveexec_b64 s[78:79], vcc
	s_cbranch_execz .LBB632_512
.LBB632_543:                            ;   in Loop: Header=BB632_400 Depth=2
	global_load_dwordx2 v[56:57], v[60:61], off offset:512
	s_or_b64 exec, exec, s[78:79]
	v_cmp_lt_u32_e32 vcc, v111, v151
	s_and_saveexec_b64 s[78:79], vcc
	s_cbranch_execnz .LBB632_513
.LBB632_544:                            ;   in Loop: Header=BB632_400 Depth=2
	s_or_b64 exec, exec, s[78:79]
	v_cmp_lt_u32_e32 vcc, v112, v151
	s_and_saveexec_b64 s[78:79], vcc
	s_cbranch_execz .LBB632_514
.LBB632_545:                            ;   in Loop: Header=BB632_400 Depth=2
	global_load_dwordx2 v[50:51], v[60:61], off offset:1536
	s_or_b64 exec, exec, s[78:79]
	v_cmp_lt_u32_e32 vcc, v113, v151
	s_and_saveexec_b64 s[78:79], vcc
	s_cbranch_execnz .LBB632_515
.LBB632_546:                            ;   in Loop: Header=BB632_400 Depth=2
	s_or_b64 exec, exec, s[78:79]
	v_cmp_lt_u32_e32 vcc, v114, v151
	s_and_saveexec_b64 s[78:79], vcc
	s_cbranch_execz .LBB632_516
.LBB632_547:                            ;   in Loop: Header=BB632_400 Depth=2
	global_load_dwordx2 v[42:43], v[60:61], off offset:2560
	s_or_b64 exec, exec, s[78:79]
	v_cmp_lt_u32_e32 vcc, v115, v151
	s_and_saveexec_b64 s[78:79], vcc
	s_cbranch_execnz .LBB632_517
.LBB632_548:                            ;   in Loop: Header=BB632_400 Depth=2
	s_or_b64 exec, exec, s[78:79]
	v_cmp_lt_u32_e32 vcc, v116, v151
	s_and_saveexec_b64 s[78:79], vcc
	s_cbranch_execz .LBB632_518
.LBB632_549:                            ;   in Loop: Header=BB632_400 Depth=2
	global_load_dwordx2 v[34:35], v[60:61], off offset:3584
	s_or_b64 exec, exec, s[78:79]
	v_cmp_lt_u32_e32 vcc, v117, v151
	s_and_saveexec_b64 s[78:79], vcc
	s_cbranch_execnz .LBB632_519
.LBB632_550:                            ;   in Loop: Header=BB632_400 Depth=2
	s_or_b64 exec, exec, s[78:79]
	v_cmp_lt_u32_e32 vcc, v118, v151
	s_and_saveexec_b64 s[78:79], vcc
	s_cbranch_execz .LBB632_520
.LBB632_551:                            ;   in Loop: Header=BB632_400 Depth=2
	v_add_co_u32_e32 v48, vcc, 0x1000, v60
	v_addc_co_u32_e32 v49, vcc, 0, v61, vcc
	global_load_dwordx2 v[48:49], v[48:49], off offset:512
	s_or_b64 exec, exec, s[78:79]
	v_cmp_lt_u32_e32 vcc, v119, v151
	s_and_saveexec_b64 s[78:79], vcc
	s_cbranch_execnz .LBB632_521
.LBB632_552:                            ;   in Loop: Header=BB632_400 Depth=2
	s_or_b64 exec, exec, s[78:79]
	v_cmp_lt_u32_e32 vcc, v120, v151
	s_and_saveexec_b64 s[78:79], vcc
	s_cbranch_execz .LBB632_522
.LBB632_553:                            ;   in Loop: Header=BB632_400 Depth=2
	v_add_co_u32_e32 v40, vcc, 0x1000, v60
	v_addc_co_u32_e32 v41, vcc, 0, v61, vcc
	global_load_dwordx2 v[40:41], v[40:41], off offset:1536
	s_or_b64 exec, exec, s[78:79]
	v_cmp_lt_u32_e32 vcc, v121, v151
	s_and_saveexec_b64 s[78:79], vcc
	s_cbranch_execnz .LBB632_523
.LBB632_554:                            ;   in Loop: Header=BB632_400 Depth=2
	s_or_b64 exec, exec, s[78:79]
	v_cmp_lt_u32_e32 vcc, v122, v151
	s_and_saveexec_b64 s[78:79], vcc
	s_cbranch_execz .LBB632_524
.LBB632_555:                            ;   in Loop: Header=BB632_400 Depth=2
	v_add_co_u32_e32 v32, vcc, 0x1000, v60
	v_addc_co_u32_e32 v33, vcc, 0, v61, vcc
	global_load_dwordx2 v[32:33], v[32:33], off offset:2560
	s_or_b64 exec, exec, s[78:79]
	v_cmp_lt_u32_e32 vcc, v123, v151
	s_and_saveexec_b64 s[78:79], vcc
	s_cbranch_execnz .LBB632_525
.LBB632_556:                            ;   in Loop: Header=BB632_400 Depth=2
	s_or_b64 exec, exec, s[78:79]
	v_cmp_lt_u32_e32 vcc, v124, v151
	s_and_saveexec_b64 s[78:79], vcc
	s_cbranch_execz .LBB632_526
.LBB632_557:                            ;   in Loop: Header=BB632_400 Depth=2
	v_add_co_u32_e32 v0, vcc, 0x1000, v60
	v_addc_co_u32_e32 v1, vcc, 0, v61, vcc
	global_load_dwordx2 v[0:1], v[0:1], off offset:3584
	s_or_b64 exec, exec, s[78:79]
	s_and_saveexec_b64 s[78:79], s[36:37]
	s_cbranch_execnz .LBB632_527
.LBB632_558:                            ;   in Loop: Header=BB632_400 Depth=2
	s_or_b64 exec, exec, s[78:79]
	s_and_saveexec_b64 s[78:79], s[38:39]
	s_cbranch_execz .LBB632_528
.LBB632_559:                            ;   in Loop: Header=BB632_400 Depth=2
	ds_read_b32 v60, v72 offset:1024
	s_waitcnt lgkmcnt(0)
	v_lshrrev_b32_e32 v60, s93, v60
	v_and_b32_e32 v147, s94, v60
	s_or_b64 exec, exec, s[78:79]
	s_and_saveexec_b64 s[78:79], s[40:41]
	s_cbranch_execnz .LBB632_529
.LBB632_560:                            ;   in Loop: Header=BB632_400 Depth=2
	s_or_b64 exec, exec, s[78:79]
	s_and_saveexec_b64 s[78:79], s[42:43]
	s_cbranch_execz .LBB632_530
.LBB632_561:                            ;   in Loop: Header=BB632_400 Depth=2
	ds_read_b32 v60, v72 offset:3072
	s_waitcnt lgkmcnt(0)
	v_lshrrev_b32_e32 v60, s93, v60
	v_and_b32_e32 v144, s94, v60
	s_or_b64 exec, exec, s[78:79]
	s_and_saveexec_b64 s[78:79], s[44:45]
	s_cbranch_execnz .LBB632_531
.LBB632_562:                            ;   in Loop: Header=BB632_400 Depth=2
	s_or_b64 exec, exec, s[78:79]
	s_and_saveexec_b64 s[78:79], s[46:47]
	s_cbranch_execz .LBB632_532
.LBB632_563:                            ;   in Loop: Header=BB632_400 Depth=2
	ds_read_b32 v60, v72 offset:5120
	s_waitcnt lgkmcnt(0)
	v_lshrrev_b32_e32 v60, s93, v60
	v_and_b32_e32 v142, s94, v60
	s_or_b64 exec, exec, s[78:79]
	s_and_saveexec_b64 s[78:79], s[48:49]
	s_cbranch_execnz .LBB632_533
.LBB632_564:                            ;   in Loop: Header=BB632_400 Depth=2
	s_or_b64 exec, exec, s[78:79]
	s_and_saveexec_b64 s[78:79], s[50:51]
	s_cbranch_execz .LBB632_534
.LBB632_565:                            ;   in Loop: Header=BB632_400 Depth=2
	ds_read_b32 v60, v72 offset:7168
	s_waitcnt lgkmcnt(0)
	v_lshrrev_b32_e32 v60, s93, v60
	v_and_b32_e32 v140, s94, v60
	s_or_b64 exec, exec, s[78:79]
	s_and_saveexec_b64 s[78:79], s[52:53]
	s_cbranch_execnz .LBB632_535
.LBB632_566:                            ;   in Loop: Header=BB632_400 Depth=2
	s_or_b64 exec, exec, s[78:79]
	s_and_saveexec_b64 s[78:79], s[54:55]
	s_cbranch_execz .LBB632_536
.LBB632_567:                            ;   in Loop: Header=BB632_400 Depth=2
	ds_read_b32 v60, v72 offset:9216
	s_waitcnt lgkmcnt(0)
	v_lshrrev_b32_e32 v60, s93, v60
	v_and_b32_e32 v138, s94, v60
	s_or_b64 exec, exec, s[78:79]
	s_and_saveexec_b64 s[78:79], s[56:57]
	s_cbranch_execnz .LBB632_537
.LBB632_568:                            ;   in Loop: Header=BB632_400 Depth=2
	s_or_b64 exec, exec, s[78:79]
	s_and_saveexec_b64 s[78:79], s[58:59]
	s_cbranch_execz .LBB632_538
.LBB632_569:                            ;   in Loop: Header=BB632_400 Depth=2
	ds_read_b32 v60, v72 offset:11264
	s_waitcnt lgkmcnt(0)
	v_lshrrev_b32_e32 v60, s93, v60
	v_and_b32_e32 v136, s94, v60
	s_or_b64 exec, exec, s[78:79]
	s_and_saveexec_b64 s[78:79], s[60:61]
	s_cbranch_execnz .LBB632_539
.LBB632_570:                            ;   in Loop: Header=BB632_400 Depth=2
	s_or_b64 exec, exec, s[78:79]
	s_and_saveexec_b64 s[78:79], s[62:63]
	s_cbranch_execz .LBB632_540
.LBB632_571:                            ;   in Loop: Header=BB632_400 Depth=2
	ds_read_b32 v60, v72 offset:13312
	s_waitcnt lgkmcnt(0)
	v_lshrrev_b32_e32 v60, s93, v60
	v_and_b32_e32 v134, s94, v60
	s_or_b64 exec, exec, s[78:79]
	s_and_saveexec_b64 s[78:79], s[64:65]
	s_cbranch_execnz .LBB632_541
.LBB632_572:                            ;   in Loop: Header=BB632_400 Depth=2
	s_or_b64 exec, exec, s[78:79]
	s_and_saveexec_b64 s[78:79], s[66:67]
	s_cbranch_execz .LBB632_574
.LBB632_573:                            ;   in Loop: Header=BB632_400 Depth=2
	ds_read_b32 v60, v72 offset:15360
	s_waitcnt lgkmcnt(0)
	v_lshrrev_b32_e32 v60, s93, v60
	v_and_b32_e32 v132, s94, v60
.LBB632_574:                            ;   in Loop: Header=BB632_400 Depth=2
	s_or_b64 exec, exec, s[78:79]
	v_lshlrev_b32_e32 v60, 3, v172
	s_barrier
	s_waitcnt vmcnt(0)
	ds_write_b64 v60, v[58:59] offset:1024
	v_lshlrev_b32_e32 v60, 3, v168
	ds_write_b64 v60, v[56:57] offset:1024
	v_lshlrev_b32_e32 v60, 3, v167
	;; [unrolled: 2-line block ×15, first 2 shown]
	ds_write_b64 v60, v[0:1] offset:1024
	s_waitcnt lgkmcnt(0)
	s_barrier
	s_and_saveexec_b64 s[78:79], s[36:37]
	s_cbranch_execz .LBB632_590
; %bb.575:                              ;   in Loop: Header=BB632_400 Depth=2
	v_lshlrev_b32_e32 v60, 2, v149
	ds_read_b32 v62, v60
	ds_read_b64 v[60:61], v73 offset:1024
	v_mov_b32_e32 v63, v4
	v_mov_b32_e32 v151, s83
	s_waitcnt lgkmcnt(1)
	v_add_u32_e32 v62, v62, v2
	v_lshlrev_b64 v[62:63], 3, v[62:63]
	v_add_co_u32_e32 v62, vcc, s82, v62
	v_addc_co_u32_e32 v63, vcc, v151, v63, vcc
	s_waitcnt lgkmcnt(0)
	global_store_dwordx2 v[62:63], v[60:61], off
	s_or_b64 exec, exec, s[78:79]
	s_and_saveexec_b64 s[36:37], s[38:39]
	s_cbranch_execnz .LBB632_591
.LBB632_576:                            ;   in Loop: Header=BB632_400 Depth=2
	s_or_b64 exec, exec, s[36:37]
	s_and_saveexec_b64 s[36:37], s[40:41]
	s_cbranch_execz .LBB632_592
.LBB632_577:                            ;   in Loop: Header=BB632_400 Depth=2
	v_lshlrev_b32_e32 v60, 2, v146
	ds_read_b32 v62, v60
	v_add_u32_e32 v60, v72, v3
	ds_read_b64 v[60:61], v60 offset:4096
	v_mov_b32_e32 v63, v4
	v_mov_b32_e32 v151, s83
	s_waitcnt lgkmcnt(1)
	v_add_u32_e32 v62, v62, v9
	v_lshlrev_b64 v[62:63], 3, v[62:63]
	v_add_co_u32_e32 v62, vcc, s82, v62
	v_addc_co_u32_e32 v63, vcc, v151, v63, vcc
	s_waitcnt lgkmcnt(0)
	global_store_dwordx2 v[62:63], v[60:61], off
	s_or_b64 exec, exec, s[36:37]
	s_and_saveexec_b64 s[36:37], s[42:43]
	s_cbranch_execnz .LBB632_593
.LBB632_578:                            ;   in Loop: Header=BB632_400 Depth=2
	s_or_b64 exec, exec, s[36:37]
	s_and_saveexec_b64 s[36:37], s[44:45]
	s_cbranch_execz .LBB632_594
.LBB632_579:                            ;   in Loop: Header=BB632_400 Depth=2
	v_lshlrev_b32_e32 v60, 2, v143
	ds_read_b32 v62, v60
	v_add_u32_e32 v60, v72, v3
	ds_read_b64 v[60:61], v60 offset:8192
	v_mov_b32_e32 v63, v4
	v_mov_b32_e32 v151, s83
	s_waitcnt lgkmcnt(1)
	v_add_u32_e32 v62, v62, v6
	v_lshlrev_b64 v[62:63], 3, v[62:63]
	v_add_co_u32_e32 v62, vcc, s82, v62
	v_addc_co_u32_e32 v63, vcc, v151, v63, vcc
	s_waitcnt lgkmcnt(0)
	global_store_dwordx2 v[62:63], v[60:61], off
	s_or_b64 exec, exec, s[36:37]
	s_and_saveexec_b64 s[36:37], s[46:47]
	s_cbranch_execnz .LBB632_595
.LBB632_580:                            ;   in Loop: Header=BB632_400 Depth=2
	s_or_b64 exec, exec, s[36:37]
	s_and_saveexec_b64 s[36:37], s[48:49]
	s_cbranch_execz .LBB632_596
.LBB632_581:                            ;   in Loop: Header=BB632_400 Depth=2
	v_lshlrev_b32_e32 v60, 2, v141
	ds_read_b32 v62, v60
	v_add_u32_e32 v60, v72, v3
	ds_read_b64 v[60:61], v60 offset:12288
	v_mov_b32_e32 v63, v4
	v_mov_b32_e32 v151, s83
	s_waitcnt lgkmcnt(1)
	v_add_u32_e32 v62, v62, v10
	v_lshlrev_b64 v[62:63], 3, v[62:63]
	v_add_co_u32_e32 v62, vcc, s82, v62
	v_addc_co_u32_e32 v63, vcc, v151, v63, vcc
	s_waitcnt lgkmcnt(0)
	global_store_dwordx2 v[62:63], v[60:61], off
	s_or_b64 exec, exec, s[36:37]
	s_and_saveexec_b64 s[36:37], s[50:51]
	s_cbranch_execnz .LBB632_597
.LBB632_582:                            ;   in Loop: Header=BB632_400 Depth=2
	s_or_b64 exec, exec, s[36:37]
	s_and_saveexec_b64 s[36:37], s[52:53]
	s_cbranch_execz .LBB632_598
.LBB632_583:                            ;   in Loop: Header=BB632_400 Depth=2
	v_lshlrev_b32_e32 v60, 2, v139
	ds_read_b32 v62, v60
	v_add_u32_e32 v60, v72, v3
	ds_read_b64 v[60:61], v60 offset:16384
	v_mov_b32_e32 v63, v4
	v_mov_b32_e32 v151, s83
	s_waitcnt lgkmcnt(1)
	v_add_u32_e32 v62, v62, v14
	v_lshlrev_b64 v[62:63], 3, v[62:63]
	v_add_co_u32_e32 v62, vcc, s82, v62
	v_addc_co_u32_e32 v63, vcc, v151, v63, vcc
	s_waitcnt lgkmcnt(0)
	global_store_dwordx2 v[62:63], v[60:61], off
	s_or_b64 exec, exec, s[36:37]
	s_and_saveexec_b64 s[36:37], s[54:55]
	s_cbranch_execnz .LBB632_599
.LBB632_584:                            ;   in Loop: Header=BB632_400 Depth=2
	s_or_b64 exec, exec, s[36:37]
	s_and_saveexec_b64 s[36:37], s[56:57]
	s_cbranch_execz .LBB632_600
.LBB632_585:                            ;   in Loop: Header=BB632_400 Depth=2
	v_lshlrev_b32_e32 v60, 2, v137
	ds_read_b32 v62, v60
	v_add_u32_e32 v60, v72, v3
	ds_read_b64 v[60:61], v60 offset:20480
	v_mov_b32_e32 v63, v4
	v_mov_b32_e32 v151, s83
	s_waitcnt lgkmcnt(1)
	v_add_u32_e32 v62, v62, v18
	v_lshlrev_b64 v[62:63], 3, v[62:63]
	v_add_co_u32_e32 v62, vcc, s82, v62
	v_addc_co_u32_e32 v63, vcc, v151, v63, vcc
	s_waitcnt lgkmcnt(0)
	global_store_dwordx2 v[62:63], v[60:61], off
	s_or_b64 exec, exec, s[36:37]
	s_and_saveexec_b64 s[36:37], s[58:59]
	s_cbranch_execnz .LBB632_601
.LBB632_586:                            ;   in Loop: Header=BB632_400 Depth=2
	s_or_b64 exec, exec, s[36:37]
	s_and_saveexec_b64 s[36:37], s[60:61]
	s_cbranch_execz .LBB632_602
.LBB632_587:                            ;   in Loop: Header=BB632_400 Depth=2
	v_lshlrev_b32_e32 v60, 2, v135
	ds_read_b32 v62, v60
	v_add_u32_e32 v60, v72, v3
	ds_read_b64 v[60:61], v60 offset:24576
	v_mov_b32_e32 v63, v4
	v_mov_b32_e32 v151, s83
	s_waitcnt lgkmcnt(1)
	v_add_u32_e32 v62, v62, v22
	v_lshlrev_b64 v[62:63], 3, v[62:63]
	v_add_co_u32_e32 v62, vcc, s82, v62
	v_addc_co_u32_e32 v63, vcc, v151, v63, vcc
	s_waitcnt lgkmcnt(0)
	global_store_dwordx2 v[62:63], v[60:61], off
	s_or_b64 exec, exec, s[36:37]
	s_and_saveexec_b64 s[36:37], s[62:63]
	s_cbranch_execnz .LBB632_603
.LBB632_588:                            ;   in Loop: Header=BB632_400 Depth=2
	s_or_b64 exec, exec, s[36:37]
	s_and_saveexec_b64 s[36:37], s[64:65]
	s_cbranch_execz .LBB632_604
.LBB632_589:                            ;   in Loop: Header=BB632_400 Depth=2
	v_lshlrev_b32_e32 v60, 2, v133
	ds_read_b32 v62, v60
	v_add_u32_e32 v60, v72, v3
	ds_read_b64 v[60:61], v60 offset:28672
	v_mov_b32_e32 v63, v4
	v_mov_b32_e32 v151, s83
	s_waitcnt lgkmcnt(1)
	v_add_u32_e32 v62, v62, v26
	v_lshlrev_b64 v[62:63], 3, v[62:63]
	v_add_co_u32_e32 v62, vcc, s82, v62
	v_addc_co_u32_e32 v63, vcc, v151, v63, vcc
	s_waitcnt lgkmcnt(0)
	global_store_dwordx2 v[62:63], v[60:61], off
	s_or_b64 exec, exec, s[36:37]
	s_and_saveexec_b64 s[36:37], s[66:67]
	s_cbranch_execnz .LBB632_605
	s_branch .LBB632_606
.LBB632_590:                            ;   in Loop: Header=BB632_400 Depth=2
	s_or_b64 exec, exec, s[78:79]
	s_and_saveexec_b64 s[36:37], s[38:39]
	s_cbranch_execz .LBB632_576
.LBB632_591:                            ;   in Loop: Header=BB632_400 Depth=2
	v_lshlrev_b32_e32 v60, 2, v147
	ds_read_b32 v62, v60
	v_add_u32_e32 v60, v72, v3
	ds_read_b64 v[60:61], v60 offset:2048
	v_mov_b32_e32 v63, v4
	v_mov_b32_e32 v151, s83
	s_waitcnt lgkmcnt(1)
	v_add_u32_e32 v62, v62, v7
	v_lshlrev_b64 v[62:63], 3, v[62:63]
	v_add_co_u32_e32 v62, vcc, s82, v62
	v_addc_co_u32_e32 v63, vcc, v151, v63, vcc
	s_waitcnt lgkmcnt(0)
	global_store_dwordx2 v[62:63], v[60:61], off
	s_or_b64 exec, exec, s[36:37]
	s_and_saveexec_b64 s[36:37], s[40:41]
	s_cbranch_execnz .LBB632_577
.LBB632_592:                            ;   in Loop: Header=BB632_400 Depth=2
	s_or_b64 exec, exec, s[36:37]
	s_and_saveexec_b64 s[36:37], s[42:43]
	s_cbranch_execz .LBB632_578
.LBB632_593:                            ;   in Loop: Header=BB632_400 Depth=2
	v_lshlrev_b32_e32 v60, 2, v144
	ds_read_b32 v62, v60
	v_add_u32_e32 v60, v72, v3
	ds_read_b64 v[60:61], v60 offset:6144
	v_mov_b32_e32 v63, v4
	v_mov_b32_e32 v151, s83
	s_waitcnt lgkmcnt(1)
	v_add_u32_e32 v62, v62, v11
	v_lshlrev_b64 v[62:63], 3, v[62:63]
	v_add_co_u32_e32 v62, vcc, s82, v62
	v_addc_co_u32_e32 v63, vcc, v151, v63, vcc
	s_waitcnt lgkmcnt(0)
	global_store_dwordx2 v[62:63], v[60:61], off
	s_or_b64 exec, exec, s[36:37]
	s_and_saveexec_b64 s[36:37], s[44:45]
	s_cbranch_execnz .LBB632_579
.LBB632_594:                            ;   in Loop: Header=BB632_400 Depth=2
	s_or_b64 exec, exec, s[36:37]
	s_and_saveexec_b64 s[36:37], s[46:47]
	s_cbranch_execz .LBB632_580
.LBB632_595:                            ;   in Loop: Header=BB632_400 Depth=2
	v_lshlrev_b32_e32 v60, 2, v142
	ds_read_b32 v62, v60
	v_add_u32_e32 v60, v72, v3
	ds_read_b64 v[60:61], v60 offset:10240
	v_mov_b32_e32 v63, v4
	v_mov_b32_e32 v151, s83
	s_waitcnt lgkmcnt(1)
	v_add_u32_e32 v62, v62, v8
	v_lshlrev_b64 v[62:63], 3, v[62:63]
	v_add_co_u32_e32 v62, vcc, s82, v62
	v_addc_co_u32_e32 v63, vcc, v151, v63, vcc
	s_waitcnt lgkmcnt(0)
	global_store_dwordx2 v[62:63], v[60:61], off
	s_or_b64 exec, exec, s[36:37]
	s_and_saveexec_b64 s[36:37], s[48:49]
	s_cbranch_execnz .LBB632_581
.LBB632_596:                            ;   in Loop: Header=BB632_400 Depth=2
	s_or_b64 exec, exec, s[36:37]
	s_and_saveexec_b64 s[36:37], s[50:51]
	s_cbranch_execz .LBB632_582
.LBB632_597:                            ;   in Loop: Header=BB632_400 Depth=2
	v_lshlrev_b32_e32 v60, 2, v140
	ds_read_b32 v62, v60
	v_add_u32_e32 v60, v72, v3
	ds_read_b64 v[60:61], v60 offset:14336
	v_mov_b32_e32 v63, v4
	v_mov_b32_e32 v151, s83
	s_waitcnt lgkmcnt(1)
	v_add_u32_e32 v62, v62, v12
	v_lshlrev_b64 v[62:63], 3, v[62:63]
	v_add_co_u32_e32 v62, vcc, s82, v62
	v_addc_co_u32_e32 v63, vcc, v151, v63, vcc
	s_waitcnt lgkmcnt(0)
	global_store_dwordx2 v[62:63], v[60:61], off
	s_or_b64 exec, exec, s[36:37]
	s_and_saveexec_b64 s[36:37], s[52:53]
	s_cbranch_execnz .LBB632_583
.LBB632_598:                            ;   in Loop: Header=BB632_400 Depth=2
	s_or_b64 exec, exec, s[36:37]
	s_and_saveexec_b64 s[36:37], s[54:55]
	s_cbranch_execz .LBB632_584
.LBB632_599:                            ;   in Loop: Header=BB632_400 Depth=2
	v_lshlrev_b32_e32 v60, 2, v138
	ds_read_b32 v62, v60
	v_add_u32_e32 v60, v72, v3
	ds_read_b64 v[60:61], v60 offset:18432
	v_mov_b32_e32 v63, v4
	v_mov_b32_e32 v151, s83
	s_waitcnt lgkmcnt(1)
	v_add_u32_e32 v62, v62, v16
	v_lshlrev_b64 v[62:63], 3, v[62:63]
	v_add_co_u32_e32 v62, vcc, s82, v62
	v_addc_co_u32_e32 v63, vcc, v151, v63, vcc
	s_waitcnt lgkmcnt(0)
	global_store_dwordx2 v[62:63], v[60:61], off
	s_or_b64 exec, exec, s[36:37]
	s_and_saveexec_b64 s[36:37], s[56:57]
	s_cbranch_execnz .LBB632_585
.LBB632_600:                            ;   in Loop: Header=BB632_400 Depth=2
	s_or_b64 exec, exec, s[36:37]
	s_and_saveexec_b64 s[36:37], s[58:59]
	s_cbranch_execz .LBB632_586
.LBB632_601:                            ;   in Loop: Header=BB632_400 Depth=2
	v_lshlrev_b32_e32 v60, 2, v136
	ds_read_b32 v62, v60
	v_add_u32_e32 v60, v72, v3
	ds_read_b64 v[60:61], v60 offset:22528
	v_mov_b32_e32 v63, v4
	v_mov_b32_e32 v151, s83
	s_waitcnt lgkmcnt(1)
	v_add_u32_e32 v62, v62, v20
	v_lshlrev_b64 v[62:63], 3, v[62:63]
	v_add_co_u32_e32 v62, vcc, s82, v62
	v_addc_co_u32_e32 v63, vcc, v151, v63, vcc
	s_waitcnt lgkmcnt(0)
	global_store_dwordx2 v[62:63], v[60:61], off
	s_or_b64 exec, exec, s[36:37]
	s_and_saveexec_b64 s[36:37], s[60:61]
	s_cbranch_execnz .LBB632_587
.LBB632_602:                            ;   in Loop: Header=BB632_400 Depth=2
	s_or_b64 exec, exec, s[36:37]
	s_and_saveexec_b64 s[36:37], s[62:63]
	s_cbranch_execz .LBB632_588
.LBB632_603:                            ;   in Loop: Header=BB632_400 Depth=2
	v_lshlrev_b32_e32 v60, 2, v134
	ds_read_b32 v62, v60
	v_add_u32_e32 v60, v72, v3
	ds_read_b64 v[60:61], v60 offset:26624
	v_mov_b32_e32 v63, v4
	v_mov_b32_e32 v151, s83
	s_waitcnt lgkmcnt(1)
	v_add_u32_e32 v62, v62, v24
	v_lshlrev_b64 v[62:63], 3, v[62:63]
	v_add_co_u32_e32 v62, vcc, s82, v62
	v_addc_co_u32_e32 v63, vcc, v151, v63, vcc
	s_waitcnt lgkmcnt(0)
	global_store_dwordx2 v[62:63], v[60:61], off
	s_or_b64 exec, exec, s[36:37]
	s_and_saveexec_b64 s[36:37], s[64:65]
	s_cbranch_execnz .LBB632_589
.LBB632_604:                            ;   in Loop: Header=BB632_400 Depth=2
	s_or_b64 exec, exec, s[36:37]
	s_and_saveexec_b64 s[36:37], s[66:67]
	s_cbranch_execz .LBB632_606
.LBB632_605:                            ;   in Loop: Header=BB632_400 Depth=2
	v_lshlrev_b32_e32 v60, 2, v132
	ds_read_b32 v62, v60
	v_add_u32_e32 v60, v72, v3
	ds_read_b64 v[60:61], v60 offset:30720
	v_mov_b32_e32 v63, v4
	v_mov_b32_e32 v151, s83
	s_waitcnt lgkmcnt(1)
	v_add_u32_e32 v62, v62, v28
	v_lshlrev_b64 v[62:63], 3, v[62:63]
	v_add_co_u32_e32 v62, vcc, s82, v62
	v_addc_co_u32_e32 v63, vcc, v151, v63, vcc
	s_waitcnt lgkmcnt(0)
	global_store_dwordx2 v[62:63], v[60:61], off
.LBB632_606:                            ;   in Loop: Header=BB632_400 Depth=2
	s_or_b64 exec, exec, s[36:37]
	s_barrier
	s_and_saveexec_b64 s[36:37], s[4:5]
	s_cbranch_execz .LBB632_399
; %bb.607:                              ;   in Loop: Header=BB632_400 Depth=2
	ds_read_b32 v60, v3
	s_waitcnt lgkmcnt(0)
	v_add_u32_e32 v5, v60, v5
	ds_write_b32 v3, v5
	s_branch .LBB632_399
.LBB632_608:                            ;   in Loop: Header=BB632_20 Depth=1
	s_waitcnt lgkmcnt(0)
	s_barrier
.LBB632_609:                            ;   in Loop: Header=BB632_20 Depth=1
	s_mov_b64 s[16:17], 0
.LBB632_610:                            ;   in Loop: Header=BB632_20 Depth=1
	s_andn2_b64 vcc, exec, s[16:17]
	s_cbranch_vccnz .LBB632_19
; %bb.611:                              ;   in Loop: Header=BB632_20 Depth=1
	s_mov_b64 s[16:17], -1
	s_and_b64 vcc, exec, s[70:71]
	s_cbranch_vccz .LBB632_905
; %bb.612:                              ;   in Loop: Header=BB632_20 Depth=1
	s_mov_b32 s22, s87
	s_mov_b32 s88, s69
	s_barrier
	s_waitcnt lgkmcnt(0)
                                        ; implicit-def: $vgpr44
                                        ; implicit-def: $vgpr5
                                        ; implicit-def: $vgpr30
                                        ; implicit-def: $vgpr31
                                        ; implicit-def: $vgpr32
                                        ; implicit-def: $vgpr33
                                        ; implicit-def: $vgpr34
                                        ; implicit-def: $vgpr35
                                        ; implicit-def: $vgpr36
                                        ; implicit-def: $vgpr37
                                        ; implicit-def: $vgpr38
                                        ; implicit-def: $vgpr39
                                        ; implicit-def: $vgpr40
                                        ; implicit-def: $vgpr41
                                        ; implicit-def: $vgpr42
                                        ; implicit-def: $vgpr43
	s_branch .LBB632_614
.LBB632_613:                            ;   in Loop: Header=BB632_614 Depth=2
	s_or_b64 exec, exec, s[16:17]
	s_addk_i32 s22, 0xf000
	s_cmp_ge_u32 s23, s92
	s_mov_b32 s88, s23
	s_cbranch_scc1 .LBB632_684
.LBB632_614:                            ;   Parent Loop BB632_20 Depth=1
                                        ; =>  This Inner Loop Header: Depth=2
	s_add_i32 s23, s88, 0x1000
	s_cmp_gt_u32 s23, s92
	s_cbranch_scc1 .LBB632_617
; %bb.615:                              ;   in Loop: Header=BB632_614 Depth=2
	s_lshl_b64 s[16:17], s[88:89], 2
	v_mov_b32_e32 v1, s17
	v_add_co_u32_e32 v0, vcc, s16, v80
	v_addc_co_u32_e32 v1, vcc, v81, v1, vcc
	s_waitcnt vmcnt(6)
	v_add_co_u32_e32 v54, vcc, 0x1000, v0
	s_waitcnt vmcnt(5)
	v_addc_co_u32_e32 v55, vcc, 0, v1, vcc
	v_add_co_u32_e32 v62, vcc, s84, v0
	v_addc_co_u32_e32 v63, vcc, 0, v1, vcc
	global_load_dword v46, v[0:1], off
	global_load_dword v47, v[0:1], off offset:1024
	global_load_dword v48, v[0:1], off offset:2048
	;; [unrolled: 1-line block ×3, first 2 shown]
	global_load_dword v50, v[54:55], off
	global_load_dword v51, v[54:55], off offset:1024
	global_load_dword v52, v[54:55], off offset:2048
	global_load_dword v53, v[54:55], off offset:3072
	v_add_co_u32_e32 v128, vcc, 0x3000, v0
	v_addc_co_u32_e32 v129, vcc, 0, v1, vcc
	global_load_dword v54, v[62:63], off
	global_load_dword v55, v[62:63], off offset:1024
	global_load_dword v56, v[62:63], off offset:2048
	;; [unrolled: 1-line block ×3, first 2 shown]
	global_load_dword v58, v[128:129], off
	global_load_dword v59, v[128:129], off offset:1024
	global_load_dword v60, v[128:129], off offset:2048
	v_add_co_u32_e32 v0, vcc, 0x3c00, v0
	s_movk_i32 s24, 0x1000
	v_addc_co_u32_e32 v1, vcc, 0, v1, vcc
	s_mov_b64 s[16:17], -1
	s_cbranch_execz .LBB632_618
; %bb.616:                              ;   in Loop: Header=BB632_614 Depth=2
                                        ; implicit-def: $vgpr43
                                        ; implicit-def: $vgpr42
                                        ; implicit-def: $vgpr41
                                        ; implicit-def: $vgpr40
                                        ; implicit-def: $vgpr39
                                        ; implicit-def: $vgpr38
                                        ; implicit-def: $vgpr37
                                        ; implicit-def: $vgpr36
                                        ; implicit-def: $vgpr35
                                        ; implicit-def: $vgpr34
                                        ; implicit-def: $vgpr33
                                        ; implicit-def: $vgpr32
                                        ; implicit-def: $vgpr31
                                        ; implicit-def: $vgpr30
                                        ; implicit-def: $vgpr5
                                        ; implicit-def: $vgpr44
	v_mov_b32_e32 v45, s22
	s_and_saveexec_b64 s[18:19], s[16:17]
	s_cbranch_execnz .LBB632_637
	s_branch .LBB632_638
.LBB632_617:                            ;   in Loop: Header=BB632_614 Depth=2
	s_mov_b64 s[16:17], 0
                                        ; implicit-def: $sgpr24
                                        ; implicit-def: $vgpr46
                                        ; implicit-def: $vgpr47
                                        ; implicit-def: $vgpr48
                                        ; implicit-def: $vgpr49
                                        ; implicit-def: $vgpr50
                                        ; implicit-def: $vgpr51
                                        ; implicit-def: $vgpr52
                                        ; implicit-def: $vgpr53
                                        ; implicit-def: $vgpr54
                                        ; implicit-def: $vgpr55
                                        ; implicit-def: $vgpr56
                                        ; implicit-def: $vgpr57
                                        ; implicit-def: $vgpr58
                                        ; implicit-def: $vgpr59
                                        ; implicit-def: $vgpr60
                                        ; implicit-def: $vgpr0_vgpr1
.LBB632_618:                            ;   in Loop: Header=BB632_614 Depth=2
	s_lshl_b64 s[18:19], s[88:89], 2
	s_add_u32 s18, s72, s18
	s_addc_u32 s19, s73, s19
	v_cmp_gt_u32_e32 vcc, s22, v2
	s_and_saveexec_b64 s[20:21], vcc
	s_cbranch_execz .LBB632_670
; %bb.619:                              ;   in Loop: Header=BB632_614 Depth=2
	global_load_dword v43, v88, s[18:19]
	s_or_b64 exec, exec, s[20:21]
	v_cmp_gt_u32_e32 vcc, s22, v7
	s_and_saveexec_b64 s[20:21], vcc
	s_cbranch_execnz .LBB632_671
.LBB632_620:                            ;   in Loop: Header=BB632_614 Depth=2
	s_or_b64 exec, exec, s[20:21]
	v_cmp_gt_u32_e32 vcc, s22, v9
	s_and_saveexec_b64 s[20:21], vcc
	s_cbranch_execz .LBB632_672
.LBB632_621:                            ;   in Loop: Header=BB632_614 Depth=2
	global_load_dword v41, v88, s[18:19] offset:2048
	s_or_b64 exec, exec, s[20:21]
	v_cmp_gt_u32_e32 vcc, s22, v11
	s_and_saveexec_b64 s[20:21], vcc
	s_cbranch_execnz .LBB632_673
.LBB632_622:                            ;   in Loop: Header=BB632_614 Depth=2
	s_or_b64 exec, exec, s[20:21]
	v_cmp_gt_u32_e32 vcc, s22, v6
	s_and_saveexec_b64 s[20:21], vcc
	s_cbranch_execz .LBB632_674
.LBB632_623:                            ;   in Loop: Header=BB632_614 Depth=2
	global_load_dword v39, v89, s[18:19]
	s_or_b64 exec, exec, s[20:21]
	v_cmp_gt_u32_e32 vcc, s22, v8
	s_and_saveexec_b64 s[20:21], vcc
	s_cbranch_execnz .LBB632_675
.LBB632_624:                            ;   in Loop: Header=BB632_614 Depth=2
	s_or_b64 exec, exec, s[20:21]
	v_cmp_gt_u32_e32 vcc, s22, v10
	s_and_saveexec_b64 s[20:21], vcc
	s_cbranch_execz .LBB632_676
.LBB632_625:                            ;   in Loop: Header=BB632_614 Depth=2
	global_load_dword v37, v91, s[18:19]
	s_or_b64 exec, exec, s[20:21]
	v_cmp_gt_u32_e32 vcc, s22, v12
	s_and_saveexec_b64 s[20:21], vcc
	s_cbranch_execnz .LBB632_677
.LBB632_626:                            ;   in Loop: Header=BB632_614 Depth=2
	s_or_b64 exec, exec, s[20:21]
	v_cmp_gt_u32_e32 vcc, s22, v14
	s_and_saveexec_b64 s[20:21], vcc
	s_cbranch_execz .LBB632_678
.LBB632_627:                            ;   in Loop: Header=BB632_614 Depth=2
	global_load_dword v35, v93, s[18:19]
	s_or_b64 exec, exec, s[20:21]
	v_cmp_gt_u32_e32 vcc, s22, v16
	s_and_saveexec_b64 s[20:21], vcc
	s_cbranch_execnz .LBB632_679
.LBB632_628:                            ;   in Loop: Header=BB632_614 Depth=2
	s_or_b64 exec, exec, s[20:21]
	v_cmp_gt_u32_e32 vcc, s22, v18
	s_and_saveexec_b64 s[20:21], vcc
	s_cbranch_execz .LBB632_680
.LBB632_629:                            ;   in Loop: Header=BB632_614 Depth=2
	global_load_dword v33, v95, s[18:19]
	s_or_b64 exec, exec, s[20:21]
	v_cmp_gt_u32_e32 vcc, s22, v20
	s_and_saveexec_b64 s[20:21], vcc
	s_cbranch_execnz .LBB632_681
.LBB632_630:                            ;   in Loop: Header=BB632_614 Depth=2
	s_or_b64 exec, exec, s[20:21]
	v_cmp_gt_u32_e32 vcc, s22, v22
	s_and_saveexec_b64 s[20:21], vcc
	s_cbranch_execz .LBB632_682
.LBB632_631:                            ;   in Loop: Header=BB632_614 Depth=2
	global_load_dword v31, v97, s[18:19]
	s_or_b64 exec, exec, s[20:21]
	v_cmp_gt_u32_e32 vcc, s22, v24
	s_and_saveexec_b64 s[20:21], vcc
	s_cbranch_execnz .LBB632_683
.LBB632_632:                            ;   in Loop: Header=BB632_614 Depth=2
	s_or_b64 exec, exec, s[20:21]
	v_cmp_gt_u32_e32 vcc, s22, v26
	s_and_saveexec_b64 s[20:21], vcc
	s_cbranch_execz .LBB632_634
.LBB632_633:                            ;   in Loop: Header=BB632_614 Depth=2
	global_load_dword v5, v99, s[18:19]
.LBB632_634:                            ;   in Loop: Header=BB632_614 Depth=2
	s_or_b64 exec, exec, s[20:21]
	v_cmp_gt_u32_e32 vcc, s22, v28
                                        ; implicit-def: $sgpr24
                                        ; implicit-def: $vgpr0_vgpr1
	s_and_saveexec_b64 s[20:21], vcc
; %bb.635:                              ;   in Loop: Header=BB632_614 Depth=2
	v_mov_b32_e32 v1, s19
	v_add_co_u32_e32 v0, vcc, s18, v100
	s_sub_i32 s24, s92, s88
	v_addc_co_u32_e32 v1, vcc, 0, v1, vcc
	s_or_b64 s[16:17], s[16:17], exec
                                        ; implicit-def: $vgpr44
; %bb.636:                              ;   in Loop: Header=BB632_614 Depth=2
	s_or_b64 exec, exec, s[20:21]
	s_waitcnt vmcnt(0)
	v_mov_b32_e32 v46, v43
	v_mov_b32_e32 v47, v42
	;; [unrolled: 1-line block ×16, first 2 shown]
	s_and_saveexec_b64 s[18:19], s[16:17]
	s_cbranch_execz .LBB632_638
.LBB632_637:                            ;   in Loop: Header=BB632_614 Depth=2
	global_load_dword v44, v[0:1], off
	v_mov_b32_e32 v45, s24
	s_waitcnt vmcnt(1)
	v_mov_b32_e32 v5, v60
	v_mov_b32_e32 v30, v59
	;; [unrolled: 1-line block ×15, first 2 shown]
.LBB632_638:                            ;   in Loop: Header=BB632_614 Depth=2
	s_or_b64 exec, exec, s[18:19]
	v_cmp_lt_u32_e32 vcc, v2, v45
	s_and_saveexec_b64 s[16:17], vcc
	s_cbranch_execz .LBB632_654
; %bb.639:                              ;   in Loop: Header=BB632_614 Depth=2
	v_xor_b32_e32 v0, 0x80000000, v43
	v_lshrrev_b32_e32 v0, s85, v0
	v_and_b32_e32 v0, s94, v0
	v_lshl_or_b32 v0, v0, 4, v86
	ds_add_u32 v0, v87
	s_or_b64 exec, exec, s[16:17]
	v_cmp_lt_u32_e32 vcc, v7, v45
	s_and_saveexec_b64 s[16:17], vcc
	s_cbranch_execnz .LBB632_655
.LBB632_640:                            ;   in Loop: Header=BB632_614 Depth=2
	s_or_b64 exec, exec, s[16:17]
	v_cmp_lt_u32_e32 vcc, v9, v45
	s_and_saveexec_b64 s[16:17], vcc
	s_cbranch_execz .LBB632_656
.LBB632_641:                            ;   in Loop: Header=BB632_614 Depth=2
	v_xor_b32_e32 v0, 0x80000000, v41
	v_lshrrev_b32_e32 v0, s85, v0
	v_and_b32_e32 v0, s94, v0
	v_lshl_or_b32 v0, v0, 4, v86
	ds_add_u32 v0, v87
	s_or_b64 exec, exec, s[16:17]
	v_cmp_lt_u32_e32 vcc, v11, v45
	s_and_saveexec_b64 s[16:17], vcc
	s_cbranch_execnz .LBB632_657
.LBB632_642:                            ;   in Loop: Header=BB632_614 Depth=2
	s_or_b64 exec, exec, s[16:17]
	v_cmp_lt_u32_e32 vcc, v6, v45
	s_and_saveexec_b64 s[16:17], vcc
	s_cbranch_execz .LBB632_658
.LBB632_643:                            ;   in Loop: Header=BB632_614 Depth=2
	v_xor_b32_e32 v0, 0x80000000, v39
	v_lshrrev_b32_e32 v0, s85, v0
	v_and_b32_e32 v0, s94, v0
	v_lshl_or_b32 v0, v0, 4, v86
	ds_add_u32 v0, v87
	s_or_b64 exec, exec, s[16:17]
	v_cmp_lt_u32_e32 vcc, v8, v45
	s_and_saveexec_b64 s[16:17], vcc
	s_cbranch_execnz .LBB632_659
.LBB632_644:                            ;   in Loop: Header=BB632_614 Depth=2
	s_or_b64 exec, exec, s[16:17]
	v_cmp_lt_u32_e32 vcc, v10, v45
	s_and_saveexec_b64 s[16:17], vcc
	s_cbranch_execz .LBB632_660
.LBB632_645:                            ;   in Loop: Header=BB632_614 Depth=2
	v_xor_b32_e32 v0, 0x80000000, v37
	v_lshrrev_b32_e32 v0, s85, v0
	v_and_b32_e32 v0, s94, v0
	v_lshl_or_b32 v0, v0, 4, v86
	ds_add_u32 v0, v87
	s_or_b64 exec, exec, s[16:17]
	v_cmp_lt_u32_e32 vcc, v12, v45
	s_and_saveexec_b64 s[16:17], vcc
	s_cbranch_execnz .LBB632_661
.LBB632_646:                            ;   in Loop: Header=BB632_614 Depth=2
	s_or_b64 exec, exec, s[16:17]
	v_cmp_lt_u32_e32 vcc, v14, v45
	s_and_saveexec_b64 s[16:17], vcc
	s_cbranch_execz .LBB632_662
.LBB632_647:                            ;   in Loop: Header=BB632_614 Depth=2
	v_xor_b32_e32 v0, 0x80000000, v35
	v_lshrrev_b32_e32 v0, s85, v0
	v_and_b32_e32 v0, s94, v0
	v_lshl_or_b32 v0, v0, 4, v86
	ds_add_u32 v0, v87
	s_or_b64 exec, exec, s[16:17]
	v_cmp_lt_u32_e32 vcc, v16, v45
	s_and_saveexec_b64 s[16:17], vcc
	s_cbranch_execnz .LBB632_663
.LBB632_648:                            ;   in Loop: Header=BB632_614 Depth=2
	s_or_b64 exec, exec, s[16:17]
	v_cmp_lt_u32_e32 vcc, v18, v45
	s_and_saveexec_b64 s[16:17], vcc
	s_cbranch_execz .LBB632_664
.LBB632_649:                            ;   in Loop: Header=BB632_614 Depth=2
	v_xor_b32_e32 v0, 0x80000000, v33
	v_lshrrev_b32_e32 v0, s85, v0
	v_and_b32_e32 v0, s94, v0
	v_lshl_or_b32 v0, v0, 4, v86
	ds_add_u32 v0, v87
	s_or_b64 exec, exec, s[16:17]
	v_cmp_lt_u32_e32 vcc, v20, v45
	s_and_saveexec_b64 s[16:17], vcc
	s_cbranch_execnz .LBB632_665
.LBB632_650:                            ;   in Loop: Header=BB632_614 Depth=2
	s_or_b64 exec, exec, s[16:17]
	v_cmp_lt_u32_e32 vcc, v22, v45
	s_and_saveexec_b64 s[16:17], vcc
	s_cbranch_execz .LBB632_666
.LBB632_651:                            ;   in Loop: Header=BB632_614 Depth=2
	v_xor_b32_e32 v0, 0x80000000, v31
	v_lshrrev_b32_e32 v0, s85, v0
	v_and_b32_e32 v0, s94, v0
	v_lshl_or_b32 v0, v0, 4, v86
	ds_add_u32 v0, v87
	s_or_b64 exec, exec, s[16:17]
	v_cmp_lt_u32_e32 vcc, v24, v45
	s_and_saveexec_b64 s[16:17], vcc
	s_cbranch_execnz .LBB632_667
.LBB632_652:                            ;   in Loop: Header=BB632_614 Depth=2
	s_or_b64 exec, exec, s[16:17]
	v_cmp_lt_u32_e32 vcc, v26, v45
	s_and_saveexec_b64 s[16:17], vcc
	s_cbranch_execz .LBB632_668
.LBB632_653:                            ;   in Loop: Header=BB632_614 Depth=2
	v_xor_b32_e32 v0, 0x80000000, v5
	v_lshrrev_b32_e32 v0, s85, v0
	v_and_b32_e32 v0, s94, v0
	v_lshl_or_b32 v0, v0, 4, v86
	ds_add_u32 v0, v87
	s_or_b64 exec, exec, s[16:17]
	v_cmp_lt_u32_e32 vcc, v28, v45
	s_and_saveexec_b64 s[16:17], vcc
	s_cbranch_execz .LBB632_613
	s_branch .LBB632_669
.LBB632_654:                            ;   in Loop: Header=BB632_614 Depth=2
	s_or_b64 exec, exec, s[16:17]
	v_cmp_lt_u32_e32 vcc, v7, v45
	s_and_saveexec_b64 s[16:17], vcc
	s_cbranch_execz .LBB632_640
.LBB632_655:                            ;   in Loop: Header=BB632_614 Depth=2
	v_xor_b32_e32 v0, 0x80000000, v42
	v_lshrrev_b32_e32 v0, s85, v0
	v_and_b32_e32 v0, s94, v0
	v_lshl_or_b32 v0, v0, 4, v86
	ds_add_u32 v0, v87
	s_or_b64 exec, exec, s[16:17]
	v_cmp_lt_u32_e32 vcc, v9, v45
	s_and_saveexec_b64 s[16:17], vcc
	s_cbranch_execnz .LBB632_641
.LBB632_656:                            ;   in Loop: Header=BB632_614 Depth=2
	s_or_b64 exec, exec, s[16:17]
	v_cmp_lt_u32_e32 vcc, v11, v45
	s_and_saveexec_b64 s[16:17], vcc
	s_cbranch_execz .LBB632_642
.LBB632_657:                            ;   in Loop: Header=BB632_614 Depth=2
	v_xor_b32_e32 v0, 0x80000000, v40
	v_lshrrev_b32_e32 v0, s85, v0
	v_and_b32_e32 v0, s94, v0
	v_lshl_or_b32 v0, v0, 4, v86
	ds_add_u32 v0, v87
	s_or_b64 exec, exec, s[16:17]
	v_cmp_lt_u32_e32 vcc, v6, v45
	s_and_saveexec_b64 s[16:17], vcc
	s_cbranch_execnz .LBB632_643
.LBB632_658:                            ;   in Loop: Header=BB632_614 Depth=2
	s_or_b64 exec, exec, s[16:17]
	v_cmp_lt_u32_e32 vcc, v8, v45
	s_and_saveexec_b64 s[16:17], vcc
	s_cbranch_execz .LBB632_644
.LBB632_659:                            ;   in Loop: Header=BB632_614 Depth=2
	v_xor_b32_e32 v0, 0x80000000, v38
	v_lshrrev_b32_e32 v0, s85, v0
	v_and_b32_e32 v0, s94, v0
	v_lshl_or_b32 v0, v0, 4, v86
	ds_add_u32 v0, v87
	s_or_b64 exec, exec, s[16:17]
	v_cmp_lt_u32_e32 vcc, v10, v45
	s_and_saveexec_b64 s[16:17], vcc
	s_cbranch_execnz .LBB632_645
.LBB632_660:                            ;   in Loop: Header=BB632_614 Depth=2
	s_or_b64 exec, exec, s[16:17]
	v_cmp_lt_u32_e32 vcc, v12, v45
	s_and_saveexec_b64 s[16:17], vcc
	s_cbranch_execz .LBB632_646
.LBB632_661:                            ;   in Loop: Header=BB632_614 Depth=2
	v_xor_b32_e32 v0, 0x80000000, v36
	v_lshrrev_b32_e32 v0, s85, v0
	v_and_b32_e32 v0, s94, v0
	v_lshl_or_b32 v0, v0, 4, v86
	ds_add_u32 v0, v87
	s_or_b64 exec, exec, s[16:17]
	v_cmp_lt_u32_e32 vcc, v14, v45
	s_and_saveexec_b64 s[16:17], vcc
	s_cbranch_execnz .LBB632_647
.LBB632_662:                            ;   in Loop: Header=BB632_614 Depth=2
	s_or_b64 exec, exec, s[16:17]
	v_cmp_lt_u32_e32 vcc, v16, v45
	s_and_saveexec_b64 s[16:17], vcc
	s_cbranch_execz .LBB632_648
.LBB632_663:                            ;   in Loop: Header=BB632_614 Depth=2
	v_xor_b32_e32 v0, 0x80000000, v34
	v_lshrrev_b32_e32 v0, s85, v0
	v_and_b32_e32 v0, s94, v0
	v_lshl_or_b32 v0, v0, 4, v86
	ds_add_u32 v0, v87
	s_or_b64 exec, exec, s[16:17]
	v_cmp_lt_u32_e32 vcc, v18, v45
	s_and_saveexec_b64 s[16:17], vcc
	s_cbranch_execnz .LBB632_649
.LBB632_664:                            ;   in Loop: Header=BB632_614 Depth=2
	s_or_b64 exec, exec, s[16:17]
	v_cmp_lt_u32_e32 vcc, v20, v45
	s_and_saveexec_b64 s[16:17], vcc
	s_cbranch_execz .LBB632_650
.LBB632_665:                            ;   in Loop: Header=BB632_614 Depth=2
	v_xor_b32_e32 v0, 0x80000000, v32
	v_lshrrev_b32_e32 v0, s85, v0
	v_and_b32_e32 v0, s94, v0
	v_lshl_or_b32 v0, v0, 4, v86
	ds_add_u32 v0, v87
	s_or_b64 exec, exec, s[16:17]
	v_cmp_lt_u32_e32 vcc, v22, v45
	s_and_saveexec_b64 s[16:17], vcc
	s_cbranch_execnz .LBB632_651
.LBB632_666:                            ;   in Loop: Header=BB632_614 Depth=2
	s_or_b64 exec, exec, s[16:17]
	v_cmp_lt_u32_e32 vcc, v24, v45
	s_and_saveexec_b64 s[16:17], vcc
	s_cbranch_execz .LBB632_652
.LBB632_667:                            ;   in Loop: Header=BB632_614 Depth=2
	v_xor_b32_e32 v0, 0x80000000, v30
	v_lshrrev_b32_e32 v0, s85, v0
	v_and_b32_e32 v0, s94, v0
	v_lshl_or_b32 v0, v0, 4, v86
	ds_add_u32 v0, v87
	s_or_b64 exec, exec, s[16:17]
	v_cmp_lt_u32_e32 vcc, v26, v45
	s_and_saveexec_b64 s[16:17], vcc
	s_cbranch_execnz .LBB632_653
.LBB632_668:                            ;   in Loop: Header=BB632_614 Depth=2
	s_or_b64 exec, exec, s[16:17]
	v_cmp_lt_u32_e32 vcc, v28, v45
	s_and_saveexec_b64 s[16:17], vcc
	s_cbranch_execz .LBB632_613
.LBB632_669:                            ;   in Loop: Header=BB632_614 Depth=2
	s_waitcnt vmcnt(0)
	v_xor_b32_e32 v0, 0x80000000, v44
	v_lshrrev_b32_e32 v0, s85, v0
	v_and_b32_e32 v0, s94, v0
	v_lshl_or_b32 v0, v0, 4, v86
	ds_add_u32 v0, v87
	s_branch .LBB632_613
.LBB632_670:                            ;   in Loop: Header=BB632_614 Depth=2
	s_or_b64 exec, exec, s[20:21]
	v_cmp_gt_u32_e32 vcc, s22, v7
	s_and_saveexec_b64 s[20:21], vcc
	s_cbranch_execz .LBB632_620
.LBB632_671:                            ;   in Loop: Header=BB632_614 Depth=2
	global_load_dword v42, v88, s[18:19] offset:1024
	s_or_b64 exec, exec, s[20:21]
	v_cmp_gt_u32_e32 vcc, s22, v9
	s_and_saveexec_b64 s[20:21], vcc
	s_cbranch_execnz .LBB632_621
.LBB632_672:                            ;   in Loop: Header=BB632_614 Depth=2
	s_or_b64 exec, exec, s[20:21]
	v_cmp_gt_u32_e32 vcc, s22, v11
	s_and_saveexec_b64 s[20:21], vcc
	s_cbranch_execz .LBB632_622
.LBB632_673:                            ;   in Loop: Header=BB632_614 Depth=2
	global_load_dword v40, v88, s[18:19] offset:3072
	s_or_b64 exec, exec, s[20:21]
	v_cmp_gt_u32_e32 vcc, s22, v6
	s_and_saveexec_b64 s[20:21], vcc
	s_cbranch_execnz .LBB632_623
.LBB632_674:                            ;   in Loop: Header=BB632_614 Depth=2
	s_or_b64 exec, exec, s[20:21]
	v_cmp_gt_u32_e32 vcc, s22, v8
	s_and_saveexec_b64 s[20:21], vcc
	s_cbranch_execz .LBB632_624
.LBB632_675:                            ;   in Loop: Header=BB632_614 Depth=2
	global_load_dword v38, v90, s[18:19]
	s_or_b64 exec, exec, s[20:21]
	v_cmp_gt_u32_e32 vcc, s22, v10
	s_and_saveexec_b64 s[20:21], vcc
	s_cbranch_execnz .LBB632_625
.LBB632_676:                            ;   in Loop: Header=BB632_614 Depth=2
	s_or_b64 exec, exec, s[20:21]
	v_cmp_gt_u32_e32 vcc, s22, v12
	s_and_saveexec_b64 s[20:21], vcc
	s_cbranch_execz .LBB632_626
.LBB632_677:                            ;   in Loop: Header=BB632_614 Depth=2
	global_load_dword v36, v92, s[18:19]
	s_or_b64 exec, exec, s[20:21]
	v_cmp_gt_u32_e32 vcc, s22, v14
	s_and_saveexec_b64 s[20:21], vcc
	s_cbranch_execnz .LBB632_627
.LBB632_678:                            ;   in Loop: Header=BB632_614 Depth=2
	s_or_b64 exec, exec, s[20:21]
	v_cmp_gt_u32_e32 vcc, s22, v16
	s_and_saveexec_b64 s[20:21], vcc
	s_cbranch_execz .LBB632_628
.LBB632_679:                            ;   in Loop: Header=BB632_614 Depth=2
	global_load_dword v34, v94, s[18:19]
	s_or_b64 exec, exec, s[20:21]
	v_cmp_gt_u32_e32 vcc, s22, v18
	s_and_saveexec_b64 s[20:21], vcc
	s_cbranch_execnz .LBB632_629
.LBB632_680:                            ;   in Loop: Header=BB632_614 Depth=2
	s_or_b64 exec, exec, s[20:21]
	v_cmp_gt_u32_e32 vcc, s22, v20
	s_and_saveexec_b64 s[20:21], vcc
	s_cbranch_execz .LBB632_630
.LBB632_681:                            ;   in Loop: Header=BB632_614 Depth=2
	global_load_dword v32, v96, s[18:19]
	s_or_b64 exec, exec, s[20:21]
	v_cmp_gt_u32_e32 vcc, s22, v22
	s_and_saveexec_b64 s[20:21], vcc
	s_cbranch_execnz .LBB632_631
.LBB632_682:                            ;   in Loop: Header=BB632_614 Depth=2
	s_or_b64 exec, exec, s[20:21]
	v_cmp_gt_u32_e32 vcc, s22, v24
	s_and_saveexec_b64 s[20:21], vcc
	s_cbranch_execz .LBB632_632
.LBB632_683:                            ;   in Loop: Header=BB632_614 Depth=2
	global_load_dword v30, v98, s[18:19]
	s_or_b64 exec, exec, s[20:21]
	v_cmp_gt_u32_e32 vcc, s22, v26
	s_and_saveexec_b64 s[20:21], vcc
	s_cbranch_execz .LBB632_634
	s_branch .LBB632_633
.LBB632_684:                            ;   in Loop: Header=BB632_20 Depth=1
	v_mov_b32_e32 v0, 0
	s_waitcnt lgkmcnt(0)
	s_barrier
	s_and_saveexec_b64 s[16:17], s[4:5]
	s_cbranch_execz .LBB632_686
; %bb.685:                              ;   in Loop: Header=BB632_20 Depth=1
	ds_read2_b64 v[30:33], v17 offset1:1
	s_waitcnt lgkmcnt(0)
	v_add_u32_e32 v0, v31, v30
	v_add3_u32 v0, v0, v32, v33
.LBB632_686:                            ;   in Loop: Header=BB632_20 Depth=1
	s_or_b64 exec, exec, s[16:17]
	s_nop 0
	v_mov_b32_dpp v1, v0 row_shr:1 row_mask:0xf bank_mask:0xf
	v_cmp_eq_u32_e64 s[16:17], 0, v102
	v_cndmask_b32_e64 v1, v1, 0, s[16:17]
	v_add_u32_e32 v0, v1, v0
	v_cmp_lt_u32_e64 s[18:19], 1, v102
	v_cmp_lt_u32_e64 s[20:21], 3, v102
	v_mov_b32_dpp v1, v0 row_shr:2 row_mask:0xf bank_mask:0xf
	v_cndmask_b32_e64 v1, 0, v1, s[18:19]
	v_add_u32_e32 v0, v0, v1
	v_cmp_lt_u32_e64 s[22:23], 7, v102
	v_cmp_lt_u32_e64 s[26:27], 31, v101
	v_mov_b32_dpp v1, v0 row_shr:4 row_mask:0xf bank_mask:0xf
	v_cndmask_b32_e64 v1, 0, v1, s[20:21]
	v_add_u32_e32 v0, v0, v1
	v_cmp_eq_u32_e64 s[24:25], 0, v104
	s_nop 0
	v_mov_b32_dpp v1, v0 row_shr:8 row_mask:0xf bank_mask:0xf
	v_cndmask_b32_e64 v1, 0, v1, s[22:23]
	v_add_u32_e32 v0, v0, v1
	s_nop 1
	v_mov_b32_dpp v1, v0 row_bcast:15 row_mask:0xf bank_mask:0xf
	v_and_b32_e32 v1, v103, v1
	v_add_u32_e32 v0, v0, v1
	s_nop 1
	v_mov_b32_dpp v1, v0 row_bcast:31 row_mask:0xf bank_mask:0xf
	v_cndmask_b32_e64 v1, 0, v1, s[26:27]
	v_add_u32_e32 v0, v0, v1
	s_and_saveexec_b64 s[28:29], s[6:7]
	s_cbranch_execz .LBB632_688
; %bb.687:                              ;   in Loop: Header=BB632_20 Depth=1
	ds_write_b32 v21, v0
.LBB632_688:                            ;   in Loop: Header=BB632_20 Depth=1
	s_or_b64 exec, exec, s[28:29]
	s_waitcnt lgkmcnt(0)
	s_barrier
	s_and_saveexec_b64 s[28:29], s[8:9]
	s_cbranch_execz .LBB632_690
; %bb.689:                              ;   in Loop: Header=BB632_20 Depth=1
	ds_read_b32 v1, v23
	v_cmp_ne_u32_e32 vcc, 0, v105
	s_waitcnt lgkmcnt(0)
	v_mov_b32_dpp v5, v1 row_shr:1 row_mask:0xf bank_mask:0xf
	v_cndmask_b32_e32 v5, 0, v5, vcc
	v_add_u32_e32 v1, v5, v1
	v_cmp_lt_u32_e32 vcc, 1, v105
	s_nop 0
	v_mov_b32_dpp v5, v1 row_shr:2 row_mask:0xf bank_mask:0xf
	v_cndmask_b32_e32 v5, 0, v5, vcc
	v_add_u32_e32 v1, v1, v5
	ds_write_b32 v23, v1
.LBB632_690:                            ;   in Loop: Header=BB632_20 Depth=1
	s_or_b64 exec, exec, s[28:29]
	v_mov_b32_e32 v1, 0
	s_waitcnt lgkmcnt(0)
	s_barrier
	s_and_saveexec_b64 s[28:29], s[10:11]
	s_cbranch_execz .LBB632_692
; %bb.691:                              ;   in Loop: Header=BB632_20 Depth=1
	ds_read_b32 v1, v25
.LBB632_692:                            ;   in Loop: Header=BB632_20 Depth=1
	s_or_b64 exec, exec, s[28:29]
	v_cmp_lt_i32_e32 vcc, v106, v107
	v_cndmask_b32_e32 v5, v106, v101, vcc
	s_waitcnt lgkmcnt(0)
	v_add_u32_e32 v0, v1, v0
	v_lshlrev_b32_e32 v127, 2, v5
	ds_bpermute_b32 v0, v127, v0
	v_cmp_eq_u32_e64 s[28:29], 0, v101
	s_waitcnt lgkmcnt(0)
	s_barrier
	s_and_saveexec_b64 s[30:31], s[4:5]
	s_cbranch_execz .LBB632_694
; %bb.693:                              ;   in Loop: Header=BB632_20 Depth=1
	v_cndmask_b32_e64 v0, v0, v1, s[28:29]
	v_add_u32_e32 v0, s69, v0
	ds_write_b32 v3, v0
.LBB632_694:                            ;   in Loop: Header=BB632_20 Depth=1
	s_or_b64 exec, exec, s[30:31]
	s_load_dwordx2 s[30:31], s[90:91], 0x0
	v_add_co_u32_e32 v128, vcc, v82, v108
	v_addc_co_u32_e32 v129, vcc, 0, v83, vcc
	s_waitcnt lgkmcnt(0)
	s_cmp_lt_u32 s68, s30
	s_cselect_b32 s34, 12, 18
	s_cmp_lt_u32 s33, s31
	s_cselect_b32 s30, 14, 20
	s_add_u32 s30, s90, s30
	s_addc_u32 s31, s91, 0
	s_add_u32 s34, s90, s34
	global_load_ushort v5, v4, s[30:31]
	s_addc_u32 s35, s91, 0
	global_load_ushort v60, v4, s[34:35]
	v_add_co_u32_e32 v130, vcc, v84, v125
	v_addc_co_u32_e32 v131, vcc, 0, v85, vcc
	v_add_co_u32_e32 v145, vcc, 0xf00, v130
	v_cmp_eq_u32_e64 s[30:31], 0, v105
	v_cmp_lt_u32_e64 s[34:35], 1, v105
	s_mov_b32 s95, s87
	v_addc_co_u32_e32 v148, vcc, 0, v131, vcc
	s_mov_b32 s88, s69
                                        ; implicit-def: $vgpr0_vgpr1
                                        ; implicit-def: $vgpr30_vgpr31
                                        ; implicit-def: $vgpr32_vgpr33
                                        ; implicit-def: $vgpr36_vgpr37
                                        ; implicit-def: $vgpr40_vgpr41
                                        ; implicit-def: $vgpr44_vgpr45
                                        ; implicit-def: $vgpr48_vgpr49
                                        ; implicit-def: $vgpr52_vgpr53
                                        ; implicit-def: $vgpr34_vgpr35
                                        ; implicit-def: $vgpr38_vgpr39
                                        ; implicit-def: $vgpr42_vgpr43
                                        ; implicit-def: $vgpr46_vgpr47
                                        ; implicit-def: $vgpr50_vgpr51
                                        ; implicit-def: $vgpr54_vgpr55
                                        ; implicit-def: $vgpr56_vgpr57
                                        ; implicit-def: $vgpr58_vgpr59
                                        ; implicit-def: $vgpr132
                                        ; implicit-def: $vgpr133
                                        ; implicit-def: $vgpr134
                                        ; implicit-def: $vgpr135
                                        ; implicit-def: $vgpr136
                                        ; implicit-def: $vgpr137
                                        ; implicit-def: $vgpr138
                                        ; implicit-def: $vgpr139
                                        ; implicit-def: $vgpr140
                                        ; implicit-def: $vgpr141
                                        ; implicit-def: $vgpr142
                                        ; implicit-def: $vgpr143
                                        ; implicit-def: $vgpr144
                                        ; implicit-def: $vgpr146
                                        ; implicit-def: $vgpr147
                                        ; implicit-def: $vgpr149
	s_waitcnt vmcnt(1)
	v_mad_u32_u24 v5, v27, v5, v29
	s_waitcnt vmcnt(0)
	v_mad_u64_u32 v[60:61], s[36:37], v5, v60, v[2:3]
	v_lshrrev_b32_e32 v150, 6, v60
	s_branch .LBB632_696
.LBB632_695:                            ;   in Loop: Header=BB632_696 Depth=2
	s_or_b64 exec, exec, s[36:37]
	s_addk_i32 s95, 0xf000
	s_cmp_lt_u32 s96, s92
	s_mov_b32 s88, s96
	s_cbranch_scc0 .LBB632_904
.LBB632_696:                            ;   Parent Loop BB632_20 Depth=1
                                        ; =>  This Inner Loop Header: Depth=2
	s_add_i32 s96, s88, 0x1000
	s_cmp_gt_u32 s96, s92
	s_cbranch_scc1 .LBB632_699
; %bb.697:                              ;   in Loop: Header=BB632_696 Depth=2
	s_lshl_b64 s[36:37], s[88:89], 2
	v_mov_b32_e32 v5, s37
	v_add_co_u32_e32 v60, vcc, s36, v130
	v_addc_co_u32_e32 v61, vcc, v131, v5, vcc
	global_load_dword v5, v[60:61], off
	global_load_dword v154, v[60:61], off offset:256
	global_load_dword v159, v[60:61], off offset:512
	;; [unrolled: 1-line block ×14, first 2 shown]
	s_mov_b64 s[36:37], -1
	s_movk_i32 s40, 0x1000
	s_cbranch_execz .LBB632_700
; %bb.698:                              ;   in Loop: Header=BB632_696 Depth=2
                                        ; implicit-def: $sgpr38
	v_mov_b32_e32 v63, s38
	v_mov_b32_e32 v151, s95
	s_and_saveexec_b64 s[38:39], s[36:37]
	s_cbranch_execnz .LBB632_731
	s_branch .LBB632_732
.LBB632_699:                            ;   in Loop: Header=BB632_696 Depth=2
	s_mov_b64 s[36:37], 0
                                        ; implicit-def: $sgpr40
                                        ; implicit-def: $vgpr5
                                        ; implicit-def: $vgpr154
                                        ; implicit-def: $vgpr159
                                        ; implicit-def: $vgpr164
                                        ; implicit-def: $vgpr169
                                        ; implicit-def: $vgpr174
                                        ; implicit-def: $vgpr179
                                        ; implicit-def: $vgpr184
                                        ; implicit-def: $vgpr182
                                        ; implicit-def: $vgpr177
                                        ; implicit-def: $vgpr173
                                        ; implicit-def: $vgpr168
                                        ; implicit-def: $vgpr163
                                        ; implicit-def: $vgpr158
                                        ; implicit-def: $vgpr62
.LBB632_700:                            ;   in Loop: Header=BB632_696 Depth=2
	s_lshl_b64 s[36:37], s[88:89], 2
	s_waitcnt vmcnt(14)
	v_mov_b32_e32 v5, s37
	v_add_co_u32_e32 v60, vcc, s36, v130
	v_addc_co_u32_e32 v61, vcc, v131, v5, vcc
	v_cmp_gt_u32_e32 vcc, s95, v109
	s_waitcnt vmcnt(13)
	v_bfrev_b32_e32 v154, -2
	v_bfrev_b32_e32 v5, -2
	s_and_saveexec_b64 s[36:37], vcc
	s_cbranch_execz .LBB632_702
; %bb.701:                              ;   in Loop: Header=BB632_696 Depth=2
	global_load_dword v5, v[60:61], off
.LBB632_702:                            ;   in Loop: Header=BB632_696 Depth=2
	s_or_b64 exec, exec, s[36:37]
	v_cmp_gt_u32_e32 vcc, s95, v110
	s_and_saveexec_b64 s[36:37], vcc
	s_cbranch_execz .LBB632_704
; %bb.703:                              ;   in Loop: Header=BB632_696 Depth=2
	global_load_dword v154, v[60:61], off offset:256
.LBB632_704:                            ;   in Loop: Header=BB632_696 Depth=2
	s_or_b64 exec, exec, s[36:37]
	v_cmp_gt_u32_e32 vcc, s95, v111
	s_waitcnt vmcnt(11)
	v_bfrev_b32_e32 v164, -2
	v_bfrev_b32_e32 v159, -2
	s_and_saveexec_b64 s[36:37], vcc
	s_cbranch_execz .LBB632_706
; %bb.705:                              ;   in Loop: Header=BB632_696 Depth=2
	global_load_dword v159, v[60:61], off offset:512
.LBB632_706:                            ;   in Loop: Header=BB632_696 Depth=2
	s_or_b64 exec, exec, s[36:37]
	v_cmp_gt_u32_e32 vcc, s95, v112
	s_and_saveexec_b64 s[36:37], vcc
	s_cbranch_execz .LBB632_708
; %bb.707:                              ;   in Loop: Header=BB632_696 Depth=2
	global_load_dword v164, v[60:61], off offset:768
.LBB632_708:                            ;   in Loop: Header=BB632_696 Depth=2
	s_or_b64 exec, exec, s[36:37]
	v_cmp_gt_u32_e32 vcc, s95, v113
	s_waitcnt vmcnt(9)
	v_bfrev_b32_e32 v174, -2
	v_bfrev_b32_e32 v169, -2
	s_and_saveexec_b64 s[36:37], vcc
	s_cbranch_execz .LBB632_710
; %bb.709:                              ;   in Loop: Header=BB632_696 Depth=2
	global_load_dword v169, v[60:61], off offset:1024
.LBB632_710:                            ;   in Loop: Header=BB632_696 Depth=2
	;; [unrolled: 17-line block ×6, first 2 shown]
	s_or_b64 exec, exec, s[36:37]
	v_cmp_gt_u32_e32 vcc, s95, v122
	s_and_saveexec_b64 s[36:37], vcc
	s_cbranch_execz .LBB632_728
; %bb.727:                              ;   in Loop: Header=BB632_696 Depth=2
	global_load_dword v158, v[60:61], off offset:3328
.LBB632_728:                            ;   in Loop: Header=BB632_696 Depth=2
	s_or_b64 exec, exec, s[36:37]
	v_cmp_gt_u32_e32 vcc, s95, v123
	s_waitcnt vmcnt(0)
	v_bfrev_b32_e32 v62, -2
	s_and_saveexec_b64 s[36:37], vcc
	s_cbranch_execz .LBB632_730
; %bb.729:                              ;   in Loop: Header=BB632_696 Depth=2
	global_load_dword v62, v[60:61], off offset:3584
.LBB632_730:                            ;   in Loop: Header=BB632_696 Depth=2
	s_or_b64 exec, exec, s[36:37]
	s_sub_i32 s40, s92, s88
	v_cmp_gt_u32_e64 s[36:37], s95, v124
	s_brev_b32 s38, -2
	v_mov_b32_e32 v63, s38
	v_mov_b32_e32 v151, s95
	s_and_saveexec_b64 s[38:39], s[36:37]
	s_cbranch_execz .LBB632_732
.LBB632_731:                            ;   in Loop: Header=BB632_696 Depth=2
	s_lshl_b64 s[36:37], s[88:89], 2
	v_mov_b32_e32 v61, s37
	v_add_co_u32_e32 v60, vcc, s36, v145
	v_addc_co_u32_e32 v61, vcc, v148, v61, vcc
	global_load_dword v63, v[60:61], off
	v_mov_b32_e32 v151, s40
.LBB632_732:                            ;   in Loop: Header=BB632_696 Depth=2
	s_or_b64 exec, exec, s[38:39]
	s_waitcnt vmcnt(14)
	v_xor_b32_e32 v152, 0x80000000, v5
	v_lshrrev_b32_e32 v5, s85, v152
	v_and_b32_e32 v60, s94, v5
	v_mad_u32_u24 v5, v60, 5, v150
	v_lshl_add_u32 v153, v5, 2, v65
	v_and_b32_e32 v5, 1, v60
	v_add_co_u32_e32 v61, vcc, -1, v5
	v_addc_co_u32_e64 v155, s[36:37], 0, -1, vcc
	v_cmp_ne_u32_e32 vcc, 0, v5
	v_xor_b32_e32 v5, vcc_hi, v155
	v_and_b32_e32 v155, exec_hi, v5
	v_lshlrev_b32_e32 v5, 30, v60
	v_xor_b32_e32 v61, vcc_lo, v61
	v_cmp_gt_i64_e32 vcc, 0, v[4:5]
	v_not_b32_e32 v5, v5
	v_ashrrev_i32_e32 v5, 31, v5
	v_and_b32_e32 v61, exec_lo, v61
	v_xor_b32_e32 v156, vcc_hi, v5
	v_xor_b32_e32 v5, vcc_lo, v5
	v_and_b32_e32 v61, v61, v5
	v_lshlrev_b32_e32 v5, 29, v60
	v_cmp_gt_i64_e32 vcc, 0, v[4:5]
	v_not_b32_e32 v5, v5
	v_ashrrev_i32_e32 v5, 31, v5
	v_and_b32_e32 v155, v155, v156
	v_xor_b32_e32 v156, vcc_hi, v5
	v_xor_b32_e32 v5, vcc_lo, v5
	v_and_b32_e32 v61, v61, v5
	v_lshlrev_b32_e32 v5, 28, v60
	v_cmp_gt_i64_e32 vcc, 0, v[4:5]
	v_not_b32_e32 v5, v5
	v_ashrrev_i32_e32 v5, 31, v5
	v_and_b32_e32 v155, v155, v156
	;; [unrolled: 8-line block ×5, first 2 shown]
	v_xor_b32_e32 v156, vcc_hi, v5
	v_xor_b32_e32 v5, vcc_lo, v5
	v_and_b32_e32 v155, v155, v156
	v_and_b32_e32 v156, v61, v5
	v_lshlrev_b32_e32 v5, 24, v60
	v_cmp_gt_i64_e32 vcc, 0, v[4:5]
	v_not_b32_e32 v5, v5
	v_ashrrev_i32_e32 v5, 31, v5
	v_xor_b32_e32 v60, vcc_hi, v5
	v_xor_b32_e32 v5, vcc_lo, v5
	v_and_b32_e32 v61, v155, v60
	v_and_b32_e32 v60, v156, v5
	v_mbcnt_lo_u32_b32 v5, v60, 0
	v_mbcnt_hi_u32_b32 v155, v61, v5
	v_cmp_eq_u32_e32 vcc, 0, v155
	v_cmp_ne_u64_e64 s[36:37], 0, v[60:61]
	s_and_b64 s[38:39], s[36:37], vcc
	ds_write2_b32 v126, v4, v4 offset1:1
	ds_write2_b32 v66, v4, v4 offset0:2 offset1:3
	ds_write_b32 v66, v4 offset:16
	s_waitcnt lgkmcnt(0)
	s_barrier
	s_waitcnt lgkmcnt(0)
	; wave barrier
	s_and_saveexec_b64 s[36:37], s[38:39]
	s_cbranch_execz .LBB632_734
; %bb.733:                              ;   in Loop: Header=BB632_696 Depth=2
	v_bcnt_u32_b32 v5, v60, 0
	v_bcnt_u32_b32 v5, v61, v5
	ds_write_b32 v153, v5
.LBB632_734:                            ;   in Loop: Header=BB632_696 Depth=2
	s_or_b64 exec, exec, s[36:37]
	s_waitcnt vmcnt(13)
	v_xor_b32_e32 v154, 0x80000000, v154
	v_lshrrev_b32_e32 v5, s85, v154
	v_and_b32_e32 v60, s94, v5
	v_mul_u32_u24_e32 v5, 5, v60
	v_add_lshl_u32 v5, v5, v150, 2
	; wave barrier
	v_add_u32_e32 v157, 0x410, v5
	ds_read_b32 v156, v5 offset:1040
	v_and_b32_e32 v5, 1, v60
	v_add_co_u32_e32 v61, vcc, -1, v5
	v_addc_co_u32_e64 v160, s[36:37], 0, -1, vcc
	v_cmp_ne_u32_e32 vcc, 0, v5
	v_xor_b32_e32 v5, vcc_hi, v160
	v_and_b32_e32 v160, exec_hi, v5
	v_lshlrev_b32_e32 v5, 30, v60
	v_xor_b32_e32 v61, vcc_lo, v61
	v_cmp_gt_i64_e32 vcc, 0, v[4:5]
	v_not_b32_e32 v5, v5
	v_ashrrev_i32_e32 v5, 31, v5
	v_and_b32_e32 v61, exec_lo, v61
	v_xor_b32_e32 v161, vcc_hi, v5
	v_xor_b32_e32 v5, vcc_lo, v5
	v_and_b32_e32 v61, v61, v5
	v_lshlrev_b32_e32 v5, 29, v60
	v_cmp_gt_i64_e32 vcc, 0, v[4:5]
	v_not_b32_e32 v5, v5
	v_ashrrev_i32_e32 v5, 31, v5
	v_and_b32_e32 v160, v160, v161
	v_xor_b32_e32 v161, vcc_hi, v5
	v_xor_b32_e32 v5, vcc_lo, v5
	v_and_b32_e32 v61, v61, v5
	v_lshlrev_b32_e32 v5, 28, v60
	v_cmp_gt_i64_e32 vcc, 0, v[4:5]
	v_not_b32_e32 v5, v5
	v_ashrrev_i32_e32 v5, 31, v5
	v_and_b32_e32 v160, v160, v161
	;; [unrolled: 8-line block ×5, first 2 shown]
	v_xor_b32_e32 v161, vcc_hi, v5
	v_xor_b32_e32 v5, vcc_lo, v5
	v_and_b32_e32 v160, v160, v161
	v_and_b32_e32 v161, v61, v5
	v_lshlrev_b32_e32 v5, 24, v60
	v_cmp_gt_i64_e32 vcc, 0, v[4:5]
	v_not_b32_e32 v5, v5
	v_ashrrev_i32_e32 v5, 31, v5
	v_xor_b32_e32 v60, vcc_hi, v5
	v_xor_b32_e32 v5, vcc_lo, v5
	v_and_b32_e32 v61, v160, v60
	v_and_b32_e32 v60, v161, v5
	v_mbcnt_lo_u32_b32 v5, v60, 0
	v_mbcnt_hi_u32_b32 v160, v61, v5
	v_cmp_eq_u32_e32 vcc, 0, v160
	v_cmp_ne_u64_e64 s[36:37], 0, v[60:61]
	s_and_b64 s[38:39], s[36:37], vcc
	; wave barrier
	s_and_saveexec_b64 s[36:37], s[38:39]
	s_cbranch_execz .LBB632_736
; %bb.735:                              ;   in Loop: Header=BB632_696 Depth=2
	v_bcnt_u32_b32 v5, v60, 0
	v_bcnt_u32_b32 v5, v61, v5
	s_waitcnt lgkmcnt(0)
	v_add_u32_e32 v5, v156, v5
	ds_write_b32 v157, v5
.LBB632_736:                            ;   in Loop: Header=BB632_696 Depth=2
	s_or_b64 exec, exec, s[36:37]
	s_waitcnt vmcnt(12)
	v_xor_b32_e32 v159, 0x80000000, v159
	v_lshrrev_b32_e32 v5, s85, v159
	v_and_b32_e32 v60, s94, v5
	v_mul_u32_u24_e32 v5, 5, v60
	v_add_lshl_u32 v5, v5, v150, 2
	; wave barrier
	v_add_u32_e32 v162, 0x410, v5
	ds_read_b32 v161, v5 offset:1040
	v_and_b32_e32 v5, 1, v60
	v_add_co_u32_e32 v61, vcc, -1, v5
	v_addc_co_u32_e64 v165, s[36:37], 0, -1, vcc
	v_cmp_ne_u32_e32 vcc, 0, v5
	v_xor_b32_e32 v5, vcc_hi, v165
	v_and_b32_e32 v165, exec_hi, v5
	v_lshlrev_b32_e32 v5, 30, v60
	v_xor_b32_e32 v61, vcc_lo, v61
	v_cmp_gt_i64_e32 vcc, 0, v[4:5]
	v_not_b32_e32 v5, v5
	v_ashrrev_i32_e32 v5, 31, v5
	v_and_b32_e32 v61, exec_lo, v61
	v_xor_b32_e32 v166, vcc_hi, v5
	v_xor_b32_e32 v5, vcc_lo, v5
	v_and_b32_e32 v61, v61, v5
	v_lshlrev_b32_e32 v5, 29, v60
	v_cmp_gt_i64_e32 vcc, 0, v[4:5]
	v_not_b32_e32 v5, v5
	v_ashrrev_i32_e32 v5, 31, v5
	v_and_b32_e32 v165, v165, v166
	v_xor_b32_e32 v166, vcc_hi, v5
	v_xor_b32_e32 v5, vcc_lo, v5
	v_and_b32_e32 v61, v61, v5
	v_lshlrev_b32_e32 v5, 28, v60
	v_cmp_gt_i64_e32 vcc, 0, v[4:5]
	v_not_b32_e32 v5, v5
	v_ashrrev_i32_e32 v5, 31, v5
	v_and_b32_e32 v165, v165, v166
	;; [unrolled: 8-line block ×5, first 2 shown]
	v_xor_b32_e32 v166, vcc_hi, v5
	v_xor_b32_e32 v5, vcc_lo, v5
	v_and_b32_e32 v165, v165, v166
	v_and_b32_e32 v166, v61, v5
	v_lshlrev_b32_e32 v5, 24, v60
	v_cmp_gt_i64_e32 vcc, 0, v[4:5]
	v_not_b32_e32 v5, v5
	v_ashrrev_i32_e32 v5, 31, v5
	v_xor_b32_e32 v60, vcc_hi, v5
	v_xor_b32_e32 v5, vcc_lo, v5
	v_and_b32_e32 v61, v165, v60
	v_and_b32_e32 v60, v166, v5
	v_mbcnt_lo_u32_b32 v5, v60, 0
	v_mbcnt_hi_u32_b32 v165, v61, v5
	v_cmp_eq_u32_e32 vcc, 0, v165
	v_cmp_ne_u64_e64 s[36:37], 0, v[60:61]
	s_and_b64 s[38:39], s[36:37], vcc
	; wave barrier
	s_and_saveexec_b64 s[36:37], s[38:39]
	s_cbranch_execz .LBB632_738
; %bb.737:                              ;   in Loop: Header=BB632_696 Depth=2
	v_bcnt_u32_b32 v5, v60, 0
	v_bcnt_u32_b32 v5, v61, v5
	s_waitcnt lgkmcnt(0)
	v_add_u32_e32 v5, v161, v5
	ds_write_b32 v162, v5
.LBB632_738:                            ;   in Loop: Header=BB632_696 Depth=2
	s_or_b64 exec, exec, s[36:37]
	s_waitcnt vmcnt(11)
	v_xor_b32_e32 v164, 0x80000000, v164
	v_lshrrev_b32_e32 v5, s85, v164
	v_and_b32_e32 v60, s94, v5
	v_mul_u32_u24_e32 v5, 5, v60
	v_add_lshl_u32 v5, v5, v150, 2
	; wave barrier
	v_add_u32_e32 v167, 0x410, v5
	ds_read_b32 v166, v5 offset:1040
	v_and_b32_e32 v5, 1, v60
	v_add_co_u32_e32 v61, vcc, -1, v5
	v_addc_co_u32_e64 v170, s[36:37], 0, -1, vcc
	v_cmp_ne_u32_e32 vcc, 0, v5
	v_xor_b32_e32 v5, vcc_hi, v170
	v_and_b32_e32 v170, exec_hi, v5
	v_lshlrev_b32_e32 v5, 30, v60
	v_xor_b32_e32 v61, vcc_lo, v61
	v_cmp_gt_i64_e32 vcc, 0, v[4:5]
	v_not_b32_e32 v5, v5
	v_ashrrev_i32_e32 v5, 31, v5
	v_and_b32_e32 v61, exec_lo, v61
	v_xor_b32_e32 v171, vcc_hi, v5
	v_xor_b32_e32 v5, vcc_lo, v5
	v_and_b32_e32 v61, v61, v5
	v_lshlrev_b32_e32 v5, 29, v60
	v_cmp_gt_i64_e32 vcc, 0, v[4:5]
	v_not_b32_e32 v5, v5
	v_ashrrev_i32_e32 v5, 31, v5
	v_and_b32_e32 v170, v170, v171
	v_xor_b32_e32 v171, vcc_hi, v5
	v_xor_b32_e32 v5, vcc_lo, v5
	v_and_b32_e32 v61, v61, v5
	v_lshlrev_b32_e32 v5, 28, v60
	v_cmp_gt_i64_e32 vcc, 0, v[4:5]
	v_not_b32_e32 v5, v5
	v_ashrrev_i32_e32 v5, 31, v5
	v_and_b32_e32 v170, v170, v171
	v_xor_b32_e32 v171, vcc_hi, v5
	v_xor_b32_e32 v5, vcc_lo, v5
	v_and_b32_e32 v61, v61, v5
	v_lshlrev_b32_e32 v5, 27, v60
	v_cmp_gt_i64_e32 vcc, 0, v[4:5]
	v_not_b32_e32 v5, v5
	v_ashrrev_i32_e32 v5, 31, v5
	v_and_b32_e32 v170, v170, v171
	v_xor_b32_e32 v171, vcc_hi, v5
	v_xor_b32_e32 v5, vcc_lo, v5
	v_and_b32_e32 v61, v61, v5
	v_lshlrev_b32_e32 v5, 26, v60
	v_cmp_gt_i64_e32 vcc, 0, v[4:5]
	v_not_b32_e32 v5, v5
	v_ashrrev_i32_e32 v5, 31, v5
	v_and_b32_e32 v170, v170, v171
	v_xor_b32_e32 v171, vcc_hi, v5
	v_xor_b32_e32 v5, vcc_lo, v5
	v_and_b32_e32 v61, v61, v5
	v_lshlrev_b32_e32 v5, 25, v60
	v_cmp_gt_i64_e32 vcc, 0, v[4:5]
	v_not_b32_e32 v5, v5
	v_ashrrev_i32_e32 v5, 31, v5
	v_and_b32_e32 v170, v170, v171
	v_xor_b32_e32 v171, vcc_hi, v5
	v_xor_b32_e32 v5, vcc_lo, v5
	v_and_b32_e32 v170, v170, v171
	v_and_b32_e32 v171, v61, v5
	v_lshlrev_b32_e32 v5, 24, v60
	v_cmp_gt_i64_e32 vcc, 0, v[4:5]
	v_not_b32_e32 v5, v5
	v_ashrrev_i32_e32 v5, 31, v5
	v_xor_b32_e32 v60, vcc_hi, v5
	v_xor_b32_e32 v5, vcc_lo, v5
	v_and_b32_e32 v61, v170, v60
	v_and_b32_e32 v60, v171, v5
	v_mbcnt_lo_u32_b32 v5, v60, 0
	v_mbcnt_hi_u32_b32 v170, v61, v5
	v_cmp_eq_u32_e32 vcc, 0, v170
	v_cmp_ne_u64_e64 s[36:37], 0, v[60:61]
	s_and_b64 s[38:39], s[36:37], vcc
	; wave barrier
	s_and_saveexec_b64 s[36:37], s[38:39]
	s_cbranch_execz .LBB632_740
; %bb.739:                              ;   in Loop: Header=BB632_696 Depth=2
	v_bcnt_u32_b32 v5, v60, 0
	v_bcnt_u32_b32 v5, v61, v5
	s_waitcnt lgkmcnt(0)
	v_add_u32_e32 v5, v166, v5
	ds_write_b32 v167, v5
.LBB632_740:                            ;   in Loop: Header=BB632_696 Depth=2
	s_or_b64 exec, exec, s[36:37]
	s_waitcnt vmcnt(10)
	v_xor_b32_e32 v169, 0x80000000, v169
	v_lshrrev_b32_e32 v5, s85, v169
	v_and_b32_e32 v60, s94, v5
	v_mul_u32_u24_e32 v5, 5, v60
	v_add_lshl_u32 v5, v5, v150, 2
	; wave barrier
	v_add_u32_e32 v172, 0x410, v5
	ds_read_b32 v171, v5 offset:1040
	v_and_b32_e32 v5, 1, v60
	v_add_co_u32_e32 v61, vcc, -1, v5
	v_addc_co_u32_e64 v175, s[36:37], 0, -1, vcc
	v_cmp_ne_u32_e32 vcc, 0, v5
	v_xor_b32_e32 v5, vcc_hi, v175
	v_and_b32_e32 v175, exec_hi, v5
	v_lshlrev_b32_e32 v5, 30, v60
	v_xor_b32_e32 v61, vcc_lo, v61
	v_cmp_gt_i64_e32 vcc, 0, v[4:5]
	v_not_b32_e32 v5, v5
	v_ashrrev_i32_e32 v5, 31, v5
	v_and_b32_e32 v61, exec_lo, v61
	v_xor_b32_e32 v176, vcc_hi, v5
	v_xor_b32_e32 v5, vcc_lo, v5
	v_and_b32_e32 v61, v61, v5
	v_lshlrev_b32_e32 v5, 29, v60
	v_cmp_gt_i64_e32 vcc, 0, v[4:5]
	v_not_b32_e32 v5, v5
	v_ashrrev_i32_e32 v5, 31, v5
	v_and_b32_e32 v175, v175, v176
	v_xor_b32_e32 v176, vcc_hi, v5
	v_xor_b32_e32 v5, vcc_lo, v5
	v_and_b32_e32 v61, v61, v5
	v_lshlrev_b32_e32 v5, 28, v60
	v_cmp_gt_i64_e32 vcc, 0, v[4:5]
	v_not_b32_e32 v5, v5
	v_ashrrev_i32_e32 v5, 31, v5
	v_and_b32_e32 v175, v175, v176
	;; [unrolled: 8-line block ×5, first 2 shown]
	v_xor_b32_e32 v176, vcc_hi, v5
	v_xor_b32_e32 v5, vcc_lo, v5
	v_and_b32_e32 v175, v175, v176
	v_and_b32_e32 v176, v61, v5
	v_lshlrev_b32_e32 v5, 24, v60
	v_cmp_gt_i64_e32 vcc, 0, v[4:5]
	v_not_b32_e32 v5, v5
	v_ashrrev_i32_e32 v5, 31, v5
	v_xor_b32_e32 v60, vcc_hi, v5
	v_xor_b32_e32 v5, vcc_lo, v5
	v_and_b32_e32 v61, v175, v60
	v_and_b32_e32 v60, v176, v5
	v_mbcnt_lo_u32_b32 v5, v60, 0
	v_mbcnt_hi_u32_b32 v175, v61, v5
	v_cmp_eq_u32_e32 vcc, 0, v175
	v_cmp_ne_u64_e64 s[36:37], 0, v[60:61]
	s_and_b64 s[38:39], s[36:37], vcc
	; wave barrier
	s_and_saveexec_b64 s[36:37], s[38:39]
	s_cbranch_execz .LBB632_742
; %bb.741:                              ;   in Loop: Header=BB632_696 Depth=2
	v_bcnt_u32_b32 v5, v60, 0
	v_bcnt_u32_b32 v5, v61, v5
	s_waitcnt lgkmcnt(0)
	v_add_u32_e32 v5, v171, v5
	ds_write_b32 v172, v5
.LBB632_742:                            ;   in Loop: Header=BB632_696 Depth=2
	s_or_b64 exec, exec, s[36:37]
	s_waitcnt vmcnt(9)
	v_xor_b32_e32 v174, 0x80000000, v174
	v_lshrrev_b32_e32 v5, s85, v174
	v_and_b32_e32 v60, s94, v5
	v_mul_u32_u24_e32 v5, 5, v60
	v_add_lshl_u32 v5, v5, v150, 2
	; wave barrier
	v_add_u32_e32 v178, 0x410, v5
	ds_read_b32 v176, v5 offset:1040
	v_and_b32_e32 v5, 1, v60
	v_add_co_u32_e32 v61, vcc, -1, v5
	v_addc_co_u32_e64 v180, s[36:37], 0, -1, vcc
	v_cmp_ne_u32_e32 vcc, 0, v5
	v_xor_b32_e32 v5, vcc_hi, v180
	v_and_b32_e32 v180, exec_hi, v5
	v_lshlrev_b32_e32 v5, 30, v60
	v_xor_b32_e32 v61, vcc_lo, v61
	v_cmp_gt_i64_e32 vcc, 0, v[4:5]
	v_not_b32_e32 v5, v5
	v_ashrrev_i32_e32 v5, 31, v5
	v_and_b32_e32 v61, exec_lo, v61
	v_xor_b32_e32 v181, vcc_hi, v5
	v_xor_b32_e32 v5, vcc_lo, v5
	v_and_b32_e32 v61, v61, v5
	v_lshlrev_b32_e32 v5, 29, v60
	v_cmp_gt_i64_e32 vcc, 0, v[4:5]
	v_not_b32_e32 v5, v5
	v_ashrrev_i32_e32 v5, 31, v5
	v_and_b32_e32 v180, v180, v181
	v_xor_b32_e32 v181, vcc_hi, v5
	v_xor_b32_e32 v5, vcc_lo, v5
	v_and_b32_e32 v61, v61, v5
	v_lshlrev_b32_e32 v5, 28, v60
	v_cmp_gt_i64_e32 vcc, 0, v[4:5]
	v_not_b32_e32 v5, v5
	v_ashrrev_i32_e32 v5, 31, v5
	v_and_b32_e32 v180, v180, v181
	v_xor_b32_e32 v181, vcc_hi, v5
	v_xor_b32_e32 v5, vcc_lo, v5
	v_and_b32_e32 v61, v61, v5
	v_lshlrev_b32_e32 v5, 27, v60
	v_cmp_gt_i64_e32 vcc, 0, v[4:5]
	v_not_b32_e32 v5, v5
	v_ashrrev_i32_e32 v5, 31, v5
	v_and_b32_e32 v180, v180, v181
	v_xor_b32_e32 v181, vcc_hi, v5
	v_xor_b32_e32 v5, vcc_lo, v5
	v_and_b32_e32 v61, v61, v5
	v_lshlrev_b32_e32 v5, 26, v60
	v_cmp_gt_i64_e32 vcc, 0, v[4:5]
	v_not_b32_e32 v5, v5
	v_ashrrev_i32_e32 v5, 31, v5
	v_and_b32_e32 v180, v180, v181
	v_xor_b32_e32 v181, vcc_hi, v5
	v_xor_b32_e32 v5, vcc_lo, v5
	v_and_b32_e32 v61, v61, v5
	v_lshlrev_b32_e32 v5, 25, v60
	v_cmp_gt_i64_e32 vcc, 0, v[4:5]
	v_not_b32_e32 v5, v5
	v_ashrrev_i32_e32 v5, 31, v5
	v_and_b32_e32 v180, v180, v181
	v_xor_b32_e32 v181, vcc_hi, v5
	v_xor_b32_e32 v5, vcc_lo, v5
	v_and_b32_e32 v180, v180, v181
	v_and_b32_e32 v181, v61, v5
	v_lshlrev_b32_e32 v5, 24, v60
	v_cmp_gt_i64_e32 vcc, 0, v[4:5]
	v_not_b32_e32 v5, v5
	v_ashrrev_i32_e32 v5, 31, v5
	v_xor_b32_e32 v60, vcc_hi, v5
	v_xor_b32_e32 v5, vcc_lo, v5
	v_and_b32_e32 v61, v180, v60
	v_and_b32_e32 v60, v181, v5
	v_mbcnt_lo_u32_b32 v5, v60, 0
	v_mbcnt_hi_u32_b32 v180, v61, v5
	v_cmp_eq_u32_e32 vcc, 0, v180
	v_cmp_ne_u64_e64 s[36:37], 0, v[60:61]
	s_and_b64 s[38:39], s[36:37], vcc
	; wave barrier
	s_and_saveexec_b64 s[36:37], s[38:39]
	s_cbranch_execz .LBB632_744
; %bb.743:                              ;   in Loop: Header=BB632_696 Depth=2
	v_bcnt_u32_b32 v5, v60, 0
	v_bcnt_u32_b32 v5, v61, v5
	s_waitcnt lgkmcnt(0)
	v_add_u32_e32 v5, v176, v5
	ds_write_b32 v178, v5
.LBB632_744:                            ;   in Loop: Header=BB632_696 Depth=2
	s_or_b64 exec, exec, s[36:37]
	s_waitcnt vmcnt(8)
	v_xor_b32_e32 v179, 0x80000000, v179
	v_lshrrev_b32_e32 v5, s85, v179
	v_and_b32_e32 v60, s94, v5
	v_mul_u32_u24_e32 v5, 5, v60
	v_add_lshl_u32 v5, v5, v150, 2
	; wave barrier
	v_add_u32_e32 v183, 0x410, v5
	ds_read_b32 v181, v5 offset:1040
	v_and_b32_e32 v5, 1, v60
	v_add_co_u32_e32 v61, vcc, -1, v5
	v_addc_co_u32_e64 v185, s[36:37], 0, -1, vcc
	v_cmp_ne_u32_e32 vcc, 0, v5
	v_xor_b32_e32 v5, vcc_hi, v185
	v_and_b32_e32 v185, exec_hi, v5
	v_lshlrev_b32_e32 v5, 30, v60
	v_xor_b32_e32 v61, vcc_lo, v61
	v_cmp_gt_i64_e32 vcc, 0, v[4:5]
	v_not_b32_e32 v5, v5
	v_ashrrev_i32_e32 v5, 31, v5
	v_and_b32_e32 v61, exec_lo, v61
	v_xor_b32_e32 v186, vcc_hi, v5
	v_xor_b32_e32 v5, vcc_lo, v5
	v_and_b32_e32 v61, v61, v5
	v_lshlrev_b32_e32 v5, 29, v60
	v_cmp_gt_i64_e32 vcc, 0, v[4:5]
	v_not_b32_e32 v5, v5
	v_ashrrev_i32_e32 v5, 31, v5
	v_and_b32_e32 v185, v185, v186
	v_xor_b32_e32 v186, vcc_hi, v5
	v_xor_b32_e32 v5, vcc_lo, v5
	v_and_b32_e32 v61, v61, v5
	v_lshlrev_b32_e32 v5, 28, v60
	v_cmp_gt_i64_e32 vcc, 0, v[4:5]
	v_not_b32_e32 v5, v5
	v_ashrrev_i32_e32 v5, 31, v5
	v_and_b32_e32 v185, v185, v186
	;; [unrolled: 8-line block ×5, first 2 shown]
	v_xor_b32_e32 v186, vcc_hi, v5
	v_xor_b32_e32 v5, vcc_lo, v5
	v_and_b32_e32 v185, v185, v186
	v_and_b32_e32 v186, v61, v5
	v_lshlrev_b32_e32 v5, 24, v60
	v_cmp_gt_i64_e32 vcc, 0, v[4:5]
	v_not_b32_e32 v5, v5
	v_ashrrev_i32_e32 v5, 31, v5
	v_xor_b32_e32 v60, vcc_hi, v5
	v_xor_b32_e32 v5, vcc_lo, v5
	v_and_b32_e32 v61, v185, v60
	v_and_b32_e32 v60, v186, v5
	v_mbcnt_lo_u32_b32 v5, v60, 0
	v_mbcnt_hi_u32_b32 v185, v61, v5
	v_cmp_eq_u32_e32 vcc, 0, v185
	v_cmp_ne_u64_e64 s[36:37], 0, v[60:61]
	s_and_b64 s[38:39], s[36:37], vcc
	; wave barrier
	s_and_saveexec_b64 s[36:37], s[38:39]
	s_cbranch_execz .LBB632_746
; %bb.745:                              ;   in Loop: Header=BB632_696 Depth=2
	v_bcnt_u32_b32 v5, v60, 0
	v_bcnt_u32_b32 v5, v61, v5
	s_waitcnt lgkmcnt(0)
	v_add_u32_e32 v5, v181, v5
	ds_write_b32 v183, v5
.LBB632_746:                            ;   in Loop: Header=BB632_696 Depth=2
	s_or_b64 exec, exec, s[36:37]
	s_waitcnt vmcnt(7)
	v_xor_b32_e32 v184, 0x80000000, v184
	v_lshrrev_b32_e32 v5, s85, v184
	v_and_b32_e32 v60, s94, v5
	v_mul_u32_u24_e32 v5, 5, v60
	v_add_lshl_u32 v5, v5, v150, 2
	; wave barrier
	v_add_u32_e32 v187, 0x410, v5
	ds_read_b32 v186, v5 offset:1040
	v_and_b32_e32 v5, 1, v60
	v_add_co_u32_e32 v61, vcc, -1, v5
	v_addc_co_u32_e64 v188, s[36:37], 0, -1, vcc
	v_cmp_ne_u32_e32 vcc, 0, v5
	v_xor_b32_e32 v5, vcc_hi, v188
	v_and_b32_e32 v188, exec_hi, v5
	v_lshlrev_b32_e32 v5, 30, v60
	v_xor_b32_e32 v61, vcc_lo, v61
	v_cmp_gt_i64_e32 vcc, 0, v[4:5]
	v_not_b32_e32 v5, v5
	v_ashrrev_i32_e32 v5, 31, v5
	v_and_b32_e32 v61, exec_lo, v61
	v_xor_b32_e32 v189, vcc_hi, v5
	v_xor_b32_e32 v5, vcc_lo, v5
	v_and_b32_e32 v61, v61, v5
	v_lshlrev_b32_e32 v5, 29, v60
	v_cmp_gt_i64_e32 vcc, 0, v[4:5]
	v_not_b32_e32 v5, v5
	v_ashrrev_i32_e32 v5, 31, v5
	v_and_b32_e32 v188, v188, v189
	v_xor_b32_e32 v189, vcc_hi, v5
	v_xor_b32_e32 v5, vcc_lo, v5
	v_and_b32_e32 v61, v61, v5
	v_lshlrev_b32_e32 v5, 28, v60
	v_cmp_gt_i64_e32 vcc, 0, v[4:5]
	v_not_b32_e32 v5, v5
	v_ashrrev_i32_e32 v5, 31, v5
	v_and_b32_e32 v188, v188, v189
	;; [unrolled: 8-line block ×5, first 2 shown]
	v_xor_b32_e32 v189, vcc_hi, v5
	v_xor_b32_e32 v5, vcc_lo, v5
	v_and_b32_e32 v188, v188, v189
	v_and_b32_e32 v189, v61, v5
	v_lshlrev_b32_e32 v5, 24, v60
	v_cmp_gt_i64_e32 vcc, 0, v[4:5]
	v_not_b32_e32 v5, v5
	v_ashrrev_i32_e32 v5, 31, v5
	v_xor_b32_e32 v60, vcc_hi, v5
	v_xor_b32_e32 v5, vcc_lo, v5
	v_and_b32_e32 v61, v188, v60
	v_and_b32_e32 v60, v189, v5
	v_mbcnt_lo_u32_b32 v5, v60, 0
	v_mbcnt_hi_u32_b32 v188, v61, v5
	v_cmp_eq_u32_e32 vcc, 0, v188
	v_cmp_ne_u64_e64 s[36:37], 0, v[60:61]
	s_and_b64 s[38:39], s[36:37], vcc
	; wave barrier
	s_and_saveexec_b64 s[36:37], s[38:39]
	s_cbranch_execz .LBB632_748
; %bb.747:                              ;   in Loop: Header=BB632_696 Depth=2
	v_bcnt_u32_b32 v5, v60, 0
	v_bcnt_u32_b32 v5, v61, v5
	s_waitcnt lgkmcnt(0)
	v_add_u32_e32 v5, v186, v5
	ds_write_b32 v187, v5
.LBB632_748:                            ;   in Loop: Header=BB632_696 Depth=2
	s_or_b64 exec, exec, s[36:37]
	s_waitcnt vmcnt(6)
	v_xor_b32_e32 v182, 0x80000000, v182
	v_lshrrev_b32_e32 v5, s85, v182
	v_and_b32_e32 v60, s94, v5
	v_mul_u32_u24_e32 v5, 5, v60
	v_add_lshl_u32 v5, v5, v150, 2
	; wave barrier
	v_add_u32_e32 v190, 0x410, v5
	ds_read_b32 v189, v5 offset:1040
	v_and_b32_e32 v5, 1, v60
	v_add_co_u32_e32 v61, vcc, -1, v5
	v_addc_co_u32_e64 v191, s[36:37], 0, -1, vcc
	v_cmp_ne_u32_e32 vcc, 0, v5
	v_xor_b32_e32 v5, vcc_hi, v191
	v_and_b32_e32 v191, exec_hi, v5
	v_lshlrev_b32_e32 v5, 30, v60
	v_xor_b32_e32 v61, vcc_lo, v61
	v_cmp_gt_i64_e32 vcc, 0, v[4:5]
	v_not_b32_e32 v5, v5
	v_ashrrev_i32_e32 v5, 31, v5
	v_and_b32_e32 v61, exec_lo, v61
	v_xor_b32_e32 v192, vcc_hi, v5
	v_xor_b32_e32 v5, vcc_lo, v5
	v_and_b32_e32 v61, v61, v5
	v_lshlrev_b32_e32 v5, 29, v60
	v_cmp_gt_i64_e32 vcc, 0, v[4:5]
	v_not_b32_e32 v5, v5
	v_ashrrev_i32_e32 v5, 31, v5
	v_and_b32_e32 v191, v191, v192
	v_xor_b32_e32 v192, vcc_hi, v5
	v_xor_b32_e32 v5, vcc_lo, v5
	v_and_b32_e32 v61, v61, v5
	v_lshlrev_b32_e32 v5, 28, v60
	v_cmp_gt_i64_e32 vcc, 0, v[4:5]
	v_not_b32_e32 v5, v5
	v_ashrrev_i32_e32 v5, 31, v5
	v_and_b32_e32 v191, v191, v192
	;; [unrolled: 8-line block ×5, first 2 shown]
	v_xor_b32_e32 v192, vcc_hi, v5
	v_xor_b32_e32 v5, vcc_lo, v5
	v_and_b32_e32 v191, v191, v192
	v_and_b32_e32 v192, v61, v5
	v_lshlrev_b32_e32 v5, 24, v60
	v_cmp_gt_i64_e32 vcc, 0, v[4:5]
	v_not_b32_e32 v5, v5
	v_ashrrev_i32_e32 v5, 31, v5
	v_xor_b32_e32 v60, vcc_hi, v5
	v_xor_b32_e32 v5, vcc_lo, v5
	v_and_b32_e32 v61, v191, v60
	v_and_b32_e32 v60, v192, v5
	v_mbcnt_lo_u32_b32 v5, v60, 0
	v_mbcnt_hi_u32_b32 v191, v61, v5
	v_cmp_eq_u32_e32 vcc, 0, v191
	v_cmp_ne_u64_e64 s[36:37], 0, v[60:61]
	s_and_b64 s[38:39], s[36:37], vcc
	; wave barrier
	s_and_saveexec_b64 s[36:37], s[38:39]
	s_cbranch_execz .LBB632_750
; %bb.749:                              ;   in Loop: Header=BB632_696 Depth=2
	v_bcnt_u32_b32 v5, v60, 0
	v_bcnt_u32_b32 v5, v61, v5
	s_waitcnt lgkmcnt(0)
	v_add_u32_e32 v5, v189, v5
	ds_write_b32 v190, v5
.LBB632_750:                            ;   in Loop: Header=BB632_696 Depth=2
	s_or_b64 exec, exec, s[36:37]
	s_waitcnt vmcnt(5)
	v_xor_b32_e32 v177, 0x80000000, v177
	v_lshrrev_b32_e32 v5, s85, v177
	v_and_b32_e32 v60, s94, v5
	v_mul_u32_u24_e32 v5, 5, v60
	v_add_lshl_u32 v5, v5, v150, 2
	; wave barrier
	v_add_u32_e32 v193, 0x410, v5
	ds_read_b32 v192, v5 offset:1040
	v_and_b32_e32 v5, 1, v60
	v_add_co_u32_e32 v61, vcc, -1, v5
	v_addc_co_u32_e64 v194, s[36:37], 0, -1, vcc
	v_cmp_ne_u32_e32 vcc, 0, v5
	v_xor_b32_e32 v5, vcc_hi, v194
	v_and_b32_e32 v194, exec_hi, v5
	v_lshlrev_b32_e32 v5, 30, v60
	v_xor_b32_e32 v61, vcc_lo, v61
	v_cmp_gt_i64_e32 vcc, 0, v[4:5]
	v_not_b32_e32 v5, v5
	v_ashrrev_i32_e32 v5, 31, v5
	v_and_b32_e32 v61, exec_lo, v61
	v_xor_b32_e32 v195, vcc_hi, v5
	v_xor_b32_e32 v5, vcc_lo, v5
	v_and_b32_e32 v61, v61, v5
	v_lshlrev_b32_e32 v5, 29, v60
	v_cmp_gt_i64_e32 vcc, 0, v[4:5]
	v_not_b32_e32 v5, v5
	v_ashrrev_i32_e32 v5, 31, v5
	v_and_b32_e32 v194, v194, v195
	v_xor_b32_e32 v195, vcc_hi, v5
	v_xor_b32_e32 v5, vcc_lo, v5
	v_and_b32_e32 v61, v61, v5
	v_lshlrev_b32_e32 v5, 28, v60
	v_cmp_gt_i64_e32 vcc, 0, v[4:5]
	v_not_b32_e32 v5, v5
	v_ashrrev_i32_e32 v5, 31, v5
	v_and_b32_e32 v194, v194, v195
	;; [unrolled: 8-line block ×5, first 2 shown]
	v_xor_b32_e32 v195, vcc_hi, v5
	v_xor_b32_e32 v5, vcc_lo, v5
	v_and_b32_e32 v194, v194, v195
	v_and_b32_e32 v195, v61, v5
	v_lshlrev_b32_e32 v5, 24, v60
	v_cmp_gt_i64_e32 vcc, 0, v[4:5]
	v_not_b32_e32 v5, v5
	v_ashrrev_i32_e32 v5, 31, v5
	v_xor_b32_e32 v60, vcc_hi, v5
	v_xor_b32_e32 v5, vcc_lo, v5
	v_and_b32_e32 v61, v194, v60
	v_and_b32_e32 v60, v195, v5
	v_mbcnt_lo_u32_b32 v5, v60, 0
	v_mbcnt_hi_u32_b32 v194, v61, v5
	v_cmp_eq_u32_e32 vcc, 0, v194
	v_cmp_ne_u64_e64 s[36:37], 0, v[60:61]
	s_and_b64 s[38:39], s[36:37], vcc
	; wave barrier
	s_and_saveexec_b64 s[36:37], s[38:39]
	s_cbranch_execz .LBB632_752
; %bb.751:                              ;   in Loop: Header=BB632_696 Depth=2
	v_bcnt_u32_b32 v5, v60, 0
	v_bcnt_u32_b32 v5, v61, v5
	s_waitcnt lgkmcnt(0)
	v_add_u32_e32 v5, v192, v5
	ds_write_b32 v193, v5
.LBB632_752:                            ;   in Loop: Header=BB632_696 Depth=2
	s_or_b64 exec, exec, s[36:37]
	s_waitcnt vmcnt(4)
	v_xor_b32_e32 v173, 0x80000000, v173
	v_lshrrev_b32_e32 v5, s85, v173
	v_and_b32_e32 v60, s94, v5
	v_mul_u32_u24_e32 v5, 5, v60
	v_add_lshl_u32 v5, v5, v150, 2
	; wave barrier
	v_add_u32_e32 v196, 0x410, v5
	ds_read_b32 v195, v5 offset:1040
	v_and_b32_e32 v5, 1, v60
	v_add_co_u32_e32 v61, vcc, -1, v5
	v_addc_co_u32_e64 v197, s[36:37], 0, -1, vcc
	v_cmp_ne_u32_e32 vcc, 0, v5
	v_xor_b32_e32 v5, vcc_hi, v197
	v_and_b32_e32 v197, exec_hi, v5
	v_lshlrev_b32_e32 v5, 30, v60
	v_xor_b32_e32 v61, vcc_lo, v61
	v_cmp_gt_i64_e32 vcc, 0, v[4:5]
	v_not_b32_e32 v5, v5
	v_ashrrev_i32_e32 v5, 31, v5
	v_and_b32_e32 v61, exec_lo, v61
	v_xor_b32_e32 v198, vcc_hi, v5
	v_xor_b32_e32 v5, vcc_lo, v5
	v_and_b32_e32 v61, v61, v5
	v_lshlrev_b32_e32 v5, 29, v60
	v_cmp_gt_i64_e32 vcc, 0, v[4:5]
	v_not_b32_e32 v5, v5
	v_ashrrev_i32_e32 v5, 31, v5
	v_and_b32_e32 v197, v197, v198
	v_xor_b32_e32 v198, vcc_hi, v5
	v_xor_b32_e32 v5, vcc_lo, v5
	v_and_b32_e32 v61, v61, v5
	v_lshlrev_b32_e32 v5, 28, v60
	v_cmp_gt_i64_e32 vcc, 0, v[4:5]
	v_not_b32_e32 v5, v5
	v_ashrrev_i32_e32 v5, 31, v5
	v_and_b32_e32 v197, v197, v198
	;; [unrolled: 8-line block ×5, first 2 shown]
	v_xor_b32_e32 v198, vcc_hi, v5
	v_xor_b32_e32 v5, vcc_lo, v5
	v_and_b32_e32 v197, v197, v198
	v_and_b32_e32 v198, v61, v5
	v_lshlrev_b32_e32 v5, 24, v60
	v_cmp_gt_i64_e32 vcc, 0, v[4:5]
	v_not_b32_e32 v5, v5
	v_ashrrev_i32_e32 v5, 31, v5
	v_xor_b32_e32 v60, vcc_hi, v5
	v_xor_b32_e32 v5, vcc_lo, v5
	v_and_b32_e32 v61, v197, v60
	v_and_b32_e32 v60, v198, v5
	v_mbcnt_lo_u32_b32 v5, v60, 0
	v_mbcnt_hi_u32_b32 v198, v61, v5
	v_cmp_eq_u32_e32 vcc, 0, v198
	v_cmp_ne_u64_e64 s[36:37], 0, v[60:61]
	s_and_b64 s[38:39], s[36:37], vcc
	; wave barrier
	s_and_saveexec_b64 s[36:37], s[38:39]
	s_cbranch_execz .LBB632_754
; %bb.753:                              ;   in Loop: Header=BB632_696 Depth=2
	v_bcnt_u32_b32 v5, v60, 0
	v_bcnt_u32_b32 v5, v61, v5
	s_waitcnt lgkmcnt(0)
	v_add_u32_e32 v5, v195, v5
	ds_write_b32 v196, v5
.LBB632_754:                            ;   in Loop: Header=BB632_696 Depth=2
	s_or_b64 exec, exec, s[36:37]
	s_waitcnt vmcnt(3)
	v_xor_b32_e32 v197, 0x80000000, v168
	v_lshrrev_b32_e32 v5, s85, v197
	v_and_b32_e32 v60, s94, v5
	v_mul_u32_u24_e32 v5, 5, v60
	v_add_lshl_u32 v5, v5, v150, 2
	; wave barrier
	v_add_u32_e32 v168, 0x410, v5
	ds_read_b32 v199, v5 offset:1040
	v_and_b32_e32 v5, 1, v60
	v_add_co_u32_e32 v61, vcc, -1, v5
	v_addc_co_u32_e64 v200, s[36:37], 0, -1, vcc
	v_cmp_ne_u32_e32 vcc, 0, v5
	v_xor_b32_e32 v5, vcc_hi, v200
	v_and_b32_e32 v200, exec_hi, v5
	v_lshlrev_b32_e32 v5, 30, v60
	v_xor_b32_e32 v61, vcc_lo, v61
	v_cmp_gt_i64_e32 vcc, 0, v[4:5]
	v_not_b32_e32 v5, v5
	v_ashrrev_i32_e32 v5, 31, v5
	v_and_b32_e32 v61, exec_lo, v61
	v_xor_b32_e32 v201, vcc_hi, v5
	v_xor_b32_e32 v5, vcc_lo, v5
	v_and_b32_e32 v61, v61, v5
	v_lshlrev_b32_e32 v5, 29, v60
	v_cmp_gt_i64_e32 vcc, 0, v[4:5]
	v_not_b32_e32 v5, v5
	v_ashrrev_i32_e32 v5, 31, v5
	v_and_b32_e32 v200, v200, v201
	v_xor_b32_e32 v201, vcc_hi, v5
	v_xor_b32_e32 v5, vcc_lo, v5
	v_and_b32_e32 v61, v61, v5
	v_lshlrev_b32_e32 v5, 28, v60
	v_cmp_gt_i64_e32 vcc, 0, v[4:5]
	v_not_b32_e32 v5, v5
	v_ashrrev_i32_e32 v5, 31, v5
	v_and_b32_e32 v200, v200, v201
	;; [unrolled: 8-line block ×5, first 2 shown]
	v_xor_b32_e32 v201, vcc_hi, v5
	v_xor_b32_e32 v5, vcc_lo, v5
	v_and_b32_e32 v200, v200, v201
	v_and_b32_e32 v201, v61, v5
	v_lshlrev_b32_e32 v5, 24, v60
	v_cmp_gt_i64_e32 vcc, 0, v[4:5]
	v_not_b32_e32 v5, v5
	v_ashrrev_i32_e32 v5, 31, v5
	v_xor_b32_e32 v60, vcc_hi, v5
	v_xor_b32_e32 v5, vcc_lo, v5
	v_and_b32_e32 v61, v200, v60
	v_and_b32_e32 v60, v201, v5
	v_mbcnt_lo_u32_b32 v5, v60, 0
	v_mbcnt_hi_u32_b32 v201, v61, v5
	v_cmp_eq_u32_e32 vcc, 0, v201
	v_cmp_ne_u64_e64 s[36:37], 0, v[60:61]
	s_and_b64 s[38:39], s[36:37], vcc
	; wave barrier
	s_and_saveexec_b64 s[36:37], s[38:39]
	s_cbranch_execz .LBB632_756
; %bb.755:                              ;   in Loop: Header=BB632_696 Depth=2
	v_bcnt_u32_b32 v5, v60, 0
	v_bcnt_u32_b32 v5, v61, v5
	s_waitcnt lgkmcnt(0)
	v_add_u32_e32 v5, v199, v5
	ds_write_b32 v168, v5
.LBB632_756:                            ;   in Loop: Header=BB632_696 Depth=2
	s_or_b64 exec, exec, s[36:37]
	s_waitcnt vmcnt(2)
	v_xor_b32_e32 v200, 0x80000000, v163
	v_lshrrev_b32_e32 v5, s85, v200
	v_and_b32_e32 v60, s94, v5
	v_mul_u32_u24_e32 v5, 5, v60
	v_add_lshl_u32 v5, v5, v150, 2
	; wave barrier
	v_add_u32_e32 v163, 0x410, v5
	ds_read_b32 v202, v5 offset:1040
	v_and_b32_e32 v5, 1, v60
	v_add_co_u32_e32 v61, vcc, -1, v5
	v_addc_co_u32_e64 v203, s[36:37], 0, -1, vcc
	v_cmp_ne_u32_e32 vcc, 0, v5
	v_xor_b32_e32 v5, vcc_hi, v203
	v_and_b32_e32 v203, exec_hi, v5
	v_lshlrev_b32_e32 v5, 30, v60
	v_xor_b32_e32 v61, vcc_lo, v61
	v_cmp_gt_i64_e32 vcc, 0, v[4:5]
	v_not_b32_e32 v5, v5
	v_ashrrev_i32_e32 v5, 31, v5
	v_and_b32_e32 v61, exec_lo, v61
	v_xor_b32_e32 v204, vcc_hi, v5
	v_xor_b32_e32 v5, vcc_lo, v5
	v_and_b32_e32 v61, v61, v5
	v_lshlrev_b32_e32 v5, 29, v60
	v_cmp_gt_i64_e32 vcc, 0, v[4:5]
	v_not_b32_e32 v5, v5
	v_ashrrev_i32_e32 v5, 31, v5
	v_and_b32_e32 v203, v203, v204
	v_xor_b32_e32 v204, vcc_hi, v5
	v_xor_b32_e32 v5, vcc_lo, v5
	v_and_b32_e32 v61, v61, v5
	v_lshlrev_b32_e32 v5, 28, v60
	v_cmp_gt_i64_e32 vcc, 0, v[4:5]
	v_not_b32_e32 v5, v5
	v_ashrrev_i32_e32 v5, 31, v5
	v_and_b32_e32 v203, v203, v204
	;; [unrolled: 8-line block ×5, first 2 shown]
	v_xor_b32_e32 v204, vcc_hi, v5
	v_xor_b32_e32 v5, vcc_lo, v5
	v_and_b32_e32 v203, v203, v204
	v_and_b32_e32 v204, v61, v5
	v_lshlrev_b32_e32 v5, 24, v60
	v_cmp_gt_i64_e32 vcc, 0, v[4:5]
	v_not_b32_e32 v5, v5
	v_ashrrev_i32_e32 v5, 31, v5
	v_xor_b32_e32 v60, vcc_hi, v5
	v_xor_b32_e32 v5, vcc_lo, v5
	v_and_b32_e32 v61, v203, v60
	v_and_b32_e32 v60, v204, v5
	v_mbcnt_lo_u32_b32 v5, v60, 0
	v_mbcnt_hi_u32_b32 v204, v61, v5
	v_cmp_eq_u32_e32 vcc, 0, v204
	v_cmp_ne_u64_e64 s[36:37], 0, v[60:61]
	s_and_b64 s[38:39], s[36:37], vcc
	; wave barrier
	s_and_saveexec_b64 s[36:37], s[38:39]
	s_cbranch_execz .LBB632_758
; %bb.757:                              ;   in Loop: Header=BB632_696 Depth=2
	v_bcnt_u32_b32 v5, v60, 0
	v_bcnt_u32_b32 v5, v61, v5
	s_waitcnt lgkmcnt(0)
	v_add_u32_e32 v5, v202, v5
	ds_write_b32 v163, v5
.LBB632_758:                            ;   in Loop: Header=BB632_696 Depth=2
	s_or_b64 exec, exec, s[36:37]
	s_waitcnt vmcnt(1)
	v_xor_b32_e32 v203, 0x80000000, v158
	v_lshrrev_b32_e32 v5, s85, v203
	v_and_b32_e32 v60, s94, v5
	v_mul_u32_u24_e32 v5, 5, v60
	v_add_lshl_u32 v5, v5, v150, 2
	; wave barrier
	v_add_u32_e32 v158, 0x410, v5
	ds_read_b32 v205, v5 offset:1040
	v_and_b32_e32 v5, 1, v60
	v_add_co_u32_e32 v61, vcc, -1, v5
	v_addc_co_u32_e64 v206, s[36:37], 0, -1, vcc
	v_cmp_ne_u32_e32 vcc, 0, v5
	v_xor_b32_e32 v5, vcc_hi, v206
	v_and_b32_e32 v206, exec_hi, v5
	v_lshlrev_b32_e32 v5, 30, v60
	v_xor_b32_e32 v61, vcc_lo, v61
	v_cmp_gt_i64_e32 vcc, 0, v[4:5]
	v_not_b32_e32 v5, v5
	v_ashrrev_i32_e32 v5, 31, v5
	v_and_b32_e32 v61, exec_lo, v61
	v_xor_b32_e32 v207, vcc_hi, v5
	v_xor_b32_e32 v5, vcc_lo, v5
	v_and_b32_e32 v61, v61, v5
	v_lshlrev_b32_e32 v5, 29, v60
	v_cmp_gt_i64_e32 vcc, 0, v[4:5]
	v_not_b32_e32 v5, v5
	v_ashrrev_i32_e32 v5, 31, v5
	v_and_b32_e32 v206, v206, v207
	v_xor_b32_e32 v207, vcc_hi, v5
	v_xor_b32_e32 v5, vcc_lo, v5
	v_and_b32_e32 v61, v61, v5
	v_lshlrev_b32_e32 v5, 28, v60
	v_cmp_gt_i64_e32 vcc, 0, v[4:5]
	v_not_b32_e32 v5, v5
	v_ashrrev_i32_e32 v5, 31, v5
	v_and_b32_e32 v206, v206, v207
	;; [unrolled: 8-line block ×5, first 2 shown]
	v_xor_b32_e32 v207, vcc_hi, v5
	v_xor_b32_e32 v5, vcc_lo, v5
	v_and_b32_e32 v206, v206, v207
	v_and_b32_e32 v207, v61, v5
	v_lshlrev_b32_e32 v5, 24, v60
	v_cmp_gt_i64_e32 vcc, 0, v[4:5]
	v_not_b32_e32 v5, v5
	v_ashrrev_i32_e32 v5, 31, v5
	v_xor_b32_e32 v60, vcc_hi, v5
	v_xor_b32_e32 v5, vcc_lo, v5
	v_and_b32_e32 v61, v206, v60
	v_and_b32_e32 v60, v207, v5
	v_mbcnt_lo_u32_b32 v5, v60, 0
	v_mbcnt_hi_u32_b32 v207, v61, v5
	v_cmp_eq_u32_e32 vcc, 0, v207
	v_cmp_ne_u64_e64 s[36:37], 0, v[60:61]
	s_and_b64 s[38:39], s[36:37], vcc
	; wave barrier
	s_and_saveexec_b64 s[36:37], s[38:39]
	s_cbranch_execz .LBB632_760
; %bb.759:                              ;   in Loop: Header=BB632_696 Depth=2
	v_bcnt_u32_b32 v5, v60, 0
	v_bcnt_u32_b32 v5, v61, v5
	s_waitcnt lgkmcnt(0)
	v_add_u32_e32 v5, v205, v5
	ds_write_b32 v158, v5
.LBB632_760:                            ;   in Loop: Header=BB632_696 Depth=2
	s_or_b64 exec, exec, s[36:37]
	s_waitcnt vmcnt(0)
	v_xor_b32_e32 v206, 0x80000000, v62
	v_lshrrev_b32_e32 v5, s85, v206
	v_and_b32_e32 v60, s94, v5
	v_mul_u32_u24_e32 v5, 5, v60
	v_add_lshl_u32 v5, v5, v150, 2
	; wave barrier
	v_add_u32_e32 v209, 0x410, v5
	ds_read_b32 v208, v5 offset:1040
	v_and_b32_e32 v5, 1, v60
	v_add_co_u32_e32 v61, vcc, -1, v5
	v_addc_co_u32_e64 v62, s[36:37], 0, -1, vcc
	v_cmp_ne_u32_e32 vcc, 0, v5
	v_xor_b32_e32 v5, vcc_hi, v62
	v_and_b32_e32 v62, exec_hi, v5
	v_lshlrev_b32_e32 v5, 30, v60
	v_xor_b32_e32 v61, vcc_lo, v61
	v_cmp_gt_i64_e32 vcc, 0, v[4:5]
	v_not_b32_e32 v5, v5
	v_ashrrev_i32_e32 v5, 31, v5
	v_and_b32_e32 v61, exec_lo, v61
	v_xor_b32_e32 v210, vcc_hi, v5
	v_xor_b32_e32 v5, vcc_lo, v5
	v_and_b32_e32 v61, v61, v5
	v_lshlrev_b32_e32 v5, 29, v60
	v_cmp_gt_i64_e32 vcc, 0, v[4:5]
	v_not_b32_e32 v5, v5
	v_ashrrev_i32_e32 v5, 31, v5
	v_and_b32_e32 v62, v62, v210
	v_xor_b32_e32 v210, vcc_hi, v5
	v_xor_b32_e32 v5, vcc_lo, v5
	v_and_b32_e32 v61, v61, v5
	v_lshlrev_b32_e32 v5, 28, v60
	v_cmp_gt_i64_e32 vcc, 0, v[4:5]
	v_not_b32_e32 v5, v5
	v_ashrrev_i32_e32 v5, 31, v5
	v_and_b32_e32 v62, v62, v210
	;; [unrolled: 8-line block ×5, first 2 shown]
	v_xor_b32_e32 v210, vcc_hi, v5
	v_xor_b32_e32 v5, vcc_lo, v5
	v_and_b32_e32 v62, v62, v210
	v_and_b32_e32 v210, v61, v5
	v_lshlrev_b32_e32 v5, 24, v60
	v_cmp_gt_i64_e32 vcc, 0, v[4:5]
	v_not_b32_e32 v5, v5
	v_ashrrev_i32_e32 v5, 31, v5
	v_xor_b32_e32 v60, vcc_hi, v5
	v_xor_b32_e32 v5, vcc_lo, v5
	v_and_b32_e32 v61, v62, v60
	v_and_b32_e32 v60, v210, v5
	v_mbcnt_lo_u32_b32 v5, v60, 0
	v_mbcnt_hi_u32_b32 v211, v61, v5
	v_cmp_eq_u32_e32 vcc, 0, v211
	v_cmp_ne_u64_e64 s[36:37], 0, v[60:61]
	s_and_b64 s[38:39], s[36:37], vcc
	; wave barrier
	s_and_saveexec_b64 s[36:37], s[38:39]
	s_cbranch_execz .LBB632_762
; %bb.761:                              ;   in Loop: Header=BB632_696 Depth=2
	v_bcnt_u32_b32 v5, v60, 0
	v_bcnt_u32_b32 v5, v61, v5
	s_waitcnt lgkmcnt(0)
	v_add_u32_e32 v5, v208, v5
	ds_write_b32 v209, v5
.LBB632_762:                            ;   in Loop: Header=BB632_696 Depth=2
	s_or_b64 exec, exec, s[36:37]
	v_xor_b32_e32 v210, 0x80000000, v63
	v_lshrrev_b32_e32 v5, s85, v210
	v_and_b32_e32 v60, s94, v5
	v_mul_u32_u24_e32 v5, 5, v60
	v_add_lshl_u32 v5, v5, v150, 2
	; wave barrier
	v_add_u32_e32 v213, 0x410, v5
	ds_read_b32 v212, v5 offset:1040
	v_and_b32_e32 v5, 1, v60
	v_add_co_u32_e32 v61, vcc, -1, v5
	v_addc_co_u32_e64 v62, s[36:37], 0, -1, vcc
	v_cmp_ne_u32_e32 vcc, 0, v5
	v_xor_b32_e32 v5, vcc_hi, v62
	v_and_b32_e32 v62, exec_hi, v5
	v_lshlrev_b32_e32 v5, 30, v60
	v_xor_b32_e32 v61, vcc_lo, v61
	v_cmp_gt_i64_e32 vcc, 0, v[4:5]
	v_not_b32_e32 v5, v5
	v_ashrrev_i32_e32 v5, 31, v5
	v_and_b32_e32 v61, exec_lo, v61
	v_xor_b32_e32 v63, vcc_hi, v5
	v_xor_b32_e32 v5, vcc_lo, v5
	v_and_b32_e32 v61, v61, v5
	v_lshlrev_b32_e32 v5, 29, v60
	v_cmp_gt_i64_e32 vcc, 0, v[4:5]
	v_not_b32_e32 v5, v5
	v_ashrrev_i32_e32 v5, 31, v5
	v_and_b32_e32 v62, v62, v63
	v_xor_b32_e32 v63, vcc_hi, v5
	v_xor_b32_e32 v5, vcc_lo, v5
	v_and_b32_e32 v61, v61, v5
	v_lshlrev_b32_e32 v5, 28, v60
	v_cmp_gt_i64_e32 vcc, 0, v[4:5]
	v_not_b32_e32 v5, v5
	v_ashrrev_i32_e32 v5, 31, v5
	v_and_b32_e32 v62, v62, v63
	;; [unrolled: 8-line block ×5, first 2 shown]
	v_xor_b32_e32 v63, vcc_hi, v5
	v_xor_b32_e32 v5, vcc_lo, v5
	v_and_b32_e32 v62, v62, v63
	v_and_b32_e32 v63, v61, v5
	v_lshlrev_b32_e32 v5, 24, v60
	v_cmp_gt_i64_e32 vcc, 0, v[4:5]
	v_not_b32_e32 v5, v5
	v_ashrrev_i32_e32 v5, 31, v5
	v_xor_b32_e32 v60, vcc_hi, v5
	v_xor_b32_e32 v5, vcc_lo, v5
	v_and_b32_e32 v61, v62, v60
	v_and_b32_e32 v60, v63, v5
	v_mbcnt_lo_u32_b32 v5, v60, 0
	v_mbcnt_hi_u32_b32 v214, v61, v5
	v_cmp_eq_u32_e32 vcc, 0, v214
	v_cmp_ne_u64_e64 s[36:37], 0, v[60:61]
	s_and_b64 s[38:39], s[36:37], vcc
	; wave barrier
	s_and_saveexec_b64 s[36:37], s[38:39]
	s_cbranch_execz .LBB632_764
; %bb.763:                              ;   in Loop: Header=BB632_696 Depth=2
	v_bcnt_u32_b32 v5, v60, 0
	v_bcnt_u32_b32 v5, v61, v5
	s_waitcnt lgkmcnt(0)
	v_add_u32_e32 v5, v212, v5
	ds_write_b32 v213, v5
.LBB632_764:                            ;   in Loop: Header=BB632_696 Depth=2
	s_or_b64 exec, exec, s[36:37]
	; wave barrier
	s_waitcnt lgkmcnt(0)
	s_barrier
	ds_read_b32 v5, v64 offset:1040
	ds_read2_b32 v[62:63], v66 offset0:1 offset1:2
	ds_read2_b32 v[60:61], v66 offset0:3 offset1:4
	s_waitcnt lgkmcnt(1)
	v_add3_u32 v215, v62, v5, v63
	s_waitcnt lgkmcnt(0)
	v_add3_u32 v61, v215, v60, v61
	s_nop 1
	v_mov_b32_dpp v215, v61 row_shr:1 row_mask:0xf bank_mask:0xf
	v_cndmask_b32_e64 v215, v215, 0, s[16:17]
	v_add_u32_e32 v61, v215, v61
	s_nop 1
	v_mov_b32_dpp v215, v61 row_shr:2 row_mask:0xf bank_mask:0xf
	v_cndmask_b32_e64 v215, 0, v215, s[18:19]
	v_add_u32_e32 v61, v61, v215
	s_nop 1
	v_mov_b32_dpp v215, v61 row_shr:4 row_mask:0xf bank_mask:0xf
	v_cndmask_b32_e64 v215, 0, v215, s[20:21]
	v_add_u32_e32 v61, v61, v215
	s_nop 1
	v_mov_b32_dpp v215, v61 row_shr:8 row_mask:0xf bank_mask:0xf
	v_cndmask_b32_e64 v215, 0, v215, s[22:23]
	v_add_u32_e32 v61, v61, v215
	s_nop 1
	v_mov_b32_dpp v215, v61 row_bcast:15 row_mask:0xf bank_mask:0xf
	v_cndmask_b32_e64 v215, v215, 0, s[24:25]
	v_add_u32_e32 v61, v61, v215
	s_nop 1
	v_mov_b32_dpp v215, v61 row_bcast:31 row_mask:0xf bank_mask:0xf
	v_cndmask_b32_e64 v215, 0, v215, s[26:27]
	v_add_u32_e32 v61, v61, v215
	s_and_saveexec_b64 s[36:37], s[6:7]
	s_cbranch_execz .LBB632_766
; %bb.765:                              ;   in Loop: Header=BB632_696 Depth=2
	ds_write_b32 v19, v61 offset:1024
.LBB632_766:                            ;   in Loop: Header=BB632_696 Depth=2
	s_or_b64 exec, exec, s[36:37]
	s_waitcnt lgkmcnt(0)
	s_barrier
	s_and_saveexec_b64 s[36:37], s[8:9]
	s_cbranch_execz .LBB632_768
; %bb.767:                              ;   in Loop: Header=BB632_696 Depth=2
	v_add_u32_e32 v215, v64, v67
	ds_read_b32 v216, v215 offset:1024
	s_waitcnt lgkmcnt(0)
	s_nop 0
	v_mov_b32_dpp v217, v216 row_shr:1 row_mask:0xf bank_mask:0xf
	v_cndmask_b32_e64 v217, v217, 0, s[30:31]
	v_add_u32_e32 v216, v217, v216
	s_nop 1
	v_mov_b32_dpp v217, v216 row_shr:2 row_mask:0xf bank_mask:0xf
	v_cndmask_b32_e64 v217, 0, v217, s[34:35]
	v_add_u32_e32 v216, v216, v217
	ds_write_b32 v215, v216 offset:1024
.LBB632_768:                            ;   in Loop: Header=BB632_696 Depth=2
	s_or_b64 exec, exec, s[36:37]
	v_mov_b32_e32 v215, 0
	s_waitcnt lgkmcnt(0)
	s_barrier
	s_and_saveexec_b64 s[36:37], s[10:11]
	s_cbranch_execz .LBB632_770
; %bb.769:                              ;   in Loop: Header=BB632_696 Depth=2
	ds_read_b32 v215, v19 offset:1020
.LBB632_770:                            ;   in Loop: Header=BB632_696 Depth=2
	s_or_b64 exec, exec, s[36:37]
	s_waitcnt lgkmcnt(0)
	v_add_u32_e32 v61, v215, v61
	ds_bpermute_b32 v61, v127, v61
	s_waitcnt lgkmcnt(0)
	v_cndmask_b32_e64 v61, v61, v215, s[28:29]
	v_cndmask_b32_e64 v61, v61, 0, s[12:13]
	v_add_u32_e32 v5, v61, v5
	ds_write_b32 v64, v61 offset:1040
	v_add_u32_e32 v61, v5, v62
	v_add_u32_e32 v62, v61, v63
	ds_write2_b32 v66, v5, v61 offset0:1 offset1:2
	v_add_u32_e32 v5, v62, v60
	ds_write2_b32 v66, v62, v5 offset0:3 offset1:4
	s_waitcnt lgkmcnt(0)
	s_barrier
	ds_read_b32 v60, v157
	ds_read_b32 v61, v162
	;; [unrolled: 1-line block ×16, first 2 shown]
	ds_read_b32 v158, v64 offset:1040
	v_mov_b32_e32 v5, 0x1000
	s_and_saveexec_b64 s[36:37], s[14:15]
	s_cbranch_execz .LBB632_772
; %bb.771:                              ;   in Loop: Header=BB632_696 Depth=2
	ds_read_b32 v5, v64 offset:1060
.LBB632_772:                            ;   in Loop: Header=BB632_696 Depth=2
	s_or_b64 exec, exec, s[36:37]
	s_waitcnt lgkmcnt(0)
	s_barrier
	s_and_saveexec_b64 s[36:37], s[4:5]
	s_cbranch_execz .LBB632_774
; %bb.773:                              ;   in Loop: Header=BB632_696 Depth=2
	ds_read_b32 v163, v3
	s_waitcnt lgkmcnt(0)
	v_sub_u32_e32 v158, v163, v158
	ds_write_b32 v3, v158
.LBB632_774:                            ;   in Loop: Header=BB632_696 Depth=2
	s_or_b64 exec, exec, s[36:37]
	v_add_u32_e32 v172, v153, v155
	v_add3_u32 v168, v160, v156, v60
	v_lshlrev_b32_e32 v60, 2, v172
	v_add3_u32 v167, v165, v161, v61
	ds_write_b32 v60, v152 offset:1024
	v_lshlrev_b32_e32 v60, 2, v168
	v_add3_u32 v166, v170, v166, v62
	ds_write_b32 v60, v154 offset:1024
	;; [unrolled: 3-line block ×14, first 2 shown]
	v_lshlrev_b32_e32 v60, 2, v63
	ds_write_b32 v60, v206 offset:1024
	v_lshlrev_b32_e32 v60, 2, v62
	v_cmp_lt_u32_e64 s[36:37], v2, v151
	ds_write_b32 v60, v210 offset:1024
	s_waitcnt lgkmcnt(0)
	s_barrier
	s_and_saveexec_b64 s[38:39], s[36:37]
	s_cbranch_execz .LBB632_790
; %bb.775:                              ;   in Loop: Header=BB632_696 Depth=2
	v_add_u32_e32 v60, v64, v67
	ds_read_b32 v60, v60 offset:1024
	v_mov_b32_e32 v154, s75
	s_waitcnt lgkmcnt(0)
	v_lshrrev_b32_e32 v61, s85, v60
	v_and_b32_e32 v61, s94, v61
	v_lshlrev_b32_e32 v61, 2, v61
	ds_read_b32 v152, v61
	v_mov_b32_e32 v61, v4
	v_xor_b32_e32 v159, 0x80000000, v60
	s_waitcnt lgkmcnt(0)
	v_add_u32_e32 v60, v152, v2
	v_lshlrev_b64 v[60:61], 2, v[60:61]
	v_add_co_u32_e32 v60, vcc, s74, v60
	v_addc_co_u32_e32 v61, vcc, v154, v61, vcc
	global_store_dword v[60:61], v159, off
	s_or_b64 exec, exec, s[38:39]
	v_cmp_lt_u32_e64 s[38:39], v7, v151
	s_and_saveexec_b64 s[40:41], s[38:39]
	s_cbranch_execnz .LBB632_791
.LBB632_776:                            ;   in Loop: Header=BB632_696 Depth=2
	s_or_b64 exec, exec, s[40:41]
	v_cmp_lt_u32_e64 s[40:41], v9, v151
	s_and_saveexec_b64 s[42:43], s[40:41]
	s_cbranch_execz .LBB632_792
.LBB632_777:                            ;   in Loop: Header=BB632_696 Depth=2
	ds_read_b32 v60, v72 offset:2048
	v_mov_b32_e32 v154, s75
	s_waitcnt lgkmcnt(0)
	v_lshrrev_b32_e32 v61, s85, v60
	v_and_b32_e32 v61, s94, v61
	v_lshlrev_b32_e32 v61, 2, v61
	ds_read_b32 v152, v61
	v_mov_b32_e32 v61, v4
	v_xor_b32_e32 v159, 0x80000000, v60
	s_waitcnt lgkmcnt(0)
	v_add_u32_e32 v60, v152, v9
	v_lshlrev_b64 v[60:61], 2, v[60:61]
	v_add_co_u32_e32 v60, vcc, s74, v60
	v_addc_co_u32_e32 v61, vcc, v154, v61, vcc
	global_store_dword v[60:61], v159, off
	s_or_b64 exec, exec, s[42:43]
	v_cmp_lt_u32_e64 s[42:43], v11, v151
	s_and_saveexec_b64 s[44:45], s[42:43]
	s_cbranch_execnz .LBB632_793
.LBB632_778:                            ;   in Loop: Header=BB632_696 Depth=2
	s_or_b64 exec, exec, s[44:45]
	v_cmp_lt_u32_e64 s[44:45], v6, v151
	s_and_saveexec_b64 s[46:47], s[44:45]
	s_cbranch_execz .LBB632_794
.LBB632_779:                            ;   in Loop: Header=BB632_696 Depth=2
	ds_read_b32 v60, v72 offset:4096
	v_mov_b32_e32 v154, s75
	s_waitcnt lgkmcnt(0)
	v_lshrrev_b32_e32 v61, s85, v60
	v_and_b32_e32 v61, s94, v61
	v_lshlrev_b32_e32 v61, 2, v61
	ds_read_b32 v152, v61
	v_mov_b32_e32 v61, v4
	v_xor_b32_e32 v159, 0x80000000, v60
	s_waitcnt lgkmcnt(0)
	v_add_u32_e32 v60, v152, v6
	v_lshlrev_b64 v[60:61], 2, v[60:61]
	v_add_co_u32_e32 v60, vcc, s74, v60
	v_addc_co_u32_e32 v61, vcc, v154, v61, vcc
	global_store_dword v[60:61], v159, off
	s_or_b64 exec, exec, s[46:47]
	v_cmp_lt_u32_e64 s[46:47], v8, v151
	s_and_saveexec_b64 s[48:49], s[46:47]
	s_cbranch_execnz .LBB632_795
.LBB632_780:                            ;   in Loop: Header=BB632_696 Depth=2
	s_or_b64 exec, exec, s[48:49]
	v_cmp_lt_u32_e64 s[48:49], v10, v151
	s_and_saveexec_b64 s[50:51], s[48:49]
	s_cbranch_execz .LBB632_796
.LBB632_781:                            ;   in Loop: Header=BB632_696 Depth=2
	ds_read_b32 v60, v72 offset:6144
	v_mov_b32_e32 v154, s75
	s_waitcnt lgkmcnt(0)
	v_lshrrev_b32_e32 v61, s85, v60
	v_and_b32_e32 v61, s94, v61
	v_lshlrev_b32_e32 v61, 2, v61
	ds_read_b32 v152, v61
	v_mov_b32_e32 v61, v4
	v_xor_b32_e32 v159, 0x80000000, v60
	s_waitcnt lgkmcnt(0)
	v_add_u32_e32 v60, v152, v10
	v_lshlrev_b64 v[60:61], 2, v[60:61]
	v_add_co_u32_e32 v60, vcc, s74, v60
	v_addc_co_u32_e32 v61, vcc, v154, v61, vcc
	global_store_dword v[60:61], v159, off
	s_or_b64 exec, exec, s[50:51]
	v_cmp_lt_u32_e64 s[50:51], v12, v151
	s_and_saveexec_b64 s[52:53], s[50:51]
	s_cbranch_execnz .LBB632_797
.LBB632_782:                            ;   in Loop: Header=BB632_696 Depth=2
	s_or_b64 exec, exec, s[52:53]
	v_cmp_lt_u32_e64 s[52:53], v14, v151
	s_and_saveexec_b64 s[54:55], s[52:53]
	s_cbranch_execz .LBB632_798
.LBB632_783:                            ;   in Loop: Header=BB632_696 Depth=2
	ds_read_b32 v60, v72 offset:8192
	v_mov_b32_e32 v154, s75
	s_waitcnt lgkmcnt(0)
	v_lshrrev_b32_e32 v61, s85, v60
	v_and_b32_e32 v61, s94, v61
	v_lshlrev_b32_e32 v61, 2, v61
	ds_read_b32 v152, v61
	v_mov_b32_e32 v61, v4
	v_xor_b32_e32 v159, 0x80000000, v60
	s_waitcnt lgkmcnt(0)
	v_add_u32_e32 v60, v152, v14
	v_lshlrev_b64 v[60:61], 2, v[60:61]
	v_add_co_u32_e32 v60, vcc, s74, v60
	v_addc_co_u32_e32 v61, vcc, v154, v61, vcc
	global_store_dword v[60:61], v159, off
	s_or_b64 exec, exec, s[54:55]
	v_cmp_lt_u32_e64 s[54:55], v16, v151
	s_and_saveexec_b64 s[56:57], s[54:55]
	s_cbranch_execnz .LBB632_799
.LBB632_784:                            ;   in Loop: Header=BB632_696 Depth=2
	s_or_b64 exec, exec, s[56:57]
	v_cmp_lt_u32_e64 s[56:57], v18, v151
	s_and_saveexec_b64 s[58:59], s[56:57]
	s_cbranch_execz .LBB632_800
.LBB632_785:                            ;   in Loop: Header=BB632_696 Depth=2
	ds_read_b32 v60, v72 offset:10240
	v_mov_b32_e32 v154, s75
	s_waitcnt lgkmcnt(0)
	v_lshrrev_b32_e32 v61, s85, v60
	v_and_b32_e32 v61, s94, v61
	v_lshlrev_b32_e32 v61, 2, v61
	ds_read_b32 v152, v61
	v_mov_b32_e32 v61, v4
	v_xor_b32_e32 v159, 0x80000000, v60
	s_waitcnt lgkmcnt(0)
	v_add_u32_e32 v60, v152, v18
	v_lshlrev_b64 v[60:61], 2, v[60:61]
	v_add_co_u32_e32 v60, vcc, s74, v60
	v_addc_co_u32_e32 v61, vcc, v154, v61, vcc
	global_store_dword v[60:61], v159, off
	s_or_b64 exec, exec, s[58:59]
	v_cmp_lt_u32_e64 s[58:59], v20, v151
	s_and_saveexec_b64 s[60:61], s[58:59]
	s_cbranch_execnz .LBB632_801
.LBB632_786:                            ;   in Loop: Header=BB632_696 Depth=2
	s_or_b64 exec, exec, s[60:61]
	v_cmp_lt_u32_e64 s[60:61], v22, v151
	s_and_saveexec_b64 s[62:63], s[60:61]
	s_cbranch_execz .LBB632_802
.LBB632_787:                            ;   in Loop: Header=BB632_696 Depth=2
	ds_read_b32 v60, v72 offset:12288
	v_mov_b32_e32 v154, s75
	s_waitcnt lgkmcnt(0)
	v_lshrrev_b32_e32 v61, s85, v60
	v_and_b32_e32 v61, s94, v61
	v_lshlrev_b32_e32 v61, 2, v61
	ds_read_b32 v152, v61
	v_mov_b32_e32 v61, v4
	v_xor_b32_e32 v159, 0x80000000, v60
	s_waitcnt lgkmcnt(0)
	v_add_u32_e32 v60, v152, v22
	v_lshlrev_b64 v[60:61], 2, v[60:61]
	v_add_co_u32_e32 v60, vcc, s74, v60
	v_addc_co_u32_e32 v61, vcc, v154, v61, vcc
	global_store_dword v[60:61], v159, off
	s_or_b64 exec, exec, s[62:63]
	v_cmp_lt_u32_e64 s[62:63], v24, v151
	s_and_saveexec_b64 s[64:65], s[62:63]
	s_cbranch_execnz .LBB632_803
.LBB632_788:                            ;   in Loop: Header=BB632_696 Depth=2
	s_or_b64 exec, exec, s[64:65]
	v_cmp_lt_u32_e64 s[64:65], v26, v151
	s_and_saveexec_b64 s[66:67], s[64:65]
	s_cbranch_execz .LBB632_804
.LBB632_789:                            ;   in Loop: Header=BB632_696 Depth=2
	ds_read_b32 v60, v72 offset:14336
	v_mov_b32_e32 v154, s75
	s_waitcnt lgkmcnt(0)
	v_lshrrev_b32_e32 v61, s85, v60
	v_and_b32_e32 v61, s94, v61
	v_lshlrev_b32_e32 v61, 2, v61
	ds_read_b32 v152, v61
	v_mov_b32_e32 v61, v4
	v_xor_b32_e32 v159, 0x80000000, v60
	s_waitcnt lgkmcnt(0)
	v_add_u32_e32 v60, v152, v26
	v_lshlrev_b64 v[60:61], 2, v[60:61]
	v_add_co_u32_e32 v60, vcc, s74, v60
	v_addc_co_u32_e32 v61, vcc, v154, v61, vcc
	global_store_dword v[60:61], v159, off
	s_or_b64 exec, exec, s[66:67]
	v_cmp_lt_u32_e64 s[66:67], v28, v151
	s_and_saveexec_b64 s[78:79], s[66:67]
	s_cbranch_execnz .LBB632_805
	s_branch .LBB632_806
.LBB632_790:                            ;   in Loop: Header=BB632_696 Depth=2
	s_or_b64 exec, exec, s[38:39]
	v_cmp_lt_u32_e64 s[38:39], v7, v151
	s_and_saveexec_b64 s[40:41], s[38:39]
	s_cbranch_execz .LBB632_776
.LBB632_791:                            ;   in Loop: Header=BB632_696 Depth=2
	ds_read_b32 v60, v72 offset:1024
	v_mov_b32_e32 v154, s75
	s_waitcnt lgkmcnt(0)
	v_lshrrev_b32_e32 v61, s85, v60
	v_and_b32_e32 v61, s94, v61
	v_lshlrev_b32_e32 v61, 2, v61
	ds_read_b32 v152, v61
	v_mov_b32_e32 v61, v4
	v_xor_b32_e32 v159, 0x80000000, v60
	s_waitcnt lgkmcnt(0)
	v_add_u32_e32 v60, v152, v7
	v_lshlrev_b64 v[60:61], 2, v[60:61]
	v_add_co_u32_e32 v60, vcc, s74, v60
	v_addc_co_u32_e32 v61, vcc, v154, v61, vcc
	global_store_dword v[60:61], v159, off
	s_or_b64 exec, exec, s[40:41]
	v_cmp_lt_u32_e64 s[40:41], v9, v151
	s_and_saveexec_b64 s[42:43], s[40:41]
	s_cbranch_execnz .LBB632_777
.LBB632_792:                            ;   in Loop: Header=BB632_696 Depth=2
	s_or_b64 exec, exec, s[42:43]
	v_cmp_lt_u32_e64 s[42:43], v11, v151
	s_and_saveexec_b64 s[44:45], s[42:43]
	s_cbranch_execz .LBB632_778
.LBB632_793:                            ;   in Loop: Header=BB632_696 Depth=2
	ds_read_b32 v60, v72 offset:3072
	v_mov_b32_e32 v154, s75
	s_waitcnt lgkmcnt(0)
	v_lshrrev_b32_e32 v61, s85, v60
	v_and_b32_e32 v61, s94, v61
	v_lshlrev_b32_e32 v61, 2, v61
	ds_read_b32 v152, v61
	v_mov_b32_e32 v61, v4
	v_xor_b32_e32 v159, 0x80000000, v60
	s_waitcnt lgkmcnt(0)
	v_add_u32_e32 v60, v152, v11
	v_lshlrev_b64 v[60:61], 2, v[60:61]
	v_add_co_u32_e32 v60, vcc, s74, v60
	v_addc_co_u32_e32 v61, vcc, v154, v61, vcc
	global_store_dword v[60:61], v159, off
	s_or_b64 exec, exec, s[44:45]
	v_cmp_lt_u32_e64 s[44:45], v6, v151
	s_and_saveexec_b64 s[46:47], s[44:45]
	s_cbranch_execnz .LBB632_779
.LBB632_794:                            ;   in Loop: Header=BB632_696 Depth=2
	s_or_b64 exec, exec, s[46:47]
	v_cmp_lt_u32_e64 s[46:47], v8, v151
	s_and_saveexec_b64 s[48:49], s[46:47]
	s_cbranch_execz .LBB632_780
.LBB632_795:                            ;   in Loop: Header=BB632_696 Depth=2
	ds_read_b32 v60, v72 offset:5120
	v_mov_b32_e32 v154, s75
	s_waitcnt lgkmcnt(0)
	v_lshrrev_b32_e32 v61, s85, v60
	v_and_b32_e32 v61, s94, v61
	v_lshlrev_b32_e32 v61, 2, v61
	ds_read_b32 v152, v61
	v_mov_b32_e32 v61, v4
	v_xor_b32_e32 v159, 0x80000000, v60
	s_waitcnt lgkmcnt(0)
	v_add_u32_e32 v60, v152, v8
	v_lshlrev_b64 v[60:61], 2, v[60:61]
	v_add_co_u32_e32 v60, vcc, s74, v60
	v_addc_co_u32_e32 v61, vcc, v154, v61, vcc
	global_store_dword v[60:61], v159, off
	s_or_b64 exec, exec, s[48:49]
	v_cmp_lt_u32_e64 s[48:49], v10, v151
	s_and_saveexec_b64 s[50:51], s[48:49]
	s_cbranch_execnz .LBB632_781
.LBB632_796:                            ;   in Loop: Header=BB632_696 Depth=2
	s_or_b64 exec, exec, s[50:51]
	v_cmp_lt_u32_e64 s[50:51], v12, v151
	s_and_saveexec_b64 s[52:53], s[50:51]
	s_cbranch_execz .LBB632_782
.LBB632_797:                            ;   in Loop: Header=BB632_696 Depth=2
	ds_read_b32 v60, v72 offset:7168
	v_mov_b32_e32 v154, s75
	s_waitcnt lgkmcnt(0)
	v_lshrrev_b32_e32 v61, s85, v60
	v_and_b32_e32 v61, s94, v61
	v_lshlrev_b32_e32 v61, 2, v61
	ds_read_b32 v152, v61
	v_mov_b32_e32 v61, v4
	v_xor_b32_e32 v159, 0x80000000, v60
	s_waitcnt lgkmcnt(0)
	v_add_u32_e32 v60, v152, v12
	v_lshlrev_b64 v[60:61], 2, v[60:61]
	v_add_co_u32_e32 v60, vcc, s74, v60
	v_addc_co_u32_e32 v61, vcc, v154, v61, vcc
	global_store_dword v[60:61], v159, off
	s_or_b64 exec, exec, s[52:53]
	v_cmp_lt_u32_e64 s[52:53], v14, v151
	s_and_saveexec_b64 s[54:55], s[52:53]
	s_cbranch_execnz .LBB632_783
.LBB632_798:                            ;   in Loop: Header=BB632_696 Depth=2
	s_or_b64 exec, exec, s[54:55]
	v_cmp_lt_u32_e64 s[54:55], v16, v151
	s_and_saveexec_b64 s[56:57], s[54:55]
	s_cbranch_execz .LBB632_784
.LBB632_799:                            ;   in Loop: Header=BB632_696 Depth=2
	ds_read_b32 v60, v72 offset:9216
	v_mov_b32_e32 v154, s75
	s_waitcnt lgkmcnt(0)
	v_lshrrev_b32_e32 v61, s85, v60
	v_and_b32_e32 v61, s94, v61
	v_lshlrev_b32_e32 v61, 2, v61
	ds_read_b32 v152, v61
	v_mov_b32_e32 v61, v4
	v_xor_b32_e32 v159, 0x80000000, v60
	s_waitcnt lgkmcnt(0)
	v_add_u32_e32 v60, v152, v16
	v_lshlrev_b64 v[60:61], 2, v[60:61]
	v_add_co_u32_e32 v60, vcc, s74, v60
	v_addc_co_u32_e32 v61, vcc, v154, v61, vcc
	global_store_dword v[60:61], v159, off
	s_or_b64 exec, exec, s[56:57]
	v_cmp_lt_u32_e64 s[56:57], v18, v151
	s_and_saveexec_b64 s[58:59], s[56:57]
	s_cbranch_execnz .LBB632_785
.LBB632_800:                            ;   in Loop: Header=BB632_696 Depth=2
	s_or_b64 exec, exec, s[58:59]
	v_cmp_lt_u32_e64 s[58:59], v20, v151
	s_and_saveexec_b64 s[60:61], s[58:59]
	s_cbranch_execz .LBB632_786
.LBB632_801:                            ;   in Loop: Header=BB632_696 Depth=2
	ds_read_b32 v60, v72 offset:11264
	v_mov_b32_e32 v154, s75
	s_waitcnt lgkmcnt(0)
	v_lshrrev_b32_e32 v61, s85, v60
	v_and_b32_e32 v61, s94, v61
	v_lshlrev_b32_e32 v61, 2, v61
	ds_read_b32 v152, v61
	v_mov_b32_e32 v61, v4
	v_xor_b32_e32 v159, 0x80000000, v60
	s_waitcnt lgkmcnt(0)
	v_add_u32_e32 v60, v152, v20
	v_lshlrev_b64 v[60:61], 2, v[60:61]
	v_add_co_u32_e32 v60, vcc, s74, v60
	v_addc_co_u32_e32 v61, vcc, v154, v61, vcc
	global_store_dword v[60:61], v159, off
	s_or_b64 exec, exec, s[60:61]
	v_cmp_lt_u32_e64 s[60:61], v22, v151
	s_and_saveexec_b64 s[62:63], s[60:61]
	s_cbranch_execnz .LBB632_787
.LBB632_802:                            ;   in Loop: Header=BB632_696 Depth=2
	s_or_b64 exec, exec, s[62:63]
	v_cmp_lt_u32_e64 s[62:63], v24, v151
	s_and_saveexec_b64 s[64:65], s[62:63]
	s_cbranch_execz .LBB632_788
.LBB632_803:                            ;   in Loop: Header=BB632_696 Depth=2
	ds_read_b32 v60, v72 offset:13312
	v_mov_b32_e32 v154, s75
	s_waitcnt lgkmcnt(0)
	v_lshrrev_b32_e32 v61, s85, v60
	v_and_b32_e32 v61, s94, v61
	v_lshlrev_b32_e32 v61, 2, v61
	ds_read_b32 v152, v61
	v_mov_b32_e32 v61, v4
	v_xor_b32_e32 v159, 0x80000000, v60
	s_waitcnt lgkmcnt(0)
	v_add_u32_e32 v60, v152, v24
	v_lshlrev_b64 v[60:61], 2, v[60:61]
	v_add_co_u32_e32 v60, vcc, s74, v60
	v_addc_co_u32_e32 v61, vcc, v154, v61, vcc
	global_store_dword v[60:61], v159, off
	s_or_b64 exec, exec, s[64:65]
	v_cmp_lt_u32_e64 s[64:65], v26, v151
	s_and_saveexec_b64 s[66:67], s[64:65]
	s_cbranch_execnz .LBB632_789
.LBB632_804:                            ;   in Loop: Header=BB632_696 Depth=2
	s_or_b64 exec, exec, s[66:67]
	v_cmp_lt_u32_e64 s[66:67], v28, v151
	s_and_saveexec_b64 s[78:79], s[66:67]
	s_cbranch_execz .LBB632_806
.LBB632_805:                            ;   in Loop: Header=BB632_696 Depth=2
	ds_read_b32 v60, v72 offset:15360
	v_mov_b32_e32 v154, s75
	s_waitcnt lgkmcnt(0)
	v_lshrrev_b32_e32 v61, s85, v60
	v_and_b32_e32 v61, s94, v61
	v_lshlrev_b32_e32 v61, 2, v61
	ds_read_b32 v152, v61
	v_mov_b32_e32 v61, v4
	v_xor_b32_e32 v159, 0x80000000, v60
	s_waitcnt lgkmcnt(0)
	v_add_u32_e32 v60, v152, v28
	v_lshlrev_b64 v[60:61], 2, v[60:61]
	v_add_co_u32_e32 v60, vcc, s74, v60
	v_addc_co_u32_e32 v61, vcc, v154, v61, vcc
	global_store_dword v[60:61], v159, off
.LBB632_806:                            ;   in Loop: Header=BB632_696 Depth=2
	s_or_b64 exec, exec, s[78:79]
	s_lshl_b64 s[78:79], s[88:89], 3
	v_mov_b32_e32 v61, s79
	v_add_co_u32_e32 v60, vcc, s78, v128
	v_addc_co_u32_e32 v61, vcc, v129, v61, vcc
	v_cmp_lt_u32_e32 vcc, v109, v151
	s_and_saveexec_b64 s[78:79], vcc
	s_xor_b64 s[78:79], exec, s[78:79]
	s_cbranch_execz .LBB632_838
; %bb.807:                              ;   in Loop: Header=BB632_696 Depth=2
	global_load_dwordx2 v[58:59], v[60:61], off
	s_or_b64 exec, exec, s[78:79]
	v_cmp_lt_u32_e32 vcc, v110, v151
	s_and_saveexec_b64 s[78:79], vcc
	s_cbranch_execnz .LBB632_839
.LBB632_808:                            ;   in Loop: Header=BB632_696 Depth=2
	s_or_b64 exec, exec, s[78:79]
	v_cmp_lt_u32_e32 vcc, v111, v151
	s_and_saveexec_b64 s[78:79], vcc
	s_cbranch_execz .LBB632_840
.LBB632_809:                            ;   in Loop: Header=BB632_696 Depth=2
	global_load_dwordx2 v[54:55], v[60:61], off offset:1024
	s_or_b64 exec, exec, s[78:79]
	v_cmp_lt_u32_e32 vcc, v112, v151
	s_and_saveexec_b64 s[78:79], vcc
	s_cbranch_execnz .LBB632_841
.LBB632_810:                            ;   in Loop: Header=BB632_696 Depth=2
	s_or_b64 exec, exec, s[78:79]
	v_cmp_lt_u32_e32 vcc, v113, v151
	s_and_saveexec_b64 s[78:79], vcc
	s_cbranch_execz .LBB632_842
.LBB632_811:                            ;   in Loop: Header=BB632_696 Depth=2
	global_load_dwordx2 v[46:47], v[60:61], off offset:2048
	s_or_b64 exec, exec, s[78:79]
	v_cmp_lt_u32_e32 vcc, v114, v151
	s_and_saveexec_b64 s[78:79], vcc
	s_cbranch_execnz .LBB632_843
.LBB632_812:                            ;   in Loop: Header=BB632_696 Depth=2
	s_or_b64 exec, exec, s[78:79]
	v_cmp_lt_u32_e32 vcc, v115, v151
	s_and_saveexec_b64 s[78:79], vcc
	s_cbranch_execz .LBB632_844
.LBB632_813:                            ;   in Loop: Header=BB632_696 Depth=2
	global_load_dwordx2 v[38:39], v[60:61], off offset:3072
	s_or_b64 exec, exec, s[78:79]
	v_cmp_lt_u32_e32 vcc, v116, v151
	s_and_saveexec_b64 s[78:79], vcc
	s_cbranch_execnz .LBB632_845
.LBB632_814:                            ;   in Loop: Header=BB632_696 Depth=2
	s_or_b64 exec, exec, s[78:79]
	v_cmp_lt_u32_e32 vcc, v117, v151
	s_and_saveexec_b64 s[78:79], vcc
	s_cbranch_execz .LBB632_846
.LBB632_815:                            ;   in Loop: Header=BB632_696 Depth=2
	v_add_co_u32_e32 v52, vcc, 0x1000, v60
	v_addc_co_u32_e32 v53, vcc, 0, v61, vcc
	global_load_dwordx2 v[52:53], v[52:53], off
	s_or_b64 exec, exec, s[78:79]
	v_cmp_lt_u32_e32 vcc, v118, v151
	s_and_saveexec_b64 s[78:79], vcc
	s_cbranch_execnz .LBB632_847
.LBB632_816:                            ;   in Loop: Header=BB632_696 Depth=2
	s_or_b64 exec, exec, s[78:79]
	v_cmp_lt_u32_e32 vcc, v119, v151
	s_and_saveexec_b64 s[78:79], vcc
	s_cbranch_execz .LBB632_848
.LBB632_817:                            ;   in Loop: Header=BB632_696 Depth=2
	v_add_co_u32_e32 v44, vcc, 0x1000, v60
	v_addc_co_u32_e32 v45, vcc, 0, v61, vcc
	global_load_dwordx2 v[44:45], v[44:45], off offset:1024
	s_or_b64 exec, exec, s[78:79]
	v_cmp_lt_u32_e32 vcc, v120, v151
	s_and_saveexec_b64 s[78:79], vcc
	s_cbranch_execnz .LBB632_849
.LBB632_818:                            ;   in Loop: Header=BB632_696 Depth=2
	s_or_b64 exec, exec, s[78:79]
	v_cmp_lt_u32_e32 vcc, v121, v151
	s_and_saveexec_b64 s[78:79], vcc
	s_cbranch_execz .LBB632_850
.LBB632_819:                            ;   in Loop: Header=BB632_696 Depth=2
	v_add_co_u32_e32 v36, vcc, 0x1000, v60
	v_addc_co_u32_e32 v37, vcc, 0, v61, vcc
	global_load_dwordx2 v[36:37], v[36:37], off offset:2048
	s_or_b64 exec, exec, s[78:79]
	v_cmp_lt_u32_e32 vcc, v122, v151
	s_and_saveexec_b64 s[78:79], vcc
	s_cbranch_execnz .LBB632_851
.LBB632_820:                            ;   in Loop: Header=BB632_696 Depth=2
	s_or_b64 exec, exec, s[78:79]
	v_cmp_lt_u32_e32 vcc, v123, v151
	s_and_saveexec_b64 s[78:79], vcc
	s_cbranch_execz .LBB632_852
.LBB632_821:                            ;   in Loop: Header=BB632_696 Depth=2
	v_add_co_u32_e32 v30, vcc, 0x1000, v60
	v_addc_co_u32_e32 v31, vcc, 0, v61, vcc
	global_load_dwordx2 v[30:31], v[30:31], off offset:3072
	s_or_b64 exec, exec, s[78:79]
	v_cmp_lt_u32_e32 vcc, v124, v151
	s_and_saveexec_b64 s[78:79], vcc
	s_cbranch_execnz .LBB632_853
.LBB632_822:                            ;   in Loop: Header=BB632_696 Depth=2
	s_or_b64 exec, exec, s[78:79]
	s_and_saveexec_b64 s[78:79], s[36:37]
	s_cbranch_execz .LBB632_854
.LBB632_823:                            ;   in Loop: Header=BB632_696 Depth=2
	v_add_u32_e32 v60, v64, v67
	ds_read_b32 v60, v60 offset:1024
	s_waitcnt lgkmcnt(0)
	v_lshrrev_b32_e32 v60, s85, v60
	v_and_b32_e32 v149, s94, v60
	s_or_b64 exec, exec, s[78:79]
	s_and_saveexec_b64 s[78:79], s[38:39]
	s_cbranch_execnz .LBB632_855
.LBB632_824:                            ;   in Loop: Header=BB632_696 Depth=2
	s_or_b64 exec, exec, s[78:79]
	s_and_saveexec_b64 s[78:79], s[40:41]
	s_cbranch_execz .LBB632_856
.LBB632_825:                            ;   in Loop: Header=BB632_696 Depth=2
	ds_read_b32 v60, v72 offset:2048
	s_waitcnt lgkmcnt(0)
	v_lshrrev_b32_e32 v60, s85, v60
	v_and_b32_e32 v146, s94, v60
	s_or_b64 exec, exec, s[78:79]
	s_and_saveexec_b64 s[78:79], s[42:43]
	s_cbranch_execnz .LBB632_857
.LBB632_826:                            ;   in Loop: Header=BB632_696 Depth=2
	s_or_b64 exec, exec, s[78:79]
	s_and_saveexec_b64 s[78:79], s[44:45]
	s_cbranch_execz .LBB632_858
.LBB632_827:                            ;   in Loop: Header=BB632_696 Depth=2
	ds_read_b32 v60, v72 offset:4096
	s_waitcnt lgkmcnt(0)
	v_lshrrev_b32_e32 v60, s85, v60
	v_and_b32_e32 v143, s94, v60
	s_or_b64 exec, exec, s[78:79]
	s_and_saveexec_b64 s[78:79], s[46:47]
	s_cbranch_execnz .LBB632_859
.LBB632_828:                            ;   in Loop: Header=BB632_696 Depth=2
	s_or_b64 exec, exec, s[78:79]
	s_and_saveexec_b64 s[78:79], s[48:49]
	s_cbranch_execz .LBB632_860
.LBB632_829:                            ;   in Loop: Header=BB632_696 Depth=2
	ds_read_b32 v60, v72 offset:6144
	s_waitcnt lgkmcnt(0)
	v_lshrrev_b32_e32 v60, s85, v60
	v_and_b32_e32 v141, s94, v60
	s_or_b64 exec, exec, s[78:79]
	s_and_saveexec_b64 s[78:79], s[50:51]
	s_cbranch_execnz .LBB632_861
.LBB632_830:                            ;   in Loop: Header=BB632_696 Depth=2
	s_or_b64 exec, exec, s[78:79]
	s_and_saveexec_b64 s[78:79], s[52:53]
	s_cbranch_execz .LBB632_862
.LBB632_831:                            ;   in Loop: Header=BB632_696 Depth=2
	ds_read_b32 v60, v72 offset:8192
	s_waitcnt lgkmcnt(0)
	v_lshrrev_b32_e32 v60, s85, v60
	v_and_b32_e32 v139, s94, v60
	s_or_b64 exec, exec, s[78:79]
	s_and_saveexec_b64 s[78:79], s[54:55]
	s_cbranch_execnz .LBB632_863
.LBB632_832:                            ;   in Loop: Header=BB632_696 Depth=2
	s_or_b64 exec, exec, s[78:79]
	s_and_saveexec_b64 s[78:79], s[56:57]
	s_cbranch_execz .LBB632_864
.LBB632_833:                            ;   in Loop: Header=BB632_696 Depth=2
	ds_read_b32 v60, v72 offset:10240
	s_waitcnt lgkmcnt(0)
	v_lshrrev_b32_e32 v60, s85, v60
	v_and_b32_e32 v137, s94, v60
	s_or_b64 exec, exec, s[78:79]
	s_and_saveexec_b64 s[78:79], s[58:59]
	s_cbranch_execnz .LBB632_865
.LBB632_834:                            ;   in Loop: Header=BB632_696 Depth=2
	s_or_b64 exec, exec, s[78:79]
	s_and_saveexec_b64 s[78:79], s[60:61]
	s_cbranch_execz .LBB632_866
.LBB632_835:                            ;   in Loop: Header=BB632_696 Depth=2
	ds_read_b32 v60, v72 offset:12288
	s_waitcnt lgkmcnt(0)
	v_lshrrev_b32_e32 v60, s85, v60
	v_and_b32_e32 v135, s94, v60
	s_or_b64 exec, exec, s[78:79]
	s_and_saveexec_b64 s[78:79], s[62:63]
	s_cbranch_execnz .LBB632_867
.LBB632_836:                            ;   in Loop: Header=BB632_696 Depth=2
	s_or_b64 exec, exec, s[78:79]
	s_and_saveexec_b64 s[78:79], s[64:65]
	s_cbranch_execz .LBB632_868
.LBB632_837:                            ;   in Loop: Header=BB632_696 Depth=2
	ds_read_b32 v60, v72 offset:14336
	s_waitcnt lgkmcnt(0)
	v_lshrrev_b32_e32 v60, s85, v60
	v_and_b32_e32 v133, s94, v60
	s_or_b64 exec, exec, s[78:79]
	s_and_saveexec_b64 s[78:79], s[66:67]
	s_cbranch_execnz .LBB632_869
	s_branch .LBB632_870
.LBB632_838:                            ;   in Loop: Header=BB632_696 Depth=2
	s_or_b64 exec, exec, s[78:79]
	v_cmp_lt_u32_e32 vcc, v110, v151
	s_and_saveexec_b64 s[78:79], vcc
	s_cbranch_execz .LBB632_808
.LBB632_839:                            ;   in Loop: Header=BB632_696 Depth=2
	global_load_dwordx2 v[56:57], v[60:61], off offset:512
	s_or_b64 exec, exec, s[78:79]
	v_cmp_lt_u32_e32 vcc, v111, v151
	s_and_saveexec_b64 s[78:79], vcc
	s_cbranch_execnz .LBB632_809
.LBB632_840:                            ;   in Loop: Header=BB632_696 Depth=2
	s_or_b64 exec, exec, s[78:79]
	v_cmp_lt_u32_e32 vcc, v112, v151
	s_and_saveexec_b64 s[78:79], vcc
	s_cbranch_execz .LBB632_810
.LBB632_841:                            ;   in Loop: Header=BB632_696 Depth=2
	global_load_dwordx2 v[50:51], v[60:61], off offset:1536
	s_or_b64 exec, exec, s[78:79]
	v_cmp_lt_u32_e32 vcc, v113, v151
	s_and_saveexec_b64 s[78:79], vcc
	s_cbranch_execnz .LBB632_811
.LBB632_842:                            ;   in Loop: Header=BB632_696 Depth=2
	s_or_b64 exec, exec, s[78:79]
	v_cmp_lt_u32_e32 vcc, v114, v151
	s_and_saveexec_b64 s[78:79], vcc
	s_cbranch_execz .LBB632_812
.LBB632_843:                            ;   in Loop: Header=BB632_696 Depth=2
	global_load_dwordx2 v[42:43], v[60:61], off offset:2560
	s_or_b64 exec, exec, s[78:79]
	v_cmp_lt_u32_e32 vcc, v115, v151
	s_and_saveexec_b64 s[78:79], vcc
	s_cbranch_execnz .LBB632_813
.LBB632_844:                            ;   in Loop: Header=BB632_696 Depth=2
	s_or_b64 exec, exec, s[78:79]
	v_cmp_lt_u32_e32 vcc, v116, v151
	s_and_saveexec_b64 s[78:79], vcc
	s_cbranch_execz .LBB632_814
.LBB632_845:                            ;   in Loop: Header=BB632_696 Depth=2
	global_load_dwordx2 v[34:35], v[60:61], off offset:3584
	s_or_b64 exec, exec, s[78:79]
	v_cmp_lt_u32_e32 vcc, v117, v151
	s_and_saveexec_b64 s[78:79], vcc
	s_cbranch_execnz .LBB632_815
.LBB632_846:                            ;   in Loop: Header=BB632_696 Depth=2
	s_or_b64 exec, exec, s[78:79]
	v_cmp_lt_u32_e32 vcc, v118, v151
	s_and_saveexec_b64 s[78:79], vcc
	s_cbranch_execz .LBB632_816
.LBB632_847:                            ;   in Loop: Header=BB632_696 Depth=2
	v_add_co_u32_e32 v48, vcc, 0x1000, v60
	v_addc_co_u32_e32 v49, vcc, 0, v61, vcc
	global_load_dwordx2 v[48:49], v[48:49], off offset:512
	s_or_b64 exec, exec, s[78:79]
	v_cmp_lt_u32_e32 vcc, v119, v151
	s_and_saveexec_b64 s[78:79], vcc
	s_cbranch_execnz .LBB632_817
.LBB632_848:                            ;   in Loop: Header=BB632_696 Depth=2
	s_or_b64 exec, exec, s[78:79]
	v_cmp_lt_u32_e32 vcc, v120, v151
	s_and_saveexec_b64 s[78:79], vcc
	s_cbranch_execz .LBB632_818
.LBB632_849:                            ;   in Loop: Header=BB632_696 Depth=2
	v_add_co_u32_e32 v40, vcc, 0x1000, v60
	v_addc_co_u32_e32 v41, vcc, 0, v61, vcc
	global_load_dwordx2 v[40:41], v[40:41], off offset:1536
	s_or_b64 exec, exec, s[78:79]
	v_cmp_lt_u32_e32 vcc, v121, v151
	s_and_saveexec_b64 s[78:79], vcc
	s_cbranch_execnz .LBB632_819
.LBB632_850:                            ;   in Loop: Header=BB632_696 Depth=2
	s_or_b64 exec, exec, s[78:79]
	v_cmp_lt_u32_e32 vcc, v122, v151
	s_and_saveexec_b64 s[78:79], vcc
	s_cbranch_execz .LBB632_820
.LBB632_851:                            ;   in Loop: Header=BB632_696 Depth=2
	v_add_co_u32_e32 v32, vcc, 0x1000, v60
	v_addc_co_u32_e32 v33, vcc, 0, v61, vcc
	global_load_dwordx2 v[32:33], v[32:33], off offset:2560
	s_or_b64 exec, exec, s[78:79]
	v_cmp_lt_u32_e32 vcc, v123, v151
	s_and_saveexec_b64 s[78:79], vcc
	s_cbranch_execnz .LBB632_821
.LBB632_852:                            ;   in Loop: Header=BB632_696 Depth=2
	s_or_b64 exec, exec, s[78:79]
	v_cmp_lt_u32_e32 vcc, v124, v151
	s_and_saveexec_b64 s[78:79], vcc
	s_cbranch_execz .LBB632_822
.LBB632_853:                            ;   in Loop: Header=BB632_696 Depth=2
	v_add_co_u32_e32 v0, vcc, 0x1000, v60
	v_addc_co_u32_e32 v1, vcc, 0, v61, vcc
	global_load_dwordx2 v[0:1], v[0:1], off offset:3584
	s_or_b64 exec, exec, s[78:79]
	s_and_saveexec_b64 s[78:79], s[36:37]
	s_cbranch_execnz .LBB632_823
.LBB632_854:                            ;   in Loop: Header=BB632_696 Depth=2
	s_or_b64 exec, exec, s[78:79]
	s_and_saveexec_b64 s[78:79], s[38:39]
	s_cbranch_execz .LBB632_824
.LBB632_855:                            ;   in Loop: Header=BB632_696 Depth=2
	ds_read_b32 v60, v72 offset:1024
	s_waitcnt lgkmcnt(0)
	v_lshrrev_b32_e32 v60, s85, v60
	v_and_b32_e32 v147, s94, v60
	s_or_b64 exec, exec, s[78:79]
	s_and_saveexec_b64 s[78:79], s[40:41]
	s_cbranch_execnz .LBB632_825
.LBB632_856:                            ;   in Loop: Header=BB632_696 Depth=2
	s_or_b64 exec, exec, s[78:79]
	s_and_saveexec_b64 s[78:79], s[42:43]
	s_cbranch_execz .LBB632_826
.LBB632_857:                            ;   in Loop: Header=BB632_696 Depth=2
	ds_read_b32 v60, v72 offset:3072
	s_waitcnt lgkmcnt(0)
	v_lshrrev_b32_e32 v60, s85, v60
	v_and_b32_e32 v144, s94, v60
	s_or_b64 exec, exec, s[78:79]
	s_and_saveexec_b64 s[78:79], s[44:45]
	s_cbranch_execnz .LBB632_827
.LBB632_858:                            ;   in Loop: Header=BB632_696 Depth=2
	s_or_b64 exec, exec, s[78:79]
	s_and_saveexec_b64 s[78:79], s[46:47]
	s_cbranch_execz .LBB632_828
.LBB632_859:                            ;   in Loop: Header=BB632_696 Depth=2
	ds_read_b32 v60, v72 offset:5120
	s_waitcnt lgkmcnt(0)
	v_lshrrev_b32_e32 v60, s85, v60
	v_and_b32_e32 v142, s94, v60
	s_or_b64 exec, exec, s[78:79]
	s_and_saveexec_b64 s[78:79], s[48:49]
	s_cbranch_execnz .LBB632_829
.LBB632_860:                            ;   in Loop: Header=BB632_696 Depth=2
	s_or_b64 exec, exec, s[78:79]
	s_and_saveexec_b64 s[78:79], s[50:51]
	s_cbranch_execz .LBB632_830
.LBB632_861:                            ;   in Loop: Header=BB632_696 Depth=2
	ds_read_b32 v60, v72 offset:7168
	s_waitcnt lgkmcnt(0)
	v_lshrrev_b32_e32 v60, s85, v60
	v_and_b32_e32 v140, s94, v60
	s_or_b64 exec, exec, s[78:79]
	s_and_saveexec_b64 s[78:79], s[52:53]
	s_cbranch_execnz .LBB632_831
.LBB632_862:                            ;   in Loop: Header=BB632_696 Depth=2
	s_or_b64 exec, exec, s[78:79]
	s_and_saveexec_b64 s[78:79], s[54:55]
	s_cbranch_execz .LBB632_832
.LBB632_863:                            ;   in Loop: Header=BB632_696 Depth=2
	ds_read_b32 v60, v72 offset:9216
	s_waitcnt lgkmcnt(0)
	v_lshrrev_b32_e32 v60, s85, v60
	v_and_b32_e32 v138, s94, v60
	s_or_b64 exec, exec, s[78:79]
	s_and_saveexec_b64 s[78:79], s[56:57]
	s_cbranch_execnz .LBB632_833
.LBB632_864:                            ;   in Loop: Header=BB632_696 Depth=2
	s_or_b64 exec, exec, s[78:79]
	s_and_saveexec_b64 s[78:79], s[58:59]
	s_cbranch_execz .LBB632_834
.LBB632_865:                            ;   in Loop: Header=BB632_696 Depth=2
	ds_read_b32 v60, v72 offset:11264
	s_waitcnt lgkmcnt(0)
	v_lshrrev_b32_e32 v60, s85, v60
	v_and_b32_e32 v136, s94, v60
	s_or_b64 exec, exec, s[78:79]
	s_and_saveexec_b64 s[78:79], s[60:61]
	s_cbranch_execnz .LBB632_835
.LBB632_866:                            ;   in Loop: Header=BB632_696 Depth=2
	s_or_b64 exec, exec, s[78:79]
	s_and_saveexec_b64 s[78:79], s[62:63]
	s_cbranch_execz .LBB632_836
.LBB632_867:                            ;   in Loop: Header=BB632_696 Depth=2
	ds_read_b32 v60, v72 offset:13312
	s_waitcnt lgkmcnt(0)
	v_lshrrev_b32_e32 v60, s85, v60
	v_and_b32_e32 v134, s94, v60
	s_or_b64 exec, exec, s[78:79]
	s_and_saveexec_b64 s[78:79], s[64:65]
	s_cbranch_execnz .LBB632_837
.LBB632_868:                            ;   in Loop: Header=BB632_696 Depth=2
	s_or_b64 exec, exec, s[78:79]
	s_and_saveexec_b64 s[78:79], s[66:67]
	s_cbranch_execz .LBB632_870
.LBB632_869:                            ;   in Loop: Header=BB632_696 Depth=2
	ds_read_b32 v60, v72 offset:15360
	s_waitcnt lgkmcnt(0)
	v_lshrrev_b32_e32 v60, s85, v60
	v_and_b32_e32 v132, s94, v60
.LBB632_870:                            ;   in Loop: Header=BB632_696 Depth=2
	s_or_b64 exec, exec, s[78:79]
	v_lshlrev_b32_e32 v60, 3, v172
	s_barrier
	s_waitcnt vmcnt(0)
	ds_write_b64 v60, v[58:59] offset:1024
	v_lshlrev_b32_e32 v60, 3, v168
	ds_write_b64 v60, v[56:57] offset:1024
	v_lshlrev_b32_e32 v60, 3, v167
	;; [unrolled: 2-line block ×15, first 2 shown]
	ds_write_b64 v60, v[0:1] offset:1024
	s_waitcnt lgkmcnt(0)
	s_barrier
	s_and_saveexec_b64 s[78:79], s[36:37]
	s_cbranch_execz .LBB632_886
; %bb.871:                              ;   in Loop: Header=BB632_696 Depth=2
	v_lshlrev_b32_e32 v60, 2, v149
	ds_read_b32 v62, v60
	ds_read_b64 v[60:61], v73 offset:1024
	v_mov_b32_e32 v63, v4
	v_mov_b32_e32 v151, s81
	s_waitcnt lgkmcnt(1)
	v_add_u32_e32 v62, v62, v2
	v_lshlrev_b64 v[62:63], 3, v[62:63]
	v_add_co_u32_e32 v62, vcc, s80, v62
	v_addc_co_u32_e32 v63, vcc, v151, v63, vcc
	s_waitcnt lgkmcnt(0)
	global_store_dwordx2 v[62:63], v[60:61], off
	s_or_b64 exec, exec, s[78:79]
	s_and_saveexec_b64 s[36:37], s[38:39]
	s_cbranch_execnz .LBB632_887
.LBB632_872:                            ;   in Loop: Header=BB632_696 Depth=2
	s_or_b64 exec, exec, s[36:37]
	s_and_saveexec_b64 s[36:37], s[40:41]
	s_cbranch_execz .LBB632_888
.LBB632_873:                            ;   in Loop: Header=BB632_696 Depth=2
	v_lshlrev_b32_e32 v60, 2, v146
	ds_read_b32 v62, v60
	v_add_u32_e32 v60, v72, v3
	ds_read_b64 v[60:61], v60 offset:4096
	v_mov_b32_e32 v63, v4
	v_mov_b32_e32 v151, s81
	s_waitcnt lgkmcnt(1)
	v_add_u32_e32 v62, v62, v9
	v_lshlrev_b64 v[62:63], 3, v[62:63]
	v_add_co_u32_e32 v62, vcc, s80, v62
	v_addc_co_u32_e32 v63, vcc, v151, v63, vcc
	s_waitcnt lgkmcnt(0)
	global_store_dwordx2 v[62:63], v[60:61], off
	s_or_b64 exec, exec, s[36:37]
	s_and_saveexec_b64 s[36:37], s[42:43]
	s_cbranch_execnz .LBB632_889
.LBB632_874:                            ;   in Loop: Header=BB632_696 Depth=2
	s_or_b64 exec, exec, s[36:37]
	s_and_saveexec_b64 s[36:37], s[44:45]
	s_cbranch_execz .LBB632_890
.LBB632_875:                            ;   in Loop: Header=BB632_696 Depth=2
	v_lshlrev_b32_e32 v60, 2, v143
	ds_read_b32 v62, v60
	v_add_u32_e32 v60, v72, v3
	ds_read_b64 v[60:61], v60 offset:8192
	v_mov_b32_e32 v63, v4
	v_mov_b32_e32 v151, s81
	s_waitcnt lgkmcnt(1)
	v_add_u32_e32 v62, v62, v6
	v_lshlrev_b64 v[62:63], 3, v[62:63]
	v_add_co_u32_e32 v62, vcc, s80, v62
	v_addc_co_u32_e32 v63, vcc, v151, v63, vcc
	s_waitcnt lgkmcnt(0)
	global_store_dwordx2 v[62:63], v[60:61], off
	s_or_b64 exec, exec, s[36:37]
	s_and_saveexec_b64 s[36:37], s[46:47]
	s_cbranch_execnz .LBB632_891
.LBB632_876:                            ;   in Loop: Header=BB632_696 Depth=2
	s_or_b64 exec, exec, s[36:37]
	s_and_saveexec_b64 s[36:37], s[48:49]
	s_cbranch_execz .LBB632_892
.LBB632_877:                            ;   in Loop: Header=BB632_696 Depth=2
	v_lshlrev_b32_e32 v60, 2, v141
	ds_read_b32 v62, v60
	v_add_u32_e32 v60, v72, v3
	ds_read_b64 v[60:61], v60 offset:12288
	v_mov_b32_e32 v63, v4
	v_mov_b32_e32 v151, s81
	s_waitcnt lgkmcnt(1)
	v_add_u32_e32 v62, v62, v10
	v_lshlrev_b64 v[62:63], 3, v[62:63]
	v_add_co_u32_e32 v62, vcc, s80, v62
	v_addc_co_u32_e32 v63, vcc, v151, v63, vcc
	s_waitcnt lgkmcnt(0)
	global_store_dwordx2 v[62:63], v[60:61], off
	s_or_b64 exec, exec, s[36:37]
	s_and_saveexec_b64 s[36:37], s[50:51]
	s_cbranch_execnz .LBB632_893
.LBB632_878:                            ;   in Loop: Header=BB632_696 Depth=2
	s_or_b64 exec, exec, s[36:37]
	s_and_saveexec_b64 s[36:37], s[52:53]
	s_cbranch_execz .LBB632_894
.LBB632_879:                            ;   in Loop: Header=BB632_696 Depth=2
	v_lshlrev_b32_e32 v60, 2, v139
	ds_read_b32 v62, v60
	v_add_u32_e32 v60, v72, v3
	ds_read_b64 v[60:61], v60 offset:16384
	v_mov_b32_e32 v63, v4
	v_mov_b32_e32 v151, s81
	s_waitcnt lgkmcnt(1)
	v_add_u32_e32 v62, v62, v14
	v_lshlrev_b64 v[62:63], 3, v[62:63]
	v_add_co_u32_e32 v62, vcc, s80, v62
	v_addc_co_u32_e32 v63, vcc, v151, v63, vcc
	s_waitcnt lgkmcnt(0)
	global_store_dwordx2 v[62:63], v[60:61], off
	s_or_b64 exec, exec, s[36:37]
	s_and_saveexec_b64 s[36:37], s[54:55]
	s_cbranch_execnz .LBB632_895
.LBB632_880:                            ;   in Loop: Header=BB632_696 Depth=2
	s_or_b64 exec, exec, s[36:37]
	s_and_saveexec_b64 s[36:37], s[56:57]
	s_cbranch_execz .LBB632_896
.LBB632_881:                            ;   in Loop: Header=BB632_696 Depth=2
	v_lshlrev_b32_e32 v60, 2, v137
	ds_read_b32 v62, v60
	v_add_u32_e32 v60, v72, v3
	ds_read_b64 v[60:61], v60 offset:20480
	v_mov_b32_e32 v63, v4
	v_mov_b32_e32 v151, s81
	s_waitcnt lgkmcnt(1)
	v_add_u32_e32 v62, v62, v18
	v_lshlrev_b64 v[62:63], 3, v[62:63]
	v_add_co_u32_e32 v62, vcc, s80, v62
	v_addc_co_u32_e32 v63, vcc, v151, v63, vcc
	s_waitcnt lgkmcnt(0)
	global_store_dwordx2 v[62:63], v[60:61], off
	s_or_b64 exec, exec, s[36:37]
	s_and_saveexec_b64 s[36:37], s[58:59]
	s_cbranch_execnz .LBB632_897
.LBB632_882:                            ;   in Loop: Header=BB632_696 Depth=2
	s_or_b64 exec, exec, s[36:37]
	s_and_saveexec_b64 s[36:37], s[60:61]
	s_cbranch_execz .LBB632_898
.LBB632_883:                            ;   in Loop: Header=BB632_696 Depth=2
	v_lshlrev_b32_e32 v60, 2, v135
	ds_read_b32 v62, v60
	v_add_u32_e32 v60, v72, v3
	ds_read_b64 v[60:61], v60 offset:24576
	v_mov_b32_e32 v63, v4
	v_mov_b32_e32 v151, s81
	s_waitcnt lgkmcnt(1)
	v_add_u32_e32 v62, v62, v22
	v_lshlrev_b64 v[62:63], 3, v[62:63]
	v_add_co_u32_e32 v62, vcc, s80, v62
	v_addc_co_u32_e32 v63, vcc, v151, v63, vcc
	s_waitcnt lgkmcnt(0)
	global_store_dwordx2 v[62:63], v[60:61], off
	s_or_b64 exec, exec, s[36:37]
	s_and_saveexec_b64 s[36:37], s[62:63]
	s_cbranch_execnz .LBB632_899
.LBB632_884:                            ;   in Loop: Header=BB632_696 Depth=2
	s_or_b64 exec, exec, s[36:37]
	s_and_saveexec_b64 s[36:37], s[64:65]
	s_cbranch_execz .LBB632_900
.LBB632_885:                            ;   in Loop: Header=BB632_696 Depth=2
	v_lshlrev_b32_e32 v60, 2, v133
	ds_read_b32 v62, v60
	v_add_u32_e32 v60, v72, v3
	ds_read_b64 v[60:61], v60 offset:28672
	v_mov_b32_e32 v63, v4
	v_mov_b32_e32 v151, s81
	s_waitcnt lgkmcnt(1)
	v_add_u32_e32 v62, v62, v26
	v_lshlrev_b64 v[62:63], 3, v[62:63]
	v_add_co_u32_e32 v62, vcc, s80, v62
	v_addc_co_u32_e32 v63, vcc, v151, v63, vcc
	s_waitcnt lgkmcnt(0)
	global_store_dwordx2 v[62:63], v[60:61], off
	s_or_b64 exec, exec, s[36:37]
	s_and_saveexec_b64 s[36:37], s[66:67]
	s_cbranch_execnz .LBB632_901
	s_branch .LBB632_902
.LBB632_886:                            ;   in Loop: Header=BB632_696 Depth=2
	s_or_b64 exec, exec, s[78:79]
	s_and_saveexec_b64 s[36:37], s[38:39]
	s_cbranch_execz .LBB632_872
.LBB632_887:                            ;   in Loop: Header=BB632_696 Depth=2
	v_lshlrev_b32_e32 v60, 2, v147
	ds_read_b32 v62, v60
	v_add_u32_e32 v60, v72, v3
	ds_read_b64 v[60:61], v60 offset:2048
	v_mov_b32_e32 v63, v4
	v_mov_b32_e32 v151, s81
	s_waitcnt lgkmcnt(1)
	v_add_u32_e32 v62, v62, v7
	v_lshlrev_b64 v[62:63], 3, v[62:63]
	v_add_co_u32_e32 v62, vcc, s80, v62
	v_addc_co_u32_e32 v63, vcc, v151, v63, vcc
	s_waitcnt lgkmcnt(0)
	global_store_dwordx2 v[62:63], v[60:61], off
	s_or_b64 exec, exec, s[36:37]
	s_and_saveexec_b64 s[36:37], s[40:41]
	s_cbranch_execnz .LBB632_873
.LBB632_888:                            ;   in Loop: Header=BB632_696 Depth=2
	s_or_b64 exec, exec, s[36:37]
	s_and_saveexec_b64 s[36:37], s[42:43]
	s_cbranch_execz .LBB632_874
.LBB632_889:                            ;   in Loop: Header=BB632_696 Depth=2
	v_lshlrev_b32_e32 v60, 2, v144
	ds_read_b32 v62, v60
	v_add_u32_e32 v60, v72, v3
	ds_read_b64 v[60:61], v60 offset:6144
	v_mov_b32_e32 v63, v4
	v_mov_b32_e32 v151, s81
	s_waitcnt lgkmcnt(1)
	v_add_u32_e32 v62, v62, v11
	v_lshlrev_b64 v[62:63], 3, v[62:63]
	v_add_co_u32_e32 v62, vcc, s80, v62
	v_addc_co_u32_e32 v63, vcc, v151, v63, vcc
	s_waitcnt lgkmcnt(0)
	global_store_dwordx2 v[62:63], v[60:61], off
	s_or_b64 exec, exec, s[36:37]
	s_and_saveexec_b64 s[36:37], s[44:45]
	s_cbranch_execnz .LBB632_875
.LBB632_890:                            ;   in Loop: Header=BB632_696 Depth=2
	s_or_b64 exec, exec, s[36:37]
	s_and_saveexec_b64 s[36:37], s[46:47]
	s_cbranch_execz .LBB632_876
.LBB632_891:                            ;   in Loop: Header=BB632_696 Depth=2
	v_lshlrev_b32_e32 v60, 2, v142
	ds_read_b32 v62, v60
	v_add_u32_e32 v60, v72, v3
	ds_read_b64 v[60:61], v60 offset:10240
	v_mov_b32_e32 v63, v4
	v_mov_b32_e32 v151, s81
	s_waitcnt lgkmcnt(1)
	v_add_u32_e32 v62, v62, v8
	v_lshlrev_b64 v[62:63], 3, v[62:63]
	v_add_co_u32_e32 v62, vcc, s80, v62
	v_addc_co_u32_e32 v63, vcc, v151, v63, vcc
	s_waitcnt lgkmcnt(0)
	global_store_dwordx2 v[62:63], v[60:61], off
	s_or_b64 exec, exec, s[36:37]
	s_and_saveexec_b64 s[36:37], s[48:49]
	s_cbranch_execnz .LBB632_877
.LBB632_892:                            ;   in Loop: Header=BB632_696 Depth=2
	s_or_b64 exec, exec, s[36:37]
	s_and_saveexec_b64 s[36:37], s[50:51]
	s_cbranch_execz .LBB632_878
.LBB632_893:                            ;   in Loop: Header=BB632_696 Depth=2
	v_lshlrev_b32_e32 v60, 2, v140
	ds_read_b32 v62, v60
	v_add_u32_e32 v60, v72, v3
	ds_read_b64 v[60:61], v60 offset:14336
	v_mov_b32_e32 v63, v4
	v_mov_b32_e32 v151, s81
	s_waitcnt lgkmcnt(1)
	v_add_u32_e32 v62, v62, v12
	v_lshlrev_b64 v[62:63], 3, v[62:63]
	v_add_co_u32_e32 v62, vcc, s80, v62
	v_addc_co_u32_e32 v63, vcc, v151, v63, vcc
	s_waitcnt lgkmcnt(0)
	global_store_dwordx2 v[62:63], v[60:61], off
	s_or_b64 exec, exec, s[36:37]
	s_and_saveexec_b64 s[36:37], s[52:53]
	s_cbranch_execnz .LBB632_879
.LBB632_894:                            ;   in Loop: Header=BB632_696 Depth=2
	s_or_b64 exec, exec, s[36:37]
	s_and_saveexec_b64 s[36:37], s[54:55]
	s_cbranch_execz .LBB632_880
.LBB632_895:                            ;   in Loop: Header=BB632_696 Depth=2
	v_lshlrev_b32_e32 v60, 2, v138
	ds_read_b32 v62, v60
	v_add_u32_e32 v60, v72, v3
	ds_read_b64 v[60:61], v60 offset:18432
	v_mov_b32_e32 v63, v4
	v_mov_b32_e32 v151, s81
	s_waitcnt lgkmcnt(1)
	v_add_u32_e32 v62, v62, v16
	v_lshlrev_b64 v[62:63], 3, v[62:63]
	v_add_co_u32_e32 v62, vcc, s80, v62
	v_addc_co_u32_e32 v63, vcc, v151, v63, vcc
	s_waitcnt lgkmcnt(0)
	global_store_dwordx2 v[62:63], v[60:61], off
	s_or_b64 exec, exec, s[36:37]
	s_and_saveexec_b64 s[36:37], s[56:57]
	s_cbranch_execnz .LBB632_881
.LBB632_896:                            ;   in Loop: Header=BB632_696 Depth=2
	s_or_b64 exec, exec, s[36:37]
	s_and_saveexec_b64 s[36:37], s[58:59]
	s_cbranch_execz .LBB632_882
.LBB632_897:                            ;   in Loop: Header=BB632_696 Depth=2
	v_lshlrev_b32_e32 v60, 2, v136
	ds_read_b32 v62, v60
	v_add_u32_e32 v60, v72, v3
	ds_read_b64 v[60:61], v60 offset:22528
	v_mov_b32_e32 v63, v4
	v_mov_b32_e32 v151, s81
	s_waitcnt lgkmcnt(1)
	v_add_u32_e32 v62, v62, v20
	v_lshlrev_b64 v[62:63], 3, v[62:63]
	v_add_co_u32_e32 v62, vcc, s80, v62
	v_addc_co_u32_e32 v63, vcc, v151, v63, vcc
	s_waitcnt lgkmcnt(0)
	global_store_dwordx2 v[62:63], v[60:61], off
	s_or_b64 exec, exec, s[36:37]
	s_and_saveexec_b64 s[36:37], s[60:61]
	s_cbranch_execnz .LBB632_883
.LBB632_898:                            ;   in Loop: Header=BB632_696 Depth=2
	s_or_b64 exec, exec, s[36:37]
	s_and_saveexec_b64 s[36:37], s[62:63]
	s_cbranch_execz .LBB632_884
.LBB632_899:                            ;   in Loop: Header=BB632_696 Depth=2
	v_lshlrev_b32_e32 v60, 2, v134
	ds_read_b32 v62, v60
	v_add_u32_e32 v60, v72, v3
	ds_read_b64 v[60:61], v60 offset:26624
	v_mov_b32_e32 v63, v4
	v_mov_b32_e32 v151, s81
	s_waitcnt lgkmcnt(1)
	v_add_u32_e32 v62, v62, v24
	v_lshlrev_b64 v[62:63], 3, v[62:63]
	v_add_co_u32_e32 v62, vcc, s80, v62
	v_addc_co_u32_e32 v63, vcc, v151, v63, vcc
	s_waitcnt lgkmcnt(0)
	global_store_dwordx2 v[62:63], v[60:61], off
	s_or_b64 exec, exec, s[36:37]
	s_and_saveexec_b64 s[36:37], s[64:65]
	s_cbranch_execnz .LBB632_885
.LBB632_900:                            ;   in Loop: Header=BB632_696 Depth=2
	s_or_b64 exec, exec, s[36:37]
	s_and_saveexec_b64 s[36:37], s[66:67]
	s_cbranch_execz .LBB632_902
.LBB632_901:                            ;   in Loop: Header=BB632_696 Depth=2
	v_lshlrev_b32_e32 v60, 2, v132
	ds_read_b32 v62, v60
	v_add_u32_e32 v60, v72, v3
	ds_read_b64 v[60:61], v60 offset:30720
	v_mov_b32_e32 v63, v4
	v_mov_b32_e32 v151, s81
	s_waitcnt lgkmcnt(1)
	v_add_u32_e32 v62, v62, v28
	v_lshlrev_b64 v[62:63], 3, v[62:63]
	v_add_co_u32_e32 v62, vcc, s80, v62
	v_addc_co_u32_e32 v63, vcc, v151, v63, vcc
	s_waitcnt lgkmcnt(0)
	global_store_dwordx2 v[62:63], v[60:61], off
.LBB632_902:                            ;   in Loop: Header=BB632_696 Depth=2
	s_or_b64 exec, exec, s[36:37]
	s_barrier
	s_and_saveexec_b64 s[36:37], s[4:5]
	s_cbranch_execz .LBB632_695
; %bb.903:                              ;   in Loop: Header=BB632_696 Depth=2
	ds_read_b32 v60, v3
	s_waitcnt lgkmcnt(0)
	v_add_u32_e32 v5, v60, v5
	ds_write_b32 v3, v5
	s_branch .LBB632_695
.LBB632_904:                            ;   in Loop: Header=BB632_20 Depth=1
	s_waitcnt lgkmcnt(0)
	s_barrier
	s_mov_b64 s[16:17], 0
.LBB632_905:                            ;   in Loop: Header=BB632_20 Depth=1
	s_and_b64 vcc, exec, s[16:17]
	s_cbranch_vccz .LBB632_19
; %bb.906:                              ;   in Loop: Header=BB632_20 Depth=1
	s_mov_b32 s22, s87
	s_mov_b32 s88, s69
	s_barrier
	s_waitcnt lgkmcnt(0)
                                        ; implicit-def: $vgpr44
                                        ; implicit-def: $vgpr5
                                        ; implicit-def: $vgpr30
                                        ; implicit-def: $vgpr31
                                        ; implicit-def: $vgpr32
                                        ; implicit-def: $vgpr33
                                        ; implicit-def: $vgpr34
                                        ; implicit-def: $vgpr35
                                        ; implicit-def: $vgpr36
                                        ; implicit-def: $vgpr37
                                        ; implicit-def: $vgpr38
                                        ; implicit-def: $vgpr39
                                        ; implicit-def: $vgpr40
                                        ; implicit-def: $vgpr41
                                        ; implicit-def: $vgpr42
                                        ; implicit-def: $vgpr43
	s_branch .LBB632_908
.LBB632_907:                            ;   in Loop: Header=BB632_908 Depth=2
	s_or_b64 exec, exec, s[16:17]
	s_addk_i32 s22, 0xf000
	s_cmp_ge_u32 s23, s92
	s_mov_b32 s88, s23
	s_cbranch_scc1 .LBB632_978
.LBB632_908:                            ;   Parent Loop BB632_20 Depth=1
                                        ; =>  This Inner Loop Header: Depth=2
	s_add_i32 s23, s88, 0x1000
	s_cmp_gt_u32 s23, s92
	s_cbranch_scc1 .LBB632_911
; %bb.909:                              ;   in Loop: Header=BB632_908 Depth=2
	s_lshl_b64 s[16:17], s[88:89], 2
	v_mov_b32_e32 v1, s17
	v_add_co_u32_e32 v0, vcc, s16, v80
	v_addc_co_u32_e32 v1, vcc, v81, v1, vcc
	s_waitcnt vmcnt(6)
	v_add_co_u32_e32 v54, vcc, 0x1000, v0
	s_waitcnt vmcnt(5)
	v_addc_co_u32_e32 v55, vcc, 0, v1, vcc
	v_add_co_u32_e32 v62, vcc, s84, v0
	v_addc_co_u32_e32 v63, vcc, 0, v1, vcc
	global_load_dword v46, v[0:1], off
	global_load_dword v47, v[0:1], off offset:1024
	global_load_dword v48, v[0:1], off offset:2048
	;; [unrolled: 1-line block ×3, first 2 shown]
	global_load_dword v50, v[54:55], off
	global_load_dword v51, v[54:55], off offset:1024
	global_load_dword v52, v[54:55], off offset:2048
	;; [unrolled: 1-line block ×3, first 2 shown]
	v_add_co_u32_e32 v128, vcc, 0x3000, v0
	v_addc_co_u32_e32 v129, vcc, 0, v1, vcc
	global_load_dword v54, v[62:63], off
	global_load_dword v55, v[62:63], off offset:1024
	global_load_dword v56, v[62:63], off offset:2048
	;; [unrolled: 1-line block ×3, first 2 shown]
	global_load_dword v58, v[128:129], off
	global_load_dword v59, v[128:129], off offset:1024
	global_load_dword v60, v[128:129], off offset:2048
	v_add_co_u32_e32 v0, vcc, 0x3c00, v0
	s_movk_i32 s24, 0x1000
	v_addc_co_u32_e32 v1, vcc, 0, v1, vcc
	s_mov_b64 s[16:17], -1
	s_cbranch_execz .LBB632_912
; %bb.910:                              ;   in Loop: Header=BB632_908 Depth=2
                                        ; implicit-def: $vgpr43
                                        ; implicit-def: $vgpr42
                                        ; implicit-def: $vgpr41
                                        ; implicit-def: $vgpr40
                                        ; implicit-def: $vgpr39
                                        ; implicit-def: $vgpr38
                                        ; implicit-def: $vgpr37
                                        ; implicit-def: $vgpr36
                                        ; implicit-def: $vgpr35
                                        ; implicit-def: $vgpr34
                                        ; implicit-def: $vgpr33
                                        ; implicit-def: $vgpr32
                                        ; implicit-def: $vgpr31
                                        ; implicit-def: $vgpr30
                                        ; implicit-def: $vgpr5
                                        ; implicit-def: $vgpr44
	v_mov_b32_e32 v45, s22
	s_and_saveexec_b64 s[18:19], s[16:17]
	s_cbranch_execnz .LBB632_931
	s_branch .LBB632_932
.LBB632_911:                            ;   in Loop: Header=BB632_908 Depth=2
	s_mov_b64 s[16:17], 0
                                        ; implicit-def: $sgpr24
                                        ; implicit-def: $vgpr46
                                        ; implicit-def: $vgpr47
                                        ; implicit-def: $vgpr48
                                        ; implicit-def: $vgpr49
                                        ; implicit-def: $vgpr50
                                        ; implicit-def: $vgpr51
                                        ; implicit-def: $vgpr52
                                        ; implicit-def: $vgpr53
                                        ; implicit-def: $vgpr54
                                        ; implicit-def: $vgpr55
                                        ; implicit-def: $vgpr56
                                        ; implicit-def: $vgpr57
                                        ; implicit-def: $vgpr58
                                        ; implicit-def: $vgpr59
                                        ; implicit-def: $vgpr60
                                        ; implicit-def: $vgpr0_vgpr1
.LBB632_912:                            ;   in Loop: Header=BB632_908 Depth=2
	s_lshl_b64 s[18:19], s[88:89], 2
	s_add_u32 s18, s72, s18
	s_addc_u32 s19, s73, s19
	v_cmp_gt_u32_e32 vcc, s22, v2
	s_and_saveexec_b64 s[20:21], vcc
	s_cbranch_execz .LBB632_964
; %bb.913:                              ;   in Loop: Header=BB632_908 Depth=2
	global_load_dword v43, v88, s[18:19]
	s_or_b64 exec, exec, s[20:21]
	v_cmp_gt_u32_e32 vcc, s22, v7
	s_and_saveexec_b64 s[20:21], vcc
	s_cbranch_execnz .LBB632_965
.LBB632_914:                            ;   in Loop: Header=BB632_908 Depth=2
	s_or_b64 exec, exec, s[20:21]
	v_cmp_gt_u32_e32 vcc, s22, v9
	s_and_saveexec_b64 s[20:21], vcc
	s_cbranch_execz .LBB632_966
.LBB632_915:                            ;   in Loop: Header=BB632_908 Depth=2
	global_load_dword v41, v88, s[18:19] offset:2048
	s_or_b64 exec, exec, s[20:21]
	v_cmp_gt_u32_e32 vcc, s22, v11
	s_and_saveexec_b64 s[20:21], vcc
	s_cbranch_execnz .LBB632_967
.LBB632_916:                            ;   in Loop: Header=BB632_908 Depth=2
	s_or_b64 exec, exec, s[20:21]
	v_cmp_gt_u32_e32 vcc, s22, v6
	s_and_saveexec_b64 s[20:21], vcc
	s_cbranch_execz .LBB632_968
.LBB632_917:                            ;   in Loop: Header=BB632_908 Depth=2
	global_load_dword v39, v89, s[18:19]
	s_or_b64 exec, exec, s[20:21]
	v_cmp_gt_u32_e32 vcc, s22, v8
	s_and_saveexec_b64 s[20:21], vcc
	s_cbranch_execnz .LBB632_969
.LBB632_918:                            ;   in Loop: Header=BB632_908 Depth=2
	s_or_b64 exec, exec, s[20:21]
	v_cmp_gt_u32_e32 vcc, s22, v10
	s_and_saveexec_b64 s[20:21], vcc
	s_cbranch_execz .LBB632_970
.LBB632_919:                            ;   in Loop: Header=BB632_908 Depth=2
	global_load_dword v37, v91, s[18:19]
	s_or_b64 exec, exec, s[20:21]
	v_cmp_gt_u32_e32 vcc, s22, v12
	s_and_saveexec_b64 s[20:21], vcc
	s_cbranch_execnz .LBB632_971
.LBB632_920:                            ;   in Loop: Header=BB632_908 Depth=2
	s_or_b64 exec, exec, s[20:21]
	v_cmp_gt_u32_e32 vcc, s22, v14
	s_and_saveexec_b64 s[20:21], vcc
	s_cbranch_execz .LBB632_972
.LBB632_921:                            ;   in Loop: Header=BB632_908 Depth=2
	global_load_dword v35, v93, s[18:19]
	s_or_b64 exec, exec, s[20:21]
	v_cmp_gt_u32_e32 vcc, s22, v16
	s_and_saveexec_b64 s[20:21], vcc
	s_cbranch_execnz .LBB632_973
.LBB632_922:                            ;   in Loop: Header=BB632_908 Depth=2
	s_or_b64 exec, exec, s[20:21]
	v_cmp_gt_u32_e32 vcc, s22, v18
	s_and_saveexec_b64 s[20:21], vcc
	s_cbranch_execz .LBB632_974
.LBB632_923:                            ;   in Loop: Header=BB632_908 Depth=2
	global_load_dword v33, v95, s[18:19]
	s_or_b64 exec, exec, s[20:21]
	v_cmp_gt_u32_e32 vcc, s22, v20
	s_and_saveexec_b64 s[20:21], vcc
	s_cbranch_execnz .LBB632_975
.LBB632_924:                            ;   in Loop: Header=BB632_908 Depth=2
	s_or_b64 exec, exec, s[20:21]
	v_cmp_gt_u32_e32 vcc, s22, v22
	s_and_saveexec_b64 s[20:21], vcc
	s_cbranch_execz .LBB632_976
.LBB632_925:                            ;   in Loop: Header=BB632_908 Depth=2
	global_load_dword v31, v97, s[18:19]
	s_or_b64 exec, exec, s[20:21]
	v_cmp_gt_u32_e32 vcc, s22, v24
	s_and_saveexec_b64 s[20:21], vcc
	s_cbranch_execnz .LBB632_977
.LBB632_926:                            ;   in Loop: Header=BB632_908 Depth=2
	s_or_b64 exec, exec, s[20:21]
	v_cmp_gt_u32_e32 vcc, s22, v26
	s_and_saveexec_b64 s[20:21], vcc
	s_cbranch_execz .LBB632_928
.LBB632_927:                            ;   in Loop: Header=BB632_908 Depth=2
	global_load_dword v5, v99, s[18:19]
.LBB632_928:                            ;   in Loop: Header=BB632_908 Depth=2
	s_or_b64 exec, exec, s[20:21]
	v_cmp_gt_u32_e32 vcc, s22, v28
                                        ; implicit-def: $sgpr24
                                        ; implicit-def: $vgpr0_vgpr1
	s_and_saveexec_b64 s[20:21], vcc
; %bb.929:                              ;   in Loop: Header=BB632_908 Depth=2
	v_mov_b32_e32 v1, s19
	v_add_co_u32_e32 v0, vcc, s18, v100
	s_sub_i32 s24, s92, s88
	v_addc_co_u32_e32 v1, vcc, 0, v1, vcc
	s_or_b64 s[16:17], s[16:17], exec
                                        ; implicit-def: $vgpr44
; %bb.930:                              ;   in Loop: Header=BB632_908 Depth=2
	s_or_b64 exec, exec, s[20:21]
	s_waitcnt vmcnt(0)
	v_mov_b32_e32 v46, v43
	v_mov_b32_e32 v47, v42
	;; [unrolled: 1-line block ×16, first 2 shown]
	s_and_saveexec_b64 s[18:19], s[16:17]
	s_cbranch_execz .LBB632_932
.LBB632_931:                            ;   in Loop: Header=BB632_908 Depth=2
	global_load_dword v44, v[0:1], off
	v_mov_b32_e32 v45, s24
	s_waitcnt vmcnt(1)
	v_mov_b32_e32 v5, v60
	v_mov_b32_e32 v30, v59
	v_mov_b32_e32 v31, v58
	v_mov_b32_e32 v32, v57
	v_mov_b32_e32 v33, v56
	v_mov_b32_e32 v34, v55
	v_mov_b32_e32 v35, v54
	v_mov_b32_e32 v36, v53
	v_mov_b32_e32 v37, v52
	v_mov_b32_e32 v38, v51
	v_mov_b32_e32 v39, v50
	v_mov_b32_e32 v40, v49
	v_mov_b32_e32 v41, v48
	v_mov_b32_e32 v42, v47
	v_mov_b32_e32 v43, v46
.LBB632_932:                            ;   in Loop: Header=BB632_908 Depth=2
	s_or_b64 exec, exec, s[18:19]
	v_cmp_lt_u32_e32 vcc, v2, v45
	s_and_saveexec_b64 s[16:17], vcc
	s_cbranch_execz .LBB632_948
; %bb.933:                              ;   in Loop: Header=BB632_908 Depth=2
	v_xor_b32_e32 v0, 0x80000000, v43
	v_lshrrev_b32_e32 v0, s85, v0
	v_and_b32_e32 v0, s94, v0
	v_lshl_or_b32 v0, v0, 4, v86
	ds_add_u32 v0, v87
	s_or_b64 exec, exec, s[16:17]
	v_cmp_lt_u32_e32 vcc, v7, v45
	s_and_saveexec_b64 s[16:17], vcc
	s_cbranch_execnz .LBB632_949
.LBB632_934:                            ;   in Loop: Header=BB632_908 Depth=2
	s_or_b64 exec, exec, s[16:17]
	v_cmp_lt_u32_e32 vcc, v9, v45
	s_and_saveexec_b64 s[16:17], vcc
	s_cbranch_execz .LBB632_950
.LBB632_935:                            ;   in Loop: Header=BB632_908 Depth=2
	v_xor_b32_e32 v0, 0x80000000, v41
	v_lshrrev_b32_e32 v0, s85, v0
	v_and_b32_e32 v0, s94, v0
	v_lshl_or_b32 v0, v0, 4, v86
	ds_add_u32 v0, v87
	s_or_b64 exec, exec, s[16:17]
	v_cmp_lt_u32_e32 vcc, v11, v45
	s_and_saveexec_b64 s[16:17], vcc
	s_cbranch_execnz .LBB632_951
.LBB632_936:                            ;   in Loop: Header=BB632_908 Depth=2
	s_or_b64 exec, exec, s[16:17]
	v_cmp_lt_u32_e32 vcc, v6, v45
	s_and_saveexec_b64 s[16:17], vcc
	s_cbranch_execz .LBB632_952
.LBB632_937:                            ;   in Loop: Header=BB632_908 Depth=2
	v_xor_b32_e32 v0, 0x80000000, v39
	v_lshrrev_b32_e32 v0, s85, v0
	v_and_b32_e32 v0, s94, v0
	v_lshl_or_b32 v0, v0, 4, v86
	ds_add_u32 v0, v87
	s_or_b64 exec, exec, s[16:17]
	v_cmp_lt_u32_e32 vcc, v8, v45
	s_and_saveexec_b64 s[16:17], vcc
	s_cbranch_execnz .LBB632_953
.LBB632_938:                            ;   in Loop: Header=BB632_908 Depth=2
	s_or_b64 exec, exec, s[16:17]
	v_cmp_lt_u32_e32 vcc, v10, v45
	s_and_saveexec_b64 s[16:17], vcc
	s_cbranch_execz .LBB632_954
.LBB632_939:                            ;   in Loop: Header=BB632_908 Depth=2
	v_xor_b32_e32 v0, 0x80000000, v37
	v_lshrrev_b32_e32 v0, s85, v0
	v_and_b32_e32 v0, s94, v0
	v_lshl_or_b32 v0, v0, 4, v86
	ds_add_u32 v0, v87
	s_or_b64 exec, exec, s[16:17]
	v_cmp_lt_u32_e32 vcc, v12, v45
	s_and_saveexec_b64 s[16:17], vcc
	s_cbranch_execnz .LBB632_955
.LBB632_940:                            ;   in Loop: Header=BB632_908 Depth=2
	s_or_b64 exec, exec, s[16:17]
	v_cmp_lt_u32_e32 vcc, v14, v45
	s_and_saveexec_b64 s[16:17], vcc
	s_cbranch_execz .LBB632_956
.LBB632_941:                            ;   in Loop: Header=BB632_908 Depth=2
	v_xor_b32_e32 v0, 0x80000000, v35
	v_lshrrev_b32_e32 v0, s85, v0
	v_and_b32_e32 v0, s94, v0
	v_lshl_or_b32 v0, v0, 4, v86
	ds_add_u32 v0, v87
	s_or_b64 exec, exec, s[16:17]
	v_cmp_lt_u32_e32 vcc, v16, v45
	s_and_saveexec_b64 s[16:17], vcc
	s_cbranch_execnz .LBB632_957
.LBB632_942:                            ;   in Loop: Header=BB632_908 Depth=2
	s_or_b64 exec, exec, s[16:17]
	v_cmp_lt_u32_e32 vcc, v18, v45
	s_and_saveexec_b64 s[16:17], vcc
	s_cbranch_execz .LBB632_958
.LBB632_943:                            ;   in Loop: Header=BB632_908 Depth=2
	v_xor_b32_e32 v0, 0x80000000, v33
	v_lshrrev_b32_e32 v0, s85, v0
	v_and_b32_e32 v0, s94, v0
	v_lshl_or_b32 v0, v0, 4, v86
	ds_add_u32 v0, v87
	s_or_b64 exec, exec, s[16:17]
	v_cmp_lt_u32_e32 vcc, v20, v45
	s_and_saveexec_b64 s[16:17], vcc
	s_cbranch_execnz .LBB632_959
.LBB632_944:                            ;   in Loop: Header=BB632_908 Depth=2
	s_or_b64 exec, exec, s[16:17]
	v_cmp_lt_u32_e32 vcc, v22, v45
	s_and_saveexec_b64 s[16:17], vcc
	s_cbranch_execz .LBB632_960
.LBB632_945:                            ;   in Loop: Header=BB632_908 Depth=2
	v_xor_b32_e32 v0, 0x80000000, v31
	v_lshrrev_b32_e32 v0, s85, v0
	v_and_b32_e32 v0, s94, v0
	v_lshl_or_b32 v0, v0, 4, v86
	ds_add_u32 v0, v87
	s_or_b64 exec, exec, s[16:17]
	v_cmp_lt_u32_e32 vcc, v24, v45
	s_and_saveexec_b64 s[16:17], vcc
	s_cbranch_execnz .LBB632_961
.LBB632_946:                            ;   in Loop: Header=BB632_908 Depth=2
	s_or_b64 exec, exec, s[16:17]
	v_cmp_lt_u32_e32 vcc, v26, v45
	s_and_saveexec_b64 s[16:17], vcc
	s_cbranch_execz .LBB632_962
.LBB632_947:                            ;   in Loop: Header=BB632_908 Depth=2
	v_xor_b32_e32 v0, 0x80000000, v5
	v_lshrrev_b32_e32 v0, s85, v0
	v_and_b32_e32 v0, s94, v0
	v_lshl_or_b32 v0, v0, 4, v86
	ds_add_u32 v0, v87
	s_or_b64 exec, exec, s[16:17]
	v_cmp_lt_u32_e32 vcc, v28, v45
	s_and_saveexec_b64 s[16:17], vcc
	s_cbranch_execz .LBB632_907
	s_branch .LBB632_963
.LBB632_948:                            ;   in Loop: Header=BB632_908 Depth=2
	s_or_b64 exec, exec, s[16:17]
	v_cmp_lt_u32_e32 vcc, v7, v45
	s_and_saveexec_b64 s[16:17], vcc
	s_cbranch_execz .LBB632_934
.LBB632_949:                            ;   in Loop: Header=BB632_908 Depth=2
	v_xor_b32_e32 v0, 0x80000000, v42
	v_lshrrev_b32_e32 v0, s85, v0
	v_and_b32_e32 v0, s94, v0
	v_lshl_or_b32 v0, v0, 4, v86
	ds_add_u32 v0, v87
	s_or_b64 exec, exec, s[16:17]
	v_cmp_lt_u32_e32 vcc, v9, v45
	s_and_saveexec_b64 s[16:17], vcc
	s_cbranch_execnz .LBB632_935
.LBB632_950:                            ;   in Loop: Header=BB632_908 Depth=2
	s_or_b64 exec, exec, s[16:17]
	v_cmp_lt_u32_e32 vcc, v11, v45
	s_and_saveexec_b64 s[16:17], vcc
	s_cbranch_execz .LBB632_936
.LBB632_951:                            ;   in Loop: Header=BB632_908 Depth=2
	v_xor_b32_e32 v0, 0x80000000, v40
	v_lshrrev_b32_e32 v0, s85, v0
	v_and_b32_e32 v0, s94, v0
	v_lshl_or_b32 v0, v0, 4, v86
	ds_add_u32 v0, v87
	s_or_b64 exec, exec, s[16:17]
	v_cmp_lt_u32_e32 vcc, v6, v45
	s_and_saveexec_b64 s[16:17], vcc
	s_cbranch_execnz .LBB632_937
.LBB632_952:                            ;   in Loop: Header=BB632_908 Depth=2
	s_or_b64 exec, exec, s[16:17]
	v_cmp_lt_u32_e32 vcc, v8, v45
	s_and_saveexec_b64 s[16:17], vcc
	s_cbranch_execz .LBB632_938
.LBB632_953:                            ;   in Loop: Header=BB632_908 Depth=2
	v_xor_b32_e32 v0, 0x80000000, v38
	v_lshrrev_b32_e32 v0, s85, v0
	v_and_b32_e32 v0, s94, v0
	v_lshl_or_b32 v0, v0, 4, v86
	ds_add_u32 v0, v87
	s_or_b64 exec, exec, s[16:17]
	v_cmp_lt_u32_e32 vcc, v10, v45
	s_and_saveexec_b64 s[16:17], vcc
	s_cbranch_execnz .LBB632_939
.LBB632_954:                            ;   in Loop: Header=BB632_908 Depth=2
	s_or_b64 exec, exec, s[16:17]
	v_cmp_lt_u32_e32 vcc, v12, v45
	s_and_saveexec_b64 s[16:17], vcc
	s_cbranch_execz .LBB632_940
.LBB632_955:                            ;   in Loop: Header=BB632_908 Depth=2
	v_xor_b32_e32 v0, 0x80000000, v36
	v_lshrrev_b32_e32 v0, s85, v0
	v_and_b32_e32 v0, s94, v0
	v_lshl_or_b32 v0, v0, 4, v86
	ds_add_u32 v0, v87
	s_or_b64 exec, exec, s[16:17]
	v_cmp_lt_u32_e32 vcc, v14, v45
	s_and_saveexec_b64 s[16:17], vcc
	s_cbranch_execnz .LBB632_941
.LBB632_956:                            ;   in Loop: Header=BB632_908 Depth=2
	s_or_b64 exec, exec, s[16:17]
	v_cmp_lt_u32_e32 vcc, v16, v45
	s_and_saveexec_b64 s[16:17], vcc
	s_cbranch_execz .LBB632_942
.LBB632_957:                            ;   in Loop: Header=BB632_908 Depth=2
	v_xor_b32_e32 v0, 0x80000000, v34
	v_lshrrev_b32_e32 v0, s85, v0
	v_and_b32_e32 v0, s94, v0
	v_lshl_or_b32 v0, v0, 4, v86
	ds_add_u32 v0, v87
	s_or_b64 exec, exec, s[16:17]
	v_cmp_lt_u32_e32 vcc, v18, v45
	s_and_saveexec_b64 s[16:17], vcc
	s_cbranch_execnz .LBB632_943
.LBB632_958:                            ;   in Loop: Header=BB632_908 Depth=2
	s_or_b64 exec, exec, s[16:17]
	v_cmp_lt_u32_e32 vcc, v20, v45
	s_and_saveexec_b64 s[16:17], vcc
	s_cbranch_execz .LBB632_944
.LBB632_959:                            ;   in Loop: Header=BB632_908 Depth=2
	v_xor_b32_e32 v0, 0x80000000, v32
	v_lshrrev_b32_e32 v0, s85, v0
	v_and_b32_e32 v0, s94, v0
	v_lshl_or_b32 v0, v0, 4, v86
	ds_add_u32 v0, v87
	s_or_b64 exec, exec, s[16:17]
	v_cmp_lt_u32_e32 vcc, v22, v45
	s_and_saveexec_b64 s[16:17], vcc
	s_cbranch_execnz .LBB632_945
.LBB632_960:                            ;   in Loop: Header=BB632_908 Depth=2
	s_or_b64 exec, exec, s[16:17]
	v_cmp_lt_u32_e32 vcc, v24, v45
	s_and_saveexec_b64 s[16:17], vcc
	s_cbranch_execz .LBB632_946
.LBB632_961:                            ;   in Loop: Header=BB632_908 Depth=2
	v_xor_b32_e32 v0, 0x80000000, v30
	v_lshrrev_b32_e32 v0, s85, v0
	v_and_b32_e32 v0, s94, v0
	v_lshl_or_b32 v0, v0, 4, v86
	ds_add_u32 v0, v87
	s_or_b64 exec, exec, s[16:17]
	v_cmp_lt_u32_e32 vcc, v26, v45
	s_and_saveexec_b64 s[16:17], vcc
	s_cbranch_execnz .LBB632_947
.LBB632_962:                            ;   in Loop: Header=BB632_908 Depth=2
	s_or_b64 exec, exec, s[16:17]
	v_cmp_lt_u32_e32 vcc, v28, v45
	s_and_saveexec_b64 s[16:17], vcc
	s_cbranch_execz .LBB632_907
.LBB632_963:                            ;   in Loop: Header=BB632_908 Depth=2
	s_waitcnt vmcnt(0)
	v_xor_b32_e32 v0, 0x80000000, v44
	v_lshrrev_b32_e32 v0, s85, v0
	v_and_b32_e32 v0, s94, v0
	v_lshl_or_b32 v0, v0, 4, v86
	ds_add_u32 v0, v87
	s_branch .LBB632_907
.LBB632_964:                            ;   in Loop: Header=BB632_908 Depth=2
	s_or_b64 exec, exec, s[20:21]
	v_cmp_gt_u32_e32 vcc, s22, v7
	s_and_saveexec_b64 s[20:21], vcc
	s_cbranch_execz .LBB632_914
.LBB632_965:                            ;   in Loop: Header=BB632_908 Depth=2
	global_load_dword v42, v88, s[18:19] offset:1024
	s_or_b64 exec, exec, s[20:21]
	v_cmp_gt_u32_e32 vcc, s22, v9
	s_and_saveexec_b64 s[20:21], vcc
	s_cbranch_execnz .LBB632_915
.LBB632_966:                            ;   in Loop: Header=BB632_908 Depth=2
	s_or_b64 exec, exec, s[20:21]
	v_cmp_gt_u32_e32 vcc, s22, v11
	s_and_saveexec_b64 s[20:21], vcc
	s_cbranch_execz .LBB632_916
.LBB632_967:                            ;   in Loop: Header=BB632_908 Depth=2
	global_load_dword v40, v88, s[18:19] offset:3072
	s_or_b64 exec, exec, s[20:21]
	v_cmp_gt_u32_e32 vcc, s22, v6
	s_and_saveexec_b64 s[20:21], vcc
	s_cbranch_execnz .LBB632_917
.LBB632_968:                            ;   in Loop: Header=BB632_908 Depth=2
	s_or_b64 exec, exec, s[20:21]
	v_cmp_gt_u32_e32 vcc, s22, v8
	s_and_saveexec_b64 s[20:21], vcc
	s_cbranch_execz .LBB632_918
.LBB632_969:                            ;   in Loop: Header=BB632_908 Depth=2
	global_load_dword v38, v90, s[18:19]
	s_or_b64 exec, exec, s[20:21]
	v_cmp_gt_u32_e32 vcc, s22, v10
	s_and_saveexec_b64 s[20:21], vcc
	s_cbranch_execnz .LBB632_919
.LBB632_970:                            ;   in Loop: Header=BB632_908 Depth=2
	s_or_b64 exec, exec, s[20:21]
	v_cmp_gt_u32_e32 vcc, s22, v12
	s_and_saveexec_b64 s[20:21], vcc
	s_cbranch_execz .LBB632_920
.LBB632_971:                            ;   in Loop: Header=BB632_908 Depth=2
	global_load_dword v36, v92, s[18:19]
	s_or_b64 exec, exec, s[20:21]
	v_cmp_gt_u32_e32 vcc, s22, v14
	s_and_saveexec_b64 s[20:21], vcc
	s_cbranch_execnz .LBB632_921
.LBB632_972:                            ;   in Loop: Header=BB632_908 Depth=2
	s_or_b64 exec, exec, s[20:21]
	v_cmp_gt_u32_e32 vcc, s22, v16
	s_and_saveexec_b64 s[20:21], vcc
	s_cbranch_execz .LBB632_922
.LBB632_973:                            ;   in Loop: Header=BB632_908 Depth=2
	global_load_dword v34, v94, s[18:19]
	s_or_b64 exec, exec, s[20:21]
	v_cmp_gt_u32_e32 vcc, s22, v18
	s_and_saveexec_b64 s[20:21], vcc
	s_cbranch_execnz .LBB632_923
.LBB632_974:                            ;   in Loop: Header=BB632_908 Depth=2
	s_or_b64 exec, exec, s[20:21]
	v_cmp_gt_u32_e32 vcc, s22, v20
	s_and_saveexec_b64 s[20:21], vcc
	s_cbranch_execz .LBB632_924
.LBB632_975:                            ;   in Loop: Header=BB632_908 Depth=2
	global_load_dword v32, v96, s[18:19]
	s_or_b64 exec, exec, s[20:21]
	v_cmp_gt_u32_e32 vcc, s22, v22
	s_and_saveexec_b64 s[20:21], vcc
	s_cbranch_execnz .LBB632_925
.LBB632_976:                            ;   in Loop: Header=BB632_908 Depth=2
	s_or_b64 exec, exec, s[20:21]
	v_cmp_gt_u32_e32 vcc, s22, v24
	s_and_saveexec_b64 s[20:21], vcc
	s_cbranch_execz .LBB632_926
.LBB632_977:                            ;   in Loop: Header=BB632_908 Depth=2
	global_load_dword v30, v98, s[18:19]
	s_or_b64 exec, exec, s[20:21]
	v_cmp_gt_u32_e32 vcc, s22, v26
	s_and_saveexec_b64 s[20:21], vcc
	s_cbranch_execz .LBB632_928
	s_branch .LBB632_927
.LBB632_978:                            ;   in Loop: Header=BB632_20 Depth=1
	v_mov_b32_e32 v0, 0
	s_waitcnt lgkmcnt(0)
	s_barrier
	s_and_saveexec_b64 s[16:17], s[4:5]
	s_cbranch_execz .LBB632_980
; %bb.979:                              ;   in Loop: Header=BB632_20 Depth=1
	ds_read2_b64 v[30:33], v17 offset1:1
	s_waitcnt lgkmcnt(0)
	v_add_u32_e32 v0, v31, v30
	v_add3_u32 v0, v0, v32, v33
.LBB632_980:                            ;   in Loop: Header=BB632_20 Depth=1
	s_or_b64 exec, exec, s[16:17]
	s_nop 0
	v_mov_b32_dpp v1, v0 row_shr:1 row_mask:0xf bank_mask:0xf
	v_cmp_eq_u32_e64 s[16:17], 0, v102
	v_cndmask_b32_e64 v1, v1, 0, s[16:17]
	v_add_u32_e32 v0, v1, v0
	v_cmp_lt_u32_e64 s[18:19], 1, v102
	v_cmp_lt_u32_e64 s[20:21], 3, v102
	v_mov_b32_dpp v1, v0 row_shr:2 row_mask:0xf bank_mask:0xf
	v_cndmask_b32_e64 v1, 0, v1, s[18:19]
	v_add_u32_e32 v0, v0, v1
	v_cmp_lt_u32_e64 s[22:23], 7, v102
	v_cmp_lt_u32_e64 s[26:27], 31, v101
	v_mov_b32_dpp v1, v0 row_shr:4 row_mask:0xf bank_mask:0xf
	v_cndmask_b32_e64 v1, 0, v1, s[20:21]
	v_add_u32_e32 v0, v0, v1
	v_cmp_eq_u32_e64 s[24:25], 0, v104
	s_nop 0
	v_mov_b32_dpp v1, v0 row_shr:8 row_mask:0xf bank_mask:0xf
	v_cndmask_b32_e64 v1, 0, v1, s[22:23]
	v_add_u32_e32 v0, v0, v1
	s_nop 1
	v_mov_b32_dpp v1, v0 row_bcast:15 row_mask:0xf bank_mask:0xf
	v_and_b32_e32 v1, v103, v1
	v_add_u32_e32 v0, v0, v1
	s_nop 1
	v_mov_b32_dpp v1, v0 row_bcast:31 row_mask:0xf bank_mask:0xf
	v_cndmask_b32_e64 v1, 0, v1, s[26:27]
	v_add_u32_e32 v0, v0, v1
	s_and_saveexec_b64 s[28:29], s[6:7]
	s_cbranch_execz .LBB632_982
; %bb.981:                              ;   in Loop: Header=BB632_20 Depth=1
	ds_write_b32 v21, v0
.LBB632_982:                            ;   in Loop: Header=BB632_20 Depth=1
	s_or_b64 exec, exec, s[28:29]
	s_waitcnt lgkmcnt(0)
	s_barrier
	s_and_saveexec_b64 s[28:29], s[8:9]
	s_cbranch_execz .LBB632_984
; %bb.983:                              ;   in Loop: Header=BB632_20 Depth=1
	ds_read_b32 v1, v23
	v_cmp_ne_u32_e32 vcc, 0, v105
	s_waitcnt lgkmcnt(0)
	v_mov_b32_dpp v5, v1 row_shr:1 row_mask:0xf bank_mask:0xf
	v_cndmask_b32_e32 v5, 0, v5, vcc
	v_add_u32_e32 v1, v5, v1
	v_cmp_lt_u32_e32 vcc, 1, v105
	s_nop 0
	v_mov_b32_dpp v5, v1 row_shr:2 row_mask:0xf bank_mask:0xf
	v_cndmask_b32_e32 v5, 0, v5, vcc
	v_add_u32_e32 v1, v1, v5
	ds_write_b32 v23, v1
.LBB632_984:                            ;   in Loop: Header=BB632_20 Depth=1
	s_or_b64 exec, exec, s[28:29]
	v_mov_b32_e32 v1, 0
	s_waitcnt lgkmcnt(0)
	s_barrier
	s_and_saveexec_b64 s[28:29], s[10:11]
	s_cbranch_execz .LBB632_986
; %bb.985:                              ;   in Loop: Header=BB632_20 Depth=1
	ds_read_b32 v1, v25
.LBB632_986:                            ;   in Loop: Header=BB632_20 Depth=1
	s_or_b64 exec, exec, s[28:29]
	v_cmp_lt_i32_e32 vcc, v106, v107
	v_cndmask_b32_e32 v5, v106, v101, vcc
	s_waitcnt lgkmcnt(0)
	v_add_u32_e32 v0, v1, v0
	v_lshlrev_b32_e32 v127, 2, v5
	ds_bpermute_b32 v0, v127, v0
	v_cmp_eq_u32_e64 s[28:29], 0, v101
	s_waitcnt lgkmcnt(0)
	s_barrier
	s_and_saveexec_b64 s[30:31], s[4:5]
	s_cbranch_execz .LBB632_988
; %bb.987:                              ;   in Loop: Header=BB632_20 Depth=1
	v_cndmask_b32_e64 v0, v0, v1, s[28:29]
	v_add_u32_e32 v0, s69, v0
	ds_write_b32 v3, v0
.LBB632_988:                            ;   in Loop: Header=BB632_20 Depth=1
	s_or_b64 exec, exec, s[30:31]
	s_load_dwordx2 s[30:31], s[90:91], 0x0
	v_add_co_u32_e32 v128, vcc, v82, v108
	v_addc_co_u32_e32 v129, vcc, 0, v83, vcc
	s_waitcnt lgkmcnt(0)
	s_cmp_lt_u32 s68, s30
	s_cselect_b32 s34, 12, 18
	s_cmp_lt_u32 s33, s31
	s_cselect_b32 s30, 14, 20
	s_add_u32 s30, s90, s30
	s_addc_u32 s31, s91, 0
	s_add_u32 s34, s90, s34
	global_load_ushort v5, v4, s[30:31]
	s_addc_u32 s35, s91, 0
	global_load_ushort v60, v4, s[34:35]
	v_add_co_u32_e32 v130, vcc, v84, v125
	v_addc_co_u32_e32 v131, vcc, 0, v85, vcc
	v_add_co_u32_e32 v145, vcc, 0xf00, v130
	v_cmp_eq_u32_e64 s[30:31], 0, v105
	v_cmp_lt_u32_e64 s[34:35], 1, v105
	s_mov_b32 s95, s87
	v_addc_co_u32_e32 v148, vcc, 0, v131, vcc
	s_mov_b32 s88, s69
                                        ; implicit-def: $vgpr0_vgpr1
                                        ; implicit-def: $vgpr30_vgpr31
                                        ; implicit-def: $vgpr32_vgpr33
                                        ; implicit-def: $vgpr36_vgpr37
                                        ; implicit-def: $vgpr40_vgpr41
                                        ; implicit-def: $vgpr44_vgpr45
                                        ; implicit-def: $vgpr48_vgpr49
                                        ; implicit-def: $vgpr52_vgpr53
                                        ; implicit-def: $vgpr34_vgpr35
                                        ; implicit-def: $vgpr38_vgpr39
                                        ; implicit-def: $vgpr42_vgpr43
                                        ; implicit-def: $vgpr46_vgpr47
                                        ; implicit-def: $vgpr50_vgpr51
                                        ; implicit-def: $vgpr54_vgpr55
                                        ; implicit-def: $vgpr56_vgpr57
                                        ; implicit-def: $vgpr58_vgpr59
                                        ; implicit-def: $vgpr132
                                        ; implicit-def: $vgpr133
                                        ; implicit-def: $vgpr134
                                        ; implicit-def: $vgpr135
                                        ; implicit-def: $vgpr136
                                        ; implicit-def: $vgpr137
                                        ; implicit-def: $vgpr138
                                        ; implicit-def: $vgpr139
                                        ; implicit-def: $vgpr140
                                        ; implicit-def: $vgpr141
                                        ; implicit-def: $vgpr142
                                        ; implicit-def: $vgpr143
                                        ; implicit-def: $vgpr144
                                        ; implicit-def: $vgpr146
                                        ; implicit-def: $vgpr147
                                        ; implicit-def: $vgpr149
	s_waitcnt vmcnt(1)
	v_mad_u32_u24 v5, v27, v5, v29
	s_waitcnt vmcnt(0)
	v_mad_u64_u32 v[60:61], s[36:37], v5, v60, v[2:3]
	v_lshrrev_b32_e32 v150, 6, v60
	s_branch .LBB632_990
.LBB632_989:                            ;   in Loop: Header=BB632_990 Depth=2
	s_or_b64 exec, exec, s[36:37]
	s_addk_i32 s95, 0xf000
	s_cmp_lt_u32 s96, s92
	s_mov_b32 s88, s96
	s_cbranch_scc0 .LBB632_18
.LBB632_990:                            ;   Parent Loop BB632_20 Depth=1
                                        ; =>  This Inner Loop Header: Depth=2
	s_add_i32 s96, s88, 0x1000
	s_cmp_gt_u32 s96, s92
	s_cbranch_scc1 .LBB632_993
; %bb.991:                              ;   in Loop: Header=BB632_990 Depth=2
	s_lshl_b64 s[36:37], s[88:89], 2
	v_mov_b32_e32 v5, s37
	v_add_co_u32_e32 v60, vcc, s36, v130
	v_addc_co_u32_e32 v61, vcc, v131, v5, vcc
	global_load_dword v5, v[60:61], off
	global_load_dword v154, v[60:61], off offset:256
	global_load_dword v159, v[60:61], off offset:512
	global_load_dword v164, v[60:61], off offset:768
	global_load_dword v169, v[60:61], off offset:1024
	global_load_dword v174, v[60:61], off offset:1280
	global_load_dword v179, v[60:61], off offset:1536
	global_load_dword v184, v[60:61], off offset:1792
	global_load_dword v182, v[60:61], off offset:2048
	global_load_dword v177, v[60:61], off offset:2304
	global_load_dword v173, v[60:61], off offset:2560
	global_load_dword v168, v[60:61], off offset:2816
	global_load_dword v163, v[60:61], off offset:3072
	global_load_dword v158, v[60:61], off offset:3328
	global_load_dword v62, v[60:61], off offset:3584
	s_mov_b64 s[36:37], -1
	s_movk_i32 s40, 0x1000
	s_cbranch_execz .LBB632_994
; %bb.992:                              ;   in Loop: Header=BB632_990 Depth=2
                                        ; implicit-def: $sgpr38
	v_mov_b32_e32 v63, s38
	v_mov_b32_e32 v151, s95
	s_and_saveexec_b64 s[38:39], s[36:37]
	s_cbranch_execnz .LBB632_1025
	s_branch .LBB632_1026
.LBB632_993:                            ;   in Loop: Header=BB632_990 Depth=2
	s_mov_b64 s[36:37], 0
                                        ; implicit-def: $sgpr40
                                        ; implicit-def: $vgpr5
                                        ; implicit-def: $vgpr154
                                        ; implicit-def: $vgpr159
                                        ; implicit-def: $vgpr164
                                        ; implicit-def: $vgpr169
                                        ; implicit-def: $vgpr174
                                        ; implicit-def: $vgpr179
                                        ; implicit-def: $vgpr184
                                        ; implicit-def: $vgpr182
                                        ; implicit-def: $vgpr177
                                        ; implicit-def: $vgpr173
                                        ; implicit-def: $vgpr168
                                        ; implicit-def: $vgpr163
                                        ; implicit-def: $vgpr158
                                        ; implicit-def: $vgpr62
.LBB632_994:                            ;   in Loop: Header=BB632_990 Depth=2
	s_lshl_b64 s[36:37], s[88:89], 2
	s_waitcnt vmcnt(14)
	v_mov_b32_e32 v5, s37
	v_add_co_u32_e32 v60, vcc, s36, v130
	v_addc_co_u32_e32 v61, vcc, v131, v5, vcc
	v_cmp_gt_u32_e32 vcc, s95, v109
	s_waitcnt vmcnt(13)
	v_bfrev_b32_e32 v154, -2
	v_bfrev_b32_e32 v5, -2
	s_and_saveexec_b64 s[36:37], vcc
	s_cbranch_execz .LBB632_996
; %bb.995:                              ;   in Loop: Header=BB632_990 Depth=2
	global_load_dword v5, v[60:61], off
.LBB632_996:                            ;   in Loop: Header=BB632_990 Depth=2
	s_or_b64 exec, exec, s[36:37]
	v_cmp_gt_u32_e32 vcc, s95, v110
	s_and_saveexec_b64 s[36:37], vcc
	s_cbranch_execz .LBB632_998
; %bb.997:                              ;   in Loop: Header=BB632_990 Depth=2
	global_load_dword v154, v[60:61], off offset:256
.LBB632_998:                            ;   in Loop: Header=BB632_990 Depth=2
	s_or_b64 exec, exec, s[36:37]
	v_cmp_gt_u32_e32 vcc, s95, v111
	s_waitcnt vmcnt(11)
	v_bfrev_b32_e32 v164, -2
	v_bfrev_b32_e32 v159, -2
	s_and_saveexec_b64 s[36:37], vcc
	s_cbranch_execz .LBB632_1000
; %bb.999:                              ;   in Loop: Header=BB632_990 Depth=2
	global_load_dword v159, v[60:61], off offset:512
.LBB632_1000:                           ;   in Loop: Header=BB632_990 Depth=2
	s_or_b64 exec, exec, s[36:37]
	v_cmp_gt_u32_e32 vcc, s95, v112
	s_and_saveexec_b64 s[36:37], vcc
	s_cbranch_execz .LBB632_1002
; %bb.1001:                             ;   in Loop: Header=BB632_990 Depth=2
	global_load_dword v164, v[60:61], off offset:768
.LBB632_1002:                           ;   in Loop: Header=BB632_990 Depth=2
	s_or_b64 exec, exec, s[36:37]
	v_cmp_gt_u32_e32 vcc, s95, v113
	s_waitcnt vmcnt(9)
	v_bfrev_b32_e32 v174, -2
	v_bfrev_b32_e32 v169, -2
	s_and_saveexec_b64 s[36:37], vcc
	s_cbranch_execz .LBB632_1004
; %bb.1003:                             ;   in Loop: Header=BB632_990 Depth=2
	global_load_dword v169, v[60:61], off offset:1024
.LBB632_1004:                           ;   in Loop: Header=BB632_990 Depth=2
	s_or_b64 exec, exec, s[36:37]
	v_cmp_gt_u32_e32 vcc, s95, v114
	s_and_saveexec_b64 s[36:37], vcc
	s_cbranch_execz .LBB632_1006
; %bb.1005:                             ;   in Loop: Header=BB632_990 Depth=2
	global_load_dword v174, v[60:61], off offset:1280
.LBB632_1006:                           ;   in Loop: Header=BB632_990 Depth=2
	s_or_b64 exec, exec, s[36:37]
	v_cmp_gt_u32_e32 vcc, s95, v115
	s_waitcnt vmcnt(7)
	v_bfrev_b32_e32 v184, -2
	v_bfrev_b32_e32 v179, -2
	s_and_saveexec_b64 s[36:37], vcc
	s_cbranch_execz .LBB632_1008
; %bb.1007:                             ;   in Loop: Header=BB632_990 Depth=2
	global_load_dword v179, v[60:61], off offset:1536
.LBB632_1008:                           ;   in Loop: Header=BB632_990 Depth=2
	;; [unrolled: 17-line block ×5, first 2 shown]
	s_or_b64 exec, exec, s[36:37]
	v_cmp_gt_u32_e32 vcc, s95, v122
	s_and_saveexec_b64 s[36:37], vcc
	s_cbranch_execz .LBB632_1022
; %bb.1021:                             ;   in Loop: Header=BB632_990 Depth=2
	global_load_dword v158, v[60:61], off offset:3328
.LBB632_1022:                           ;   in Loop: Header=BB632_990 Depth=2
	s_or_b64 exec, exec, s[36:37]
	v_cmp_gt_u32_e32 vcc, s95, v123
	s_waitcnt vmcnt(0)
	v_bfrev_b32_e32 v62, -2
	s_and_saveexec_b64 s[36:37], vcc
	s_cbranch_execz .LBB632_1024
; %bb.1023:                             ;   in Loop: Header=BB632_990 Depth=2
	global_load_dword v62, v[60:61], off offset:3584
.LBB632_1024:                           ;   in Loop: Header=BB632_990 Depth=2
	s_or_b64 exec, exec, s[36:37]
	s_sub_i32 s40, s92, s88
	v_cmp_gt_u32_e64 s[36:37], s95, v124
	s_brev_b32 s38, -2
	v_mov_b32_e32 v63, s38
	v_mov_b32_e32 v151, s95
	s_and_saveexec_b64 s[38:39], s[36:37]
	s_cbranch_execz .LBB632_1026
.LBB632_1025:                           ;   in Loop: Header=BB632_990 Depth=2
	s_lshl_b64 s[36:37], s[88:89], 2
	v_mov_b32_e32 v61, s37
	v_add_co_u32_e32 v60, vcc, s36, v145
	v_addc_co_u32_e32 v61, vcc, v148, v61, vcc
	global_load_dword v63, v[60:61], off
	v_mov_b32_e32 v151, s40
.LBB632_1026:                           ;   in Loop: Header=BB632_990 Depth=2
	s_or_b64 exec, exec, s[38:39]
	s_waitcnt vmcnt(14)
	v_xor_b32_e32 v152, 0x80000000, v5
	v_lshrrev_b32_e32 v5, s85, v152
	v_and_b32_e32 v60, s94, v5
	v_mad_u32_u24 v5, v60, 5, v150
	v_lshl_add_u32 v153, v5, 2, v65
	v_and_b32_e32 v5, 1, v60
	v_add_co_u32_e32 v61, vcc, -1, v5
	v_addc_co_u32_e64 v155, s[36:37], 0, -1, vcc
	v_cmp_ne_u32_e32 vcc, 0, v5
	v_xor_b32_e32 v5, vcc_hi, v155
	v_and_b32_e32 v155, exec_hi, v5
	v_lshlrev_b32_e32 v5, 30, v60
	v_xor_b32_e32 v61, vcc_lo, v61
	v_cmp_gt_i64_e32 vcc, 0, v[4:5]
	v_not_b32_e32 v5, v5
	v_ashrrev_i32_e32 v5, 31, v5
	v_and_b32_e32 v61, exec_lo, v61
	v_xor_b32_e32 v156, vcc_hi, v5
	v_xor_b32_e32 v5, vcc_lo, v5
	v_and_b32_e32 v61, v61, v5
	v_lshlrev_b32_e32 v5, 29, v60
	v_cmp_gt_i64_e32 vcc, 0, v[4:5]
	v_not_b32_e32 v5, v5
	v_ashrrev_i32_e32 v5, 31, v5
	v_and_b32_e32 v155, v155, v156
	v_xor_b32_e32 v156, vcc_hi, v5
	v_xor_b32_e32 v5, vcc_lo, v5
	v_and_b32_e32 v61, v61, v5
	v_lshlrev_b32_e32 v5, 28, v60
	v_cmp_gt_i64_e32 vcc, 0, v[4:5]
	v_not_b32_e32 v5, v5
	v_ashrrev_i32_e32 v5, 31, v5
	v_and_b32_e32 v155, v155, v156
	;; [unrolled: 8-line block ×5, first 2 shown]
	v_xor_b32_e32 v156, vcc_hi, v5
	v_xor_b32_e32 v5, vcc_lo, v5
	v_and_b32_e32 v155, v155, v156
	v_and_b32_e32 v156, v61, v5
	v_lshlrev_b32_e32 v5, 24, v60
	v_cmp_gt_i64_e32 vcc, 0, v[4:5]
	v_not_b32_e32 v5, v5
	v_ashrrev_i32_e32 v5, 31, v5
	v_xor_b32_e32 v60, vcc_hi, v5
	v_xor_b32_e32 v5, vcc_lo, v5
	v_and_b32_e32 v61, v155, v60
	v_and_b32_e32 v60, v156, v5
	v_mbcnt_lo_u32_b32 v5, v60, 0
	v_mbcnt_hi_u32_b32 v155, v61, v5
	v_cmp_eq_u32_e32 vcc, 0, v155
	v_cmp_ne_u64_e64 s[36:37], 0, v[60:61]
	s_and_b64 s[38:39], s[36:37], vcc
	ds_write2_b32 v126, v4, v4 offset1:1
	ds_write2_b32 v66, v4, v4 offset0:2 offset1:3
	ds_write_b32 v66, v4 offset:16
	s_waitcnt lgkmcnt(0)
	s_barrier
	s_waitcnt lgkmcnt(0)
	; wave barrier
	s_and_saveexec_b64 s[36:37], s[38:39]
	s_cbranch_execz .LBB632_1028
; %bb.1027:                             ;   in Loop: Header=BB632_990 Depth=2
	v_bcnt_u32_b32 v5, v60, 0
	v_bcnt_u32_b32 v5, v61, v5
	ds_write_b32 v153, v5
.LBB632_1028:                           ;   in Loop: Header=BB632_990 Depth=2
	s_or_b64 exec, exec, s[36:37]
	s_waitcnt vmcnt(13)
	v_xor_b32_e32 v154, 0x80000000, v154
	v_lshrrev_b32_e32 v5, s85, v154
	v_and_b32_e32 v60, s94, v5
	v_mul_u32_u24_e32 v5, 5, v60
	v_add_lshl_u32 v5, v5, v150, 2
	; wave barrier
	v_add_u32_e32 v157, 0x410, v5
	ds_read_b32 v156, v5 offset:1040
	v_and_b32_e32 v5, 1, v60
	v_add_co_u32_e32 v61, vcc, -1, v5
	v_addc_co_u32_e64 v160, s[36:37], 0, -1, vcc
	v_cmp_ne_u32_e32 vcc, 0, v5
	v_xor_b32_e32 v5, vcc_hi, v160
	v_and_b32_e32 v160, exec_hi, v5
	v_lshlrev_b32_e32 v5, 30, v60
	v_xor_b32_e32 v61, vcc_lo, v61
	v_cmp_gt_i64_e32 vcc, 0, v[4:5]
	v_not_b32_e32 v5, v5
	v_ashrrev_i32_e32 v5, 31, v5
	v_and_b32_e32 v61, exec_lo, v61
	v_xor_b32_e32 v161, vcc_hi, v5
	v_xor_b32_e32 v5, vcc_lo, v5
	v_and_b32_e32 v61, v61, v5
	v_lshlrev_b32_e32 v5, 29, v60
	v_cmp_gt_i64_e32 vcc, 0, v[4:5]
	v_not_b32_e32 v5, v5
	v_ashrrev_i32_e32 v5, 31, v5
	v_and_b32_e32 v160, v160, v161
	v_xor_b32_e32 v161, vcc_hi, v5
	v_xor_b32_e32 v5, vcc_lo, v5
	v_and_b32_e32 v61, v61, v5
	v_lshlrev_b32_e32 v5, 28, v60
	v_cmp_gt_i64_e32 vcc, 0, v[4:5]
	v_not_b32_e32 v5, v5
	v_ashrrev_i32_e32 v5, 31, v5
	v_and_b32_e32 v160, v160, v161
	;; [unrolled: 8-line block ×5, first 2 shown]
	v_xor_b32_e32 v161, vcc_hi, v5
	v_xor_b32_e32 v5, vcc_lo, v5
	v_and_b32_e32 v160, v160, v161
	v_and_b32_e32 v161, v61, v5
	v_lshlrev_b32_e32 v5, 24, v60
	v_cmp_gt_i64_e32 vcc, 0, v[4:5]
	v_not_b32_e32 v5, v5
	v_ashrrev_i32_e32 v5, 31, v5
	v_xor_b32_e32 v60, vcc_hi, v5
	v_xor_b32_e32 v5, vcc_lo, v5
	v_and_b32_e32 v61, v160, v60
	v_and_b32_e32 v60, v161, v5
	v_mbcnt_lo_u32_b32 v5, v60, 0
	v_mbcnt_hi_u32_b32 v160, v61, v5
	v_cmp_eq_u32_e32 vcc, 0, v160
	v_cmp_ne_u64_e64 s[36:37], 0, v[60:61]
	s_and_b64 s[38:39], s[36:37], vcc
	; wave barrier
	s_and_saveexec_b64 s[36:37], s[38:39]
	s_cbranch_execz .LBB632_1030
; %bb.1029:                             ;   in Loop: Header=BB632_990 Depth=2
	v_bcnt_u32_b32 v5, v60, 0
	v_bcnt_u32_b32 v5, v61, v5
	s_waitcnt lgkmcnt(0)
	v_add_u32_e32 v5, v156, v5
	ds_write_b32 v157, v5
.LBB632_1030:                           ;   in Loop: Header=BB632_990 Depth=2
	s_or_b64 exec, exec, s[36:37]
	s_waitcnt vmcnt(12)
	v_xor_b32_e32 v159, 0x80000000, v159
	v_lshrrev_b32_e32 v5, s85, v159
	v_and_b32_e32 v60, s94, v5
	v_mul_u32_u24_e32 v5, 5, v60
	v_add_lshl_u32 v5, v5, v150, 2
	; wave barrier
	v_add_u32_e32 v162, 0x410, v5
	ds_read_b32 v161, v5 offset:1040
	v_and_b32_e32 v5, 1, v60
	v_add_co_u32_e32 v61, vcc, -1, v5
	v_addc_co_u32_e64 v165, s[36:37], 0, -1, vcc
	v_cmp_ne_u32_e32 vcc, 0, v5
	v_xor_b32_e32 v5, vcc_hi, v165
	v_and_b32_e32 v165, exec_hi, v5
	v_lshlrev_b32_e32 v5, 30, v60
	v_xor_b32_e32 v61, vcc_lo, v61
	v_cmp_gt_i64_e32 vcc, 0, v[4:5]
	v_not_b32_e32 v5, v5
	v_ashrrev_i32_e32 v5, 31, v5
	v_and_b32_e32 v61, exec_lo, v61
	v_xor_b32_e32 v166, vcc_hi, v5
	v_xor_b32_e32 v5, vcc_lo, v5
	v_and_b32_e32 v61, v61, v5
	v_lshlrev_b32_e32 v5, 29, v60
	v_cmp_gt_i64_e32 vcc, 0, v[4:5]
	v_not_b32_e32 v5, v5
	v_ashrrev_i32_e32 v5, 31, v5
	v_and_b32_e32 v165, v165, v166
	v_xor_b32_e32 v166, vcc_hi, v5
	v_xor_b32_e32 v5, vcc_lo, v5
	v_and_b32_e32 v61, v61, v5
	v_lshlrev_b32_e32 v5, 28, v60
	v_cmp_gt_i64_e32 vcc, 0, v[4:5]
	v_not_b32_e32 v5, v5
	v_ashrrev_i32_e32 v5, 31, v5
	v_and_b32_e32 v165, v165, v166
	;; [unrolled: 8-line block ×5, first 2 shown]
	v_xor_b32_e32 v166, vcc_hi, v5
	v_xor_b32_e32 v5, vcc_lo, v5
	v_and_b32_e32 v165, v165, v166
	v_and_b32_e32 v166, v61, v5
	v_lshlrev_b32_e32 v5, 24, v60
	v_cmp_gt_i64_e32 vcc, 0, v[4:5]
	v_not_b32_e32 v5, v5
	v_ashrrev_i32_e32 v5, 31, v5
	v_xor_b32_e32 v60, vcc_hi, v5
	v_xor_b32_e32 v5, vcc_lo, v5
	v_and_b32_e32 v61, v165, v60
	v_and_b32_e32 v60, v166, v5
	v_mbcnt_lo_u32_b32 v5, v60, 0
	v_mbcnt_hi_u32_b32 v165, v61, v5
	v_cmp_eq_u32_e32 vcc, 0, v165
	v_cmp_ne_u64_e64 s[36:37], 0, v[60:61]
	s_and_b64 s[38:39], s[36:37], vcc
	; wave barrier
	s_and_saveexec_b64 s[36:37], s[38:39]
	s_cbranch_execz .LBB632_1032
; %bb.1031:                             ;   in Loop: Header=BB632_990 Depth=2
	v_bcnt_u32_b32 v5, v60, 0
	v_bcnt_u32_b32 v5, v61, v5
	s_waitcnt lgkmcnt(0)
	v_add_u32_e32 v5, v161, v5
	ds_write_b32 v162, v5
.LBB632_1032:                           ;   in Loop: Header=BB632_990 Depth=2
	s_or_b64 exec, exec, s[36:37]
	s_waitcnt vmcnt(11)
	v_xor_b32_e32 v164, 0x80000000, v164
	v_lshrrev_b32_e32 v5, s85, v164
	v_and_b32_e32 v60, s94, v5
	v_mul_u32_u24_e32 v5, 5, v60
	v_add_lshl_u32 v5, v5, v150, 2
	; wave barrier
	v_add_u32_e32 v167, 0x410, v5
	ds_read_b32 v166, v5 offset:1040
	v_and_b32_e32 v5, 1, v60
	v_add_co_u32_e32 v61, vcc, -1, v5
	v_addc_co_u32_e64 v170, s[36:37], 0, -1, vcc
	v_cmp_ne_u32_e32 vcc, 0, v5
	v_xor_b32_e32 v5, vcc_hi, v170
	v_and_b32_e32 v170, exec_hi, v5
	v_lshlrev_b32_e32 v5, 30, v60
	v_xor_b32_e32 v61, vcc_lo, v61
	v_cmp_gt_i64_e32 vcc, 0, v[4:5]
	v_not_b32_e32 v5, v5
	v_ashrrev_i32_e32 v5, 31, v5
	v_and_b32_e32 v61, exec_lo, v61
	v_xor_b32_e32 v171, vcc_hi, v5
	v_xor_b32_e32 v5, vcc_lo, v5
	v_and_b32_e32 v61, v61, v5
	v_lshlrev_b32_e32 v5, 29, v60
	v_cmp_gt_i64_e32 vcc, 0, v[4:5]
	v_not_b32_e32 v5, v5
	v_ashrrev_i32_e32 v5, 31, v5
	v_and_b32_e32 v170, v170, v171
	v_xor_b32_e32 v171, vcc_hi, v5
	v_xor_b32_e32 v5, vcc_lo, v5
	v_and_b32_e32 v61, v61, v5
	v_lshlrev_b32_e32 v5, 28, v60
	v_cmp_gt_i64_e32 vcc, 0, v[4:5]
	v_not_b32_e32 v5, v5
	v_ashrrev_i32_e32 v5, 31, v5
	v_and_b32_e32 v170, v170, v171
	;; [unrolled: 8-line block ×5, first 2 shown]
	v_xor_b32_e32 v171, vcc_hi, v5
	v_xor_b32_e32 v5, vcc_lo, v5
	v_and_b32_e32 v170, v170, v171
	v_and_b32_e32 v171, v61, v5
	v_lshlrev_b32_e32 v5, 24, v60
	v_cmp_gt_i64_e32 vcc, 0, v[4:5]
	v_not_b32_e32 v5, v5
	v_ashrrev_i32_e32 v5, 31, v5
	v_xor_b32_e32 v60, vcc_hi, v5
	v_xor_b32_e32 v5, vcc_lo, v5
	v_and_b32_e32 v61, v170, v60
	v_and_b32_e32 v60, v171, v5
	v_mbcnt_lo_u32_b32 v5, v60, 0
	v_mbcnt_hi_u32_b32 v170, v61, v5
	v_cmp_eq_u32_e32 vcc, 0, v170
	v_cmp_ne_u64_e64 s[36:37], 0, v[60:61]
	s_and_b64 s[38:39], s[36:37], vcc
	; wave barrier
	s_and_saveexec_b64 s[36:37], s[38:39]
	s_cbranch_execz .LBB632_1034
; %bb.1033:                             ;   in Loop: Header=BB632_990 Depth=2
	v_bcnt_u32_b32 v5, v60, 0
	v_bcnt_u32_b32 v5, v61, v5
	s_waitcnt lgkmcnt(0)
	v_add_u32_e32 v5, v166, v5
	ds_write_b32 v167, v5
.LBB632_1034:                           ;   in Loop: Header=BB632_990 Depth=2
	s_or_b64 exec, exec, s[36:37]
	s_waitcnt vmcnt(10)
	v_xor_b32_e32 v169, 0x80000000, v169
	v_lshrrev_b32_e32 v5, s85, v169
	v_and_b32_e32 v60, s94, v5
	v_mul_u32_u24_e32 v5, 5, v60
	v_add_lshl_u32 v5, v5, v150, 2
	; wave barrier
	v_add_u32_e32 v172, 0x410, v5
	ds_read_b32 v171, v5 offset:1040
	v_and_b32_e32 v5, 1, v60
	v_add_co_u32_e32 v61, vcc, -1, v5
	v_addc_co_u32_e64 v175, s[36:37], 0, -1, vcc
	v_cmp_ne_u32_e32 vcc, 0, v5
	v_xor_b32_e32 v5, vcc_hi, v175
	v_and_b32_e32 v175, exec_hi, v5
	v_lshlrev_b32_e32 v5, 30, v60
	v_xor_b32_e32 v61, vcc_lo, v61
	v_cmp_gt_i64_e32 vcc, 0, v[4:5]
	v_not_b32_e32 v5, v5
	v_ashrrev_i32_e32 v5, 31, v5
	v_and_b32_e32 v61, exec_lo, v61
	v_xor_b32_e32 v176, vcc_hi, v5
	v_xor_b32_e32 v5, vcc_lo, v5
	v_and_b32_e32 v61, v61, v5
	v_lshlrev_b32_e32 v5, 29, v60
	v_cmp_gt_i64_e32 vcc, 0, v[4:5]
	v_not_b32_e32 v5, v5
	v_ashrrev_i32_e32 v5, 31, v5
	v_and_b32_e32 v175, v175, v176
	v_xor_b32_e32 v176, vcc_hi, v5
	v_xor_b32_e32 v5, vcc_lo, v5
	v_and_b32_e32 v61, v61, v5
	v_lshlrev_b32_e32 v5, 28, v60
	v_cmp_gt_i64_e32 vcc, 0, v[4:5]
	v_not_b32_e32 v5, v5
	v_ashrrev_i32_e32 v5, 31, v5
	v_and_b32_e32 v175, v175, v176
	v_xor_b32_e32 v176, vcc_hi, v5
	v_xor_b32_e32 v5, vcc_lo, v5
	v_and_b32_e32 v61, v61, v5
	v_lshlrev_b32_e32 v5, 27, v60
	v_cmp_gt_i64_e32 vcc, 0, v[4:5]
	v_not_b32_e32 v5, v5
	v_ashrrev_i32_e32 v5, 31, v5
	v_and_b32_e32 v175, v175, v176
	v_xor_b32_e32 v176, vcc_hi, v5
	v_xor_b32_e32 v5, vcc_lo, v5
	v_and_b32_e32 v61, v61, v5
	v_lshlrev_b32_e32 v5, 26, v60
	v_cmp_gt_i64_e32 vcc, 0, v[4:5]
	v_not_b32_e32 v5, v5
	v_ashrrev_i32_e32 v5, 31, v5
	v_and_b32_e32 v175, v175, v176
	v_xor_b32_e32 v176, vcc_hi, v5
	v_xor_b32_e32 v5, vcc_lo, v5
	v_and_b32_e32 v61, v61, v5
	v_lshlrev_b32_e32 v5, 25, v60
	v_cmp_gt_i64_e32 vcc, 0, v[4:5]
	v_not_b32_e32 v5, v5
	v_ashrrev_i32_e32 v5, 31, v5
	v_and_b32_e32 v175, v175, v176
	v_xor_b32_e32 v176, vcc_hi, v5
	v_xor_b32_e32 v5, vcc_lo, v5
	v_and_b32_e32 v175, v175, v176
	v_and_b32_e32 v176, v61, v5
	v_lshlrev_b32_e32 v5, 24, v60
	v_cmp_gt_i64_e32 vcc, 0, v[4:5]
	v_not_b32_e32 v5, v5
	v_ashrrev_i32_e32 v5, 31, v5
	v_xor_b32_e32 v60, vcc_hi, v5
	v_xor_b32_e32 v5, vcc_lo, v5
	v_and_b32_e32 v61, v175, v60
	v_and_b32_e32 v60, v176, v5
	v_mbcnt_lo_u32_b32 v5, v60, 0
	v_mbcnt_hi_u32_b32 v175, v61, v5
	v_cmp_eq_u32_e32 vcc, 0, v175
	v_cmp_ne_u64_e64 s[36:37], 0, v[60:61]
	s_and_b64 s[38:39], s[36:37], vcc
	; wave barrier
	s_and_saveexec_b64 s[36:37], s[38:39]
	s_cbranch_execz .LBB632_1036
; %bb.1035:                             ;   in Loop: Header=BB632_990 Depth=2
	v_bcnt_u32_b32 v5, v60, 0
	v_bcnt_u32_b32 v5, v61, v5
	s_waitcnt lgkmcnt(0)
	v_add_u32_e32 v5, v171, v5
	ds_write_b32 v172, v5
.LBB632_1036:                           ;   in Loop: Header=BB632_990 Depth=2
	s_or_b64 exec, exec, s[36:37]
	s_waitcnt vmcnt(9)
	v_xor_b32_e32 v174, 0x80000000, v174
	v_lshrrev_b32_e32 v5, s85, v174
	v_and_b32_e32 v60, s94, v5
	v_mul_u32_u24_e32 v5, 5, v60
	v_add_lshl_u32 v5, v5, v150, 2
	; wave barrier
	v_add_u32_e32 v178, 0x410, v5
	ds_read_b32 v176, v5 offset:1040
	v_and_b32_e32 v5, 1, v60
	v_add_co_u32_e32 v61, vcc, -1, v5
	v_addc_co_u32_e64 v180, s[36:37], 0, -1, vcc
	v_cmp_ne_u32_e32 vcc, 0, v5
	v_xor_b32_e32 v5, vcc_hi, v180
	v_and_b32_e32 v180, exec_hi, v5
	v_lshlrev_b32_e32 v5, 30, v60
	v_xor_b32_e32 v61, vcc_lo, v61
	v_cmp_gt_i64_e32 vcc, 0, v[4:5]
	v_not_b32_e32 v5, v5
	v_ashrrev_i32_e32 v5, 31, v5
	v_and_b32_e32 v61, exec_lo, v61
	v_xor_b32_e32 v181, vcc_hi, v5
	v_xor_b32_e32 v5, vcc_lo, v5
	v_and_b32_e32 v61, v61, v5
	v_lshlrev_b32_e32 v5, 29, v60
	v_cmp_gt_i64_e32 vcc, 0, v[4:5]
	v_not_b32_e32 v5, v5
	v_ashrrev_i32_e32 v5, 31, v5
	v_and_b32_e32 v180, v180, v181
	v_xor_b32_e32 v181, vcc_hi, v5
	v_xor_b32_e32 v5, vcc_lo, v5
	v_and_b32_e32 v61, v61, v5
	v_lshlrev_b32_e32 v5, 28, v60
	v_cmp_gt_i64_e32 vcc, 0, v[4:5]
	v_not_b32_e32 v5, v5
	v_ashrrev_i32_e32 v5, 31, v5
	v_and_b32_e32 v180, v180, v181
	;; [unrolled: 8-line block ×5, first 2 shown]
	v_xor_b32_e32 v181, vcc_hi, v5
	v_xor_b32_e32 v5, vcc_lo, v5
	v_and_b32_e32 v180, v180, v181
	v_and_b32_e32 v181, v61, v5
	v_lshlrev_b32_e32 v5, 24, v60
	v_cmp_gt_i64_e32 vcc, 0, v[4:5]
	v_not_b32_e32 v5, v5
	v_ashrrev_i32_e32 v5, 31, v5
	v_xor_b32_e32 v60, vcc_hi, v5
	v_xor_b32_e32 v5, vcc_lo, v5
	v_and_b32_e32 v61, v180, v60
	v_and_b32_e32 v60, v181, v5
	v_mbcnt_lo_u32_b32 v5, v60, 0
	v_mbcnt_hi_u32_b32 v180, v61, v5
	v_cmp_eq_u32_e32 vcc, 0, v180
	v_cmp_ne_u64_e64 s[36:37], 0, v[60:61]
	s_and_b64 s[38:39], s[36:37], vcc
	; wave barrier
	s_and_saveexec_b64 s[36:37], s[38:39]
	s_cbranch_execz .LBB632_1038
; %bb.1037:                             ;   in Loop: Header=BB632_990 Depth=2
	v_bcnt_u32_b32 v5, v60, 0
	v_bcnt_u32_b32 v5, v61, v5
	s_waitcnt lgkmcnt(0)
	v_add_u32_e32 v5, v176, v5
	ds_write_b32 v178, v5
.LBB632_1038:                           ;   in Loop: Header=BB632_990 Depth=2
	s_or_b64 exec, exec, s[36:37]
	s_waitcnt vmcnt(8)
	v_xor_b32_e32 v179, 0x80000000, v179
	v_lshrrev_b32_e32 v5, s85, v179
	v_and_b32_e32 v60, s94, v5
	v_mul_u32_u24_e32 v5, 5, v60
	v_add_lshl_u32 v5, v5, v150, 2
	; wave barrier
	v_add_u32_e32 v183, 0x410, v5
	ds_read_b32 v181, v5 offset:1040
	v_and_b32_e32 v5, 1, v60
	v_add_co_u32_e32 v61, vcc, -1, v5
	v_addc_co_u32_e64 v185, s[36:37], 0, -1, vcc
	v_cmp_ne_u32_e32 vcc, 0, v5
	v_xor_b32_e32 v5, vcc_hi, v185
	v_and_b32_e32 v185, exec_hi, v5
	v_lshlrev_b32_e32 v5, 30, v60
	v_xor_b32_e32 v61, vcc_lo, v61
	v_cmp_gt_i64_e32 vcc, 0, v[4:5]
	v_not_b32_e32 v5, v5
	v_ashrrev_i32_e32 v5, 31, v5
	v_and_b32_e32 v61, exec_lo, v61
	v_xor_b32_e32 v186, vcc_hi, v5
	v_xor_b32_e32 v5, vcc_lo, v5
	v_and_b32_e32 v61, v61, v5
	v_lshlrev_b32_e32 v5, 29, v60
	v_cmp_gt_i64_e32 vcc, 0, v[4:5]
	v_not_b32_e32 v5, v5
	v_ashrrev_i32_e32 v5, 31, v5
	v_and_b32_e32 v185, v185, v186
	v_xor_b32_e32 v186, vcc_hi, v5
	v_xor_b32_e32 v5, vcc_lo, v5
	v_and_b32_e32 v61, v61, v5
	v_lshlrev_b32_e32 v5, 28, v60
	v_cmp_gt_i64_e32 vcc, 0, v[4:5]
	v_not_b32_e32 v5, v5
	v_ashrrev_i32_e32 v5, 31, v5
	v_and_b32_e32 v185, v185, v186
	;; [unrolled: 8-line block ×5, first 2 shown]
	v_xor_b32_e32 v186, vcc_hi, v5
	v_xor_b32_e32 v5, vcc_lo, v5
	v_and_b32_e32 v185, v185, v186
	v_and_b32_e32 v186, v61, v5
	v_lshlrev_b32_e32 v5, 24, v60
	v_cmp_gt_i64_e32 vcc, 0, v[4:5]
	v_not_b32_e32 v5, v5
	v_ashrrev_i32_e32 v5, 31, v5
	v_xor_b32_e32 v60, vcc_hi, v5
	v_xor_b32_e32 v5, vcc_lo, v5
	v_and_b32_e32 v61, v185, v60
	v_and_b32_e32 v60, v186, v5
	v_mbcnt_lo_u32_b32 v5, v60, 0
	v_mbcnt_hi_u32_b32 v185, v61, v5
	v_cmp_eq_u32_e32 vcc, 0, v185
	v_cmp_ne_u64_e64 s[36:37], 0, v[60:61]
	s_and_b64 s[38:39], s[36:37], vcc
	; wave barrier
	s_and_saveexec_b64 s[36:37], s[38:39]
	s_cbranch_execz .LBB632_1040
; %bb.1039:                             ;   in Loop: Header=BB632_990 Depth=2
	v_bcnt_u32_b32 v5, v60, 0
	v_bcnt_u32_b32 v5, v61, v5
	s_waitcnt lgkmcnt(0)
	v_add_u32_e32 v5, v181, v5
	ds_write_b32 v183, v5
.LBB632_1040:                           ;   in Loop: Header=BB632_990 Depth=2
	s_or_b64 exec, exec, s[36:37]
	s_waitcnt vmcnt(7)
	v_xor_b32_e32 v184, 0x80000000, v184
	v_lshrrev_b32_e32 v5, s85, v184
	v_and_b32_e32 v60, s94, v5
	v_mul_u32_u24_e32 v5, 5, v60
	v_add_lshl_u32 v5, v5, v150, 2
	; wave barrier
	v_add_u32_e32 v187, 0x410, v5
	ds_read_b32 v186, v5 offset:1040
	v_and_b32_e32 v5, 1, v60
	v_add_co_u32_e32 v61, vcc, -1, v5
	v_addc_co_u32_e64 v188, s[36:37], 0, -1, vcc
	v_cmp_ne_u32_e32 vcc, 0, v5
	v_xor_b32_e32 v5, vcc_hi, v188
	v_and_b32_e32 v188, exec_hi, v5
	v_lshlrev_b32_e32 v5, 30, v60
	v_xor_b32_e32 v61, vcc_lo, v61
	v_cmp_gt_i64_e32 vcc, 0, v[4:5]
	v_not_b32_e32 v5, v5
	v_ashrrev_i32_e32 v5, 31, v5
	v_and_b32_e32 v61, exec_lo, v61
	v_xor_b32_e32 v189, vcc_hi, v5
	v_xor_b32_e32 v5, vcc_lo, v5
	v_and_b32_e32 v61, v61, v5
	v_lshlrev_b32_e32 v5, 29, v60
	v_cmp_gt_i64_e32 vcc, 0, v[4:5]
	v_not_b32_e32 v5, v5
	v_ashrrev_i32_e32 v5, 31, v5
	v_and_b32_e32 v188, v188, v189
	v_xor_b32_e32 v189, vcc_hi, v5
	v_xor_b32_e32 v5, vcc_lo, v5
	v_and_b32_e32 v61, v61, v5
	v_lshlrev_b32_e32 v5, 28, v60
	v_cmp_gt_i64_e32 vcc, 0, v[4:5]
	v_not_b32_e32 v5, v5
	v_ashrrev_i32_e32 v5, 31, v5
	v_and_b32_e32 v188, v188, v189
	;; [unrolled: 8-line block ×5, first 2 shown]
	v_xor_b32_e32 v189, vcc_hi, v5
	v_xor_b32_e32 v5, vcc_lo, v5
	v_and_b32_e32 v188, v188, v189
	v_and_b32_e32 v189, v61, v5
	v_lshlrev_b32_e32 v5, 24, v60
	v_cmp_gt_i64_e32 vcc, 0, v[4:5]
	v_not_b32_e32 v5, v5
	v_ashrrev_i32_e32 v5, 31, v5
	v_xor_b32_e32 v60, vcc_hi, v5
	v_xor_b32_e32 v5, vcc_lo, v5
	v_and_b32_e32 v61, v188, v60
	v_and_b32_e32 v60, v189, v5
	v_mbcnt_lo_u32_b32 v5, v60, 0
	v_mbcnt_hi_u32_b32 v188, v61, v5
	v_cmp_eq_u32_e32 vcc, 0, v188
	v_cmp_ne_u64_e64 s[36:37], 0, v[60:61]
	s_and_b64 s[38:39], s[36:37], vcc
	; wave barrier
	s_and_saveexec_b64 s[36:37], s[38:39]
	s_cbranch_execz .LBB632_1042
; %bb.1041:                             ;   in Loop: Header=BB632_990 Depth=2
	v_bcnt_u32_b32 v5, v60, 0
	v_bcnt_u32_b32 v5, v61, v5
	s_waitcnt lgkmcnt(0)
	v_add_u32_e32 v5, v186, v5
	ds_write_b32 v187, v5
.LBB632_1042:                           ;   in Loop: Header=BB632_990 Depth=2
	s_or_b64 exec, exec, s[36:37]
	s_waitcnt vmcnt(6)
	v_xor_b32_e32 v182, 0x80000000, v182
	v_lshrrev_b32_e32 v5, s85, v182
	v_and_b32_e32 v60, s94, v5
	v_mul_u32_u24_e32 v5, 5, v60
	v_add_lshl_u32 v5, v5, v150, 2
	; wave barrier
	v_add_u32_e32 v190, 0x410, v5
	ds_read_b32 v189, v5 offset:1040
	v_and_b32_e32 v5, 1, v60
	v_add_co_u32_e32 v61, vcc, -1, v5
	v_addc_co_u32_e64 v191, s[36:37], 0, -1, vcc
	v_cmp_ne_u32_e32 vcc, 0, v5
	v_xor_b32_e32 v5, vcc_hi, v191
	v_and_b32_e32 v191, exec_hi, v5
	v_lshlrev_b32_e32 v5, 30, v60
	v_xor_b32_e32 v61, vcc_lo, v61
	v_cmp_gt_i64_e32 vcc, 0, v[4:5]
	v_not_b32_e32 v5, v5
	v_ashrrev_i32_e32 v5, 31, v5
	v_and_b32_e32 v61, exec_lo, v61
	v_xor_b32_e32 v192, vcc_hi, v5
	v_xor_b32_e32 v5, vcc_lo, v5
	v_and_b32_e32 v61, v61, v5
	v_lshlrev_b32_e32 v5, 29, v60
	v_cmp_gt_i64_e32 vcc, 0, v[4:5]
	v_not_b32_e32 v5, v5
	v_ashrrev_i32_e32 v5, 31, v5
	v_and_b32_e32 v191, v191, v192
	v_xor_b32_e32 v192, vcc_hi, v5
	v_xor_b32_e32 v5, vcc_lo, v5
	v_and_b32_e32 v61, v61, v5
	v_lshlrev_b32_e32 v5, 28, v60
	v_cmp_gt_i64_e32 vcc, 0, v[4:5]
	v_not_b32_e32 v5, v5
	v_ashrrev_i32_e32 v5, 31, v5
	v_and_b32_e32 v191, v191, v192
	v_xor_b32_e32 v192, vcc_hi, v5
	v_xor_b32_e32 v5, vcc_lo, v5
	v_and_b32_e32 v61, v61, v5
	v_lshlrev_b32_e32 v5, 27, v60
	v_cmp_gt_i64_e32 vcc, 0, v[4:5]
	v_not_b32_e32 v5, v5
	v_ashrrev_i32_e32 v5, 31, v5
	v_and_b32_e32 v191, v191, v192
	v_xor_b32_e32 v192, vcc_hi, v5
	v_xor_b32_e32 v5, vcc_lo, v5
	v_and_b32_e32 v61, v61, v5
	v_lshlrev_b32_e32 v5, 26, v60
	v_cmp_gt_i64_e32 vcc, 0, v[4:5]
	v_not_b32_e32 v5, v5
	v_ashrrev_i32_e32 v5, 31, v5
	v_and_b32_e32 v191, v191, v192
	v_xor_b32_e32 v192, vcc_hi, v5
	v_xor_b32_e32 v5, vcc_lo, v5
	v_and_b32_e32 v61, v61, v5
	v_lshlrev_b32_e32 v5, 25, v60
	v_cmp_gt_i64_e32 vcc, 0, v[4:5]
	v_not_b32_e32 v5, v5
	v_ashrrev_i32_e32 v5, 31, v5
	v_and_b32_e32 v191, v191, v192
	v_xor_b32_e32 v192, vcc_hi, v5
	v_xor_b32_e32 v5, vcc_lo, v5
	v_and_b32_e32 v191, v191, v192
	v_and_b32_e32 v192, v61, v5
	v_lshlrev_b32_e32 v5, 24, v60
	v_cmp_gt_i64_e32 vcc, 0, v[4:5]
	v_not_b32_e32 v5, v5
	v_ashrrev_i32_e32 v5, 31, v5
	v_xor_b32_e32 v60, vcc_hi, v5
	v_xor_b32_e32 v5, vcc_lo, v5
	v_and_b32_e32 v61, v191, v60
	v_and_b32_e32 v60, v192, v5
	v_mbcnt_lo_u32_b32 v5, v60, 0
	v_mbcnt_hi_u32_b32 v191, v61, v5
	v_cmp_eq_u32_e32 vcc, 0, v191
	v_cmp_ne_u64_e64 s[36:37], 0, v[60:61]
	s_and_b64 s[38:39], s[36:37], vcc
	; wave barrier
	s_and_saveexec_b64 s[36:37], s[38:39]
	s_cbranch_execz .LBB632_1044
; %bb.1043:                             ;   in Loop: Header=BB632_990 Depth=2
	v_bcnt_u32_b32 v5, v60, 0
	v_bcnt_u32_b32 v5, v61, v5
	s_waitcnt lgkmcnt(0)
	v_add_u32_e32 v5, v189, v5
	ds_write_b32 v190, v5
.LBB632_1044:                           ;   in Loop: Header=BB632_990 Depth=2
	s_or_b64 exec, exec, s[36:37]
	s_waitcnt vmcnt(5)
	v_xor_b32_e32 v177, 0x80000000, v177
	v_lshrrev_b32_e32 v5, s85, v177
	v_and_b32_e32 v60, s94, v5
	v_mul_u32_u24_e32 v5, 5, v60
	v_add_lshl_u32 v5, v5, v150, 2
	; wave barrier
	v_add_u32_e32 v193, 0x410, v5
	ds_read_b32 v192, v5 offset:1040
	v_and_b32_e32 v5, 1, v60
	v_add_co_u32_e32 v61, vcc, -1, v5
	v_addc_co_u32_e64 v194, s[36:37], 0, -1, vcc
	v_cmp_ne_u32_e32 vcc, 0, v5
	v_xor_b32_e32 v5, vcc_hi, v194
	v_and_b32_e32 v194, exec_hi, v5
	v_lshlrev_b32_e32 v5, 30, v60
	v_xor_b32_e32 v61, vcc_lo, v61
	v_cmp_gt_i64_e32 vcc, 0, v[4:5]
	v_not_b32_e32 v5, v5
	v_ashrrev_i32_e32 v5, 31, v5
	v_and_b32_e32 v61, exec_lo, v61
	v_xor_b32_e32 v195, vcc_hi, v5
	v_xor_b32_e32 v5, vcc_lo, v5
	v_and_b32_e32 v61, v61, v5
	v_lshlrev_b32_e32 v5, 29, v60
	v_cmp_gt_i64_e32 vcc, 0, v[4:5]
	v_not_b32_e32 v5, v5
	v_ashrrev_i32_e32 v5, 31, v5
	v_and_b32_e32 v194, v194, v195
	v_xor_b32_e32 v195, vcc_hi, v5
	v_xor_b32_e32 v5, vcc_lo, v5
	v_and_b32_e32 v61, v61, v5
	v_lshlrev_b32_e32 v5, 28, v60
	v_cmp_gt_i64_e32 vcc, 0, v[4:5]
	v_not_b32_e32 v5, v5
	v_ashrrev_i32_e32 v5, 31, v5
	v_and_b32_e32 v194, v194, v195
	;; [unrolled: 8-line block ×5, first 2 shown]
	v_xor_b32_e32 v195, vcc_hi, v5
	v_xor_b32_e32 v5, vcc_lo, v5
	v_and_b32_e32 v194, v194, v195
	v_and_b32_e32 v195, v61, v5
	v_lshlrev_b32_e32 v5, 24, v60
	v_cmp_gt_i64_e32 vcc, 0, v[4:5]
	v_not_b32_e32 v5, v5
	v_ashrrev_i32_e32 v5, 31, v5
	v_xor_b32_e32 v60, vcc_hi, v5
	v_xor_b32_e32 v5, vcc_lo, v5
	v_and_b32_e32 v61, v194, v60
	v_and_b32_e32 v60, v195, v5
	v_mbcnt_lo_u32_b32 v5, v60, 0
	v_mbcnt_hi_u32_b32 v195, v61, v5
	v_cmp_eq_u32_e32 vcc, 0, v195
	v_cmp_ne_u64_e64 s[36:37], 0, v[60:61]
	s_and_b64 s[38:39], s[36:37], vcc
	; wave barrier
	s_and_saveexec_b64 s[36:37], s[38:39]
	s_cbranch_execz .LBB632_1046
; %bb.1045:                             ;   in Loop: Header=BB632_990 Depth=2
	v_bcnt_u32_b32 v5, v60, 0
	v_bcnt_u32_b32 v5, v61, v5
	s_waitcnt lgkmcnt(0)
	v_add_u32_e32 v5, v192, v5
	ds_write_b32 v193, v5
.LBB632_1046:                           ;   in Loop: Header=BB632_990 Depth=2
	s_or_b64 exec, exec, s[36:37]
	s_waitcnt vmcnt(4)
	v_xor_b32_e32 v194, 0x80000000, v173
	v_lshrrev_b32_e32 v5, s85, v194
	v_and_b32_e32 v60, s94, v5
	v_mul_u32_u24_e32 v5, 5, v60
	v_add_lshl_u32 v5, v5, v150, 2
	; wave barrier
	v_add_u32_e32 v197, 0x410, v5
	ds_read_b32 v196, v5 offset:1040
	v_and_b32_e32 v5, 1, v60
	v_add_co_u32_e32 v61, vcc, -1, v5
	v_addc_co_u32_e64 v173, s[36:37], 0, -1, vcc
	v_cmp_ne_u32_e32 vcc, 0, v5
	v_xor_b32_e32 v5, vcc_hi, v173
	v_and_b32_e32 v173, exec_hi, v5
	v_lshlrev_b32_e32 v5, 30, v60
	v_xor_b32_e32 v61, vcc_lo, v61
	v_cmp_gt_i64_e32 vcc, 0, v[4:5]
	v_not_b32_e32 v5, v5
	v_ashrrev_i32_e32 v5, 31, v5
	v_and_b32_e32 v61, exec_lo, v61
	v_xor_b32_e32 v198, vcc_hi, v5
	v_xor_b32_e32 v5, vcc_lo, v5
	v_and_b32_e32 v61, v61, v5
	v_lshlrev_b32_e32 v5, 29, v60
	v_cmp_gt_i64_e32 vcc, 0, v[4:5]
	v_not_b32_e32 v5, v5
	v_ashrrev_i32_e32 v5, 31, v5
	v_and_b32_e32 v173, v173, v198
	v_xor_b32_e32 v198, vcc_hi, v5
	v_xor_b32_e32 v5, vcc_lo, v5
	v_and_b32_e32 v61, v61, v5
	v_lshlrev_b32_e32 v5, 28, v60
	v_cmp_gt_i64_e32 vcc, 0, v[4:5]
	v_not_b32_e32 v5, v5
	v_ashrrev_i32_e32 v5, 31, v5
	v_and_b32_e32 v173, v173, v198
	;; [unrolled: 8-line block ×5, first 2 shown]
	v_xor_b32_e32 v198, vcc_hi, v5
	v_xor_b32_e32 v5, vcc_lo, v5
	v_and_b32_e32 v173, v173, v198
	v_and_b32_e32 v198, v61, v5
	v_lshlrev_b32_e32 v5, 24, v60
	v_cmp_gt_i64_e32 vcc, 0, v[4:5]
	v_not_b32_e32 v5, v5
	v_ashrrev_i32_e32 v5, 31, v5
	v_xor_b32_e32 v60, vcc_hi, v5
	v_xor_b32_e32 v5, vcc_lo, v5
	v_and_b32_e32 v61, v173, v60
	v_and_b32_e32 v60, v198, v5
	v_mbcnt_lo_u32_b32 v5, v60, 0
	v_mbcnt_hi_u32_b32 v199, v61, v5
	v_cmp_eq_u32_e32 vcc, 0, v199
	v_cmp_ne_u64_e64 s[36:37], 0, v[60:61]
	s_and_b64 s[38:39], s[36:37], vcc
	; wave barrier
	s_and_saveexec_b64 s[36:37], s[38:39]
	s_cbranch_execz .LBB632_1048
; %bb.1047:                             ;   in Loop: Header=BB632_990 Depth=2
	v_bcnt_u32_b32 v5, v60, 0
	v_bcnt_u32_b32 v5, v61, v5
	s_waitcnt lgkmcnt(0)
	v_add_u32_e32 v5, v196, v5
	ds_write_b32 v197, v5
.LBB632_1048:                           ;   in Loop: Header=BB632_990 Depth=2
	s_or_b64 exec, exec, s[36:37]
	s_waitcnt vmcnt(3)
	v_xor_b32_e32 v198, 0x80000000, v168
	v_lshrrev_b32_e32 v5, s85, v198
	v_and_b32_e32 v60, s94, v5
	v_mul_u32_u24_e32 v5, 5, v60
	v_add_lshl_u32 v5, v5, v150, 2
	; wave barrier
	v_add_u32_e32 v168, 0x410, v5
	ds_read_b32 v200, v5 offset:1040
	v_and_b32_e32 v5, 1, v60
	v_add_co_u32_e32 v61, vcc, -1, v5
	v_addc_co_u32_e64 v173, s[36:37], 0, -1, vcc
	v_cmp_ne_u32_e32 vcc, 0, v5
	v_xor_b32_e32 v5, vcc_hi, v173
	v_and_b32_e32 v173, exec_hi, v5
	v_lshlrev_b32_e32 v5, 30, v60
	v_xor_b32_e32 v61, vcc_lo, v61
	v_cmp_gt_i64_e32 vcc, 0, v[4:5]
	v_not_b32_e32 v5, v5
	v_ashrrev_i32_e32 v5, 31, v5
	v_and_b32_e32 v61, exec_lo, v61
	v_xor_b32_e32 v201, vcc_hi, v5
	v_xor_b32_e32 v5, vcc_lo, v5
	v_and_b32_e32 v61, v61, v5
	v_lshlrev_b32_e32 v5, 29, v60
	v_cmp_gt_i64_e32 vcc, 0, v[4:5]
	v_not_b32_e32 v5, v5
	v_ashrrev_i32_e32 v5, 31, v5
	v_and_b32_e32 v173, v173, v201
	v_xor_b32_e32 v201, vcc_hi, v5
	v_xor_b32_e32 v5, vcc_lo, v5
	v_and_b32_e32 v61, v61, v5
	v_lshlrev_b32_e32 v5, 28, v60
	v_cmp_gt_i64_e32 vcc, 0, v[4:5]
	v_not_b32_e32 v5, v5
	v_ashrrev_i32_e32 v5, 31, v5
	v_and_b32_e32 v173, v173, v201
	;; [unrolled: 8-line block ×5, first 2 shown]
	v_xor_b32_e32 v201, vcc_hi, v5
	v_xor_b32_e32 v5, vcc_lo, v5
	v_and_b32_e32 v173, v173, v201
	v_and_b32_e32 v201, v61, v5
	v_lshlrev_b32_e32 v5, 24, v60
	v_cmp_gt_i64_e32 vcc, 0, v[4:5]
	v_not_b32_e32 v5, v5
	v_ashrrev_i32_e32 v5, 31, v5
	v_xor_b32_e32 v60, vcc_hi, v5
	v_xor_b32_e32 v5, vcc_lo, v5
	v_and_b32_e32 v61, v173, v60
	v_and_b32_e32 v60, v201, v5
	v_mbcnt_lo_u32_b32 v5, v60, 0
	v_mbcnt_hi_u32_b32 v202, v61, v5
	v_cmp_eq_u32_e32 vcc, 0, v202
	v_cmp_ne_u64_e64 s[36:37], 0, v[60:61]
	s_and_b64 s[38:39], s[36:37], vcc
	; wave barrier
	s_and_saveexec_b64 s[36:37], s[38:39]
	s_cbranch_execz .LBB632_1050
; %bb.1049:                             ;   in Loop: Header=BB632_990 Depth=2
	v_bcnt_u32_b32 v5, v60, 0
	v_bcnt_u32_b32 v5, v61, v5
	s_waitcnt lgkmcnt(0)
	v_add_u32_e32 v5, v200, v5
	ds_write_b32 v168, v5
.LBB632_1050:                           ;   in Loop: Header=BB632_990 Depth=2
	s_or_b64 exec, exec, s[36:37]
	s_waitcnt vmcnt(2)
	v_xor_b32_e32 v201, 0x80000000, v163
	v_lshrrev_b32_e32 v5, s85, v201
	v_and_b32_e32 v60, s94, v5
	v_mul_u32_u24_e32 v5, 5, v60
	v_add_lshl_u32 v5, v5, v150, 2
	; wave barrier
	v_add_u32_e32 v163, 0x410, v5
	ds_read_b32 v203, v5 offset:1040
	v_and_b32_e32 v5, 1, v60
	v_add_co_u32_e32 v61, vcc, -1, v5
	v_addc_co_u32_e64 v173, s[36:37], 0, -1, vcc
	v_cmp_ne_u32_e32 vcc, 0, v5
	v_xor_b32_e32 v5, vcc_hi, v173
	v_and_b32_e32 v173, exec_hi, v5
	v_lshlrev_b32_e32 v5, 30, v60
	v_xor_b32_e32 v61, vcc_lo, v61
	v_cmp_gt_i64_e32 vcc, 0, v[4:5]
	v_not_b32_e32 v5, v5
	v_ashrrev_i32_e32 v5, 31, v5
	v_and_b32_e32 v61, exec_lo, v61
	v_xor_b32_e32 v204, vcc_hi, v5
	v_xor_b32_e32 v5, vcc_lo, v5
	v_and_b32_e32 v61, v61, v5
	v_lshlrev_b32_e32 v5, 29, v60
	v_cmp_gt_i64_e32 vcc, 0, v[4:5]
	v_not_b32_e32 v5, v5
	v_ashrrev_i32_e32 v5, 31, v5
	v_and_b32_e32 v173, v173, v204
	v_xor_b32_e32 v204, vcc_hi, v5
	v_xor_b32_e32 v5, vcc_lo, v5
	v_and_b32_e32 v61, v61, v5
	v_lshlrev_b32_e32 v5, 28, v60
	v_cmp_gt_i64_e32 vcc, 0, v[4:5]
	v_not_b32_e32 v5, v5
	v_ashrrev_i32_e32 v5, 31, v5
	v_and_b32_e32 v173, v173, v204
	;; [unrolled: 8-line block ×5, first 2 shown]
	v_xor_b32_e32 v204, vcc_hi, v5
	v_xor_b32_e32 v5, vcc_lo, v5
	v_and_b32_e32 v173, v173, v204
	v_and_b32_e32 v204, v61, v5
	v_lshlrev_b32_e32 v5, 24, v60
	v_cmp_gt_i64_e32 vcc, 0, v[4:5]
	v_not_b32_e32 v5, v5
	v_ashrrev_i32_e32 v5, 31, v5
	v_xor_b32_e32 v60, vcc_hi, v5
	v_xor_b32_e32 v5, vcc_lo, v5
	v_and_b32_e32 v61, v173, v60
	v_and_b32_e32 v60, v204, v5
	v_mbcnt_lo_u32_b32 v5, v60, 0
	v_mbcnt_hi_u32_b32 v205, v61, v5
	v_cmp_eq_u32_e32 vcc, 0, v205
	v_cmp_ne_u64_e64 s[36:37], 0, v[60:61]
	s_and_b64 s[38:39], s[36:37], vcc
	; wave barrier
	s_and_saveexec_b64 s[36:37], s[38:39]
	s_cbranch_execz .LBB632_1052
; %bb.1051:                             ;   in Loop: Header=BB632_990 Depth=2
	v_bcnt_u32_b32 v5, v60, 0
	v_bcnt_u32_b32 v5, v61, v5
	s_waitcnt lgkmcnt(0)
	v_add_u32_e32 v5, v203, v5
	ds_write_b32 v163, v5
.LBB632_1052:                           ;   in Loop: Header=BB632_990 Depth=2
	s_or_b64 exec, exec, s[36:37]
	s_waitcnt vmcnt(1)
	v_xor_b32_e32 v204, 0x80000000, v158
	v_lshrrev_b32_e32 v5, s85, v204
	v_and_b32_e32 v60, s94, v5
	v_mul_u32_u24_e32 v5, 5, v60
	v_add_lshl_u32 v5, v5, v150, 2
	; wave barrier
	v_add_u32_e32 v158, 0x410, v5
	ds_read_b32 v206, v5 offset:1040
	v_and_b32_e32 v5, 1, v60
	v_add_co_u32_e32 v61, vcc, -1, v5
	v_addc_co_u32_e64 v173, s[36:37], 0, -1, vcc
	v_cmp_ne_u32_e32 vcc, 0, v5
	v_xor_b32_e32 v5, vcc_hi, v173
	v_and_b32_e32 v173, exec_hi, v5
	v_lshlrev_b32_e32 v5, 30, v60
	v_xor_b32_e32 v61, vcc_lo, v61
	v_cmp_gt_i64_e32 vcc, 0, v[4:5]
	v_not_b32_e32 v5, v5
	v_ashrrev_i32_e32 v5, 31, v5
	v_and_b32_e32 v61, exec_lo, v61
	v_xor_b32_e32 v207, vcc_hi, v5
	v_xor_b32_e32 v5, vcc_lo, v5
	v_and_b32_e32 v61, v61, v5
	v_lshlrev_b32_e32 v5, 29, v60
	v_cmp_gt_i64_e32 vcc, 0, v[4:5]
	v_not_b32_e32 v5, v5
	v_ashrrev_i32_e32 v5, 31, v5
	v_and_b32_e32 v173, v173, v207
	v_xor_b32_e32 v207, vcc_hi, v5
	v_xor_b32_e32 v5, vcc_lo, v5
	v_and_b32_e32 v61, v61, v5
	v_lshlrev_b32_e32 v5, 28, v60
	v_cmp_gt_i64_e32 vcc, 0, v[4:5]
	v_not_b32_e32 v5, v5
	v_ashrrev_i32_e32 v5, 31, v5
	v_and_b32_e32 v173, v173, v207
	;; [unrolled: 8-line block ×5, first 2 shown]
	v_xor_b32_e32 v207, vcc_hi, v5
	v_xor_b32_e32 v5, vcc_lo, v5
	v_and_b32_e32 v173, v173, v207
	v_and_b32_e32 v207, v61, v5
	v_lshlrev_b32_e32 v5, 24, v60
	v_cmp_gt_i64_e32 vcc, 0, v[4:5]
	v_not_b32_e32 v5, v5
	v_ashrrev_i32_e32 v5, 31, v5
	v_xor_b32_e32 v60, vcc_hi, v5
	v_xor_b32_e32 v5, vcc_lo, v5
	v_and_b32_e32 v61, v173, v60
	v_and_b32_e32 v60, v207, v5
	v_mbcnt_lo_u32_b32 v5, v60, 0
	v_mbcnt_hi_u32_b32 v208, v61, v5
	v_cmp_eq_u32_e32 vcc, 0, v208
	v_cmp_ne_u64_e64 s[36:37], 0, v[60:61]
	s_and_b64 s[38:39], s[36:37], vcc
	; wave barrier
	s_and_saveexec_b64 s[36:37], s[38:39]
	s_cbranch_execz .LBB632_1054
; %bb.1053:                             ;   in Loop: Header=BB632_990 Depth=2
	v_bcnt_u32_b32 v5, v60, 0
	v_bcnt_u32_b32 v5, v61, v5
	s_waitcnt lgkmcnt(0)
	v_add_u32_e32 v5, v206, v5
	ds_write_b32 v158, v5
.LBB632_1054:                           ;   in Loop: Header=BB632_990 Depth=2
	s_or_b64 exec, exec, s[36:37]
	s_waitcnt vmcnt(0)
	v_xor_b32_e32 v207, 0x80000000, v62
	v_lshrrev_b32_e32 v5, s85, v207
	v_and_b32_e32 v60, s94, v5
	v_mul_u32_u24_e32 v5, 5, v60
	v_add_lshl_u32 v5, v5, v150, 2
	; wave barrier
	v_add_u32_e32 v210, 0x410, v5
	ds_read_b32 v209, v5 offset:1040
	v_and_b32_e32 v5, 1, v60
	v_add_co_u32_e32 v61, vcc, -1, v5
	v_addc_co_u32_e64 v62, s[36:37], 0, -1, vcc
	v_cmp_ne_u32_e32 vcc, 0, v5
	v_xor_b32_e32 v5, vcc_hi, v62
	v_and_b32_e32 v62, exec_hi, v5
	v_lshlrev_b32_e32 v5, 30, v60
	v_xor_b32_e32 v61, vcc_lo, v61
	v_cmp_gt_i64_e32 vcc, 0, v[4:5]
	v_not_b32_e32 v5, v5
	v_ashrrev_i32_e32 v5, 31, v5
	v_and_b32_e32 v61, exec_lo, v61
	v_xor_b32_e32 v173, vcc_hi, v5
	v_xor_b32_e32 v5, vcc_lo, v5
	v_and_b32_e32 v61, v61, v5
	v_lshlrev_b32_e32 v5, 29, v60
	v_cmp_gt_i64_e32 vcc, 0, v[4:5]
	v_not_b32_e32 v5, v5
	v_ashrrev_i32_e32 v5, 31, v5
	v_and_b32_e32 v62, v62, v173
	v_xor_b32_e32 v173, vcc_hi, v5
	v_xor_b32_e32 v5, vcc_lo, v5
	v_and_b32_e32 v61, v61, v5
	v_lshlrev_b32_e32 v5, 28, v60
	v_cmp_gt_i64_e32 vcc, 0, v[4:5]
	v_not_b32_e32 v5, v5
	v_ashrrev_i32_e32 v5, 31, v5
	v_and_b32_e32 v62, v62, v173
	v_xor_b32_e32 v173, vcc_hi, v5
	v_xor_b32_e32 v5, vcc_lo, v5
	v_and_b32_e32 v61, v61, v5
	v_lshlrev_b32_e32 v5, 27, v60
	v_cmp_gt_i64_e32 vcc, 0, v[4:5]
	v_not_b32_e32 v5, v5
	v_ashrrev_i32_e32 v5, 31, v5
	v_and_b32_e32 v62, v62, v173
	v_xor_b32_e32 v173, vcc_hi, v5
	v_xor_b32_e32 v5, vcc_lo, v5
	v_and_b32_e32 v61, v61, v5
	v_lshlrev_b32_e32 v5, 26, v60
	v_cmp_gt_i64_e32 vcc, 0, v[4:5]
	v_not_b32_e32 v5, v5
	v_ashrrev_i32_e32 v5, 31, v5
	v_and_b32_e32 v62, v62, v173
	v_xor_b32_e32 v173, vcc_hi, v5
	v_xor_b32_e32 v5, vcc_lo, v5
	v_and_b32_e32 v61, v61, v5
	v_lshlrev_b32_e32 v5, 25, v60
	v_cmp_gt_i64_e32 vcc, 0, v[4:5]
	v_not_b32_e32 v5, v5
	v_ashrrev_i32_e32 v5, 31, v5
	v_and_b32_e32 v62, v62, v173
	v_xor_b32_e32 v173, vcc_hi, v5
	v_xor_b32_e32 v5, vcc_lo, v5
	v_and_b32_e32 v62, v62, v173
	v_and_b32_e32 v173, v61, v5
	v_lshlrev_b32_e32 v5, 24, v60
	v_cmp_gt_i64_e32 vcc, 0, v[4:5]
	v_not_b32_e32 v5, v5
	v_ashrrev_i32_e32 v5, 31, v5
	v_xor_b32_e32 v60, vcc_hi, v5
	v_xor_b32_e32 v5, vcc_lo, v5
	v_and_b32_e32 v61, v62, v60
	v_and_b32_e32 v60, v173, v5
	v_mbcnt_lo_u32_b32 v5, v60, 0
	v_mbcnt_hi_u32_b32 v212, v61, v5
	v_cmp_eq_u32_e32 vcc, 0, v212
	v_cmp_ne_u64_e64 s[36:37], 0, v[60:61]
	s_and_b64 s[38:39], s[36:37], vcc
	; wave barrier
	s_and_saveexec_b64 s[36:37], s[38:39]
	s_cbranch_execz .LBB632_1056
; %bb.1055:                             ;   in Loop: Header=BB632_990 Depth=2
	v_bcnt_u32_b32 v5, v60, 0
	v_bcnt_u32_b32 v5, v61, v5
	s_waitcnt lgkmcnt(0)
	v_add_u32_e32 v5, v209, v5
	ds_write_b32 v210, v5
.LBB632_1056:                           ;   in Loop: Header=BB632_990 Depth=2
	s_or_b64 exec, exec, s[36:37]
	v_xor_b32_e32 v211, 0x80000000, v63
	v_lshrrev_b32_e32 v5, s85, v211
	v_and_b32_e32 v60, s94, v5
	v_mul_u32_u24_e32 v5, 5, v60
	v_add_lshl_u32 v5, v5, v150, 2
	; wave barrier
	v_add_u32_e32 v214, 0x410, v5
	ds_read_b32 v213, v5 offset:1040
	v_and_b32_e32 v5, 1, v60
	v_add_co_u32_e32 v61, vcc, -1, v5
	v_addc_co_u32_e64 v62, s[36:37], 0, -1, vcc
	v_cmp_ne_u32_e32 vcc, 0, v5
	v_xor_b32_e32 v5, vcc_hi, v62
	v_and_b32_e32 v62, exec_hi, v5
	v_lshlrev_b32_e32 v5, 30, v60
	v_xor_b32_e32 v61, vcc_lo, v61
	v_cmp_gt_i64_e32 vcc, 0, v[4:5]
	v_not_b32_e32 v5, v5
	v_ashrrev_i32_e32 v5, 31, v5
	v_and_b32_e32 v61, exec_lo, v61
	v_xor_b32_e32 v63, vcc_hi, v5
	v_xor_b32_e32 v5, vcc_lo, v5
	v_and_b32_e32 v61, v61, v5
	v_lshlrev_b32_e32 v5, 29, v60
	v_cmp_gt_i64_e32 vcc, 0, v[4:5]
	v_not_b32_e32 v5, v5
	v_ashrrev_i32_e32 v5, 31, v5
	v_and_b32_e32 v62, v62, v63
	v_xor_b32_e32 v63, vcc_hi, v5
	v_xor_b32_e32 v5, vcc_lo, v5
	v_and_b32_e32 v61, v61, v5
	v_lshlrev_b32_e32 v5, 28, v60
	v_cmp_gt_i64_e32 vcc, 0, v[4:5]
	v_not_b32_e32 v5, v5
	v_ashrrev_i32_e32 v5, 31, v5
	v_and_b32_e32 v62, v62, v63
	;; [unrolled: 8-line block ×5, first 2 shown]
	v_xor_b32_e32 v63, vcc_hi, v5
	v_xor_b32_e32 v5, vcc_lo, v5
	v_and_b32_e32 v62, v62, v63
	v_and_b32_e32 v63, v61, v5
	v_lshlrev_b32_e32 v5, 24, v60
	v_cmp_gt_i64_e32 vcc, 0, v[4:5]
	v_not_b32_e32 v5, v5
	v_ashrrev_i32_e32 v5, 31, v5
	v_xor_b32_e32 v60, vcc_hi, v5
	v_xor_b32_e32 v5, vcc_lo, v5
	v_and_b32_e32 v61, v62, v60
	v_and_b32_e32 v60, v63, v5
	v_mbcnt_lo_u32_b32 v5, v60, 0
	v_mbcnt_hi_u32_b32 v215, v61, v5
	v_cmp_eq_u32_e32 vcc, 0, v215
	v_cmp_ne_u64_e64 s[36:37], 0, v[60:61]
	s_and_b64 s[38:39], s[36:37], vcc
	; wave barrier
	s_and_saveexec_b64 s[36:37], s[38:39]
	s_cbranch_execz .LBB632_1058
; %bb.1057:                             ;   in Loop: Header=BB632_990 Depth=2
	v_bcnt_u32_b32 v5, v60, 0
	v_bcnt_u32_b32 v5, v61, v5
	s_waitcnt lgkmcnt(0)
	v_add_u32_e32 v5, v213, v5
	ds_write_b32 v214, v5
.LBB632_1058:                           ;   in Loop: Header=BB632_990 Depth=2
	s_or_b64 exec, exec, s[36:37]
	; wave barrier
	s_waitcnt lgkmcnt(0)
	s_barrier
	ds_read_b32 v5, v64 offset:1040
	ds_read2_b32 v[62:63], v66 offset0:1 offset1:2
	ds_read2_b32 v[60:61], v66 offset0:3 offset1:4
	s_waitcnt lgkmcnt(1)
	v_add3_u32 v173, v62, v5, v63
	s_waitcnt lgkmcnt(0)
	v_add3_u32 v61, v173, v60, v61
	s_nop 1
	v_mov_b32_dpp v173, v61 row_shr:1 row_mask:0xf bank_mask:0xf
	v_cndmask_b32_e64 v173, v173, 0, s[16:17]
	v_add_u32_e32 v61, v173, v61
	s_nop 1
	v_mov_b32_dpp v173, v61 row_shr:2 row_mask:0xf bank_mask:0xf
	v_cndmask_b32_e64 v173, 0, v173, s[18:19]
	v_add_u32_e32 v61, v61, v173
	;; [unrolled: 4-line block ×4, first 2 shown]
	s_nop 1
	v_mov_b32_dpp v173, v61 row_bcast:15 row_mask:0xf bank_mask:0xf
	v_cndmask_b32_e64 v173, v173, 0, s[24:25]
	v_add_u32_e32 v61, v61, v173
	s_nop 1
	v_mov_b32_dpp v173, v61 row_bcast:31 row_mask:0xf bank_mask:0xf
	v_cndmask_b32_e64 v173, 0, v173, s[26:27]
	v_add_u32_e32 v61, v61, v173
	s_and_saveexec_b64 s[36:37], s[6:7]
	s_cbranch_execz .LBB632_1060
; %bb.1059:                             ;   in Loop: Header=BB632_990 Depth=2
	ds_write_b32 v19, v61 offset:1024
.LBB632_1060:                           ;   in Loop: Header=BB632_990 Depth=2
	s_or_b64 exec, exec, s[36:37]
	v_add_u32_e32 v173, v64, v67
	s_waitcnt lgkmcnt(0)
	s_barrier
	s_and_saveexec_b64 s[36:37], s[8:9]
	s_cbranch_execz .LBB632_1062
; %bb.1061:                             ;   in Loop: Header=BB632_990 Depth=2
	ds_read_b32 v216, v173 offset:1024
	s_waitcnt lgkmcnt(0)
	s_nop 0
	v_mov_b32_dpp v217, v216 row_shr:1 row_mask:0xf bank_mask:0xf
	v_cndmask_b32_e64 v217, v217, 0, s[30:31]
	v_add_u32_e32 v216, v217, v216
	s_nop 1
	v_mov_b32_dpp v217, v216 row_shr:2 row_mask:0xf bank_mask:0xf
	v_cndmask_b32_e64 v217, 0, v217, s[34:35]
	v_add_u32_e32 v216, v216, v217
	ds_write_b32 v173, v216 offset:1024
.LBB632_1062:                           ;   in Loop: Header=BB632_990 Depth=2
	s_or_b64 exec, exec, s[36:37]
	v_mov_b32_e32 v216, 0
	s_waitcnt lgkmcnt(0)
	s_barrier
	s_and_saveexec_b64 s[36:37], s[10:11]
	s_cbranch_execz .LBB632_1064
; %bb.1063:                             ;   in Loop: Header=BB632_990 Depth=2
	ds_read_b32 v216, v19 offset:1020
.LBB632_1064:                           ;   in Loop: Header=BB632_990 Depth=2
	s_or_b64 exec, exec, s[36:37]
	s_waitcnt lgkmcnt(0)
	v_add_u32_e32 v61, v216, v61
	ds_bpermute_b32 v61, v127, v61
	s_waitcnt lgkmcnt(0)
	v_cndmask_b32_e64 v61, v61, v216, s[28:29]
	v_cndmask_b32_e64 v61, v61, 0, s[12:13]
	v_add_u32_e32 v5, v61, v5
	ds_write_b32 v64, v61 offset:1040
	v_add_u32_e32 v61, v5, v62
	v_add_u32_e32 v62, v61, v63
	ds_write2_b32 v66, v5, v61 offset0:1 offset1:2
	v_add_u32_e32 v5, v62, v60
	ds_write2_b32 v66, v62, v5 offset0:3 offset1:4
	s_waitcnt lgkmcnt(0)
	s_barrier
	ds_read_b32 v60, v157
	ds_read_b32 v61, v162
	;; [unrolled: 1-line block ×16, first 2 shown]
	ds_read_b32 v158, v64 offset:1040
	v_mov_b32_e32 v5, 0x1000
	s_and_saveexec_b64 s[36:37], s[14:15]
	s_cbranch_execz .LBB632_1066
; %bb.1065:                             ;   in Loop: Header=BB632_990 Depth=2
	ds_read_b32 v5, v64 offset:1060
.LBB632_1066:                           ;   in Loop: Header=BB632_990 Depth=2
	s_or_b64 exec, exec, s[36:37]
	s_waitcnt lgkmcnt(0)
	s_barrier
	s_and_saveexec_b64 s[36:37], s[4:5]
	s_cbranch_execz .LBB632_1068
; %bb.1067:                             ;   in Loop: Header=BB632_990 Depth=2
	ds_read_b32 v163, v3
	s_waitcnt lgkmcnt(0)
	v_sub_u32_e32 v158, v163, v158
	ds_write_b32 v3, v158
.LBB632_1068:                           ;   in Loop: Header=BB632_990 Depth=2
	s_or_b64 exec, exec, s[36:37]
	v_add_u32_e32 v172, v153, v155
	v_add3_u32 v168, v160, v156, v60
	v_lshlrev_b32_e32 v60, 2, v172
	v_add3_u32 v167, v165, v161, v61
	ds_write_b32 v60, v152 offset:1024
	v_lshlrev_b32_e32 v60, 2, v168
	v_add3_u32 v166, v170, v166, v62
	ds_write_b32 v60, v154 offset:1024
	;; [unrolled: 3-line block ×14, first 2 shown]
	v_lshlrev_b32_e32 v60, 2, v63
	ds_write_b32 v60, v207 offset:1024
	v_lshlrev_b32_e32 v60, 2, v62
	v_cmp_lt_u32_e64 s[36:37], v2, v151
	ds_write_b32 v60, v211 offset:1024
	s_waitcnt lgkmcnt(0)
	s_barrier
	s_and_saveexec_b64 s[38:39], s[36:37]
	s_cbranch_execz .LBB632_1084
; %bb.1069:                             ;   in Loop: Header=BB632_990 Depth=2
	ds_read_b32 v60, v173 offset:1024
	v_mov_b32_e32 v154, s77
	s_waitcnt lgkmcnt(0)
	v_lshrrev_b32_e32 v61, s85, v60
	v_and_b32_e32 v61, s94, v61
	v_lshlrev_b32_e32 v61, 2, v61
	ds_read_b32 v152, v61
	v_mov_b32_e32 v61, v4
	v_xor_b32_e32 v159, 0x80000000, v60
	s_waitcnt lgkmcnt(0)
	v_add_u32_e32 v60, v152, v2
	v_lshlrev_b64 v[60:61], 2, v[60:61]
	v_add_co_u32_e32 v60, vcc, s76, v60
	v_addc_co_u32_e32 v61, vcc, v154, v61, vcc
	global_store_dword v[60:61], v159, off
	s_or_b64 exec, exec, s[38:39]
	v_cmp_lt_u32_e64 s[38:39], v7, v151
	s_and_saveexec_b64 s[40:41], s[38:39]
	s_cbranch_execnz .LBB632_1085
.LBB632_1070:                           ;   in Loop: Header=BB632_990 Depth=2
	s_or_b64 exec, exec, s[40:41]
	v_cmp_lt_u32_e64 s[40:41], v9, v151
	s_and_saveexec_b64 s[42:43], s[40:41]
	s_cbranch_execz .LBB632_1086
.LBB632_1071:                           ;   in Loop: Header=BB632_990 Depth=2
	ds_read_b32 v60, v72 offset:2048
	v_mov_b32_e32 v154, s77
	s_waitcnt lgkmcnt(0)
	v_lshrrev_b32_e32 v61, s85, v60
	v_and_b32_e32 v61, s94, v61
	v_lshlrev_b32_e32 v61, 2, v61
	ds_read_b32 v152, v61
	v_mov_b32_e32 v61, v4
	v_xor_b32_e32 v159, 0x80000000, v60
	s_waitcnt lgkmcnt(0)
	v_add_u32_e32 v60, v152, v9
	v_lshlrev_b64 v[60:61], 2, v[60:61]
	v_add_co_u32_e32 v60, vcc, s76, v60
	v_addc_co_u32_e32 v61, vcc, v154, v61, vcc
	global_store_dword v[60:61], v159, off
	s_or_b64 exec, exec, s[42:43]
	v_cmp_lt_u32_e64 s[42:43], v11, v151
	s_and_saveexec_b64 s[44:45], s[42:43]
	s_cbranch_execnz .LBB632_1087
.LBB632_1072:                           ;   in Loop: Header=BB632_990 Depth=2
	s_or_b64 exec, exec, s[44:45]
	v_cmp_lt_u32_e64 s[44:45], v6, v151
	s_and_saveexec_b64 s[46:47], s[44:45]
	s_cbranch_execz .LBB632_1088
.LBB632_1073:                           ;   in Loop: Header=BB632_990 Depth=2
	ds_read_b32 v60, v72 offset:4096
	v_mov_b32_e32 v154, s77
	s_waitcnt lgkmcnt(0)
	v_lshrrev_b32_e32 v61, s85, v60
	v_and_b32_e32 v61, s94, v61
	v_lshlrev_b32_e32 v61, 2, v61
	ds_read_b32 v152, v61
	v_mov_b32_e32 v61, v4
	v_xor_b32_e32 v159, 0x80000000, v60
	s_waitcnt lgkmcnt(0)
	v_add_u32_e32 v60, v152, v6
	v_lshlrev_b64 v[60:61], 2, v[60:61]
	v_add_co_u32_e32 v60, vcc, s76, v60
	v_addc_co_u32_e32 v61, vcc, v154, v61, vcc
	global_store_dword v[60:61], v159, off
	s_or_b64 exec, exec, s[46:47]
	v_cmp_lt_u32_e64 s[46:47], v8, v151
	s_and_saveexec_b64 s[48:49], s[46:47]
	s_cbranch_execnz .LBB632_1089
.LBB632_1074:                           ;   in Loop: Header=BB632_990 Depth=2
	s_or_b64 exec, exec, s[48:49]
	v_cmp_lt_u32_e64 s[48:49], v10, v151
	s_and_saveexec_b64 s[50:51], s[48:49]
	s_cbranch_execz .LBB632_1090
.LBB632_1075:                           ;   in Loop: Header=BB632_990 Depth=2
	ds_read_b32 v60, v72 offset:6144
	v_mov_b32_e32 v154, s77
	s_waitcnt lgkmcnt(0)
	v_lshrrev_b32_e32 v61, s85, v60
	v_and_b32_e32 v61, s94, v61
	v_lshlrev_b32_e32 v61, 2, v61
	ds_read_b32 v152, v61
	v_mov_b32_e32 v61, v4
	v_xor_b32_e32 v159, 0x80000000, v60
	s_waitcnt lgkmcnt(0)
	v_add_u32_e32 v60, v152, v10
	v_lshlrev_b64 v[60:61], 2, v[60:61]
	v_add_co_u32_e32 v60, vcc, s76, v60
	v_addc_co_u32_e32 v61, vcc, v154, v61, vcc
	global_store_dword v[60:61], v159, off
	s_or_b64 exec, exec, s[50:51]
	v_cmp_lt_u32_e64 s[50:51], v12, v151
	s_and_saveexec_b64 s[52:53], s[50:51]
	s_cbranch_execnz .LBB632_1091
.LBB632_1076:                           ;   in Loop: Header=BB632_990 Depth=2
	s_or_b64 exec, exec, s[52:53]
	v_cmp_lt_u32_e64 s[52:53], v14, v151
	s_and_saveexec_b64 s[54:55], s[52:53]
	s_cbranch_execz .LBB632_1092
.LBB632_1077:                           ;   in Loop: Header=BB632_990 Depth=2
	ds_read_b32 v60, v72 offset:8192
	v_mov_b32_e32 v154, s77
	s_waitcnt lgkmcnt(0)
	v_lshrrev_b32_e32 v61, s85, v60
	v_and_b32_e32 v61, s94, v61
	v_lshlrev_b32_e32 v61, 2, v61
	ds_read_b32 v152, v61
	v_mov_b32_e32 v61, v4
	v_xor_b32_e32 v159, 0x80000000, v60
	s_waitcnt lgkmcnt(0)
	v_add_u32_e32 v60, v152, v14
	v_lshlrev_b64 v[60:61], 2, v[60:61]
	v_add_co_u32_e32 v60, vcc, s76, v60
	v_addc_co_u32_e32 v61, vcc, v154, v61, vcc
	global_store_dword v[60:61], v159, off
	s_or_b64 exec, exec, s[54:55]
	v_cmp_lt_u32_e64 s[54:55], v16, v151
	s_and_saveexec_b64 s[56:57], s[54:55]
	s_cbranch_execnz .LBB632_1093
.LBB632_1078:                           ;   in Loop: Header=BB632_990 Depth=2
	s_or_b64 exec, exec, s[56:57]
	v_cmp_lt_u32_e64 s[56:57], v18, v151
	s_and_saveexec_b64 s[58:59], s[56:57]
	s_cbranch_execz .LBB632_1094
.LBB632_1079:                           ;   in Loop: Header=BB632_990 Depth=2
	ds_read_b32 v60, v72 offset:10240
	v_mov_b32_e32 v154, s77
	s_waitcnt lgkmcnt(0)
	v_lshrrev_b32_e32 v61, s85, v60
	v_and_b32_e32 v61, s94, v61
	v_lshlrev_b32_e32 v61, 2, v61
	ds_read_b32 v152, v61
	v_mov_b32_e32 v61, v4
	v_xor_b32_e32 v159, 0x80000000, v60
	s_waitcnt lgkmcnt(0)
	v_add_u32_e32 v60, v152, v18
	v_lshlrev_b64 v[60:61], 2, v[60:61]
	v_add_co_u32_e32 v60, vcc, s76, v60
	v_addc_co_u32_e32 v61, vcc, v154, v61, vcc
	global_store_dword v[60:61], v159, off
	s_or_b64 exec, exec, s[58:59]
	v_cmp_lt_u32_e64 s[58:59], v20, v151
	s_and_saveexec_b64 s[60:61], s[58:59]
	s_cbranch_execnz .LBB632_1095
.LBB632_1080:                           ;   in Loop: Header=BB632_990 Depth=2
	s_or_b64 exec, exec, s[60:61]
	v_cmp_lt_u32_e64 s[60:61], v22, v151
	s_and_saveexec_b64 s[62:63], s[60:61]
	s_cbranch_execz .LBB632_1096
.LBB632_1081:                           ;   in Loop: Header=BB632_990 Depth=2
	ds_read_b32 v60, v72 offset:12288
	v_mov_b32_e32 v154, s77
	s_waitcnt lgkmcnt(0)
	v_lshrrev_b32_e32 v61, s85, v60
	v_and_b32_e32 v61, s94, v61
	v_lshlrev_b32_e32 v61, 2, v61
	ds_read_b32 v152, v61
	v_mov_b32_e32 v61, v4
	v_xor_b32_e32 v159, 0x80000000, v60
	s_waitcnt lgkmcnt(0)
	v_add_u32_e32 v60, v152, v22
	v_lshlrev_b64 v[60:61], 2, v[60:61]
	v_add_co_u32_e32 v60, vcc, s76, v60
	v_addc_co_u32_e32 v61, vcc, v154, v61, vcc
	global_store_dword v[60:61], v159, off
	s_or_b64 exec, exec, s[62:63]
	v_cmp_lt_u32_e64 s[62:63], v24, v151
	s_and_saveexec_b64 s[64:65], s[62:63]
	s_cbranch_execnz .LBB632_1097
.LBB632_1082:                           ;   in Loop: Header=BB632_990 Depth=2
	s_or_b64 exec, exec, s[64:65]
	v_cmp_lt_u32_e64 s[64:65], v26, v151
	s_and_saveexec_b64 s[66:67], s[64:65]
	s_cbranch_execz .LBB632_1098
.LBB632_1083:                           ;   in Loop: Header=BB632_990 Depth=2
	ds_read_b32 v60, v72 offset:14336
	v_mov_b32_e32 v154, s77
	s_waitcnt lgkmcnt(0)
	v_lshrrev_b32_e32 v61, s85, v60
	v_and_b32_e32 v61, s94, v61
	v_lshlrev_b32_e32 v61, 2, v61
	ds_read_b32 v152, v61
	v_mov_b32_e32 v61, v4
	v_xor_b32_e32 v159, 0x80000000, v60
	s_waitcnt lgkmcnt(0)
	v_add_u32_e32 v60, v152, v26
	v_lshlrev_b64 v[60:61], 2, v[60:61]
	v_add_co_u32_e32 v60, vcc, s76, v60
	v_addc_co_u32_e32 v61, vcc, v154, v61, vcc
	global_store_dword v[60:61], v159, off
	s_or_b64 exec, exec, s[66:67]
	v_cmp_lt_u32_e64 s[66:67], v28, v151
	s_and_saveexec_b64 s[78:79], s[66:67]
	s_cbranch_execnz .LBB632_1099
	s_branch .LBB632_1100
.LBB632_1084:                           ;   in Loop: Header=BB632_990 Depth=2
	s_or_b64 exec, exec, s[38:39]
	v_cmp_lt_u32_e64 s[38:39], v7, v151
	s_and_saveexec_b64 s[40:41], s[38:39]
	s_cbranch_execz .LBB632_1070
.LBB632_1085:                           ;   in Loop: Header=BB632_990 Depth=2
	ds_read_b32 v60, v72 offset:1024
	v_mov_b32_e32 v154, s77
	s_waitcnt lgkmcnt(0)
	v_lshrrev_b32_e32 v61, s85, v60
	v_and_b32_e32 v61, s94, v61
	v_lshlrev_b32_e32 v61, 2, v61
	ds_read_b32 v152, v61
	v_mov_b32_e32 v61, v4
	v_xor_b32_e32 v159, 0x80000000, v60
	s_waitcnt lgkmcnt(0)
	v_add_u32_e32 v60, v152, v7
	v_lshlrev_b64 v[60:61], 2, v[60:61]
	v_add_co_u32_e32 v60, vcc, s76, v60
	v_addc_co_u32_e32 v61, vcc, v154, v61, vcc
	global_store_dword v[60:61], v159, off
	s_or_b64 exec, exec, s[40:41]
	v_cmp_lt_u32_e64 s[40:41], v9, v151
	s_and_saveexec_b64 s[42:43], s[40:41]
	s_cbranch_execnz .LBB632_1071
.LBB632_1086:                           ;   in Loop: Header=BB632_990 Depth=2
	s_or_b64 exec, exec, s[42:43]
	v_cmp_lt_u32_e64 s[42:43], v11, v151
	s_and_saveexec_b64 s[44:45], s[42:43]
	s_cbranch_execz .LBB632_1072
.LBB632_1087:                           ;   in Loop: Header=BB632_990 Depth=2
	ds_read_b32 v60, v72 offset:3072
	v_mov_b32_e32 v154, s77
	s_waitcnt lgkmcnt(0)
	v_lshrrev_b32_e32 v61, s85, v60
	v_and_b32_e32 v61, s94, v61
	v_lshlrev_b32_e32 v61, 2, v61
	ds_read_b32 v152, v61
	v_mov_b32_e32 v61, v4
	v_xor_b32_e32 v159, 0x80000000, v60
	s_waitcnt lgkmcnt(0)
	v_add_u32_e32 v60, v152, v11
	v_lshlrev_b64 v[60:61], 2, v[60:61]
	v_add_co_u32_e32 v60, vcc, s76, v60
	v_addc_co_u32_e32 v61, vcc, v154, v61, vcc
	global_store_dword v[60:61], v159, off
	s_or_b64 exec, exec, s[44:45]
	v_cmp_lt_u32_e64 s[44:45], v6, v151
	s_and_saveexec_b64 s[46:47], s[44:45]
	s_cbranch_execnz .LBB632_1073
.LBB632_1088:                           ;   in Loop: Header=BB632_990 Depth=2
	s_or_b64 exec, exec, s[46:47]
	v_cmp_lt_u32_e64 s[46:47], v8, v151
	s_and_saveexec_b64 s[48:49], s[46:47]
	s_cbranch_execz .LBB632_1074
.LBB632_1089:                           ;   in Loop: Header=BB632_990 Depth=2
	ds_read_b32 v60, v72 offset:5120
	v_mov_b32_e32 v154, s77
	s_waitcnt lgkmcnt(0)
	v_lshrrev_b32_e32 v61, s85, v60
	v_and_b32_e32 v61, s94, v61
	v_lshlrev_b32_e32 v61, 2, v61
	ds_read_b32 v152, v61
	v_mov_b32_e32 v61, v4
	v_xor_b32_e32 v159, 0x80000000, v60
	s_waitcnt lgkmcnt(0)
	v_add_u32_e32 v60, v152, v8
	v_lshlrev_b64 v[60:61], 2, v[60:61]
	v_add_co_u32_e32 v60, vcc, s76, v60
	v_addc_co_u32_e32 v61, vcc, v154, v61, vcc
	global_store_dword v[60:61], v159, off
	s_or_b64 exec, exec, s[48:49]
	v_cmp_lt_u32_e64 s[48:49], v10, v151
	s_and_saveexec_b64 s[50:51], s[48:49]
	s_cbranch_execnz .LBB632_1075
.LBB632_1090:                           ;   in Loop: Header=BB632_990 Depth=2
	s_or_b64 exec, exec, s[50:51]
	v_cmp_lt_u32_e64 s[50:51], v12, v151
	s_and_saveexec_b64 s[52:53], s[50:51]
	s_cbranch_execz .LBB632_1076
.LBB632_1091:                           ;   in Loop: Header=BB632_990 Depth=2
	ds_read_b32 v60, v72 offset:7168
	v_mov_b32_e32 v154, s77
	s_waitcnt lgkmcnt(0)
	v_lshrrev_b32_e32 v61, s85, v60
	v_and_b32_e32 v61, s94, v61
	v_lshlrev_b32_e32 v61, 2, v61
	ds_read_b32 v152, v61
	v_mov_b32_e32 v61, v4
	v_xor_b32_e32 v159, 0x80000000, v60
	s_waitcnt lgkmcnt(0)
	v_add_u32_e32 v60, v152, v12
	v_lshlrev_b64 v[60:61], 2, v[60:61]
	v_add_co_u32_e32 v60, vcc, s76, v60
	v_addc_co_u32_e32 v61, vcc, v154, v61, vcc
	global_store_dword v[60:61], v159, off
	s_or_b64 exec, exec, s[52:53]
	v_cmp_lt_u32_e64 s[52:53], v14, v151
	s_and_saveexec_b64 s[54:55], s[52:53]
	s_cbranch_execnz .LBB632_1077
.LBB632_1092:                           ;   in Loop: Header=BB632_990 Depth=2
	s_or_b64 exec, exec, s[54:55]
	v_cmp_lt_u32_e64 s[54:55], v16, v151
	s_and_saveexec_b64 s[56:57], s[54:55]
	s_cbranch_execz .LBB632_1078
.LBB632_1093:                           ;   in Loop: Header=BB632_990 Depth=2
	ds_read_b32 v60, v72 offset:9216
	v_mov_b32_e32 v154, s77
	s_waitcnt lgkmcnt(0)
	v_lshrrev_b32_e32 v61, s85, v60
	v_and_b32_e32 v61, s94, v61
	v_lshlrev_b32_e32 v61, 2, v61
	ds_read_b32 v152, v61
	v_mov_b32_e32 v61, v4
	v_xor_b32_e32 v159, 0x80000000, v60
	s_waitcnt lgkmcnt(0)
	v_add_u32_e32 v60, v152, v16
	v_lshlrev_b64 v[60:61], 2, v[60:61]
	v_add_co_u32_e32 v60, vcc, s76, v60
	v_addc_co_u32_e32 v61, vcc, v154, v61, vcc
	global_store_dword v[60:61], v159, off
	s_or_b64 exec, exec, s[56:57]
	v_cmp_lt_u32_e64 s[56:57], v18, v151
	s_and_saveexec_b64 s[58:59], s[56:57]
	s_cbranch_execnz .LBB632_1079
.LBB632_1094:                           ;   in Loop: Header=BB632_990 Depth=2
	s_or_b64 exec, exec, s[58:59]
	v_cmp_lt_u32_e64 s[58:59], v20, v151
	s_and_saveexec_b64 s[60:61], s[58:59]
	s_cbranch_execz .LBB632_1080
.LBB632_1095:                           ;   in Loop: Header=BB632_990 Depth=2
	ds_read_b32 v60, v72 offset:11264
	v_mov_b32_e32 v154, s77
	s_waitcnt lgkmcnt(0)
	v_lshrrev_b32_e32 v61, s85, v60
	v_and_b32_e32 v61, s94, v61
	v_lshlrev_b32_e32 v61, 2, v61
	ds_read_b32 v152, v61
	v_mov_b32_e32 v61, v4
	v_xor_b32_e32 v159, 0x80000000, v60
	s_waitcnt lgkmcnt(0)
	v_add_u32_e32 v60, v152, v20
	v_lshlrev_b64 v[60:61], 2, v[60:61]
	v_add_co_u32_e32 v60, vcc, s76, v60
	v_addc_co_u32_e32 v61, vcc, v154, v61, vcc
	global_store_dword v[60:61], v159, off
	s_or_b64 exec, exec, s[60:61]
	v_cmp_lt_u32_e64 s[60:61], v22, v151
	s_and_saveexec_b64 s[62:63], s[60:61]
	s_cbranch_execnz .LBB632_1081
.LBB632_1096:                           ;   in Loop: Header=BB632_990 Depth=2
	s_or_b64 exec, exec, s[62:63]
	v_cmp_lt_u32_e64 s[62:63], v24, v151
	s_and_saveexec_b64 s[64:65], s[62:63]
	s_cbranch_execz .LBB632_1082
.LBB632_1097:                           ;   in Loop: Header=BB632_990 Depth=2
	ds_read_b32 v60, v72 offset:13312
	v_mov_b32_e32 v154, s77
	s_waitcnt lgkmcnt(0)
	v_lshrrev_b32_e32 v61, s85, v60
	v_and_b32_e32 v61, s94, v61
	v_lshlrev_b32_e32 v61, 2, v61
	ds_read_b32 v152, v61
	v_mov_b32_e32 v61, v4
	v_xor_b32_e32 v159, 0x80000000, v60
	s_waitcnt lgkmcnt(0)
	v_add_u32_e32 v60, v152, v24
	v_lshlrev_b64 v[60:61], 2, v[60:61]
	v_add_co_u32_e32 v60, vcc, s76, v60
	v_addc_co_u32_e32 v61, vcc, v154, v61, vcc
	global_store_dword v[60:61], v159, off
	s_or_b64 exec, exec, s[64:65]
	v_cmp_lt_u32_e64 s[64:65], v26, v151
	s_and_saveexec_b64 s[66:67], s[64:65]
	s_cbranch_execnz .LBB632_1083
.LBB632_1098:                           ;   in Loop: Header=BB632_990 Depth=2
	s_or_b64 exec, exec, s[66:67]
	v_cmp_lt_u32_e64 s[66:67], v28, v151
	s_and_saveexec_b64 s[78:79], s[66:67]
	s_cbranch_execz .LBB632_1100
.LBB632_1099:                           ;   in Loop: Header=BB632_990 Depth=2
	ds_read_b32 v60, v72 offset:15360
	v_mov_b32_e32 v154, s77
	s_waitcnt lgkmcnt(0)
	v_lshrrev_b32_e32 v61, s85, v60
	v_and_b32_e32 v61, s94, v61
	v_lshlrev_b32_e32 v61, 2, v61
	ds_read_b32 v152, v61
	v_mov_b32_e32 v61, v4
	v_xor_b32_e32 v159, 0x80000000, v60
	s_waitcnt lgkmcnt(0)
	v_add_u32_e32 v60, v152, v28
	v_lshlrev_b64 v[60:61], 2, v[60:61]
	v_add_co_u32_e32 v60, vcc, s76, v60
	v_addc_co_u32_e32 v61, vcc, v154, v61, vcc
	global_store_dword v[60:61], v159, off
.LBB632_1100:                           ;   in Loop: Header=BB632_990 Depth=2
	s_or_b64 exec, exec, s[78:79]
	s_lshl_b64 s[78:79], s[88:89], 3
	v_mov_b32_e32 v61, s79
	v_add_co_u32_e32 v60, vcc, s78, v128
	v_addc_co_u32_e32 v61, vcc, v129, v61, vcc
	v_cmp_lt_u32_e32 vcc, v109, v151
	s_and_saveexec_b64 s[78:79], vcc
	s_xor_b64 s[78:79], exec, s[78:79]
	s_cbranch_execz .LBB632_1132
; %bb.1101:                             ;   in Loop: Header=BB632_990 Depth=2
	global_load_dwordx2 v[58:59], v[60:61], off
	s_or_b64 exec, exec, s[78:79]
	v_cmp_lt_u32_e32 vcc, v110, v151
	s_and_saveexec_b64 s[78:79], vcc
	s_cbranch_execnz .LBB632_1133
.LBB632_1102:                           ;   in Loop: Header=BB632_990 Depth=2
	s_or_b64 exec, exec, s[78:79]
	v_cmp_lt_u32_e32 vcc, v111, v151
	s_and_saveexec_b64 s[78:79], vcc
	s_cbranch_execz .LBB632_1134
.LBB632_1103:                           ;   in Loop: Header=BB632_990 Depth=2
	global_load_dwordx2 v[54:55], v[60:61], off offset:1024
	s_or_b64 exec, exec, s[78:79]
	v_cmp_lt_u32_e32 vcc, v112, v151
	s_and_saveexec_b64 s[78:79], vcc
	s_cbranch_execnz .LBB632_1135
.LBB632_1104:                           ;   in Loop: Header=BB632_990 Depth=2
	s_or_b64 exec, exec, s[78:79]
	v_cmp_lt_u32_e32 vcc, v113, v151
	s_and_saveexec_b64 s[78:79], vcc
	s_cbranch_execz .LBB632_1136
.LBB632_1105:                           ;   in Loop: Header=BB632_990 Depth=2
	global_load_dwordx2 v[46:47], v[60:61], off offset:2048
	s_or_b64 exec, exec, s[78:79]
	v_cmp_lt_u32_e32 vcc, v114, v151
	s_and_saveexec_b64 s[78:79], vcc
	s_cbranch_execnz .LBB632_1137
.LBB632_1106:                           ;   in Loop: Header=BB632_990 Depth=2
	s_or_b64 exec, exec, s[78:79]
	v_cmp_lt_u32_e32 vcc, v115, v151
	s_and_saveexec_b64 s[78:79], vcc
	s_cbranch_execz .LBB632_1138
.LBB632_1107:                           ;   in Loop: Header=BB632_990 Depth=2
	global_load_dwordx2 v[38:39], v[60:61], off offset:3072
	s_or_b64 exec, exec, s[78:79]
	v_cmp_lt_u32_e32 vcc, v116, v151
	s_and_saveexec_b64 s[78:79], vcc
	s_cbranch_execnz .LBB632_1139
.LBB632_1108:                           ;   in Loop: Header=BB632_990 Depth=2
	s_or_b64 exec, exec, s[78:79]
	v_cmp_lt_u32_e32 vcc, v117, v151
	s_and_saveexec_b64 s[78:79], vcc
	s_cbranch_execz .LBB632_1140
.LBB632_1109:                           ;   in Loop: Header=BB632_990 Depth=2
	v_add_co_u32_e32 v52, vcc, 0x1000, v60
	v_addc_co_u32_e32 v53, vcc, 0, v61, vcc
	global_load_dwordx2 v[52:53], v[52:53], off
	s_or_b64 exec, exec, s[78:79]
	v_cmp_lt_u32_e32 vcc, v118, v151
	s_and_saveexec_b64 s[78:79], vcc
	s_cbranch_execnz .LBB632_1141
.LBB632_1110:                           ;   in Loop: Header=BB632_990 Depth=2
	s_or_b64 exec, exec, s[78:79]
	v_cmp_lt_u32_e32 vcc, v119, v151
	s_and_saveexec_b64 s[78:79], vcc
	s_cbranch_execz .LBB632_1142
.LBB632_1111:                           ;   in Loop: Header=BB632_990 Depth=2
	v_add_co_u32_e32 v44, vcc, 0x1000, v60
	v_addc_co_u32_e32 v45, vcc, 0, v61, vcc
	global_load_dwordx2 v[44:45], v[44:45], off offset:1024
	s_or_b64 exec, exec, s[78:79]
	v_cmp_lt_u32_e32 vcc, v120, v151
	s_and_saveexec_b64 s[78:79], vcc
	s_cbranch_execnz .LBB632_1143
.LBB632_1112:                           ;   in Loop: Header=BB632_990 Depth=2
	s_or_b64 exec, exec, s[78:79]
	v_cmp_lt_u32_e32 vcc, v121, v151
	s_and_saveexec_b64 s[78:79], vcc
	s_cbranch_execz .LBB632_1144
.LBB632_1113:                           ;   in Loop: Header=BB632_990 Depth=2
	v_add_co_u32_e32 v36, vcc, 0x1000, v60
	v_addc_co_u32_e32 v37, vcc, 0, v61, vcc
	global_load_dwordx2 v[36:37], v[36:37], off offset:2048
	s_or_b64 exec, exec, s[78:79]
	v_cmp_lt_u32_e32 vcc, v122, v151
	s_and_saveexec_b64 s[78:79], vcc
	s_cbranch_execnz .LBB632_1145
.LBB632_1114:                           ;   in Loop: Header=BB632_990 Depth=2
	s_or_b64 exec, exec, s[78:79]
	v_cmp_lt_u32_e32 vcc, v123, v151
	s_and_saveexec_b64 s[78:79], vcc
	s_cbranch_execz .LBB632_1146
.LBB632_1115:                           ;   in Loop: Header=BB632_990 Depth=2
	v_add_co_u32_e32 v30, vcc, 0x1000, v60
	v_addc_co_u32_e32 v31, vcc, 0, v61, vcc
	global_load_dwordx2 v[30:31], v[30:31], off offset:3072
	s_or_b64 exec, exec, s[78:79]
	v_cmp_lt_u32_e32 vcc, v124, v151
	s_and_saveexec_b64 s[78:79], vcc
	s_cbranch_execnz .LBB632_1147
.LBB632_1116:                           ;   in Loop: Header=BB632_990 Depth=2
	s_or_b64 exec, exec, s[78:79]
	s_and_saveexec_b64 s[78:79], s[36:37]
	s_cbranch_execz .LBB632_1148
.LBB632_1117:                           ;   in Loop: Header=BB632_990 Depth=2
	ds_read_b32 v60, v173 offset:1024
	s_waitcnt lgkmcnt(0)
	v_lshrrev_b32_e32 v60, s85, v60
	v_and_b32_e32 v149, s94, v60
	s_or_b64 exec, exec, s[78:79]
	s_and_saveexec_b64 s[78:79], s[38:39]
	s_cbranch_execnz .LBB632_1149
.LBB632_1118:                           ;   in Loop: Header=BB632_990 Depth=2
	s_or_b64 exec, exec, s[78:79]
	s_and_saveexec_b64 s[78:79], s[40:41]
	s_cbranch_execz .LBB632_1150
.LBB632_1119:                           ;   in Loop: Header=BB632_990 Depth=2
	ds_read_b32 v60, v72 offset:2048
	s_waitcnt lgkmcnt(0)
	v_lshrrev_b32_e32 v60, s85, v60
	v_and_b32_e32 v146, s94, v60
	s_or_b64 exec, exec, s[78:79]
	s_and_saveexec_b64 s[78:79], s[42:43]
	s_cbranch_execnz .LBB632_1151
.LBB632_1120:                           ;   in Loop: Header=BB632_990 Depth=2
	s_or_b64 exec, exec, s[78:79]
	s_and_saveexec_b64 s[78:79], s[44:45]
	s_cbranch_execz .LBB632_1152
.LBB632_1121:                           ;   in Loop: Header=BB632_990 Depth=2
	ds_read_b32 v60, v72 offset:4096
	s_waitcnt lgkmcnt(0)
	v_lshrrev_b32_e32 v60, s85, v60
	v_and_b32_e32 v143, s94, v60
	s_or_b64 exec, exec, s[78:79]
	s_and_saveexec_b64 s[78:79], s[46:47]
	s_cbranch_execnz .LBB632_1153
.LBB632_1122:                           ;   in Loop: Header=BB632_990 Depth=2
	s_or_b64 exec, exec, s[78:79]
	s_and_saveexec_b64 s[78:79], s[48:49]
	s_cbranch_execz .LBB632_1154
.LBB632_1123:                           ;   in Loop: Header=BB632_990 Depth=2
	ds_read_b32 v60, v72 offset:6144
	s_waitcnt lgkmcnt(0)
	v_lshrrev_b32_e32 v60, s85, v60
	v_and_b32_e32 v141, s94, v60
	s_or_b64 exec, exec, s[78:79]
	s_and_saveexec_b64 s[78:79], s[50:51]
	s_cbranch_execnz .LBB632_1155
.LBB632_1124:                           ;   in Loop: Header=BB632_990 Depth=2
	s_or_b64 exec, exec, s[78:79]
	s_and_saveexec_b64 s[78:79], s[52:53]
	s_cbranch_execz .LBB632_1156
.LBB632_1125:                           ;   in Loop: Header=BB632_990 Depth=2
	ds_read_b32 v60, v72 offset:8192
	s_waitcnt lgkmcnt(0)
	v_lshrrev_b32_e32 v60, s85, v60
	v_and_b32_e32 v139, s94, v60
	s_or_b64 exec, exec, s[78:79]
	s_and_saveexec_b64 s[78:79], s[54:55]
	s_cbranch_execnz .LBB632_1157
.LBB632_1126:                           ;   in Loop: Header=BB632_990 Depth=2
	s_or_b64 exec, exec, s[78:79]
	s_and_saveexec_b64 s[78:79], s[56:57]
	s_cbranch_execz .LBB632_1158
.LBB632_1127:                           ;   in Loop: Header=BB632_990 Depth=2
	ds_read_b32 v60, v72 offset:10240
	s_waitcnt lgkmcnt(0)
	v_lshrrev_b32_e32 v60, s85, v60
	v_and_b32_e32 v137, s94, v60
	s_or_b64 exec, exec, s[78:79]
	s_and_saveexec_b64 s[78:79], s[58:59]
	s_cbranch_execnz .LBB632_1159
.LBB632_1128:                           ;   in Loop: Header=BB632_990 Depth=2
	s_or_b64 exec, exec, s[78:79]
	s_and_saveexec_b64 s[78:79], s[60:61]
	s_cbranch_execz .LBB632_1160
.LBB632_1129:                           ;   in Loop: Header=BB632_990 Depth=2
	ds_read_b32 v60, v72 offset:12288
	s_waitcnt lgkmcnt(0)
	v_lshrrev_b32_e32 v60, s85, v60
	v_and_b32_e32 v135, s94, v60
	s_or_b64 exec, exec, s[78:79]
	s_and_saveexec_b64 s[78:79], s[62:63]
	s_cbranch_execnz .LBB632_1161
.LBB632_1130:                           ;   in Loop: Header=BB632_990 Depth=2
	s_or_b64 exec, exec, s[78:79]
	s_and_saveexec_b64 s[78:79], s[64:65]
	s_cbranch_execz .LBB632_1162
.LBB632_1131:                           ;   in Loop: Header=BB632_990 Depth=2
	ds_read_b32 v60, v72 offset:14336
	s_waitcnt lgkmcnt(0)
	v_lshrrev_b32_e32 v60, s85, v60
	v_and_b32_e32 v133, s94, v60
	s_or_b64 exec, exec, s[78:79]
	s_and_saveexec_b64 s[78:79], s[66:67]
	s_cbranch_execnz .LBB632_1163
	s_branch .LBB632_1164
.LBB632_1132:                           ;   in Loop: Header=BB632_990 Depth=2
	s_or_b64 exec, exec, s[78:79]
	v_cmp_lt_u32_e32 vcc, v110, v151
	s_and_saveexec_b64 s[78:79], vcc
	s_cbranch_execz .LBB632_1102
.LBB632_1133:                           ;   in Loop: Header=BB632_990 Depth=2
	global_load_dwordx2 v[56:57], v[60:61], off offset:512
	s_or_b64 exec, exec, s[78:79]
	v_cmp_lt_u32_e32 vcc, v111, v151
	s_and_saveexec_b64 s[78:79], vcc
	s_cbranch_execnz .LBB632_1103
.LBB632_1134:                           ;   in Loop: Header=BB632_990 Depth=2
	s_or_b64 exec, exec, s[78:79]
	v_cmp_lt_u32_e32 vcc, v112, v151
	s_and_saveexec_b64 s[78:79], vcc
	s_cbranch_execz .LBB632_1104
.LBB632_1135:                           ;   in Loop: Header=BB632_990 Depth=2
	global_load_dwordx2 v[50:51], v[60:61], off offset:1536
	s_or_b64 exec, exec, s[78:79]
	v_cmp_lt_u32_e32 vcc, v113, v151
	s_and_saveexec_b64 s[78:79], vcc
	s_cbranch_execnz .LBB632_1105
.LBB632_1136:                           ;   in Loop: Header=BB632_990 Depth=2
	s_or_b64 exec, exec, s[78:79]
	v_cmp_lt_u32_e32 vcc, v114, v151
	s_and_saveexec_b64 s[78:79], vcc
	s_cbranch_execz .LBB632_1106
.LBB632_1137:                           ;   in Loop: Header=BB632_990 Depth=2
	global_load_dwordx2 v[42:43], v[60:61], off offset:2560
	s_or_b64 exec, exec, s[78:79]
	v_cmp_lt_u32_e32 vcc, v115, v151
	s_and_saveexec_b64 s[78:79], vcc
	s_cbranch_execnz .LBB632_1107
.LBB632_1138:                           ;   in Loop: Header=BB632_990 Depth=2
	s_or_b64 exec, exec, s[78:79]
	v_cmp_lt_u32_e32 vcc, v116, v151
	s_and_saveexec_b64 s[78:79], vcc
	s_cbranch_execz .LBB632_1108
.LBB632_1139:                           ;   in Loop: Header=BB632_990 Depth=2
	global_load_dwordx2 v[34:35], v[60:61], off offset:3584
	s_or_b64 exec, exec, s[78:79]
	v_cmp_lt_u32_e32 vcc, v117, v151
	s_and_saveexec_b64 s[78:79], vcc
	s_cbranch_execnz .LBB632_1109
.LBB632_1140:                           ;   in Loop: Header=BB632_990 Depth=2
	s_or_b64 exec, exec, s[78:79]
	v_cmp_lt_u32_e32 vcc, v118, v151
	s_and_saveexec_b64 s[78:79], vcc
	s_cbranch_execz .LBB632_1110
.LBB632_1141:                           ;   in Loop: Header=BB632_990 Depth=2
	v_add_co_u32_e32 v48, vcc, 0x1000, v60
	v_addc_co_u32_e32 v49, vcc, 0, v61, vcc
	global_load_dwordx2 v[48:49], v[48:49], off offset:512
	s_or_b64 exec, exec, s[78:79]
	v_cmp_lt_u32_e32 vcc, v119, v151
	s_and_saveexec_b64 s[78:79], vcc
	s_cbranch_execnz .LBB632_1111
.LBB632_1142:                           ;   in Loop: Header=BB632_990 Depth=2
	s_or_b64 exec, exec, s[78:79]
	v_cmp_lt_u32_e32 vcc, v120, v151
	s_and_saveexec_b64 s[78:79], vcc
	s_cbranch_execz .LBB632_1112
.LBB632_1143:                           ;   in Loop: Header=BB632_990 Depth=2
	v_add_co_u32_e32 v40, vcc, 0x1000, v60
	v_addc_co_u32_e32 v41, vcc, 0, v61, vcc
	global_load_dwordx2 v[40:41], v[40:41], off offset:1536
	s_or_b64 exec, exec, s[78:79]
	v_cmp_lt_u32_e32 vcc, v121, v151
	s_and_saveexec_b64 s[78:79], vcc
	s_cbranch_execnz .LBB632_1113
.LBB632_1144:                           ;   in Loop: Header=BB632_990 Depth=2
	s_or_b64 exec, exec, s[78:79]
	v_cmp_lt_u32_e32 vcc, v122, v151
	s_and_saveexec_b64 s[78:79], vcc
	s_cbranch_execz .LBB632_1114
.LBB632_1145:                           ;   in Loop: Header=BB632_990 Depth=2
	v_add_co_u32_e32 v32, vcc, 0x1000, v60
	v_addc_co_u32_e32 v33, vcc, 0, v61, vcc
	global_load_dwordx2 v[32:33], v[32:33], off offset:2560
	s_or_b64 exec, exec, s[78:79]
	v_cmp_lt_u32_e32 vcc, v123, v151
	s_and_saveexec_b64 s[78:79], vcc
	s_cbranch_execnz .LBB632_1115
.LBB632_1146:                           ;   in Loop: Header=BB632_990 Depth=2
	s_or_b64 exec, exec, s[78:79]
	v_cmp_lt_u32_e32 vcc, v124, v151
	s_and_saveexec_b64 s[78:79], vcc
	s_cbranch_execz .LBB632_1116
.LBB632_1147:                           ;   in Loop: Header=BB632_990 Depth=2
	v_add_co_u32_e32 v0, vcc, 0x1000, v60
	v_addc_co_u32_e32 v1, vcc, 0, v61, vcc
	global_load_dwordx2 v[0:1], v[0:1], off offset:3584
	s_or_b64 exec, exec, s[78:79]
	s_and_saveexec_b64 s[78:79], s[36:37]
	s_cbranch_execnz .LBB632_1117
.LBB632_1148:                           ;   in Loop: Header=BB632_990 Depth=2
	s_or_b64 exec, exec, s[78:79]
	s_and_saveexec_b64 s[78:79], s[38:39]
	s_cbranch_execz .LBB632_1118
.LBB632_1149:                           ;   in Loop: Header=BB632_990 Depth=2
	ds_read_b32 v60, v72 offset:1024
	s_waitcnt lgkmcnt(0)
	v_lshrrev_b32_e32 v60, s85, v60
	v_and_b32_e32 v147, s94, v60
	s_or_b64 exec, exec, s[78:79]
	s_and_saveexec_b64 s[78:79], s[40:41]
	s_cbranch_execnz .LBB632_1119
.LBB632_1150:                           ;   in Loop: Header=BB632_990 Depth=2
	s_or_b64 exec, exec, s[78:79]
	s_and_saveexec_b64 s[78:79], s[42:43]
	s_cbranch_execz .LBB632_1120
.LBB632_1151:                           ;   in Loop: Header=BB632_990 Depth=2
	ds_read_b32 v60, v72 offset:3072
	s_waitcnt lgkmcnt(0)
	v_lshrrev_b32_e32 v60, s85, v60
	v_and_b32_e32 v144, s94, v60
	s_or_b64 exec, exec, s[78:79]
	s_and_saveexec_b64 s[78:79], s[44:45]
	s_cbranch_execnz .LBB632_1121
.LBB632_1152:                           ;   in Loop: Header=BB632_990 Depth=2
	s_or_b64 exec, exec, s[78:79]
	s_and_saveexec_b64 s[78:79], s[46:47]
	s_cbranch_execz .LBB632_1122
.LBB632_1153:                           ;   in Loop: Header=BB632_990 Depth=2
	ds_read_b32 v60, v72 offset:5120
	s_waitcnt lgkmcnt(0)
	v_lshrrev_b32_e32 v60, s85, v60
	v_and_b32_e32 v142, s94, v60
	s_or_b64 exec, exec, s[78:79]
	s_and_saveexec_b64 s[78:79], s[48:49]
	s_cbranch_execnz .LBB632_1123
.LBB632_1154:                           ;   in Loop: Header=BB632_990 Depth=2
	s_or_b64 exec, exec, s[78:79]
	s_and_saveexec_b64 s[78:79], s[50:51]
	s_cbranch_execz .LBB632_1124
.LBB632_1155:                           ;   in Loop: Header=BB632_990 Depth=2
	ds_read_b32 v60, v72 offset:7168
	s_waitcnt lgkmcnt(0)
	v_lshrrev_b32_e32 v60, s85, v60
	v_and_b32_e32 v140, s94, v60
	s_or_b64 exec, exec, s[78:79]
	s_and_saveexec_b64 s[78:79], s[52:53]
	s_cbranch_execnz .LBB632_1125
.LBB632_1156:                           ;   in Loop: Header=BB632_990 Depth=2
	s_or_b64 exec, exec, s[78:79]
	s_and_saveexec_b64 s[78:79], s[54:55]
	s_cbranch_execz .LBB632_1126
.LBB632_1157:                           ;   in Loop: Header=BB632_990 Depth=2
	ds_read_b32 v60, v72 offset:9216
	s_waitcnt lgkmcnt(0)
	v_lshrrev_b32_e32 v60, s85, v60
	v_and_b32_e32 v138, s94, v60
	s_or_b64 exec, exec, s[78:79]
	s_and_saveexec_b64 s[78:79], s[56:57]
	s_cbranch_execnz .LBB632_1127
.LBB632_1158:                           ;   in Loop: Header=BB632_990 Depth=2
	s_or_b64 exec, exec, s[78:79]
	s_and_saveexec_b64 s[78:79], s[58:59]
	s_cbranch_execz .LBB632_1128
.LBB632_1159:                           ;   in Loop: Header=BB632_990 Depth=2
	ds_read_b32 v60, v72 offset:11264
	s_waitcnt lgkmcnt(0)
	v_lshrrev_b32_e32 v60, s85, v60
	v_and_b32_e32 v136, s94, v60
	s_or_b64 exec, exec, s[78:79]
	s_and_saveexec_b64 s[78:79], s[60:61]
	s_cbranch_execnz .LBB632_1129
.LBB632_1160:                           ;   in Loop: Header=BB632_990 Depth=2
	s_or_b64 exec, exec, s[78:79]
	s_and_saveexec_b64 s[78:79], s[62:63]
	s_cbranch_execz .LBB632_1130
.LBB632_1161:                           ;   in Loop: Header=BB632_990 Depth=2
	ds_read_b32 v60, v72 offset:13312
	s_waitcnt lgkmcnt(0)
	v_lshrrev_b32_e32 v60, s85, v60
	v_and_b32_e32 v134, s94, v60
	s_or_b64 exec, exec, s[78:79]
	s_and_saveexec_b64 s[78:79], s[64:65]
	s_cbranch_execnz .LBB632_1131
.LBB632_1162:                           ;   in Loop: Header=BB632_990 Depth=2
	s_or_b64 exec, exec, s[78:79]
	s_and_saveexec_b64 s[78:79], s[66:67]
	s_cbranch_execz .LBB632_1164
.LBB632_1163:                           ;   in Loop: Header=BB632_990 Depth=2
	ds_read_b32 v60, v72 offset:15360
	s_waitcnt lgkmcnt(0)
	v_lshrrev_b32_e32 v60, s85, v60
	v_and_b32_e32 v132, s94, v60
.LBB632_1164:                           ;   in Loop: Header=BB632_990 Depth=2
	s_or_b64 exec, exec, s[78:79]
	v_lshlrev_b32_e32 v60, 3, v172
	s_barrier
	s_waitcnt vmcnt(0)
	ds_write_b64 v60, v[58:59] offset:1024
	v_lshlrev_b32_e32 v60, 3, v168
	ds_write_b64 v60, v[56:57] offset:1024
	v_lshlrev_b32_e32 v60, 3, v167
	;; [unrolled: 2-line block ×15, first 2 shown]
	ds_write_b64 v60, v[0:1] offset:1024
	s_waitcnt lgkmcnt(0)
	s_barrier
	s_and_saveexec_b64 s[78:79], s[36:37]
	s_cbranch_execz .LBB632_1180
; %bb.1165:                             ;   in Loop: Header=BB632_990 Depth=2
	v_lshlrev_b32_e32 v60, 2, v149
	ds_read_b32 v62, v60
	ds_read_b64 v[60:61], v73 offset:1024
	v_mov_b32_e32 v63, v4
	v_mov_b32_e32 v151, s83
	s_waitcnt lgkmcnt(1)
	v_add_u32_e32 v62, v62, v2
	v_lshlrev_b64 v[62:63], 3, v[62:63]
	v_add_co_u32_e32 v62, vcc, s82, v62
	v_addc_co_u32_e32 v63, vcc, v151, v63, vcc
	s_waitcnt lgkmcnt(0)
	global_store_dwordx2 v[62:63], v[60:61], off
	s_or_b64 exec, exec, s[78:79]
	v_add_u32_e32 v60, v72, v3
	s_and_saveexec_b64 s[36:37], s[38:39]
	s_cbranch_execnz .LBB632_1181
.LBB632_1166:                           ;   in Loop: Header=BB632_990 Depth=2
	s_or_b64 exec, exec, s[36:37]
	s_and_saveexec_b64 s[36:37], s[40:41]
	s_cbranch_execz .LBB632_1182
.LBB632_1167:                           ;   in Loop: Header=BB632_990 Depth=2
	v_lshlrev_b32_e32 v61, 2, v146
	ds_read_b32 v61, v61
	ds_read_b64 v[62:63], v60 offset:4096
	v_mov_b32_e32 v153, v4
	v_mov_b32_e32 v151, s83
	s_waitcnt lgkmcnt(1)
	v_add_u32_e32 v152, v61, v9
	v_lshlrev_b64 v[152:153], 3, v[152:153]
	v_add_co_u32_e32 v152, vcc, s82, v152
	v_addc_co_u32_e32 v153, vcc, v151, v153, vcc
	s_waitcnt lgkmcnt(0)
	global_store_dwordx2 v[152:153], v[62:63], off
	s_or_b64 exec, exec, s[36:37]
	s_and_saveexec_b64 s[36:37], s[42:43]
	s_cbranch_execnz .LBB632_1183
.LBB632_1168:                           ;   in Loop: Header=BB632_990 Depth=2
	s_or_b64 exec, exec, s[36:37]
	s_and_saveexec_b64 s[36:37], s[44:45]
	s_cbranch_execz .LBB632_1184
.LBB632_1169:                           ;   in Loop: Header=BB632_990 Depth=2
	v_lshlrev_b32_e32 v61, 2, v143
	ds_read_b32 v61, v61
	ds_read_b64 v[62:63], v60 offset:8192
	v_mov_b32_e32 v153, v4
	v_mov_b32_e32 v151, s83
	s_waitcnt lgkmcnt(1)
	v_add_u32_e32 v152, v61, v6
	v_lshlrev_b64 v[152:153], 3, v[152:153]
	v_add_co_u32_e32 v152, vcc, s82, v152
	v_addc_co_u32_e32 v153, vcc, v151, v153, vcc
	s_waitcnt lgkmcnt(0)
	global_store_dwordx2 v[152:153], v[62:63], off
	s_or_b64 exec, exec, s[36:37]
	s_and_saveexec_b64 s[36:37], s[46:47]
	s_cbranch_execnz .LBB632_1185
.LBB632_1170:                           ;   in Loop: Header=BB632_990 Depth=2
	s_or_b64 exec, exec, s[36:37]
	s_and_saveexec_b64 s[36:37], s[48:49]
	s_cbranch_execz .LBB632_1186
.LBB632_1171:                           ;   in Loop: Header=BB632_990 Depth=2
	v_lshlrev_b32_e32 v61, 2, v141
	ds_read_b32 v61, v61
	ds_read_b64 v[62:63], v60 offset:12288
	v_mov_b32_e32 v153, v4
	v_mov_b32_e32 v151, s83
	s_waitcnt lgkmcnt(1)
	v_add_u32_e32 v152, v61, v10
	v_lshlrev_b64 v[152:153], 3, v[152:153]
	v_add_co_u32_e32 v152, vcc, s82, v152
	v_addc_co_u32_e32 v153, vcc, v151, v153, vcc
	s_waitcnt lgkmcnt(0)
	global_store_dwordx2 v[152:153], v[62:63], off
	s_or_b64 exec, exec, s[36:37]
	s_and_saveexec_b64 s[36:37], s[50:51]
	s_cbranch_execnz .LBB632_1187
.LBB632_1172:                           ;   in Loop: Header=BB632_990 Depth=2
	s_or_b64 exec, exec, s[36:37]
	s_and_saveexec_b64 s[36:37], s[52:53]
	s_cbranch_execz .LBB632_1188
.LBB632_1173:                           ;   in Loop: Header=BB632_990 Depth=2
	v_lshlrev_b32_e32 v61, 2, v139
	ds_read_b32 v61, v61
	ds_read_b64 v[62:63], v60 offset:16384
	v_mov_b32_e32 v153, v4
	v_mov_b32_e32 v151, s83
	s_waitcnt lgkmcnt(1)
	v_add_u32_e32 v152, v61, v14
	v_lshlrev_b64 v[152:153], 3, v[152:153]
	v_add_co_u32_e32 v152, vcc, s82, v152
	v_addc_co_u32_e32 v153, vcc, v151, v153, vcc
	s_waitcnt lgkmcnt(0)
	global_store_dwordx2 v[152:153], v[62:63], off
	s_or_b64 exec, exec, s[36:37]
	s_and_saveexec_b64 s[36:37], s[54:55]
	s_cbranch_execnz .LBB632_1189
.LBB632_1174:                           ;   in Loop: Header=BB632_990 Depth=2
	s_or_b64 exec, exec, s[36:37]
	s_and_saveexec_b64 s[36:37], s[56:57]
	s_cbranch_execz .LBB632_1190
.LBB632_1175:                           ;   in Loop: Header=BB632_990 Depth=2
	v_lshlrev_b32_e32 v61, 2, v137
	ds_read_b32 v61, v61
	ds_read_b64 v[62:63], v60 offset:20480
	v_mov_b32_e32 v153, v4
	v_mov_b32_e32 v151, s83
	s_waitcnt lgkmcnt(1)
	v_add_u32_e32 v152, v61, v18
	v_lshlrev_b64 v[152:153], 3, v[152:153]
	v_add_co_u32_e32 v152, vcc, s82, v152
	v_addc_co_u32_e32 v153, vcc, v151, v153, vcc
	s_waitcnt lgkmcnt(0)
	global_store_dwordx2 v[152:153], v[62:63], off
	s_or_b64 exec, exec, s[36:37]
	s_and_saveexec_b64 s[36:37], s[58:59]
	s_cbranch_execnz .LBB632_1191
.LBB632_1176:                           ;   in Loop: Header=BB632_990 Depth=2
	s_or_b64 exec, exec, s[36:37]
	s_and_saveexec_b64 s[36:37], s[60:61]
	s_cbranch_execz .LBB632_1192
.LBB632_1177:                           ;   in Loop: Header=BB632_990 Depth=2
	v_lshlrev_b32_e32 v61, 2, v135
	ds_read_b32 v61, v61
	ds_read_b64 v[62:63], v60 offset:24576
	v_mov_b32_e32 v153, v4
	v_mov_b32_e32 v151, s83
	s_waitcnt lgkmcnt(1)
	v_add_u32_e32 v152, v61, v22
	v_lshlrev_b64 v[152:153], 3, v[152:153]
	v_add_co_u32_e32 v152, vcc, s82, v152
	v_addc_co_u32_e32 v153, vcc, v151, v153, vcc
	s_waitcnt lgkmcnt(0)
	global_store_dwordx2 v[152:153], v[62:63], off
	s_or_b64 exec, exec, s[36:37]
	s_and_saveexec_b64 s[36:37], s[62:63]
	s_cbranch_execnz .LBB632_1193
.LBB632_1178:                           ;   in Loop: Header=BB632_990 Depth=2
	s_or_b64 exec, exec, s[36:37]
	s_and_saveexec_b64 s[36:37], s[64:65]
	s_cbranch_execz .LBB632_1194
.LBB632_1179:                           ;   in Loop: Header=BB632_990 Depth=2
	v_lshlrev_b32_e32 v61, 2, v133
	ds_read_b32 v61, v61
	ds_read_b64 v[62:63], v60 offset:28672
	v_mov_b32_e32 v153, v4
	v_mov_b32_e32 v151, s83
	s_waitcnt lgkmcnt(1)
	v_add_u32_e32 v152, v61, v26
	v_lshlrev_b64 v[152:153], 3, v[152:153]
	v_add_co_u32_e32 v152, vcc, s82, v152
	v_addc_co_u32_e32 v153, vcc, v151, v153, vcc
	s_waitcnt lgkmcnt(0)
	global_store_dwordx2 v[152:153], v[62:63], off
	s_or_b64 exec, exec, s[36:37]
	s_and_saveexec_b64 s[36:37], s[66:67]
	s_cbranch_execnz .LBB632_1195
	s_branch .LBB632_1196
.LBB632_1180:                           ;   in Loop: Header=BB632_990 Depth=2
	s_or_b64 exec, exec, s[78:79]
	v_add_u32_e32 v60, v72, v3
	s_and_saveexec_b64 s[36:37], s[38:39]
	s_cbranch_execz .LBB632_1166
.LBB632_1181:                           ;   in Loop: Header=BB632_990 Depth=2
	v_lshlrev_b32_e32 v61, 2, v147
	ds_read_b32 v61, v61
	ds_read_b64 v[62:63], v60 offset:2048
	v_mov_b32_e32 v153, v4
	v_mov_b32_e32 v151, s83
	s_waitcnt lgkmcnt(1)
	v_add_u32_e32 v152, v61, v7
	v_lshlrev_b64 v[152:153], 3, v[152:153]
	v_add_co_u32_e32 v152, vcc, s82, v152
	v_addc_co_u32_e32 v153, vcc, v151, v153, vcc
	s_waitcnt lgkmcnt(0)
	global_store_dwordx2 v[152:153], v[62:63], off
	s_or_b64 exec, exec, s[36:37]
	s_and_saveexec_b64 s[36:37], s[40:41]
	s_cbranch_execnz .LBB632_1167
.LBB632_1182:                           ;   in Loop: Header=BB632_990 Depth=2
	s_or_b64 exec, exec, s[36:37]
	s_and_saveexec_b64 s[36:37], s[42:43]
	s_cbranch_execz .LBB632_1168
.LBB632_1183:                           ;   in Loop: Header=BB632_990 Depth=2
	v_lshlrev_b32_e32 v61, 2, v144
	ds_read_b32 v61, v61
	ds_read_b64 v[62:63], v60 offset:6144
	v_mov_b32_e32 v153, v4
	v_mov_b32_e32 v151, s83
	s_waitcnt lgkmcnt(1)
	v_add_u32_e32 v152, v61, v11
	v_lshlrev_b64 v[152:153], 3, v[152:153]
	v_add_co_u32_e32 v152, vcc, s82, v152
	v_addc_co_u32_e32 v153, vcc, v151, v153, vcc
	s_waitcnt lgkmcnt(0)
	global_store_dwordx2 v[152:153], v[62:63], off
	s_or_b64 exec, exec, s[36:37]
	s_and_saveexec_b64 s[36:37], s[44:45]
	s_cbranch_execnz .LBB632_1169
.LBB632_1184:                           ;   in Loop: Header=BB632_990 Depth=2
	s_or_b64 exec, exec, s[36:37]
	s_and_saveexec_b64 s[36:37], s[46:47]
	s_cbranch_execz .LBB632_1170
.LBB632_1185:                           ;   in Loop: Header=BB632_990 Depth=2
	v_lshlrev_b32_e32 v61, 2, v142
	ds_read_b32 v61, v61
	ds_read_b64 v[62:63], v60 offset:10240
	v_mov_b32_e32 v153, v4
	v_mov_b32_e32 v151, s83
	s_waitcnt lgkmcnt(1)
	v_add_u32_e32 v152, v61, v8
	v_lshlrev_b64 v[152:153], 3, v[152:153]
	v_add_co_u32_e32 v152, vcc, s82, v152
	v_addc_co_u32_e32 v153, vcc, v151, v153, vcc
	s_waitcnt lgkmcnt(0)
	global_store_dwordx2 v[152:153], v[62:63], off
	s_or_b64 exec, exec, s[36:37]
	s_and_saveexec_b64 s[36:37], s[48:49]
	s_cbranch_execnz .LBB632_1171
.LBB632_1186:                           ;   in Loop: Header=BB632_990 Depth=2
	s_or_b64 exec, exec, s[36:37]
	s_and_saveexec_b64 s[36:37], s[50:51]
	s_cbranch_execz .LBB632_1172
.LBB632_1187:                           ;   in Loop: Header=BB632_990 Depth=2
	v_lshlrev_b32_e32 v61, 2, v140
	ds_read_b32 v61, v61
	ds_read_b64 v[62:63], v60 offset:14336
	v_mov_b32_e32 v153, v4
	v_mov_b32_e32 v151, s83
	s_waitcnt lgkmcnt(1)
	v_add_u32_e32 v152, v61, v12
	v_lshlrev_b64 v[152:153], 3, v[152:153]
	v_add_co_u32_e32 v152, vcc, s82, v152
	v_addc_co_u32_e32 v153, vcc, v151, v153, vcc
	s_waitcnt lgkmcnt(0)
	global_store_dwordx2 v[152:153], v[62:63], off
	s_or_b64 exec, exec, s[36:37]
	s_and_saveexec_b64 s[36:37], s[52:53]
	s_cbranch_execnz .LBB632_1173
.LBB632_1188:                           ;   in Loop: Header=BB632_990 Depth=2
	s_or_b64 exec, exec, s[36:37]
	s_and_saveexec_b64 s[36:37], s[54:55]
	s_cbranch_execz .LBB632_1174
.LBB632_1189:                           ;   in Loop: Header=BB632_990 Depth=2
	v_lshlrev_b32_e32 v61, 2, v138
	ds_read_b32 v61, v61
	ds_read_b64 v[62:63], v60 offset:18432
	v_mov_b32_e32 v153, v4
	v_mov_b32_e32 v151, s83
	s_waitcnt lgkmcnt(1)
	v_add_u32_e32 v152, v61, v16
	v_lshlrev_b64 v[152:153], 3, v[152:153]
	v_add_co_u32_e32 v152, vcc, s82, v152
	v_addc_co_u32_e32 v153, vcc, v151, v153, vcc
	s_waitcnt lgkmcnt(0)
	global_store_dwordx2 v[152:153], v[62:63], off
	s_or_b64 exec, exec, s[36:37]
	s_and_saveexec_b64 s[36:37], s[56:57]
	s_cbranch_execnz .LBB632_1175
.LBB632_1190:                           ;   in Loop: Header=BB632_990 Depth=2
	s_or_b64 exec, exec, s[36:37]
	s_and_saveexec_b64 s[36:37], s[58:59]
	s_cbranch_execz .LBB632_1176
.LBB632_1191:                           ;   in Loop: Header=BB632_990 Depth=2
	v_lshlrev_b32_e32 v61, 2, v136
	ds_read_b32 v61, v61
	ds_read_b64 v[62:63], v60 offset:22528
	v_mov_b32_e32 v153, v4
	v_mov_b32_e32 v151, s83
	s_waitcnt lgkmcnt(1)
	v_add_u32_e32 v152, v61, v20
	v_lshlrev_b64 v[152:153], 3, v[152:153]
	v_add_co_u32_e32 v152, vcc, s82, v152
	v_addc_co_u32_e32 v153, vcc, v151, v153, vcc
	s_waitcnt lgkmcnt(0)
	global_store_dwordx2 v[152:153], v[62:63], off
	s_or_b64 exec, exec, s[36:37]
	s_and_saveexec_b64 s[36:37], s[60:61]
	s_cbranch_execnz .LBB632_1177
.LBB632_1192:                           ;   in Loop: Header=BB632_990 Depth=2
	s_or_b64 exec, exec, s[36:37]
	s_and_saveexec_b64 s[36:37], s[62:63]
	s_cbranch_execz .LBB632_1178
.LBB632_1193:                           ;   in Loop: Header=BB632_990 Depth=2
	v_lshlrev_b32_e32 v61, 2, v134
	ds_read_b32 v61, v61
	ds_read_b64 v[62:63], v60 offset:26624
	v_mov_b32_e32 v153, v4
	v_mov_b32_e32 v151, s83
	s_waitcnt lgkmcnt(1)
	v_add_u32_e32 v152, v61, v24
	v_lshlrev_b64 v[152:153], 3, v[152:153]
	v_add_co_u32_e32 v152, vcc, s82, v152
	v_addc_co_u32_e32 v153, vcc, v151, v153, vcc
	s_waitcnt lgkmcnt(0)
	global_store_dwordx2 v[152:153], v[62:63], off
	s_or_b64 exec, exec, s[36:37]
	s_and_saveexec_b64 s[36:37], s[64:65]
	s_cbranch_execnz .LBB632_1179
.LBB632_1194:                           ;   in Loop: Header=BB632_990 Depth=2
	s_or_b64 exec, exec, s[36:37]
	s_and_saveexec_b64 s[36:37], s[66:67]
	s_cbranch_execz .LBB632_1196
.LBB632_1195:                           ;   in Loop: Header=BB632_990 Depth=2
	v_lshlrev_b32_e32 v61, 2, v132
	ds_read_b32 v62, v61
	ds_read_b64 v[60:61], v60 offset:30720
	v_mov_b32_e32 v63, v4
	v_mov_b32_e32 v151, s83
	s_waitcnt lgkmcnt(1)
	v_add_u32_e32 v62, v62, v28
	v_lshlrev_b64 v[62:63], 3, v[62:63]
	v_add_co_u32_e32 v62, vcc, s82, v62
	v_addc_co_u32_e32 v63, vcc, v151, v63, vcc
	s_waitcnt lgkmcnt(0)
	global_store_dwordx2 v[62:63], v[60:61], off
.LBB632_1196:                           ;   in Loop: Header=BB632_990 Depth=2
	s_or_b64 exec, exec, s[36:37]
	s_barrier
	s_and_saveexec_b64 s[36:37], s[4:5]
	s_cbranch_execz .LBB632_989
; %bb.1197:                             ;   in Loop: Header=BB632_990 Depth=2
	ds_read_b32 v60, v3
	s_waitcnt lgkmcnt(0)
	v_add_u32_e32 v5, v60, v5
	ds_write_b32 v3, v5
	s_branch .LBB632_989
.LBB632_1198:
	s_endpgm
	.section	.rodata,"a",@progbits
	.p2align	6, 0x0
	.amdhsa_kernel _ZN7rocprim17ROCPRIM_400000_NS6detail17trampoline_kernelINS0_14default_configENS1_36segmented_radix_sort_config_selectorIilEEZNS1_25segmented_radix_sort_implIS3_Lb0EPKiPiPKlPlN2at6native12_GLOBAL__N_18offset_tEEE10hipError_tPvRmT1_PNSt15iterator_traitsISK_E10value_typeET2_T3_PNSL_ISQ_E10value_typeET4_jRbjT5_SW_jjP12ihipStream_tbEUlT_E2_NS1_11comp_targetILNS1_3genE4ELNS1_11target_archE910ELNS1_3gpuE8ELNS1_3repE0EEENS1_30default_config_static_selectorELNS0_4arch9wavefront6targetE1EEEvSK_
		.amdhsa_group_segment_fixed_size 33808
		.amdhsa_private_segment_fixed_size 264
		.amdhsa_kernarg_size 336
		.amdhsa_user_sgpr_count 8
		.amdhsa_user_sgpr_private_segment_buffer 1
		.amdhsa_user_sgpr_dispatch_ptr 0
		.amdhsa_user_sgpr_queue_ptr 0
		.amdhsa_user_sgpr_kernarg_segment_ptr 1
		.amdhsa_user_sgpr_dispatch_id 0
		.amdhsa_user_sgpr_flat_scratch_init 1
		.amdhsa_user_sgpr_kernarg_preload_length 0
		.amdhsa_user_sgpr_kernarg_preload_offset 0
		.amdhsa_user_sgpr_private_segment_size 0
		.amdhsa_uses_dynamic_stack 0
		.amdhsa_system_sgpr_private_segment_wavefront_offset 1
		.amdhsa_system_sgpr_workgroup_id_x 1
		.amdhsa_system_sgpr_workgroup_id_y 1
		.amdhsa_system_sgpr_workgroup_id_z 0
		.amdhsa_system_sgpr_workgroup_info 0
		.amdhsa_system_vgpr_workitem_id 2
		.amdhsa_next_free_vgpr 280
		.amdhsa_next_free_sgpr 97
		.amdhsa_accum_offset 248
		.amdhsa_reserve_vcc 1
		.amdhsa_reserve_flat_scratch 1
		.amdhsa_float_round_mode_32 0
		.amdhsa_float_round_mode_16_64 0
		.amdhsa_float_denorm_mode_32 3
		.amdhsa_float_denorm_mode_16_64 3
		.amdhsa_dx10_clamp 1
		.amdhsa_ieee_mode 1
		.amdhsa_fp16_overflow 0
		.amdhsa_tg_split 0
		.amdhsa_exception_fp_ieee_invalid_op 0
		.amdhsa_exception_fp_denorm_src 0
		.amdhsa_exception_fp_ieee_div_zero 0
		.amdhsa_exception_fp_ieee_overflow 0
		.amdhsa_exception_fp_ieee_underflow 0
		.amdhsa_exception_fp_ieee_inexact 0
		.amdhsa_exception_int_div_zero 0
	.end_amdhsa_kernel
	.section	.text._ZN7rocprim17ROCPRIM_400000_NS6detail17trampoline_kernelINS0_14default_configENS1_36segmented_radix_sort_config_selectorIilEEZNS1_25segmented_radix_sort_implIS3_Lb0EPKiPiPKlPlN2at6native12_GLOBAL__N_18offset_tEEE10hipError_tPvRmT1_PNSt15iterator_traitsISK_E10value_typeET2_T3_PNSL_ISQ_E10value_typeET4_jRbjT5_SW_jjP12ihipStream_tbEUlT_E2_NS1_11comp_targetILNS1_3genE4ELNS1_11target_archE910ELNS1_3gpuE8ELNS1_3repE0EEENS1_30default_config_static_selectorELNS0_4arch9wavefront6targetE1EEEvSK_,"axG",@progbits,_ZN7rocprim17ROCPRIM_400000_NS6detail17trampoline_kernelINS0_14default_configENS1_36segmented_radix_sort_config_selectorIilEEZNS1_25segmented_radix_sort_implIS3_Lb0EPKiPiPKlPlN2at6native12_GLOBAL__N_18offset_tEEE10hipError_tPvRmT1_PNSt15iterator_traitsISK_E10value_typeET2_T3_PNSL_ISQ_E10value_typeET4_jRbjT5_SW_jjP12ihipStream_tbEUlT_E2_NS1_11comp_targetILNS1_3genE4ELNS1_11target_archE910ELNS1_3gpuE8ELNS1_3repE0EEENS1_30default_config_static_selectorELNS0_4arch9wavefront6targetE1EEEvSK_,comdat
.Lfunc_end632:
	.size	_ZN7rocprim17ROCPRIM_400000_NS6detail17trampoline_kernelINS0_14default_configENS1_36segmented_radix_sort_config_selectorIilEEZNS1_25segmented_radix_sort_implIS3_Lb0EPKiPiPKlPlN2at6native12_GLOBAL__N_18offset_tEEE10hipError_tPvRmT1_PNSt15iterator_traitsISK_E10value_typeET2_T3_PNSL_ISQ_E10value_typeET4_jRbjT5_SW_jjP12ihipStream_tbEUlT_E2_NS1_11comp_targetILNS1_3genE4ELNS1_11target_archE910ELNS1_3gpuE8ELNS1_3repE0EEENS1_30default_config_static_selectorELNS0_4arch9wavefront6targetE1EEEvSK_, .Lfunc_end632-_ZN7rocprim17ROCPRIM_400000_NS6detail17trampoline_kernelINS0_14default_configENS1_36segmented_radix_sort_config_selectorIilEEZNS1_25segmented_radix_sort_implIS3_Lb0EPKiPiPKlPlN2at6native12_GLOBAL__N_18offset_tEEE10hipError_tPvRmT1_PNSt15iterator_traitsISK_E10value_typeET2_T3_PNSL_ISQ_E10value_typeET4_jRbjT5_SW_jjP12ihipStream_tbEUlT_E2_NS1_11comp_targetILNS1_3genE4ELNS1_11target_archE910ELNS1_3gpuE8ELNS1_3repE0EEENS1_30default_config_static_selectorELNS0_4arch9wavefront6targetE1EEEvSK_
                                        ; -- End function
	.section	.AMDGPU.csdata,"",@progbits
; Kernel info:
; codeLenInByte = 63964
; NumSgprs: 103
; NumVgprs: 248
; NumAgprs: 32
; TotalNumVgprs: 280
; ScratchSize: 264
; MemoryBound: 0
; FloatMode: 240
; IeeeMode: 1
; LDSByteSize: 33808 bytes/workgroup (compile time only)
; SGPRBlocks: 12
; VGPRBlocks: 34
; NumSGPRsForWavesPerEU: 103
; NumVGPRsForWavesPerEU: 280
; AccumOffset: 248
; Occupancy: 1
; WaveLimiterHint : 1
; COMPUTE_PGM_RSRC2:SCRATCH_EN: 1
; COMPUTE_PGM_RSRC2:USER_SGPR: 8
; COMPUTE_PGM_RSRC2:TRAP_HANDLER: 0
; COMPUTE_PGM_RSRC2:TGID_X_EN: 1
; COMPUTE_PGM_RSRC2:TGID_Y_EN: 1
; COMPUTE_PGM_RSRC2:TGID_Z_EN: 0
; COMPUTE_PGM_RSRC2:TIDIG_COMP_CNT: 2
; COMPUTE_PGM_RSRC3_GFX90A:ACCUM_OFFSET: 61
; COMPUTE_PGM_RSRC3_GFX90A:TG_SPLIT: 0
	.section	.text._ZN7rocprim17ROCPRIM_400000_NS6detail17trampoline_kernelINS0_14default_configENS1_36segmented_radix_sort_config_selectorIilEEZNS1_25segmented_radix_sort_implIS3_Lb0EPKiPiPKlPlN2at6native12_GLOBAL__N_18offset_tEEE10hipError_tPvRmT1_PNSt15iterator_traitsISK_E10value_typeET2_T3_PNSL_ISQ_E10value_typeET4_jRbjT5_SW_jjP12ihipStream_tbEUlT_E2_NS1_11comp_targetILNS1_3genE3ELNS1_11target_archE908ELNS1_3gpuE7ELNS1_3repE0EEENS1_30default_config_static_selectorELNS0_4arch9wavefront6targetE1EEEvSK_,"axG",@progbits,_ZN7rocprim17ROCPRIM_400000_NS6detail17trampoline_kernelINS0_14default_configENS1_36segmented_radix_sort_config_selectorIilEEZNS1_25segmented_radix_sort_implIS3_Lb0EPKiPiPKlPlN2at6native12_GLOBAL__N_18offset_tEEE10hipError_tPvRmT1_PNSt15iterator_traitsISK_E10value_typeET2_T3_PNSL_ISQ_E10value_typeET4_jRbjT5_SW_jjP12ihipStream_tbEUlT_E2_NS1_11comp_targetILNS1_3genE3ELNS1_11target_archE908ELNS1_3gpuE7ELNS1_3repE0EEENS1_30default_config_static_selectorELNS0_4arch9wavefront6targetE1EEEvSK_,comdat
	.globl	_ZN7rocprim17ROCPRIM_400000_NS6detail17trampoline_kernelINS0_14default_configENS1_36segmented_radix_sort_config_selectorIilEEZNS1_25segmented_radix_sort_implIS3_Lb0EPKiPiPKlPlN2at6native12_GLOBAL__N_18offset_tEEE10hipError_tPvRmT1_PNSt15iterator_traitsISK_E10value_typeET2_T3_PNSL_ISQ_E10value_typeET4_jRbjT5_SW_jjP12ihipStream_tbEUlT_E2_NS1_11comp_targetILNS1_3genE3ELNS1_11target_archE908ELNS1_3gpuE7ELNS1_3repE0EEENS1_30default_config_static_selectorELNS0_4arch9wavefront6targetE1EEEvSK_ ; -- Begin function _ZN7rocprim17ROCPRIM_400000_NS6detail17trampoline_kernelINS0_14default_configENS1_36segmented_radix_sort_config_selectorIilEEZNS1_25segmented_radix_sort_implIS3_Lb0EPKiPiPKlPlN2at6native12_GLOBAL__N_18offset_tEEE10hipError_tPvRmT1_PNSt15iterator_traitsISK_E10value_typeET2_T3_PNSL_ISQ_E10value_typeET4_jRbjT5_SW_jjP12ihipStream_tbEUlT_E2_NS1_11comp_targetILNS1_3genE3ELNS1_11target_archE908ELNS1_3gpuE7ELNS1_3repE0EEENS1_30default_config_static_selectorELNS0_4arch9wavefront6targetE1EEEvSK_
	.p2align	8
	.type	_ZN7rocprim17ROCPRIM_400000_NS6detail17trampoline_kernelINS0_14default_configENS1_36segmented_radix_sort_config_selectorIilEEZNS1_25segmented_radix_sort_implIS3_Lb0EPKiPiPKlPlN2at6native12_GLOBAL__N_18offset_tEEE10hipError_tPvRmT1_PNSt15iterator_traitsISK_E10value_typeET2_T3_PNSL_ISQ_E10value_typeET4_jRbjT5_SW_jjP12ihipStream_tbEUlT_E2_NS1_11comp_targetILNS1_3genE3ELNS1_11target_archE908ELNS1_3gpuE7ELNS1_3repE0EEENS1_30default_config_static_selectorELNS0_4arch9wavefront6targetE1EEEvSK_,@function
_ZN7rocprim17ROCPRIM_400000_NS6detail17trampoline_kernelINS0_14default_configENS1_36segmented_radix_sort_config_selectorIilEEZNS1_25segmented_radix_sort_implIS3_Lb0EPKiPiPKlPlN2at6native12_GLOBAL__N_18offset_tEEE10hipError_tPvRmT1_PNSt15iterator_traitsISK_E10value_typeET2_T3_PNSL_ISQ_E10value_typeET4_jRbjT5_SW_jjP12ihipStream_tbEUlT_E2_NS1_11comp_targetILNS1_3genE3ELNS1_11target_archE908ELNS1_3gpuE7ELNS1_3repE0EEENS1_30default_config_static_selectorELNS0_4arch9wavefront6targetE1EEEvSK_: ; @_ZN7rocprim17ROCPRIM_400000_NS6detail17trampoline_kernelINS0_14default_configENS1_36segmented_radix_sort_config_selectorIilEEZNS1_25segmented_radix_sort_implIS3_Lb0EPKiPiPKlPlN2at6native12_GLOBAL__N_18offset_tEEE10hipError_tPvRmT1_PNSt15iterator_traitsISK_E10value_typeET2_T3_PNSL_ISQ_E10value_typeET4_jRbjT5_SW_jjP12ihipStream_tbEUlT_E2_NS1_11comp_targetILNS1_3genE3ELNS1_11target_archE908ELNS1_3gpuE7ELNS1_3repE0EEENS1_30default_config_static_selectorELNS0_4arch9wavefront6targetE1EEEvSK_
; %bb.0:
	.section	.rodata,"a",@progbits
	.p2align	6, 0x0
	.amdhsa_kernel _ZN7rocprim17ROCPRIM_400000_NS6detail17trampoline_kernelINS0_14default_configENS1_36segmented_radix_sort_config_selectorIilEEZNS1_25segmented_radix_sort_implIS3_Lb0EPKiPiPKlPlN2at6native12_GLOBAL__N_18offset_tEEE10hipError_tPvRmT1_PNSt15iterator_traitsISK_E10value_typeET2_T3_PNSL_ISQ_E10value_typeET4_jRbjT5_SW_jjP12ihipStream_tbEUlT_E2_NS1_11comp_targetILNS1_3genE3ELNS1_11target_archE908ELNS1_3gpuE7ELNS1_3repE0EEENS1_30default_config_static_selectorELNS0_4arch9wavefront6targetE1EEEvSK_
		.amdhsa_group_segment_fixed_size 0
		.amdhsa_private_segment_fixed_size 0
		.amdhsa_kernarg_size 80
		.amdhsa_user_sgpr_count 6
		.amdhsa_user_sgpr_private_segment_buffer 1
		.amdhsa_user_sgpr_dispatch_ptr 0
		.amdhsa_user_sgpr_queue_ptr 0
		.amdhsa_user_sgpr_kernarg_segment_ptr 1
		.amdhsa_user_sgpr_dispatch_id 0
		.amdhsa_user_sgpr_flat_scratch_init 0
		.amdhsa_user_sgpr_kernarg_preload_length 0
		.amdhsa_user_sgpr_kernarg_preload_offset 0
		.amdhsa_user_sgpr_private_segment_size 0
		.amdhsa_uses_dynamic_stack 0
		.amdhsa_system_sgpr_private_segment_wavefront_offset 0
		.amdhsa_system_sgpr_workgroup_id_x 1
		.amdhsa_system_sgpr_workgroup_id_y 0
		.amdhsa_system_sgpr_workgroup_id_z 0
		.amdhsa_system_sgpr_workgroup_info 0
		.amdhsa_system_vgpr_workitem_id 0
		.amdhsa_next_free_vgpr 1
		.amdhsa_next_free_sgpr 0
		.amdhsa_accum_offset 4
		.amdhsa_reserve_vcc 0
		.amdhsa_reserve_flat_scratch 0
		.amdhsa_float_round_mode_32 0
		.amdhsa_float_round_mode_16_64 0
		.amdhsa_float_denorm_mode_32 3
		.amdhsa_float_denorm_mode_16_64 3
		.amdhsa_dx10_clamp 1
		.amdhsa_ieee_mode 1
		.amdhsa_fp16_overflow 0
		.amdhsa_tg_split 0
		.amdhsa_exception_fp_ieee_invalid_op 0
		.amdhsa_exception_fp_denorm_src 0
		.amdhsa_exception_fp_ieee_div_zero 0
		.amdhsa_exception_fp_ieee_overflow 0
		.amdhsa_exception_fp_ieee_underflow 0
		.amdhsa_exception_fp_ieee_inexact 0
		.amdhsa_exception_int_div_zero 0
	.end_amdhsa_kernel
	.section	.text._ZN7rocprim17ROCPRIM_400000_NS6detail17trampoline_kernelINS0_14default_configENS1_36segmented_radix_sort_config_selectorIilEEZNS1_25segmented_radix_sort_implIS3_Lb0EPKiPiPKlPlN2at6native12_GLOBAL__N_18offset_tEEE10hipError_tPvRmT1_PNSt15iterator_traitsISK_E10value_typeET2_T3_PNSL_ISQ_E10value_typeET4_jRbjT5_SW_jjP12ihipStream_tbEUlT_E2_NS1_11comp_targetILNS1_3genE3ELNS1_11target_archE908ELNS1_3gpuE7ELNS1_3repE0EEENS1_30default_config_static_selectorELNS0_4arch9wavefront6targetE1EEEvSK_,"axG",@progbits,_ZN7rocprim17ROCPRIM_400000_NS6detail17trampoline_kernelINS0_14default_configENS1_36segmented_radix_sort_config_selectorIilEEZNS1_25segmented_radix_sort_implIS3_Lb0EPKiPiPKlPlN2at6native12_GLOBAL__N_18offset_tEEE10hipError_tPvRmT1_PNSt15iterator_traitsISK_E10value_typeET2_T3_PNSL_ISQ_E10value_typeET4_jRbjT5_SW_jjP12ihipStream_tbEUlT_E2_NS1_11comp_targetILNS1_3genE3ELNS1_11target_archE908ELNS1_3gpuE7ELNS1_3repE0EEENS1_30default_config_static_selectorELNS0_4arch9wavefront6targetE1EEEvSK_,comdat
.Lfunc_end633:
	.size	_ZN7rocprim17ROCPRIM_400000_NS6detail17trampoline_kernelINS0_14default_configENS1_36segmented_radix_sort_config_selectorIilEEZNS1_25segmented_radix_sort_implIS3_Lb0EPKiPiPKlPlN2at6native12_GLOBAL__N_18offset_tEEE10hipError_tPvRmT1_PNSt15iterator_traitsISK_E10value_typeET2_T3_PNSL_ISQ_E10value_typeET4_jRbjT5_SW_jjP12ihipStream_tbEUlT_E2_NS1_11comp_targetILNS1_3genE3ELNS1_11target_archE908ELNS1_3gpuE7ELNS1_3repE0EEENS1_30default_config_static_selectorELNS0_4arch9wavefront6targetE1EEEvSK_, .Lfunc_end633-_ZN7rocprim17ROCPRIM_400000_NS6detail17trampoline_kernelINS0_14default_configENS1_36segmented_radix_sort_config_selectorIilEEZNS1_25segmented_radix_sort_implIS3_Lb0EPKiPiPKlPlN2at6native12_GLOBAL__N_18offset_tEEE10hipError_tPvRmT1_PNSt15iterator_traitsISK_E10value_typeET2_T3_PNSL_ISQ_E10value_typeET4_jRbjT5_SW_jjP12ihipStream_tbEUlT_E2_NS1_11comp_targetILNS1_3genE3ELNS1_11target_archE908ELNS1_3gpuE7ELNS1_3repE0EEENS1_30default_config_static_selectorELNS0_4arch9wavefront6targetE1EEEvSK_
                                        ; -- End function
	.section	.AMDGPU.csdata,"",@progbits
; Kernel info:
; codeLenInByte = 0
; NumSgprs: 4
; NumVgprs: 0
; NumAgprs: 0
; TotalNumVgprs: 0
; ScratchSize: 0
; MemoryBound: 0
; FloatMode: 240
; IeeeMode: 1
; LDSByteSize: 0 bytes/workgroup (compile time only)
; SGPRBlocks: 0
; VGPRBlocks: 0
; NumSGPRsForWavesPerEU: 4
; NumVGPRsForWavesPerEU: 1
; AccumOffset: 4
; Occupancy: 8
; WaveLimiterHint : 0
; COMPUTE_PGM_RSRC2:SCRATCH_EN: 0
; COMPUTE_PGM_RSRC2:USER_SGPR: 6
; COMPUTE_PGM_RSRC2:TRAP_HANDLER: 0
; COMPUTE_PGM_RSRC2:TGID_X_EN: 1
; COMPUTE_PGM_RSRC2:TGID_Y_EN: 0
; COMPUTE_PGM_RSRC2:TGID_Z_EN: 0
; COMPUTE_PGM_RSRC2:TIDIG_COMP_CNT: 0
; COMPUTE_PGM_RSRC3_GFX90A:ACCUM_OFFSET: 0
; COMPUTE_PGM_RSRC3_GFX90A:TG_SPLIT: 0
	.section	.text._ZN7rocprim17ROCPRIM_400000_NS6detail17trampoline_kernelINS0_14default_configENS1_36segmented_radix_sort_config_selectorIilEEZNS1_25segmented_radix_sort_implIS3_Lb0EPKiPiPKlPlN2at6native12_GLOBAL__N_18offset_tEEE10hipError_tPvRmT1_PNSt15iterator_traitsISK_E10value_typeET2_T3_PNSL_ISQ_E10value_typeET4_jRbjT5_SW_jjP12ihipStream_tbEUlT_E2_NS1_11comp_targetILNS1_3genE2ELNS1_11target_archE906ELNS1_3gpuE6ELNS1_3repE0EEENS1_30default_config_static_selectorELNS0_4arch9wavefront6targetE1EEEvSK_,"axG",@progbits,_ZN7rocprim17ROCPRIM_400000_NS6detail17trampoline_kernelINS0_14default_configENS1_36segmented_radix_sort_config_selectorIilEEZNS1_25segmented_radix_sort_implIS3_Lb0EPKiPiPKlPlN2at6native12_GLOBAL__N_18offset_tEEE10hipError_tPvRmT1_PNSt15iterator_traitsISK_E10value_typeET2_T3_PNSL_ISQ_E10value_typeET4_jRbjT5_SW_jjP12ihipStream_tbEUlT_E2_NS1_11comp_targetILNS1_3genE2ELNS1_11target_archE906ELNS1_3gpuE6ELNS1_3repE0EEENS1_30default_config_static_selectorELNS0_4arch9wavefront6targetE1EEEvSK_,comdat
	.globl	_ZN7rocprim17ROCPRIM_400000_NS6detail17trampoline_kernelINS0_14default_configENS1_36segmented_radix_sort_config_selectorIilEEZNS1_25segmented_radix_sort_implIS3_Lb0EPKiPiPKlPlN2at6native12_GLOBAL__N_18offset_tEEE10hipError_tPvRmT1_PNSt15iterator_traitsISK_E10value_typeET2_T3_PNSL_ISQ_E10value_typeET4_jRbjT5_SW_jjP12ihipStream_tbEUlT_E2_NS1_11comp_targetILNS1_3genE2ELNS1_11target_archE906ELNS1_3gpuE6ELNS1_3repE0EEENS1_30default_config_static_selectorELNS0_4arch9wavefront6targetE1EEEvSK_ ; -- Begin function _ZN7rocprim17ROCPRIM_400000_NS6detail17trampoline_kernelINS0_14default_configENS1_36segmented_radix_sort_config_selectorIilEEZNS1_25segmented_radix_sort_implIS3_Lb0EPKiPiPKlPlN2at6native12_GLOBAL__N_18offset_tEEE10hipError_tPvRmT1_PNSt15iterator_traitsISK_E10value_typeET2_T3_PNSL_ISQ_E10value_typeET4_jRbjT5_SW_jjP12ihipStream_tbEUlT_E2_NS1_11comp_targetILNS1_3genE2ELNS1_11target_archE906ELNS1_3gpuE6ELNS1_3repE0EEENS1_30default_config_static_selectorELNS0_4arch9wavefront6targetE1EEEvSK_
	.p2align	8
	.type	_ZN7rocprim17ROCPRIM_400000_NS6detail17trampoline_kernelINS0_14default_configENS1_36segmented_radix_sort_config_selectorIilEEZNS1_25segmented_radix_sort_implIS3_Lb0EPKiPiPKlPlN2at6native12_GLOBAL__N_18offset_tEEE10hipError_tPvRmT1_PNSt15iterator_traitsISK_E10value_typeET2_T3_PNSL_ISQ_E10value_typeET4_jRbjT5_SW_jjP12ihipStream_tbEUlT_E2_NS1_11comp_targetILNS1_3genE2ELNS1_11target_archE906ELNS1_3gpuE6ELNS1_3repE0EEENS1_30default_config_static_selectorELNS0_4arch9wavefront6targetE1EEEvSK_,@function
_ZN7rocprim17ROCPRIM_400000_NS6detail17trampoline_kernelINS0_14default_configENS1_36segmented_radix_sort_config_selectorIilEEZNS1_25segmented_radix_sort_implIS3_Lb0EPKiPiPKlPlN2at6native12_GLOBAL__N_18offset_tEEE10hipError_tPvRmT1_PNSt15iterator_traitsISK_E10value_typeET2_T3_PNSL_ISQ_E10value_typeET4_jRbjT5_SW_jjP12ihipStream_tbEUlT_E2_NS1_11comp_targetILNS1_3genE2ELNS1_11target_archE906ELNS1_3gpuE6ELNS1_3repE0EEENS1_30default_config_static_selectorELNS0_4arch9wavefront6targetE1EEEvSK_: ; @_ZN7rocprim17ROCPRIM_400000_NS6detail17trampoline_kernelINS0_14default_configENS1_36segmented_radix_sort_config_selectorIilEEZNS1_25segmented_radix_sort_implIS3_Lb0EPKiPiPKlPlN2at6native12_GLOBAL__N_18offset_tEEE10hipError_tPvRmT1_PNSt15iterator_traitsISK_E10value_typeET2_T3_PNSL_ISQ_E10value_typeET4_jRbjT5_SW_jjP12ihipStream_tbEUlT_E2_NS1_11comp_targetILNS1_3genE2ELNS1_11target_archE906ELNS1_3gpuE6ELNS1_3repE0EEENS1_30default_config_static_selectorELNS0_4arch9wavefront6targetE1EEEvSK_
; %bb.0:
	.section	.rodata,"a",@progbits
	.p2align	6, 0x0
	.amdhsa_kernel _ZN7rocprim17ROCPRIM_400000_NS6detail17trampoline_kernelINS0_14default_configENS1_36segmented_radix_sort_config_selectorIilEEZNS1_25segmented_radix_sort_implIS3_Lb0EPKiPiPKlPlN2at6native12_GLOBAL__N_18offset_tEEE10hipError_tPvRmT1_PNSt15iterator_traitsISK_E10value_typeET2_T3_PNSL_ISQ_E10value_typeET4_jRbjT5_SW_jjP12ihipStream_tbEUlT_E2_NS1_11comp_targetILNS1_3genE2ELNS1_11target_archE906ELNS1_3gpuE6ELNS1_3repE0EEENS1_30default_config_static_selectorELNS0_4arch9wavefront6targetE1EEEvSK_
		.amdhsa_group_segment_fixed_size 0
		.amdhsa_private_segment_fixed_size 0
		.amdhsa_kernarg_size 80
		.amdhsa_user_sgpr_count 6
		.amdhsa_user_sgpr_private_segment_buffer 1
		.amdhsa_user_sgpr_dispatch_ptr 0
		.amdhsa_user_sgpr_queue_ptr 0
		.amdhsa_user_sgpr_kernarg_segment_ptr 1
		.amdhsa_user_sgpr_dispatch_id 0
		.amdhsa_user_sgpr_flat_scratch_init 0
		.amdhsa_user_sgpr_kernarg_preload_length 0
		.amdhsa_user_sgpr_kernarg_preload_offset 0
		.amdhsa_user_sgpr_private_segment_size 0
		.amdhsa_uses_dynamic_stack 0
		.amdhsa_system_sgpr_private_segment_wavefront_offset 0
		.amdhsa_system_sgpr_workgroup_id_x 1
		.amdhsa_system_sgpr_workgroup_id_y 0
		.amdhsa_system_sgpr_workgroup_id_z 0
		.amdhsa_system_sgpr_workgroup_info 0
		.amdhsa_system_vgpr_workitem_id 0
		.amdhsa_next_free_vgpr 1
		.amdhsa_next_free_sgpr 0
		.amdhsa_accum_offset 4
		.amdhsa_reserve_vcc 0
		.amdhsa_reserve_flat_scratch 0
		.amdhsa_float_round_mode_32 0
		.amdhsa_float_round_mode_16_64 0
		.amdhsa_float_denorm_mode_32 3
		.amdhsa_float_denorm_mode_16_64 3
		.amdhsa_dx10_clamp 1
		.amdhsa_ieee_mode 1
		.amdhsa_fp16_overflow 0
		.amdhsa_tg_split 0
		.amdhsa_exception_fp_ieee_invalid_op 0
		.amdhsa_exception_fp_denorm_src 0
		.amdhsa_exception_fp_ieee_div_zero 0
		.amdhsa_exception_fp_ieee_overflow 0
		.amdhsa_exception_fp_ieee_underflow 0
		.amdhsa_exception_fp_ieee_inexact 0
		.amdhsa_exception_int_div_zero 0
	.end_amdhsa_kernel
	.section	.text._ZN7rocprim17ROCPRIM_400000_NS6detail17trampoline_kernelINS0_14default_configENS1_36segmented_radix_sort_config_selectorIilEEZNS1_25segmented_radix_sort_implIS3_Lb0EPKiPiPKlPlN2at6native12_GLOBAL__N_18offset_tEEE10hipError_tPvRmT1_PNSt15iterator_traitsISK_E10value_typeET2_T3_PNSL_ISQ_E10value_typeET4_jRbjT5_SW_jjP12ihipStream_tbEUlT_E2_NS1_11comp_targetILNS1_3genE2ELNS1_11target_archE906ELNS1_3gpuE6ELNS1_3repE0EEENS1_30default_config_static_selectorELNS0_4arch9wavefront6targetE1EEEvSK_,"axG",@progbits,_ZN7rocprim17ROCPRIM_400000_NS6detail17trampoline_kernelINS0_14default_configENS1_36segmented_radix_sort_config_selectorIilEEZNS1_25segmented_radix_sort_implIS3_Lb0EPKiPiPKlPlN2at6native12_GLOBAL__N_18offset_tEEE10hipError_tPvRmT1_PNSt15iterator_traitsISK_E10value_typeET2_T3_PNSL_ISQ_E10value_typeET4_jRbjT5_SW_jjP12ihipStream_tbEUlT_E2_NS1_11comp_targetILNS1_3genE2ELNS1_11target_archE906ELNS1_3gpuE6ELNS1_3repE0EEENS1_30default_config_static_selectorELNS0_4arch9wavefront6targetE1EEEvSK_,comdat
.Lfunc_end634:
	.size	_ZN7rocprim17ROCPRIM_400000_NS6detail17trampoline_kernelINS0_14default_configENS1_36segmented_radix_sort_config_selectorIilEEZNS1_25segmented_radix_sort_implIS3_Lb0EPKiPiPKlPlN2at6native12_GLOBAL__N_18offset_tEEE10hipError_tPvRmT1_PNSt15iterator_traitsISK_E10value_typeET2_T3_PNSL_ISQ_E10value_typeET4_jRbjT5_SW_jjP12ihipStream_tbEUlT_E2_NS1_11comp_targetILNS1_3genE2ELNS1_11target_archE906ELNS1_3gpuE6ELNS1_3repE0EEENS1_30default_config_static_selectorELNS0_4arch9wavefront6targetE1EEEvSK_, .Lfunc_end634-_ZN7rocprim17ROCPRIM_400000_NS6detail17trampoline_kernelINS0_14default_configENS1_36segmented_radix_sort_config_selectorIilEEZNS1_25segmented_radix_sort_implIS3_Lb0EPKiPiPKlPlN2at6native12_GLOBAL__N_18offset_tEEE10hipError_tPvRmT1_PNSt15iterator_traitsISK_E10value_typeET2_T3_PNSL_ISQ_E10value_typeET4_jRbjT5_SW_jjP12ihipStream_tbEUlT_E2_NS1_11comp_targetILNS1_3genE2ELNS1_11target_archE906ELNS1_3gpuE6ELNS1_3repE0EEENS1_30default_config_static_selectorELNS0_4arch9wavefront6targetE1EEEvSK_
                                        ; -- End function
	.section	.AMDGPU.csdata,"",@progbits
; Kernel info:
; codeLenInByte = 0
; NumSgprs: 4
; NumVgprs: 0
; NumAgprs: 0
; TotalNumVgprs: 0
; ScratchSize: 0
; MemoryBound: 0
; FloatMode: 240
; IeeeMode: 1
; LDSByteSize: 0 bytes/workgroup (compile time only)
; SGPRBlocks: 0
; VGPRBlocks: 0
; NumSGPRsForWavesPerEU: 4
; NumVGPRsForWavesPerEU: 1
; AccumOffset: 4
; Occupancy: 8
; WaveLimiterHint : 0
; COMPUTE_PGM_RSRC2:SCRATCH_EN: 0
; COMPUTE_PGM_RSRC2:USER_SGPR: 6
; COMPUTE_PGM_RSRC2:TRAP_HANDLER: 0
; COMPUTE_PGM_RSRC2:TGID_X_EN: 1
; COMPUTE_PGM_RSRC2:TGID_Y_EN: 0
; COMPUTE_PGM_RSRC2:TGID_Z_EN: 0
; COMPUTE_PGM_RSRC2:TIDIG_COMP_CNT: 0
; COMPUTE_PGM_RSRC3_GFX90A:ACCUM_OFFSET: 0
; COMPUTE_PGM_RSRC3_GFX90A:TG_SPLIT: 0
	.section	.text._ZN7rocprim17ROCPRIM_400000_NS6detail17trampoline_kernelINS0_14default_configENS1_36segmented_radix_sort_config_selectorIilEEZNS1_25segmented_radix_sort_implIS3_Lb0EPKiPiPKlPlN2at6native12_GLOBAL__N_18offset_tEEE10hipError_tPvRmT1_PNSt15iterator_traitsISK_E10value_typeET2_T3_PNSL_ISQ_E10value_typeET4_jRbjT5_SW_jjP12ihipStream_tbEUlT_E2_NS1_11comp_targetILNS1_3genE10ELNS1_11target_archE1201ELNS1_3gpuE5ELNS1_3repE0EEENS1_30default_config_static_selectorELNS0_4arch9wavefront6targetE1EEEvSK_,"axG",@progbits,_ZN7rocprim17ROCPRIM_400000_NS6detail17trampoline_kernelINS0_14default_configENS1_36segmented_radix_sort_config_selectorIilEEZNS1_25segmented_radix_sort_implIS3_Lb0EPKiPiPKlPlN2at6native12_GLOBAL__N_18offset_tEEE10hipError_tPvRmT1_PNSt15iterator_traitsISK_E10value_typeET2_T3_PNSL_ISQ_E10value_typeET4_jRbjT5_SW_jjP12ihipStream_tbEUlT_E2_NS1_11comp_targetILNS1_3genE10ELNS1_11target_archE1201ELNS1_3gpuE5ELNS1_3repE0EEENS1_30default_config_static_selectorELNS0_4arch9wavefront6targetE1EEEvSK_,comdat
	.globl	_ZN7rocprim17ROCPRIM_400000_NS6detail17trampoline_kernelINS0_14default_configENS1_36segmented_radix_sort_config_selectorIilEEZNS1_25segmented_radix_sort_implIS3_Lb0EPKiPiPKlPlN2at6native12_GLOBAL__N_18offset_tEEE10hipError_tPvRmT1_PNSt15iterator_traitsISK_E10value_typeET2_T3_PNSL_ISQ_E10value_typeET4_jRbjT5_SW_jjP12ihipStream_tbEUlT_E2_NS1_11comp_targetILNS1_3genE10ELNS1_11target_archE1201ELNS1_3gpuE5ELNS1_3repE0EEENS1_30default_config_static_selectorELNS0_4arch9wavefront6targetE1EEEvSK_ ; -- Begin function _ZN7rocprim17ROCPRIM_400000_NS6detail17trampoline_kernelINS0_14default_configENS1_36segmented_radix_sort_config_selectorIilEEZNS1_25segmented_radix_sort_implIS3_Lb0EPKiPiPKlPlN2at6native12_GLOBAL__N_18offset_tEEE10hipError_tPvRmT1_PNSt15iterator_traitsISK_E10value_typeET2_T3_PNSL_ISQ_E10value_typeET4_jRbjT5_SW_jjP12ihipStream_tbEUlT_E2_NS1_11comp_targetILNS1_3genE10ELNS1_11target_archE1201ELNS1_3gpuE5ELNS1_3repE0EEENS1_30default_config_static_selectorELNS0_4arch9wavefront6targetE1EEEvSK_
	.p2align	8
	.type	_ZN7rocprim17ROCPRIM_400000_NS6detail17trampoline_kernelINS0_14default_configENS1_36segmented_radix_sort_config_selectorIilEEZNS1_25segmented_radix_sort_implIS3_Lb0EPKiPiPKlPlN2at6native12_GLOBAL__N_18offset_tEEE10hipError_tPvRmT1_PNSt15iterator_traitsISK_E10value_typeET2_T3_PNSL_ISQ_E10value_typeET4_jRbjT5_SW_jjP12ihipStream_tbEUlT_E2_NS1_11comp_targetILNS1_3genE10ELNS1_11target_archE1201ELNS1_3gpuE5ELNS1_3repE0EEENS1_30default_config_static_selectorELNS0_4arch9wavefront6targetE1EEEvSK_,@function
_ZN7rocprim17ROCPRIM_400000_NS6detail17trampoline_kernelINS0_14default_configENS1_36segmented_radix_sort_config_selectorIilEEZNS1_25segmented_radix_sort_implIS3_Lb0EPKiPiPKlPlN2at6native12_GLOBAL__N_18offset_tEEE10hipError_tPvRmT1_PNSt15iterator_traitsISK_E10value_typeET2_T3_PNSL_ISQ_E10value_typeET4_jRbjT5_SW_jjP12ihipStream_tbEUlT_E2_NS1_11comp_targetILNS1_3genE10ELNS1_11target_archE1201ELNS1_3gpuE5ELNS1_3repE0EEENS1_30default_config_static_selectorELNS0_4arch9wavefront6targetE1EEEvSK_: ; @_ZN7rocprim17ROCPRIM_400000_NS6detail17trampoline_kernelINS0_14default_configENS1_36segmented_radix_sort_config_selectorIilEEZNS1_25segmented_radix_sort_implIS3_Lb0EPKiPiPKlPlN2at6native12_GLOBAL__N_18offset_tEEE10hipError_tPvRmT1_PNSt15iterator_traitsISK_E10value_typeET2_T3_PNSL_ISQ_E10value_typeET4_jRbjT5_SW_jjP12ihipStream_tbEUlT_E2_NS1_11comp_targetILNS1_3genE10ELNS1_11target_archE1201ELNS1_3gpuE5ELNS1_3repE0EEENS1_30default_config_static_selectorELNS0_4arch9wavefront6targetE1EEEvSK_
; %bb.0:
	.section	.rodata,"a",@progbits
	.p2align	6, 0x0
	.amdhsa_kernel _ZN7rocprim17ROCPRIM_400000_NS6detail17trampoline_kernelINS0_14default_configENS1_36segmented_radix_sort_config_selectorIilEEZNS1_25segmented_radix_sort_implIS3_Lb0EPKiPiPKlPlN2at6native12_GLOBAL__N_18offset_tEEE10hipError_tPvRmT1_PNSt15iterator_traitsISK_E10value_typeET2_T3_PNSL_ISQ_E10value_typeET4_jRbjT5_SW_jjP12ihipStream_tbEUlT_E2_NS1_11comp_targetILNS1_3genE10ELNS1_11target_archE1201ELNS1_3gpuE5ELNS1_3repE0EEENS1_30default_config_static_selectorELNS0_4arch9wavefront6targetE1EEEvSK_
		.amdhsa_group_segment_fixed_size 0
		.amdhsa_private_segment_fixed_size 0
		.amdhsa_kernarg_size 80
		.amdhsa_user_sgpr_count 6
		.amdhsa_user_sgpr_private_segment_buffer 1
		.amdhsa_user_sgpr_dispatch_ptr 0
		.amdhsa_user_sgpr_queue_ptr 0
		.amdhsa_user_sgpr_kernarg_segment_ptr 1
		.amdhsa_user_sgpr_dispatch_id 0
		.amdhsa_user_sgpr_flat_scratch_init 0
		.amdhsa_user_sgpr_kernarg_preload_length 0
		.amdhsa_user_sgpr_kernarg_preload_offset 0
		.amdhsa_user_sgpr_private_segment_size 0
		.amdhsa_uses_dynamic_stack 0
		.amdhsa_system_sgpr_private_segment_wavefront_offset 0
		.amdhsa_system_sgpr_workgroup_id_x 1
		.amdhsa_system_sgpr_workgroup_id_y 0
		.amdhsa_system_sgpr_workgroup_id_z 0
		.amdhsa_system_sgpr_workgroup_info 0
		.amdhsa_system_vgpr_workitem_id 0
		.amdhsa_next_free_vgpr 1
		.amdhsa_next_free_sgpr 0
		.amdhsa_accum_offset 4
		.amdhsa_reserve_vcc 0
		.amdhsa_reserve_flat_scratch 0
		.amdhsa_float_round_mode_32 0
		.amdhsa_float_round_mode_16_64 0
		.amdhsa_float_denorm_mode_32 3
		.amdhsa_float_denorm_mode_16_64 3
		.amdhsa_dx10_clamp 1
		.amdhsa_ieee_mode 1
		.amdhsa_fp16_overflow 0
		.amdhsa_tg_split 0
		.amdhsa_exception_fp_ieee_invalid_op 0
		.amdhsa_exception_fp_denorm_src 0
		.amdhsa_exception_fp_ieee_div_zero 0
		.amdhsa_exception_fp_ieee_overflow 0
		.amdhsa_exception_fp_ieee_underflow 0
		.amdhsa_exception_fp_ieee_inexact 0
		.amdhsa_exception_int_div_zero 0
	.end_amdhsa_kernel
	.section	.text._ZN7rocprim17ROCPRIM_400000_NS6detail17trampoline_kernelINS0_14default_configENS1_36segmented_radix_sort_config_selectorIilEEZNS1_25segmented_radix_sort_implIS3_Lb0EPKiPiPKlPlN2at6native12_GLOBAL__N_18offset_tEEE10hipError_tPvRmT1_PNSt15iterator_traitsISK_E10value_typeET2_T3_PNSL_ISQ_E10value_typeET4_jRbjT5_SW_jjP12ihipStream_tbEUlT_E2_NS1_11comp_targetILNS1_3genE10ELNS1_11target_archE1201ELNS1_3gpuE5ELNS1_3repE0EEENS1_30default_config_static_selectorELNS0_4arch9wavefront6targetE1EEEvSK_,"axG",@progbits,_ZN7rocprim17ROCPRIM_400000_NS6detail17trampoline_kernelINS0_14default_configENS1_36segmented_radix_sort_config_selectorIilEEZNS1_25segmented_radix_sort_implIS3_Lb0EPKiPiPKlPlN2at6native12_GLOBAL__N_18offset_tEEE10hipError_tPvRmT1_PNSt15iterator_traitsISK_E10value_typeET2_T3_PNSL_ISQ_E10value_typeET4_jRbjT5_SW_jjP12ihipStream_tbEUlT_E2_NS1_11comp_targetILNS1_3genE10ELNS1_11target_archE1201ELNS1_3gpuE5ELNS1_3repE0EEENS1_30default_config_static_selectorELNS0_4arch9wavefront6targetE1EEEvSK_,comdat
.Lfunc_end635:
	.size	_ZN7rocprim17ROCPRIM_400000_NS6detail17trampoline_kernelINS0_14default_configENS1_36segmented_radix_sort_config_selectorIilEEZNS1_25segmented_radix_sort_implIS3_Lb0EPKiPiPKlPlN2at6native12_GLOBAL__N_18offset_tEEE10hipError_tPvRmT1_PNSt15iterator_traitsISK_E10value_typeET2_T3_PNSL_ISQ_E10value_typeET4_jRbjT5_SW_jjP12ihipStream_tbEUlT_E2_NS1_11comp_targetILNS1_3genE10ELNS1_11target_archE1201ELNS1_3gpuE5ELNS1_3repE0EEENS1_30default_config_static_selectorELNS0_4arch9wavefront6targetE1EEEvSK_, .Lfunc_end635-_ZN7rocprim17ROCPRIM_400000_NS6detail17trampoline_kernelINS0_14default_configENS1_36segmented_radix_sort_config_selectorIilEEZNS1_25segmented_radix_sort_implIS3_Lb0EPKiPiPKlPlN2at6native12_GLOBAL__N_18offset_tEEE10hipError_tPvRmT1_PNSt15iterator_traitsISK_E10value_typeET2_T3_PNSL_ISQ_E10value_typeET4_jRbjT5_SW_jjP12ihipStream_tbEUlT_E2_NS1_11comp_targetILNS1_3genE10ELNS1_11target_archE1201ELNS1_3gpuE5ELNS1_3repE0EEENS1_30default_config_static_selectorELNS0_4arch9wavefront6targetE1EEEvSK_
                                        ; -- End function
	.section	.AMDGPU.csdata,"",@progbits
; Kernel info:
; codeLenInByte = 0
; NumSgprs: 4
; NumVgprs: 0
; NumAgprs: 0
; TotalNumVgprs: 0
; ScratchSize: 0
; MemoryBound: 0
; FloatMode: 240
; IeeeMode: 1
; LDSByteSize: 0 bytes/workgroup (compile time only)
; SGPRBlocks: 0
; VGPRBlocks: 0
; NumSGPRsForWavesPerEU: 4
; NumVGPRsForWavesPerEU: 1
; AccumOffset: 4
; Occupancy: 8
; WaveLimiterHint : 0
; COMPUTE_PGM_RSRC2:SCRATCH_EN: 0
; COMPUTE_PGM_RSRC2:USER_SGPR: 6
; COMPUTE_PGM_RSRC2:TRAP_HANDLER: 0
; COMPUTE_PGM_RSRC2:TGID_X_EN: 1
; COMPUTE_PGM_RSRC2:TGID_Y_EN: 0
; COMPUTE_PGM_RSRC2:TGID_Z_EN: 0
; COMPUTE_PGM_RSRC2:TIDIG_COMP_CNT: 0
; COMPUTE_PGM_RSRC3_GFX90A:ACCUM_OFFSET: 0
; COMPUTE_PGM_RSRC3_GFX90A:TG_SPLIT: 0
	.section	.text._ZN7rocprim17ROCPRIM_400000_NS6detail17trampoline_kernelINS0_14default_configENS1_36segmented_radix_sort_config_selectorIilEEZNS1_25segmented_radix_sort_implIS3_Lb0EPKiPiPKlPlN2at6native12_GLOBAL__N_18offset_tEEE10hipError_tPvRmT1_PNSt15iterator_traitsISK_E10value_typeET2_T3_PNSL_ISQ_E10value_typeET4_jRbjT5_SW_jjP12ihipStream_tbEUlT_E2_NS1_11comp_targetILNS1_3genE10ELNS1_11target_archE1200ELNS1_3gpuE4ELNS1_3repE0EEENS1_30default_config_static_selectorELNS0_4arch9wavefront6targetE1EEEvSK_,"axG",@progbits,_ZN7rocprim17ROCPRIM_400000_NS6detail17trampoline_kernelINS0_14default_configENS1_36segmented_radix_sort_config_selectorIilEEZNS1_25segmented_radix_sort_implIS3_Lb0EPKiPiPKlPlN2at6native12_GLOBAL__N_18offset_tEEE10hipError_tPvRmT1_PNSt15iterator_traitsISK_E10value_typeET2_T3_PNSL_ISQ_E10value_typeET4_jRbjT5_SW_jjP12ihipStream_tbEUlT_E2_NS1_11comp_targetILNS1_3genE10ELNS1_11target_archE1200ELNS1_3gpuE4ELNS1_3repE0EEENS1_30default_config_static_selectorELNS0_4arch9wavefront6targetE1EEEvSK_,comdat
	.globl	_ZN7rocprim17ROCPRIM_400000_NS6detail17trampoline_kernelINS0_14default_configENS1_36segmented_radix_sort_config_selectorIilEEZNS1_25segmented_radix_sort_implIS3_Lb0EPKiPiPKlPlN2at6native12_GLOBAL__N_18offset_tEEE10hipError_tPvRmT1_PNSt15iterator_traitsISK_E10value_typeET2_T3_PNSL_ISQ_E10value_typeET4_jRbjT5_SW_jjP12ihipStream_tbEUlT_E2_NS1_11comp_targetILNS1_3genE10ELNS1_11target_archE1200ELNS1_3gpuE4ELNS1_3repE0EEENS1_30default_config_static_selectorELNS0_4arch9wavefront6targetE1EEEvSK_ ; -- Begin function _ZN7rocprim17ROCPRIM_400000_NS6detail17trampoline_kernelINS0_14default_configENS1_36segmented_radix_sort_config_selectorIilEEZNS1_25segmented_radix_sort_implIS3_Lb0EPKiPiPKlPlN2at6native12_GLOBAL__N_18offset_tEEE10hipError_tPvRmT1_PNSt15iterator_traitsISK_E10value_typeET2_T3_PNSL_ISQ_E10value_typeET4_jRbjT5_SW_jjP12ihipStream_tbEUlT_E2_NS1_11comp_targetILNS1_3genE10ELNS1_11target_archE1200ELNS1_3gpuE4ELNS1_3repE0EEENS1_30default_config_static_selectorELNS0_4arch9wavefront6targetE1EEEvSK_
	.p2align	8
	.type	_ZN7rocprim17ROCPRIM_400000_NS6detail17trampoline_kernelINS0_14default_configENS1_36segmented_radix_sort_config_selectorIilEEZNS1_25segmented_radix_sort_implIS3_Lb0EPKiPiPKlPlN2at6native12_GLOBAL__N_18offset_tEEE10hipError_tPvRmT1_PNSt15iterator_traitsISK_E10value_typeET2_T3_PNSL_ISQ_E10value_typeET4_jRbjT5_SW_jjP12ihipStream_tbEUlT_E2_NS1_11comp_targetILNS1_3genE10ELNS1_11target_archE1200ELNS1_3gpuE4ELNS1_3repE0EEENS1_30default_config_static_selectorELNS0_4arch9wavefront6targetE1EEEvSK_,@function
_ZN7rocprim17ROCPRIM_400000_NS6detail17trampoline_kernelINS0_14default_configENS1_36segmented_radix_sort_config_selectorIilEEZNS1_25segmented_radix_sort_implIS3_Lb0EPKiPiPKlPlN2at6native12_GLOBAL__N_18offset_tEEE10hipError_tPvRmT1_PNSt15iterator_traitsISK_E10value_typeET2_T3_PNSL_ISQ_E10value_typeET4_jRbjT5_SW_jjP12ihipStream_tbEUlT_E2_NS1_11comp_targetILNS1_3genE10ELNS1_11target_archE1200ELNS1_3gpuE4ELNS1_3repE0EEENS1_30default_config_static_selectorELNS0_4arch9wavefront6targetE1EEEvSK_: ; @_ZN7rocprim17ROCPRIM_400000_NS6detail17trampoline_kernelINS0_14default_configENS1_36segmented_radix_sort_config_selectorIilEEZNS1_25segmented_radix_sort_implIS3_Lb0EPKiPiPKlPlN2at6native12_GLOBAL__N_18offset_tEEE10hipError_tPvRmT1_PNSt15iterator_traitsISK_E10value_typeET2_T3_PNSL_ISQ_E10value_typeET4_jRbjT5_SW_jjP12ihipStream_tbEUlT_E2_NS1_11comp_targetILNS1_3genE10ELNS1_11target_archE1200ELNS1_3gpuE4ELNS1_3repE0EEENS1_30default_config_static_selectorELNS0_4arch9wavefront6targetE1EEEvSK_
; %bb.0:
	.section	.rodata,"a",@progbits
	.p2align	6, 0x0
	.amdhsa_kernel _ZN7rocprim17ROCPRIM_400000_NS6detail17trampoline_kernelINS0_14default_configENS1_36segmented_radix_sort_config_selectorIilEEZNS1_25segmented_radix_sort_implIS3_Lb0EPKiPiPKlPlN2at6native12_GLOBAL__N_18offset_tEEE10hipError_tPvRmT1_PNSt15iterator_traitsISK_E10value_typeET2_T3_PNSL_ISQ_E10value_typeET4_jRbjT5_SW_jjP12ihipStream_tbEUlT_E2_NS1_11comp_targetILNS1_3genE10ELNS1_11target_archE1200ELNS1_3gpuE4ELNS1_3repE0EEENS1_30default_config_static_selectorELNS0_4arch9wavefront6targetE1EEEvSK_
		.amdhsa_group_segment_fixed_size 0
		.amdhsa_private_segment_fixed_size 0
		.amdhsa_kernarg_size 80
		.amdhsa_user_sgpr_count 6
		.amdhsa_user_sgpr_private_segment_buffer 1
		.amdhsa_user_sgpr_dispatch_ptr 0
		.amdhsa_user_sgpr_queue_ptr 0
		.amdhsa_user_sgpr_kernarg_segment_ptr 1
		.amdhsa_user_sgpr_dispatch_id 0
		.amdhsa_user_sgpr_flat_scratch_init 0
		.amdhsa_user_sgpr_kernarg_preload_length 0
		.amdhsa_user_sgpr_kernarg_preload_offset 0
		.amdhsa_user_sgpr_private_segment_size 0
		.amdhsa_uses_dynamic_stack 0
		.amdhsa_system_sgpr_private_segment_wavefront_offset 0
		.amdhsa_system_sgpr_workgroup_id_x 1
		.amdhsa_system_sgpr_workgroup_id_y 0
		.amdhsa_system_sgpr_workgroup_id_z 0
		.amdhsa_system_sgpr_workgroup_info 0
		.amdhsa_system_vgpr_workitem_id 0
		.amdhsa_next_free_vgpr 1
		.amdhsa_next_free_sgpr 0
		.amdhsa_accum_offset 4
		.amdhsa_reserve_vcc 0
		.amdhsa_reserve_flat_scratch 0
		.amdhsa_float_round_mode_32 0
		.amdhsa_float_round_mode_16_64 0
		.amdhsa_float_denorm_mode_32 3
		.amdhsa_float_denorm_mode_16_64 3
		.amdhsa_dx10_clamp 1
		.amdhsa_ieee_mode 1
		.amdhsa_fp16_overflow 0
		.amdhsa_tg_split 0
		.amdhsa_exception_fp_ieee_invalid_op 0
		.amdhsa_exception_fp_denorm_src 0
		.amdhsa_exception_fp_ieee_div_zero 0
		.amdhsa_exception_fp_ieee_overflow 0
		.amdhsa_exception_fp_ieee_underflow 0
		.amdhsa_exception_fp_ieee_inexact 0
		.amdhsa_exception_int_div_zero 0
	.end_amdhsa_kernel
	.section	.text._ZN7rocprim17ROCPRIM_400000_NS6detail17trampoline_kernelINS0_14default_configENS1_36segmented_radix_sort_config_selectorIilEEZNS1_25segmented_radix_sort_implIS3_Lb0EPKiPiPKlPlN2at6native12_GLOBAL__N_18offset_tEEE10hipError_tPvRmT1_PNSt15iterator_traitsISK_E10value_typeET2_T3_PNSL_ISQ_E10value_typeET4_jRbjT5_SW_jjP12ihipStream_tbEUlT_E2_NS1_11comp_targetILNS1_3genE10ELNS1_11target_archE1200ELNS1_3gpuE4ELNS1_3repE0EEENS1_30default_config_static_selectorELNS0_4arch9wavefront6targetE1EEEvSK_,"axG",@progbits,_ZN7rocprim17ROCPRIM_400000_NS6detail17trampoline_kernelINS0_14default_configENS1_36segmented_radix_sort_config_selectorIilEEZNS1_25segmented_radix_sort_implIS3_Lb0EPKiPiPKlPlN2at6native12_GLOBAL__N_18offset_tEEE10hipError_tPvRmT1_PNSt15iterator_traitsISK_E10value_typeET2_T3_PNSL_ISQ_E10value_typeET4_jRbjT5_SW_jjP12ihipStream_tbEUlT_E2_NS1_11comp_targetILNS1_3genE10ELNS1_11target_archE1200ELNS1_3gpuE4ELNS1_3repE0EEENS1_30default_config_static_selectorELNS0_4arch9wavefront6targetE1EEEvSK_,comdat
.Lfunc_end636:
	.size	_ZN7rocprim17ROCPRIM_400000_NS6detail17trampoline_kernelINS0_14default_configENS1_36segmented_radix_sort_config_selectorIilEEZNS1_25segmented_radix_sort_implIS3_Lb0EPKiPiPKlPlN2at6native12_GLOBAL__N_18offset_tEEE10hipError_tPvRmT1_PNSt15iterator_traitsISK_E10value_typeET2_T3_PNSL_ISQ_E10value_typeET4_jRbjT5_SW_jjP12ihipStream_tbEUlT_E2_NS1_11comp_targetILNS1_3genE10ELNS1_11target_archE1200ELNS1_3gpuE4ELNS1_3repE0EEENS1_30default_config_static_selectorELNS0_4arch9wavefront6targetE1EEEvSK_, .Lfunc_end636-_ZN7rocprim17ROCPRIM_400000_NS6detail17trampoline_kernelINS0_14default_configENS1_36segmented_radix_sort_config_selectorIilEEZNS1_25segmented_radix_sort_implIS3_Lb0EPKiPiPKlPlN2at6native12_GLOBAL__N_18offset_tEEE10hipError_tPvRmT1_PNSt15iterator_traitsISK_E10value_typeET2_T3_PNSL_ISQ_E10value_typeET4_jRbjT5_SW_jjP12ihipStream_tbEUlT_E2_NS1_11comp_targetILNS1_3genE10ELNS1_11target_archE1200ELNS1_3gpuE4ELNS1_3repE0EEENS1_30default_config_static_selectorELNS0_4arch9wavefront6targetE1EEEvSK_
                                        ; -- End function
	.section	.AMDGPU.csdata,"",@progbits
; Kernel info:
; codeLenInByte = 0
; NumSgprs: 4
; NumVgprs: 0
; NumAgprs: 0
; TotalNumVgprs: 0
; ScratchSize: 0
; MemoryBound: 0
; FloatMode: 240
; IeeeMode: 1
; LDSByteSize: 0 bytes/workgroup (compile time only)
; SGPRBlocks: 0
; VGPRBlocks: 0
; NumSGPRsForWavesPerEU: 4
; NumVGPRsForWavesPerEU: 1
; AccumOffset: 4
; Occupancy: 8
; WaveLimiterHint : 0
; COMPUTE_PGM_RSRC2:SCRATCH_EN: 0
; COMPUTE_PGM_RSRC2:USER_SGPR: 6
; COMPUTE_PGM_RSRC2:TRAP_HANDLER: 0
; COMPUTE_PGM_RSRC2:TGID_X_EN: 1
; COMPUTE_PGM_RSRC2:TGID_Y_EN: 0
; COMPUTE_PGM_RSRC2:TGID_Z_EN: 0
; COMPUTE_PGM_RSRC2:TIDIG_COMP_CNT: 0
; COMPUTE_PGM_RSRC3_GFX90A:ACCUM_OFFSET: 0
; COMPUTE_PGM_RSRC3_GFX90A:TG_SPLIT: 0
	.section	.text._ZN7rocprim17ROCPRIM_400000_NS6detail17trampoline_kernelINS0_14default_configENS1_36segmented_radix_sort_config_selectorIilEEZNS1_25segmented_radix_sort_implIS3_Lb0EPKiPiPKlPlN2at6native12_GLOBAL__N_18offset_tEEE10hipError_tPvRmT1_PNSt15iterator_traitsISK_E10value_typeET2_T3_PNSL_ISQ_E10value_typeET4_jRbjT5_SW_jjP12ihipStream_tbEUlT_E2_NS1_11comp_targetILNS1_3genE9ELNS1_11target_archE1100ELNS1_3gpuE3ELNS1_3repE0EEENS1_30default_config_static_selectorELNS0_4arch9wavefront6targetE1EEEvSK_,"axG",@progbits,_ZN7rocprim17ROCPRIM_400000_NS6detail17trampoline_kernelINS0_14default_configENS1_36segmented_radix_sort_config_selectorIilEEZNS1_25segmented_radix_sort_implIS3_Lb0EPKiPiPKlPlN2at6native12_GLOBAL__N_18offset_tEEE10hipError_tPvRmT1_PNSt15iterator_traitsISK_E10value_typeET2_T3_PNSL_ISQ_E10value_typeET4_jRbjT5_SW_jjP12ihipStream_tbEUlT_E2_NS1_11comp_targetILNS1_3genE9ELNS1_11target_archE1100ELNS1_3gpuE3ELNS1_3repE0EEENS1_30default_config_static_selectorELNS0_4arch9wavefront6targetE1EEEvSK_,comdat
	.globl	_ZN7rocprim17ROCPRIM_400000_NS6detail17trampoline_kernelINS0_14default_configENS1_36segmented_radix_sort_config_selectorIilEEZNS1_25segmented_radix_sort_implIS3_Lb0EPKiPiPKlPlN2at6native12_GLOBAL__N_18offset_tEEE10hipError_tPvRmT1_PNSt15iterator_traitsISK_E10value_typeET2_T3_PNSL_ISQ_E10value_typeET4_jRbjT5_SW_jjP12ihipStream_tbEUlT_E2_NS1_11comp_targetILNS1_3genE9ELNS1_11target_archE1100ELNS1_3gpuE3ELNS1_3repE0EEENS1_30default_config_static_selectorELNS0_4arch9wavefront6targetE1EEEvSK_ ; -- Begin function _ZN7rocprim17ROCPRIM_400000_NS6detail17trampoline_kernelINS0_14default_configENS1_36segmented_radix_sort_config_selectorIilEEZNS1_25segmented_radix_sort_implIS3_Lb0EPKiPiPKlPlN2at6native12_GLOBAL__N_18offset_tEEE10hipError_tPvRmT1_PNSt15iterator_traitsISK_E10value_typeET2_T3_PNSL_ISQ_E10value_typeET4_jRbjT5_SW_jjP12ihipStream_tbEUlT_E2_NS1_11comp_targetILNS1_3genE9ELNS1_11target_archE1100ELNS1_3gpuE3ELNS1_3repE0EEENS1_30default_config_static_selectorELNS0_4arch9wavefront6targetE1EEEvSK_
	.p2align	8
	.type	_ZN7rocprim17ROCPRIM_400000_NS6detail17trampoline_kernelINS0_14default_configENS1_36segmented_radix_sort_config_selectorIilEEZNS1_25segmented_radix_sort_implIS3_Lb0EPKiPiPKlPlN2at6native12_GLOBAL__N_18offset_tEEE10hipError_tPvRmT1_PNSt15iterator_traitsISK_E10value_typeET2_T3_PNSL_ISQ_E10value_typeET4_jRbjT5_SW_jjP12ihipStream_tbEUlT_E2_NS1_11comp_targetILNS1_3genE9ELNS1_11target_archE1100ELNS1_3gpuE3ELNS1_3repE0EEENS1_30default_config_static_selectorELNS0_4arch9wavefront6targetE1EEEvSK_,@function
_ZN7rocprim17ROCPRIM_400000_NS6detail17trampoline_kernelINS0_14default_configENS1_36segmented_radix_sort_config_selectorIilEEZNS1_25segmented_radix_sort_implIS3_Lb0EPKiPiPKlPlN2at6native12_GLOBAL__N_18offset_tEEE10hipError_tPvRmT1_PNSt15iterator_traitsISK_E10value_typeET2_T3_PNSL_ISQ_E10value_typeET4_jRbjT5_SW_jjP12ihipStream_tbEUlT_E2_NS1_11comp_targetILNS1_3genE9ELNS1_11target_archE1100ELNS1_3gpuE3ELNS1_3repE0EEENS1_30default_config_static_selectorELNS0_4arch9wavefront6targetE1EEEvSK_: ; @_ZN7rocprim17ROCPRIM_400000_NS6detail17trampoline_kernelINS0_14default_configENS1_36segmented_radix_sort_config_selectorIilEEZNS1_25segmented_radix_sort_implIS3_Lb0EPKiPiPKlPlN2at6native12_GLOBAL__N_18offset_tEEE10hipError_tPvRmT1_PNSt15iterator_traitsISK_E10value_typeET2_T3_PNSL_ISQ_E10value_typeET4_jRbjT5_SW_jjP12ihipStream_tbEUlT_E2_NS1_11comp_targetILNS1_3genE9ELNS1_11target_archE1100ELNS1_3gpuE3ELNS1_3repE0EEENS1_30default_config_static_selectorELNS0_4arch9wavefront6targetE1EEEvSK_
; %bb.0:
	.section	.rodata,"a",@progbits
	.p2align	6, 0x0
	.amdhsa_kernel _ZN7rocprim17ROCPRIM_400000_NS6detail17trampoline_kernelINS0_14default_configENS1_36segmented_radix_sort_config_selectorIilEEZNS1_25segmented_radix_sort_implIS3_Lb0EPKiPiPKlPlN2at6native12_GLOBAL__N_18offset_tEEE10hipError_tPvRmT1_PNSt15iterator_traitsISK_E10value_typeET2_T3_PNSL_ISQ_E10value_typeET4_jRbjT5_SW_jjP12ihipStream_tbEUlT_E2_NS1_11comp_targetILNS1_3genE9ELNS1_11target_archE1100ELNS1_3gpuE3ELNS1_3repE0EEENS1_30default_config_static_selectorELNS0_4arch9wavefront6targetE1EEEvSK_
		.amdhsa_group_segment_fixed_size 0
		.amdhsa_private_segment_fixed_size 0
		.amdhsa_kernarg_size 80
		.amdhsa_user_sgpr_count 6
		.amdhsa_user_sgpr_private_segment_buffer 1
		.amdhsa_user_sgpr_dispatch_ptr 0
		.amdhsa_user_sgpr_queue_ptr 0
		.amdhsa_user_sgpr_kernarg_segment_ptr 1
		.amdhsa_user_sgpr_dispatch_id 0
		.amdhsa_user_sgpr_flat_scratch_init 0
		.amdhsa_user_sgpr_kernarg_preload_length 0
		.amdhsa_user_sgpr_kernarg_preload_offset 0
		.amdhsa_user_sgpr_private_segment_size 0
		.amdhsa_uses_dynamic_stack 0
		.amdhsa_system_sgpr_private_segment_wavefront_offset 0
		.amdhsa_system_sgpr_workgroup_id_x 1
		.amdhsa_system_sgpr_workgroup_id_y 0
		.amdhsa_system_sgpr_workgroup_id_z 0
		.amdhsa_system_sgpr_workgroup_info 0
		.amdhsa_system_vgpr_workitem_id 0
		.amdhsa_next_free_vgpr 1
		.amdhsa_next_free_sgpr 0
		.amdhsa_accum_offset 4
		.amdhsa_reserve_vcc 0
		.amdhsa_reserve_flat_scratch 0
		.amdhsa_float_round_mode_32 0
		.amdhsa_float_round_mode_16_64 0
		.amdhsa_float_denorm_mode_32 3
		.amdhsa_float_denorm_mode_16_64 3
		.amdhsa_dx10_clamp 1
		.amdhsa_ieee_mode 1
		.amdhsa_fp16_overflow 0
		.amdhsa_tg_split 0
		.amdhsa_exception_fp_ieee_invalid_op 0
		.amdhsa_exception_fp_denorm_src 0
		.amdhsa_exception_fp_ieee_div_zero 0
		.amdhsa_exception_fp_ieee_overflow 0
		.amdhsa_exception_fp_ieee_underflow 0
		.amdhsa_exception_fp_ieee_inexact 0
		.amdhsa_exception_int_div_zero 0
	.end_amdhsa_kernel
	.section	.text._ZN7rocprim17ROCPRIM_400000_NS6detail17trampoline_kernelINS0_14default_configENS1_36segmented_radix_sort_config_selectorIilEEZNS1_25segmented_radix_sort_implIS3_Lb0EPKiPiPKlPlN2at6native12_GLOBAL__N_18offset_tEEE10hipError_tPvRmT1_PNSt15iterator_traitsISK_E10value_typeET2_T3_PNSL_ISQ_E10value_typeET4_jRbjT5_SW_jjP12ihipStream_tbEUlT_E2_NS1_11comp_targetILNS1_3genE9ELNS1_11target_archE1100ELNS1_3gpuE3ELNS1_3repE0EEENS1_30default_config_static_selectorELNS0_4arch9wavefront6targetE1EEEvSK_,"axG",@progbits,_ZN7rocprim17ROCPRIM_400000_NS6detail17trampoline_kernelINS0_14default_configENS1_36segmented_radix_sort_config_selectorIilEEZNS1_25segmented_radix_sort_implIS3_Lb0EPKiPiPKlPlN2at6native12_GLOBAL__N_18offset_tEEE10hipError_tPvRmT1_PNSt15iterator_traitsISK_E10value_typeET2_T3_PNSL_ISQ_E10value_typeET4_jRbjT5_SW_jjP12ihipStream_tbEUlT_E2_NS1_11comp_targetILNS1_3genE9ELNS1_11target_archE1100ELNS1_3gpuE3ELNS1_3repE0EEENS1_30default_config_static_selectorELNS0_4arch9wavefront6targetE1EEEvSK_,comdat
.Lfunc_end637:
	.size	_ZN7rocprim17ROCPRIM_400000_NS6detail17trampoline_kernelINS0_14default_configENS1_36segmented_radix_sort_config_selectorIilEEZNS1_25segmented_radix_sort_implIS3_Lb0EPKiPiPKlPlN2at6native12_GLOBAL__N_18offset_tEEE10hipError_tPvRmT1_PNSt15iterator_traitsISK_E10value_typeET2_T3_PNSL_ISQ_E10value_typeET4_jRbjT5_SW_jjP12ihipStream_tbEUlT_E2_NS1_11comp_targetILNS1_3genE9ELNS1_11target_archE1100ELNS1_3gpuE3ELNS1_3repE0EEENS1_30default_config_static_selectorELNS0_4arch9wavefront6targetE1EEEvSK_, .Lfunc_end637-_ZN7rocprim17ROCPRIM_400000_NS6detail17trampoline_kernelINS0_14default_configENS1_36segmented_radix_sort_config_selectorIilEEZNS1_25segmented_radix_sort_implIS3_Lb0EPKiPiPKlPlN2at6native12_GLOBAL__N_18offset_tEEE10hipError_tPvRmT1_PNSt15iterator_traitsISK_E10value_typeET2_T3_PNSL_ISQ_E10value_typeET4_jRbjT5_SW_jjP12ihipStream_tbEUlT_E2_NS1_11comp_targetILNS1_3genE9ELNS1_11target_archE1100ELNS1_3gpuE3ELNS1_3repE0EEENS1_30default_config_static_selectorELNS0_4arch9wavefront6targetE1EEEvSK_
                                        ; -- End function
	.section	.AMDGPU.csdata,"",@progbits
; Kernel info:
; codeLenInByte = 0
; NumSgprs: 4
; NumVgprs: 0
; NumAgprs: 0
; TotalNumVgprs: 0
; ScratchSize: 0
; MemoryBound: 0
; FloatMode: 240
; IeeeMode: 1
; LDSByteSize: 0 bytes/workgroup (compile time only)
; SGPRBlocks: 0
; VGPRBlocks: 0
; NumSGPRsForWavesPerEU: 4
; NumVGPRsForWavesPerEU: 1
; AccumOffset: 4
; Occupancy: 8
; WaveLimiterHint : 0
; COMPUTE_PGM_RSRC2:SCRATCH_EN: 0
; COMPUTE_PGM_RSRC2:USER_SGPR: 6
; COMPUTE_PGM_RSRC2:TRAP_HANDLER: 0
; COMPUTE_PGM_RSRC2:TGID_X_EN: 1
; COMPUTE_PGM_RSRC2:TGID_Y_EN: 0
; COMPUTE_PGM_RSRC2:TGID_Z_EN: 0
; COMPUTE_PGM_RSRC2:TIDIG_COMP_CNT: 0
; COMPUTE_PGM_RSRC3_GFX90A:ACCUM_OFFSET: 0
; COMPUTE_PGM_RSRC3_GFX90A:TG_SPLIT: 0
	.section	.text._ZN7rocprim17ROCPRIM_400000_NS6detail17trampoline_kernelINS0_14default_configENS1_36segmented_radix_sort_config_selectorIilEEZNS1_25segmented_radix_sort_implIS3_Lb0EPKiPiPKlPlN2at6native12_GLOBAL__N_18offset_tEEE10hipError_tPvRmT1_PNSt15iterator_traitsISK_E10value_typeET2_T3_PNSL_ISQ_E10value_typeET4_jRbjT5_SW_jjP12ihipStream_tbEUlT_E2_NS1_11comp_targetILNS1_3genE8ELNS1_11target_archE1030ELNS1_3gpuE2ELNS1_3repE0EEENS1_30default_config_static_selectorELNS0_4arch9wavefront6targetE1EEEvSK_,"axG",@progbits,_ZN7rocprim17ROCPRIM_400000_NS6detail17trampoline_kernelINS0_14default_configENS1_36segmented_radix_sort_config_selectorIilEEZNS1_25segmented_radix_sort_implIS3_Lb0EPKiPiPKlPlN2at6native12_GLOBAL__N_18offset_tEEE10hipError_tPvRmT1_PNSt15iterator_traitsISK_E10value_typeET2_T3_PNSL_ISQ_E10value_typeET4_jRbjT5_SW_jjP12ihipStream_tbEUlT_E2_NS1_11comp_targetILNS1_3genE8ELNS1_11target_archE1030ELNS1_3gpuE2ELNS1_3repE0EEENS1_30default_config_static_selectorELNS0_4arch9wavefront6targetE1EEEvSK_,comdat
	.globl	_ZN7rocprim17ROCPRIM_400000_NS6detail17trampoline_kernelINS0_14default_configENS1_36segmented_radix_sort_config_selectorIilEEZNS1_25segmented_radix_sort_implIS3_Lb0EPKiPiPKlPlN2at6native12_GLOBAL__N_18offset_tEEE10hipError_tPvRmT1_PNSt15iterator_traitsISK_E10value_typeET2_T3_PNSL_ISQ_E10value_typeET4_jRbjT5_SW_jjP12ihipStream_tbEUlT_E2_NS1_11comp_targetILNS1_3genE8ELNS1_11target_archE1030ELNS1_3gpuE2ELNS1_3repE0EEENS1_30default_config_static_selectorELNS0_4arch9wavefront6targetE1EEEvSK_ ; -- Begin function _ZN7rocprim17ROCPRIM_400000_NS6detail17trampoline_kernelINS0_14default_configENS1_36segmented_radix_sort_config_selectorIilEEZNS1_25segmented_radix_sort_implIS3_Lb0EPKiPiPKlPlN2at6native12_GLOBAL__N_18offset_tEEE10hipError_tPvRmT1_PNSt15iterator_traitsISK_E10value_typeET2_T3_PNSL_ISQ_E10value_typeET4_jRbjT5_SW_jjP12ihipStream_tbEUlT_E2_NS1_11comp_targetILNS1_3genE8ELNS1_11target_archE1030ELNS1_3gpuE2ELNS1_3repE0EEENS1_30default_config_static_selectorELNS0_4arch9wavefront6targetE1EEEvSK_
	.p2align	8
	.type	_ZN7rocprim17ROCPRIM_400000_NS6detail17trampoline_kernelINS0_14default_configENS1_36segmented_radix_sort_config_selectorIilEEZNS1_25segmented_radix_sort_implIS3_Lb0EPKiPiPKlPlN2at6native12_GLOBAL__N_18offset_tEEE10hipError_tPvRmT1_PNSt15iterator_traitsISK_E10value_typeET2_T3_PNSL_ISQ_E10value_typeET4_jRbjT5_SW_jjP12ihipStream_tbEUlT_E2_NS1_11comp_targetILNS1_3genE8ELNS1_11target_archE1030ELNS1_3gpuE2ELNS1_3repE0EEENS1_30default_config_static_selectorELNS0_4arch9wavefront6targetE1EEEvSK_,@function
_ZN7rocprim17ROCPRIM_400000_NS6detail17trampoline_kernelINS0_14default_configENS1_36segmented_radix_sort_config_selectorIilEEZNS1_25segmented_radix_sort_implIS3_Lb0EPKiPiPKlPlN2at6native12_GLOBAL__N_18offset_tEEE10hipError_tPvRmT1_PNSt15iterator_traitsISK_E10value_typeET2_T3_PNSL_ISQ_E10value_typeET4_jRbjT5_SW_jjP12ihipStream_tbEUlT_E2_NS1_11comp_targetILNS1_3genE8ELNS1_11target_archE1030ELNS1_3gpuE2ELNS1_3repE0EEENS1_30default_config_static_selectorELNS0_4arch9wavefront6targetE1EEEvSK_: ; @_ZN7rocprim17ROCPRIM_400000_NS6detail17trampoline_kernelINS0_14default_configENS1_36segmented_radix_sort_config_selectorIilEEZNS1_25segmented_radix_sort_implIS3_Lb0EPKiPiPKlPlN2at6native12_GLOBAL__N_18offset_tEEE10hipError_tPvRmT1_PNSt15iterator_traitsISK_E10value_typeET2_T3_PNSL_ISQ_E10value_typeET4_jRbjT5_SW_jjP12ihipStream_tbEUlT_E2_NS1_11comp_targetILNS1_3genE8ELNS1_11target_archE1030ELNS1_3gpuE2ELNS1_3repE0EEENS1_30default_config_static_selectorELNS0_4arch9wavefront6targetE1EEEvSK_
; %bb.0:
	.section	.rodata,"a",@progbits
	.p2align	6, 0x0
	.amdhsa_kernel _ZN7rocprim17ROCPRIM_400000_NS6detail17trampoline_kernelINS0_14default_configENS1_36segmented_radix_sort_config_selectorIilEEZNS1_25segmented_radix_sort_implIS3_Lb0EPKiPiPKlPlN2at6native12_GLOBAL__N_18offset_tEEE10hipError_tPvRmT1_PNSt15iterator_traitsISK_E10value_typeET2_T3_PNSL_ISQ_E10value_typeET4_jRbjT5_SW_jjP12ihipStream_tbEUlT_E2_NS1_11comp_targetILNS1_3genE8ELNS1_11target_archE1030ELNS1_3gpuE2ELNS1_3repE0EEENS1_30default_config_static_selectorELNS0_4arch9wavefront6targetE1EEEvSK_
		.amdhsa_group_segment_fixed_size 0
		.amdhsa_private_segment_fixed_size 0
		.amdhsa_kernarg_size 80
		.amdhsa_user_sgpr_count 6
		.amdhsa_user_sgpr_private_segment_buffer 1
		.amdhsa_user_sgpr_dispatch_ptr 0
		.amdhsa_user_sgpr_queue_ptr 0
		.amdhsa_user_sgpr_kernarg_segment_ptr 1
		.amdhsa_user_sgpr_dispatch_id 0
		.amdhsa_user_sgpr_flat_scratch_init 0
		.amdhsa_user_sgpr_kernarg_preload_length 0
		.amdhsa_user_sgpr_kernarg_preload_offset 0
		.amdhsa_user_sgpr_private_segment_size 0
		.amdhsa_uses_dynamic_stack 0
		.amdhsa_system_sgpr_private_segment_wavefront_offset 0
		.amdhsa_system_sgpr_workgroup_id_x 1
		.amdhsa_system_sgpr_workgroup_id_y 0
		.amdhsa_system_sgpr_workgroup_id_z 0
		.amdhsa_system_sgpr_workgroup_info 0
		.amdhsa_system_vgpr_workitem_id 0
		.amdhsa_next_free_vgpr 1
		.amdhsa_next_free_sgpr 0
		.amdhsa_accum_offset 4
		.amdhsa_reserve_vcc 0
		.amdhsa_reserve_flat_scratch 0
		.amdhsa_float_round_mode_32 0
		.amdhsa_float_round_mode_16_64 0
		.amdhsa_float_denorm_mode_32 3
		.amdhsa_float_denorm_mode_16_64 3
		.amdhsa_dx10_clamp 1
		.amdhsa_ieee_mode 1
		.amdhsa_fp16_overflow 0
		.amdhsa_tg_split 0
		.amdhsa_exception_fp_ieee_invalid_op 0
		.amdhsa_exception_fp_denorm_src 0
		.amdhsa_exception_fp_ieee_div_zero 0
		.amdhsa_exception_fp_ieee_overflow 0
		.amdhsa_exception_fp_ieee_underflow 0
		.amdhsa_exception_fp_ieee_inexact 0
		.amdhsa_exception_int_div_zero 0
	.end_amdhsa_kernel
	.section	.text._ZN7rocprim17ROCPRIM_400000_NS6detail17trampoline_kernelINS0_14default_configENS1_36segmented_radix_sort_config_selectorIilEEZNS1_25segmented_radix_sort_implIS3_Lb0EPKiPiPKlPlN2at6native12_GLOBAL__N_18offset_tEEE10hipError_tPvRmT1_PNSt15iterator_traitsISK_E10value_typeET2_T3_PNSL_ISQ_E10value_typeET4_jRbjT5_SW_jjP12ihipStream_tbEUlT_E2_NS1_11comp_targetILNS1_3genE8ELNS1_11target_archE1030ELNS1_3gpuE2ELNS1_3repE0EEENS1_30default_config_static_selectorELNS0_4arch9wavefront6targetE1EEEvSK_,"axG",@progbits,_ZN7rocprim17ROCPRIM_400000_NS6detail17trampoline_kernelINS0_14default_configENS1_36segmented_radix_sort_config_selectorIilEEZNS1_25segmented_radix_sort_implIS3_Lb0EPKiPiPKlPlN2at6native12_GLOBAL__N_18offset_tEEE10hipError_tPvRmT1_PNSt15iterator_traitsISK_E10value_typeET2_T3_PNSL_ISQ_E10value_typeET4_jRbjT5_SW_jjP12ihipStream_tbEUlT_E2_NS1_11comp_targetILNS1_3genE8ELNS1_11target_archE1030ELNS1_3gpuE2ELNS1_3repE0EEENS1_30default_config_static_selectorELNS0_4arch9wavefront6targetE1EEEvSK_,comdat
.Lfunc_end638:
	.size	_ZN7rocprim17ROCPRIM_400000_NS6detail17trampoline_kernelINS0_14default_configENS1_36segmented_radix_sort_config_selectorIilEEZNS1_25segmented_radix_sort_implIS3_Lb0EPKiPiPKlPlN2at6native12_GLOBAL__N_18offset_tEEE10hipError_tPvRmT1_PNSt15iterator_traitsISK_E10value_typeET2_T3_PNSL_ISQ_E10value_typeET4_jRbjT5_SW_jjP12ihipStream_tbEUlT_E2_NS1_11comp_targetILNS1_3genE8ELNS1_11target_archE1030ELNS1_3gpuE2ELNS1_3repE0EEENS1_30default_config_static_selectorELNS0_4arch9wavefront6targetE1EEEvSK_, .Lfunc_end638-_ZN7rocprim17ROCPRIM_400000_NS6detail17trampoline_kernelINS0_14default_configENS1_36segmented_radix_sort_config_selectorIilEEZNS1_25segmented_radix_sort_implIS3_Lb0EPKiPiPKlPlN2at6native12_GLOBAL__N_18offset_tEEE10hipError_tPvRmT1_PNSt15iterator_traitsISK_E10value_typeET2_T3_PNSL_ISQ_E10value_typeET4_jRbjT5_SW_jjP12ihipStream_tbEUlT_E2_NS1_11comp_targetILNS1_3genE8ELNS1_11target_archE1030ELNS1_3gpuE2ELNS1_3repE0EEENS1_30default_config_static_selectorELNS0_4arch9wavefront6targetE1EEEvSK_
                                        ; -- End function
	.section	.AMDGPU.csdata,"",@progbits
; Kernel info:
; codeLenInByte = 0
; NumSgprs: 4
; NumVgprs: 0
; NumAgprs: 0
; TotalNumVgprs: 0
; ScratchSize: 0
; MemoryBound: 0
; FloatMode: 240
; IeeeMode: 1
; LDSByteSize: 0 bytes/workgroup (compile time only)
; SGPRBlocks: 0
; VGPRBlocks: 0
; NumSGPRsForWavesPerEU: 4
; NumVGPRsForWavesPerEU: 1
; AccumOffset: 4
; Occupancy: 8
; WaveLimiterHint : 0
; COMPUTE_PGM_RSRC2:SCRATCH_EN: 0
; COMPUTE_PGM_RSRC2:USER_SGPR: 6
; COMPUTE_PGM_RSRC2:TRAP_HANDLER: 0
; COMPUTE_PGM_RSRC2:TGID_X_EN: 1
; COMPUTE_PGM_RSRC2:TGID_Y_EN: 0
; COMPUTE_PGM_RSRC2:TGID_Z_EN: 0
; COMPUTE_PGM_RSRC2:TIDIG_COMP_CNT: 0
; COMPUTE_PGM_RSRC3_GFX90A:ACCUM_OFFSET: 0
; COMPUTE_PGM_RSRC3_GFX90A:TG_SPLIT: 0
	.section	.text._ZN2at6native12_GLOBAL__N_123sort_postprocess_kernelIlEEvPKT_PS3_PlPK15HIP_vector_typeIiLj2EEii,"axG",@progbits,_ZN2at6native12_GLOBAL__N_123sort_postprocess_kernelIlEEvPKT_PS3_PlPK15HIP_vector_typeIiLj2EEii,comdat
	.globl	_ZN2at6native12_GLOBAL__N_123sort_postprocess_kernelIlEEvPKT_PS3_PlPK15HIP_vector_typeIiLj2EEii ; -- Begin function _ZN2at6native12_GLOBAL__N_123sort_postprocess_kernelIlEEvPKT_PS3_PlPK15HIP_vector_typeIiLj2EEii
	.p2align	8
	.type	_ZN2at6native12_GLOBAL__N_123sort_postprocess_kernelIlEEvPKT_PS3_PlPK15HIP_vector_typeIiLj2EEii,@function
_ZN2at6native12_GLOBAL__N_123sort_postprocess_kernelIlEEvPKT_PS3_PlPK15HIP_vector_typeIiLj2EEii: ; @_ZN2at6native12_GLOBAL__N_123sort_postprocess_kernelIlEEvPKT_PS3_PlPK15HIP_vector_typeIiLj2EEii
; %bb.0:
	s_load_dword s0, s[4:5], 0x34
	s_load_dwordx2 s[8:9], s[4:5], 0x20
	s_add_u32 s2, s4, 40
	s_addc_u32 s3, s5, 0
	v_mov_b32_e32 v1, 0
	s_waitcnt lgkmcnt(0)
	s_and_b32 s7, s0, 0xffff
	v_mov_b32_e32 v2, s6
	v_mad_u64_u32 v[0:1], s[0:1], s7, v2, v[0:1]
	s_mul_i32 s0, s9, s8
	s_ashr_i32 s1, s0, 31
	v_cmp_gt_i64_e32 vcc, s[0:1], v[0:1]
	s_and_saveexec_b64 s[10:11], vcc
	s_cbranch_execz .LBB639_3
; %bb.1:
	s_abs_i32 s6, s9
	v_cvt_f32_u32_e32 v2, s6
	s_load_dwordx8 s[8:15], s[4:5], 0x0
	s_load_dword s16, s[2:3], 0x0
	s_sub_i32 s17, 0, s6
	s_mov_b32 s5, 0
	v_rcp_iflag_f32_e32 v2, v2
	s_mov_b64 s[2:3], 0
	s_waitcnt lgkmcnt(0)
	s_mul_i32 s4, s16, s7
	v_mov_b32_e32 v3, s11
	v_mul_f32_e32 v2, 0x4f7ffffe, v2
	v_cvt_u32_f32_e32 v5, v2
	v_mov_b32_e32 v2, s9
	v_mov_b32_e32 v4, s13
	;; [unrolled: 1-line block ×3, first 2 shown]
	v_mul_lo_u32 v6, s17, v5
	v_mul_hi_u32 v6, v5, v6
	v_add_u32_e32 v5, v5, v6
	v_mov_b32_e32 v6, s15
.LBB639_2:                              ; =>This Inner Loop Header: Depth=1
	v_sub_u32_e32 v9, 0, v0
	v_max_i32_e32 v9, v0, v9
	v_mul_hi_u32 v11, v9, v5
	v_mul_lo_u32 v11, v11, s6
	v_sub_u32_e32 v9, v9, v11
	v_subrev_u32_e32 v11, s6, v9
	v_cmp_le_u32_e32 vcc, s6, v9
	v_cndmask_b32_e32 v9, v9, v11, vcc
	v_subrev_u32_e32 v11, s6, v9
	v_cmp_le_u32_e32 vcc, s6, v9
	v_ashrrev_i32_e32 v8, 31, v0
	v_cndmask_b32_e32 v9, v9, v11, vcc
	v_add_u32_e32 v10, v0, v8
	v_xor_b32_e32 v9, v9, v8
	v_sub_u32_e32 v10, v10, v9
	v_ashrrev_i32_e32 v11, 31, v10
	v_sub_u32_e32 v8, v9, v8
	v_lshlrev_b64 v[10:11], 3, v[10:11]
	v_ashrrev_i32_e32 v9, 31, v8
	v_add_co_u32_e32 v12, vcc, s14, v10
	v_lshlrev_b64 v[8:9], 3, v[8:9]
	v_addc_co_u32_e32 v13, vcc, v6, v11, vcc
	v_add_co_u32_e32 v12, vcc, v12, v8
	v_addc_co_u32_e32 v13, vcc, v13, v9, vcc
	global_load_dword v12, v[12:13], off offset:4
	v_add_co_u32_e32 v16, vcc, s8, v10
	v_addc_co_u32_e32 v17, vcc, v2, v11, vcc
	v_add_co_u32_e32 v13, vcc, s12, v10
	v_addc_co_u32_e32 v15, vcc, v4, v11, vcc
	;; [unrolled: 2-line block ×3, first 2 shown]
	s_waitcnt vmcnt(0)
	v_ashrrev_i32_e32 v13, 31, v12
	global_store_dwordx2 v[14:15], v[12:13], off
	v_lshlrev_b64 v[12:13], 3, v[12:13]
	v_add_co_u32_e32 v12, vcc, v16, v12
	v_addc_co_u32_e32 v13, vcc, v17, v13, vcc
	global_load_dwordx2 v[12:13], v[12:13], off
	v_add_co_u32_e32 v0, vcc, s4, v0
	v_addc_co_u32_e32 v1, vcc, v1, v7, vcc
	v_cmp_le_i64_e32 vcc, s[0:1], v[0:1]
	s_or_b64 s[2:3], vcc, s[2:3]
	v_add_co_u32_e32 v10, vcc, s10, v10
	v_addc_co_u32_e32 v11, vcc, v3, v11, vcc
	v_add_co_u32_e32 v8, vcc, v10, v8
	v_addc_co_u32_e32 v9, vcc, v11, v9, vcc
	s_waitcnt vmcnt(0)
	global_store_dwordx2 v[8:9], v[12:13], off
	s_andn2_b64 exec, exec, s[2:3]
	s_cbranch_execnz .LBB639_2
.LBB639_3:
	s_endpgm
	.section	.rodata,"a",@progbits
	.p2align	6, 0x0
	.amdhsa_kernel _ZN2at6native12_GLOBAL__N_123sort_postprocess_kernelIlEEvPKT_PS3_PlPK15HIP_vector_typeIiLj2EEii
		.amdhsa_group_segment_fixed_size 0
		.amdhsa_private_segment_fixed_size 0
		.amdhsa_kernarg_size 296
		.amdhsa_user_sgpr_count 6
		.amdhsa_user_sgpr_private_segment_buffer 1
		.amdhsa_user_sgpr_dispatch_ptr 0
		.amdhsa_user_sgpr_queue_ptr 0
		.amdhsa_user_sgpr_kernarg_segment_ptr 1
		.amdhsa_user_sgpr_dispatch_id 0
		.amdhsa_user_sgpr_flat_scratch_init 0
		.amdhsa_user_sgpr_kernarg_preload_length 0
		.amdhsa_user_sgpr_kernarg_preload_offset 0
		.amdhsa_user_sgpr_private_segment_size 0
		.amdhsa_uses_dynamic_stack 0
		.amdhsa_system_sgpr_private_segment_wavefront_offset 0
		.amdhsa_system_sgpr_workgroup_id_x 1
		.amdhsa_system_sgpr_workgroup_id_y 0
		.amdhsa_system_sgpr_workgroup_id_z 0
		.amdhsa_system_sgpr_workgroup_info 0
		.amdhsa_system_vgpr_workitem_id 0
		.amdhsa_next_free_vgpr 18
		.amdhsa_next_free_sgpr 18
		.amdhsa_accum_offset 20
		.amdhsa_reserve_vcc 1
		.amdhsa_reserve_flat_scratch 0
		.amdhsa_float_round_mode_32 0
		.amdhsa_float_round_mode_16_64 0
		.amdhsa_float_denorm_mode_32 3
		.amdhsa_float_denorm_mode_16_64 3
		.amdhsa_dx10_clamp 1
		.amdhsa_ieee_mode 1
		.amdhsa_fp16_overflow 0
		.amdhsa_tg_split 0
		.amdhsa_exception_fp_ieee_invalid_op 0
		.amdhsa_exception_fp_denorm_src 0
		.amdhsa_exception_fp_ieee_div_zero 0
		.amdhsa_exception_fp_ieee_overflow 0
		.amdhsa_exception_fp_ieee_underflow 0
		.amdhsa_exception_fp_ieee_inexact 0
		.amdhsa_exception_int_div_zero 0
	.end_amdhsa_kernel
	.section	.text._ZN2at6native12_GLOBAL__N_123sort_postprocess_kernelIlEEvPKT_PS3_PlPK15HIP_vector_typeIiLj2EEii,"axG",@progbits,_ZN2at6native12_GLOBAL__N_123sort_postprocess_kernelIlEEvPKT_PS3_PlPK15HIP_vector_typeIiLj2EEii,comdat
.Lfunc_end639:
	.size	_ZN2at6native12_GLOBAL__N_123sort_postprocess_kernelIlEEvPKT_PS3_PlPK15HIP_vector_typeIiLj2EEii, .Lfunc_end639-_ZN2at6native12_GLOBAL__N_123sort_postprocess_kernelIlEEvPKT_PS3_PlPK15HIP_vector_typeIiLj2EEii
                                        ; -- End function
	.section	.AMDGPU.csdata,"",@progbits
; Kernel info:
; codeLenInByte = 412
; NumSgprs: 22
; NumVgprs: 18
; NumAgprs: 0
; TotalNumVgprs: 18
; ScratchSize: 0
; MemoryBound: 0
; FloatMode: 240
; IeeeMode: 1
; LDSByteSize: 0 bytes/workgroup (compile time only)
; SGPRBlocks: 2
; VGPRBlocks: 2
; NumSGPRsForWavesPerEU: 22
; NumVGPRsForWavesPerEU: 18
; AccumOffset: 20
; Occupancy: 8
; WaveLimiterHint : 1
; COMPUTE_PGM_RSRC2:SCRATCH_EN: 0
; COMPUTE_PGM_RSRC2:USER_SGPR: 6
; COMPUTE_PGM_RSRC2:TRAP_HANDLER: 0
; COMPUTE_PGM_RSRC2:TGID_X_EN: 1
; COMPUTE_PGM_RSRC2:TGID_Y_EN: 0
; COMPUTE_PGM_RSRC2:TGID_Z_EN: 0
; COMPUTE_PGM_RSRC2:TIDIG_COMP_CNT: 0
; COMPUTE_PGM_RSRC3_GFX90A:ACCUM_OFFSET: 4
; COMPUTE_PGM_RSRC3_GFX90A:TG_SPLIT: 0
	.section	.text._ZN7rocprim17ROCPRIM_400000_NS6detail17trampoline_kernelINS0_13select_configILj256ELj13ELNS0_17block_load_methodE3ELS4_3ELS4_3ELNS0_20block_scan_algorithmE0ELj4294967295EEENS1_25partition_config_selectorILNS1_17partition_subalgoE4EjNS0_10empty_typeEbEEZZNS1_14partition_implILS8_4ELb0ES6_15HIP_vector_typeIjLj2EENS0_17counting_iteratorIjlEEPS9_SG_NS0_5tupleIJPjSI_NS0_16reverse_iteratorISI_EEEEENSH_IJSG_SG_SG_EEES9_SI_JZNS1_25segmented_radix_sort_implINS0_14default_configELb1EPKlPlSQ_SR_N2at6native12_GLOBAL__N_18offset_tEEE10hipError_tPvRmT1_PNSt15iterator_traitsISZ_E10value_typeET2_T3_PNS10_IS15_E10value_typeET4_jRbjT5_S1B_jjP12ihipStream_tbEUljE_ZNSN_ISO_Lb1ESQ_SR_SQ_SR_SV_EESW_SX_SY_SZ_S13_S14_S15_S18_S19_jS1A_jS1B_S1B_jjS1D_bEUljE0_EEESW_SX_SY_S15_S19_S1B_T6_T7_T9_mT8_S1D_bDpT10_ENKUlT_T0_E_clISt17integral_constantIbLb0EES1R_EEDaS1M_S1N_EUlS1M_E_NS1_11comp_targetILNS1_3genE0ELNS1_11target_archE4294967295ELNS1_3gpuE0ELNS1_3repE0EEENS1_30default_config_static_selectorELNS0_4arch9wavefront6targetE1EEEvSZ_,"axG",@progbits,_ZN7rocprim17ROCPRIM_400000_NS6detail17trampoline_kernelINS0_13select_configILj256ELj13ELNS0_17block_load_methodE3ELS4_3ELS4_3ELNS0_20block_scan_algorithmE0ELj4294967295EEENS1_25partition_config_selectorILNS1_17partition_subalgoE4EjNS0_10empty_typeEbEEZZNS1_14partition_implILS8_4ELb0ES6_15HIP_vector_typeIjLj2EENS0_17counting_iteratorIjlEEPS9_SG_NS0_5tupleIJPjSI_NS0_16reverse_iteratorISI_EEEEENSH_IJSG_SG_SG_EEES9_SI_JZNS1_25segmented_radix_sort_implINS0_14default_configELb1EPKlPlSQ_SR_N2at6native12_GLOBAL__N_18offset_tEEE10hipError_tPvRmT1_PNSt15iterator_traitsISZ_E10value_typeET2_T3_PNS10_IS15_E10value_typeET4_jRbjT5_S1B_jjP12ihipStream_tbEUljE_ZNSN_ISO_Lb1ESQ_SR_SQ_SR_SV_EESW_SX_SY_SZ_S13_S14_S15_S18_S19_jS1A_jS1B_S1B_jjS1D_bEUljE0_EEESW_SX_SY_S15_S19_S1B_T6_T7_T9_mT8_S1D_bDpT10_ENKUlT_T0_E_clISt17integral_constantIbLb0EES1R_EEDaS1M_S1N_EUlS1M_E_NS1_11comp_targetILNS1_3genE0ELNS1_11target_archE4294967295ELNS1_3gpuE0ELNS1_3repE0EEENS1_30default_config_static_selectorELNS0_4arch9wavefront6targetE1EEEvSZ_,comdat
	.globl	_ZN7rocprim17ROCPRIM_400000_NS6detail17trampoline_kernelINS0_13select_configILj256ELj13ELNS0_17block_load_methodE3ELS4_3ELS4_3ELNS0_20block_scan_algorithmE0ELj4294967295EEENS1_25partition_config_selectorILNS1_17partition_subalgoE4EjNS0_10empty_typeEbEEZZNS1_14partition_implILS8_4ELb0ES6_15HIP_vector_typeIjLj2EENS0_17counting_iteratorIjlEEPS9_SG_NS0_5tupleIJPjSI_NS0_16reverse_iteratorISI_EEEEENSH_IJSG_SG_SG_EEES9_SI_JZNS1_25segmented_radix_sort_implINS0_14default_configELb1EPKlPlSQ_SR_N2at6native12_GLOBAL__N_18offset_tEEE10hipError_tPvRmT1_PNSt15iterator_traitsISZ_E10value_typeET2_T3_PNS10_IS15_E10value_typeET4_jRbjT5_S1B_jjP12ihipStream_tbEUljE_ZNSN_ISO_Lb1ESQ_SR_SQ_SR_SV_EESW_SX_SY_SZ_S13_S14_S15_S18_S19_jS1A_jS1B_S1B_jjS1D_bEUljE0_EEESW_SX_SY_S15_S19_S1B_T6_T7_T9_mT8_S1D_bDpT10_ENKUlT_T0_E_clISt17integral_constantIbLb0EES1R_EEDaS1M_S1N_EUlS1M_E_NS1_11comp_targetILNS1_3genE0ELNS1_11target_archE4294967295ELNS1_3gpuE0ELNS1_3repE0EEENS1_30default_config_static_selectorELNS0_4arch9wavefront6targetE1EEEvSZ_ ; -- Begin function _ZN7rocprim17ROCPRIM_400000_NS6detail17trampoline_kernelINS0_13select_configILj256ELj13ELNS0_17block_load_methodE3ELS4_3ELS4_3ELNS0_20block_scan_algorithmE0ELj4294967295EEENS1_25partition_config_selectorILNS1_17partition_subalgoE4EjNS0_10empty_typeEbEEZZNS1_14partition_implILS8_4ELb0ES6_15HIP_vector_typeIjLj2EENS0_17counting_iteratorIjlEEPS9_SG_NS0_5tupleIJPjSI_NS0_16reverse_iteratorISI_EEEEENSH_IJSG_SG_SG_EEES9_SI_JZNS1_25segmented_radix_sort_implINS0_14default_configELb1EPKlPlSQ_SR_N2at6native12_GLOBAL__N_18offset_tEEE10hipError_tPvRmT1_PNSt15iterator_traitsISZ_E10value_typeET2_T3_PNS10_IS15_E10value_typeET4_jRbjT5_S1B_jjP12ihipStream_tbEUljE_ZNSN_ISO_Lb1ESQ_SR_SQ_SR_SV_EESW_SX_SY_SZ_S13_S14_S15_S18_S19_jS1A_jS1B_S1B_jjS1D_bEUljE0_EEESW_SX_SY_S15_S19_S1B_T6_T7_T9_mT8_S1D_bDpT10_ENKUlT_T0_E_clISt17integral_constantIbLb0EES1R_EEDaS1M_S1N_EUlS1M_E_NS1_11comp_targetILNS1_3genE0ELNS1_11target_archE4294967295ELNS1_3gpuE0ELNS1_3repE0EEENS1_30default_config_static_selectorELNS0_4arch9wavefront6targetE1EEEvSZ_
	.p2align	8
	.type	_ZN7rocprim17ROCPRIM_400000_NS6detail17trampoline_kernelINS0_13select_configILj256ELj13ELNS0_17block_load_methodE3ELS4_3ELS4_3ELNS0_20block_scan_algorithmE0ELj4294967295EEENS1_25partition_config_selectorILNS1_17partition_subalgoE4EjNS0_10empty_typeEbEEZZNS1_14partition_implILS8_4ELb0ES6_15HIP_vector_typeIjLj2EENS0_17counting_iteratorIjlEEPS9_SG_NS0_5tupleIJPjSI_NS0_16reverse_iteratorISI_EEEEENSH_IJSG_SG_SG_EEES9_SI_JZNS1_25segmented_radix_sort_implINS0_14default_configELb1EPKlPlSQ_SR_N2at6native12_GLOBAL__N_18offset_tEEE10hipError_tPvRmT1_PNSt15iterator_traitsISZ_E10value_typeET2_T3_PNS10_IS15_E10value_typeET4_jRbjT5_S1B_jjP12ihipStream_tbEUljE_ZNSN_ISO_Lb1ESQ_SR_SQ_SR_SV_EESW_SX_SY_SZ_S13_S14_S15_S18_S19_jS1A_jS1B_S1B_jjS1D_bEUljE0_EEESW_SX_SY_S15_S19_S1B_T6_T7_T9_mT8_S1D_bDpT10_ENKUlT_T0_E_clISt17integral_constantIbLb0EES1R_EEDaS1M_S1N_EUlS1M_E_NS1_11comp_targetILNS1_3genE0ELNS1_11target_archE4294967295ELNS1_3gpuE0ELNS1_3repE0EEENS1_30default_config_static_selectorELNS0_4arch9wavefront6targetE1EEEvSZ_,@function
_ZN7rocprim17ROCPRIM_400000_NS6detail17trampoline_kernelINS0_13select_configILj256ELj13ELNS0_17block_load_methodE3ELS4_3ELS4_3ELNS0_20block_scan_algorithmE0ELj4294967295EEENS1_25partition_config_selectorILNS1_17partition_subalgoE4EjNS0_10empty_typeEbEEZZNS1_14partition_implILS8_4ELb0ES6_15HIP_vector_typeIjLj2EENS0_17counting_iteratorIjlEEPS9_SG_NS0_5tupleIJPjSI_NS0_16reverse_iteratorISI_EEEEENSH_IJSG_SG_SG_EEES9_SI_JZNS1_25segmented_radix_sort_implINS0_14default_configELb1EPKlPlSQ_SR_N2at6native12_GLOBAL__N_18offset_tEEE10hipError_tPvRmT1_PNSt15iterator_traitsISZ_E10value_typeET2_T3_PNS10_IS15_E10value_typeET4_jRbjT5_S1B_jjP12ihipStream_tbEUljE_ZNSN_ISO_Lb1ESQ_SR_SQ_SR_SV_EESW_SX_SY_SZ_S13_S14_S15_S18_S19_jS1A_jS1B_S1B_jjS1D_bEUljE0_EEESW_SX_SY_S15_S19_S1B_T6_T7_T9_mT8_S1D_bDpT10_ENKUlT_T0_E_clISt17integral_constantIbLb0EES1R_EEDaS1M_S1N_EUlS1M_E_NS1_11comp_targetILNS1_3genE0ELNS1_11target_archE4294967295ELNS1_3gpuE0ELNS1_3repE0EEENS1_30default_config_static_selectorELNS0_4arch9wavefront6targetE1EEEvSZ_: ; @_ZN7rocprim17ROCPRIM_400000_NS6detail17trampoline_kernelINS0_13select_configILj256ELj13ELNS0_17block_load_methodE3ELS4_3ELS4_3ELNS0_20block_scan_algorithmE0ELj4294967295EEENS1_25partition_config_selectorILNS1_17partition_subalgoE4EjNS0_10empty_typeEbEEZZNS1_14partition_implILS8_4ELb0ES6_15HIP_vector_typeIjLj2EENS0_17counting_iteratorIjlEEPS9_SG_NS0_5tupleIJPjSI_NS0_16reverse_iteratorISI_EEEEENSH_IJSG_SG_SG_EEES9_SI_JZNS1_25segmented_radix_sort_implINS0_14default_configELb1EPKlPlSQ_SR_N2at6native12_GLOBAL__N_18offset_tEEE10hipError_tPvRmT1_PNSt15iterator_traitsISZ_E10value_typeET2_T3_PNS10_IS15_E10value_typeET4_jRbjT5_S1B_jjP12ihipStream_tbEUljE_ZNSN_ISO_Lb1ESQ_SR_SQ_SR_SV_EESW_SX_SY_SZ_S13_S14_S15_S18_S19_jS1A_jS1B_S1B_jjS1D_bEUljE0_EEESW_SX_SY_S15_S19_S1B_T6_T7_T9_mT8_S1D_bDpT10_ENKUlT_T0_E_clISt17integral_constantIbLb0EES1R_EEDaS1M_S1N_EUlS1M_E_NS1_11comp_targetILNS1_3genE0ELNS1_11target_archE4294967295ELNS1_3gpuE0ELNS1_3repE0EEENS1_30default_config_static_selectorELNS0_4arch9wavefront6targetE1EEEvSZ_
; %bb.0:
	.section	.rodata,"a",@progbits
	.p2align	6, 0x0
	.amdhsa_kernel _ZN7rocprim17ROCPRIM_400000_NS6detail17trampoline_kernelINS0_13select_configILj256ELj13ELNS0_17block_load_methodE3ELS4_3ELS4_3ELNS0_20block_scan_algorithmE0ELj4294967295EEENS1_25partition_config_selectorILNS1_17partition_subalgoE4EjNS0_10empty_typeEbEEZZNS1_14partition_implILS8_4ELb0ES6_15HIP_vector_typeIjLj2EENS0_17counting_iteratorIjlEEPS9_SG_NS0_5tupleIJPjSI_NS0_16reverse_iteratorISI_EEEEENSH_IJSG_SG_SG_EEES9_SI_JZNS1_25segmented_radix_sort_implINS0_14default_configELb1EPKlPlSQ_SR_N2at6native12_GLOBAL__N_18offset_tEEE10hipError_tPvRmT1_PNSt15iterator_traitsISZ_E10value_typeET2_T3_PNS10_IS15_E10value_typeET4_jRbjT5_S1B_jjP12ihipStream_tbEUljE_ZNSN_ISO_Lb1ESQ_SR_SQ_SR_SV_EESW_SX_SY_SZ_S13_S14_S15_S18_S19_jS1A_jS1B_S1B_jjS1D_bEUljE0_EEESW_SX_SY_S15_S19_S1B_T6_T7_T9_mT8_S1D_bDpT10_ENKUlT_T0_E_clISt17integral_constantIbLb0EES1R_EEDaS1M_S1N_EUlS1M_E_NS1_11comp_targetILNS1_3genE0ELNS1_11target_archE4294967295ELNS1_3gpuE0ELNS1_3repE0EEENS1_30default_config_static_selectorELNS0_4arch9wavefront6targetE1EEEvSZ_
		.amdhsa_group_segment_fixed_size 0
		.amdhsa_private_segment_fixed_size 0
		.amdhsa_kernarg_size 176
		.amdhsa_user_sgpr_count 6
		.amdhsa_user_sgpr_private_segment_buffer 1
		.amdhsa_user_sgpr_dispatch_ptr 0
		.amdhsa_user_sgpr_queue_ptr 0
		.amdhsa_user_sgpr_kernarg_segment_ptr 1
		.amdhsa_user_sgpr_dispatch_id 0
		.amdhsa_user_sgpr_flat_scratch_init 0
		.amdhsa_user_sgpr_kernarg_preload_length 0
		.amdhsa_user_sgpr_kernarg_preload_offset 0
		.amdhsa_user_sgpr_private_segment_size 0
		.amdhsa_uses_dynamic_stack 0
		.amdhsa_system_sgpr_private_segment_wavefront_offset 0
		.amdhsa_system_sgpr_workgroup_id_x 1
		.amdhsa_system_sgpr_workgroup_id_y 0
		.amdhsa_system_sgpr_workgroup_id_z 0
		.amdhsa_system_sgpr_workgroup_info 0
		.amdhsa_system_vgpr_workitem_id 0
		.amdhsa_next_free_vgpr 1
		.amdhsa_next_free_sgpr 0
		.amdhsa_accum_offset 4
		.amdhsa_reserve_vcc 0
		.amdhsa_reserve_flat_scratch 0
		.amdhsa_float_round_mode_32 0
		.amdhsa_float_round_mode_16_64 0
		.amdhsa_float_denorm_mode_32 3
		.amdhsa_float_denorm_mode_16_64 3
		.amdhsa_dx10_clamp 1
		.amdhsa_ieee_mode 1
		.amdhsa_fp16_overflow 0
		.amdhsa_tg_split 0
		.amdhsa_exception_fp_ieee_invalid_op 0
		.amdhsa_exception_fp_denorm_src 0
		.amdhsa_exception_fp_ieee_div_zero 0
		.amdhsa_exception_fp_ieee_overflow 0
		.amdhsa_exception_fp_ieee_underflow 0
		.amdhsa_exception_fp_ieee_inexact 0
		.amdhsa_exception_int_div_zero 0
	.end_amdhsa_kernel
	.section	.text._ZN7rocprim17ROCPRIM_400000_NS6detail17trampoline_kernelINS0_13select_configILj256ELj13ELNS0_17block_load_methodE3ELS4_3ELS4_3ELNS0_20block_scan_algorithmE0ELj4294967295EEENS1_25partition_config_selectorILNS1_17partition_subalgoE4EjNS0_10empty_typeEbEEZZNS1_14partition_implILS8_4ELb0ES6_15HIP_vector_typeIjLj2EENS0_17counting_iteratorIjlEEPS9_SG_NS0_5tupleIJPjSI_NS0_16reverse_iteratorISI_EEEEENSH_IJSG_SG_SG_EEES9_SI_JZNS1_25segmented_radix_sort_implINS0_14default_configELb1EPKlPlSQ_SR_N2at6native12_GLOBAL__N_18offset_tEEE10hipError_tPvRmT1_PNSt15iterator_traitsISZ_E10value_typeET2_T3_PNS10_IS15_E10value_typeET4_jRbjT5_S1B_jjP12ihipStream_tbEUljE_ZNSN_ISO_Lb1ESQ_SR_SQ_SR_SV_EESW_SX_SY_SZ_S13_S14_S15_S18_S19_jS1A_jS1B_S1B_jjS1D_bEUljE0_EEESW_SX_SY_S15_S19_S1B_T6_T7_T9_mT8_S1D_bDpT10_ENKUlT_T0_E_clISt17integral_constantIbLb0EES1R_EEDaS1M_S1N_EUlS1M_E_NS1_11comp_targetILNS1_3genE0ELNS1_11target_archE4294967295ELNS1_3gpuE0ELNS1_3repE0EEENS1_30default_config_static_selectorELNS0_4arch9wavefront6targetE1EEEvSZ_,"axG",@progbits,_ZN7rocprim17ROCPRIM_400000_NS6detail17trampoline_kernelINS0_13select_configILj256ELj13ELNS0_17block_load_methodE3ELS4_3ELS4_3ELNS0_20block_scan_algorithmE0ELj4294967295EEENS1_25partition_config_selectorILNS1_17partition_subalgoE4EjNS0_10empty_typeEbEEZZNS1_14partition_implILS8_4ELb0ES6_15HIP_vector_typeIjLj2EENS0_17counting_iteratorIjlEEPS9_SG_NS0_5tupleIJPjSI_NS0_16reverse_iteratorISI_EEEEENSH_IJSG_SG_SG_EEES9_SI_JZNS1_25segmented_radix_sort_implINS0_14default_configELb1EPKlPlSQ_SR_N2at6native12_GLOBAL__N_18offset_tEEE10hipError_tPvRmT1_PNSt15iterator_traitsISZ_E10value_typeET2_T3_PNS10_IS15_E10value_typeET4_jRbjT5_S1B_jjP12ihipStream_tbEUljE_ZNSN_ISO_Lb1ESQ_SR_SQ_SR_SV_EESW_SX_SY_SZ_S13_S14_S15_S18_S19_jS1A_jS1B_S1B_jjS1D_bEUljE0_EEESW_SX_SY_S15_S19_S1B_T6_T7_T9_mT8_S1D_bDpT10_ENKUlT_T0_E_clISt17integral_constantIbLb0EES1R_EEDaS1M_S1N_EUlS1M_E_NS1_11comp_targetILNS1_3genE0ELNS1_11target_archE4294967295ELNS1_3gpuE0ELNS1_3repE0EEENS1_30default_config_static_selectorELNS0_4arch9wavefront6targetE1EEEvSZ_,comdat
.Lfunc_end640:
	.size	_ZN7rocprim17ROCPRIM_400000_NS6detail17trampoline_kernelINS0_13select_configILj256ELj13ELNS0_17block_load_methodE3ELS4_3ELS4_3ELNS0_20block_scan_algorithmE0ELj4294967295EEENS1_25partition_config_selectorILNS1_17partition_subalgoE4EjNS0_10empty_typeEbEEZZNS1_14partition_implILS8_4ELb0ES6_15HIP_vector_typeIjLj2EENS0_17counting_iteratorIjlEEPS9_SG_NS0_5tupleIJPjSI_NS0_16reverse_iteratorISI_EEEEENSH_IJSG_SG_SG_EEES9_SI_JZNS1_25segmented_radix_sort_implINS0_14default_configELb1EPKlPlSQ_SR_N2at6native12_GLOBAL__N_18offset_tEEE10hipError_tPvRmT1_PNSt15iterator_traitsISZ_E10value_typeET2_T3_PNS10_IS15_E10value_typeET4_jRbjT5_S1B_jjP12ihipStream_tbEUljE_ZNSN_ISO_Lb1ESQ_SR_SQ_SR_SV_EESW_SX_SY_SZ_S13_S14_S15_S18_S19_jS1A_jS1B_S1B_jjS1D_bEUljE0_EEESW_SX_SY_S15_S19_S1B_T6_T7_T9_mT8_S1D_bDpT10_ENKUlT_T0_E_clISt17integral_constantIbLb0EES1R_EEDaS1M_S1N_EUlS1M_E_NS1_11comp_targetILNS1_3genE0ELNS1_11target_archE4294967295ELNS1_3gpuE0ELNS1_3repE0EEENS1_30default_config_static_selectorELNS0_4arch9wavefront6targetE1EEEvSZ_, .Lfunc_end640-_ZN7rocprim17ROCPRIM_400000_NS6detail17trampoline_kernelINS0_13select_configILj256ELj13ELNS0_17block_load_methodE3ELS4_3ELS4_3ELNS0_20block_scan_algorithmE0ELj4294967295EEENS1_25partition_config_selectorILNS1_17partition_subalgoE4EjNS0_10empty_typeEbEEZZNS1_14partition_implILS8_4ELb0ES6_15HIP_vector_typeIjLj2EENS0_17counting_iteratorIjlEEPS9_SG_NS0_5tupleIJPjSI_NS0_16reverse_iteratorISI_EEEEENSH_IJSG_SG_SG_EEES9_SI_JZNS1_25segmented_radix_sort_implINS0_14default_configELb1EPKlPlSQ_SR_N2at6native12_GLOBAL__N_18offset_tEEE10hipError_tPvRmT1_PNSt15iterator_traitsISZ_E10value_typeET2_T3_PNS10_IS15_E10value_typeET4_jRbjT5_S1B_jjP12ihipStream_tbEUljE_ZNSN_ISO_Lb1ESQ_SR_SQ_SR_SV_EESW_SX_SY_SZ_S13_S14_S15_S18_S19_jS1A_jS1B_S1B_jjS1D_bEUljE0_EEESW_SX_SY_S15_S19_S1B_T6_T7_T9_mT8_S1D_bDpT10_ENKUlT_T0_E_clISt17integral_constantIbLb0EES1R_EEDaS1M_S1N_EUlS1M_E_NS1_11comp_targetILNS1_3genE0ELNS1_11target_archE4294967295ELNS1_3gpuE0ELNS1_3repE0EEENS1_30default_config_static_selectorELNS0_4arch9wavefront6targetE1EEEvSZ_
                                        ; -- End function
	.section	.AMDGPU.csdata,"",@progbits
; Kernel info:
; codeLenInByte = 0
; NumSgprs: 4
; NumVgprs: 0
; NumAgprs: 0
; TotalNumVgprs: 0
; ScratchSize: 0
; MemoryBound: 0
; FloatMode: 240
; IeeeMode: 1
; LDSByteSize: 0 bytes/workgroup (compile time only)
; SGPRBlocks: 0
; VGPRBlocks: 0
; NumSGPRsForWavesPerEU: 4
; NumVGPRsForWavesPerEU: 1
; AccumOffset: 4
; Occupancy: 8
; WaveLimiterHint : 0
; COMPUTE_PGM_RSRC2:SCRATCH_EN: 0
; COMPUTE_PGM_RSRC2:USER_SGPR: 6
; COMPUTE_PGM_RSRC2:TRAP_HANDLER: 0
; COMPUTE_PGM_RSRC2:TGID_X_EN: 1
; COMPUTE_PGM_RSRC2:TGID_Y_EN: 0
; COMPUTE_PGM_RSRC2:TGID_Z_EN: 0
; COMPUTE_PGM_RSRC2:TIDIG_COMP_CNT: 0
; COMPUTE_PGM_RSRC3_GFX90A:ACCUM_OFFSET: 0
; COMPUTE_PGM_RSRC3_GFX90A:TG_SPLIT: 0
	.section	.text._ZN7rocprim17ROCPRIM_400000_NS6detail17trampoline_kernelINS0_13select_configILj256ELj13ELNS0_17block_load_methodE3ELS4_3ELS4_3ELNS0_20block_scan_algorithmE0ELj4294967295EEENS1_25partition_config_selectorILNS1_17partition_subalgoE4EjNS0_10empty_typeEbEEZZNS1_14partition_implILS8_4ELb0ES6_15HIP_vector_typeIjLj2EENS0_17counting_iteratorIjlEEPS9_SG_NS0_5tupleIJPjSI_NS0_16reverse_iteratorISI_EEEEENSH_IJSG_SG_SG_EEES9_SI_JZNS1_25segmented_radix_sort_implINS0_14default_configELb1EPKlPlSQ_SR_N2at6native12_GLOBAL__N_18offset_tEEE10hipError_tPvRmT1_PNSt15iterator_traitsISZ_E10value_typeET2_T3_PNS10_IS15_E10value_typeET4_jRbjT5_S1B_jjP12ihipStream_tbEUljE_ZNSN_ISO_Lb1ESQ_SR_SQ_SR_SV_EESW_SX_SY_SZ_S13_S14_S15_S18_S19_jS1A_jS1B_S1B_jjS1D_bEUljE0_EEESW_SX_SY_S15_S19_S1B_T6_T7_T9_mT8_S1D_bDpT10_ENKUlT_T0_E_clISt17integral_constantIbLb0EES1R_EEDaS1M_S1N_EUlS1M_E_NS1_11comp_targetILNS1_3genE5ELNS1_11target_archE942ELNS1_3gpuE9ELNS1_3repE0EEENS1_30default_config_static_selectorELNS0_4arch9wavefront6targetE1EEEvSZ_,"axG",@progbits,_ZN7rocprim17ROCPRIM_400000_NS6detail17trampoline_kernelINS0_13select_configILj256ELj13ELNS0_17block_load_methodE3ELS4_3ELS4_3ELNS0_20block_scan_algorithmE0ELj4294967295EEENS1_25partition_config_selectorILNS1_17partition_subalgoE4EjNS0_10empty_typeEbEEZZNS1_14partition_implILS8_4ELb0ES6_15HIP_vector_typeIjLj2EENS0_17counting_iteratorIjlEEPS9_SG_NS0_5tupleIJPjSI_NS0_16reverse_iteratorISI_EEEEENSH_IJSG_SG_SG_EEES9_SI_JZNS1_25segmented_radix_sort_implINS0_14default_configELb1EPKlPlSQ_SR_N2at6native12_GLOBAL__N_18offset_tEEE10hipError_tPvRmT1_PNSt15iterator_traitsISZ_E10value_typeET2_T3_PNS10_IS15_E10value_typeET4_jRbjT5_S1B_jjP12ihipStream_tbEUljE_ZNSN_ISO_Lb1ESQ_SR_SQ_SR_SV_EESW_SX_SY_SZ_S13_S14_S15_S18_S19_jS1A_jS1B_S1B_jjS1D_bEUljE0_EEESW_SX_SY_S15_S19_S1B_T6_T7_T9_mT8_S1D_bDpT10_ENKUlT_T0_E_clISt17integral_constantIbLb0EES1R_EEDaS1M_S1N_EUlS1M_E_NS1_11comp_targetILNS1_3genE5ELNS1_11target_archE942ELNS1_3gpuE9ELNS1_3repE0EEENS1_30default_config_static_selectorELNS0_4arch9wavefront6targetE1EEEvSZ_,comdat
	.globl	_ZN7rocprim17ROCPRIM_400000_NS6detail17trampoline_kernelINS0_13select_configILj256ELj13ELNS0_17block_load_methodE3ELS4_3ELS4_3ELNS0_20block_scan_algorithmE0ELj4294967295EEENS1_25partition_config_selectorILNS1_17partition_subalgoE4EjNS0_10empty_typeEbEEZZNS1_14partition_implILS8_4ELb0ES6_15HIP_vector_typeIjLj2EENS0_17counting_iteratorIjlEEPS9_SG_NS0_5tupleIJPjSI_NS0_16reverse_iteratorISI_EEEEENSH_IJSG_SG_SG_EEES9_SI_JZNS1_25segmented_radix_sort_implINS0_14default_configELb1EPKlPlSQ_SR_N2at6native12_GLOBAL__N_18offset_tEEE10hipError_tPvRmT1_PNSt15iterator_traitsISZ_E10value_typeET2_T3_PNS10_IS15_E10value_typeET4_jRbjT5_S1B_jjP12ihipStream_tbEUljE_ZNSN_ISO_Lb1ESQ_SR_SQ_SR_SV_EESW_SX_SY_SZ_S13_S14_S15_S18_S19_jS1A_jS1B_S1B_jjS1D_bEUljE0_EEESW_SX_SY_S15_S19_S1B_T6_T7_T9_mT8_S1D_bDpT10_ENKUlT_T0_E_clISt17integral_constantIbLb0EES1R_EEDaS1M_S1N_EUlS1M_E_NS1_11comp_targetILNS1_3genE5ELNS1_11target_archE942ELNS1_3gpuE9ELNS1_3repE0EEENS1_30default_config_static_selectorELNS0_4arch9wavefront6targetE1EEEvSZ_ ; -- Begin function _ZN7rocprim17ROCPRIM_400000_NS6detail17trampoline_kernelINS0_13select_configILj256ELj13ELNS0_17block_load_methodE3ELS4_3ELS4_3ELNS0_20block_scan_algorithmE0ELj4294967295EEENS1_25partition_config_selectorILNS1_17partition_subalgoE4EjNS0_10empty_typeEbEEZZNS1_14partition_implILS8_4ELb0ES6_15HIP_vector_typeIjLj2EENS0_17counting_iteratorIjlEEPS9_SG_NS0_5tupleIJPjSI_NS0_16reverse_iteratorISI_EEEEENSH_IJSG_SG_SG_EEES9_SI_JZNS1_25segmented_radix_sort_implINS0_14default_configELb1EPKlPlSQ_SR_N2at6native12_GLOBAL__N_18offset_tEEE10hipError_tPvRmT1_PNSt15iterator_traitsISZ_E10value_typeET2_T3_PNS10_IS15_E10value_typeET4_jRbjT5_S1B_jjP12ihipStream_tbEUljE_ZNSN_ISO_Lb1ESQ_SR_SQ_SR_SV_EESW_SX_SY_SZ_S13_S14_S15_S18_S19_jS1A_jS1B_S1B_jjS1D_bEUljE0_EEESW_SX_SY_S15_S19_S1B_T6_T7_T9_mT8_S1D_bDpT10_ENKUlT_T0_E_clISt17integral_constantIbLb0EES1R_EEDaS1M_S1N_EUlS1M_E_NS1_11comp_targetILNS1_3genE5ELNS1_11target_archE942ELNS1_3gpuE9ELNS1_3repE0EEENS1_30default_config_static_selectorELNS0_4arch9wavefront6targetE1EEEvSZ_
	.p2align	8
	.type	_ZN7rocprim17ROCPRIM_400000_NS6detail17trampoline_kernelINS0_13select_configILj256ELj13ELNS0_17block_load_methodE3ELS4_3ELS4_3ELNS0_20block_scan_algorithmE0ELj4294967295EEENS1_25partition_config_selectorILNS1_17partition_subalgoE4EjNS0_10empty_typeEbEEZZNS1_14partition_implILS8_4ELb0ES6_15HIP_vector_typeIjLj2EENS0_17counting_iteratorIjlEEPS9_SG_NS0_5tupleIJPjSI_NS0_16reverse_iteratorISI_EEEEENSH_IJSG_SG_SG_EEES9_SI_JZNS1_25segmented_radix_sort_implINS0_14default_configELb1EPKlPlSQ_SR_N2at6native12_GLOBAL__N_18offset_tEEE10hipError_tPvRmT1_PNSt15iterator_traitsISZ_E10value_typeET2_T3_PNS10_IS15_E10value_typeET4_jRbjT5_S1B_jjP12ihipStream_tbEUljE_ZNSN_ISO_Lb1ESQ_SR_SQ_SR_SV_EESW_SX_SY_SZ_S13_S14_S15_S18_S19_jS1A_jS1B_S1B_jjS1D_bEUljE0_EEESW_SX_SY_S15_S19_S1B_T6_T7_T9_mT8_S1D_bDpT10_ENKUlT_T0_E_clISt17integral_constantIbLb0EES1R_EEDaS1M_S1N_EUlS1M_E_NS1_11comp_targetILNS1_3genE5ELNS1_11target_archE942ELNS1_3gpuE9ELNS1_3repE0EEENS1_30default_config_static_selectorELNS0_4arch9wavefront6targetE1EEEvSZ_,@function
_ZN7rocprim17ROCPRIM_400000_NS6detail17trampoline_kernelINS0_13select_configILj256ELj13ELNS0_17block_load_methodE3ELS4_3ELS4_3ELNS0_20block_scan_algorithmE0ELj4294967295EEENS1_25partition_config_selectorILNS1_17partition_subalgoE4EjNS0_10empty_typeEbEEZZNS1_14partition_implILS8_4ELb0ES6_15HIP_vector_typeIjLj2EENS0_17counting_iteratorIjlEEPS9_SG_NS0_5tupleIJPjSI_NS0_16reverse_iteratorISI_EEEEENSH_IJSG_SG_SG_EEES9_SI_JZNS1_25segmented_radix_sort_implINS0_14default_configELb1EPKlPlSQ_SR_N2at6native12_GLOBAL__N_18offset_tEEE10hipError_tPvRmT1_PNSt15iterator_traitsISZ_E10value_typeET2_T3_PNS10_IS15_E10value_typeET4_jRbjT5_S1B_jjP12ihipStream_tbEUljE_ZNSN_ISO_Lb1ESQ_SR_SQ_SR_SV_EESW_SX_SY_SZ_S13_S14_S15_S18_S19_jS1A_jS1B_S1B_jjS1D_bEUljE0_EEESW_SX_SY_S15_S19_S1B_T6_T7_T9_mT8_S1D_bDpT10_ENKUlT_T0_E_clISt17integral_constantIbLb0EES1R_EEDaS1M_S1N_EUlS1M_E_NS1_11comp_targetILNS1_3genE5ELNS1_11target_archE942ELNS1_3gpuE9ELNS1_3repE0EEENS1_30default_config_static_selectorELNS0_4arch9wavefront6targetE1EEEvSZ_: ; @_ZN7rocprim17ROCPRIM_400000_NS6detail17trampoline_kernelINS0_13select_configILj256ELj13ELNS0_17block_load_methodE3ELS4_3ELS4_3ELNS0_20block_scan_algorithmE0ELj4294967295EEENS1_25partition_config_selectorILNS1_17partition_subalgoE4EjNS0_10empty_typeEbEEZZNS1_14partition_implILS8_4ELb0ES6_15HIP_vector_typeIjLj2EENS0_17counting_iteratorIjlEEPS9_SG_NS0_5tupleIJPjSI_NS0_16reverse_iteratorISI_EEEEENSH_IJSG_SG_SG_EEES9_SI_JZNS1_25segmented_radix_sort_implINS0_14default_configELb1EPKlPlSQ_SR_N2at6native12_GLOBAL__N_18offset_tEEE10hipError_tPvRmT1_PNSt15iterator_traitsISZ_E10value_typeET2_T3_PNS10_IS15_E10value_typeET4_jRbjT5_S1B_jjP12ihipStream_tbEUljE_ZNSN_ISO_Lb1ESQ_SR_SQ_SR_SV_EESW_SX_SY_SZ_S13_S14_S15_S18_S19_jS1A_jS1B_S1B_jjS1D_bEUljE0_EEESW_SX_SY_S15_S19_S1B_T6_T7_T9_mT8_S1D_bDpT10_ENKUlT_T0_E_clISt17integral_constantIbLb0EES1R_EEDaS1M_S1N_EUlS1M_E_NS1_11comp_targetILNS1_3genE5ELNS1_11target_archE942ELNS1_3gpuE9ELNS1_3repE0EEENS1_30default_config_static_selectorELNS0_4arch9wavefront6targetE1EEEvSZ_
; %bb.0:
	.section	.rodata,"a",@progbits
	.p2align	6, 0x0
	.amdhsa_kernel _ZN7rocprim17ROCPRIM_400000_NS6detail17trampoline_kernelINS0_13select_configILj256ELj13ELNS0_17block_load_methodE3ELS4_3ELS4_3ELNS0_20block_scan_algorithmE0ELj4294967295EEENS1_25partition_config_selectorILNS1_17partition_subalgoE4EjNS0_10empty_typeEbEEZZNS1_14partition_implILS8_4ELb0ES6_15HIP_vector_typeIjLj2EENS0_17counting_iteratorIjlEEPS9_SG_NS0_5tupleIJPjSI_NS0_16reverse_iteratorISI_EEEEENSH_IJSG_SG_SG_EEES9_SI_JZNS1_25segmented_radix_sort_implINS0_14default_configELb1EPKlPlSQ_SR_N2at6native12_GLOBAL__N_18offset_tEEE10hipError_tPvRmT1_PNSt15iterator_traitsISZ_E10value_typeET2_T3_PNS10_IS15_E10value_typeET4_jRbjT5_S1B_jjP12ihipStream_tbEUljE_ZNSN_ISO_Lb1ESQ_SR_SQ_SR_SV_EESW_SX_SY_SZ_S13_S14_S15_S18_S19_jS1A_jS1B_S1B_jjS1D_bEUljE0_EEESW_SX_SY_S15_S19_S1B_T6_T7_T9_mT8_S1D_bDpT10_ENKUlT_T0_E_clISt17integral_constantIbLb0EES1R_EEDaS1M_S1N_EUlS1M_E_NS1_11comp_targetILNS1_3genE5ELNS1_11target_archE942ELNS1_3gpuE9ELNS1_3repE0EEENS1_30default_config_static_selectorELNS0_4arch9wavefront6targetE1EEEvSZ_
		.amdhsa_group_segment_fixed_size 0
		.amdhsa_private_segment_fixed_size 0
		.amdhsa_kernarg_size 176
		.amdhsa_user_sgpr_count 6
		.amdhsa_user_sgpr_private_segment_buffer 1
		.amdhsa_user_sgpr_dispatch_ptr 0
		.amdhsa_user_sgpr_queue_ptr 0
		.amdhsa_user_sgpr_kernarg_segment_ptr 1
		.amdhsa_user_sgpr_dispatch_id 0
		.amdhsa_user_sgpr_flat_scratch_init 0
		.amdhsa_user_sgpr_kernarg_preload_length 0
		.amdhsa_user_sgpr_kernarg_preload_offset 0
		.amdhsa_user_sgpr_private_segment_size 0
		.amdhsa_uses_dynamic_stack 0
		.amdhsa_system_sgpr_private_segment_wavefront_offset 0
		.amdhsa_system_sgpr_workgroup_id_x 1
		.amdhsa_system_sgpr_workgroup_id_y 0
		.amdhsa_system_sgpr_workgroup_id_z 0
		.amdhsa_system_sgpr_workgroup_info 0
		.amdhsa_system_vgpr_workitem_id 0
		.amdhsa_next_free_vgpr 1
		.amdhsa_next_free_sgpr 0
		.amdhsa_accum_offset 4
		.amdhsa_reserve_vcc 0
		.amdhsa_reserve_flat_scratch 0
		.amdhsa_float_round_mode_32 0
		.amdhsa_float_round_mode_16_64 0
		.amdhsa_float_denorm_mode_32 3
		.amdhsa_float_denorm_mode_16_64 3
		.amdhsa_dx10_clamp 1
		.amdhsa_ieee_mode 1
		.amdhsa_fp16_overflow 0
		.amdhsa_tg_split 0
		.amdhsa_exception_fp_ieee_invalid_op 0
		.amdhsa_exception_fp_denorm_src 0
		.amdhsa_exception_fp_ieee_div_zero 0
		.amdhsa_exception_fp_ieee_overflow 0
		.amdhsa_exception_fp_ieee_underflow 0
		.amdhsa_exception_fp_ieee_inexact 0
		.amdhsa_exception_int_div_zero 0
	.end_amdhsa_kernel
	.section	.text._ZN7rocprim17ROCPRIM_400000_NS6detail17trampoline_kernelINS0_13select_configILj256ELj13ELNS0_17block_load_methodE3ELS4_3ELS4_3ELNS0_20block_scan_algorithmE0ELj4294967295EEENS1_25partition_config_selectorILNS1_17partition_subalgoE4EjNS0_10empty_typeEbEEZZNS1_14partition_implILS8_4ELb0ES6_15HIP_vector_typeIjLj2EENS0_17counting_iteratorIjlEEPS9_SG_NS0_5tupleIJPjSI_NS0_16reverse_iteratorISI_EEEEENSH_IJSG_SG_SG_EEES9_SI_JZNS1_25segmented_radix_sort_implINS0_14default_configELb1EPKlPlSQ_SR_N2at6native12_GLOBAL__N_18offset_tEEE10hipError_tPvRmT1_PNSt15iterator_traitsISZ_E10value_typeET2_T3_PNS10_IS15_E10value_typeET4_jRbjT5_S1B_jjP12ihipStream_tbEUljE_ZNSN_ISO_Lb1ESQ_SR_SQ_SR_SV_EESW_SX_SY_SZ_S13_S14_S15_S18_S19_jS1A_jS1B_S1B_jjS1D_bEUljE0_EEESW_SX_SY_S15_S19_S1B_T6_T7_T9_mT8_S1D_bDpT10_ENKUlT_T0_E_clISt17integral_constantIbLb0EES1R_EEDaS1M_S1N_EUlS1M_E_NS1_11comp_targetILNS1_3genE5ELNS1_11target_archE942ELNS1_3gpuE9ELNS1_3repE0EEENS1_30default_config_static_selectorELNS0_4arch9wavefront6targetE1EEEvSZ_,"axG",@progbits,_ZN7rocprim17ROCPRIM_400000_NS6detail17trampoline_kernelINS0_13select_configILj256ELj13ELNS0_17block_load_methodE3ELS4_3ELS4_3ELNS0_20block_scan_algorithmE0ELj4294967295EEENS1_25partition_config_selectorILNS1_17partition_subalgoE4EjNS0_10empty_typeEbEEZZNS1_14partition_implILS8_4ELb0ES6_15HIP_vector_typeIjLj2EENS0_17counting_iteratorIjlEEPS9_SG_NS0_5tupleIJPjSI_NS0_16reverse_iteratorISI_EEEEENSH_IJSG_SG_SG_EEES9_SI_JZNS1_25segmented_radix_sort_implINS0_14default_configELb1EPKlPlSQ_SR_N2at6native12_GLOBAL__N_18offset_tEEE10hipError_tPvRmT1_PNSt15iterator_traitsISZ_E10value_typeET2_T3_PNS10_IS15_E10value_typeET4_jRbjT5_S1B_jjP12ihipStream_tbEUljE_ZNSN_ISO_Lb1ESQ_SR_SQ_SR_SV_EESW_SX_SY_SZ_S13_S14_S15_S18_S19_jS1A_jS1B_S1B_jjS1D_bEUljE0_EEESW_SX_SY_S15_S19_S1B_T6_T7_T9_mT8_S1D_bDpT10_ENKUlT_T0_E_clISt17integral_constantIbLb0EES1R_EEDaS1M_S1N_EUlS1M_E_NS1_11comp_targetILNS1_3genE5ELNS1_11target_archE942ELNS1_3gpuE9ELNS1_3repE0EEENS1_30default_config_static_selectorELNS0_4arch9wavefront6targetE1EEEvSZ_,comdat
.Lfunc_end641:
	.size	_ZN7rocprim17ROCPRIM_400000_NS6detail17trampoline_kernelINS0_13select_configILj256ELj13ELNS0_17block_load_methodE3ELS4_3ELS4_3ELNS0_20block_scan_algorithmE0ELj4294967295EEENS1_25partition_config_selectorILNS1_17partition_subalgoE4EjNS0_10empty_typeEbEEZZNS1_14partition_implILS8_4ELb0ES6_15HIP_vector_typeIjLj2EENS0_17counting_iteratorIjlEEPS9_SG_NS0_5tupleIJPjSI_NS0_16reverse_iteratorISI_EEEEENSH_IJSG_SG_SG_EEES9_SI_JZNS1_25segmented_radix_sort_implINS0_14default_configELb1EPKlPlSQ_SR_N2at6native12_GLOBAL__N_18offset_tEEE10hipError_tPvRmT1_PNSt15iterator_traitsISZ_E10value_typeET2_T3_PNS10_IS15_E10value_typeET4_jRbjT5_S1B_jjP12ihipStream_tbEUljE_ZNSN_ISO_Lb1ESQ_SR_SQ_SR_SV_EESW_SX_SY_SZ_S13_S14_S15_S18_S19_jS1A_jS1B_S1B_jjS1D_bEUljE0_EEESW_SX_SY_S15_S19_S1B_T6_T7_T9_mT8_S1D_bDpT10_ENKUlT_T0_E_clISt17integral_constantIbLb0EES1R_EEDaS1M_S1N_EUlS1M_E_NS1_11comp_targetILNS1_3genE5ELNS1_11target_archE942ELNS1_3gpuE9ELNS1_3repE0EEENS1_30default_config_static_selectorELNS0_4arch9wavefront6targetE1EEEvSZ_, .Lfunc_end641-_ZN7rocprim17ROCPRIM_400000_NS6detail17trampoline_kernelINS0_13select_configILj256ELj13ELNS0_17block_load_methodE3ELS4_3ELS4_3ELNS0_20block_scan_algorithmE0ELj4294967295EEENS1_25partition_config_selectorILNS1_17partition_subalgoE4EjNS0_10empty_typeEbEEZZNS1_14partition_implILS8_4ELb0ES6_15HIP_vector_typeIjLj2EENS0_17counting_iteratorIjlEEPS9_SG_NS0_5tupleIJPjSI_NS0_16reverse_iteratorISI_EEEEENSH_IJSG_SG_SG_EEES9_SI_JZNS1_25segmented_radix_sort_implINS0_14default_configELb1EPKlPlSQ_SR_N2at6native12_GLOBAL__N_18offset_tEEE10hipError_tPvRmT1_PNSt15iterator_traitsISZ_E10value_typeET2_T3_PNS10_IS15_E10value_typeET4_jRbjT5_S1B_jjP12ihipStream_tbEUljE_ZNSN_ISO_Lb1ESQ_SR_SQ_SR_SV_EESW_SX_SY_SZ_S13_S14_S15_S18_S19_jS1A_jS1B_S1B_jjS1D_bEUljE0_EEESW_SX_SY_S15_S19_S1B_T6_T7_T9_mT8_S1D_bDpT10_ENKUlT_T0_E_clISt17integral_constantIbLb0EES1R_EEDaS1M_S1N_EUlS1M_E_NS1_11comp_targetILNS1_3genE5ELNS1_11target_archE942ELNS1_3gpuE9ELNS1_3repE0EEENS1_30default_config_static_selectorELNS0_4arch9wavefront6targetE1EEEvSZ_
                                        ; -- End function
	.section	.AMDGPU.csdata,"",@progbits
; Kernel info:
; codeLenInByte = 0
; NumSgprs: 4
; NumVgprs: 0
; NumAgprs: 0
; TotalNumVgprs: 0
; ScratchSize: 0
; MemoryBound: 0
; FloatMode: 240
; IeeeMode: 1
; LDSByteSize: 0 bytes/workgroup (compile time only)
; SGPRBlocks: 0
; VGPRBlocks: 0
; NumSGPRsForWavesPerEU: 4
; NumVGPRsForWavesPerEU: 1
; AccumOffset: 4
; Occupancy: 8
; WaveLimiterHint : 0
; COMPUTE_PGM_RSRC2:SCRATCH_EN: 0
; COMPUTE_PGM_RSRC2:USER_SGPR: 6
; COMPUTE_PGM_RSRC2:TRAP_HANDLER: 0
; COMPUTE_PGM_RSRC2:TGID_X_EN: 1
; COMPUTE_PGM_RSRC2:TGID_Y_EN: 0
; COMPUTE_PGM_RSRC2:TGID_Z_EN: 0
; COMPUTE_PGM_RSRC2:TIDIG_COMP_CNT: 0
; COMPUTE_PGM_RSRC3_GFX90A:ACCUM_OFFSET: 0
; COMPUTE_PGM_RSRC3_GFX90A:TG_SPLIT: 0
	.section	.text._ZN7rocprim17ROCPRIM_400000_NS6detail17trampoline_kernelINS0_13select_configILj256ELj13ELNS0_17block_load_methodE3ELS4_3ELS4_3ELNS0_20block_scan_algorithmE0ELj4294967295EEENS1_25partition_config_selectorILNS1_17partition_subalgoE4EjNS0_10empty_typeEbEEZZNS1_14partition_implILS8_4ELb0ES6_15HIP_vector_typeIjLj2EENS0_17counting_iteratorIjlEEPS9_SG_NS0_5tupleIJPjSI_NS0_16reverse_iteratorISI_EEEEENSH_IJSG_SG_SG_EEES9_SI_JZNS1_25segmented_radix_sort_implINS0_14default_configELb1EPKlPlSQ_SR_N2at6native12_GLOBAL__N_18offset_tEEE10hipError_tPvRmT1_PNSt15iterator_traitsISZ_E10value_typeET2_T3_PNS10_IS15_E10value_typeET4_jRbjT5_S1B_jjP12ihipStream_tbEUljE_ZNSN_ISO_Lb1ESQ_SR_SQ_SR_SV_EESW_SX_SY_SZ_S13_S14_S15_S18_S19_jS1A_jS1B_S1B_jjS1D_bEUljE0_EEESW_SX_SY_S15_S19_S1B_T6_T7_T9_mT8_S1D_bDpT10_ENKUlT_T0_E_clISt17integral_constantIbLb0EES1R_EEDaS1M_S1N_EUlS1M_E_NS1_11comp_targetILNS1_3genE4ELNS1_11target_archE910ELNS1_3gpuE8ELNS1_3repE0EEENS1_30default_config_static_selectorELNS0_4arch9wavefront6targetE1EEEvSZ_,"axG",@progbits,_ZN7rocprim17ROCPRIM_400000_NS6detail17trampoline_kernelINS0_13select_configILj256ELj13ELNS0_17block_load_methodE3ELS4_3ELS4_3ELNS0_20block_scan_algorithmE0ELj4294967295EEENS1_25partition_config_selectorILNS1_17partition_subalgoE4EjNS0_10empty_typeEbEEZZNS1_14partition_implILS8_4ELb0ES6_15HIP_vector_typeIjLj2EENS0_17counting_iteratorIjlEEPS9_SG_NS0_5tupleIJPjSI_NS0_16reverse_iteratorISI_EEEEENSH_IJSG_SG_SG_EEES9_SI_JZNS1_25segmented_radix_sort_implINS0_14default_configELb1EPKlPlSQ_SR_N2at6native12_GLOBAL__N_18offset_tEEE10hipError_tPvRmT1_PNSt15iterator_traitsISZ_E10value_typeET2_T3_PNS10_IS15_E10value_typeET4_jRbjT5_S1B_jjP12ihipStream_tbEUljE_ZNSN_ISO_Lb1ESQ_SR_SQ_SR_SV_EESW_SX_SY_SZ_S13_S14_S15_S18_S19_jS1A_jS1B_S1B_jjS1D_bEUljE0_EEESW_SX_SY_S15_S19_S1B_T6_T7_T9_mT8_S1D_bDpT10_ENKUlT_T0_E_clISt17integral_constantIbLb0EES1R_EEDaS1M_S1N_EUlS1M_E_NS1_11comp_targetILNS1_3genE4ELNS1_11target_archE910ELNS1_3gpuE8ELNS1_3repE0EEENS1_30default_config_static_selectorELNS0_4arch9wavefront6targetE1EEEvSZ_,comdat
	.globl	_ZN7rocprim17ROCPRIM_400000_NS6detail17trampoline_kernelINS0_13select_configILj256ELj13ELNS0_17block_load_methodE3ELS4_3ELS4_3ELNS0_20block_scan_algorithmE0ELj4294967295EEENS1_25partition_config_selectorILNS1_17partition_subalgoE4EjNS0_10empty_typeEbEEZZNS1_14partition_implILS8_4ELb0ES6_15HIP_vector_typeIjLj2EENS0_17counting_iteratorIjlEEPS9_SG_NS0_5tupleIJPjSI_NS0_16reverse_iteratorISI_EEEEENSH_IJSG_SG_SG_EEES9_SI_JZNS1_25segmented_radix_sort_implINS0_14default_configELb1EPKlPlSQ_SR_N2at6native12_GLOBAL__N_18offset_tEEE10hipError_tPvRmT1_PNSt15iterator_traitsISZ_E10value_typeET2_T3_PNS10_IS15_E10value_typeET4_jRbjT5_S1B_jjP12ihipStream_tbEUljE_ZNSN_ISO_Lb1ESQ_SR_SQ_SR_SV_EESW_SX_SY_SZ_S13_S14_S15_S18_S19_jS1A_jS1B_S1B_jjS1D_bEUljE0_EEESW_SX_SY_S15_S19_S1B_T6_T7_T9_mT8_S1D_bDpT10_ENKUlT_T0_E_clISt17integral_constantIbLb0EES1R_EEDaS1M_S1N_EUlS1M_E_NS1_11comp_targetILNS1_3genE4ELNS1_11target_archE910ELNS1_3gpuE8ELNS1_3repE0EEENS1_30default_config_static_selectorELNS0_4arch9wavefront6targetE1EEEvSZ_ ; -- Begin function _ZN7rocprim17ROCPRIM_400000_NS6detail17trampoline_kernelINS0_13select_configILj256ELj13ELNS0_17block_load_methodE3ELS4_3ELS4_3ELNS0_20block_scan_algorithmE0ELj4294967295EEENS1_25partition_config_selectorILNS1_17partition_subalgoE4EjNS0_10empty_typeEbEEZZNS1_14partition_implILS8_4ELb0ES6_15HIP_vector_typeIjLj2EENS0_17counting_iteratorIjlEEPS9_SG_NS0_5tupleIJPjSI_NS0_16reverse_iteratorISI_EEEEENSH_IJSG_SG_SG_EEES9_SI_JZNS1_25segmented_radix_sort_implINS0_14default_configELb1EPKlPlSQ_SR_N2at6native12_GLOBAL__N_18offset_tEEE10hipError_tPvRmT1_PNSt15iterator_traitsISZ_E10value_typeET2_T3_PNS10_IS15_E10value_typeET4_jRbjT5_S1B_jjP12ihipStream_tbEUljE_ZNSN_ISO_Lb1ESQ_SR_SQ_SR_SV_EESW_SX_SY_SZ_S13_S14_S15_S18_S19_jS1A_jS1B_S1B_jjS1D_bEUljE0_EEESW_SX_SY_S15_S19_S1B_T6_T7_T9_mT8_S1D_bDpT10_ENKUlT_T0_E_clISt17integral_constantIbLb0EES1R_EEDaS1M_S1N_EUlS1M_E_NS1_11comp_targetILNS1_3genE4ELNS1_11target_archE910ELNS1_3gpuE8ELNS1_3repE0EEENS1_30default_config_static_selectorELNS0_4arch9wavefront6targetE1EEEvSZ_
	.p2align	8
	.type	_ZN7rocprim17ROCPRIM_400000_NS6detail17trampoline_kernelINS0_13select_configILj256ELj13ELNS0_17block_load_methodE3ELS4_3ELS4_3ELNS0_20block_scan_algorithmE0ELj4294967295EEENS1_25partition_config_selectorILNS1_17partition_subalgoE4EjNS0_10empty_typeEbEEZZNS1_14partition_implILS8_4ELb0ES6_15HIP_vector_typeIjLj2EENS0_17counting_iteratorIjlEEPS9_SG_NS0_5tupleIJPjSI_NS0_16reverse_iteratorISI_EEEEENSH_IJSG_SG_SG_EEES9_SI_JZNS1_25segmented_radix_sort_implINS0_14default_configELb1EPKlPlSQ_SR_N2at6native12_GLOBAL__N_18offset_tEEE10hipError_tPvRmT1_PNSt15iterator_traitsISZ_E10value_typeET2_T3_PNS10_IS15_E10value_typeET4_jRbjT5_S1B_jjP12ihipStream_tbEUljE_ZNSN_ISO_Lb1ESQ_SR_SQ_SR_SV_EESW_SX_SY_SZ_S13_S14_S15_S18_S19_jS1A_jS1B_S1B_jjS1D_bEUljE0_EEESW_SX_SY_S15_S19_S1B_T6_T7_T9_mT8_S1D_bDpT10_ENKUlT_T0_E_clISt17integral_constantIbLb0EES1R_EEDaS1M_S1N_EUlS1M_E_NS1_11comp_targetILNS1_3genE4ELNS1_11target_archE910ELNS1_3gpuE8ELNS1_3repE0EEENS1_30default_config_static_selectorELNS0_4arch9wavefront6targetE1EEEvSZ_,@function
_ZN7rocprim17ROCPRIM_400000_NS6detail17trampoline_kernelINS0_13select_configILj256ELj13ELNS0_17block_load_methodE3ELS4_3ELS4_3ELNS0_20block_scan_algorithmE0ELj4294967295EEENS1_25partition_config_selectorILNS1_17partition_subalgoE4EjNS0_10empty_typeEbEEZZNS1_14partition_implILS8_4ELb0ES6_15HIP_vector_typeIjLj2EENS0_17counting_iteratorIjlEEPS9_SG_NS0_5tupleIJPjSI_NS0_16reverse_iteratorISI_EEEEENSH_IJSG_SG_SG_EEES9_SI_JZNS1_25segmented_radix_sort_implINS0_14default_configELb1EPKlPlSQ_SR_N2at6native12_GLOBAL__N_18offset_tEEE10hipError_tPvRmT1_PNSt15iterator_traitsISZ_E10value_typeET2_T3_PNS10_IS15_E10value_typeET4_jRbjT5_S1B_jjP12ihipStream_tbEUljE_ZNSN_ISO_Lb1ESQ_SR_SQ_SR_SV_EESW_SX_SY_SZ_S13_S14_S15_S18_S19_jS1A_jS1B_S1B_jjS1D_bEUljE0_EEESW_SX_SY_S15_S19_S1B_T6_T7_T9_mT8_S1D_bDpT10_ENKUlT_T0_E_clISt17integral_constantIbLb0EES1R_EEDaS1M_S1N_EUlS1M_E_NS1_11comp_targetILNS1_3genE4ELNS1_11target_archE910ELNS1_3gpuE8ELNS1_3repE0EEENS1_30default_config_static_selectorELNS0_4arch9wavefront6targetE1EEEvSZ_: ; @_ZN7rocprim17ROCPRIM_400000_NS6detail17trampoline_kernelINS0_13select_configILj256ELj13ELNS0_17block_load_methodE3ELS4_3ELS4_3ELNS0_20block_scan_algorithmE0ELj4294967295EEENS1_25partition_config_selectorILNS1_17partition_subalgoE4EjNS0_10empty_typeEbEEZZNS1_14partition_implILS8_4ELb0ES6_15HIP_vector_typeIjLj2EENS0_17counting_iteratorIjlEEPS9_SG_NS0_5tupleIJPjSI_NS0_16reverse_iteratorISI_EEEEENSH_IJSG_SG_SG_EEES9_SI_JZNS1_25segmented_radix_sort_implINS0_14default_configELb1EPKlPlSQ_SR_N2at6native12_GLOBAL__N_18offset_tEEE10hipError_tPvRmT1_PNSt15iterator_traitsISZ_E10value_typeET2_T3_PNS10_IS15_E10value_typeET4_jRbjT5_S1B_jjP12ihipStream_tbEUljE_ZNSN_ISO_Lb1ESQ_SR_SQ_SR_SV_EESW_SX_SY_SZ_S13_S14_S15_S18_S19_jS1A_jS1B_S1B_jjS1D_bEUljE0_EEESW_SX_SY_S15_S19_S1B_T6_T7_T9_mT8_S1D_bDpT10_ENKUlT_T0_E_clISt17integral_constantIbLb0EES1R_EEDaS1M_S1N_EUlS1M_E_NS1_11comp_targetILNS1_3genE4ELNS1_11target_archE910ELNS1_3gpuE8ELNS1_3repE0EEENS1_30default_config_static_selectorELNS0_4arch9wavefront6targetE1EEEvSZ_
; %bb.0:
	s_load_dwordx2 s[0:1], s[4:5], 0x68
	s_load_dword s7, s[4:5], 0x8
	s_load_dwordx2 s[56:57], s[4:5], 0x10
	s_load_dwordx4 s[44:47], s[4:5], 0x58
	s_mul_i32 s33, s6, 0xd00
	s_waitcnt lgkmcnt(0)
	v_mov_b32_e32 v3, s1
	v_mov_b32_e32 v2, s0
	s_load_dword s1, s[4:5], 0x80
	s_load_dwordx2 s[60:61], s[4:5], 0xa8
	s_load_dwordx8 s[36:43], s[4:5], 0x88
	s_load_dwordx4 s[48:51], s[46:47], 0x0
	s_waitcnt lgkmcnt(0)
	s_add_i32 s8, s1, -1
	s_mulk_i32 s1, 0xd00
	s_add_u32 s2, s56, s1
	s_addc_u32 s3, s57, 0
	s_cmp_eq_u32 s6, s8
	s_cselect_b64 s[30:31], -1, 0
	s_cmp_lg_u32 s6, s8
	v_cmp_lt_u64_e32 vcc, s[2:3], v[2:3]
	s_cselect_b64 s[2:3], -1, 0
	s_add_i32 s7, s7, s33
	s_or_b64 s[2:3], s[2:3], vcc
	s_add_i32 s7, s7, s56
	v_add_u32_e32 v1, s7, v0
	s_mov_b64 s[8:9], -1
	s_and_b64 vcc, exec, s[2:3]
	s_cbranch_vccz .LBB642_2
; %bb.1:
	v_add_u32_e32 v2, 0x100, v1
	v_lshlrev_b32_e32 v14, 2, v0
	v_add_u32_e32 v3, 0x200, v1
	v_add_u32_e32 v4, 0x300, v1
	;; [unrolled: 1-line block ×11, first 2 shown]
	ds_write2st64_b32 v14, v1, v2 offset1:4
	ds_write2st64_b32 v14, v3, v4 offset0:8 offset1:12
	ds_write2st64_b32 v14, v5, v6 offset0:16 offset1:20
	ds_write2st64_b32 v14, v7, v8 offset0:24 offset1:28
	ds_write2st64_b32 v14, v9, v10 offset0:32 offset1:36
	ds_write2st64_b32 v14, v11, v12 offset0:40 offset1:44
	ds_write_b32 v14, v13 offset:12288
	s_waitcnt lgkmcnt(0)
	s_barrier
	s_mov_b64 s[8:9], 0
.LBB642_2:
	s_andn2_b64 vcc, exec, s[8:9]
	s_add_i32 s1, s1, s56
	s_cbranch_vccnz .LBB642_4
; %bb.3:
	v_add_u32_e32 v2, 0x100, v1
	v_lshlrev_b32_e32 v14, 2, v0
	v_add_u32_e32 v3, 0x200, v1
	v_add_u32_e32 v4, 0x300, v1
	;; [unrolled: 1-line block ×11, first 2 shown]
	ds_write2st64_b32 v14, v1, v2 offset1:4
	ds_write2st64_b32 v14, v3, v4 offset0:8 offset1:12
	ds_write2st64_b32 v14, v5, v6 offset0:16 offset1:20
	;; [unrolled: 1-line block ×5, first 2 shown]
	ds_write_b32 v14, v13 offset:12288
	s_waitcnt lgkmcnt(0)
	s_barrier
.LBB642_4:
	v_mul_u32_u24_e32 v31, 13, v0
	v_lshlrev_b32_e32 v1, 2, v31
	s_load_dwordx4 s[52:55], s[4:5], 0x28
	s_load_dwordx2 s[34:35], s[4:5], 0x38
	s_waitcnt lgkmcnt(0)
	ds_read2_b32 v[18:19], v1 offset1:1
	ds_read2_b32 v[16:17], v1 offset0:2 offset1:3
	ds_read2_b32 v[14:15], v1 offset0:4 offset1:5
	;; [unrolled: 1-line block ×5, first 2 shown]
	ds_read_b32 v30, v1 offset:48
	v_cndmask_b32_e64 v1, 0, 1, s[2:3]
	s_sub_i32 s7, s0, s1
	v_cmp_ne_u32_e64 s[0:1], 1, v1
	s_andn2_b64 vcc, exec, s[2:3]
	s_waitcnt lgkmcnt(0)
	s_barrier
	s_cbranch_vccnz .LBB642_32
; %bb.5:
	v_add_u32_e32 v1, s37, v18
	v_add_u32_e32 v2, s39, v18
	v_mul_lo_u32 v1, v1, s36
	v_mul_lo_u32 v2, v2, s38
	v_sub_u32_e32 v1, v1, v2
	v_cmp_lt_u32_e32 vcc, s40, v1
	v_cmp_ge_u32_e64 s[2:3], s40, v1
	s_mov_b64 s[64:65], 0
	s_mov_b64 s[62:63], 0
	s_and_saveexec_b64 s[8:9], s[2:3]
; %bb.6:
	v_add_u32_e32 v1, s42, v18
	v_add_u32_e32 v2, s60, v18
	v_mul_lo_u32 v1, v1, s41
	v_mul_lo_u32 v2, v2, s43
	v_sub_u32_e32 v1, v1, v2
	v_cmp_lt_u32_e64 s[2:3], s61, v1
	s_and_b64 s[62:63], s[2:3], exec
; %bb.7:
	s_or_b64 exec, exec, s[8:9]
	v_add_u32_e32 v1, s37, v19
	v_add_u32_e32 v2, s39, v19
	v_mul_lo_u32 v1, v1, s36
	v_mul_lo_u32 v2, v2, s38
	v_sub_u32_e32 v1, v1, v2
	v_cmp_lt_u32_e64 s[2:3], s40, v1
	v_cmp_ge_u32_e64 s[8:9], s40, v1
	s_and_saveexec_b64 s[10:11], s[8:9]
; %bb.8:
	v_add_u32_e32 v1, s42, v19
	v_add_u32_e32 v2, s60, v19
	v_mul_lo_u32 v1, v1, s41
	v_mul_lo_u32 v2, v2, s43
	v_sub_u32_e32 v1, v1, v2
	v_cmp_lt_u32_e64 s[8:9], s61, v1
	s_and_b64 s[64:65], s[8:9], exec
; %bb.9:
	s_or_b64 exec, exec, s[10:11]
	v_add_u32_e32 v1, s37, v16
	v_add_u32_e32 v2, s39, v16
	v_mul_lo_u32 v1, v1, s36
	v_mul_lo_u32 v2, v2, s38
	v_sub_u32_e32 v1, v1, v2
	v_cmp_lt_u32_e64 s[26:27], s40, v1
	v_cmp_ge_u32_e64 s[8:9], s40, v1
	s_mov_b64 s[68:69], 0
	s_mov_b64 s[66:67], 0
	s_and_saveexec_b64 s[10:11], s[8:9]
; %bb.10:
	v_add_u32_e32 v1, s42, v16
	v_add_u32_e32 v2, s60, v16
	v_mul_lo_u32 v1, v1, s41
	v_mul_lo_u32 v2, v2, s43
	v_sub_u32_e32 v1, v1, v2
	v_cmp_lt_u32_e64 s[8:9], s61, v1
	s_and_b64 s[66:67], s[8:9], exec
; %bb.11:
	s_or_b64 exec, exec, s[10:11]
	v_add_u32_e32 v1, s37, v17
	v_add_u32_e32 v2, s39, v17
	v_mul_lo_u32 v1, v1, s36
	v_mul_lo_u32 v2, v2, s38
	v_sub_u32_e32 v1, v1, v2
	v_cmp_lt_u32_e64 s[8:9], s40, v1
	v_cmp_ge_u32_e64 s[10:11], s40, v1
	s_and_saveexec_b64 s[12:13], s[10:11]
; %bb.12:
	v_add_u32_e32 v1, s42, v17
	v_add_u32_e32 v2, s60, v17
	v_mul_lo_u32 v1, v1, s41
	v_mul_lo_u32 v2, v2, s43
	v_sub_u32_e32 v1, v1, v2
	v_cmp_lt_u32_e64 s[10:11], s61, v1
	s_and_b64 s[68:69], s[10:11], exec
; %bb.13:
	s_or_b64 exec, exec, s[12:13]
	v_add_u32_e32 v1, s37, v14
	v_add_u32_e32 v2, s39, v14
	v_mul_lo_u32 v1, v1, s36
	v_mul_lo_u32 v2, v2, s38
	v_sub_u32_e32 v1, v1, v2
	v_cmp_lt_u32_e64 s[10:11], s40, v1
	;; [unrolled: 38-line block ×5, first 2 shown]
	v_cmp_ge_u32_e64 s[24:25], s40, v1
	s_mov_b64 s[84:85], 0
	s_mov_b64 s[86:87], 0
	s_and_saveexec_b64 s[28:29], s[24:25]
; %bb.26:
	v_add_u32_e32 v1, s42, v8
	v_add_u32_e32 v2, s60, v8
	v_mul_lo_u32 v1, v1, s41
	v_mul_lo_u32 v2, v2, s43
	v_sub_u32_e32 v1, v1, v2
	v_cmp_lt_u32_e64 s[24:25], s61, v1
	s_and_b64 s[86:87], s[24:25], exec
; %bb.27:
	s_or_b64 exec, exec, s[28:29]
	v_add_u32_e32 v1, s37, v9
	v_add_u32_e32 v2, s39, v9
	v_mul_lo_u32 v1, v1, s36
	v_mul_lo_u32 v2, v2, s38
	v_sub_u32_e32 v1, v1, v2
	v_cmp_lt_u32_e64 s[24:25], s40, v1
	v_cmp_ge_u32_e64 s[28:29], s40, v1
	s_and_saveexec_b64 s[46:47], s[28:29]
; %bb.28:
	v_add_u32_e32 v1, s42, v9
	v_add_u32_e32 v2, s60, v9
	v_mul_lo_u32 v1, v1, s41
	v_mul_lo_u32 v2, v2, s43
	v_sub_u32_e32 v1, v1, v2
	v_cmp_lt_u32_e64 s[28:29], s61, v1
	s_and_b64 s[84:85], s[28:29], exec
; %bb.29:
	s_or_b64 exec, exec, s[46:47]
	v_add_u32_e32 v1, s37, v30
	v_add_u32_e32 v2, s39, v30
	v_mul_lo_u32 v1, v1, s36
	v_mul_lo_u32 v2, v2, s38
	v_sub_u32_e32 v1, v1, v2
	v_cmp_ge_u32_e64 s[28:29], s40, v1
	s_mov_b64 s[46:47], -1
	s_mov_b64 s[78:79], 0
	s_mov_b64 s[58:59], 0
	s_and_saveexec_b64 s[88:89], s[28:29]
; %bb.30:
	v_add_u32_e32 v1, s42, v30
	v_add_u32_e32 v2, s60, v30
	v_mul_lo_u32 v1, v1, s41
	v_mul_lo_u32 v2, v2, s43
	v_sub_u32_e32 v1, v1, v2
	v_cmp_lt_u32_e64 s[28:29], s61, v1
	s_and_b64 s[58:59], s[28:29], exec
	s_xor_b64 s[46:47], exec, -1
; %bb.31:
	s_or_b64 exec, exec, s[88:89]
	v_cndmask_b32_e64 v52, 0, 1, s[86:87]
	v_cndmask_b32_e64 v55, 0, 1, s[24:25]
	;; [unrolled: 1-line block ×22, first 2 shown]
	v_cndmask_b32_e64 v32, 0, 1, vcc
	v_cndmask_b32_e64 v54, 0, 1, s[84:85]
	s_load_dwordx2 s[12:13], s[4:5], 0x78
	s_add_i32 s18, s7, 0xd00
	s_and_b64 vcc, exec, s[78:79]
	s_cbranch_vccnz .LBB642_33
	s_branch .LBB642_86
.LBB642_32:
                                        ; implicit-def: $sgpr46_sgpr47
                                        ; implicit-def: $sgpr58_sgpr59
                                        ; implicit-def: $vgpr54
                                        ; implicit-def: $vgpr52
                                        ; implicit-def: $vgpr50
                                        ; implicit-def: $vgpr48
                                        ; implicit-def: $vgpr46
                                        ; implicit-def: $vgpr44
                                        ; implicit-def: $vgpr42
                                        ; implicit-def: $vgpr40
                                        ; implicit-def: $vgpr38
                                        ; implicit-def: $vgpr32
                                        ; implicit-def: $vgpr34
                                        ; implicit-def: $vgpr36
                                        ; implicit-def: $vgpr39
                                        ; implicit-def: $vgpr41
                                        ; implicit-def: $vgpr43
                                        ; implicit-def: $vgpr45
                                        ; implicit-def: $vgpr47
                                        ; implicit-def: $vgpr49
                                        ; implicit-def: $vgpr51
                                        ; implicit-def: $vgpr53
                                        ; implicit-def: $vgpr55
                                        ; implicit-def: $vgpr33
                                        ; implicit-def: $vgpr35
                                        ; implicit-def: $vgpr37
	s_load_dwordx2 s[12:13], s[4:5], 0x78
	s_add_i32 s18, s7, 0xd00
	s_cbranch_execz .LBB642_86
.LBB642_33:
	v_cmp_gt_u32_e32 vcc, s18, v31
	v_mov_b32_e32 v33, 0
	v_mov_b32_e32 v32, 0
	s_and_saveexec_b64 s[4:5], vcc
	s_cbranch_execz .LBB642_37
; %bb.34:
	v_add_u32_e32 v1, s37, v18
	v_add_u32_e32 v2, s39, v18
	v_mul_lo_u32 v1, v1, s36
	v_mul_lo_u32 v2, v2, s38
	v_sub_u32_e32 v1, v1, v2
	v_cmp_lt_u32_e32 vcc, s40, v1
	v_cmp_ge_u32_e64 s[2:3], s40, v1
	s_mov_b64 s[10:11], 0
	s_and_saveexec_b64 s[8:9], s[2:3]
; %bb.35:
	v_add_u32_e32 v1, s42, v18
	v_add_u32_e32 v2, s60, v18
	v_mul_lo_u32 v1, v1, s41
	v_mul_lo_u32 v2, v2, s43
	v_sub_u32_e32 v1, v1, v2
	v_cmp_lt_u32_e64 s[2:3], s61, v1
	s_and_b64 s[10:11], s[2:3], exec
; %bb.36:
	s_or_b64 exec, exec, s[8:9]
	v_cndmask_b32_e64 v32, 0, 1, vcc
	v_cndmask_b32_e64 v33, 0, 1, s[10:11]
.LBB642_37:
	s_or_b64 exec, exec, s[4:5]
	v_add_u32_e32 v1, 1, v31
	v_cmp_gt_u32_e32 vcc, s18, v1
	v_mov_b32_e32 v34, 0
	v_mov_b32_e32 v35, 0
	s_and_saveexec_b64 s[4:5], vcc
	s_cbranch_execz .LBB642_41
; %bb.38:
	v_add_u32_e32 v1, s37, v19
	v_add_u32_e32 v2, s39, v19
	v_mul_lo_u32 v1, v1, s36
	v_mul_lo_u32 v2, v2, s38
	v_sub_u32_e32 v1, v1, v2
	v_cmp_lt_u32_e32 vcc, s40, v1
	v_cmp_ge_u32_e64 s[2:3], s40, v1
	s_mov_b64 s[10:11], 0
	s_and_saveexec_b64 s[8:9], s[2:3]
; %bb.39:
	v_add_u32_e32 v1, s42, v19
	v_add_u32_e32 v2, s60, v19
	v_mul_lo_u32 v1, v1, s41
	v_mul_lo_u32 v2, v2, s43
	v_sub_u32_e32 v1, v1, v2
	v_cmp_lt_u32_e64 s[2:3], s61, v1
	s_and_b64 s[10:11], s[2:3], exec
; %bb.40:
	s_or_b64 exec, exec, s[8:9]
	v_cndmask_b32_e64 v34, 0, 1, vcc
	v_cndmask_b32_e64 v35, 0, 1, s[10:11]
.LBB642_41:
	s_or_b64 exec, exec, s[4:5]
	v_add_u32_e32 v1, 2, v31
	;; [unrolled: 30-line block ×12, first 2 shown]
	v_cmp_gt_u32_e32 vcc, s18, v1
	s_mov_b64 s[46:47], 0
	s_mov_b64 s[58:59], 0
	s_and_saveexec_b64 s[2:3], vcc
	s_cbranch_execz .LBB642_85
; %bb.82:
	v_add_u32_e32 v1, s37, v30
	v_add_u32_e32 v2, s39, v30
	v_mul_lo_u32 v1, v1, s36
	v_mul_lo_u32 v2, v2, s38
	v_sub_u32_e32 v1, v1, v2
	v_cmp_ge_u32_e32 vcc, s40, v1
	s_mov_b64 s[8:9], -1
	s_mov_b64 s[10:11], 0
	s_and_saveexec_b64 s[4:5], vcc
; %bb.83:
	v_add_u32_e32 v1, s42, v30
	v_add_u32_e32 v2, s60, v30
	v_mul_lo_u32 v1, v1, s41
	v_mul_lo_u32 v2, v2, s43
	v_sub_u32_e32 v1, v1, v2
	v_cmp_lt_u32_e32 vcc, s61, v1
	s_and_b64 s[10:11], vcc, exec
	s_xor_b64 s[8:9], exec, -1
; %bb.84:
	s_or_b64 exec, exec, s[4:5]
	s_and_b64 s[58:59], s[10:11], exec
	s_and_b64 s[46:47], s[8:9], exec
.LBB642_85:
	s_or_b64 exec, exec, s[2:3]
.LBB642_86:
	v_and_b32_e32 v63, 0xff, v33
	v_and_b32_e32 v74, 0xff, v35
	v_and_b32_e32 v65, 0xff, v37
	v_and_b32_e32 v75, 0xff, v38
	v_and_b32_e32 v67, 0xff, v40
	v_add3_u32 v2, v74, v65, v63
	v_and_b32_e32 v76, 0xff, v42
	v_and_b32_e32 v69, 0xff, v44
	v_add3_u32 v2, v2, v75, v67
	v_and_b32_e32 v62, 0xff, v32
	v_and_b32_e32 v56, 0xff, v34
	;; [unrolled: 1-line block ×5, first 2 shown]
	v_add3_u32 v2, v2, v76, v69
	v_and_b32_e32 v57, 0xff, v39
	v_and_b32_e32 v66, 0xff, v41
	;; [unrolled: 1-line block ×4, first 2 shown]
	v_add3_u32 v3, v56, v64, v62
	v_add3_u32 v2, v2, v77, v71
	v_and_b32_e32 v58, 0xff, v43
	v_and_b32_e32 v68, 0xff, v45
	;; [unrolled: 1-line block ×3, first 2 shown]
	v_cndmask_b32_e64 v1, 0, 1, s[58:59]
	v_add3_u32 v3, v3, v57, v66
	v_add3_u32 v2, v2, v78, v73
	v_and_b32_e32 v59, 0xff, v47
	v_and_b32_e32 v70, 0xff, v49
	v_add3_u32 v3, v3, v58, v68
	v_add3_u32 v86, v2, v79, v1
	v_mbcnt_lo_u32_b32 v1, -1, 0
	v_and_b32_e32 v60, 0xff, v51
	v_and_b32_e32 v72, 0xff, v53
	v_add3_u32 v3, v3, v59, v70
	v_mbcnt_hi_u32_b32 v80, -1, v1
	v_and_b32_e32 v61, 0xff, v55
	v_add3_u32 v3, v3, v60, v72
	v_cndmask_b32_e64 v4, 0, 1, s[46:47]
	v_and_b32_e32 v84, 15, v80
	s_cmp_lg_u32 s6, 0
	v_add3_u32 v85, v3, v61, v4
	v_cmp_eq_u32_e64 s[4:5], 0, v84
	v_cmp_lt_u32_e64 s[2:3], 1, v84
	v_cmp_lt_u32_e64 s[8:9], 3, v84
	;; [unrolled: 1-line block ×3, first 2 shown]
	v_and_b32_e32 v83, 16, v80
	v_cmp_lt_u32_e32 vcc, 31, v80
	v_lshrrev_b32_e32 v81, 6, v0
	v_or_b32_e32 v82, 63, v0
	s_cbranch_scc0 .LBB642_115
; %bb.87:
	v_mov_b32_dpp v1, v85 row_shr:1 row_mask:0xf bank_mask:0xf
	v_mov_b32_dpp v2, v86 row_shr:1 row_mask:0xf bank_mask:0xf
	v_add_u32_e32 v1, v1, v85
	v_add_u32_e32 v2, v2, v86
	v_cndmask_b32_e64 v2, v2, v86, s[4:5]
	v_cndmask_b32_e64 v1, v1, v85, s[4:5]
	s_nop 0
	v_mov_b32_dpp v4, v2 row_shr:2 row_mask:0xf bank_mask:0xf
	v_mov_b32_dpp v3, v1 row_shr:2 row_mask:0xf bank_mask:0xf
	v_add_u32_e32 v3, v1, v3
	v_add_u32_e32 v4, v2, v4
	v_cndmask_b32_e64 v2, v2, v4, s[2:3]
	v_cndmask_b32_e64 v1, v1, v3, s[2:3]
	s_nop 0
	v_mov_b32_dpp v4, v2 row_shr:4 row_mask:0xf bank_mask:0xf
	v_mov_b32_dpp v3, v1 row_shr:4 row_mask:0xf bank_mask:0xf
	v_add_u32_e32 v3, v1, v3
	v_add_u32_e32 v4, v2, v4
	v_cndmask_b32_e64 v2, v2, v4, s[8:9]
	v_cndmask_b32_e64 v1, v1, v3, s[8:9]
	v_cmp_eq_u32_e64 s[8:9], 0, v83
	v_mov_b32_dpp v4, v2 row_shr:8 row_mask:0xf bank_mask:0xf
	v_mov_b32_dpp v3, v1 row_shr:8 row_mask:0xf bank_mask:0xf
	v_add_u32_e32 v3, v1, v3
	v_add_u32_e32 v4, v2, v4
	v_cndmask_b32_e64 v2, v2, v4, s[10:11]
	v_cndmask_b32_e64 v1, v1, v3, s[10:11]
	s_nop 0
	v_mov_b32_dpp v4, v2 row_bcast:15 row_mask:0xf bank_mask:0xf
	v_mov_b32_dpp v3, v1 row_bcast:15 row_mask:0xf bank_mask:0xf
	v_add_u32_e32 v3, v1, v3
	v_add_u32_e32 v4, v2, v4
	v_cndmask_b32_e64 v2, v4, v2, s[8:9]
	v_cndmask_b32_e64 v1, v3, v1, s[8:9]
	s_nop 0
	v_mov_b32_dpp v4, v2 row_bcast:31 row_mask:0xf bank_mask:0xf
	v_mov_b32_dpp v3, v1 row_bcast:31 row_mask:0xf bank_mask:0xf
	v_add_u32_e32 v4, v2, v4
	v_add_u32_e32 v5, v1, v3
	v_cndmask_b32_e32 v3, v2, v4, vcc
	v_cndmask_b32_e32 v2, v1, v5, vcc
	v_cmp_eq_u32_e32 vcc, v82, v0
	s_and_saveexec_b64 s[8:9], vcc
	s_cbranch_execz .LBB642_89
; %bb.88:
	v_lshlrev_b32_e32 v1, 3, v81
	ds_write_b64 v1, v[2:3]
.LBB642_89:
	s_or_b64 exec, exec, s[8:9]
	v_cmp_gt_u32_e32 vcc, 4, v0
	s_waitcnt lgkmcnt(0)
	s_barrier
	s_and_saveexec_b64 s[8:9], vcc
	s_cbranch_execz .LBB642_91
; %bb.90:
	v_lshlrev_b32_e32 v1, 3, v0
	ds_read_b64 v[4:5], v1
	v_and_b32_e32 v6, 3, v80
	v_cmp_eq_u32_e32 vcc, 0, v6
	s_waitcnt lgkmcnt(0)
	v_mov_b32_dpp v7, v4 row_shr:1 row_mask:0xf bank_mask:0xf
	v_mov_b32_dpp v20, v5 row_shr:1 row_mask:0xf bank_mask:0xf
	v_add_u32_e32 v7, v7, v4
	v_add_u32_e32 v20, v20, v5
	v_cndmask_b32_e32 v5, v20, v5, vcc
	v_cndmask_b32_e32 v4, v7, v4, vcc
	v_cmp_lt_u32_e32 vcc, 1, v6
	v_mov_b32_dpp v20, v5 row_shr:2 row_mask:0xf bank_mask:0xf
	v_mov_b32_dpp v7, v4 row_shr:2 row_mask:0xf bank_mask:0xf
	v_cndmask_b32_e32 v6, 0, v7, vcc
	v_cndmask_b32_e32 v7, 0, v20, vcc
	v_add_u32_e32 v5, v7, v5
	v_add_u32_e32 v4, v6, v4
	ds_write_b64 v1, v[4:5]
.LBB642_91:
	s_or_b64 exec, exec, s[8:9]
	v_cmp_gt_u32_e32 vcc, 64, v0
	v_cmp_lt_u32_e64 s[8:9], 63, v0
	s_waitcnt lgkmcnt(0)
	s_barrier
	s_waitcnt lgkmcnt(0)
                                        ; implicit-def: $vgpr21
	s_and_saveexec_b64 s[10:11], s[8:9]
	s_xor_b64 s[8:9], exec, s[10:11]
	s_cbranch_execz .LBB642_93
; %bb.92:
	v_lshl_add_u32 v1, v81, 3, -8
	ds_read_b64 v[20:21], v1
	s_waitcnt lgkmcnt(0)
	v_add_u32_e32 v3, v21, v3
	v_add_u32_e32 v2, v20, v2
.LBB642_93:
	s_andn2_saveexec_b64 s[8:9], s[8:9]
; %bb.94:
                                        ; implicit-def: $vgpr20
; %bb.95:
	s_or_b64 exec, exec, s[8:9]
	v_add_u32_e32 v1, -1, v80
	v_and_b32_e32 v4, 64, v80
	v_cmp_lt_i32_e64 s[8:9], v1, v4
	v_cndmask_b32_e64 v1, v1, v80, s[8:9]
	v_lshlrev_b32_e32 v4, 2, v1
	ds_bpermute_b32 v1, v4, v2
	ds_bpermute_b32 v87, v4, v3
	v_cmp_eq_u32_e64 s[8:9], 0, v80
	s_and_saveexec_b64 s[10:11], vcc
	s_cbranch_execz .LBB642_114
; %bb.96:
	v_mov_b32_e32 v7, 0
	ds_read_b64 v[22:23], v7 offset:24
	s_and_saveexec_b64 s[14:15], s[8:9]
	s_cbranch_execz .LBB642_98
; %bb.97:
	s_add_i32 s16, s6, 64
	s_mov_b32 s17, 0
	s_lshl_b64 s[16:17], s[16:17], 4
	s_waitcnt lgkmcnt(0)
	v_and_b32_e32 v2, 0xff000000, v23
	v_and_b32_e32 v3, 0xff0000, v23
	s_add_u32 s16, s12, s16
	v_or_b32_e32 v2, v3, v2
	v_and_b32_e32 v3, 0xff00, v23
	s_addc_u32 s17, s13, s17
	v_or_b32_e32 v2, v2, v3
	v_or_b32_sdwa v5, v2, v23 dst_sel:DWORD dst_unused:UNUSED_PAD src0_sel:DWORD src1_sel:BYTE_0
	v_mov_b32_e32 v6, 1
	v_mov_b32_e32 v4, v22
	v_pk_mov_b32 v[2:3], s[16:17], s[16:17] op_sel:[0,1]
	;;#ASMSTART
	global_store_dwordx4 v[2:3], v[4:7] off	
s_waitcnt vmcnt(0)
	;;#ASMEND
.LBB642_98:
	s_or_b64 exec, exec, s[14:15]
	v_xad_u32 v24, v80, -1, s6
	v_add_u32_e32 v6, 64, v24
	v_lshlrev_b64 v[2:3], 4, v[6:7]
	v_mov_b32_e32 v4, s13
	v_add_co_u32_e32 v26, vcc, s12, v2
	v_addc_co_u32_e32 v27, vcc, v4, v3, vcc
	;;#ASMSTART
	global_load_dwordx4 v[2:5], v[26:27] off glc	
s_waitcnt vmcnt(0)
	;;#ASMEND
	v_and_b32_e32 v5, 0xff, v3
	v_and_b32_e32 v6, 0xff00, v3
	v_or3_b32 v5, 0, v5, v6
	v_or3_b32 v2, v2, 0, 0
	v_and_b32_e32 v6, 0xff000000, v3
	v_and_b32_e32 v3, 0xff0000, v3
	v_or3_b32 v3, v5, v3, v6
	v_or3_b32 v2, v2, 0, 0
	v_cmp_eq_u16_sdwa s[16:17], v4, v7 src0_sel:BYTE_0 src1_sel:DWORD
	s_and_saveexec_b64 s[14:15], s[16:17]
	s_cbranch_execz .LBB642_102
; %bb.99:
	s_mov_b64 s[16:17], 0
	v_mov_b32_e32 v6, 0
.LBB642_100:                            ; =>This Inner Loop Header: Depth=1
	;;#ASMSTART
	global_load_dwordx4 v[2:5], v[26:27] off glc	
s_waitcnt vmcnt(0)
	;;#ASMEND
	v_cmp_ne_u16_sdwa s[20:21], v4, v6 src0_sel:BYTE_0 src1_sel:DWORD
	s_or_b64 s[16:17], s[20:21], s[16:17]
	s_andn2_b64 exec, exec, s[16:17]
	s_cbranch_execnz .LBB642_100
; %bb.101:
	s_or_b64 exec, exec, s[16:17]
.LBB642_102:
	s_or_b64 exec, exec, s[14:15]
	v_and_b32_e32 v89, 63, v80
	v_cmp_ne_u32_e32 vcc, 63, v89
	v_mov_b32_e32 v88, 2
	v_addc_co_u32_e32 v26, vcc, 0, v80, vcc
	v_cmp_eq_u16_sdwa s[14:15], v4, v88 src0_sel:BYTE_0 src1_sel:DWORD
	v_lshlrev_b64 v[6:7], v80, -1
	v_lshlrev_b32_e32 v90, 2, v26
	v_and_b32_e32 v5, s15, v7
	ds_bpermute_b32 v26, v90, v2
	ds_bpermute_b32 v27, v90, v3
	v_or_b32_e32 v5, 0x80000000, v5
	v_and_b32_e32 v25, s14, v6
	v_ffbl_b32_e32 v5, v5
	v_add_u32_e32 v5, 32, v5
	v_ffbl_b32_e32 v25, v25
	v_min_u32_e32 v5, v25, v5
	s_waitcnt lgkmcnt(1)
	v_add_u32_e32 v25, v26, v2
	s_waitcnt lgkmcnt(0)
	v_add_u32_e32 v26, v27, v3
	v_cmp_lt_u32_e32 vcc, v89, v5
	v_cndmask_b32_e32 v3, v3, v26, vcc
	v_cndmask_b32_e32 v2, v2, v25, vcc
	v_cmp_gt_u32_e32 vcc, 62, v89
	v_cndmask_b32_e64 v25, 0, 1, vcc
	v_lshlrev_b32_e32 v25, 1, v25
	v_add_lshl_u32 v91, v25, v80, 2
	ds_bpermute_b32 v25, v91, v2
	ds_bpermute_b32 v26, v91, v3
	v_add_u32_e32 v92, 2, v89
	v_cmp_gt_u32_e32 vcc, v92, v5
	v_add_u32_e32 v94, 4, v89
	s_waitcnt lgkmcnt(1)
	v_add_u32_e32 v25, v2, v25
	s_waitcnt lgkmcnt(0)
	v_add_u32_e32 v26, v3, v26
	v_cndmask_b32_e32 v3, v26, v3, vcc
	v_cndmask_b32_e32 v2, v25, v2, vcc
	v_cmp_gt_u32_e32 vcc, 60, v89
	v_cndmask_b32_e64 v25, 0, 1, vcc
	v_lshlrev_b32_e32 v25, 2, v25
	v_add_lshl_u32 v93, v25, v80, 2
	ds_bpermute_b32 v25, v93, v2
	ds_bpermute_b32 v26, v93, v3
	v_cmp_gt_u32_e32 vcc, v94, v5
	v_add_u32_e32 v96, 8, v89
	v_add_u32_e32 v98, 16, v89
	s_waitcnt lgkmcnt(1)
	v_add_u32_e32 v25, v2, v25
	s_waitcnt lgkmcnt(0)
	v_add_u32_e32 v26, v3, v26
	v_cndmask_b32_e32 v3, v26, v3, vcc
	v_cndmask_b32_e32 v2, v25, v2, vcc
	v_cmp_gt_u32_e32 vcc, 56, v89
	v_cndmask_b32_e64 v25, 0, 1, vcc
	v_lshlrev_b32_e32 v25, 3, v25
	v_add_lshl_u32 v95, v25, v80, 2
	ds_bpermute_b32 v25, v95, v2
	ds_bpermute_b32 v26, v95, v3
	v_cmp_gt_u32_e32 vcc, v96, v5
	v_add_u32_e32 v100, 32, v89
	s_waitcnt lgkmcnt(1)
	v_add_u32_e32 v25, v2, v25
	s_waitcnt lgkmcnt(0)
	v_add_u32_e32 v26, v3, v26
	v_cndmask_b32_e32 v3, v26, v3, vcc
	v_cndmask_b32_e32 v2, v25, v2, vcc
	v_cmp_gt_u32_e32 vcc, 48, v89
	v_cndmask_b32_e64 v25, 0, 1, vcc
	v_lshlrev_b32_e32 v25, 4, v25
	v_add_lshl_u32 v97, v25, v80, 2
	ds_bpermute_b32 v25, v97, v2
	ds_bpermute_b32 v26, v97, v3
	v_cmp_gt_u32_e32 vcc, v98, v5
	s_waitcnt lgkmcnt(1)
	v_add_u32_e32 v25, v2, v25
	s_waitcnt lgkmcnt(0)
	v_add_u32_e32 v26, v3, v26
	v_cndmask_b32_e32 v3, v26, v3, vcc
	v_cndmask_b32_e32 v2, v25, v2, vcc
	v_cmp_gt_u32_e32 vcc, 32, v89
	v_cndmask_b32_e64 v25, 0, 1, vcc
	v_lshlrev_b32_e32 v25, 5, v25
	v_add_lshl_u32 v99, v25, v80, 2
	ds_bpermute_b32 v25, v99, v2
	ds_bpermute_b32 v26, v99, v3
	v_cmp_le_u32_e32 vcc, v100, v5
	s_waitcnt lgkmcnt(1)
	v_cndmask_b32_e32 v5, 0, v25, vcc
	s_waitcnt lgkmcnt(0)
	v_cndmask_b32_e32 v25, 0, v26, vcc
	v_add_u32_e32 v3, v3, v25
	v_add_u32_e32 v2, v2, v5
	v_mov_b32_e32 v25, 0
	s_branch .LBB642_104
.LBB642_103:                            ;   in Loop: Header=BB642_104 Depth=1
	s_or_b64 exec, exec, s[14:15]
	v_cmp_eq_u16_sdwa s[14:15], v4, v88 src0_sel:BYTE_0 src1_sel:DWORD
	v_and_b32_e32 v5, s15, v7
	ds_bpermute_b32 v29, v90, v2
	ds_bpermute_b32 v101, v90, v3
	v_or_b32_e32 v5, 0x80000000, v5
	v_and_b32_e32 v28, s14, v6
	v_ffbl_b32_e32 v5, v5
	v_add_u32_e32 v5, 32, v5
	v_ffbl_b32_e32 v28, v28
	v_min_u32_e32 v5, v28, v5
	s_waitcnt lgkmcnt(1)
	v_add_u32_e32 v28, v29, v2
	s_waitcnt lgkmcnt(0)
	v_add_u32_e32 v29, v101, v3
	v_cmp_lt_u32_e32 vcc, v89, v5
	v_cndmask_b32_e32 v3, v3, v29, vcc
	v_cndmask_b32_e32 v2, v2, v28, vcc
	ds_bpermute_b32 v28, v91, v2
	ds_bpermute_b32 v29, v91, v3
	v_cmp_gt_u32_e32 vcc, v92, v5
	v_subrev_u32_e32 v24, 64, v24
	s_waitcnt lgkmcnt(1)
	v_add_u32_e32 v28, v2, v28
	s_waitcnt lgkmcnt(0)
	v_add_u32_e32 v29, v3, v29
	v_cndmask_b32_e32 v3, v29, v3, vcc
	v_cndmask_b32_e32 v2, v28, v2, vcc
	ds_bpermute_b32 v28, v93, v2
	ds_bpermute_b32 v29, v93, v3
	v_cmp_gt_u32_e32 vcc, v94, v5
	s_waitcnt lgkmcnt(1)
	v_add_u32_e32 v28, v2, v28
	s_waitcnt lgkmcnt(0)
	v_add_u32_e32 v29, v3, v29
	v_cndmask_b32_e32 v3, v29, v3, vcc
	v_cndmask_b32_e32 v2, v28, v2, vcc
	ds_bpermute_b32 v28, v95, v2
	ds_bpermute_b32 v29, v95, v3
	v_cmp_gt_u32_e32 vcc, v96, v5
	;; [unrolled: 9-line block ×3, first 2 shown]
	s_waitcnt lgkmcnt(1)
	v_add_u32_e32 v28, v2, v28
	s_waitcnt lgkmcnt(0)
	v_add_u32_e32 v29, v3, v29
	v_cndmask_b32_e32 v3, v29, v3, vcc
	v_cndmask_b32_e32 v2, v28, v2, vcc
	ds_bpermute_b32 v28, v99, v2
	ds_bpermute_b32 v29, v99, v3
	v_cmp_le_u32_e32 vcc, v100, v5
	s_waitcnt lgkmcnt(1)
	v_cndmask_b32_e32 v5, 0, v28, vcc
	s_waitcnt lgkmcnt(0)
	v_cndmask_b32_e32 v28, 0, v29, vcc
	v_add3_u32 v3, v28, v27, v3
	v_add3_u32 v2, v5, v26, v2
.LBB642_104:                            ; =>This Loop Header: Depth=1
                                        ;     Child Loop BB642_107 Depth 2
	v_cmp_ne_u16_sdwa s[14:15], v4, v88 src0_sel:BYTE_0 src1_sel:DWORD
	v_cndmask_b32_e64 v4, 0, 1, s[14:15]
	;;#ASMSTART
	;;#ASMEND
	v_cmp_ne_u32_e32 vcc, 0, v4
	s_cmp_lg_u64 vcc, exec
	v_pk_mov_b32 v[26:27], v[2:3], v[2:3] op_sel:[0,1]
	s_cbranch_scc1 .LBB642_109
; %bb.105:                              ;   in Loop: Header=BB642_104 Depth=1
	v_lshlrev_b64 v[2:3], 4, v[24:25]
	v_mov_b32_e32 v4, s13
	v_add_co_u32_e32 v28, vcc, s12, v2
	v_addc_co_u32_e32 v29, vcc, v4, v3, vcc
	;;#ASMSTART
	global_load_dwordx4 v[2:5], v[28:29] off glc	
s_waitcnt vmcnt(0)
	;;#ASMEND
	v_and_b32_e32 v5, 0xff, v3
	v_and_b32_e32 v101, 0xff00, v3
	v_or3_b32 v5, 0, v5, v101
	v_or3_b32 v2, v2, 0, 0
	v_and_b32_e32 v101, 0xff000000, v3
	v_and_b32_e32 v3, 0xff0000, v3
	v_or3_b32 v3, v5, v3, v101
	v_or3_b32 v2, v2, 0, 0
	v_cmp_eq_u16_sdwa s[16:17], v4, v25 src0_sel:BYTE_0 src1_sel:DWORD
	s_and_saveexec_b64 s[14:15], s[16:17]
	s_cbranch_execz .LBB642_103
; %bb.106:                              ;   in Loop: Header=BB642_104 Depth=1
	s_mov_b64 s[16:17], 0
.LBB642_107:                            ;   Parent Loop BB642_104 Depth=1
                                        ; =>  This Inner Loop Header: Depth=2
	;;#ASMSTART
	global_load_dwordx4 v[2:5], v[28:29] off glc	
s_waitcnt vmcnt(0)
	;;#ASMEND
	v_cmp_ne_u16_sdwa s[20:21], v4, v25 src0_sel:BYTE_0 src1_sel:DWORD
	s_or_b64 s[16:17], s[20:21], s[16:17]
	s_andn2_b64 exec, exec, s[16:17]
	s_cbranch_execnz .LBB642_107
; %bb.108:                              ;   in Loop: Header=BB642_104 Depth=1
	s_or_b64 exec, exec, s[16:17]
	s_branch .LBB642_103
.LBB642_109:                            ;   in Loop: Header=BB642_104 Depth=1
                                        ; implicit-def: $vgpr4
                                        ; implicit-def: $vgpr2_vgpr3
	s_cbranch_execz .LBB642_104
; %bb.110:
	s_and_saveexec_b64 s[14:15], s[8:9]
	s_cbranch_execz .LBB642_112
; %bb.111:
	s_add_i32 s6, s6, 64
	s_mov_b32 s7, 0
	v_add_u32_e32 v3, v27, v23
	s_lshl_b64 s[6:7], s[6:7], 4
	s_add_u32 s6, s12, s6
	v_and_b32_e32 v4, 0xff000000, v3
	v_and_b32_e32 v6, 0xff0000, v3
	s_addc_u32 s7, s13, s7
	v_or_b32_e32 v4, v6, v4
	v_and_b32_e32 v6, 0xff00, v3
	v_and_b32_e32 v3, 0xff, v3
	v_add_u32_e32 v2, v26, v22
	v_mov_b32_e32 v5, 0
	v_or3_b32 v3, v4, v6, v3
	v_mov_b32_e32 v4, 2
	v_pk_mov_b32 v[6:7], s[6:7], s[6:7] op_sel:[0,1]
	;;#ASMSTART
	global_store_dwordx4 v[6:7], v[2:5] off	
s_waitcnt vmcnt(0)
	;;#ASMEND
	s_movk_i32 s6, 0x3400
	v_add_u32_e64 v2, s6, 0
	ds_write2_b32 v2, v22, v23 offset1:2
	ds_write2_b32 v2, v26, v27 offset0:4 offset1:6
.LBB642_112:
	s_or_b64 exec, exec, s[14:15]
	v_cmp_eq_u32_e32 vcc, 0, v0
	s_and_b64 exec, exec, vcc
	s_cbranch_execz .LBB642_114
; %bb.113:
	v_mov_b32_e32 v2, 0
	ds_write_b64 v2, v[26:27] offset:24
.LBB642_114:
	s_or_b64 exec, exec, s[10:11]
	v_mov_b32_e32 v2, 0
	s_waitcnt lgkmcnt(0)
	s_barrier
	ds_read_b64 v[6:7], v2 offset:24
	s_movk_i32 s6, 0x3400
	v_cndmask_b32_e64 v2, v87, v21, s[8:9]
	v_cndmask_b32_e64 v1, v1, v20, s[8:9]
	v_add_u32_e64 v4, s6, 0
	s_waitcnt lgkmcnt(0)
	v_add_u32_e32 v20, v6, v1
	v_add_u32_e32 v1, v7, v2
	s_barrier
	ds_read2_b32 v[2:3], v4 offset1:2
	ds_read2_b32 v[4:5], v4 offset0:4 offset1:6
	v_cmp_eq_u32_e32 vcc, 0, v0
	v_cndmask_b32_e32 v1, v1, v7, vcc
	v_cndmask_b32_e32 v20, v20, v6, vcc
	s_branch .LBB642_125
.LBB642_115:
                                        ; implicit-def: $vgpr1
                                        ; implicit-def: $vgpr4
                                        ; implicit-def: $vgpr2
                                        ; implicit-def: $vgpr20_vgpr21
	s_cbranch_execz .LBB642_125
; %bb.116:
	s_nop 0
	v_mov_b32_dpp v1, v85 row_shr:1 row_mask:0xf bank_mask:0xf
	s_waitcnt lgkmcnt(0)
	v_mov_b32_dpp v2, v86 row_shr:1 row_mask:0xf bank_mask:0xf
	v_add_u32_e32 v1, v1, v85
	v_add_u32_e32 v2, v2, v86
	v_cndmask_b32_e64 v2, v2, v86, s[4:5]
	v_cndmask_b32_e64 v1, v1, v85, s[4:5]
	v_cmp_lt_u32_e32 vcc, 3, v84
	v_mov_b32_dpp v4, v2 row_shr:2 row_mask:0xf bank_mask:0xf
	v_mov_b32_dpp v3, v1 row_shr:2 row_mask:0xf bank_mask:0xf
	v_add_u32_e32 v3, v1, v3
	v_add_u32_e32 v4, v2, v4
	v_cndmask_b32_e64 v2, v2, v4, s[2:3]
	v_cndmask_b32_e64 v1, v1, v3, s[2:3]
	s_nop 0
	v_mov_b32_dpp v4, v2 row_shr:4 row_mask:0xf bank_mask:0xf
	v_mov_b32_dpp v3, v1 row_shr:4 row_mask:0xf bank_mask:0xf
	v_add_u32_e32 v3, v1, v3
	v_add_u32_e32 v4, v2, v4
	v_cndmask_b32_e32 v2, v2, v4, vcc
	v_cndmask_b32_e32 v1, v1, v3, vcc
	v_cmp_lt_u32_e32 vcc, 7, v84
	v_mov_b32_dpp v4, v2 row_shr:8 row_mask:0xf bank_mask:0xf
	v_mov_b32_dpp v3, v1 row_shr:8 row_mask:0xf bank_mask:0xf
	v_add_u32_e32 v3, v1, v3
	v_add_u32_e32 v4, v2, v4
	v_cndmask_b32_e32 v2, v2, v4, vcc
	v_cndmask_b32_e32 v1, v1, v3, vcc
	v_cmp_eq_u32_e32 vcc, 0, v83
	v_mov_b32_dpp v4, v2 row_bcast:15 row_mask:0xf bank_mask:0xf
	v_mov_b32_dpp v3, v1 row_bcast:15 row_mask:0xf bank_mask:0xf
	v_add_u32_e32 v3, v1, v3
	v_add_u32_e32 v4, v2, v4
	v_cndmask_b32_e32 v2, v4, v2, vcc
	v_cndmask_b32_e32 v1, v3, v1, vcc
	v_cmp_lt_u32_e32 vcc, 31, v80
	v_mov_b32_dpp v4, v2 row_bcast:31 row_mask:0xf bank_mask:0xf
	v_mov_b32_dpp v3, v1 row_bcast:31 row_mask:0xf bank_mask:0xf
	v_add_u32_e32 v4, v2, v4
	v_add_u32_e32 v5, v1, v3
	v_cndmask_b32_e32 v3, v2, v4, vcc
	v_cndmask_b32_e32 v2, v1, v5, vcc
	v_cmp_eq_u32_e32 vcc, v82, v0
	s_and_saveexec_b64 s[2:3], vcc
	s_cbranch_execz .LBB642_118
; %bb.117:
	v_lshlrev_b32_e32 v1, 3, v81
	ds_write_b64 v1, v[2:3]
.LBB642_118:
	s_or_b64 exec, exec, s[2:3]
	v_cmp_gt_u32_e32 vcc, 4, v0
	s_waitcnt lgkmcnt(0)
	s_barrier
	s_and_saveexec_b64 s[2:3], vcc
	s_cbranch_execz .LBB642_120
; %bb.119:
	v_lshlrev_b32_e32 v1, 3, v0
	ds_read_b64 v[4:5], v1
	v_and_b32_e32 v6, 3, v80
	v_cmp_eq_u32_e32 vcc, 0, v6
	s_waitcnt lgkmcnt(0)
	v_mov_b32_dpp v7, v4 row_shr:1 row_mask:0xf bank_mask:0xf
	v_mov_b32_dpp v20, v5 row_shr:1 row_mask:0xf bank_mask:0xf
	v_add_u32_e32 v7, v7, v4
	v_add_u32_e32 v20, v20, v5
	v_cndmask_b32_e32 v5, v20, v5, vcc
	v_cndmask_b32_e32 v4, v7, v4, vcc
	v_cmp_lt_u32_e32 vcc, 1, v6
	v_mov_b32_dpp v20, v5 row_shr:2 row_mask:0xf bank_mask:0xf
	v_mov_b32_dpp v7, v4 row_shr:2 row_mask:0xf bank_mask:0xf
	v_cndmask_b32_e32 v6, 0, v7, vcc
	v_cndmask_b32_e32 v7, 0, v20, vcc
	v_add_u32_e32 v5, v7, v5
	v_add_u32_e32 v4, v6, v4
	ds_write_b64 v1, v[4:5]
.LBB642_120:
	s_or_b64 exec, exec, s[2:3]
	v_cmp_lt_u32_e32 vcc, 63, v0
	v_mov_b32_e32 v4, 0
	v_mov_b32_e32 v6, 0
	;; [unrolled: 1-line block ×3, first 2 shown]
	s_waitcnt lgkmcnt(0)
	s_barrier
	s_and_saveexec_b64 s[2:3], vcc
	s_cbranch_execz .LBB642_122
; %bb.121:
	v_lshl_add_u32 v1, v81, 3, -8
	ds_read_b64 v[6:7], v1
.LBB642_122:
	s_or_b64 exec, exec, s[2:3]
	s_waitcnt lgkmcnt(0)
	v_add_u32_e32 v5, v7, v3
	v_add_u32_e32 v1, v6, v2
	v_add_u32_e32 v2, -1, v80
	v_and_b32_e32 v3, 64, v80
	v_cmp_lt_i32_e32 vcc, v2, v3
	v_cndmask_b32_e32 v2, v2, v80, vcc
	v_lshlrev_b32_e32 v20, 2, v2
	ds_read_b64 v[2:3], v4 offset:24
	ds_bpermute_b32 v1, v20, v1
	ds_bpermute_b32 v20, v20, v5
	v_cmp_eq_u32_e32 vcc, 0, v0
	s_waitcnt lgkmcnt(2)
	v_readfirstlane_b32 s4, v3
	s_and_saveexec_b64 s[2:3], vcc
	s_cbranch_execz .LBB642_124
; %bb.123:
	s_add_u32 s6, s12, 0x400
	s_mov_b32 s8, 0
	s_addc_u32 s7, s13, 0
	s_and_b32 s9, s4, 0xff000000
	s_and_b32 s11, s4, 0xff0000
	s_mov_b32 s10, s8
	s_or_b64 s[10:11], s[10:11], s[8:9]
	s_and_b32 s9, s4, 0xff00
	s_or_b64 s[10:11], s[10:11], s[8:9]
	s_and_b32 s9, s4, 0xff
	s_or_b64 s[8:9], s[10:11], s[8:9]
	v_mov_b32_e32 v3, s9
	v_mov_b32_e32 v4, 2
	;; [unrolled: 1-line block ×3, first 2 shown]
	v_pk_mov_b32 v[22:23], s[6:7], s[6:7] op_sel:[0,1]
	;;#ASMSTART
	global_store_dwordx4 v[22:23], v[2:5] off	
s_waitcnt vmcnt(0)
	;;#ASMEND
.LBB642_124:
	s_or_b64 exec, exec, s[2:3]
	v_cmp_eq_u32_e64 s[2:3], 0, v80
	s_waitcnt lgkmcnt(1)
	v_cndmask_b32_e64 v3, v1, v6, s[2:3]
	s_waitcnt lgkmcnt(0)
	v_cndmask_b32_e64 v1, v20, v7, s[2:3]
	v_mov_b32_e32 v4, 0
	v_cndmask_b32_e64 v1, v1, 0, vcc
	v_cndmask_b32_e64 v20, v3, 0, vcc
	s_barrier
	v_mov_b32_e32 v3, s4
	v_mov_b32_e32 v5, 0
.LBB642_125:
	v_add_u32_e32 v24, v1, v63
	v_add_u32_e32 v25, v24, v74
	;; [unrolled: 1-line block ×14, first 2 shown]
	v_mov_b32_e32 v7, s49
	s_waitcnt lgkmcnt(0)
	v_add_co_u32_e32 v6, vcc, s48, v4
	v_add_u32_e32 v64, v58, v68
	v_add_u32_e32 v68, v66, v71
	v_addc_co_u32_e32 v7, vcc, 0, v7, vcc
	v_add_u32_e32 v69, v68, v78
	v_mov_b32_e32 v22, s51
	v_sub_co_u32_e32 v23, vcc, s50, v2
	v_add_u32_e32 v71, v69, v73
	v_subbrev_co_u32_e32 v73, vcc, 0, v22, vcc
	v_add_co_u32_e32 v22, vcc, v23, v5
	v_addc_co_u32_e32 v23, vcc, 0, v73, vcc
	v_lshlrev_b32_e32 v73, 1, v2
	v_sub_u32_e32 v1, v1, v5
	v_add_u32_e32 v74, v73, v3
	v_sub_u32_e32 v20, v20, v4
	v_add_u32_e32 v1, v1, v2
	v_add_u32_e32 v31, v74, v31
	v_and_b32_e32 v33, 1, v33
	v_add_u32_e32 v74, v20, v1
	v_and_b32_e32 v32, 1, v32
	v_sub_u32_e32 v74, v31, v74
	v_cmp_eq_u32_e32 vcc, 1, v33
	v_cndmask_b32_e32 v1, v74, v1, vcc
	v_cmp_eq_u32_e32 vcc, 1, v32
	v_cndmask_b32_e32 v1, v1, v20, vcc
	v_lshlrev_b32_e32 v1, 2, v1
	v_sub_u32_e32 v20, v24, v5
	ds_write_b32 v1, v18
	v_sub_u32_e32 v1, v21, v4
	v_add_u32_e32 v20, v20, v2
	v_add_u32_e32 v24, v20, v1
	v_and_b32_e32 v21, 1, v35
	v_sub_u32_e32 v24, v31, v24
	v_and_b32_e32 v18, 1, v34
	v_add_u32_e32 v24, 1, v24
	v_cmp_eq_u32_e32 vcc, 1, v21
	v_cndmask_b32_e32 v20, v24, v20, vcc
	v_cmp_eq_u32_e32 vcc, 1, v18
	v_cndmask_b32_e32 v1, v20, v1, vcc
	v_lshlrev_b32_e32 v1, 2, v1
	ds_write_b32 v1, v19
	v_sub_u32_e32 v19, v25, v5
	v_sub_u32_e32 v1, v26, v4
	v_add_u32_e32 v19, v19, v2
	v_add_u32_e32 v21, v19, v1
	v_and_b32_e32 v20, 1, v37
	v_sub_u32_e32 v21, v31, v21
	v_and_b32_e32 v18, 1, v36
	v_add_u32_e32 v21, 2, v21
	v_cmp_eq_u32_e32 vcc, 1, v20
	v_cndmask_b32_e32 v19, v21, v19, vcc
	v_cmp_eq_u32_e32 vcc, 1, v18
	v_cndmask_b32_e32 v1, v19, v1, vcc
	v_lshlrev_b32_e32 v1, 2, v1
	v_sub_u32_e32 v18, v28, v5
	ds_write_b32 v1, v16
	v_sub_u32_e32 v1, v27, v4
	v_add_u32_e32 v18, v18, v2
	v_add_u32_e32 v20, v1, v18
	v_and_b32_e32 v19, 1, v38
	v_sub_u32_e32 v20, v31, v20
	v_and_b32_e32 v16, 1, v39
	v_add_u32_e32 v20, 3, v20
	v_cmp_eq_u32_e32 vcc, 1, v19
	v_cndmask_b32_e32 v18, v20, v18, vcc
	v_cmp_eq_u32_e32 vcc, 1, v16
	v_cndmask_b32_e32 v1, v18, v1, vcc
	v_lshlrev_b32_e32 v1, 2, v1
	ds_write_b32 v1, v17
	v_sub_u32_e32 v17, v29, v5
	v_sub_u32_e32 v1, v56, v4
	v_add_u32_e32 v17, v17, v2
	v_add_u32_e32 v19, v1, v17
	v_and_b32_e32 v18, 1, v40
	v_sub_u32_e32 v19, v31, v19
	v_and_b32_e32 v16, 1, v41
	v_add_u32_e32 v19, 4, v19
	;; [unrolled: 28-line block ×3, first 2 shown]
	v_cmp_eq_u32_e32 vcc, 1, v16
	v_cndmask_b32_e32 v15, v17, v15, vcc
	v_cmp_eq_u32_e32 vcc, 1, v14
	v_cndmask_b32_e32 v1, v15, v1, vcc
	v_lshlrev_b32_e32 v1, 2, v1
	v_sub_u32_e32 v14, v65, v5
	ds_write_b32 v1, v12
	v_sub_u32_e32 v1, v64, v4
	v_add_u32_e32 v14, v14, v2
	v_add_u32_e32 v16, v1, v14
	v_and_b32_e32 v15, 1, v46
	v_sub_u32_e32 v16, v31, v16
	v_and_b32_e32 v12, 1, v47
	v_add_u32_e32 v16, 7, v16
	v_cmp_eq_u32_e32 vcc, 1, v15
	v_cndmask_b32_e32 v14, v16, v14, vcc
	v_cmp_eq_u32_e32 vcc, 1, v12
	v_cndmask_b32_e32 v1, v14, v1, vcc
	v_lshlrev_b32_e32 v1, 2, v1
	v_add_u32_e32 v59, v64, v59
	ds_write_b32 v1, v13
	v_sub_u32_e32 v13, v66, v5
	v_sub_u32_e32 v1, v59, v4
	v_add_u32_e32 v13, v13, v2
	v_add_u32_e32 v15, v1, v13
	v_and_b32_e32 v14, 1, v48
	v_sub_u32_e32 v15, v31, v15
	v_and_b32_e32 v12, 1, v49
	v_add_u32_e32 v15, 8, v15
	v_cmp_eq_u32_e32 vcc, 1, v14
	v_cndmask_b32_e32 v13, v15, v13, vcc
	v_cmp_eq_u32_e32 vcc, 1, v12
	v_cndmask_b32_e32 v1, v13, v1, vcc
	v_add_u32_e32 v67, v59, v70
	v_lshlrev_b32_e32 v1, 2, v1
	v_sub_u32_e32 v12, v68, v5
	ds_write_b32 v1, v10
	v_sub_u32_e32 v1, v67, v4
	v_add_u32_e32 v12, v12, v2
	v_add_u32_e32 v14, v1, v12
	v_and_b32_e32 v13, 1, v50
	v_sub_u32_e32 v14, v31, v14
	v_and_b32_e32 v10, 1, v51
	v_add_u32_e32 v14, 9, v14
	v_cmp_eq_u32_e32 vcc, 1, v13
	v_cndmask_b32_e32 v12, v14, v12, vcc
	v_cmp_eq_u32_e32 vcc, 1, v10
	v_cndmask_b32_e32 v1, v12, v1, vcc
	v_lshlrev_b32_e32 v1, 2, v1
	v_add_u32_e32 v60, v67, v60
	ds_write_b32 v1, v11
	v_sub_u32_e32 v11, v69, v5
	v_sub_u32_e32 v1, v60, v4
	v_add_u32_e32 v11, v11, v2
	v_add_u32_e32 v13, v1, v11
	v_and_b32_e32 v12, 1, v52
	v_sub_u32_e32 v13, v31, v13
	v_and_b32_e32 v10, 1, v53
	v_add_u32_e32 v13, 10, v13
	v_cmp_eq_u32_e32 vcc, 1, v12
	v_cndmask_b32_e32 v11, v13, v11, vcc
	v_cmp_eq_u32_e32 vcc, 1, v10
	v_cndmask_b32_e32 v1, v11, v1, vcc
	v_add_u32_e32 v70, v60, v72
	v_lshlrev_b32_e32 v1, 2, v1
	v_sub_u32_e32 v10, v71, v5
	ds_write_b32 v1, v8
	v_sub_u32_e32 v1, v70, v4
	v_add_u32_e32 v10, v10, v2
	v_add_u32_e32 v12, v1, v10
	v_and_b32_e32 v11, 1, v54
	v_sub_u32_e32 v12, v31, v12
	v_and_b32_e32 v8, 1, v55
	v_add_u32_e32 v12, 11, v12
	v_cmp_eq_u32_e32 vcc, 1, v11
	v_cndmask_b32_e32 v10, v12, v10, vcc
	v_cmp_eq_u32_e32 vcc, 1, v8
	v_cndmask_b32_e32 v1, v10, v1, vcc
	v_add_u32_e32 v72, v71, v79
	v_add_u32_e32 v61, v70, v61
	v_lshlrev_b32_e32 v1, 2, v1
	ds_write_b32 v1, v9
	v_sub_u32_e32 v1, v61, v4
	v_sub_u32_e32 v4, v72, v5
	v_add_u32_e32 v4, v4, v2
	v_add_u32_e32 v8, v1, v4
	v_sub_u32_e32 v8, v31, v8
	v_add_u32_e32 v8, 12, v8
	v_cndmask_b32_e64 v4, v8, v4, s[58:59]
	v_cndmask_b32_e64 v1, v4, v1, s[46:47]
	v_lshlrev_b32_e32 v1, 2, v1
	ds_write_b32 v1, v30
	v_add_co_u32_e32 v1, vcc, v3, v73
	v_addc_co_u32_e64 v4, s[2:3], 0, 0, vcc
	v_add_co_u32_e32 v1, vcc, v1, v22
	v_addc_co_u32_e32 v4, vcc, v4, v23, vcc
	s_add_u32 s4, s56, s33
	v_add_co_u32_e32 v1, vcc, v1, v6
	s_addc_u32 s5, s57, 0
	v_addc_co_u32_e32 v4, vcc, v4, v7, vcc
	v_mov_b32_e32 v8, s5
	v_sub_co_u32_e32 v1, vcc, s4, v1
	v_subb_co_u32_e32 v4, vcc, v8, v4, vcc
	v_lshlrev_b64 v[8:9], 2, v[22:23]
	v_mov_b32_e32 v10, s55
	v_add_co_u32_e32 v8, vcc, s54, v8
	v_addc_co_u32_e32 v9, vcc, v10, v9, vcc
	v_lshlrev_b64 v[10:11], 2, v[6:7]
	v_mov_b32_e32 v13, s53
	v_add_co_u32_e32 v10, vcc, s52, v10
	s_add_u32 s6, s34, -4
	v_addc_co_u32_e32 v11, vcc, v13, v11, vcc
	s_addc_u32 s7, s35, -1
	v_add_u32_e32 v12, v2, v3
	s_and_b64 vcc, exec, s[0:1]
	s_mov_b64 s[0:1], -1
	s_waitcnt lgkmcnt(0)
	s_barrier
	s_cbranch_vccz .LBB642_129
; %bb.126:
	s_and_b64 vcc, exec, s[0:1]
	s_cbranch_vccnz .LBB642_234
.LBB642_127:
	v_cmp_eq_u32_e32 vcc, 0, v0
	s_and_b64 s[0:1], vcc, s[30:31]
	s_and_saveexec_b64 s[2:3], s[0:1]
	s_cbranch_execnz .LBB642_352
.LBB642_128:
	s_endpgm
.LBB642_129:
	v_cmp_le_u32_e32 vcc, v2, v0
	s_and_saveexec_b64 s[0:1], vcc
	s_xor_b64 s[0:1], exec, s[0:1]
	s_cbranch_execz .LBB642_135
; %bb.130:
	v_cmp_le_u32_e32 vcc, v12, v0
	s_and_saveexec_b64 s[2:3], vcc
	s_xor_b64 s[2:3], exec, s[2:3]
	s_cbranch_execz .LBB642_132
; %bb.131:
	v_lshlrev_b32_e32 v13, 2, v0
	v_add_co_u32_e32 v14, vcc, v1, v0
	ds_read_b32 v13, v13
	v_addc_co_u32_e32 v15, vcc, 0, v4, vcc
	v_lshlrev_b64 v[14:15], 2, v[14:15]
	v_mov_b32_e32 v16, s35
	v_sub_co_u32_e32 v14, vcc, s34, v14
	v_subb_co_u32_e32 v15, vcc, v16, v15, vcc
	s_waitcnt lgkmcnt(0)
	global_store_dword v[14:15], v13, off offset:-4
.LBB642_132:
	s_andn2_saveexec_b64 s[2:3], s[2:3]
	s_cbranch_execz .LBB642_134
; %bb.133:
	v_lshlrev_b32_e32 v13, 2, v0
	ds_read_b32 v14, v13
	v_readfirstlane_b32 s4, v8
	v_readfirstlane_b32 s5, v9
	s_waitcnt lgkmcnt(0)
	s_nop 3
	global_store_dword v13, v14, s[4:5]
.LBB642_134:
	s_or_b64 exec, exec, s[2:3]
.LBB642_135:
	s_andn2_saveexec_b64 s[0:1], s[0:1]
	s_cbranch_execz .LBB642_137
; %bb.136:
	v_lshlrev_b32_e32 v13, 2, v0
	ds_read_b32 v14, v13
	v_readfirstlane_b32 s2, v10
	v_readfirstlane_b32 s3, v11
	s_waitcnt lgkmcnt(0)
	s_nop 3
	global_store_dword v13, v14, s[2:3]
.LBB642_137:
	s_or_b64 exec, exec, s[0:1]
	v_or_b32_e32 v13, 0x100, v0
	v_cmp_le_u32_e32 vcc, v2, v13
	s_and_saveexec_b64 s[0:1], vcc
	s_xor_b64 s[0:1], exec, s[0:1]
	s_cbranch_execz .LBB642_143
; %bb.138:
	v_cmp_le_u32_e32 vcc, v12, v13
	s_and_saveexec_b64 s[2:3], vcc
	s_xor_b64 s[2:3], exec, s[2:3]
	s_cbranch_execz .LBB642_140
; %bb.139:
	v_lshlrev_b32_e32 v13, 2, v0
	ds_read_b32 v13, v13 offset:1024
	v_add_co_u32_e32 v14, vcc, v1, v0
	v_addc_co_u32_e32 v15, vcc, 0, v4, vcc
	v_lshlrev_b64 v[14:15], 2, v[14:15]
	v_mov_b32_e32 v16, s7
	v_sub_co_u32_e32 v14, vcc, s6, v14
	v_subb_co_u32_e32 v15, vcc, v16, v15, vcc
	s_waitcnt lgkmcnt(0)
	global_store_dword v[14:15], v13, off offset:-1024
.LBB642_140:
	s_andn2_saveexec_b64 s[2:3], s[2:3]
	s_cbranch_execz .LBB642_142
; %bb.141:
	v_lshlrev_b32_e32 v13, 2, v0
	ds_read_b32 v14, v13 offset:1024
	v_readfirstlane_b32 s4, v8
	v_readfirstlane_b32 s5, v9
	s_waitcnt lgkmcnt(0)
	s_nop 3
	global_store_dword v13, v14, s[4:5] offset:1024
.LBB642_142:
	s_or_b64 exec, exec, s[2:3]
.LBB642_143:
	s_andn2_saveexec_b64 s[0:1], s[0:1]
	s_cbranch_execz .LBB642_145
; %bb.144:
	v_lshlrev_b32_e32 v13, 2, v0
	ds_read_b32 v14, v13 offset:1024
	v_readfirstlane_b32 s2, v10
	v_readfirstlane_b32 s3, v11
	s_waitcnt lgkmcnt(0)
	s_nop 3
	global_store_dword v13, v14, s[2:3] offset:1024
.LBB642_145:
	s_or_b64 exec, exec, s[0:1]
	v_or_b32_e32 v13, 0x200, v0
	v_cmp_le_u32_e32 vcc, v2, v13
	s_and_saveexec_b64 s[0:1], vcc
	s_xor_b64 s[0:1], exec, s[0:1]
	s_cbranch_execz .LBB642_151
; %bb.146:
	v_cmp_le_u32_e32 vcc, v12, v13
	s_and_saveexec_b64 s[2:3], vcc
	s_xor_b64 s[2:3], exec, s[2:3]
	s_cbranch_execz .LBB642_148
; %bb.147:
	v_lshlrev_b32_e32 v13, 2, v0
	ds_read_b32 v13, v13 offset:2048
	v_add_co_u32_e32 v14, vcc, v1, v0
	v_addc_co_u32_e32 v15, vcc, 0, v4, vcc
	v_lshlrev_b64 v[14:15], 2, v[14:15]
	v_mov_b32_e32 v16, s7
	v_sub_co_u32_e32 v14, vcc, s6, v14
	v_subb_co_u32_e32 v15, vcc, v16, v15, vcc
	s_waitcnt lgkmcnt(0)
	global_store_dword v[14:15], v13, off offset:-2048
.LBB642_148:
	s_andn2_saveexec_b64 s[2:3], s[2:3]
	s_cbranch_execz .LBB642_150
; %bb.149:
	v_lshlrev_b32_e32 v13, 2, v0
	ds_read_b32 v14, v13 offset:2048
	v_readfirstlane_b32 s4, v8
	v_readfirstlane_b32 s5, v9
	s_waitcnt lgkmcnt(0)
	s_nop 3
	global_store_dword v13, v14, s[4:5] offset:2048
.LBB642_150:
	s_or_b64 exec, exec, s[2:3]
.LBB642_151:
	s_andn2_saveexec_b64 s[0:1], s[0:1]
	s_cbranch_execz .LBB642_153
; %bb.152:
	v_lshlrev_b32_e32 v13, 2, v0
	ds_read_b32 v14, v13 offset:2048
	v_readfirstlane_b32 s2, v10
	v_readfirstlane_b32 s3, v11
	s_waitcnt lgkmcnt(0)
	s_nop 3
	global_store_dword v13, v14, s[2:3] offset:2048
.LBB642_153:
	;; [unrolled: 47-line block ×3, first 2 shown]
	s_or_b64 exec, exec, s[0:1]
	v_or_b32_e32 v13, 0x400, v0
	v_cmp_le_u32_e32 vcc, v2, v13
	s_and_saveexec_b64 s[0:1], vcc
	s_xor_b64 s[0:1], exec, s[0:1]
	s_cbranch_execz .LBB642_167
; %bb.162:
	v_cmp_le_u32_e32 vcc, v12, v13
	s_and_saveexec_b64 s[2:3], vcc
	s_xor_b64 s[2:3], exec, s[2:3]
	s_cbranch_execz .LBB642_164
; %bb.163:
	v_lshlrev_b32_e32 v13, 2, v0
	ds_read_b32 v13, v13 offset:4096
	v_add_co_u32_e32 v14, vcc, v1, v0
	v_addc_co_u32_e32 v15, vcc, 0, v4, vcc
	v_lshlrev_b64 v[14:15], 2, v[14:15]
	v_mov_b32_e32 v16, s7
	v_sub_co_u32_e32 v14, vcc, s6, v14
	v_subb_co_u32_e32 v15, vcc, v16, v15, vcc
	s_waitcnt lgkmcnt(0)
	global_store_dword v[14:15], v13, off offset:-4096
                                        ; implicit-def: $vgpr13
.LBB642_164:
	s_andn2_saveexec_b64 s[2:3], s[2:3]
	s_cbranch_execz .LBB642_166
; %bb.165:
	v_lshlrev_b32_e32 v14, 2, v0
	ds_read_b32 v14, v14 offset:4096
	v_lshlrev_b32_e32 v13, 2, v13
	v_readfirstlane_b32 s4, v8
	v_readfirstlane_b32 s5, v9
	s_waitcnt lgkmcnt(0)
	s_nop 3
	global_store_dword v13, v14, s[4:5]
.LBB642_166:
	s_or_b64 exec, exec, s[2:3]
                                        ; implicit-def: $vgpr13
.LBB642_167:
	s_andn2_saveexec_b64 s[0:1], s[0:1]
	s_cbranch_execz .LBB642_169
; %bb.168:
	v_lshlrev_b32_e32 v14, 2, v0
	ds_read_b32 v14, v14 offset:4096
	v_lshlrev_b32_e32 v13, 2, v13
	v_readfirstlane_b32 s2, v10
	v_readfirstlane_b32 s3, v11
	s_waitcnt lgkmcnt(0)
	s_nop 3
	global_store_dword v13, v14, s[2:3]
.LBB642_169:
	s_or_b64 exec, exec, s[0:1]
	v_or_b32_e32 v13, 0x500, v0
	v_cmp_le_u32_e32 vcc, v2, v13
	s_and_saveexec_b64 s[0:1], vcc
	s_xor_b64 s[0:1], exec, s[0:1]
	s_cbranch_execz .LBB642_175
; %bb.170:
	v_cmp_le_u32_e32 vcc, v12, v13
	s_and_saveexec_b64 s[2:3], vcc
	s_xor_b64 s[2:3], exec, s[2:3]
	s_cbranch_execz .LBB642_172
; %bb.171:
	v_add_co_u32_e32 v14, vcc, v1, v13
	v_lshlrev_b32_e32 v13, 2, v0
	ds_read_b32 v13, v13 offset:5120
	v_addc_co_u32_e32 v15, vcc, 0, v4, vcc
	v_lshlrev_b64 v[14:15], 2, v[14:15]
	v_mov_b32_e32 v16, s7
	v_sub_co_u32_e32 v14, vcc, s6, v14
	v_subb_co_u32_e32 v15, vcc, v16, v15, vcc
	s_waitcnt lgkmcnt(0)
	global_store_dword v[14:15], v13, off
                                        ; implicit-def: $vgpr13
.LBB642_172:
	s_andn2_saveexec_b64 s[2:3], s[2:3]
	s_cbranch_execz .LBB642_174
; %bb.173:
	v_lshlrev_b32_e32 v14, 2, v0
	ds_read_b32 v14, v14 offset:5120
	v_lshlrev_b32_e32 v13, 2, v13
	v_readfirstlane_b32 s4, v8
	v_readfirstlane_b32 s5, v9
	s_waitcnt lgkmcnt(0)
	s_nop 3
	global_store_dword v13, v14, s[4:5]
.LBB642_174:
	s_or_b64 exec, exec, s[2:3]
                                        ; implicit-def: $vgpr13
.LBB642_175:
	s_andn2_saveexec_b64 s[0:1], s[0:1]
	s_cbranch_execz .LBB642_177
; %bb.176:
	v_lshlrev_b32_e32 v14, 2, v0
	ds_read_b32 v14, v14 offset:5120
	v_lshlrev_b32_e32 v13, 2, v13
	v_readfirstlane_b32 s2, v10
	v_readfirstlane_b32 s3, v11
	s_waitcnt lgkmcnt(0)
	s_nop 3
	global_store_dword v13, v14, s[2:3]
.LBB642_177:
	s_or_b64 exec, exec, s[0:1]
	v_or_b32_e32 v13, 0x600, v0
	v_cmp_le_u32_e32 vcc, v2, v13
	s_and_saveexec_b64 s[0:1], vcc
	s_xor_b64 s[0:1], exec, s[0:1]
	s_cbranch_execz .LBB642_183
; %bb.178:
	v_cmp_le_u32_e32 vcc, v12, v13
	s_and_saveexec_b64 s[2:3], vcc
	s_xor_b64 s[2:3], exec, s[2:3]
	s_cbranch_execz .LBB642_180
; %bb.179:
	v_add_co_u32_e32 v14, vcc, v1, v13
	v_lshlrev_b32_e32 v13, 2, v0
	ds_read_b32 v13, v13 offset:6144
	v_addc_co_u32_e32 v15, vcc, 0, v4, vcc
	v_lshlrev_b64 v[14:15], 2, v[14:15]
	v_mov_b32_e32 v16, s7
	v_sub_co_u32_e32 v14, vcc, s6, v14
	v_subb_co_u32_e32 v15, vcc, v16, v15, vcc
	s_waitcnt lgkmcnt(0)
	global_store_dword v[14:15], v13, off
                                        ; implicit-def: $vgpr13
.LBB642_180:
	s_andn2_saveexec_b64 s[2:3], s[2:3]
	s_cbranch_execz .LBB642_182
; %bb.181:
	v_lshlrev_b32_e32 v14, 2, v0
	ds_read_b32 v14, v14 offset:6144
	v_lshlrev_b32_e32 v13, 2, v13
	v_readfirstlane_b32 s4, v8
	v_readfirstlane_b32 s5, v9
	s_waitcnt lgkmcnt(0)
	s_nop 3
	global_store_dword v13, v14, s[4:5]
.LBB642_182:
	s_or_b64 exec, exec, s[2:3]
                                        ; implicit-def: $vgpr13
.LBB642_183:
	;; [unrolled: 51-line block ×8, first 2 shown]
	s_andn2_saveexec_b64 s[0:1], s[0:1]
	s_cbranch_execz .LBB642_233
; %bb.232:
	v_lshlrev_b32_e32 v14, 2, v0
	ds_read_b32 v14, v14 offset:12288
	v_lshlrev_b32_e32 v13, 2, v13
	v_readfirstlane_b32 s2, v10
	v_readfirstlane_b32 s3, v11
	s_waitcnt lgkmcnt(0)
	s_nop 3
	global_store_dword v13, v14, s[2:3]
.LBB642_233:
	s_or_b64 exec, exec, s[0:1]
	s_branch .LBB642_127
.LBB642_234:
	v_cmp_gt_u32_e32 vcc, s18, v0
	s_and_saveexec_b64 s[0:1], vcc
	s_cbranch_execz .LBB642_243
; %bb.235:
	v_cmp_le_u32_e32 vcc, v2, v0
	s_and_saveexec_b64 s[2:3], vcc
	s_xor_b64 s[2:3], exec, s[2:3]
	s_cbranch_execz .LBB642_241
; %bb.236:
	v_cmp_le_u32_e32 vcc, v12, v0
	s_and_saveexec_b64 s[4:5], vcc
	s_xor_b64 s[4:5], exec, s[4:5]
	s_cbranch_execz .LBB642_238
; %bb.237:
	v_lshlrev_b32_e32 v13, 2, v0
	v_add_co_u32_e32 v14, vcc, v1, v0
	ds_read_b32 v13, v13
	v_addc_co_u32_e32 v15, vcc, 0, v4, vcc
	v_lshlrev_b64 v[14:15], 2, v[14:15]
	v_mov_b32_e32 v16, s35
	v_sub_co_u32_e32 v14, vcc, s34, v14
	v_subb_co_u32_e32 v15, vcc, v16, v15, vcc
	s_waitcnt lgkmcnt(0)
	global_store_dword v[14:15], v13, off offset:-4
.LBB642_238:
	s_andn2_saveexec_b64 s[4:5], s[4:5]
	s_cbranch_execz .LBB642_240
; %bb.239:
	v_lshlrev_b32_e32 v13, 2, v0
	ds_read_b32 v14, v13
	v_readfirstlane_b32 s8, v8
	v_readfirstlane_b32 s9, v9
	s_waitcnt lgkmcnt(0)
	s_nop 3
	global_store_dword v13, v14, s[8:9]
.LBB642_240:
	s_or_b64 exec, exec, s[4:5]
.LBB642_241:
	s_andn2_saveexec_b64 s[2:3], s[2:3]
	s_cbranch_execz .LBB642_243
; %bb.242:
	v_lshlrev_b32_e32 v13, 2, v0
	ds_read_b32 v14, v13
	v_readfirstlane_b32 s2, v10
	v_readfirstlane_b32 s3, v11
	s_waitcnt lgkmcnt(0)
	s_nop 3
	global_store_dword v13, v14, s[2:3]
.LBB642_243:
	s_or_b64 exec, exec, s[0:1]
	v_or_b32_e32 v13, 0x100, v0
	v_cmp_gt_u32_e32 vcc, s18, v13
	s_and_saveexec_b64 s[0:1], vcc
	s_cbranch_execz .LBB642_252
; %bb.244:
	v_cmp_le_u32_e32 vcc, v2, v13
	s_and_saveexec_b64 s[2:3], vcc
	s_xor_b64 s[2:3], exec, s[2:3]
	s_cbranch_execz .LBB642_250
; %bb.245:
	v_cmp_le_u32_e32 vcc, v12, v13
	s_and_saveexec_b64 s[4:5], vcc
	s_xor_b64 s[4:5], exec, s[4:5]
	s_cbranch_execz .LBB642_247
; %bb.246:
	v_lshlrev_b32_e32 v13, 2, v0
	ds_read_b32 v13, v13 offset:1024
	v_add_co_u32_e32 v14, vcc, v1, v0
	v_addc_co_u32_e32 v15, vcc, 0, v4, vcc
	v_lshlrev_b64 v[14:15], 2, v[14:15]
	v_mov_b32_e32 v16, s7
	v_sub_co_u32_e32 v14, vcc, s6, v14
	v_subb_co_u32_e32 v15, vcc, v16, v15, vcc
	s_waitcnt lgkmcnt(0)
	global_store_dword v[14:15], v13, off offset:-1024
.LBB642_247:
	s_andn2_saveexec_b64 s[4:5], s[4:5]
	s_cbranch_execz .LBB642_249
; %bb.248:
	v_lshlrev_b32_e32 v13, 2, v0
	ds_read_b32 v14, v13 offset:1024
	v_readfirstlane_b32 s8, v8
	v_readfirstlane_b32 s9, v9
	s_waitcnt lgkmcnt(0)
	s_nop 3
	global_store_dword v13, v14, s[8:9] offset:1024
.LBB642_249:
	s_or_b64 exec, exec, s[4:5]
.LBB642_250:
	s_andn2_saveexec_b64 s[2:3], s[2:3]
	s_cbranch_execz .LBB642_252
; %bb.251:
	v_lshlrev_b32_e32 v13, 2, v0
	ds_read_b32 v14, v13 offset:1024
	v_readfirstlane_b32 s2, v10
	v_readfirstlane_b32 s3, v11
	s_waitcnt lgkmcnt(0)
	s_nop 3
	global_store_dword v13, v14, s[2:3] offset:1024
.LBB642_252:
	s_or_b64 exec, exec, s[0:1]
	v_or_b32_e32 v13, 0x200, v0
	v_cmp_gt_u32_e32 vcc, s18, v13
	s_and_saveexec_b64 s[0:1], vcc
	s_cbranch_execz .LBB642_261
; %bb.253:
	v_cmp_le_u32_e32 vcc, v2, v13
	s_and_saveexec_b64 s[2:3], vcc
	s_xor_b64 s[2:3], exec, s[2:3]
	s_cbranch_execz .LBB642_259
; %bb.254:
	v_cmp_le_u32_e32 vcc, v12, v13
	s_and_saveexec_b64 s[4:5], vcc
	s_xor_b64 s[4:5], exec, s[4:5]
	s_cbranch_execz .LBB642_256
; %bb.255:
	v_lshlrev_b32_e32 v13, 2, v0
	ds_read_b32 v13, v13 offset:2048
	v_add_co_u32_e32 v14, vcc, v1, v0
	v_addc_co_u32_e32 v15, vcc, 0, v4, vcc
	v_lshlrev_b64 v[14:15], 2, v[14:15]
	v_mov_b32_e32 v16, s7
	v_sub_co_u32_e32 v14, vcc, s6, v14
	v_subb_co_u32_e32 v15, vcc, v16, v15, vcc
	s_waitcnt lgkmcnt(0)
	global_store_dword v[14:15], v13, off offset:-2048
.LBB642_256:
	s_andn2_saveexec_b64 s[4:5], s[4:5]
	s_cbranch_execz .LBB642_258
; %bb.257:
	v_lshlrev_b32_e32 v13, 2, v0
	ds_read_b32 v14, v13 offset:2048
	v_readfirstlane_b32 s8, v8
	v_readfirstlane_b32 s9, v9
	s_waitcnt lgkmcnt(0)
	s_nop 3
	global_store_dword v13, v14, s[8:9] offset:2048
.LBB642_258:
	s_or_b64 exec, exec, s[4:5]
.LBB642_259:
	s_andn2_saveexec_b64 s[2:3], s[2:3]
	s_cbranch_execz .LBB642_261
; %bb.260:
	v_lshlrev_b32_e32 v13, 2, v0
	ds_read_b32 v14, v13 offset:2048
	v_readfirstlane_b32 s2, v10
	v_readfirstlane_b32 s3, v11
	s_waitcnt lgkmcnt(0)
	s_nop 3
	global_store_dword v13, v14, s[2:3] offset:2048
.LBB642_261:
	;; [unrolled: 51-line block ×3, first 2 shown]
	s_or_b64 exec, exec, s[0:1]
	v_or_b32_e32 v13, 0x400, v0
	v_cmp_gt_u32_e32 vcc, s18, v13
	s_and_saveexec_b64 s[0:1], vcc
	s_cbranch_execz .LBB642_279
; %bb.271:
	v_cmp_le_u32_e32 vcc, v2, v13
	s_and_saveexec_b64 s[2:3], vcc
	s_xor_b64 s[2:3], exec, s[2:3]
	s_cbranch_execz .LBB642_277
; %bb.272:
	v_cmp_le_u32_e32 vcc, v12, v13
	s_and_saveexec_b64 s[4:5], vcc
	s_xor_b64 s[4:5], exec, s[4:5]
	s_cbranch_execz .LBB642_274
; %bb.273:
	v_lshlrev_b32_e32 v13, 2, v0
	ds_read_b32 v13, v13 offset:4096
	v_add_co_u32_e32 v14, vcc, v1, v0
	v_addc_co_u32_e32 v15, vcc, 0, v4, vcc
	v_lshlrev_b64 v[14:15], 2, v[14:15]
	v_mov_b32_e32 v16, s7
	v_sub_co_u32_e32 v14, vcc, s6, v14
	v_subb_co_u32_e32 v15, vcc, v16, v15, vcc
	s_waitcnt lgkmcnt(0)
	global_store_dword v[14:15], v13, off offset:-4096
                                        ; implicit-def: $vgpr13
.LBB642_274:
	s_andn2_saveexec_b64 s[4:5], s[4:5]
	s_cbranch_execz .LBB642_276
; %bb.275:
	v_lshlrev_b32_e32 v14, 2, v0
	ds_read_b32 v14, v14 offset:4096
	v_lshlrev_b32_e32 v13, 2, v13
	v_readfirstlane_b32 s8, v8
	v_readfirstlane_b32 s9, v9
	s_waitcnt lgkmcnt(0)
	s_nop 3
	global_store_dword v13, v14, s[8:9]
.LBB642_276:
	s_or_b64 exec, exec, s[4:5]
                                        ; implicit-def: $vgpr13
.LBB642_277:
	s_andn2_saveexec_b64 s[2:3], s[2:3]
	s_cbranch_execz .LBB642_279
; %bb.278:
	v_lshlrev_b32_e32 v14, 2, v0
	ds_read_b32 v14, v14 offset:4096
	v_lshlrev_b32_e32 v13, 2, v13
	v_readfirstlane_b32 s2, v10
	v_readfirstlane_b32 s3, v11
	s_waitcnt lgkmcnt(0)
	s_nop 3
	global_store_dword v13, v14, s[2:3]
.LBB642_279:
	s_or_b64 exec, exec, s[0:1]
	v_or_b32_e32 v13, 0x500, v0
	v_cmp_gt_u32_e32 vcc, s18, v13
	s_and_saveexec_b64 s[0:1], vcc
	s_cbranch_execz .LBB642_288
; %bb.280:
	v_cmp_le_u32_e32 vcc, v2, v13
	s_and_saveexec_b64 s[2:3], vcc
	s_xor_b64 s[2:3], exec, s[2:3]
	s_cbranch_execz .LBB642_286
; %bb.281:
	v_cmp_le_u32_e32 vcc, v12, v13
	s_and_saveexec_b64 s[4:5], vcc
	s_xor_b64 s[4:5], exec, s[4:5]
	s_cbranch_execz .LBB642_283
; %bb.282:
	v_add_co_u32_e32 v14, vcc, v1, v13
	v_lshlrev_b32_e32 v13, 2, v0
	ds_read_b32 v13, v13 offset:5120
	v_addc_co_u32_e32 v15, vcc, 0, v4, vcc
	v_lshlrev_b64 v[14:15], 2, v[14:15]
	v_mov_b32_e32 v16, s7
	v_sub_co_u32_e32 v14, vcc, s6, v14
	v_subb_co_u32_e32 v15, vcc, v16, v15, vcc
	s_waitcnt lgkmcnt(0)
	global_store_dword v[14:15], v13, off
                                        ; implicit-def: $vgpr13
.LBB642_283:
	s_andn2_saveexec_b64 s[4:5], s[4:5]
	s_cbranch_execz .LBB642_285
; %bb.284:
	v_lshlrev_b32_e32 v14, 2, v0
	ds_read_b32 v14, v14 offset:5120
	v_lshlrev_b32_e32 v13, 2, v13
	v_readfirstlane_b32 s8, v8
	v_readfirstlane_b32 s9, v9
	s_waitcnt lgkmcnt(0)
	s_nop 3
	global_store_dword v13, v14, s[8:9]
.LBB642_285:
	s_or_b64 exec, exec, s[4:5]
                                        ; implicit-def: $vgpr13
.LBB642_286:
	s_andn2_saveexec_b64 s[2:3], s[2:3]
	s_cbranch_execz .LBB642_288
; %bb.287:
	v_lshlrev_b32_e32 v14, 2, v0
	ds_read_b32 v14, v14 offset:5120
	v_lshlrev_b32_e32 v13, 2, v13
	v_readfirstlane_b32 s2, v10
	v_readfirstlane_b32 s3, v11
	s_waitcnt lgkmcnt(0)
	s_nop 3
	global_store_dword v13, v14, s[2:3]
.LBB642_288:
	s_or_b64 exec, exec, s[0:1]
	v_or_b32_e32 v13, 0x600, v0
	v_cmp_gt_u32_e32 vcc, s18, v13
	s_and_saveexec_b64 s[0:1], vcc
	s_cbranch_execz .LBB642_297
; %bb.289:
	v_cmp_le_u32_e32 vcc, v2, v13
	s_and_saveexec_b64 s[2:3], vcc
	s_xor_b64 s[2:3], exec, s[2:3]
	s_cbranch_execz .LBB642_295
; %bb.290:
	v_cmp_le_u32_e32 vcc, v12, v13
	s_and_saveexec_b64 s[4:5], vcc
	s_xor_b64 s[4:5], exec, s[4:5]
	s_cbranch_execz .LBB642_292
; %bb.291:
	v_add_co_u32_e32 v14, vcc, v1, v13
	v_lshlrev_b32_e32 v13, 2, v0
	ds_read_b32 v13, v13 offset:6144
	v_addc_co_u32_e32 v15, vcc, 0, v4, vcc
	v_lshlrev_b64 v[14:15], 2, v[14:15]
	v_mov_b32_e32 v16, s7
	v_sub_co_u32_e32 v14, vcc, s6, v14
	v_subb_co_u32_e32 v15, vcc, v16, v15, vcc
	s_waitcnt lgkmcnt(0)
	global_store_dword v[14:15], v13, off
                                        ; implicit-def: $vgpr13
.LBB642_292:
	s_andn2_saveexec_b64 s[4:5], s[4:5]
	s_cbranch_execz .LBB642_294
; %bb.293:
	v_lshlrev_b32_e32 v14, 2, v0
	ds_read_b32 v14, v14 offset:6144
	v_lshlrev_b32_e32 v13, 2, v13
	v_readfirstlane_b32 s8, v8
	v_readfirstlane_b32 s9, v9
	s_waitcnt lgkmcnt(0)
	s_nop 3
	global_store_dword v13, v14, s[8:9]
.LBB642_294:
	s_or_b64 exec, exec, s[4:5]
                                        ; implicit-def: $vgpr13
.LBB642_295:
	s_andn2_saveexec_b64 s[2:3], s[2:3]
	s_cbranch_execz .LBB642_297
; %bb.296:
	v_lshlrev_b32_e32 v14, 2, v0
	ds_read_b32 v14, v14 offset:6144
	v_lshlrev_b32_e32 v13, 2, v13
	v_readfirstlane_b32 s2, v10
	v_readfirstlane_b32 s3, v11
	s_waitcnt lgkmcnt(0)
	s_nop 3
	global_store_dword v13, v14, s[2:3]
.LBB642_297:
	;; [unrolled: 55-line block ×7, first 2 shown]
	s_or_b64 exec, exec, s[0:1]
	v_or_b32_e32 v13, 0xc00, v0
	v_cmp_gt_u32_e32 vcc, s18, v13
	s_and_saveexec_b64 s[0:1], vcc
	s_cbranch_execz .LBB642_351
; %bb.343:
	v_cmp_le_u32_e32 vcc, v2, v13
	s_and_saveexec_b64 s[2:3], vcc
	s_xor_b64 s[2:3], exec, s[2:3]
	s_cbranch_execz .LBB642_349
; %bb.344:
	v_cmp_le_u32_e32 vcc, v12, v13
	s_and_saveexec_b64 s[4:5], vcc
	s_xor_b64 s[4:5], exec, s[4:5]
	s_cbranch_execz .LBB642_346
; %bb.345:
	v_add_co_u32_e32 v8, vcc, v1, v13
	v_lshlrev_b32_e32 v1, 2, v0
	ds_read_b32 v1, v1 offset:12288
	v_addc_co_u32_e32 v9, vcc, 0, v4, vcc
	v_lshlrev_b64 v[8:9], 2, v[8:9]
	v_mov_b32_e32 v4, s7
	v_sub_co_u32_e32 v8, vcc, s6, v8
	v_subb_co_u32_e32 v9, vcc, v4, v9, vcc
	s_waitcnt lgkmcnt(0)
	global_store_dword v[8:9], v1, off
                                        ; implicit-def: $vgpr13
                                        ; implicit-def: $vgpr8_vgpr9
.LBB642_346:
	s_andn2_saveexec_b64 s[4:5], s[4:5]
	s_cbranch_execz .LBB642_348
; %bb.347:
	v_lshlrev_b32_e32 v1, 2, v0
	ds_read_b32 v1, v1 offset:12288
	v_lshlrev_b32_e32 v4, 2, v13
	v_readfirstlane_b32 s6, v8
	v_readfirstlane_b32 s7, v9
	s_waitcnt lgkmcnt(0)
	s_nop 3
	global_store_dword v4, v1, s[6:7]
.LBB642_348:
	s_or_b64 exec, exec, s[4:5]
                                        ; implicit-def: $vgpr13
                                        ; implicit-def: $vgpr10_vgpr11
.LBB642_349:
	s_andn2_saveexec_b64 s[2:3], s[2:3]
	s_cbranch_execz .LBB642_351
; %bb.350:
	v_lshlrev_b32_e32 v1, 2, v0
	ds_read_b32 v1, v1 offset:12288
	v_lshlrev_b32_e32 v4, 2, v13
	v_readfirstlane_b32 s2, v10
	v_readfirstlane_b32 s3, v11
	s_waitcnt lgkmcnt(0)
	s_nop 3
	global_store_dword v4, v1, s[2:3]
.LBB642_351:
	s_or_b64 exec, exec, s[0:1]
	v_cmp_eq_u32_e32 vcc, 0, v0
	s_and_b64 s[0:1], vcc, s[30:31]
	s_and_saveexec_b64 s[2:3], s[0:1]
	s_cbranch_execz .LBB642_128
.LBB642_352:
	v_add_co_u32_e32 v0, vcc, v6, v2
	v_addc_co_u32_e32 v1, vcc, 0, v7, vcc
	v_mov_b32_e32 v2, s51
	v_add_co_u32_e32 v3, vcc, s50, v3
	v_addc_co_u32_e32 v6, vcc, 0, v2, vcc
	v_add_co_u32_e32 v2, vcc, v3, v5
	v_mov_b32_e32 v4, 0
	v_addc_co_u32_e32 v3, vcc, 0, v6, vcc
	global_store_dwordx4 v4, v[0:3], s[44:45]
	s_endpgm
	.section	.rodata,"a",@progbits
	.p2align	6, 0x0
	.amdhsa_kernel _ZN7rocprim17ROCPRIM_400000_NS6detail17trampoline_kernelINS0_13select_configILj256ELj13ELNS0_17block_load_methodE3ELS4_3ELS4_3ELNS0_20block_scan_algorithmE0ELj4294967295EEENS1_25partition_config_selectorILNS1_17partition_subalgoE4EjNS0_10empty_typeEbEEZZNS1_14partition_implILS8_4ELb0ES6_15HIP_vector_typeIjLj2EENS0_17counting_iteratorIjlEEPS9_SG_NS0_5tupleIJPjSI_NS0_16reverse_iteratorISI_EEEEENSH_IJSG_SG_SG_EEES9_SI_JZNS1_25segmented_radix_sort_implINS0_14default_configELb1EPKlPlSQ_SR_N2at6native12_GLOBAL__N_18offset_tEEE10hipError_tPvRmT1_PNSt15iterator_traitsISZ_E10value_typeET2_T3_PNS10_IS15_E10value_typeET4_jRbjT5_S1B_jjP12ihipStream_tbEUljE_ZNSN_ISO_Lb1ESQ_SR_SQ_SR_SV_EESW_SX_SY_SZ_S13_S14_S15_S18_S19_jS1A_jS1B_S1B_jjS1D_bEUljE0_EEESW_SX_SY_S15_S19_S1B_T6_T7_T9_mT8_S1D_bDpT10_ENKUlT_T0_E_clISt17integral_constantIbLb0EES1R_EEDaS1M_S1N_EUlS1M_E_NS1_11comp_targetILNS1_3genE4ELNS1_11target_archE910ELNS1_3gpuE8ELNS1_3repE0EEENS1_30default_config_static_selectorELNS0_4arch9wavefront6targetE1EEEvSZ_
		.amdhsa_group_segment_fixed_size 13340
		.amdhsa_private_segment_fixed_size 0
		.amdhsa_kernarg_size 176
		.amdhsa_user_sgpr_count 6
		.amdhsa_user_sgpr_private_segment_buffer 1
		.amdhsa_user_sgpr_dispatch_ptr 0
		.amdhsa_user_sgpr_queue_ptr 0
		.amdhsa_user_sgpr_kernarg_segment_ptr 1
		.amdhsa_user_sgpr_dispatch_id 0
		.amdhsa_user_sgpr_flat_scratch_init 0
		.amdhsa_user_sgpr_kernarg_preload_length 0
		.amdhsa_user_sgpr_kernarg_preload_offset 0
		.amdhsa_user_sgpr_private_segment_size 0
		.amdhsa_uses_dynamic_stack 0
		.amdhsa_system_sgpr_private_segment_wavefront_offset 0
		.amdhsa_system_sgpr_workgroup_id_x 1
		.amdhsa_system_sgpr_workgroup_id_y 0
		.amdhsa_system_sgpr_workgroup_id_z 0
		.amdhsa_system_sgpr_workgroup_info 0
		.amdhsa_system_vgpr_workitem_id 0
		.amdhsa_next_free_vgpr 102
		.amdhsa_next_free_sgpr 90
		.amdhsa_accum_offset 104
		.amdhsa_reserve_vcc 1
		.amdhsa_reserve_flat_scratch 0
		.amdhsa_float_round_mode_32 0
		.amdhsa_float_round_mode_16_64 0
		.amdhsa_float_denorm_mode_32 3
		.amdhsa_float_denorm_mode_16_64 3
		.amdhsa_dx10_clamp 1
		.amdhsa_ieee_mode 1
		.amdhsa_fp16_overflow 0
		.amdhsa_tg_split 0
		.amdhsa_exception_fp_ieee_invalid_op 0
		.amdhsa_exception_fp_denorm_src 0
		.amdhsa_exception_fp_ieee_div_zero 0
		.amdhsa_exception_fp_ieee_overflow 0
		.amdhsa_exception_fp_ieee_underflow 0
		.amdhsa_exception_fp_ieee_inexact 0
		.amdhsa_exception_int_div_zero 0
	.end_amdhsa_kernel
	.section	.text._ZN7rocprim17ROCPRIM_400000_NS6detail17trampoline_kernelINS0_13select_configILj256ELj13ELNS0_17block_load_methodE3ELS4_3ELS4_3ELNS0_20block_scan_algorithmE0ELj4294967295EEENS1_25partition_config_selectorILNS1_17partition_subalgoE4EjNS0_10empty_typeEbEEZZNS1_14partition_implILS8_4ELb0ES6_15HIP_vector_typeIjLj2EENS0_17counting_iteratorIjlEEPS9_SG_NS0_5tupleIJPjSI_NS0_16reverse_iteratorISI_EEEEENSH_IJSG_SG_SG_EEES9_SI_JZNS1_25segmented_radix_sort_implINS0_14default_configELb1EPKlPlSQ_SR_N2at6native12_GLOBAL__N_18offset_tEEE10hipError_tPvRmT1_PNSt15iterator_traitsISZ_E10value_typeET2_T3_PNS10_IS15_E10value_typeET4_jRbjT5_S1B_jjP12ihipStream_tbEUljE_ZNSN_ISO_Lb1ESQ_SR_SQ_SR_SV_EESW_SX_SY_SZ_S13_S14_S15_S18_S19_jS1A_jS1B_S1B_jjS1D_bEUljE0_EEESW_SX_SY_S15_S19_S1B_T6_T7_T9_mT8_S1D_bDpT10_ENKUlT_T0_E_clISt17integral_constantIbLb0EES1R_EEDaS1M_S1N_EUlS1M_E_NS1_11comp_targetILNS1_3genE4ELNS1_11target_archE910ELNS1_3gpuE8ELNS1_3repE0EEENS1_30default_config_static_selectorELNS0_4arch9wavefront6targetE1EEEvSZ_,"axG",@progbits,_ZN7rocprim17ROCPRIM_400000_NS6detail17trampoline_kernelINS0_13select_configILj256ELj13ELNS0_17block_load_methodE3ELS4_3ELS4_3ELNS0_20block_scan_algorithmE0ELj4294967295EEENS1_25partition_config_selectorILNS1_17partition_subalgoE4EjNS0_10empty_typeEbEEZZNS1_14partition_implILS8_4ELb0ES6_15HIP_vector_typeIjLj2EENS0_17counting_iteratorIjlEEPS9_SG_NS0_5tupleIJPjSI_NS0_16reverse_iteratorISI_EEEEENSH_IJSG_SG_SG_EEES9_SI_JZNS1_25segmented_radix_sort_implINS0_14default_configELb1EPKlPlSQ_SR_N2at6native12_GLOBAL__N_18offset_tEEE10hipError_tPvRmT1_PNSt15iterator_traitsISZ_E10value_typeET2_T3_PNS10_IS15_E10value_typeET4_jRbjT5_S1B_jjP12ihipStream_tbEUljE_ZNSN_ISO_Lb1ESQ_SR_SQ_SR_SV_EESW_SX_SY_SZ_S13_S14_S15_S18_S19_jS1A_jS1B_S1B_jjS1D_bEUljE0_EEESW_SX_SY_S15_S19_S1B_T6_T7_T9_mT8_S1D_bDpT10_ENKUlT_T0_E_clISt17integral_constantIbLb0EES1R_EEDaS1M_S1N_EUlS1M_E_NS1_11comp_targetILNS1_3genE4ELNS1_11target_archE910ELNS1_3gpuE8ELNS1_3repE0EEENS1_30default_config_static_selectorELNS0_4arch9wavefront6targetE1EEEvSZ_,comdat
.Lfunc_end642:
	.size	_ZN7rocprim17ROCPRIM_400000_NS6detail17trampoline_kernelINS0_13select_configILj256ELj13ELNS0_17block_load_methodE3ELS4_3ELS4_3ELNS0_20block_scan_algorithmE0ELj4294967295EEENS1_25partition_config_selectorILNS1_17partition_subalgoE4EjNS0_10empty_typeEbEEZZNS1_14partition_implILS8_4ELb0ES6_15HIP_vector_typeIjLj2EENS0_17counting_iteratorIjlEEPS9_SG_NS0_5tupleIJPjSI_NS0_16reverse_iteratorISI_EEEEENSH_IJSG_SG_SG_EEES9_SI_JZNS1_25segmented_radix_sort_implINS0_14default_configELb1EPKlPlSQ_SR_N2at6native12_GLOBAL__N_18offset_tEEE10hipError_tPvRmT1_PNSt15iterator_traitsISZ_E10value_typeET2_T3_PNS10_IS15_E10value_typeET4_jRbjT5_S1B_jjP12ihipStream_tbEUljE_ZNSN_ISO_Lb1ESQ_SR_SQ_SR_SV_EESW_SX_SY_SZ_S13_S14_S15_S18_S19_jS1A_jS1B_S1B_jjS1D_bEUljE0_EEESW_SX_SY_S15_S19_S1B_T6_T7_T9_mT8_S1D_bDpT10_ENKUlT_T0_E_clISt17integral_constantIbLb0EES1R_EEDaS1M_S1N_EUlS1M_E_NS1_11comp_targetILNS1_3genE4ELNS1_11target_archE910ELNS1_3gpuE8ELNS1_3repE0EEENS1_30default_config_static_selectorELNS0_4arch9wavefront6targetE1EEEvSZ_, .Lfunc_end642-_ZN7rocprim17ROCPRIM_400000_NS6detail17trampoline_kernelINS0_13select_configILj256ELj13ELNS0_17block_load_methodE3ELS4_3ELS4_3ELNS0_20block_scan_algorithmE0ELj4294967295EEENS1_25partition_config_selectorILNS1_17partition_subalgoE4EjNS0_10empty_typeEbEEZZNS1_14partition_implILS8_4ELb0ES6_15HIP_vector_typeIjLj2EENS0_17counting_iteratorIjlEEPS9_SG_NS0_5tupleIJPjSI_NS0_16reverse_iteratorISI_EEEEENSH_IJSG_SG_SG_EEES9_SI_JZNS1_25segmented_radix_sort_implINS0_14default_configELb1EPKlPlSQ_SR_N2at6native12_GLOBAL__N_18offset_tEEE10hipError_tPvRmT1_PNSt15iterator_traitsISZ_E10value_typeET2_T3_PNS10_IS15_E10value_typeET4_jRbjT5_S1B_jjP12ihipStream_tbEUljE_ZNSN_ISO_Lb1ESQ_SR_SQ_SR_SV_EESW_SX_SY_SZ_S13_S14_S15_S18_S19_jS1A_jS1B_S1B_jjS1D_bEUljE0_EEESW_SX_SY_S15_S19_S1B_T6_T7_T9_mT8_S1D_bDpT10_ENKUlT_T0_E_clISt17integral_constantIbLb0EES1R_EEDaS1M_S1N_EUlS1M_E_NS1_11comp_targetILNS1_3genE4ELNS1_11target_archE910ELNS1_3gpuE8ELNS1_3repE0EEENS1_30default_config_static_selectorELNS0_4arch9wavefront6targetE1EEEvSZ_
                                        ; -- End function
	.section	.AMDGPU.csdata,"",@progbits
; Kernel info:
; codeLenInByte = 13332
; NumSgprs: 94
; NumVgprs: 102
; NumAgprs: 0
; TotalNumVgprs: 102
; ScratchSize: 0
; MemoryBound: 0
; FloatMode: 240
; IeeeMode: 1
; LDSByteSize: 13340 bytes/workgroup (compile time only)
; SGPRBlocks: 11
; VGPRBlocks: 12
; NumSGPRsForWavesPerEU: 94
; NumVGPRsForWavesPerEU: 102
; AccumOffset: 104
; Occupancy: 4
; WaveLimiterHint : 1
; COMPUTE_PGM_RSRC2:SCRATCH_EN: 0
; COMPUTE_PGM_RSRC2:USER_SGPR: 6
; COMPUTE_PGM_RSRC2:TRAP_HANDLER: 0
; COMPUTE_PGM_RSRC2:TGID_X_EN: 1
; COMPUTE_PGM_RSRC2:TGID_Y_EN: 0
; COMPUTE_PGM_RSRC2:TGID_Z_EN: 0
; COMPUTE_PGM_RSRC2:TIDIG_COMP_CNT: 0
; COMPUTE_PGM_RSRC3_GFX90A:ACCUM_OFFSET: 25
; COMPUTE_PGM_RSRC3_GFX90A:TG_SPLIT: 0
	.section	.text._ZN7rocprim17ROCPRIM_400000_NS6detail17trampoline_kernelINS0_13select_configILj256ELj13ELNS0_17block_load_methodE3ELS4_3ELS4_3ELNS0_20block_scan_algorithmE0ELj4294967295EEENS1_25partition_config_selectorILNS1_17partition_subalgoE4EjNS0_10empty_typeEbEEZZNS1_14partition_implILS8_4ELb0ES6_15HIP_vector_typeIjLj2EENS0_17counting_iteratorIjlEEPS9_SG_NS0_5tupleIJPjSI_NS0_16reverse_iteratorISI_EEEEENSH_IJSG_SG_SG_EEES9_SI_JZNS1_25segmented_radix_sort_implINS0_14default_configELb1EPKlPlSQ_SR_N2at6native12_GLOBAL__N_18offset_tEEE10hipError_tPvRmT1_PNSt15iterator_traitsISZ_E10value_typeET2_T3_PNS10_IS15_E10value_typeET4_jRbjT5_S1B_jjP12ihipStream_tbEUljE_ZNSN_ISO_Lb1ESQ_SR_SQ_SR_SV_EESW_SX_SY_SZ_S13_S14_S15_S18_S19_jS1A_jS1B_S1B_jjS1D_bEUljE0_EEESW_SX_SY_S15_S19_S1B_T6_T7_T9_mT8_S1D_bDpT10_ENKUlT_T0_E_clISt17integral_constantIbLb0EES1R_EEDaS1M_S1N_EUlS1M_E_NS1_11comp_targetILNS1_3genE3ELNS1_11target_archE908ELNS1_3gpuE7ELNS1_3repE0EEENS1_30default_config_static_selectorELNS0_4arch9wavefront6targetE1EEEvSZ_,"axG",@progbits,_ZN7rocprim17ROCPRIM_400000_NS6detail17trampoline_kernelINS0_13select_configILj256ELj13ELNS0_17block_load_methodE3ELS4_3ELS4_3ELNS0_20block_scan_algorithmE0ELj4294967295EEENS1_25partition_config_selectorILNS1_17partition_subalgoE4EjNS0_10empty_typeEbEEZZNS1_14partition_implILS8_4ELb0ES6_15HIP_vector_typeIjLj2EENS0_17counting_iteratorIjlEEPS9_SG_NS0_5tupleIJPjSI_NS0_16reverse_iteratorISI_EEEEENSH_IJSG_SG_SG_EEES9_SI_JZNS1_25segmented_radix_sort_implINS0_14default_configELb1EPKlPlSQ_SR_N2at6native12_GLOBAL__N_18offset_tEEE10hipError_tPvRmT1_PNSt15iterator_traitsISZ_E10value_typeET2_T3_PNS10_IS15_E10value_typeET4_jRbjT5_S1B_jjP12ihipStream_tbEUljE_ZNSN_ISO_Lb1ESQ_SR_SQ_SR_SV_EESW_SX_SY_SZ_S13_S14_S15_S18_S19_jS1A_jS1B_S1B_jjS1D_bEUljE0_EEESW_SX_SY_S15_S19_S1B_T6_T7_T9_mT8_S1D_bDpT10_ENKUlT_T0_E_clISt17integral_constantIbLb0EES1R_EEDaS1M_S1N_EUlS1M_E_NS1_11comp_targetILNS1_3genE3ELNS1_11target_archE908ELNS1_3gpuE7ELNS1_3repE0EEENS1_30default_config_static_selectorELNS0_4arch9wavefront6targetE1EEEvSZ_,comdat
	.globl	_ZN7rocprim17ROCPRIM_400000_NS6detail17trampoline_kernelINS0_13select_configILj256ELj13ELNS0_17block_load_methodE3ELS4_3ELS4_3ELNS0_20block_scan_algorithmE0ELj4294967295EEENS1_25partition_config_selectorILNS1_17partition_subalgoE4EjNS0_10empty_typeEbEEZZNS1_14partition_implILS8_4ELb0ES6_15HIP_vector_typeIjLj2EENS0_17counting_iteratorIjlEEPS9_SG_NS0_5tupleIJPjSI_NS0_16reverse_iteratorISI_EEEEENSH_IJSG_SG_SG_EEES9_SI_JZNS1_25segmented_radix_sort_implINS0_14default_configELb1EPKlPlSQ_SR_N2at6native12_GLOBAL__N_18offset_tEEE10hipError_tPvRmT1_PNSt15iterator_traitsISZ_E10value_typeET2_T3_PNS10_IS15_E10value_typeET4_jRbjT5_S1B_jjP12ihipStream_tbEUljE_ZNSN_ISO_Lb1ESQ_SR_SQ_SR_SV_EESW_SX_SY_SZ_S13_S14_S15_S18_S19_jS1A_jS1B_S1B_jjS1D_bEUljE0_EEESW_SX_SY_S15_S19_S1B_T6_T7_T9_mT8_S1D_bDpT10_ENKUlT_T0_E_clISt17integral_constantIbLb0EES1R_EEDaS1M_S1N_EUlS1M_E_NS1_11comp_targetILNS1_3genE3ELNS1_11target_archE908ELNS1_3gpuE7ELNS1_3repE0EEENS1_30default_config_static_selectorELNS0_4arch9wavefront6targetE1EEEvSZ_ ; -- Begin function _ZN7rocprim17ROCPRIM_400000_NS6detail17trampoline_kernelINS0_13select_configILj256ELj13ELNS0_17block_load_methodE3ELS4_3ELS4_3ELNS0_20block_scan_algorithmE0ELj4294967295EEENS1_25partition_config_selectorILNS1_17partition_subalgoE4EjNS0_10empty_typeEbEEZZNS1_14partition_implILS8_4ELb0ES6_15HIP_vector_typeIjLj2EENS0_17counting_iteratorIjlEEPS9_SG_NS0_5tupleIJPjSI_NS0_16reverse_iteratorISI_EEEEENSH_IJSG_SG_SG_EEES9_SI_JZNS1_25segmented_radix_sort_implINS0_14default_configELb1EPKlPlSQ_SR_N2at6native12_GLOBAL__N_18offset_tEEE10hipError_tPvRmT1_PNSt15iterator_traitsISZ_E10value_typeET2_T3_PNS10_IS15_E10value_typeET4_jRbjT5_S1B_jjP12ihipStream_tbEUljE_ZNSN_ISO_Lb1ESQ_SR_SQ_SR_SV_EESW_SX_SY_SZ_S13_S14_S15_S18_S19_jS1A_jS1B_S1B_jjS1D_bEUljE0_EEESW_SX_SY_S15_S19_S1B_T6_T7_T9_mT8_S1D_bDpT10_ENKUlT_T0_E_clISt17integral_constantIbLb0EES1R_EEDaS1M_S1N_EUlS1M_E_NS1_11comp_targetILNS1_3genE3ELNS1_11target_archE908ELNS1_3gpuE7ELNS1_3repE0EEENS1_30default_config_static_selectorELNS0_4arch9wavefront6targetE1EEEvSZ_
	.p2align	8
	.type	_ZN7rocprim17ROCPRIM_400000_NS6detail17trampoline_kernelINS0_13select_configILj256ELj13ELNS0_17block_load_methodE3ELS4_3ELS4_3ELNS0_20block_scan_algorithmE0ELj4294967295EEENS1_25partition_config_selectorILNS1_17partition_subalgoE4EjNS0_10empty_typeEbEEZZNS1_14partition_implILS8_4ELb0ES6_15HIP_vector_typeIjLj2EENS0_17counting_iteratorIjlEEPS9_SG_NS0_5tupleIJPjSI_NS0_16reverse_iteratorISI_EEEEENSH_IJSG_SG_SG_EEES9_SI_JZNS1_25segmented_radix_sort_implINS0_14default_configELb1EPKlPlSQ_SR_N2at6native12_GLOBAL__N_18offset_tEEE10hipError_tPvRmT1_PNSt15iterator_traitsISZ_E10value_typeET2_T3_PNS10_IS15_E10value_typeET4_jRbjT5_S1B_jjP12ihipStream_tbEUljE_ZNSN_ISO_Lb1ESQ_SR_SQ_SR_SV_EESW_SX_SY_SZ_S13_S14_S15_S18_S19_jS1A_jS1B_S1B_jjS1D_bEUljE0_EEESW_SX_SY_S15_S19_S1B_T6_T7_T9_mT8_S1D_bDpT10_ENKUlT_T0_E_clISt17integral_constantIbLb0EES1R_EEDaS1M_S1N_EUlS1M_E_NS1_11comp_targetILNS1_3genE3ELNS1_11target_archE908ELNS1_3gpuE7ELNS1_3repE0EEENS1_30default_config_static_selectorELNS0_4arch9wavefront6targetE1EEEvSZ_,@function
_ZN7rocprim17ROCPRIM_400000_NS6detail17trampoline_kernelINS0_13select_configILj256ELj13ELNS0_17block_load_methodE3ELS4_3ELS4_3ELNS0_20block_scan_algorithmE0ELj4294967295EEENS1_25partition_config_selectorILNS1_17partition_subalgoE4EjNS0_10empty_typeEbEEZZNS1_14partition_implILS8_4ELb0ES6_15HIP_vector_typeIjLj2EENS0_17counting_iteratorIjlEEPS9_SG_NS0_5tupleIJPjSI_NS0_16reverse_iteratorISI_EEEEENSH_IJSG_SG_SG_EEES9_SI_JZNS1_25segmented_radix_sort_implINS0_14default_configELb1EPKlPlSQ_SR_N2at6native12_GLOBAL__N_18offset_tEEE10hipError_tPvRmT1_PNSt15iterator_traitsISZ_E10value_typeET2_T3_PNS10_IS15_E10value_typeET4_jRbjT5_S1B_jjP12ihipStream_tbEUljE_ZNSN_ISO_Lb1ESQ_SR_SQ_SR_SV_EESW_SX_SY_SZ_S13_S14_S15_S18_S19_jS1A_jS1B_S1B_jjS1D_bEUljE0_EEESW_SX_SY_S15_S19_S1B_T6_T7_T9_mT8_S1D_bDpT10_ENKUlT_T0_E_clISt17integral_constantIbLb0EES1R_EEDaS1M_S1N_EUlS1M_E_NS1_11comp_targetILNS1_3genE3ELNS1_11target_archE908ELNS1_3gpuE7ELNS1_3repE0EEENS1_30default_config_static_selectorELNS0_4arch9wavefront6targetE1EEEvSZ_: ; @_ZN7rocprim17ROCPRIM_400000_NS6detail17trampoline_kernelINS0_13select_configILj256ELj13ELNS0_17block_load_methodE3ELS4_3ELS4_3ELNS0_20block_scan_algorithmE0ELj4294967295EEENS1_25partition_config_selectorILNS1_17partition_subalgoE4EjNS0_10empty_typeEbEEZZNS1_14partition_implILS8_4ELb0ES6_15HIP_vector_typeIjLj2EENS0_17counting_iteratorIjlEEPS9_SG_NS0_5tupleIJPjSI_NS0_16reverse_iteratorISI_EEEEENSH_IJSG_SG_SG_EEES9_SI_JZNS1_25segmented_radix_sort_implINS0_14default_configELb1EPKlPlSQ_SR_N2at6native12_GLOBAL__N_18offset_tEEE10hipError_tPvRmT1_PNSt15iterator_traitsISZ_E10value_typeET2_T3_PNS10_IS15_E10value_typeET4_jRbjT5_S1B_jjP12ihipStream_tbEUljE_ZNSN_ISO_Lb1ESQ_SR_SQ_SR_SV_EESW_SX_SY_SZ_S13_S14_S15_S18_S19_jS1A_jS1B_S1B_jjS1D_bEUljE0_EEESW_SX_SY_S15_S19_S1B_T6_T7_T9_mT8_S1D_bDpT10_ENKUlT_T0_E_clISt17integral_constantIbLb0EES1R_EEDaS1M_S1N_EUlS1M_E_NS1_11comp_targetILNS1_3genE3ELNS1_11target_archE908ELNS1_3gpuE7ELNS1_3repE0EEENS1_30default_config_static_selectorELNS0_4arch9wavefront6targetE1EEEvSZ_
; %bb.0:
	.section	.rodata,"a",@progbits
	.p2align	6, 0x0
	.amdhsa_kernel _ZN7rocprim17ROCPRIM_400000_NS6detail17trampoline_kernelINS0_13select_configILj256ELj13ELNS0_17block_load_methodE3ELS4_3ELS4_3ELNS0_20block_scan_algorithmE0ELj4294967295EEENS1_25partition_config_selectorILNS1_17partition_subalgoE4EjNS0_10empty_typeEbEEZZNS1_14partition_implILS8_4ELb0ES6_15HIP_vector_typeIjLj2EENS0_17counting_iteratorIjlEEPS9_SG_NS0_5tupleIJPjSI_NS0_16reverse_iteratorISI_EEEEENSH_IJSG_SG_SG_EEES9_SI_JZNS1_25segmented_radix_sort_implINS0_14default_configELb1EPKlPlSQ_SR_N2at6native12_GLOBAL__N_18offset_tEEE10hipError_tPvRmT1_PNSt15iterator_traitsISZ_E10value_typeET2_T3_PNS10_IS15_E10value_typeET4_jRbjT5_S1B_jjP12ihipStream_tbEUljE_ZNSN_ISO_Lb1ESQ_SR_SQ_SR_SV_EESW_SX_SY_SZ_S13_S14_S15_S18_S19_jS1A_jS1B_S1B_jjS1D_bEUljE0_EEESW_SX_SY_S15_S19_S1B_T6_T7_T9_mT8_S1D_bDpT10_ENKUlT_T0_E_clISt17integral_constantIbLb0EES1R_EEDaS1M_S1N_EUlS1M_E_NS1_11comp_targetILNS1_3genE3ELNS1_11target_archE908ELNS1_3gpuE7ELNS1_3repE0EEENS1_30default_config_static_selectorELNS0_4arch9wavefront6targetE1EEEvSZ_
		.amdhsa_group_segment_fixed_size 0
		.amdhsa_private_segment_fixed_size 0
		.amdhsa_kernarg_size 176
		.amdhsa_user_sgpr_count 6
		.amdhsa_user_sgpr_private_segment_buffer 1
		.amdhsa_user_sgpr_dispatch_ptr 0
		.amdhsa_user_sgpr_queue_ptr 0
		.amdhsa_user_sgpr_kernarg_segment_ptr 1
		.amdhsa_user_sgpr_dispatch_id 0
		.amdhsa_user_sgpr_flat_scratch_init 0
		.amdhsa_user_sgpr_kernarg_preload_length 0
		.amdhsa_user_sgpr_kernarg_preload_offset 0
		.amdhsa_user_sgpr_private_segment_size 0
		.amdhsa_uses_dynamic_stack 0
		.amdhsa_system_sgpr_private_segment_wavefront_offset 0
		.amdhsa_system_sgpr_workgroup_id_x 1
		.amdhsa_system_sgpr_workgroup_id_y 0
		.amdhsa_system_sgpr_workgroup_id_z 0
		.amdhsa_system_sgpr_workgroup_info 0
		.amdhsa_system_vgpr_workitem_id 0
		.amdhsa_next_free_vgpr 1
		.amdhsa_next_free_sgpr 0
		.amdhsa_accum_offset 4
		.amdhsa_reserve_vcc 0
		.amdhsa_reserve_flat_scratch 0
		.amdhsa_float_round_mode_32 0
		.amdhsa_float_round_mode_16_64 0
		.amdhsa_float_denorm_mode_32 3
		.amdhsa_float_denorm_mode_16_64 3
		.amdhsa_dx10_clamp 1
		.amdhsa_ieee_mode 1
		.amdhsa_fp16_overflow 0
		.amdhsa_tg_split 0
		.amdhsa_exception_fp_ieee_invalid_op 0
		.amdhsa_exception_fp_denorm_src 0
		.amdhsa_exception_fp_ieee_div_zero 0
		.amdhsa_exception_fp_ieee_overflow 0
		.amdhsa_exception_fp_ieee_underflow 0
		.amdhsa_exception_fp_ieee_inexact 0
		.amdhsa_exception_int_div_zero 0
	.end_amdhsa_kernel
	.section	.text._ZN7rocprim17ROCPRIM_400000_NS6detail17trampoline_kernelINS0_13select_configILj256ELj13ELNS0_17block_load_methodE3ELS4_3ELS4_3ELNS0_20block_scan_algorithmE0ELj4294967295EEENS1_25partition_config_selectorILNS1_17partition_subalgoE4EjNS0_10empty_typeEbEEZZNS1_14partition_implILS8_4ELb0ES6_15HIP_vector_typeIjLj2EENS0_17counting_iteratorIjlEEPS9_SG_NS0_5tupleIJPjSI_NS0_16reverse_iteratorISI_EEEEENSH_IJSG_SG_SG_EEES9_SI_JZNS1_25segmented_radix_sort_implINS0_14default_configELb1EPKlPlSQ_SR_N2at6native12_GLOBAL__N_18offset_tEEE10hipError_tPvRmT1_PNSt15iterator_traitsISZ_E10value_typeET2_T3_PNS10_IS15_E10value_typeET4_jRbjT5_S1B_jjP12ihipStream_tbEUljE_ZNSN_ISO_Lb1ESQ_SR_SQ_SR_SV_EESW_SX_SY_SZ_S13_S14_S15_S18_S19_jS1A_jS1B_S1B_jjS1D_bEUljE0_EEESW_SX_SY_S15_S19_S1B_T6_T7_T9_mT8_S1D_bDpT10_ENKUlT_T0_E_clISt17integral_constantIbLb0EES1R_EEDaS1M_S1N_EUlS1M_E_NS1_11comp_targetILNS1_3genE3ELNS1_11target_archE908ELNS1_3gpuE7ELNS1_3repE0EEENS1_30default_config_static_selectorELNS0_4arch9wavefront6targetE1EEEvSZ_,"axG",@progbits,_ZN7rocprim17ROCPRIM_400000_NS6detail17trampoline_kernelINS0_13select_configILj256ELj13ELNS0_17block_load_methodE3ELS4_3ELS4_3ELNS0_20block_scan_algorithmE0ELj4294967295EEENS1_25partition_config_selectorILNS1_17partition_subalgoE4EjNS0_10empty_typeEbEEZZNS1_14partition_implILS8_4ELb0ES6_15HIP_vector_typeIjLj2EENS0_17counting_iteratorIjlEEPS9_SG_NS0_5tupleIJPjSI_NS0_16reverse_iteratorISI_EEEEENSH_IJSG_SG_SG_EEES9_SI_JZNS1_25segmented_radix_sort_implINS0_14default_configELb1EPKlPlSQ_SR_N2at6native12_GLOBAL__N_18offset_tEEE10hipError_tPvRmT1_PNSt15iterator_traitsISZ_E10value_typeET2_T3_PNS10_IS15_E10value_typeET4_jRbjT5_S1B_jjP12ihipStream_tbEUljE_ZNSN_ISO_Lb1ESQ_SR_SQ_SR_SV_EESW_SX_SY_SZ_S13_S14_S15_S18_S19_jS1A_jS1B_S1B_jjS1D_bEUljE0_EEESW_SX_SY_S15_S19_S1B_T6_T7_T9_mT8_S1D_bDpT10_ENKUlT_T0_E_clISt17integral_constantIbLb0EES1R_EEDaS1M_S1N_EUlS1M_E_NS1_11comp_targetILNS1_3genE3ELNS1_11target_archE908ELNS1_3gpuE7ELNS1_3repE0EEENS1_30default_config_static_selectorELNS0_4arch9wavefront6targetE1EEEvSZ_,comdat
.Lfunc_end643:
	.size	_ZN7rocprim17ROCPRIM_400000_NS6detail17trampoline_kernelINS0_13select_configILj256ELj13ELNS0_17block_load_methodE3ELS4_3ELS4_3ELNS0_20block_scan_algorithmE0ELj4294967295EEENS1_25partition_config_selectorILNS1_17partition_subalgoE4EjNS0_10empty_typeEbEEZZNS1_14partition_implILS8_4ELb0ES6_15HIP_vector_typeIjLj2EENS0_17counting_iteratorIjlEEPS9_SG_NS0_5tupleIJPjSI_NS0_16reverse_iteratorISI_EEEEENSH_IJSG_SG_SG_EEES9_SI_JZNS1_25segmented_radix_sort_implINS0_14default_configELb1EPKlPlSQ_SR_N2at6native12_GLOBAL__N_18offset_tEEE10hipError_tPvRmT1_PNSt15iterator_traitsISZ_E10value_typeET2_T3_PNS10_IS15_E10value_typeET4_jRbjT5_S1B_jjP12ihipStream_tbEUljE_ZNSN_ISO_Lb1ESQ_SR_SQ_SR_SV_EESW_SX_SY_SZ_S13_S14_S15_S18_S19_jS1A_jS1B_S1B_jjS1D_bEUljE0_EEESW_SX_SY_S15_S19_S1B_T6_T7_T9_mT8_S1D_bDpT10_ENKUlT_T0_E_clISt17integral_constantIbLb0EES1R_EEDaS1M_S1N_EUlS1M_E_NS1_11comp_targetILNS1_3genE3ELNS1_11target_archE908ELNS1_3gpuE7ELNS1_3repE0EEENS1_30default_config_static_selectorELNS0_4arch9wavefront6targetE1EEEvSZ_, .Lfunc_end643-_ZN7rocprim17ROCPRIM_400000_NS6detail17trampoline_kernelINS0_13select_configILj256ELj13ELNS0_17block_load_methodE3ELS4_3ELS4_3ELNS0_20block_scan_algorithmE0ELj4294967295EEENS1_25partition_config_selectorILNS1_17partition_subalgoE4EjNS0_10empty_typeEbEEZZNS1_14partition_implILS8_4ELb0ES6_15HIP_vector_typeIjLj2EENS0_17counting_iteratorIjlEEPS9_SG_NS0_5tupleIJPjSI_NS0_16reverse_iteratorISI_EEEEENSH_IJSG_SG_SG_EEES9_SI_JZNS1_25segmented_radix_sort_implINS0_14default_configELb1EPKlPlSQ_SR_N2at6native12_GLOBAL__N_18offset_tEEE10hipError_tPvRmT1_PNSt15iterator_traitsISZ_E10value_typeET2_T3_PNS10_IS15_E10value_typeET4_jRbjT5_S1B_jjP12ihipStream_tbEUljE_ZNSN_ISO_Lb1ESQ_SR_SQ_SR_SV_EESW_SX_SY_SZ_S13_S14_S15_S18_S19_jS1A_jS1B_S1B_jjS1D_bEUljE0_EEESW_SX_SY_S15_S19_S1B_T6_T7_T9_mT8_S1D_bDpT10_ENKUlT_T0_E_clISt17integral_constantIbLb0EES1R_EEDaS1M_S1N_EUlS1M_E_NS1_11comp_targetILNS1_3genE3ELNS1_11target_archE908ELNS1_3gpuE7ELNS1_3repE0EEENS1_30default_config_static_selectorELNS0_4arch9wavefront6targetE1EEEvSZ_
                                        ; -- End function
	.section	.AMDGPU.csdata,"",@progbits
; Kernel info:
; codeLenInByte = 0
; NumSgprs: 4
; NumVgprs: 0
; NumAgprs: 0
; TotalNumVgprs: 0
; ScratchSize: 0
; MemoryBound: 0
; FloatMode: 240
; IeeeMode: 1
; LDSByteSize: 0 bytes/workgroup (compile time only)
; SGPRBlocks: 0
; VGPRBlocks: 0
; NumSGPRsForWavesPerEU: 4
; NumVGPRsForWavesPerEU: 1
; AccumOffset: 4
; Occupancy: 8
; WaveLimiterHint : 0
; COMPUTE_PGM_RSRC2:SCRATCH_EN: 0
; COMPUTE_PGM_RSRC2:USER_SGPR: 6
; COMPUTE_PGM_RSRC2:TRAP_HANDLER: 0
; COMPUTE_PGM_RSRC2:TGID_X_EN: 1
; COMPUTE_PGM_RSRC2:TGID_Y_EN: 0
; COMPUTE_PGM_RSRC2:TGID_Z_EN: 0
; COMPUTE_PGM_RSRC2:TIDIG_COMP_CNT: 0
; COMPUTE_PGM_RSRC3_GFX90A:ACCUM_OFFSET: 0
; COMPUTE_PGM_RSRC3_GFX90A:TG_SPLIT: 0
	.section	.text._ZN7rocprim17ROCPRIM_400000_NS6detail17trampoline_kernelINS0_13select_configILj256ELj13ELNS0_17block_load_methodE3ELS4_3ELS4_3ELNS0_20block_scan_algorithmE0ELj4294967295EEENS1_25partition_config_selectorILNS1_17partition_subalgoE4EjNS0_10empty_typeEbEEZZNS1_14partition_implILS8_4ELb0ES6_15HIP_vector_typeIjLj2EENS0_17counting_iteratorIjlEEPS9_SG_NS0_5tupleIJPjSI_NS0_16reverse_iteratorISI_EEEEENSH_IJSG_SG_SG_EEES9_SI_JZNS1_25segmented_radix_sort_implINS0_14default_configELb1EPKlPlSQ_SR_N2at6native12_GLOBAL__N_18offset_tEEE10hipError_tPvRmT1_PNSt15iterator_traitsISZ_E10value_typeET2_T3_PNS10_IS15_E10value_typeET4_jRbjT5_S1B_jjP12ihipStream_tbEUljE_ZNSN_ISO_Lb1ESQ_SR_SQ_SR_SV_EESW_SX_SY_SZ_S13_S14_S15_S18_S19_jS1A_jS1B_S1B_jjS1D_bEUljE0_EEESW_SX_SY_S15_S19_S1B_T6_T7_T9_mT8_S1D_bDpT10_ENKUlT_T0_E_clISt17integral_constantIbLb0EES1R_EEDaS1M_S1N_EUlS1M_E_NS1_11comp_targetILNS1_3genE2ELNS1_11target_archE906ELNS1_3gpuE6ELNS1_3repE0EEENS1_30default_config_static_selectorELNS0_4arch9wavefront6targetE1EEEvSZ_,"axG",@progbits,_ZN7rocprim17ROCPRIM_400000_NS6detail17trampoline_kernelINS0_13select_configILj256ELj13ELNS0_17block_load_methodE3ELS4_3ELS4_3ELNS0_20block_scan_algorithmE0ELj4294967295EEENS1_25partition_config_selectorILNS1_17partition_subalgoE4EjNS0_10empty_typeEbEEZZNS1_14partition_implILS8_4ELb0ES6_15HIP_vector_typeIjLj2EENS0_17counting_iteratorIjlEEPS9_SG_NS0_5tupleIJPjSI_NS0_16reverse_iteratorISI_EEEEENSH_IJSG_SG_SG_EEES9_SI_JZNS1_25segmented_radix_sort_implINS0_14default_configELb1EPKlPlSQ_SR_N2at6native12_GLOBAL__N_18offset_tEEE10hipError_tPvRmT1_PNSt15iterator_traitsISZ_E10value_typeET2_T3_PNS10_IS15_E10value_typeET4_jRbjT5_S1B_jjP12ihipStream_tbEUljE_ZNSN_ISO_Lb1ESQ_SR_SQ_SR_SV_EESW_SX_SY_SZ_S13_S14_S15_S18_S19_jS1A_jS1B_S1B_jjS1D_bEUljE0_EEESW_SX_SY_S15_S19_S1B_T6_T7_T9_mT8_S1D_bDpT10_ENKUlT_T0_E_clISt17integral_constantIbLb0EES1R_EEDaS1M_S1N_EUlS1M_E_NS1_11comp_targetILNS1_3genE2ELNS1_11target_archE906ELNS1_3gpuE6ELNS1_3repE0EEENS1_30default_config_static_selectorELNS0_4arch9wavefront6targetE1EEEvSZ_,comdat
	.globl	_ZN7rocprim17ROCPRIM_400000_NS6detail17trampoline_kernelINS0_13select_configILj256ELj13ELNS0_17block_load_methodE3ELS4_3ELS4_3ELNS0_20block_scan_algorithmE0ELj4294967295EEENS1_25partition_config_selectorILNS1_17partition_subalgoE4EjNS0_10empty_typeEbEEZZNS1_14partition_implILS8_4ELb0ES6_15HIP_vector_typeIjLj2EENS0_17counting_iteratorIjlEEPS9_SG_NS0_5tupleIJPjSI_NS0_16reverse_iteratorISI_EEEEENSH_IJSG_SG_SG_EEES9_SI_JZNS1_25segmented_radix_sort_implINS0_14default_configELb1EPKlPlSQ_SR_N2at6native12_GLOBAL__N_18offset_tEEE10hipError_tPvRmT1_PNSt15iterator_traitsISZ_E10value_typeET2_T3_PNS10_IS15_E10value_typeET4_jRbjT5_S1B_jjP12ihipStream_tbEUljE_ZNSN_ISO_Lb1ESQ_SR_SQ_SR_SV_EESW_SX_SY_SZ_S13_S14_S15_S18_S19_jS1A_jS1B_S1B_jjS1D_bEUljE0_EEESW_SX_SY_S15_S19_S1B_T6_T7_T9_mT8_S1D_bDpT10_ENKUlT_T0_E_clISt17integral_constantIbLb0EES1R_EEDaS1M_S1N_EUlS1M_E_NS1_11comp_targetILNS1_3genE2ELNS1_11target_archE906ELNS1_3gpuE6ELNS1_3repE0EEENS1_30default_config_static_selectorELNS0_4arch9wavefront6targetE1EEEvSZ_ ; -- Begin function _ZN7rocprim17ROCPRIM_400000_NS6detail17trampoline_kernelINS0_13select_configILj256ELj13ELNS0_17block_load_methodE3ELS4_3ELS4_3ELNS0_20block_scan_algorithmE0ELj4294967295EEENS1_25partition_config_selectorILNS1_17partition_subalgoE4EjNS0_10empty_typeEbEEZZNS1_14partition_implILS8_4ELb0ES6_15HIP_vector_typeIjLj2EENS0_17counting_iteratorIjlEEPS9_SG_NS0_5tupleIJPjSI_NS0_16reverse_iteratorISI_EEEEENSH_IJSG_SG_SG_EEES9_SI_JZNS1_25segmented_radix_sort_implINS0_14default_configELb1EPKlPlSQ_SR_N2at6native12_GLOBAL__N_18offset_tEEE10hipError_tPvRmT1_PNSt15iterator_traitsISZ_E10value_typeET2_T3_PNS10_IS15_E10value_typeET4_jRbjT5_S1B_jjP12ihipStream_tbEUljE_ZNSN_ISO_Lb1ESQ_SR_SQ_SR_SV_EESW_SX_SY_SZ_S13_S14_S15_S18_S19_jS1A_jS1B_S1B_jjS1D_bEUljE0_EEESW_SX_SY_S15_S19_S1B_T6_T7_T9_mT8_S1D_bDpT10_ENKUlT_T0_E_clISt17integral_constantIbLb0EES1R_EEDaS1M_S1N_EUlS1M_E_NS1_11comp_targetILNS1_3genE2ELNS1_11target_archE906ELNS1_3gpuE6ELNS1_3repE0EEENS1_30default_config_static_selectorELNS0_4arch9wavefront6targetE1EEEvSZ_
	.p2align	8
	.type	_ZN7rocprim17ROCPRIM_400000_NS6detail17trampoline_kernelINS0_13select_configILj256ELj13ELNS0_17block_load_methodE3ELS4_3ELS4_3ELNS0_20block_scan_algorithmE0ELj4294967295EEENS1_25partition_config_selectorILNS1_17partition_subalgoE4EjNS0_10empty_typeEbEEZZNS1_14partition_implILS8_4ELb0ES6_15HIP_vector_typeIjLj2EENS0_17counting_iteratorIjlEEPS9_SG_NS0_5tupleIJPjSI_NS0_16reverse_iteratorISI_EEEEENSH_IJSG_SG_SG_EEES9_SI_JZNS1_25segmented_radix_sort_implINS0_14default_configELb1EPKlPlSQ_SR_N2at6native12_GLOBAL__N_18offset_tEEE10hipError_tPvRmT1_PNSt15iterator_traitsISZ_E10value_typeET2_T3_PNS10_IS15_E10value_typeET4_jRbjT5_S1B_jjP12ihipStream_tbEUljE_ZNSN_ISO_Lb1ESQ_SR_SQ_SR_SV_EESW_SX_SY_SZ_S13_S14_S15_S18_S19_jS1A_jS1B_S1B_jjS1D_bEUljE0_EEESW_SX_SY_S15_S19_S1B_T6_T7_T9_mT8_S1D_bDpT10_ENKUlT_T0_E_clISt17integral_constantIbLb0EES1R_EEDaS1M_S1N_EUlS1M_E_NS1_11comp_targetILNS1_3genE2ELNS1_11target_archE906ELNS1_3gpuE6ELNS1_3repE0EEENS1_30default_config_static_selectorELNS0_4arch9wavefront6targetE1EEEvSZ_,@function
_ZN7rocprim17ROCPRIM_400000_NS6detail17trampoline_kernelINS0_13select_configILj256ELj13ELNS0_17block_load_methodE3ELS4_3ELS4_3ELNS0_20block_scan_algorithmE0ELj4294967295EEENS1_25partition_config_selectorILNS1_17partition_subalgoE4EjNS0_10empty_typeEbEEZZNS1_14partition_implILS8_4ELb0ES6_15HIP_vector_typeIjLj2EENS0_17counting_iteratorIjlEEPS9_SG_NS0_5tupleIJPjSI_NS0_16reverse_iteratorISI_EEEEENSH_IJSG_SG_SG_EEES9_SI_JZNS1_25segmented_radix_sort_implINS0_14default_configELb1EPKlPlSQ_SR_N2at6native12_GLOBAL__N_18offset_tEEE10hipError_tPvRmT1_PNSt15iterator_traitsISZ_E10value_typeET2_T3_PNS10_IS15_E10value_typeET4_jRbjT5_S1B_jjP12ihipStream_tbEUljE_ZNSN_ISO_Lb1ESQ_SR_SQ_SR_SV_EESW_SX_SY_SZ_S13_S14_S15_S18_S19_jS1A_jS1B_S1B_jjS1D_bEUljE0_EEESW_SX_SY_S15_S19_S1B_T6_T7_T9_mT8_S1D_bDpT10_ENKUlT_T0_E_clISt17integral_constantIbLb0EES1R_EEDaS1M_S1N_EUlS1M_E_NS1_11comp_targetILNS1_3genE2ELNS1_11target_archE906ELNS1_3gpuE6ELNS1_3repE0EEENS1_30default_config_static_selectorELNS0_4arch9wavefront6targetE1EEEvSZ_: ; @_ZN7rocprim17ROCPRIM_400000_NS6detail17trampoline_kernelINS0_13select_configILj256ELj13ELNS0_17block_load_methodE3ELS4_3ELS4_3ELNS0_20block_scan_algorithmE0ELj4294967295EEENS1_25partition_config_selectorILNS1_17partition_subalgoE4EjNS0_10empty_typeEbEEZZNS1_14partition_implILS8_4ELb0ES6_15HIP_vector_typeIjLj2EENS0_17counting_iteratorIjlEEPS9_SG_NS0_5tupleIJPjSI_NS0_16reverse_iteratorISI_EEEEENSH_IJSG_SG_SG_EEES9_SI_JZNS1_25segmented_radix_sort_implINS0_14default_configELb1EPKlPlSQ_SR_N2at6native12_GLOBAL__N_18offset_tEEE10hipError_tPvRmT1_PNSt15iterator_traitsISZ_E10value_typeET2_T3_PNS10_IS15_E10value_typeET4_jRbjT5_S1B_jjP12ihipStream_tbEUljE_ZNSN_ISO_Lb1ESQ_SR_SQ_SR_SV_EESW_SX_SY_SZ_S13_S14_S15_S18_S19_jS1A_jS1B_S1B_jjS1D_bEUljE0_EEESW_SX_SY_S15_S19_S1B_T6_T7_T9_mT8_S1D_bDpT10_ENKUlT_T0_E_clISt17integral_constantIbLb0EES1R_EEDaS1M_S1N_EUlS1M_E_NS1_11comp_targetILNS1_3genE2ELNS1_11target_archE906ELNS1_3gpuE6ELNS1_3repE0EEENS1_30default_config_static_selectorELNS0_4arch9wavefront6targetE1EEEvSZ_
; %bb.0:
	.section	.rodata,"a",@progbits
	.p2align	6, 0x0
	.amdhsa_kernel _ZN7rocprim17ROCPRIM_400000_NS6detail17trampoline_kernelINS0_13select_configILj256ELj13ELNS0_17block_load_methodE3ELS4_3ELS4_3ELNS0_20block_scan_algorithmE0ELj4294967295EEENS1_25partition_config_selectorILNS1_17partition_subalgoE4EjNS0_10empty_typeEbEEZZNS1_14partition_implILS8_4ELb0ES6_15HIP_vector_typeIjLj2EENS0_17counting_iteratorIjlEEPS9_SG_NS0_5tupleIJPjSI_NS0_16reverse_iteratorISI_EEEEENSH_IJSG_SG_SG_EEES9_SI_JZNS1_25segmented_radix_sort_implINS0_14default_configELb1EPKlPlSQ_SR_N2at6native12_GLOBAL__N_18offset_tEEE10hipError_tPvRmT1_PNSt15iterator_traitsISZ_E10value_typeET2_T3_PNS10_IS15_E10value_typeET4_jRbjT5_S1B_jjP12ihipStream_tbEUljE_ZNSN_ISO_Lb1ESQ_SR_SQ_SR_SV_EESW_SX_SY_SZ_S13_S14_S15_S18_S19_jS1A_jS1B_S1B_jjS1D_bEUljE0_EEESW_SX_SY_S15_S19_S1B_T6_T7_T9_mT8_S1D_bDpT10_ENKUlT_T0_E_clISt17integral_constantIbLb0EES1R_EEDaS1M_S1N_EUlS1M_E_NS1_11comp_targetILNS1_3genE2ELNS1_11target_archE906ELNS1_3gpuE6ELNS1_3repE0EEENS1_30default_config_static_selectorELNS0_4arch9wavefront6targetE1EEEvSZ_
		.amdhsa_group_segment_fixed_size 0
		.amdhsa_private_segment_fixed_size 0
		.amdhsa_kernarg_size 176
		.amdhsa_user_sgpr_count 6
		.amdhsa_user_sgpr_private_segment_buffer 1
		.amdhsa_user_sgpr_dispatch_ptr 0
		.amdhsa_user_sgpr_queue_ptr 0
		.amdhsa_user_sgpr_kernarg_segment_ptr 1
		.amdhsa_user_sgpr_dispatch_id 0
		.amdhsa_user_sgpr_flat_scratch_init 0
		.amdhsa_user_sgpr_kernarg_preload_length 0
		.amdhsa_user_sgpr_kernarg_preload_offset 0
		.amdhsa_user_sgpr_private_segment_size 0
		.amdhsa_uses_dynamic_stack 0
		.amdhsa_system_sgpr_private_segment_wavefront_offset 0
		.amdhsa_system_sgpr_workgroup_id_x 1
		.amdhsa_system_sgpr_workgroup_id_y 0
		.amdhsa_system_sgpr_workgroup_id_z 0
		.amdhsa_system_sgpr_workgroup_info 0
		.amdhsa_system_vgpr_workitem_id 0
		.amdhsa_next_free_vgpr 1
		.amdhsa_next_free_sgpr 0
		.amdhsa_accum_offset 4
		.amdhsa_reserve_vcc 0
		.amdhsa_reserve_flat_scratch 0
		.amdhsa_float_round_mode_32 0
		.amdhsa_float_round_mode_16_64 0
		.amdhsa_float_denorm_mode_32 3
		.amdhsa_float_denorm_mode_16_64 3
		.amdhsa_dx10_clamp 1
		.amdhsa_ieee_mode 1
		.amdhsa_fp16_overflow 0
		.amdhsa_tg_split 0
		.amdhsa_exception_fp_ieee_invalid_op 0
		.amdhsa_exception_fp_denorm_src 0
		.amdhsa_exception_fp_ieee_div_zero 0
		.amdhsa_exception_fp_ieee_overflow 0
		.amdhsa_exception_fp_ieee_underflow 0
		.amdhsa_exception_fp_ieee_inexact 0
		.amdhsa_exception_int_div_zero 0
	.end_amdhsa_kernel
	.section	.text._ZN7rocprim17ROCPRIM_400000_NS6detail17trampoline_kernelINS0_13select_configILj256ELj13ELNS0_17block_load_methodE3ELS4_3ELS4_3ELNS0_20block_scan_algorithmE0ELj4294967295EEENS1_25partition_config_selectorILNS1_17partition_subalgoE4EjNS0_10empty_typeEbEEZZNS1_14partition_implILS8_4ELb0ES6_15HIP_vector_typeIjLj2EENS0_17counting_iteratorIjlEEPS9_SG_NS0_5tupleIJPjSI_NS0_16reverse_iteratorISI_EEEEENSH_IJSG_SG_SG_EEES9_SI_JZNS1_25segmented_radix_sort_implINS0_14default_configELb1EPKlPlSQ_SR_N2at6native12_GLOBAL__N_18offset_tEEE10hipError_tPvRmT1_PNSt15iterator_traitsISZ_E10value_typeET2_T3_PNS10_IS15_E10value_typeET4_jRbjT5_S1B_jjP12ihipStream_tbEUljE_ZNSN_ISO_Lb1ESQ_SR_SQ_SR_SV_EESW_SX_SY_SZ_S13_S14_S15_S18_S19_jS1A_jS1B_S1B_jjS1D_bEUljE0_EEESW_SX_SY_S15_S19_S1B_T6_T7_T9_mT8_S1D_bDpT10_ENKUlT_T0_E_clISt17integral_constantIbLb0EES1R_EEDaS1M_S1N_EUlS1M_E_NS1_11comp_targetILNS1_3genE2ELNS1_11target_archE906ELNS1_3gpuE6ELNS1_3repE0EEENS1_30default_config_static_selectorELNS0_4arch9wavefront6targetE1EEEvSZ_,"axG",@progbits,_ZN7rocprim17ROCPRIM_400000_NS6detail17trampoline_kernelINS0_13select_configILj256ELj13ELNS0_17block_load_methodE3ELS4_3ELS4_3ELNS0_20block_scan_algorithmE0ELj4294967295EEENS1_25partition_config_selectorILNS1_17partition_subalgoE4EjNS0_10empty_typeEbEEZZNS1_14partition_implILS8_4ELb0ES6_15HIP_vector_typeIjLj2EENS0_17counting_iteratorIjlEEPS9_SG_NS0_5tupleIJPjSI_NS0_16reverse_iteratorISI_EEEEENSH_IJSG_SG_SG_EEES9_SI_JZNS1_25segmented_radix_sort_implINS0_14default_configELb1EPKlPlSQ_SR_N2at6native12_GLOBAL__N_18offset_tEEE10hipError_tPvRmT1_PNSt15iterator_traitsISZ_E10value_typeET2_T3_PNS10_IS15_E10value_typeET4_jRbjT5_S1B_jjP12ihipStream_tbEUljE_ZNSN_ISO_Lb1ESQ_SR_SQ_SR_SV_EESW_SX_SY_SZ_S13_S14_S15_S18_S19_jS1A_jS1B_S1B_jjS1D_bEUljE0_EEESW_SX_SY_S15_S19_S1B_T6_T7_T9_mT8_S1D_bDpT10_ENKUlT_T0_E_clISt17integral_constantIbLb0EES1R_EEDaS1M_S1N_EUlS1M_E_NS1_11comp_targetILNS1_3genE2ELNS1_11target_archE906ELNS1_3gpuE6ELNS1_3repE0EEENS1_30default_config_static_selectorELNS0_4arch9wavefront6targetE1EEEvSZ_,comdat
.Lfunc_end644:
	.size	_ZN7rocprim17ROCPRIM_400000_NS6detail17trampoline_kernelINS0_13select_configILj256ELj13ELNS0_17block_load_methodE3ELS4_3ELS4_3ELNS0_20block_scan_algorithmE0ELj4294967295EEENS1_25partition_config_selectorILNS1_17partition_subalgoE4EjNS0_10empty_typeEbEEZZNS1_14partition_implILS8_4ELb0ES6_15HIP_vector_typeIjLj2EENS0_17counting_iteratorIjlEEPS9_SG_NS0_5tupleIJPjSI_NS0_16reverse_iteratorISI_EEEEENSH_IJSG_SG_SG_EEES9_SI_JZNS1_25segmented_radix_sort_implINS0_14default_configELb1EPKlPlSQ_SR_N2at6native12_GLOBAL__N_18offset_tEEE10hipError_tPvRmT1_PNSt15iterator_traitsISZ_E10value_typeET2_T3_PNS10_IS15_E10value_typeET4_jRbjT5_S1B_jjP12ihipStream_tbEUljE_ZNSN_ISO_Lb1ESQ_SR_SQ_SR_SV_EESW_SX_SY_SZ_S13_S14_S15_S18_S19_jS1A_jS1B_S1B_jjS1D_bEUljE0_EEESW_SX_SY_S15_S19_S1B_T6_T7_T9_mT8_S1D_bDpT10_ENKUlT_T0_E_clISt17integral_constantIbLb0EES1R_EEDaS1M_S1N_EUlS1M_E_NS1_11comp_targetILNS1_3genE2ELNS1_11target_archE906ELNS1_3gpuE6ELNS1_3repE0EEENS1_30default_config_static_selectorELNS0_4arch9wavefront6targetE1EEEvSZ_, .Lfunc_end644-_ZN7rocprim17ROCPRIM_400000_NS6detail17trampoline_kernelINS0_13select_configILj256ELj13ELNS0_17block_load_methodE3ELS4_3ELS4_3ELNS0_20block_scan_algorithmE0ELj4294967295EEENS1_25partition_config_selectorILNS1_17partition_subalgoE4EjNS0_10empty_typeEbEEZZNS1_14partition_implILS8_4ELb0ES6_15HIP_vector_typeIjLj2EENS0_17counting_iteratorIjlEEPS9_SG_NS0_5tupleIJPjSI_NS0_16reverse_iteratorISI_EEEEENSH_IJSG_SG_SG_EEES9_SI_JZNS1_25segmented_radix_sort_implINS0_14default_configELb1EPKlPlSQ_SR_N2at6native12_GLOBAL__N_18offset_tEEE10hipError_tPvRmT1_PNSt15iterator_traitsISZ_E10value_typeET2_T3_PNS10_IS15_E10value_typeET4_jRbjT5_S1B_jjP12ihipStream_tbEUljE_ZNSN_ISO_Lb1ESQ_SR_SQ_SR_SV_EESW_SX_SY_SZ_S13_S14_S15_S18_S19_jS1A_jS1B_S1B_jjS1D_bEUljE0_EEESW_SX_SY_S15_S19_S1B_T6_T7_T9_mT8_S1D_bDpT10_ENKUlT_T0_E_clISt17integral_constantIbLb0EES1R_EEDaS1M_S1N_EUlS1M_E_NS1_11comp_targetILNS1_3genE2ELNS1_11target_archE906ELNS1_3gpuE6ELNS1_3repE0EEENS1_30default_config_static_selectorELNS0_4arch9wavefront6targetE1EEEvSZ_
                                        ; -- End function
	.section	.AMDGPU.csdata,"",@progbits
; Kernel info:
; codeLenInByte = 0
; NumSgprs: 4
; NumVgprs: 0
; NumAgprs: 0
; TotalNumVgprs: 0
; ScratchSize: 0
; MemoryBound: 0
; FloatMode: 240
; IeeeMode: 1
; LDSByteSize: 0 bytes/workgroup (compile time only)
; SGPRBlocks: 0
; VGPRBlocks: 0
; NumSGPRsForWavesPerEU: 4
; NumVGPRsForWavesPerEU: 1
; AccumOffset: 4
; Occupancy: 8
; WaveLimiterHint : 0
; COMPUTE_PGM_RSRC2:SCRATCH_EN: 0
; COMPUTE_PGM_RSRC2:USER_SGPR: 6
; COMPUTE_PGM_RSRC2:TRAP_HANDLER: 0
; COMPUTE_PGM_RSRC2:TGID_X_EN: 1
; COMPUTE_PGM_RSRC2:TGID_Y_EN: 0
; COMPUTE_PGM_RSRC2:TGID_Z_EN: 0
; COMPUTE_PGM_RSRC2:TIDIG_COMP_CNT: 0
; COMPUTE_PGM_RSRC3_GFX90A:ACCUM_OFFSET: 0
; COMPUTE_PGM_RSRC3_GFX90A:TG_SPLIT: 0
	.section	.text._ZN7rocprim17ROCPRIM_400000_NS6detail17trampoline_kernelINS0_13select_configILj256ELj13ELNS0_17block_load_methodE3ELS4_3ELS4_3ELNS0_20block_scan_algorithmE0ELj4294967295EEENS1_25partition_config_selectorILNS1_17partition_subalgoE4EjNS0_10empty_typeEbEEZZNS1_14partition_implILS8_4ELb0ES6_15HIP_vector_typeIjLj2EENS0_17counting_iteratorIjlEEPS9_SG_NS0_5tupleIJPjSI_NS0_16reverse_iteratorISI_EEEEENSH_IJSG_SG_SG_EEES9_SI_JZNS1_25segmented_radix_sort_implINS0_14default_configELb1EPKlPlSQ_SR_N2at6native12_GLOBAL__N_18offset_tEEE10hipError_tPvRmT1_PNSt15iterator_traitsISZ_E10value_typeET2_T3_PNS10_IS15_E10value_typeET4_jRbjT5_S1B_jjP12ihipStream_tbEUljE_ZNSN_ISO_Lb1ESQ_SR_SQ_SR_SV_EESW_SX_SY_SZ_S13_S14_S15_S18_S19_jS1A_jS1B_S1B_jjS1D_bEUljE0_EEESW_SX_SY_S15_S19_S1B_T6_T7_T9_mT8_S1D_bDpT10_ENKUlT_T0_E_clISt17integral_constantIbLb0EES1R_EEDaS1M_S1N_EUlS1M_E_NS1_11comp_targetILNS1_3genE10ELNS1_11target_archE1200ELNS1_3gpuE4ELNS1_3repE0EEENS1_30default_config_static_selectorELNS0_4arch9wavefront6targetE1EEEvSZ_,"axG",@progbits,_ZN7rocprim17ROCPRIM_400000_NS6detail17trampoline_kernelINS0_13select_configILj256ELj13ELNS0_17block_load_methodE3ELS4_3ELS4_3ELNS0_20block_scan_algorithmE0ELj4294967295EEENS1_25partition_config_selectorILNS1_17partition_subalgoE4EjNS0_10empty_typeEbEEZZNS1_14partition_implILS8_4ELb0ES6_15HIP_vector_typeIjLj2EENS0_17counting_iteratorIjlEEPS9_SG_NS0_5tupleIJPjSI_NS0_16reverse_iteratorISI_EEEEENSH_IJSG_SG_SG_EEES9_SI_JZNS1_25segmented_radix_sort_implINS0_14default_configELb1EPKlPlSQ_SR_N2at6native12_GLOBAL__N_18offset_tEEE10hipError_tPvRmT1_PNSt15iterator_traitsISZ_E10value_typeET2_T3_PNS10_IS15_E10value_typeET4_jRbjT5_S1B_jjP12ihipStream_tbEUljE_ZNSN_ISO_Lb1ESQ_SR_SQ_SR_SV_EESW_SX_SY_SZ_S13_S14_S15_S18_S19_jS1A_jS1B_S1B_jjS1D_bEUljE0_EEESW_SX_SY_S15_S19_S1B_T6_T7_T9_mT8_S1D_bDpT10_ENKUlT_T0_E_clISt17integral_constantIbLb0EES1R_EEDaS1M_S1N_EUlS1M_E_NS1_11comp_targetILNS1_3genE10ELNS1_11target_archE1200ELNS1_3gpuE4ELNS1_3repE0EEENS1_30default_config_static_selectorELNS0_4arch9wavefront6targetE1EEEvSZ_,comdat
	.globl	_ZN7rocprim17ROCPRIM_400000_NS6detail17trampoline_kernelINS0_13select_configILj256ELj13ELNS0_17block_load_methodE3ELS4_3ELS4_3ELNS0_20block_scan_algorithmE0ELj4294967295EEENS1_25partition_config_selectorILNS1_17partition_subalgoE4EjNS0_10empty_typeEbEEZZNS1_14partition_implILS8_4ELb0ES6_15HIP_vector_typeIjLj2EENS0_17counting_iteratorIjlEEPS9_SG_NS0_5tupleIJPjSI_NS0_16reverse_iteratorISI_EEEEENSH_IJSG_SG_SG_EEES9_SI_JZNS1_25segmented_radix_sort_implINS0_14default_configELb1EPKlPlSQ_SR_N2at6native12_GLOBAL__N_18offset_tEEE10hipError_tPvRmT1_PNSt15iterator_traitsISZ_E10value_typeET2_T3_PNS10_IS15_E10value_typeET4_jRbjT5_S1B_jjP12ihipStream_tbEUljE_ZNSN_ISO_Lb1ESQ_SR_SQ_SR_SV_EESW_SX_SY_SZ_S13_S14_S15_S18_S19_jS1A_jS1B_S1B_jjS1D_bEUljE0_EEESW_SX_SY_S15_S19_S1B_T6_T7_T9_mT8_S1D_bDpT10_ENKUlT_T0_E_clISt17integral_constantIbLb0EES1R_EEDaS1M_S1N_EUlS1M_E_NS1_11comp_targetILNS1_3genE10ELNS1_11target_archE1200ELNS1_3gpuE4ELNS1_3repE0EEENS1_30default_config_static_selectorELNS0_4arch9wavefront6targetE1EEEvSZ_ ; -- Begin function _ZN7rocprim17ROCPRIM_400000_NS6detail17trampoline_kernelINS0_13select_configILj256ELj13ELNS0_17block_load_methodE3ELS4_3ELS4_3ELNS0_20block_scan_algorithmE0ELj4294967295EEENS1_25partition_config_selectorILNS1_17partition_subalgoE4EjNS0_10empty_typeEbEEZZNS1_14partition_implILS8_4ELb0ES6_15HIP_vector_typeIjLj2EENS0_17counting_iteratorIjlEEPS9_SG_NS0_5tupleIJPjSI_NS0_16reverse_iteratorISI_EEEEENSH_IJSG_SG_SG_EEES9_SI_JZNS1_25segmented_radix_sort_implINS0_14default_configELb1EPKlPlSQ_SR_N2at6native12_GLOBAL__N_18offset_tEEE10hipError_tPvRmT1_PNSt15iterator_traitsISZ_E10value_typeET2_T3_PNS10_IS15_E10value_typeET4_jRbjT5_S1B_jjP12ihipStream_tbEUljE_ZNSN_ISO_Lb1ESQ_SR_SQ_SR_SV_EESW_SX_SY_SZ_S13_S14_S15_S18_S19_jS1A_jS1B_S1B_jjS1D_bEUljE0_EEESW_SX_SY_S15_S19_S1B_T6_T7_T9_mT8_S1D_bDpT10_ENKUlT_T0_E_clISt17integral_constantIbLb0EES1R_EEDaS1M_S1N_EUlS1M_E_NS1_11comp_targetILNS1_3genE10ELNS1_11target_archE1200ELNS1_3gpuE4ELNS1_3repE0EEENS1_30default_config_static_selectorELNS0_4arch9wavefront6targetE1EEEvSZ_
	.p2align	8
	.type	_ZN7rocprim17ROCPRIM_400000_NS6detail17trampoline_kernelINS0_13select_configILj256ELj13ELNS0_17block_load_methodE3ELS4_3ELS4_3ELNS0_20block_scan_algorithmE0ELj4294967295EEENS1_25partition_config_selectorILNS1_17partition_subalgoE4EjNS0_10empty_typeEbEEZZNS1_14partition_implILS8_4ELb0ES6_15HIP_vector_typeIjLj2EENS0_17counting_iteratorIjlEEPS9_SG_NS0_5tupleIJPjSI_NS0_16reverse_iteratorISI_EEEEENSH_IJSG_SG_SG_EEES9_SI_JZNS1_25segmented_radix_sort_implINS0_14default_configELb1EPKlPlSQ_SR_N2at6native12_GLOBAL__N_18offset_tEEE10hipError_tPvRmT1_PNSt15iterator_traitsISZ_E10value_typeET2_T3_PNS10_IS15_E10value_typeET4_jRbjT5_S1B_jjP12ihipStream_tbEUljE_ZNSN_ISO_Lb1ESQ_SR_SQ_SR_SV_EESW_SX_SY_SZ_S13_S14_S15_S18_S19_jS1A_jS1B_S1B_jjS1D_bEUljE0_EEESW_SX_SY_S15_S19_S1B_T6_T7_T9_mT8_S1D_bDpT10_ENKUlT_T0_E_clISt17integral_constantIbLb0EES1R_EEDaS1M_S1N_EUlS1M_E_NS1_11comp_targetILNS1_3genE10ELNS1_11target_archE1200ELNS1_3gpuE4ELNS1_3repE0EEENS1_30default_config_static_selectorELNS0_4arch9wavefront6targetE1EEEvSZ_,@function
_ZN7rocprim17ROCPRIM_400000_NS6detail17trampoline_kernelINS0_13select_configILj256ELj13ELNS0_17block_load_methodE3ELS4_3ELS4_3ELNS0_20block_scan_algorithmE0ELj4294967295EEENS1_25partition_config_selectorILNS1_17partition_subalgoE4EjNS0_10empty_typeEbEEZZNS1_14partition_implILS8_4ELb0ES6_15HIP_vector_typeIjLj2EENS0_17counting_iteratorIjlEEPS9_SG_NS0_5tupleIJPjSI_NS0_16reverse_iteratorISI_EEEEENSH_IJSG_SG_SG_EEES9_SI_JZNS1_25segmented_radix_sort_implINS0_14default_configELb1EPKlPlSQ_SR_N2at6native12_GLOBAL__N_18offset_tEEE10hipError_tPvRmT1_PNSt15iterator_traitsISZ_E10value_typeET2_T3_PNS10_IS15_E10value_typeET4_jRbjT5_S1B_jjP12ihipStream_tbEUljE_ZNSN_ISO_Lb1ESQ_SR_SQ_SR_SV_EESW_SX_SY_SZ_S13_S14_S15_S18_S19_jS1A_jS1B_S1B_jjS1D_bEUljE0_EEESW_SX_SY_S15_S19_S1B_T6_T7_T9_mT8_S1D_bDpT10_ENKUlT_T0_E_clISt17integral_constantIbLb0EES1R_EEDaS1M_S1N_EUlS1M_E_NS1_11comp_targetILNS1_3genE10ELNS1_11target_archE1200ELNS1_3gpuE4ELNS1_3repE0EEENS1_30default_config_static_selectorELNS0_4arch9wavefront6targetE1EEEvSZ_: ; @_ZN7rocprim17ROCPRIM_400000_NS6detail17trampoline_kernelINS0_13select_configILj256ELj13ELNS0_17block_load_methodE3ELS4_3ELS4_3ELNS0_20block_scan_algorithmE0ELj4294967295EEENS1_25partition_config_selectorILNS1_17partition_subalgoE4EjNS0_10empty_typeEbEEZZNS1_14partition_implILS8_4ELb0ES6_15HIP_vector_typeIjLj2EENS0_17counting_iteratorIjlEEPS9_SG_NS0_5tupleIJPjSI_NS0_16reverse_iteratorISI_EEEEENSH_IJSG_SG_SG_EEES9_SI_JZNS1_25segmented_radix_sort_implINS0_14default_configELb1EPKlPlSQ_SR_N2at6native12_GLOBAL__N_18offset_tEEE10hipError_tPvRmT1_PNSt15iterator_traitsISZ_E10value_typeET2_T3_PNS10_IS15_E10value_typeET4_jRbjT5_S1B_jjP12ihipStream_tbEUljE_ZNSN_ISO_Lb1ESQ_SR_SQ_SR_SV_EESW_SX_SY_SZ_S13_S14_S15_S18_S19_jS1A_jS1B_S1B_jjS1D_bEUljE0_EEESW_SX_SY_S15_S19_S1B_T6_T7_T9_mT8_S1D_bDpT10_ENKUlT_T0_E_clISt17integral_constantIbLb0EES1R_EEDaS1M_S1N_EUlS1M_E_NS1_11comp_targetILNS1_3genE10ELNS1_11target_archE1200ELNS1_3gpuE4ELNS1_3repE0EEENS1_30default_config_static_selectorELNS0_4arch9wavefront6targetE1EEEvSZ_
; %bb.0:
	.section	.rodata,"a",@progbits
	.p2align	6, 0x0
	.amdhsa_kernel _ZN7rocprim17ROCPRIM_400000_NS6detail17trampoline_kernelINS0_13select_configILj256ELj13ELNS0_17block_load_methodE3ELS4_3ELS4_3ELNS0_20block_scan_algorithmE0ELj4294967295EEENS1_25partition_config_selectorILNS1_17partition_subalgoE4EjNS0_10empty_typeEbEEZZNS1_14partition_implILS8_4ELb0ES6_15HIP_vector_typeIjLj2EENS0_17counting_iteratorIjlEEPS9_SG_NS0_5tupleIJPjSI_NS0_16reverse_iteratorISI_EEEEENSH_IJSG_SG_SG_EEES9_SI_JZNS1_25segmented_radix_sort_implINS0_14default_configELb1EPKlPlSQ_SR_N2at6native12_GLOBAL__N_18offset_tEEE10hipError_tPvRmT1_PNSt15iterator_traitsISZ_E10value_typeET2_T3_PNS10_IS15_E10value_typeET4_jRbjT5_S1B_jjP12ihipStream_tbEUljE_ZNSN_ISO_Lb1ESQ_SR_SQ_SR_SV_EESW_SX_SY_SZ_S13_S14_S15_S18_S19_jS1A_jS1B_S1B_jjS1D_bEUljE0_EEESW_SX_SY_S15_S19_S1B_T6_T7_T9_mT8_S1D_bDpT10_ENKUlT_T0_E_clISt17integral_constantIbLb0EES1R_EEDaS1M_S1N_EUlS1M_E_NS1_11comp_targetILNS1_3genE10ELNS1_11target_archE1200ELNS1_3gpuE4ELNS1_3repE0EEENS1_30default_config_static_selectorELNS0_4arch9wavefront6targetE1EEEvSZ_
		.amdhsa_group_segment_fixed_size 0
		.amdhsa_private_segment_fixed_size 0
		.amdhsa_kernarg_size 176
		.amdhsa_user_sgpr_count 6
		.amdhsa_user_sgpr_private_segment_buffer 1
		.amdhsa_user_sgpr_dispatch_ptr 0
		.amdhsa_user_sgpr_queue_ptr 0
		.amdhsa_user_sgpr_kernarg_segment_ptr 1
		.amdhsa_user_sgpr_dispatch_id 0
		.amdhsa_user_sgpr_flat_scratch_init 0
		.amdhsa_user_sgpr_kernarg_preload_length 0
		.amdhsa_user_sgpr_kernarg_preload_offset 0
		.amdhsa_user_sgpr_private_segment_size 0
		.amdhsa_uses_dynamic_stack 0
		.amdhsa_system_sgpr_private_segment_wavefront_offset 0
		.amdhsa_system_sgpr_workgroup_id_x 1
		.amdhsa_system_sgpr_workgroup_id_y 0
		.amdhsa_system_sgpr_workgroup_id_z 0
		.amdhsa_system_sgpr_workgroup_info 0
		.amdhsa_system_vgpr_workitem_id 0
		.amdhsa_next_free_vgpr 1
		.amdhsa_next_free_sgpr 0
		.amdhsa_accum_offset 4
		.amdhsa_reserve_vcc 0
		.amdhsa_reserve_flat_scratch 0
		.amdhsa_float_round_mode_32 0
		.amdhsa_float_round_mode_16_64 0
		.amdhsa_float_denorm_mode_32 3
		.amdhsa_float_denorm_mode_16_64 3
		.amdhsa_dx10_clamp 1
		.amdhsa_ieee_mode 1
		.amdhsa_fp16_overflow 0
		.amdhsa_tg_split 0
		.amdhsa_exception_fp_ieee_invalid_op 0
		.amdhsa_exception_fp_denorm_src 0
		.amdhsa_exception_fp_ieee_div_zero 0
		.amdhsa_exception_fp_ieee_overflow 0
		.amdhsa_exception_fp_ieee_underflow 0
		.amdhsa_exception_fp_ieee_inexact 0
		.amdhsa_exception_int_div_zero 0
	.end_amdhsa_kernel
	.section	.text._ZN7rocprim17ROCPRIM_400000_NS6detail17trampoline_kernelINS0_13select_configILj256ELj13ELNS0_17block_load_methodE3ELS4_3ELS4_3ELNS0_20block_scan_algorithmE0ELj4294967295EEENS1_25partition_config_selectorILNS1_17partition_subalgoE4EjNS0_10empty_typeEbEEZZNS1_14partition_implILS8_4ELb0ES6_15HIP_vector_typeIjLj2EENS0_17counting_iteratorIjlEEPS9_SG_NS0_5tupleIJPjSI_NS0_16reverse_iteratorISI_EEEEENSH_IJSG_SG_SG_EEES9_SI_JZNS1_25segmented_radix_sort_implINS0_14default_configELb1EPKlPlSQ_SR_N2at6native12_GLOBAL__N_18offset_tEEE10hipError_tPvRmT1_PNSt15iterator_traitsISZ_E10value_typeET2_T3_PNS10_IS15_E10value_typeET4_jRbjT5_S1B_jjP12ihipStream_tbEUljE_ZNSN_ISO_Lb1ESQ_SR_SQ_SR_SV_EESW_SX_SY_SZ_S13_S14_S15_S18_S19_jS1A_jS1B_S1B_jjS1D_bEUljE0_EEESW_SX_SY_S15_S19_S1B_T6_T7_T9_mT8_S1D_bDpT10_ENKUlT_T0_E_clISt17integral_constantIbLb0EES1R_EEDaS1M_S1N_EUlS1M_E_NS1_11comp_targetILNS1_3genE10ELNS1_11target_archE1200ELNS1_3gpuE4ELNS1_3repE0EEENS1_30default_config_static_selectorELNS0_4arch9wavefront6targetE1EEEvSZ_,"axG",@progbits,_ZN7rocprim17ROCPRIM_400000_NS6detail17trampoline_kernelINS0_13select_configILj256ELj13ELNS0_17block_load_methodE3ELS4_3ELS4_3ELNS0_20block_scan_algorithmE0ELj4294967295EEENS1_25partition_config_selectorILNS1_17partition_subalgoE4EjNS0_10empty_typeEbEEZZNS1_14partition_implILS8_4ELb0ES6_15HIP_vector_typeIjLj2EENS0_17counting_iteratorIjlEEPS9_SG_NS0_5tupleIJPjSI_NS0_16reverse_iteratorISI_EEEEENSH_IJSG_SG_SG_EEES9_SI_JZNS1_25segmented_radix_sort_implINS0_14default_configELb1EPKlPlSQ_SR_N2at6native12_GLOBAL__N_18offset_tEEE10hipError_tPvRmT1_PNSt15iterator_traitsISZ_E10value_typeET2_T3_PNS10_IS15_E10value_typeET4_jRbjT5_S1B_jjP12ihipStream_tbEUljE_ZNSN_ISO_Lb1ESQ_SR_SQ_SR_SV_EESW_SX_SY_SZ_S13_S14_S15_S18_S19_jS1A_jS1B_S1B_jjS1D_bEUljE0_EEESW_SX_SY_S15_S19_S1B_T6_T7_T9_mT8_S1D_bDpT10_ENKUlT_T0_E_clISt17integral_constantIbLb0EES1R_EEDaS1M_S1N_EUlS1M_E_NS1_11comp_targetILNS1_3genE10ELNS1_11target_archE1200ELNS1_3gpuE4ELNS1_3repE0EEENS1_30default_config_static_selectorELNS0_4arch9wavefront6targetE1EEEvSZ_,comdat
.Lfunc_end645:
	.size	_ZN7rocprim17ROCPRIM_400000_NS6detail17trampoline_kernelINS0_13select_configILj256ELj13ELNS0_17block_load_methodE3ELS4_3ELS4_3ELNS0_20block_scan_algorithmE0ELj4294967295EEENS1_25partition_config_selectorILNS1_17partition_subalgoE4EjNS0_10empty_typeEbEEZZNS1_14partition_implILS8_4ELb0ES6_15HIP_vector_typeIjLj2EENS0_17counting_iteratorIjlEEPS9_SG_NS0_5tupleIJPjSI_NS0_16reverse_iteratorISI_EEEEENSH_IJSG_SG_SG_EEES9_SI_JZNS1_25segmented_radix_sort_implINS0_14default_configELb1EPKlPlSQ_SR_N2at6native12_GLOBAL__N_18offset_tEEE10hipError_tPvRmT1_PNSt15iterator_traitsISZ_E10value_typeET2_T3_PNS10_IS15_E10value_typeET4_jRbjT5_S1B_jjP12ihipStream_tbEUljE_ZNSN_ISO_Lb1ESQ_SR_SQ_SR_SV_EESW_SX_SY_SZ_S13_S14_S15_S18_S19_jS1A_jS1B_S1B_jjS1D_bEUljE0_EEESW_SX_SY_S15_S19_S1B_T6_T7_T9_mT8_S1D_bDpT10_ENKUlT_T0_E_clISt17integral_constantIbLb0EES1R_EEDaS1M_S1N_EUlS1M_E_NS1_11comp_targetILNS1_3genE10ELNS1_11target_archE1200ELNS1_3gpuE4ELNS1_3repE0EEENS1_30default_config_static_selectorELNS0_4arch9wavefront6targetE1EEEvSZ_, .Lfunc_end645-_ZN7rocprim17ROCPRIM_400000_NS6detail17trampoline_kernelINS0_13select_configILj256ELj13ELNS0_17block_load_methodE3ELS4_3ELS4_3ELNS0_20block_scan_algorithmE0ELj4294967295EEENS1_25partition_config_selectorILNS1_17partition_subalgoE4EjNS0_10empty_typeEbEEZZNS1_14partition_implILS8_4ELb0ES6_15HIP_vector_typeIjLj2EENS0_17counting_iteratorIjlEEPS9_SG_NS0_5tupleIJPjSI_NS0_16reverse_iteratorISI_EEEEENSH_IJSG_SG_SG_EEES9_SI_JZNS1_25segmented_radix_sort_implINS0_14default_configELb1EPKlPlSQ_SR_N2at6native12_GLOBAL__N_18offset_tEEE10hipError_tPvRmT1_PNSt15iterator_traitsISZ_E10value_typeET2_T3_PNS10_IS15_E10value_typeET4_jRbjT5_S1B_jjP12ihipStream_tbEUljE_ZNSN_ISO_Lb1ESQ_SR_SQ_SR_SV_EESW_SX_SY_SZ_S13_S14_S15_S18_S19_jS1A_jS1B_S1B_jjS1D_bEUljE0_EEESW_SX_SY_S15_S19_S1B_T6_T7_T9_mT8_S1D_bDpT10_ENKUlT_T0_E_clISt17integral_constantIbLb0EES1R_EEDaS1M_S1N_EUlS1M_E_NS1_11comp_targetILNS1_3genE10ELNS1_11target_archE1200ELNS1_3gpuE4ELNS1_3repE0EEENS1_30default_config_static_selectorELNS0_4arch9wavefront6targetE1EEEvSZ_
                                        ; -- End function
	.section	.AMDGPU.csdata,"",@progbits
; Kernel info:
; codeLenInByte = 0
; NumSgprs: 4
; NumVgprs: 0
; NumAgprs: 0
; TotalNumVgprs: 0
; ScratchSize: 0
; MemoryBound: 0
; FloatMode: 240
; IeeeMode: 1
; LDSByteSize: 0 bytes/workgroup (compile time only)
; SGPRBlocks: 0
; VGPRBlocks: 0
; NumSGPRsForWavesPerEU: 4
; NumVGPRsForWavesPerEU: 1
; AccumOffset: 4
; Occupancy: 8
; WaveLimiterHint : 0
; COMPUTE_PGM_RSRC2:SCRATCH_EN: 0
; COMPUTE_PGM_RSRC2:USER_SGPR: 6
; COMPUTE_PGM_RSRC2:TRAP_HANDLER: 0
; COMPUTE_PGM_RSRC2:TGID_X_EN: 1
; COMPUTE_PGM_RSRC2:TGID_Y_EN: 0
; COMPUTE_PGM_RSRC2:TGID_Z_EN: 0
; COMPUTE_PGM_RSRC2:TIDIG_COMP_CNT: 0
; COMPUTE_PGM_RSRC3_GFX90A:ACCUM_OFFSET: 0
; COMPUTE_PGM_RSRC3_GFX90A:TG_SPLIT: 0
	.section	.text._ZN7rocprim17ROCPRIM_400000_NS6detail17trampoline_kernelINS0_13select_configILj256ELj13ELNS0_17block_load_methodE3ELS4_3ELS4_3ELNS0_20block_scan_algorithmE0ELj4294967295EEENS1_25partition_config_selectorILNS1_17partition_subalgoE4EjNS0_10empty_typeEbEEZZNS1_14partition_implILS8_4ELb0ES6_15HIP_vector_typeIjLj2EENS0_17counting_iteratorIjlEEPS9_SG_NS0_5tupleIJPjSI_NS0_16reverse_iteratorISI_EEEEENSH_IJSG_SG_SG_EEES9_SI_JZNS1_25segmented_radix_sort_implINS0_14default_configELb1EPKlPlSQ_SR_N2at6native12_GLOBAL__N_18offset_tEEE10hipError_tPvRmT1_PNSt15iterator_traitsISZ_E10value_typeET2_T3_PNS10_IS15_E10value_typeET4_jRbjT5_S1B_jjP12ihipStream_tbEUljE_ZNSN_ISO_Lb1ESQ_SR_SQ_SR_SV_EESW_SX_SY_SZ_S13_S14_S15_S18_S19_jS1A_jS1B_S1B_jjS1D_bEUljE0_EEESW_SX_SY_S15_S19_S1B_T6_T7_T9_mT8_S1D_bDpT10_ENKUlT_T0_E_clISt17integral_constantIbLb0EES1R_EEDaS1M_S1N_EUlS1M_E_NS1_11comp_targetILNS1_3genE9ELNS1_11target_archE1100ELNS1_3gpuE3ELNS1_3repE0EEENS1_30default_config_static_selectorELNS0_4arch9wavefront6targetE1EEEvSZ_,"axG",@progbits,_ZN7rocprim17ROCPRIM_400000_NS6detail17trampoline_kernelINS0_13select_configILj256ELj13ELNS0_17block_load_methodE3ELS4_3ELS4_3ELNS0_20block_scan_algorithmE0ELj4294967295EEENS1_25partition_config_selectorILNS1_17partition_subalgoE4EjNS0_10empty_typeEbEEZZNS1_14partition_implILS8_4ELb0ES6_15HIP_vector_typeIjLj2EENS0_17counting_iteratorIjlEEPS9_SG_NS0_5tupleIJPjSI_NS0_16reverse_iteratorISI_EEEEENSH_IJSG_SG_SG_EEES9_SI_JZNS1_25segmented_radix_sort_implINS0_14default_configELb1EPKlPlSQ_SR_N2at6native12_GLOBAL__N_18offset_tEEE10hipError_tPvRmT1_PNSt15iterator_traitsISZ_E10value_typeET2_T3_PNS10_IS15_E10value_typeET4_jRbjT5_S1B_jjP12ihipStream_tbEUljE_ZNSN_ISO_Lb1ESQ_SR_SQ_SR_SV_EESW_SX_SY_SZ_S13_S14_S15_S18_S19_jS1A_jS1B_S1B_jjS1D_bEUljE0_EEESW_SX_SY_S15_S19_S1B_T6_T7_T9_mT8_S1D_bDpT10_ENKUlT_T0_E_clISt17integral_constantIbLb0EES1R_EEDaS1M_S1N_EUlS1M_E_NS1_11comp_targetILNS1_3genE9ELNS1_11target_archE1100ELNS1_3gpuE3ELNS1_3repE0EEENS1_30default_config_static_selectorELNS0_4arch9wavefront6targetE1EEEvSZ_,comdat
	.globl	_ZN7rocprim17ROCPRIM_400000_NS6detail17trampoline_kernelINS0_13select_configILj256ELj13ELNS0_17block_load_methodE3ELS4_3ELS4_3ELNS0_20block_scan_algorithmE0ELj4294967295EEENS1_25partition_config_selectorILNS1_17partition_subalgoE4EjNS0_10empty_typeEbEEZZNS1_14partition_implILS8_4ELb0ES6_15HIP_vector_typeIjLj2EENS0_17counting_iteratorIjlEEPS9_SG_NS0_5tupleIJPjSI_NS0_16reverse_iteratorISI_EEEEENSH_IJSG_SG_SG_EEES9_SI_JZNS1_25segmented_radix_sort_implINS0_14default_configELb1EPKlPlSQ_SR_N2at6native12_GLOBAL__N_18offset_tEEE10hipError_tPvRmT1_PNSt15iterator_traitsISZ_E10value_typeET2_T3_PNS10_IS15_E10value_typeET4_jRbjT5_S1B_jjP12ihipStream_tbEUljE_ZNSN_ISO_Lb1ESQ_SR_SQ_SR_SV_EESW_SX_SY_SZ_S13_S14_S15_S18_S19_jS1A_jS1B_S1B_jjS1D_bEUljE0_EEESW_SX_SY_S15_S19_S1B_T6_T7_T9_mT8_S1D_bDpT10_ENKUlT_T0_E_clISt17integral_constantIbLb0EES1R_EEDaS1M_S1N_EUlS1M_E_NS1_11comp_targetILNS1_3genE9ELNS1_11target_archE1100ELNS1_3gpuE3ELNS1_3repE0EEENS1_30default_config_static_selectorELNS0_4arch9wavefront6targetE1EEEvSZ_ ; -- Begin function _ZN7rocprim17ROCPRIM_400000_NS6detail17trampoline_kernelINS0_13select_configILj256ELj13ELNS0_17block_load_methodE3ELS4_3ELS4_3ELNS0_20block_scan_algorithmE0ELj4294967295EEENS1_25partition_config_selectorILNS1_17partition_subalgoE4EjNS0_10empty_typeEbEEZZNS1_14partition_implILS8_4ELb0ES6_15HIP_vector_typeIjLj2EENS0_17counting_iteratorIjlEEPS9_SG_NS0_5tupleIJPjSI_NS0_16reverse_iteratorISI_EEEEENSH_IJSG_SG_SG_EEES9_SI_JZNS1_25segmented_radix_sort_implINS0_14default_configELb1EPKlPlSQ_SR_N2at6native12_GLOBAL__N_18offset_tEEE10hipError_tPvRmT1_PNSt15iterator_traitsISZ_E10value_typeET2_T3_PNS10_IS15_E10value_typeET4_jRbjT5_S1B_jjP12ihipStream_tbEUljE_ZNSN_ISO_Lb1ESQ_SR_SQ_SR_SV_EESW_SX_SY_SZ_S13_S14_S15_S18_S19_jS1A_jS1B_S1B_jjS1D_bEUljE0_EEESW_SX_SY_S15_S19_S1B_T6_T7_T9_mT8_S1D_bDpT10_ENKUlT_T0_E_clISt17integral_constantIbLb0EES1R_EEDaS1M_S1N_EUlS1M_E_NS1_11comp_targetILNS1_3genE9ELNS1_11target_archE1100ELNS1_3gpuE3ELNS1_3repE0EEENS1_30default_config_static_selectorELNS0_4arch9wavefront6targetE1EEEvSZ_
	.p2align	8
	.type	_ZN7rocprim17ROCPRIM_400000_NS6detail17trampoline_kernelINS0_13select_configILj256ELj13ELNS0_17block_load_methodE3ELS4_3ELS4_3ELNS0_20block_scan_algorithmE0ELj4294967295EEENS1_25partition_config_selectorILNS1_17partition_subalgoE4EjNS0_10empty_typeEbEEZZNS1_14partition_implILS8_4ELb0ES6_15HIP_vector_typeIjLj2EENS0_17counting_iteratorIjlEEPS9_SG_NS0_5tupleIJPjSI_NS0_16reverse_iteratorISI_EEEEENSH_IJSG_SG_SG_EEES9_SI_JZNS1_25segmented_radix_sort_implINS0_14default_configELb1EPKlPlSQ_SR_N2at6native12_GLOBAL__N_18offset_tEEE10hipError_tPvRmT1_PNSt15iterator_traitsISZ_E10value_typeET2_T3_PNS10_IS15_E10value_typeET4_jRbjT5_S1B_jjP12ihipStream_tbEUljE_ZNSN_ISO_Lb1ESQ_SR_SQ_SR_SV_EESW_SX_SY_SZ_S13_S14_S15_S18_S19_jS1A_jS1B_S1B_jjS1D_bEUljE0_EEESW_SX_SY_S15_S19_S1B_T6_T7_T9_mT8_S1D_bDpT10_ENKUlT_T0_E_clISt17integral_constantIbLb0EES1R_EEDaS1M_S1N_EUlS1M_E_NS1_11comp_targetILNS1_3genE9ELNS1_11target_archE1100ELNS1_3gpuE3ELNS1_3repE0EEENS1_30default_config_static_selectorELNS0_4arch9wavefront6targetE1EEEvSZ_,@function
_ZN7rocprim17ROCPRIM_400000_NS6detail17trampoline_kernelINS0_13select_configILj256ELj13ELNS0_17block_load_methodE3ELS4_3ELS4_3ELNS0_20block_scan_algorithmE0ELj4294967295EEENS1_25partition_config_selectorILNS1_17partition_subalgoE4EjNS0_10empty_typeEbEEZZNS1_14partition_implILS8_4ELb0ES6_15HIP_vector_typeIjLj2EENS0_17counting_iteratorIjlEEPS9_SG_NS0_5tupleIJPjSI_NS0_16reverse_iteratorISI_EEEEENSH_IJSG_SG_SG_EEES9_SI_JZNS1_25segmented_radix_sort_implINS0_14default_configELb1EPKlPlSQ_SR_N2at6native12_GLOBAL__N_18offset_tEEE10hipError_tPvRmT1_PNSt15iterator_traitsISZ_E10value_typeET2_T3_PNS10_IS15_E10value_typeET4_jRbjT5_S1B_jjP12ihipStream_tbEUljE_ZNSN_ISO_Lb1ESQ_SR_SQ_SR_SV_EESW_SX_SY_SZ_S13_S14_S15_S18_S19_jS1A_jS1B_S1B_jjS1D_bEUljE0_EEESW_SX_SY_S15_S19_S1B_T6_T7_T9_mT8_S1D_bDpT10_ENKUlT_T0_E_clISt17integral_constantIbLb0EES1R_EEDaS1M_S1N_EUlS1M_E_NS1_11comp_targetILNS1_3genE9ELNS1_11target_archE1100ELNS1_3gpuE3ELNS1_3repE0EEENS1_30default_config_static_selectorELNS0_4arch9wavefront6targetE1EEEvSZ_: ; @_ZN7rocprim17ROCPRIM_400000_NS6detail17trampoline_kernelINS0_13select_configILj256ELj13ELNS0_17block_load_methodE3ELS4_3ELS4_3ELNS0_20block_scan_algorithmE0ELj4294967295EEENS1_25partition_config_selectorILNS1_17partition_subalgoE4EjNS0_10empty_typeEbEEZZNS1_14partition_implILS8_4ELb0ES6_15HIP_vector_typeIjLj2EENS0_17counting_iteratorIjlEEPS9_SG_NS0_5tupleIJPjSI_NS0_16reverse_iteratorISI_EEEEENSH_IJSG_SG_SG_EEES9_SI_JZNS1_25segmented_radix_sort_implINS0_14default_configELb1EPKlPlSQ_SR_N2at6native12_GLOBAL__N_18offset_tEEE10hipError_tPvRmT1_PNSt15iterator_traitsISZ_E10value_typeET2_T3_PNS10_IS15_E10value_typeET4_jRbjT5_S1B_jjP12ihipStream_tbEUljE_ZNSN_ISO_Lb1ESQ_SR_SQ_SR_SV_EESW_SX_SY_SZ_S13_S14_S15_S18_S19_jS1A_jS1B_S1B_jjS1D_bEUljE0_EEESW_SX_SY_S15_S19_S1B_T6_T7_T9_mT8_S1D_bDpT10_ENKUlT_T0_E_clISt17integral_constantIbLb0EES1R_EEDaS1M_S1N_EUlS1M_E_NS1_11comp_targetILNS1_3genE9ELNS1_11target_archE1100ELNS1_3gpuE3ELNS1_3repE0EEENS1_30default_config_static_selectorELNS0_4arch9wavefront6targetE1EEEvSZ_
; %bb.0:
	.section	.rodata,"a",@progbits
	.p2align	6, 0x0
	.amdhsa_kernel _ZN7rocprim17ROCPRIM_400000_NS6detail17trampoline_kernelINS0_13select_configILj256ELj13ELNS0_17block_load_methodE3ELS4_3ELS4_3ELNS0_20block_scan_algorithmE0ELj4294967295EEENS1_25partition_config_selectorILNS1_17partition_subalgoE4EjNS0_10empty_typeEbEEZZNS1_14partition_implILS8_4ELb0ES6_15HIP_vector_typeIjLj2EENS0_17counting_iteratorIjlEEPS9_SG_NS0_5tupleIJPjSI_NS0_16reverse_iteratorISI_EEEEENSH_IJSG_SG_SG_EEES9_SI_JZNS1_25segmented_radix_sort_implINS0_14default_configELb1EPKlPlSQ_SR_N2at6native12_GLOBAL__N_18offset_tEEE10hipError_tPvRmT1_PNSt15iterator_traitsISZ_E10value_typeET2_T3_PNS10_IS15_E10value_typeET4_jRbjT5_S1B_jjP12ihipStream_tbEUljE_ZNSN_ISO_Lb1ESQ_SR_SQ_SR_SV_EESW_SX_SY_SZ_S13_S14_S15_S18_S19_jS1A_jS1B_S1B_jjS1D_bEUljE0_EEESW_SX_SY_S15_S19_S1B_T6_T7_T9_mT8_S1D_bDpT10_ENKUlT_T0_E_clISt17integral_constantIbLb0EES1R_EEDaS1M_S1N_EUlS1M_E_NS1_11comp_targetILNS1_3genE9ELNS1_11target_archE1100ELNS1_3gpuE3ELNS1_3repE0EEENS1_30default_config_static_selectorELNS0_4arch9wavefront6targetE1EEEvSZ_
		.amdhsa_group_segment_fixed_size 0
		.amdhsa_private_segment_fixed_size 0
		.amdhsa_kernarg_size 176
		.amdhsa_user_sgpr_count 6
		.amdhsa_user_sgpr_private_segment_buffer 1
		.amdhsa_user_sgpr_dispatch_ptr 0
		.amdhsa_user_sgpr_queue_ptr 0
		.amdhsa_user_sgpr_kernarg_segment_ptr 1
		.amdhsa_user_sgpr_dispatch_id 0
		.amdhsa_user_sgpr_flat_scratch_init 0
		.amdhsa_user_sgpr_kernarg_preload_length 0
		.amdhsa_user_sgpr_kernarg_preload_offset 0
		.amdhsa_user_sgpr_private_segment_size 0
		.amdhsa_uses_dynamic_stack 0
		.amdhsa_system_sgpr_private_segment_wavefront_offset 0
		.amdhsa_system_sgpr_workgroup_id_x 1
		.amdhsa_system_sgpr_workgroup_id_y 0
		.amdhsa_system_sgpr_workgroup_id_z 0
		.amdhsa_system_sgpr_workgroup_info 0
		.amdhsa_system_vgpr_workitem_id 0
		.amdhsa_next_free_vgpr 1
		.amdhsa_next_free_sgpr 0
		.amdhsa_accum_offset 4
		.amdhsa_reserve_vcc 0
		.amdhsa_reserve_flat_scratch 0
		.amdhsa_float_round_mode_32 0
		.amdhsa_float_round_mode_16_64 0
		.amdhsa_float_denorm_mode_32 3
		.amdhsa_float_denorm_mode_16_64 3
		.amdhsa_dx10_clamp 1
		.amdhsa_ieee_mode 1
		.amdhsa_fp16_overflow 0
		.amdhsa_tg_split 0
		.amdhsa_exception_fp_ieee_invalid_op 0
		.amdhsa_exception_fp_denorm_src 0
		.amdhsa_exception_fp_ieee_div_zero 0
		.amdhsa_exception_fp_ieee_overflow 0
		.amdhsa_exception_fp_ieee_underflow 0
		.amdhsa_exception_fp_ieee_inexact 0
		.amdhsa_exception_int_div_zero 0
	.end_amdhsa_kernel
	.section	.text._ZN7rocprim17ROCPRIM_400000_NS6detail17trampoline_kernelINS0_13select_configILj256ELj13ELNS0_17block_load_methodE3ELS4_3ELS4_3ELNS0_20block_scan_algorithmE0ELj4294967295EEENS1_25partition_config_selectorILNS1_17partition_subalgoE4EjNS0_10empty_typeEbEEZZNS1_14partition_implILS8_4ELb0ES6_15HIP_vector_typeIjLj2EENS0_17counting_iteratorIjlEEPS9_SG_NS0_5tupleIJPjSI_NS0_16reverse_iteratorISI_EEEEENSH_IJSG_SG_SG_EEES9_SI_JZNS1_25segmented_radix_sort_implINS0_14default_configELb1EPKlPlSQ_SR_N2at6native12_GLOBAL__N_18offset_tEEE10hipError_tPvRmT1_PNSt15iterator_traitsISZ_E10value_typeET2_T3_PNS10_IS15_E10value_typeET4_jRbjT5_S1B_jjP12ihipStream_tbEUljE_ZNSN_ISO_Lb1ESQ_SR_SQ_SR_SV_EESW_SX_SY_SZ_S13_S14_S15_S18_S19_jS1A_jS1B_S1B_jjS1D_bEUljE0_EEESW_SX_SY_S15_S19_S1B_T6_T7_T9_mT8_S1D_bDpT10_ENKUlT_T0_E_clISt17integral_constantIbLb0EES1R_EEDaS1M_S1N_EUlS1M_E_NS1_11comp_targetILNS1_3genE9ELNS1_11target_archE1100ELNS1_3gpuE3ELNS1_3repE0EEENS1_30default_config_static_selectorELNS0_4arch9wavefront6targetE1EEEvSZ_,"axG",@progbits,_ZN7rocprim17ROCPRIM_400000_NS6detail17trampoline_kernelINS0_13select_configILj256ELj13ELNS0_17block_load_methodE3ELS4_3ELS4_3ELNS0_20block_scan_algorithmE0ELj4294967295EEENS1_25partition_config_selectorILNS1_17partition_subalgoE4EjNS0_10empty_typeEbEEZZNS1_14partition_implILS8_4ELb0ES6_15HIP_vector_typeIjLj2EENS0_17counting_iteratorIjlEEPS9_SG_NS0_5tupleIJPjSI_NS0_16reverse_iteratorISI_EEEEENSH_IJSG_SG_SG_EEES9_SI_JZNS1_25segmented_radix_sort_implINS0_14default_configELb1EPKlPlSQ_SR_N2at6native12_GLOBAL__N_18offset_tEEE10hipError_tPvRmT1_PNSt15iterator_traitsISZ_E10value_typeET2_T3_PNS10_IS15_E10value_typeET4_jRbjT5_S1B_jjP12ihipStream_tbEUljE_ZNSN_ISO_Lb1ESQ_SR_SQ_SR_SV_EESW_SX_SY_SZ_S13_S14_S15_S18_S19_jS1A_jS1B_S1B_jjS1D_bEUljE0_EEESW_SX_SY_S15_S19_S1B_T6_T7_T9_mT8_S1D_bDpT10_ENKUlT_T0_E_clISt17integral_constantIbLb0EES1R_EEDaS1M_S1N_EUlS1M_E_NS1_11comp_targetILNS1_3genE9ELNS1_11target_archE1100ELNS1_3gpuE3ELNS1_3repE0EEENS1_30default_config_static_selectorELNS0_4arch9wavefront6targetE1EEEvSZ_,comdat
.Lfunc_end646:
	.size	_ZN7rocprim17ROCPRIM_400000_NS6detail17trampoline_kernelINS0_13select_configILj256ELj13ELNS0_17block_load_methodE3ELS4_3ELS4_3ELNS0_20block_scan_algorithmE0ELj4294967295EEENS1_25partition_config_selectorILNS1_17partition_subalgoE4EjNS0_10empty_typeEbEEZZNS1_14partition_implILS8_4ELb0ES6_15HIP_vector_typeIjLj2EENS0_17counting_iteratorIjlEEPS9_SG_NS0_5tupleIJPjSI_NS0_16reverse_iteratorISI_EEEEENSH_IJSG_SG_SG_EEES9_SI_JZNS1_25segmented_radix_sort_implINS0_14default_configELb1EPKlPlSQ_SR_N2at6native12_GLOBAL__N_18offset_tEEE10hipError_tPvRmT1_PNSt15iterator_traitsISZ_E10value_typeET2_T3_PNS10_IS15_E10value_typeET4_jRbjT5_S1B_jjP12ihipStream_tbEUljE_ZNSN_ISO_Lb1ESQ_SR_SQ_SR_SV_EESW_SX_SY_SZ_S13_S14_S15_S18_S19_jS1A_jS1B_S1B_jjS1D_bEUljE0_EEESW_SX_SY_S15_S19_S1B_T6_T7_T9_mT8_S1D_bDpT10_ENKUlT_T0_E_clISt17integral_constantIbLb0EES1R_EEDaS1M_S1N_EUlS1M_E_NS1_11comp_targetILNS1_3genE9ELNS1_11target_archE1100ELNS1_3gpuE3ELNS1_3repE0EEENS1_30default_config_static_selectorELNS0_4arch9wavefront6targetE1EEEvSZ_, .Lfunc_end646-_ZN7rocprim17ROCPRIM_400000_NS6detail17trampoline_kernelINS0_13select_configILj256ELj13ELNS0_17block_load_methodE3ELS4_3ELS4_3ELNS0_20block_scan_algorithmE0ELj4294967295EEENS1_25partition_config_selectorILNS1_17partition_subalgoE4EjNS0_10empty_typeEbEEZZNS1_14partition_implILS8_4ELb0ES6_15HIP_vector_typeIjLj2EENS0_17counting_iteratorIjlEEPS9_SG_NS0_5tupleIJPjSI_NS0_16reverse_iteratorISI_EEEEENSH_IJSG_SG_SG_EEES9_SI_JZNS1_25segmented_radix_sort_implINS0_14default_configELb1EPKlPlSQ_SR_N2at6native12_GLOBAL__N_18offset_tEEE10hipError_tPvRmT1_PNSt15iterator_traitsISZ_E10value_typeET2_T3_PNS10_IS15_E10value_typeET4_jRbjT5_S1B_jjP12ihipStream_tbEUljE_ZNSN_ISO_Lb1ESQ_SR_SQ_SR_SV_EESW_SX_SY_SZ_S13_S14_S15_S18_S19_jS1A_jS1B_S1B_jjS1D_bEUljE0_EEESW_SX_SY_S15_S19_S1B_T6_T7_T9_mT8_S1D_bDpT10_ENKUlT_T0_E_clISt17integral_constantIbLb0EES1R_EEDaS1M_S1N_EUlS1M_E_NS1_11comp_targetILNS1_3genE9ELNS1_11target_archE1100ELNS1_3gpuE3ELNS1_3repE0EEENS1_30default_config_static_selectorELNS0_4arch9wavefront6targetE1EEEvSZ_
                                        ; -- End function
	.section	.AMDGPU.csdata,"",@progbits
; Kernel info:
; codeLenInByte = 0
; NumSgprs: 4
; NumVgprs: 0
; NumAgprs: 0
; TotalNumVgprs: 0
; ScratchSize: 0
; MemoryBound: 0
; FloatMode: 240
; IeeeMode: 1
; LDSByteSize: 0 bytes/workgroup (compile time only)
; SGPRBlocks: 0
; VGPRBlocks: 0
; NumSGPRsForWavesPerEU: 4
; NumVGPRsForWavesPerEU: 1
; AccumOffset: 4
; Occupancy: 8
; WaveLimiterHint : 0
; COMPUTE_PGM_RSRC2:SCRATCH_EN: 0
; COMPUTE_PGM_RSRC2:USER_SGPR: 6
; COMPUTE_PGM_RSRC2:TRAP_HANDLER: 0
; COMPUTE_PGM_RSRC2:TGID_X_EN: 1
; COMPUTE_PGM_RSRC2:TGID_Y_EN: 0
; COMPUTE_PGM_RSRC2:TGID_Z_EN: 0
; COMPUTE_PGM_RSRC2:TIDIG_COMP_CNT: 0
; COMPUTE_PGM_RSRC3_GFX90A:ACCUM_OFFSET: 0
; COMPUTE_PGM_RSRC3_GFX90A:TG_SPLIT: 0
	.section	.text._ZN7rocprim17ROCPRIM_400000_NS6detail17trampoline_kernelINS0_13select_configILj256ELj13ELNS0_17block_load_methodE3ELS4_3ELS4_3ELNS0_20block_scan_algorithmE0ELj4294967295EEENS1_25partition_config_selectorILNS1_17partition_subalgoE4EjNS0_10empty_typeEbEEZZNS1_14partition_implILS8_4ELb0ES6_15HIP_vector_typeIjLj2EENS0_17counting_iteratorIjlEEPS9_SG_NS0_5tupleIJPjSI_NS0_16reverse_iteratorISI_EEEEENSH_IJSG_SG_SG_EEES9_SI_JZNS1_25segmented_radix_sort_implINS0_14default_configELb1EPKlPlSQ_SR_N2at6native12_GLOBAL__N_18offset_tEEE10hipError_tPvRmT1_PNSt15iterator_traitsISZ_E10value_typeET2_T3_PNS10_IS15_E10value_typeET4_jRbjT5_S1B_jjP12ihipStream_tbEUljE_ZNSN_ISO_Lb1ESQ_SR_SQ_SR_SV_EESW_SX_SY_SZ_S13_S14_S15_S18_S19_jS1A_jS1B_S1B_jjS1D_bEUljE0_EEESW_SX_SY_S15_S19_S1B_T6_T7_T9_mT8_S1D_bDpT10_ENKUlT_T0_E_clISt17integral_constantIbLb0EES1R_EEDaS1M_S1N_EUlS1M_E_NS1_11comp_targetILNS1_3genE8ELNS1_11target_archE1030ELNS1_3gpuE2ELNS1_3repE0EEENS1_30default_config_static_selectorELNS0_4arch9wavefront6targetE1EEEvSZ_,"axG",@progbits,_ZN7rocprim17ROCPRIM_400000_NS6detail17trampoline_kernelINS0_13select_configILj256ELj13ELNS0_17block_load_methodE3ELS4_3ELS4_3ELNS0_20block_scan_algorithmE0ELj4294967295EEENS1_25partition_config_selectorILNS1_17partition_subalgoE4EjNS0_10empty_typeEbEEZZNS1_14partition_implILS8_4ELb0ES6_15HIP_vector_typeIjLj2EENS0_17counting_iteratorIjlEEPS9_SG_NS0_5tupleIJPjSI_NS0_16reverse_iteratorISI_EEEEENSH_IJSG_SG_SG_EEES9_SI_JZNS1_25segmented_radix_sort_implINS0_14default_configELb1EPKlPlSQ_SR_N2at6native12_GLOBAL__N_18offset_tEEE10hipError_tPvRmT1_PNSt15iterator_traitsISZ_E10value_typeET2_T3_PNS10_IS15_E10value_typeET4_jRbjT5_S1B_jjP12ihipStream_tbEUljE_ZNSN_ISO_Lb1ESQ_SR_SQ_SR_SV_EESW_SX_SY_SZ_S13_S14_S15_S18_S19_jS1A_jS1B_S1B_jjS1D_bEUljE0_EEESW_SX_SY_S15_S19_S1B_T6_T7_T9_mT8_S1D_bDpT10_ENKUlT_T0_E_clISt17integral_constantIbLb0EES1R_EEDaS1M_S1N_EUlS1M_E_NS1_11comp_targetILNS1_3genE8ELNS1_11target_archE1030ELNS1_3gpuE2ELNS1_3repE0EEENS1_30default_config_static_selectorELNS0_4arch9wavefront6targetE1EEEvSZ_,comdat
	.globl	_ZN7rocprim17ROCPRIM_400000_NS6detail17trampoline_kernelINS0_13select_configILj256ELj13ELNS0_17block_load_methodE3ELS4_3ELS4_3ELNS0_20block_scan_algorithmE0ELj4294967295EEENS1_25partition_config_selectorILNS1_17partition_subalgoE4EjNS0_10empty_typeEbEEZZNS1_14partition_implILS8_4ELb0ES6_15HIP_vector_typeIjLj2EENS0_17counting_iteratorIjlEEPS9_SG_NS0_5tupleIJPjSI_NS0_16reverse_iteratorISI_EEEEENSH_IJSG_SG_SG_EEES9_SI_JZNS1_25segmented_radix_sort_implINS0_14default_configELb1EPKlPlSQ_SR_N2at6native12_GLOBAL__N_18offset_tEEE10hipError_tPvRmT1_PNSt15iterator_traitsISZ_E10value_typeET2_T3_PNS10_IS15_E10value_typeET4_jRbjT5_S1B_jjP12ihipStream_tbEUljE_ZNSN_ISO_Lb1ESQ_SR_SQ_SR_SV_EESW_SX_SY_SZ_S13_S14_S15_S18_S19_jS1A_jS1B_S1B_jjS1D_bEUljE0_EEESW_SX_SY_S15_S19_S1B_T6_T7_T9_mT8_S1D_bDpT10_ENKUlT_T0_E_clISt17integral_constantIbLb0EES1R_EEDaS1M_S1N_EUlS1M_E_NS1_11comp_targetILNS1_3genE8ELNS1_11target_archE1030ELNS1_3gpuE2ELNS1_3repE0EEENS1_30default_config_static_selectorELNS0_4arch9wavefront6targetE1EEEvSZ_ ; -- Begin function _ZN7rocprim17ROCPRIM_400000_NS6detail17trampoline_kernelINS0_13select_configILj256ELj13ELNS0_17block_load_methodE3ELS4_3ELS4_3ELNS0_20block_scan_algorithmE0ELj4294967295EEENS1_25partition_config_selectorILNS1_17partition_subalgoE4EjNS0_10empty_typeEbEEZZNS1_14partition_implILS8_4ELb0ES6_15HIP_vector_typeIjLj2EENS0_17counting_iteratorIjlEEPS9_SG_NS0_5tupleIJPjSI_NS0_16reverse_iteratorISI_EEEEENSH_IJSG_SG_SG_EEES9_SI_JZNS1_25segmented_radix_sort_implINS0_14default_configELb1EPKlPlSQ_SR_N2at6native12_GLOBAL__N_18offset_tEEE10hipError_tPvRmT1_PNSt15iterator_traitsISZ_E10value_typeET2_T3_PNS10_IS15_E10value_typeET4_jRbjT5_S1B_jjP12ihipStream_tbEUljE_ZNSN_ISO_Lb1ESQ_SR_SQ_SR_SV_EESW_SX_SY_SZ_S13_S14_S15_S18_S19_jS1A_jS1B_S1B_jjS1D_bEUljE0_EEESW_SX_SY_S15_S19_S1B_T6_T7_T9_mT8_S1D_bDpT10_ENKUlT_T0_E_clISt17integral_constantIbLb0EES1R_EEDaS1M_S1N_EUlS1M_E_NS1_11comp_targetILNS1_3genE8ELNS1_11target_archE1030ELNS1_3gpuE2ELNS1_3repE0EEENS1_30default_config_static_selectorELNS0_4arch9wavefront6targetE1EEEvSZ_
	.p2align	8
	.type	_ZN7rocprim17ROCPRIM_400000_NS6detail17trampoline_kernelINS0_13select_configILj256ELj13ELNS0_17block_load_methodE3ELS4_3ELS4_3ELNS0_20block_scan_algorithmE0ELj4294967295EEENS1_25partition_config_selectorILNS1_17partition_subalgoE4EjNS0_10empty_typeEbEEZZNS1_14partition_implILS8_4ELb0ES6_15HIP_vector_typeIjLj2EENS0_17counting_iteratorIjlEEPS9_SG_NS0_5tupleIJPjSI_NS0_16reverse_iteratorISI_EEEEENSH_IJSG_SG_SG_EEES9_SI_JZNS1_25segmented_radix_sort_implINS0_14default_configELb1EPKlPlSQ_SR_N2at6native12_GLOBAL__N_18offset_tEEE10hipError_tPvRmT1_PNSt15iterator_traitsISZ_E10value_typeET2_T3_PNS10_IS15_E10value_typeET4_jRbjT5_S1B_jjP12ihipStream_tbEUljE_ZNSN_ISO_Lb1ESQ_SR_SQ_SR_SV_EESW_SX_SY_SZ_S13_S14_S15_S18_S19_jS1A_jS1B_S1B_jjS1D_bEUljE0_EEESW_SX_SY_S15_S19_S1B_T6_T7_T9_mT8_S1D_bDpT10_ENKUlT_T0_E_clISt17integral_constantIbLb0EES1R_EEDaS1M_S1N_EUlS1M_E_NS1_11comp_targetILNS1_3genE8ELNS1_11target_archE1030ELNS1_3gpuE2ELNS1_3repE0EEENS1_30default_config_static_selectorELNS0_4arch9wavefront6targetE1EEEvSZ_,@function
_ZN7rocprim17ROCPRIM_400000_NS6detail17trampoline_kernelINS0_13select_configILj256ELj13ELNS0_17block_load_methodE3ELS4_3ELS4_3ELNS0_20block_scan_algorithmE0ELj4294967295EEENS1_25partition_config_selectorILNS1_17partition_subalgoE4EjNS0_10empty_typeEbEEZZNS1_14partition_implILS8_4ELb0ES6_15HIP_vector_typeIjLj2EENS0_17counting_iteratorIjlEEPS9_SG_NS0_5tupleIJPjSI_NS0_16reverse_iteratorISI_EEEEENSH_IJSG_SG_SG_EEES9_SI_JZNS1_25segmented_radix_sort_implINS0_14default_configELb1EPKlPlSQ_SR_N2at6native12_GLOBAL__N_18offset_tEEE10hipError_tPvRmT1_PNSt15iterator_traitsISZ_E10value_typeET2_T3_PNS10_IS15_E10value_typeET4_jRbjT5_S1B_jjP12ihipStream_tbEUljE_ZNSN_ISO_Lb1ESQ_SR_SQ_SR_SV_EESW_SX_SY_SZ_S13_S14_S15_S18_S19_jS1A_jS1B_S1B_jjS1D_bEUljE0_EEESW_SX_SY_S15_S19_S1B_T6_T7_T9_mT8_S1D_bDpT10_ENKUlT_T0_E_clISt17integral_constantIbLb0EES1R_EEDaS1M_S1N_EUlS1M_E_NS1_11comp_targetILNS1_3genE8ELNS1_11target_archE1030ELNS1_3gpuE2ELNS1_3repE0EEENS1_30default_config_static_selectorELNS0_4arch9wavefront6targetE1EEEvSZ_: ; @_ZN7rocprim17ROCPRIM_400000_NS6detail17trampoline_kernelINS0_13select_configILj256ELj13ELNS0_17block_load_methodE3ELS4_3ELS4_3ELNS0_20block_scan_algorithmE0ELj4294967295EEENS1_25partition_config_selectorILNS1_17partition_subalgoE4EjNS0_10empty_typeEbEEZZNS1_14partition_implILS8_4ELb0ES6_15HIP_vector_typeIjLj2EENS0_17counting_iteratorIjlEEPS9_SG_NS0_5tupleIJPjSI_NS0_16reverse_iteratorISI_EEEEENSH_IJSG_SG_SG_EEES9_SI_JZNS1_25segmented_radix_sort_implINS0_14default_configELb1EPKlPlSQ_SR_N2at6native12_GLOBAL__N_18offset_tEEE10hipError_tPvRmT1_PNSt15iterator_traitsISZ_E10value_typeET2_T3_PNS10_IS15_E10value_typeET4_jRbjT5_S1B_jjP12ihipStream_tbEUljE_ZNSN_ISO_Lb1ESQ_SR_SQ_SR_SV_EESW_SX_SY_SZ_S13_S14_S15_S18_S19_jS1A_jS1B_S1B_jjS1D_bEUljE0_EEESW_SX_SY_S15_S19_S1B_T6_T7_T9_mT8_S1D_bDpT10_ENKUlT_T0_E_clISt17integral_constantIbLb0EES1R_EEDaS1M_S1N_EUlS1M_E_NS1_11comp_targetILNS1_3genE8ELNS1_11target_archE1030ELNS1_3gpuE2ELNS1_3repE0EEENS1_30default_config_static_selectorELNS0_4arch9wavefront6targetE1EEEvSZ_
; %bb.0:
	.section	.rodata,"a",@progbits
	.p2align	6, 0x0
	.amdhsa_kernel _ZN7rocprim17ROCPRIM_400000_NS6detail17trampoline_kernelINS0_13select_configILj256ELj13ELNS0_17block_load_methodE3ELS4_3ELS4_3ELNS0_20block_scan_algorithmE0ELj4294967295EEENS1_25partition_config_selectorILNS1_17partition_subalgoE4EjNS0_10empty_typeEbEEZZNS1_14partition_implILS8_4ELb0ES6_15HIP_vector_typeIjLj2EENS0_17counting_iteratorIjlEEPS9_SG_NS0_5tupleIJPjSI_NS0_16reverse_iteratorISI_EEEEENSH_IJSG_SG_SG_EEES9_SI_JZNS1_25segmented_radix_sort_implINS0_14default_configELb1EPKlPlSQ_SR_N2at6native12_GLOBAL__N_18offset_tEEE10hipError_tPvRmT1_PNSt15iterator_traitsISZ_E10value_typeET2_T3_PNS10_IS15_E10value_typeET4_jRbjT5_S1B_jjP12ihipStream_tbEUljE_ZNSN_ISO_Lb1ESQ_SR_SQ_SR_SV_EESW_SX_SY_SZ_S13_S14_S15_S18_S19_jS1A_jS1B_S1B_jjS1D_bEUljE0_EEESW_SX_SY_S15_S19_S1B_T6_T7_T9_mT8_S1D_bDpT10_ENKUlT_T0_E_clISt17integral_constantIbLb0EES1R_EEDaS1M_S1N_EUlS1M_E_NS1_11comp_targetILNS1_3genE8ELNS1_11target_archE1030ELNS1_3gpuE2ELNS1_3repE0EEENS1_30default_config_static_selectorELNS0_4arch9wavefront6targetE1EEEvSZ_
		.amdhsa_group_segment_fixed_size 0
		.amdhsa_private_segment_fixed_size 0
		.amdhsa_kernarg_size 176
		.amdhsa_user_sgpr_count 6
		.amdhsa_user_sgpr_private_segment_buffer 1
		.amdhsa_user_sgpr_dispatch_ptr 0
		.amdhsa_user_sgpr_queue_ptr 0
		.amdhsa_user_sgpr_kernarg_segment_ptr 1
		.amdhsa_user_sgpr_dispatch_id 0
		.amdhsa_user_sgpr_flat_scratch_init 0
		.amdhsa_user_sgpr_kernarg_preload_length 0
		.amdhsa_user_sgpr_kernarg_preload_offset 0
		.amdhsa_user_sgpr_private_segment_size 0
		.amdhsa_uses_dynamic_stack 0
		.amdhsa_system_sgpr_private_segment_wavefront_offset 0
		.amdhsa_system_sgpr_workgroup_id_x 1
		.amdhsa_system_sgpr_workgroup_id_y 0
		.amdhsa_system_sgpr_workgroup_id_z 0
		.amdhsa_system_sgpr_workgroup_info 0
		.amdhsa_system_vgpr_workitem_id 0
		.amdhsa_next_free_vgpr 1
		.amdhsa_next_free_sgpr 0
		.amdhsa_accum_offset 4
		.amdhsa_reserve_vcc 0
		.amdhsa_reserve_flat_scratch 0
		.amdhsa_float_round_mode_32 0
		.amdhsa_float_round_mode_16_64 0
		.amdhsa_float_denorm_mode_32 3
		.amdhsa_float_denorm_mode_16_64 3
		.amdhsa_dx10_clamp 1
		.amdhsa_ieee_mode 1
		.amdhsa_fp16_overflow 0
		.amdhsa_tg_split 0
		.amdhsa_exception_fp_ieee_invalid_op 0
		.amdhsa_exception_fp_denorm_src 0
		.amdhsa_exception_fp_ieee_div_zero 0
		.amdhsa_exception_fp_ieee_overflow 0
		.amdhsa_exception_fp_ieee_underflow 0
		.amdhsa_exception_fp_ieee_inexact 0
		.amdhsa_exception_int_div_zero 0
	.end_amdhsa_kernel
	.section	.text._ZN7rocprim17ROCPRIM_400000_NS6detail17trampoline_kernelINS0_13select_configILj256ELj13ELNS0_17block_load_methodE3ELS4_3ELS4_3ELNS0_20block_scan_algorithmE0ELj4294967295EEENS1_25partition_config_selectorILNS1_17partition_subalgoE4EjNS0_10empty_typeEbEEZZNS1_14partition_implILS8_4ELb0ES6_15HIP_vector_typeIjLj2EENS0_17counting_iteratorIjlEEPS9_SG_NS0_5tupleIJPjSI_NS0_16reverse_iteratorISI_EEEEENSH_IJSG_SG_SG_EEES9_SI_JZNS1_25segmented_radix_sort_implINS0_14default_configELb1EPKlPlSQ_SR_N2at6native12_GLOBAL__N_18offset_tEEE10hipError_tPvRmT1_PNSt15iterator_traitsISZ_E10value_typeET2_T3_PNS10_IS15_E10value_typeET4_jRbjT5_S1B_jjP12ihipStream_tbEUljE_ZNSN_ISO_Lb1ESQ_SR_SQ_SR_SV_EESW_SX_SY_SZ_S13_S14_S15_S18_S19_jS1A_jS1B_S1B_jjS1D_bEUljE0_EEESW_SX_SY_S15_S19_S1B_T6_T7_T9_mT8_S1D_bDpT10_ENKUlT_T0_E_clISt17integral_constantIbLb0EES1R_EEDaS1M_S1N_EUlS1M_E_NS1_11comp_targetILNS1_3genE8ELNS1_11target_archE1030ELNS1_3gpuE2ELNS1_3repE0EEENS1_30default_config_static_selectorELNS0_4arch9wavefront6targetE1EEEvSZ_,"axG",@progbits,_ZN7rocprim17ROCPRIM_400000_NS6detail17trampoline_kernelINS0_13select_configILj256ELj13ELNS0_17block_load_methodE3ELS4_3ELS4_3ELNS0_20block_scan_algorithmE0ELj4294967295EEENS1_25partition_config_selectorILNS1_17partition_subalgoE4EjNS0_10empty_typeEbEEZZNS1_14partition_implILS8_4ELb0ES6_15HIP_vector_typeIjLj2EENS0_17counting_iteratorIjlEEPS9_SG_NS0_5tupleIJPjSI_NS0_16reverse_iteratorISI_EEEEENSH_IJSG_SG_SG_EEES9_SI_JZNS1_25segmented_radix_sort_implINS0_14default_configELb1EPKlPlSQ_SR_N2at6native12_GLOBAL__N_18offset_tEEE10hipError_tPvRmT1_PNSt15iterator_traitsISZ_E10value_typeET2_T3_PNS10_IS15_E10value_typeET4_jRbjT5_S1B_jjP12ihipStream_tbEUljE_ZNSN_ISO_Lb1ESQ_SR_SQ_SR_SV_EESW_SX_SY_SZ_S13_S14_S15_S18_S19_jS1A_jS1B_S1B_jjS1D_bEUljE0_EEESW_SX_SY_S15_S19_S1B_T6_T7_T9_mT8_S1D_bDpT10_ENKUlT_T0_E_clISt17integral_constantIbLb0EES1R_EEDaS1M_S1N_EUlS1M_E_NS1_11comp_targetILNS1_3genE8ELNS1_11target_archE1030ELNS1_3gpuE2ELNS1_3repE0EEENS1_30default_config_static_selectorELNS0_4arch9wavefront6targetE1EEEvSZ_,comdat
.Lfunc_end647:
	.size	_ZN7rocprim17ROCPRIM_400000_NS6detail17trampoline_kernelINS0_13select_configILj256ELj13ELNS0_17block_load_methodE3ELS4_3ELS4_3ELNS0_20block_scan_algorithmE0ELj4294967295EEENS1_25partition_config_selectorILNS1_17partition_subalgoE4EjNS0_10empty_typeEbEEZZNS1_14partition_implILS8_4ELb0ES6_15HIP_vector_typeIjLj2EENS0_17counting_iteratorIjlEEPS9_SG_NS0_5tupleIJPjSI_NS0_16reverse_iteratorISI_EEEEENSH_IJSG_SG_SG_EEES9_SI_JZNS1_25segmented_radix_sort_implINS0_14default_configELb1EPKlPlSQ_SR_N2at6native12_GLOBAL__N_18offset_tEEE10hipError_tPvRmT1_PNSt15iterator_traitsISZ_E10value_typeET2_T3_PNS10_IS15_E10value_typeET4_jRbjT5_S1B_jjP12ihipStream_tbEUljE_ZNSN_ISO_Lb1ESQ_SR_SQ_SR_SV_EESW_SX_SY_SZ_S13_S14_S15_S18_S19_jS1A_jS1B_S1B_jjS1D_bEUljE0_EEESW_SX_SY_S15_S19_S1B_T6_T7_T9_mT8_S1D_bDpT10_ENKUlT_T0_E_clISt17integral_constantIbLb0EES1R_EEDaS1M_S1N_EUlS1M_E_NS1_11comp_targetILNS1_3genE8ELNS1_11target_archE1030ELNS1_3gpuE2ELNS1_3repE0EEENS1_30default_config_static_selectorELNS0_4arch9wavefront6targetE1EEEvSZ_, .Lfunc_end647-_ZN7rocprim17ROCPRIM_400000_NS6detail17trampoline_kernelINS0_13select_configILj256ELj13ELNS0_17block_load_methodE3ELS4_3ELS4_3ELNS0_20block_scan_algorithmE0ELj4294967295EEENS1_25partition_config_selectorILNS1_17partition_subalgoE4EjNS0_10empty_typeEbEEZZNS1_14partition_implILS8_4ELb0ES6_15HIP_vector_typeIjLj2EENS0_17counting_iteratorIjlEEPS9_SG_NS0_5tupleIJPjSI_NS0_16reverse_iteratorISI_EEEEENSH_IJSG_SG_SG_EEES9_SI_JZNS1_25segmented_radix_sort_implINS0_14default_configELb1EPKlPlSQ_SR_N2at6native12_GLOBAL__N_18offset_tEEE10hipError_tPvRmT1_PNSt15iterator_traitsISZ_E10value_typeET2_T3_PNS10_IS15_E10value_typeET4_jRbjT5_S1B_jjP12ihipStream_tbEUljE_ZNSN_ISO_Lb1ESQ_SR_SQ_SR_SV_EESW_SX_SY_SZ_S13_S14_S15_S18_S19_jS1A_jS1B_S1B_jjS1D_bEUljE0_EEESW_SX_SY_S15_S19_S1B_T6_T7_T9_mT8_S1D_bDpT10_ENKUlT_T0_E_clISt17integral_constantIbLb0EES1R_EEDaS1M_S1N_EUlS1M_E_NS1_11comp_targetILNS1_3genE8ELNS1_11target_archE1030ELNS1_3gpuE2ELNS1_3repE0EEENS1_30default_config_static_selectorELNS0_4arch9wavefront6targetE1EEEvSZ_
                                        ; -- End function
	.section	.AMDGPU.csdata,"",@progbits
; Kernel info:
; codeLenInByte = 0
; NumSgprs: 4
; NumVgprs: 0
; NumAgprs: 0
; TotalNumVgprs: 0
; ScratchSize: 0
; MemoryBound: 0
; FloatMode: 240
; IeeeMode: 1
; LDSByteSize: 0 bytes/workgroup (compile time only)
; SGPRBlocks: 0
; VGPRBlocks: 0
; NumSGPRsForWavesPerEU: 4
; NumVGPRsForWavesPerEU: 1
; AccumOffset: 4
; Occupancy: 8
; WaveLimiterHint : 0
; COMPUTE_PGM_RSRC2:SCRATCH_EN: 0
; COMPUTE_PGM_RSRC2:USER_SGPR: 6
; COMPUTE_PGM_RSRC2:TRAP_HANDLER: 0
; COMPUTE_PGM_RSRC2:TGID_X_EN: 1
; COMPUTE_PGM_RSRC2:TGID_Y_EN: 0
; COMPUTE_PGM_RSRC2:TGID_Z_EN: 0
; COMPUTE_PGM_RSRC2:TIDIG_COMP_CNT: 0
; COMPUTE_PGM_RSRC3_GFX90A:ACCUM_OFFSET: 0
; COMPUTE_PGM_RSRC3_GFX90A:TG_SPLIT: 0
	.section	.text._ZN7rocprim17ROCPRIM_400000_NS6detail17trampoline_kernelINS0_13select_configILj256ELj13ELNS0_17block_load_methodE3ELS4_3ELS4_3ELNS0_20block_scan_algorithmE0ELj4294967295EEENS1_25partition_config_selectorILNS1_17partition_subalgoE4EjNS0_10empty_typeEbEEZZNS1_14partition_implILS8_4ELb0ES6_15HIP_vector_typeIjLj2EENS0_17counting_iteratorIjlEEPS9_SG_NS0_5tupleIJPjSI_NS0_16reverse_iteratorISI_EEEEENSH_IJSG_SG_SG_EEES9_SI_JZNS1_25segmented_radix_sort_implINS0_14default_configELb1EPKlPlSQ_SR_N2at6native12_GLOBAL__N_18offset_tEEE10hipError_tPvRmT1_PNSt15iterator_traitsISZ_E10value_typeET2_T3_PNS10_IS15_E10value_typeET4_jRbjT5_S1B_jjP12ihipStream_tbEUljE_ZNSN_ISO_Lb1ESQ_SR_SQ_SR_SV_EESW_SX_SY_SZ_S13_S14_S15_S18_S19_jS1A_jS1B_S1B_jjS1D_bEUljE0_EEESW_SX_SY_S15_S19_S1B_T6_T7_T9_mT8_S1D_bDpT10_ENKUlT_T0_E_clISt17integral_constantIbLb1EES1R_EEDaS1M_S1N_EUlS1M_E_NS1_11comp_targetILNS1_3genE0ELNS1_11target_archE4294967295ELNS1_3gpuE0ELNS1_3repE0EEENS1_30default_config_static_selectorELNS0_4arch9wavefront6targetE1EEEvSZ_,"axG",@progbits,_ZN7rocprim17ROCPRIM_400000_NS6detail17trampoline_kernelINS0_13select_configILj256ELj13ELNS0_17block_load_methodE3ELS4_3ELS4_3ELNS0_20block_scan_algorithmE0ELj4294967295EEENS1_25partition_config_selectorILNS1_17partition_subalgoE4EjNS0_10empty_typeEbEEZZNS1_14partition_implILS8_4ELb0ES6_15HIP_vector_typeIjLj2EENS0_17counting_iteratorIjlEEPS9_SG_NS0_5tupleIJPjSI_NS0_16reverse_iteratorISI_EEEEENSH_IJSG_SG_SG_EEES9_SI_JZNS1_25segmented_radix_sort_implINS0_14default_configELb1EPKlPlSQ_SR_N2at6native12_GLOBAL__N_18offset_tEEE10hipError_tPvRmT1_PNSt15iterator_traitsISZ_E10value_typeET2_T3_PNS10_IS15_E10value_typeET4_jRbjT5_S1B_jjP12ihipStream_tbEUljE_ZNSN_ISO_Lb1ESQ_SR_SQ_SR_SV_EESW_SX_SY_SZ_S13_S14_S15_S18_S19_jS1A_jS1B_S1B_jjS1D_bEUljE0_EEESW_SX_SY_S15_S19_S1B_T6_T7_T9_mT8_S1D_bDpT10_ENKUlT_T0_E_clISt17integral_constantIbLb1EES1R_EEDaS1M_S1N_EUlS1M_E_NS1_11comp_targetILNS1_3genE0ELNS1_11target_archE4294967295ELNS1_3gpuE0ELNS1_3repE0EEENS1_30default_config_static_selectorELNS0_4arch9wavefront6targetE1EEEvSZ_,comdat
	.globl	_ZN7rocprim17ROCPRIM_400000_NS6detail17trampoline_kernelINS0_13select_configILj256ELj13ELNS0_17block_load_methodE3ELS4_3ELS4_3ELNS0_20block_scan_algorithmE0ELj4294967295EEENS1_25partition_config_selectorILNS1_17partition_subalgoE4EjNS0_10empty_typeEbEEZZNS1_14partition_implILS8_4ELb0ES6_15HIP_vector_typeIjLj2EENS0_17counting_iteratorIjlEEPS9_SG_NS0_5tupleIJPjSI_NS0_16reverse_iteratorISI_EEEEENSH_IJSG_SG_SG_EEES9_SI_JZNS1_25segmented_radix_sort_implINS0_14default_configELb1EPKlPlSQ_SR_N2at6native12_GLOBAL__N_18offset_tEEE10hipError_tPvRmT1_PNSt15iterator_traitsISZ_E10value_typeET2_T3_PNS10_IS15_E10value_typeET4_jRbjT5_S1B_jjP12ihipStream_tbEUljE_ZNSN_ISO_Lb1ESQ_SR_SQ_SR_SV_EESW_SX_SY_SZ_S13_S14_S15_S18_S19_jS1A_jS1B_S1B_jjS1D_bEUljE0_EEESW_SX_SY_S15_S19_S1B_T6_T7_T9_mT8_S1D_bDpT10_ENKUlT_T0_E_clISt17integral_constantIbLb1EES1R_EEDaS1M_S1N_EUlS1M_E_NS1_11comp_targetILNS1_3genE0ELNS1_11target_archE4294967295ELNS1_3gpuE0ELNS1_3repE0EEENS1_30default_config_static_selectorELNS0_4arch9wavefront6targetE1EEEvSZ_ ; -- Begin function _ZN7rocprim17ROCPRIM_400000_NS6detail17trampoline_kernelINS0_13select_configILj256ELj13ELNS0_17block_load_methodE3ELS4_3ELS4_3ELNS0_20block_scan_algorithmE0ELj4294967295EEENS1_25partition_config_selectorILNS1_17partition_subalgoE4EjNS0_10empty_typeEbEEZZNS1_14partition_implILS8_4ELb0ES6_15HIP_vector_typeIjLj2EENS0_17counting_iteratorIjlEEPS9_SG_NS0_5tupleIJPjSI_NS0_16reverse_iteratorISI_EEEEENSH_IJSG_SG_SG_EEES9_SI_JZNS1_25segmented_radix_sort_implINS0_14default_configELb1EPKlPlSQ_SR_N2at6native12_GLOBAL__N_18offset_tEEE10hipError_tPvRmT1_PNSt15iterator_traitsISZ_E10value_typeET2_T3_PNS10_IS15_E10value_typeET4_jRbjT5_S1B_jjP12ihipStream_tbEUljE_ZNSN_ISO_Lb1ESQ_SR_SQ_SR_SV_EESW_SX_SY_SZ_S13_S14_S15_S18_S19_jS1A_jS1B_S1B_jjS1D_bEUljE0_EEESW_SX_SY_S15_S19_S1B_T6_T7_T9_mT8_S1D_bDpT10_ENKUlT_T0_E_clISt17integral_constantIbLb1EES1R_EEDaS1M_S1N_EUlS1M_E_NS1_11comp_targetILNS1_3genE0ELNS1_11target_archE4294967295ELNS1_3gpuE0ELNS1_3repE0EEENS1_30default_config_static_selectorELNS0_4arch9wavefront6targetE1EEEvSZ_
	.p2align	8
	.type	_ZN7rocprim17ROCPRIM_400000_NS6detail17trampoline_kernelINS0_13select_configILj256ELj13ELNS0_17block_load_methodE3ELS4_3ELS4_3ELNS0_20block_scan_algorithmE0ELj4294967295EEENS1_25partition_config_selectorILNS1_17partition_subalgoE4EjNS0_10empty_typeEbEEZZNS1_14partition_implILS8_4ELb0ES6_15HIP_vector_typeIjLj2EENS0_17counting_iteratorIjlEEPS9_SG_NS0_5tupleIJPjSI_NS0_16reverse_iteratorISI_EEEEENSH_IJSG_SG_SG_EEES9_SI_JZNS1_25segmented_radix_sort_implINS0_14default_configELb1EPKlPlSQ_SR_N2at6native12_GLOBAL__N_18offset_tEEE10hipError_tPvRmT1_PNSt15iterator_traitsISZ_E10value_typeET2_T3_PNS10_IS15_E10value_typeET4_jRbjT5_S1B_jjP12ihipStream_tbEUljE_ZNSN_ISO_Lb1ESQ_SR_SQ_SR_SV_EESW_SX_SY_SZ_S13_S14_S15_S18_S19_jS1A_jS1B_S1B_jjS1D_bEUljE0_EEESW_SX_SY_S15_S19_S1B_T6_T7_T9_mT8_S1D_bDpT10_ENKUlT_T0_E_clISt17integral_constantIbLb1EES1R_EEDaS1M_S1N_EUlS1M_E_NS1_11comp_targetILNS1_3genE0ELNS1_11target_archE4294967295ELNS1_3gpuE0ELNS1_3repE0EEENS1_30default_config_static_selectorELNS0_4arch9wavefront6targetE1EEEvSZ_,@function
_ZN7rocprim17ROCPRIM_400000_NS6detail17trampoline_kernelINS0_13select_configILj256ELj13ELNS0_17block_load_methodE3ELS4_3ELS4_3ELNS0_20block_scan_algorithmE0ELj4294967295EEENS1_25partition_config_selectorILNS1_17partition_subalgoE4EjNS0_10empty_typeEbEEZZNS1_14partition_implILS8_4ELb0ES6_15HIP_vector_typeIjLj2EENS0_17counting_iteratorIjlEEPS9_SG_NS0_5tupleIJPjSI_NS0_16reverse_iteratorISI_EEEEENSH_IJSG_SG_SG_EEES9_SI_JZNS1_25segmented_radix_sort_implINS0_14default_configELb1EPKlPlSQ_SR_N2at6native12_GLOBAL__N_18offset_tEEE10hipError_tPvRmT1_PNSt15iterator_traitsISZ_E10value_typeET2_T3_PNS10_IS15_E10value_typeET4_jRbjT5_S1B_jjP12ihipStream_tbEUljE_ZNSN_ISO_Lb1ESQ_SR_SQ_SR_SV_EESW_SX_SY_SZ_S13_S14_S15_S18_S19_jS1A_jS1B_S1B_jjS1D_bEUljE0_EEESW_SX_SY_S15_S19_S1B_T6_T7_T9_mT8_S1D_bDpT10_ENKUlT_T0_E_clISt17integral_constantIbLb1EES1R_EEDaS1M_S1N_EUlS1M_E_NS1_11comp_targetILNS1_3genE0ELNS1_11target_archE4294967295ELNS1_3gpuE0ELNS1_3repE0EEENS1_30default_config_static_selectorELNS0_4arch9wavefront6targetE1EEEvSZ_: ; @_ZN7rocprim17ROCPRIM_400000_NS6detail17trampoline_kernelINS0_13select_configILj256ELj13ELNS0_17block_load_methodE3ELS4_3ELS4_3ELNS0_20block_scan_algorithmE0ELj4294967295EEENS1_25partition_config_selectorILNS1_17partition_subalgoE4EjNS0_10empty_typeEbEEZZNS1_14partition_implILS8_4ELb0ES6_15HIP_vector_typeIjLj2EENS0_17counting_iteratorIjlEEPS9_SG_NS0_5tupleIJPjSI_NS0_16reverse_iteratorISI_EEEEENSH_IJSG_SG_SG_EEES9_SI_JZNS1_25segmented_radix_sort_implINS0_14default_configELb1EPKlPlSQ_SR_N2at6native12_GLOBAL__N_18offset_tEEE10hipError_tPvRmT1_PNSt15iterator_traitsISZ_E10value_typeET2_T3_PNS10_IS15_E10value_typeET4_jRbjT5_S1B_jjP12ihipStream_tbEUljE_ZNSN_ISO_Lb1ESQ_SR_SQ_SR_SV_EESW_SX_SY_SZ_S13_S14_S15_S18_S19_jS1A_jS1B_S1B_jjS1D_bEUljE0_EEESW_SX_SY_S15_S19_S1B_T6_T7_T9_mT8_S1D_bDpT10_ENKUlT_T0_E_clISt17integral_constantIbLb1EES1R_EEDaS1M_S1N_EUlS1M_E_NS1_11comp_targetILNS1_3genE0ELNS1_11target_archE4294967295ELNS1_3gpuE0ELNS1_3repE0EEENS1_30default_config_static_selectorELNS0_4arch9wavefront6targetE1EEEvSZ_
; %bb.0:
	.section	.rodata,"a",@progbits
	.p2align	6, 0x0
	.amdhsa_kernel _ZN7rocprim17ROCPRIM_400000_NS6detail17trampoline_kernelINS0_13select_configILj256ELj13ELNS0_17block_load_methodE3ELS4_3ELS4_3ELNS0_20block_scan_algorithmE0ELj4294967295EEENS1_25partition_config_selectorILNS1_17partition_subalgoE4EjNS0_10empty_typeEbEEZZNS1_14partition_implILS8_4ELb0ES6_15HIP_vector_typeIjLj2EENS0_17counting_iteratorIjlEEPS9_SG_NS0_5tupleIJPjSI_NS0_16reverse_iteratorISI_EEEEENSH_IJSG_SG_SG_EEES9_SI_JZNS1_25segmented_radix_sort_implINS0_14default_configELb1EPKlPlSQ_SR_N2at6native12_GLOBAL__N_18offset_tEEE10hipError_tPvRmT1_PNSt15iterator_traitsISZ_E10value_typeET2_T3_PNS10_IS15_E10value_typeET4_jRbjT5_S1B_jjP12ihipStream_tbEUljE_ZNSN_ISO_Lb1ESQ_SR_SQ_SR_SV_EESW_SX_SY_SZ_S13_S14_S15_S18_S19_jS1A_jS1B_S1B_jjS1D_bEUljE0_EEESW_SX_SY_S15_S19_S1B_T6_T7_T9_mT8_S1D_bDpT10_ENKUlT_T0_E_clISt17integral_constantIbLb1EES1R_EEDaS1M_S1N_EUlS1M_E_NS1_11comp_targetILNS1_3genE0ELNS1_11target_archE4294967295ELNS1_3gpuE0ELNS1_3repE0EEENS1_30default_config_static_selectorELNS0_4arch9wavefront6targetE1EEEvSZ_
		.amdhsa_group_segment_fixed_size 0
		.amdhsa_private_segment_fixed_size 0
		.amdhsa_kernarg_size 184
		.amdhsa_user_sgpr_count 6
		.amdhsa_user_sgpr_private_segment_buffer 1
		.amdhsa_user_sgpr_dispatch_ptr 0
		.amdhsa_user_sgpr_queue_ptr 0
		.amdhsa_user_sgpr_kernarg_segment_ptr 1
		.amdhsa_user_sgpr_dispatch_id 0
		.amdhsa_user_sgpr_flat_scratch_init 0
		.amdhsa_user_sgpr_kernarg_preload_length 0
		.amdhsa_user_sgpr_kernarg_preload_offset 0
		.amdhsa_user_sgpr_private_segment_size 0
		.amdhsa_uses_dynamic_stack 0
		.amdhsa_system_sgpr_private_segment_wavefront_offset 0
		.amdhsa_system_sgpr_workgroup_id_x 1
		.amdhsa_system_sgpr_workgroup_id_y 0
		.amdhsa_system_sgpr_workgroup_id_z 0
		.amdhsa_system_sgpr_workgroup_info 0
		.amdhsa_system_vgpr_workitem_id 0
		.amdhsa_next_free_vgpr 1
		.amdhsa_next_free_sgpr 0
		.amdhsa_accum_offset 4
		.amdhsa_reserve_vcc 0
		.amdhsa_reserve_flat_scratch 0
		.amdhsa_float_round_mode_32 0
		.amdhsa_float_round_mode_16_64 0
		.amdhsa_float_denorm_mode_32 3
		.amdhsa_float_denorm_mode_16_64 3
		.amdhsa_dx10_clamp 1
		.amdhsa_ieee_mode 1
		.amdhsa_fp16_overflow 0
		.amdhsa_tg_split 0
		.amdhsa_exception_fp_ieee_invalid_op 0
		.amdhsa_exception_fp_denorm_src 0
		.amdhsa_exception_fp_ieee_div_zero 0
		.amdhsa_exception_fp_ieee_overflow 0
		.amdhsa_exception_fp_ieee_underflow 0
		.amdhsa_exception_fp_ieee_inexact 0
		.amdhsa_exception_int_div_zero 0
	.end_amdhsa_kernel
	.section	.text._ZN7rocprim17ROCPRIM_400000_NS6detail17trampoline_kernelINS0_13select_configILj256ELj13ELNS0_17block_load_methodE3ELS4_3ELS4_3ELNS0_20block_scan_algorithmE0ELj4294967295EEENS1_25partition_config_selectorILNS1_17partition_subalgoE4EjNS0_10empty_typeEbEEZZNS1_14partition_implILS8_4ELb0ES6_15HIP_vector_typeIjLj2EENS0_17counting_iteratorIjlEEPS9_SG_NS0_5tupleIJPjSI_NS0_16reverse_iteratorISI_EEEEENSH_IJSG_SG_SG_EEES9_SI_JZNS1_25segmented_radix_sort_implINS0_14default_configELb1EPKlPlSQ_SR_N2at6native12_GLOBAL__N_18offset_tEEE10hipError_tPvRmT1_PNSt15iterator_traitsISZ_E10value_typeET2_T3_PNS10_IS15_E10value_typeET4_jRbjT5_S1B_jjP12ihipStream_tbEUljE_ZNSN_ISO_Lb1ESQ_SR_SQ_SR_SV_EESW_SX_SY_SZ_S13_S14_S15_S18_S19_jS1A_jS1B_S1B_jjS1D_bEUljE0_EEESW_SX_SY_S15_S19_S1B_T6_T7_T9_mT8_S1D_bDpT10_ENKUlT_T0_E_clISt17integral_constantIbLb1EES1R_EEDaS1M_S1N_EUlS1M_E_NS1_11comp_targetILNS1_3genE0ELNS1_11target_archE4294967295ELNS1_3gpuE0ELNS1_3repE0EEENS1_30default_config_static_selectorELNS0_4arch9wavefront6targetE1EEEvSZ_,"axG",@progbits,_ZN7rocprim17ROCPRIM_400000_NS6detail17trampoline_kernelINS0_13select_configILj256ELj13ELNS0_17block_load_methodE3ELS4_3ELS4_3ELNS0_20block_scan_algorithmE0ELj4294967295EEENS1_25partition_config_selectorILNS1_17partition_subalgoE4EjNS0_10empty_typeEbEEZZNS1_14partition_implILS8_4ELb0ES6_15HIP_vector_typeIjLj2EENS0_17counting_iteratorIjlEEPS9_SG_NS0_5tupleIJPjSI_NS0_16reverse_iteratorISI_EEEEENSH_IJSG_SG_SG_EEES9_SI_JZNS1_25segmented_radix_sort_implINS0_14default_configELb1EPKlPlSQ_SR_N2at6native12_GLOBAL__N_18offset_tEEE10hipError_tPvRmT1_PNSt15iterator_traitsISZ_E10value_typeET2_T3_PNS10_IS15_E10value_typeET4_jRbjT5_S1B_jjP12ihipStream_tbEUljE_ZNSN_ISO_Lb1ESQ_SR_SQ_SR_SV_EESW_SX_SY_SZ_S13_S14_S15_S18_S19_jS1A_jS1B_S1B_jjS1D_bEUljE0_EEESW_SX_SY_S15_S19_S1B_T6_T7_T9_mT8_S1D_bDpT10_ENKUlT_T0_E_clISt17integral_constantIbLb1EES1R_EEDaS1M_S1N_EUlS1M_E_NS1_11comp_targetILNS1_3genE0ELNS1_11target_archE4294967295ELNS1_3gpuE0ELNS1_3repE0EEENS1_30default_config_static_selectorELNS0_4arch9wavefront6targetE1EEEvSZ_,comdat
.Lfunc_end648:
	.size	_ZN7rocprim17ROCPRIM_400000_NS6detail17trampoline_kernelINS0_13select_configILj256ELj13ELNS0_17block_load_methodE3ELS4_3ELS4_3ELNS0_20block_scan_algorithmE0ELj4294967295EEENS1_25partition_config_selectorILNS1_17partition_subalgoE4EjNS0_10empty_typeEbEEZZNS1_14partition_implILS8_4ELb0ES6_15HIP_vector_typeIjLj2EENS0_17counting_iteratorIjlEEPS9_SG_NS0_5tupleIJPjSI_NS0_16reverse_iteratorISI_EEEEENSH_IJSG_SG_SG_EEES9_SI_JZNS1_25segmented_radix_sort_implINS0_14default_configELb1EPKlPlSQ_SR_N2at6native12_GLOBAL__N_18offset_tEEE10hipError_tPvRmT1_PNSt15iterator_traitsISZ_E10value_typeET2_T3_PNS10_IS15_E10value_typeET4_jRbjT5_S1B_jjP12ihipStream_tbEUljE_ZNSN_ISO_Lb1ESQ_SR_SQ_SR_SV_EESW_SX_SY_SZ_S13_S14_S15_S18_S19_jS1A_jS1B_S1B_jjS1D_bEUljE0_EEESW_SX_SY_S15_S19_S1B_T6_T7_T9_mT8_S1D_bDpT10_ENKUlT_T0_E_clISt17integral_constantIbLb1EES1R_EEDaS1M_S1N_EUlS1M_E_NS1_11comp_targetILNS1_3genE0ELNS1_11target_archE4294967295ELNS1_3gpuE0ELNS1_3repE0EEENS1_30default_config_static_selectorELNS0_4arch9wavefront6targetE1EEEvSZ_, .Lfunc_end648-_ZN7rocprim17ROCPRIM_400000_NS6detail17trampoline_kernelINS0_13select_configILj256ELj13ELNS0_17block_load_methodE3ELS4_3ELS4_3ELNS0_20block_scan_algorithmE0ELj4294967295EEENS1_25partition_config_selectorILNS1_17partition_subalgoE4EjNS0_10empty_typeEbEEZZNS1_14partition_implILS8_4ELb0ES6_15HIP_vector_typeIjLj2EENS0_17counting_iteratorIjlEEPS9_SG_NS0_5tupleIJPjSI_NS0_16reverse_iteratorISI_EEEEENSH_IJSG_SG_SG_EEES9_SI_JZNS1_25segmented_radix_sort_implINS0_14default_configELb1EPKlPlSQ_SR_N2at6native12_GLOBAL__N_18offset_tEEE10hipError_tPvRmT1_PNSt15iterator_traitsISZ_E10value_typeET2_T3_PNS10_IS15_E10value_typeET4_jRbjT5_S1B_jjP12ihipStream_tbEUljE_ZNSN_ISO_Lb1ESQ_SR_SQ_SR_SV_EESW_SX_SY_SZ_S13_S14_S15_S18_S19_jS1A_jS1B_S1B_jjS1D_bEUljE0_EEESW_SX_SY_S15_S19_S1B_T6_T7_T9_mT8_S1D_bDpT10_ENKUlT_T0_E_clISt17integral_constantIbLb1EES1R_EEDaS1M_S1N_EUlS1M_E_NS1_11comp_targetILNS1_3genE0ELNS1_11target_archE4294967295ELNS1_3gpuE0ELNS1_3repE0EEENS1_30default_config_static_selectorELNS0_4arch9wavefront6targetE1EEEvSZ_
                                        ; -- End function
	.section	.AMDGPU.csdata,"",@progbits
; Kernel info:
; codeLenInByte = 0
; NumSgprs: 4
; NumVgprs: 0
; NumAgprs: 0
; TotalNumVgprs: 0
; ScratchSize: 0
; MemoryBound: 0
; FloatMode: 240
; IeeeMode: 1
; LDSByteSize: 0 bytes/workgroup (compile time only)
; SGPRBlocks: 0
; VGPRBlocks: 0
; NumSGPRsForWavesPerEU: 4
; NumVGPRsForWavesPerEU: 1
; AccumOffset: 4
; Occupancy: 8
; WaveLimiterHint : 0
; COMPUTE_PGM_RSRC2:SCRATCH_EN: 0
; COMPUTE_PGM_RSRC2:USER_SGPR: 6
; COMPUTE_PGM_RSRC2:TRAP_HANDLER: 0
; COMPUTE_PGM_RSRC2:TGID_X_EN: 1
; COMPUTE_PGM_RSRC2:TGID_Y_EN: 0
; COMPUTE_PGM_RSRC2:TGID_Z_EN: 0
; COMPUTE_PGM_RSRC2:TIDIG_COMP_CNT: 0
; COMPUTE_PGM_RSRC3_GFX90A:ACCUM_OFFSET: 0
; COMPUTE_PGM_RSRC3_GFX90A:TG_SPLIT: 0
	.section	.text._ZN7rocprim17ROCPRIM_400000_NS6detail17trampoline_kernelINS0_13select_configILj256ELj13ELNS0_17block_load_methodE3ELS4_3ELS4_3ELNS0_20block_scan_algorithmE0ELj4294967295EEENS1_25partition_config_selectorILNS1_17partition_subalgoE4EjNS0_10empty_typeEbEEZZNS1_14partition_implILS8_4ELb0ES6_15HIP_vector_typeIjLj2EENS0_17counting_iteratorIjlEEPS9_SG_NS0_5tupleIJPjSI_NS0_16reverse_iteratorISI_EEEEENSH_IJSG_SG_SG_EEES9_SI_JZNS1_25segmented_radix_sort_implINS0_14default_configELb1EPKlPlSQ_SR_N2at6native12_GLOBAL__N_18offset_tEEE10hipError_tPvRmT1_PNSt15iterator_traitsISZ_E10value_typeET2_T3_PNS10_IS15_E10value_typeET4_jRbjT5_S1B_jjP12ihipStream_tbEUljE_ZNSN_ISO_Lb1ESQ_SR_SQ_SR_SV_EESW_SX_SY_SZ_S13_S14_S15_S18_S19_jS1A_jS1B_S1B_jjS1D_bEUljE0_EEESW_SX_SY_S15_S19_S1B_T6_T7_T9_mT8_S1D_bDpT10_ENKUlT_T0_E_clISt17integral_constantIbLb1EES1R_EEDaS1M_S1N_EUlS1M_E_NS1_11comp_targetILNS1_3genE5ELNS1_11target_archE942ELNS1_3gpuE9ELNS1_3repE0EEENS1_30default_config_static_selectorELNS0_4arch9wavefront6targetE1EEEvSZ_,"axG",@progbits,_ZN7rocprim17ROCPRIM_400000_NS6detail17trampoline_kernelINS0_13select_configILj256ELj13ELNS0_17block_load_methodE3ELS4_3ELS4_3ELNS0_20block_scan_algorithmE0ELj4294967295EEENS1_25partition_config_selectorILNS1_17partition_subalgoE4EjNS0_10empty_typeEbEEZZNS1_14partition_implILS8_4ELb0ES6_15HIP_vector_typeIjLj2EENS0_17counting_iteratorIjlEEPS9_SG_NS0_5tupleIJPjSI_NS0_16reverse_iteratorISI_EEEEENSH_IJSG_SG_SG_EEES9_SI_JZNS1_25segmented_radix_sort_implINS0_14default_configELb1EPKlPlSQ_SR_N2at6native12_GLOBAL__N_18offset_tEEE10hipError_tPvRmT1_PNSt15iterator_traitsISZ_E10value_typeET2_T3_PNS10_IS15_E10value_typeET4_jRbjT5_S1B_jjP12ihipStream_tbEUljE_ZNSN_ISO_Lb1ESQ_SR_SQ_SR_SV_EESW_SX_SY_SZ_S13_S14_S15_S18_S19_jS1A_jS1B_S1B_jjS1D_bEUljE0_EEESW_SX_SY_S15_S19_S1B_T6_T7_T9_mT8_S1D_bDpT10_ENKUlT_T0_E_clISt17integral_constantIbLb1EES1R_EEDaS1M_S1N_EUlS1M_E_NS1_11comp_targetILNS1_3genE5ELNS1_11target_archE942ELNS1_3gpuE9ELNS1_3repE0EEENS1_30default_config_static_selectorELNS0_4arch9wavefront6targetE1EEEvSZ_,comdat
	.globl	_ZN7rocprim17ROCPRIM_400000_NS6detail17trampoline_kernelINS0_13select_configILj256ELj13ELNS0_17block_load_methodE3ELS4_3ELS4_3ELNS0_20block_scan_algorithmE0ELj4294967295EEENS1_25partition_config_selectorILNS1_17partition_subalgoE4EjNS0_10empty_typeEbEEZZNS1_14partition_implILS8_4ELb0ES6_15HIP_vector_typeIjLj2EENS0_17counting_iteratorIjlEEPS9_SG_NS0_5tupleIJPjSI_NS0_16reverse_iteratorISI_EEEEENSH_IJSG_SG_SG_EEES9_SI_JZNS1_25segmented_radix_sort_implINS0_14default_configELb1EPKlPlSQ_SR_N2at6native12_GLOBAL__N_18offset_tEEE10hipError_tPvRmT1_PNSt15iterator_traitsISZ_E10value_typeET2_T3_PNS10_IS15_E10value_typeET4_jRbjT5_S1B_jjP12ihipStream_tbEUljE_ZNSN_ISO_Lb1ESQ_SR_SQ_SR_SV_EESW_SX_SY_SZ_S13_S14_S15_S18_S19_jS1A_jS1B_S1B_jjS1D_bEUljE0_EEESW_SX_SY_S15_S19_S1B_T6_T7_T9_mT8_S1D_bDpT10_ENKUlT_T0_E_clISt17integral_constantIbLb1EES1R_EEDaS1M_S1N_EUlS1M_E_NS1_11comp_targetILNS1_3genE5ELNS1_11target_archE942ELNS1_3gpuE9ELNS1_3repE0EEENS1_30default_config_static_selectorELNS0_4arch9wavefront6targetE1EEEvSZ_ ; -- Begin function _ZN7rocprim17ROCPRIM_400000_NS6detail17trampoline_kernelINS0_13select_configILj256ELj13ELNS0_17block_load_methodE3ELS4_3ELS4_3ELNS0_20block_scan_algorithmE0ELj4294967295EEENS1_25partition_config_selectorILNS1_17partition_subalgoE4EjNS0_10empty_typeEbEEZZNS1_14partition_implILS8_4ELb0ES6_15HIP_vector_typeIjLj2EENS0_17counting_iteratorIjlEEPS9_SG_NS0_5tupleIJPjSI_NS0_16reverse_iteratorISI_EEEEENSH_IJSG_SG_SG_EEES9_SI_JZNS1_25segmented_radix_sort_implINS0_14default_configELb1EPKlPlSQ_SR_N2at6native12_GLOBAL__N_18offset_tEEE10hipError_tPvRmT1_PNSt15iterator_traitsISZ_E10value_typeET2_T3_PNS10_IS15_E10value_typeET4_jRbjT5_S1B_jjP12ihipStream_tbEUljE_ZNSN_ISO_Lb1ESQ_SR_SQ_SR_SV_EESW_SX_SY_SZ_S13_S14_S15_S18_S19_jS1A_jS1B_S1B_jjS1D_bEUljE0_EEESW_SX_SY_S15_S19_S1B_T6_T7_T9_mT8_S1D_bDpT10_ENKUlT_T0_E_clISt17integral_constantIbLb1EES1R_EEDaS1M_S1N_EUlS1M_E_NS1_11comp_targetILNS1_3genE5ELNS1_11target_archE942ELNS1_3gpuE9ELNS1_3repE0EEENS1_30default_config_static_selectorELNS0_4arch9wavefront6targetE1EEEvSZ_
	.p2align	8
	.type	_ZN7rocprim17ROCPRIM_400000_NS6detail17trampoline_kernelINS0_13select_configILj256ELj13ELNS0_17block_load_methodE3ELS4_3ELS4_3ELNS0_20block_scan_algorithmE0ELj4294967295EEENS1_25partition_config_selectorILNS1_17partition_subalgoE4EjNS0_10empty_typeEbEEZZNS1_14partition_implILS8_4ELb0ES6_15HIP_vector_typeIjLj2EENS0_17counting_iteratorIjlEEPS9_SG_NS0_5tupleIJPjSI_NS0_16reverse_iteratorISI_EEEEENSH_IJSG_SG_SG_EEES9_SI_JZNS1_25segmented_radix_sort_implINS0_14default_configELb1EPKlPlSQ_SR_N2at6native12_GLOBAL__N_18offset_tEEE10hipError_tPvRmT1_PNSt15iterator_traitsISZ_E10value_typeET2_T3_PNS10_IS15_E10value_typeET4_jRbjT5_S1B_jjP12ihipStream_tbEUljE_ZNSN_ISO_Lb1ESQ_SR_SQ_SR_SV_EESW_SX_SY_SZ_S13_S14_S15_S18_S19_jS1A_jS1B_S1B_jjS1D_bEUljE0_EEESW_SX_SY_S15_S19_S1B_T6_T7_T9_mT8_S1D_bDpT10_ENKUlT_T0_E_clISt17integral_constantIbLb1EES1R_EEDaS1M_S1N_EUlS1M_E_NS1_11comp_targetILNS1_3genE5ELNS1_11target_archE942ELNS1_3gpuE9ELNS1_3repE0EEENS1_30default_config_static_selectorELNS0_4arch9wavefront6targetE1EEEvSZ_,@function
_ZN7rocprim17ROCPRIM_400000_NS6detail17trampoline_kernelINS0_13select_configILj256ELj13ELNS0_17block_load_methodE3ELS4_3ELS4_3ELNS0_20block_scan_algorithmE0ELj4294967295EEENS1_25partition_config_selectorILNS1_17partition_subalgoE4EjNS0_10empty_typeEbEEZZNS1_14partition_implILS8_4ELb0ES6_15HIP_vector_typeIjLj2EENS0_17counting_iteratorIjlEEPS9_SG_NS0_5tupleIJPjSI_NS0_16reverse_iteratorISI_EEEEENSH_IJSG_SG_SG_EEES9_SI_JZNS1_25segmented_radix_sort_implINS0_14default_configELb1EPKlPlSQ_SR_N2at6native12_GLOBAL__N_18offset_tEEE10hipError_tPvRmT1_PNSt15iterator_traitsISZ_E10value_typeET2_T3_PNS10_IS15_E10value_typeET4_jRbjT5_S1B_jjP12ihipStream_tbEUljE_ZNSN_ISO_Lb1ESQ_SR_SQ_SR_SV_EESW_SX_SY_SZ_S13_S14_S15_S18_S19_jS1A_jS1B_S1B_jjS1D_bEUljE0_EEESW_SX_SY_S15_S19_S1B_T6_T7_T9_mT8_S1D_bDpT10_ENKUlT_T0_E_clISt17integral_constantIbLb1EES1R_EEDaS1M_S1N_EUlS1M_E_NS1_11comp_targetILNS1_3genE5ELNS1_11target_archE942ELNS1_3gpuE9ELNS1_3repE0EEENS1_30default_config_static_selectorELNS0_4arch9wavefront6targetE1EEEvSZ_: ; @_ZN7rocprim17ROCPRIM_400000_NS6detail17trampoline_kernelINS0_13select_configILj256ELj13ELNS0_17block_load_methodE3ELS4_3ELS4_3ELNS0_20block_scan_algorithmE0ELj4294967295EEENS1_25partition_config_selectorILNS1_17partition_subalgoE4EjNS0_10empty_typeEbEEZZNS1_14partition_implILS8_4ELb0ES6_15HIP_vector_typeIjLj2EENS0_17counting_iteratorIjlEEPS9_SG_NS0_5tupleIJPjSI_NS0_16reverse_iteratorISI_EEEEENSH_IJSG_SG_SG_EEES9_SI_JZNS1_25segmented_radix_sort_implINS0_14default_configELb1EPKlPlSQ_SR_N2at6native12_GLOBAL__N_18offset_tEEE10hipError_tPvRmT1_PNSt15iterator_traitsISZ_E10value_typeET2_T3_PNS10_IS15_E10value_typeET4_jRbjT5_S1B_jjP12ihipStream_tbEUljE_ZNSN_ISO_Lb1ESQ_SR_SQ_SR_SV_EESW_SX_SY_SZ_S13_S14_S15_S18_S19_jS1A_jS1B_S1B_jjS1D_bEUljE0_EEESW_SX_SY_S15_S19_S1B_T6_T7_T9_mT8_S1D_bDpT10_ENKUlT_T0_E_clISt17integral_constantIbLb1EES1R_EEDaS1M_S1N_EUlS1M_E_NS1_11comp_targetILNS1_3genE5ELNS1_11target_archE942ELNS1_3gpuE9ELNS1_3repE0EEENS1_30default_config_static_selectorELNS0_4arch9wavefront6targetE1EEEvSZ_
; %bb.0:
	.section	.rodata,"a",@progbits
	.p2align	6, 0x0
	.amdhsa_kernel _ZN7rocprim17ROCPRIM_400000_NS6detail17trampoline_kernelINS0_13select_configILj256ELj13ELNS0_17block_load_methodE3ELS4_3ELS4_3ELNS0_20block_scan_algorithmE0ELj4294967295EEENS1_25partition_config_selectorILNS1_17partition_subalgoE4EjNS0_10empty_typeEbEEZZNS1_14partition_implILS8_4ELb0ES6_15HIP_vector_typeIjLj2EENS0_17counting_iteratorIjlEEPS9_SG_NS0_5tupleIJPjSI_NS0_16reverse_iteratorISI_EEEEENSH_IJSG_SG_SG_EEES9_SI_JZNS1_25segmented_radix_sort_implINS0_14default_configELb1EPKlPlSQ_SR_N2at6native12_GLOBAL__N_18offset_tEEE10hipError_tPvRmT1_PNSt15iterator_traitsISZ_E10value_typeET2_T3_PNS10_IS15_E10value_typeET4_jRbjT5_S1B_jjP12ihipStream_tbEUljE_ZNSN_ISO_Lb1ESQ_SR_SQ_SR_SV_EESW_SX_SY_SZ_S13_S14_S15_S18_S19_jS1A_jS1B_S1B_jjS1D_bEUljE0_EEESW_SX_SY_S15_S19_S1B_T6_T7_T9_mT8_S1D_bDpT10_ENKUlT_T0_E_clISt17integral_constantIbLb1EES1R_EEDaS1M_S1N_EUlS1M_E_NS1_11comp_targetILNS1_3genE5ELNS1_11target_archE942ELNS1_3gpuE9ELNS1_3repE0EEENS1_30default_config_static_selectorELNS0_4arch9wavefront6targetE1EEEvSZ_
		.amdhsa_group_segment_fixed_size 0
		.amdhsa_private_segment_fixed_size 0
		.amdhsa_kernarg_size 184
		.amdhsa_user_sgpr_count 6
		.amdhsa_user_sgpr_private_segment_buffer 1
		.amdhsa_user_sgpr_dispatch_ptr 0
		.amdhsa_user_sgpr_queue_ptr 0
		.amdhsa_user_sgpr_kernarg_segment_ptr 1
		.amdhsa_user_sgpr_dispatch_id 0
		.amdhsa_user_sgpr_flat_scratch_init 0
		.amdhsa_user_sgpr_kernarg_preload_length 0
		.amdhsa_user_sgpr_kernarg_preload_offset 0
		.amdhsa_user_sgpr_private_segment_size 0
		.amdhsa_uses_dynamic_stack 0
		.amdhsa_system_sgpr_private_segment_wavefront_offset 0
		.amdhsa_system_sgpr_workgroup_id_x 1
		.amdhsa_system_sgpr_workgroup_id_y 0
		.amdhsa_system_sgpr_workgroup_id_z 0
		.amdhsa_system_sgpr_workgroup_info 0
		.amdhsa_system_vgpr_workitem_id 0
		.amdhsa_next_free_vgpr 1
		.amdhsa_next_free_sgpr 0
		.amdhsa_accum_offset 4
		.amdhsa_reserve_vcc 0
		.amdhsa_reserve_flat_scratch 0
		.amdhsa_float_round_mode_32 0
		.amdhsa_float_round_mode_16_64 0
		.amdhsa_float_denorm_mode_32 3
		.amdhsa_float_denorm_mode_16_64 3
		.amdhsa_dx10_clamp 1
		.amdhsa_ieee_mode 1
		.amdhsa_fp16_overflow 0
		.amdhsa_tg_split 0
		.amdhsa_exception_fp_ieee_invalid_op 0
		.amdhsa_exception_fp_denorm_src 0
		.amdhsa_exception_fp_ieee_div_zero 0
		.amdhsa_exception_fp_ieee_overflow 0
		.amdhsa_exception_fp_ieee_underflow 0
		.amdhsa_exception_fp_ieee_inexact 0
		.amdhsa_exception_int_div_zero 0
	.end_amdhsa_kernel
	.section	.text._ZN7rocprim17ROCPRIM_400000_NS6detail17trampoline_kernelINS0_13select_configILj256ELj13ELNS0_17block_load_methodE3ELS4_3ELS4_3ELNS0_20block_scan_algorithmE0ELj4294967295EEENS1_25partition_config_selectorILNS1_17partition_subalgoE4EjNS0_10empty_typeEbEEZZNS1_14partition_implILS8_4ELb0ES6_15HIP_vector_typeIjLj2EENS0_17counting_iteratorIjlEEPS9_SG_NS0_5tupleIJPjSI_NS0_16reverse_iteratorISI_EEEEENSH_IJSG_SG_SG_EEES9_SI_JZNS1_25segmented_radix_sort_implINS0_14default_configELb1EPKlPlSQ_SR_N2at6native12_GLOBAL__N_18offset_tEEE10hipError_tPvRmT1_PNSt15iterator_traitsISZ_E10value_typeET2_T3_PNS10_IS15_E10value_typeET4_jRbjT5_S1B_jjP12ihipStream_tbEUljE_ZNSN_ISO_Lb1ESQ_SR_SQ_SR_SV_EESW_SX_SY_SZ_S13_S14_S15_S18_S19_jS1A_jS1B_S1B_jjS1D_bEUljE0_EEESW_SX_SY_S15_S19_S1B_T6_T7_T9_mT8_S1D_bDpT10_ENKUlT_T0_E_clISt17integral_constantIbLb1EES1R_EEDaS1M_S1N_EUlS1M_E_NS1_11comp_targetILNS1_3genE5ELNS1_11target_archE942ELNS1_3gpuE9ELNS1_3repE0EEENS1_30default_config_static_selectorELNS0_4arch9wavefront6targetE1EEEvSZ_,"axG",@progbits,_ZN7rocprim17ROCPRIM_400000_NS6detail17trampoline_kernelINS0_13select_configILj256ELj13ELNS0_17block_load_methodE3ELS4_3ELS4_3ELNS0_20block_scan_algorithmE0ELj4294967295EEENS1_25partition_config_selectorILNS1_17partition_subalgoE4EjNS0_10empty_typeEbEEZZNS1_14partition_implILS8_4ELb0ES6_15HIP_vector_typeIjLj2EENS0_17counting_iteratorIjlEEPS9_SG_NS0_5tupleIJPjSI_NS0_16reverse_iteratorISI_EEEEENSH_IJSG_SG_SG_EEES9_SI_JZNS1_25segmented_radix_sort_implINS0_14default_configELb1EPKlPlSQ_SR_N2at6native12_GLOBAL__N_18offset_tEEE10hipError_tPvRmT1_PNSt15iterator_traitsISZ_E10value_typeET2_T3_PNS10_IS15_E10value_typeET4_jRbjT5_S1B_jjP12ihipStream_tbEUljE_ZNSN_ISO_Lb1ESQ_SR_SQ_SR_SV_EESW_SX_SY_SZ_S13_S14_S15_S18_S19_jS1A_jS1B_S1B_jjS1D_bEUljE0_EEESW_SX_SY_S15_S19_S1B_T6_T7_T9_mT8_S1D_bDpT10_ENKUlT_T0_E_clISt17integral_constantIbLb1EES1R_EEDaS1M_S1N_EUlS1M_E_NS1_11comp_targetILNS1_3genE5ELNS1_11target_archE942ELNS1_3gpuE9ELNS1_3repE0EEENS1_30default_config_static_selectorELNS0_4arch9wavefront6targetE1EEEvSZ_,comdat
.Lfunc_end649:
	.size	_ZN7rocprim17ROCPRIM_400000_NS6detail17trampoline_kernelINS0_13select_configILj256ELj13ELNS0_17block_load_methodE3ELS4_3ELS4_3ELNS0_20block_scan_algorithmE0ELj4294967295EEENS1_25partition_config_selectorILNS1_17partition_subalgoE4EjNS0_10empty_typeEbEEZZNS1_14partition_implILS8_4ELb0ES6_15HIP_vector_typeIjLj2EENS0_17counting_iteratorIjlEEPS9_SG_NS0_5tupleIJPjSI_NS0_16reverse_iteratorISI_EEEEENSH_IJSG_SG_SG_EEES9_SI_JZNS1_25segmented_radix_sort_implINS0_14default_configELb1EPKlPlSQ_SR_N2at6native12_GLOBAL__N_18offset_tEEE10hipError_tPvRmT1_PNSt15iterator_traitsISZ_E10value_typeET2_T3_PNS10_IS15_E10value_typeET4_jRbjT5_S1B_jjP12ihipStream_tbEUljE_ZNSN_ISO_Lb1ESQ_SR_SQ_SR_SV_EESW_SX_SY_SZ_S13_S14_S15_S18_S19_jS1A_jS1B_S1B_jjS1D_bEUljE0_EEESW_SX_SY_S15_S19_S1B_T6_T7_T9_mT8_S1D_bDpT10_ENKUlT_T0_E_clISt17integral_constantIbLb1EES1R_EEDaS1M_S1N_EUlS1M_E_NS1_11comp_targetILNS1_3genE5ELNS1_11target_archE942ELNS1_3gpuE9ELNS1_3repE0EEENS1_30default_config_static_selectorELNS0_4arch9wavefront6targetE1EEEvSZ_, .Lfunc_end649-_ZN7rocprim17ROCPRIM_400000_NS6detail17trampoline_kernelINS0_13select_configILj256ELj13ELNS0_17block_load_methodE3ELS4_3ELS4_3ELNS0_20block_scan_algorithmE0ELj4294967295EEENS1_25partition_config_selectorILNS1_17partition_subalgoE4EjNS0_10empty_typeEbEEZZNS1_14partition_implILS8_4ELb0ES6_15HIP_vector_typeIjLj2EENS0_17counting_iteratorIjlEEPS9_SG_NS0_5tupleIJPjSI_NS0_16reverse_iteratorISI_EEEEENSH_IJSG_SG_SG_EEES9_SI_JZNS1_25segmented_radix_sort_implINS0_14default_configELb1EPKlPlSQ_SR_N2at6native12_GLOBAL__N_18offset_tEEE10hipError_tPvRmT1_PNSt15iterator_traitsISZ_E10value_typeET2_T3_PNS10_IS15_E10value_typeET4_jRbjT5_S1B_jjP12ihipStream_tbEUljE_ZNSN_ISO_Lb1ESQ_SR_SQ_SR_SV_EESW_SX_SY_SZ_S13_S14_S15_S18_S19_jS1A_jS1B_S1B_jjS1D_bEUljE0_EEESW_SX_SY_S15_S19_S1B_T6_T7_T9_mT8_S1D_bDpT10_ENKUlT_T0_E_clISt17integral_constantIbLb1EES1R_EEDaS1M_S1N_EUlS1M_E_NS1_11comp_targetILNS1_3genE5ELNS1_11target_archE942ELNS1_3gpuE9ELNS1_3repE0EEENS1_30default_config_static_selectorELNS0_4arch9wavefront6targetE1EEEvSZ_
                                        ; -- End function
	.section	.AMDGPU.csdata,"",@progbits
; Kernel info:
; codeLenInByte = 0
; NumSgprs: 4
; NumVgprs: 0
; NumAgprs: 0
; TotalNumVgprs: 0
; ScratchSize: 0
; MemoryBound: 0
; FloatMode: 240
; IeeeMode: 1
; LDSByteSize: 0 bytes/workgroup (compile time only)
; SGPRBlocks: 0
; VGPRBlocks: 0
; NumSGPRsForWavesPerEU: 4
; NumVGPRsForWavesPerEU: 1
; AccumOffset: 4
; Occupancy: 8
; WaveLimiterHint : 0
; COMPUTE_PGM_RSRC2:SCRATCH_EN: 0
; COMPUTE_PGM_RSRC2:USER_SGPR: 6
; COMPUTE_PGM_RSRC2:TRAP_HANDLER: 0
; COMPUTE_PGM_RSRC2:TGID_X_EN: 1
; COMPUTE_PGM_RSRC2:TGID_Y_EN: 0
; COMPUTE_PGM_RSRC2:TGID_Z_EN: 0
; COMPUTE_PGM_RSRC2:TIDIG_COMP_CNT: 0
; COMPUTE_PGM_RSRC3_GFX90A:ACCUM_OFFSET: 0
; COMPUTE_PGM_RSRC3_GFX90A:TG_SPLIT: 0
	.section	.text._ZN7rocprim17ROCPRIM_400000_NS6detail17trampoline_kernelINS0_13select_configILj256ELj13ELNS0_17block_load_methodE3ELS4_3ELS4_3ELNS0_20block_scan_algorithmE0ELj4294967295EEENS1_25partition_config_selectorILNS1_17partition_subalgoE4EjNS0_10empty_typeEbEEZZNS1_14partition_implILS8_4ELb0ES6_15HIP_vector_typeIjLj2EENS0_17counting_iteratorIjlEEPS9_SG_NS0_5tupleIJPjSI_NS0_16reverse_iteratorISI_EEEEENSH_IJSG_SG_SG_EEES9_SI_JZNS1_25segmented_radix_sort_implINS0_14default_configELb1EPKlPlSQ_SR_N2at6native12_GLOBAL__N_18offset_tEEE10hipError_tPvRmT1_PNSt15iterator_traitsISZ_E10value_typeET2_T3_PNS10_IS15_E10value_typeET4_jRbjT5_S1B_jjP12ihipStream_tbEUljE_ZNSN_ISO_Lb1ESQ_SR_SQ_SR_SV_EESW_SX_SY_SZ_S13_S14_S15_S18_S19_jS1A_jS1B_S1B_jjS1D_bEUljE0_EEESW_SX_SY_S15_S19_S1B_T6_T7_T9_mT8_S1D_bDpT10_ENKUlT_T0_E_clISt17integral_constantIbLb1EES1R_EEDaS1M_S1N_EUlS1M_E_NS1_11comp_targetILNS1_3genE4ELNS1_11target_archE910ELNS1_3gpuE8ELNS1_3repE0EEENS1_30default_config_static_selectorELNS0_4arch9wavefront6targetE1EEEvSZ_,"axG",@progbits,_ZN7rocprim17ROCPRIM_400000_NS6detail17trampoline_kernelINS0_13select_configILj256ELj13ELNS0_17block_load_methodE3ELS4_3ELS4_3ELNS0_20block_scan_algorithmE0ELj4294967295EEENS1_25partition_config_selectorILNS1_17partition_subalgoE4EjNS0_10empty_typeEbEEZZNS1_14partition_implILS8_4ELb0ES6_15HIP_vector_typeIjLj2EENS0_17counting_iteratorIjlEEPS9_SG_NS0_5tupleIJPjSI_NS0_16reverse_iteratorISI_EEEEENSH_IJSG_SG_SG_EEES9_SI_JZNS1_25segmented_radix_sort_implINS0_14default_configELb1EPKlPlSQ_SR_N2at6native12_GLOBAL__N_18offset_tEEE10hipError_tPvRmT1_PNSt15iterator_traitsISZ_E10value_typeET2_T3_PNS10_IS15_E10value_typeET4_jRbjT5_S1B_jjP12ihipStream_tbEUljE_ZNSN_ISO_Lb1ESQ_SR_SQ_SR_SV_EESW_SX_SY_SZ_S13_S14_S15_S18_S19_jS1A_jS1B_S1B_jjS1D_bEUljE0_EEESW_SX_SY_S15_S19_S1B_T6_T7_T9_mT8_S1D_bDpT10_ENKUlT_T0_E_clISt17integral_constantIbLb1EES1R_EEDaS1M_S1N_EUlS1M_E_NS1_11comp_targetILNS1_3genE4ELNS1_11target_archE910ELNS1_3gpuE8ELNS1_3repE0EEENS1_30default_config_static_selectorELNS0_4arch9wavefront6targetE1EEEvSZ_,comdat
	.globl	_ZN7rocprim17ROCPRIM_400000_NS6detail17trampoline_kernelINS0_13select_configILj256ELj13ELNS0_17block_load_methodE3ELS4_3ELS4_3ELNS0_20block_scan_algorithmE0ELj4294967295EEENS1_25partition_config_selectorILNS1_17partition_subalgoE4EjNS0_10empty_typeEbEEZZNS1_14partition_implILS8_4ELb0ES6_15HIP_vector_typeIjLj2EENS0_17counting_iteratorIjlEEPS9_SG_NS0_5tupleIJPjSI_NS0_16reverse_iteratorISI_EEEEENSH_IJSG_SG_SG_EEES9_SI_JZNS1_25segmented_radix_sort_implINS0_14default_configELb1EPKlPlSQ_SR_N2at6native12_GLOBAL__N_18offset_tEEE10hipError_tPvRmT1_PNSt15iterator_traitsISZ_E10value_typeET2_T3_PNS10_IS15_E10value_typeET4_jRbjT5_S1B_jjP12ihipStream_tbEUljE_ZNSN_ISO_Lb1ESQ_SR_SQ_SR_SV_EESW_SX_SY_SZ_S13_S14_S15_S18_S19_jS1A_jS1B_S1B_jjS1D_bEUljE0_EEESW_SX_SY_S15_S19_S1B_T6_T7_T9_mT8_S1D_bDpT10_ENKUlT_T0_E_clISt17integral_constantIbLb1EES1R_EEDaS1M_S1N_EUlS1M_E_NS1_11comp_targetILNS1_3genE4ELNS1_11target_archE910ELNS1_3gpuE8ELNS1_3repE0EEENS1_30default_config_static_selectorELNS0_4arch9wavefront6targetE1EEEvSZ_ ; -- Begin function _ZN7rocprim17ROCPRIM_400000_NS6detail17trampoline_kernelINS0_13select_configILj256ELj13ELNS0_17block_load_methodE3ELS4_3ELS4_3ELNS0_20block_scan_algorithmE0ELj4294967295EEENS1_25partition_config_selectorILNS1_17partition_subalgoE4EjNS0_10empty_typeEbEEZZNS1_14partition_implILS8_4ELb0ES6_15HIP_vector_typeIjLj2EENS0_17counting_iteratorIjlEEPS9_SG_NS0_5tupleIJPjSI_NS0_16reverse_iteratorISI_EEEEENSH_IJSG_SG_SG_EEES9_SI_JZNS1_25segmented_radix_sort_implINS0_14default_configELb1EPKlPlSQ_SR_N2at6native12_GLOBAL__N_18offset_tEEE10hipError_tPvRmT1_PNSt15iterator_traitsISZ_E10value_typeET2_T3_PNS10_IS15_E10value_typeET4_jRbjT5_S1B_jjP12ihipStream_tbEUljE_ZNSN_ISO_Lb1ESQ_SR_SQ_SR_SV_EESW_SX_SY_SZ_S13_S14_S15_S18_S19_jS1A_jS1B_S1B_jjS1D_bEUljE0_EEESW_SX_SY_S15_S19_S1B_T6_T7_T9_mT8_S1D_bDpT10_ENKUlT_T0_E_clISt17integral_constantIbLb1EES1R_EEDaS1M_S1N_EUlS1M_E_NS1_11comp_targetILNS1_3genE4ELNS1_11target_archE910ELNS1_3gpuE8ELNS1_3repE0EEENS1_30default_config_static_selectorELNS0_4arch9wavefront6targetE1EEEvSZ_
	.p2align	8
	.type	_ZN7rocprim17ROCPRIM_400000_NS6detail17trampoline_kernelINS0_13select_configILj256ELj13ELNS0_17block_load_methodE3ELS4_3ELS4_3ELNS0_20block_scan_algorithmE0ELj4294967295EEENS1_25partition_config_selectorILNS1_17partition_subalgoE4EjNS0_10empty_typeEbEEZZNS1_14partition_implILS8_4ELb0ES6_15HIP_vector_typeIjLj2EENS0_17counting_iteratorIjlEEPS9_SG_NS0_5tupleIJPjSI_NS0_16reverse_iteratorISI_EEEEENSH_IJSG_SG_SG_EEES9_SI_JZNS1_25segmented_radix_sort_implINS0_14default_configELb1EPKlPlSQ_SR_N2at6native12_GLOBAL__N_18offset_tEEE10hipError_tPvRmT1_PNSt15iterator_traitsISZ_E10value_typeET2_T3_PNS10_IS15_E10value_typeET4_jRbjT5_S1B_jjP12ihipStream_tbEUljE_ZNSN_ISO_Lb1ESQ_SR_SQ_SR_SV_EESW_SX_SY_SZ_S13_S14_S15_S18_S19_jS1A_jS1B_S1B_jjS1D_bEUljE0_EEESW_SX_SY_S15_S19_S1B_T6_T7_T9_mT8_S1D_bDpT10_ENKUlT_T0_E_clISt17integral_constantIbLb1EES1R_EEDaS1M_S1N_EUlS1M_E_NS1_11comp_targetILNS1_3genE4ELNS1_11target_archE910ELNS1_3gpuE8ELNS1_3repE0EEENS1_30default_config_static_selectorELNS0_4arch9wavefront6targetE1EEEvSZ_,@function
_ZN7rocprim17ROCPRIM_400000_NS6detail17trampoline_kernelINS0_13select_configILj256ELj13ELNS0_17block_load_methodE3ELS4_3ELS4_3ELNS0_20block_scan_algorithmE0ELj4294967295EEENS1_25partition_config_selectorILNS1_17partition_subalgoE4EjNS0_10empty_typeEbEEZZNS1_14partition_implILS8_4ELb0ES6_15HIP_vector_typeIjLj2EENS0_17counting_iteratorIjlEEPS9_SG_NS0_5tupleIJPjSI_NS0_16reverse_iteratorISI_EEEEENSH_IJSG_SG_SG_EEES9_SI_JZNS1_25segmented_radix_sort_implINS0_14default_configELb1EPKlPlSQ_SR_N2at6native12_GLOBAL__N_18offset_tEEE10hipError_tPvRmT1_PNSt15iterator_traitsISZ_E10value_typeET2_T3_PNS10_IS15_E10value_typeET4_jRbjT5_S1B_jjP12ihipStream_tbEUljE_ZNSN_ISO_Lb1ESQ_SR_SQ_SR_SV_EESW_SX_SY_SZ_S13_S14_S15_S18_S19_jS1A_jS1B_S1B_jjS1D_bEUljE0_EEESW_SX_SY_S15_S19_S1B_T6_T7_T9_mT8_S1D_bDpT10_ENKUlT_T0_E_clISt17integral_constantIbLb1EES1R_EEDaS1M_S1N_EUlS1M_E_NS1_11comp_targetILNS1_3genE4ELNS1_11target_archE910ELNS1_3gpuE8ELNS1_3repE0EEENS1_30default_config_static_selectorELNS0_4arch9wavefront6targetE1EEEvSZ_: ; @_ZN7rocprim17ROCPRIM_400000_NS6detail17trampoline_kernelINS0_13select_configILj256ELj13ELNS0_17block_load_methodE3ELS4_3ELS4_3ELNS0_20block_scan_algorithmE0ELj4294967295EEENS1_25partition_config_selectorILNS1_17partition_subalgoE4EjNS0_10empty_typeEbEEZZNS1_14partition_implILS8_4ELb0ES6_15HIP_vector_typeIjLj2EENS0_17counting_iteratorIjlEEPS9_SG_NS0_5tupleIJPjSI_NS0_16reverse_iteratorISI_EEEEENSH_IJSG_SG_SG_EEES9_SI_JZNS1_25segmented_radix_sort_implINS0_14default_configELb1EPKlPlSQ_SR_N2at6native12_GLOBAL__N_18offset_tEEE10hipError_tPvRmT1_PNSt15iterator_traitsISZ_E10value_typeET2_T3_PNS10_IS15_E10value_typeET4_jRbjT5_S1B_jjP12ihipStream_tbEUljE_ZNSN_ISO_Lb1ESQ_SR_SQ_SR_SV_EESW_SX_SY_SZ_S13_S14_S15_S18_S19_jS1A_jS1B_S1B_jjS1D_bEUljE0_EEESW_SX_SY_S15_S19_S1B_T6_T7_T9_mT8_S1D_bDpT10_ENKUlT_T0_E_clISt17integral_constantIbLb1EES1R_EEDaS1M_S1N_EUlS1M_E_NS1_11comp_targetILNS1_3genE4ELNS1_11target_archE910ELNS1_3gpuE8ELNS1_3repE0EEENS1_30default_config_static_selectorELNS0_4arch9wavefront6targetE1EEEvSZ_
; %bb.0:
	s_load_dwordx2 s[48:49], s[4:5], 0x10
	s_load_dwordx4 s[44:47], s[4:5], 0x28
	s_load_dwordx2 s[34:35], s[4:5], 0x38
	s_load_dwordx4 s[28:31], s[4:5], 0x58
	s_load_dwordx2 s[2:3], s[4:5], 0x68
	s_load_dwordx2 s[50:51], s[4:5], 0x78
	;; [unrolled: 1-line block ×3, first 2 shown]
	s_load_dwordx8 s[36:43], s[4:5], 0x90
	v_cmp_eq_u32_e64 s[0:1], 0, v0
	s_and_saveexec_b64 s[6:7], s[0:1]
	s_cbranch_execz .LBB650_4
; %bb.1:
	s_mov_b64 s[10:11], exec
	v_mbcnt_lo_u32_b32 v1, s10, 0
	v_mbcnt_hi_u32_b32 v1, s11, v1
	v_cmp_eq_u32_e32 vcc, 0, v1
                                        ; implicit-def: $vgpr2
	s_and_saveexec_b64 s[8:9], vcc
	s_cbranch_execz .LBB650_3
; %bb.2:
	s_load_dwordx2 s[12:13], s[4:5], 0x88
	s_bcnt1_i32_b64 s10, s[10:11]
	v_mov_b32_e32 v2, 0
	v_mov_b32_e32 v3, s10
	s_waitcnt lgkmcnt(0)
	global_atomic_add v2, v2, v3, s[12:13] glc
.LBB650_3:
	s_or_b64 exec, exec, s[8:9]
	s_waitcnt vmcnt(0)
	v_readfirstlane_b32 s8, v2
	v_add_u32_e32 v1, s8, v1
	v_mov_b32_e32 v2, 0
	ds_write_b32 v2, v1
.LBB650_4:
	s_or_b64 exec, exec, s[6:7]
	v_mov_b32_e32 v1, 0
	s_load_dword s7, s[4:5], 0x8
	s_load_dword s6, s[4:5], 0x80
	s_waitcnt lgkmcnt(0)
	s_barrier
	ds_read_b32 v8, v1
	s_waitcnt lgkmcnt(0)
	s_barrier
	global_load_dwordx4 v[2:5], v1, s[30:31]
	v_mov_b32_e32 v7, s3
	s_movk_i32 s3, 0xd00
	s_add_i32 s8, s7, s48
	v_mul_lo_u32 v34, v8, s3
	s_add_i32 s7, s6, -1
	s_mul_i32 s3, s6, 0xd00
	s_add_u32 s4, s48, s3
	v_readfirstlane_b32 s33, v8
	s_addc_u32 s5, s49, 0
	s_cmp_eq_u32 s33, s7
	v_mov_b32_e32 v6, s2
	s_cselect_b64 s[30:31], -1, 0
	s_cmp_lg_u32 s33, s7
	v_cmp_lt_u64_e32 vcc, s[4:5], v[6:7]
	s_cselect_b64 s[4:5], -1, 0
	s_or_b64 s[4:5], vcc, s[4:5]
	v_add_u32_e32 v1, s8, v34
	s_mov_b64 s[6:7], -1
	s_and_b64 vcc, exec, s[4:5]
	v_add_u32_e32 v1, v1, v0
	s_cbranch_vccz .LBB650_6
; %bb.5:
	v_add_u32_e32 v6, 0x100, v1
	v_lshlrev_b32_e32 v18, 2, v0
	v_add_u32_e32 v7, 0x200, v1
	v_add_u32_e32 v8, 0x300, v1
	;; [unrolled: 1-line block ×11, first 2 shown]
	ds_write2st64_b32 v18, v1, v6 offset1:4
	ds_write2st64_b32 v18, v7, v8 offset0:8 offset1:12
	ds_write2st64_b32 v18, v9, v10 offset0:16 offset1:20
	;; [unrolled: 1-line block ×5, first 2 shown]
	ds_write_b32 v18, v17 offset:12288
	s_waitcnt lgkmcnt(0)
	s_barrier
	s_mov_b64 s[6:7], 0
.LBB650_6:
	s_andn2_b64 vcc, exec, s[6:7]
	s_add_i32 s3, s3, s48
	s_cbranch_vccnz .LBB650_8
; %bb.7:
	v_add_u32_e32 v6, 0x100, v1
	v_lshlrev_b32_e32 v18, 2, v0
	v_add_u32_e32 v7, 0x200, v1
	v_add_u32_e32 v8, 0x300, v1
	;; [unrolled: 1-line block ×11, first 2 shown]
	ds_write2st64_b32 v18, v1, v6 offset1:4
	ds_write2st64_b32 v18, v7, v8 offset0:8 offset1:12
	ds_write2st64_b32 v18, v9, v10 offset0:16 offset1:20
	;; [unrolled: 1-line block ×5, first 2 shown]
	ds_write_b32 v18, v17 offset:12288
	s_waitcnt lgkmcnt(0)
	s_barrier
.LBB650_8:
	v_mul_u32_u24_e32 v36, 13, v0
	v_lshlrev_b32_e32 v1, 2, v36
	ds_read2_b32 v[22:23], v1 offset1:1
	ds_read2_b32 v[20:21], v1 offset0:2 offset1:3
	ds_read2_b32 v[18:19], v1 offset0:4 offset1:5
	;; [unrolled: 1-line block ×5, first 2 shown]
	ds_read_b32 v35, v1 offset:48
	v_cndmask_b32_e64 v1, 0, 1, s[4:5]
	s_sub_i32 s86, s2, s3
	v_cmp_ne_u32_e64 s[2:3], 1, v1
	s_andn2_b64 vcc, exec, s[4:5]
	s_waitcnt lgkmcnt(0)
	s_barrier
	s_cbranch_vccnz .LBB650_36
; %bb.9:
	v_add_u32_e32 v1, s37, v22
	v_add_u32_e32 v6, s39, v22
	v_mul_lo_u32 v1, v1, s36
	v_mul_lo_u32 v6, v6, s38
	v_sub_u32_e32 v1, v1, v6
	v_cmp_lt_u32_e32 vcc, s40, v1
	v_cmp_ge_u32_e64 s[4:5], s40, v1
	s_mov_b64 s[60:61], 0
	s_mov_b64 s[58:59], 0
	s_and_saveexec_b64 s[6:7], s[4:5]
; %bb.10:
	v_add_u32_e32 v1, s42, v22
	v_add_u32_e32 v6, s56, v22
	v_mul_lo_u32 v1, v1, s41
	v_mul_lo_u32 v6, v6, s43
	v_sub_u32_e32 v1, v1, v6
	v_cmp_lt_u32_e64 s[4:5], s57, v1
	s_and_b64 s[58:59], s[4:5], exec
; %bb.11:
	s_or_b64 exec, exec, s[6:7]
	v_add_u32_e32 v1, s37, v23
	v_add_u32_e32 v6, s39, v23
	v_mul_lo_u32 v1, v1, s36
	v_mul_lo_u32 v6, v6, s38
	v_sub_u32_e32 v1, v1, v6
	v_cmp_lt_u32_e64 s[4:5], s40, v1
	v_cmp_ge_u32_e64 s[6:7], s40, v1
	s_and_saveexec_b64 s[8:9], s[6:7]
; %bb.12:
	v_add_u32_e32 v1, s42, v23
	v_add_u32_e32 v6, s56, v23
	v_mul_lo_u32 v1, v1, s41
	v_mul_lo_u32 v6, v6, s43
	v_sub_u32_e32 v1, v1, v6
	v_cmp_lt_u32_e64 s[6:7], s57, v1
	s_and_b64 s[60:61], s[6:7], exec
; %bb.13:
	s_or_b64 exec, exec, s[8:9]
	v_add_u32_e32 v1, s37, v20
	v_add_u32_e32 v6, s39, v20
	v_mul_lo_u32 v1, v1, s36
	v_mul_lo_u32 v6, v6, s38
	v_sub_u32_e32 v1, v1, v6
	v_cmp_lt_u32_e64 s[6:7], s40, v1
	v_cmp_ge_u32_e64 s[8:9], s40, v1
	s_mov_b64 s[64:65], 0
	s_mov_b64 s[62:63], 0
	s_and_saveexec_b64 s[10:11], s[8:9]
; %bb.14:
	v_add_u32_e32 v1, s42, v20
	v_add_u32_e32 v6, s56, v20
	v_mul_lo_u32 v1, v1, s41
	v_mul_lo_u32 v6, v6, s43
	v_sub_u32_e32 v1, v1, v6
	v_cmp_lt_u32_e64 s[8:9], s57, v1
	s_and_b64 s[62:63], s[8:9], exec
; %bb.15:
	s_or_b64 exec, exec, s[10:11]
	v_add_u32_e32 v1, s37, v21
	v_add_u32_e32 v6, s39, v21
	v_mul_lo_u32 v1, v1, s36
	v_mul_lo_u32 v6, v6, s38
	v_sub_u32_e32 v1, v1, v6
	v_cmp_lt_u32_e64 s[8:9], s40, v1
	v_cmp_ge_u32_e64 s[10:11], s40, v1
	s_and_saveexec_b64 s[12:13], s[10:11]
; %bb.16:
	v_add_u32_e32 v1, s42, v21
	v_add_u32_e32 v6, s56, v21
	v_mul_lo_u32 v1, v1, s41
	v_mul_lo_u32 v6, v6, s43
	v_sub_u32_e32 v1, v1, v6
	v_cmp_lt_u32_e64 s[10:11], s57, v1
	s_and_b64 s[64:65], s[10:11], exec
; %bb.17:
	s_or_b64 exec, exec, s[12:13]
	v_add_u32_e32 v1, s37, v18
	v_add_u32_e32 v6, s39, v18
	v_mul_lo_u32 v1, v1, s36
	v_mul_lo_u32 v6, v6, s38
	v_sub_u32_e32 v1, v1, v6
	v_cmp_lt_u32_e64 s[10:11], s40, v1
	;; [unrolled: 38-line block ×5, first 2 shown]
	v_cmp_ge_u32_e64 s[24:25], s40, v1
	s_mov_b64 s[80:81], 0
	s_mov_b64 s[82:83], 0
	s_and_saveexec_b64 s[26:27], s[24:25]
; %bb.30:
	v_add_u32_e32 v1, s42, v12
	v_add_u32_e32 v6, s56, v12
	v_mul_lo_u32 v1, v1, s41
	v_mul_lo_u32 v6, v6, s43
	v_sub_u32_e32 v1, v1, v6
	v_cmp_lt_u32_e64 s[24:25], s57, v1
	s_and_b64 s[82:83], s[24:25], exec
; %bb.31:
	s_or_b64 exec, exec, s[26:27]
	v_add_u32_e32 v1, s37, v13
	v_add_u32_e32 v6, s39, v13
	v_mul_lo_u32 v1, v1, s36
	v_mul_lo_u32 v6, v6, s38
	v_sub_u32_e32 v1, v1, v6
	v_cmp_lt_u32_e64 s[24:25], s40, v1
	v_cmp_ge_u32_e64 s[26:27], s40, v1
	s_and_saveexec_b64 s[52:53], s[26:27]
; %bb.32:
	v_add_u32_e32 v1, s42, v13
	v_add_u32_e32 v6, s56, v13
	v_mul_lo_u32 v1, v1, s41
	v_mul_lo_u32 v6, v6, s43
	v_sub_u32_e32 v1, v1, v6
	v_cmp_lt_u32_e64 s[26:27], s57, v1
	s_and_b64 s[80:81], s[26:27], exec
; %bb.33:
	s_or_b64 exec, exec, s[52:53]
	v_add_u32_e32 v1, s37, v35
	v_add_u32_e32 v6, s39, v35
	v_mul_lo_u32 v1, v1, s36
	v_mul_lo_u32 v6, v6, s38
	v_sub_u32_e32 v1, v1, v6
	v_cmp_ge_u32_e64 s[26:27], s40, v1
	s_mov_b64 s[52:53], -1
	s_mov_b64 s[74:75], 0
	s_mov_b64 s[54:55], 0
	s_and_saveexec_b64 s[84:85], s[26:27]
; %bb.34:
	v_add_u32_e32 v1, s42, v35
	v_add_u32_e32 v6, s56, v35
	v_mul_lo_u32 v1, v1, s41
	v_mul_lo_u32 v6, v6, s43
	v_sub_u32_e32 v1, v1, v6
	v_cmp_lt_u32_e64 s[26:27], s57, v1
	s_and_b64 s[54:55], s[26:27], exec
	s_xor_b64 s[52:53], exec, -1
; %bb.35:
	s_or_b64 exec, exec, s[84:85]
	v_cndmask_b32_e64 v57, 0, 1, s[82:83]
	v_cndmask_b32_e64 v60, 0, 1, s[24:25]
	;; [unrolled: 1-line block ×22, first 2 shown]
	v_cndmask_b32_e64 v37, 0, 1, vcc
	v_cndmask_b32_e64 v59, 0, 1, s[80:81]
	s_add_i32 s16, s86, 0xd00
	s_and_b64 vcc, exec, s[74:75]
	s_cbranch_vccnz .LBB650_37
	s_branch .LBB650_90
.LBB650_36:
                                        ; implicit-def: $sgpr52_sgpr53
                                        ; implicit-def: $sgpr54_sgpr55
                                        ; implicit-def: $vgpr59
                                        ; implicit-def: $vgpr57
                                        ; implicit-def: $vgpr55
                                        ; implicit-def: $vgpr53
                                        ; implicit-def: $vgpr51
                                        ; implicit-def: $vgpr49
                                        ; implicit-def: $vgpr47
                                        ; implicit-def: $vgpr45
                                        ; implicit-def: $vgpr43
                                        ; implicit-def: $vgpr37
                                        ; implicit-def: $vgpr39
                                        ; implicit-def: $vgpr41
                                        ; implicit-def: $vgpr44
                                        ; implicit-def: $vgpr46
                                        ; implicit-def: $vgpr48
                                        ; implicit-def: $vgpr50
                                        ; implicit-def: $vgpr52
                                        ; implicit-def: $vgpr54
                                        ; implicit-def: $vgpr56
                                        ; implicit-def: $vgpr58
                                        ; implicit-def: $vgpr60
                                        ; implicit-def: $vgpr38
                                        ; implicit-def: $vgpr40
                                        ; implicit-def: $vgpr42
	s_add_i32 s16, s86, 0xd00
	s_cbranch_execz .LBB650_90
.LBB650_37:
	v_cmp_gt_u32_e32 vcc, s16, v36
	v_mov_b32_e32 v38, 0
	v_mov_b32_e32 v37, 0
	s_and_saveexec_b64 s[6:7], vcc
	s_cbranch_execz .LBB650_41
; %bb.38:
	v_add_u32_e32 v1, s37, v22
	v_add_u32_e32 v6, s39, v22
	v_mul_lo_u32 v1, v1, s36
	v_mul_lo_u32 v6, v6, s38
	v_sub_u32_e32 v1, v1, v6
	v_cmp_lt_u32_e32 vcc, s40, v1
	v_cmp_ge_u32_e64 s[4:5], s40, v1
	s_mov_b64 s[10:11], 0
	s_and_saveexec_b64 s[8:9], s[4:5]
; %bb.39:
	v_add_u32_e32 v1, s42, v22
	v_add_u32_e32 v6, s56, v22
	v_mul_lo_u32 v1, v1, s41
	v_mul_lo_u32 v6, v6, s43
	v_sub_u32_e32 v1, v1, v6
	v_cmp_lt_u32_e64 s[4:5], s57, v1
	s_and_b64 s[10:11], s[4:5], exec
; %bb.40:
	s_or_b64 exec, exec, s[8:9]
	v_cndmask_b32_e64 v37, 0, 1, vcc
	v_cndmask_b32_e64 v38, 0, 1, s[10:11]
.LBB650_41:
	s_or_b64 exec, exec, s[6:7]
	v_add_u32_e32 v1, 1, v36
	v_cmp_gt_u32_e32 vcc, s16, v1
	v_mov_b32_e32 v39, 0
	v_mov_b32_e32 v40, 0
	s_and_saveexec_b64 s[6:7], vcc
	s_cbranch_execz .LBB650_45
; %bb.42:
	v_add_u32_e32 v1, s37, v23
	v_add_u32_e32 v6, s39, v23
	v_mul_lo_u32 v1, v1, s36
	v_mul_lo_u32 v6, v6, s38
	v_sub_u32_e32 v1, v1, v6
	v_cmp_lt_u32_e32 vcc, s40, v1
	v_cmp_ge_u32_e64 s[4:5], s40, v1
	s_mov_b64 s[10:11], 0
	s_and_saveexec_b64 s[8:9], s[4:5]
; %bb.43:
	v_add_u32_e32 v1, s42, v23
	v_add_u32_e32 v6, s56, v23
	v_mul_lo_u32 v1, v1, s41
	v_mul_lo_u32 v6, v6, s43
	v_sub_u32_e32 v1, v1, v6
	v_cmp_lt_u32_e64 s[4:5], s57, v1
	s_and_b64 s[10:11], s[4:5], exec
; %bb.44:
	s_or_b64 exec, exec, s[8:9]
	v_cndmask_b32_e64 v39, 0, 1, vcc
	v_cndmask_b32_e64 v40, 0, 1, s[10:11]
.LBB650_45:
	s_or_b64 exec, exec, s[6:7]
	v_add_u32_e32 v1, 2, v36
	v_cmp_gt_u32_e32 vcc, s16, v1
	v_mov_b32_e32 v41, 0
	v_mov_b32_e32 v42, 0
	s_and_saveexec_b64 s[6:7], vcc
	s_cbranch_execz .LBB650_49
; %bb.46:
	v_add_u32_e32 v1, s37, v20
	v_add_u32_e32 v6, s39, v20
	v_mul_lo_u32 v1, v1, s36
	v_mul_lo_u32 v6, v6, s38
	v_sub_u32_e32 v1, v1, v6
	v_cmp_lt_u32_e32 vcc, s40, v1
	v_cmp_ge_u32_e64 s[4:5], s40, v1
	s_mov_b64 s[10:11], 0
	s_and_saveexec_b64 s[8:9], s[4:5]
; %bb.47:
	v_add_u32_e32 v1, s42, v20
	v_add_u32_e32 v6, s56, v20
	v_mul_lo_u32 v1, v1, s41
	v_mul_lo_u32 v6, v6, s43
	v_sub_u32_e32 v1, v1, v6
	v_cmp_lt_u32_e64 s[4:5], s57, v1
	s_and_b64 s[10:11], s[4:5], exec
; %bb.48:
	s_or_b64 exec, exec, s[8:9]
	v_cndmask_b32_e64 v41, 0, 1, vcc
	v_cndmask_b32_e64 v42, 0, 1, s[10:11]
.LBB650_49:
	s_or_b64 exec, exec, s[6:7]
	v_add_u32_e32 v1, 3, v36
	v_cmp_gt_u32_e32 vcc, s16, v1
	v_mov_b32_e32 v43, 0
	v_mov_b32_e32 v44, 0
	s_and_saveexec_b64 s[6:7], vcc
	s_cbranch_execz .LBB650_53
; %bb.50:
	v_add_u32_e32 v1, s37, v21
	v_add_u32_e32 v6, s39, v21
	v_mul_lo_u32 v1, v1, s36
	v_mul_lo_u32 v6, v6, s38
	v_sub_u32_e32 v1, v1, v6
	v_cmp_lt_u32_e32 vcc, s40, v1
	v_cmp_ge_u32_e64 s[4:5], s40, v1
	s_mov_b64 s[10:11], 0
	s_and_saveexec_b64 s[8:9], s[4:5]
; %bb.51:
	v_add_u32_e32 v1, s42, v21
	v_add_u32_e32 v6, s56, v21
	v_mul_lo_u32 v1, v1, s41
	v_mul_lo_u32 v6, v6, s43
	v_sub_u32_e32 v1, v1, v6
	v_cmp_lt_u32_e64 s[4:5], s57, v1
	s_and_b64 s[10:11], s[4:5], exec
; %bb.52:
	s_or_b64 exec, exec, s[8:9]
	v_cndmask_b32_e64 v44, 0, 1, vcc
	v_cndmask_b32_e64 v43, 0, 1, s[10:11]
.LBB650_53:
	s_or_b64 exec, exec, s[6:7]
	v_add_u32_e32 v1, 4, v36
	v_cmp_gt_u32_e32 vcc, s16, v1
	v_mov_b32_e32 v45, 0
	v_mov_b32_e32 v46, 0
	s_and_saveexec_b64 s[6:7], vcc
	s_cbranch_execz .LBB650_57
; %bb.54:
	v_add_u32_e32 v1, s37, v18
	v_add_u32_e32 v6, s39, v18
	v_mul_lo_u32 v1, v1, s36
	v_mul_lo_u32 v6, v6, s38
	v_sub_u32_e32 v1, v1, v6
	v_cmp_lt_u32_e32 vcc, s40, v1
	v_cmp_ge_u32_e64 s[4:5], s40, v1
	s_mov_b64 s[10:11], 0
	s_and_saveexec_b64 s[8:9], s[4:5]
; %bb.55:
	v_add_u32_e32 v1, s42, v18
	v_add_u32_e32 v6, s56, v18
	v_mul_lo_u32 v1, v1, s41
	v_mul_lo_u32 v6, v6, s43
	v_sub_u32_e32 v1, v1, v6
	v_cmp_lt_u32_e64 s[4:5], s57, v1
	s_and_b64 s[10:11], s[4:5], exec
; %bb.56:
	s_or_b64 exec, exec, s[8:9]
	v_cndmask_b32_e64 v46, 0, 1, vcc
	v_cndmask_b32_e64 v45, 0, 1, s[10:11]
.LBB650_57:
	s_or_b64 exec, exec, s[6:7]
	v_add_u32_e32 v1, 5, v36
	v_cmp_gt_u32_e32 vcc, s16, v1
	v_mov_b32_e32 v47, 0
	v_mov_b32_e32 v48, 0
	s_and_saveexec_b64 s[6:7], vcc
	s_cbranch_execz .LBB650_61
; %bb.58:
	v_add_u32_e32 v1, s37, v19
	v_add_u32_e32 v6, s39, v19
	v_mul_lo_u32 v1, v1, s36
	v_mul_lo_u32 v6, v6, s38
	v_sub_u32_e32 v1, v1, v6
	v_cmp_lt_u32_e32 vcc, s40, v1
	v_cmp_ge_u32_e64 s[4:5], s40, v1
	s_mov_b64 s[10:11], 0
	s_and_saveexec_b64 s[8:9], s[4:5]
; %bb.59:
	v_add_u32_e32 v1, s42, v19
	v_add_u32_e32 v6, s56, v19
	v_mul_lo_u32 v1, v1, s41
	v_mul_lo_u32 v6, v6, s43
	v_sub_u32_e32 v1, v1, v6
	v_cmp_lt_u32_e64 s[4:5], s57, v1
	s_and_b64 s[10:11], s[4:5], exec
; %bb.60:
	s_or_b64 exec, exec, s[8:9]
	v_cndmask_b32_e64 v48, 0, 1, vcc
	v_cndmask_b32_e64 v47, 0, 1, s[10:11]
.LBB650_61:
	s_or_b64 exec, exec, s[6:7]
	v_add_u32_e32 v1, 6, v36
	v_cmp_gt_u32_e32 vcc, s16, v1
	v_mov_b32_e32 v49, 0
	v_mov_b32_e32 v50, 0
	s_and_saveexec_b64 s[6:7], vcc
	s_cbranch_execz .LBB650_65
; %bb.62:
	v_add_u32_e32 v1, s37, v16
	v_add_u32_e32 v6, s39, v16
	v_mul_lo_u32 v1, v1, s36
	v_mul_lo_u32 v6, v6, s38
	v_sub_u32_e32 v1, v1, v6
	v_cmp_lt_u32_e32 vcc, s40, v1
	v_cmp_ge_u32_e64 s[4:5], s40, v1
	s_mov_b64 s[10:11], 0
	s_and_saveexec_b64 s[8:9], s[4:5]
; %bb.63:
	v_add_u32_e32 v1, s42, v16
	v_add_u32_e32 v6, s56, v16
	v_mul_lo_u32 v1, v1, s41
	v_mul_lo_u32 v6, v6, s43
	v_sub_u32_e32 v1, v1, v6
	v_cmp_lt_u32_e64 s[4:5], s57, v1
	s_and_b64 s[10:11], s[4:5], exec
; %bb.64:
	s_or_b64 exec, exec, s[8:9]
	v_cndmask_b32_e64 v50, 0, 1, vcc
	v_cndmask_b32_e64 v49, 0, 1, s[10:11]
.LBB650_65:
	s_or_b64 exec, exec, s[6:7]
	v_add_u32_e32 v1, 7, v36
	v_cmp_gt_u32_e32 vcc, s16, v1
	v_mov_b32_e32 v51, 0
	v_mov_b32_e32 v52, 0
	s_and_saveexec_b64 s[6:7], vcc
	s_cbranch_execz .LBB650_69
; %bb.66:
	v_add_u32_e32 v1, s37, v17
	v_add_u32_e32 v6, s39, v17
	v_mul_lo_u32 v1, v1, s36
	v_mul_lo_u32 v6, v6, s38
	v_sub_u32_e32 v1, v1, v6
	v_cmp_lt_u32_e32 vcc, s40, v1
	v_cmp_ge_u32_e64 s[4:5], s40, v1
	s_mov_b64 s[10:11], 0
	s_and_saveexec_b64 s[8:9], s[4:5]
; %bb.67:
	v_add_u32_e32 v1, s42, v17
	v_add_u32_e32 v6, s56, v17
	v_mul_lo_u32 v1, v1, s41
	v_mul_lo_u32 v6, v6, s43
	v_sub_u32_e32 v1, v1, v6
	v_cmp_lt_u32_e64 s[4:5], s57, v1
	s_and_b64 s[10:11], s[4:5], exec
; %bb.68:
	s_or_b64 exec, exec, s[8:9]
	v_cndmask_b32_e64 v52, 0, 1, vcc
	v_cndmask_b32_e64 v51, 0, 1, s[10:11]
.LBB650_69:
	s_or_b64 exec, exec, s[6:7]
	v_add_u32_e32 v1, 8, v36
	v_cmp_gt_u32_e32 vcc, s16, v1
	v_mov_b32_e32 v53, 0
	v_mov_b32_e32 v54, 0
	s_and_saveexec_b64 s[6:7], vcc
	s_cbranch_execz .LBB650_73
; %bb.70:
	v_add_u32_e32 v1, s37, v14
	v_add_u32_e32 v6, s39, v14
	v_mul_lo_u32 v1, v1, s36
	v_mul_lo_u32 v6, v6, s38
	v_sub_u32_e32 v1, v1, v6
	v_cmp_lt_u32_e32 vcc, s40, v1
	v_cmp_ge_u32_e64 s[4:5], s40, v1
	s_mov_b64 s[10:11], 0
	s_and_saveexec_b64 s[8:9], s[4:5]
; %bb.71:
	v_add_u32_e32 v1, s42, v14
	v_add_u32_e32 v6, s56, v14
	v_mul_lo_u32 v1, v1, s41
	v_mul_lo_u32 v6, v6, s43
	v_sub_u32_e32 v1, v1, v6
	v_cmp_lt_u32_e64 s[4:5], s57, v1
	s_and_b64 s[10:11], s[4:5], exec
; %bb.72:
	s_or_b64 exec, exec, s[8:9]
	v_cndmask_b32_e64 v54, 0, 1, vcc
	v_cndmask_b32_e64 v53, 0, 1, s[10:11]
.LBB650_73:
	s_or_b64 exec, exec, s[6:7]
	v_add_u32_e32 v1, 9, v36
	v_cmp_gt_u32_e32 vcc, s16, v1
	v_mov_b32_e32 v55, 0
	v_mov_b32_e32 v56, 0
	s_and_saveexec_b64 s[6:7], vcc
	s_cbranch_execz .LBB650_77
; %bb.74:
	v_add_u32_e32 v1, s37, v15
	v_add_u32_e32 v6, s39, v15
	v_mul_lo_u32 v1, v1, s36
	v_mul_lo_u32 v6, v6, s38
	v_sub_u32_e32 v1, v1, v6
	v_cmp_lt_u32_e32 vcc, s40, v1
	v_cmp_ge_u32_e64 s[4:5], s40, v1
	s_mov_b64 s[10:11], 0
	s_and_saveexec_b64 s[8:9], s[4:5]
; %bb.75:
	v_add_u32_e32 v1, s42, v15
	v_add_u32_e32 v6, s56, v15
	v_mul_lo_u32 v1, v1, s41
	v_mul_lo_u32 v6, v6, s43
	v_sub_u32_e32 v1, v1, v6
	v_cmp_lt_u32_e64 s[4:5], s57, v1
	s_and_b64 s[10:11], s[4:5], exec
; %bb.76:
	s_or_b64 exec, exec, s[8:9]
	v_cndmask_b32_e64 v56, 0, 1, vcc
	v_cndmask_b32_e64 v55, 0, 1, s[10:11]
.LBB650_77:
	s_or_b64 exec, exec, s[6:7]
	v_add_u32_e32 v1, 10, v36
	v_cmp_gt_u32_e32 vcc, s16, v1
	v_mov_b32_e32 v57, 0
	v_mov_b32_e32 v58, 0
	s_and_saveexec_b64 s[6:7], vcc
	s_cbranch_execz .LBB650_81
; %bb.78:
	v_add_u32_e32 v1, s37, v12
	v_add_u32_e32 v6, s39, v12
	v_mul_lo_u32 v1, v1, s36
	v_mul_lo_u32 v6, v6, s38
	v_sub_u32_e32 v1, v1, v6
	v_cmp_lt_u32_e32 vcc, s40, v1
	v_cmp_ge_u32_e64 s[4:5], s40, v1
	s_mov_b64 s[10:11], 0
	s_and_saveexec_b64 s[8:9], s[4:5]
; %bb.79:
	v_add_u32_e32 v1, s42, v12
	v_add_u32_e32 v6, s56, v12
	v_mul_lo_u32 v1, v1, s41
	v_mul_lo_u32 v6, v6, s43
	v_sub_u32_e32 v1, v1, v6
	v_cmp_lt_u32_e64 s[4:5], s57, v1
	s_and_b64 s[10:11], s[4:5], exec
; %bb.80:
	s_or_b64 exec, exec, s[8:9]
	v_cndmask_b32_e64 v58, 0, 1, vcc
	v_cndmask_b32_e64 v57, 0, 1, s[10:11]
.LBB650_81:
	s_or_b64 exec, exec, s[6:7]
	v_add_u32_e32 v1, 11, v36
	v_cmp_gt_u32_e32 vcc, s16, v1
	v_mov_b32_e32 v59, 0
	v_mov_b32_e32 v60, 0
	s_and_saveexec_b64 s[6:7], vcc
	s_cbranch_execz .LBB650_85
; %bb.82:
	v_add_u32_e32 v1, s37, v13
	v_add_u32_e32 v6, s39, v13
	v_mul_lo_u32 v1, v1, s36
	v_mul_lo_u32 v6, v6, s38
	v_sub_u32_e32 v1, v1, v6
	v_cmp_lt_u32_e32 vcc, s40, v1
	v_cmp_ge_u32_e64 s[4:5], s40, v1
	s_mov_b64 s[10:11], 0
	s_and_saveexec_b64 s[8:9], s[4:5]
; %bb.83:
	v_add_u32_e32 v1, s42, v13
	v_add_u32_e32 v6, s56, v13
	v_mul_lo_u32 v1, v1, s41
	v_mul_lo_u32 v6, v6, s43
	v_sub_u32_e32 v1, v1, v6
	v_cmp_lt_u32_e64 s[4:5], s57, v1
	s_and_b64 s[10:11], s[4:5], exec
; %bb.84:
	s_or_b64 exec, exec, s[8:9]
	v_cndmask_b32_e64 v60, 0, 1, vcc
	v_cndmask_b32_e64 v59, 0, 1, s[10:11]
.LBB650_85:
	s_or_b64 exec, exec, s[6:7]
	v_add_u32_e32 v1, 12, v36
	v_cmp_gt_u32_e32 vcc, s16, v1
	s_mov_b64 s[52:53], 0
	s_mov_b64 s[54:55], 0
	s_and_saveexec_b64 s[4:5], vcc
	s_cbranch_execz .LBB650_89
; %bb.86:
	v_add_u32_e32 v1, s37, v35
	v_add_u32_e32 v6, s39, v35
	v_mul_lo_u32 v1, v1, s36
	v_mul_lo_u32 v6, v6, s38
	v_sub_u32_e32 v1, v1, v6
	v_cmp_ge_u32_e32 vcc, s40, v1
	s_mov_b64 s[8:9], -1
	s_mov_b64 s[10:11], 0
	s_and_saveexec_b64 s[6:7], vcc
; %bb.87:
	v_add_u32_e32 v1, s42, v35
	v_add_u32_e32 v6, s56, v35
	v_mul_lo_u32 v1, v1, s41
	v_mul_lo_u32 v6, v6, s43
	v_sub_u32_e32 v1, v1, v6
	v_cmp_lt_u32_e32 vcc, s57, v1
	s_and_b64 s[10:11], vcc, exec
	s_xor_b64 s[8:9], exec, -1
; %bb.88:
	s_or_b64 exec, exec, s[6:7]
	s_and_b64 s[54:55], s[10:11], exec
	s_and_b64 s[52:53], s[8:9], exec
.LBB650_89:
	s_or_b64 exec, exec, s[4:5]
.LBB650_90:
	v_and_b32_e32 v68, 0xff, v38
	v_and_b32_e32 v79, 0xff, v40
	;; [unrolled: 1-line block ×5, first 2 shown]
	v_add3_u32 v6, v79, v70, v68
	v_and_b32_e32 v81, 0xff, v47
	v_and_b32_e32 v74, 0xff, v49
	v_add3_u32 v6, v6, v80, v72
	v_and_b32_e32 v67, 0xff, v37
	v_and_b32_e32 v61, 0xff, v39
	;; [unrolled: 1-line block ×5, first 2 shown]
	v_add3_u32 v6, v6, v81, v74
	v_and_b32_e32 v62, 0xff, v44
	v_and_b32_e32 v71, 0xff, v46
	;; [unrolled: 1-line block ×4, first 2 shown]
	v_add3_u32 v7, v61, v69, v67
	v_add3_u32 v6, v6, v82, v76
	v_and_b32_e32 v63, 0xff, v48
	v_and_b32_e32 v73, 0xff, v50
	;; [unrolled: 1-line block ×3, first 2 shown]
	v_cndmask_b32_e64 v1, 0, 1, s[54:55]
	v_add3_u32 v7, v7, v62, v71
	v_add3_u32 v6, v6, v83, v78
	v_and_b32_e32 v64, 0xff, v52
	v_and_b32_e32 v75, 0xff, v54
	v_add3_u32 v7, v7, v63, v73
	v_add3_u32 v91, v6, v84, v1
	v_mbcnt_lo_u32_b32 v1, -1, 0
	v_and_b32_e32 v65, 0xff, v56
	v_and_b32_e32 v77, 0xff, v58
	v_add3_u32 v7, v7, v64, v75
	v_mbcnt_hi_u32_b32 v85, -1, v1
	v_and_b32_e32 v66, 0xff, v60
	v_add3_u32 v7, v7, v65, v77
	v_cndmask_b32_e64 v8, 0, 1, s[52:53]
	v_and_b32_e32 v89, 15, v85
	s_cmp_lg_u32 s33, 0
	v_add3_u32 v90, v7, v66, v8
	v_cmp_eq_u32_e64 s[6:7], 0, v89
	v_cmp_lt_u32_e64 s[4:5], 1, v89
	v_cmp_lt_u32_e64 s[10:11], 3, v89
	;; [unrolled: 1-line block ×3, first 2 shown]
	v_and_b32_e32 v88, 16, v85
	v_cmp_lt_u32_e32 vcc, 31, v85
	v_lshrrev_b32_e32 v86, 6, v0
	v_or_b32_e32 v87, 63, v0
	s_cbranch_scc0 .LBB650_123
; %bb.91:
	v_mov_b32_dpp v1, v90 row_shr:1 row_mask:0xf bank_mask:0xf
	v_mov_b32_dpp v6, v91 row_shr:1 row_mask:0xf bank_mask:0xf
	v_add_u32_e32 v1, v1, v90
	v_add_u32_e32 v6, v6, v91
	v_cndmask_b32_e64 v6, v6, v91, s[6:7]
	v_cndmask_b32_e64 v1, v1, v90, s[6:7]
	s_nop 0
	v_mov_b32_dpp v8, v6 row_shr:2 row_mask:0xf bank_mask:0xf
	v_mov_b32_dpp v7, v1 row_shr:2 row_mask:0xf bank_mask:0xf
	v_add_u32_e32 v7, v1, v7
	v_add_u32_e32 v8, v6, v8
	v_cndmask_b32_e64 v6, v6, v8, s[4:5]
	v_cndmask_b32_e64 v1, v1, v7, s[4:5]
	s_nop 0
	v_mov_b32_dpp v8, v6 row_shr:4 row_mask:0xf bank_mask:0xf
	v_mov_b32_dpp v7, v1 row_shr:4 row_mask:0xf bank_mask:0xf
	v_add_u32_e32 v7, v1, v7
	v_add_u32_e32 v8, v6, v8
	v_cndmask_b32_e64 v6, v6, v8, s[10:11]
	v_cndmask_b32_e64 v1, v1, v7, s[10:11]
	s_nop 0
	v_mov_b32_dpp v8, v6 row_shr:8 row_mask:0xf bank_mask:0xf
	v_mov_b32_dpp v7, v1 row_shr:8 row_mask:0xf bank_mask:0xf
	v_add_u32_e32 v7, v1, v7
	v_add_u32_e32 v8, v6, v8
	v_cndmask_b32_e64 v6, v6, v8, s[8:9]
	v_cndmask_b32_e64 v1, v1, v7, s[8:9]
	v_cmp_eq_u32_e64 s[8:9], 0, v88
	v_mov_b32_dpp v8, v6 row_bcast:15 row_mask:0xf bank_mask:0xf
	v_mov_b32_dpp v7, v1 row_bcast:15 row_mask:0xf bank_mask:0xf
	v_add_u32_e32 v7, v1, v7
	v_add_u32_e32 v8, v6, v8
	v_cndmask_b32_e64 v6, v8, v6, s[8:9]
	v_cndmask_b32_e64 v1, v7, v1, s[8:9]
	s_nop 0
	v_mov_b32_dpp v8, v6 row_bcast:31 row_mask:0xf bank_mask:0xf
	v_mov_b32_dpp v7, v1 row_bcast:31 row_mask:0xf bank_mask:0xf
	v_add_u32_e32 v8, v6, v8
	v_add_u32_e32 v9, v1, v7
	v_cndmask_b32_e32 v7, v6, v8, vcc
	v_cndmask_b32_e32 v6, v1, v9, vcc
	v_cmp_eq_u32_e32 vcc, v87, v0
	s_and_saveexec_b64 s[8:9], vcc
	s_cbranch_execz .LBB650_93
; %bb.92:
	v_lshlrev_b32_e32 v1, 3, v86
	ds_write_b64 v1, v[6:7]
.LBB650_93:
	s_or_b64 exec, exec, s[8:9]
	v_cmp_gt_u32_e32 vcc, 4, v0
	s_waitcnt lgkmcnt(0)
	s_barrier
	s_and_saveexec_b64 s[8:9], vcc
	s_cbranch_execz .LBB650_95
; %bb.94:
	v_lshlrev_b32_e32 v1, 3, v0
	ds_read_b64 v[8:9], v1
	v_and_b32_e32 v10, 3, v85
	v_cmp_eq_u32_e32 vcc, 0, v10
	s_waitcnt lgkmcnt(0)
	v_mov_b32_dpp v11, v8 row_shr:1 row_mask:0xf bank_mask:0xf
	v_mov_b32_dpp v24, v9 row_shr:1 row_mask:0xf bank_mask:0xf
	v_add_u32_e32 v11, v11, v8
	v_add_u32_e32 v24, v24, v9
	v_cndmask_b32_e32 v9, v24, v9, vcc
	v_cndmask_b32_e32 v8, v11, v8, vcc
	v_cmp_lt_u32_e32 vcc, 1, v10
	v_mov_b32_dpp v24, v9 row_shr:2 row_mask:0xf bank_mask:0xf
	v_mov_b32_dpp v11, v8 row_shr:2 row_mask:0xf bank_mask:0xf
	v_cndmask_b32_e32 v10, 0, v11, vcc
	v_cndmask_b32_e32 v11, 0, v24, vcc
	v_add_u32_e32 v9, v11, v9
	v_add_u32_e32 v8, v10, v8
	ds_write_b64 v1, v[8:9]
.LBB650_95:
	s_or_b64 exec, exec, s[8:9]
	v_cmp_gt_u32_e32 vcc, 64, v0
	v_cmp_lt_u32_e64 s[8:9], 63, v0
	s_waitcnt lgkmcnt(0)
	s_barrier
	s_waitcnt lgkmcnt(0)
                                        ; implicit-def: $vgpr25
	s_and_saveexec_b64 s[10:11], s[8:9]
	s_xor_b64 s[8:9], exec, s[10:11]
	s_cbranch_execz .LBB650_97
; %bb.96:
	v_lshl_add_u32 v1, v86, 3, -8
	ds_read_b64 v[24:25], v1
	s_waitcnt lgkmcnt(0)
	v_add_u32_e32 v7, v25, v7
	v_add_u32_e32 v6, v24, v6
.LBB650_97:
	s_andn2_saveexec_b64 s[8:9], s[8:9]
; %bb.98:
                                        ; implicit-def: $vgpr24
; %bb.99:
	s_or_b64 exec, exec, s[8:9]
	v_add_u32_e32 v1, -1, v85
	v_and_b32_e32 v8, 64, v85
	v_cmp_lt_i32_e64 s[8:9], v1, v8
	v_cndmask_b32_e64 v1, v1, v85, s[8:9]
	v_lshlrev_b32_e32 v8, 2, v1
	ds_bpermute_b32 v1, v8, v6
	ds_bpermute_b32 v92, v8, v7
	v_cmp_eq_u32_e64 s[8:9], 0, v85
	s_and_saveexec_b64 s[10:11], vcc
	s_cbranch_execz .LBB650_122
; %bb.100:
	v_mov_b32_e32 v11, 0
	ds_read_b64 v[26:27], v11 offset:24
	s_and_saveexec_b64 s[12:13], s[8:9]
	s_cbranch_execz .LBB650_102
; %bb.101:
	s_add_i32 s14, s33, 64
	s_mov_b32 s15, 0
	s_lshl_b64 s[14:15], s[14:15], 4
	s_waitcnt lgkmcnt(0)
	v_and_b32_e32 v6, 0xff000000, v27
	v_and_b32_e32 v7, 0xff0000, v27
	s_add_u32 s14, s50, s14
	v_or_b32_e32 v6, v7, v6
	v_and_b32_e32 v7, 0xff00, v27
	s_addc_u32 s15, s51, s15
	v_or_b32_e32 v6, v6, v7
	v_or_b32_sdwa v9, v6, v27 dst_sel:DWORD dst_unused:UNUSED_PAD src0_sel:DWORD src1_sel:BYTE_0
	v_mov_b32_e32 v10, 1
	v_mov_b32_e32 v8, v26
	v_pk_mov_b32 v[6:7], s[14:15], s[14:15] op_sel:[0,1]
	;;#ASMSTART
	global_store_dwordx4 v[6:7], v[8:11] off	
s_waitcnt vmcnt(0)
	;;#ASMEND
.LBB650_102:
	s_or_b64 exec, exec, s[12:13]
	v_xad_u32 v28, v85, -1, s33
	v_add_u32_e32 v10, 64, v28
	v_lshlrev_b64 v[6:7], 4, v[10:11]
	v_mov_b32_e32 v8, s51
	v_add_co_u32_e32 v30, vcc, s50, v6
	v_addc_co_u32_e32 v31, vcc, v8, v7, vcc
	;;#ASMSTART
	global_load_dwordx4 v[6:9], v[30:31] off glc	
s_waitcnt vmcnt(0)
	;;#ASMEND
	v_and_b32_e32 v9, 0xff, v7
	v_and_b32_e32 v10, 0xff00, v7
	v_or3_b32 v9, 0, v9, v10
	v_or3_b32 v6, v6, 0, 0
	v_and_b32_e32 v10, 0xff000000, v7
	v_and_b32_e32 v7, 0xff0000, v7
	v_or3_b32 v7, v9, v7, v10
	v_or3_b32 v6, v6, 0, 0
	v_cmp_eq_u16_sdwa s[14:15], v8, v11 src0_sel:BYTE_0 src1_sel:DWORD
	s_and_saveexec_b64 s[12:13], s[14:15]
	s_cbranch_execz .LBB650_108
; %bb.103:
	s_mov_b32 s17, 1
	s_mov_b64 s[14:15], 0
	v_mov_b32_e32 v10, 0
.LBB650_104:                            ; =>This Loop Header: Depth=1
                                        ;     Child Loop BB650_105 Depth 2
	s_max_u32 s18, s17, 1
.LBB650_105:                            ;   Parent Loop BB650_104 Depth=1
                                        ; =>  This Inner Loop Header: Depth=2
	s_add_i32 s18, s18, -1
	s_cmp_eq_u32 s18, 0
	s_sleep 1
	s_cbranch_scc0 .LBB650_105
; %bb.106:                              ;   in Loop: Header=BB650_104 Depth=1
	s_cmp_lt_u32 s17, 32
	s_cselect_b64 s[18:19], -1, 0
	s_cmp_lg_u64 s[18:19], 0
	s_addc_u32 s17, s17, 0
	;;#ASMSTART
	global_load_dwordx4 v[6:9], v[30:31] off glc	
s_waitcnt vmcnt(0)
	;;#ASMEND
	v_cmp_ne_u16_sdwa s[18:19], v8, v10 src0_sel:BYTE_0 src1_sel:DWORD
	s_or_b64 s[14:15], s[18:19], s[14:15]
	s_andn2_b64 exec, exec, s[14:15]
	s_cbranch_execnz .LBB650_104
; %bb.107:
	s_or_b64 exec, exec, s[14:15]
.LBB650_108:
	s_or_b64 exec, exec, s[12:13]
	v_and_b32_e32 v94, 63, v85
	v_cmp_ne_u32_e32 vcc, 63, v94
	v_mov_b32_e32 v93, 2
	v_addc_co_u32_e32 v30, vcc, 0, v85, vcc
	v_cmp_eq_u16_sdwa s[12:13], v8, v93 src0_sel:BYTE_0 src1_sel:DWORD
	v_lshlrev_b64 v[10:11], v85, -1
	v_lshlrev_b32_e32 v95, 2, v30
	v_and_b32_e32 v9, s13, v11
	ds_bpermute_b32 v30, v95, v6
	ds_bpermute_b32 v31, v95, v7
	v_or_b32_e32 v9, 0x80000000, v9
	v_and_b32_e32 v29, s12, v10
	v_ffbl_b32_e32 v9, v9
	v_add_u32_e32 v9, 32, v9
	v_ffbl_b32_e32 v29, v29
	v_min_u32_e32 v9, v29, v9
	s_waitcnt lgkmcnt(1)
	v_add_u32_e32 v29, v30, v6
	s_waitcnt lgkmcnt(0)
	v_add_u32_e32 v30, v31, v7
	v_cmp_lt_u32_e32 vcc, v94, v9
	v_cndmask_b32_e32 v7, v7, v30, vcc
	v_cndmask_b32_e32 v6, v6, v29, vcc
	v_cmp_gt_u32_e32 vcc, 62, v94
	v_cndmask_b32_e64 v29, 0, 1, vcc
	v_lshlrev_b32_e32 v29, 1, v29
	v_add_lshl_u32 v96, v29, v85, 2
	ds_bpermute_b32 v29, v96, v6
	ds_bpermute_b32 v30, v96, v7
	v_add_u32_e32 v97, 2, v94
	v_cmp_gt_u32_e32 vcc, v97, v9
	v_add_u32_e32 v99, 4, v94
	s_waitcnt lgkmcnt(1)
	v_add_u32_e32 v29, v6, v29
	s_waitcnt lgkmcnt(0)
	v_add_u32_e32 v30, v7, v30
	v_cndmask_b32_e32 v7, v30, v7, vcc
	v_cndmask_b32_e32 v6, v29, v6, vcc
	v_cmp_gt_u32_e32 vcc, 60, v94
	v_cndmask_b32_e64 v29, 0, 1, vcc
	v_lshlrev_b32_e32 v29, 2, v29
	v_add_lshl_u32 v98, v29, v85, 2
	ds_bpermute_b32 v29, v98, v6
	ds_bpermute_b32 v30, v98, v7
	v_cmp_gt_u32_e32 vcc, v99, v9
	v_add_u32_e32 v101, 8, v94
	v_add_u32_e32 v103, 16, v94
	s_waitcnt lgkmcnt(1)
	v_add_u32_e32 v29, v6, v29
	s_waitcnt lgkmcnt(0)
	v_add_u32_e32 v30, v7, v30
	v_cndmask_b32_e32 v7, v30, v7, vcc
	v_cndmask_b32_e32 v6, v29, v6, vcc
	v_cmp_gt_u32_e32 vcc, 56, v94
	v_cndmask_b32_e64 v29, 0, 1, vcc
	v_lshlrev_b32_e32 v29, 3, v29
	v_add_lshl_u32 v100, v29, v85, 2
	ds_bpermute_b32 v29, v100, v6
	ds_bpermute_b32 v30, v100, v7
	v_cmp_gt_u32_e32 vcc, v101, v9
	v_add_u32_e32 v105, 32, v94
	s_waitcnt lgkmcnt(1)
	v_add_u32_e32 v29, v6, v29
	s_waitcnt lgkmcnt(0)
	v_add_u32_e32 v30, v7, v30
	v_cndmask_b32_e32 v7, v30, v7, vcc
	v_cndmask_b32_e32 v6, v29, v6, vcc
	v_cmp_gt_u32_e32 vcc, 48, v94
	v_cndmask_b32_e64 v29, 0, 1, vcc
	v_lshlrev_b32_e32 v29, 4, v29
	v_add_lshl_u32 v102, v29, v85, 2
	ds_bpermute_b32 v29, v102, v6
	ds_bpermute_b32 v30, v102, v7
	v_cmp_gt_u32_e32 vcc, v103, v9
	s_waitcnt lgkmcnt(1)
	v_add_u32_e32 v29, v6, v29
	s_waitcnt lgkmcnt(0)
	v_add_u32_e32 v30, v7, v30
	v_cndmask_b32_e32 v7, v30, v7, vcc
	v_cndmask_b32_e32 v6, v29, v6, vcc
	v_cmp_gt_u32_e32 vcc, 32, v94
	v_cndmask_b32_e64 v29, 0, 1, vcc
	v_lshlrev_b32_e32 v29, 5, v29
	v_add_lshl_u32 v104, v29, v85, 2
	ds_bpermute_b32 v29, v104, v6
	ds_bpermute_b32 v30, v104, v7
	v_cmp_le_u32_e32 vcc, v105, v9
	s_waitcnt lgkmcnt(1)
	v_cndmask_b32_e32 v9, 0, v29, vcc
	s_waitcnt lgkmcnt(0)
	v_cndmask_b32_e32 v29, 0, v30, vcc
	v_add_u32_e32 v7, v7, v29
	v_add_u32_e32 v6, v6, v9
	v_mov_b32_e32 v29, 0
	s_branch .LBB650_110
.LBB650_109:                            ;   in Loop: Header=BB650_110 Depth=1
	s_or_b64 exec, exec, s[12:13]
	v_cmp_eq_u16_sdwa s[12:13], v8, v93 src0_sel:BYTE_0 src1_sel:DWORD
	v_and_b32_e32 v9, s13, v11
	ds_bpermute_b32 v33, v95, v6
	ds_bpermute_b32 v106, v95, v7
	v_or_b32_e32 v9, 0x80000000, v9
	v_and_b32_e32 v32, s12, v10
	v_ffbl_b32_e32 v9, v9
	v_add_u32_e32 v9, 32, v9
	v_ffbl_b32_e32 v32, v32
	v_min_u32_e32 v9, v32, v9
	s_waitcnt lgkmcnt(1)
	v_add_u32_e32 v32, v33, v6
	s_waitcnt lgkmcnt(0)
	v_add_u32_e32 v33, v106, v7
	v_cmp_lt_u32_e32 vcc, v94, v9
	v_cndmask_b32_e32 v7, v7, v33, vcc
	v_cndmask_b32_e32 v6, v6, v32, vcc
	ds_bpermute_b32 v32, v96, v6
	ds_bpermute_b32 v33, v96, v7
	v_cmp_gt_u32_e32 vcc, v97, v9
	v_subrev_u32_e32 v28, 64, v28
	s_waitcnt lgkmcnt(1)
	v_add_u32_e32 v32, v6, v32
	s_waitcnt lgkmcnt(0)
	v_add_u32_e32 v33, v7, v33
	v_cndmask_b32_e32 v7, v33, v7, vcc
	v_cndmask_b32_e32 v6, v32, v6, vcc
	ds_bpermute_b32 v32, v98, v6
	ds_bpermute_b32 v33, v98, v7
	v_cmp_gt_u32_e32 vcc, v99, v9
	s_waitcnt lgkmcnt(1)
	v_add_u32_e32 v32, v6, v32
	s_waitcnt lgkmcnt(0)
	v_add_u32_e32 v33, v7, v33
	v_cndmask_b32_e32 v7, v33, v7, vcc
	v_cndmask_b32_e32 v6, v32, v6, vcc
	ds_bpermute_b32 v32, v100, v6
	ds_bpermute_b32 v33, v100, v7
	v_cmp_gt_u32_e32 vcc, v101, v9
	;; [unrolled: 9-line block ×3, first 2 shown]
	s_waitcnt lgkmcnt(1)
	v_add_u32_e32 v32, v6, v32
	s_waitcnt lgkmcnt(0)
	v_add_u32_e32 v33, v7, v33
	v_cndmask_b32_e32 v7, v33, v7, vcc
	v_cndmask_b32_e32 v6, v32, v6, vcc
	ds_bpermute_b32 v32, v104, v6
	ds_bpermute_b32 v33, v104, v7
	v_cmp_le_u32_e32 vcc, v105, v9
	s_waitcnt lgkmcnt(1)
	v_cndmask_b32_e32 v9, 0, v32, vcc
	s_waitcnt lgkmcnt(0)
	v_cndmask_b32_e32 v32, 0, v33, vcc
	v_add3_u32 v7, v32, v31, v7
	v_add3_u32 v6, v9, v30, v6
.LBB650_110:                            ; =>This Loop Header: Depth=1
                                        ;     Child Loop BB650_113 Depth 2
                                        ;       Child Loop BB650_114 Depth 3
	v_cmp_ne_u16_sdwa s[12:13], v8, v93 src0_sel:BYTE_0 src1_sel:DWORD
	v_cndmask_b32_e64 v8, 0, 1, s[12:13]
	;;#ASMSTART
	;;#ASMEND
	v_cmp_ne_u32_e32 vcc, 0, v8
	s_cmp_lg_u64 vcc, exec
	v_pk_mov_b32 v[30:31], v[6:7], v[6:7] op_sel:[0,1]
	s_cbranch_scc1 .LBB650_117
; %bb.111:                              ;   in Loop: Header=BB650_110 Depth=1
	v_lshlrev_b64 v[6:7], 4, v[28:29]
	v_mov_b32_e32 v8, s51
	v_add_co_u32_e32 v32, vcc, s50, v6
	v_addc_co_u32_e32 v33, vcc, v8, v7, vcc
	;;#ASMSTART
	global_load_dwordx4 v[6:9], v[32:33] off glc	
s_waitcnt vmcnt(0)
	;;#ASMEND
	v_and_b32_e32 v9, 0xff, v7
	v_and_b32_e32 v106, 0xff00, v7
	v_or3_b32 v9, 0, v9, v106
	v_or3_b32 v6, v6, 0, 0
	v_and_b32_e32 v106, 0xff000000, v7
	v_and_b32_e32 v7, 0xff0000, v7
	v_or3_b32 v7, v9, v7, v106
	v_or3_b32 v6, v6, 0, 0
	v_cmp_eq_u16_sdwa s[14:15], v8, v29 src0_sel:BYTE_0 src1_sel:DWORD
	s_and_saveexec_b64 s[12:13], s[14:15]
	s_cbranch_execz .LBB650_109
; %bb.112:                              ;   in Loop: Header=BB650_110 Depth=1
	s_mov_b32 s17, 1
	s_mov_b64 s[14:15], 0
.LBB650_113:                            ;   Parent Loop BB650_110 Depth=1
                                        ; =>  This Loop Header: Depth=2
                                        ;       Child Loop BB650_114 Depth 3
	s_max_u32 s18, s17, 1
.LBB650_114:                            ;   Parent Loop BB650_110 Depth=1
                                        ;     Parent Loop BB650_113 Depth=2
                                        ; =>    This Inner Loop Header: Depth=3
	s_add_i32 s18, s18, -1
	s_cmp_eq_u32 s18, 0
	s_sleep 1
	s_cbranch_scc0 .LBB650_114
; %bb.115:                              ;   in Loop: Header=BB650_113 Depth=2
	s_cmp_lt_u32 s17, 32
	s_cselect_b64 s[18:19], -1, 0
	s_cmp_lg_u64 s[18:19], 0
	s_addc_u32 s17, s17, 0
	;;#ASMSTART
	global_load_dwordx4 v[6:9], v[32:33] off glc	
s_waitcnt vmcnt(0)
	;;#ASMEND
	v_cmp_ne_u16_sdwa s[18:19], v8, v29 src0_sel:BYTE_0 src1_sel:DWORD
	s_or_b64 s[14:15], s[18:19], s[14:15]
	s_andn2_b64 exec, exec, s[14:15]
	s_cbranch_execnz .LBB650_113
; %bb.116:                              ;   in Loop: Header=BB650_110 Depth=1
	s_or_b64 exec, exec, s[14:15]
	s_branch .LBB650_109
.LBB650_117:                            ;   in Loop: Header=BB650_110 Depth=1
                                        ; implicit-def: $vgpr8
                                        ; implicit-def: $vgpr6_vgpr7
	s_cbranch_execz .LBB650_110
; %bb.118:
	s_and_saveexec_b64 s[12:13], s[8:9]
	s_cbranch_execz .LBB650_120
; %bb.119:
	s_add_i32 s14, s33, 64
	s_mov_b32 s15, 0
	v_add_u32_e32 v7, v31, v27
	s_lshl_b64 s[14:15], s[14:15], 4
	s_add_u32 s14, s50, s14
	v_and_b32_e32 v8, 0xff000000, v7
	v_and_b32_e32 v10, 0xff0000, v7
	s_addc_u32 s15, s51, s15
	v_or_b32_e32 v8, v10, v8
	v_and_b32_e32 v10, 0xff00, v7
	v_and_b32_e32 v7, 0xff, v7
	v_add_u32_e32 v6, v30, v26
	v_mov_b32_e32 v9, 0
	v_or3_b32 v7, v8, v10, v7
	v_mov_b32_e32 v8, 2
	v_pk_mov_b32 v[10:11], s[14:15], s[14:15] op_sel:[0,1]
	;;#ASMSTART
	global_store_dwordx4 v[10:11], v[6:9] off	
s_waitcnt vmcnt(0)
	;;#ASMEND
	s_movk_i32 s14, 0x3400
	v_add_u32_e64 v6, s14, 0
	ds_write2_b32 v6, v26, v27 offset1:2
	ds_write2_b32 v6, v30, v31 offset0:4 offset1:6
.LBB650_120:
	s_or_b64 exec, exec, s[12:13]
	s_and_b64 exec, exec, s[0:1]
	s_cbranch_execz .LBB650_122
; %bb.121:
	v_mov_b32_e32 v6, 0
	ds_write_b64 v6, v[30:31] offset:24
.LBB650_122:
	s_or_b64 exec, exec, s[10:11]
	v_mov_b32_e32 v6, 0
	s_waitcnt lgkmcnt(0)
	s_barrier
	ds_read_b64 v[10:11], v6 offset:24
	v_cndmask_b32_e64 v25, v92, v25, s[8:9]
	v_cndmask_b32_e64 v1, v1, v24, s[8:9]
	s_movk_i32 s8, 0x3400
	s_waitcnt lgkmcnt(0)
	v_add_u32_e32 v24, v10, v1
	v_add_u32_e64 v1, s8, 0
	s_barrier
	ds_read2_b32 v[6:7], v1 offset1:2
	ds_read2_b32 v[8:9], v1 offset0:4 offset1:6
	v_add_u32_e32 v1, v11, v25
	v_cndmask_b32_e64 v1, v1, v11, s[0:1]
	v_cndmask_b32_e64 v10, v24, v10, s[0:1]
	s_branch .LBB650_133
.LBB650_123:
                                        ; implicit-def: $vgpr1
                                        ; implicit-def: $vgpr8
                                        ; implicit-def: $vgpr6
                                        ; implicit-def: $vgpr10_vgpr11
	s_cbranch_execz .LBB650_133
; %bb.124:
	s_nop 0
	v_mov_b32_dpp v1, v90 row_shr:1 row_mask:0xf bank_mask:0xf
	s_waitcnt lgkmcnt(1)
	v_mov_b32_dpp v6, v91 row_shr:1 row_mask:0xf bank_mask:0xf
	v_add_u32_e32 v1, v1, v90
	v_add_u32_e32 v6, v6, v91
	v_cndmask_b32_e64 v6, v6, v91, s[6:7]
	v_cndmask_b32_e64 v1, v1, v90, s[6:7]
	v_cmp_lt_u32_e32 vcc, 3, v89
	s_waitcnt lgkmcnt(0)
	v_mov_b32_dpp v8, v6 row_shr:2 row_mask:0xf bank_mask:0xf
	v_mov_b32_dpp v7, v1 row_shr:2 row_mask:0xf bank_mask:0xf
	v_add_u32_e32 v7, v1, v7
	v_add_u32_e32 v8, v6, v8
	v_cndmask_b32_e64 v6, v6, v8, s[4:5]
	v_cndmask_b32_e64 v1, v1, v7, s[4:5]
	s_nop 0
	v_mov_b32_dpp v8, v6 row_shr:4 row_mask:0xf bank_mask:0xf
	v_mov_b32_dpp v7, v1 row_shr:4 row_mask:0xf bank_mask:0xf
	v_add_u32_e32 v7, v1, v7
	v_add_u32_e32 v8, v6, v8
	v_cndmask_b32_e32 v6, v6, v8, vcc
	v_cndmask_b32_e32 v1, v1, v7, vcc
	v_cmp_lt_u32_e32 vcc, 7, v89
	v_mov_b32_dpp v8, v6 row_shr:8 row_mask:0xf bank_mask:0xf
	v_mov_b32_dpp v7, v1 row_shr:8 row_mask:0xf bank_mask:0xf
	v_add_u32_e32 v7, v1, v7
	v_add_u32_e32 v8, v6, v8
	v_cndmask_b32_e32 v6, v6, v8, vcc
	v_cndmask_b32_e32 v1, v1, v7, vcc
	v_cmp_eq_u32_e32 vcc, 0, v88
	v_mov_b32_dpp v8, v6 row_bcast:15 row_mask:0xf bank_mask:0xf
	v_mov_b32_dpp v7, v1 row_bcast:15 row_mask:0xf bank_mask:0xf
	v_add_u32_e32 v7, v1, v7
	v_add_u32_e32 v8, v6, v8
	v_cndmask_b32_e32 v6, v8, v6, vcc
	v_cndmask_b32_e32 v1, v7, v1, vcc
	v_cmp_lt_u32_e32 vcc, 31, v85
	v_mov_b32_dpp v8, v6 row_bcast:31 row_mask:0xf bank_mask:0xf
	v_mov_b32_dpp v7, v1 row_bcast:31 row_mask:0xf bank_mask:0xf
	v_add_u32_e32 v8, v6, v8
	v_add_u32_e32 v9, v1, v7
	v_cndmask_b32_e32 v7, v6, v8, vcc
	v_cndmask_b32_e32 v6, v1, v9, vcc
	v_cmp_eq_u32_e32 vcc, v87, v0
	s_and_saveexec_b64 s[4:5], vcc
	s_cbranch_execz .LBB650_126
; %bb.125:
	v_lshlrev_b32_e32 v1, 3, v86
	ds_write_b64 v1, v[6:7]
.LBB650_126:
	s_or_b64 exec, exec, s[4:5]
	v_cmp_gt_u32_e32 vcc, 4, v0
	s_waitcnt lgkmcnt(0)
	s_barrier
	s_and_saveexec_b64 s[4:5], vcc
	s_cbranch_execz .LBB650_128
; %bb.127:
	v_lshlrev_b32_e32 v1, 3, v0
	ds_read_b64 v[8:9], v1
	v_and_b32_e32 v10, 3, v85
	v_cmp_eq_u32_e32 vcc, 0, v10
	s_waitcnt lgkmcnt(0)
	v_mov_b32_dpp v11, v8 row_shr:1 row_mask:0xf bank_mask:0xf
	v_mov_b32_dpp v24, v9 row_shr:1 row_mask:0xf bank_mask:0xf
	v_add_u32_e32 v11, v11, v8
	v_add_u32_e32 v24, v24, v9
	v_cndmask_b32_e32 v9, v24, v9, vcc
	v_cndmask_b32_e32 v8, v11, v8, vcc
	v_cmp_lt_u32_e32 vcc, 1, v10
	v_mov_b32_dpp v24, v9 row_shr:2 row_mask:0xf bank_mask:0xf
	v_mov_b32_dpp v11, v8 row_shr:2 row_mask:0xf bank_mask:0xf
	v_cndmask_b32_e32 v10, 0, v11, vcc
	v_cndmask_b32_e32 v11, 0, v24, vcc
	v_add_u32_e32 v9, v11, v9
	v_add_u32_e32 v8, v10, v8
	ds_write_b64 v1, v[8:9]
.LBB650_128:
	s_or_b64 exec, exec, s[4:5]
	v_cmp_lt_u32_e32 vcc, 63, v0
	v_mov_b32_e32 v8, 0
	v_mov_b32_e32 v10, 0
	;; [unrolled: 1-line block ×3, first 2 shown]
	s_waitcnt lgkmcnt(0)
	s_barrier
	s_and_saveexec_b64 s[4:5], vcc
	s_cbranch_execz .LBB650_130
; %bb.129:
	v_lshl_add_u32 v1, v86, 3, -8
	ds_read_b64 v[10:11], v1
.LBB650_130:
	s_or_b64 exec, exec, s[4:5]
	s_waitcnt lgkmcnt(0)
	v_add_u32_e32 v9, v11, v7
	v_add_u32_e32 v1, v10, v6
	v_add_u32_e32 v6, -1, v85
	v_and_b32_e32 v7, 64, v85
	v_cmp_lt_i32_e32 vcc, v6, v7
	v_cndmask_b32_e32 v6, v6, v85, vcc
	v_lshlrev_b32_e32 v24, 2, v6
	ds_read_b64 v[6:7], v8 offset:24
	ds_bpermute_b32 v1, v24, v1
	ds_bpermute_b32 v24, v24, v9
	s_waitcnt lgkmcnt(2)
	v_readfirstlane_b32 s6, v7
	s_and_saveexec_b64 s[4:5], s[0:1]
	s_cbranch_execz .LBB650_132
; %bb.131:
	s_add_u32 s8, s50, 0x400
	s_mov_b32 s10, 0
	s_addc_u32 s9, s51, 0
	s_and_b32 s11, s6, 0xff000000
	s_and_b32 s13, s6, 0xff0000
	s_mov_b32 s12, s10
	s_or_b64 s[12:13], s[12:13], s[10:11]
	s_and_b32 s11, s6, 0xff00
	s_or_b64 s[12:13], s[12:13], s[10:11]
	s_and_b32 s11, s6, 0xff
	s_or_b64 s[10:11], s[12:13], s[10:11]
	v_mov_b32_e32 v7, s11
	v_mov_b32_e32 v8, 2
	;; [unrolled: 1-line block ×3, first 2 shown]
	v_pk_mov_b32 v[26:27], s[8:9], s[8:9] op_sel:[0,1]
	;;#ASMSTART
	global_store_dwordx4 v[26:27], v[6:9] off	
s_waitcnt vmcnt(0)
	;;#ASMEND
.LBB650_132:
	s_or_b64 exec, exec, s[4:5]
	v_cmp_eq_u32_e32 vcc, 0, v85
	s_waitcnt lgkmcnt(1)
	v_cndmask_b32_e32 v7, v1, v10, vcc
	s_waitcnt lgkmcnt(0)
	v_cndmask_b32_e32 v1, v24, v11, vcc
	v_mov_b32_e32 v8, 0
	v_cndmask_b32_e64 v1, v1, 0, s[0:1]
	v_cndmask_b32_e64 v10, v7, 0, s[0:1]
	s_barrier
	v_mov_b32_e32 v7, s6
	v_mov_b32_e32 v9, 0
.LBB650_133:
	v_add_u32_e32 v11, v10, v67
	v_add_u32_e32 v26, v1, v68
	;; [unrolled: 1-line block ×13, first 2 shown]
	s_waitcnt vmcnt(0) lgkmcnt(0)
	v_add_co_u32_e32 v2, vcc, v2, v8
	v_add_u32_e32 v68, v62, v74
	v_add_u32_e32 v64, v67, v64
	v_addc_co_u32_e32 v3, vcc, 0, v3, vcc
	v_add_u32_e32 v69, v68, v82
	v_add_u32_e32 v70, v64, v75
	v_sub_co_u32_e32 v24, vcc, v4, v6
	v_add_u32_e32 v71, v69, v76
	v_add_u32_e32 v65, v70, v65
	v_subbrev_co_u32_e32 v25, vcc, 0, v5, vcc
	v_lshlrev_b32_e32 v76, 1, v6
	v_sub_u32_e32 v1, v1, v9
	v_add_u32_e32 v73, v65, v77
	v_add_co_u32_e32 v24, vcc, v24, v9
	v_add_u32_e32 v77, v76, v7
	v_sub_u32_e32 v10, v10, v8
	v_add_u32_e32 v1, v1, v6
	v_addc_co_u32_e32 v25, vcc, 0, v25, vcc
	v_add_u32_e32 v36, v77, v36
	v_and_b32_e32 v38, 1, v38
	v_add_u32_e32 v77, v10, v1
	v_and_b32_e32 v37, 1, v37
	v_sub_u32_e32 v77, v36, v77
	v_cmp_eq_u32_e32 vcc, 1, v38
	v_cndmask_b32_e32 v1, v77, v1, vcc
	v_cmp_eq_u32_e32 vcc, 1, v37
	v_cndmask_b32_e32 v1, v1, v10, vcc
	v_lshlrev_b32_e32 v1, 2, v1
	ds_write_b32 v1, v22
	v_sub_u32_e32 v1, v11, v8
	v_sub_u32_e32 v11, v26, v9
	v_add_u32_e32 v11, v11, v6
	v_add_u32_e32 v26, v11, v1
	v_and_b32_e32 v22, 1, v40
	v_sub_u32_e32 v26, v36, v26
	v_and_b32_e32 v10, 1, v39
	v_add_u32_e32 v26, 1, v26
	v_cmp_eq_u32_e32 vcc, 1, v22
	v_cndmask_b32_e32 v11, v26, v11, vcc
	v_cmp_eq_u32_e32 vcc, 1, v10
	v_cndmask_b32_e32 v1, v11, v1, vcc
	v_lshlrev_b32_e32 v1, 2, v1
	v_sub_u32_e32 v11, v27, v9
	ds_write_b32 v1, v23
	v_sub_u32_e32 v1, v28, v8
	v_add_u32_e32 v11, v11, v6
	v_add_u32_e32 v23, v11, v1
	v_and_b32_e32 v22, 1, v42
	v_sub_u32_e32 v23, v36, v23
	v_and_b32_e32 v10, 1, v41
	v_add_u32_e32 v23, 2, v23
	v_cmp_eq_u32_e32 vcc, 1, v22
	v_cndmask_b32_e32 v11, v23, v11, vcc
	v_cmp_eq_u32_e32 vcc, 1, v10
	v_cndmask_b32_e32 v1, v11, v1, vcc
	v_lshlrev_b32_e32 v1, 2, v1
	v_sub_u32_e32 v11, v30, v9
	ds_write_b32 v1, v20
	;; [unrolled: 14-line block ×8, first 2 shown]
	v_sub_u32_e32 v1, v70, v8
	v_add_u32_e32 v11, v11, v6
	v_add_u32_e32 v16, v1, v11
	v_and_b32_e32 v14, 1, v55
	v_sub_u32_e32 v16, v36, v16
	v_and_b32_e32 v10, 1, v56
	v_add_u32_e32 v16, 9, v16
	v_cmp_eq_u32_e32 vcc, 1, v14
	v_cndmask_b32_e32 v11, v16, v11, vcc
	v_cmp_eq_u32_e32 vcc, 1, v10
	v_add_u32_e32 v72, v71, v83
	v_cndmask_b32_e32 v1, v11, v1, vcc
	v_lshlrev_b32_e32 v1, 2, v1
	v_sub_u32_e32 v11, v72, v9
	ds_write_b32 v1, v15
	v_sub_u32_e32 v1, v65, v8
	v_add_u32_e32 v11, v11, v6
	v_add_u32_e32 v15, v1, v11
	v_and_b32_e32 v14, 1, v57
	v_sub_u32_e32 v15, v36, v15
	v_and_b32_e32 v10, 1, v58
	v_add_u32_e32 v15, 10, v15
	v_cmp_eq_u32_e32 vcc, 1, v14
	v_cndmask_b32_e32 v11, v15, v11, vcc
	v_cmp_eq_u32_e32 vcc, 1, v10
	v_add_u32_e32 v74, v72, v78
	v_cndmask_b32_e32 v1, v11, v1, vcc
	v_lshlrev_b32_e32 v1, 2, v1
	v_sub_u32_e32 v11, v74, v9
	ds_write_b32 v1, v12
	v_sub_u32_e32 v1, v73, v8
	v_add_u32_e32 v11, v11, v6
	v_add_u32_e32 v14, v1, v11
	v_and_b32_e32 v12, 1, v59
	v_sub_u32_e32 v14, v36, v14
	v_and_b32_e32 v10, 1, v60
	v_add_u32_e32 v14, 11, v14
	v_cmp_eq_u32_e32 vcc, 1, v12
	v_cndmask_b32_e32 v11, v14, v11, vcc
	v_cmp_eq_u32_e32 vcc, 1, v10
	v_cndmask_b32_e32 v1, v11, v1, vcc
	v_add_u32_e32 v75, v74, v84
	v_add_u32_e32 v66, v73, v66
	v_lshlrev_b32_e32 v1, 2, v1
	ds_write_b32 v1, v13
	v_sub_u32_e32 v1, v66, v8
	v_sub_u32_e32 v8, v75, v9
	v_add_u32_e32 v8, v8, v6
	v_add_u32_e32 v10, v1, v8
	v_sub_u32_e32 v10, v36, v10
	v_add_u32_e32 v10, 12, v10
	v_cndmask_b32_e64 v8, v10, v8, s[54:55]
	v_cndmask_b32_e64 v1, v8, v1, s[52:53]
	v_lshlrev_b32_e32 v1, 2, v1
	ds_write_b32 v1, v35
	v_mov_b32_e32 v1, s49
	v_add_co_u32_e32 v8, vcc, s48, v34
	v_addc_co_u32_e32 v10, vcc, 0, v1, vcc
	v_add_co_u32_e32 v1, vcc, v7, v76
	v_addc_co_u32_e64 v11, s[4:5], 0, 0, vcc
	v_add_co_u32_e32 v1, vcc, v1, v24
	v_addc_co_u32_e32 v11, vcc, v11, v25, vcc
	v_add_co_u32_e32 v1, vcc, v1, v2
	v_addc_co_u32_e32 v11, vcc, v11, v3, vcc
	v_sub_co_u32_e32 v1, vcc, v8, v1
	v_subb_co_u32_e32 v8, vcc, v10, v11, vcc
	v_lshlrev_b64 v[10:11], 2, v[24:25]
	v_mov_b32_e32 v12, s47
	v_add_co_u32_e32 v10, vcc, s46, v10
	v_addc_co_u32_e32 v11, vcc, v12, v11, vcc
	v_lshlrev_b64 v[12:13], 2, v[2:3]
	v_mov_b32_e32 v15, s45
	v_add_co_u32_e32 v12, vcc, s44, v12
	s_add_u32 s8, s34, -4
	v_addc_co_u32_e32 v13, vcc, v15, v13, vcc
	s_addc_u32 s9, s35, -1
	v_add_u32_e32 v14, v6, v7
	s_and_b64 vcc, exec, s[2:3]
	s_mov_b64 s[2:3], -1
	s_waitcnt lgkmcnt(0)
	s_barrier
	s_cbranch_vccz .LBB650_137
; %bb.134:
	s_and_b64 vcc, exec, s[2:3]
	s_cbranch_vccnz .LBB650_242
.LBB650_135:
	s_and_b64 s[0:1], s[0:1], s[30:31]
	s_and_saveexec_b64 s[2:3], s[0:1]
	s_cbranch_execnz .LBB650_360
.LBB650_136:
	s_endpgm
.LBB650_137:
	v_cmp_le_u32_e32 vcc, v6, v0
	s_and_saveexec_b64 s[2:3], vcc
	s_xor_b64 s[2:3], exec, s[2:3]
	s_cbranch_execz .LBB650_143
; %bb.138:
	v_cmp_le_u32_e32 vcc, v14, v0
	s_and_saveexec_b64 s[4:5], vcc
	s_xor_b64 s[4:5], exec, s[4:5]
	s_cbranch_execz .LBB650_140
; %bb.139:
	v_lshlrev_b32_e32 v15, 2, v0
	v_add_co_u32_e32 v16, vcc, v1, v0
	ds_read_b32 v15, v15
	v_addc_co_u32_e32 v17, vcc, 0, v8, vcc
	v_lshlrev_b64 v[16:17], 2, v[16:17]
	v_mov_b32_e32 v18, s35
	v_sub_co_u32_e32 v16, vcc, s34, v16
	v_subb_co_u32_e32 v17, vcc, v18, v17, vcc
	s_waitcnt lgkmcnt(0)
	global_store_dword v[16:17], v15, off offset:-4
.LBB650_140:
	s_andn2_saveexec_b64 s[4:5], s[4:5]
	s_cbranch_execz .LBB650_142
; %bb.141:
	v_lshlrev_b32_e32 v15, 2, v0
	ds_read_b32 v16, v15
	v_readfirstlane_b32 s6, v10
	v_readfirstlane_b32 s7, v11
	s_waitcnt lgkmcnt(0)
	s_nop 3
	global_store_dword v15, v16, s[6:7]
.LBB650_142:
	s_or_b64 exec, exec, s[4:5]
.LBB650_143:
	s_andn2_saveexec_b64 s[2:3], s[2:3]
	s_cbranch_execz .LBB650_145
; %bb.144:
	v_lshlrev_b32_e32 v15, 2, v0
	ds_read_b32 v16, v15
	v_readfirstlane_b32 s4, v12
	v_readfirstlane_b32 s5, v13
	s_waitcnt lgkmcnt(0)
	s_nop 3
	global_store_dword v15, v16, s[4:5]
.LBB650_145:
	s_or_b64 exec, exec, s[2:3]
	v_or_b32_e32 v15, 0x100, v0
	v_cmp_le_u32_e32 vcc, v6, v15
	s_and_saveexec_b64 s[2:3], vcc
	s_xor_b64 s[2:3], exec, s[2:3]
	s_cbranch_execz .LBB650_151
; %bb.146:
	v_cmp_le_u32_e32 vcc, v14, v15
	s_and_saveexec_b64 s[4:5], vcc
	s_xor_b64 s[4:5], exec, s[4:5]
	s_cbranch_execz .LBB650_148
; %bb.147:
	v_lshlrev_b32_e32 v15, 2, v0
	ds_read_b32 v15, v15 offset:1024
	v_add_co_u32_e32 v16, vcc, v1, v0
	v_addc_co_u32_e32 v17, vcc, 0, v8, vcc
	v_lshlrev_b64 v[16:17], 2, v[16:17]
	v_mov_b32_e32 v18, s9
	v_sub_co_u32_e32 v16, vcc, s8, v16
	v_subb_co_u32_e32 v17, vcc, v18, v17, vcc
	s_waitcnt lgkmcnt(0)
	global_store_dword v[16:17], v15, off offset:-1024
.LBB650_148:
	s_andn2_saveexec_b64 s[4:5], s[4:5]
	s_cbranch_execz .LBB650_150
; %bb.149:
	v_lshlrev_b32_e32 v15, 2, v0
	ds_read_b32 v16, v15 offset:1024
	v_readfirstlane_b32 s6, v10
	v_readfirstlane_b32 s7, v11
	s_waitcnt lgkmcnt(0)
	s_nop 3
	global_store_dword v15, v16, s[6:7] offset:1024
.LBB650_150:
	s_or_b64 exec, exec, s[4:5]
.LBB650_151:
	s_andn2_saveexec_b64 s[2:3], s[2:3]
	s_cbranch_execz .LBB650_153
; %bb.152:
	v_lshlrev_b32_e32 v15, 2, v0
	ds_read_b32 v16, v15 offset:1024
	v_readfirstlane_b32 s4, v12
	v_readfirstlane_b32 s5, v13
	s_waitcnt lgkmcnt(0)
	s_nop 3
	global_store_dword v15, v16, s[4:5] offset:1024
.LBB650_153:
	s_or_b64 exec, exec, s[2:3]
	v_or_b32_e32 v15, 0x200, v0
	v_cmp_le_u32_e32 vcc, v6, v15
	s_and_saveexec_b64 s[2:3], vcc
	s_xor_b64 s[2:3], exec, s[2:3]
	s_cbranch_execz .LBB650_159
; %bb.154:
	v_cmp_le_u32_e32 vcc, v14, v15
	s_and_saveexec_b64 s[4:5], vcc
	s_xor_b64 s[4:5], exec, s[4:5]
	s_cbranch_execz .LBB650_156
; %bb.155:
	v_lshlrev_b32_e32 v15, 2, v0
	ds_read_b32 v15, v15 offset:2048
	v_add_co_u32_e32 v16, vcc, v1, v0
	v_addc_co_u32_e32 v17, vcc, 0, v8, vcc
	v_lshlrev_b64 v[16:17], 2, v[16:17]
	v_mov_b32_e32 v18, s9
	v_sub_co_u32_e32 v16, vcc, s8, v16
	v_subb_co_u32_e32 v17, vcc, v18, v17, vcc
	s_waitcnt lgkmcnt(0)
	global_store_dword v[16:17], v15, off offset:-2048
.LBB650_156:
	s_andn2_saveexec_b64 s[4:5], s[4:5]
	s_cbranch_execz .LBB650_158
; %bb.157:
	v_lshlrev_b32_e32 v15, 2, v0
	ds_read_b32 v16, v15 offset:2048
	v_readfirstlane_b32 s6, v10
	v_readfirstlane_b32 s7, v11
	s_waitcnt lgkmcnt(0)
	s_nop 3
	global_store_dword v15, v16, s[6:7] offset:2048
.LBB650_158:
	s_or_b64 exec, exec, s[4:5]
.LBB650_159:
	s_andn2_saveexec_b64 s[2:3], s[2:3]
	s_cbranch_execz .LBB650_161
; %bb.160:
	v_lshlrev_b32_e32 v15, 2, v0
	ds_read_b32 v16, v15 offset:2048
	v_readfirstlane_b32 s4, v12
	v_readfirstlane_b32 s5, v13
	s_waitcnt lgkmcnt(0)
	s_nop 3
	global_store_dword v15, v16, s[4:5] offset:2048
.LBB650_161:
	;; [unrolled: 47-line block ×3, first 2 shown]
	s_or_b64 exec, exec, s[2:3]
	v_or_b32_e32 v15, 0x400, v0
	v_cmp_le_u32_e32 vcc, v6, v15
	s_and_saveexec_b64 s[2:3], vcc
	s_xor_b64 s[2:3], exec, s[2:3]
	s_cbranch_execz .LBB650_175
; %bb.170:
	v_cmp_le_u32_e32 vcc, v14, v15
	s_and_saveexec_b64 s[4:5], vcc
	s_xor_b64 s[4:5], exec, s[4:5]
	s_cbranch_execz .LBB650_172
; %bb.171:
	v_lshlrev_b32_e32 v15, 2, v0
	ds_read_b32 v15, v15 offset:4096
	v_add_co_u32_e32 v16, vcc, v1, v0
	v_addc_co_u32_e32 v17, vcc, 0, v8, vcc
	v_lshlrev_b64 v[16:17], 2, v[16:17]
	v_mov_b32_e32 v18, s9
	v_sub_co_u32_e32 v16, vcc, s8, v16
	v_subb_co_u32_e32 v17, vcc, v18, v17, vcc
	s_waitcnt lgkmcnt(0)
	global_store_dword v[16:17], v15, off offset:-4096
                                        ; implicit-def: $vgpr15
.LBB650_172:
	s_andn2_saveexec_b64 s[4:5], s[4:5]
	s_cbranch_execz .LBB650_174
; %bb.173:
	v_lshlrev_b32_e32 v16, 2, v0
	ds_read_b32 v16, v16 offset:4096
	v_lshlrev_b32_e32 v15, 2, v15
	v_readfirstlane_b32 s6, v10
	v_readfirstlane_b32 s7, v11
	s_waitcnt lgkmcnt(0)
	s_nop 3
	global_store_dword v15, v16, s[6:7]
.LBB650_174:
	s_or_b64 exec, exec, s[4:5]
                                        ; implicit-def: $vgpr15
.LBB650_175:
	s_andn2_saveexec_b64 s[2:3], s[2:3]
	s_cbranch_execz .LBB650_177
; %bb.176:
	v_lshlrev_b32_e32 v16, 2, v0
	ds_read_b32 v16, v16 offset:4096
	v_lshlrev_b32_e32 v15, 2, v15
	v_readfirstlane_b32 s4, v12
	v_readfirstlane_b32 s5, v13
	s_waitcnt lgkmcnt(0)
	s_nop 3
	global_store_dword v15, v16, s[4:5]
.LBB650_177:
	s_or_b64 exec, exec, s[2:3]
	v_or_b32_e32 v15, 0x500, v0
	v_cmp_le_u32_e32 vcc, v6, v15
	s_and_saveexec_b64 s[2:3], vcc
	s_xor_b64 s[2:3], exec, s[2:3]
	s_cbranch_execz .LBB650_183
; %bb.178:
	v_cmp_le_u32_e32 vcc, v14, v15
	s_and_saveexec_b64 s[4:5], vcc
	s_xor_b64 s[4:5], exec, s[4:5]
	s_cbranch_execz .LBB650_180
; %bb.179:
	v_add_co_u32_e32 v16, vcc, v1, v15
	v_lshlrev_b32_e32 v15, 2, v0
	ds_read_b32 v15, v15 offset:5120
	v_addc_co_u32_e32 v17, vcc, 0, v8, vcc
	v_lshlrev_b64 v[16:17], 2, v[16:17]
	v_mov_b32_e32 v18, s9
	v_sub_co_u32_e32 v16, vcc, s8, v16
	v_subb_co_u32_e32 v17, vcc, v18, v17, vcc
	s_waitcnt lgkmcnt(0)
	global_store_dword v[16:17], v15, off
                                        ; implicit-def: $vgpr15
.LBB650_180:
	s_andn2_saveexec_b64 s[4:5], s[4:5]
	s_cbranch_execz .LBB650_182
; %bb.181:
	v_lshlrev_b32_e32 v16, 2, v0
	ds_read_b32 v16, v16 offset:5120
	v_lshlrev_b32_e32 v15, 2, v15
	v_readfirstlane_b32 s6, v10
	v_readfirstlane_b32 s7, v11
	s_waitcnt lgkmcnt(0)
	s_nop 3
	global_store_dword v15, v16, s[6:7]
.LBB650_182:
	s_or_b64 exec, exec, s[4:5]
                                        ; implicit-def: $vgpr15
.LBB650_183:
	s_andn2_saveexec_b64 s[2:3], s[2:3]
	s_cbranch_execz .LBB650_185
; %bb.184:
	v_lshlrev_b32_e32 v16, 2, v0
	ds_read_b32 v16, v16 offset:5120
	v_lshlrev_b32_e32 v15, 2, v15
	v_readfirstlane_b32 s4, v12
	v_readfirstlane_b32 s5, v13
	s_waitcnt lgkmcnt(0)
	s_nop 3
	global_store_dword v15, v16, s[4:5]
.LBB650_185:
	s_or_b64 exec, exec, s[2:3]
	v_or_b32_e32 v15, 0x600, v0
	v_cmp_le_u32_e32 vcc, v6, v15
	s_and_saveexec_b64 s[2:3], vcc
	s_xor_b64 s[2:3], exec, s[2:3]
	s_cbranch_execz .LBB650_191
; %bb.186:
	v_cmp_le_u32_e32 vcc, v14, v15
	s_and_saveexec_b64 s[4:5], vcc
	s_xor_b64 s[4:5], exec, s[4:5]
	s_cbranch_execz .LBB650_188
; %bb.187:
	v_add_co_u32_e32 v16, vcc, v1, v15
	v_lshlrev_b32_e32 v15, 2, v0
	ds_read_b32 v15, v15 offset:6144
	v_addc_co_u32_e32 v17, vcc, 0, v8, vcc
	v_lshlrev_b64 v[16:17], 2, v[16:17]
	v_mov_b32_e32 v18, s9
	v_sub_co_u32_e32 v16, vcc, s8, v16
	v_subb_co_u32_e32 v17, vcc, v18, v17, vcc
	s_waitcnt lgkmcnt(0)
	global_store_dword v[16:17], v15, off
                                        ; implicit-def: $vgpr15
.LBB650_188:
	s_andn2_saveexec_b64 s[4:5], s[4:5]
	s_cbranch_execz .LBB650_190
; %bb.189:
	v_lshlrev_b32_e32 v16, 2, v0
	ds_read_b32 v16, v16 offset:6144
	v_lshlrev_b32_e32 v15, 2, v15
	v_readfirstlane_b32 s6, v10
	v_readfirstlane_b32 s7, v11
	s_waitcnt lgkmcnt(0)
	s_nop 3
	global_store_dword v15, v16, s[6:7]
.LBB650_190:
	s_or_b64 exec, exec, s[4:5]
                                        ; implicit-def: $vgpr15
.LBB650_191:
	;; [unrolled: 51-line block ×8, first 2 shown]
	s_andn2_saveexec_b64 s[2:3], s[2:3]
	s_cbranch_execz .LBB650_241
; %bb.240:
	v_lshlrev_b32_e32 v16, 2, v0
	ds_read_b32 v16, v16 offset:12288
	v_lshlrev_b32_e32 v15, 2, v15
	v_readfirstlane_b32 s4, v12
	v_readfirstlane_b32 s5, v13
	s_waitcnt lgkmcnt(0)
	s_nop 3
	global_store_dword v15, v16, s[4:5]
.LBB650_241:
	s_or_b64 exec, exec, s[2:3]
	s_branch .LBB650_135
.LBB650_242:
	v_cmp_gt_u32_e32 vcc, s16, v0
	s_and_saveexec_b64 s[2:3], vcc
	s_cbranch_execz .LBB650_251
; %bb.243:
	v_cmp_le_u32_e32 vcc, v6, v0
	s_and_saveexec_b64 s[4:5], vcc
	s_xor_b64 s[4:5], exec, s[4:5]
	s_cbranch_execz .LBB650_249
; %bb.244:
	v_cmp_le_u32_e32 vcc, v14, v0
	s_and_saveexec_b64 s[6:7], vcc
	s_xor_b64 s[6:7], exec, s[6:7]
	s_cbranch_execz .LBB650_246
; %bb.245:
	v_lshlrev_b32_e32 v15, 2, v0
	v_add_co_u32_e32 v16, vcc, v1, v0
	ds_read_b32 v15, v15
	v_addc_co_u32_e32 v17, vcc, 0, v8, vcc
	v_lshlrev_b64 v[16:17], 2, v[16:17]
	v_mov_b32_e32 v18, s35
	v_sub_co_u32_e32 v16, vcc, s34, v16
	v_subb_co_u32_e32 v17, vcc, v18, v17, vcc
	s_waitcnt lgkmcnt(0)
	global_store_dword v[16:17], v15, off offset:-4
.LBB650_246:
	s_andn2_saveexec_b64 s[6:7], s[6:7]
	s_cbranch_execz .LBB650_248
; %bb.247:
	v_lshlrev_b32_e32 v15, 2, v0
	ds_read_b32 v16, v15
	v_readfirstlane_b32 s10, v10
	v_readfirstlane_b32 s11, v11
	s_waitcnt lgkmcnt(0)
	s_nop 3
	global_store_dword v15, v16, s[10:11]
.LBB650_248:
	s_or_b64 exec, exec, s[6:7]
.LBB650_249:
	s_andn2_saveexec_b64 s[4:5], s[4:5]
	s_cbranch_execz .LBB650_251
; %bb.250:
	v_lshlrev_b32_e32 v15, 2, v0
	ds_read_b32 v16, v15
	v_readfirstlane_b32 s4, v12
	v_readfirstlane_b32 s5, v13
	s_waitcnt lgkmcnt(0)
	s_nop 3
	global_store_dword v15, v16, s[4:5]
.LBB650_251:
	s_or_b64 exec, exec, s[2:3]
	v_or_b32_e32 v15, 0x100, v0
	v_cmp_gt_u32_e32 vcc, s16, v15
	s_and_saveexec_b64 s[2:3], vcc
	s_cbranch_execz .LBB650_260
; %bb.252:
	v_cmp_le_u32_e32 vcc, v6, v15
	s_and_saveexec_b64 s[4:5], vcc
	s_xor_b64 s[4:5], exec, s[4:5]
	s_cbranch_execz .LBB650_258
; %bb.253:
	v_cmp_le_u32_e32 vcc, v14, v15
	s_and_saveexec_b64 s[6:7], vcc
	s_xor_b64 s[6:7], exec, s[6:7]
	s_cbranch_execz .LBB650_255
; %bb.254:
	v_lshlrev_b32_e32 v15, 2, v0
	ds_read_b32 v15, v15 offset:1024
	v_add_co_u32_e32 v16, vcc, v1, v0
	v_addc_co_u32_e32 v17, vcc, 0, v8, vcc
	v_lshlrev_b64 v[16:17], 2, v[16:17]
	v_mov_b32_e32 v18, s9
	v_sub_co_u32_e32 v16, vcc, s8, v16
	v_subb_co_u32_e32 v17, vcc, v18, v17, vcc
	s_waitcnt lgkmcnt(0)
	global_store_dword v[16:17], v15, off offset:-1024
.LBB650_255:
	s_andn2_saveexec_b64 s[6:7], s[6:7]
	s_cbranch_execz .LBB650_257
; %bb.256:
	v_lshlrev_b32_e32 v15, 2, v0
	ds_read_b32 v16, v15 offset:1024
	v_readfirstlane_b32 s10, v10
	v_readfirstlane_b32 s11, v11
	s_waitcnt lgkmcnt(0)
	s_nop 3
	global_store_dword v15, v16, s[10:11] offset:1024
.LBB650_257:
	s_or_b64 exec, exec, s[6:7]
.LBB650_258:
	s_andn2_saveexec_b64 s[4:5], s[4:5]
	s_cbranch_execz .LBB650_260
; %bb.259:
	v_lshlrev_b32_e32 v15, 2, v0
	ds_read_b32 v16, v15 offset:1024
	v_readfirstlane_b32 s4, v12
	v_readfirstlane_b32 s5, v13
	s_waitcnt lgkmcnt(0)
	s_nop 3
	global_store_dword v15, v16, s[4:5] offset:1024
.LBB650_260:
	s_or_b64 exec, exec, s[2:3]
	v_or_b32_e32 v15, 0x200, v0
	v_cmp_gt_u32_e32 vcc, s16, v15
	s_and_saveexec_b64 s[2:3], vcc
	s_cbranch_execz .LBB650_269
; %bb.261:
	v_cmp_le_u32_e32 vcc, v6, v15
	s_and_saveexec_b64 s[4:5], vcc
	s_xor_b64 s[4:5], exec, s[4:5]
	s_cbranch_execz .LBB650_267
; %bb.262:
	v_cmp_le_u32_e32 vcc, v14, v15
	s_and_saveexec_b64 s[6:7], vcc
	s_xor_b64 s[6:7], exec, s[6:7]
	s_cbranch_execz .LBB650_264
; %bb.263:
	v_lshlrev_b32_e32 v15, 2, v0
	ds_read_b32 v15, v15 offset:2048
	v_add_co_u32_e32 v16, vcc, v1, v0
	v_addc_co_u32_e32 v17, vcc, 0, v8, vcc
	v_lshlrev_b64 v[16:17], 2, v[16:17]
	v_mov_b32_e32 v18, s9
	v_sub_co_u32_e32 v16, vcc, s8, v16
	v_subb_co_u32_e32 v17, vcc, v18, v17, vcc
	s_waitcnt lgkmcnt(0)
	global_store_dword v[16:17], v15, off offset:-2048
.LBB650_264:
	s_andn2_saveexec_b64 s[6:7], s[6:7]
	s_cbranch_execz .LBB650_266
; %bb.265:
	v_lshlrev_b32_e32 v15, 2, v0
	ds_read_b32 v16, v15 offset:2048
	v_readfirstlane_b32 s10, v10
	v_readfirstlane_b32 s11, v11
	s_waitcnt lgkmcnt(0)
	s_nop 3
	global_store_dword v15, v16, s[10:11] offset:2048
.LBB650_266:
	s_or_b64 exec, exec, s[6:7]
.LBB650_267:
	s_andn2_saveexec_b64 s[4:5], s[4:5]
	s_cbranch_execz .LBB650_269
; %bb.268:
	v_lshlrev_b32_e32 v15, 2, v0
	ds_read_b32 v16, v15 offset:2048
	v_readfirstlane_b32 s4, v12
	v_readfirstlane_b32 s5, v13
	s_waitcnt lgkmcnt(0)
	s_nop 3
	global_store_dword v15, v16, s[4:5] offset:2048
.LBB650_269:
	;; [unrolled: 51-line block ×3, first 2 shown]
	s_or_b64 exec, exec, s[2:3]
	v_or_b32_e32 v15, 0x400, v0
	v_cmp_gt_u32_e32 vcc, s16, v15
	s_and_saveexec_b64 s[2:3], vcc
	s_cbranch_execz .LBB650_287
; %bb.279:
	v_cmp_le_u32_e32 vcc, v6, v15
	s_and_saveexec_b64 s[4:5], vcc
	s_xor_b64 s[4:5], exec, s[4:5]
	s_cbranch_execz .LBB650_285
; %bb.280:
	v_cmp_le_u32_e32 vcc, v14, v15
	s_and_saveexec_b64 s[6:7], vcc
	s_xor_b64 s[6:7], exec, s[6:7]
	s_cbranch_execz .LBB650_282
; %bb.281:
	v_lshlrev_b32_e32 v15, 2, v0
	ds_read_b32 v15, v15 offset:4096
	v_add_co_u32_e32 v16, vcc, v1, v0
	v_addc_co_u32_e32 v17, vcc, 0, v8, vcc
	v_lshlrev_b64 v[16:17], 2, v[16:17]
	v_mov_b32_e32 v18, s9
	v_sub_co_u32_e32 v16, vcc, s8, v16
	v_subb_co_u32_e32 v17, vcc, v18, v17, vcc
	s_waitcnt lgkmcnt(0)
	global_store_dword v[16:17], v15, off offset:-4096
                                        ; implicit-def: $vgpr15
.LBB650_282:
	s_andn2_saveexec_b64 s[6:7], s[6:7]
	s_cbranch_execz .LBB650_284
; %bb.283:
	v_lshlrev_b32_e32 v16, 2, v0
	ds_read_b32 v16, v16 offset:4096
	v_lshlrev_b32_e32 v15, 2, v15
	v_readfirstlane_b32 s10, v10
	v_readfirstlane_b32 s11, v11
	s_waitcnt lgkmcnt(0)
	s_nop 3
	global_store_dword v15, v16, s[10:11]
.LBB650_284:
	s_or_b64 exec, exec, s[6:7]
                                        ; implicit-def: $vgpr15
.LBB650_285:
	s_andn2_saveexec_b64 s[4:5], s[4:5]
	s_cbranch_execz .LBB650_287
; %bb.286:
	v_lshlrev_b32_e32 v16, 2, v0
	ds_read_b32 v16, v16 offset:4096
	v_lshlrev_b32_e32 v15, 2, v15
	v_readfirstlane_b32 s4, v12
	v_readfirstlane_b32 s5, v13
	s_waitcnt lgkmcnt(0)
	s_nop 3
	global_store_dword v15, v16, s[4:5]
.LBB650_287:
	s_or_b64 exec, exec, s[2:3]
	v_or_b32_e32 v15, 0x500, v0
	v_cmp_gt_u32_e32 vcc, s16, v15
	s_and_saveexec_b64 s[2:3], vcc
	s_cbranch_execz .LBB650_296
; %bb.288:
	v_cmp_le_u32_e32 vcc, v6, v15
	s_and_saveexec_b64 s[4:5], vcc
	s_xor_b64 s[4:5], exec, s[4:5]
	s_cbranch_execz .LBB650_294
; %bb.289:
	v_cmp_le_u32_e32 vcc, v14, v15
	s_and_saveexec_b64 s[6:7], vcc
	s_xor_b64 s[6:7], exec, s[6:7]
	s_cbranch_execz .LBB650_291
; %bb.290:
	v_add_co_u32_e32 v16, vcc, v1, v15
	v_lshlrev_b32_e32 v15, 2, v0
	ds_read_b32 v15, v15 offset:5120
	v_addc_co_u32_e32 v17, vcc, 0, v8, vcc
	v_lshlrev_b64 v[16:17], 2, v[16:17]
	v_mov_b32_e32 v18, s9
	v_sub_co_u32_e32 v16, vcc, s8, v16
	v_subb_co_u32_e32 v17, vcc, v18, v17, vcc
	s_waitcnt lgkmcnt(0)
	global_store_dword v[16:17], v15, off
                                        ; implicit-def: $vgpr15
.LBB650_291:
	s_andn2_saveexec_b64 s[6:7], s[6:7]
	s_cbranch_execz .LBB650_293
; %bb.292:
	v_lshlrev_b32_e32 v16, 2, v0
	ds_read_b32 v16, v16 offset:5120
	v_lshlrev_b32_e32 v15, 2, v15
	v_readfirstlane_b32 s10, v10
	v_readfirstlane_b32 s11, v11
	s_waitcnt lgkmcnt(0)
	s_nop 3
	global_store_dword v15, v16, s[10:11]
.LBB650_293:
	s_or_b64 exec, exec, s[6:7]
                                        ; implicit-def: $vgpr15
.LBB650_294:
	s_andn2_saveexec_b64 s[4:5], s[4:5]
	s_cbranch_execz .LBB650_296
; %bb.295:
	v_lshlrev_b32_e32 v16, 2, v0
	ds_read_b32 v16, v16 offset:5120
	v_lshlrev_b32_e32 v15, 2, v15
	v_readfirstlane_b32 s4, v12
	v_readfirstlane_b32 s5, v13
	s_waitcnt lgkmcnt(0)
	s_nop 3
	global_store_dword v15, v16, s[4:5]
.LBB650_296:
	s_or_b64 exec, exec, s[2:3]
	v_or_b32_e32 v15, 0x600, v0
	v_cmp_gt_u32_e32 vcc, s16, v15
	s_and_saveexec_b64 s[2:3], vcc
	s_cbranch_execz .LBB650_305
; %bb.297:
	v_cmp_le_u32_e32 vcc, v6, v15
	s_and_saveexec_b64 s[4:5], vcc
	s_xor_b64 s[4:5], exec, s[4:5]
	s_cbranch_execz .LBB650_303
; %bb.298:
	v_cmp_le_u32_e32 vcc, v14, v15
	s_and_saveexec_b64 s[6:7], vcc
	s_xor_b64 s[6:7], exec, s[6:7]
	s_cbranch_execz .LBB650_300
; %bb.299:
	v_add_co_u32_e32 v16, vcc, v1, v15
	v_lshlrev_b32_e32 v15, 2, v0
	ds_read_b32 v15, v15 offset:6144
	v_addc_co_u32_e32 v17, vcc, 0, v8, vcc
	v_lshlrev_b64 v[16:17], 2, v[16:17]
	v_mov_b32_e32 v18, s9
	v_sub_co_u32_e32 v16, vcc, s8, v16
	v_subb_co_u32_e32 v17, vcc, v18, v17, vcc
	s_waitcnt lgkmcnt(0)
	global_store_dword v[16:17], v15, off
                                        ; implicit-def: $vgpr15
.LBB650_300:
	s_andn2_saveexec_b64 s[6:7], s[6:7]
	s_cbranch_execz .LBB650_302
; %bb.301:
	v_lshlrev_b32_e32 v16, 2, v0
	ds_read_b32 v16, v16 offset:6144
	v_lshlrev_b32_e32 v15, 2, v15
	v_readfirstlane_b32 s10, v10
	v_readfirstlane_b32 s11, v11
	s_waitcnt lgkmcnt(0)
	s_nop 3
	global_store_dword v15, v16, s[10:11]
.LBB650_302:
	s_or_b64 exec, exec, s[6:7]
                                        ; implicit-def: $vgpr15
.LBB650_303:
	s_andn2_saveexec_b64 s[4:5], s[4:5]
	s_cbranch_execz .LBB650_305
; %bb.304:
	v_lshlrev_b32_e32 v16, 2, v0
	ds_read_b32 v16, v16 offset:6144
	v_lshlrev_b32_e32 v15, 2, v15
	v_readfirstlane_b32 s4, v12
	v_readfirstlane_b32 s5, v13
	s_waitcnt lgkmcnt(0)
	s_nop 3
	global_store_dword v15, v16, s[4:5]
.LBB650_305:
	;; [unrolled: 55-line block ×7, first 2 shown]
	s_or_b64 exec, exec, s[2:3]
	v_or_b32_e32 v15, 0xc00, v0
	v_cmp_gt_u32_e32 vcc, s16, v15
	s_and_saveexec_b64 s[2:3], vcc
	s_cbranch_execz .LBB650_359
; %bb.351:
	v_cmp_le_u32_e32 vcc, v6, v15
	s_and_saveexec_b64 s[4:5], vcc
	s_xor_b64 s[4:5], exec, s[4:5]
	s_cbranch_execz .LBB650_357
; %bb.352:
	v_cmp_le_u32_e32 vcc, v14, v15
	s_and_saveexec_b64 s[6:7], vcc
	s_xor_b64 s[6:7], exec, s[6:7]
	s_cbranch_execz .LBB650_354
; %bb.353:
	v_add_co_u32_e32 v10, vcc, v1, v15
	v_lshlrev_b32_e32 v0, 2, v0
	v_addc_co_u32_e32 v11, vcc, 0, v8, vcc
	ds_read_b32 v8, v0 offset:12288
	v_lshlrev_b64 v[0:1], 2, v[10:11]
	v_mov_b32_e32 v10, s9
	v_sub_co_u32_e32 v0, vcc, s8, v0
	v_subb_co_u32_e32 v1, vcc, v10, v1, vcc
	s_waitcnt lgkmcnt(0)
	global_store_dword v[0:1], v8, off
                                        ; implicit-def: $vgpr0
                                        ; implicit-def: $vgpr15
                                        ; implicit-def: $vgpr10_vgpr11
.LBB650_354:
	s_andn2_saveexec_b64 s[6:7], s[6:7]
	s_cbranch_execz .LBB650_356
; %bb.355:
	v_lshlrev_b32_e32 v0, 2, v0
	ds_read_b32 v0, v0 offset:12288
	v_lshlrev_b32_e32 v1, 2, v15
	v_readfirstlane_b32 s8, v10
	v_readfirstlane_b32 s9, v11
	s_waitcnt lgkmcnt(0)
	s_nop 3
	global_store_dword v1, v0, s[8:9]
.LBB650_356:
	s_or_b64 exec, exec, s[6:7]
                                        ; implicit-def: $vgpr0
                                        ; implicit-def: $vgpr15
                                        ; implicit-def: $vgpr12_vgpr13
.LBB650_357:
	s_andn2_saveexec_b64 s[4:5], s[4:5]
	s_cbranch_execz .LBB650_359
; %bb.358:
	v_lshlrev_b32_e32 v0, 2, v0
	ds_read_b32 v0, v0 offset:12288
	v_lshlrev_b32_e32 v1, 2, v15
	v_readfirstlane_b32 s4, v12
	v_readfirstlane_b32 s5, v13
	s_waitcnt lgkmcnt(0)
	s_nop 3
	global_store_dword v1, v0, s[4:5]
.LBB650_359:
	s_or_b64 exec, exec, s[2:3]
	s_and_b64 s[0:1], s[0:1], s[30:31]
	s_and_saveexec_b64 s[2:3], s[0:1]
	s_cbranch_execz .LBB650_136
.LBB650_360:
	v_add_co_u32_e32 v0, vcc, v2, v6
	v_addc_co_u32_e32 v1, vcc, 0, v3, vcc
	v_add_co_u32_e32 v2, vcc, v4, v7
	v_addc_co_u32_e32 v3, vcc, 0, v5, vcc
	v_add_co_u32_e32 v2, vcc, v2, v9
	v_mov_b32_e32 v8, 0
	v_addc_co_u32_e32 v3, vcc, 0, v3, vcc
	global_store_dwordx4 v8, v[0:3], s[28:29]
	s_endpgm
	.section	.rodata,"a",@progbits
	.p2align	6, 0x0
	.amdhsa_kernel _ZN7rocprim17ROCPRIM_400000_NS6detail17trampoline_kernelINS0_13select_configILj256ELj13ELNS0_17block_load_methodE3ELS4_3ELS4_3ELNS0_20block_scan_algorithmE0ELj4294967295EEENS1_25partition_config_selectorILNS1_17partition_subalgoE4EjNS0_10empty_typeEbEEZZNS1_14partition_implILS8_4ELb0ES6_15HIP_vector_typeIjLj2EENS0_17counting_iteratorIjlEEPS9_SG_NS0_5tupleIJPjSI_NS0_16reverse_iteratorISI_EEEEENSH_IJSG_SG_SG_EEES9_SI_JZNS1_25segmented_radix_sort_implINS0_14default_configELb1EPKlPlSQ_SR_N2at6native12_GLOBAL__N_18offset_tEEE10hipError_tPvRmT1_PNSt15iterator_traitsISZ_E10value_typeET2_T3_PNS10_IS15_E10value_typeET4_jRbjT5_S1B_jjP12ihipStream_tbEUljE_ZNSN_ISO_Lb1ESQ_SR_SQ_SR_SV_EESW_SX_SY_SZ_S13_S14_S15_S18_S19_jS1A_jS1B_S1B_jjS1D_bEUljE0_EEESW_SX_SY_S15_S19_S1B_T6_T7_T9_mT8_S1D_bDpT10_ENKUlT_T0_E_clISt17integral_constantIbLb1EES1R_EEDaS1M_S1N_EUlS1M_E_NS1_11comp_targetILNS1_3genE4ELNS1_11target_archE910ELNS1_3gpuE8ELNS1_3repE0EEENS1_30default_config_static_selectorELNS0_4arch9wavefront6targetE1EEEvSZ_
		.amdhsa_group_segment_fixed_size 13340
		.amdhsa_private_segment_fixed_size 0
		.amdhsa_kernarg_size 184
		.amdhsa_user_sgpr_count 6
		.amdhsa_user_sgpr_private_segment_buffer 1
		.amdhsa_user_sgpr_dispatch_ptr 0
		.amdhsa_user_sgpr_queue_ptr 0
		.amdhsa_user_sgpr_kernarg_segment_ptr 1
		.amdhsa_user_sgpr_dispatch_id 0
		.amdhsa_user_sgpr_flat_scratch_init 0
		.amdhsa_user_sgpr_kernarg_preload_length 0
		.amdhsa_user_sgpr_kernarg_preload_offset 0
		.amdhsa_user_sgpr_private_segment_size 0
		.amdhsa_uses_dynamic_stack 0
		.amdhsa_system_sgpr_private_segment_wavefront_offset 0
		.amdhsa_system_sgpr_workgroup_id_x 1
		.amdhsa_system_sgpr_workgroup_id_y 0
		.amdhsa_system_sgpr_workgroup_id_z 0
		.amdhsa_system_sgpr_workgroup_info 0
		.amdhsa_system_vgpr_workitem_id 0
		.amdhsa_next_free_vgpr 107
		.amdhsa_next_free_sgpr 87
		.amdhsa_accum_offset 108
		.amdhsa_reserve_vcc 1
		.amdhsa_reserve_flat_scratch 0
		.amdhsa_float_round_mode_32 0
		.amdhsa_float_round_mode_16_64 0
		.amdhsa_float_denorm_mode_32 3
		.amdhsa_float_denorm_mode_16_64 3
		.amdhsa_dx10_clamp 1
		.amdhsa_ieee_mode 1
		.amdhsa_fp16_overflow 0
		.amdhsa_tg_split 0
		.amdhsa_exception_fp_ieee_invalid_op 0
		.amdhsa_exception_fp_denorm_src 0
		.amdhsa_exception_fp_ieee_div_zero 0
		.amdhsa_exception_fp_ieee_overflow 0
		.amdhsa_exception_fp_ieee_underflow 0
		.amdhsa_exception_fp_ieee_inexact 0
		.amdhsa_exception_int_div_zero 0
	.end_amdhsa_kernel
	.section	.text._ZN7rocprim17ROCPRIM_400000_NS6detail17trampoline_kernelINS0_13select_configILj256ELj13ELNS0_17block_load_methodE3ELS4_3ELS4_3ELNS0_20block_scan_algorithmE0ELj4294967295EEENS1_25partition_config_selectorILNS1_17partition_subalgoE4EjNS0_10empty_typeEbEEZZNS1_14partition_implILS8_4ELb0ES6_15HIP_vector_typeIjLj2EENS0_17counting_iteratorIjlEEPS9_SG_NS0_5tupleIJPjSI_NS0_16reverse_iteratorISI_EEEEENSH_IJSG_SG_SG_EEES9_SI_JZNS1_25segmented_radix_sort_implINS0_14default_configELb1EPKlPlSQ_SR_N2at6native12_GLOBAL__N_18offset_tEEE10hipError_tPvRmT1_PNSt15iterator_traitsISZ_E10value_typeET2_T3_PNS10_IS15_E10value_typeET4_jRbjT5_S1B_jjP12ihipStream_tbEUljE_ZNSN_ISO_Lb1ESQ_SR_SQ_SR_SV_EESW_SX_SY_SZ_S13_S14_S15_S18_S19_jS1A_jS1B_S1B_jjS1D_bEUljE0_EEESW_SX_SY_S15_S19_S1B_T6_T7_T9_mT8_S1D_bDpT10_ENKUlT_T0_E_clISt17integral_constantIbLb1EES1R_EEDaS1M_S1N_EUlS1M_E_NS1_11comp_targetILNS1_3genE4ELNS1_11target_archE910ELNS1_3gpuE8ELNS1_3repE0EEENS1_30default_config_static_selectorELNS0_4arch9wavefront6targetE1EEEvSZ_,"axG",@progbits,_ZN7rocprim17ROCPRIM_400000_NS6detail17trampoline_kernelINS0_13select_configILj256ELj13ELNS0_17block_load_methodE3ELS4_3ELS4_3ELNS0_20block_scan_algorithmE0ELj4294967295EEENS1_25partition_config_selectorILNS1_17partition_subalgoE4EjNS0_10empty_typeEbEEZZNS1_14partition_implILS8_4ELb0ES6_15HIP_vector_typeIjLj2EENS0_17counting_iteratorIjlEEPS9_SG_NS0_5tupleIJPjSI_NS0_16reverse_iteratorISI_EEEEENSH_IJSG_SG_SG_EEES9_SI_JZNS1_25segmented_radix_sort_implINS0_14default_configELb1EPKlPlSQ_SR_N2at6native12_GLOBAL__N_18offset_tEEE10hipError_tPvRmT1_PNSt15iterator_traitsISZ_E10value_typeET2_T3_PNS10_IS15_E10value_typeET4_jRbjT5_S1B_jjP12ihipStream_tbEUljE_ZNSN_ISO_Lb1ESQ_SR_SQ_SR_SV_EESW_SX_SY_SZ_S13_S14_S15_S18_S19_jS1A_jS1B_S1B_jjS1D_bEUljE0_EEESW_SX_SY_S15_S19_S1B_T6_T7_T9_mT8_S1D_bDpT10_ENKUlT_T0_E_clISt17integral_constantIbLb1EES1R_EEDaS1M_S1N_EUlS1M_E_NS1_11comp_targetILNS1_3genE4ELNS1_11target_archE910ELNS1_3gpuE8ELNS1_3repE0EEENS1_30default_config_static_selectorELNS0_4arch9wavefront6targetE1EEEvSZ_,comdat
.Lfunc_end650:
	.size	_ZN7rocprim17ROCPRIM_400000_NS6detail17trampoline_kernelINS0_13select_configILj256ELj13ELNS0_17block_load_methodE3ELS4_3ELS4_3ELNS0_20block_scan_algorithmE0ELj4294967295EEENS1_25partition_config_selectorILNS1_17partition_subalgoE4EjNS0_10empty_typeEbEEZZNS1_14partition_implILS8_4ELb0ES6_15HIP_vector_typeIjLj2EENS0_17counting_iteratorIjlEEPS9_SG_NS0_5tupleIJPjSI_NS0_16reverse_iteratorISI_EEEEENSH_IJSG_SG_SG_EEES9_SI_JZNS1_25segmented_radix_sort_implINS0_14default_configELb1EPKlPlSQ_SR_N2at6native12_GLOBAL__N_18offset_tEEE10hipError_tPvRmT1_PNSt15iterator_traitsISZ_E10value_typeET2_T3_PNS10_IS15_E10value_typeET4_jRbjT5_S1B_jjP12ihipStream_tbEUljE_ZNSN_ISO_Lb1ESQ_SR_SQ_SR_SV_EESW_SX_SY_SZ_S13_S14_S15_S18_S19_jS1A_jS1B_S1B_jjS1D_bEUljE0_EEESW_SX_SY_S15_S19_S1B_T6_T7_T9_mT8_S1D_bDpT10_ENKUlT_T0_E_clISt17integral_constantIbLb1EES1R_EEDaS1M_S1N_EUlS1M_E_NS1_11comp_targetILNS1_3genE4ELNS1_11target_archE910ELNS1_3gpuE8ELNS1_3repE0EEENS1_30default_config_static_selectorELNS0_4arch9wavefront6targetE1EEEvSZ_, .Lfunc_end650-_ZN7rocprim17ROCPRIM_400000_NS6detail17trampoline_kernelINS0_13select_configILj256ELj13ELNS0_17block_load_methodE3ELS4_3ELS4_3ELNS0_20block_scan_algorithmE0ELj4294967295EEENS1_25partition_config_selectorILNS1_17partition_subalgoE4EjNS0_10empty_typeEbEEZZNS1_14partition_implILS8_4ELb0ES6_15HIP_vector_typeIjLj2EENS0_17counting_iteratorIjlEEPS9_SG_NS0_5tupleIJPjSI_NS0_16reverse_iteratorISI_EEEEENSH_IJSG_SG_SG_EEES9_SI_JZNS1_25segmented_radix_sort_implINS0_14default_configELb1EPKlPlSQ_SR_N2at6native12_GLOBAL__N_18offset_tEEE10hipError_tPvRmT1_PNSt15iterator_traitsISZ_E10value_typeET2_T3_PNS10_IS15_E10value_typeET4_jRbjT5_S1B_jjP12ihipStream_tbEUljE_ZNSN_ISO_Lb1ESQ_SR_SQ_SR_SV_EESW_SX_SY_SZ_S13_S14_S15_S18_S19_jS1A_jS1B_S1B_jjS1D_bEUljE0_EEESW_SX_SY_S15_S19_S1B_T6_T7_T9_mT8_S1D_bDpT10_ENKUlT_T0_E_clISt17integral_constantIbLb1EES1R_EEDaS1M_S1N_EUlS1M_E_NS1_11comp_targetILNS1_3genE4ELNS1_11target_archE910ELNS1_3gpuE8ELNS1_3repE0EEENS1_30default_config_static_selectorELNS0_4arch9wavefront6targetE1EEEvSZ_
                                        ; -- End function
	.section	.AMDGPU.csdata,"",@progbits
; Kernel info:
; codeLenInByte = 13512
; NumSgprs: 91
; NumVgprs: 107
; NumAgprs: 0
; TotalNumVgprs: 107
; ScratchSize: 0
; MemoryBound: 0
; FloatMode: 240
; IeeeMode: 1
; LDSByteSize: 13340 bytes/workgroup (compile time only)
; SGPRBlocks: 11
; VGPRBlocks: 13
; NumSGPRsForWavesPerEU: 91
; NumVGPRsForWavesPerEU: 107
; AccumOffset: 108
; Occupancy: 4
; WaveLimiterHint : 1
; COMPUTE_PGM_RSRC2:SCRATCH_EN: 0
; COMPUTE_PGM_RSRC2:USER_SGPR: 6
; COMPUTE_PGM_RSRC2:TRAP_HANDLER: 0
; COMPUTE_PGM_RSRC2:TGID_X_EN: 1
; COMPUTE_PGM_RSRC2:TGID_Y_EN: 0
; COMPUTE_PGM_RSRC2:TGID_Z_EN: 0
; COMPUTE_PGM_RSRC2:TIDIG_COMP_CNT: 0
; COMPUTE_PGM_RSRC3_GFX90A:ACCUM_OFFSET: 26
; COMPUTE_PGM_RSRC3_GFX90A:TG_SPLIT: 0
	.section	.text._ZN7rocprim17ROCPRIM_400000_NS6detail17trampoline_kernelINS0_13select_configILj256ELj13ELNS0_17block_load_methodE3ELS4_3ELS4_3ELNS0_20block_scan_algorithmE0ELj4294967295EEENS1_25partition_config_selectorILNS1_17partition_subalgoE4EjNS0_10empty_typeEbEEZZNS1_14partition_implILS8_4ELb0ES6_15HIP_vector_typeIjLj2EENS0_17counting_iteratorIjlEEPS9_SG_NS0_5tupleIJPjSI_NS0_16reverse_iteratorISI_EEEEENSH_IJSG_SG_SG_EEES9_SI_JZNS1_25segmented_radix_sort_implINS0_14default_configELb1EPKlPlSQ_SR_N2at6native12_GLOBAL__N_18offset_tEEE10hipError_tPvRmT1_PNSt15iterator_traitsISZ_E10value_typeET2_T3_PNS10_IS15_E10value_typeET4_jRbjT5_S1B_jjP12ihipStream_tbEUljE_ZNSN_ISO_Lb1ESQ_SR_SQ_SR_SV_EESW_SX_SY_SZ_S13_S14_S15_S18_S19_jS1A_jS1B_S1B_jjS1D_bEUljE0_EEESW_SX_SY_S15_S19_S1B_T6_T7_T9_mT8_S1D_bDpT10_ENKUlT_T0_E_clISt17integral_constantIbLb1EES1R_EEDaS1M_S1N_EUlS1M_E_NS1_11comp_targetILNS1_3genE3ELNS1_11target_archE908ELNS1_3gpuE7ELNS1_3repE0EEENS1_30default_config_static_selectorELNS0_4arch9wavefront6targetE1EEEvSZ_,"axG",@progbits,_ZN7rocprim17ROCPRIM_400000_NS6detail17trampoline_kernelINS0_13select_configILj256ELj13ELNS0_17block_load_methodE3ELS4_3ELS4_3ELNS0_20block_scan_algorithmE0ELj4294967295EEENS1_25partition_config_selectorILNS1_17partition_subalgoE4EjNS0_10empty_typeEbEEZZNS1_14partition_implILS8_4ELb0ES6_15HIP_vector_typeIjLj2EENS0_17counting_iteratorIjlEEPS9_SG_NS0_5tupleIJPjSI_NS0_16reverse_iteratorISI_EEEEENSH_IJSG_SG_SG_EEES9_SI_JZNS1_25segmented_radix_sort_implINS0_14default_configELb1EPKlPlSQ_SR_N2at6native12_GLOBAL__N_18offset_tEEE10hipError_tPvRmT1_PNSt15iterator_traitsISZ_E10value_typeET2_T3_PNS10_IS15_E10value_typeET4_jRbjT5_S1B_jjP12ihipStream_tbEUljE_ZNSN_ISO_Lb1ESQ_SR_SQ_SR_SV_EESW_SX_SY_SZ_S13_S14_S15_S18_S19_jS1A_jS1B_S1B_jjS1D_bEUljE0_EEESW_SX_SY_S15_S19_S1B_T6_T7_T9_mT8_S1D_bDpT10_ENKUlT_T0_E_clISt17integral_constantIbLb1EES1R_EEDaS1M_S1N_EUlS1M_E_NS1_11comp_targetILNS1_3genE3ELNS1_11target_archE908ELNS1_3gpuE7ELNS1_3repE0EEENS1_30default_config_static_selectorELNS0_4arch9wavefront6targetE1EEEvSZ_,comdat
	.globl	_ZN7rocprim17ROCPRIM_400000_NS6detail17trampoline_kernelINS0_13select_configILj256ELj13ELNS0_17block_load_methodE3ELS4_3ELS4_3ELNS0_20block_scan_algorithmE0ELj4294967295EEENS1_25partition_config_selectorILNS1_17partition_subalgoE4EjNS0_10empty_typeEbEEZZNS1_14partition_implILS8_4ELb0ES6_15HIP_vector_typeIjLj2EENS0_17counting_iteratorIjlEEPS9_SG_NS0_5tupleIJPjSI_NS0_16reverse_iteratorISI_EEEEENSH_IJSG_SG_SG_EEES9_SI_JZNS1_25segmented_radix_sort_implINS0_14default_configELb1EPKlPlSQ_SR_N2at6native12_GLOBAL__N_18offset_tEEE10hipError_tPvRmT1_PNSt15iterator_traitsISZ_E10value_typeET2_T3_PNS10_IS15_E10value_typeET4_jRbjT5_S1B_jjP12ihipStream_tbEUljE_ZNSN_ISO_Lb1ESQ_SR_SQ_SR_SV_EESW_SX_SY_SZ_S13_S14_S15_S18_S19_jS1A_jS1B_S1B_jjS1D_bEUljE0_EEESW_SX_SY_S15_S19_S1B_T6_T7_T9_mT8_S1D_bDpT10_ENKUlT_T0_E_clISt17integral_constantIbLb1EES1R_EEDaS1M_S1N_EUlS1M_E_NS1_11comp_targetILNS1_3genE3ELNS1_11target_archE908ELNS1_3gpuE7ELNS1_3repE0EEENS1_30default_config_static_selectorELNS0_4arch9wavefront6targetE1EEEvSZ_ ; -- Begin function _ZN7rocprim17ROCPRIM_400000_NS6detail17trampoline_kernelINS0_13select_configILj256ELj13ELNS0_17block_load_methodE3ELS4_3ELS4_3ELNS0_20block_scan_algorithmE0ELj4294967295EEENS1_25partition_config_selectorILNS1_17partition_subalgoE4EjNS0_10empty_typeEbEEZZNS1_14partition_implILS8_4ELb0ES6_15HIP_vector_typeIjLj2EENS0_17counting_iteratorIjlEEPS9_SG_NS0_5tupleIJPjSI_NS0_16reverse_iteratorISI_EEEEENSH_IJSG_SG_SG_EEES9_SI_JZNS1_25segmented_radix_sort_implINS0_14default_configELb1EPKlPlSQ_SR_N2at6native12_GLOBAL__N_18offset_tEEE10hipError_tPvRmT1_PNSt15iterator_traitsISZ_E10value_typeET2_T3_PNS10_IS15_E10value_typeET4_jRbjT5_S1B_jjP12ihipStream_tbEUljE_ZNSN_ISO_Lb1ESQ_SR_SQ_SR_SV_EESW_SX_SY_SZ_S13_S14_S15_S18_S19_jS1A_jS1B_S1B_jjS1D_bEUljE0_EEESW_SX_SY_S15_S19_S1B_T6_T7_T9_mT8_S1D_bDpT10_ENKUlT_T0_E_clISt17integral_constantIbLb1EES1R_EEDaS1M_S1N_EUlS1M_E_NS1_11comp_targetILNS1_3genE3ELNS1_11target_archE908ELNS1_3gpuE7ELNS1_3repE0EEENS1_30default_config_static_selectorELNS0_4arch9wavefront6targetE1EEEvSZ_
	.p2align	8
	.type	_ZN7rocprim17ROCPRIM_400000_NS6detail17trampoline_kernelINS0_13select_configILj256ELj13ELNS0_17block_load_methodE3ELS4_3ELS4_3ELNS0_20block_scan_algorithmE0ELj4294967295EEENS1_25partition_config_selectorILNS1_17partition_subalgoE4EjNS0_10empty_typeEbEEZZNS1_14partition_implILS8_4ELb0ES6_15HIP_vector_typeIjLj2EENS0_17counting_iteratorIjlEEPS9_SG_NS0_5tupleIJPjSI_NS0_16reverse_iteratorISI_EEEEENSH_IJSG_SG_SG_EEES9_SI_JZNS1_25segmented_radix_sort_implINS0_14default_configELb1EPKlPlSQ_SR_N2at6native12_GLOBAL__N_18offset_tEEE10hipError_tPvRmT1_PNSt15iterator_traitsISZ_E10value_typeET2_T3_PNS10_IS15_E10value_typeET4_jRbjT5_S1B_jjP12ihipStream_tbEUljE_ZNSN_ISO_Lb1ESQ_SR_SQ_SR_SV_EESW_SX_SY_SZ_S13_S14_S15_S18_S19_jS1A_jS1B_S1B_jjS1D_bEUljE0_EEESW_SX_SY_S15_S19_S1B_T6_T7_T9_mT8_S1D_bDpT10_ENKUlT_T0_E_clISt17integral_constantIbLb1EES1R_EEDaS1M_S1N_EUlS1M_E_NS1_11comp_targetILNS1_3genE3ELNS1_11target_archE908ELNS1_3gpuE7ELNS1_3repE0EEENS1_30default_config_static_selectorELNS0_4arch9wavefront6targetE1EEEvSZ_,@function
_ZN7rocprim17ROCPRIM_400000_NS6detail17trampoline_kernelINS0_13select_configILj256ELj13ELNS0_17block_load_methodE3ELS4_3ELS4_3ELNS0_20block_scan_algorithmE0ELj4294967295EEENS1_25partition_config_selectorILNS1_17partition_subalgoE4EjNS0_10empty_typeEbEEZZNS1_14partition_implILS8_4ELb0ES6_15HIP_vector_typeIjLj2EENS0_17counting_iteratorIjlEEPS9_SG_NS0_5tupleIJPjSI_NS0_16reverse_iteratorISI_EEEEENSH_IJSG_SG_SG_EEES9_SI_JZNS1_25segmented_radix_sort_implINS0_14default_configELb1EPKlPlSQ_SR_N2at6native12_GLOBAL__N_18offset_tEEE10hipError_tPvRmT1_PNSt15iterator_traitsISZ_E10value_typeET2_T3_PNS10_IS15_E10value_typeET4_jRbjT5_S1B_jjP12ihipStream_tbEUljE_ZNSN_ISO_Lb1ESQ_SR_SQ_SR_SV_EESW_SX_SY_SZ_S13_S14_S15_S18_S19_jS1A_jS1B_S1B_jjS1D_bEUljE0_EEESW_SX_SY_S15_S19_S1B_T6_T7_T9_mT8_S1D_bDpT10_ENKUlT_T0_E_clISt17integral_constantIbLb1EES1R_EEDaS1M_S1N_EUlS1M_E_NS1_11comp_targetILNS1_3genE3ELNS1_11target_archE908ELNS1_3gpuE7ELNS1_3repE0EEENS1_30default_config_static_selectorELNS0_4arch9wavefront6targetE1EEEvSZ_: ; @_ZN7rocprim17ROCPRIM_400000_NS6detail17trampoline_kernelINS0_13select_configILj256ELj13ELNS0_17block_load_methodE3ELS4_3ELS4_3ELNS0_20block_scan_algorithmE0ELj4294967295EEENS1_25partition_config_selectorILNS1_17partition_subalgoE4EjNS0_10empty_typeEbEEZZNS1_14partition_implILS8_4ELb0ES6_15HIP_vector_typeIjLj2EENS0_17counting_iteratorIjlEEPS9_SG_NS0_5tupleIJPjSI_NS0_16reverse_iteratorISI_EEEEENSH_IJSG_SG_SG_EEES9_SI_JZNS1_25segmented_radix_sort_implINS0_14default_configELb1EPKlPlSQ_SR_N2at6native12_GLOBAL__N_18offset_tEEE10hipError_tPvRmT1_PNSt15iterator_traitsISZ_E10value_typeET2_T3_PNS10_IS15_E10value_typeET4_jRbjT5_S1B_jjP12ihipStream_tbEUljE_ZNSN_ISO_Lb1ESQ_SR_SQ_SR_SV_EESW_SX_SY_SZ_S13_S14_S15_S18_S19_jS1A_jS1B_S1B_jjS1D_bEUljE0_EEESW_SX_SY_S15_S19_S1B_T6_T7_T9_mT8_S1D_bDpT10_ENKUlT_T0_E_clISt17integral_constantIbLb1EES1R_EEDaS1M_S1N_EUlS1M_E_NS1_11comp_targetILNS1_3genE3ELNS1_11target_archE908ELNS1_3gpuE7ELNS1_3repE0EEENS1_30default_config_static_selectorELNS0_4arch9wavefront6targetE1EEEvSZ_
; %bb.0:
	.section	.rodata,"a",@progbits
	.p2align	6, 0x0
	.amdhsa_kernel _ZN7rocprim17ROCPRIM_400000_NS6detail17trampoline_kernelINS0_13select_configILj256ELj13ELNS0_17block_load_methodE3ELS4_3ELS4_3ELNS0_20block_scan_algorithmE0ELj4294967295EEENS1_25partition_config_selectorILNS1_17partition_subalgoE4EjNS0_10empty_typeEbEEZZNS1_14partition_implILS8_4ELb0ES6_15HIP_vector_typeIjLj2EENS0_17counting_iteratorIjlEEPS9_SG_NS0_5tupleIJPjSI_NS0_16reverse_iteratorISI_EEEEENSH_IJSG_SG_SG_EEES9_SI_JZNS1_25segmented_radix_sort_implINS0_14default_configELb1EPKlPlSQ_SR_N2at6native12_GLOBAL__N_18offset_tEEE10hipError_tPvRmT1_PNSt15iterator_traitsISZ_E10value_typeET2_T3_PNS10_IS15_E10value_typeET4_jRbjT5_S1B_jjP12ihipStream_tbEUljE_ZNSN_ISO_Lb1ESQ_SR_SQ_SR_SV_EESW_SX_SY_SZ_S13_S14_S15_S18_S19_jS1A_jS1B_S1B_jjS1D_bEUljE0_EEESW_SX_SY_S15_S19_S1B_T6_T7_T9_mT8_S1D_bDpT10_ENKUlT_T0_E_clISt17integral_constantIbLb1EES1R_EEDaS1M_S1N_EUlS1M_E_NS1_11comp_targetILNS1_3genE3ELNS1_11target_archE908ELNS1_3gpuE7ELNS1_3repE0EEENS1_30default_config_static_selectorELNS0_4arch9wavefront6targetE1EEEvSZ_
		.amdhsa_group_segment_fixed_size 0
		.amdhsa_private_segment_fixed_size 0
		.amdhsa_kernarg_size 184
		.amdhsa_user_sgpr_count 6
		.amdhsa_user_sgpr_private_segment_buffer 1
		.amdhsa_user_sgpr_dispatch_ptr 0
		.amdhsa_user_sgpr_queue_ptr 0
		.amdhsa_user_sgpr_kernarg_segment_ptr 1
		.amdhsa_user_sgpr_dispatch_id 0
		.amdhsa_user_sgpr_flat_scratch_init 0
		.amdhsa_user_sgpr_kernarg_preload_length 0
		.amdhsa_user_sgpr_kernarg_preload_offset 0
		.amdhsa_user_sgpr_private_segment_size 0
		.amdhsa_uses_dynamic_stack 0
		.amdhsa_system_sgpr_private_segment_wavefront_offset 0
		.amdhsa_system_sgpr_workgroup_id_x 1
		.amdhsa_system_sgpr_workgroup_id_y 0
		.amdhsa_system_sgpr_workgroup_id_z 0
		.amdhsa_system_sgpr_workgroup_info 0
		.amdhsa_system_vgpr_workitem_id 0
		.amdhsa_next_free_vgpr 1
		.amdhsa_next_free_sgpr 0
		.amdhsa_accum_offset 4
		.amdhsa_reserve_vcc 0
		.amdhsa_reserve_flat_scratch 0
		.amdhsa_float_round_mode_32 0
		.amdhsa_float_round_mode_16_64 0
		.amdhsa_float_denorm_mode_32 3
		.amdhsa_float_denorm_mode_16_64 3
		.amdhsa_dx10_clamp 1
		.amdhsa_ieee_mode 1
		.amdhsa_fp16_overflow 0
		.amdhsa_tg_split 0
		.amdhsa_exception_fp_ieee_invalid_op 0
		.amdhsa_exception_fp_denorm_src 0
		.amdhsa_exception_fp_ieee_div_zero 0
		.amdhsa_exception_fp_ieee_overflow 0
		.amdhsa_exception_fp_ieee_underflow 0
		.amdhsa_exception_fp_ieee_inexact 0
		.amdhsa_exception_int_div_zero 0
	.end_amdhsa_kernel
	.section	.text._ZN7rocprim17ROCPRIM_400000_NS6detail17trampoline_kernelINS0_13select_configILj256ELj13ELNS0_17block_load_methodE3ELS4_3ELS4_3ELNS0_20block_scan_algorithmE0ELj4294967295EEENS1_25partition_config_selectorILNS1_17partition_subalgoE4EjNS0_10empty_typeEbEEZZNS1_14partition_implILS8_4ELb0ES6_15HIP_vector_typeIjLj2EENS0_17counting_iteratorIjlEEPS9_SG_NS0_5tupleIJPjSI_NS0_16reverse_iteratorISI_EEEEENSH_IJSG_SG_SG_EEES9_SI_JZNS1_25segmented_radix_sort_implINS0_14default_configELb1EPKlPlSQ_SR_N2at6native12_GLOBAL__N_18offset_tEEE10hipError_tPvRmT1_PNSt15iterator_traitsISZ_E10value_typeET2_T3_PNS10_IS15_E10value_typeET4_jRbjT5_S1B_jjP12ihipStream_tbEUljE_ZNSN_ISO_Lb1ESQ_SR_SQ_SR_SV_EESW_SX_SY_SZ_S13_S14_S15_S18_S19_jS1A_jS1B_S1B_jjS1D_bEUljE0_EEESW_SX_SY_S15_S19_S1B_T6_T7_T9_mT8_S1D_bDpT10_ENKUlT_T0_E_clISt17integral_constantIbLb1EES1R_EEDaS1M_S1N_EUlS1M_E_NS1_11comp_targetILNS1_3genE3ELNS1_11target_archE908ELNS1_3gpuE7ELNS1_3repE0EEENS1_30default_config_static_selectorELNS0_4arch9wavefront6targetE1EEEvSZ_,"axG",@progbits,_ZN7rocprim17ROCPRIM_400000_NS6detail17trampoline_kernelINS0_13select_configILj256ELj13ELNS0_17block_load_methodE3ELS4_3ELS4_3ELNS0_20block_scan_algorithmE0ELj4294967295EEENS1_25partition_config_selectorILNS1_17partition_subalgoE4EjNS0_10empty_typeEbEEZZNS1_14partition_implILS8_4ELb0ES6_15HIP_vector_typeIjLj2EENS0_17counting_iteratorIjlEEPS9_SG_NS0_5tupleIJPjSI_NS0_16reverse_iteratorISI_EEEEENSH_IJSG_SG_SG_EEES9_SI_JZNS1_25segmented_radix_sort_implINS0_14default_configELb1EPKlPlSQ_SR_N2at6native12_GLOBAL__N_18offset_tEEE10hipError_tPvRmT1_PNSt15iterator_traitsISZ_E10value_typeET2_T3_PNS10_IS15_E10value_typeET4_jRbjT5_S1B_jjP12ihipStream_tbEUljE_ZNSN_ISO_Lb1ESQ_SR_SQ_SR_SV_EESW_SX_SY_SZ_S13_S14_S15_S18_S19_jS1A_jS1B_S1B_jjS1D_bEUljE0_EEESW_SX_SY_S15_S19_S1B_T6_T7_T9_mT8_S1D_bDpT10_ENKUlT_T0_E_clISt17integral_constantIbLb1EES1R_EEDaS1M_S1N_EUlS1M_E_NS1_11comp_targetILNS1_3genE3ELNS1_11target_archE908ELNS1_3gpuE7ELNS1_3repE0EEENS1_30default_config_static_selectorELNS0_4arch9wavefront6targetE1EEEvSZ_,comdat
.Lfunc_end651:
	.size	_ZN7rocprim17ROCPRIM_400000_NS6detail17trampoline_kernelINS0_13select_configILj256ELj13ELNS0_17block_load_methodE3ELS4_3ELS4_3ELNS0_20block_scan_algorithmE0ELj4294967295EEENS1_25partition_config_selectorILNS1_17partition_subalgoE4EjNS0_10empty_typeEbEEZZNS1_14partition_implILS8_4ELb0ES6_15HIP_vector_typeIjLj2EENS0_17counting_iteratorIjlEEPS9_SG_NS0_5tupleIJPjSI_NS0_16reverse_iteratorISI_EEEEENSH_IJSG_SG_SG_EEES9_SI_JZNS1_25segmented_radix_sort_implINS0_14default_configELb1EPKlPlSQ_SR_N2at6native12_GLOBAL__N_18offset_tEEE10hipError_tPvRmT1_PNSt15iterator_traitsISZ_E10value_typeET2_T3_PNS10_IS15_E10value_typeET4_jRbjT5_S1B_jjP12ihipStream_tbEUljE_ZNSN_ISO_Lb1ESQ_SR_SQ_SR_SV_EESW_SX_SY_SZ_S13_S14_S15_S18_S19_jS1A_jS1B_S1B_jjS1D_bEUljE0_EEESW_SX_SY_S15_S19_S1B_T6_T7_T9_mT8_S1D_bDpT10_ENKUlT_T0_E_clISt17integral_constantIbLb1EES1R_EEDaS1M_S1N_EUlS1M_E_NS1_11comp_targetILNS1_3genE3ELNS1_11target_archE908ELNS1_3gpuE7ELNS1_3repE0EEENS1_30default_config_static_selectorELNS0_4arch9wavefront6targetE1EEEvSZ_, .Lfunc_end651-_ZN7rocprim17ROCPRIM_400000_NS6detail17trampoline_kernelINS0_13select_configILj256ELj13ELNS0_17block_load_methodE3ELS4_3ELS4_3ELNS0_20block_scan_algorithmE0ELj4294967295EEENS1_25partition_config_selectorILNS1_17partition_subalgoE4EjNS0_10empty_typeEbEEZZNS1_14partition_implILS8_4ELb0ES6_15HIP_vector_typeIjLj2EENS0_17counting_iteratorIjlEEPS9_SG_NS0_5tupleIJPjSI_NS0_16reverse_iteratorISI_EEEEENSH_IJSG_SG_SG_EEES9_SI_JZNS1_25segmented_radix_sort_implINS0_14default_configELb1EPKlPlSQ_SR_N2at6native12_GLOBAL__N_18offset_tEEE10hipError_tPvRmT1_PNSt15iterator_traitsISZ_E10value_typeET2_T3_PNS10_IS15_E10value_typeET4_jRbjT5_S1B_jjP12ihipStream_tbEUljE_ZNSN_ISO_Lb1ESQ_SR_SQ_SR_SV_EESW_SX_SY_SZ_S13_S14_S15_S18_S19_jS1A_jS1B_S1B_jjS1D_bEUljE0_EEESW_SX_SY_S15_S19_S1B_T6_T7_T9_mT8_S1D_bDpT10_ENKUlT_T0_E_clISt17integral_constantIbLb1EES1R_EEDaS1M_S1N_EUlS1M_E_NS1_11comp_targetILNS1_3genE3ELNS1_11target_archE908ELNS1_3gpuE7ELNS1_3repE0EEENS1_30default_config_static_selectorELNS0_4arch9wavefront6targetE1EEEvSZ_
                                        ; -- End function
	.section	.AMDGPU.csdata,"",@progbits
; Kernel info:
; codeLenInByte = 0
; NumSgprs: 4
; NumVgprs: 0
; NumAgprs: 0
; TotalNumVgprs: 0
; ScratchSize: 0
; MemoryBound: 0
; FloatMode: 240
; IeeeMode: 1
; LDSByteSize: 0 bytes/workgroup (compile time only)
; SGPRBlocks: 0
; VGPRBlocks: 0
; NumSGPRsForWavesPerEU: 4
; NumVGPRsForWavesPerEU: 1
; AccumOffset: 4
; Occupancy: 8
; WaveLimiterHint : 0
; COMPUTE_PGM_RSRC2:SCRATCH_EN: 0
; COMPUTE_PGM_RSRC2:USER_SGPR: 6
; COMPUTE_PGM_RSRC2:TRAP_HANDLER: 0
; COMPUTE_PGM_RSRC2:TGID_X_EN: 1
; COMPUTE_PGM_RSRC2:TGID_Y_EN: 0
; COMPUTE_PGM_RSRC2:TGID_Z_EN: 0
; COMPUTE_PGM_RSRC2:TIDIG_COMP_CNT: 0
; COMPUTE_PGM_RSRC3_GFX90A:ACCUM_OFFSET: 0
; COMPUTE_PGM_RSRC3_GFX90A:TG_SPLIT: 0
	.section	.text._ZN7rocprim17ROCPRIM_400000_NS6detail17trampoline_kernelINS0_13select_configILj256ELj13ELNS0_17block_load_methodE3ELS4_3ELS4_3ELNS0_20block_scan_algorithmE0ELj4294967295EEENS1_25partition_config_selectorILNS1_17partition_subalgoE4EjNS0_10empty_typeEbEEZZNS1_14partition_implILS8_4ELb0ES6_15HIP_vector_typeIjLj2EENS0_17counting_iteratorIjlEEPS9_SG_NS0_5tupleIJPjSI_NS0_16reverse_iteratorISI_EEEEENSH_IJSG_SG_SG_EEES9_SI_JZNS1_25segmented_radix_sort_implINS0_14default_configELb1EPKlPlSQ_SR_N2at6native12_GLOBAL__N_18offset_tEEE10hipError_tPvRmT1_PNSt15iterator_traitsISZ_E10value_typeET2_T3_PNS10_IS15_E10value_typeET4_jRbjT5_S1B_jjP12ihipStream_tbEUljE_ZNSN_ISO_Lb1ESQ_SR_SQ_SR_SV_EESW_SX_SY_SZ_S13_S14_S15_S18_S19_jS1A_jS1B_S1B_jjS1D_bEUljE0_EEESW_SX_SY_S15_S19_S1B_T6_T7_T9_mT8_S1D_bDpT10_ENKUlT_T0_E_clISt17integral_constantIbLb1EES1R_EEDaS1M_S1N_EUlS1M_E_NS1_11comp_targetILNS1_3genE2ELNS1_11target_archE906ELNS1_3gpuE6ELNS1_3repE0EEENS1_30default_config_static_selectorELNS0_4arch9wavefront6targetE1EEEvSZ_,"axG",@progbits,_ZN7rocprim17ROCPRIM_400000_NS6detail17trampoline_kernelINS0_13select_configILj256ELj13ELNS0_17block_load_methodE3ELS4_3ELS4_3ELNS0_20block_scan_algorithmE0ELj4294967295EEENS1_25partition_config_selectorILNS1_17partition_subalgoE4EjNS0_10empty_typeEbEEZZNS1_14partition_implILS8_4ELb0ES6_15HIP_vector_typeIjLj2EENS0_17counting_iteratorIjlEEPS9_SG_NS0_5tupleIJPjSI_NS0_16reverse_iteratorISI_EEEEENSH_IJSG_SG_SG_EEES9_SI_JZNS1_25segmented_radix_sort_implINS0_14default_configELb1EPKlPlSQ_SR_N2at6native12_GLOBAL__N_18offset_tEEE10hipError_tPvRmT1_PNSt15iterator_traitsISZ_E10value_typeET2_T3_PNS10_IS15_E10value_typeET4_jRbjT5_S1B_jjP12ihipStream_tbEUljE_ZNSN_ISO_Lb1ESQ_SR_SQ_SR_SV_EESW_SX_SY_SZ_S13_S14_S15_S18_S19_jS1A_jS1B_S1B_jjS1D_bEUljE0_EEESW_SX_SY_S15_S19_S1B_T6_T7_T9_mT8_S1D_bDpT10_ENKUlT_T0_E_clISt17integral_constantIbLb1EES1R_EEDaS1M_S1N_EUlS1M_E_NS1_11comp_targetILNS1_3genE2ELNS1_11target_archE906ELNS1_3gpuE6ELNS1_3repE0EEENS1_30default_config_static_selectorELNS0_4arch9wavefront6targetE1EEEvSZ_,comdat
	.globl	_ZN7rocprim17ROCPRIM_400000_NS6detail17trampoline_kernelINS0_13select_configILj256ELj13ELNS0_17block_load_methodE3ELS4_3ELS4_3ELNS0_20block_scan_algorithmE0ELj4294967295EEENS1_25partition_config_selectorILNS1_17partition_subalgoE4EjNS0_10empty_typeEbEEZZNS1_14partition_implILS8_4ELb0ES6_15HIP_vector_typeIjLj2EENS0_17counting_iteratorIjlEEPS9_SG_NS0_5tupleIJPjSI_NS0_16reverse_iteratorISI_EEEEENSH_IJSG_SG_SG_EEES9_SI_JZNS1_25segmented_radix_sort_implINS0_14default_configELb1EPKlPlSQ_SR_N2at6native12_GLOBAL__N_18offset_tEEE10hipError_tPvRmT1_PNSt15iterator_traitsISZ_E10value_typeET2_T3_PNS10_IS15_E10value_typeET4_jRbjT5_S1B_jjP12ihipStream_tbEUljE_ZNSN_ISO_Lb1ESQ_SR_SQ_SR_SV_EESW_SX_SY_SZ_S13_S14_S15_S18_S19_jS1A_jS1B_S1B_jjS1D_bEUljE0_EEESW_SX_SY_S15_S19_S1B_T6_T7_T9_mT8_S1D_bDpT10_ENKUlT_T0_E_clISt17integral_constantIbLb1EES1R_EEDaS1M_S1N_EUlS1M_E_NS1_11comp_targetILNS1_3genE2ELNS1_11target_archE906ELNS1_3gpuE6ELNS1_3repE0EEENS1_30default_config_static_selectorELNS0_4arch9wavefront6targetE1EEEvSZ_ ; -- Begin function _ZN7rocprim17ROCPRIM_400000_NS6detail17trampoline_kernelINS0_13select_configILj256ELj13ELNS0_17block_load_methodE3ELS4_3ELS4_3ELNS0_20block_scan_algorithmE0ELj4294967295EEENS1_25partition_config_selectorILNS1_17partition_subalgoE4EjNS0_10empty_typeEbEEZZNS1_14partition_implILS8_4ELb0ES6_15HIP_vector_typeIjLj2EENS0_17counting_iteratorIjlEEPS9_SG_NS0_5tupleIJPjSI_NS0_16reverse_iteratorISI_EEEEENSH_IJSG_SG_SG_EEES9_SI_JZNS1_25segmented_radix_sort_implINS0_14default_configELb1EPKlPlSQ_SR_N2at6native12_GLOBAL__N_18offset_tEEE10hipError_tPvRmT1_PNSt15iterator_traitsISZ_E10value_typeET2_T3_PNS10_IS15_E10value_typeET4_jRbjT5_S1B_jjP12ihipStream_tbEUljE_ZNSN_ISO_Lb1ESQ_SR_SQ_SR_SV_EESW_SX_SY_SZ_S13_S14_S15_S18_S19_jS1A_jS1B_S1B_jjS1D_bEUljE0_EEESW_SX_SY_S15_S19_S1B_T6_T7_T9_mT8_S1D_bDpT10_ENKUlT_T0_E_clISt17integral_constantIbLb1EES1R_EEDaS1M_S1N_EUlS1M_E_NS1_11comp_targetILNS1_3genE2ELNS1_11target_archE906ELNS1_3gpuE6ELNS1_3repE0EEENS1_30default_config_static_selectorELNS0_4arch9wavefront6targetE1EEEvSZ_
	.p2align	8
	.type	_ZN7rocprim17ROCPRIM_400000_NS6detail17trampoline_kernelINS0_13select_configILj256ELj13ELNS0_17block_load_methodE3ELS4_3ELS4_3ELNS0_20block_scan_algorithmE0ELj4294967295EEENS1_25partition_config_selectorILNS1_17partition_subalgoE4EjNS0_10empty_typeEbEEZZNS1_14partition_implILS8_4ELb0ES6_15HIP_vector_typeIjLj2EENS0_17counting_iteratorIjlEEPS9_SG_NS0_5tupleIJPjSI_NS0_16reverse_iteratorISI_EEEEENSH_IJSG_SG_SG_EEES9_SI_JZNS1_25segmented_radix_sort_implINS0_14default_configELb1EPKlPlSQ_SR_N2at6native12_GLOBAL__N_18offset_tEEE10hipError_tPvRmT1_PNSt15iterator_traitsISZ_E10value_typeET2_T3_PNS10_IS15_E10value_typeET4_jRbjT5_S1B_jjP12ihipStream_tbEUljE_ZNSN_ISO_Lb1ESQ_SR_SQ_SR_SV_EESW_SX_SY_SZ_S13_S14_S15_S18_S19_jS1A_jS1B_S1B_jjS1D_bEUljE0_EEESW_SX_SY_S15_S19_S1B_T6_T7_T9_mT8_S1D_bDpT10_ENKUlT_T0_E_clISt17integral_constantIbLb1EES1R_EEDaS1M_S1N_EUlS1M_E_NS1_11comp_targetILNS1_3genE2ELNS1_11target_archE906ELNS1_3gpuE6ELNS1_3repE0EEENS1_30default_config_static_selectorELNS0_4arch9wavefront6targetE1EEEvSZ_,@function
_ZN7rocprim17ROCPRIM_400000_NS6detail17trampoline_kernelINS0_13select_configILj256ELj13ELNS0_17block_load_methodE3ELS4_3ELS4_3ELNS0_20block_scan_algorithmE0ELj4294967295EEENS1_25partition_config_selectorILNS1_17partition_subalgoE4EjNS0_10empty_typeEbEEZZNS1_14partition_implILS8_4ELb0ES6_15HIP_vector_typeIjLj2EENS0_17counting_iteratorIjlEEPS9_SG_NS0_5tupleIJPjSI_NS0_16reverse_iteratorISI_EEEEENSH_IJSG_SG_SG_EEES9_SI_JZNS1_25segmented_radix_sort_implINS0_14default_configELb1EPKlPlSQ_SR_N2at6native12_GLOBAL__N_18offset_tEEE10hipError_tPvRmT1_PNSt15iterator_traitsISZ_E10value_typeET2_T3_PNS10_IS15_E10value_typeET4_jRbjT5_S1B_jjP12ihipStream_tbEUljE_ZNSN_ISO_Lb1ESQ_SR_SQ_SR_SV_EESW_SX_SY_SZ_S13_S14_S15_S18_S19_jS1A_jS1B_S1B_jjS1D_bEUljE0_EEESW_SX_SY_S15_S19_S1B_T6_T7_T9_mT8_S1D_bDpT10_ENKUlT_T0_E_clISt17integral_constantIbLb1EES1R_EEDaS1M_S1N_EUlS1M_E_NS1_11comp_targetILNS1_3genE2ELNS1_11target_archE906ELNS1_3gpuE6ELNS1_3repE0EEENS1_30default_config_static_selectorELNS0_4arch9wavefront6targetE1EEEvSZ_: ; @_ZN7rocprim17ROCPRIM_400000_NS6detail17trampoline_kernelINS0_13select_configILj256ELj13ELNS0_17block_load_methodE3ELS4_3ELS4_3ELNS0_20block_scan_algorithmE0ELj4294967295EEENS1_25partition_config_selectorILNS1_17partition_subalgoE4EjNS0_10empty_typeEbEEZZNS1_14partition_implILS8_4ELb0ES6_15HIP_vector_typeIjLj2EENS0_17counting_iteratorIjlEEPS9_SG_NS0_5tupleIJPjSI_NS0_16reverse_iteratorISI_EEEEENSH_IJSG_SG_SG_EEES9_SI_JZNS1_25segmented_radix_sort_implINS0_14default_configELb1EPKlPlSQ_SR_N2at6native12_GLOBAL__N_18offset_tEEE10hipError_tPvRmT1_PNSt15iterator_traitsISZ_E10value_typeET2_T3_PNS10_IS15_E10value_typeET4_jRbjT5_S1B_jjP12ihipStream_tbEUljE_ZNSN_ISO_Lb1ESQ_SR_SQ_SR_SV_EESW_SX_SY_SZ_S13_S14_S15_S18_S19_jS1A_jS1B_S1B_jjS1D_bEUljE0_EEESW_SX_SY_S15_S19_S1B_T6_T7_T9_mT8_S1D_bDpT10_ENKUlT_T0_E_clISt17integral_constantIbLb1EES1R_EEDaS1M_S1N_EUlS1M_E_NS1_11comp_targetILNS1_3genE2ELNS1_11target_archE906ELNS1_3gpuE6ELNS1_3repE0EEENS1_30default_config_static_selectorELNS0_4arch9wavefront6targetE1EEEvSZ_
; %bb.0:
	.section	.rodata,"a",@progbits
	.p2align	6, 0x0
	.amdhsa_kernel _ZN7rocprim17ROCPRIM_400000_NS6detail17trampoline_kernelINS0_13select_configILj256ELj13ELNS0_17block_load_methodE3ELS4_3ELS4_3ELNS0_20block_scan_algorithmE0ELj4294967295EEENS1_25partition_config_selectorILNS1_17partition_subalgoE4EjNS0_10empty_typeEbEEZZNS1_14partition_implILS8_4ELb0ES6_15HIP_vector_typeIjLj2EENS0_17counting_iteratorIjlEEPS9_SG_NS0_5tupleIJPjSI_NS0_16reverse_iteratorISI_EEEEENSH_IJSG_SG_SG_EEES9_SI_JZNS1_25segmented_radix_sort_implINS0_14default_configELb1EPKlPlSQ_SR_N2at6native12_GLOBAL__N_18offset_tEEE10hipError_tPvRmT1_PNSt15iterator_traitsISZ_E10value_typeET2_T3_PNS10_IS15_E10value_typeET4_jRbjT5_S1B_jjP12ihipStream_tbEUljE_ZNSN_ISO_Lb1ESQ_SR_SQ_SR_SV_EESW_SX_SY_SZ_S13_S14_S15_S18_S19_jS1A_jS1B_S1B_jjS1D_bEUljE0_EEESW_SX_SY_S15_S19_S1B_T6_T7_T9_mT8_S1D_bDpT10_ENKUlT_T0_E_clISt17integral_constantIbLb1EES1R_EEDaS1M_S1N_EUlS1M_E_NS1_11comp_targetILNS1_3genE2ELNS1_11target_archE906ELNS1_3gpuE6ELNS1_3repE0EEENS1_30default_config_static_selectorELNS0_4arch9wavefront6targetE1EEEvSZ_
		.amdhsa_group_segment_fixed_size 0
		.amdhsa_private_segment_fixed_size 0
		.amdhsa_kernarg_size 184
		.amdhsa_user_sgpr_count 6
		.amdhsa_user_sgpr_private_segment_buffer 1
		.amdhsa_user_sgpr_dispatch_ptr 0
		.amdhsa_user_sgpr_queue_ptr 0
		.amdhsa_user_sgpr_kernarg_segment_ptr 1
		.amdhsa_user_sgpr_dispatch_id 0
		.amdhsa_user_sgpr_flat_scratch_init 0
		.amdhsa_user_sgpr_kernarg_preload_length 0
		.amdhsa_user_sgpr_kernarg_preload_offset 0
		.amdhsa_user_sgpr_private_segment_size 0
		.amdhsa_uses_dynamic_stack 0
		.amdhsa_system_sgpr_private_segment_wavefront_offset 0
		.amdhsa_system_sgpr_workgroup_id_x 1
		.amdhsa_system_sgpr_workgroup_id_y 0
		.amdhsa_system_sgpr_workgroup_id_z 0
		.amdhsa_system_sgpr_workgroup_info 0
		.amdhsa_system_vgpr_workitem_id 0
		.amdhsa_next_free_vgpr 1
		.amdhsa_next_free_sgpr 0
		.amdhsa_accum_offset 4
		.amdhsa_reserve_vcc 0
		.amdhsa_reserve_flat_scratch 0
		.amdhsa_float_round_mode_32 0
		.amdhsa_float_round_mode_16_64 0
		.amdhsa_float_denorm_mode_32 3
		.amdhsa_float_denorm_mode_16_64 3
		.amdhsa_dx10_clamp 1
		.amdhsa_ieee_mode 1
		.amdhsa_fp16_overflow 0
		.amdhsa_tg_split 0
		.amdhsa_exception_fp_ieee_invalid_op 0
		.amdhsa_exception_fp_denorm_src 0
		.amdhsa_exception_fp_ieee_div_zero 0
		.amdhsa_exception_fp_ieee_overflow 0
		.amdhsa_exception_fp_ieee_underflow 0
		.amdhsa_exception_fp_ieee_inexact 0
		.amdhsa_exception_int_div_zero 0
	.end_amdhsa_kernel
	.section	.text._ZN7rocprim17ROCPRIM_400000_NS6detail17trampoline_kernelINS0_13select_configILj256ELj13ELNS0_17block_load_methodE3ELS4_3ELS4_3ELNS0_20block_scan_algorithmE0ELj4294967295EEENS1_25partition_config_selectorILNS1_17partition_subalgoE4EjNS0_10empty_typeEbEEZZNS1_14partition_implILS8_4ELb0ES6_15HIP_vector_typeIjLj2EENS0_17counting_iteratorIjlEEPS9_SG_NS0_5tupleIJPjSI_NS0_16reverse_iteratorISI_EEEEENSH_IJSG_SG_SG_EEES9_SI_JZNS1_25segmented_radix_sort_implINS0_14default_configELb1EPKlPlSQ_SR_N2at6native12_GLOBAL__N_18offset_tEEE10hipError_tPvRmT1_PNSt15iterator_traitsISZ_E10value_typeET2_T3_PNS10_IS15_E10value_typeET4_jRbjT5_S1B_jjP12ihipStream_tbEUljE_ZNSN_ISO_Lb1ESQ_SR_SQ_SR_SV_EESW_SX_SY_SZ_S13_S14_S15_S18_S19_jS1A_jS1B_S1B_jjS1D_bEUljE0_EEESW_SX_SY_S15_S19_S1B_T6_T7_T9_mT8_S1D_bDpT10_ENKUlT_T0_E_clISt17integral_constantIbLb1EES1R_EEDaS1M_S1N_EUlS1M_E_NS1_11comp_targetILNS1_3genE2ELNS1_11target_archE906ELNS1_3gpuE6ELNS1_3repE0EEENS1_30default_config_static_selectorELNS0_4arch9wavefront6targetE1EEEvSZ_,"axG",@progbits,_ZN7rocprim17ROCPRIM_400000_NS6detail17trampoline_kernelINS0_13select_configILj256ELj13ELNS0_17block_load_methodE3ELS4_3ELS4_3ELNS0_20block_scan_algorithmE0ELj4294967295EEENS1_25partition_config_selectorILNS1_17partition_subalgoE4EjNS0_10empty_typeEbEEZZNS1_14partition_implILS8_4ELb0ES6_15HIP_vector_typeIjLj2EENS0_17counting_iteratorIjlEEPS9_SG_NS0_5tupleIJPjSI_NS0_16reverse_iteratorISI_EEEEENSH_IJSG_SG_SG_EEES9_SI_JZNS1_25segmented_radix_sort_implINS0_14default_configELb1EPKlPlSQ_SR_N2at6native12_GLOBAL__N_18offset_tEEE10hipError_tPvRmT1_PNSt15iterator_traitsISZ_E10value_typeET2_T3_PNS10_IS15_E10value_typeET4_jRbjT5_S1B_jjP12ihipStream_tbEUljE_ZNSN_ISO_Lb1ESQ_SR_SQ_SR_SV_EESW_SX_SY_SZ_S13_S14_S15_S18_S19_jS1A_jS1B_S1B_jjS1D_bEUljE0_EEESW_SX_SY_S15_S19_S1B_T6_T7_T9_mT8_S1D_bDpT10_ENKUlT_T0_E_clISt17integral_constantIbLb1EES1R_EEDaS1M_S1N_EUlS1M_E_NS1_11comp_targetILNS1_3genE2ELNS1_11target_archE906ELNS1_3gpuE6ELNS1_3repE0EEENS1_30default_config_static_selectorELNS0_4arch9wavefront6targetE1EEEvSZ_,comdat
.Lfunc_end652:
	.size	_ZN7rocprim17ROCPRIM_400000_NS6detail17trampoline_kernelINS0_13select_configILj256ELj13ELNS0_17block_load_methodE3ELS4_3ELS4_3ELNS0_20block_scan_algorithmE0ELj4294967295EEENS1_25partition_config_selectorILNS1_17partition_subalgoE4EjNS0_10empty_typeEbEEZZNS1_14partition_implILS8_4ELb0ES6_15HIP_vector_typeIjLj2EENS0_17counting_iteratorIjlEEPS9_SG_NS0_5tupleIJPjSI_NS0_16reverse_iteratorISI_EEEEENSH_IJSG_SG_SG_EEES9_SI_JZNS1_25segmented_radix_sort_implINS0_14default_configELb1EPKlPlSQ_SR_N2at6native12_GLOBAL__N_18offset_tEEE10hipError_tPvRmT1_PNSt15iterator_traitsISZ_E10value_typeET2_T3_PNS10_IS15_E10value_typeET4_jRbjT5_S1B_jjP12ihipStream_tbEUljE_ZNSN_ISO_Lb1ESQ_SR_SQ_SR_SV_EESW_SX_SY_SZ_S13_S14_S15_S18_S19_jS1A_jS1B_S1B_jjS1D_bEUljE0_EEESW_SX_SY_S15_S19_S1B_T6_T7_T9_mT8_S1D_bDpT10_ENKUlT_T0_E_clISt17integral_constantIbLb1EES1R_EEDaS1M_S1N_EUlS1M_E_NS1_11comp_targetILNS1_3genE2ELNS1_11target_archE906ELNS1_3gpuE6ELNS1_3repE0EEENS1_30default_config_static_selectorELNS0_4arch9wavefront6targetE1EEEvSZ_, .Lfunc_end652-_ZN7rocprim17ROCPRIM_400000_NS6detail17trampoline_kernelINS0_13select_configILj256ELj13ELNS0_17block_load_methodE3ELS4_3ELS4_3ELNS0_20block_scan_algorithmE0ELj4294967295EEENS1_25partition_config_selectorILNS1_17partition_subalgoE4EjNS0_10empty_typeEbEEZZNS1_14partition_implILS8_4ELb0ES6_15HIP_vector_typeIjLj2EENS0_17counting_iteratorIjlEEPS9_SG_NS0_5tupleIJPjSI_NS0_16reverse_iteratorISI_EEEEENSH_IJSG_SG_SG_EEES9_SI_JZNS1_25segmented_radix_sort_implINS0_14default_configELb1EPKlPlSQ_SR_N2at6native12_GLOBAL__N_18offset_tEEE10hipError_tPvRmT1_PNSt15iterator_traitsISZ_E10value_typeET2_T3_PNS10_IS15_E10value_typeET4_jRbjT5_S1B_jjP12ihipStream_tbEUljE_ZNSN_ISO_Lb1ESQ_SR_SQ_SR_SV_EESW_SX_SY_SZ_S13_S14_S15_S18_S19_jS1A_jS1B_S1B_jjS1D_bEUljE0_EEESW_SX_SY_S15_S19_S1B_T6_T7_T9_mT8_S1D_bDpT10_ENKUlT_T0_E_clISt17integral_constantIbLb1EES1R_EEDaS1M_S1N_EUlS1M_E_NS1_11comp_targetILNS1_3genE2ELNS1_11target_archE906ELNS1_3gpuE6ELNS1_3repE0EEENS1_30default_config_static_selectorELNS0_4arch9wavefront6targetE1EEEvSZ_
                                        ; -- End function
	.section	.AMDGPU.csdata,"",@progbits
; Kernel info:
; codeLenInByte = 0
; NumSgprs: 4
; NumVgprs: 0
; NumAgprs: 0
; TotalNumVgprs: 0
; ScratchSize: 0
; MemoryBound: 0
; FloatMode: 240
; IeeeMode: 1
; LDSByteSize: 0 bytes/workgroup (compile time only)
; SGPRBlocks: 0
; VGPRBlocks: 0
; NumSGPRsForWavesPerEU: 4
; NumVGPRsForWavesPerEU: 1
; AccumOffset: 4
; Occupancy: 8
; WaveLimiterHint : 0
; COMPUTE_PGM_RSRC2:SCRATCH_EN: 0
; COMPUTE_PGM_RSRC2:USER_SGPR: 6
; COMPUTE_PGM_RSRC2:TRAP_HANDLER: 0
; COMPUTE_PGM_RSRC2:TGID_X_EN: 1
; COMPUTE_PGM_RSRC2:TGID_Y_EN: 0
; COMPUTE_PGM_RSRC2:TGID_Z_EN: 0
; COMPUTE_PGM_RSRC2:TIDIG_COMP_CNT: 0
; COMPUTE_PGM_RSRC3_GFX90A:ACCUM_OFFSET: 0
; COMPUTE_PGM_RSRC3_GFX90A:TG_SPLIT: 0
	.section	.text._ZN7rocprim17ROCPRIM_400000_NS6detail17trampoline_kernelINS0_13select_configILj256ELj13ELNS0_17block_load_methodE3ELS4_3ELS4_3ELNS0_20block_scan_algorithmE0ELj4294967295EEENS1_25partition_config_selectorILNS1_17partition_subalgoE4EjNS0_10empty_typeEbEEZZNS1_14partition_implILS8_4ELb0ES6_15HIP_vector_typeIjLj2EENS0_17counting_iteratorIjlEEPS9_SG_NS0_5tupleIJPjSI_NS0_16reverse_iteratorISI_EEEEENSH_IJSG_SG_SG_EEES9_SI_JZNS1_25segmented_radix_sort_implINS0_14default_configELb1EPKlPlSQ_SR_N2at6native12_GLOBAL__N_18offset_tEEE10hipError_tPvRmT1_PNSt15iterator_traitsISZ_E10value_typeET2_T3_PNS10_IS15_E10value_typeET4_jRbjT5_S1B_jjP12ihipStream_tbEUljE_ZNSN_ISO_Lb1ESQ_SR_SQ_SR_SV_EESW_SX_SY_SZ_S13_S14_S15_S18_S19_jS1A_jS1B_S1B_jjS1D_bEUljE0_EEESW_SX_SY_S15_S19_S1B_T6_T7_T9_mT8_S1D_bDpT10_ENKUlT_T0_E_clISt17integral_constantIbLb1EES1R_EEDaS1M_S1N_EUlS1M_E_NS1_11comp_targetILNS1_3genE10ELNS1_11target_archE1200ELNS1_3gpuE4ELNS1_3repE0EEENS1_30default_config_static_selectorELNS0_4arch9wavefront6targetE1EEEvSZ_,"axG",@progbits,_ZN7rocprim17ROCPRIM_400000_NS6detail17trampoline_kernelINS0_13select_configILj256ELj13ELNS0_17block_load_methodE3ELS4_3ELS4_3ELNS0_20block_scan_algorithmE0ELj4294967295EEENS1_25partition_config_selectorILNS1_17partition_subalgoE4EjNS0_10empty_typeEbEEZZNS1_14partition_implILS8_4ELb0ES6_15HIP_vector_typeIjLj2EENS0_17counting_iteratorIjlEEPS9_SG_NS0_5tupleIJPjSI_NS0_16reverse_iteratorISI_EEEEENSH_IJSG_SG_SG_EEES9_SI_JZNS1_25segmented_radix_sort_implINS0_14default_configELb1EPKlPlSQ_SR_N2at6native12_GLOBAL__N_18offset_tEEE10hipError_tPvRmT1_PNSt15iterator_traitsISZ_E10value_typeET2_T3_PNS10_IS15_E10value_typeET4_jRbjT5_S1B_jjP12ihipStream_tbEUljE_ZNSN_ISO_Lb1ESQ_SR_SQ_SR_SV_EESW_SX_SY_SZ_S13_S14_S15_S18_S19_jS1A_jS1B_S1B_jjS1D_bEUljE0_EEESW_SX_SY_S15_S19_S1B_T6_T7_T9_mT8_S1D_bDpT10_ENKUlT_T0_E_clISt17integral_constantIbLb1EES1R_EEDaS1M_S1N_EUlS1M_E_NS1_11comp_targetILNS1_3genE10ELNS1_11target_archE1200ELNS1_3gpuE4ELNS1_3repE0EEENS1_30default_config_static_selectorELNS0_4arch9wavefront6targetE1EEEvSZ_,comdat
	.globl	_ZN7rocprim17ROCPRIM_400000_NS6detail17trampoline_kernelINS0_13select_configILj256ELj13ELNS0_17block_load_methodE3ELS4_3ELS4_3ELNS0_20block_scan_algorithmE0ELj4294967295EEENS1_25partition_config_selectorILNS1_17partition_subalgoE4EjNS0_10empty_typeEbEEZZNS1_14partition_implILS8_4ELb0ES6_15HIP_vector_typeIjLj2EENS0_17counting_iteratorIjlEEPS9_SG_NS0_5tupleIJPjSI_NS0_16reverse_iteratorISI_EEEEENSH_IJSG_SG_SG_EEES9_SI_JZNS1_25segmented_radix_sort_implINS0_14default_configELb1EPKlPlSQ_SR_N2at6native12_GLOBAL__N_18offset_tEEE10hipError_tPvRmT1_PNSt15iterator_traitsISZ_E10value_typeET2_T3_PNS10_IS15_E10value_typeET4_jRbjT5_S1B_jjP12ihipStream_tbEUljE_ZNSN_ISO_Lb1ESQ_SR_SQ_SR_SV_EESW_SX_SY_SZ_S13_S14_S15_S18_S19_jS1A_jS1B_S1B_jjS1D_bEUljE0_EEESW_SX_SY_S15_S19_S1B_T6_T7_T9_mT8_S1D_bDpT10_ENKUlT_T0_E_clISt17integral_constantIbLb1EES1R_EEDaS1M_S1N_EUlS1M_E_NS1_11comp_targetILNS1_3genE10ELNS1_11target_archE1200ELNS1_3gpuE4ELNS1_3repE0EEENS1_30default_config_static_selectorELNS0_4arch9wavefront6targetE1EEEvSZ_ ; -- Begin function _ZN7rocprim17ROCPRIM_400000_NS6detail17trampoline_kernelINS0_13select_configILj256ELj13ELNS0_17block_load_methodE3ELS4_3ELS4_3ELNS0_20block_scan_algorithmE0ELj4294967295EEENS1_25partition_config_selectorILNS1_17partition_subalgoE4EjNS0_10empty_typeEbEEZZNS1_14partition_implILS8_4ELb0ES6_15HIP_vector_typeIjLj2EENS0_17counting_iteratorIjlEEPS9_SG_NS0_5tupleIJPjSI_NS0_16reverse_iteratorISI_EEEEENSH_IJSG_SG_SG_EEES9_SI_JZNS1_25segmented_radix_sort_implINS0_14default_configELb1EPKlPlSQ_SR_N2at6native12_GLOBAL__N_18offset_tEEE10hipError_tPvRmT1_PNSt15iterator_traitsISZ_E10value_typeET2_T3_PNS10_IS15_E10value_typeET4_jRbjT5_S1B_jjP12ihipStream_tbEUljE_ZNSN_ISO_Lb1ESQ_SR_SQ_SR_SV_EESW_SX_SY_SZ_S13_S14_S15_S18_S19_jS1A_jS1B_S1B_jjS1D_bEUljE0_EEESW_SX_SY_S15_S19_S1B_T6_T7_T9_mT8_S1D_bDpT10_ENKUlT_T0_E_clISt17integral_constantIbLb1EES1R_EEDaS1M_S1N_EUlS1M_E_NS1_11comp_targetILNS1_3genE10ELNS1_11target_archE1200ELNS1_3gpuE4ELNS1_3repE0EEENS1_30default_config_static_selectorELNS0_4arch9wavefront6targetE1EEEvSZ_
	.p2align	8
	.type	_ZN7rocprim17ROCPRIM_400000_NS6detail17trampoline_kernelINS0_13select_configILj256ELj13ELNS0_17block_load_methodE3ELS4_3ELS4_3ELNS0_20block_scan_algorithmE0ELj4294967295EEENS1_25partition_config_selectorILNS1_17partition_subalgoE4EjNS0_10empty_typeEbEEZZNS1_14partition_implILS8_4ELb0ES6_15HIP_vector_typeIjLj2EENS0_17counting_iteratorIjlEEPS9_SG_NS0_5tupleIJPjSI_NS0_16reverse_iteratorISI_EEEEENSH_IJSG_SG_SG_EEES9_SI_JZNS1_25segmented_radix_sort_implINS0_14default_configELb1EPKlPlSQ_SR_N2at6native12_GLOBAL__N_18offset_tEEE10hipError_tPvRmT1_PNSt15iterator_traitsISZ_E10value_typeET2_T3_PNS10_IS15_E10value_typeET4_jRbjT5_S1B_jjP12ihipStream_tbEUljE_ZNSN_ISO_Lb1ESQ_SR_SQ_SR_SV_EESW_SX_SY_SZ_S13_S14_S15_S18_S19_jS1A_jS1B_S1B_jjS1D_bEUljE0_EEESW_SX_SY_S15_S19_S1B_T6_T7_T9_mT8_S1D_bDpT10_ENKUlT_T0_E_clISt17integral_constantIbLb1EES1R_EEDaS1M_S1N_EUlS1M_E_NS1_11comp_targetILNS1_3genE10ELNS1_11target_archE1200ELNS1_3gpuE4ELNS1_3repE0EEENS1_30default_config_static_selectorELNS0_4arch9wavefront6targetE1EEEvSZ_,@function
_ZN7rocprim17ROCPRIM_400000_NS6detail17trampoline_kernelINS0_13select_configILj256ELj13ELNS0_17block_load_methodE3ELS4_3ELS4_3ELNS0_20block_scan_algorithmE0ELj4294967295EEENS1_25partition_config_selectorILNS1_17partition_subalgoE4EjNS0_10empty_typeEbEEZZNS1_14partition_implILS8_4ELb0ES6_15HIP_vector_typeIjLj2EENS0_17counting_iteratorIjlEEPS9_SG_NS0_5tupleIJPjSI_NS0_16reverse_iteratorISI_EEEEENSH_IJSG_SG_SG_EEES9_SI_JZNS1_25segmented_radix_sort_implINS0_14default_configELb1EPKlPlSQ_SR_N2at6native12_GLOBAL__N_18offset_tEEE10hipError_tPvRmT1_PNSt15iterator_traitsISZ_E10value_typeET2_T3_PNS10_IS15_E10value_typeET4_jRbjT5_S1B_jjP12ihipStream_tbEUljE_ZNSN_ISO_Lb1ESQ_SR_SQ_SR_SV_EESW_SX_SY_SZ_S13_S14_S15_S18_S19_jS1A_jS1B_S1B_jjS1D_bEUljE0_EEESW_SX_SY_S15_S19_S1B_T6_T7_T9_mT8_S1D_bDpT10_ENKUlT_T0_E_clISt17integral_constantIbLb1EES1R_EEDaS1M_S1N_EUlS1M_E_NS1_11comp_targetILNS1_3genE10ELNS1_11target_archE1200ELNS1_3gpuE4ELNS1_3repE0EEENS1_30default_config_static_selectorELNS0_4arch9wavefront6targetE1EEEvSZ_: ; @_ZN7rocprim17ROCPRIM_400000_NS6detail17trampoline_kernelINS0_13select_configILj256ELj13ELNS0_17block_load_methodE3ELS4_3ELS4_3ELNS0_20block_scan_algorithmE0ELj4294967295EEENS1_25partition_config_selectorILNS1_17partition_subalgoE4EjNS0_10empty_typeEbEEZZNS1_14partition_implILS8_4ELb0ES6_15HIP_vector_typeIjLj2EENS0_17counting_iteratorIjlEEPS9_SG_NS0_5tupleIJPjSI_NS0_16reverse_iteratorISI_EEEEENSH_IJSG_SG_SG_EEES9_SI_JZNS1_25segmented_radix_sort_implINS0_14default_configELb1EPKlPlSQ_SR_N2at6native12_GLOBAL__N_18offset_tEEE10hipError_tPvRmT1_PNSt15iterator_traitsISZ_E10value_typeET2_T3_PNS10_IS15_E10value_typeET4_jRbjT5_S1B_jjP12ihipStream_tbEUljE_ZNSN_ISO_Lb1ESQ_SR_SQ_SR_SV_EESW_SX_SY_SZ_S13_S14_S15_S18_S19_jS1A_jS1B_S1B_jjS1D_bEUljE0_EEESW_SX_SY_S15_S19_S1B_T6_T7_T9_mT8_S1D_bDpT10_ENKUlT_T0_E_clISt17integral_constantIbLb1EES1R_EEDaS1M_S1N_EUlS1M_E_NS1_11comp_targetILNS1_3genE10ELNS1_11target_archE1200ELNS1_3gpuE4ELNS1_3repE0EEENS1_30default_config_static_selectorELNS0_4arch9wavefront6targetE1EEEvSZ_
; %bb.0:
	.section	.rodata,"a",@progbits
	.p2align	6, 0x0
	.amdhsa_kernel _ZN7rocprim17ROCPRIM_400000_NS6detail17trampoline_kernelINS0_13select_configILj256ELj13ELNS0_17block_load_methodE3ELS4_3ELS4_3ELNS0_20block_scan_algorithmE0ELj4294967295EEENS1_25partition_config_selectorILNS1_17partition_subalgoE4EjNS0_10empty_typeEbEEZZNS1_14partition_implILS8_4ELb0ES6_15HIP_vector_typeIjLj2EENS0_17counting_iteratorIjlEEPS9_SG_NS0_5tupleIJPjSI_NS0_16reverse_iteratorISI_EEEEENSH_IJSG_SG_SG_EEES9_SI_JZNS1_25segmented_radix_sort_implINS0_14default_configELb1EPKlPlSQ_SR_N2at6native12_GLOBAL__N_18offset_tEEE10hipError_tPvRmT1_PNSt15iterator_traitsISZ_E10value_typeET2_T3_PNS10_IS15_E10value_typeET4_jRbjT5_S1B_jjP12ihipStream_tbEUljE_ZNSN_ISO_Lb1ESQ_SR_SQ_SR_SV_EESW_SX_SY_SZ_S13_S14_S15_S18_S19_jS1A_jS1B_S1B_jjS1D_bEUljE0_EEESW_SX_SY_S15_S19_S1B_T6_T7_T9_mT8_S1D_bDpT10_ENKUlT_T0_E_clISt17integral_constantIbLb1EES1R_EEDaS1M_S1N_EUlS1M_E_NS1_11comp_targetILNS1_3genE10ELNS1_11target_archE1200ELNS1_3gpuE4ELNS1_3repE0EEENS1_30default_config_static_selectorELNS0_4arch9wavefront6targetE1EEEvSZ_
		.amdhsa_group_segment_fixed_size 0
		.amdhsa_private_segment_fixed_size 0
		.amdhsa_kernarg_size 184
		.amdhsa_user_sgpr_count 6
		.amdhsa_user_sgpr_private_segment_buffer 1
		.amdhsa_user_sgpr_dispatch_ptr 0
		.amdhsa_user_sgpr_queue_ptr 0
		.amdhsa_user_sgpr_kernarg_segment_ptr 1
		.amdhsa_user_sgpr_dispatch_id 0
		.amdhsa_user_sgpr_flat_scratch_init 0
		.amdhsa_user_sgpr_kernarg_preload_length 0
		.amdhsa_user_sgpr_kernarg_preload_offset 0
		.amdhsa_user_sgpr_private_segment_size 0
		.amdhsa_uses_dynamic_stack 0
		.amdhsa_system_sgpr_private_segment_wavefront_offset 0
		.amdhsa_system_sgpr_workgroup_id_x 1
		.amdhsa_system_sgpr_workgroup_id_y 0
		.amdhsa_system_sgpr_workgroup_id_z 0
		.amdhsa_system_sgpr_workgroup_info 0
		.amdhsa_system_vgpr_workitem_id 0
		.amdhsa_next_free_vgpr 1
		.amdhsa_next_free_sgpr 0
		.amdhsa_accum_offset 4
		.amdhsa_reserve_vcc 0
		.amdhsa_reserve_flat_scratch 0
		.amdhsa_float_round_mode_32 0
		.amdhsa_float_round_mode_16_64 0
		.amdhsa_float_denorm_mode_32 3
		.amdhsa_float_denorm_mode_16_64 3
		.amdhsa_dx10_clamp 1
		.amdhsa_ieee_mode 1
		.amdhsa_fp16_overflow 0
		.amdhsa_tg_split 0
		.amdhsa_exception_fp_ieee_invalid_op 0
		.amdhsa_exception_fp_denorm_src 0
		.amdhsa_exception_fp_ieee_div_zero 0
		.amdhsa_exception_fp_ieee_overflow 0
		.amdhsa_exception_fp_ieee_underflow 0
		.amdhsa_exception_fp_ieee_inexact 0
		.amdhsa_exception_int_div_zero 0
	.end_amdhsa_kernel
	.section	.text._ZN7rocprim17ROCPRIM_400000_NS6detail17trampoline_kernelINS0_13select_configILj256ELj13ELNS0_17block_load_methodE3ELS4_3ELS4_3ELNS0_20block_scan_algorithmE0ELj4294967295EEENS1_25partition_config_selectorILNS1_17partition_subalgoE4EjNS0_10empty_typeEbEEZZNS1_14partition_implILS8_4ELb0ES6_15HIP_vector_typeIjLj2EENS0_17counting_iteratorIjlEEPS9_SG_NS0_5tupleIJPjSI_NS0_16reverse_iteratorISI_EEEEENSH_IJSG_SG_SG_EEES9_SI_JZNS1_25segmented_radix_sort_implINS0_14default_configELb1EPKlPlSQ_SR_N2at6native12_GLOBAL__N_18offset_tEEE10hipError_tPvRmT1_PNSt15iterator_traitsISZ_E10value_typeET2_T3_PNS10_IS15_E10value_typeET4_jRbjT5_S1B_jjP12ihipStream_tbEUljE_ZNSN_ISO_Lb1ESQ_SR_SQ_SR_SV_EESW_SX_SY_SZ_S13_S14_S15_S18_S19_jS1A_jS1B_S1B_jjS1D_bEUljE0_EEESW_SX_SY_S15_S19_S1B_T6_T7_T9_mT8_S1D_bDpT10_ENKUlT_T0_E_clISt17integral_constantIbLb1EES1R_EEDaS1M_S1N_EUlS1M_E_NS1_11comp_targetILNS1_3genE10ELNS1_11target_archE1200ELNS1_3gpuE4ELNS1_3repE0EEENS1_30default_config_static_selectorELNS0_4arch9wavefront6targetE1EEEvSZ_,"axG",@progbits,_ZN7rocprim17ROCPRIM_400000_NS6detail17trampoline_kernelINS0_13select_configILj256ELj13ELNS0_17block_load_methodE3ELS4_3ELS4_3ELNS0_20block_scan_algorithmE0ELj4294967295EEENS1_25partition_config_selectorILNS1_17partition_subalgoE4EjNS0_10empty_typeEbEEZZNS1_14partition_implILS8_4ELb0ES6_15HIP_vector_typeIjLj2EENS0_17counting_iteratorIjlEEPS9_SG_NS0_5tupleIJPjSI_NS0_16reverse_iteratorISI_EEEEENSH_IJSG_SG_SG_EEES9_SI_JZNS1_25segmented_radix_sort_implINS0_14default_configELb1EPKlPlSQ_SR_N2at6native12_GLOBAL__N_18offset_tEEE10hipError_tPvRmT1_PNSt15iterator_traitsISZ_E10value_typeET2_T3_PNS10_IS15_E10value_typeET4_jRbjT5_S1B_jjP12ihipStream_tbEUljE_ZNSN_ISO_Lb1ESQ_SR_SQ_SR_SV_EESW_SX_SY_SZ_S13_S14_S15_S18_S19_jS1A_jS1B_S1B_jjS1D_bEUljE0_EEESW_SX_SY_S15_S19_S1B_T6_T7_T9_mT8_S1D_bDpT10_ENKUlT_T0_E_clISt17integral_constantIbLb1EES1R_EEDaS1M_S1N_EUlS1M_E_NS1_11comp_targetILNS1_3genE10ELNS1_11target_archE1200ELNS1_3gpuE4ELNS1_3repE0EEENS1_30default_config_static_selectorELNS0_4arch9wavefront6targetE1EEEvSZ_,comdat
.Lfunc_end653:
	.size	_ZN7rocprim17ROCPRIM_400000_NS6detail17trampoline_kernelINS0_13select_configILj256ELj13ELNS0_17block_load_methodE3ELS4_3ELS4_3ELNS0_20block_scan_algorithmE0ELj4294967295EEENS1_25partition_config_selectorILNS1_17partition_subalgoE4EjNS0_10empty_typeEbEEZZNS1_14partition_implILS8_4ELb0ES6_15HIP_vector_typeIjLj2EENS0_17counting_iteratorIjlEEPS9_SG_NS0_5tupleIJPjSI_NS0_16reverse_iteratorISI_EEEEENSH_IJSG_SG_SG_EEES9_SI_JZNS1_25segmented_radix_sort_implINS0_14default_configELb1EPKlPlSQ_SR_N2at6native12_GLOBAL__N_18offset_tEEE10hipError_tPvRmT1_PNSt15iterator_traitsISZ_E10value_typeET2_T3_PNS10_IS15_E10value_typeET4_jRbjT5_S1B_jjP12ihipStream_tbEUljE_ZNSN_ISO_Lb1ESQ_SR_SQ_SR_SV_EESW_SX_SY_SZ_S13_S14_S15_S18_S19_jS1A_jS1B_S1B_jjS1D_bEUljE0_EEESW_SX_SY_S15_S19_S1B_T6_T7_T9_mT8_S1D_bDpT10_ENKUlT_T0_E_clISt17integral_constantIbLb1EES1R_EEDaS1M_S1N_EUlS1M_E_NS1_11comp_targetILNS1_3genE10ELNS1_11target_archE1200ELNS1_3gpuE4ELNS1_3repE0EEENS1_30default_config_static_selectorELNS0_4arch9wavefront6targetE1EEEvSZ_, .Lfunc_end653-_ZN7rocprim17ROCPRIM_400000_NS6detail17trampoline_kernelINS0_13select_configILj256ELj13ELNS0_17block_load_methodE3ELS4_3ELS4_3ELNS0_20block_scan_algorithmE0ELj4294967295EEENS1_25partition_config_selectorILNS1_17partition_subalgoE4EjNS0_10empty_typeEbEEZZNS1_14partition_implILS8_4ELb0ES6_15HIP_vector_typeIjLj2EENS0_17counting_iteratorIjlEEPS9_SG_NS0_5tupleIJPjSI_NS0_16reverse_iteratorISI_EEEEENSH_IJSG_SG_SG_EEES9_SI_JZNS1_25segmented_radix_sort_implINS0_14default_configELb1EPKlPlSQ_SR_N2at6native12_GLOBAL__N_18offset_tEEE10hipError_tPvRmT1_PNSt15iterator_traitsISZ_E10value_typeET2_T3_PNS10_IS15_E10value_typeET4_jRbjT5_S1B_jjP12ihipStream_tbEUljE_ZNSN_ISO_Lb1ESQ_SR_SQ_SR_SV_EESW_SX_SY_SZ_S13_S14_S15_S18_S19_jS1A_jS1B_S1B_jjS1D_bEUljE0_EEESW_SX_SY_S15_S19_S1B_T6_T7_T9_mT8_S1D_bDpT10_ENKUlT_T0_E_clISt17integral_constantIbLb1EES1R_EEDaS1M_S1N_EUlS1M_E_NS1_11comp_targetILNS1_3genE10ELNS1_11target_archE1200ELNS1_3gpuE4ELNS1_3repE0EEENS1_30default_config_static_selectorELNS0_4arch9wavefront6targetE1EEEvSZ_
                                        ; -- End function
	.section	.AMDGPU.csdata,"",@progbits
; Kernel info:
; codeLenInByte = 0
; NumSgprs: 4
; NumVgprs: 0
; NumAgprs: 0
; TotalNumVgprs: 0
; ScratchSize: 0
; MemoryBound: 0
; FloatMode: 240
; IeeeMode: 1
; LDSByteSize: 0 bytes/workgroup (compile time only)
; SGPRBlocks: 0
; VGPRBlocks: 0
; NumSGPRsForWavesPerEU: 4
; NumVGPRsForWavesPerEU: 1
; AccumOffset: 4
; Occupancy: 8
; WaveLimiterHint : 0
; COMPUTE_PGM_RSRC2:SCRATCH_EN: 0
; COMPUTE_PGM_RSRC2:USER_SGPR: 6
; COMPUTE_PGM_RSRC2:TRAP_HANDLER: 0
; COMPUTE_PGM_RSRC2:TGID_X_EN: 1
; COMPUTE_PGM_RSRC2:TGID_Y_EN: 0
; COMPUTE_PGM_RSRC2:TGID_Z_EN: 0
; COMPUTE_PGM_RSRC2:TIDIG_COMP_CNT: 0
; COMPUTE_PGM_RSRC3_GFX90A:ACCUM_OFFSET: 0
; COMPUTE_PGM_RSRC3_GFX90A:TG_SPLIT: 0
	.section	.text._ZN7rocprim17ROCPRIM_400000_NS6detail17trampoline_kernelINS0_13select_configILj256ELj13ELNS0_17block_load_methodE3ELS4_3ELS4_3ELNS0_20block_scan_algorithmE0ELj4294967295EEENS1_25partition_config_selectorILNS1_17partition_subalgoE4EjNS0_10empty_typeEbEEZZNS1_14partition_implILS8_4ELb0ES6_15HIP_vector_typeIjLj2EENS0_17counting_iteratorIjlEEPS9_SG_NS0_5tupleIJPjSI_NS0_16reverse_iteratorISI_EEEEENSH_IJSG_SG_SG_EEES9_SI_JZNS1_25segmented_radix_sort_implINS0_14default_configELb1EPKlPlSQ_SR_N2at6native12_GLOBAL__N_18offset_tEEE10hipError_tPvRmT1_PNSt15iterator_traitsISZ_E10value_typeET2_T3_PNS10_IS15_E10value_typeET4_jRbjT5_S1B_jjP12ihipStream_tbEUljE_ZNSN_ISO_Lb1ESQ_SR_SQ_SR_SV_EESW_SX_SY_SZ_S13_S14_S15_S18_S19_jS1A_jS1B_S1B_jjS1D_bEUljE0_EEESW_SX_SY_S15_S19_S1B_T6_T7_T9_mT8_S1D_bDpT10_ENKUlT_T0_E_clISt17integral_constantIbLb1EES1R_EEDaS1M_S1N_EUlS1M_E_NS1_11comp_targetILNS1_3genE9ELNS1_11target_archE1100ELNS1_3gpuE3ELNS1_3repE0EEENS1_30default_config_static_selectorELNS0_4arch9wavefront6targetE1EEEvSZ_,"axG",@progbits,_ZN7rocprim17ROCPRIM_400000_NS6detail17trampoline_kernelINS0_13select_configILj256ELj13ELNS0_17block_load_methodE3ELS4_3ELS4_3ELNS0_20block_scan_algorithmE0ELj4294967295EEENS1_25partition_config_selectorILNS1_17partition_subalgoE4EjNS0_10empty_typeEbEEZZNS1_14partition_implILS8_4ELb0ES6_15HIP_vector_typeIjLj2EENS0_17counting_iteratorIjlEEPS9_SG_NS0_5tupleIJPjSI_NS0_16reverse_iteratorISI_EEEEENSH_IJSG_SG_SG_EEES9_SI_JZNS1_25segmented_radix_sort_implINS0_14default_configELb1EPKlPlSQ_SR_N2at6native12_GLOBAL__N_18offset_tEEE10hipError_tPvRmT1_PNSt15iterator_traitsISZ_E10value_typeET2_T3_PNS10_IS15_E10value_typeET4_jRbjT5_S1B_jjP12ihipStream_tbEUljE_ZNSN_ISO_Lb1ESQ_SR_SQ_SR_SV_EESW_SX_SY_SZ_S13_S14_S15_S18_S19_jS1A_jS1B_S1B_jjS1D_bEUljE0_EEESW_SX_SY_S15_S19_S1B_T6_T7_T9_mT8_S1D_bDpT10_ENKUlT_T0_E_clISt17integral_constantIbLb1EES1R_EEDaS1M_S1N_EUlS1M_E_NS1_11comp_targetILNS1_3genE9ELNS1_11target_archE1100ELNS1_3gpuE3ELNS1_3repE0EEENS1_30default_config_static_selectorELNS0_4arch9wavefront6targetE1EEEvSZ_,comdat
	.globl	_ZN7rocprim17ROCPRIM_400000_NS6detail17trampoline_kernelINS0_13select_configILj256ELj13ELNS0_17block_load_methodE3ELS4_3ELS4_3ELNS0_20block_scan_algorithmE0ELj4294967295EEENS1_25partition_config_selectorILNS1_17partition_subalgoE4EjNS0_10empty_typeEbEEZZNS1_14partition_implILS8_4ELb0ES6_15HIP_vector_typeIjLj2EENS0_17counting_iteratorIjlEEPS9_SG_NS0_5tupleIJPjSI_NS0_16reverse_iteratorISI_EEEEENSH_IJSG_SG_SG_EEES9_SI_JZNS1_25segmented_radix_sort_implINS0_14default_configELb1EPKlPlSQ_SR_N2at6native12_GLOBAL__N_18offset_tEEE10hipError_tPvRmT1_PNSt15iterator_traitsISZ_E10value_typeET2_T3_PNS10_IS15_E10value_typeET4_jRbjT5_S1B_jjP12ihipStream_tbEUljE_ZNSN_ISO_Lb1ESQ_SR_SQ_SR_SV_EESW_SX_SY_SZ_S13_S14_S15_S18_S19_jS1A_jS1B_S1B_jjS1D_bEUljE0_EEESW_SX_SY_S15_S19_S1B_T6_T7_T9_mT8_S1D_bDpT10_ENKUlT_T0_E_clISt17integral_constantIbLb1EES1R_EEDaS1M_S1N_EUlS1M_E_NS1_11comp_targetILNS1_3genE9ELNS1_11target_archE1100ELNS1_3gpuE3ELNS1_3repE0EEENS1_30default_config_static_selectorELNS0_4arch9wavefront6targetE1EEEvSZ_ ; -- Begin function _ZN7rocprim17ROCPRIM_400000_NS6detail17trampoline_kernelINS0_13select_configILj256ELj13ELNS0_17block_load_methodE3ELS4_3ELS4_3ELNS0_20block_scan_algorithmE0ELj4294967295EEENS1_25partition_config_selectorILNS1_17partition_subalgoE4EjNS0_10empty_typeEbEEZZNS1_14partition_implILS8_4ELb0ES6_15HIP_vector_typeIjLj2EENS0_17counting_iteratorIjlEEPS9_SG_NS0_5tupleIJPjSI_NS0_16reverse_iteratorISI_EEEEENSH_IJSG_SG_SG_EEES9_SI_JZNS1_25segmented_radix_sort_implINS0_14default_configELb1EPKlPlSQ_SR_N2at6native12_GLOBAL__N_18offset_tEEE10hipError_tPvRmT1_PNSt15iterator_traitsISZ_E10value_typeET2_T3_PNS10_IS15_E10value_typeET4_jRbjT5_S1B_jjP12ihipStream_tbEUljE_ZNSN_ISO_Lb1ESQ_SR_SQ_SR_SV_EESW_SX_SY_SZ_S13_S14_S15_S18_S19_jS1A_jS1B_S1B_jjS1D_bEUljE0_EEESW_SX_SY_S15_S19_S1B_T6_T7_T9_mT8_S1D_bDpT10_ENKUlT_T0_E_clISt17integral_constantIbLb1EES1R_EEDaS1M_S1N_EUlS1M_E_NS1_11comp_targetILNS1_3genE9ELNS1_11target_archE1100ELNS1_3gpuE3ELNS1_3repE0EEENS1_30default_config_static_selectorELNS0_4arch9wavefront6targetE1EEEvSZ_
	.p2align	8
	.type	_ZN7rocprim17ROCPRIM_400000_NS6detail17trampoline_kernelINS0_13select_configILj256ELj13ELNS0_17block_load_methodE3ELS4_3ELS4_3ELNS0_20block_scan_algorithmE0ELj4294967295EEENS1_25partition_config_selectorILNS1_17partition_subalgoE4EjNS0_10empty_typeEbEEZZNS1_14partition_implILS8_4ELb0ES6_15HIP_vector_typeIjLj2EENS0_17counting_iteratorIjlEEPS9_SG_NS0_5tupleIJPjSI_NS0_16reverse_iteratorISI_EEEEENSH_IJSG_SG_SG_EEES9_SI_JZNS1_25segmented_radix_sort_implINS0_14default_configELb1EPKlPlSQ_SR_N2at6native12_GLOBAL__N_18offset_tEEE10hipError_tPvRmT1_PNSt15iterator_traitsISZ_E10value_typeET2_T3_PNS10_IS15_E10value_typeET4_jRbjT5_S1B_jjP12ihipStream_tbEUljE_ZNSN_ISO_Lb1ESQ_SR_SQ_SR_SV_EESW_SX_SY_SZ_S13_S14_S15_S18_S19_jS1A_jS1B_S1B_jjS1D_bEUljE0_EEESW_SX_SY_S15_S19_S1B_T6_T7_T9_mT8_S1D_bDpT10_ENKUlT_T0_E_clISt17integral_constantIbLb1EES1R_EEDaS1M_S1N_EUlS1M_E_NS1_11comp_targetILNS1_3genE9ELNS1_11target_archE1100ELNS1_3gpuE3ELNS1_3repE0EEENS1_30default_config_static_selectorELNS0_4arch9wavefront6targetE1EEEvSZ_,@function
_ZN7rocprim17ROCPRIM_400000_NS6detail17trampoline_kernelINS0_13select_configILj256ELj13ELNS0_17block_load_methodE3ELS4_3ELS4_3ELNS0_20block_scan_algorithmE0ELj4294967295EEENS1_25partition_config_selectorILNS1_17partition_subalgoE4EjNS0_10empty_typeEbEEZZNS1_14partition_implILS8_4ELb0ES6_15HIP_vector_typeIjLj2EENS0_17counting_iteratorIjlEEPS9_SG_NS0_5tupleIJPjSI_NS0_16reverse_iteratorISI_EEEEENSH_IJSG_SG_SG_EEES9_SI_JZNS1_25segmented_radix_sort_implINS0_14default_configELb1EPKlPlSQ_SR_N2at6native12_GLOBAL__N_18offset_tEEE10hipError_tPvRmT1_PNSt15iterator_traitsISZ_E10value_typeET2_T3_PNS10_IS15_E10value_typeET4_jRbjT5_S1B_jjP12ihipStream_tbEUljE_ZNSN_ISO_Lb1ESQ_SR_SQ_SR_SV_EESW_SX_SY_SZ_S13_S14_S15_S18_S19_jS1A_jS1B_S1B_jjS1D_bEUljE0_EEESW_SX_SY_S15_S19_S1B_T6_T7_T9_mT8_S1D_bDpT10_ENKUlT_T0_E_clISt17integral_constantIbLb1EES1R_EEDaS1M_S1N_EUlS1M_E_NS1_11comp_targetILNS1_3genE9ELNS1_11target_archE1100ELNS1_3gpuE3ELNS1_3repE0EEENS1_30default_config_static_selectorELNS0_4arch9wavefront6targetE1EEEvSZ_: ; @_ZN7rocprim17ROCPRIM_400000_NS6detail17trampoline_kernelINS0_13select_configILj256ELj13ELNS0_17block_load_methodE3ELS4_3ELS4_3ELNS0_20block_scan_algorithmE0ELj4294967295EEENS1_25partition_config_selectorILNS1_17partition_subalgoE4EjNS0_10empty_typeEbEEZZNS1_14partition_implILS8_4ELb0ES6_15HIP_vector_typeIjLj2EENS0_17counting_iteratorIjlEEPS9_SG_NS0_5tupleIJPjSI_NS0_16reverse_iteratorISI_EEEEENSH_IJSG_SG_SG_EEES9_SI_JZNS1_25segmented_radix_sort_implINS0_14default_configELb1EPKlPlSQ_SR_N2at6native12_GLOBAL__N_18offset_tEEE10hipError_tPvRmT1_PNSt15iterator_traitsISZ_E10value_typeET2_T3_PNS10_IS15_E10value_typeET4_jRbjT5_S1B_jjP12ihipStream_tbEUljE_ZNSN_ISO_Lb1ESQ_SR_SQ_SR_SV_EESW_SX_SY_SZ_S13_S14_S15_S18_S19_jS1A_jS1B_S1B_jjS1D_bEUljE0_EEESW_SX_SY_S15_S19_S1B_T6_T7_T9_mT8_S1D_bDpT10_ENKUlT_T0_E_clISt17integral_constantIbLb1EES1R_EEDaS1M_S1N_EUlS1M_E_NS1_11comp_targetILNS1_3genE9ELNS1_11target_archE1100ELNS1_3gpuE3ELNS1_3repE0EEENS1_30default_config_static_selectorELNS0_4arch9wavefront6targetE1EEEvSZ_
; %bb.0:
	.section	.rodata,"a",@progbits
	.p2align	6, 0x0
	.amdhsa_kernel _ZN7rocprim17ROCPRIM_400000_NS6detail17trampoline_kernelINS0_13select_configILj256ELj13ELNS0_17block_load_methodE3ELS4_3ELS4_3ELNS0_20block_scan_algorithmE0ELj4294967295EEENS1_25partition_config_selectorILNS1_17partition_subalgoE4EjNS0_10empty_typeEbEEZZNS1_14partition_implILS8_4ELb0ES6_15HIP_vector_typeIjLj2EENS0_17counting_iteratorIjlEEPS9_SG_NS0_5tupleIJPjSI_NS0_16reverse_iteratorISI_EEEEENSH_IJSG_SG_SG_EEES9_SI_JZNS1_25segmented_radix_sort_implINS0_14default_configELb1EPKlPlSQ_SR_N2at6native12_GLOBAL__N_18offset_tEEE10hipError_tPvRmT1_PNSt15iterator_traitsISZ_E10value_typeET2_T3_PNS10_IS15_E10value_typeET4_jRbjT5_S1B_jjP12ihipStream_tbEUljE_ZNSN_ISO_Lb1ESQ_SR_SQ_SR_SV_EESW_SX_SY_SZ_S13_S14_S15_S18_S19_jS1A_jS1B_S1B_jjS1D_bEUljE0_EEESW_SX_SY_S15_S19_S1B_T6_T7_T9_mT8_S1D_bDpT10_ENKUlT_T0_E_clISt17integral_constantIbLb1EES1R_EEDaS1M_S1N_EUlS1M_E_NS1_11comp_targetILNS1_3genE9ELNS1_11target_archE1100ELNS1_3gpuE3ELNS1_3repE0EEENS1_30default_config_static_selectorELNS0_4arch9wavefront6targetE1EEEvSZ_
		.amdhsa_group_segment_fixed_size 0
		.amdhsa_private_segment_fixed_size 0
		.amdhsa_kernarg_size 184
		.amdhsa_user_sgpr_count 6
		.amdhsa_user_sgpr_private_segment_buffer 1
		.amdhsa_user_sgpr_dispatch_ptr 0
		.amdhsa_user_sgpr_queue_ptr 0
		.amdhsa_user_sgpr_kernarg_segment_ptr 1
		.amdhsa_user_sgpr_dispatch_id 0
		.amdhsa_user_sgpr_flat_scratch_init 0
		.amdhsa_user_sgpr_kernarg_preload_length 0
		.amdhsa_user_sgpr_kernarg_preload_offset 0
		.amdhsa_user_sgpr_private_segment_size 0
		.amdhsa_uses_dynamic_stack 0
		.amdhsa_system_sgpr_private_segment_wavefront_offset 0
		.amdhsa_system_sgpr_workgroup_id_x 1
		.amdhsa_system_sgpr_workgroup_id_y 0
		.amdhsa_system_sgpr_workgroup_id_z 0
		.amdhsa_system_sgpr_workgroup_info 0
		.amdhsa_system_vgpr_workitem_id 0
		.amdhsa_next_free_vgpr 1
		.amdhsa_next_free_sgpr 0
		.amdhsa_accum_offset 4
		.amdhsa_reserve_vcc 0
		.amdhsa_reserve_flat_scratch 0
		.amdhsa_float_round_mode_32 0
		.amdhsa_float_round_mode_16_64 0
		.amdhsa_float_denorm_mode_32 3
		.amdhsa_float_denorm_mode_16_64 3
		.amdhsa_dx10_clamp 1
		.amdhsa_ieee_mode 1
		.amdhsa_fp16_overflow 0
		.amdhsa_tg_split 0
		.amdhsa_exception_fp_ieee_invalid_op 0
		.amdhsa_exception_fp_denorm_src 0
		.amdhsa_exception_fp_ieee_div_zero 0
		.amdhsa_exception_fp_ieee_overflow 0
		.amdhsa_exception_fp_ieee_underflow 0
		.amdhsa_exception_fp_ieee_inexact 0
		.amdhsa_exception_int_div_zero 0
	.end_amdhsa_kernel
	.section	.text._ZN7rocprim17ROCPRIM_400000_NS6detail17trampoline_kernelINS0_13select_configILj256ELj13ELNS0_17block_load_methodE3ELS4_3ELS4_3ELNS0_20block_scan_algorithmE0ELj4294967295EEENS1_25partition_config_selectorILNS1_17partition_subalgoE4EjNS0_10empty_typeEbEEZZNS1_14partition_implILS8_4ELb0ES6_15HIP_vector_typeIjLj2EENS0_17counting_iteratorIjlEEPS9_SG_NS0_5tupleIJPjSI_NS0_16reverse_iteratorISI_EEEEENSH_IJSG_SG_SG_EEES9_SI_JZNS1_25segmented_radix_sort_implINS0_14default_configELb1EPKlPlSQ_SR_N2at6native12_GLOBAL__N_18offset_tEEE10hipError_tPvRmT1_PNSt15iterator_traitsISZ_E10value_typeET2_T3_PNS10_IS15_E10value_typeET4_jRbjT5_S1B_jjP12ihipStream_tbEUljE_ZNSN_ISO_Lb1ESQ_SR_SQ_SR_SV_EESW_SX_SY_SZ_S13_S14_S15_S18_S19_jS1A_jS1B_S1B_jjS1D_bEUljE0_EEESW_SX_SY_S15_S19_S1B_T6_T7_T9_mT8_S1D_bDpT10_ENKUlT_T0_E_clISt17integral_constantIbLb1EES1R_EEDaS1M_S1N_EUlS1M_E_NS1_11comp_targetILNS1_3genE9ELNS1_11target_archE1100ELNS1_3gpuE3ELNS1_3repE0EEENS1_30default_config_static_selectorELNS0_4arch9wavefront6targetE1EEEvSZ_,"axG",@progbits,_ZN7rocprim17ROCPRIM_400000_NS6detail17trampoline_kernelINS0_13select_configILj256ELj13ELNS0_17block_load_methodE3ELS4_3ELS4_3ELNS0_20block_scan_algorithmE0ELj4294967295EEENS1_25partition_config_selectorILNS1_17partition_subalgoE4EjNS0_10empty_typeEbEEZZNS1_14partition_implILS8_4ELb0ES6_15HIP_vector_typeIjLj2EENS0_17counting_iteratorIjlEEPS9_SG_NS0_5tupleIJPjSI_NS0_16reverse_iteratorISI_EEEEENSH_IJSG_SG_SG_EEES9_SI_JZNS1_25segmented_radix_sort_implINS0_14default_configELb1EPKlPlSQ_SR_N2at6native12_GLOBAL__N_18offset_tEEE10hipError_tPvRmT1_PNSt15iterator_traitsISZ_E10value_typeET2_T3_PNS10_IS15_E10value_typeET4_jRbjT5_S1B_jjP12ihipStream_tbEUljE_ZNSN_ISO_Lb1ESQ_SR_SQ_SR_SV_EESW_SX_SY_SZ_S13_S14_S15_S18_S19_jS1A_jS1B_S1B_jjS1D_bEUljE0_EEESW_SX_SY_S15_S19_S1B_T6_T7_T9_mT8_S1D_bDpT10_ENKUlT_T0_E_clISt17integral_constantIbLb1EES1R_EEDaS1M_S1N_EUlS1M_E_NS1_11comp_targetILNS1_3genE9ELNS1_11target_archE1100ELNS1_3gpuE3ELNS1_3repE0EEENS1_30default_config_static_selectorELNS0_4arch9wavefront6targetE1EEEvSZ_,comdat
.Lfunc_end654:
	.size	_ZN7rocprim17ROCPRIM_400000_NS6detail17trampoline_kernelINS0_13select_configILj256ELj13ELNS0_17block_load_methodE3ELS4_3ELS4_3ELNS0_20block_scan_algorithmE0ELj4294967295EEENS1_25partition_config_selectorILNS1_17partition_subalgoE4EjNS0_10empty_typeEbEEZZNS1_14partition_implILS8_4ELb0ES6_15HIP_vector_typeIjLj2EENS0_17counting_iteratorIjlEEPS9_SG_NS0_5tupleIJPjSI_NS0_16reverse_iteratorISI_EEEEENSH_IJSG_SG_SG_EEES9_SI_JZNS1_25segmented_radix_sort_implINS0_14default_configELb1EPKlPlSQ_SR_N2at6native12_GLOBAL__N_18offset_tEEE10hipError_tPvRmT1_PNSt15iterator_traitsISZ_E10value_typeET2_T3_PNS10_IS15_E10value_typeET4_jRbjT5_S1B_jjP12ihipStream_tbEUljE_ZNSN_ISO_Lb1ESQ_SR_SQ_SR_SV_EESW_SX_SY_SZ_S13_S14_S15_S18_S19_jS1A_jS1B_S1B_jjS1D_bEUljE0_EEESW_SX_SY_S15_S19_S1B_T6_T7_T9_mT8_S1D_bDpT10_ENKUlT_T0_E_clISt17integral_constantIbLb1EES1R_EEDaS1M_S1N_EUlS1M_E_NS1_11comp_targetILNS1_3genE9ELNS1_11target_archE1100ELNS1_3gpuE3ELNS1_3repE0EEENS1_30default_config_static_selectorELNS0_4arch9wavefront6targetE1EEEvSZ_, .Lfunc_end654-_ZN7rocprim17ROCPRIM_400000_NS6detail17trampoline_kernelINS0_13select_configILj256ELj13ELNS0_17block_load_methodE3ELS4_3ELS4_3ELNS0_20block_scan_algorithmE0ELj4294967295EEENS1_25partition_config_selectorILNS1_17partition_subalgoE4EjNS0_10empty_typeEbEEZZNS1_14partition_implILS8_4ELb0ES6_15HIP_vector_typeIjLj2EENS0_17counting_iteratorIjlEEPS9_SG_NS0_5tupleIJPjSI_NS0_16reverse_iteratorISI_EEEEENSH_IJSG_SG_SG_EEES9_SI_JZNS1_25segmented_radix_sort_implINS0_14default_configELb1EPKlPlSQ_SR_N2at6native12_GLOBAL__N_18offset_tEEE10hipError_tPvRmT1_PNSt15iterator_traitsISZ_E10value_typeET2_T3_PNS10_IS15_E10value_typeET4_jRbjT5_S1B_jjP12ihipStream_tbEUljE_ZNSN_ISO_Lb1ESQ_SR_SQ_SR_SV_EESW_SX_SY_SZ_S13_S14_S15_S18_S19_jS1A_jS1B_S1B_jjS1D_bEUljE0_EEESW_SX_SY_S15_S19_S1B_T6_T7_T9_mT8_S1D_bDpT10_ENKUlT_T0_E_clISt17integral_constantIbLb1EES1R_EEDaS1M_S1N_EUlS1M_E_NS1_11comp_targetILNS1_3genE9ELNS1_11target_archE1100ELNS1_3gpuE3ELNS1_3repE0EEENS1_30default_config_static_selectorELNS0_4arch9wavefront6targetE1EEEvSZ_
                                        ; -- End function
	.section	.AMDGPU.csdata,"",@progbits
; Kernel info:
; codeLenInByte = 0
; NumSgprs: 4
; NumVgprs: 0
; NumAgprs: 0
; TotalNumVgprs: 0
; ScratchSize: 0
; MemoryBound: 0
; FloatMode: 240
; IeeeMode: 1
; LDSByteSize: 0 bytes/workgroup (compile time only)
; SGPRBlocks: 0
; VGPRBlocks: 0
; NumSGPRsForWavesPerEU: 4
; NumVGPRsForWavesPerEU: 1
; AccumOffset: 4
; Occupancy: 8
; WaveLimiterHint : 0
; COMPUTE_PGM_RSRC2:SCRATCH_EN: 0
; COMPUTE_PGM_RSRC2:USER_SGPR: 6
; COMPUTE_PGM_RSRC2:TRAP_HANDLER: 0
; COMPUTE_PGM_RSRC2:TGID_X_EN: 1
; COMPUTE_PGM_RSRC2:TGID_Y_EN: 0
; COMPUTE_PGM_RSRC2:TGID_Z_EN: 0
; COMPUTE_PGM_RSRC2:TIDIG_COMP_CNT: 0
; COMPUTE_PGM_RSRC3_GFX90A:ACCUM_OFFSET: 0
; COMPUTE_PGM_RSRC3_GFX90A:TG_SPLIT: 0
	.section	.text._ZN7rocprim17ROCPRIM_400000_NS6detail17trampoline_kernelINS0_13select_configILj256ELj13ELNS0_17block_load_methodE3ELS4_3ELS4_3ELNS0_20block_scan_algorithmE0ELj4294967295EEENS1_25partition_config_selectorILNS1_17partition_subalgoE4EjNS0_10empty_typeEbEEZZNS1_14partition_implILS8_4ELb0ES6_15HIP_vector_typeIjLj2EENS0_17counting_iteratorIjlEEPS9_SG_NS0_5tupleIJPjSI_NS0_16reverse_iteratorISI_EEEEENSH_IJSG_SG_SG_EEES9_SI_JZNS1_25segmented_radix_sort_implINS0_14default_configELb1EPKlPlSQ_SR_N2at6native12_GLOBAL__N_18offset_tEEE10hipError_tPvRmT1_PNSt15iterator_traitsISZ_E10value_typeET2_T3_PNS10_IS15_E10value_typeET4_jRbjT5_S1B_jjP12ihipStream_tbEUljE_ZNSN_ISO_Lb1ESQ_SR_SQ_SR_SV_EESW_SX_SY_SZ_S13_S14_S15_S18_S19_jS1A_jS1B_S1B_jjS1D_bEUljE0_EEESW_SX_SY_S15_S19_S1B_T6_T7_T9_mT8_S1D_bDpT10_ENKUlT_T0_E_clISt17integral_constantIbLb1EES1R_EEDaS1M_S1N_EUlS1M_E_NS1_11comp_targetILNS1_3genE8ELNS1_11target_archE1030ELNS1_3gpuE2ELNS1_3repE0EEENS1_30default_config_static_selectorELNS0_4arch9wavefront6targetE1EEEvSZ_,"axG",@progbits,_ZN7rocprim17ROCPRIM_400000_NS6detail17trampoline_kernelINS0_13select_configILj256ELj13ELNS0_17block_load_methodE3ELS4_3ELS4_3ELNS0_20block_scan_algorithmE0ELj4294967295EEENS1_25partition_config_selectorILNS1_17partition_subalgoE4EjNS0_10empty_typeEbEEZZNS1_14partition_implILS8_4ELb0ES6_15HIP_vector_typeIjLj2EENS0_17counting_iteratorIjlEEPS9_SG_NS0_5tupleIJPjSI_NS0_16reverse_iteratorISI_EEEEENSH_IJSG_SG_SG_EEES9_SI_JZNS1_25segmented_radix_sort_implINS0_14default_configELb1EPKlPlSQ_SR_N2at6native12_GLOBAL__N_18offset_tEEE10hipError_tPvRmT1_PNSt15iterator_traitsISZ_E10value_typeET2_T3_PNS10_IS15_E10value_typeET4_jRbjT5_S1B_jjP12ihipStream_tbEUljE_ZNSN_ISO_Lb1ESQ_SR_SQ_SR_SV_EESW_SX_SY_SZ_S13_S14_S15_S18_S19_jS1A_jS1B_S1B_jjS1D_bEUljE0_EEESW_SX_SY_S15_S19_S1B_T6_T7_T9_mT8_S1D_bDpT10_ENKUlT_T0_E_clISt17integral_constantIbLb1EES1R_EEDaS1M_S1N_EUlS1M_E_NS1_11comp_targetILNS1_3genE8ELNS1_11target_archE1030ELNS1_3gpuE2ELNS1_3repE0EEENS1_30default_config_static_selectorELNS0_4arch9wavefront6targetE1EEEvSZ_,comdat
	.globl	_ZN7rocprim17ROCPRIM_400000_NS6detail17trampoline_kernelINS0_13select_configILj256ELj13ELNS0_17block_load_methodE3ELS4_3ELS4_3ELNS0_20block_scan_algorithmE0ELj4294967295EEENS1_25partition_config_selectorILNS1_17partition_subalgoE4EjNS0_10empty_typeEbEEZZNS1_14partition_implILS8_4ELb0ES6_15HIP_vector_typeIjLj2EENS0_17counting_iteratorIjlEEPS9_SG_NS0_5tupleIJPjSI_NS0_16reverse_iteratorISI_EEEEENSH_IJSG_SG_SG_EEES9_SI_JZNS1_25segmented_radix_sort_implINS0_14default_configELb1EPKlPlSQ_SR_N2at6native12_GLOBAL__N_18offset_tEEE10hipError_tPvRmT1_PNSt15iterator_traitsISZ_E10value_typeET2_T3_PNS10_IS15_E10value_typeET4_jRbjT5_S1B_jjP12ihipStream_tbEUljE_ZNSN_ISO_Lb1ESQ_SR_SQ_SR_SV_EESW_SX_SY_SZ_S13_S14_S15_S18_S19_jS1A_jS1B_S1B_jjS1D_bEUljE0_EEESW_SX_SY_S15_S19_S1B_T6_T7_T9_mT8_S1D_bDpT10_ENKUlT_T0_E_clISt17integral_constantIbLb1EES1R_EEDaS1M_S1N_EUlS1M_E_NS1_11comp_targetILNS1_3genE8ELNS1_11target_archE1030ELNS1_3gpuE2ELNS1_3repE0EEENS1_30default_config_static_selectorELNS0_4arch9wavefront6targetE1EEEvSZ_ ; -- Begin function _ZN7rocprim17ROCPRIM_400000_NS6detail17trampoline_kernelINS0_13select_configILj256ELj13ELNS0_17block_load_methodE3ELS4_3ELS4_3ELNS0_20block_scan_algorithmE0ELj4294967295EEENS1_25partition_config_selectorILNS1_17partition_subalgoE4EjNS0_10empty_typeEbEEZZNS1_14partition_implILS8_4ELb0ES6_15HIP_vector_typeIjLj2EENS0_17counting_iteratorIjlEEPS9_SG_NS0_5tupleIJPjSI_NS0_16reverse_iteratorISI_EEEEENSH_IJSG_SG_SG_EEES9_SI_JZNS1_25segmented_radix_sort_implINS0_14default_configELb1EPKlPlSQ_SR_N2at6native12_GLOBAL__N_18offset_tEEE10hipError_tPvRmT1_PNSt15iterator_traitsISZ_E10value_typeET2_T3_PNS10_IS15_E10value_typeET4_jRbjT5_S1B_jjP12ihipStream_tbEUljE_ZNSN_ISO_Lb1ESQ_SR_SQ_SR_SV_EESW_SX_SY_SZ_S13_S14_S15_S18_S19_jS1A_jS1B_S1B_jjS1D_bEUljE0_EEESW_SX_SY_S15_S19_S1B_T6_T7_T9_mT8_S1D_bDpT10_ENKUlT_T0_E_clISt17integral_constantIbLb1EES1R_EEDaS1M_S1N_EUlS1M_E_NS1_11comp_targetILNS1_3genE8ELNS1_11target_archE1030ELNS1_3gpuE2ELNS1_3repE0EEENS1_30default_config_static_selectorELNS0_4arch9wavefront6targetE1EEEvSZ_
	.p2align	8
	.type	_ZN7rocprim17ROCPRIM_400000_NS6detail17trampoline_kernelINS0_13select_configILj256ELj13ELNS0_17block_load_methodE3ELS4_3ELS4_3ELNS0_20block_scan_algorithmE0ELj4294967295EEENS1_25partition_config_selectorILNS1_17partition_subalgoE4EjNS0_10empty_typeEbEEZZNS1_14partition_implILS8_4ELb0ES6_15HIP_vector_typeIjLj2EENS0_17counting_iteratorIjlEEPS9_SG_NS0_5tupleIJPjSI_NS0_16reverse_iteratorISI_EEEEENSH_IJSG_SG_SG_EEES9_SI_JZNS1_25segmented_radix_sort_implINS0_14default_configELb1EPKlPlSQ_SR_N2at6native12_GLOBAL__N_18offset_tEEE10hipError_tPvRmT1_PNSt15iterator_traitsISZ_E10value_typeET2_T3_PNS10_IS15_E10value_typeET4_jRbjT5_S1B_jjP12ihipStream_tbEUljE_ZNSN_ISO_Lb1ESQ_SR_SQ_SR_SV_EESW_SX_SY_SZ_S13_S14_S15_S18_S19_jS1A_jS1B_S1B_jjS1D_bEUljE0_EEESW_SX_SY_S15_S19_S1B_T6_T7_T9_mT8_S1D_bDpT10_ENKUlT_T0_E_clISt17integral_constantIbLb1EES1R_EEDaS1M_S1N_EUlS1M_E_NS1_11comp_targetILNS1_3genE8ELNS1_11target_archE1030ELNS1_3gpuE2ELNS1_3repE0EEENS1_30default_config_static_selectorELNS0_4arch9wavefront6targetE1EEEvSZ_,@function
_ZN7rocprim17ROCPRIM_400000_NS6detail17trampoline_kernelINS0_13select_configILj256ELj13ELNS0_17block_load_methodE3ELS4_3ELS4_3ELNS0_20block_scan_algorithmE0ELj4294967295EEENS1_25partition_config_selectorILNS1_17partition_subalgoE4EjNS0_10empty_typeEbEEZZNS1_14partition_implILS8_4ELb0ES6_15HIP_vector_typeIjLj2EENS0_17counting_iteratorIjlEEPS9_SG_NS0_5tupleIJPjSI_NS0_16reverse_iteratorISI_EEEEENSH_IJSG_SG_SG_EEES9_SI_JZNS1_25segmented_radix_sort_implINS0_14default_configELb1EPKlPlSQ_SR_N2at6native12_GLOBAL__N_18offset_tEEE10hipError_tPvRmT1_PNSt15iterator_traitsISZ_E10value_typeET2_T3_PNS10_IS15_E10value_typeET4_jRbjT5_S1B_jjP12ihipStream_tbEUljE_ZNSN_ISO_Lb1ESQ_SR_SQ_SR_SV_EESW_SX_SY_SZ_S13_S14_S15_S18_S19_jS1A_jS1B_S1B_jjS1D_bEUljE0_EEESW_SX_SY_S15_S19_S1B_T6_T7_T9_mT8_S1D_bDpT10_ENKUlT_T0_E_clISt17integral_constantIbLb1EES1R_EEDaS1M_S1N_EUlS1M_E_NS1_11comp_targetILNS1_3genE8ELNS1_11target_archE1030ELNS1_3gpuE2ELNS1_3repE0EEENS1_30default_config_static_selectorELNS0_4arch9wavefront6targetE1EEEvSZ_: ; @_ZN7rocprim17ROCPRIM_400000_NS6detail17trampoline_kernelINS0_13select_configILj256ELj13ELNS0_17block_load_methodE3ELS4_3ELS4_3ELNS0_20block_scan_algorithmE0ELj4294967295EEENS1_25partition_config_selectorILNS1_17partition_subalgoE4EjNS0_10empty_typeEbEEZZNS1_14partition_implILS8_4ELb0ES6_15HIP_vector_typeIjLj2EENS0_17counting_iteratorIjlEEPS9_SG_NS0_5tupleIJPjSI_NS0_16reverse_iteratorISI_EEEEENSH_IJSG_SG_SG_EEES9_SI_JZNS1_25segmented_radix_sort_implINS0_14default_configELb1EPKlPlSQ_SR_N2at6native12_GLOBAL__N_18offset_tEEE10hipError_tPvRmT1_PNSt15iterator_traitsISZ_E10value_typeET2_T3_PNS10_IS15_E10value_typeET4_jRbjT5_S1B_jjP12ihipStream_tbEUljE_ZNSN_ISO_Lb1ESQ_SR_SQ_SR_SV_EESW_SX_SY_SZ_S13_S14_S15_S18_S19_jS1A_jS1B_S1B_jjS1D_bEUljE0_EEESW_SX_SY_S15_S19_S1B_T6_T7_T9_mT8_S1D_bDpT10_ENKUlT_T0_E_clISt17integral_constantIbLb1EES1R_EEDaS1M_S1N_EUlS1M_E_NS1_11comp_targetILNS1_3genE8ELNS1_11target_archE1030ELNS1_3gpuE2ELNS1_3repE0EEENS1_30default_config_static_selectorELNS0_4arch9wavefront6targetE1EEEvSZ_
; %bb.0:
	.section	.rodata,"a",@progbits
	.p2align	6, 0x0
	.amdhsa_kernel _ZN7rocprim17ROCPRIM_400000_NS6detail17trampoline_kernelINS0_13select_configILj256ELj13ELNS0_17block_load_methodE3ELS4_3ELS4_3ELNS0_20block_scan_algorithmE0ELj4294967295EEENS1_25partition_config_selectorILNS1_17partition_subalgoE4EjNS0_10empty_typeEbEEZZNS1_14partition_implILS8_4ELb0ES6_15HIP_vector_typeIjLj2EENS0_17counting_iteratorIjlEEPS9_SG_NS0_5tupleIJPjSI_NS0_16reverse_iteratorISI_EEEEENSH_IJSG_SG_SG_EEES9_SI_JZNS1_25segmented_radix_sort_implINS0_14default_configELb1EPKlPlSQ_SR_N2at6native12_GLOBAL__N_18offset_tEEE10hipError_tPvRmT1_PNSt15iterator_traitsISZ_E10value_typeET2_T3_PNS10_IS15_E10value_typeET4_jRbjT5_S1B_jjP12ihipStream_tbEUljE_ZNSN_ISO_Lb1ESQ_SR_SQ_SR_SV_EESW_SX_SY_SZ_S13_S14_S15_S18_S19_jS1A_jS1B_S1B_jjS1D_bEUljE0_EEESW_SX_SY_S15_S19_S1B_T6_T7_T9_mT8_S1D_bDpT10_ENKUlT_T0_E_clISt17integral_constantIbLb1EES1R_EEDaS1M_S1N_EUlS1M_E_NS1_11comp_targetILNS1_3genE8ELNS1_11target_archE1030ELNS1_3gpuE2ELNS1_3repE0EEENS1_30default_config_static_selectorELNS0_4arch9wavefront6targetE1EEEvSZ_
		.amdhsa_group_segment_fixed_size 0
		.amdhsa_private_segment_fixed_size 0
		.amdhsa_kernarg_size 184
		.amdhsa_user_sgpr_count 6
		.amdhsa_user_sgpr_private_segment_buffer 1
		.amdhsa_user_sgpr_dispatch_ptr 0
		.amdhsa_user_sgpr_queue_ptr 0
		.amdhsa_user_sgpr_kernarg_segment_ptr 1
		.amdhsa_user_sgpr_dispatch_id 0
		.amdhsa_user_sgpr_flat_scratch_init 0
		.amdhsa_user_sgpr_kernarg_preload_length 0
		.amdhsa_user_sgpr_kernarg_preload_offset 0
		.amdhsa_user_sgpr_private_segment_size 0
		.amdhsa_uses_dynamic_stack 0
		.amdhsa_system_sgpr_private_segment_wavefront_offset 0
		.amdhsa_system_sgpr_workgroup_id_x 1
		.amdhsa_system_sgpr_workgroup_id_y 0
		.amdhsa_system_sgpr_workgroup_id_z 0
		.amdhsa_system_sgpr_workgroup_info 0
		.amdhsa_system_vgpr_workitem_id 0
		.amdhsa_next_free_vgpr 1
		.amdhsa_next_free_sgpr 0
		.amdhsa_accum_offset 4
		.amdhsa_reserve_vcc 0
		.amdhsa_reserve_flat_scratch 0
		.amdhsa_float_round_mode_32 0
		.amdhsa_float_round_mode_16_64 0
		.amdhsa_float_denorm_mode_32 3
		.amdhsa_float_denorm_mode_16_64 3
		.amdhsa_dx10_clamp 1
		.amdhsa_ieee_mode 1
		.amdhsa_fp16_overflow 0
		.amdhsa_tg_split 0
		.amdhsa_exception_fp_ieee_invalid_op 0
		.amdhsa_exception_fp_denorm_src 0
		.amdhsa_exception_fp_ieee_div_zero 0
		.amdhsa_exception_fp_ieee_overflow 0
		.amdhsa_exception_fp_ieee_underflow 0
		.amdhsa_exception_fp_ieee_inexact 0
		.amdhsa_exception_int_div_zero 0
	.end_amdhsa_kernel
	.section	.text._ZN7rocprim17ROCPRIM_400000_NS6detail17trampoline_kernelINS0_13select_configILj256ELj13ELNS0_17block_load_methodE3ELS4_3ELS4_3ELNS0_20block_scan_algorithmE0ELj4294967295EEENS1_25partition_config_selectorILNS1_17partition_subalgoE4EjNS0_10empty_typeEbEEZZNS1_14partition_implILS8_4ELb0ES6_15HIP_vector_typeIjLj2EENS0_17counting_iteratorIjlEEPS9_SG_NS0_5tupleIJPjSI_NS0_16reverse_iteratorISI_EEEEENSH_IJSG_SG_SG_EEES9_SI_JZNS1_25segmented_radix_sort_implINS0_14default_configELb1EPKlPlSQ_SR_N2at6native12_GLOBAL__N_18offset_tEEE10hipError_tPvRmT1_PNSt15iterator_traitsISZ_E10value_typeET2_T3_PNS10_IS15_E10value_typeET4_jRbjT5_S1B_jjP12ihipStream_tbEUljE_ZNSN_ISO_Lb1ESQ_SR_SQ_SR_SV_EESW_SX_SY_SZ_S13_S14_S15_S18_S19_jS1A_jS1B_S1B_jjS1D_bEUljE0_EEESW_SX_SY_S15_S19_S1B_T6_T7_T9_mT8_S1D_bDpT10_ENKUlT_T0_E_clISt17integral_constantIbLb1EES1R_EEDaS1M_S1N_EUlS1M_E_NS1_11comp_targetILNS1_3genE8ELNS1_11target_archE1030ELNS1_3gpuE2ELNS1_3repE0EEENS1_30default_config_static_selectorELNS0_4arch9wavefront6targetE1EEEvSZ_,"axG",@progbits,_ZN7rocprim17ROCPRIM_400000_NS6detail17trampoline_kernelINS0_13select_configILj256ELj13ELNS0_17block_load_methodE3ELS4_3ELS4_3ELNS0_20block_scan_algorithmE0ELj4294967295EEENS1_25partition_config_selectorILNS1_17partition_subalgoE4EjNS0_10empty_typeEbEEZZNS1_14partition_implILS8_4ELb0ES6_15HIP_vector_typeIjLj2EENS0_17counting_iteratorIjlEEPS9_SG_NS0_5tupleIJPjSI_NS0_16reverse_iteratorISI_EEEEENSH_IJSG_SG_SG_EEES9_SI_JZNS1_25segmented_radix_sort_implINS0_14default_configELb1EPKlPlSQ_SR_N2at6native12_GLOBAL__N_18offset_tEEE10hipError_tPvRmT1_PNSt15iterator_traitsISZ_E10value_typeET2_T3_PNS10_IS15_E10value_typeET4_jRbjT5_S1B_jjP12ihipStream_tbEUljE_ZNSN_ISO_Lb1ESQ_SR_SQ_SR_SV_EESW_SX_SY_SZ_S13_S14_S15_S18_S19_jS1A_jS1B_S1B_jjS1D_bEUljE0_EEESW_SX_SY_S15_S19_S1B_T6_T7_T9_mT8_S1D_bDpT10_ENKUlT_T0_E_clISt17integral_constantIbLb1EES1R_EEDaS1M_S1N_EUlS1M_E_NS1_11comp_targetILNS1_3genE8ELNS1_11target_archE1030ELNS1_3gpuE2ELNS1_3repE0EEENS1_30default_config_static_selectorELNS0_4arch9wavefront6targetE1EEEvSZ_,comdat
.Lfunc_end655:
	.size	_ZN7rocprim17ROCPRIM_400000_NS6detail17trampoline_kernelINS0_13select_configILj256ELj13ELNS0_17block_load_methodE3ELS4_3ELS4_3ELNS0_20block_scan_algorithmE0ELj4294967295EEENS1_25partition_config_selectorILNS1_17partition_subalgoE4EjNS0_10empty_typeEbEEZZNS1_14partition_implILS8_4ELb0ES6_15HIP_vector_typeIjLj2EENS0_17counting_iteratorIjlEEPS9_SG_NS0_5tupleIJPjSI_NS0_16reverse_iteratorISI_EEEEENSH_IJSG_SG_SG_EEES9_SI_JZNS1_25segmented_radix_sort_implINS0_14default_configELb1EPKlPlSQ_SR_N2at6native12_GLOBAL__N_18offset_tEEE10hipError_tPvRmT1_PNSt15iterator_traitsISZ_E10value_typeET2_T3_PNS10_IS15_E10value_typeET4_jRbjT5_S1B_jjP12ihipStream_tbEUljE_ZNSN_ISO_Lb1ESQ_SR_SQ_SR_SV_EESW_SX_SY_SZ_S13_S14_S15_S18_S19_jS1A_jS1B_S1B_jjS1D_bEUljE0_EEESW_SX_SY_S15_S19_S1B_T6_T7_T9_mT8_S1D_bDpT10_ENKUlT_T0_E_clISt17integral_constantIbLb1EES1R_EEDaS1M_S1N_EUlS1M_E_NS1_11comp_targetILNS1_3genE8ELNS1_11target_archE1030ELNS1_3gpuE2ELNS1_3repE0EEENS1_30default_config_static_selectorELNS0_4arch9wavefront6targetE1EEEvSZ_, .Lfunc_end655-_ZN7rocprim17ROCPRIM_400000_NS6detail17trampoline_kernelINS0_13select_configILj256ELj13ELNS0_17block_load_methodE3ELS4_3ELS4_3ELNS0_20block_scan_algorithmE0ELj4294967295EEENS1_25partition_config_selectorILNS1_17partition_subalgoE4EjNS0_10empty_typeEbEEZZNS1_14partition_implILS8_4ELb0ES6_15HIP_vector_typeIjLj2EENS0_17counting_iteratorIjlEEPS9_SG_NS0_5tupleIJPjSI_NS0_16reverse_iteratorISI_EEEEENSH_IJSG_SG_SG_EEES9_SI_JZNS1_25segmented_radix_sort_implINS0_14default_configELb1EPKlPlSQ_SR_N2at6native12_GLOBAL__N_18offset_tEEE10hipError_tPvRmT1_PNSt15iterator_traitsISZ_E10value_typeET2_T3_PNS10_IS15_E10value_typeET4_jRbjT5_S1B_jjP12ihipStream_tbEUljE_ZNSN_ISO_Lb1ESQ_SR_SQ_SR_SV_EESW_SX_SY_SZ_S13_S14_S15_S18_S19_jS1A_jS1B_S1B_jjS1D_bEUljE0_EEESW_SX_SY_S15_S19_S1B_T6_T7_T9_mT8_S1D_bDpT10_ENKUlT_T0_E_clISt17integral_constantIbLb1EES1R_EEDaS1M_S1N_EUlS1M_E_NS1_11comp_targetILNS1_3genE8ELNS1_11target_archE1030ELNS1_3gpuE2ELNS1_3repE0EEENS1_30default_config_static_selectorELNS0_4arch9wavefront6targetE1EEEvSZ_
                                        ; -- End function
	.section	.AMDGPU.csdata,"",@progbits
; Kernel info:
; codeLenInByte = 0
; NumSgprs: 4
; NumVgprs: 0
; NumAgprs: 0
; TotalNumVgprs: 0
; ScratchSize: 0
; MemoryBound: 0
; FloatMode: 240
; IeeeMode: 1
; LDSByteSize: 0 bytes/workgroup (compile time only)
; SGPRBlocks: 0
; VGPRBlocks: 0
; NumSGPRsForWavesPerEU: 4
; NumVGPRsForWavesPerEU: 1
; AccumOffset: 4
; Occupancy: 8
; WaveLimiterHint : 0
; COMPUTE_PGM_RSRC2:SCRATCH_EN: 0
; COMPUTE_PGM_RSRC2:USER_SGPR: 6
; COMPUTE_PGM_RSRC2:TRAP_HANDLER: 0
; COMPUTE_PGM_RSRC2:TGID_X_EN: 1
; COMPUTE_PGM_RSRC2:TGID_Y_EN: 0
; COMPUTE_PGM_RSRC2:TGID_Z_EN: 0
; COMPUTE_PGM_RSRC2:TIDIG_COMP_CNT: 0
; COMPUTE_PGM_RSRC3_GFX90A:ACCUM_OFFSET: 0
; COMPUTE_PGM_RSRC3_GFX90A:TG_SPLIT: 0
	.section	.text._ZN7rocprim17ROCPRIM_400000_NS6detail17trampoline_kernelINS0_13select_configILj256ELj13ELNS0_17block_load_methodE3ELS4_3ELS4_3ELNS0_20block_scan_algorithmE0ELj4294967295EEENS1_25partition_config_selectorILNS1_17partition_subalgoE4EjNS0_10empty_typeEbEEZZNS1_14partition_implILS8_4ELb0ES6_15HIP_vector_typeIjLj2EENS0_17counting_iteratorIjlEEPS9_SG_NS0_5tupleIJPjSI_NS0_16reverse_iteratorISI_EEEEENSH_IJSG_SG_SG_EEES9_SI_JZNS1_25segmented_radix_sort_implINS0_14default_configELb1EPKlPlSQ_SR_N2at6native12_GLOBAL__N_18offset_tEEE10hipError_tPvRmT1_PNSt15iterator_traitsISZ_E10value_typeET2_T3_PNS10_IS15_E10value_typeET4_jRbjT5_S1B_jjP12ihipStream_tbEUljE_ZNSN_ISO_Lb1ESQ_SR_SQ_SR_SV_EESW_SX_SY_SZ_S13_S14_S15_S18_S19_jS1A_jS1B_S1B_jjS1D_bEUljE0_EEESW_SX_SY_S15_S19_S1B_T6_T7_T9_mT8_S1D_bDpT10_ENKUlT_T0_E_clISt17integral_constantIbLb1EES1Q_IbLb0EEEEDaS1M_S1N_EUlS1M_E_NS1_11comp_targetILNS1_3genE0ELNS1_11target_archE4294967295ELNS1_3gpuE0ELNS1_3repE0EEENS1_30default_config_static_selectorELNS0_4arch9wavefront6targetE1EEEvSZ_,"axG",@progbits,_ZN7rocprim17ROCPRIM_400000_NS6detail17trampoline_kernelINS0_13select_configILj256ELj13ELNS0_17block_load_methodE3ELS4_3ELS4_3ELNS0_20block_scan_algorithmE0ELj4294967295EEENS1_25partition_config_selectorILNS1_17partition_subalgoE4EjNS0_10empty_typeEbEEZZNS1_14partition_implILS8_4ELb0ES6_15HIP_vector_typeIjLj2EENS0_17counting_iteratorIjlEEPS9_SG_NS0_5tupleIJPjSI_NS0_16reverse_iteratorISI_EEEEENSH_IJSG_SG_SG_EEES9_SI_JZNS1_25segmented_radix_sort_implINS0_14default_configELb1EPKlPlSQ_SR_N2at6native12_GLOBAL__N_18offset_tEEE10hipError_tPvRmT1_PNSt15iterator_traitsISZ_E10value_typeET2_T3_PNS10_IS15_E10value_typeET4_jRbjT5_S1B_jjP12ihipStream_tbEUljE_ZNSN_ISO_Lb1ESQ_SR_SQ_SR_SV_EESW_SX_SY_SZ_S13_S14_S15_S18_S19_jS1A_jS1B_S1B_jjS1D_bEUljE0_EEESW_SX_SY_S15_S19_S1B_T6_T7_T9_mT8_S1D_bDpT10_ENKUlT_T0_E_clISt17integral_constantIbLb1EES1Q_IbLb0EEEEDaS1M_S1N_EUlS1M_E_NS1_11comp_targetILNS1_3genE0ELNS1_11target_archE4294967295ELNS1_3gpuE0ELNS1_3repE0EEENS1_30default_config_static_selectorELNS0_4arch9wavefront6targetE1EEEvSZ_,comdat
	.globl	_ZN7rocprim17ROCPRIM_400000_NS6detail17trampoline_kernelINS0_13select_configILj256ELj13ELNS0_17block_load_methodE3ELS4_3ELS4_3ELNS0_20block_scan_algorithmE0ELj4294967295EEENS1_25partition_config_selectorILNS1_17partition_subalgoE4EjNS0_10empty_typeEbEEZZNS1_14partition_implILS8_4ELb0ES6_15HIP_vector_typeIjLj2EENS0_17counting_iteratorIjlEEPS9_SG_NS0_5tupleIJPjSI_NS0_16reverse_iteratorISI_EEEEENSH_IJSG_SG_SG_EEES9_SI_JZNS1_25segmented_radix_sort_implINS0_14default_configELb1EPKlPlSQ_SR_N2at6native12_GLOBAL__N_18offset_tEEE10hipError_tPvRmT1_PNSt15iterator_traitsISZ_E10value_typeET2_T3_PNS10_IS15_E10value_typeET4_jRbjT5_S1B_jjP12ihipStream_tbEUljE_ZNSN_ISO_Lb1ESQ_SR_SQ_SR_SV_EESW_SX_SY_SZ_S13_S14_S15_S18_S19_jS1A_jS1B_S1B_jjS1D_bEUljE0_EEESW_SX_SY_S15_S19_S1B_T6_T7_T9_mT8_S1D_bDpT10_ENKUlT_T0_E_clISt17integral_constantIbLb1EES1Q_IbLb0EEEEDaS1M_S1N_EUlS1M_E_NS1_11comp_targetILNS1_3genE0ELNS1_11target_archE4294967295ELNS1_3gpuE0ELNS1_3repE0EEENS1_30default_config_static_selectorELNS0_4arch9wavefront6targetE1EEEvSZ_ ; -- Begin function _ZN7rocprim17ROCPRIM_400000_NS6detail17trampoline_kernelINS0_13select_configILj256ELj13ELNS0_17block_load_methodE3ELS4_3ELS4_3ELNS0_20block_scan_algorithmE0ELj4294967295EEENS1_25partition_config_selectorILNS1_17partition_subalgoE4EjNS0_10empty_typeEbEEZZNS1_14partition_implILS8_4ELb0ES6_15HIP_vector_typeIjLj2EENS0_17counting_iteratorIjlEEPS9_SG_NS0_5tupleIJPjSI_NS0_16reverse_iteratorISI_EEEEENSH_IJSG_SG_SG_EEES9_SI_JZNS1_25segmented_radix_sort_implINS0_14default_configELb1EPKlPlSQ_SR_N2at6native12_GLOBAL__N_18offset_tEEE10hipError_tPvRmT1_PNSt15iterator_traitsISZ_E10value_typeET2_T3_PNS10_IS15_E10value_typeET4_jRbjT5_S1B_jjP12ihipStream_tbEUljE_ZNSN_ISO_Lb1ESQ_SR_SQ_SR_SV_EESW_SX_SY_SZ_S13_S14_S15_S18_S19_jS1A_jS1B_S1B_jjS1D_bEUljE0_EEESW_SX_SY_S15_S19_S1B_T6_T7_T9_mT8_S1D_bDpT10_ENKUlT_T0_E_clISt17integral_constantIbLb1EES1Q_IbLb0EEEEDaS1M_S1N_EUlS1M_E_NS1_11comp_targetILNS1_3genE0ELNS1_11target_archE4294967295ELNS1_3gpuE0ELNS1_3repE0EEENS1_30default_config_static_selectorELNS0_4arch9wavefront6targetE1EEEvSZ_
	.p2align	8
	.type	_ZN7rocprim17ROCPRIM_400000_NS6detail17trampoline_kernelINS0_13select_configILj256ELj13ELNS0_17block_load_methodE3ELS4_3ELS4_3ELNS0_20block_scan_algorithmE0ELj4294967295EEENS1_25partition_config_selectorILNS1_17partition_subalgoE4EjNS0_10empty_typeEbEEZZNS1_14partition_implILS8_4ELb0ES6_15HIP_vector_typeIjLj2EENS0_17counting_iteratorIjlEEPS9_SG_NS0_5tupleIJPjSI_NS0_16reverse_iteratorISI_EEEEENSH_IJSG_SG_SG_EEES9_SI_JZNS1_25segmented_radix_sort_implINS0_14default_configELb1EPKlPlSQ_SR_N2at6native12_GLOBAL__N_18offset_tEEE10hipError_tPvRmT1_PNSt15iterator_traitsISZ_E10value_typeET2_T3_PNS10_IS15_E10value_typeET4_jRbjT5_S1B_jjP12ihipStream_tbEUljE_ZNSN_ISO_Lb1ESQ_SR_SQ_SR_SV_EESW_SX_SY_SZ_S13_S14_S15_S18_S19_jS1A_jS1B_S1B_jjS1D_bEUljE0_EEESW_SX_SY_S15_S19_S1B_T6_T7_T9_mT8_S1D_bDpT10_ENKUlT_T0_E_clISt17integral_constantIbLb1EES1Q_IbLb0EEEEDaS1M_S1N_EUlS1M_E_NS1_11comp_targetILNS1_3genE0ELNS1_11target_archE4294967295ELNS1_3gpuE0ELNS1_3repE0EEENS1_30default_config_static_selectorELNS0_4arch9wavefront6targetE1EEEvSZ_,@function
_ZN7rocprim17ROCPRIM_400000_NS6detail17trampoline_kernelINS0_13select_configILj256ELj13ELNS0_17block_load_methodE3ELS4_3ELS4_3ELNS0_20block_scan_algorithmE0ELj4294967295EEENS1_25partition_config_selectorILNS1_17partition_subalgoE4EjNS0_10empty_typeEbEEZZNS1_14partition_implILS8_4ELb0ES6_15HIP_vector_typeIjLj2EENS0_17counting_iteratorIjlEEPS9_SG_NS0_5tupleIJPjSI_NS0_16reverse_iteratorISI_EEEEENSH_IJSG_SG_SG_EEES9_SI_JZNS1_25segmented_radix_sort_implINS0_14default_configELb1EPKlPlSQ_SR_N2at6native12_GLOBAL__N_18offset_tEEE10hipError_tPvRmT1_PNSt15iterator_traitsISZ_E10value_typeET2_T3_PNS10_IS15_E10value_typeET4_jRbjT5_S1B_jjP12ihipStream_tbEUljE_ZNSN_ISO_Lb1ESQ_SR_SQ_SR_SV_EESW_SX_SY_SZ_S13_S14_S15_S18_S19_jS1A_jS1B_S1B_jjS1D_bEUljE0_EEESW_SX_SY_S15_S19_S1B_T6_T7_T9_mT8_S1D_bDpT10_ENKUlT_T0_E_clISt17integral_constantIbLb1EES1Q_IbLb0EEEEDaS1M_S1N_EUlS1M_E_NS1_11comp_targetILNS1_3genE0ELNS1_11target_archE4294967295ELNS1_3gpuE0ELNS1_3repE0EEENS1_30default_config_static_selectorELNS0_4arch9wavefront6targetE1EEEvSZ_: ; @_ZN7rocprim17ROCPRIM_400000_NS6detail17trampoline_kernelINS0_13select_configILj256ELj13ELNS0_17block_load_methodE3ELS4_3ELS4_3ELNS0_20block_scan_algorithmE0ELj4294967295EEENS1_25partition_config_selectorILNS1_17partition_subalgoE4EjNS0_10empty_typeEbEEZZNS1_14partition_implILS8_4ELb0ES6_15HIP_vector_typeIjLj2EENS0_17counting_iteratorIjlEEPS9_SG_NS0_5tupleIJPjSI_NS0_16reverse_iteratorISI_EEEEENSH_IJSG_SG_SG_EEES9_SI_JZNS1_25segmented_radix_sort_implINS0_14default_configELb1EPKlPlSQ_SR_N2at6native12_GLOBAL__N_18offset_tEEE10hipError_tPvRmT1_PNSt15iterator_traitsISZ_E10value_typeET2_T3_PNS10_IS15_E10value_typeET4_jRbjT5_S1B_jjP12ihipStream_tbEUljE_ZNSN_ISO_Lb1ESQ_SR_SQ_SR_SV_EESW_SX_SY_SZ_S13_S14_S15_S18_S19_jS1A_jS1B_S1B_jjS1D_bEUljE0_EEESW_SX_SY_S15_S19_S1B_T6_T7_T9_mT8_S1D_bDpT10_ENKUlT_T0_E_clISt17integral_constantIbLb1EES1Q_IbLb0EEEEDaS1M_S1N_EUlS1M_E_NS1_11comp_targetILNS1_3genE0ELNS1_11target_archE4294967295ELNS1_3gpuE0ELNS1_3repE0EEENS1_30default_config_static_selectorELNS0_4arch9wavefront6targetE1EEEvSZ_
; %bb.0:
	.section	.rodata,"a",@progbits
	.p2align	6, 0x0
	.amdhsa_kernel _ZN7rocprim17ROCPRIM_400000_NS6detail17trampoline_kernelINS0_13select_configILj256ELj13ELNS0_17block_load_methodE3ELS4_3ELS4_3ELNS0_20block_scan_algorithmE0ELj4294967295EEENS1_25partition_config_selectorILNS1_17partition_subalgoE4EjNS0_10empty_typeEbEEZZNS1_14partition_implILS8_4ELb0ES6_15HIP_vector_typeIjLj2EENS0_17counting_iteratorIjlEEPS9_SG_NS0_5tupleIJPjSI_NS0_16reverse_iteratorISI_EEEEENSH_IJSG_SG_SG_EEES9_SI_JZNS1_25segmented_radix_sort_implINS0_14default_configELb1EPKlPlSQ_SR_N2at6native12_GLOBAL__N_18offset_tEEE10hipError_tPvRmT1_PNSt15iterator_traitsISZ_E10value_typeET2_T3_PNS10_IS15_E10value_typeET4_jRbjT5_S1B_jjP12ihipStream_tbEUljE_ZNSN_ISO_Lb1ESQ_SR_SQ_SR_SV_EESW_SX_SY_SZ_S13_S14_S15_S18_S19_jS1A_jS1B_S1B_jjS1D_bEUljE0_EEESW_SX_SY_S15_S19_S1B_T6_T7_T9_mT8_S1D_bDpT10_ENKUlT_T0_E_clISt17integral_constantIbLb1EES1Q_IbLb0EEEEDaS1M_S1N_EUlS1M_E_NS1_11comp_targetILNS1_3genE0ELNS1_11target_archE4294967295ELNS1_3gpuE0ELNS1_3repE0EEENS1_30default_config_static_selectorELNS0_4arch9wavefront6targetE1EEEvSZ_
		.amdhsa_group_segment_fixed_size 0
		.amdhsa_private_segment_fixed_size 0
		.amdhsa_kernarg_size 176
		.amdhsa_user_sgpr_count 6
		.amdhsa_user_sgpr_private_segment_buffer 1
		.amdhsa_user_sgpr_dispatch_ptr 0
		.amdhsa_user_sgpr_queue_ptr 0
		.amdhsa_user_sgpr_kernarg_segment_ptr 1
		.amdhsa_user_sgpr_dispatch_id 0
		.amdhsa_user_sgpr_flat_scratch_init 0
		.amdhsa_user_sgpr_kernarg_preload_length 0
		.amdhsa_user_sgpr_kernarg_preload_offset 0
		.amdhsa_user_sgpr_private_segment_size 0
		.amdhsa_uses_dynamic_stack 0
		.amdhsa_system_sgpr_private_segment_wavefront_offset 0
		.amdhsa_system_sgpr_workgroup_id_x 1
		.amdhsa_system_sgpr_workgroup_id_y 0
		.amdhsa_system_sgpr_workgroup_id_z 0
		.amdhsa_system_sgpr_workgroup_info 0
		.amdhsa_system_vgpr_workitem_id 0
		.amdhsa_next_free_vgpr 1
		.amdhsa_next_free_sgpr 0
		.amdhsa_accum_offset 4
		.amdhsa_reserve_vcc 0
		.amdhsa_reserve_flat_scratch 0
		.amdhsa_float_round_mode_32 0
		.amdhsa_float_round_mode_16_64 0
		.amdhsa_float_denorm_mode_32 3
		.amdhsa_float_denorm_mode_16_64 3
		.amdhsa_dx10_clamp 1
		.amdhsa_ieee_mode 1
		.amdhsa_fp16_overflow 0
		.amdhsa_tg_split 0
		.amdhsa_exception_fp_ieee_invalid_op 0
		.amdhsa_exception_fp_denorm_src 0
		.amdhsa_exception_fp_ieee_div_zero 0
		.amdhsa_exception_fp_ieee_overflow 0
		.amdhsa_exception_fp_ieee_underflow 0
		.amdhsa_exception_fp_ieee_inexact 0
		.amdhsa_exception_int_div_zero 0
	.end_amdhsa_kernel
	.section	.text._ZN7rocprim17ROCPRIM_400000_NS6detail17trampoline_kernelINS0_13select_configILj256ELj13ELNS0_17block_load_methodE3ELS4_3ELS4_3ELNS0_20block_scan_algorithmE0ELj4294967295EEENS1_25partition_config_selectorILNS1_17partition_subalgoE4EjNS0_10empty_typeEbEEZZNS1_14partition_implILS8_4ELb0ES6_15HIP_vector_typeIjLj2EENS0_17counting_iteratorIjlEEPS9_SG_NS0_5tupleIJPjSI_NS0_16reverse_iteratorISI_EEEEENSH_IJSG_SG_SG_EEES9_SI_JZNS1_25segmented_radix_sort_implINS0_14default_configELb1EPKlPlSQ_SR_N2at6native12_GLOBAL__N_18offset_tEEE10hipError_tPvRmT1_PNSt15iterator_traitsISZ_E10value_typeET2_T3_PNS10_IS15_E10value_typeET4_jRbjT5_S1B_jjP12ihipStream_tbEUljE_ZNSN_ISO_Lb1ESQ_SR_SQ_SR_SV_EESW_SX_SY_SZ_S13_S14_S15_S18_S19_jS1A_jS1B_S1B_jjS1D_bEUljE0_EEESW_SX_SY_S15_S19_S1B_T6_T7_T9_mT8_S1D_bDpT10_ENKUlT_T0_E_clISt17integral_constantIbLb1EES1Q_IbLb0EEEEDaS1M_S1N_EUlS1M_E_NS1_11comp_targetILNS1_3genE0ELNS1_11target_archE4294967295ELNS1_3gpuE0ELNS1_3repE0EEENS1_30default_config_static_selectorELNS0_4arch9wavefront6targetE1EEEvSZ_,"axG",@progbits,_ZN7rocprim17ROCPRIM_400000_NS6detail17trampoline_kernelINS0_13select_configILj256ELj13ELNS0_17block_load_methodE3ELS4_3ELS4_3ELNS0_20block_scan_algorithmE0ELj4294967295EEENS1_25partition_config_selectorILNS1_17partition_subalgoE4EjNS0_10empty_typeEbEEZZNS1_14partition_implILS8_4ELb0ES6_15HIP_vector_typeIjLj2EENS0_17counting_iteratorIjlEEPS9_SG_NS0_5tupleIJPjSI_NS0_16reverse_iteratorISI_EEEEENSH_IJSG_SG_SG_EEES9_SI_JZNS1_25segmented_radix_sort_implINS0_14default_configELb1EPKlPlSQ_SR_N2at6native12_GLOBAL__N_18offset_tEEE10hipError_tPvRmT1_PNSt15iterator_traitsISZ_E10value_typeET2_T3_PNS10_IS15_E10value_typeET4_jRbjT5_S1B_jjP12ihipStream_tbEUljE_ZNSN_ISO_Lb1ESQ_SR_SQ_SR_SV_EESW_SX_SY_SZ_S13_S14_S15_S18_S19_jS1A_jS1B_S1B_jjS1D_bEUljE0_EEESW_SX_SY_S15_S19_S1B_T6_T7_T9_mT8_S1D_bDpT10_ENKUlT_T0_E_clISt17integral_constantIbLb1EES1Q_IbLb0EEEEDaS1M_S1N_EUlS1M_E_NS1_11comp_targetILNS1_3genE0ELNS1_11target_archE4294967295ELNS1_3gpuE0ELNS1_3repE0EEENS1_30default_config_static_selectorELNS0_4arch9wavefront6targetE1EEEvSZ_,comdat
.Lfunc_end656:
	.size	_ZN7rocprim17ROCPRIM_400000_NS6detail17trampoline_kernelINS0_13select_configILj256ELj13ELNS0_17block_load_methodE3ELS4_3ELS4_3ELNS0_20block_scan_algorithmE0ELj4294967295EEENS1_25partition_config_selectorILNS1_17partition_subalgoE4EjNS0_10empty_typeEbEEZZNS1_14partition_implILS8_4ELb0ES6_15HIP_vector_typeIjLj2EENS0_17counting_iteratorIjlEEPS9_SG_NS0_5tupleIJPjSI_NS0_16reverse_iteratorISI_EEEEENSH_IJSG_SG_SG_EEES9_SI_JZNS1_25segmented_radix_sort_implINS0_14default_configELb1EPKlPlSQ_SR_N2at6native12_GLOBAL__N_18offset_tEEE10hipError_tPvRmT1_PNSt15iterator_traitsISZ_E10value_typeET2_T3_PNS10_IS15_E10value_typeET4_jRbjT5_S1B_jjP12ihipStream_tbEUljE_ZNSN_ISO_Lb1ESQ_SR_SQ_SR_SV_EESW_SX_SY_SZ_S13_S14_S15_S18_S19_jS1A_jS1B_S1B_jjS1D_bEUljE0_EEESW_SX_SY_S15_S19_S1B_T6_T7_T9_mT8_S1D_bDpT10_ENKUlT_T0_E_clISt17integral_constantIbLb1EES1Q_IbLb0EEEEDaS1M_S1N_EUlS1M_E_NS1_11comp_targetILNS1_3genE0ELNS1_11target_archE4294967295ELNS1_3gpuE0ELNS1_3repE0EEENS1_30default_config_static_selectorELNS0_4arch9wavefront6targetE1EEEvSZ_, .Lfunc_end656-_ZN7rocprim17ROCPRIM_400000_NS6detail17trampoline_kernelINS0_13select_configILj256ELj13ELNS0_17block_load_methodE3ELS4_3ELS4_3ELNS0_20block_scan_algorithmE0ELj4294967295EEENS1_25partition_config_selectorILNS1_17partition_subalgoE4EjNS0_10empty_typeEbEEZZNS1_14partition_implILS8_4ELb0ES6_15HIP_vector_typeIjLj2EENS0_17counting_iteratorIjlEEPS9_SG_NS0_5tupleIJPjSI_NS0_16reverse_iteratorISI_EEEEENSH_IJSG_SG_SG_EEES9_SI_JZNS1_25segmented_radix_sort_implINS0_14default_configELb1EPKlPlSQ_SR_N2at6native12_GLOBAL__N_18offset_tEEE10hipError_tPvRmT1_PNSt15iterator_traitsISZ_E10value_typeET2_T3_PNS10_IS15_E10value_typeET4_jRbjT5_S1B_jjP12ihipStream_tbEUljE_ZNSN_ISO_Lb1ESQ_SR_SQ_SR_SV_EESW_SX_SY_SZ_S13_S14_S15_S18_S19_jS1A_jS1B_S1B_jjS1D_bEUljE0_EEESW_SX_SY_S15_S19_S1B_T6_T7_T9_mT8_S1D_bDpT10_ENKUlT_T0_E_clISt17integral_constantIbLb1EES1Q_IbLb0EEEEDaS1M_S1N_EUlS1M_E_NS1_11comp_targetILNS1_3genE0ELNS1_11target_archE4294967295ELNS1_3gpuE0ELNS1_3repE0EEENS1_30default_config_static_selectorELNS0_4arch9wavefront6targetE1EEEvSZ_
                                        ; -- End function
	.section	.AMDGPU.csdata,"",@progbits
; Kernel info:
; codeLenInByte = 0
; NumSgprs: 4
; NumVgprs: 0
; NumAgprs: 0
; TotalNumVgprs: 0
; ScratchSize: 0
; MemoryBound: 0
; FloatMode: 240
; IeeeMode: 1
; LDSByteSize: 0 bytes/workgroup (compile time only)
; SGPRBlocks: 0
; VGPRBlocks: 0
; NumSGPRsForWavesPerEU: 4
; NumVGPRsForWavesPerEU: 1
; AccumOffset: 4
; Occupancy: 8
; WaveLimiterHint : 0
; COMPUTE_PGM_RSRC2:SCRATCH_EN: 0
; COMPUTE_PGM_RSRC2:USER_SGPR: 6
; COMPUTE_PGM_RSRC2:TRAP_HANDLER: 0
; COMPUTE_PGM_RSRC2:TGID_X_EN: 1
; COMPUTE_PGM_RSRC2:TGID_Y_EN: 0
; COMPUTE_PGM_RSRC2:TGID_Z_EN: 0
; COMPUTE_PGM_RSRC2:TIDIG_COMP_CNT: 0
; COMPUTE_PGM_RSRC3_GFX90A:ACCUM_OFFSET: 0
; COMPUTE_PGM_RSRC3_GFX90A:TG_SPLIT: 0
	.section	.text._ZN7rocprim17ROCPRIM_400000_NS6detail17trampoline_kernelINS0_13select_configILj256ELj13ELNS0_17block_load_methodE3ELS4_3ELS4_3ELNS0_20block_scan_algorithmE0ELj4294967295EEENS1_25partition_config_selectorILNS1_17partition_subalgoE4EjNS0_10empty_typeEbEEZZNS1_14partition_implILS8_4ELb0ES6_15HIP_vector_typeIjLj2EENS0_17counting_iteratorIjlEEPS9_SG_NS0_5tupleIJPjSI_NS0_16reverse_iteratorISI_EEEEENSH_IJSG_SG_SG_EEES9_SI_JZNS1_25segmented_radix_sort_implINS0_14default_configELb1EPKlPlSQ_SR_N2at6native12_GLOBAL__N_18offset_tEEE10hipError_tPvRmT1_PNSt15iterator_traitsISZ_E10value_typeET2_T3_PNS10_IS15_E10value_typeET4_jRbjT5_S1B_jjP12ihipStream_tbEUljE_ZNSN_ISO_Lb1ESQ_SR_SQ_SR_SV_EESW_SX_SY_SZ_S13_S14_S15_S18_S19_jS1A_jS1B_S1B_jjS1D_bEUljE0_EEESW_SX_SY_S15_S19_S1B_T6_T7_T9_mT8_S1D_bDpT10_ENKUlT_T0_E_clISt17integral_constantIbLb1EES1Q_IbLb0EEEEDaS1M_S1N_EUlS1M_E_NS1_11comp_targetILNS1_3genE5ELNS1_11target_archE942ELNS1_3gpuE9ELNS1_3repE0EEENS1_30default_config_static_selectorELNS0_4arch9wavefront6targetE1EEEvSZ_,"axG",@progbits,_ZN7rocprim17ROCPRIM_400000_NS6detail17trampoline_kernelINS0_13select_configILj256ELj13ELNS0_17block_load_methodE3ELS4_3ELS4_3ELNS0_20block_scan_algorithmE0ELj4294967295EEENS1_25partition_config_selectorILNS1_17partition_subalgoE4EjNS0_10empty_typeEbEEZZNS1_14partition_implILS8_4ELb0ES6_15HIP_vector_typeIjLj2EENS0_17counting_iteratorIjlEEPS9_SG_NS0_5tupleIJPjSI_NS0_16reverse_iteratorISI_EEEEENSH_IJSG_SG_SG_EEES9_SI_JZNS1_25segmented_radix_sort_implINS0_14default_configELb1EPKlPlSQ_SR_N2at6native12_GLOBAL__N_18offset_tEEE10hipError_tPvRmT1_PNSt15iterator_traitsISZ_E10value_typeET2_T3_PNS10_IS15_E10value_typeET4_jRbjT5_S1B_jjP12ihipStream_tbEUljE_ZNSN_ISO_Lb1ESQ_SR_SQ_SR_SV_EESW_SX_SY_SZ_S13_S14_S15_S18_S19_jS1A_jS1B_S1B_jjS1D_bEUljE0_EEESW_SX_SY_S15_S19_S1B_T6_T7_T9_mT8_S1D_bDpT10_ENKUlT_T0_E_clISt17integral_constantIbLb1EES1Q_IbLb0EEEEDaS1M_S1N_EUlS1M_E_NS1_11comp_targetILNS1_3genE5ELNS1_11target_archE942ELNS1_3gpuE9ELNS1_3repE0EEENS1_30default_config_static_selectorELNS0_4arch9wavefront6targetE1EEEvSZ_,comdat
	.globl	_ZN7rocprim17ROCPRIM_400000_NS6detail17trampoline_kernelINS0_13select_configILj256ELj13ELNS0_17block_load_methodE3ELS4_3ELS4_3ELNS0_20block_scan_algorithmE0ELj4294967295EEENS1_25partition_config_selectorILNS1_17partition_subalgoE4EjNS0_10empty_typeEbEEZZNS1_14partition_implILS8_4ELb0ES6_15HIP_vector_typeIjLj2EENS0_17counting_iteratorIjlEEPS9_SG_NS0_5tupleIJPjSI_NS0_16reverse_iteratorISI_EEEEENSH_IJSG_SG_SG_EEES9_SI_JZNS1_25segmented_radix_sort_implINS0_14default_configELb1EPKlPlSQ_SR_N2at6native12_GLOBAL__N_18offset_tEEE10hipError_tPvRmT1_PNSt15iterator_traitsISZ_E10value_typeET2_T3_PNS10_IS15_E10value_typeET4_jRbjT5_S1B_jjP12ihipStream_tbEUljE_ZNSN_ISO_Lb1ESQ_SR_SQ_SR_SV_EESW_SX_SY_SZ_S13_S14_S15_S18_S19_jS1A_jS1B_S1B_jjS1D_bEUljE0_EEESW_SX_SY_S15_S19_S1B_T6_T7_T9_mT8_S1D_bDpT10_ENKUlT_T0_E_clISt17integral_constantIbLb1EES1Q_IbLb0EEEEDaS1M_S1N_EUlS1M_E_NS1_11comp_targetILNS1_3genE5ELNS1_11target_archE942ELNS1_3gpuE9ELNS1_3repE0EEENS1_30default_config_static_selectorELNS0_4arch9wavefront6targetE1EEEvSZ_ ; -- Begin function _ZN7rocprim17ROCPRIM_400000_NS6detail17trampoline_kernelINS0_13select_configILj256ELj13ELNS0_17block_load_methodE3ELS4_3ELS4_3ELNS0_20block_scan_algorithmE0ELj4294967295EEENS1_25partition_config_selectorILNS1_17partition_subalgoE4EjNS0_10empty_typeEbEEZZNS1_14partition_implILS8_4ELb0ES6_15HIP_vector_typeIjLj2EENS0_17counting_iteratorIjlEEPS9_SG_NS0_5tupleIJPjSI_NS0_16reverse_iteratorISI_EEEEENSH_IJSG_SG_SG_EEES9_SI_JZNS1_25segmented_radix_sort_implINS0_14default_configELb1EPKlPlSQ_SR_N2at6native12_GLOBAL__N_18offset_tEEE10hipError_tPvRmT1_PNSt15iterator_traitsISZ_E10value_typeET2_T3_PNS10_IS15_E10value_typeET4_jRbjT5_S1B_jjP12ihipStream_tbEUljE_ZNSN_ISO_Lb1ESQ_SR_SQ_SR_SV_EESW_SX_SY_SZ_S13_S14_S15_S18_S19_jS1A_jS1B_S1B_jjS1D_bEUljE0_EEESW_SX_SY_S15_S19_S1B_T6_T7_T9_mT8_S1D_bDpT10_ENKUlT_T0_E_clISt17integral_constantIbLb1EES1Q_IbLb0EEEEDaS1M_S1N_EUlS1M_E_NS1_11comp_targetILNS1_3genE5ELNS1_11target_archE942ELNS1_3gpuE9ELNS1_3repE0EEENS1_30default_config_static_selectorELNS0_4arch9wavefront6targetE1EEEvSZ_
	.p2align	8
	.type	_ZN7rocprim17ROCPRIM_400000_NS6detail17trampoline_kernelINS0_13select_configILj256ELj13ELNS0_17block_load_methodE3ELS4_3ELS4_3ELNS0_20block_scan_algorithmE0ELj4294967295EEENS1_25partition_config_selectorILNS1_17partition_subalgoE4EjNS0_10empty_typeEbEEZZNS1_14partition_implILS8_4ELb0ES6_15HIP_vector_typeIjLj2EENS0_17counting_iteratorIjlEEPS9_SG_NS0_5tupleIJPjSI_NS0_16reverse_iteratorISI_EEEEENSH_IJSG_SG_SG_EEES9_SI_JZNS1_25segmented_radix_sort_implINS0_14default_configELb1EPKlPlSQ_SR_N2at6native12_GLOBAL__N_18offset_tEEE10hipError_tPvRmT1_PNSt15iterator_traitsISZ_E10value_typeET2_T3_PNS10_IS15_E10value_typeET4_jRbjT5_S1B_jjP12ihipStream_tbEUljE_ZNSN_ISO_Lb1ESQ_SR_SQ_SR_SV_EESW_SX_SY_SZ_S13_S14_S15_S18_S19_jS1A_jS1B_S1B_jjS1D_bEUljE0_EEESW_SX_SY_S15_S19_S1B_T6_T7_T9_mT8_S1D_bDpT10_ENKUlT_T0_E_clISt17integral_constantIbLb1EES1Q_IbLb0EEEEDaS1M_S1N_EUlS1M_E_NS1_11comp_targetILNS1_3genE5ELNS1_11target_archE942ELNS1_3gpuE9ELNS1_3repE0EEENS1_30default_config_static_selectorELNS0_4arch9wavefront6targetE1EEEvSZ_,@function
_ZN7rocprim17ROCPRIM_400000_NS6detail17trampoline_kernelINS0_13select_configILj256ELj13ELNS0_17block_load_methodE3ELS4_3ELS4_3ELNS0_20block_scan_algorithmE0ELj4294967295EEENS1_25partition_config_selectorILNS1_17partition_subalgoE4EjNS0_10empty_typeEbEEZZNS1_14partition_implILS8_4ELb0ES6_15HIP_vector_typeIjLj2EENS0_17counting_iteratorIjlEEPS9_SG_NS0_5tupleIJPjSI_NS0_16reverse_iteratorISI_EEEEENSH_IJSG_SG_SG_EEES9_SI_JZNS1_25segmented_radix_sort_implINS0_14default_configELb1EPKlPlSQ_SR_N2at6native12_GLOBAL__N_18offset_tEEE10hipError_tPvRmT1_PNSt15iterator_traitsISZ_E10value_typeET2_T3_PNS10_IS15_E10value_typeET4_jRbjT5_S1B_jjP12ihipStream_tbEUljE_ZNSN_ISO_Lb1ESQ_SR_SQ_SR_SV_EESW_SX_SY_SZ_S13_S14_S15_S18_S19_jS1A_jS1B_S1B_jjS1D_bEUljE0_EEESW_SX_SY_S15_S19_S1B_T6_T7_T9_mT8_S1D_bDpT10_ENKUlT_T0_E_clISt17integral_constantIbLb1EES1Q_IbLb0EEEEDaS1M_S1N_EUlS1M_E_NS1_11comp_targetILNS1_3genE5ELNS1_11target_archE942ELNS1_3gpuE9ELNS1_3repE0EEENS1_30default_config_static_selectorELNS0_4arch9wavefront6targetE1EEEvSZ_: ; @_ZN7rocprim17ROCPRIM_400000_NS6detail17trampoline_kernelINS0_13select_configILj256ELj13ELNS0_17block_load_methodE3ELS4_3ELS4_3ELNS0_20block_scan_algorithmE0ELj4294967295EEENS1_25partition_config_selectorILNS1_17partition_subalgoE4EjNS0_10empty_typeEbEEZZNS1_14partition_implILS8_4ELb0ES6_15HIP_vector_typeIjLj2EENS0_17counting_iteratorIjlEEPS9_SG_NS0_5tupleIJPjSI_NS0_16reverse_iteratorISI_EEEEENSH_IJSG_SG_SG_EEES9_SI_JZNS1_25segmented_radix_sort_implINS0_14default_configELb1EPKlPlSQ_SR_N2at6native12_GLOBAL__N_18offset_tEEE10hipError_tPvRmT1_PNSt15iterator_traitsISZ_E10value_typeET2_T3_PNS10_IS15_E10value_typeET4_jRbjT5_S1B_jjP12ihipStream_tbEUljE_ZNSN_ISO_Lb1ESQ_SR_SQ_SR_SV_EESW_SX_SY_SZ_S13_S14_S15_S18_S19_jS1A_jS1B_S1B_jjS1D_bEUljE0_EEESW_SX_SY_S15_S19_S1B_T6_T7_T9_mT8_S1D_bDpT10_ENKUlT_T0_E_clISt17integral_constantIbLb1EES1Q_IbLb0EEEEDaS1M_S1N_EUlS1M_E_NS1_11comp_targetILNS1_3genE5ELNS1_11target_archE942ELNS1_3gpuE9ELNS1_3repE0EEENS1_30default_config_static_selectorELNS0_4arch9wavefront6targetE1EEEvSZ_
; %bb.0:
	.section	.rodata,"a",@progbits
	.p2align	6, 0x0
	.amdhsa_kernel _ZN7rocprim17ROCPRIM_400000_NS6detail17trampoline_kernelINS0_13select_configILj256ELj13ELNS0_17block_load_methodE3ELS4_3ELS4_3ELNS0_20block_scan_algorithmE0ELj4294967295EEENS1_25partition_config_selectorILNS1_17partition_subalgoE4EjNS0_10empty_typeEbEEZZNS1_14partition_implILS8_4ELb0ES6_15HIP_vector_typeIjLj2EENS0_17counting_iteratorIjlEEPS9_SG_NS0_5tupleIJPjSI_NS0_16reverse_iteratorISI_EEEEENSH_IJSG_SG_SG_EEES9_SI_JZNS1_25segmented_radix_sort_implINS0_14default_configELb1EPKlPlSQ_SR_N2at6native12_GLOBAL__N_18offset_tEEE10hipError_tPvRmT1_PNSt15iterator_traitsISZ_E10value_typeET2_T3_PNS10_IS15_E10value_typeET4_jRbjT5_S1B_jjP12ihipStream_tbEUljE_ZNSN_ISO_Lb1ESQ_SR_SQ_SR_SV_EESW_SX_SY_SZ_S13_S14_S15_S18_S19_jS1A_jS1B_S1B_jjS1D_bEUljE0_EEESW_SX_SY_S15_S19_S1B_T6_T7_T9_mT8_S1D_bDpT10_ENKUlT_T0_E_clISt17integral_constantIbLb1EES1Q_IbLb0EEEEDaS1M_S1N_EUlS1M_E_NS1_11comp_targetILNS1_3genE5ELNS1_11target_archE942ELNS1_3gpuE9ELNS1_3repE0EEENS1_30default_config_static_selectorELNS0_4arch9wavefront6targetE1EEEvSZ_
		.amdhsa_group_segment_fixed_size 0
		.amdhsa_private_segment_fixed_size 0
		.amdhsa_kernarg_size 176
		.amdhsa_user_sgpr_count 6
		.amdhsa_user_sgpr_private_segment_buffer 1
		.amdhsa_user_sgpr_dispatch_ptr 0
		.amdhsa_user_sgpr_queue_ptr 0
		.amdhsa_user_sgpr_kernarg_segment_ptr 1
		.amdhsa_user_sgpr_dispatch_id 0
		.amdhsa_user_sgpr_flat_scratch_init 0
		.amdhsa_user_sgpr_kernarg_preload_length 0
		.amdhsa_user_sgpr_kernarg_preload_offset 0
		.amdhsa_user_sgpr_private_segment_size 0
		.amdhsa_uses_dynamic_stack 0
		.amdhsa_system_sgpr_private_segment_wavefront_offset 0
		.amdhsa_system_sgpr_workgroup_id_x 1
		.amdhsa_system_sgpr_workgroup_id_y 0
		.amdhsa_system_sgpr_workgroup_id_z 0
		.amdhsa_system_sgpr_workgroup_info 0
		.amdhsa_system_vgpr_workitem_id 0
		.amdhsa_next_free_vgpr 1
		.amdhsa_next_free_sgpr 0
		.amdhsa_accum_offset 4
		.amdhsa_reserve_vcc 0
		.amdhsa_reserve_flat_scratch 0
		.amdhsa_float_round_mode_32 0
		.amdhsa_float_round_mode_16_64 0
		.amdhsa_float_denorm_mode_32 3
		.amdhsa_float_denorm_mode_16_64 3
		.amdhsa_dx10_clamp 1
		.amdhsa_ieee_mode 1
		.amdhsa_fp16_overflow 0
		.amdhsa_tg_split 0
		.amdhsa_exception_fp_ieee_invalid_op 0
		.amdhsa_exception_fp_denorm_src 0
		.amdhsa_exception_fp_ieee_div_zero 0
		.amdhsa_exception_fp_ieee_overflow 0
		.amdhsa_exception_fp_ieee_underflow 0
		.amdhsa_exception_fp_ieee_inexact 0
		.amdhsa_exception_int_div_zero 0
	.end_amdhsa_kernel
	.section	.text._ZN7rocprim17ROCPRIM_400000_NS6detail17trampoline_kernelINS0_13select_configILj256ELj13ELNS0_17block_load_methodE3ELS4_3ELS4_3ELNS0_20block_scan_algorithmE0ELj4294967295EEENS1_25partition_config_selectorILNS1_17partition_subalgoE4EjNS0_10empty_typeEbEEZZNS1_14partition_implILS8_4ELb0ES6_15HIP_vector_typeIjLj2EENS0_17counting_iteratorIjlEEPS9_SG_NS0_5tupleIJPjSI_NS0_16reverse_iteratorISI_EEEEENSH_IJSG_SG_SG_EEES9_SI_JZNS1_25segmented_radix_sort_implINS0_14default_configELb1EPKlPlSQ_SR_N2at6native12_GLOBAL__N_18offset_tEEE10hipError_tPvRmT1_PNSt15iterator_traitsISZ_E10value_typeET2_T3_PNS10_IS15_E10value_typeET4_jRbjT5_S1B_jjP12ihipStream_tbEUljE_ZNSN_ISO_Lb1ESQ_SR_SQ_SR_SV_EESW_SX_SY_SZ_S13_S14_S15_S18_S19_jS1A_jS1B_S1B_jjS1D_bEUljE0_EEESW_SX_SY_S15_S19_S1B_T6_T7_T9_mT8_S1D_bDpT10_ENKUlT_T0_E_clISt17integral_constantIbLb1EES1Q_IbLb0EEEEDaS1M_S1N_EUlS1M_E_NS1_11comp_targetILNS1_3genE5ELNS1_11target_archE942ELNS1_3gpuE9ELNS1_3repE0EEENS1_30default_config_static_selectorELNS0_4arch9wavefront6targetE1EEEvSZ_,"axG",@progbits,_ZN7rocprim17ROCPRIM_400000_NS6detail17trampoline_kernelINS0_13select_configILj256ELj13ELNS0_17block_load_methodE3ELS4_3ELS4_3ELNS0_20block_scan_algorithmE0ELj4294967295EEENS1_25partition_config_selectorILNS1_17partition_subalgoE4EjNS0_10empty_typeEbEEZZNS1_14partition_implILS8_4ELb0ES6_15HIP_vector_typeIjLj2EENS0_17counting_iteratorIjlEEPS9_SG_NS0_5tupleIJPjSI_NS0_16reverse_iteratorISI_EEEEENSH_IJSG_SG_SG_EEES9_SI_JZNS1_25segmented_radix_sort_implINS0_14default_configELb1EPKlPlSQ_SR_N2at6native12_GLOBAL__N_18offset_tEEE10hipError_tPvRmT1_PNSt15iterator_traitsISZ_E10value_typeET2_T3_PNS10_IS15_E10value_typeET4_jRbjT5_S1B_jjP12ihipStream_tbEUljE_ZNSN_ISO_Lb1ESQ_SR_SQ_SR_SV_EESW_SX_SY_SZ_S13_S14_S15_S18_S19_jS1A_jS1B_S1B_jjS1D_bEUljE0_EEESW_SX_SY_S15_S19_S1B_T6_T7_T9_mT8_S1D_bDpT10_ENKUlT_T0_E_clISt17integral_constantIbLb1EES1Q_IbLb0EEEEDaS1M_S1N_EUlS1M_E_NS1_11comp_targetILNS1_3genE5ELNS1_11target_archE942ELNS1_3gpuE9ELNS1_3repE0EEENS1_30default_config_static_selectorELNS0_4arch9wavefront6targetE1EEEvSZ_,comdat
.Lfunc_end657:
	.size	_ZN7rocprim17ROCPRIM_400000_NS6detail17trampoline_kernelINS0_13select_configILj256ELj13ELNS0_17block_load_methodE3ELS4_3ELS4_3ELNS0_20block_scan_algorithmE0ELj4294967295EEENS1_25partition_config_selectorILNS1_17partition_subalgoE4EjNS0_10empty_typeEbEEZZNS1_14partition_implILS8_4ELb0ES6_15HIP_vector_typeIjLj2EENS0_17counting_iteratorIjlEEPS9_SG_NS0_5tupleIJPjSI_NS0_16reverse_iteratorISI_EEEEENSH_IJSG_SG_SG_EEES9_SI_JZNS1_25segmented_radix_sort_implINS0_14default_configELb1EPKlPlSQ_SR_N2at6native12_GLOBAL__N_18offset_tEEE10hipError_tPvRmT1_PNSt15iterator_traitsISZ_E10value_typeET2_T3_PNS10_IS15_E10value_typeET4_jRbjT5_S1B_jjP12ihipStream_tbEUljE_ZNSN_ISO_Lb1ESQ_SR_SQ_SR_SV_EESW_SX_SY_SZ_S13_S14_S15_S18_S19_jS1A_jS1B_S1B_jjS1D_bEUljE0_EEESW_SX_SY_S15_S19_S1B_T6_T7_T9_mT8_S1D_bDpT10_ENKUlT_T0_E_clISt17integral_constantIbLb1EES1Q_IbLb0EEEEDaS1M_S1N_EUlS1M_E_NS1_11comp_targetILNS1_3genE5ELNS1_11target_archE942ELNS1_3gpuE9ELNS1_3repE0EEENS1_30default_config_static_selectorELNS0_4arch9wavefront6targetE1EEEvSZ_, .Lfunc_end657-_ZN7rocprim17ROCPRIM_400000_NS6detail17trampoline_kernelINS0_13select_configILj256ELj13ELNS0_17block_load_methodE3ELS4_3ELS4_3ELNS0_20block_scan_algorithmE0ELj4294967295EEENS1_25partition_config_selectorILNS1_17partition_subalgoE4EjNS0_10empty_typeEbEEZZNS1_14partition_implILS8_4ELb0ES6_15HIP_vector_typeIjLj2EENS0_17counting_iteratorIjlEEPS9_SG_NS0_5tupleIJPjSI_NS0_16reverse_iteratorISI_EEEEENSH_IJSG_SG_SG_EEES9_SI_JZNS1_25segmented_radix_sort_implINS0_14default_configELb1EPKlPlSQ_SR_N2at6native12_GLOBAL__N_18offset_tEEE10hipError_tPvRmT1_PNSt15iterator_traitsISZ_E10value_typeET2_T3_PNS10_IS15_E10value_typeET4_jRbjT5_S1B_jjP12ihipStream_tbEUljE_ZNSN_ISO_Lb1ESQ_SR_SQ_SR_SV_EESW_SX_SY_SZ_S13_S14_S15_S18_S19_jS1A_jS1B_S1B_jjS1D_bEUljE0_EEESW_SX_SY_S15_S19_S1B_T6_T7_T9_mT8_S1D_bDpT10_ENKUlT_T0_E_clISt17integral_constantIbLb1EES1Q_IbLb0EEEEDaS1M_S1N_EUlS1M_E_NS1_11comp_targetILNS1_3genE5ELNS1_11target_archE942ELNS1_3gpuE9ELNS1_3repE0EEENS1_30default_config_static_selectorELNS0_4arch9wavefront6targetE1EEEvSZ_
                                        ; -- End function
	.section	.AMDGPU.csdata,"",@progbits
; Kernel info:
; codeLenInByte = 0
; NumSgprs: 4
; NumVgprs: 0
; NumAgprs: 0
; TotalNumVgprs: 0
; ScratchSize: 0
; MemoryBound: 0
; FloatMode: 240
; IeeeMode: 1
; LDSByteSize: 0 bytes/workgroup (compile time only)
; SGPRBlocks: 0
; VGPRBlocks: 0
; NumSGPRsForWavesPerEU: 4
; NumVGPRsForWavesPerEU: 1
; AccumOffset: 4
; Occupancy: 8
; WaveLimiterHint : 0
; COMPUTE_PGM_RSRC2:SCRATCH_EN: 0
; COMPUTE_PGM_RSRC2:USER_SGPR: 6
; COMPUTE_PGM_RSRC2:TRAP_HANDLER: 0
; COMPUTE_PGM_RSRC2:TGID_X_EN: 1
; COMPUTE_PGM_RSRC2:TGID_Y_EN: 0
; COMPUTE_PGM_RSRC2:TGID_Z_EN: 0
; COMPUTE_PGM_RSRC2:TIDIG_COMP_CNT: 0
; COMPUTE_PGM_RSRC3_GFX90A:ACCUM_OFFSET: 0
; COMPUTE_PGM_RSRC3_GFX90A:TG_SPLIT: 0
	.section	.text._ZN7rocprim17ROCPRIM_400000_NS6detail17trampoline_kernelINS0_13select_configILj256ELj13ELNS0_17block_load_methodE3ELS4_3ELS4_3ELNS0_20block_scan_algorithmE0ELj4294967295EEENS1_25partition_config_selectorILNS1_17partition_subalgoE4EjNS0_10empty_typeEbEEZZNS1_14partition_implILS8_4ELb0ES6_15HIP_vector_typeIjLj2EENS0_17counting_iteratorIjlEEPS9_SG_NS0_5tupleIJPjSI_NS0_16reverse_iteratorISI_EEEEENSH_IJSG_SG_SG_EEES9_SI_JZNS1_25segmented_radix_sort_implINS0_14default_configELb1EPKlPlSQ_SR_N2at6native12_GLOBAL__N_18offset_tEEE10hipError_tPvRmT1_PNSt15iterator_traitsISZ_E10value_typeET2_T3_PNS10_IS15_E10value_typeET4_jRbjT5_S1B_jjP12ihipStream_tbEUljE_ZNSN_ISO_Lb1ESQ_SR_SQ_SR_SV_EESW_SX_SY_SZ_S13_S14_S15_S18_S19_jS1A_jS1B_S1B_jjS1D_bEUljE0_EEESW_SX_SY_S15_S19_S1B_T6_T7_T9_mT8_S1D_bDpT10_ENKUlT_T0_E_clISt17integral_constantIbLb1EES1Q_IbLb0EEEEDaS1M_S1N_EUlS1M_E_NS1_11comp_targetILNS1_3genE4ELNS1_11target_archE910ELNS1_3gpuE8ELNS1_3repE0EEENS1_30default_config_static_selectorELNS0_4arch9wavefront6targetE1EEEvSZ_,"axG",@progbits,_ZN7rocprim17ROCPRIM_400000_NS6detail17trampoline_kernelINS0_13select_configILj256ELj13ELNS0_17block_load_methodE3ELS4_3ELS4_3ELNS0_20block_scan_algorithmE0ELj4294967295EEENS1_25partition_config_selectorILNS1_17partition_subalgoE4EjNS0_10empty_typeEbEEZZNS1_14partition_implILS8_4ELb0ES6_15HIP_vector_typeIjLj2EENS0_17counting_iteratorIjlEEPS9_SG_NS0_5tupleIJPjSI_NS0_16reverse_iteratorISI_EEEEENSH_IJSG_SG_SG_EEES9_SI_JZNS1_25segmented_radix_sort_implINS0_14default_configELb1EPKlPlSQ_SR_N2at6native12_GLOBAL__N_18offset_tEEE10hipError_tPvRmT1_PNSt15iterator_traitsISZ_E10value_typeET2_T3_PNS10_IS15_E10value_typeET4_jRbjT5_S1B_jjP12ihipStream_tbEUljE_ZNSN_ISO_Lb1ESQ_SR_SQ_SR_SV_EESW_SX_SY_SZ_S13_S14_S15_S18_S19_jS1A_jS1B_S1B_jjS1D_bEUljE0_EEESW_SX_SY_S15_S19_S1B_T6_T7_T9_mT8_S1D_bDpT10_ENKUlT_T0_E_clISt17integral_constantIbLb1EES1Q_IbLb0EEEEDaS1M_S1N_EUlS1M_E_NS1_11comp_targetILNS1_3genE4ELNS1_11target_archE910ELNS1_3gpuE8ELNS1_3repE0EEENS1_30default_config_static_selectorELNS0_4arch9wavefront6targetE1EEEvSZ_,comdat
	.globl	_ZN7rocprim17ROCPRIM_400000_NS6detail17trampoline_kernelINS0_13select_configILj256ELj13ELNS0_17block_load_methodE3ELS4_3ELS4_3ELNS0_20block_scan_algorithmE0ELj4294967295EEENS1_25partition_config_selectorILNS1_17partition_subalgoE4EjNS0_10empty_typeEbEEZZNS1_14partition_implILS8_4ELb0ES6_15HIP_vector_typeIjLj2EENS0_17counting_iteratorIjlEEPS9_SG_NS0_5tupleIJPjSI_NS0_16reverse_iteratorISI_EEEEENSH_IJSG_SG_SG_EEES9_SI_JZNS1_25segmented_radix_sort_implINS0_14default_configELb1EPKlPlSQ_SR_N2at6native12_GLOBAL__N_18offset_tEEE10hipError_tPvRmT1_PNSt15iterator_traitsISZ_E10value_typeET2_T3_PNS10_IS15_E10value_typeET4_jRbjT5_S1B_jjP12ihipStream_tbEUljE_ZNSN_ISO_Lb1ESQ_SR_SQ_SR_SV_EESW_SX_SY_SZ_S13_S14_S15_S18_S19_jS1A_jS1B_S1B_jjS1D_bEUljE0_EEESW_SX_SY_S15_S19_S1B_T6_T7_T9_mT8_S1D_bDpT10_ENKUlT_T0_E_clISt17integral_constantIbLb1EES1Q_IbLb0EEEEDaS1M_S1N_EUlS1M_E_NS1_11comp_targetILNS1_3genE4ELNS1_11target_archE910ELNS1_3gpuE8ELNS1_3repE0EEENS1_30default_config_static_selectorELNS0_4arch9wavefront6targetE1EEEvSZ_ ; -- Begin function _ZN7rocprim17ROCPRIM_400000_NS6detail17trampoline_kernelINS0_13select_configILj256ELj13ELNS0_17block_load_methodE3ELS4_3ELS4_3ELNS0_20block_scan_algorithmE0ELj4294967295EEENS1_25partition_config_selectorILNS1_17partition_subalgoE4EjNS0_10empty_typeEbEEZZNS1_14partition_implILS8_4ELb0ES6_15HIP_vector_typeIjLj2EENS0_17counting_iteratorIjlEEPS9_SG_NS0_5tupleIJPjSI_NS0_16reverse_iteratorISI_EEEEENSH_IJSG_SG_SG_EEES9_SI_JZNS1_25segmented_radix_sort_implINS0_14default_configELb1EPKlPlSQ_SR_N2at6native12_GLOBAL__N_18offset_tEEE10hipError_tPvRmT1_PNSt15iterator_traitsISZ_E10value_typeET2_T3_PNS10_IS15_E10value_typeET4_jRbjT5_S1B_jjP12ihipStream_tbEUljE_ZNSN_ISO_Lb1ESQ_SR_SQ_SR_SV_EESW_SX_SY_SZ_S13_S14_S15_S18_S19_jS1A_jS1B_S1B_jjS1D_bEUljE0_EEESW_SX_SY_S15_S19_S1B_T6_T7_T9_mT8_S1D_bDpT10_ENKUlT_T0_E_clISt17integral_constantIbLb1EES1Q_IbLb0EEEEDaS1M_S1N_EUlS1M_E_NS1_11comp_targetILNS1_3genE4ELNS1_11target_archE910ELNS1_3gpuE8ELNS1_3repE0EEENS1_30default_config_static_selectorELNS0_4arch9wavefront6targetE1EEEvSZ_
	.p2align	8
	.type	_ZN7rocprim17ROCPRIM_400000_NS6detail17trampoline_kernelINS0_13select_configILj256ELj13ELNS0_17block_load_methodE3ELS4_3ELS4_3ELNS0_20block_scan_algorithmE0ELj4294967295EEENS1_25partition_config_selectorILNS1_17partition_subalgoE4EjNS0_10empty_typeEbEEZZNS1_14partition_implILS8_4ELb0ES6_15HIP_vector_typeIjLj2EENS0_17counting_iteratorIjlEEPS9_SG_NS0_5tupleIJPjSI_NS0_16reverse_iteratorISI_EEEEENSH_IJSG_SG_SG_EEES9_SI_JZNS1_25segmented_radix_sort_implINS0_14default_configELb1EPKlPlSQ_SR_N2at6native12_GLOBAL__N_18offset_tEEE10hipError_tPvRmT1_PNSt15iterator_traitsISZ_E10value_typeET2_T3_PNS10_IS15_E10value_typeET4_jRbjT5_S1B_jjP12ihipStream_tbEUljE_ZNSN_ISO_Lb1ESQ_SR_SQ_SR_SV_EESW_SX_SY_SZ_S13_S14_S15_S18_S19_jS1A_jS1B_S1B_jjS1D_bEUljE0_EEESW_SX_SY_S15_S19_S1B_T6_T7_T9_mT8_S1D_bDpT10_ENKUlT_T0_E_clISt17integral_constantIbLb1EES1Q_IbLb0EEEEDaS1M_S1N_EUlS1M_E_NS1_11comp_targetILNS1_3genE4ELNS1_11target_archE910ELNS1_3gpuE8ELNS1_3repE0EEENS1_30default_config_static_selectorELNS0_4arch9wavefront6targetE1EEEvSZ_,@function
_ZN7rocprim17ROCPRIM_400000_NS6detail17trampoline_kernelINS0_13select_configILj256ELj13ELNS0_17block_load_methodE3ELS4_3ELS4_3ELNS0_20block_scan_algorithmE0ELj4294967295EEENS1_25partition_config_selectorILNS1_17partition_subalgoE4EjNS0_10empty_typeEbEEZZNS1_14partition_implILS8_4ELb0ES6_15HIP_vector_typeIjLj2EENS0_17counting_iteratorIjlEEPS9_SG_NS0_5tupleIJPjSI_NS0_16reverse_iteratorISI_EEEEENSH_IJSG_SG_SG_EEES9_SI_JZNS1_25segmented_radix_sort_implINS0_14default_configELb1EPKlPlSQ_SR_N2at6native12_GLOBAL__N_18offset_tEEE10hipError_tPvRmT1_PNSt15iterator_traitsISZ_E10value_typeET2_T3_PNS10_IS15_E10value_typeET4_jRbjT5_S1B_jjP12ihipStream_tbEUljE_ZNSN_ISO_Lb1ESQ_SR_SQ_SR_SV_EESW_SX_SY_SZ_S13_S14_S15_S18_S19_jS1A_jS1B_S1B_jjS1D_bEUljE0_EEESW_SX_SY_S15_S19_S1B_T6_T7_T9_mT8_S1D_bDpT10_ENKUlT_T0_E_clISt17integral_constantIbLb1EES1Q_IbLb0EEEEDaS1M_S1N_EUlS1M_E_NS1_11comp_targetILNS1_3genE4ELNS1_11target_archE910ELNS1_3gpuE8ELNS1_3repE0EEENS1_30default_config_static_selectorELNS0_4arch9wavefront6targetE1EEEvSZ_: ; @_ZN7rocprim17ROCPRIM_400000_NS6detail17trampoline_kernelINS0_13select_configILj256ELj13ELNS0_17block_load_methodE3ELS4_3ELS4_3ELNS0_20block_scan_algorithmE0ELj4294967295EEENS1_25partition_config_selectorILNS1_17partition_subalgoE4EjNS0_10empty_typeEbEEZZNS1_14partition_implILS8_4ELb0ES6_15HIP_vector_typeIjLj2EENS0_17counting_iteratorIjlEEPS9_SG_NS0_5tupleIJPjSI_NS0_16reverse_iteratorISI_EEEEENSH_IJSG_SG_SG_EEES9_SI_JZNS1_25segmented_radix_sort_implINS0_14default_configELb1EPKlPlSQ_SR_N2at6native12_GLOBAL__N_18offset_tEEE10hipError_tPvRmT1_PNSt15iterator_traitsISZ_E10value_typeET2_T3_PNS10_IS15_E10value_typeET4_jRbjT5_S1B_jjP12ihipStream_tbEUljE_ZNSN_ISO_Lb1ESQ_SR_SQ_SR_SV_EESW_SX_SY_SZ_S13_S14_S15_S18_S19_jS1A_jS1B_S1B_jjS1D_bEUljE0_EEESW_SX_SY_S15_S19_S1B_T6_T7_T9_mT8_S1D_bDpT10_ENKUlT_T0_E_clISt17integral_constantIbLb1EES1Q_IbLb0EEEEDaS1M_S1N_EUlS1M_E_NS1_11comp_targetILNS1_3genE4ELNS1_11target_archE910ELNS1_3gpuE8ELNS1_3repE0EEENS1_30default_config_static_selectorELNS0_4arch9wavefront6targetE1EEEvSZ_
; %bb.0:
	s_load_dwordx2 s[0:1], s[4:5], 0x68
	s_load_dword s7, s[4:5], 0x8
	s_load_dwordx2 s[56:57], s[4:5], 0x10
	s_load_dwordx4 s[44:47], s[4:5], 0x58
	s_mul_i32 s33, s6, 0xd00
	s_waitcnt lgkmcnt(0)
	v_mov_b32_e32 v3, s1
	v_mov_b32_e32 v2, s0
	s_load_dword s1, s[4:5], 0x80
	s_load_dwordx2 s[60:61], s[4:5], 0xa8
	s_load_dwordx8 s[36:43], s[4:5], 0x88
	s_load_dwordx4 s[48:51], s[46:47], 0x0
	s_waitcnt lgkmcnt(0)
	s_add_i32 s8, s1, -1
	s_mulk_i32 s1, 0xd00
	s_add_u32 s2, s56, s1
	s_addc_u32 s3, s57, 0
	s_cmp_eq_u32 s6, s8
	s_cselect_b64 s[30:31], -1, 0
	s_cmp_lg_u32 s6, s8
	v_cmp_lt_u64_e32 vcc, s[2:3], v[2:3]
	s_cselect_b64 s[2:3], -1, 0
	s_add_i32 s7, s7, s33
	s_or_b64 s[2:3], s[2:3], vcc
	s_add_i32 s7, s7, s56
	v_add_u32_e32 v1, s7, v0
	s_mov_b64 s[8:9], -1
	s_and_b64 vcc, exec, s[2:3]
	s_cbranch_vccz .LBB658_2
; %bb.1:
	v_add_u32_e32 v2, 0x100, v1
	v_lshlrev_b32_e32 v14, 2, v0
	v_add_u32_e32 v3, 0x200, v1
	v_add_u32_e32 v4, 0x300, v1
	;; [unrolled: 1-line block ×11, first 2 shown]
	ds_write2st64_b32 v14, v1, v2 offset1:4
	ds_write2st64_b32 v14, v3, v4 offset0:8 offset1:12
	ds_write2st64_b32 v14, v5, v6 offset0:16 offset1:20
	;; [unrolled: 1-line block ×5, first 2 shown]
	ds_write_b32 v14, v13 offset:12288
	s_waitcnt lgkmcnt(0)
	s_barrier
	s_mov_b64 s[8:9], 0
.LBB658_2:
	s_andn2_b64 vcc, exec, s[8:9]
	s_add_i32 s1, s1, s56
	s_cbranch_vccnz .LBB658_4
; %bb.3:
	v_add_u32_e32 v2, 0x100, v1
	v_lshlrev_b32_e32 v14, 2, v0
	v_add_u32_e32 v3, 0x200, v1
	v_add_u32_e32 v4, 0x300, v1
	;; [unrolled: 1-line block ×11, first 2 shown]
	ds_write2st64_b32 v14, v1, v2 offset1:4
	ds_write2st64_b32 v14, v3, v4 offset0:8 offset1:12
	ds_write2st64_b32 v14, v5, v6 offset0:16 offset1:20
	;; [unrolled: 1-line block ×5, first 2 shown]
	ds_write_b32 v14, v13 offset:12288
	s_waitcnt lgkmcnt(0)
	s_barrier
.LBB658_4:
	v_mul_u32_u24_e32 v31, 13, v0
	v_lshlrev_b32_e32 v1, 2, v31
	s_load_dwordx4 s[52:55], s[4:5], 0x28
	s_load_dwordx2 s[34:35], s[4:5], 0x38
	s_waitcnt lgkmcnt(0)
	ds_read2_b32 v[18:19], v1 offset1:1
	ds_read2_b32 v[16:17], v1 offset0:2 offset1:3
	ds_read2_b32 v[14:15], v1 offset0:4 offset1:5
	;; [unrolled: 1-line block ×5, first 2 shown]
	ds_read_b32 v30, v1 offset:48
	v_cndmask_b32_e64 v1, 0, 1, s[2:3]
	s_sub_i32 s7, s0, s1
	v_cmp_ne_u32_e64 s[0:1], 1, v1
	s_andn2_b64 vcc, exec, s[2:3]
	s_waitcnt lgkmcnt(0)
	s_barrier
	s_cbranch_vccnz .LBB658_32
; %bb.5:
	v_add_u32_e32 v1, s37, v18
	v_add_u32_e32 v2, s39, v18
	v_mul_lo_u32 v1, v1, s36
	v_mul_lo_u32 v2, v2, s38
	v_sub_u32_e32 v1, v1, v2
	v_cmp_lt_u32_e32 vcc, s40, v1
	v_cmp_ge_u32_e64 s[2:3], s40, v1
	s_mov_b64 s[64:65], 0
	s_mov_b64 s[62:63], 0
	s_and_saveexec_b64 s[8:9], s[2:3]
; %bb.6:
	v_add_u32_e32 v1, s42, v18
	v_add_u32_e32 v2, s60, v18
	v_mul_lo_u32 v1, v1, s41
	v_mul_lo_u32 v2, v2, s43
	v_sub_u32_e32 v1, v1, v2
	v_cmp_lt_u32_e64 s[2:3], s61, v1
	s_and_b64 s[62:63], s[2:3], exec
; %bb.7:
	s_or_b64 exec, exec, s[8:9]
	v_add_u32_e32 v1, s37, v19
	v_add_u32_e32 v2, s39, v19
	v_mul_lo_u32 v1, v1, s36
	v_mul_lo_u32 v2, v2, s38
	v_sub_u32_e32 v1, v1, v2
	v_cmp_lt_u32_e64 s[2:3], s40, v1
	v_cmp_ge_u32_e64 s[8:9], s40, v1
	s_and_saveexec_b64 s[10:11], s[8:9]
; %bb.8:
	v_add_u32_e32 v1, s42, v19
	v_add_u32_e32 v2, s60, v19
	v_mul_lo_u32 v1, v1, s41
	v_mul_lo_u32 v2, v2, s43
	v_sub_u32_e32 v1, v1, v2
	v_cmp_lt_u32_e64 s[8:9], s61, v1
	s_and_b64 s[64:65], s[8:9], exec
; %bb.9:
	s_or_b64 exec, exec, s[10:11]
	v_add_u32_e32 v1, s37, v16
	v_add_u32_e32 v2, s39, v16
	v_mul_lo_u32 v1, v1, s36
	v_mul_lo_u32 v2, v2, s38
	v_sub_u32_e32 v1, v1, v2
	v_cmp_lt_u32_e64 s[26:27], s40, v1
	v_cmp_ge_u32_e64 s[8:9], s40, v1
	s_mov_b64 s[68:69], 0
	s_mov_b64 s[66:67], 0
	s_and_saveexec_b64 s[10:11], s[8:9]
; %bb.10:
	v_add_u32_e32 v1, s42, v16
	v_add_u32_e32 v2, s60, v16
	v_mul_lo_u32 v1, v1, s41
	v_mul_lo_u32 v2, v2, s43
	v_sub_u32_e32 v1, v1, v2
	v_cmp_lt_u32_e64 s[8:9], s61, v1
	s_and_b64 s[66:67], s[8:9], exec
; %bb.11:
	s_or_b64 exec, exec, s[10:11]
	v_add_u32_e32 v1, s37, v17
	v_add_u32_e32 v2, s39, v17
	v_mul_lo_u32 v1, v1, s36
	v_mul_lo_u32 v2, v2, s38
	v_sub_u32_e32 v1, v1, v2
	v_cmp_lt_u32_e64 s[8:9], s40, v1
	v_cmp_ge_u32_e64 s[10:11], s40, v1
	s_and_saveexec_b64 s[12:13], s[10:11]
; %bb.12:
	v_add_u32_e32 v1, s42, v17
	v_add_u32_e32 v2, s60, v17
	v_mul_lo_u32 v1, v1, s41
	v_mul_lo_u32 v2, v2, s43
	v_sub_u32_e32 v1, v1, v2
	v_cmp_lt_u32_e64 s[10:11], s61, v1
	s_and_b64 s[68:69], s[10:11], exec
; %bb.13:
	s_or_b64 exec, exec, s[12:13]
	v_add_u32_e32 v1, s37, v14
	v_add_u32_e32 v2, s39, v14
	v_mul_lo_u32 v1, v1, s36
	v_mul_lo_u32 v2, v2, s38
	v_sub_u32_e32 v1, v1, v2
	v_cmp_lt_u32_e64 s[10:11], s40, v1
	;; [unrolled: 38-line block ×5, first 2 shown]
	v_cmp_ge_u32_e64 s[24:25], s40, v1
	s_mov_b64 s[84:85], 0
	s_mov_b64 s[86:87], 0
	s_and_saveexec_b64 s[28:29], s[24:25]
; %bb.26:
	v_add_u32_e32 v1, s42, v8
	v_add_u32_e32 v2, s60, v8
	v_mul_lo_u32 v1, v1, s41
	v_mul_lo_u32 v2, v2, s43
	v_sub_u32_e32 v1, v1, v2
	v_cmp_lt_u32_e64 s[24:25], s61, v1
	s_and_b64 s[86:87], s[24:25], exec
; %bb.27:
	s_or_b64 exec, exec, s[28:29]
	v_add_u32_e32 v1, s37, v9
	v_add_u32_e32 v2, s39, v9
	v_mul_lo_u32 v1, v1, s36
	v_mul_lo_u32 v2, v2, s38
	v_sub_u32_e32 v1, v1, v2
	v_cmp_lt_u32_e64 s[24:25], s40, v1
	v_cmp_ge_u32_e64 s[28:29], s40, v1
	s_and_saveexec_b64 s[46:47], s[28:29]
; %bb.28:
	v_add_u32_e32 v1, s42, v9
	v_add_u32_e32 v2, s60, v9
	v_mul_lo_u32 v1, v1, s41
	v_mul_lo_u32 v2, v2, s43
	v_sub_u32_e32 v1, v1, v2
	v_cmp_lt_u32_e64 s[28:29], s61, v1
	s_and_b64 s[84:85], s[28:29], exec
; %bb.29:
	s_or_b64 exec, exec, s[46:47]
	v_add_u32_e32 v1, s37, v30
	v_add_u32_e32 v2, s39, v30
	v_mul_lo_u32 v1, v1, s36
	v_mul_lo_u32 v2, v2, s38
	v_sub_u32_e32 v1, v1, v2
	v_cmp_ge_u32_e64 s[28:29], s40, v1
	s_mov_b64 s[46:47], -1
	s_mov_b64 s[78:79], 0
	s_mov_b64 s[58:59], 0
	s_and_saveexec_b64 s[88:89], s[28:29]
; %bb.30:
	v_add_u32_e32 v1, s42, v30
	v_add_u32_e32 v2, s60, v30
	v_mul_lo_u32 v1, v1, s41
	v_mul_lo_u32 v2, v2, s43
	v_sub_u32_e32 v1, v1, v2
	v_cmp_lt_u32_e64 s[28:29], s61, v1
	s_and_b64 s[58:59], s[28:29], exec
	s_xor_b64 s[46:47], exec, -1
; %bb.31:
	s_or_b64 exec, exec, s[88:89]
	v_cndmask_b32_e64 v52, 0, 1, s[86:87]
	v_cndmask_b32_e64 v55, 0, 1, s[24:25]
	;; [unrolled: 1-line block ×22, first 2 shown]
	v_cndmask_b32_e64 v32, 0, 1, vcc
	v_cndmask_b32_e64 v54, 0, 1, s[84:85]
	s_load_dwordx2 s[12:13], s[4:5], 0x78
	s_add_i32 s18, s7, 0xd00
	s_and_b64 vcc, exec, s[78:79]
	s_cbranch_vccnz .LBB658_33
	s_branch .LBB658_86
.LBB658_32:
                                        ; implicit-def: $sgpr46_sgpr47
                                        ; implicit-def: $sgpr58_sgpr59
                                        ; implicit-def: $vgpr54
                                        ; implicit-def: $vgpr52
                                        ; implicit-def: $vgpr50
                                        ; implicit-def: $vgpr48
                                        ; implicit-def: $vgpr46
                                        ; implicit-def: $vgpr44
                                        ; implicit-def: $vgpr42
                                        ; implicit-def: $vgpr40
                                        ; implicit-def: $vgpr38
                                        ; implicit-def: $vgpr32
                                        ; implicit-def: $vgpr34
                                        ; implicit-def: $vgpr36
                                        ; implicit-def: $vgpr39
                                        ; implicit-def: $vgpr41
                                        ; implicit-def: $vgpr43
                                        ; implicit-def: $vgpr45
                                        ; implicit-def: $vgpr47
                                        ; implicit-def: $vgpr49
                                        ; implicit-def: $vgpr51
                                        ; implicit-def: $vgpr53
                                        ; implicit-def: $vgpr55
                                        ; implicit-def: $vgpr33
                                        ; implicit-def: $vgpr35
                                        ; implicit-def: $vgpr37
	s_load_dwordx2 s[12:13], s[4:5], 0x78
	s_add_i32 s18, s7, 0xd00
	s_cbranch_execz .LBB658_86
.LBB658_33:
	v_cmp_gt_u32_e32 vcc, s18, v31
	v_mov_b32_e32 v33, 0
	v_mov_b32_e32 v32, 0
	s_and_saveexec_b64 s[4:5], vcc
	s_cbranch_execz .LBB658_37
; %bb.34:
	v_add_u32_e32 v1, s37, v18
	v_add_u32_e32 v2, s39, v18
	v_mul_lo_u32 v1, v1, s36
	v_mul_lo_u32 v2, v2, s38
	v_sub_u32_e32 v1, v1, v2
	v_cmp_lt_u32_e32 vcc, s40, v1
	v_cmp_ge_u32_e64 s[2:3], s40, v1
	s_mov_b64 s[10:11], 0
	s_and_saveexec_b64 s[8:9], s[2:3]
; %bb.35:
	v_add_u32_e32 v1, s42, v18
	v_add_u32_e32 v2, s60, v18
	v_mul_lo_u32 v1, v1, s41
	v_mul_lo_u32 v2, v2, s43
	v_sub_u32_e32 v1, v1, v2
	v_cmp_lt_u32_e64 s[2:3], s61, v1
	s_and_b64 s[10:11], s[2:3], exec
; %bb.36:
	s_or_b64 exec, exec, s[8:9]
	v_cndmask_b32_e64 v32, 0, 1, vcc
	v_cndmask_b32_e64 v33, 0, 1, s[10:11]
.LBB658_37:
	s_or_b64 exec, exec, s[4:5]
	v_add_u32_e32 v1, 1, v31
	v_cmp_gt_u32_e32 vcc, s18, v1
	v_mov_b32_e32 v34, 0
	v_mov_b32_e32 v35, 0
	s_and_saveexec_b64 s[4:5], vcc
	s_cbranch_execz .LBB658_41
; %bb.38:
	v_add_u32_e32 v1, s37, v19
	v_add_u32_e32 v2, s39, v19
	v_mul_lo_u32 v1, v1, s36
	v_mul_lo_u32 v2, v2, s38
	v_sub_u32_e32 v1, v1, v2
	v_cmp_lt_u32_e32 vcc, s40, v1
	v_cmp_ge_u32_e64 s[2:3], s40, v1
	s_mov_b64 s[10:11], 0
	s_and_saveexec_b64 s[8:9], s[2:3]
; %bb.39:
	v_add_u32_e32 v1, s42, v19
	v_add_u32_e32 v2, s60, v19
	v_mul_lo_u32 v1, v1, s41
	v_mul_lo_u32 v2, v2, s43
	v_sub_u32_e32 v1, v1, v2
	v_cmp_lt_u32_e64 s[2:3], s61, v1
	s_and_b64 s[10:11], s[2:3], exec
; %bb.40:
	s_or_b64 exec, exec, s[8:9]
	v_cndmask_b32_e64 v34, 0, 1, vcc
	v_cndmask_b32_e64 v35, 0, 1, s[10:11]
.LBB658_41:
	s_or_b64 exec, exec, s[4:5]
	v_add_u32_e32 v1, 2, v31
	;; [unrolled: 30-line block ×12, first 2 shown]
	v_cmp_gt_u32_e32 vcc, s18, v1
	s_mov_b64 s[46:47], 0
	s_mov_b64 s[58:59], 0
	s_and_saveexec_b64 s[2:3], vcc
	s_cbranch_execz .LBB658_85
; %bb.82:
	v_add_u32_e32 v1, s37, v30
	v_add_u32_e32 v2, s39, v30
	v_mul_lo_u32 v1, v1, s36
	v_mul_lo_u32 v2, v2, s38
	v_sub_u32_e32 v1, v1, v2
	v_cmp_ge_u32_e32 vcc, s40, v1
	s_mov_b64 s[8:9], -1
	s_mov_b64 s[10:11], 0
	s_and_saveexec_b64 s[4:5], vcc
; %bb.83:
	v_add_u32_e32 v1, s42, v30
	v_add_u32_e32 v2, s60, v30
	v_mul_lo_u32 v1, v1, s41
	v_mul_lo_u32 v2, v2, s43
	v_sub_u32_e32 v1, v1, v2
	v_cmp_lt_u32_e32 vcc, s61, v1
	s_and_b64 s[10:11], vcc, exec
	s_xor_b64 s[8:9], exec, -1
; %bb.84:
	s_or_b64 exec, exec, s[4:5]
	s_and_b64 s[58:59], s[10:11], exec
	s_and_b64 s[46:47], s[8:9], exec
.LBB658_85:
	s_or_b64 exec, exec, s[2:3]
.LBB658_86:
	v_and_b32_e32 v63, 0xff, v33
	v_and_b32_e32 v74, 0xff, v35
	;; [unrolled: 1-line block ×5, first 2 shown]
	v_add3_u32 v2, v74, v65, v63
	v_and_b32_e32 v76, 0xff, v42
	v_and_b32_e32 v69, 0xff, v44
	v_add3_u32 v2, v2, v75, v67
	v_and_b32_e32 v62, 0xff, v32
	v_and_b32_e32 v56, 0xff, v34
	v_and_b32_e32 v64, 0xff, v36
	v_and_b32_e32 v77, 0xff, v46
	v_and_b32_e32 v71, 0xff, v48
	v_add3_u32 v2, v2, v76, v69
	v_and_b32_e32 v57, 0xff, v39
	v_and_b32_e32 v66, 0xff, v41
	;; [unrolled: 1-line block ×4, first 2 shown]
	v_add3_u32 v3, v56, v64, v62
	v_add3_u32 v2, v2, v77, v71
	v_and_b32_e32 v58, 0xff, v43
	v_and_b32_e32 v68, 0xff, v45
	;; [unrolled: 1-line block ×3, first 2 shown]
	v_cndmask_b32_e64 v1, 0, 1, s[58:59]
	v_add3_u32 v3, v3, v57, v66
	v_add3_u32 v2, v2, v78, v73
	v_and_b32_e32 v59, 0xff, v47
	v_and_b32_e32 v70, 0xff, v49
	v_add3_u32 v3, v3, v58, v68
	v_add3_u32 v86, v2, v79, v1
	v_mbcnt_lo_u32_b32 v1, -1, 0
	v_and_b32_e32 v60, 0xff, v51
	v_and_b32_e32 v72, 0xff, v53
	v_add3_u32 v3, v3, v59, v70
	v_mbcnt_hi_u32_b32 v80, -1, v1
	v_and_b32_e32 v61, 0xff, v55
	v_add3_u32 v3, v3, v60, v72
	v_cndmask_b32_e64 v4, 0, 1, s[46:47]
	v_and_b32_e32 v84, 15, v80
	s_cmp_lg_u32 s6, 0
	v_add3_u32 v85, v3, v61, v4
	v_cmp_eq_u32_e64 s[4:5], 0, v84
	v_cmp_lt_u32_e64 s[2:3], 1, v84
	v_cmp_lt_u32_e64 s[8:9], 3, v84
	;; [unrolled: 1-line block ×3, first 2 shown]
	v_and_b32_e32 v83, 16, v80
	v_cmp_lt_u32_e32 vcc, 31, v80
	v_lshrrev_b32_e32 v81, 6, v0
	v_or_b32_e32 v82, 63, v0
	s_cbranch_scc0 .LBB658_119
; %bb.87:
	v_mov_b32_dpp v1, v85 row_shr:1 row_mask:0xf bank_mask:0xf
	v_mov_b32_dpp v2, v86 row_shr:1 row_mask:0xf bank_mask:0xf
	v_add_u32_e32 v1, v1, v85
	v_add_u32_e32 v2, v2, v86
	v_cndmask_b32_e64 v2, v2, v86, s[4:5]
	v_cndmask_b32_e64 v1, v1, v85, s[4:5]
	s_nop 0
	v_mov_b32_dpp v4, v2 row_shr:2 row_mask:0xf bank_mask:0xf
	v_mov_b32_dpp v3, v1 row_shr:2 row_mask:0xf bank_mask:0xf
	v_add_u32_e32 v3, v1, v3
	v_add_u32_e32 v4, v2, v4
	v_cndmask_b32_e64 v2, v2, v4, s[2:3]
	v_cndmask_b32_e64 v1, v1, v3, s[2:3]
	s_nop 0
	v_mov_b32_dpp v4, v2 row_shr:4 row_mask:0xf bank_mask:0xf
	v_mov_b32_dpp v3, v1 row_shr:4 row_mask:0xf bank_mask:0xf
	v_add_u32_e32 v3, v1, v3
	v_add_u32_e32 v4, v2, v4
	v_cndmask_b32_e64 v2, v2, v4, s[8:9]
	v_cndmask_b32_e64 v1, v1, v3, s[8:9]
	v_cmp_eq_u32_e64 s[8:9], 0, v83
	v_mov_b32_dpp v4, v2 row_shr:8 row_mask:0xf bank_mask:0xf
	v_mov_b32_dpp v3, v1 row_shr:8 row_mask:0xf bank_mask:0xf
	v_add_u32_e32 v3, v1, v3
	v_add_u32_e32 v4, v2, v4
	v_cndmask_b32_e64 v2, v2, v4, s[10:11]
	v_cndmask_b32_e64 v1, v1, v3, s[10:11]
	s_nop 0
	v_mov_b32_dpp v4, v2 row_bcast:15 row_mask:0xf bank_mask:0xf
	v_mov_b32_dpp v3, v1 row_bcast:15 row_mask:0xf bank_mask:0xf
	v_add_u32_e32 v3, v1, v3
	v_add_u32_e32 v4, v2, v4
	v_cndmask_b32_e64 v2, v4, v2, s[8:9]
	v_cndmask_b32_e64 v1, v3, v1, s[8:9]
	s_nop 0
	v_mov_b32_dpp v4, v2 row_bcast:31 row_mask:0xf bank_mask:0xf
	v_mov_b32_dpp v3, v1 row_bcast:31 row_mask:0xf bank_mask:0xf
	v_add_u32_e32 v4, v2, v4
	v_add_u32_e32 v5, v1, v3
	v_cndmask_b32_e32 v3, v2, v4, vcc
	v_cndmask_b32_e32 v2, v1, v5, vcc
	v_cmp_eq_u32_e32 vcc, v82, v0
	s_and_saveexec_b64 s[8:9], vcc
	s_cbranch_execz .LBB658_89
; %bb.88:
	v_lshlrev_b32_e32 v1, 3, v81
	ds_write_b64 v1, v[2:3]
.LBB658_89:
	s_or_b64 exec, exec, s[8:9]
	v_cmp_gt_u32_e32 vcc, 4, v0
	s_waitcnt lgkmcnt(0)
	s_barrier
	s_and_saveexec_b64 s[8:9], vcc
	s_cbranch_execz .LBB658_91
; %bb.90:
	v_lshlrev_b32_e32 v1, 3, v0
	ds_read_b64 v[4:5], v1
	v_and_b32_e32 v6, 3, v80
	v_cmp_eq_u32_e32 vcc, 0, v6
	s_waitcnt lgkmcnt(0)
	v_mov_b32_dpp v7, v4 row_shr:1 row_mask:0xf bank_mask:0xf
	v_mov_b32_dpp v20, v5 row_shr:1 row_mask:0xf bank_mask:0xf
	v_add_u32_e32 v7, v7, v4
	v_add_u32_e32 v20, v20, v5
	v_cndmask_b32_e32 v5, v20, v5, vcc
	v_cndmask_b32_e32 v4, v7, v4, vcc
	v_cmp_lt_u32_e32 vcc, 1, v6
	v_mov_b32_dpp v20, v5 row_shr:2 row_mask:0xf bank_mask:0xf
	v_mov_b32_dpp v7, v4 row_shr:2 row_mask:0xf bank_mask:0xf
	v_cndmask_b32_e32 v6, 0, v7, vcc
	v_cndmask_b32_e32 v7, 0, v20, vcc
	v_add_u32_e32 v5, v7, v5
	v_add_u32_e32 v4, v6, v4
	ds_write_b64 v1, v[4:5]
.LBB658_91:
	s_or_b64 exec, exec, s[8:9]
	v_cmp_gt_u32_e32 vcc, 64, v0
	v_cmp_lt_u32_e64 s[8:9], 63, v0
	s_waitcnt lgkmcnt(0)
	s_barrier
	s_waitcnt lgkmcnt(0)
                                        ; implicit-def: $vgpr21
	s_and_saveexec_b64 s[10:11], s[8:9]
	s_xor_b64 s[8:9], exec, s[10:11]
	s_cbranch_execz .LBB658_93
; %bb.92:
	v_lshl_add_u32 v1, v81, 3, -8
	ds_read_b64 v[20:21], v1
	s_waitcnt lgkmcnt(0)
	v_add_u32_e32 v3, v21, v3
	v_add_u32_e32 v2, v20, v2
.LBB658_93:
	s_andn2_saveexec_b64 s[8:9], s[8:9]
; %bb.94:
                                        ; implicit-def: $vgpr20
; %bb.95:
	s_or_b64 exec, exec, s[8:9]
	v_add_u32_e32 v1, -1, v80
	v_and_b32_e32 v4, 64, v80
	v_cmp_lt_i32_e64 s[8:9], v1, v4
	v_cndmask_b32_e64 v1, v1, v80, s[8:9]
	v_lshlrev_b32_e32 v4, 2, v1
	ds_bpermute_b32 v1, v4, v2
	ds_bpermute_b32 v87, v4, v3
	v_cmp_eq_u32_e64 s[8:9], 0, v80
	s_and_saveexec_b64 s[10:11], vcc
	s_cbranch_execz .LBB658_118
; %bb.96:
	v_mov_b32_e32 v7, 0
	ds_read_b64 v[22:23], v7 offset:24
	s_and_saveexec_b64 s[14:15], s[8:9]
	s_cbranch_execz .LBB658_98
; %bb.97:
	s_add_i32 s16, s6, 64
	s_mov_b32 s17, 0
	s_lshl_b64 s[16:17], s[16:17], 4
	s_waitcnt lgkmcnt(0)
	v_and_b32_e32 v2, 0xff000000, v23
	v_and_b32_e32 v3, 0xff0000, v23
	s_add_u32 s16, s12, s16
	v_or_b32_e32 v2, v3, v2
	v_and_b32_e32 v3, 0xff00, v23
	s_addc_u32 s17, s13, s17
	v_or_b32_e32 v2, v2, v3
	v_or_b32_sdwa v5, v2, v23 dst_sel:DWORD dst_unused:UNUSED_PAD src0_sel:DWORD src1_sel:BYTE_0
	v_mov_b32_e32 v6, 1
	v_mov_b32_e32 v4, v22
	v_pk_mov_b32 v[2:3], s[16:17], s[16:17] op_sel:[0,1]
	;;#ASMSTART
	global_store_dwordx4 v[2:3], v[4:7] off	
s_waitcnt vmcnt(0)
	;;#ASMEND
.LBB658_98:
	s_or_b64 exec, exec, s[14:15]
	v_xad_u32 v24, v80, -1, s6
	v_add_u32_e32 v6, 64, v24
	v_lshlrev_b64 v[2:3], 4, v[6:7]
	v_mov_b32_e32 v4, s13
	v_add_co_u32_e32 v26, vcc, s12, v2
	v_addc_co_u32_e32 v27, vcc, v4, v3, vcc
	;;#ASMSTART
	global_load_dwordx4 v[2:5], v[26:27] off glc	
s_waitcnt vmcnt(0)
	;;#ASMEND
	v_and_b32_e32 v5, 0xff, v3
	v_and_b32_e32 v6, 0xff00, v3
	v_or3_b32 v5, 0, v5, v6
	v_or3_b32 v2, v2, 0, 0
	v_and_b32_e32 v6, 0xff000000, v3
	v_and_b32_e32 v3, 0xff0000, v3
	v_or3_b32 v3, v5, v3, v6
	v_or3_b32 v2, v2, 0, 0
	v_cmp_eq_u16_sdwa s[16:17], v4, v7 src0_sel:BYTE_0 src1_sel:DWORD
	s_and_saveexec_b64 s[14:15], s[16:17]
	s_cbranch_execz .LBB658_104
; %bb.99:
	s_mov_b32 s7, 1
	s_mov_b64 s[16:17], 0
	v_mov_b32_e32 v6, 0
.LBB658_100:                            ; =>This Loop Header: Depth=1
                                        ;     Child Loop BB658_101 Depth 2
	s_max_u32 s19, s7, 1
.LBB658_101:                            ;   Parent Loop BB658_100 Depth=1
                                        ; =>  This Inner Loop Header: Depth=2
	s_add_i32 s19, s19, -1
	s_cmp_eq_u32 s19, 0
	s_sleep 1
	s_cbranch_scc0 .LBB658_101
; %bb.102:                              ;   in Loop: Header=BB658_100 Depth=1
	s_cmp_lt_u32 s7, 32
	s_cselect_b64 s[20:21], -1, 0
	s_cmp_lg_u64 s[20:21], 0
	s_addc_u32 s7, s7, 0
	;;#ASMSTART
	global_load_dwordx4 v[2:5], v[26:27] off glc	
s_waitcnt vmcnt(0)
	;;#ASMEND
	v_cmp_ne_u16_sdwa s[20:21], v4, v6 src0_sel:BYTE_0 src1_sel:DWORD
	s_or_b64 s[16:17], s[20:21], s[16:17]
	s_andn2_b64 exec, exec, s[16:17]
	s_cbranch_execnz .LBB658_100
; %bb.103:
	s_or_b64 exec, exec, s[16:17]
.LBB658_104:
	s_or_b64 exec, exec, s[14:15]
	v_and_b32_e32 v89, 63, v80
	v_cmp_ne_u32_e32 vcc, 63, v89
	v_mov_b32_e32 v88, 2
	v_addc_co_u32_e32 v26, vcc, 0, v80, vcc
	v_cmp_eq_u16_sdwa s[14:15], v4, v88 src0_sel:BYTE_0 src1_sel:DWORD
	v_lshlrev_b64 v[6:7], v80, -1
	v_lshlrev_b32_e32 v90, 2, v26
	v_and_b32_e32 v5, s15, v7
	ds_bpermute_b32 v26, v90, v2
	ds_bpermute_b32 v27, v90, v3
	v_or_b32_e32 v5, 0x80000000, v5
	v_and_b32_e32 v25, s14, v6
	v_ffbl_b32_e32 v5, v5
	v_add_u32_e32 v5, 32, v5
	v_ffbl_b32_e32 v25, v25
	v_min_u32_e32 v5, v25, v5
	s_waitcnt lgkmcnt(1)
	v_add_u32_e32 v25, v26, v2
	s_waitcnt lgkmcnt(0)
	v_add_u32_e32 v26, v27, v3
	v_cmp_lt_u32_e32 vcc, v89, v5
	v_cndmask_b32_e32 v3, v3, v26, vcc
	v_cndmask_b32_e32 v2, v2, v25, vcc
	v_cmp_gt_u32_e32 vcc, 62, v89
	v_cndmask_b32_e64 v25, 0, 1, vcc
	v_lshlrev_b32_e32 v25, 1, v25
	v_add_lshl_u32 v91, v25, v80, 2
	ds_bpermute_b32 v25, v91, v2
	ds_bpermute_b32 v26, v91, v3
	v_add_u32_e32 v92, 2, v89
	v_cmp_gt_u32_e32 vcc, v92, v5
	v_add_u32_e32 v94, 4, v89
	s_waitcnt lgkmcnt(1)
	v_add_u32_e32 v25, v2, v25
	s_waitcnt lgkmcnt(0)
	v_add_u32_e32 v26, v3, v26
	v_cndmask_b32_e32 v3, v26, v3, vcc
	v_cndmask_b32_e32 v2, v25, v2, vcc
	v_cmp_gt_u32_e32 vcc, 60, v89
	v_cndmask_b32_e64 v25, 0, 1, vcc
	v_lshlrev_b32_e32 v25, 2, v25
	v_add_lshl_u32 v93, v25, v80, 2
	ds_bpermute_b32 v25, v93, v2
	ds_bpermute_b32 v26, v93, v3
	v_cmp_gt_u32_e32 vcc, v94, v5
	v_add_u32_e32 v96, 8, v89
	v_add_u32_e32 v98, 16, v89
	s_waitcnt lgkmcnt(1)
	v_add_u32_e32 v25, v2, v25
	s_waitcnt lgkmcnt(0)
	v_add_u32_e32 v26, v3, v26
	v_cndmask_b32_e32 v3, v26, v3, vcc
	v_cndmask_b32_e32 v2, v25, v2, vcc
	v_cmp_gt_u32_e32 vcc, 56, v89
	v_cndmask_b32_e64 v25, 0, 1, vcc
	v_lshlrev_b32_e32 v25, 3, v25
	v_add_lshl_u32 v95, v25, v80, 2
	ds_bpermute_b32 v25, v95, v2
	ds_bpermute_b32 v26, v95, v3
	v_cmp_gt_u32_e32 vcc, v96, v5
	v_add_u32_e32 v100, 32, v89
	s_waitcnt lgkmcnt(1)
	v_add_u32_e32 v25, v2, v25
	s_waitcnt lgkmcnt(0)
	v_add_u32_e32 v26, v3, v26
	v_cndmask_b32_e32 v3, v26, v3, vcc
	v_cndmask_b32_e32 v2, v25, v2, vcc
	v_cmp_gt_u32_e32 vcc, 48, v89
	v_cndmask_b32_e64 v25, 0, 1, vcc
	v_lshlrev_b32_e32 v25, 4, v25
	v_add_lshl_u32 v97, v25, v80, 2
	ds_bpermute_b32 v25, v97, v2
	ds_bpermute_b32 v26, v97, v3
	v_cmp_gt_u32_e32 vcc, v98, v5
	s_waitcnt lgkmcnt(1)
	v_add_u32_e32 v25, v2, v25
	s_waitcnt lgkmcnt(0)
	v_add_u32_e32 v26, v3, v26
	v_cndmask_b32_e32 v3, v26, v3, vcc
	v_cndmask_b32_e32 v2, v25, v2, vcc
	v_cmp_gt_u32_e32 vcc, 32, v89
	v_cndmask_b32_e64 v25, 0, 1, vcc
	v_lshlrev_b32_e32 v25, 5, v25
	v_add_lshl_u32 v99, v25, v80, 2
	ds_bpermute_b32 v25, v99, v2
	ds_bpermute_b32 v26, v99, v3
	v_cmp_le_u32_e32 vcc, v100, v5
	s_waitcnt lgkmcnt(1)
	v_cndmask_b32_e32 v5, 0, v25, vcc
	s_waitcnt lgkmcnt(0)
	v_cndmask_b32_e32 v25, 0, v26, vcc
	v_add_u32_e32 v3, v3, v25
	v_add_u32_e32 v2, v2, v5
	v_mov_b32_e32 v25, 0
	s_branch .LBB658_106
.LBB658_105:                            ;   in Loop: Header=BB658_106 Depth=1
	s_or_b64 exec, exec, s[14:15]
	v_cmp_eq_u16_sdwa s[14:15], v4, v88 src0_sel:BYTE_0 src1_sel:DWORD
	v_and_b32_e32 v5, s15, v7
	ds_bpermute_b32 v29, v90, v2
	ds_bpermute_b32 v101, v90, v3
	v_or_b32_e32 v5, 0x80000000, v5
	v_and_b32_e32 v28, s14, v6
	v_ffbl_b32_e32 v5, v5
	v_add_u32_e32 v5, 32, v5
	v_ffbl_b32_e32 v28, v28
	v_min_u32_e32 v5, v28, v5
	s_waitcnt lgkmcnt(1)
	v_add_u32_e32 v28, v29, v2
	s_waitcnt lgkmcnt(0)
	v_add_u32_e32 v29, v101, v3
	v_cmp_lt_u32_e32 vcc, v89, v5
	v_cndmask_b32_e32 v3, v3, v29, vcc
	v_cndmask_b32_e32 v2, v2, v28, vcc
	ds_bpermute_b32 v28, v91, v2
	ds_bpermute_b32 v29, v91, v3
	v_cmp_gt_u32_e32 vcc, v92, v5
	v_subrev_u32_e32 v24, 64, v24
	s_waitcnt lgkmcnt(1)
	v_add_u32_e32 v28, v2, v28
	s_waitcnt lgkmcnt(0)
	v_add_u32_e32 v29, v3, v29
	v_cndmask_b32_e32 v3, v29, v3, vcc
	v_cndmask_b32_e32 v2, v28, v2, vcc
	ds_bpermute_b32 v28, v93, v2
	ds_bpermute_b32 v29, v93, v3
	v_cmp_gt_u32_e32 vcc, v94, v5
	s_waitcnt lgkmcnt(1)
	v_add_u32_e32 v28, v2, v28
	s_waitcnt lgkmcnt(0)
	v_add_u32_e32 v29, v3, v29
	v_cndmask_b32_e32 v3, v29, v3, vcc
	v_cndmask_b32_e32 v2, v28, v2, vcc
	ds_bpermute_b32 v28, v95, v2
	ds_bpermute_b32 v29, v95, v3
	v_cmp_gt_u32_e32 vcc, v96, v5
	s_waitcnt lgkmcnt(1)
	v_add_u32_e32 v28, v2, v28
	s_waitcnt lgkmcnt(0)
	v_add_u32_e32 v29, v3, v29
	v_cndmask_b32_e32 v3, v29, v3, vcc
	v_cndmask_b32_e32 v2, v28, v2, vcc
	ds_bpermute_b32 v28, v97, v2
	ds_bpermute_b32 v29, v97, v3
	v_cmp_gt_u32_e32 vcc, v98, v5
	s_waitcnt lgkmcnt(1)
	v_add_u32_e32 v28, v2, v28
	s_waitcnt lgkmcnt(0)
	v_add_u32_e32 v29, v3, v29
	v_cndmask_b32_e32 v3, v29, v3, vcc
	v_cndmask_b32_e32 v2, v28, v2, vcc
	ds_bpermute_b32 v28, v99, v2
	ds_bpermute_b32 v29, v99, v3
	v_cmp_le_u32_e32 vcc, v100, v5
	s_waitcnt lgkmcnt(1)
	v_cndmask_b32_e32 v5, 0, v28, vcc
	s_waitcnt lgkmcnt(0)
	v_cndmask_b32_e32 v28, 0, v29, vcc
	v_add3_u32 v3, v28, v27, v3
	v_add3_u32 v2, v5, v26, v2
.LBB658_106:                            ; =>This Loop Header: Depth=1
                                        ;     Child Loop BB658_109 Depth 2
                                        ;       Child Loop BB658_110 Depth 3
	v_cmp_ne_u16_sdwa s[14:15], v4, v88 src0_sel:BYTE_0 src1_sel:DWORD
	v_cndmask_b32_e64 v4, 0, 1, s[14:15]
	;;#ASMSTART
	;;#ASMEND
	v_cmp_ne_u32_e32 vcc, 0, v4
	s_cmp_lg_u64 vcc, exec
	v_pk_mov_b32 v[26:27], v[2:3], v[2:3] op_sel:[0,1]
	s_cbranch_scc1 .LBB658_113
; %bb.107:                              ;   in Loop: Header=BB658_106 Depth=1
	v_lshlrev_b64 v[2:3], 4, v[24:25]
	v_mov_b32_e32 v4, s13
	v_add_co_u32_e32 v28, vcc, s12, v2
	v_addc_co_u32_e32 v29, vcc, v4, v3, vcc
	;;#ASMSTART
	global_load_dwordx4 v[2:5], v[28:29] off glc	
s_waitcnt vmcnt(0)
	;;#ASMEND
	v_and_b32_e32 v5, 0xff, v3
	v_and_b32_e32 v101, 0xff00, v3
	v_or3_b32 v5, 0, v5, v101
	v_or3_b32 v2, v2, 0, 0
	v_and_b32_e32 v101, 0xff000000, v3
	v_and_b32_e32 v3, 0xff0000, v3
	v_or3_b32 v3, v5, v3, v101
	v_or3_b32 v2, v2, 0, 0
	v_cmp_eq_u16_sdwa s[16:17], v4, v25 src0_sel:BYTE_0 src1_sel:DWORD
	s_and_saveexec_b64 s[14:15], s[16:17]
	s_cbranch_execz .LBB658_105
; %bb.108:                              ;   in Loop: Header=BB658_106 Depth=1
	s_mov_b32 s7, 1
	s_mov_b64 s[16:17], 0
.LBB658_109:                            ;   Parent Loop BB658_106 Depth=1
                                        ; =>  This Loop Header: Depth=2
                                        ;       Child Loop BB658_110 Depth 3
	s_max_u32 s19, s7, 1
.LBB658_110:                            ;   Parent Loop BB658_106 Depth=1
                                        ;     Parent Loop BB658_109 Depth=2
                                        ; =>    This Inner Loop Header: Depth=3
	s_add_i32 s19, s19, -1
	s_cmp_eq_u32 s19, 0
	s_sleep 1
	s_cbranch_scc0 .LBB658_110
; %bb.111:                              ;   in Loop: Header=BB658_109 Depth=2
	s_cmp_lt_u32 s7, 32
	s_cselect_b64 s[20:21], -1, 0
	s_cmp_lg_u64 s[20:21], 0
	s_addc_u32 s7, s7, 0
	;;#ASMSTART
	global_load_dwordx4 v[2:5], v[28:29] off glc	
s_waitcnt vmcnt(0)
	;;#ASMEND
	v_cmp_ne_u16_sdwa s[20:21], v4, v25 src0_sel:BYTE_0 src1_sel:DWORD
	s_or_b64 s[16:17], s[20:21], s[16:17]
	s_andn2_b64 exec, exec, s[16:17]
	s_cbranch_execnz .LBB658_109
; %bb.112:                              ;   in Loop: Header=BB658_106 Depth=1
	s_or_b64 exec, exec, s[16:17]
	s_branch .LBB658_105
.LBB658_113:                            ;   in Loop: Header=BB658_106 Depth=1
                                        ; implicit-def: $vgpr4
                                        ; implicit-def: $vgpr2_vgpr3
	s_cbranch_execz .LBB658_106
; %bb.114:
	s_and_saveexec_b64 s[14:15], s[8:9]
	s_cbranch_execz .LBB658_116
; %bb.115:
	s_add_i32 s6, s6, 64
	s_mov_b32 s7, 0
	v_add_u32_e32 v3, v27, v23
	s_lshl_b64 s[6:7], s[6:7], 4
	s_add_u32 s6, s12, s6
	v_and_b32_e32 v4, 0xff000000, v3
	v_and_b32_e32 v6, 0xff0000, v3
	s_addc_u32 s7, s13, s7
	v_or_b32_e32 v4, v6, v4
	v_and_b32_e32 v6, 0xff00, v3
	v_and_b32_e32 v3, 0xff, v3
	v_add_u32_e32 v2, v26, v22
	v_mov_b32_e32 v5, 0
	v_or3_b32 v3, v4, v6, v3
	v_mov_b32_e32 v4, 2
	v_pk_mov_b32 v[6:7], s[6:7], s[6:7] op_sel:[0,1]
	;;#ASMSTART
	global_store_dwordx4 v[6:7], v[2:5] off	
s_waitcnt vmcnt(0)
	;;#ASMEND
	s_movk_i32 s6, 0x3400
	v_add_u32_e64 v2, s6, 0
	ds_write2_b32 v2, v22, v23 offset1:2
	ds_write2_b32 v2, v26, v27 offset0:4 offset1:6
.LBB658_116:
	s_or_b64 exec, exec, s[14:15]
	v_cmp_eq_u32_e32 vcc, 0, v0
	s_and_b64 exec, exec, vcc
	s_cbranch_execz .LBB658_118
; %bb.117:
	v_mov_b32_e32 v2, 0
	ds_write_b64 v2, v[26:27] offset:24
.LBB658_118:
	s_or_b64 exec, exec, s[10:11]
	v_mov_b32_e32 v2, 0
	s_waitcnt lgkmcnt(0)
	s_barrier
	ds_read_b64 v[6:7], v2 offset:24
	s_movk_i32 s6, 0x3400
	v_cndmask_b32_e64 v2, v87, v21, s[8:9]
	v_cndmask_b32_e64 v1, v1, v20, s[8:9]
	v_add_u32_e64 v4, s6, 0
	s_waitcnt lgkmcnt(0)
	v_add_u32_e32 v20, v6, v1
	v_add_u32_e32 v1, v7, v2
	s_barrier
	ds_read2_b32 v[2:3], v4 offset1:2
	ds_read2_b32 v[4:5], v4 offset0:4 offset1:6
	v_cmp_eq_u32_e32 vcc, 0, v0
	v_cndmask_b32_e32 v1, v1, v7, vcc
	v_cndmask_b32_e32 v20, v20, v6, vcc
	s_branch .LBB658_129
.LBB658_119:
                                        ; implicit-def: $vgpr1
                                        ; implicit-def: $vgpr4
                                        ; implicit-def: $vgpr2
                                        ; implicit-def: $vgpr20_vgpr21
	s_cbranch_execz .LBB658_129
; %bb.120:
	s_nop 0
	v_mov_b32_dpp v1, v85 row_shr:1 row_mask:0xf bank_mask:0xf
	s_waitcnt lgkmcnt(0)
	v_mov_b32_dpp v2, v86 row_shr:1 row_mask:0xf bank_mask:0xf
	v_add_u32_e32 v1, v1, v85
	v_add_u32_e32 v2, v2, v86
	v_cndmask_b32_e64 v2, v2, v86, s[4:5]
	v_cndmask_b32_e64 v1, v1, v85, s[4:5]
	v_cmp_lt_u32_e32 vcc, 3, v84
	v_mov_b32_dpp v4, v2 row_shr:2 row_mask:0xf bank_mask:0xf
	v_mov_b32_dpp v3, v1 row_shr:2 row_mask:0xf bank_mask:0xf
	v_add_u32_e32 v3, v1, v3
	v_add_u32_e32 v4, v2, v4
	v_cndmask_b32_e64 v2, v2, v4, s[2:3]
	v_cndmask_b32_e64 v1, v1, v3, s[2:3]
	s_nop 0
	v_mov_b32_dpp v4, v2 row_shr:4 row_mask:0xf bank_mask:0xf
	v_mov_b32_dpp v3, v1 row_shr:4 row_mask:0xf bank_mask:0xf
	v_add_u32_e32 v3, v1, v3
	v_add_u32_e32 v4, v2, v4
	v_cndmask_b32_e32 v2, v2, v4, vcc
	v_cndmask_b32_e32 v1, v1, v3, vcc
	v_cmp_lt_u32_e32 vcc, 7, v84
	v_mov_b32_dpp v4, v2 row_shr:8 row_mask:0xf bank_mask:0xf
	v_mov_b32_dpp v3, v1 row_shr:8 row_mask:0xf bank_mask:0xf
	v_add_u32_e32 v3, v1, v3
	v_add_u32_e32 v4, v2, v4
	v_cndmask_b32_e32 v2, v2, v4, vcc
	v_cndmask_b32_e32 v1, v1, v3, vcc
	v_cmp_eq_u32_e32 vcc, 0, v83
	v_mov_b32_dpp v4, v2 row_bcast:15 row_mask:0xf bank_mask:0xf
	v_mov_b32_dpp v3, v1 row_bcast:15 row_mask:0xf bank_mask:0xf
	v_add_u32_e32 v3, v1, v3
	v_add_u32_e32 v4, v2, v4
	v_cndmask_b32_e32 v2, v4, v2, vcc
	v_cndmask_b32_e32 v1, v3, v1, vcc
	v_cmp_lt_u32_e32 vcc, 31, v80
	v_mov_b32_dpp v4, v2 row_bcast:31 row_mask:0xf bank_mask:0xf
	v_mov_b32_dpp v3, v1 row_bcast:31 row_mask:0xf bank_mask:0xf
	v_add_u32_e32 v4, v2, v4
	v_add_u32_e32 v5, v1, v3
	v_cndmask_b32_e32 v3, v2, v4, vcc
	v_cndmask_b32_e32 v2, v1, v5, vcc
	v_cmp_eq_u32_e32 vcc, v82, v0
	s_and_saveexec_b64 s[2:3], vcc
	s_cbranch_execz .LBB658_122
; %bb.121:
	v_lshlrev_b32_e32 v1, 3, v81
	ds_write_b64 v1, v[2:3]
.LBB658_122:
	s_or_b64 exec, exec, s[2:3]
	v_cmp_gt_u32_e32 vcc, 4, v0
	s_waitcnt lgkmcnt(0)
	s_barrier
	s_and_saveexec_b64 s[2:3], vcc
	s_cbranch_execz .LBB658_124
; %bb.123:
	v_lshlrev_b32_e32 v1, 3, v0
	ds_read_b64 v[4:5], v1
	v_and_b32_e32 v6, 3, v80
	v_cmp_eq_u32_e32 vcc, 0, v6
	s_waitcnt lgkmcnt(0)
	v_mov_b32_dpp v7, v4 row_shr:1 row_mask:0xf bank_mask:0xf
	v_mov_b32_dpp v20, v5 row_shr:1 row_mask:0xf bank_mask:0xf
	v_add_u32_e32 v7, v7, v4
	v_add_u32_e32 v20, v20, v5
	v_cndmask_b32_e32 v5, v20, v5, vcc
	v_cndmask_b32_e32 v4, v7, v4, vcc
	v_cmp_lt_u32_e32 vcc, 1, v6
	v_mov_b32_dpp v20, v5 row_shr:2 row_mask:0xf bank_mask:0xf
	v_mov_b32_dpp v7, v4 row_shr:2 row_mask:0xf bank_mask:0xf
	v_cndmask_b32_e32 v6, 0, v7, vcc
	v_cndmask_b32_e32 v7, 0, v20, vcc
	v_add_u32_e32 v5, v7, v5
	v_add_u32_e32 v4, v6, v4
	ds_write_b64 v1, v[4:5]
.LBB658_124:
	s_or_b64 exec, exec, s[2:3]
	v_cmp_lt_u32_e32 vcc, 63, v0
	v_mov_b32_e32 v4, 0
	v_mov_b32_e32 v6, 0
	;; [unrolled: 1-line block ×3, first 2 shown]
	s_waitcnt lgkmcnt(0)
	s_barrier
	s_and_saveexec_b64 s[2:3], vcc
	s_cbranch_execz .LBB658_126
; %bb.125:
	v_lshl_add_u32 v1, v81, 3, -8
	ds_read_b64 v[6:7], v1
.LBB658_126:
	s_or_b64 exec, exec, s[2:3]
	s_waitcnt lgkmcnt(0)
	v_add_u32_e32 v5, v7, v3
	v_add_u32_e32 v1, v6, v2
	v_add_u32_e32 v2, -1, v80
	v_and_b32_e32 v3, 64, v80
	v_cmp_lt_i32_e32 vcc, v2, v3
	v_cndmask_b32_e32 v2, v2, v80, vcc
	v_lshlrev_b32_e32 v20, 2, v2
	ds_read_b64 v[2:3], v4 offset:24
	ds_bpermute_b32 v1, v20, v1
	ds_bpermute_b32 v20, v20, v5
	v_cmp_eq_u32_e32 vcc, 0, v0
	s_waitcnt lgkmcnt(2)
	v_readfirstlane_b32 s4, v3
	s_and_saveexec_b64 s[2:3], vcc
	s_cbranch_execz .LBB658_128
; %bb.127:
	s_add_u32 s6, s12, 0x400
	s_mov_b32 s8, 0
	s_addc_u32 s7, s13, 0
	s_and_b32 s9, s4, 0xff000000
	s_and_b32 s11, s4, 0xff0000
	s_mov_b32 s10, s8
	s_or_b64 s[10:11], s[10:11], s[8:9]
	s_and_b32 s9, s4, 0xff00
	s_or_b64 s[10:11], s[10:11], s[8:9]
	s_and_b32 s9, s4, 0xff
	s_or_b64 s[8:9], s[10:11], s[8:9]
	v_mov_b32_e32 v3, s9
	v_mov_b32_e32 v4, 2
	;; [unrolled: 1-line block ×3, first 2 shown]
	v_pk_mov_b32 v[22:23], s[6:7], s[6:7] op_sel:[0,1]
	;;#ASMSTART
	global_store_dwordx4 v[22:23], v[2:5] off	
s_waitcnt vmcnt(0)
	;;#ASMEND
.LBB658_128:
	s_or_b64 exec, exec, s[2:3]
	v_cmp_eq_u32_e64 s[2:3], 0, v80
	s_waitcnt lgkmcnt(1)
	v_cndmask_b32_e64 v3, v1, v6, s[2:3]
	s_waitcnt lgkmcnt(0)
	v_cndmask_b32_e64 v1, v20, v7, s[2:3]
	v_mov_b32_e32 v4, 0
	v_cndmask_b32_e64 v1, v1, 0, vcc
	v_cndmask_b32_e64 v20, v3, 0, vcc
	s_barrier
	v_mov_b32_e32 v3, s4
	v_mov_b32_e32 v5, 0
.LBB658_129:
	v_add_u32_e32 v24, v1, v63
	v_add_u32_e32 v25, v24, v74
	;; [unrolled: 1-line block ×14, first 2 shown]
	v_mov_b32_e32 v7, s49
	s_waitcnt lgkmcnt(0)
	v_add_co_u32_e32 v6, vcc, s48, v4
	v_add_u32_e32 v64, v58, v68
	v_add_u32_e32 v68, v66, v71
	v_addc_co_u32_e32 v7, vcc, 0, v7, vcc
	v_add_u32_e32 v69, v68, v78
	v_mov_b32_e32 v22, s51
	v_sub_co_u32_e32 v23, vcc, s50, v2
	v_add_u32_e32 v71, v69, v73
	v_subbrev_co_u32_e32 v73, vcc, 0, v22, vcc
	v_add_co_u32_e32 v22, vcc, v23, v5
	v_addc_co_u32_e32 v23, vcc, 0, v73, vcc
	v_lshlrev_b32_e32 v73, 1, v2
	v_sub_u32_e32 v1, v1, v5
	v_add_u32_e32 v74, v73, v3
	v_sub_u32_e32 v20, v20, v4
	v_add_u32_e32 v1, v1, v2
	v_add_u32_e32 v31, v74, v31
	v_and_b32_e32 v33, 1, v33
	v_add_u32_e32 v74, v20, v1
	v_and_b32_e32 v32, 1, v32
	v_sub_u32_e32 v74, v31, v74
	v_cmp_eq_u32_e32 vcc, 1, v33
	v_cndmask_b32_e32 v1, v74, v1, vcc
	v_cmp_eq_u32_e32 vcc, 1, v32
	v_cndmask_b32_e32 v1, v1, v20, vcc
	v_lshlrev_b32_e32 v1, 2, v1
	v_sub_u32_e32 v20, v24, v5
	ds_write_b32 v1, v18
	v_sub_u32_e32 v1, v21, v4
	v_add_u32_e32 v20, v20, v2
	v_add_u32_e32 v24, v20, v1
	v_and_b32_e32 v21, 1, v35
	v_sub_u32_e32 v24, v31, v24
	v_and_b32_e32 v18, 1, v34
	v_add_u32_e32 v24, 1, v24
	v_cmp_eq_u32_e32 vcc, 1, v21
	v_cndmask_b32_e32 v20, v24, v20, vcc
	v_cmp_eq_u32_e32 vcc, 1, v18
	v_cndmask_b32_e32 v1, v20, v1, vcc
	v_lshlrev_b32_e32 v1, 2, v1
	ds_write_b32 v1, v19
	v_sub_u32_e32 v19, v25, v5
	v_sub_u32_e32 v1, v26, v4
	v_add_u32_e32 v19, v19, v2
	v_add_u32_e32 v21, v19, v1
	v_and_b32_e32 v20, 1, v37
	v_sub_u32_e32 v21, v31, v21
	v_and_b32_e32 v18, 1, v36
	v_add_u32_e32 v21, 2, v21
	v_cmp_eq_u32_e32 vcc, 1, v20
	v_cndmask_b32_e32 v19, v21, v19, vcc
	v_cmp_eq_u32_e32 vcc, 1, v18
	v_cndmask_b32_e32 v1, v19, v1, vcc
	v_lshlrev_b32_e32 v1, 2, v1
	v_sub_u32_e32 v18, v28, v5
	ds_write_b32 v1, v16
	v_sub_u32_e32 v1, v27, v4
	v_add_u32_e32 v18, v18, v2
	v_add_u32_e32 v20, v1, v18
	v_and_b32_e32 v19, 1, v38
	v_sub_u32_e32 v20, v31, v20
	v_and_b32_e32 v16, 1, v39
	v_add_u32_e32 v20, 3, v20
	v_cmp_eq_u32_e32 vcc, 1, v19
	v_cndmask_b32_e32 v18, v20, v18, vcc
	v_cmp_eq_u32_e32 vcc, 1, v16
	v_cndmask_b32_e32 v1, v18, v1, vcc
	v_lshlrev_b32_e32 v1, 2, v1
	ds_write_b32 v1, v17
	v_sub_u32_e32 v17, v29, v5
	v_sub_u32_e32 v1, v56, v4
	v_add_u32_e32 v17, v17, v2
	v_add_u32_e32 v19, v1, v17
	v_and_b32_e32 v18, 1, v40
	v_sub_u32_e32 v19, v31, v19
	v_and_b32_e32 v16, 1, v41
	v_add_u32_e32 v19, 4, v19
	;; [unrolled: 28-line block ×3, first 2 shown]
	v_cmp_eq_u32_e32 vcc, 1, v16
	v_cndmask_b32_e32 v15, v17, v15, vcc
	v_cmp_eq_u32_e32 vcc, 1, v14
	v_cndmask_b32_e32 v1, v15, v1, vcc
	v_lshlrev_b32_e32 v1, 2, v1
	v_sub_u32_e32 v14, v65, v5
	ds_write_b32 v1, v12
	v_sub_u32_e32 v1, v64, v4
	v_add_u32_e32 v14, v14, v2
	v_add_u32_e32 v16, v1, v14
	v_and_b32_e32 v15, 1, v46
	v_sub_u32_e32 v16, v31, v16
	v_and_b32_e32 v12, 1, v47
	v_add_u32_e32 v16, 7, v16
	v_cmp_eq_u32_e32 vcc, 1, v15
	v_cndmask_b32_e32 v14, v16, v14, vcc
	v_cmp_eq_u32_e32 vcc, 1, v12
	v_cndmask_b32_e32 v1, v14, v1, vcc
	v_lshlrev_b32_e32 v1, 2, v1
	v_add_u32_e32 v59, v64, v59
	ds_write_b32 v1, v13
	v_sub_u32_e32 v13, v66, v5
	v_sub_u32_e32 v1, v59, v4
	v_add_u32_e32 v13, v13, v2
	v_add_u32_e32 v15, v1, v13
	v_and_b32_e32 v14, 1, v48
	v_sub_u32_e32 v15, v31, v15
	v_and_b32_e32 v12, 1, v49
	v_add_u32_e32 v15, 8, v15
	v_cmp_eq_u32_e32 vcc, 1, v14
	v_cndmask_b32_e32 v13, v15, v13, vcc
	v_cmp_eq_u32_e32 vcc, 1, v12
	v_cndmask_b32_e32 v1, v13, v1, vcc
	v_add_u32_e32 v67, v59, v70
	v_lshlrev_b32_e32 v1, 2, v1
	v_sub_u32_e32 v12, v68, v5
	ds_write_b32 v1, v10
	v_sub_u32_e32 v1, v67, v4
	v_add_u32_e32 v12, v12, v2
	v_add_u32_e32 v14, v1, v12
	v_and_b32_e32 v13, 1, v50
	v_sub_u32_e32 v14, v31, v14
	v_and_b32_e32 v10, 1, v51
	v_add_u32_e32 v14, 9, v14
	v_cmp_eq_u32_e32 vcc, 1, v13
	v_cndmask_b32_e32 v12, v14, v12, vcc
	v_cmp_eq_u32_e32 vcc, 1, v10
	v_cndmask_b32_e32 v1, v12, v1, vcc
	v_lshlrev_b32_e32 v1, 2, v1
	v_add_u32_e32 v60, v67, v60
	ds_write_b32 v1, v11
	v_sub_u32_e32 v11, v69, v5
	v_sub_u32_e32 v1, v60, v4
	v_add_u32_e32 v11, v11, v2
	v_add_u32_e32 v13, v1, v11
	v_and_b32_e32 v12, 1, v52
	v_sub_u32_e32 v13, v31, v13
	v_and_b32_e32 v10, 1, v53
	v_add_u32_e32 v13, 10, v13
	v_cmp_eq_u32_e32 vcc, 1, v12
	v_cndmask_b32_e32 v11, v13, v11, vcc
	v_cmp_eq_u32_e32 vcc, 1, v10
	v_cndmask_b32_e32 v1, v11, v1, vcc
	v_add_u32_e32 v70, v60, v72
	v_lshlrev_b32_e32 v1, 2, v1
	v_sub_u32_e32 v10, v71, v5
	ds_write_b32 v1, v8
	v_sub_u32_e32 v1, v70, v4
	v_add_u32_e32 v10, v10, v2
	v_add_u32_e32 v12, v1, v10
	v_and_b32_e32 v11, 1, v54
	v_sub_u32_e32 v12, v31, v12
	v_and_b32_e32 v8, 1, v55
	v_add_u32_e32 v12, 11, v12
	v_cmp_eq_u32_e32 vcc, 1, v11
	v_cndmask_b32_e32 v10, v12, v10, vcc
	v_cmp_eq_u32_e32 vcc, 1, v8
	v_cndmask_b32_e32 v1, v10, v1, vcc
	v_add_u32_e32 v72, v71, v79
	v_add_u32_e32 v61, v70, v61
	v_lshlrev_b32_e32 v1, 2, v1
	ds_write_b32 v1, v9
	v_sub_u32_e32 v1, v61, v4
	v_sub_u32_e32 v4, v72, v5
	v_add_u32_e32 v4, v4, v2
	v_add_u32_e32 v8, v1, v4
	v_sub_u32_e32 v8, v31, v8
	v_add_u32_e32 v8, 12, v8
	v_cndmask_b32_e64 v4, v8, v4, s[58:59]
	v_cndmask_b32_e64 v1, v4, v1, s[46:47]
	v_lshlrev_b32_e32 v1, 2, v1
	ds_write_b32 v1, v30
	v_add_co_u32_e32 v1, vcc, v3, v73
	v_addc_co_u32_e64 v4, s[2:3], 0, 0, vcc
	v_add_co_u32_e32 v1, vcc, v1, v22
	v_addc_co_u32_e32 v4, vcc, v4, v23, vcc
	s_add_u32 s4, s56, s33
	v_add_co_u32_e32 v1, vcc, v1, v6
	s_addc_u32 s5, s57, 0
	v_addc_co_u32_e32 v4, vcc, v4, v7, vcc
	v_mov_b32_e32 v8, s5
	v_sub_co_u32_e32 v1, vcc, s4, v1
	v_subb_co_u32_e32 v4, vcc, v8, v4, vcc
	v_lshlrev_b64 v[8:9], 2, v[22:23]
	v_mov_b32_e32 v10, s55
	v_add_co_u32_e32 v8, vcc, s54, v8
	v_addc_co_u32_e32 v9, vcc, v10, v9, vcc
	v_lshlrev_b64 v[10:11], 2, v[6:7]
	v_mov_b32_e32 v13, s53
	v_add_co_u32_e32 v10, vcc, s52, v10
	s_add_u32 s6, s34, -4
	v_addc_co_u32_e32 v11, vcc, v13, v11, vcc
	s_addc_u32 s7, s35, -1
	v_add_u32_e32 v12, v2, v3
	s_and_b64 vcc, exec, s[0:1]
	s_mov_b64 s[0:1], -1
	s_waitcnt lgkmcnt(0)
	s_barrier
	s_cbranch_vccz .LBB658_133
; %bb.130:
	s_and_b64 vcc, exec, s[0:1]
	s_cbranch_vccnz .LBB658_238
.LBB658_131:
	v_cmp_eq_u32_e32 vcc, 0, v0
	s_and_b64 s[0:1], vcc, s[30:31]
	s_and_saveexec_b64 s[2:3], s[0:1]
	s_cbranch_execnz .LBB658_356
.LBB658_132:
	s_endpgm
.LBB658_133:
	v_cmp_le_u32_e32 vcc, v2, v0
	s_and_saveexec_b64 s[0:1], vcc
	s_xor_b64 s[0:1], exec, s[0:1]
	s_cbranch_execz .LBB658_139
; %bb.134:
	v_cmp_le_u32_e32 vcc, v12, v0
	s_and_saveexec_b64 s[2:3], vcc
	s_xor_b64 s[2:3], exec, s[2:3]
	s_cbranch_execz .LBB658_136
; %bb.135:
	v_lshlrev_b32_e32 v13, 2, v0
	v_add_co_u32_e32 v14, vcc, v1, v0
	ds_read_b32 v13, v13
	v_addc_co_u32_e32 v15, vcc, 0, v4, vcc
	v_lshlrev_b64 v[14:15], 2, v[14:15]
	v_mov_b32_e32 v16, s35
	v_sub_co_u32_e32 v14, vcc, s34, v14
	v_subb_co_u32_e32 v15, vcc, v16, v15, vcc
	s_waitcnt lgkmcnt(0)
	global_store_dword v[14:15], v13, off offset:-4
.LBB658_136:
	s_andn2_saveexec_b64 s[2:3], s[2:3]
	s_cbranch_execz .LBB658_138
; %bb.137:
	v_lshlrev_b32_e32 v13, 2, v0
	ds_read_b32 v14, v13
	v_readfirstlane_b32 s4, v8
	v_readfirstlane_b32 s5, v9
	s_waitcnt lgkmcnt(0)
	s_nop 3
	global_store_dword v13, v14, s[4:5]
.LBB658_138:
	s_or_b64 exec, exec, s[2:3]
.LBB658_139:
	s_andn2_saveexec_b64 s[0:1], s[0:1]
	s_cbranch_execz .LBB658_141
; %bb.140:
	v_lshlrev_b32_e32 v13, 2, v0
	ds_read_b32 v14, v13
	v_readfirstlane_b32 s2, v10
	v_readfirstlane_b32 s3, v11
	s_waitcnt lgkmcnt(0)
	s_nop 3
	global_store_dword v13, v14, s[2:3]
.LBB658_141:
	s_or_b64 exec, exec, s[0:1]
	v_or_b32_e32 v13, 0x100, v0
	v_cmp_le_u32_e32 vcc, v2, v13
	s_and_saveexec_b64 s[0:1], vcc
	s_xor_b64 s[0:1], exec, s[0:1]
	s_cbranch_execz .LBB658_147
; %bb.142:
	v_cmp_le_u32_e32 vcc, v12, v13
	s_and_saveexec_b64 s[2:3], vcc
	s_xor_b64 s[2:3], exec, s[2:3]
	s_cbranch_execz .LBB658_144
; %bb.143:
	v_lshlrev_b32_e32 v13, 2, v0
	ds_read_b32 v13, v13 offset:1024
	v_add_co_u32_e32 v14, vcc, v1, v0
	v_addc_co_u32_e32 v15, vcc, 0, v4, vcc
	v_lshlrev_b64 v[14:15], 2, v[14:15]
	v_mov_b32_e32 v16, s7
	v_sub_co_u32_e32 v14, vcc, s6, v14
	v_subb_co_u32_e32 v15, vcc, v16, v15, vcc
	s_waitcnt lgkmcnt(0)
	global_store_dword v[14:15], v13, off offset:-1024
.LBB658_144:
	s_andn2_saveexec_b64 s[2:3], s[2:3]
	s_cbranch_execz .LBB658_146
; %bb.145:
	v_lshlrev_b32_e32 v13, 2, v0
	ds_read_b32 v14, v13 offset:1024
	v_readfirstlane_b32 s4, v8
	v_readfirstlane_b32 s5, v9
	s_waitcnt lgkmcnt(0)
	s_nop 3
	global_store_dword v13, v14, s[4:5] offset:1024
.LBB658_146:
	s_or_b64 exec, exec, s[2:3]
.LBB658_147:
	s_andn2_saveexec_b64 s[0:1], s[0:1]
	s_cbranch_execz .LBB658_149
; %bb.148:
	v_lshlrev_b32_e32 v13, 2, v0
	ds_read_b32 v14, v13 offset:1024
	v_readfirstlane_b32 s2, v10
	v_readfirstlane_b32 s3, v11
	s_waitcnt lgkmcnt(0)
	s_nop 3
	global_store_dword v13, v14, s[2:3] offset:1024
.LBB658_149:
	s_or_b64 exec, exec, s[0:1]
	v_or_b32_e32 v13, 0x200, v0
	v_cmp_le_u32_e32 vcc, v2, v13
	s_and_saveexec_b64 s[0:1], vcc
	s_xor_b64 s[0:1], exec, s[0:1]
	s_cbranch_execz .LBB658_155
; %bb.150:
	v_cmp_le_u32_e32 vcc, v12, v13
	s_and_saveexec_b64 s[2:3], vcc
	s_xor_b64 s[2:3], exec, s[2:3]
	s_cbranch_execz .LBB658_152
; %bb.151:
	v_lshlrev_b32_e32 v13, 2, v0
	ds_read_b32 v13, v13 offset:2048
	v_add_co_u32_e32 v14, vcc, v1, v0
	v_addc_co_u32_e32 v15, vcc, 0, v4, vcc
	v_lshlrev_b64 v[14:15], 2, v[14:15]
	v_mov_b32_e32 v16, s7
	v_sub_co_u32_e32 v14, vcc, s6, v14
	v_subb_co_u32_e32 v15, vcc, v16, v15, vcc
	s_waitcnt lgkmcnt(0)
	global_store_dword v[14:15], v13, off offset:-2048
.LBB658_152:
	s_andn2_saveexec_b64 s[2:3], s[2:3]
	s_cbranch_execz .LBB658_154
; %bb.153:
	v_lshlrev_b32_e32 v13, 2, v0
	ds_read_b32 v14, v13 offset:2048
	v_readfirstlane_b32 s4, v8
	v_readfirstlane_b32 s5, v9
	s_waitcnt lgkmcnt(0)
	s_nop 3
	global_store_dword v13, v14, s[4:5] offset:2048
.LBB658_154:
	s_or_b64 exec, exec, s[2:3]
.LBB658_155:
	s_andn2_saveexec_b64 s[0:1], s[0:1]
	s_cbranch_execz .LBB658_157
; %bb.156:
	v_lshlrev_b32_e32 v13, 2, v0
	ds_read_b32 v14, v13 offset:2048
	v_readfirstlane_b32 s2, v10
	v_readfirstlane_b32 s3, v11
	s_waitcnt lgkmcnt(0)
	s_nop 3
	global_store_dword v13, v14, s[2:3] offset:2048
.LBB658_157:
	;; [unrolled: 47-line block ×3, first 2 shown]
	s_or_b64 exec, exec, s[0:1]
	v_or_b32_e32 v13, 0x400, v0
	v_cmp_le_u32_e32 vcc, v2, v13
	s_and_saveexec_b64 s[0:1], vcc
	s_xor_b64 s[0:1], exec, s[0:1]
	s_cbranch_execz .LBB658_171
; %bb.166:
	v_cmp_le_u32_e32 vcc, v12, v13
	s_and_saveexec_b64 s[2:3], vcc
	s_xor_b64 s[2:3], exec, s[2:3]
	s_cbranch_execz .LBB658_168
; %bb.167:
	v_lshlrev_b32_e32 v13, 2, v0
	ds_read_b32 v13, v13 offset:4096
	v_add_co_u32_e32 v14, vcc, v1, v0
	v_addc_co_u32_e32 v15, vcc, 0, v4, vcc
	v_lshlrev_b64 v[14:15], 2, v[14:15]
	v_mov_b32_e32 v16, s7
	v_sub_co_u32_e32 v14, vcc, s6, v14
	v_subb_co_u32_e32 v15, vcc, v16, v15, vcc
	s_waitcnt lgkmcnt(0)
	global_store_dword v[14:15], v13, off offset:-4096
                                        ; implicit-def: $vgpr13
.LBB658_168:
	s_andn2_saveexec_b64 s[2:3], s[2:3]
	s_cbranch_execz .LBB658_170
; %bb.169:
	v_lshlrev_b32_e32 v14, 2, v0
	ds_read_b32 v14, v14 offset:4096
	v_lshlrev_b32_e32 v13, 2, v13
	v_readfirstlane_b32 s4, v8
	v_readfirstlane_b32 s5, v9
	s_waitcnt lgkmcnt(0)
	s_nop 3
	global_store_dword v13, v14, s[4:5]
.LBB658_170:
	s_or_b64 exec, exec, s[2:3]
                                        ; implicit-def: $vgpr13
.LBB658_171:
	s_andn2_saveexec_b64 s[0:1], s[0:1]
	s_cbranch_execz .LBB658_173
; %bb.172:
	v_lshlrev_b32_e32 v14, 2, v0
	ds_read_b32 v14, v14 offset:4096
	v_lshlrev_b32_e32 v13, 2, v13
	v_readfirstlane_b32 s2, v10
	v_readfirstlane_b32 s3, v11
	s_waitcnt lgkmcnt(0)
	s_nop 3
	global_store_dword v13, v14, s[2:3]
.LBB658_173:
	s_or_b64 exec, exec, s[0:1]
	v_or_b32_e32 v13, 0x500, v0
	v_cmp_le_u32_e32 vcc, v2, v13
	s_and_saveexec_b64 s[0:1], vcc
	s_xor_b64 s[0:1], exec, s[0:1]
	s_cbranch_execz .LBB658_179
; %bb.174:
	v_cmp_le_u32_e32 vcc, v12, v13
	s_and_saveexec_b64 s[2:3], vcc
	s_xor_b64 s[2:3], exec, s[2:3]
	s_cbranch_execz .LBB658_176
; %bb.175:
	v_add_co_u32_e32 v14, vcc, v1, v13
	v_lshlrev_b32_e32 v13, 2, v0
	ds_read_b32 v13, v13 offset:5120
	v_addc_co_u32_e32 v15, vcc, 0, v4, vcc
	v_lshlrev_b64 v[14:15], 2, v[14:15]
	v_mov_b32_e32 v16, s7
	v_sub_co_u32_e32 v14, vcc, s6, v14
	v_subb_co_u32_e32 v15, vcc, v16, v15, vcc
	s_waitcnt lgkmcnt(0)
	global_store_dword v[14:15], v13, off
                                        ; implicit-def: $vgpr13
.LBB658_176:
	s_andn2_saveexec_b64 s[2:3], s[2:3]
	s_cbranch_execz .LBB658_178
; %bb.177:
	v_lshlrev_b32_e32 v14, 2, v0
	ds_read_b32 v14, v14 offset:5120
	v_lshlrev_b32_e32 v13, 2, v13
	v_readfirstlane_b32 s4, v8
	v_readfirstlane_b32 s5, v9
	s_waitcnt lgkmcnt(0)
	s_nop 3
	global_store_dword v13, v14, s[4:5]
.LBB658_178:
	s_or_b64 exec, exec, s[2:3]
                                        ; implicit-def: $vgpr13
.LBB658_179:
	s_andn2_saveexec_b64 s[0:1], s[0:1]
	s_cbranch_execz .LBB658_181
; %bb.180:
	v_lshlrev_b32_e32 v14, 2, v0
	ds_read_b32 v14, v14 offset:5120
	v_lshlrev_b32_e32 v13, 2, v13
	v_readfirstlane_b32 s2, v10
	v_readfirstlane_b32 s3, v11
	s_waitcnt lgkmcnt(0)
	s_nop 3
	global_store_dword v13, v14, s[2:3]
.LBB658_181:
	s_or_b64 exec, exec, s[0:1]
	v_or_b32_e32 v13, 0x600, v0
	v_cmp_le_u32_e32 vcc, v2, v13
	s_and_saveexec_b64 s[0:1], vcc
	s_xor_b64 s[0:1], exec, s[0:1]
	s_cbranch_execz .LBB658_187
; %bb.182:
	v_cmp_le_u32_e32 vcc, v12, v13
	s_and_saveexec_b64 s[2:3], vcc
	s_xor_b64 s[2:3], exec, s[2:3]
	s_cbranch_execz .LBB658_184
; %bb.183:
	v_add_co_u32_e32 v14, vcc, v1, v13
	v_lshlrev_b32_e32 v13, 2, v0
	ds_read_b32 v13, v13 offset:6144
	v_addc_co_u32_e32 v15, vcc, 0, v4, vcc
	v_lshlrev_b64 v[14:15], 2, v[14:15]
	v_mov_b32_e32 v16, s7
	v_sub_co_u32_e32 v14, vcc, s6, v14
	v_subb_co_u32_e32 v15, vcc, v16, v15, vcc
	s_waitcnt lgkmcnt(0)
	global_store_dword v[14:15], v13, off
                                        ; implicit-def: $vgpr13
.LBB658_184:
	s_andn2_saveexec_b64 s[2:3], s[2:3]
	s_cbranch_execz .LBB658_186
; %bb.185:
	v_lshlrev_b32_e32 v14, 2, v0
	ds_read_b32 v14, v14 offset:6144
	v_lshlrev_b32_e32 v13, 2, v13
	v_readfirstlane_b32 s4, v8
	v_readfirstlane_b32 s5, v9
	s_waitcnt lgkmcnt(0)
	s_nop 3
	global_store_dword v13, v14, s[4:5]
.LBB658_186:
	s_or_b64 exec, exec, s[2:3]
                                        ; implicit-def: $vgpr13
.LBB658_187:
	;; [unrolled: 51-line block ×8, first 2 shown]
	s_andn2_saveexec_b64 s[0:1], s[0:1]
	s_cbranch_execz .LBB658_237
; %bb.236:
	v_lshlrev_b32_e32 v14, 2, v0
	ds_read_b32 v14, v14 offset:12288
	v_lshlrev_b32_e32 v13, 2, v13
	v_readfirstlane_b32 s2, v10
	v_readfirstlane_b32 s3, v11
	s_waitcnt lgkmcnt(0)
	s_nop 3
	global_store_dword v13, v14, s[2:3]
.LBB658_237:
	s_or_b64 exec, exec, s[0:1]
	s_branch .LBB658_131
.LBB658_238:
	v_cmp_gt_u32_e32 vcc, s18, v0
	s_and_saveexec_b64 s[0:1], vcc
	s_cbranch_execz .LBB658_247
; %bb.239:
	v_cmp_le_u32_e32 vcc, v2, v0
	s_and_saveexec_b64 s[2:3], vcc
	s_xor_b64 s[2:3], exec, s[2:3]
	s_cbranch_execz .LBB658_245
; %bb.240:
	v_cmp_le_u32_e32 vcc, v12, v0
	s_and_saveexec_b64 s[4:5], vcc
	s_xor_b64 s[4:5], exec, s[4:5]
	s_cbranch_execz .LBB658_242
; %bb.241:
	v_lshlrev_b32_e32 v13, 2, v0
	v_add_co_u32_e32 v14, vcc, v1, v0
	ds_read_b32 v13, v13
	v_addc_co_u32_e32 v15, vcc, 0, v4, vcc
	v_lshlrev_b64 v[14:15], 2, v[14:15]
	v_mov_b32_e32 v16, s35
	v_sub_co_u32_e32 v14, vcc, s34, v14
	v_subb_co_u32_e32 v15, vcc, v16, v15, vcc
	s_waitcnt lgkmcnt(0)
	global_store_dword v[14:15], v13, off offset:-4
.LBB658_242:
	s_andn2_saveexec_b64 s[4:5], s[4:5]
	s_cbranch_execz .LBB658_244
; %bb.243:
	v_lshlrev_b32_e32 v13, 2, v0
	ds_read_b32 v14, v13
	v_readfirstlane_b32 s8, v8
	v_readfirstlane_b32 s9, v9
	s_waitcnt lgkmcnt(0)
	s_nop 3
	global_store_dword v13, v14, s[8:9]
.LBB658_244:
	s_or_b64 exec, exec, s[4:5]
.LBB658_245:
	s_andn2_saveexec_b64 s[2:3], s[2:3]
	s_cbranch_execz .LBB658_247
; %bb.246:
	v_lshlrev_b32_e32 v13, 2, v0
	ds_read_b32 v14, v13
	v_readfirstlane_b32 s2, v10
	v_readfirstlane_b32 s3, v11
	s_waitcnt lgkmcnt(0)
	s_nop 3
	global_store_dword v13, v14, s[2:3]
.LBB658_247:
	s_or_b64 exec, exec, s[0:1]
	v_or_b32_e32 v13, 0x100, v0
	v_cmp_gt_u32_e32 vcc, s18, v13
	s_and_saveexec_b64 s[0:1], vcc
	s_cbranch_execz .LBB658_256
; %bb.248:
	v_cmp_le_u32_e32 vcc, v2, v13
	s_and_saveexec_b64 s[2:3], vcc
	s_xor_b64 s[2:3], exec, s[2:3]
	s_cbranch_execz .LBB658_254
; %bb.249:
	v_cmp_le_u32_e32 vcc, v12, v13
	s_and_saveexec_b64 s[4:5], vcc
	s_xor_b64 s[4:5], exec, s[4:5]
	s_cbranch_execz .LBB658_251
; %bb.250:
	v_lshlrev_b32_e32 v13, 2, v0
	ds_read_b32 v13, v13 offset:1024
	v_add_co_u32_e32 v14, vcc, v1, v0
	v_addc_co_u32_e32 v15, vcc, 0, v4, vcc
	v_lshlrev_b64 v[14:15], 2, v[14:15]
	v_mov_b32_e32 v16, s7
	v_sub_co_u32_e32 v14, vcc, s6, v14
	v_subb_co_u32_e32 v15, vcc, v16, v15, vcc
	s_waitcnt lgkmcnt(0)
	global_store_dword v[14:15], v13, off offset:-1024
.LBB658_251:
	s_andn2_saveexec_b64 s[4:5], s[4:5]
	s_cbranch_execz .LBB658_253
; %bb.252:
	v_lshlrev_b32_e32 v13, 2, v0
	ds_read_b32 v14, v13 offset:1024
	v_readfirstlane_b32 s8, v8
	v_readfirstlane_b32 s9, v9
	s_waitcnt lgkmcnt(0)
	s_nop 3
	global_store_dword v13, v14, s[8:9] offset:1024
.LBB658_253:
	s_or_b64 exec, exec, s[4:5]
.LBB658_254:
	s_andn2_saveexec_b64 s[2:3], s[2:3]
	s_cbranch_execz .LBB658_256
; %bb.255:
	v_lshlrev_b32_e32 v13, 2, v0
	ds_read_b32 v14, v13 offset:1024
	v_readfirstlane_b32 s2, v10
	v_readfirstlane_b32 s3, v11
	s_waitcnt lgkmcnt(0)
	s_nop 3
	global_store_dword v13, v14, s[2:3] offset:1024
.LBB658_256:
	s_or_b64 exec, exec, s[0:1]
	v_or_b32_e32 v13, 0x200, v0
	v_cmp_gt_u32_e32 vcc, s18, v13
	s_and_saveexec_b64 s[0:1], vcc
	s_cbranch_execz .LBB658_265
; %bb.257:
	v_cmp_le_u32_e32 vcc, v2, v13
	s_and_saveexec_b64 s[2:3], vcc
	s_xor_b64 s[2:3], exec, s[2:3]
	s_cbranch_execz .LBB658_263
; %bb.258:
	v_cmp_le_u32_e32 vcc, v12, v13
	s_and_saveexec_b64 s[4:5], vcc
	s_xor_b64 s[4:5], exec, s[4:5]
	s_cbranch_execz .LBB658_260
; %bb.259:
	v_lshlrev_b32_e32 v13, 2, v0
	ds_read_b32 v13, v13 offset:2048
	v_add_co_u32_e32 v14, vcc, v1, v0
	v_addc_co_u32_e32 v15, vcc, 0, v4, vcc
	v_lshlrev_b64 v[14:15], 2, v[14:15]
	v_mov_b32_e32 v16, s7
	v_sub_co_u32_e32 v14, vcc, s6, v14
	v_subb_co_u32_e32 v15, vcc, v16, v15, vcc
	s_waitcnt lgkmcnt(0)
	global_store_dword v[14:15], v13, off offset:-2048
.LBB658_260:
	s_andn2_saveexec_b64 s[4:5], s[4:5]
	s_cbranch_execz .LBB658_262
; %bb.261:
	v_lshlrev_b32_e32 v13, 2, v0
	ds_read_b32 v14, v13 offset:2048
	v_readfirstlane_b32 s8, v8
	v_readfirstlane_b32 s9, v9
	s_waitcnt lgkmcnt(0)
	s_nop 3
	global_store_dword v13, v14, s[8:9] offset:2048
.LBB658_262:
	s_or_b64 exec, exec, s[4:5]
.LBB658_263:
	s_andn2_saveexec_b64 s[2:3], s[2:3]
	s_cbranch_execz .LBB658_265
; %bb.264:
	v_lshlrev_b32_e32 v13, 2, v0
	ds_read_b32 v14, v13 offset:2048
	v_readfirstlane_b32 s2, v10
	v_readfirstlane_b32 s3, v11
	s_waitcnt lgkmcnt(0)
	s_nop 3
	global_store_dword v13, v14, s[2:3] offset:2048
.LBB658_265:
	;; [unrolled: 51-line block ×3, first 2 shown]
	s_or_b64 exec, exec, s[0:1]
	v_or_b32_e32 v13, 0x400, v0
	v_cmp_gt_u32_e32 vcc, s18, v13
	s_and_saveexec_b64 s[0:1], vcc
	s_cbranch_execz .LBB658_283
; %bb.275:
	v_cmp_le_u32_e32 vcc, v2, v13
	s_and_saveexec_b64 s[2:3], vcc
	s_xor_b64 s[2:3], exec, s[2:3]
	s_cbranch_execz .LBB658_281
; %bb.276:
	v_cmp_le_u32_e32 vcc, v12, v13
	s_and_saveexec_b64 s[4:5], vcc
	s_xor_b64 s[4:5], exec, s[4:5]
	s_cbranch_execz .LBB658_278
; %bb.277:
	v_lshlrev_b32_e32 v13, 2, v0
	ds_read_b32 v13, v13 offset:4096
	v_add_co_u32_e32 v14, vcc, v1, v0
	v_addc_co_u32_e32 v15, vcc, 0, v4, vcc
	v_lshlrev_b64 v[14:15], 2, v[14:15]
	v_mov_b32_e32 v16, s7
	v_sub_co_u32_e32 v14, vcc, s6, v14
	v_subb_co_u32_e32 v15, vcc, v16, v15, vcc
	s_waitcnt lgkmcnt(0)
	global_store_dword v[14:15], v13, off offset:-4096
                                        ; implicit-def: $vgpr13
.LBB658_278:
	s_andn2_saveexec_b64 s[4:5], s[4:5]
	s_cbranch_execz .LBB658_280
; %bb.279:
	v_lshlrev_b32_e32 v14, 2, v0
	ds_read_b32 v14, v14 offset:4096
	v_lshlrev_b32_e32 v13, 2, v13
	v_readfirstlane_b32 s8, v8
	v_readfirstlane_b32 s9, v9
	s_waitcnt lgkmcnt(0)
	s_nop 3
	global_store_dword v13, v14, s[8:9]
.LBB658_280:
	s_or_b64 exec, exec, s[4:5]
                                        ; implicit-def: $vgpr13
.LBB658_281:
	s_andn2_saveexec_b64 s[2:3], s[2:3]
	s_cbranch_execz .LBB658_283
; %bb.282:
	v_lshlrev_b32_e32 v14, 2, v0
	ds_read_b32 v14, v14 offset:4096
	v_lshlrev_b32_e32 v13, 2, v13
	v_readfirstlane_b32 s2, v10
	v_readfirstlane_b32 s3, v11
	s_waitcnt lgkmcnt(0)
	s_nop 3
	global_store_dword v13, v14, s[2:3]
.LBB658_283:
	s_or_b64 exec, exec, s[0:1]
	v_or_b32_e32 v13, 0x500, v0
	v_cmp_gt_u32_e32 vcc, s18, v13
	s_and_saveexec_b64 s[0:1], vcc
	s_cbranch_execz .LBB658_292
; %bb.284:
	v_cmp_le_u32_e32 vcc, v2, v13
	s_and_saveexec_b64 s[2:3], vcc
	s_xor_b64 s[2:3], exec, s[2:3]
	s_cbranch_execz .LBB658_290
; %bb.285:
	v_cmp_le_u32_e32 vcc, v12, v13
	s_and_saveexec_b64 s[4:5], vcc
	s_xor_b64 s[4:5], exec, s[4:5]
	s_cbranch_execz .LBB658_287
; %bb.286:
	v_add_co_u32_e32 v14, vcc, v1, v13
	v_lshlrev_b32_e32 v13, 2, v0
	ds_read_b32 v13, v13 offset:5120
	v_addc_co_u32_e32 v15, vcc, 0, v4, vcc
	v_lshlrev_b64 v[14:15], 2, v[14:15]
	v_mov_b32_e32 v16, s7
	v_sub_co_u32_e32 v14, vcc, s6, v14
	v_subb_co_u32_e32 v15, vcc, v16, v15, vcc
	s_waitcnt lgkmcnt(0)
	global_store_dword v[14:15], v13, off
                                        ; implicit-def: $vgpr13
.LBB658_287:
	s_andn2_saveexec_b64 s[4:5], s[4:5]
	s_cbranch_execz .LBB658_289
; %bb.288:
	v_lshlrev_b32_e32 v14, 2, v0
	ds_read_b32 v14, v14 offset:5120
	v_lshlrev_b32_e32 v13, 2, v13
	v_readfirstlane_b32 s8, v8
	v_readfirstlane_b32 s9, v9
	s_waitcnt lgkmcnt(0)
	s_nop 3
	global_store_dword v13, v14, s[8:9]
.LBB658_289:
	s_or_b64 exec, exec, s[4:5]
                                        ; implicit-def: $vgpr13
.LBB658_290:
	s_andn2_saveexec_b64 s[2:3], s[2:3]
	s_cbranch_execz .LBB658_292
; %bb.291:
	v_lshlrev_b32_e32 v14, 2, v0
	ds_read_b32 v14, v14 offset:5120
	v_lshlrev_b32_e32 v13, 2, v13
	v_readfirstlane_b32 s2, v10
	v_readfirstlane_b32 s3, v11
	s_waitcnt lgkmcnt(0)
	s_nop 3
	global_store_dword v13, v14, s[2:3]
.LBB658_292:
	s_or_b64 exec, exec, s[0:1]
	v_or_b32_e32 v13, 0x600, v0
	v_cmp_gt_u32_e32 vcc, s18, v13
	s_and_saveexec_b64 s[0:1], vcc
	s_cbranch_execz .LBB658_301
; %bb.293:
	v_cmp_le_u32_e32 vcc, v2, v13
	s_and_saveexec_b64 s[2:3], vcc
	s_xor_b64 s[2:3], exec, s[2:3]
	s_cbranch_execz .LBB658_299
; %bb.294:
	v_cmp_le_u32_e32 vcc, v12, v13
	s_and_saveexec_b64 s[4:5], vcc
	s_xor_b64 s[4:5], exec, s[4:5]
	s_cbranch_execz .LBB658_296
; %bb.295:
	v_add_co_u32_e32 v14, vcc, v1, v13
	v_lshlrev_b32_e32 v13, 2, v0
	ds_read_b32 v13, v13 offset:6144
	v_addc_co_u32_e32 v15, vcc, 0, v4, vcc
	v_lshlrev_b64 v[14:15], 2, v[14:15]
	v_mov_b32_e32 v16, s7
	v_sub_co_u32_e32 v14, vcc, s6, v14
	v_subb_co_u32_e32 v15, vcc, v16, v15, vcc
	s_waitcnt lgkmcnt(0)
	global_store_dword v[14:15], v13, off
                                        ; implicit-def: $vgpr13
.LBB658_296:
	s_andn2_saveexec_b64 s[4:5], s[4:5]
	s_cbranch_execz .LBB658_298
; %bb.297:
	v_lshlrev_b32_e32 v14, 2, v0
	ds_read_b32 v14, v14 offset:6144
	v_lshlrev_b32_e32 v13, 2, v13
	v_readfirstlane_b32 s8, v8
	v_readfirstlane_b32 s9, v9
	s_waitcnt lgkmcnt(0)
	s_nop 3
	global_store_dword v13, v14, s[8:9]
.LBB658_298:
	s_or_b64 exec, exec, s[4:5]
                                        ; implicit-def: $vgpr13
.LBB658_299:
	s_andn2_saveexec_b64 s[2:3], s[2:3]
	s_cbranch_execz .LBB658_301
; %bb.300:
	v_lshlrev_b32_e32 v14, 2, v0
	ds_read_b32 v14, v14 offset:6144
	v_lshlrev_b32_e32 v13, 2, v13
	v_readfirstlane_b32 s2, v10
	v_readfirstlane_b32 s3, v11
	s_waitcnt lgkmcnt(0)
	s_nop 3
	global_store_dword v13, v14, s[2:3]
.LBB658_301:
	;; [unrolled: 55-line block ×7, first 2 shown]
	s_or_b64 exec, exec, s[0:1]
	v_or_b32_e32 v13, 0xc00, v0
	v_cmp_gt_u32_e32 vcc, s18, v13
	s_and_saveexec_b64 s[0:1], vcc
	s_cbranch_execz .LBB658_355
; %bb.347:
	v_cmp_le_u32_e32 vcc, v2, v13
	s_and_saveexec_b64 s[2:3], vcc
	s_xor_b64 s[2:3], exec, s[2:3]
	s_cbranch_execz .LBB658_353
; %bb.348:
	v_cmp_le_u32_e32 vcc, v12, v13
	s_and_saveexec_b64 s[4:5], vcc
	s_xor_b64 s[4:5], exec, s[4:5]
	s_cbranch_execz .LBB658_350
; %bb.349:
	v_add_co_u32_e32 v8, vcc, v1, v13
	v_lshlrev_b32_e32 v1, 2, v0
	ds_read_b32 v1, v1 offset:12288
	v_addc_co_u32_e32 v9, vcc, 0, v4, vcc
	v_lshlrev_b64 v[8:9], 2, v[8:9]
	v_mov_b32_e32 v4, s7
	v_sub_co_u32_e32 v8, vcc, s6, v8
	v_subb_co_u32_e32 v9, vcc, v4, v9, vcc
	s_waitcnt lgkmcnt(0)
	global_store_dword v[8:9], v1, off
                                        ; implicit-def: $vgpr13
                                        ; implicit-def: $vgpr8_vgpr9
.LBB658_350:
	s_andn2_saveexec_b64 s[4:5], s[4:5]
	s_cbranch_execz .LBB658_352
; %bb.351:
	v_lshlrev_b32_e32 v1, 2, v0
	ds_read_b32 v1, v1 offset:12288
	v_lshlrev_b32_e32 v4, 2, v13
	v_readfirstlane_b32 s6, v8
	v_readfirstlane_b32 s7, v9
	s_waitcnt lgkmcnt(0)
	s_nop 3
	global_store_dword v4, v1, s[6:7]
.LBB658_352:
	s_or_b64 exec, exec, s[4:5]
                                        ; implicit-def: $vgpr13
                                        ; implicit-def: $vgpr10_vgpr11
.LBB658_353:
	s_andn2_saveexec_b64 s[2:3], s[2:3]
	s_cbranch_execz .LBB658_355
; %bb.354:
	v_lshlrev_b32_e32 v1, 2, v0
	ds_read_b32 v1, v1 offset:12288
	v_lshlrev_b32_e32 v4, 2, v13
	v_readfirstlane_b32 s2, v10
	v_readfirstlane_b32 s3, v11
	s_waitcnt lgkmcnt(0)
	s_nop 3
	global_store_dword v4, v1, s[2:3]
.LBB658_355:
	s_or_b64 exec, exec, s[0:1]
	v_cmp_eq_u32_e32 vcc, 0, v0
	s_and_b64 s[0:1], vcc, s[30:31]
	s_and_saveexec_b64 s[2:3], s[0:1]
	s_cbranch_execz .LBB658_132
.LBB658_356:
	v_add_co_u32_e32 v0, vcc, v6, v2
	v_addc_co_u32_e32 v1, vcc, 0, v7, vcc
	v_mov_b32_e32 v2, s51
	v_add_co_u32_e32 v3, vcc, s50, v3
	v_addc_co_u32_e32 v6, vcc, 0, v2, vcc
	v_add_co_u32_e32 v2, vcc, v3, v5
	v_mov_b32_e32 v4, 0
	v_addc_co_u32_e32 v3, vcc, 0, v6, vcc
	global_store_dwordx4 v4, v[0:3], s[44:45]
	s_endpgm
	.section	.rodata,"a",@progbits
	.p2align	6, 0x0
	.amdhsa_kernel _ZN7rocprim17ROCPRIM_400000_NS6detail17trampoline_kernelINS0_13select_configILj256ELj13ELNS0_17block_load_methodE3ELS4_3ELS4_3ELNS0_20block_scan_algorithmE0ELj4294967295EEENS1_25partition_config_selectorILNS1_17partition_subalgoE4EjNS0_10empty_typeEbEEZZNS1_14partition_implILS8_4ELb0ES6_15HIP_vector_typeIjLj2EENS0_17counting_iteratorIjlEEPS9_SG_NS0_5tupleIJPjSI_NS0_16reverse_iteratorISI_EEEEENSH_IJSG_SG_SG_EEES9_SI_JZNS1_25segmented_radix_sort_implINS0_14default_configELb1EPKlPlSQ_SR_N2at6native12_GLOBAL__N_18offset_tEEE10hipError_tPvRmT1_PNSt15iterator_traitsISZ_E10value_typeET2_T3_PNS10_IS15_E10value_typeET4_jRbjT5_S1B_jjP12ihipStream_tbEUljE_ZNSN_ISO_Lb1ESQ_SR_SQ_SR_SV_EESW_SX_SY_SZ_S13_S14_S15_S18_S19_jS1A_jS1B_S1B_jjS1D_bEUljE0_EEESW_SX_SY_S15_S19_S1B_T6_T7_T9_mT8_S1D_bDpT10_ENKUlT_T0_E_clISt17integral_constantIbLb1EES1Q_IbLb0EEEEDaS1M_S1N_EUlS1M_E_NS1_11comp_targetILNS1_3genE4ELNS1_11target_archE910ELNS1_3gpuE8ELNS1_3repE0EEENS1_30default_config_static_selectorELNS0_4arch9wavefront6targetE1EEEvSZ_
		.amdhsa_group_segment_fixed_size 13340
		.amdhsa_private_segment_fixed_size 0
		.amdhsa_kernarg_size 176
		.amdhsa_user_sgpr_count 6
		.amdhsa_user_sgpr_private_segment_buffer 1
		.amdhsa_user_sgpr_dispatch_ptr 0
		.amdhsa_user_sgpr_queue_ptr 0
		.amdhsa_user_sgpr_kernarg_segment_ptr 1
		.amdhsa_user_sgpr_dispatch_id 0
		.amdhsa_user_sgpr_flat_scratch_init 0
		.amdhsa_user_sgpr_kernarg_preload_length 0
		.amdhsa_user_sgpr_kernarg_preload_offset 0
		.amdhsa_user_sgpr_private_segment_size 0
		.amdhsa_uses_dynamic_stack 0
		.amdhsa_system_sgpr_private_segment_wavefront_offset 0
		.amdhsa_system_sgpr_workgroup_id_x 1
		.amdhsa_system_sgpr_workgroup_id_y 0
		.amdhsa_system_sgpr_workgroup_id_z 0
		.amdhsa_system_sgpr_workgroup_info 0
		.amdhsa_system_vgpr_workitem_id 0
		.amdhsa_next_free_vgpr 102
		.amdhsa_next_free_sgpr 90
		.amdhsa_accum_offset 104
		.amdhsa_reserve_vcc 1
		.amdhsa_reserve_flat_scratch 0
		.amdhsa_float_round_mode_32 0
		.amdhsa_float_round_mode_16_64 0
		.amdhsa_float_denorm_mode_32 3
		.amdhsa_float_denorm_mode_16_64 3
		.amdhsa_dx10_clamp 1
		.amdhsa_ieee_mode 1
		.amdhsa_fp16_overflow 0
		.amdhsa_tg_split 0
		.amdhsa_exception_fp_ieee_invalid_op 0
		.amdhsa_exception_fp_denorm_src 0
		.amdhsa_exception_fp_ieee_div_zero 0
		.amdhsa_exception_fp_ieee_overflow 0
		.amdhsa_exception_fp_ieee_underflow 0
		.amdhsa_exception_fp_ieee_inexact 0
		.amdhsa_exception_int_div_zero 0
	.end_amdhsa_kernel
	.section	.text._ZN7rocprim17ROCPRIM_400000_NS6detail17trampoline_kernelINS0_13select_configILj256ELj13ELNS0_17block_load_methodE3ELS4_3ELS4_3ELNS0_20block_scan_algorithmE0ELj4294967295EEENS1_25partition_config_selectorILNS1_17partition_subalgoE4EjNS0_10empty_typeEbEEZZNS1_14partition_implILS8_4ELb0ES6_15HIP_vector_typeIjLj2EENS0_17counting_iteratorIjlEEPS9_SG_NS0_5tupleIJPjSI_NS0_16reverse_iteratorISI_EEEEENSH_IJSG_SG_SG_EEES9_SI_JZNS1_25segmented_radix_sort_implINS0_14default_configELb1EPKlPlSQ_SR_N2at6native12_GLOBAL__N_18offset_tEEE10hipError_tPvRmT1_PNSt15iterator_traitsISZ_E10value_typeET2_T3_PNS10_IS15_E10value_typeET4_jRbjT5_S1B_jjP12ihipStream_tbEUljE_ZNSN_ISO_Lb1ESQ_SR_SQ_SR_SV_EESW_SX_SY_SZ_S13_S14_S15_S18_S19_jS1A_jS1B_S1B_jjS1D_bEUljE0_EEESW_SX_SY_S15_S19_S1B_T6_T7_T9_mT8_S1D_bDpT10_ENKUlT_T0_E_clISt17integral_constantIbLb1EES1Q_IbLb0EEEEDaS1M_S1N_EUlS1M_E_NS1_11comp_targetILNS1_3genE4ELNS1_11target_archE910ELNS1_3gpuE8ELNS1_3repE0EEENS1_30default_config_static_selectorELNS0_4arch9wavefront6targetE1EEEvSZ_,"axG",@progbits,_ZN7rocprim17ROCPRIM_400000_NS6detail17trampoline_kernelINS0_13select_configILj256ELj13ELNS0_17block_load_methodE3ELS4_3ELS4_3ELNS0_20block_scan_algorithmE0ELj4294967295EEENS1_25partition_config_selectorILNS1_17partition_subalgoE4EjNS0_10empty_typeEbEEZZNS1_14partition_implILS8_4ELb0ES6_15HIP_vector_typeIjLj2EENS0_17counting_iteratorIjlEEPS9_SG_NS0_5tupleIJPjSI_NS0_16reverse_iteratorISI_EEEEENSH_IJSG_SG_SG_EEES9_SI_JZNS1_25segmented_radix_sort_implINS0_14default_configELb1EPKlPlSQ_SR_N2at6native12_GLOBAL__N_18offset_tEEE10hipError_tPvRmT1_PNSt15iterator_traitsISZ_E10value_typeET2_T3_PNS10_IS15_E10value_typeET4_jRbjT5_S1B_jjP12ihipStream_tbEUljE_ZNSN_ISO_Lb1ESQ_SR_SQ_SR_SV_EESW_SX_SY_SZ_S13_S14_S15_S18_S19_jS1A_jS1B_S1B_jjS1D_bEUljE0_EEESW_SX_SY_S15_S19_S1B_T6_T7_T9_mT8_S1D_bDpT10_ENKUlT_T0_E_clISt17integral_constantIbLb1EES1Q_IbLb0EEEEDaS1M_S1N_EUlS1M_E_NS1_11comp_targetILNS1_3genE4ELNS1_11target_archE910ELNS1_3gpuE8ELNS1_3repE0EEENS1_30default_config_static_selectorELNS0_4arch9wavefront6targetE1EEEvSZ_,comdat
.Lfunc_end658:
	.size	_ZN7rocprim17ROCPRIM_400000_NS6detail17trampoline_kernelINS0_13select_configILj256ELj13ELNS0_17block_load_methodE3ELS4_3ELS4_3ELNS0_20block_scan_algorithmE0ELj4294967295EEENS1_25partition_config_selectorILNS1_17partition_subalgoE4EjNS0_10empty_typeEbEEZZNS1_14partition_implILS8_4ELb0ES6_15HIP_vector_typeIjLj2EENS0_17counting_iteratorIjlEEPS9_SG_NS0_5tupleIJPjSI_NS0_16reverse_iteratorISI_EEEEENSH_IJSG_SG_SG_EEES9_SI_JZNS1_25segmented_radix_sort_implINS0_14default_configELb1EPKlPlSQ_SR_N2at6native12_GLOBAL__N_18offset_tEEE10hipError_tPvRmT1_PNSt15iterator_traitsISZ_E10value_typeET2_T3_PNS10_IS15_E10value_typeET4_jRbjT5_S1B_jjP12ihipStream_tbEUljE_ZNSN_ISO_Lb1ESQ_SR_SQ_SR_SV_EESW_SX_SY_SZ_S13_S14_S15_S18_S19_jS1A_jS1B_S1B_jjS1D_bEUljE0_EEESW_SX_SY_S15_S19_S1B_T6_T7_T9_mT8_S1D_bDpT10_ENKUlT_T0_E_clISt17integral_constantIbLb1EES1Q_IbLb0EEEEDaS1M_S1N_EUlS1M_E_NS1_11comp_targetILNS1_3genE4ELNS1_11target_archE910ELNS1_3gpuE8ELNS1_3repE0EEENS1_30default_config_static_selectorELNS0_4arch9wavefront6targetE1EEEvSZ_, .Lfunc_end658-_ZN7rocprim17ROCPRIM_400000_NS6detail17trampoline_kernelINS0_13select_configILj256ELj13ELNS0_17block_load_methodE3ELS4_3ELS4_3ELNS0_20block_scan_algorithmE0ELj4294967295EEENS1_25partition_config_selectorILNS1_17partition_subalgoE4EjNS0_10empty_typeEbEEZZNS1_14partition_implILS8_4ELb0ES6_15HIP_vector_typeIjLj2EENS0_17counting_iteratorIjlEEPS9_SG_NS0_5tupleIJPjSI_NS0_16reverse_iteratorISI_EEEEENSH_IJSG_SG_SG_EEES9_SI_JZNS1_25segmented_radix_sort_implINS0_14default_configELb1EPKlPlSQ_SR_N2at6native12_GLOBAL__N_18offset_tEEE10hipError_tPvRmT1_PNSt15iterator_traitsISZ_E10value_typeET2_T3_PNS10_IS15_E10value_typeET4_jRbjT5_S1B_jjP12ihipStream_tbEUljE_ZNSN_ISO_Lb1ESQ_SR_SQ_SR_SV_EESW_SX_SY_SZ_S13_S14_S15_S18_S19_jS1A_jS1B_S1B_jjS1D_bEUljE0_EEESW_SX_SY_S15_S19_S1B_T6_T7_T9_mT8_S1D_bDpT10_ENKUlT_T0_E_clISt17integral_constantIbLb1EES1Q_IbLb0EEEEDaS1M_S1N_EUlS1M_E_NS1_11comp_targetILNS1_3genE4ELNS1_11target_archE910ELNS1_3gpuE8ELNS1_3repE0EEENS1_30default_config_static_selectorELNS0_4arch9wavefront6targetE1EEEvSZ_
                                        ; -- End function
	.section	.AMDGPU.csdata,"",@progbits
; Kernel info:
; codeLenInByte = 13412
; NumSgprs: 94
; NumVgprs: 102
; NumAgprs: 0
; TotalNumVgprs: 102
; ScratchSize: 0
; MemoryBound: 0
; FloatMode: 240
; IeeeMode: 1
; LDSByteSize: 13340 bytes/workgroup (compile time only)
; SGPRBlocks: 11
; VGPRBlocks: 12
; NumSGPRsForWavesPerEU: 94
; NumVGPRsForWavesPerEU: 102
; AccumOffset: 104
; Occupancy: 4
; WaveLimiterHint : 1
; COMPUTE_PGM_RSRC2:SCRATCH_EN: 0
; COMPUTE_PGM_RSRC2:USER_SGPR: 6
; COMPUTE_PGM_RSRC2:TRAP_HANDLER: 0
; COMPUTE_PGM_RSRC2:TGID_X_EN: 1
; COMPUTE_PGM_RSRC2:TGID_Y_EN: 0
; COMPUTE_PGM_RSRC2:TGID_Z_EN: 0
; COMPUTE_PGM_RSRC2:TIDIG_COMP_CNT: 0
; COMPUTE_PGM_RSRC3_GFX90A:ACCUM_OFFSET: 25
; COMPUTE_PGM_RSRC3_GFX90A:TG_SPLIT: 0
	.section	.text._ZN7rocprim17ROCPRIM_400000_NS6detail17trampoline_kernelINS0_13select_configILj256ELj13ELNS0_17block_load_methodE3ELS4_3ELS4_3ELNS0_20block_scan_algorithmE0ELj4294967295EEENS1_25partition_config_selectorILNS1_17partition_subalgoE4EjNS0_10empty_typeEbEEZZNS1_14partition_implILS8_4ELb0ES6_15HIP_vector_typeIjLj2EENS0_17counting_iteratorIjlEEPS9_SG_NS0_5tupleIJPjSI_NS0_16reverse_iteratorISI_EEEEENSH_IJSG_SG_SG_EEES9_SI_JZNS1_25segmented_radix_sort_implINS0_14default_configELb1EPKlPlSQ_SR_N2at6native12_GLOBAL__N_18offset_tEEE10hipError_tPvRmT1_PNSt15iterator_traitsISZ_E10value_typeET2_T3_PNS10_IS15_E10value_typeET4_jRbjT5_S1B_jjP12ihipStream_tbEUljE_ZNSN_ISO_Lb1ESQ_SR_SQ_SR_SV_EESW_SX_SY_SZ_S13_S14_S15_S18_S19_jS1A_jS1B_S1B_jjS1D_bEUljE0_EEESW_SX_SY_S15_S19_S1B_T6_T7_T9_mT8_S1D_bDpT10_ENKUlT_T0_E_clISt17integral_constantIbLb1EES1Q_IbLb0EEEEDaS1M_S1N_EUlS1M_E_NS1_11comp_targetILNS1_3genE3ELNS1_11target_archE908ELNS1_3gpuE7ELNS1_3repE0EEENS1_30default_config_static_selectorELNS0_4arch9wavefront6targetE1EEEvSZ_,"axG",@progbits,_ZN7rocprim17ROCPRIM_400000_NS6detail17trampoline_kernelINS0_13select_configILj256ELj13ELNS0_17block_load_methodE3ELS4_3ELS4_3ELNS0_20block_scan_algorithmE0ELj4294967295EEENS1_25partition_config_selectorILNS1_17partition_subalgoE4EjNS0_10empty_typeEbEEZZNS1_14partition_implILS8_4ELb0ES6_15HIP_vector_typeIjLj2EENS0_17counting_iteratorIjlEEPS9_SG_NS0_5tupleIJPjSI_NS0_16reverse_iteratorISI_EEEEENSH_IJSG_SG_SG_EEES9_SI_JZNS1_25segmented_radix_sort_implINS0_14default_configELb1EPKlPlSQ_SR_N2at6native12_GLOBAL__N_18offset_tEEE10hipError_tPvRmT1_PNSt15iterator_traitsISZ_E10value_typeET2_T3_PNS10_IS15_E10value_typeET4_jRbjT5_S1B_jjP12ihipStream_tbEUljE_ZNSN_ISO_Lb1ESQ_SR_SQ_SR_SV_EESW_SX_SY_SZ_S13_S14_S15_S18_S19_jS1A_jS1B_S1B_jjS1D_bEUljE0_EEESW_SX_SY_S15_S19_S1B_T6_T7_T9_mT8_S1D_bDpT10_ENKUlT_T0_E_clISt17integral_constantIbLb1EES1Q_IbLb0EEEEDaS1M_S1N_EUlS1M_E_NS1_11comp_targetILNS1_3genE3ELNS1_11target_archE908ELNS1_3gpuE7ELNS1_3repE0EEENS1_30default_config_static_selectorELNS0_4arch9wavefront6targetE1EEEvSZ_,comdat
	.globl	_ZN7rocprim17ROCPRIM_400000_NS6detail17trampoline_kernelINS0_13select_configILj256ELj13ELNS0_17block_load_methodE3ELS4_3ELS4_3ELNS0_20block_scan_algorithmE0ELj4294967295EEENS1_25partition_config_selectorILNS1_17partition_subalgoE4EjNS0_10empty_typeEbEEZZNS1_14partition_implILS8_4ELb0ES6_15HIP_vector_typeIjLj2EENS0_17counting_iteratorIjlEEPS9_SG_NS0_5tupleIJPjSI_NS0_16reverse_iteratorISI_EEEEENSH_IJSG_SG_SG_EEES9_SI_JZNS1_25segmented_radix_sort_implINS0_14default_configELb1EPKlPlSQ_SR_N2at6native12_GLOBAL__N_18offset_tEEE10hipError_tPvRmT1_PNSt15iterator_traitsISZ_E10value_typeET2_T3_PNS10_IS15_E10value_typeET4_jRbjT5_S1B_jjP12ihipStream_tbEUljE_ZNSN_ISO_Lb1ESQ_SR_SQ_SR_SV_EESW_SX_SY_SZ_S13_S14_S15_S18_S19_jS1A_jS1B_S1B_jjS1D_bEUljE0_EEESW_SX_SY_S15_S19_S1B_T6_T7_T9_mT8_S1D_bDpT10_ENKUlT_T0_E_clISt17integral_constantIbLb1EES1Q_IbLb0EEEEDaS1M_S1N_EUlS1M_E_NS1_11comp_targetILNS1_3genE3ELNS1_11target_archE908ELNS1_3gpuE7ELNS1_3repE0EEENS1_30default_config_static_selectorELNS0_4arch9wavefront6targetE1EEEvSZ_ ; -- Begin function _ZN7rocprim17ROCPRIM_400000_NS6detail17trampoline_kernelINS0_13select_configILj256ELj13ELNS0_17block_load_methodE3ELS4_3ELS4_3ELNS0_20block_scan_algorithmE0ELj4294967295EEENS1_25partition_config_selectorILNS1_17partition_subalgoE4EjNS0_10empty_typeEbEEZZNS1_14partition_implILS8_4ELb0ES6_15HIP_vector_typeIjLj2EENS0_17counting_iteratorIjlEEPS9_SG_NS0_5tupleIJPjSI_NS0_16reverse_iteratorISI_EEEEENSH_IJSG_SG_SG_EEES9_SI_JZNS1_25segmented_radix_sort_implINS0_14default_configELb1EPKlPlSQ_SR_N2at6native12_GLOBAL__N_18offset_tEEE10hipError_tPvRmT1_PNSt15iterator_traitsISZ_E10value_typeET2_T3_PNS10_IS15_E10value_typeET4_jRbjT5_S1B_jjP12ihipStream_tbEUljE_ZNSN_ISO_Lb1ESQ_SR_SQ_SR_SV_EESW_SX_SY_SZ_S13_S14_S15_S18_S19_jS1A_jS1B_S1B_jjS1D_bEUljE0_EEESW_SX_SY_S15_S19_S1B_T6_T7_T9_mT8_S1D_bDpT10_ENKUlT_T0_E_clISt17integral_constantIbLb1EES1Q_IbLb0EEEEDaS1M_S1N_EUlS1M_E_NS1_11comp_targetILNS1_3genE3ELNS1_11target_archE908ELNS1_3gpuE7ELNS1_3repE0EEENS1_30default_config_static_selectorELNS0_4arch9wavefront6targetE1EEEvSZ_
	.p2align	8
	.type	_ZN7rocprim17ROCPRIM_400000_NS6detail17trampoline_kernelINS0_13select_configILj256ELj13ELNS0_17block_load_methodE3ELS4_3ELS4_3ELNS0_20block_scan_algorithmE0ELj4294967295EEENS1_25partition_config_selectorILNS1_17partition_subalgoE4EjNS0_10empty_typeEbEEZZNS1_14partition_implILS8_4ELb0ES6_15HIP_vector_typeIjLj2EENS0_17counting_iteratorIjlEEPS9_SG_NS0_5tupleIJPjSI_NS0_16reverse_iteratorISI_EEEEENSH_IJSG_SG_SG_EEES9_SI_JZNS1_25segmented_radix_sort_implINS0_14default_configELb1EPKlPlSQ_SR_N2at6native12_GLOBAL__N_18offset_tEEE10hipError_tPvRmT1_PNSt15iterator_traitsISZ_E10value_typeET2_T3_PNS10_IS15_E10value_typeET4_jRbjT5_S1B_jjP12ihipStream_tbEUljE_ZNSN_ISO_Lb1ESQ_SR_SQ_SR_SV_EESW_SX_SY_SZ_S13_S14_S15_S18_S19_jS1A_jS1B_S1B_jjS1D_bEUljE0_EEESW_SX_SY_S15_S19_S1B_T6_T7_T9_mT8_S1D_bDpT10_ENKUlT_T0_E_clISt17integral_constantIbLb1EES1Q_IbLb0EEEEDaS1M_S1N_EUlS1M_E_NS1_11comp_targetILNS1_3genE3ELNS1_11target_archE908ELNS1_3gpuE7ELNS1_3repE0EEENS1_30default_config_static_selectorELNS0_4arch9wavefront6targetE1EEEvSZ_,@function
_ZN7rocprim17ROCPRIM_400000_NS6detail17trampoline_kernelINS0_13select_configILj256ELj13ELNS0_17block_load_methodE3ELS4_3ELS4_3ELNS0_20block_scan_algorithmE0ELj4294967295EEENS1_25partition_config_selectorILNS1_17partition_subalgoE4EjNS0_10empty_typeEbEEZZNS1_14partition_implILS8_4ELb0ES6_15HIP_vector_typeIjLj2EENS0_17counting_iteratorIjlEEPS9_SG_NS0_5tupleIJPjSI_NS0_16reverse_iteratorISI_EEEEENSH_IJSG_SG_SG_EEES9_SI_JZNS1_25segmented_radix_sort_implINS0_14default_configELb1EPKlPlSQ_SR_N2at6native12_GLOBAL__N_18offset_tEEE10hipError_tPvRmT1_PNSt15iterator_traitsISZ_E10value_typeET2_T3_PNS10_IS15_E10value_typeET4_jRbjT5_S1B_jjP12ihipStream_tbEUljE_ZNSN_ISO_Lb1ESQ_SR_SQ_SR_SV_EESW_SX_SY_SZ_S13_S14_S15_S18_S19_jS1A_jS1B_S1B_jjS1D_bEUljE0_EEESW_SX_SY_S15_S19_S1B_T6_T7_T9_mT8_S1D_bDpT10_ENKUlT_T0_E_clISt17integral_constantIbLb1EES1Q_IbLb0EEEEDaS1M_S1N_EUlS1M_E_NS1_11comp_targetILNS1_3genE3ELNS1_11target_archE908ELNS1_3gpuE7ELNS1_3repE0EEENS1_30default_config_static_selectorELNS0_4arch9wavefront6targetE1EEEvSZ_: ; @_ZN7rocprim17ROCPRIM_400000_NS6detail17trampoline_kernelINS0_13select_configILj256ELj13ELNS0_17block_load_methodE3ELS4_3ELS4_3ELNS0_20block_scan_algorithmE0ELj4294967295EEENS1_25partition_config_selectorILNS1_17partition_subalgoE4EjNS0_10empty_typeEbEEZZNS1_14partition_implILS8_4ELb0ES6_15HIP_vector_typeIjLj2EENS0_17counting_iteratorIjlEEPS9_SG_NS0_5tupleIJPjSI_NS0_16reverse_iteratorISI_EEEEENSH_IJSG_SG_SG_EEES9_SI_JZNS1_25segmented_radix_sort_implINS0_14default_configELb1EPKlPlSQ_SR_N2at6native12_GLOBAL__N_18offset_tEEE10hipError_tPvRmT1_PNSt15iterator_traitsISZ_E10value_typeET2_T3_PNS10_IS15_E10value_typeET4_jRbjT5_S1B_jjP12ihipStream_tbEUljE_ZNSN_ISO_Lb1ESQ_SR_SQ_SR_SV_EESW_SX_SY_SZ_S13_S14_S15_S18_S19_jS1A_jS1B_S1B_jjS1D_bEUljE0_EEESW_SX_SY_S15_S19_S1B_T6_T7_T9_mT8_S1D_bDpT10_ENKUlT_T0_E_clISt17integral_constantIbLb1EES1Q_IbLb0EEEEDaS1M_S1N_EUlS1M_E_NS1_11comp_targetILNS1_3genE3ELNS1_11target_archE908ELNS1_3gpuE7ELNS1_3repE0EEENS1_30default_config_static_selectorELNS0_4arch9wavefront6targetE1EEEvSZ_
; %bb.0:
	.section	.rodata,"a",@progbits
	.p2align	6, 0x0
	.amdhsa_kernel _ZN7rocprim17ROCPRIM_400000_NS6detail17trampoline_kernelINS0_13select_configILj256ELj13ELNS0_17block_load_methodE3ELS4_3ELS4_3ELNS0_20block_scan_algorithmE0ELj4294967295EEENS1_25partition_config_selectorILNS1_17partition_subalgoE4EjNS0_10empty_typeEbEEZZNS1_14partition_implILS8_4ELb0ES6_15HIP_vector_typeIjLj2EENS0_17counting_iteratorIjlEEPS9_SG_NS0_5tupleIJPjSI_NS0_16reverse_iteratorISI_EEEEENSH_IJSG_SG_SG_EEES9_SI_JZNS1_25segmented_radix_sort_implINS0_14default_configELb1EPKlPlSQ_SR_N2at6native12_GLOBAL__N_18offset_tEEE10hipError_tPvRmT1_PNSt15iterator_traitsISZ_E10value_typeET2_T3_PNS10_IS15_E10value_typeET4_jRbjT5_S1B_jjP12ihipStream_tbEUljE_ZNSN_ISO_Lb1ESQ_SR_SQ_SR_SV_EESW_SX_SY_SZ_S13_S14_S15_S18_S19_jS1A_jS1B_S1B_jjS1D_bEUljE0_EEESW_SX_SY_S15_S19_S1B_T6_T7_T9_mT8_S1D_bDpT10_ENKUlT_T0_E_clISt17integral_constantIbLb1EES1Q_IbLb0EEEEDaS1M_S1N_EUlS1M_E_NS1_11comp_targetILNS1_3genE3ELNS1_11target_archE908ELNS1_3gpuE7ELNS1_3repE0EEENS1_30default_config_static_selectorELNS0_4arch9wavefront6targetE1EEEvSZ_
		.amdhsa_group_segment_fixed_size 0
		.amdhsa_private_segment_fixed_size 0
		.amdhsa_kernarg_size 176
		.amdhsa_user_sgpr_count 6
		.amdhsa_user_sgpr_private_segment_buffer 1
		.amdhsa_user_sgpr_dispatch_ptr 0
		.amdhsa_user_sgpr_queue_ptr 0
		.amdhsa_user_sgpr_kernarg_segment_ptr 1
		.amdhsa_user_sgpr_dispatch_id 0
		.amdhsa_user_sgpr_flat_scratch_init 0
		.amdhsa_user_sgpr_kernarg_preload_length 0
		.amdhsa_user_sgpr_kernarg_preload_offset 0
		.amdhsa_user_sgpr_private_segment_size 0
		.amdhsa_uses_dynamic_stack 0
		.amdhsa_system_sgpr_private_segment_wavefront_offset 0
		.amdhsa_system_sgpr_workgroup_id_x 1
		.amdhsa_system_sgpr_workgroup_id_y 0
		.amdhsa_system_sgpr_workgroup_id_z 0
		.amdhsa_system_sgpr_workgroup_info 0
		.amdhsa_system_vgpr_workitem_id 0
		.amdhsa_next_free_vgpr 1
		.amdhsa_next_free_sgpr 0
		.amdhsa_accum_offset 4
		.amdhsa_reserve_vcc 0
		.amdhsa_reserve_flat_scratch 0
		.amdhsa_float_round_mode_32 0
		.amdhsa_float_round_mode_16_64 0
		.amdhsa_float_denorm_mode_32 3
		.amdhsa_float_denorm_mode_16_64 3
		.amdhsa_dx10_clamp 1
		.amdhsa_ieee_mode 1
		.amdhsa_fp16_overflow 0
		.amdhsa_tg_split 0
		.amdhsa_exception_fp_ieee_invalid_op 0
		.amdhsa_exception_fp_denorm_src 0
		.amdhsa_exception_fp_ieee_div_zero 0
		.amdhsa_exception_fp_ieee_overflow 0
		.amdhsa_exception_fp_ieee_underflow 0
		.amdhsa_exception_fp_ieee_inexact 0
		.amdhsa_exception_int_div_zero 0
	.end_amdhsa_kernel
	.section	.text._ZN7rocprim17ROCPRIM_400000_NS6detail17trampoline_kernelINS0_13select_configILj256ELj13ELNS0_17block_load_methodE3ELS4_3ELS4_3ELNS0_20block_scan_algorithmE0ELj4294967295EEENS1_25partition_config_selectorILNS1_17partition_subalgoE4EjNS0_10empty_typeEbEEZZNS1_14partition_implILS8_4ELb0ES6_15HIP_vector_typeIjLj2EENS0_17counting_iteratorIjlEEPS9_SG_NS0_5tupleIJPjSI_NS0_16reverse_iteratorISI_EEEEENSH_IJSG_SG_SG_EEES9_SI_JZNS1_25segmented_radix_sort_implINS0_14default_configELb1EPKlPlSQ_SR_N2at6native12_GLOBAL__N_18offset_tEEE10hipError_tPvRmT1_PNSt15iterator_traitsISZ_E10value_typeET2_T3_PNS10_IS15_E10value_typeET4_jRbjT5_S1B_jjP12ihipStream_tbEUljE_ZNSN_ISO_Lb1ESQ_SR_SQ_SR_SV_EESW_SX_SY_SZ_S13_S14_S15_S18_S19_jS1A_jS1B_S1B_jjS1D_bEUljE0_EEESW_SX_SY_S15_S19_S1B_T6_T7_T9_mT8_S1D_bDpT10_ENKUlT_T0_E_clISt17integral_constantIbLb1EES1Q_IbLb0EEEEDaS1M_S1N_EUlS1M_E_NS1_11comp_targetILNS1_3genE3ELNS1_11target_archE908ELNS1_3gpuE7ELNS1_3repE0EEENS1_30default_config_static_selectorELNS0_4arch9wavefront6targetE1EEEvSZ_,"axG",@progbits,_ZN7rocprim17ROCPRIM_400000_NS6detail17trampoline_kernelINS0_13select_configILj256ELj13ELNS0_17block_load_methodE3ELS4_3ELS4_3ELNS0_20block_scan_algorithmE0ELj4294967295EEENS1_25partition_config_selectorILNS1_17partition_subalgoE4EjNS0_10empty_typeEbEEZZNS1_14partition_implILS8_4ELb0ES6_15HIP_vector_typeIjLj2EENS0_17counting_iteratorIjlEEPS9_SG_NS0_5tupleIJPjSI_NS0_16reverse_iteratorISI_EEEEENSH_IJSG_SG_SG_EEES9_SI_JZNS1_25segmented_radix_sort_implINS0_14default_configELb1EPKlPlSQ_SR_N2at6native12_GLOBAL__N_18offset_tEEE10hipError_tPvRmT1_PNSt15iterator_traitsISZ_E10value_typeET2_T3_PNS10_IS15_E10value_typeET4_jRbjT5_S1B_jjP12ihipStream_tbEUljE_ZNSN_ISO_Lb1ESQ_SR_SQ_SR_SV_EESW_SX_SY_SZ_S13_S14_S15_S18_S19_jS1A_jS1B_S1B_jjS1D_bEUljE0_EEESW_SX_SY_S15_S19_S1B_T6_T7_T9_mT8_S1D_bDpT10_ENKUlT_T0_E_clISt17integral_constantIbLb1EES1Q_IbLb0EEEEDaS1M_S1N_EUlS1M_E_NS1_11comp_targetILNS1_3genE3ELNS1_11target_archE908ELNS1_3gpuE7ELNS1_3repE0EEENS1_30default_config_static_selectorELNS0_4arch9wavefront6targetE1EEEvSZ_,comdat
.Lfunc_end659:
	.size	_ZN7rocprim17ROCPRIM_400000_NS6detail17trampoline_kernelINS0_13select_configILj256ELj13ELNS0_17block_load_methodE3ELS4_3ELS4_3ELNS0_20block_scan_algorithmE0ELj4294967295EEENS1_25partition_config_selectorILNS1_17partition_subalgoE4EjNS0_10empty_typeEbEEZZNS1_14partition_implILS8_4ELb0ES6_15HIP_vector_typeIjLj2EENS0_17counting_iteratorIjlEEPS9_SG_NS0_5tupleIJPjSI_NS0_16reverse_iteratorISI_EEEEENSH_IJSG_SG_SG_EEES9_SI_JZNS1_25segmented_radix_sort_implINS0_14default_configELb1EPKlPlSQ_SR_N2at6native12_GLOBAL__N_18offset_tEEE10hipError_tPvRmT1_PNSt15iterator_traitsISZ_E10value_typeET2_T3_PNS10_IS15_E10value_typeET4_jRbjT5_S1B_jjP12ihipStream_tbEUljE_ZNSN_ISO_Lb1ESQ_SR_SQ_SR_SV_EESW_SX_SY_SZ_S13_S14_S15_S18_S19_jS1A_jS1B_S1B_jjS1D_bEUljE0_EEESW_SX_SY_S15_S19_S1B_T6_T7_T9_mT8_S1D_bDpT10_ENKUlT_T0_E_clISt17integral_constantIbLb1EES1Q_IbLb0EEEEDaS1M_S1N_EUlS1M_E_NS1_11comp_targetILNS1_3genE3ELNS1_11target_archE908ELNS1_3gpuE7ELNS1_3repE0EEENS1_30default_config_static_selectorELNS0_4arch9wavefront6targetE1EEEvSZ_, .Lfunc_end659-_ZN7rocprim17ROCPRIM_400000_NS6detail17trampoline_kernelINS0_13select_configILj256ELj13ELNS0_17block_load_methodE3ELS4_3ELS4_3ELNS0_20block_scan_algorithmE0ELj4294967295EEENS1_25partition_config_selectorILNS1_17partition_subalgoE4EjNS0_10empty_typeEbEEZZNS1_14partition_implILS8_4ELb0ES6_15HIP_vector_typeIjLj2EENS0_17counting_iteratorIjlEEPS9_SG_NS0_5tupleIJPjSI_NS0_16reverse_iteratorISI_EEEEENSH_IJSG_SG_SG_EEES9_SI_JZNS1_25segmented_radix_sort_implINS0_14default_configELb1EPKlPlSQ_SR_N2at6native12_GLOBAL__N_18offset_tEEE10hipError_tPvRmT1_PNSt15iterator_traitsISZ_E10value_typeET2_T3_PNS10_IS15_E10value_typeET4_jRbjT5_S1B_jjP12ihipStream_tbEUljE_ZNSN_ISO_Lb1ESQ_SR_SQ_SR_SV_EESW_SX_SY_SZ_S13_S14_S15_S18_S19_jS1A_jS1B_S1B_jjS1D_bEUljE0_EEESW_SX_SY_S15_S19_S1B_T6_T7_T9_mT8_S1D_bDpT10_ENKUlT_T0_E_clISt17integral_constantIbLb1EES1Q_IbLb0EEEEDaS1M_S1N_EUlS1M_E_NS1_11comp_targetILNS1_3genE3ELNS1_11target_archE908ELNS1_3gpuE7ELNS1_3repE0EEENS1_30default_config_static_selectorELNS0_4arch9wavefront6targetE1EEEvSZ_
                                        ; -- End function
	.section	.AMDGPU.csdata,"",@progbits
; Kernel info:
; codeLenInByte = 0
; NumSgprs: 4
; NumVgprs: 0
; NumAgprs: 0
; TotalNumVgprs: 0
; ScratchSize: 0
; MemoryBound: 0
; FloatMode: 240
; IeeeMode: 1
; LDSByteSize: 0 bytes/workgroup (compile time only)
; SGPRBlocks: 0
; VGPRBlocks: 0
; NumSGPRsForWavesPerEU: 4
; NumVGPRsForWavesPerEU: 1
; AccumOffset: 4
; Occupancy: 8
; WaveLimiterHint : 0
; COMPUTE_PGM_RSRC2:SCRATCH_EN: 0
; COMPUTE_PGM_RSRC2:USER_SGPR: 6
; COMPUTE_PGM_RSRC2:TRAP_HANDLER: 0
; COMPUTE_PGM_RSRC2:TGID_X_EN: 1
; COMPUTE_PGM_RSRC2:TGID_Y_EN: 0
; COMPUTE_PGM_RSRC2:TGID_Z_EN: 0
; COMPUTE_PGM_RSRC2:TIDIG_COMP_CNT: 0
; COMPUTE_PGM_RSRC3_GFX90A:ACCUM_OFFSET: 0
; COMPUTE_PGM_RSRC3_GFX90A:TG_SPLIT: 0
	.section	.text._ZN7rocprim17ROCPRIM_400000_NS6detail17trampoline_kernelINS0_13select_configILj256ELj13ELNS0_17block_load_methodE3ELS4_3ELS4_3ELNS0_20block_scan_algorithmE0ELj4294967295EEENS1_25partition_config_selectorILNS1_17partition_subalgoE4EjNS0_10empty_typeEbEEZZNS1_14partition_implILS8_4ELb0ES6_15HIP_vector_typeIjLj2EENS0_17counting_iteratorIjlEEPS9_SG_NS0_5tupleIJPjSI_NS0_16reverse_iteratorISI_EEEEENSH_IJSG_SG_SG_EEES9_SI_JZNS1_25segmented_radix_sort_implINS0_14default_configELb1EPKlPlSQ_SR_N2at6native12_GLOBAL__N_18offset_tEEE10hipError_tPvRmT1_PNSt15iterator_traitsISZ_E10value_typeET2_T3_PNS10_IS15_E10value_typeET4_jRbjT5_S1B_jjP12ihipStream_tbEUljE_ZNSN_ISO_Lb1ESQ_SR_SQ_SR_SV_EESW_SX_SY_SZ_S13_S14_S15_S18_S19_jS1A_jS1B_S1B_jjS1D_bEUljE0_EEESW_SX_SY_S15_S19_S1B_T6_T7_T9_mT8_S1D_bDpT10_ENKUlT_T0_E_clISt17integral_constantIbLb1EES1Q_IbLb0EEEEDaS1M_S1N_EUlS1M_E_NS1_11comp_targetILNS1_3genE2ELNS1_11target_archE906ELNS1_3gpuE6ELNS1_3repE0EEENS1_30default_config_static_selectorELNS0_4arch9wavefront6targetE1EEEvSZ_,"axG",@progbits,_ZN7rocprim17ROCPRIM_400000_NS6detail17trampoline_kernelINS0_13select_configILj256ELj13ELNS0_17block_load_methodE3ELS4_3ELS4_3ELNS0_20block_scan_algorithmE0ELj4294967295EEENS1_25partition_config_selectorILNS1_17partition_subalgoE4EjNS0_10empty_typeEbEEZZNS1_14partition_implILS8_4ELb0ES6_15HIP_vector_typeIjLj2EENS0_17counting_iteratorIjlEEPS9_SG_NS0_5tupleIJPjSI_NS0_16reverse_iteratorISI_EEEEENSH_IJSG_SG_SG_EEES9_SI_JZNS1_25segmented_radix_sort_implINS0_14default_configELb1EPKlPlSQ_SR_N2at6native12_GLOBAL__N_18offset_tEEE10hipError_tPvRmT1_PNSt15iterator_traitsISZ_E10value_typeET2_T3_PNS10_IS15_E10value_typeET4_jRbjT5_S1B_jjP12ihipStream_tbEUljE_ZNSN_ISO_Lb1ESQ_SR_SQ_SR_SV_EESW_SX_SY_SZ_S13_S14_S15_S18_S19_jS1A_jS1B_S1B_jjS1D_bEUljE0_EEESW_SX_SY_S15_S19_S1B_T6_T7_T9_mT8_S1D_bDpT10_ENKUlT_T0_E_clISt17integral_constantIbLb1EES1Q_IbLb0EEEEDaS1M_S1N_EUlS1M_E_NS1_11comp_targetILNS1_3genE2ELNS1_11target_archE906ELNS1_3gpuE6ELNS1_3repE0EEENS1_30default_config_static_selectorELNS0_4arch9wavefront6targetE1EEEvSZ_,comdat
	.globl	_ZN7rocprim17ROCPRIM_400000_NS6detail17trampoline_kernelINS0_13select_configILj256ELj13ELNS0_17block_load_methodE3ELS4_3ELS4_3ELNS0_20block_scan_algorithmE0ELj4294967295EEENS1_25partition_config_selectorILNS1_17partition_subalgoE4EjNS0_10empty_typeEbEEZZNS1_14partition_implILS8_4ELb0ES6_15HIP_vector_typeIjLj2EENS0_17counting_iteratorIjlEEPS9_SG_NS0_5tupleIJPjSI_NS0_16reverse_iteratorISI_EEEEENSH_IJSG_SG_SG_EEES9_SI_JZNS1_25segmented_radix_sort_implINS0_14default_configELb1EPKlPlSQ_SR_N2at6native12_GLOBAL__N_18offset_tEEE10hipError_tPvRmT1_PNSt15iterator_traitsISZ_E10value_typeET2_T3_PNS10_IS15_E10value_typeET4_jRbjT5_S1B_jjP12ihipStream_tbEUljE_ZNSN_ISO_Lb1ESQ_SR_SQ_SR_SV_EESW_SX_SY_SZ_S13_S14_S15_S18_S19_jS1A_jS1B_S1B_jjS1D_bEUljE0_EEESW_SX_SY_S15_S19_S1B_T6_T7_T9_mT8_S1D_bDpT10_ENKUlT_T0_E_clISt17integral_constantIbLb1EES1Q_IbLb0EEEEDaS1M_S1N_EUlS1M_E_NS1_11comp_targetILNS1_3genE2ELNS1_11target_archE906ELNS1_3gpuE6ELNS1_3repE0EEENS1_30default_config_static_selectorELNS0_4arch9wavefront6targetE1EEEvSZ_ ; -- Begin function _ZN7rocprim17ROCPRIM_400000_NS6detail17trampoline_kernelINS0_13select_configILj256ELj13ELNS0_17block_load_methodE3ELS4_3ELS4_3ELNS0_20block_scan_algorithmE0ELj4294967295EEENS1_25partition_config_selectorILNS1_17partition_subalgoE4EjNS0_10empty_typeEbEEZZNS1_14partition_implILS8_4ELb0ES6_15HIP_vector_typeIjLj2EENS0_17counting_iteratorIjlEEPS9_SG_NS0_5tupleIJPjSI_NS0_16reverse_iteratorISI_EEEEENSH_IJSG_SG_SG_EEES9_SI_JZNS1_25segmented_radix_sort_implINS0_14default_configELb1EPKlPlSQ_SR_N2at6native12_GLOBAL__N_18offset_tEEE10hipError_tPvRmT1_PNSt15iterator_traitsISZ_E10value_typeET2_T3_PNS10_IS15_E10value_typeET4_jRbjT5_S1B_jjP12ihipStream_tbEUljE_ZNSN_ISO_Lb1ESQ_SR_SQ_SR_SV_EESW_SX_SY_SZ_S13_S14_S15_S18_S19_jS1A_jS1B_S1B_jjS1D_bEUljE0_EEESW_SX_SY_S15_S19_S1B_T6_T7_T9_mT8_S1D_bDpT10_ENKUlT_T0_E_clISt17integral_constantIbLb1EES1Q_IbLb0EEEEDaS1M_S1N_EUlS1M_E_NS1_11comp_targetILNS1_3genE2ELNS1_11target_archE906ELNS1_3gpuE6ELNS1_3repE0EEENS1_30default_config_static_selectorELNS0_4arch9wavefront6targetE1EEEvSZ_
	.p2align	8
	.type	_ZN7rocprim17ROCPRIM_400000_NS6detail17trampoline_kernelINS0_13select_configILj256ELj13ELNS0_17block_load_methodE3ELS4_3ELS4_3ELNS0_20block_scan_algorithmE0ELj4294967295EEENS1_25partition_config_selectorILNS1_17partition_subalgoE4EjNS0_10empty_typeEbEEZZNS1_14partition_implILS8_4ELb0ES6_15HIP_vector_typeIjLj2EENS0_17counting_iteratorIjlEEPS9_SG_NS0_5tupleIJPjSI_NS0_16reverse_iteratorISI_EEEEENSH_IJSG_SG_SG_EEES9_SI_JZNS1_25segmented_radix_sort_implINS0_14default_configELb1EPKlPlSQ_SR_N2at6native12_GLOBAL__N_18offset_tEEE10hipError_tPvRmT1_PNSt15iterator_traitsISZ_E10value_typeET2_T3_PNS10_IS15_E10value_typeET4_jRbjT5_S1B_jjP12ihipStream_tbEUljE_ZNSN_ISO_Lb1ESQ_SR_SQ_SR_SV_EESW_SX_SY_SZ_S13_S14_S15_S18_S19_jS1A_jS1B_S1B_jjS1D_bEUljE0_EEESW_SX_SY_S15_S19_S1B_T6_T7_T9_mT8_S1D_bDpT10_ENKUlT_T0_E_clISt17integral_constantIbLb1EES1Q_IbLb0EEEEDaS1M_S1N_EUlS1M_E_NS1_11comp_targetILNS1_3genE2ELNS1_11target_archE906ELNS1_3gpuE6ELNS1_3repE0EEENS1_30default_config_static_selectorELNS0_4arch9wavefront6targetE1EEEvSZ_,@function
_ZN7rocprim17ROCPRIM_400000_NS6detail17trampoline_kernelINS0_13select_configILj256ELj13ELNS0_17block_load_methodE3ELS4_3ELS4_3ELNS0_20block_scan_algorithmE0ELj4294967295EEENS1_25partition_config_selectorILNS1_17partition_subalgoE4EjNS0_10empty_typeEbEEZZNS1_14partition_implILS8_4ELb0ES6_15HIP_vector_typeIjLj2EENS0_17counting_iteratorIjlEEPS9_SG_NS0_5tupleIJPjSI_NS0_16reverse_iteratorISI_EEEEENSH_IJSG_SG_SG_EEES9_SI_JZNS1_25segmented_radix_sort_implINS0_14default_configELb1EPKlPlSQ_SR_N2at6native12_GLOBAL__N_18offset_tEEE10hipError_tPvRmT1_PNSt15iterator_traitsISZ_E10value_typeET2_T3_PNS10_IS15_E10value_typeET4_jRbjT5_S1B_jjP12ihipStream_tbEUljE_ZNSN_ISO_Lb1ESQ_SR_SQ_SR_SV_EESW_SX_SY_SZ_S13_S14_S15_S18_S19_jS1A_jS1B_S1B_jjS1D_bEUljE0_EEESW_SX_SY_S15_S19_S1B_T6_T7_T9_mT8_S1D_bDpT10_ENKUlT_T0_E_clISt17integral_constantIbLb1EES1Q_IbLb0EEEEDaS1M_S1N_EUlS1M_E_NS1_11comp_targetILNS1_3genE2ELNS1_11target_archE906ELNS1_3gpuE6ELNS1_3repE0EEENS1_30default_config_static_selectorELNS0_4arch9wavefront6targetE1EEEvSZ_: ; @_ZN7rocprim17ROCPRIM_400000_NS6detail17trampoline_kernelINS0_13select_configILj256ELj13ELNS0_17block_load_methodE3ELS4_3ELS4_3ELNS0_20block_scan_algorithmE0ELj4294967295EEENS1_25partition_config_selectorILNS1_17partition_subalgoE4EjNS0_10empty_typeEbEEZZNS1_14partition_implILS8_4ELb0ES6_15HIP_vector_typeIjLj2EENS0_17counting_iteratorIjlEEPS9_SG_NS0_5tupleIJPjSI_NS0_16reverse_iteratorISI_EEEEENSH_IJSG_SG_SG_EEES9_SI_JZNS1_25segmented_radix_sort_implINS0_14default_configELb1EPKlPlSQ_SR_N2at6native12_GLOBAL__N_18offset_tEEE10hipError_tPvRmT1_PNSt15iterator_traitsISZ_E10value_typeET2_T3_PNS10_IS15_E10value_typeET4_jRbjT5_S1B_jjP12ihipStream_tbEUljE_ZNSN_ISO_Lb1ESQ_SR_SQ_SR_SV_EESW_SX_SY_SZ_S13_S14_S15_S18_S19_jS1A_jS1B_S1B_jjS1D_bEUljE0_EEESW_SX_SY_S15_S19_S1B_T6_T7_T9_mT8_S1D_bDpT10_ENKUlT_T0_E_clISt17integral_constantIbLb1EES1Q_IbLb0EEEEDaS1M_S1N_EUlS1M_E_NS1_11comp_targetILNS1_3genE2ELNS1_11target_archE906ELNS1_3gpuE6ELNS1_3repE0EEENS1_30default_config_static_selectorELNS0_4arch9wavefront6targetE1EEEvSZ_
; %bb.0:
	.section	.rodata,"a",@progbits
	.p2align	6, 0x0
	.amdhsa_kernel _ZN7rocprim17ROCPRIM_400000_NS6detail17trampoline_kernelINS0_13select_configILj256ELj13ELNS0_17block_load_methodE3ELS4_3ELS4_3ELNS0_20block_scan_algorithmE0ELj4294967295EEENS1_25partition_config_selectorILNS1_17partition_subalgoE4EjNS0_10empty_typeEbEEZZNS1_14partition_implILS8_4ELb0ES6_15HIP_vector_typeIjLj2EENS0_17counting_iteratorIjlEEPS9_SG_NS0_5tupleIJPjSI_NS0_16reverse_iteratorISI_EEEEENSH_IJSG_SG_SG_EEES9_SI_JZNS1_25segmented_radix_sort_implINS0_14default_configELb1EPKlPlSQ_SR_N2at6native12_GLOBAL__N_18offset_tEEE10hipError_tPvRmT1_PNSt15iterator_traitsISZ_E10value_typeET2_T3_PNS10_IS15_E10value_typeET4_jRbjT5_S1B_jjP12ihipStream_tbEUljE_ZNSN_ISO_Lb1ESQ_SR_SQ_SR_SV_EESW_SX_SY_SZ_S13_S14_S15_S18_S19_jS1A_jS1B_S1B_jjS1D_bEUljE0_EEESW_SX_SY_S15_S19_S1B_T6_T7_T9_mT8_S1D_bDpT10_ENKUlT_T0_E_clISt17integral_constantIbLb1EES1Q_IbLb0EEEEDaS1M_S1N_EUlS1M_E_NS1_11comp_targetILNS1_3genE2ELNS1_11target_archE906ELNS1_3gpuE6ELNS1_3repE0EEENS1_30default_config_static_selectorELNS0_4arch9wavefront6targetE1EEEvSZ_
		.amdhsa_group_segment_fixed_size 0
		.amdhsa_private_segment_fixed_size 0
		.amdhsa_kernarg_size 176
		.amdhsa_user_sgpr_count 6
		.amdhsa_user_sgpr_private_segment_buffer 1
		.amdhsa_user_sgpr_dispatch_ptr 0
		.amdhsa_user_sgpr_queue_ptr 0
		.amdhsa_user_sgpr_kernarg_segment_ptr 1
		.amdhsa_user_sgpr_dispatch_id 0
		.amdhsa_user_sgpr_flat_scratch_init 0
		.amdhsa_user_sgpr_kernarg_preload_length 0
		.amdhsa_user_sgpr_kernarg_preload_offset 0
		.amdhsa_user_sgpr_private_segment_size 0
		.amdhsa_uses_dynamic_stack 0
		.amdhsa_system_sgpr_private_segment_wavefront_offset 0
		.amdhsa_system_sgpr_workgroup_id_x 1
		.amdhsa_system_sgpr_workgroup_id_y 0
		.amdhsa_system_sgpr_workgroup_id_z 0
		.amdhsa_system_sgpr_workgroup_info 0
		.amdhsa_system_vgpr_workitem_id 0
		.amdhsa_next_free_vgpr 1
		.amdhsa_next_free_sgpr 0
		.amdhsa_accum_offset 4
		.amdhsa_reserve_vcc 0
		.amdhsa_reserve_flat_scratch 0
		.amdhsa_float_round_mode_32 0
		.amdhsa_float_round_mode_16_64 0
		.amdhsa_float_denorm_mode_32 3
		.amdhsa_float_denorm_mode_16_64 3
		.amdhsa_dx10_clamp 1
		.amdhsa_ieee_mode 1
		.amdhsa_fp16_overflow 0
		.amdhsa_tg_split 0
		.amdhsa_exception_fp_ieee_invalid_op 0
		.amdhsa_exception_fp_denorm_src 0
		.amdhsa_exception_fp_ieee_div_zero 0
		.amdhsa_exception_fp_ieee_overflow 0
		.amdhsa_exception_fp_ieee_underflow 0
		.amdhsa_exception_fp_ieee_inexact 0
		.amdhsa_exception_int_div_zero 0
	.end_amdhsa_kernel
	.section	.text._ZN7rocprim17ROCPRIM_400000_NS6detail17trampoline_kernelINS0_13select_configILj256ELj13ELNS0_17block_load_methodE3ELS4_3ELS4_3ELNS0_20block_scan_algorithmE0ELj4294967295EEENS1_25partition_config_selectorILNS1_17partition_subalgoE4EjNS0_10empty_typeEbEEZZNS1_14partition_implILS8_4ELb0ES6_15HIP_vector_typeIjLj2EENS0_17counting_iteratorIjlEEPS9_SG_NS0_5tupleIJPjSI_NS0_16reverse_iteratorISI_EEEEENSH_IJSG_SG_SG_EEES9_SI_JZNS1_25segmented_radix_sort_implINS0_14default_configELb1EPKlPlSQ_SR_N2at6native12_GLOBAL__N_18offset_tEEE10hipError_tPvRmT1_PNSt15iterator_traitsISZ_E10value_typeET2_T3_PNS10_IS15_E10value_typeET4_jRbjT5_S1B_jjP12ihipStream_tbEUljE_ZNSN_ISO_Lb1ESQ_SR_SQ_SR_SV_EESW_SX_SY_SZ_S13_S14_S15_S18_S19_jS1A_jS1B_S1B_jjS1D_bEUljE0_EEESW_SX_SY_S15_S19_S1B_T6_T7_T9_mT8_S1D_bDpT10_ENKUlT_T0_E_clISt17integral_constantIbLb1EES1Q_IbLb0EEEEDaS1M_S1N_EUlS1M_E_NS1_11comp_targetILNS1_3genE2ELNS1_11target_archE906ELNS1_3gpuE6ELNS1_3repE0EEENS1_30default_config_static_selectorELNS0_4arch9wavefront6targetE1EEEvSZ_,"axG",@progbits,_ZN7rocprim17ROCPRIM_400000_NS6detail17trampoline_kernelINS0_13select_configILj256ELj13ELNS0_17block_load_methodE3ELS4_3ELS4_3ELNS0_20block_scan_algorithmE0ELj4294967295EEENS1_25partition_config_selectorILNS1_17partition_subalgoE4EjNS0_10empty_typeEbEEZZNS1_14partition_implILS8_4ELb0ES6_15HIP_vector_typeIjLj2EENS0_17counting_iteratorIjlEEPS9_SG_NS0_5tupleIJPjSI_NS0_16reverse_iteratorISI_EEEEENSH_IJSG_SG_SG_EEES9_SI_JZNS1_25segmented_radix_sort_implINS0_14default_configELb1EPKlPlSQ_SR_N2at6native12_GLOBAL__N_18offset_tEEE10hipError_tPvRmT1_PNSt15iterator_traitsISZ_E10value_typeET2_T3_PNS10_IS15_E10value_typeET4_jRbjT5_S1B_jjP12ihipStream_tbEUljE_ZNSN_ISO_Lb1ESQ_SR_SQ_SR_SV_EESW_SX_SY_SZ_S13_S14_S15_S18_S19_jS1A_jS1B_S1B_jjS1D_bEUljE0_EEESW_SX_SY_S15_S19_S1B_T6_T7_T9_mT8_S1D_bDpT10_ENKUlT_T0_E_clISt17integral_constantIbLb1EES1Q_IbLb0EEEEDaS1M_S1N_EUlS1M_E_NS1_11comp_targetILNS1_3genE2ELNS1_11target_archE906ELNS1_3gpuE6ELNS1_3repE0EEENS1_30default_config_static_selectorELNS0_4arch9wavefront6targetE1EEEvSZ_,comdat
.Lfunc_end660:
	.size	_ZN7rocprim17ROCPRIM_400000_NS6detail17trampoline_kernelINS0_13select_configILj256ELj13ELNS0_17block_load_methodE3ELS4_3ELS4_3ELNS0_20block_scan_algorithmE0ELj4294967295EEENS1_25partition_config_selectorILNS1_17partition_subalgoE4EjNS0_10empty_typeEbEEZZNS1_14partition_implILS8_4ELb0ES6_15HIP_vector_typeIjLj2EENS0_17counting_iteratorIjlEEPS9_SG_NS0_5tupleIJPjSI_NS0_16reverse_iteratorISI_EEEEENSH_IJSG_SG_SG_EEES9_SI_JZNS1_25segmented_radix_sort_implINS0_14default_configELb1EPKlPlSQ_SR_N2at6native12_GLOBAL__N_18offset_tEEE10hipError_tPvRmT1_PNSt15iterator_traitsISZ_E10value_typeET2_T3_PNS10_IS15_E10value_typeET4_jRbjT5_S1B_jjP12ihipStream_tbEUljE_ZNSN_ISO_Lb1ESQ_SR_SQ_SR_SV_EESW_SX_SY_SZ_S13_S14_S15_S18_S19_jS1A_jS1B_S1B_jjS1D_bEUljE0_EEESW_SX_SY_S15_S19_S1B_T6_T7_T9_mT8_S1D_bDpT10_ENKUlT_T0_E_clISt17integral_constantIbLb1EES1Q_IbLb0EEEEDaS1M_S1N_EUlS1M_E_NS1_11comp_targetILNS1_3genE2ELNS1_11target_archE906ELNS1_3gpuE6ELNS1_3repE0EEENS1_30default_config_static_selectorELNS0_4arch9wavefront6targetE1EEEvSZ_, .Lfunc_end660-_ZN7rocprim17ROCPRIM_400000_NS6detail17trampoline_kernelINS0_13select_configILj256ELj13ELNS0_17block_load_methodE3ELS4_3ELS4_3ELNS0_20block_scan_algorithmE0ELj4294967295EEENS1_25partition_config_selectorILNS1_17partition_subalgoE4EjNS0_10empty_typeEbEEZZNS1_14partition_implILS8_4ELb0ES6_15HIP_vector_typeIjLj2EENS0_17counting_iteratorIjlEEPS9_SG_NS0_5tupleIJPjSI_NS0_16reverse_iteratorISI_EEEEENSH_IJSG_SG_SG_EEES9_SI_JZNS1_25segmented_radix_sort_implINS0_14default_configELb1EPKlPlSQ_SR_N2at6native12_GLOBAL__N_18offset_tEEE10hipError_tPvRmT1_PNSt15iterator_traitsISZ_E10value_typeET2_T3_PNS10_IS15_E10value_typeET4_jRbjT5_S1B_jjP12ihipStream_tbEUljE_ZNSN_ISO_Lb1ESQ_SR_SQ_SR_SV_EESW_SX_SY_SZ_S13_S14_S15_S18_S19_jS1A_jS1B_S1B_jjS1D_bEUljE0_EEESW_SX_SY_S15_S19_S1B_T6_T7_T9_mT8_S1D_bDpT10_ENKUlT_T0_E_clISt17integral_constantIbLb1EES1Q_IbLb0EEEEDaS1M_S1N_EUlS1M_E_NS1_11comp_targetILNS1_3genE2ELNS1_11target_archE906ELNS1_3gpuE6ELNS1_3repE0EEENS1_30default_config_static_selectorELNS0_4arch9wavefront6targetE1EEEvSZ_
                                        ; -- End function
	.section	.AMDGPU.csdata,"",@progbits
; Kernel info:
; codeLenInByte = 0
; NumSgprs: 4
; NumVgprs: 0
; NumAgprs: 0
; TotalNumVgprs: 0
; ScratchSize: 0
; MemoryBound: 0
; FloatMode: 240
; IeeeMode: 1
; LDSByteSize: 0 bytes/workgroup (compile time only)
; SGPRBlocks: 0
; VGPRBlocks: 0
; NumSGPRsForWavesPerEU: 4
; NumVGPRsForWavesPerEU: 1
; AccumOffset: 4
; Occupancy: 8
; WaveLimiterHint : 0
; COMPUTE_PGM_RSRC2:SCRATCH_EN: 0
; COMPUTE_PGM_RSRC2:USER_SGPR: 6
; COMPUTE_PGM_RSRC2:TRAP_HANDLER: 0
; COMPUTE_PGM_RSRC2:TGID_X_EN: 1
; COMPUTE_PGM_RSRC2:TGID_Y_EN: 0
; COMPUTE_PGM_RSRC2:TGID_Z_EN: 0
; COMPUTE_PGM_RSRC2:TIDIG_COMP_CNT: 0
; COMPUTE_PGM_RSRC3_GFX90A:ACCUM_OFFSET: 0
; COMPUTE_PGM_RSRC3_GFX90A:TG_SPLIT: 0
	.section	.text._ZN7rocprim17ROCPRIM_400000_NS6detail17trampoline_kernelINS0_13select_configILj256ELj13ELNS0_17block_load_methodE3ELS4_3ELS4_3ELNS0_20block_scan_algorithmE0ELj4294967295EEENS1_25partition_config_selectorILNS1_17partition_subalgoE4EjNS0_10empty_typeEbEEZZNS1_14partition_implILS8_4ELb0ES6_15HIP_vector_typeIjLj2EENS0_17counting_iteratorIjlEEPS9_SG_NS0_5tupleIJPjSI_NS0_16reverse_iteratorISI_EEEEENSH_IJSG_SG_SG_EEES9_SI_JZNS1_25segmented_radix_sort_implINS0_14default_configELb1EPKlPlSQ_SR_N2at6native12_GLOBAL__N_18offset_tEEE10hipError_tPvRmT1_PNSt15iterator_traitsISZ_E10value_typeET2_T3_PNS10_IS15_E10value_typeET4_jRbjT5_S1B_jjP12ihipStream_tbEUljE_ZNSN_ISO_Lb1ESQ_SR_SQ_SR_SV_EESW_SX_SY_SZ_S13_S14_S15_S18_S19_jS1A_jS1B_S1B_jjS1D_bEUljE0_EEESW_SX_SY_S15_S19_S1B_T6_T7_T9_mT8_S1D_bDpT10_ENKUlT_T0_E_clISt17integral_constantIbLb1EES1Q_IbLb0EEEEDaS1M_S1N_EUlS1M_E_NS1_11comp_targetILNS1_3genE10ELNS1_11target_archE1200ELNS1_3gpuE4ELNS1_3repE0EEENS1_30default_config_static_selectorELNS0_4arch9wavefront6targetE1EEEvSZ_,"axG",@progbits,_ZN7rocprim17ROCPRIM_400000_NS6detail17trampoline_kernelINS0_13select_configILj256ELj13ELNS0_17block_load_methodE3ELS4_3ELS4_3ELNS0_20block_scan_algorithmE0ELj4294967295EEENS1_25partition_config_selectorILNS1_17partition_subalgoE4EjNS0_10empty_typeEbEEZZNS1_14partition_implILS8_4ELb0ES6_15HIP_vector_typeIjLj2EENS0_17counting_iteratorIjlEEPS9_SG_NS0_5tupleIJPjSI_NS0_16reverse_iteratorISI_EEEEENSH_IJSG_SG_SG_EEES9_SI_JZNS1_25segmented_radix_sort_implINS0_14default_configELb1EPKlPlSQ_SR_N2at6native12_GLOBAL__N_18offset_tEEE10hipError_tPvRmT1_PNSt15iterator_traitsISZ_E10value_typeET2_T3_PNS10_IS15_E10value_typeET4_jRbjT5_S1B_jjP12ihipStream_tbEUljE_ZNSN_ISO_Lb1ESQ_SR_SQ_SR_SV_EESW_SX_SY_SZ_S13_S14_S15_S18_S19_jS1A_jS1B_S1B_jjS1D_bEUljE0_EEESW_SX_SY_S15_S19_S1B_T6_T7_T9_mT8_S1D_bDpT10_ENKUlT_T0_E_clISt17integral_constantIbLb1EES1Q_IbLb0EEEEDaS1M_S1N_EUlS1M_E_NS1_11comp_targetILNS1_3genE10ELNS1_11target_archE1200ELNS1_3gpuE4ELNS1_3repE0EEENS1_30default_config_static_selectorELNS0_4arch9wavefront6targetE1EEEvSZ_,comdat
	.globl	_ZN7rocprim17ROCPRIM_400000_NS6detail17trampoline_kernelINS0_13select_configILj256ELj13ELNS0_17block_load_methodE3ELS4_3ELS4_3ELNS0_20block_scan_algorithmE0ELj4294967295EEENS1_25partition_config_selectorILNS1_17partition_subalgoE4EjNS0_10empty_typeEbEEZZNS1_14partition_implILS8_4ELb0ES6_15HIP_vector_typeIjLj2EENS0_17counting_iteratorIjlEEPS9_SG_NS0_5tupleIJPjSI_NS0_16reverse_iteratorISI_EEEEENSH_IJSG_SG_SG_EEES9_SI_JZNS1_25segmented_radix_sort_implINS0_14default_configELb1EPKlPlSQ_SR_N2at6native12_GLOBAL__N_18offset_tEEE10hipError_tPvRmT1_PNSt15iterator_traitsISZ_E10value_typeET2_T3_PNS10_IS15_E10value_typeET4_jRbjT5_S1B_jjP12ihipStream_tbEUljE_ZNSN_ISO_Lb1ESQ_SR_SQ_SR_SV_EESW_SX_SY_SZ_S13_S14_S15_S18_S19_jS1A_jS1B_S1B_jjS1D_bEUljE0_EEESW_SX_SY_S15_S19_S1B_T6_T7_T9_mT8_S1D_bDpT10_ENKUlT_T0_E_clISt17integral_constantIbLb1EES1Q_IbLb0EEEEDaS1M_S1N_EUlS1M_E_NS1_11comp_targetILNS1_3genE10ELNS1_11target_archE1200ELNS1_3gpuE4ELNS1_3repE0EEENS1_30default_config_static_selectorELNS0_4arch9wavefront6targetE1EEEvSZ_ ; -- Begin function _ZN7rocprim17ROCPRIM_400000_NS6detail17trampoline_kernelINS0_13select_configILj256ELj13ELNS0_17block_load_methodE3ELS4_3ELS4_3ELNS0_20block_scan_algorithmE0ELj4294967295EEENS1_25partition_config_selectorILNS1_17partition_subalgoE4EjNS0_10empty_typeEbEEZZNS1_14partition_implILS8_4ELb0ES6_15HIP_vector_typeIjLj2EENS0_17counting_iteratorIjlEEPS9_SG_NS0_5tupleIJPjSI_NS0_16reverse_iteratorISI_EEEEENSH_IJSG_SG_SG_EEES9_SI_JZNS1_25segmented_radix_sort_implINS0_14default_configELb1EPKlPlSQ_SR_N2at6native12_GLOBAL__N_18offset_tEEE10hipError_tPvRmT1_PNSt15iterator_traitsISZ_E10value_typeET2_T3_PNS10_IS15_E10value_typeET4_jRbjT5_S1B_jjP12ihipStream_tbEUljE_ZNSN_ISO_Lb1ESQ_SR_SQ_SR_SV_EESW_SX_SY_SZ_S13_S14_S15_S18_S19_jS1A_jS1B_S1B_jjS1D_bEUljE0_EEESW_SX_SY_S15_S19_S1B_T6_T7_T9_mT8_S1D_bDpT10_ENKUlT_T0_E_clISt17integral_constantIbLb1EES1Q_IbLb0EEEEDaS1M_S1N_EUlS1M_E_NS1_11comp_targetILNS1_3genE10ELNS1_11target_archE1200ELNS1_3gpuE4ELNS1_3repE0EEENS1_30default_config_static_selectorELNS0_4arch9wavefront6targetE1EEEvSZ_
	.p2align	8
	.type	_ZN7rocprim17ROCPRIM_400000_NS6detail17trampoline_kernelINS0_13select_configILj256ELj13ELNS0_17block_load_methodE3ELS4_3ELS4_3ELNS0_20block_scan_algorithmE0ELj4294967295EEENS1_25partition_config_selectorILNS1_17partition_subalgoE4EjNS0_10empty_typeEbEEZZNS1_14partition_implILS8_4ELb0ES6_15HIP_vector_typeIjLj2EENS0_17counting_iteratorIjlEEPS9_SG_NS0_5tupleIJPjSI_NS0_16reverse_iteratorISI_EEEEENSH_IJSG_SG_SG_EEES9_SI_JZNS1_25segmented_radix_sort_implINS0_14default_configELb1EPKlPlSQ_SR_N2at6native12_GLOBAL__N_18offset_tEEE10hipError_tPvRmT1_PNSt15iterator_traitsISZ_E10value_typeET2_T3_PNS10_IS15_E10value_typeET4_jRbjT5_S1B_jjP12ihipStream_tbEUljE_ZNSN_ISO_Lb1ESQ_SR_SQ_SR_SV_EESW_SX_SY_SZ_S13_S14_S15_S18_S19_jS1A_jS1B_S1B_jjS1D_bEUljE0_EEESW_SX_SY_S15_S19_S1B_T6_T7_T9_mT8_S1D_bDpT10_ENKUlT_T0_E_clISt17integral_constantIbLb1EES1Q_IbLb0EEEEDaS1M_S1N_EUlS1M_E_NS1_11comp_targetILNS1_3genE10ELNS1_11target_archE1200ELNS1_3gpuE4ELNS1_3repE0EEENS1_30default_config_static_selectorELNS0_4arch9wavefront6targetE1EEEvSZ_,@function
_ZN7rocprim17ROCPRIM_400000_NS6detail17trampoline_kernelINS0_13select_configILj256ELj13ELNS0_17block_load_methodE3ELS4_3ELS4_3ELNS0_20block_scan_algorithmE0ELj4294967295EEENS1_25partition_config_selectorILNS1_17partition_subalgoE4EjNS0_10empty_typeEbEEZZNS1_14partition_implILS8_4ELb0ES6_15HIP_vector_typeIjLj2EENS0_17counting_iteratorIjlEEPS9_SG_NS0_5tupleIJPjSI_NS0_16reverse_iteratorISI_EEEEENSH_IJSG_SG_SG_EEES9_SI_JZNS1_25segmented_radix_sort_implINS0_14default_configELb1EPKlPlSQ_SR_N2at6native12_GLOBAL__N_18offset_tEEE10hipError_tPvRmT1_PNSt15iterator_traitsISZ_E10value_typeET2_T3_PNS10_IS15_E10value_typeET4_jRbjT5_S1B_jjP12ihipStream_tbEUljE_ZNSN_ISO_Lb1ESQ_SR_SQ_SR_SV_EESW_SX_SY_SZ_S13_S14_S15_S18_S19_jS1A_jS1B_S1B_jjS1D_bEUljE0_EEESW_SX_SY_S15_S19_S1B_T6_T7_T9_mT8_S1D_bDpT10_ENKUlT_T0_E_clISt17integral_constantIbLb1EES1Q_IbLb0EEEEDaS1M_S1N_EUlS1M_E_NS1_11comp_targetILNS1_3genE10ELNS1_11target_archE1200ELNS1_3gpuE4ELNS1_3repE0EEENS1_30default_config_static_selectorELNS0_4arch9wavefront6targetE1EEEvSZ_: ; @_ZN7rocprim17ROCPRIM_400000_NS6detail17trampoline_kernelINS0_13select_configILj256ELj13ELNS0_17block_load_methodE3ELS4_3ELS4_3ELNS0_20block_scan_algorithmE0ELj4294967295EEENS1_25partition_config_selectorILNS1_17partition_subalgoE4EjNS0_10empty_typeEbEEZZNS1_14partition_implILS8_4ELb0ES6_15HIP_vector_typeIjLj2EENS0_17counting_iteratorIjlEEPS9_SG_NS0_5tupleIJPjSI_NS0_16reverse_iteratorISI_EEEEENSH_IJSG_SG_SG_EEES9_SI_JZNS1_25segmented_radix_sort_implINS0_14default_configELb1EPKlPlSQ_SR_N2at6native12_GLOBAL__N_18offset_tEEE10hipError_tPvRmT1_PNSt15iterator_traitsISZ_E10value_typeET2_T3_PNS10_IS15_E10value_typeET4_jRbjT5_S1B_jjP12ihipStream_tbEUljE_ZNSN_ISO_Lb1ESQ_SR_SQ_SR_SV_EESW_SX_SY_SZ_S13_S14_S15_S18_S19_jS1A_jS1B_S1B_jjS1D_bEUljE0_EEESW_SX_SY_S15_S19_S1B_T6_T7_T9_mT8_S1D_bDpT10_ENKUlT_T0_E_clISt17integral_constantIbLb1EES1Q_IbLb0EEEEDaS1M_S1N_EUlS1M_E_NS1_11comp_targetILNS1_3genE10ELNS1_11target_archE1200ELNS1_3gpuE4ELNS1_3repE0EEENS1_30default_config_static_selectorELNS0_4arch9wavefront6targetE1EEEvSZ_
; %bb.0:
	.section	.rodata,"a",@progbits
	.p2align	6, 0x0
	.amdhsa_kernel _ZN7rocprim17ROCPRIM_400000_NS6detail17trampoline_kernelINS0_13select_configILj256ELj13ELNS0_17block_load_methodE3ELS4_3ELS4_3ELNS0_20block_scan_algorithmE0ELj4294967295EEENS1_25partition_config_selectorILNS1_17partition_subalgoE4EjNS0_10empty_typeEbEEZZNS1_14partition_implILS8_4ELb0ES6_15HIP_vector_typeIjLj2EENS0_17counting_iteratorIjlEEPS9_SG_NS0_5tupleIJPjSI_NS0_16reverse_iteratorISI_EEEEENSH_IJSG_SG_SG_EEES9_SI_JZNS1_25segmented_radix_sort_implINS0_14default_configELb1EPKlPlSQ_SR_N2at6native12_GLOBAL__N_18offset_tEEE10hipError_tPvRmT1_PNSt15iterator_traitsISZ_E10value_typeET2_T3_PNS10_IS15_E10value_typeET4_jRbjT5_S1B_jjP12ihipStream_tbEUljE_ZNSN_ISO_Lb1ESQ_SR_SQ_SR_SV_EESW_SX_SY_SZ_S13_S14_S15_S18_S19_jS1A_jS1B_S1B_jjS1D_bEUljE0_EEESW_SX_SY_S15_S19_S1B_T6_T7_T9_mT8_S1D_bDpT10_ENKUlT_T0_E_clISt17integral_constantIbLb1EES1Q_IbLb0EEEEDaS1M_S1N_EUlS1M_E_NS1_11comp_targetILNS1_3genE10ELNS1_11target_archE1200ELNS1_3gpuE4ELNS1_3repE0EEENS1_30default_config_static_selectorELNS0_4arch9wavefront6targetE1EEEvSZ_
		.amdhsa_group_segment_fixed_size 0
		.amdhsa_private_segment_fixed_size 0
		.amdhsa_kernarg_size 176
		.amdhsa_user_sgpr_count 6
		.amdhsa_user_sgpr_private_segment_buffer 1
		.amdhsa_user_sgpr_dispatch_ptr 0
		.amdhsa_user_sgpr_queue_ptr 0
		.amdhsa_user_sgpr_kernarg_segment_ptr 1
		.amdhsa_user_sgpr_dispatch_id 0
		.amdhsa_user_sgpr_flat_scratch_init 0
		.amdhsa_user_sgpr_kernarg_preload_length 0
		.amdhsa_user_sgpr_kernarg_preload_offset 0
		.amdhsa_user_sgpr_private_segment_size 0
		.amdhsa_uses_dynamic_stack 0
		.amdhsa_system_sgpr_private_segment_wavefront_offset 0
		.amdhsa_system_sgpr_workgroup_id_x 1
		.amdhsa_system_sgpr_workgroup_id_y 0
		.amdhsa_system_sgpr_workgroup_id_z 0
		.amdhsa_system_sgpr_workgroup_info 0
		.amdhsa_system_vgpr_workitem_id 0
		.amdhsa_next_free_vgpr 1
		.amdhsa_next_free_sgpr 0
		.amdhsa_accum_offset 4
		.amdhsa_reserve_vcc 0
		.amdhsa_reserve_flat_scratch 0
		.amdhsa_float_round_mode_32 0
		.amdhsa_float_round_mode_16_64 0
		.amdhsa_float_denorm_mode_32 3
		.amdhsa_float_denorm_mode_16_64 3
		.amdhsa_dx10_clamp 1
		.amdhsa_ieee_mode 1
		.amdhsa_fp16_overflow 0
		.amdhsa_tg_split 0
		.amdhsa_exception_fp_ieee_invalid_op 0
		.amdhsa_exception_fp_denorm_src 0
		.amdhsa_exception_fp_ieee_div_zero 0
		.amdhsa_exception_fp_ieee_overflow 0
		.amdhsa_exception_fp_ieee_underflow 0
		.amdhsa_exception_fp_ieee_inexact 0
		.amdhsa_exception_int_div_zero 0
	.end_amdhsa_kernel
	.section	.text._ZN7rocprim17ROCPRIM_400000_NS6detail17trampoline_kernelINS0_13select_configILj256ELj13ELNS0_17block_load_methodE3ELS4_3ELS4_3ELNS0_20block_scan_algorithmE0ELj4294967295EEENS1_25partition_config_selectorILNS1_17partition_subalgoE4EjNS0_10empty_typeEbEEZZNS1_14partition_implILS8_4ELb0ES6_15HIP_vector_typeIjLj2EENS0_17counting_iteratorIjlEEPS9_SG_NS0_5tupleIJPjSI_NS0_16reverse_iteratorISI_EEEEENSH_IJSG_SG_SG_EEES9_SI_JZNS1_25segmented_radix_sort_implINS0_14default_configELb1EPKlPlSQ_SR_N2at6native12_GLOBAL__N_18offset_tEEE10hipError_tPvRmT1_PNSt15iterator_traitsISZ_E10value_typeET2_T3_PNS10_IS15_E10value_typeET4_jRbjT5_S1B_jjP12ihipStream_tbEUljE_ZNSN_ISO_Lb1ESQ_SR_SQ_SR_SV_EESW_SX_SY_SZ_S13_S14_S15_S18_S19_jS1A_jS1B_S1B_jjS1D_bEUljE0_EEESW_SX_SY_S15_S19_S1B_T6_T7_T9_mT8_S1D_bDpT10_ENKUlT_T0_E_clISt17integral_constantIbLb1EES1Q_IbLb0EEEEDaS1M_S1N_EUlS1M_E_NS1_11comp_targetILNS1_3genE10ELNS1_11target_archE1200ELNS1_3gpuE4ELNS1_3repE0EEENS1_30default_config_static_selectorELNS0_4arch9wavefront6targetE1EEEvSZ_,"axG",@progbits,_ZN7rocprim17ROCPRIM_400000_NS6detail17trampoline_kernelINS0_13select_configILj256ELj13ELNS0_17block_load_methodE3ELS4_3ELS4_3ELNS0_20block_scan_algorithmE0ELj4294967295EEENS1_25partition_config_selectorILNS1_17partition_subalgoE4EjNS0_10empty_typeEbEEZZNS1_14partition_implILS8_4ELb0ES6_15HIP_vector_typeIjLj2EENS0_17counting_iteratorIjlEEPS9_SG_NS0_5tupleIJPjSI_NS0_16reverse_iteratorISI_EEEEENSH_IJSG_SG_SG_EEES9_SI_JZNS1_25segmented_radix_sort_implINS0_14default_configELb1EPKlPlSQ_SR_N2at6native12_GLOBAL__N_18offset_tEEE10hipError_tPvRmT1_PNSt15iterator_traitsISZ_E10value_typeET2_T3_PNS10_IS15_E10value_typeET4_jRbjT5_S1B_jjP12ihipStream_tbEUljE_ZNSN_ISO_Lb1ESQ_SR_SQ_SR_SV_EESW_SX_SY_SZ_S13_S14_S15_S18_S19_jS1A_jS1B_S1B_jjS1D_bEUljE0_EEESW_SX_SY_S15_S19_S1B_T6_T7_T9_mT8_S1D_bDpT10_ENKUlT_T0_E_clISt17integral_constantIbLb1EES1Q_IbLb0EEEEDaS1M_S1N_EUlS1M_E_NS1_11comp_targetILNS1_3genE10ELNS1_11target_archE1200ELNS1_3gpuE4ELNS1_3repE0EEENS1_30default_config_static_selectorELNS0_4arch9wavefront6targetE1EEEvSZ_,comdat
.Lfunc_end661:
	.size	_ZN7rocprim17ROCPRIM_400000_NS6detail17trampoline_kernelINS0_13select_configILj256ELj13ELNS0_17block_load_methodE3ELS4_3ELS4_3ELNS0_20block_scan_algorithmE0ELj4294967295EEENS1_25partition_config_selectorILNS1_17partition_subalgoE4EjNS0_10empty_typeEbEEZZNS1_14partition_implILS8_4ELb0ES6_15HIP_vector_typeIjLj2EENS0_17counting_iteratorIjlEEPS9_SG_NS0_5tupleIJPjSI_NS0_16reverse_iteratorISI_EEEEENSH_IJSG_SG_SG_EEES9_SI_JZNS1_25segmented_radix_sort_implINS0_14default_configELb1EPKlPlSQ_SR_N2at6native12_GLOBAL__N_18offset_tEEE10hipError_tPvRmT1_PNSt15iterator_traitsISZ_E10value_typeET2_T3_PNS10_IS15_E10value_typeET4_jRbjT5_S1B_jjP12ihipStream_tbEUljE_ZNSN_ISO_Lb1ESQ_SR_SQ_SR_SV_EESW_SX_SY_SZ_S13_S14_S15_S18_S19_jS1A_jS1B_S1B_jjS1D_bEUljE0_EEESW_SX_SY_S15_S19_S1B_T6_T7_T9_mT8_S1D_bDpT10_ENKUlT_T0_E_clISt17integral_constantIbLb1EES1Q_IbLb0EEEEDaS1M_S1N_EUlS1M_E_NS1_11comp_targetILNS1_3genE10ELNS1_11target_archE1200ELNS1_3gpuE4ELNS1_3repE0EEENS1_30default_config_static_selectorELNS0_4arch9wavefront6targetE1EEEvSZ_, .Lfunc_end661-_ZN7rocprim17ROCPRIM_400000_NS6detail17trampoline_kernelINS0_13select_configILj256ELj13ELNS0_17block_load_methodE3ELS4_3ELS4_3ELNS0_20block_scan_algorithmE0ELj4294967295EEENS1_25partition_config_selectorILNS1_17partition_subalgoE4EjNS0_10empty_typeEbEEZZNS1_14partition_implILS8_4ELb0ES6_15HIP_vector_typeIjLj2EENS0_17counting_iteratorIjlEEPS9_SG_NS0_5tupleIJPjSI_NS0_16reverse_iteratorISI_EEEEENSH_IJSG_SG_SG_EEES9_SI_JZNS1_25segmented_radix_sort_implINS0_14default_configELb1EPKlPlSQ_SR_N2at6native12_GLOBAL__N_18offset_tEEE10hipError_tPvRmT1_PNSt15iterator_traitsISZ_E10value_typeET2_T3_PNS10_IS15_E10value_typeET4_jRbjT5_S1B_jjP12ihipStream_tbEUljE_ZNSN_ISO_Lb1ESQ_SR_SQ_SR_SV_EESW_SX_SY_SZ_S13_S14_S15_S18_S19_jS1A_jS1B_S1B_jjS1D_bEUljE0_EEESW_SX_SY_S15_S19_S1B_T6_T7_T9_mT8_S1D_bDpT10_ENKUlT_T0_E_clISt17integral_constantIbLb1EES1Q_IbLb0EEEEDaS1M_S1N_EUlS1M_E_NS1_11comp_targetILNS1_3genE10ELNS1_11target_archE1200ELNS1_3gpuE4ELNS1_3repE0EEENS1_30default_config_static_selectorELNS0_4arch9wavefront6targetE1EEEvSZ_
                                        ; -- End function
	.section	.AMDGPU.csdata,"",@progbits
; Kernel info:
; codeLenInByte = 0
; NumSgprs: 4
; NumVgprs: 0
; NumAgprs: 0
; TotalNumVgprs: 0
; ScratchSize: 0
; MemoryBound: 0
; FloatMode: 240
; IeeeMode: 1
; LDSByteSize: 0 bytes/workgroup (compile time only)
; SGPRBlocks: 0
; VGPRBlocks: 0
; NumSGPRsForWavesPerEU: 4
; NumVGPRsForWavesPerEU: 1
; AccumOffset: 4
; Occupancy: 8
; WaveLimiterHint : 0
; COMPUTE_PGM_RSRC2:SCRATCH_EN: 0
; COMPUTE_PGM_RSRC2:USER_SGPR: 6
; COMPUTE_PGM_RSRC2:TRAP_HANDLER: 0
; COMPUTE_PGM_RSRC2:TGID_X_EN: 1
; COMPUTE_PGM_RSRC2:TGID_Y_EN: 0
; COMPUTE_PGM_RSRC2:TGID_Z_EN: 0
; COMPUTE_PGM_RSRC2:TIDIG_COMP_CNT: 0
; COMPUTE_PGM_RSRC3_GFX90A:ACCUM_OFFSET: 0
; COMPUTE_PGM_RSRC3_GFX90A:TG_SPLIT: 0
	.section	.text._ZN7rocprim17ROCPRIM_400000_NS6detail17trampoline_kernelINS0_13select_configILj256ELj13ELNS0_17block_load_methodE3ELS4_3ELS4_3ELNS0_20block_scan_algorithmE0ELj4294967295EEENS1_25partition_config_selectorILNS1_17partition_subalgoE4EjNS0_10empty_typeEbEEZZNS1_14partition_implILS8_4ELb0ES6_15HIP_vector_typeIjLj2EENS0_17counting_iteratorIjlEEPS9_SG_NS0_5tupleIJPjSI_NS0_16reverse_iteratorISI_EEEEENSH_IJSG_SG_SG_EEES9_SI_JZNS1_25segmented_radix_sort_implINS0_14default_configELb1EPKlPlSQ_SR_N2at6native12_GLOBAL__N_18offset_tEEE10hipError_tPvRmT1_PNSt15iterator_traitsISZ_E10value_typeET2_T3_PNS10_IS15_E10value_typeET4_jRbjT5_S1B_jjP12ihipStream_tbEUljE_ZNSN_ISO_Lb1ESQ_SR_SQ_SR_SV_EESW_SX_SY_SZ_S13_S14_S15_S18_S19_jS1A_jS1B_S1B_jjS1D_bEUljE0_EEESW_SX_SY_S15_S19_S1B_T6_T7_T9_mT8_S1D_bDpT10_ENKUlT_T0_E_clISt17integral_constantIbLb1EES1Q_IbLb0EEEEDaS1M_S1N_EUlS1M_E_NS1_11comp_targetILNS1_3genE9ELNS1_11target_archE1100ELNS1_3gpuE3ELNS1_3repE0EEENS1_30default_config_static_selectorELNS0_4arch9wavefront6targetE1EEEvSZ_,"axG",@progbits,_ZN7rocprim17ROCPRIM_400000_NS6detail17trampoline_kernelINS0_13select_configILj256ELj13ELNS0_17block_load_methodE3ELS4_3ELS4_3ELNS0_20block_scan_algorithmE0ELj4294967295EEENS1_25partition_config_selectorILNS1_17partition_subalgoE4EjNS0_10empty_typeEbEEZZNS1_14partition_implILS8_4ELb0ES6_15HIP_vector_typeIjLj2EENS0_17counting_iteratorIjlEEPS9_SG_NS0_5tupleIJPjSI_NS0_16reverse_iteratorISI_EEEEENSH_IJSG_SG_SG_EEES9_SI_JZNS1_25segmented_radix_sort_implINS0_14default_configELb1EPKlPlSQ_SR_N2at6native12_GLOBAL__N_18offset_tEEE10hipError_tPvRmT1_PNSt15iterator_traitsISZ_E10value_typeET2_T3_PNS10_IS15_E10value_typeET4_jRbjT5_S1B_jjP12ihipStream_tbEUljE_ZNSN_ISO_Lb1ESQ_SR_SQ_SR_SV_EESW_SX_SY_SZ_S13_S14_S15_S18_S19_jS1A_jS1B_S1B_jjS1D_bEUljE0_EEESW_SX_SY_S15_S19_S1B_T6_T7_T9_mT8_S1D_bDpT10_ENKUlT_T0_E_clISt17integral_constantIbLb1EES1Q_IbLb0EEEEDaS1M_S1N_EUlS1M_E_NS1_11comp_targetILNS1_3genE9ELNS1_11target_archE1100ELNS1_3gpuE3ELNS1_3repE0EEENS1_30default_config_static_selectorELNS0_4arch9wavefront6targetE1EEEvSZ_,comdat
	.globl	_ZN7rocprim17ROCPRIM_400000_NS6detail17trampoline_kernelINS0_13select_configILj256ELj13ELNS0_17block_load_methodE3ELS4_3ELS4_3ELNS0_20block_scan_algorithmE0ELj4294967295EEENS1_25partition_config_selectorILNS1_17partition_subalgoE4EjNS0_10empty_typeEbEEZZNS1_14partition_implILS8_4ELb0ES6_15HIP_vector_typeIjLj2EENS0_17counting_iteratorIjlEEPS9_SG_NS0_5tupleIJPjSI_NS0_16reverse_iteratorISI_EEEEENSH_IJSG_SG_SG_EEES9_SI_JZNS1_25segmented_radix_sort_implINS0_14default_configELb1EPKlPlSQ_SR_N2at6native12_GLOBAL__N_18offset_tEEE10hipError_tPvRmT1_PNSt15iterator_traitsISZ_E10value_typeET2_T3_PNS10_IS15_E10value_typeET4_jRbjT5_S1B_jjP12ihipStream_tbEUljE_ZNSN_ISO_Lb1ESQ_SR_SQ_SR_SV_EESW_SX_SY_SZ_S13_S14_S15_S18_S19_jS1A_jS1B_S1B_jjS1D_bEUljE0_EEESW_SX_SY_S15_S19_S1B_T6_T7_T9_mT8_S1D_bDpT10_ENKUlT_T0_E_clISt17integral_constantIbLb1EES1Q_IbLb0EEEEDaS1M_S1N_EUlS1M_E_NS1_11comp_targetILNS1_3genE9ELNS1_11target_archE1100ELNS1_3gpuE3ELNS1_3repE0EEENS1_30default_config_static_selectorELNS0_4arch9wavefront6targetE1EEEvSZ_ ; -- Begin function _ZN7rocprim17ROCPRIM_400000_NS6detail17trampoline_kernelINS0_13select_configILj256ELj13ELNS0_17block_load_methodE3ELS4_3ELS4_3ELNS0_20block_scan_algorithmE0ELj4294967295EEENS1_25partition_config_selectorILNS1_17partition_subalgoE4EjNS0_10empty_typeEbEEZZNS1_14partition_implILS8_4ELb0ES6_15HIP_vector_typeIjLj2EENS0_17counting_iteratorIjlEEPS9_SG_NS0_5tupleIJPjSI_NS0_16reverse_iteratorISI_EEEEENSH_IJSG_SG_SG_EEES9_SI_JZNS1_25segmented_radix_sort_implINS0_14default_configELb1EPKlPlSQ_SR_N2at6native12_GLOBAL__N_18offset_tEEE10hipError_tPvRmT1_PNSt15iterator_traitsISZ_E10value_typeET2_T3_PNS10_IS15_E10value_typeET4_jRbjT5_S1B_jjP12ihipStream_tbEUljE_ZNSN_ISO_Lb1ESQ_SR_SQ_SR_SV_EESW_SX_SY_SZ_S13_S14_S15_S18_S19_jS1A_jS1B_S1B_jjS1D_bEUljE0_EEESW_SX_SY_S15_S19_S1B_T6_T7_T9_mT8_S1D_bDpT10_ENKUlT_T0_E_clISt17integral_constantIbLb1EES1Q_IbLb0EEEEDaS1M_S1N_EUlS1M_E_NS1_11comp_targetILNS1_3genE9ELNS1_11target_archE1100ELNS1_3gpuE3ELNS1_3repE0EEENS1_30default_config_static_selectorELNS0_4arch9wavefront6targetE1EEEvSZ_
	.p2align	8
	.type	_ZN7rocprim17ROCPRIM_400000_NS6detail17trampoline_kernelINS0_13select_configILj256ELj13ELNS0_17block_load_methodE3ELS4_3ELS4_3ELNS0_20block_scan_algorithmE0ELj4294967295EEENS1_25partition_config_selectorILNS1_17partition_subalgoE4EjNS0_10empty_typeEbEEZZNS1_14partition_implILS8_4ELb0ES6_15HIP_vector_typeIjLj2EENS0_17counting_iteratorIjlEEPS9_SG_NS0_5tupleIJPjSI_NS0_16reverse_iteratorISI_EEEEENSH_IJSG_SG_SG_EEES9_SI_JZNS1_25segmented_radix_sort_implINS0_14default_configELb1EPKlPlSQ_SR_N2at6native12_GLOBAL__N_18offset_tEEE10hipError_tPvRmT1_PNSt15iterator_traitsISZ_E10value_typeET2_T3_PNS10_IS15_E10value_typeET4_jRbjT5_S1B_jjP12ihipStream_tbEUljE_ZNSN_ISO_Lb1ESQ_SR_SQ_SR_SV_EESW_SX_SY_SZ_S13_S14_S15_S18_S19_jS1A_jS1B_S1B_jjS1D_bEUljE0_EEESW_SX_SY_S15_S19_S1B_T6_T7_T9_mT8_S1D_bDpT10_ENKUlT_T0_E_clISt17integral_constantIbLb1EES1Q_IbLb0EEEEDaS1M_S1N_EUlS1M_E_NS1_11comp_targetILNS1_3genE9ELNS1_11target_archE1100ELNS1_3gpuE3ELNS1_3repE0EEENS1_30default_config_static_selectorELNS0_4arch9wavefront6targetE1EEEvSZ_,@function
_ZN7rocprim17ROCPRIM_400000_NS6detail17trampoline_kernelINS0_13select_configILj256ELj13ELNS0_17block_load_methodE3ELS4_3ELS4_3ELNS0_20block_scan_algorithmE0ELj4294967295EEENS1_25partition_config_selectorILNS1_17partition_subalgoE4EjNS0_10empty_typeEbEEZZNS1_14partition_implILS8_4ELb0ES6_15HIP_vector_typeIjLj2EENS0_17counting_iteratorIjlEEPS9_SG_NS0_5tupleIJPjSI_NS0_16reverse_iteratorISI_EEEEENSH_IJSG_SG_SG_EEES9_SI_JZNS1_25segmented_radix_sort_implINS0_14default_configELb1EPKlPlSQ_SR_N2at6native12_GLOBAL__N_18offset_tEEE10hipError_tPvRmT1_PNSt15iterator_traitsISZ_E10value_typeET2_T3_PNS10_IS15_E10value_typeET4_jRbjT5_S1B_jjP12ihipStream_tbEUljE_ZNSN_ISO_Lb1ESQ_SR_SQ_SR_SV_EESW_SX_SY_SZ_S13_S14_S15_S18_S19_jS1A_jS1B_S1B_jjS1D_bEUljE0_EEESW_SX_SY_S15_S19_S1B_T6_T7_T9_mT8_S1D_bDpT10_ENKUlT_T0_E_clISt17integral_constantIbLb1EES1Q_IbLb0EEEEDaS1M_S1N_EUlS1M_E_NS1_11comp_targetILNS1_3genE9ELNS1_11target_archE1100ELNS1_3gpuE3ELNS1_3repE0EEENS1_30default_config_static_selectorELNS0_4arch9wavefront6targetE1EEEvSZ_: ; @_ZN7rocprim17ROCPRIM_400000_NS6detail17trampoline_kernelINS0_13select_configILj256ELj13ELNS0_17block_load_methodE3ELS4_3ELS4_3ELNS0_20block_scan_algorithmE0ELj4294967295EEENS1_25partition_config_selectorILNS1_17partition_subalgoE4EjNS0_10empty_typeEbEEZZNS1_14partition_implILS8_4ELb0ES6_15HIP_vector_typeIjLj2EENS0_17counting_iteratorIjlEEPS9_SG_NS0_5tupleIJPjSI_NS0_16reverse_iteratorISI_EEEEENSH_IJSG_SG_SG_EEES9_SI_JZNS1_25segmented_radix_sort_implINS0_14default_configELb1EPKlPlSQ_SR_N2at6native12_GLOBAL__N_18offset_tEEE10hipError_tPvRmT1_PNSt15iterator_traitsISZ_E10value_typeET2_T3_PNS10_IS15_E10value_typeET4_jRbjT5_S1B_jjP12ihipStream_tbEUljE_ZNSN_ISO_Lb1ESQ_SR_SQ_SR_SV_EESW_SX_SY_SZ_S13_S14_S15_S18_S19_jS1A_jS1B_S1B_jjS1D_bEUljE0_EEESW_SX_SY_S15_S19_S1B_T6_T7_T9_mT8_S1D_bDpT10_ENKUlT_T0_E_clISt17integral_constantIbLb1EES1Q_IbLb0EEEEDaS1M_S1N_EUlS1M_E_NS1_11comp_targetILNS1_3genE9ELNS1_11target_archE1100ELNS1_3gpuE3ELNS1_3repE0EEENS1_30default_config_static_selectorELNS0_4arch9wavefront6targetE1EEEvSZ_
; %bb.0:
	.section	.rodata,"a",@progbits
	.p2align	6, 0x0
	.amdhsa_kernel _ZN7rocprim17ROCPRIM_400000_NS6detail17trampoline_kernelINS0_13select_configILj256ELj13ELNS0_17block_load_methodE3ELS4_3ELS4_3ELNS0_20block_scan_algorithmE0ELj4294967295EEENS1_25partition_config_selectorILNS1_17partition_subalgoE4EjNS0_10empty_typeEbEEZZNS1_14partition_implILS8_4ELb0ES6_15HIP_vector_typeIjLj2EENS0_17counting_iteratorIjlEEPS9_SG_NS0_5tupleIJPjSI_NS0_16reverse_iteratorISI_EEEEENSH_IJSG_SG_SG_EEES9_SI_JZNS1_25segmented_radix_sort_implINS0_14default_configELb1EPKlPlSQ_SR_N2at6native12_GLOBAL__N_18offset_tEEE10hipError_tPvRmT1_PNSt15iterator_traitsISZ_E10value_typeET2_T3_PNS10_IS15_E10value_typeET4_jRbjT5_S1B_jjP12ihipStream_tbEUljE_ZNSN_ISO_Lb1ESQ_SR_SQ_SR_SV_EESW_SX_SY_SZ_S13_S14_S15_S18_S19_jS1A_jS1B_S1B_jjS1D_bEUljE0_EEESW_SX_SY_S15_S19_S1B_T6_T7_T9_mT8_S1D_bDpT10_ENKUlT_T0_E_clISt17integral_constantIbLb1EES1Q_IbLb0EEEEDaS1M_S1N_EUlS1M_E_NS1_11comp_targetILNS1_3genE9ELNS1_11target_archE1100ELNS1_3gpuE3ELNS1_3repE0EEENS1_30default_config_static_selectorELNS0_4arch9wavefront6targetE1EEEvSZ_
		.amdhsa_group_segment_fixed_size 0
		.amdhsa_private_segment_fixed_size 0
		.amdhsa_kernarg_size 176
		.amdhsa_user_sgpr_count 6
		.amdhsa_user_sgpr_private_segment_buffer 1
		.amdhsa_user_sgpr_dispatch_ptr 0
		.amdhsa_user_sgpr_queue_ptr 0
		.amdhsa_user_sgpr_kernarg_segment_ptr 1
		.amdhsa_user_sgpr_dispatch_id 0
		.amdhsa_user_sgpr_flat_scratch_init 0
		.amdhsa_user_sgpr_kernarg_preload_length 0
		.amdhsa_user_sgpr_kernarg_preload_offset 0
		.amdhsa_user_sgpr_private_segment_size 0
		.amdhsa_uses_dynamic_stack 0
		.amdhsa_system_sgpr_private_segment_wavefront_offset 0
		.amdhsa_system_sgpr_workgroup_id_x 1
		.amdhsa_system_sgpr_workgroup_id_y 0
		.amdhsa_system_sgpr_workgroup_id_z 0
		.amdhsa_system_sgpr_workgroup_info 0
		.amdhsa_system_vgpr_workitem_id 0
		.amdhsa_next_free_vgpr 1
		.amdhsa_next_free_sgpr 0
		.amdhsa_accum_offset 4
		.amdhsa_reserve_vcc 0
		.amdhsa_reserve_flat_scratch 0
		.amdhsa_float_round_mode_32 0
		.amdhsa_float_round_mode_16_64 0
		.amdhsa_float_denorm_mode_32 3
		.amdhsa_float_denorm_mode_16_64 3
		.amdhsa_dx10_clamp 1
		.amdhsa_ieee_mode 1
		.amdhsa_fp16_overflow 0
		.amdhsa_tg_split 0
		.amdhsa_exception_fp_ieee_invalid_op 0
		.amdhsa_exception_fp_denorm_src 0
		.amdhsa_exception_fp_ieee_div_zero 0
		.amdhsa_exception_fp_ieee_overflow 0
		.amdhsa_exception_fp_ieee_underflow 0
		.amdhsa_exception_fp_ieee_inexact 0
		.amdhsa_exception_int_div_zero 0
	.end_amdhsa_kernel
	.section	.text._ZN7rocprim17ROCPRIM_400000_NS6detail17trampoline_kernelINS0_13select_configILj256ELj13ELNS0_17block_load_methodE3ELS4_3ELS4_3ELNS0_20block_scan_algorithmE0ELj4294967295EEENS1_25partition_config_selectorILNS1_17partition_subalgoE4EjNS0_10empty_typeEbEEZZNS1_14partition_implILS8_4ELb0ES6_15HIP_vector_typeIjLj2EENS0_17counting_iteratorIjlEEPS9_SG_NS0_5tupleIJPjSI_NS0_16reverse_iteratorISI_EEEEENSH_IJSG_SG_SG_EEES9_SI_JZNS1_25segmented_radix_sort_implINS0_14default_configELb1EPKlPlSQ_SR_N2at6native12_GLOBAL__N_18offset_tEEE10hipError_tPvRmT1_PNSt15iterator_traitsISZ_E10value_typeET2_T3_PNS10_IS15_E10value_typeET4_jRbjT5_S1B_jjP12ihipStream_tbEUljE_ZNSN_ISO_Lb1ESQ_SR_SQ_SR_SV_EESW_SX_SY_SZ_S13_S14_S15_S18_S19_jS1A_jS1B_S1B_jjS1D_bEUljE0_EEESW_SX_SY_S15_S19_S1B_T6_T7_T9_mT8_S1D_bDpT10_ENKUlT_T0_E_clISt17integral_constantIbLb1EES1Q_IbLb0EEEEDaS1M_S1N_EUlS1M_E_NS1_11comp_targetILNS1_3genE9ELNS1_11target_archE1100ELNS1_3gpuE3ELNS1_3repE0EEENS1_30default_config_static_selectorELNS0_4arch9wavefront6targetE1EEEvSZ_,"axG",@progbits,_ZN7rocprim17ROCPRIM_400000_NS6detail17trampoline_kernelINS0_13select_configILj256ELj13ELNS0_17block_load_methodE3ELS4_3ELS4_3ELNS0_20block_scan_algorithmE0ELj4294967295EEENS1_25partition_config_selectorILNS1_17partition_subalgoE4EjNS0_10empty_typeEbEEZZNS1_14partition_implILS8_4ELb0ES6_15HIP_vector_typeIjLj2EENS0_17counting_iteratorIjlEEPS9_SG_NS0_5tupleIJPjSI_NS0_16reverse_iteratorISI_EEEEENSH_IJSG_SG_SG_EEES9_SI_JZNS1_25segmented_radix_sort_implINS0_14default_configELb1EPKlPlSQ_SR_N2at6native12_GLOBAL__N_18offset_tEEE10hipError_tPvRmT1_PNSt15iterator_traitsISZ_E10value_typeET2_T3_PNS10_IS15_E10value_typeET4_jRbjT5_S1B_jjP12ihipStream_tbEUljE_ZNSN_ISO_Lb1ESQ_SR_SQ_SR_SV_EESW_SX_SY_SZ_S13_S14_S15_S18_S19_jS1A_jS1B_S1B_jjS1D_bEUljE0_EEESW_SX_SY_S15_S19_S1B_T6_T7_T9_mT8_S1D_bDpT10_ENKUlT_T0_E_clISt17integral_constantIbLb1EES1Q_IbLb0EEEEDaS1M_S1N_EUlS1M_E_NS1_11comp_targetILNS1_3genE9ELNS1_11target_archE1100ELNS1_3gpuE3ELNS1_3repE0EEENS1_30default_config_static_selectorELNS0_4arch9wavefront6targetE1EEEvSZ_,comdat
.Lfunc_end662:
	.size	_ZN7rocprim17ROCPRIM_400000_NS6detail17trampoline_kernelINS0_13select_configILj256ELj13ELNS0_17block_load_methodE3ELS4_3ELS4_3ELNS0_20block_scan_algorithmE0ELj4294967295EEENS1_25partition_config_selectorILNS1_17partition_subalgoE4EjNS0_10empty_typeEbEEZZNS1_14partition_implILS8_4ELb0ES6_15HIP_vector_typeIjLj2EENS0_17counting_iteratorIjlEEPS9_SG_NS0_5tupleIJPjSI_NS0_16reverse_iteratorISI_EEEEENSH_IJSG_SG_SG_EEES9_SI_JZNS1_25segmented_radix_sort_implINS0_14default_configELb1EPKlPlSQ_SR_N2at6native12_GLOBAL__N_18offset_tEEE10hipError_tPvRmT1_PNSt15iterator_traitsISZ_E10value_typeET2_T3_PNS10_IS15_E10value_typeET4_jRbjT5_S1B_jjP12ihipStream_tbEUljE_ZNSN_ISO_Lb1ESQ_SR_SQ_SR_SV_EESW_SX_SY_SZ_S13_S14_S15_S18_S19_jS1A_jS1B_S1B_jjS1D_bEUljE0_EEESW_SX_SY_S15_S19_S1B_T6_T7_T9_mT8_S1D_bDpT10_ENKUlT_T0_E_clISt17integral_constantIbLb1EES1Q_IbLb0EEEEDaS1M_S1N_EUlS1M_E_NS1_11comp_targetILNS1_3genE9ELNS1_11target_archE1100ELNS1_3gpuE3ELNS1_3repE0EEENS1_30default_config_static_selectorELNS0_4arch9wavefront6targetE1EEEvSZ_, .Lfunc_end662-_ZN7rocprim17ROCPRIM_400000_NS6detail17trampoline_kernelINS0_13select_configILj256ELj13ELNS0_17block_load_methodE3ELS4_3ELS4_3ELNS0_20block_scan_algorithmE0ELj4294967295EEENS1_25partition_config_selectorILNS1_17partition_subalgoE4EjNS0_10empty_typeEbEEZZNS1_14partition_implILS8_4ELb0ES6_15HIP_vector_typeIjLj2EENS0_17counting_iteratorIjlEEPS9_SG_NS0_5tupleIJPjSI_NS0_16reverse_iteratorISI_EEEEENSH_IJSG_SG_SG_EEES9_SI_JZNS1_25segmented_radix_sort_implINS0_14default_configELb1EPKlPlSQ_SR_N2at6native12_GLOBAL__N_18offset_tEEE10hipError_tPvRmT1_PNSt15iterator_traitsISZ_E10value_typeET2_T3_PNS10_IS15_E10value_typeET4_jRbjT5_S1B_jjP12ihipStream_tbEUljE_ZNSN_ISO_Lb1ESQ_SR_SQ_SR_SV_EESW_SX_SY_SZ_S13_S14_S15_S18_S19_jS1A_jS1B_S1B_jjS1D_bEUljE0_EEESW_SX_SY_S15_S19_S1B_T6_T7_T9_mT8_S1D_bDpT10_ENKUlT_T0_E_clISt17integral_constantIbLb1EES1Q_IbLb0EEEEDaS1M_S1N_EUlS1M_E_NS1_11comp_targetILNS1_3genE9ELNS1_11target_archE1100ELNS1_3gpuE3ELNS1_3repE0EEENS1_30default_config_static_selectorELNS0_4arch9wavefront6targetE1EEEvSZ_
                                        ; -- End function
	.section	.AMDGPU.csdata,"",@progbits
; Kernel info:
; codeLenInByte = 0
; NumSgprs: 4
; NumVgprs: 0
; NumAgprs: 0
; TotalNumVgprs: 0
; ScratchSize: 0
; MemoryBound: 0
; FloatMode: 240
; IeeeMode: 1
; LDSByteSize: 0 bytes/workgroup (compile time only)
; SGPRBlocks: 0
; VGPRBlocks: 0
; NumSGPRsForWavesPerEU: 4
; NumVGPRsForWavesPerEU: 1
; AccumOffset: 4
; Occupancy: 8
; WaveLimiterHint : 0
; COMPUTE_PGM_RSRC2:SCRATCH_EN: 0
; COMPUTE_PGM_RSRC2:USER_SGPR: 6
; COMPUTE_PGM_RSRC2:TRAP_HANDLER: 0
; COMPUTE_PGM_RSRC2:TGID_X_EN: 1
; COMPUTE_PGM_RSRC2:TGID_Y_EN: 0
; COMPUTE_PGM_RSRC2:TGID_Z_EN: 0
; COMPUTE_PGM_RSRC2:TIDIG_COMP_CNT: 0
; COMPUTE_PGM_RSRC3_GFX90A:ACCUM_OFFSET: 0
; COMPUTE_PGM_RSRC3_GFX90A:TG_SPLIT: 0
	.section	.text._ZN7rocprim17ROCPRIM_400000_NS6detail17trampoline_kernelINS0_13select_configILj256ELj13ELNS0_17block_load_methodE3ELS4_3ELS4_3ELNS0_20block_scan_algorithmE0ELj4294967295EEENS1_25partition_config_selectorILNS1_17partition_subalgoE4EjNS0_10empty_typeEbEEZZNS1_14partition_implILS8_4ELb0ES6_15HIP_vector_typeIjLj2EENS0_17counting_iteratorIjlEEPS9_SG_NS0_5tupleIJPjSI_NS0_16reverse_iteratorISI_EEEEENSH_IJSG_SG_SG_EEES9_SI_JZNS1_25segmented_radix_sort_implINS0_14default_configELb1EPKlPlSQ_SR_N2at6native12_GLOBAL__N_18offset_tEEE10hipError_tPvRmT1_PNSt15iterator_traitsISZ_E10value_typeET2_T3_PNS10_IS15_E10value_typeET4_jRbjT5_S1B_jjP12ihipStream_tbEUljE_ZNSN_ISO_Lb1ESQ_SR_SQ_SR_SV_EESW_SX_SY_SZ_S13_S14_S15_S18_S19_jS1A_jS1B_S1B_jjS1D_bEUljE0_EEESW_SX_SY_S15_S19_S1B_T6_T7_T9_mT8_S1D_bDpT10_ENKUlT_T0_E_clISt17integral_constantIbLb1EES1Q_IbLb0EEEEDaS1M_S1N_EUlS1M_E_NS1_11comp_targetILNS1_3genE8ELNS1_11target_archE1030ELNS1_3gpuE2ELNS1_3repE0EEENS1_30default_config_static_selectorELNS0_4arch9wavefront6targetE1EEEvSZ_,"axG",@progbits,_ZN7rocprim17ROCPRIM_400000_NS6detail17trampoline_kernelINS0_13select_configILj256ELj13ELNS0_17block_load_methodE3ELS4_3ELS4_3ELNS0_20block_scan_algorithmE0ELj4294967295EEENS1_25partition_config_selectorILNS1_17partition_subalgoE4EjNS0_10empty_typeEbEEZZNS1_14partition_implILS8_4ELb0ES6_15HIP_vector_typeIjLj2EENS0_17counting_iteratorIjlEEPS9_SG_NS0_5tupleIJPjSI_NS0_16reverse_iteratorISI_EEEEENSH_IJSG_SG_SG_EEES9_SI_JZNS1_25segmented_radix_sort_implINS0_14default_configELb1EPKlPlSQ_SR_N2at6native12_GLOBAL__N_18offset_tEEE10hipError_tPvRmT1_PNSt15iterator_traitsISZ_E10value_typeET2_T3_PNS10_IS15_E10value_typeET4_jRbjT5_S1B_jjP12ihipStream_tbEUljE_ZNSN_ISO_Lb1ESQ_SR_SQ_SR_SV_EESW_SX_SY_SZ_S13_S14_S15_S18_S19_jS1A_jS1B_S1B_jjS1D_bEUljE0_EEESW_SX_SY_S15_S19_S1B_T6_T7_T9_mT8_S1D_bDpT10_ENKUlT_T0_E_clISt17integral_constantIbLb1EES1Q_IbLb0EEEEDaS1M_S1N_EUlS1M_E_NS1_11comp_targetILNS1_3genE8ELNS1_11target_archE1030ELNS1_3gpuE2ELNS1_3repE0EEENS1_30default_config_static_selectorELNS0_4arch9wavefront6targetE1EEEvSZ_,comdat
	.globl	_ZN7rocprim17ROCPRIM_400000_NS6detail17trampoline_kernelINS0_13select_configILj256ELj13ELNS0_17block_load_methodE3ELS4_3ELS4_3ELNS0_20block_scan_algorithmE0ELj4294967295EEENS1_25partition_config_selectorILNS1_17partition_subalgoE4EjNS0_10empty_typeEbEEZZNS1_14partition_implILS8_4ELb0ES6_15HIP_vector_typeIjLj2EENS0_17counting_iteratorIjlEEPS9_SG_NS0_5tupleIJPjSI_NS0_16reverse_iteratorISI_EEEEENSH_IJSG_SG_SG_EEES9_SI_JZNS1_25segmented_radix_sort_implINS0_14default_configELb1EPKlPlSQ_SR_N2at6native12_GLOBAL__N_18offset_tEEE10hipError_tPvRmT1_PNSt15iterator_traitsISZ_E10value_typeET2_T3_PNS10_IS15_E10value_typeET4_jRbjT5_S1B_jjP12ihipStream_tbEUljE_ZNSN_ISO_Lb1ESQ_SR_SQ_SR_SV_EESW_SX_SY_SZ_S13_S14_S15_S18_S19_jS1A_jS1B_S1B_jjS1D_bEUljE0_EEESW_SX_SY_S15_S19_S1B_T6_T7_T9_mT8_S1D_bDpT10_ENKUlT_T0_E_clISt17integral_constantIbLb1EES1Q_IbLb0EEEEDaS1M_S1N_EUlS1M_E_NS1_11comp_targetILNS1_3genE8ELNS1_11target_archE1030ELNS1_3gpuE2ELNS1_3repE0EEENS1_30default_config_static_selectorELNS0_4arch9wavefront6targetE1EEEvSZ_ ; -- Begin function _ZN7rocprim17ROCPRIM_400000_NS6detail17trampoline_kernelINS0_13select_configILj256ELj13ELNS0_17block_load_methodE3ELS4_3ELS4_3ELNS0_20block_scan_algorithmE0ELj4294967295EEENS1_25partition_config_selectorILNS1_17partition_subalgoE4EjNS0_10empty_typeEbEEZZNS1_14partition_implILS8_4ELb0ES6_15HIP_vector_typeIjLj2EENS0_17counting_iteratorIjlEEPS9_SG_NS0_5tupleIJPjSI_NS0_16reverse_iteratorISI_EEEEENSH_IJSG_SG_SG_EEES9_SI_JZNS1_25segmented_radix_sort_implINS0_14default_configELb1EPKlPlSQ_SR_N2at6native12_GLOBAL__N_18offset_tEEE10hipError_tPvRmT1_PNSt15iterator_traitsISZ_E10value_typeET2_T3_PNS10_IS15_E10value_typeET4_jRbjT5_S1B_jjP12ihipStream_tbEUljE_ZNSN_ISO_Lb1ESQ_SR_SQ_SR_SV_EESW_SX_SY_SZ_S13_S14_S15_S18_S19_jS1A_jS1B_S1B_jjS1D_bEUljE0_EEESW_SX_SY_S15_S19_S1B_T6_T7_T9_mT8_S1D_bDpT10_ENKUlT_T0_E_clISt17integral_constantIbLb1EES1Q_IbLb0EEEEDaS1M_S1N_EUlS1M_E_NS1_11comp_targetILNS1_3genE8ELNS1_11target_archE1030ELNS1_3gpuE2ELNS1_3repE0EEENS1_30default_config_static_selectorELNS0_4arch9wavefront6targetE1EEEvSZ_
	.p2align	8
	.type	_ZN7rocprim17ROCPRIM_400000_NS6detail17trampoline_kernelINS0_13select_configILj256ELj13ELNS0_17block_load_methodE3ELS4_3ELS4_3ELNS0_20block_scan_algorithmE0ELj4294967295EEENS1_25partition_config_selectorILNS1_17partition_subalgoE4EjNS0_10empty_typeEbEEZZNS1_14partition_implILS8_4ELb0ES6_15HIP_vector_typeIjLj2EENS0_17counting_iteratorIjlEEPS9_SG_NS0_5tupleIJPjSI_NS0_16reverse_iteratorISI_EEEEENSH_IJSG_SG_SG_EEES9_SI_JZNS1_25segmented_radix_sort_implINS0_14default_configELb1EPKlPlSQ_SR_N2at6native12_GLOBAL__N_18offset_tEEE10hipError_tPvRmT1_PNSt15iterator_traitsISZ_E10value_typeET2_T3_PNS10_IS15_E10value_typeET4_jRbjT5_S1B_jjP12ihipStream_tbEUljE_ZNSN_ISO_Lb1ESQ_SR_SQ_SR_SV_EESW_SX_SY_SZ_S13_S14_S15_S18_S19_jS1A_jS1B_S1B_jjS1D_bEUljE0_EEESW_SX_SY_S15_S19_S1B_T6_T7_T9_mT8_S1D_bDpT10_ENKUlT_T0_E_clISt17integral_constantIbLb1EES1Q_IbLb0EEEEDaS1M_S1N_EUlS1M_E_NS1_11comp_targetILNS1_3genE8ELNS1_11target_archE1030ELNS1_3gpuE2ELNS1_3repE0EEENS1_30default_config_static_selectorELNS0_4arch9wavefront6targetE1EEEvSZ_,@function
_ZN7rocprim17ROCPRIM_400000_NS6detail17trampoline_kernelINS0_13select_configILj256ELj13ELNS0_17block_load_methodE3ELS4_3ELS4_3ELNS0_20block_scan_algorithmE0ELj4294967295EEENS1_25partition_config_selectorILNS1_17partition_subalgoE4EjNS0_10empty_typeEbEEZZNS1_14partition_implILS8_4ELb0ES6_15HIP_vector_typeIjLj2EENS0_17counting_iteratorIjlEEPS9_SG_NS0_5tupleIJPjSI_NS0_16reverse_iteratorISI_EEEEENSH_IJSG_SG_SG_EEES9_SI_JZNS1_25segmented_radix_sort_implINS0_14default_configELb1EPKlPlSQ_SR_N2at6native12_GLOBAL__N_18offset_tEEE10hipError_tPvRmT1_PNSt15iterator_traitsISZ_E10value_typeET2_T3_PNS10_IS15_E10value_typeET4_jRbjT5_S1B_jjP12ihipStream_tbEUljE_ZNSN_ISO_Lb1ESQ_SR_SQ_SR_SV_EESW_SX_SY_SZ_S13_S14_S15_S18_S19_jS1A_jS1B_S1B_jjS1D_bEUljE0_EEESW_SX_SY_S15_S19_S1B_T6_T7_T9_mT8_S1D_bDpT10_ENKUlT_T0_E_clISt17integral_constantIbLb1EES1Q_IbLb0EEEEDaS1M_S1N_EUlS1M_E_NS1_11comp_targetILNS1_3genE8ELNS1_11target_archE1030ELNS1_3gpuE2ELNS1_3repE0EEENS1_30default_config_static_selectorELNS0_4arch9wavefront6targetE1EEEvSZ_: ; @_ZN7rocprim17ROCPRIM_400000_NS6detail17trampoline_kernelINS0_13select_configILj256ELj13ELNS0_17block_load_methodE3ELS4_3ELS4_3ELNS0_20block_scan_algorithmE0ELj4294967295EEENS1_25partition_config_selectorILNS1_17partition_subalgoE4EjNS0_10empty_typeEbEEZZNS1_14partition_implILS8_4ELb0ES6_15HIP_vector_typeIjLj2EENS0_17counting_iteratorIjlEEPS9_SG_NS0_5tupleIJPjSI_NS0_16reverse_iteratorISI_EEEEENSH_IJSG_SG_SG_EEES9_SI_JZNS1_25segmented_radix_sort_implINS0_14default_configELb1EPKlPlSQ_SR_N2at6native12_GLOBAL__N_18offset_tEEE10hipError_tPvRmT1_PNSt15iterator_traitsISZ_E10value_typeET2_T3_PNS10_IS15_E10value_typeET4_jRbjT5_S1B_jjP12ihipStream_tbEUljE_ZNSN_ISO_Lb1ESQ_SR_SQ_SR_SV_EESW_SX_SY_SZ_S13_S14_S15_S18_S19_jS1A_jS1B_S1B_jjS1D_bEUljE0_EEESW_SX_SY_S15_S19_S1B_T6_T7_T9_mT8_S1D_bDpT10_ENKUlT_T0_E_clISt17integral_constantIbLb1EES1Q_IbLb0EEEEDaS1M_S1N_EUlS1M_E_NS1_11comp_targetILNS1_3genE8ELNS1_11target_archE1030ELNS1_3gpuE2ELNS1_3repE0EEENS1_30default_config_static_selectorELNS0_4arch9wavefront6targetE1EEEvSZ_
; %bb.0:
	.section	.rodata,"a",@progbits
	.p2align	6, 0x0
	.amdhsa_kernel _ZN7rocprim17ROCPRIM_400000_NS6detail17trampoline_kernelINS0_13select_configILj256ELj13ELNS0_17block_load_methodE3ELS4_3ELS4_3ELNS0_20block_scan_algorithmE0ELj4294967295EEENS1_25partition_config_selectorILNS1_17partition_subalgoE4EjNS0_10empty_typeEbEEZZNS1_14partition_implILS8_4ELb0ES6_15HIP_vector_typeIjLj2EENS0_17counting_iteratorIjlEEPS9_SG_NS0_5tupleIJPjSI_NS0_16reverse_iteratorISI_EEEEENSH_IJSG_SG_SG_EEES9_SI_JZNS1_25segmented_radix_sort_implINS0_14default_configELb1EPKlPlSQ_SR_N2at6native12_GLOBAL__N_18offset_tEEE10hipError_tPvRmT1_PNSt15iterator_traitsISZ_E10value_typeET2_T3_PNS10_IS15_E10value_typeET4_jRbjT5_S1B_jjP12ihipStream_tbEUljE_ZNSN_ISO_Lb1ESQ_SR_SQ_SR_SV_EESW_SX_SY_SZ_S13_S14_S15_S18_S19_jS1A_jS1B_S1B_jjS1D_bEUljE0_EEESW_SX_SY_S15_S19_S1B_T6_T7_T9_mT8_S1D_bDpT10_ENKUlT_T0_E_clISt17integral_constantIbLb1EES1Q_IbLb0EEEEDaS1M_S1N_EUlS1M_E_NS1_11comp_targetILNS1_3genE8ELNS1_11target_archE1030ELNS1_3gpuE2ELNS1_3repE0EEENS1_30default_config_static_selectorELNS0_4arch9wavefront6targetE1EEEvSZ_
		.amdhsa_group_segment_fixed_size 0
		.amdhsa_private_segment_fixed_size 0
		.amdhsa_kernarg_size 176
		.amdhsa_user_sgpr_count 6
		.amdhsa_user_sgpr_private_segment_buffer 1
		.amdhsa_user_sgpr_dispatch_ptr 0
		.amdhsa_user_sgpr_queue_ptr 0
		.amdhsa_user_sgpr_kernarg_segment_ptr 1
		.amdhsa_user_sgpr_dispatch_id 0
		.amdhsa_user_sgpr_flat_scratch_init 0
		.amdhsa_user_sgpr_kernarg_preload_length 0
		.amdhsa_user_sgpr_kernarg_preload_offset 0
		.amdhsa_user_sgpr_private_segment_size 0
		.amdhsa_uses_dynamic_stack 0
		.amdhsa_system_sgpr_private_segment_wavefront_offset 0
		.amdhsa_system_sgpr_workgroup_id_x 1
		.amdhsa_system_sgpr_workgroup_id_y 0
		.amdhsa_system_sgpr_workgroup_id_z 0
		.amdhsa_system_sgpr_workgroup_info 0
		.amdhsa_system_vgpr_workitem_id 0
		.amdhsa_next_free_vgpr 1
		.amdhsa_next_free_sgpr 0
		.amdhsa_accum_offset 4
		.amdhsa_reserve_vcc 0
		.amdhsa_reserve_flat_scratch 0
		.amdhsa_float_round_mode_32 0
		.amdhsa_float_round_mode_16_64 0
		.amdhsa_float_denorm_mode_32 3
		.amdhsa_float_denorm_mode_16_64 3
		.amdhsa_dx10_clamp 1
		.amdhsa_ieee_mode 1
		.amdhsa_fp16_overflow 0
		.amdhsa_tg_split 0
		.amdhsa_exception_fp_ieee_invalid_op 0
		.amdhsa_exception_fp_denorm_src 0
		.amdhsa_exception_fp_ieee_div_zero 0
		.amdhsa_exception_fp_ieee_overflow 0
		.amdhsa_exception_fp_ieee_underflow 0
		.amdhsa_exception_fp_ieee_inexact 0
		.amdhsa_exception_int_div_zero 0
	.end_amdhsa_kernel
	.section	.text._ZN7rocprim17ROCPRIM_400000_NS6detail17trampoline_kernelINS0_13select_configILj256ELj13ELNS0_17block_load_methodE3ELS4_3ELS4_3ELNS0_20block_scan_algorithmE0ELj4294967295EEENS1_25partition_config_selectorILNS1_17partition_subalgoE4EjNS0_10empty_typeEbEEZZNS1_14partition_implILS8_4ELb0ES6_15HIP_vector_typeIjLj2EENS0_17counting_iteratorIjlEEPS9_SG_NS0_5tupleIJPjSI_NS0_16reverse_iteratorISI_EEEEENSH_IJSG_SG_SG_EEES9_SI_JZNS1_25segmented_radix_sort_implINS0_14default_configELb1EPKlPlSQ_SR_N2at6native12_GLOBAL__N_18offset_tEEE10hipError_tPvRmT1_PNSt15iterator_traitsISZ_E10value_typeET2_T3_PNS10_IS15_E10value_typeET4_jRbjT5_S1B_jjP12ihipStream_tbEUljE_ZNSN_ISO_Lb1ESQ_SR_SQ_SR_SV_EESW_SX_SY_SZ_S13_S14_S15_S18_S19_jS1A_jS1B_S1B_jjS1D_bEUljE0_EEESW_SX_SY_S15_S19_S1B_T6_T7_T9_mT8_S1D_bDpT10_ENKUlT_T0_E_clISt17integral_constantIbLb1EES1Q_IbLb0EEEEDaS1M_S1N_EUlS1M_E_NS1_11comp_targetILNS1_3genE8ELNS1_11target_archE1030ELNS1_3gpuE2ELNS1_3repE0EEENS1_30default_config_static_selectorELNS0_4arch9wavefront6targetE1EEEvSZ_,"axG",@progbits,_ZN7rocprim17ROCPRIM_400000_NS6detail17trampoline_kernelINS0_13select_configILj256ELj13ELNS0_17block_load_methodE3ELS4_3ELS4_3ELNS0_20block_scan_algorithmE0ELj4294967295EEENS1_25partition_config_selectorILNS1_17partition_subalgoE4EjNS0_10empty_typeEbEEZZNS1_14partition_implILS8_4ELb0ES6_15HIP_vector_typeIjLj2EENS0_17counting_iteratorIjlEEPS9_SG_NS0_5tupleIJPjSI_NS0_16reverse_iteratorISI_EEEEENSH_IJSG_SG_SG_EEES9_SI_JZNS1_25segmented_radix_sort_implINS0_14default_configELb1EPKlPlSQ_SR_N2at6native12_GLOBAL__N_18offset_tEEE10hipError_tPvRmT1_PNSt15iterator_traitsISZ_E10value_typeET2_T3_PNS10_IS15_E10value_typeET4_jRbjT5_S1B_jjP12ihipStream_tbEUljE_ZNSN_ISO_Lb1ESQ_SR_SQ_SR_SV_EESW_SX_SY_SZ_S13_S14_S15_S18_S19_jS1A_jS1B_S1B_jjS1D_bEUljE0_EEESW_SX_SY_S15_S19_S1B_T6_T7_T9_mT8_S1D_bDpT10_ENKUlT_T0_E_clISt17integral_constantIbLb1EES1Q_IbLb0EEEEDaS1M_S1N_EUlS1M_E_NS1_11comp_targetILNS1_3genE8ELNS1_11target_archE1030ELNS1_3gpuE2ELNS1_3repE0EEENS1_30default_config_static_selectorELNS0_4arch9wavefront6targetE1EEEvSZ_,comdat
.Lfunc_end663:
	.size	_ZN7rocprim17ROCPRIM_400000_NS6detail17trampoline_kernelINS0_13select_configILj256ELj13ELNS0_17block_load_methodE3ELS4_3ELS4_3ELNS0_20block_scan_algorithmE0ELj4294967295EEENS1_25partition_config_selectorILNS1_17partition_subalgoE4EjNS0_10empty_typeEbEEZZNS1_14partition_implILS8_4ELb0ES6_15HIP_vector_typeIjLj2EENS0_17counting_iteratorIjlEEPS9_SG_NS0_5tupleIJPjSI_NS0_16reverse_iteratorISI_EEEEENSH_IJSG_SG_SG_EEES9_SI_JZNS1_25segmented_radix_sort_implINS0_14default_configELb1EPKlPlSQ_SR_N2at6native12_GLOBAL__N_18offset_tEEE10hipError_tPvRmT1_PNSt15iterator_traitsISZ_E10value_typeET2_T3_PNS10_IS15_E10value_typeET4_jRbjT5_S1B_jjP12ihipStream_tbEUljE_ZNSN_ISO_Lb1ESQ_SR_SQ_SR_SV_EESW_SX_SY_SZ_S13_S14_S15_S18_S19_jS1A_jS1B_S1B_jjS1D_bEUljE0_EEESW_SX_SY_S15_S19_S1B_T6_T7_T9_mT8_S1D_bDpT10_ENKUlT_T0_E_clISt17integral_constantIbLb1EES1Q_IbLb0EEEEDaS1M_S1N_EUlS1M_E_NS1_11comp_targetILNS1_3genE8ELNS1_11target_archE1030ELNS1_3gpuE2ELNS1_3repE0EEENS1_30default_config_static_selectorELNS0_4arch9wavefront6targetE1EEEvSZ_, .Lfunc_end663-_ZN7rocprim17ROCPRIM_400000_NS6detail17trampoline_kernelINS0_13select_configILj256ELj13ELNS0_17block_load_methodE3ELS4_3ELS4_3ELNS0_20block_scan_algorithmE0ELj4294967295EEENS1_25partition_config_selectorILNS1_17partition_subalgoE4EjNS0_10empty_typeEbEEZZNS1_14partition_implILS8_4ELb0ES6_15HIP_vector_typeIjLj2EENS0_17counting_iteratorIjlEEPS9_SG_NS0_5tupleIJPjSI_NS0_16reverse_iteratorISI_EEEEENSH_IJSG_SG_SG_EEES9_SI_JZNS1_25segmented_radix_sort_implINS0_14default_configELb1EPKlPlSQ_SR_N2at6native12_GLOBAL__N_18offset_tEEE10hipError_tPvRmT1_PNSt15iterator_traitsISZ_E10value_typeET2_T3_PNS10_IS15_E10value_typeET4_jRbjT5_S1B_jjP12ihipStream_tbEUljE_ZNSN_ISO_Lb1ESQ_SR_SQ_SR_SV_EESW_SX_SY_SZ_S13_S14_S15_S18_S19_jS1A_jS1B_S1B_jjS1D_bEUljE0_EEESW_SX_SY_S15_S19_S1B_T6_T7_T9_mT8_S1D_bDpT10_ENKUlT_T0_E_clISt17integral_constantIbLb1EES1Q_IbLb0EEEEDaS1M_S1N_EUlS1M_E_NS1_11comp_targetILNS1_3genE8ELNS1_11target_archE1030ELNS1_3gpuE2ELNS1_3repE0EEENS1_30default_config_static_selectorELNS0_4arch9wavefront6targetE1EEEvSZ_
                                        ; -- End function
	.section	.AMDGPU.csdata,"",@progbits
; Kernel info:
; codeLenInByte = 0
; NumSgprs: 4
; NumVgprs: 0
; NumAgprs: 0
; TotalNumVgprs: 0
; ScratchSize: 0
; MemoryBound: 0
; FloatMode: 240
; IeeeMode: 1
; LDSByteSize: 0 bytes/workgroup (compile time only)
; SGPRBlocks: 0
; VGPRBlocks: 0
; NumSGPRsForWavesPerEU: 4
; NumVGPRsForWavesPerEU: 1
; AccumOffset: 4
; Occupancy: 8
; WaveLimiterHint : 0
; COMPUTE_PGM_RSRC2:SCRATCH_EN: 0
; COMPUTE_PGM_RSRC2:USER_SGPR: 6
; COMPUTE_PGM_RSRC2:TRAP_HANDLER: 0
; COMPUTE_PGM_RSRC2:TGID_X_EN: 1
; COMPUTE_PGM_RSRC2:TGID_Y_EN: 0
; COMPUTE_PGM_RSRC2:TGID_Z_EN: 0
; COMPUTE_PGM_RSRC2:TIDIG_COMP_CNT: 0
; COMPUTE_PGM_RSRC3_GFX90A:ACCUM_OFFSET: 0
; COMPUTE_PGM_RSRC3_GFX90A:TG_SPLIT: 0
	.section	.text._ZN7rocprim17ROCPRIM_400000_NS6detail17trampoline_kernelINS0_13select_configILj256ELj13ELNS0_17block_load_methodE3ELS4_3ELS4_3ELNS0_20block_scan_algorithmE0ELj4294967295EEENS1_25partition_config_selectorILNS1_17partition_subalgoE4EjNS0_10empty_typeEbEEZZNS1_14partition_implILS8_4ELb0ES6_15HIP_vector_typeIjLj2EENS0_17counting_iteratorIjlEEPS9_SG_NS0_5tupleIJPjSI_NS0_16reverse_iteratorISI_EEEEENSH_IJSG_SG_SG_EEES9_SI_JZNS1_25segmented_radix_sort_implINS0_14default_configELb1EPKlPlSQ_SR_N2at6native12_GLOBAL__N_18offset_tEEE10hipError_tPvRmT1_PNSt15iterator_traitsISZ_E10value_typeET2_T3_PNS10_IS15_E10value_typeET4_jRbjT5_S1B_jjP12ihipStream_tbEUljE_ZNSN_ISO_Lb1ESQ_SR_SQ_SR_SV_EESW_SX_SY_SZ_S13_S14_S15_S18_S19_jS1A_jS1B_S1B_jjS1D_bEUljE0_EEESW_SX_SY_S15_S19_S1B_T6_T7_T9_mT8_S1D_bDpT10_ENKUlT_T0_E_clISt17integral_constantIbLb0EES1Q_IbLb1EEEEDaS1M_S1N_EUlS1M_E_NS1_11comp_targetILNS1_3genE0ELNS1_11target_archE4294967295ELNS1_3gpuE0ELNS1_3repE0EEENS1_30default_config_static_selectorELNS0_4arch9wavefront6targetE1EEEvSZ_,"axG",@progbits,_ZN7rocprim17ROCPRIM_400000_NS6detail17trampoline_kernelINS0_13select_configILj256ELj13ELNS0_17block_load_methodE3ELS4_3ELS4_3ELNS0_20block_scan_algorithmE0ELj4294967295EEENS1_25partition_config_selectorILNS1_17partition_subalgoE4EjNS0_10empty_typeEbEEZZNS1_14partition_implILS8_4ELb0ES6_15HIP_vector_typeIjLj2EENS0_17counting_iteratorIjlEEPS9_SG_NS0_5tupleIJPjSI_NS0_16reverse_iteratorISI_EEEEENSH_IJSG_SG_SG_EEES9_SI_JZNS1_25segmented_radix_sort_implINS0_14default_configELb1EPKlPlSQ_SR_N2at6native12_GLOBAL__N_18offset_tEEE10hipError_tPvRmT1_PNSt15iterator_traitsISZ_E10value_typeET2_T3_PNS10_IS15_E10value_typeET4_jRbjT5_S1B_jjP12ihipStream_tbEUljE_ZNSN_ISO_Lb1ESQ_SR_SQ_SR_SV_EESW_SX_SY_SZ_S13_S14_S15_S18_S19_jS1A_jS1B_S1B_jjS1D_bEUljE0_EEESW_SX_SY_S15_S19_S1B_T6_T7_T9_mT8_S1D_bDpT10_ENKUlT_T0_E_clISt17integral_constantIbLb0EES1Q_IbLb1EEEEDaS1M_S1N_EUlS1M_E_NS1_11comp_targetILNS1_3genE0ELNS1_11target_archE4294967295ELNS1_3gpuE0ELNS1_3repE0EEENS1_30default_config_static_selectorELNS0_4arch9wavefront6targetE1EEEvSZ_,comdat
	.globl	_ZN7rocprim17ROCPRIM_400000_NS6detail17trampoline_kernelINS0_13select_configILj256ELj13ELNS0_17block_load_methodE3ELS4_3ELS4_3ELNS0_20block_scan_algorithmE0ELj4294967295EEENS1_25partition_config_selectorILNS1_17partition_subalgoE4EjNS0_10empty_typeEbEEZZNS1_14partition_implILS8_4ELb0ES6_15HIP_vector_typeIjLj2EENS0_17counting_iteratorIjlEEPS9_SG_NS0_5tupleIJPjSI_NS0_16reverse_iteratorISI_EEEEENSH_IJSG_SG_SG_EEES9_SI_JZNS1_25segmented_radix_sort_implINS0_14default_configELb1EPKlPlSQ_SR_N2at6native12_GLOBAL__N_18offset_tEEE10hipError_tPvRmT1_PNSt15iterator_traitsISZ_E10value_typeET2_T3_PNS10_IS15_E10value_typeET4_jRbjT5_S1B_jjP12ihipStream_tbEUljE_ZNSN_ISO_Lb1ESQ_SR_SQ_SR_SV_EESW_SX_SY_SZ_S13_S14_S15_S18_S19_jS1A_jS1B_S1B_jjS1D_bEUljE0_EEESW_SX_SY_S15_S19_S1B_T6_T7_T9_mT8_S1D_bDpT10_ENKUlT_T0_E_clISt17integral_constantIbLb0EES1Q_IbLb1EEEEDaS1M_S1N_EUlS1M_E_NS1_11comp_targetILNS1_3genE0ELNS1_11target_archE4294967295ELNS1_3gpuE0ELNS1_3repE0EEENS1_30default_config_static_selectorELNS0_4arch9wavefront6targetE1EEEvSZ_ ; -- Begin function _ZN7rocprim17ROCPRIM_400000_NS6detail17trampoline_kernelINS0_13select_configILj256ELj13ELNS0_17block_load_methodE3ELS4_3ELS4_3ELNS0_20block_scan_algorithmE0ELj4294967295EEENS1_25partition_config_selectorILNS1_17partition_subalgoE4EjNS0_10empty_typeEbEEZZNS1_14partition_implILS8_4ELb0ES6_15HIP_vector_typeIjLj2EENS0_17counting_iteratorIjlEEPS9_SG_NS0_5tupleIJPjSI_NS0_16reverse_iteratorISI_EEEEENSH_IJSG_SG_SG_EEES9_SI_JZNS1_25segmented_radix_sort_implINS0_14default_configELb1EPKlPlSQ_SR_N2at6native12_GLOBAL__N_18offset_tEEE10hipError_tPvRmT1_PNSt15iterator_traitsISZ_E10value_typeET2_T3_PNS10_IS15_E10value_typeET4_jRbjT5_S1B_jjP12ihipStream_tbEUljE_ZNSN_ISO_Lb1ESQ_SR_SQ_SR_SV_EESW_SX_SY_SZ_S13_S14_S15_S18_S19_jS1A_jS1B_S1B_jjS1D_bEUljE0_EEESW_SX_SY_S15_S19_S1B_T6_T7_T9_mT8_S1D_bDpT10_ENKUlT_T0_E_clISt17integral_constantIbLb0EES1Q_IbLb1EEEEDaS1M_S1N_EUlS1M_E_NS1_11comp_targetILNS1_3genE0ELNS1_11target_archE4294967295ELNS1_3gpuE0ELNS1_3repE0EEENS1_30default_config_static_selectorELNS0_4arch9wavefront6targetE1EEEvSZ_
	.p2align	8
	.type	_ZN7rocprim17ROCPRIM_400000_NS6detail17trampoline_kernelINS0_13select_configILj256ELj13ELNS0_17block_load_methodE3ELS4_3ELS4_3ELNS0_20block_scan_algorithmE0ELj4294967295EEENS1_25partition_config_selectorILNS1_17partition_subalgoE4EjNS0_10empty_typeEbEEZZNS1_14partition_implILS8_4ELb0ES6_15HIP_vector_typeIjLj2EENS0_17counting_iteratorIjlEEPS9_SG_NS0_5tupleIJPjSI_NS0_16reverse_iteratorISI_EEEEENSH_IJSG_SG_SG_EEES9_SI_JZNS1_25segmented_radix_sort_implINS0_14default_configELb1EPKlPlSQ_SR_N2at6native12_GLOBAL__N_18offset_tEEE10hipError_tPvRmT1_PNSt15iterator_traitsISZ_E10value_typeET2_T3_PNS10_IS15_E10value_typeET4_jRbjT5_S1B_jjP12ihipStream_tbEUljE_ZNSN_ISO_Lb1ESQ_SR_SQ_SR_SV_EESW_SX_SY_SZ_S13_S14_S15_S18_S19_jS1A_jS1B_S1B_jjS1D_bEUljE0_EEESW_SX_SY_S15_S19_S1B_T6_T7_T9_mT8_S1D_bDpT10_ENKUlT_T0_E_clISt17integral_constantIbLb0EES1Q_IbLb1EEEEDaS1M_S1N_EUlS1M_E_NS1_11comp_targetILNS1_3genE0ELNS1_11target_archE4294967295ELNS1_3gpuE0ELNS1_3repE0EEENS1_30default_config_static_selectorELNS0_4arch9wavefront6targetE1EEEvSZ_,@function
_ZN7rocprim17ROCPRIM_400000_NS6detail17trampoline_kernelINS0_13select_configILj256ELj13ELNS0_17block_load_methodE3ELS4_3ELS4_3ELNS0_20block_scan_algorithmE0ELj4294967295EEENS1_25partition_config_selectorILNS1_17partition_subalgoE4EjNS0_10empty_typeEbEEZZNS1_14partition_implILS8_4ELb0ES6_15HIP_vector_typeIjLj2EENS0_17counting_iteratorIjlEEPS9_SG_NS0_5tupleIJPjSI_NS0_16reverse_iteratorISI_EEEEENSH_IJSG_SG_SG_EEES9_SI_JZNS1_25segmented_radix_sort_implINS0_14default_configELb1EPKlPlSQ_SR_N2at6native12_GLOBAL__N_18offset_tEEE10hipError_tPvRmT1_PNSt15iterator_traitsISZ_E10value_typeET2_T3_PNS10_IS15_E10value_typeET4_jRbjT5_S1B_jjP12ihipStream_tbEUljE_ZNSN_ISO_Lb1ESQ_SR_SQ_SR_SV_EESW_SX_SY_SZ_S13_S14_S15_S18_S19_jS1A_jS1B_S1B_jjS1D_bEUljE0_EEESW_SX_SY_S15_S19_S1B_T6_T7_T9_mT8_S1D_bDpT10_ENKUlT_T0_E_clISt17integral_constantIbLb0EES1Q_IbLb1EEEEDaS1M_S1N_EUlS1M_E_NS1_11comp_targetILNS1_3genE0ELNS1_11target_archE4294967295ELNS1_3gpuE0ELNS1_3repE0EEENS1_30default_config_static_selectorELNS0_4arch9wavefront6targetE1EEEvSZ_: ; @_ZN7rocprim17ROCPRIM_400000_NS6detail17trampoline_kernelINS0_13select_configILj256ELj13ELNS0_17block_load_methodE3ELS4_3ELS4_3ELNS0_20block_scan_algorithmE0ELj4294967295EEENS1_25partition_config_selectorILNS1_17partition_subalgoE4EjNS0_10empty_typeEbEEZZNS1_14partition_implILS8_4ELb0ES6_15HIP_vector_typeIjLj2EENS0_17counting_iteratorIjlEEPS9_SG_NS0_5tupleIJPjSI_NS0_16reverse_iteratorISI_EEEEENSH_IJSG_SG_SG_EEES9_SI_JZNS1_25segmented_radix_sort_implINS0_14default_configELb1EPKlPlSQ_SR_N2at6native12_GLOBAL__N_18offset_tEEE10hipError_tPvRmT1_PNSt15iterator_traitsISZ_E10value_typeET2_T3_PNS10_IS15_E10value_typeET4_jRbjT5_S1B_jjP12ihipStream_tbEUljE_ZNSN_ISO_Lb1ESQ_SR_SQ_SR_SV_EESW_SX_SY_SZ_S13_S14_S15_S18_S19_jS1A_jS1B_S1B_jjS1D_bEUljE0_EEESW_SX_SY_S15_S19_S1B_T6_T7_T9_mT8_S1D_bDpT10_ENKUlT_T0_E_clISt17integral_constantIbLb0EES1Q_IbLb1EEEEDaS1M_S1N_EUlS1M_E_NS1_11comp_targetILNS1_3genE0ELNS1_11target_archE4294967295ELNS1_3gpuE0ELNS1_3repE0EEENS1_30default_config_static_selectorELNS0_4arch9wavefront6targetE1EEEvSZ_
; %bb.0:
	.section	.rodata,"a",@progbits
	.p2align	6, 0x0
	.amdhsa_kernel _ZN7rocprim17ROCPRIM_400000_NS6detail17trampoline_kernelINS0_13select_configILj256ELj13ELNS0_17block_load_methodE3ELS4_3ELS4_3ELNS0_20block_scan_algorithmE0ELj4294967295EEENS1_25partition_config_selectorILNS1_17partition_subalgoE4EjNS0_10empty_typeEbEEZZNS1_14partition_implILS8_4ELb0ES6_15HIP_vector_typeIjLj2EENS0_17counting_iteratorIjlEEPS9_SG_NS0_5tupleIJPjSI_NS0_16reverse_iteratorISI_EEEEENSH_IJSG_SG_SG_EEES9_SI_JZNS1_25segmented_radix_sort_implINS0_14default_configELb1EPKlPlSQ_SR_N2at6native12_GLOBAL__N_18offset_tEEE10hipError_tPvRmT1_PNSt15iterator_traitsISZ_E10value_typeET2_T3_PNS10_IS15_E10value_typeET4_jRbjT5_S1B_jjP12ihipStream_tbEUljE_ZNSN_ISO_Lb1ESQ_SR_SQ_SR_SV_EESW_SX_SY_SZ_S13_S14_S15_S18_S19_jS1A_jS1B_S1B_jjS1D_bEUljE0_EEESW_SX_SY_S15_S19_S1B_T6_T7_T9_mT8_S1D_bDpT10_ENKUlT_T0_E_clISt17integral_constantIbLb0EES1Q_IbLb1EEEEDaS1M_S1N_EUlS1M_E_NS1_11comp_targetILNS1_3genE0ELNS1_11target_archE4294967295ELNS1_3gpuE0ELNS1_3repE0EEENS1_30default_config_static_selectorELNS0_4arch9wavefront6targetE1EEEvSZ_
		.amdhsa_group_segment_fixed_size 0
		.amdhsa_private_segment_fixed_size 0
		.amdhsa_kernarg_size 184
		.amdhsa_user_sgpr_count 6
		.amdhsa_user_sgpr_private_segment_buffer 1
		.amdhsa_user_sgpr_dispatch_ptr 0
		.amdhsa_user_sgpr_queue_ptr 0
		.amdhsa_user_sgpr_kernarg_segment_ptr 1
		.amdhsa_user_sgpr_dispatch_id 0
		.amdhsa_user_sgpr_flat_scratch_init 0
		.amdhsa_user_sgpr_kernarg_preload_length 0
		.amdhsa_user_sgpr_kernarg_preload_offset 0
		.amdhsa_user_sgpr_private_segment_size 0
		.amdhsa_uses_dynamic_stack 0
		.amdhsa_system_sgpr_private_segment_wavefront_offset 0
		.amdhsa_system_sgpr_workgroup_id_x 1
		.amdhsa_system_sgpr_workgroup_id_y 0
		.amdhsa_system_sgpr_workgroup_id_z 0
		.amdhsa_system_sgpr_workgroup_info 0
		.amdhsa_system_vgpr_workitem_id 0
		.amdhsa_next_free_vgpr 1
		.amdhsa_next_free_sgpr 0
		.amdhsa_accum_offset 4
		.amdhsa_reserve_vcc 0
		.amdhsa_reserve_flat_scratch 0
		.amdhsa_float_round_mode_32 0
		.amdhsa_float_round_mode_16_64 0
		.amdhsa_float_denorm_mode_32 3
		.amdhsa_float_denorm_mode_16_64 3
		.amdhsa_dx10_clamp 1
		.amdhsa_ieee_mode 1
		.amdhsa_fp16_overflow 0
		.amdhsa_tg_split 0
		.amdhsa_exception_fp_ieee_invalid_op 0
		.amdhsa_exception_fp_denorm_src 0
		.amdhsa_exception_fp_ieee_div_zero 0
		.amdhsa_exception_fp_ieee_overflow 0
		.amdhsa_exception_fp_ieee_underflow 0
		.amdhsa_exception_fp_ieee_inexact 0
		.amdhsa_exception_int_div_zero 0
	.end_amdhsa_kernel
	.section	.text._ZN7rocprim17ROCPRIM_400000_NS6detail17trampoline_kernelINS0_13select_configILj256ELj13ELNS0_17block_load_methodE3ELS4_3ELS4_3ELNS0_20block_scan_algorithmE0ELj4294967295EEENS1_25partition_config_selectorILNS1_17partition_subalgoE4EjNS0_10empty_typeEbEEZZNS1_14partition_implILS8_4ELb0ES6_15HIP_vector_typeIjLj2EENS0_17counting_iteratorIjlEEPS9_SG_NS0_5tupleIJPjSI_NS0_16reverse_iteratorISI_EEEEENSH_IJSG_SG_SG_EEES9_SI_JZNS1_25segmented_radix_sort_implINS0_14default_configELb1EPKlPlSQ_SR_N2at6native12_GLOBAL__N_18offset_tEEE10hipError_tPvRmT1_PNSt15iterator_traitsISZ_E10value_typeET2_T3_PNS10_IS15_E10value_typeET4_jRbjT5_S1B_jjP12ihipStream_tbEUljE_ZNSN_ISO_Lb1ESQ_SR_SQ_SR_SV_EESW_SX_SY_SZ_S13_S14_S15_S18_S19_jS1A_jS1B_S1B_jjS1D_bEUljE0_EEESW_SX_SY_S15_S19_S1B_T6_T7_T9_mT8_S1D_bDpT10_ENKUlT_T0_E_clISt17integral_constantIbLb0EES1Q_IbLb1EEEEDaS1M_S1N_EUlS1M_E_NS1_11comp_targetILNS1_3genE0ELNS1_11target_archE4294967295ELNS1_3gpuE0ELNS1_3repE0EEENS1_30default_config_static_selectorELNS0_4arch9wavefront6targetE1EEEvSZ_,"axG",@progbits,_ZN7rocprim17ROCPRIM_400000_NS6detail17trampoline_kernelINS0_13select_configILj256ELj13ELNS0_17block_load_methodE3ELS4_3ELS4_3ELNS0_20block_scan_algorithmE0ELj4294967295EEENS1_25partition_config_selectorILNS1_17partition_subalgoE4EjNS0_10empty_typeEbEEZZNS1_14partition_implILS8_4ELb0ES6_15HIP_vector_typeIjLj2EENS0_17counting_iteratorIjlEEPS9_SG_NS0_5tupleIJPjSI_NS0_16reverse_iteratorISI_EEEEENSH_IJSG_SG_SG_EEES9_SI_JZNS1_25segmented_radix_sort_implINS0_14default_configELb1EPKlPlSQ_SR_N2at6native12_GLOBAL__N_18offset_tEEE10hipError_tPvRmT1_PNSt15iterator_traitsISZ_E10value_typeET2_T3_PNS10_IS15_E10value_typeET4_jRbjT5_S1B_jjP12ihipStream_tbEUljE_ZNSN_ISO_Lb1ESQ_SR_SQ_SR_SV_EESW_SX_SY_SZ_S13_S14_S15_S18_S19_jS1A_jS1B_S1B_jjS1D_bEUljE0_EEESW_SX_SY_S15_S19_S1B_T6_T7_T9_mT8_S1D_bDpT10_ENKUlT_T0_E_clISt17integral_constantIbLb0EES1Q_IbLb1EEEEDaS1M_S1N_EUlS1M_E_NS1_11comp_targetILNS1_3genE0ELNS1_11target_archE4294967295ELNS1_3gpuE0ELNS1_3repE0EEENS1_30default_config_static_selectorELNS0_4arch9wavefront6targetE1EEEvSZ_,comdat
.Lfunc_end664:
	.size	_ZN7rocprim17ROCPRIM_400000_NS6detail17trampoline_kernelINS0_13select_configILj256ELj13ELNS0_17block_load_methodE3ELS4_3ELS4_3ELNS0_20block_scan_algorithmE0ELj4294967295EEENS1_25partition_config_selectorILNS1_17partition_subalgoE4EjNS0_10empty_typeEbEEZZNS1_14partition_implILS8_4ELb0ES6_15HIP_vector_typeIjLj2EENS0_17counting_iteratorIjlEEPS9_SG_NS0_5tupleIJPjSI_NS0_16reverse_iteratorISI_EEEEENSH_IJSG_SG_SG_EEES9_SI_JZNS1_25segmented_radix_sort_implINS0_14default_configELb1EPKlPlSQ_SR_N2at6native12_GLOBAL__N_18offset_tEEE10hipError_tPvRmT1_PNSt15iterator_traitsISZ_E10value_typeET2_T3_PNS10_IS15_E10value_typeET4_jRbjT5_S1B_jjP12ihipStream_tbEUljE_ZNSN_ISO_Lb1ESQ_SR_SQ_SR_SV_EESW_SX_SY_SZ_S13_S14_S15_S18_S19_jS1A_jS1B_S1B_jjS1D_bEUljE0_EEESW_SX_SY_S15_S19_S1B_T6_T7_T9_mT8_S1D_bDpT10_ENKUlT_T0_E_clISt17integral_constantIbLb0EES1Q_IbLb1EEEEDaS1M_S1N_EUlS1M_E_NS1_11comp_targetILNS1_3genE0ELNS1_11target_archE4294967295ELNS1_3gpuE0ELNS1_3repE0EEENS1_30default_config_static_selectorELNS0_4arch9wavefront6targetE1EEEvSZ_, .Lfunc_end664-_ZN7rocprim17ROCPRIM_400000_NS6detail17trampoline_kernelINS0_13select_configILj256ELj13ELNS0_17block_load_methodE3ELS4_3ELS4_3ELNS0_20block_scan_algorithmE0ELj4294967295EEENS1_25partition_config_selectorILNS1_17partition_subalgoE4EjNS0_10empty_typeEbEEZZNS1_14partition_implILS8_4ELb0ES6_15HIP_vector_typeIjLj2EENS0_17counting_iteratorIjlEEPS9_SG_NS0_5tupleIJPjSI_NS0_16reverse_iteratorISI_EEEEENSH_IJSG_SG_SG_EEES9_SI_JZNS1_25segmented_radix_sort_implINS0_14default_configELb1EPKlPlSQ_SR_N2at6native12_GLOBAL__N_18offset_tEEE10hipError_tPvRmT1_PNSt15iterator_traitsISZ_E10value_typeET2_T3_PNS10_IS15_E10value_typeET4_jRbjT5_S1B_jjP12ihipStream_tbEUljE_ZNSN_ISO_Lb1ESQ_SR_SQ_SR_SV_EESW_SX_SY_SZ_S13_S14_S15_S18_S19_jS1A_jS1B_S1B_jjS1D_bEUljE0_EEESW_SX_SY_S15_S19_S1B_T6_T7_T9_mT8_S1D_bDpT10_ENKUlT_T0_E_clISt17integral_constantIbLb0EES1Q_IbLb1EEEEDaS1M_S1N_EUlS1M_E_NS1_11comp_targetILNS1_3genE0ELNS1_11target_archE4294967295ELNS1_3gpuE0ELNS1_3repE0EEENS1_30default_config_static_selectorELNS0_4arch9wavefront6targetE1EEEvSZ_
                                        ; -- End function
	.section	.AMDGPU.csdata,"",@progbits
; Kernel info:
; codeLenInByte = 0
; NumSgprs: 4
; NumVgprs: 0
; NumAgprs: 0
; TotalNumVgprs: 0
; ScratchSize: 0
; MemoryBound: 0
; FloatMode: 240
; IeeeMode: 1
; LDSByteSize: 0 bytes/workgroup (compile time only)
; SGPRBlocks: 0
; VGPRBlocks: 0
; NumSGPRsForWavesPerEU: 4
; NumVGPRsForWavesPerEU: 1
; AccumOffset: 4
; Occupancy: 8
; WaveLimiterHint : 0
; COMPUTE_PGM_RSRC2:SCRATCH_EN: 0
; COMPUTE_PGM_RSRC2:USER_SGPR: 6
; COMPUTE_PGM_RSRC2:TRAP_HANDLER: 0
; COMPUTE_PGM_RSRC2:TGID_X_EN: 1
; COMPUTE_PGM_RSRC2:TGID_Y_EN: 0
; COMPUTE_PGM_RSRC2:TGID_Z_EN: 0
; COMPUTE_PGM_RSRC2:TIDIG_COMP_CNT: 0
; COMPUTE_PGM_RSRC3_GFX90A:ACCUM_OFFSET: 0
; COMPUTE_PGM_RSRC3_GFX90A:TG_SPLIT: 0
	.section	.text._ZN7rocprim17ROCPRIM_400000_NS6detail17trampoline_kernelINS0_13select_configILj256ELj13ELNS0_17block_load_methodE3ELS4_3ELS4_3ELNS0_20block_scan_algorithmE0ELj4294967295EEENS1_25partition_config_selectorILNS1_17partition_subalgoE4EjNS0_10empty_typeEbEEZZNS1_14partition_implILS8_4ELb0ES6_15HIP_vector_typeIjLj2EENS0_17counting_iteratorIjlEEPS9_SG_NS0_5tupleIJPjSI_NS0_16reverse_iteratorISI_EEEEENSH_IJSG_SG_SG_EEES9_SI_JZNS1_25segmented_radix_sort_implINS0_14default_configELb1EPKlPlSQ_SR_N2at6native12_GLOBAL__N_18offset_tEEE10hipError_tPvRmT1_PNSt15iterator_traitsISZ_E10value_typeET2_T3_PNS10_IS15_E10value_typeET4_jRbjT5_S1B_jjP12ihipStream_tbEUljE_ZNSN_ISO_Lb1ESQ_SR_SQ_SR_SV_EESW_SX_SY_SZ_S13_S14_S15_S18_S19_jS1A_jS1B_S1B_jjS1D_bEUljE0_EEESW_SX_SY_S15_S19_S1B_T6_T7_T9_mT8_S1D_bDpT10_ENKUlT_T0_E_clISt17integral_constantIbLb0EES1Q_IbLb1EEEEDaS1M_S1N_EUlS1M_E_NS1_11comp_targetILNS1_3genE5ELNS1_11target_archE942ELNS1_3gpuE9ELNS1_3repE0EEENS1_30default_config_static_selectorELNS0_4arch9wavefront6targetE1EEEvSZ_,"axG",@progbits,_ZN7rocprim17ROCPRIM_400000_NS6detail17trampoline_kernelINS0_13select_configILj256ELj13ELNS0_17block_load_methodE3ELS4_3ELS4_3ELNS0_20block_scan_algorithmE0ELj4294967295EEENS1_25partition_config_selectorILNS1_17partition_subalgoE4EjNS0_10empty_typeEbEEZZNS1_14partition_implILS8_4ELb0ES6_15HIP_vector_typeIjLj2EENS0_17counting_iteratorIjlEEPS9_SG_NS0_5tupleIJPjSI_NS0_16reverse_iteratorISI_EEEEENSH_IJSG_SG_SG_EEES9_SI_JZNS1_25segmented_radix_sort_implINS0_14default_configELb1EPKlPlSQ_SR_N2at6native12_GLOBAL__N_18offset_tEEE10hipError_tPvRmT1_PNSt15iterator_traitsISZ_E10value_typeET2_T3_PNS10_IS15_E10value_typeET4_jRbjT5_S1B_jjP12ihipStream_tbEUljE_ZNSN_ISO_Lb1ESQ_SR_SQ_SR_SV_EESW_SX_SY_SZ_S13_S14_S15_S18_S19_jS1A_jS1B_S1B_jjS1D_bEUljE0_EEESW_SX_SY_S15_S19_S1B_T6_T7_T9_mT8_S1D_bDpT10_ENKUlT_T0_E_clISt17integral_constantIbLb0EES1Q_IbLb1EEEEDaS1M_S1N_EUlS1M_E_NS1_11comp_targetILNS1_3genE5ELNS1_11target_archE942ELNS1_3gpuE9ELNS1_3repE0EEENS1_30default_config_static_selectorELNS0_4arch9wavefront6targetE1EEEvSZ_,comdat
	.globl	_ZN7rocprim17ROCPRIM_400000_NS6detail17trampoline_kernelINS0_13select_configILj256ELj13ELNS0_17block_load_methodE3ELS4_3ELS4_3ELNS0_20block_scan_algorithmE0ELj4294967295EEENS1_25partition_config_selectorILNS1_17partition_subalgoE4EjNS0_10empty_typeEbEEZZNS1_14partition_implILS8_4ELb0ES6_15HIP_vector_typeIjLj2EENS0_17counting_iteratorIjlEEPS9_SG_NS0_5tupleIJPjSI_NS0_16reverse_iteratorISI_EEEEENSH_IJSG_SG_SG_EEES9_SI_JZNS1_25segmented_radix_sort_implINS0_14default_configELb1EPKlPlSQ_SR_N2at6native12_GLOBAL__N_18offset_tEEE10hipError_tPvRmT1_PNSt15iterator_traitsISZ_E10value_typeET2_T3_PNS10_IS15_E10value_typeET4_jRbjT5_S1B_jjP12ihipStream_tbEUljE_ZNSN_ISO_Lb1ESQ_SR_SQ_SR_SV_EESW_SX_SY_SZ_S13_S14_S15_S18_S19_jS1A_jS1B_S1B_jjS1D_bEUljE0_EEESW_SX_SY_S15_S19_S1B_T6_T7_T9_mT8_S1D_bDpT10_ENKUlT_T0_E_clISt17integral_constantIbLb0EES1Q_IbLb1EEEEDaS1M_S1N_EUlS1M_E_NS1_11comp_targetILNS1_3genE5ELNS1_11target_archE942ELNS1_3gpuE9ELNS1_3repE0EEENS1_30default_config_static_selectorELNS0_4arch9wavefront6targetE1EEEvSZ_ ; -- Begin function _ZN7rocprim17ROCPRIM_400000_NS6detail17trampoline_kernelINS0_13select_configILj256ELj13ELNS0_17block_load_methodE3ELS4_3ELS4_3ELNS0_20block_scan_algorithmE0ELj4294967295EEENS1_25partition_config_selectorILNS1_17partition_subalgoE4EjNS0_10empty_typeEbEEZZNS1_14partition_implILS8_4ELb0ES6_15HIP_vector_typeIjLj2EENS0_17counting_iteratorIjlEEPS9_SG_NS0_5tupleIJPjSI_NS0_16reverse_iteratorISI_EEEEENSH_IJSG_SG_SG_EEES9_SI_JZNS1_25segmented_radix_sort_implINS0_14default_configELb1EPKlPlSQ_SR_N2at6native12_GLOBAL__N_18offset_tEEE10hipError_tPvRmT1_PNSt15iterator_traitsISZ_E10value_typeET2_T3_PNS10_IS15_E10value_typeET4_jRbjT5_S1B_jjP12ihipStream_tbEUljE_ZNSN_ISO_Lb1ESQ_SR_SQ_SR_SV_EESW_SX_SY_SZ_S13_S14_S15_S18_S19_jS1A_jS1B_S1B_jjS1D_bEUljE0_EEESW_SX_SY_S15_S19_S1B_T6_T7_T9_mT8_S1D_bDpT10_ENKUlT_T0_E_clISt17integral_constantIbLb0EES1Q_IbLb1EEEEDaS1M_S1N_EUlS1M_E_NS1_11comp_targetILNS1_3genE5ELNS1_11target_archE942ELNS1_3gpuE9ELNS1_3repE0EEENS1_30default_config_static_selectorELNS0_4arch9wavefront6targetE1EEEvSZ_
	.p2align	8
	.type	_ZN7rocprim17ROCPRIM_400000_NS6detail17trampoline_kernelINS0_13select_configILj256ELj13ELNS0_17block_load_methodE3ELS4_3ELS4_3ELNS0_20block_scan_algorithmE0ELj4294967295EEENS1_25partition_config_selectorILNS1_17partition_subalgoE4EjNS0_10empty_typeEbEEZZNS1_14partition_implILS8_4ELb0ES6_15HIP_vector_typeIjLj2EENS0_17counting_iteratorIjlEEPS9_SG_NS0_5tupleIJPjSI_NS0_16reverse_iteratorISI_EEEEENSH_IJSG_SG_SG_EEES9_SI_JZNS1_25segmented_radix_sort_implINS0_14default_configELb1EPKlPlSQ_SR_N2at6native12_GLOBAL__N_18offset_tEEE10hipError_tPvRmT1_PNSt15iterator_traitsISZ_E10value_typeET2_T3_PNS10_IS15_E10value_typeET4_jRbjT5_S1B_jjP12ihipStream_tbEUljE_ZNSN_ISO_Lb1ESQ_SR_SQ_SR_SV_EESW_SX_SY_SZ_S13_S14_S15_S18_S19_jS1A_jS1B_S1B_jjS1D_bEUljE0_EEESW_SX_SY_S15_S19_S1B_T6_T7_T9_mT8_S1D_bDpT10_ENKUlT_T0_E_clISt17integral_constantIbLb0EES1Q_IbLb1EEEEDaS1M_S1N_EUlS1M_E_NS1_11comp_targetILNS1_3genE5ELNS1_11target_archE942ELNS1_3gpuE9ELNS1_3repE0EEENS1_30default_config_static_selectorELNS0_4arch9wavefront6targetE1EEEvSZ_,@function
_ZN7rocprim17ROCPRIM_400000_NS6detail17trampoline_kernelINS0_13select_configILj256ELj13ELNS0_17block_load_methodE3ELS4_3ELS4_3ELNS0_20block_scan_algorithmE0ELj4294967295EEENS1_25partition_config_selectorILNS1_17partition_subalgoE4EjNS0_10empty_typeEbEEZZNS1_14partition_implILS8_4ELb0ES6_15HIP_vector_typeIjLj2EENS0_17counting_iteratorIjlEEPS9_SG_NS0_5tupleIJPjSI_NS0_16reverse_iteratorISI_EEEEENSH_IJSG_SG_SG_EEES9_SI_JZNS1_25segmented_radix_sort_implINS0_14default_configELb1EPKlPlSQ_SR_N2at6native12_GLOBAL__N_18offset_tEEE10hipError_tPvRmT1_PNSt15iterator_traitsISZ_E10value_typeET2_T3_PNS10_IS15_E10value_typeET4_jRbjT5_S1B_jjP12ihipStream_tbEUljE_ZNSN_ISO_Lb1ESQ_SR_SQ_SR_SV_EESW_SX_SY_SZ_S13_S14_S15_S18_S19_jS1A_jS1B_S1B_jjS1D_bEUljE0_EEESW_SX_SY_S15_S19_S1B_T6_T7_T9_mT8_S1D_bDpT10_ENKUlT_T0_E_clISt17integral_constantIbLb0EES1Q_IbLb1EEEEDaS1M_S1N_EUlS1M_E_NS1_11comp_targetILNS1_3genE5ELNS1_11target_archE942ELNS1_3gpuE9ELNS1_3repE0EEENS1_30default_config_static_selectorELNS0_4arch9wavefront6targetE1EEEvSZ_: ; @_ZN7rocprim17ROCPRIM_400000_NS6detail17trampoline_kernelINS0_13select_configILj256ELj13ELNS0_17block_load_methodE3ELS4_3ELS4_3ELNS0_20block_scan_algorithmE0ELj4294967295EEENS1_25partition_config_selectorILNS1_17partition_subalgoE4EjNS0_10empty_typeEbEEZZNS1_14partition_implILS8_4ELb0ES6_15HIP_vector_typeIjLj2EENS0_17counting_iteratorIjlEEPS9_SG_NS0_5tupleIJPjSI_NS0_16reverse_iteratorISI_EEEEENSH_IJSG_SG_SG_EEES9_SI_JZNS1_25segmented_radix_sort_implINS0_14default_configELb1EPKlPlSQ_SR_N2at6native12_GLOBAL__N_18offset_tEEE10hipError_tPvRmT1_PNSt15iterator_traitsISZ_E10value_typeET2_T3_PNS10_IS15_E10value_typeET4_jRbjT5_S1B_jjP12ihipStream_tbEUljE_ZNSN_ISO_Lb1ESQ_SR_SQ_SR_SV_EESW_SX_SY_SZ_S13_S14_S15_S18_S19_jS1A_jS1B_S1B_jjS1D_bEUljE0_EEESW_SX_SY_S15_S19_S1B_T6_T7_T9_mT8_S1D_bDpT10_ENKUlT_T0_E_clISt17integral_constantIbLb0EES1Q_IbLb1EEEEDaS1M_S1N_EUlS1M_E_NS1_11comp_targetILNS1_3genE5ELNS1_11target_archE942ELNS1_3gpuE9ELNS1_3repE0EEENS1_30default_config_static_selectorELNS0_4arch9wavefront6targetE1EEEvSZ_
; %bb.0:
	.section	.rodata,"a",@progbits
	.p2align	6, 0x0
	.amdhsa_kernel _ZN7rocprim17ROCPRIM_400000_NS6detail17trampoline_kernelINS0_13select_configILj256ELj13ELNS0_17block_load_methodE3ELS4_3ELS4_3ELNS0_20block_scan_algorithmE0ELj4294967295EEENS1_25partition_config_selectorILNS1_17partition_subalgoE4EjNS0_10empty_typeEbEEZZNS1_14partition_implILS8_4ELb0ES6_15HIP_vector_typeIjLj2EENS0_17counting_iteratorIjlEEPS9_SG_NS0_5tupleIJPjSI_NS0_16reverse_iteratorISI_EEEEENSH_IJSG_SG_SG_EEES9_SI_JZNS1_25segmented_radix_sort_implINS0_14default_configELb1EPKlPlSQ_SR_N2at6native12_GLOBAL__N_18offset_tEEE10hipError_tPvRmT1_PNSt15iterator_traitsISZ_E10value_typeET2_T3_PNS10_IS15_E10value_typeET4_jRbjT5_S1B_jjP12ihipStream_tbEUljE_ZNSN_ISO_Lb1ESQ_SR_SQ_SR_SV_EESW_SX_SY_SZ_S13_S14_S15_S18_S19_jS1A_jS1B_S1B_jjS1D_bEUljE0_EEESW_SX_SY_S15_S19_S1B_T6_T7_T9_mT8_S1D_bDpT10_ENKUlT_T0_E_clISt17integral_constantIbLb0EES1Q_IbLb1EEEEDaS1M_S1N_EUlS1M_E_NS1_11comp_targetILNS1_3genE5ELNS1_11target_archE942ELNS1_3gpuE9ELNS1_3repE0EEENS1_30default_config_static_selectorELNS0_4arch9wavefront6targetE1EEEvSZ_
		.amdhsa_group_segment_fixed_size 0
		.amdhsa_private_segment_fixed_size 0
		.amdhsa_kernarg_size 184
		.amdhsa_user_sgpr_count 6
		.amdhsa_user_sgpr_private_segment_buffer 1
		.amdhsa_user_sgpr_dispatch_ptr 0
		.amdhsa_user_sgpr_queue_ptr 0
		.amdhsa_user_sgpr_kernarg_segment_ptr 1
		.amdhsa_user_sgpr_dispatch_id 0
		.amdhsa_user_sgpr_flat_scratch_init 0
		.amdhsa_user_sgpr_kernarg_preload_length 0
		.amdhsa_user_sgpr_kernarg_preload_offset 0
		.amdhsa_user_sgpr_private_segment_size 0
		.amdhsa_uses_dynamic_stack 0
		.amdhsa_system_sgpr_private_segment_wavefront_offset 0
		.amdhsa_system_sgpr_workgroup_id_x 1
		.amdhsa_system_sgpr_workgroup_id_y 0
		.amdhsa_system_sgpr_workgroup_id_z 0
		.amdhsa_system_sgpr_workgroup_info 0
		.amdhsa_system_vgpr_workitem_id 0
		.amdhsa_next_free_vgpr 1
		.amdhsa_next_free_sgpr 0
		.amdhsa_accum_offset 4
		.amdhsa_reserve_vcc 0
		.amdhsa_reserve_flat_scratch 0
		.amdhsa_float_round_mode_32 0
		.amdhsa_float_round_mode_16_64 0
		.amdhsa_float_denorm_mode_32 3
		.amdhsa_float_denorm_mode_16_64 3
		.amdhsa_dx10_clamp 1
		.amdhsa_ieee_mode 1
		.amdhsa_fp16_overflow 0
		.amdhsa_tg_split 0
		.amdhsa_exception_fp_ieee_invalid_op 0
		.amdhsa_exception_fp_denorm_src 0
		.amdhsa_exception_fp_ieee_div_zero 0
		.amdhsa_exception_fp_ieee_overflow 0
		.amdhsa_exception_fp_ieee_underflow 0
		.amdhsa_exception_fp_ieee_inexact 0
		.amdhsa_exception_int_div_zero 0
	.end_amdhsa_kernel
	.section	.text._ZN7rocprim17ROCPRIM_400000_NS6detail17trampoline_kernelINS0_13select_configILj256ELj13ELNS0_17block_load_methodE3ELS4_3ELS4_3ELNS0_20block_scan_algorithmE0ELj4294967295EEENS1_25partition_config_selectorILNS1_17partition_subalgoE4EjNS0_10empty_typeEbEEZZNS1_14partition_implILS8_4ELb0ES6_15HIP_vector_typeIjLj2EENS0_17counting_iteratorIjlEEPS9_SG_NS0_5tupleIJPjSI_NS0_16reverse_iteratorISI_EEEEENSH_IJSG_SG_SG_EEES9_SI_JZNS1_25segmented_radix_sort_implINS0_14default_configELb1EPKlPlSQ_SR_N2at6native12_GLOBAL__N_18offset_tEEE10hipError_tPvRmT1_PNSt15iterator_traitsISZ_E10value_typeET2_T3_PNS10_IS15_E10value_typeET4_jRbjT5_S1B_jjP12ihipStream_tbEUljE_ZNSN_ISO_Lb1ESQ_SR_SQ_SR_SV_EESW_SX_SY_SZ_S13_S14_S15_S18_S19_jS1A_jS1B_S1B_jjS1D_bEUljE0_EEESW_SX_SY_S15_S19_S1B_T6_T7_T9_mT8_S1D_bDpT10_ENKUlT_T0_E_clISt17integral_constantIbLb0EES1Q_IbLb1EEEEDaS1M_S1N_EUlS1M_E_NS1_11comp_targetILNS1_3genE5ELNS1_11target_archE942ELNS1_3gpuE9ELNS1_3repE0EEENS1_30default_config_static_selectorELNS0_4arch9wavefront6targetE1EEEvSZ_,"axG",@progbits,_ZN7rocprim17ROCPRIM_400000_NS6detail17trampoline_kernelINS0_13select_configILj256ELj13ELNS0_17block_load_methodE3ELS4_3ELS4_3ELNS0_20block_scan_algorithmE0ELj4294967295EEENS1_25partition_config_selectorILNS1_17partition_subalgoE4EjNS0_10empty_typeEbEEZZNS1_14partition_implILS8_4ELb0ES6_15HIP_vector_typeIjLj2EENS0_17counting_iteratorIjlEEPS9_SG_NS0_5tupleIJPjSI_NS0_16reverse_iteratorISI_EEEEENSH_IJSG_SG_SG_EEES9_SI_JZNS1_25segmented_radix_sort_implINS0_14default_configELb1EPKlPlSQ_SR_N2at6native12_GLOBAL__N_18offset_tEEE10hipError_tPvRmT1_PNSt15iterator_traitsISZ_E10value_typeET2_T3_PNS10_IS15_E10value_typeET4_jRbjT5_S1B_jjP12ihipStream_tbEUljE_ZNSN_ISO_Lb1ESQ_SR_SQ_SR_SV_EESW_SX_SY_SZ_S13_S14_S15_S18_S19_jS1A_jS1B_S1B_jjS1D_bEUljE0_EEESW_SX_SY_S15_S19_S1B_T6_T7_T9_mT8_S1D_bDpT10_ENKUlT_T0_E_clISt17integral_constantIbLb0EES1Q_IbLb1EEEEDaS1M_S1N_EUlS1M_E_NS1_11comp_targetILNS1_3genE5ELNS1_11target_archE942ELNS1_3gpuE9ELNS1_3repE0EEENS1_30default_config_static_selectorELNS0_4arch9wavefront6targetE1EEEvSZ_,comdat
.Lfunc_end665:
	.size	_ZN7rocprim17ROCPRIM_400000_NS6detail17trampoline_kernelINS0_13select_configILj256ELj13ELNS0_17block_load_methodE3ELS4_3ELS4_3ELNS0_20block_scan_algorithmE0ELj4294967295EEENS1_25partition_config_selectorILNS1_17partition_subalgoE4EjNS0_10empty_typeEbEEZZNS1_14partition_implILS8_4ELb0ES6_15HIP_vector_typeIjLj2EENS0_17counting_iteratorIjlEEPS9_SG_NS0_5tupleIJPjSI_NS0_16reverse_iteratorISI_EEEEENSH_IJSG_SG_SG_EEES9_SI_JZNS1_25segmented_radix_sort_implINS0_14default_configELb1EPKlPlSQ_SR_N2at6native12_GLOBAL__N_18offset_tEEE10hipError_tPvRmT1_PNSt15iterator_traitsISZ_E10value_typeET2_T3_PNS10_IS15_E10value_typeET4_jRbjT5_S1B_jjP12ihipStream_tbEUljE_ZNSN_ISO_Lb1ESQ_SR_SQ_SR_SV_EESW_SX_SY_SZ_S13_S14_S15_S18_S19_jS1A_jS1B_S1B_jjS1D_bEUljE0_EEESW_SX_SY_S15_S19_S1B_T6_T7_T9_mT8_S1D_bDpT10_ENKUlT_T0_E_clISt17integral_constantIbLb0EES1Q_IbLb1EEEEDaS1M_S1N_EUlS1M_E_NS1_11comp_targetILNS1_3genE5ELNS1_11target_archE942ELNS1_3gpuE9ELNS1_3repE0EEENS1_30default_config_static_selectorELNS0_4arch9wavefront6targetE1EEEvSZ_, .Lfunc_end665-_ZN7rocprim17ROCPRIM_400000_NS6detail17trampoline_kernelINS0_13select_configILj256ELj13ELNS0_17block_load_methodE3ELS4_3ELS4_3ELNS0_20block_scan_algorithmE0ELj4294967295EEENS1_25partition_config_selectorILNS1_17partition_subalgoE4EjNS0_10empty_typeEbEEZZNS1_14partition_implILS8_4ELb0ES6_15HIP_vector_typeIjLj2EENS0_17counting_iteratorIjlEEPS9_SG_NS0_5tupleIJPjSI_NS0_16reverse_iteratorISI_EEEEENSH_IJSG_SG_SG_EEES9_SI_JZNS1_25segmented_radix_sort_implINS0_14default_configELb1EPKlPlSQ_SR_N2at6native12_GLOBAL__N_18offset_tEEE10hipError_tPvRmT1_PNSt15iterator_traitsISZ_E10value_typeET2_T3_PNS10_IS15_E10value_typeET4_jRbjT5_S1B_jjP12ihipStream_tbEUljE_ZNSN_ISO_Lb1ESQ_SR_SQ_SR_SV_EESW_SX_SY_SZ_S13_S14_S15_S18_S19_jS1A_jS1B_S1B_jjS1D_bEUljE0_EEESW_SX_SY_S15_S19_S1B_T6_T7_T9_mT8_S1D_bDpT10_ENKUlT_T0_E_clISt17integral_constantIbLb0EES1Q_IbLb1EEEEDaS1M_S1N_EUlS1M_E_NS1_11comp_targetILNS1_3genE5ELNS1_11target_archE942ELNS1_3gpuE9ELNS1_3repE0EEENS1_30default_config_static_selectorELNS0_4arch9wavefront6targetE1EEEvSZ_
                                        ; -- End function
	.section	.AMDGPU.csdata,"",@progbits
; Kernel info:
; codeLenInByte = 0
; NumSgprs: 4
; NumVgprs: 0
; NumAgprs: 0
; TotalNumVgprs: 0
; ScratchSize: 0
; MemoryBound: 0
; FloatMode: 240
; IeeeMode: 1
; LDSByteSize: 0 bytes/workgroup (compile time only)
; SGPRBlocks: 0
; VGPRBlocks: 0
; NumSGPRsForWavesPerEU: 4
; NumVGPRsForWavesPerEU: 1
; AccumOffset: 4
; Occupancy: 8
; WaveLimiterHint : 0
; COMPUTE_PGM_RSRC2:SCRATCH_EN: 0
; COMPUTE_PGM_RSRC2:USER_SGPR: 6
; COMPUTE_PGM_RSRC2:TRAP_HANDLER: 0
; COMPUTE_PGM_RSRC2:TGID_X_EN: 1
; COMPUTE_PGM_RSRC2:TGID_Y_EN: 0
; COMPUTE_PGM_RSRC2:TGID_Z_EN: 0
; COMPUTE_PGM_RSRC2:TIDIG_COMP_CNT: 0
; COMPUTE_PGM_RSRC3_GFX90A:ACCUM_OFFSET: 0
; COMPUTE_PGM_RSRC3_GFX90A:TG_SPLIT: 0
	.section	.text._ZN7rocprim17ROCPRIM_400000_NS6detail17trampoline_kernelINS0_13select_configILj256ELj13ELNS0_17block_load_methodE3ELS4_3ELS4_3ELNS0_20block_scan_algorithmE0ELj4294967295EEENS1_25partition_config_selectorILNS1_17partition_subalgoE4EjNS0_10empty_typeEbEEZZNS1_14partition_implILS8_4ELb0ES6_15HIP_vector_typeIjLj2EENS0_17counting_iteratorIjlEEPS9_SG_NS0_5tupleIJPjSI_NS0_16reverse_iteratorISI_EEEEENSH_IJSG_SG_SG_EEES9_SI_JZNS1_25segmented_radix_sort_implINS0_14default_configELb1EPKlPlSQ_SR_N2at6native12_GLOBAL__N_18offset_tEEE10hipError_tPvRmT1_PNSt15iterator_traitsISZ_E10value_typeET2_T3_PNS10_IS15_E10value_typeET4_jRbjT5_S1B_jjP12ihipStream_tbEUljE_ZNSN_ISO_Lb1ESQ_SR_SQ_SR_SV_EESW_SX_SY_SZ_S13_S14_S15_S18_S19_jS1A_jS1B_S1B_jjS1D_bEUljE0_EEESW_SX_SY_S15_S19_S1B_T6_T7_T9_mT8_S1D_bDpT10_ENKUlT_T0_E_clISt17integral_constantIbLb0EES1Q_IbLb1EEEEDaS1M_S1N_EUlS1M_E_NS1_11comp_targetILNS1_3genE4ELNS1_11target_archE910ELNS1_3gpuE8ELNS1_3repE0EEENS1_30default_config_static_selectorELNS0_4arch9wavefront6targetE1EEEvSZ_,"axG",@progbits,_ZN7rocprim17ROCPRIM_400000_NS6detail17trampoline_kernelINS0_13select_configILj256ELj13ELNS0_17block_load_methodE3ELS4_3ELS4_3ELNS0_20block_scan_algorithmE0ELj4294967295EEENS1_25partition_config_selectorILNS1_17partition_subalgoE4EjNS0_10empty_typeEbEEZZNS1_14partition_implILS8_4ELb0ES6_15HIP_vector_typeIjLj2EENS0_17counting_iteratorIjlEEPS9_SG_NS0_5tupleIJPjSI_NS0_16reverse_iteratorISI_EEEEENSH_IJSG_SG_SG_EEES9_SI_JZNS1_25segmented_radix_sort_implINS0_14default_configELb1EPKlPlSQ_SR_N2at6native12_GLOBAL__N_18offset_tEEE10hipError_tPvRmT1_PNSt15iterator_traitsISZ_E10value_typeET2_T3_PNS10_IS15_E10value_typeET4_jRbjT5_S1B_jjP12ihipStream_tbEUljE_ZNSN_ISO_Lb1ESQ_SR_SQ_SR_SV_EESW_SX_SY_SZ_S13_S14_S15_S18_S19_jS1A_jS1B_S1B_jjS1D_bEUljE0_EEESW_SX_SY_S15_S19_S1B_T6_T7_T9_mT8_S1D_bDpT10_ENKUlT_T0_E_clISt17integral_constantIbLb0EES1Q_IbLb1EEEEDaS1M_S1N_EUlS1M_E_NS1_11comp_targetILNS1_3genE4ELNS1_11target_archE910ELNS1_3gpuE8ELNS1_3repE0EEENS1_30default_config_static_selectorELNS0_4arch9wavefront6targetE1EEEvSZ_,comdat
	.globl	_ZN7rocprim17ROCPRIM_400000_NS6detail17trampoline_kernelINS0_13select_configILj256ELj13ELNS0_17block_load_methodE3ELS4_3ELS4_3ELNS0_20block_scan_algorithmE0ELj4294967295EEENS1_25partition_config_selectorILNS1_17partition_subalgoE4EjNS0_10empty_typeEbEEZZNS1_14partition_implILS8_4ELb0ES6_15HIP_vector_typeIjLj2EENS0_17counting_iteratorIjlEEPS9_SG_NS0_5tupleIJPjSI_NS0_16reverse_iteratorISI_EEEEENSH_IJSG_SG_SG_EEES9_SI_JZNS1_25segmented_radix_sort_implINS0_14default_configELb1EPKlPlSQ_SR_N2at6native12_GLOBAL__N_18offset_tEEE10hipError_tPvRmT1_PNSt15iterator_traitsISZ_E10value_typeET2_T3_PNS10_IS15_E10value_typeET4_jRbjT5_S1B_jjP12ihipStream_tbEUljE_ZNSN_ISO_Lb1ESQ_SR_SQ_SR_SV_EESW_SX_SY_SZ_S13_S14_S15_S18_S19_jS1A_jS1B_S1B_jjS1D_bEUljE0_EEESW_SX_SY_S15_S19_S1B_T6_T7_T9_mT8_S1D_bDpT10_ENKUlT_T0_E_clISt17integral_constantIbLb0EES1Q_IbLb1EEEEDaS1M_S1N_EUlS1M_E_NS1_11comp_targetILNS1_3genE4ELNS1_11target_archE910ELNS1_3gpuE8ELNS1_3repE0EEENS1_30default_config_static_selectorELNS0_4arch9wavefront6targetE1EEEvSZ_ ; -- Begin function _ZN7rocprim17ROCPRIM_400000_NS6detail17trampoline_kernelINS0_13select_configILj256ELj13ELNS0_17block_load_methodE3ELS4_3ELS4_3ELNS0_20block_scan_algorithmE0ELj4294967295EEENS1_25partition_config_selectorILNS1_17partition_subalgoE4EjNS0_10empty_typeEbEEZZNS1_14partition_implILS8_4ELb0ES6_15HIP_vector_typeIjLj2EENS0_17counting_iteratorIjlEEPS9_SG_NS0_5tupleIJPjSI_NS0_16reverse_iteratorISI_EEEEENSH_IJSG_SG_SG_EEES9_SI_JZNS1_25segmented_radix_sort_implINS0_14default_configELb1EPKlPlSQ_SR_N2at6native12_GLOBAL__N_18offset_tEEE10hipError_tPvRmT1_PNSt15iterator_traitsISZ_E10value_typeET2_T3_PNS10_IS15_E10value_typeET4_jRbjT5_S1B_jjP12ihipStream_tbEUljE_ZNSN_ISO_Lb1ESQ_SR_SQ_SR_SV_EESW_SX_SY_SZ_S13_S14_S15_S18_S19_jS1A_jS1B_S1B_jjS1D_bEUljE0_EEESW_SX_SY_S15_S19_S1B_T6_T7_T9_mT8_S1D_bDpT10_ENKUlT_T0_E_clISt17integral_constantIbLb0EES1Q_IbLb1EEEEDaS1M_S1N_EUlS1M_E_NS1_11comp_targetILNS1_3genE4ELNS1_11target_archE910ELNS1_3gpuE8ELNS1_3repE0EEENS1_30default_config_static_selectorELNS0_4arch9wavefront6targetE1EEEvSZ_
	.p2align	8
	.type	_ZN7rocprim17ROCPRIM_400000_NS6detail17trampoline_kernelINS0_13select_configILj256ELj13ELNS0_17block_load_methodE3ELS4_3ELS4_3ELNS0_20block_scan_algorithmE0ELj4294967295EEENS1_25partition_config_selectorILNS1_17partition_subalgoE4EjNS0_10empty_typeEbEEZZNS1_14partition_implILS8_4ELb0ES6_15HIP_vector_typeIjLj2EENS0_17counting_iteratorIjlEEPS9_SG_NS0_5tupleIJPjSI_NS0_16reverse_iteratorISI_EEEEENSH_IJSG_SG_SG_EEES9_SI_JZNS1_25segmented_radix_sort_implINS0_14default_configELb1EPKlPlSQ_SR_N2at6native12_GLOBAL__N_18offset_tEEE10hipError_tPvRmT1_PNSt15iterator_traitsISZ_E10value_typeET2_T3_PNS10_IS15_E10value_typeET4_jRbjT5_S1B_jjP12ihipStream_tbEUljE_ZNSN_ISO_Lb1ESQ_SR_SQ_SR_SV_EESW_SX_SY_SZ_S13_S14_S15_S18_S19_jS1A_jS1B_S1B_jjS1D_bEUljE0_EEESW_SX_SY_S15_S19_S1B_T6_T7_T9_mT8_S1D_bDpT10_ENKUlT_T0_E_clISt17integral_constantIbLb0EES1Q_IbLb1EEEEDaS1M_S1N_EUlS1M_E_NS1_11comp_targetILNS1_3genE4ELNS1_11target_archE910ELNS1_3gpuE8ELNS1_3repE0EEENS1_30default_config_static_selectorELNS0_4arch9wavefront6targetE1EEEvSZ_,@function
_ZN7rocprim17ROCPRIM_400000_NS6detail17trampoline_kernelINS0_13select_configILj256ELj13ELNS0_17block_load_methodE3ELS4_3ELS4_3ELNS0_20block_scan_algorithmE0ELj4294967295EEENS1_25partition_config_selectorILNS1_17partition_subalgoE4EjNS0_10empty_typeEbEEZZNS1_14partition_implILS8_4ELb0ES6_15HIP_vector_typeIjLj2EENS0_17counting_iteratorIjlEEPS9_SG_NS0_5tupleIJPjSI_NS0_16reverse_iteratorISI_EEEEENSH_IJSG_SG_SG_EEES9_SI_JZNS1_25segmented_radix_sort_implINS0_14default_configELb1EPKlPlSQ_SR_N2at6native12_GLOBAL__N_18offset_tEEE10hipError_tPvRmT1_PNSt15iterator_traitsISZ_E10value_typeET2_T3_PNS10_IS15_E10value_typeET4_jRbjT5_S1B_jjP12ihipStream_tbEUljE_ZNSN_ISO_Lb1ESQ_SR_SQ_SR_SV_EESW_SX_SY_SZ_S13_S14_S15_S18_S19_jS1A_jS1B_S1B_jjS1D_bEUljE0_EEESW_SX_SY_S15_S19_S1B_T6_T7_T9_mT8_S1D_bDpT10_ENKUlT_T0_E_clISt17integral_constantIbLb0EES1Q_IbLb1EEEEDaS1M_S1N_EUlS1M_E_NS1_11comp_targetILNS1_3genE4ELNS1_11target_archE910ELNS1_3gpuE8ELNS1_3repE0EEENS1_30default_config_static_selectorELNS0_4arch9wavefront6targetE1EEEvSZ_: ; @_ZN7rocprim17ROCPRIM_400000_NS6detail17trampoline_kernelINS0_13select_configILj256ELj13ELNS0_17block_load_methodE3ELS4_3ELS4_3ELNS0_20block_scan_algorithmE0ELj4294967295EEENS1_25partition_config_selectorILNS1_17partition_subalgoE4EjNS0_10empty_typeEbEEZZNS1_14partition_implILS8_4ELb0ES6_15HIP_vector_typeIjLj2EENS0_17counting_iteratorIjlEEPS9_SG_NS0_5tupleIJPjSI_NS0_16reverse_iteratorISI_EEEEENSH_IJSG_SG_SG_EEES9_SI_JZNS1_25segmented_radix_sort_implINS0_14default_configELb1EPKlPlSQ_SR_N2at6native12_GLOBAL__N_18offset_tEEE10hipError_tPvRmT1_PNSt15iterator_traitsISZ_E10value_typeET2_T3_PNS10_IS15_E10value_typeET4_jRbjT5_S1B_jjP12ihipStream_tbEUljE_ZNSN_ISO_Lb1ESQ_SR_SQ_SR_SV_EESW_SX_SY_SZ_S13_S14_S15_S18_S19_jS1A_jS1B_S1B_jjS1D_bEUljE0_EEESW_SX_SY_S15_S19_S1B_T6_T7_T9_mT8_S1D_bDpT10_ENKUlT_T0_E_clISt17integral_constantIbLb0EES1Q_IbLb1EEEEDaS1M_S1N_EUlS1M_E_NS1_11comp_targetILNS1_3genE4ELNS1_11target_archE910ELNS1_3gpuE8ELNS1_3repE0EEENS1_30default_config_static_selectorELNS0_4arch9wavefront6targetE1EEEvSZ_
; %bb.0:
	s_load_dwordx2 s[48:49], s[4:5], 0x10
	s_load_dwordx4 s[44:47], s[4:5], 0x28
	s_load_dwordx2 s[34:35], s[4:5], 0x38
	s_load_dwordx4 s[28:31], s[4:5], 0x58
	s_load_dwordx2 s[2:3], s[4:5], 0x68
	s_load_dwordx2 s[50:51], s[4:5], 0x78
	;; [unrolled: 1-line block ×3, first 2 shown]
	s_load_dwordx8 s[36:43], s[4:5], 0x90
	v_cmp_eq_u32_e64 s[0:1], 0, v0
	s_and_saveexec_b64 s[6:7], s[0:1]
	s_cbranch_execz .LBB666_4
; %bb.1:
	s_mov_b64 s[10:11], exec
	v_mbcnt_lo_u32_b32 v1, s10, 0
	v_mbcnt_hi_u32_b32 v1, s11, v1
	v_cmp_eq_u32_e32 vcc, 0, v1
                                        ; implicit-def: $vgpr2
	s_and_saveexec_b64 s[8:9], vcc
	s_cbranch_execz .LBB666_3
; %bb.2:
	s_load_dwordx2 s[12:13], s[4:5], 0x88
	s_bcnt1_i32_b64 s10, s[10:11]
	v_mov_b32_e32 v2, 0
	v_mov_b32_e32 v3, s10
	s_waitcnt lgkmcnt(0)
	global_atomic_add v2, v2, v3, s[12:13] glc
.LBB666_3:
	s_or_b64 exec, exec, s[8:9]
	s_waitcnt vmcnt(0)
	v_readfirstlane_b32 s8, v2
	v_add_u32_e32 v1, s8, v1
	v_mov_b32_e32 v2, 0
	ds_write_b32 v2, v1
.LBB666_4:
	s_or_b64 exec, exec, s[6:7]
	v_mov_b32_e32 v1, 0
	s_load_dword s7, s[4:5], 0x8
	s_load_dword s6, s[4:5], 0x80
	s_waitcnt lgkmcnt(0)
	s_barrier
	ds_read_b32 v8, v1
	s_waitcnt lgkmcnt(0)
	s_barrier
	global_load_dwordx4 v[2:5], v1, s[30:31]
	v_mov_b32_e32 v7, s3
	s_movk_i32 s3, 0xd00
	s_add_i32 s8, s7, s48
	v_mul_lo_u32 v34, v8, s3
	s_add_i32 s7, s6, -1
	s_mul_i32 s3, s6, 0xd00
	s_add_u32 s4, s48, s3
	v_readfirstlane_b32 s33, v8
	s_addc_u32 s5, s49, 0
	s_cmp_eq_u32 s33, s7
	v_mov_b32_e32 v6, s2
	s_cselect_b64 s[30:31], -1, 0
	s_cmp_lg_u32 s33, s7
	v_cmp_lt_u64_e32 vcc, s[4:5], v[6:7]
	s_cselect_b64 s[4:5], -1, 0
	s_or_b64 s[4:5], vcc, s[4:5]
	v_add_u32_e32 v1, s8, v34
	s_mov_b64 s[6:7], -1
	s_and_b64 vcc, exec, s[4:5]
	v_add_u32_e32 v1, v1, v0
	s_cbranch_vccz .LBB666_6
; %bb.5:
	v_add_u32_e32 v6, 0x100, v1
	v_lshlrev_b32_e32 v18, 2, v0
	v_add_u32_e32 v7, 0x200, v1
	v_add_u32_e32 v8, 0x300, v1
	;; [unrolled: 1-line block ×11, first 2 shown]
	ds_write2st64_b32 v18, v1, v6 offset1:4
	ds_write2st64_b32 v18, v7, v8 offset0:8 offset1:12
	ds_write2st64_b32 v18, v9, v10 offset0:16 offset1:20
	;; [unrolled: 1-line block ×5, first 2 shown]
	ds_write_b32 v18, v17 offset:12288
	s_waitcnt lgkmcnt(0)
	s_barrier
	s_mov_b64 s[6:7], 0
.LBB666_6:
	s_andn2_b64 vcc, exec, s[6:7]
	s_add_i32 s3, s3, s48
	s_cbranch_vccnz .LBB666_8
; %bb.7:
	v_add_u32_e32 v6, 0x100, v1
	v_lshlrev_b32_e32 v18, 2, v0
	v_add_u32_e32 v7, 0x200, v1
	v_add_u32_e32 v8, 0x300, v1
	v_add_u32_e32 v9, 0x400, v1
	v_add_u32_e32 v10, 0x500, v1
	v_add_u32_e32 v11, 0x600, v1
	v_add_u32_e32 v12, 0x700, v1
	v_add_u32_e32 v13, 0x800, v1
	v_add_u32_e32 v14, 0x900, v1
	v_add_u32_e32 v15, 0xa00, v1
	v_add_u32_e32 v16, 0xb00, v1
	v_add_u32_e32 v17, 0xc00, v1
	ds_write2st64_b32 v18, v1, v6 offset1:4
	ds_write2st64_b32 v18, v7, v8 offset0:8 offset1:12
	ds_write2st64_b32 v18, v9, v10 offset0:16 offset1:20
	;; [unrolled: 1-line block ×5, first 2 shown]
	ds_write_b32 v18, v17 offset:12288
	s_waitcnt lgkmcnt(0)
	s_barrier
.LBB666_8:
	v_mul_u32_u24_e32 v36, 13, v0
	v_lshlrev_b32_e32 v1, 2, v36
	ds_read2_b32 v[22:23], v1 offset1:1
	ds_read2_b32 v[20:21], v1 offset0:2 offset1:3
	ds_read2_b32 v[18:19], v1 offset0:4 offset1:5
	ds_read2_b32 v[16:17], v1 offset0:6 offset1:7
	ds_read2_b32 v[14:15], v1 offset0:8 offset1:9
	ds_read2_b32 v[12:13], v1 offset0:10 offset1:11
	ds_read_b32 v35, v1 offset:48
	v_cndmask_b32_e64 v1, 0, 1, s[4:5]
	s_sub_i32 s86, s2, s3
	v_cmp_ne_u32_e64 s[2:3], 1, v1
	s_andn2_b64 vcc, exec, s[4:5]
	s_waitcnt lgkmcnt(0)
	s_barrier
	s_cbranch_vccnz .LBB666_36
; %bb.9:
	v_add_u32_e32 v1, s37, v22
	v_add_u32_e32 v6, s39, v22
	v_mul_lo_u32 v1, v1, s36
	v_mul_lo_u32 v6, v6, s38
	v_sub_u32_e32 v1, v1, v6
	v_cmp_lt_u32_e32 vcc, s40, v1
	v_cmp_ge_u32_e64 s[4:5], s40, v1
	s_mov_b64 s[60:61], 0
	s_mov_b64 s[58:59], 0
	s_and_saveexec_b64 s[6:7], s[4:5]
; %bb.10:
	v_add_u32_e32 v1, s42, v22
	v_add_u32_e32 v6, s56, v22
	v_mul_lo_u32 v1, v1, s41
	v_mul_lo_u32 v6, v6, s43
	v_sub_u32_e32 v1, v1, v6
	v_cmp_lt_u32_e64 s[4:5], s57, v1
	s_and_b64 s[58:59], s[4:5], exec
; %bb.11:
	s_or_b64 exec, exec, s[6:7]
	v_add_u32_e32 v1, s37, v23
	v_add_u32_e32 v6, s39, v23
	v_mul_lo_u32 v1, v1, s36
	v_mul_lo_u32 v6, v6, s38
	v_sub_u32_e32 v1, v1, v6
	v_cmp_lt_u32_e64 s[4:5], s40, v1
	v_cmp_ge_u32_e64 s[6:7], s40, v1
	s_and_saveexec_b64 s[8:9], s[6:7]
; %bb.12:
	v_add_u32_e32 v1, s42, v23
	v_add_u32_e32 v6, s56, v23
	v_mul_lo_u32 v1, v1, s41
	v_mul_lo_u32 v6, v6, s43
	v_sub_u32_e32 v1, v1, v6
	v_cmp_lt_u32_e64 s[6:7], s57, v1
	s_and_b64 s[60:61], s[6:7], exec
; %bb.13:
	s_or_b64 exec, exec, s[8:9]
	v_add_u32_e32 v1, s37, v20
	v_add_u32_e32 v6, s39, v20
	v_mul_lo_u32 v1, v1, s36
	v_mul_lo_u32 v6, v6, s38
	v_sub_u32_e32 v1, v1, v6
	v_cmp_lt_u32_e64 s[6:7], s40, v1
	v_cmp_ge_u32_e64 s[8:9], s40, v1
	s_mov_b64 s[64:65], 0
	s_mov_b64 s[62:63], 0
	s_and_saveexec_b64 s[10:11], s[8:9]
; %bb.14:
	v_add_u32_e32 v1, s42, v20
	v_add_u32_e32 v6, s56, v20
	v_mul_lo_u32 v1, v1, s41
	v_mul_lo_u32 v6, v6, s43
	v_sub_u32_e32 v1, v1, v6
	v_cmp_lt_u32_e64 s[8:9], s57, v1
	s_and_b64 s[62:63], s[8:9], exec
; %bb.15:
	s_or_b64 exec, exec, s[10:11]
	v_add_u32_e32 v1, s37, v21
	v_add_u32_e32 v6, s39, v21
	v_mul_lo_u32 v1, v1, s36
	v_mul_lo_u32 v6, v6, s38
	v_sub_u32_e32 v1, v1, v6
	v_cmp_lt_u32_e64 s[8:9], s40, v1
	v_cmp_ge_u32_e64 s[10:11], s40, v1
	s_and_saveexec_b64 s[12:13], s[10:11]
; %bb.16:
	v_add_u32_e32 v1, s42, v21
	v_add_u32_e32 v6, s56, v21
	v_mul_lo_u32 v1, v1, s41
	v_mul_lo_u32 v6, v6, s43
	v_sub_u32_e32 v1, v1, v6
	v_cmp_lt_u32_e64 s[10:11], s57, v1
	s_and_b64 s[64:65], s[10:11], exec
; %bb.17:
	s_or_b64 exec, exec, s[12:13]
	v_add_u32_e32 v1, s37, v18
	v_add_u32_e32 v6, s39, v18
	v_mul_lo_u32 v1, v1, s36
	v_mul_lo_u32 v6, v6, s38
	v_sub_u32_e32 v1, v1, v6
	v_cmp_lt_u32_e64 s[10:11], s40, v1
	;; [unrolled: 38-line block ×5, first 2 shown]
	v_cmp_ge_u32_e64 s[24:25], s40, v1
	s_mov_b64 s[80:81], 0
	s_mov_b64 s[82:83], 0
	s_and_saveexec_b64 s[26:27], s[24:25]
; %bb.30:
	v_add_u32_e32 v1, s42, v12
	v_add_u32_e32 v6, s56, v12
	v_mul_lo_u32 v1, v1, s41
	v_mul_lo_u32 v6, v6, s43
	v_sub_u32_e32 v1, v1, v6
	v_cmp_lt_u32_e64 s[24:25], s57, v1
	s_and_b64 s[82:83], s[24:25], exec
; %bb.31:
	s_or_b64 exec, exec, s[26:27]
	v_add_u32_e32 v1, s37, v13
	v_add_u32_e32 v6, s39, v13
	v_mul_lo_u32 v1, v1, s36
	v_mul_lo_u32 v6, v6, s38
	v_sub_u32_e32 v1, v1, v6
	v_cmp_lt_u32_e64 s[24:25], s40, v1
	v_cmp_ge_u32_e64 s[26:27], s40, v1
	s_and_saveexec_b64 s[52:53], s[26:27]
; %bb.32:
	v_add_u32_e32 v1, s42, v13
	v_add_u32_e32 v6, s56, v13
	v_mul_lo_u32 v1, v1, s41
	v_mul_lo_u32 v6, v6, s43
	v_sub_u32_e32 v1, v1, v6
	v_cmp_lt_u32_e64 s[26:27], s57, v1
	s_and_b64 s[80:81], s[26:27], exec
; %bb.33:
	s_or_b64 exec, exec, s[52:53]
	v_add_u32_e32 v1, s37, v35
	v_add_u32_e32 v6, s39, v35
	v_mul_lo_u32 v1, v1, s36
	v_mul_lo_u32 v6, v6, s38
	v_sub_u32_e32 v1, v1, v6
	v_cmp_ge_u32_e64 s[26:27], s40, v1
	s_mov_b64 s[52:53], -1
	s_mov_b64 s[74:75], 0
	s_mov_b64 s[54:55], 0
	s_and_saveexec_b64 s[84:85], s[26:27]
; %bb.34:
	v_add_u32_e32 v1, s42, v35
	v_add_u32_e32 v6, s56, v35
	v_mul_lo_u32 v1, v1, s41
	v_mul_lo_u32 v6, v6, s43
	v_sub_u32_e32 v1, v1, v6
	v_cmp_lt_u32_e64 s[26:27], s57, v1
	s_and_b64 s[54:55], s[26:27], exec
	s_xor_b64 s[52:53], exec, -1
; %bb.35:
	s_or_b64 exec, exec, s[84:85]
	v_cndmask_b32_e64 v57, 0, 1, s[82:83]
	v_cndmask_b32_e64 v60, 0, 1, s[24:25]
	;; [unrolled: 1-line block ×22, first 2 shown]
	v_cndmask_b32_e64 v37, 0, 1, vcc
	v_cndmask_b32_e64 v59, 0, 1, s[80:81]
	s_add_i32 s16, s86, 0xd00
	s_and_b64 vcc, exec, s[74:75]
	s_cbranch_vccnz .LBB666_37
	s_branch .LBB666_90
.LBB666_36:
                                        ; implicit-def: $sgpr52_sgpr53
                                        ; implicit-def: $sgpr54_sgpr55
                                        ; implicit-def: $vgpr59
                                        ; implicit-def: $vgpr57
                                        ; implicit-def: $vgpr55
                                        ; implicit-def: $vgpr53
                                        ; implicit-def: $vgpr51
                                        ; implicit-def: $vgpr49
                                        ; implicit-def: $vgpr47
                                        ; implicit-def: $vgpr45
                                        ; implicit-def: $vgpr43
                                        ; implicit-def: $vgpr37
                                        ; implicit-def: $vgpr39
                                        ; implicit-def: $vgpr41
                                        ; implicit-def: $vgpr44
                                        ; implicit-def: $vgpr46
                                        ; implicit-def: $vgpr48
                                        ; implicit-def: $vgpr50
                                        ; implicit-def: $vgpr52
                                        ; implicit-def: $vgpr54
                                        ; implicit-def: $vgpr56
                                        ; implicit-def: $vgpr58
                                        ; implicit-def: $vgpr60
                                        ; implicit-def: $vgpr38
                                        ; implicit-def: $vgpr40
                                        ; implicit-def: $vgpr42
	s_add_i32 s16, s86, 0xd00
	s_cbranch_execz .LBB666_90
.LBB666_37:
	v_cmp_gt_u32_e32 vcc, s16, v36
	v_mov_b32_e32 v38, 0
	v_mov_b32_e32 v37, 0
	s_and_saveexec_b64 s[6:7], vcc
	s_cbranch_execz .LBB666_41
; %bb.38:
	v_add_u32_e32 v1, s37, v22
	v_add_u32_e32 v6, s39, v22
	v_mul_lo_u32 v1, v1, s36
	v_mul_lo_u32 v6, v6, s38
	v_sub_u32_e32 v1, v1, v6
	v_cmp_lt_u32_e32 vcc, s40, v1
	v_cmp_ge_u32_e64 s[4:5], s40, v1
	s_mov_b64 s[10:11], 0
	s_and_saveexec_b64 s[8:9], s[4:5]
; %bb.39:
	v_add_u32_e32 v1, s42, v22
	v_add_u32_e32 v6, s56, v22
	v_mul_lo_u32 v1, v1, s41
	v_mul_lo_u32 v6, v6, s43
	v_sub_u32_e32 v1, v1, v6
	v_cmp_lt_u32_e64 s[4:5], s57, v1
	s_and_b64 s[10:11], s[4:5], exec
; %bb.40:
	s_or_b64 exec, exec, s[8:9]
	v_cndmask_b32_e64 v37, 0, 1, vcc
	v_cndmask_b32_e64 v38, 0, 1, s[10:11]
.LBB666_41:
	s_or_b64 exec, exec, s[6:7]
	v_add_u32_e32 v1, 1, v36
	v_cmp_gt_u32_e32 vcc, s16, v1
	v_mov_b32_e32 v39, 0
	v_mov_b32_e32 v40, 0
	s_and_saveexec_b64 s[6:7], vcc
	s_cbranch_execz .LBB666_45
; %bb.42:
	v_add_u32_e32 v1, s37, v23
	v_add_u32_e32 v6, s39, v23
	v_mul_lo_u32 v1, v1, s36
	v_mul_lo_u32 v6, v6, s38
	v_sub_u32_e32 v1, v1, v6
	v_cmp_lt_u32_e32 vcc, s40, v1
	v_cmp_ge_u32_e64 s[4:5], s40, v1
	s_mov_b64 s[10:11], 0
	s_and_saveexec_b64 s[8:9], s[4:5]
; %bb.43:
	v_add_u32_e32 v1, s42, v23
	v_add_u32_e32 v6, s56, v23
	v_mul_lo_u32 v1, v1, s41
	v_mul_lo_u32 v6, v6, s43
	v_sub_u32_e32 v1, v1, v6
	v_cmp_lt_u32_e64 s[4:5], s57, v1
	s_and_b64 s[10:11], s[4:5], exec
; %bb.44:
	s_or_b64 exec, exec, s[8:9]
	v_cndmask_b32_e64 v39, 0, 1, vcc
	v_cndmask_b32_e64 v40, 0, 1, s[10:11]
.LBB666_45:
	s_or_b64 exec, exec, s[6:7]
	v_add_u32_e32 v1, 2, v36
	;; [unrolled: 30-line block ×12, first 2 shown]
	v_cmp_gt_u32_e32 vcc, s16, v1
	s_mov_b64 s[52:53], 0
	s_mov_b64 s[54:55], 0
	s_and_saveexec_b64 s[4:5], vcc
	s_cbranch_execz .LBB666_89
; %bb.86:
	v_add_u32_e32 v1, s37, v35
	v_add_u32_e32 v6, s39, v35
	v_mul_lo_u32 v1, v1, s36
	v_mul_lo_u32 v6, v6, s38
	v_sub_u32_e32 v1, v1, v6
	v_cmp_ge_u32_e32 vcc, s40, v1
	s_mov_b64 s[8:9], -1
	s_mov_b64 s[10:11], 0
	s_and_saveexec_b64 s[6:7], vcc
; %bb.87:
	v_add_u32_e32 v1, s42, v35
	v_add_u32_e32 v6, s56, v35
	v_mul_lo_u32 v1, v1, s41
	v_mul_lo_u32 v6, v6, s43
	v_sub_u32_e32 v1, v1, v6
	v_cmp_lt_u32_e32 vcc, s57, v1
	s_and_b64 s[10:11], vcc, exec
	s_xor_b64 s[8:9], exec, -1
; %bb.88:
	s_or_b64 exec, exec, s[6:7]
	s_and_b64 s[54:55], s[10:11], exec
	s_and_b64 s[52:53], s[8:9], exec
.LBB666_89:
	s_or_b64 exec, exec, s[4:5]
.LBB666_90:
	v_and_b32_e32 v68, 0xff, v38
	v_and_b32_e32 v79, 0xff, v40
	;; [unrolled: 1-line block ×5, first 2 shown]
	v_add3_u32 v6, v79, v70, v68
	v_and_b32_e32 v81, 0xff, v47
	v_and_b32_e32 v74, 0xff, v49
	v_add3_u32 v6, v6, v80, v72
	v_and_b32_e32 v67, 0xff, v37
	v_and_b32_e32 v61, 0xff, v39
	;; [unrolled: 1-line block ×5, first 2 shown]
	v_add3_u32 v6, v6, v81, v74
	v_and_b32_e32 v62, 0xff, v44
	v_and_b32_e32 v71, 0xff, v46
	;; [unrolled: 1-line block ×4, first 2 shown]
	v_add3_u32 v7, v61, v69, v67
	v_add3_u32 v6, v6, v82, v76
	v_and_b32_e32 v63, 0xff, v48
	v_and_b32_e32 v73, 0xff, v50
	;; [unrolled: 1-line block ×3, first 2 shown]
	v_cndmask_b32_e64 v1, 0, 1, s[54:55]
	v_add3_u32 v7, v7, v62, v71
	v_add3_u32 v6, v6, v83, v78
	v_and_b32_e32 v64, 0xff, v52
	v_and_b32_e32 v75, 0xff, v54
	v_add3_u32 v7, v7, v63, v73
	v_add3_u32 v91, v6, v84, v1
	v_mbcnt_lo_u32_b32 v1, -1, 0
	v_and_b32_e32 v65, 0xff, v56
	v_and_b32_e32 v77, 0xff, v58
	v_add3_u32 v7, v7, v64, v75
	v_mbcnt_hi_u32_b32 v85, -1, v1
	v_and_b32_e32 v66, 0xff, v60
	v_add3_u32 v7, v7, v65, v77
	v_cndmask_b32_e64 v8, 0, 1, s[52:53]
	v_and_b32_e32 v89, 15, v85
	s_cmp_lg_u32 s33, 0
	v_add3_u32 v90, v7, v66, v8
	v_cmp_eq_u32_e64 s[6:7], 0, v89
	v_cmp_lt_u32_e64 s[4:5], 1, v89
	v_cmp_lt_u32_e64 s[10:11], 3, v89
	;; [unrolled: 1-line block ×3, first 2 shown]
	v_and_b32_e32 v88, 16, v85
	v_cmp_lt_u32_e32 vcc, 31, v85
	v_lshrrev_b32_e32 v86, 6, v0
	v_or_b32_e32 v87, 63, v0
	s_cbranch_scc0 .LBB666_119
; %bb.91:
	v_mov_b32_dpp v1, v90 row_shr:1 row_mask:0xf bank_mask:0xf
	v_mov_b32_dpp v6, v91 row_shr:1 row_mask:0xf bank_mask:0xf
	v_add_u32_e32 v1, v1, v90
	v_add_u32_e32 v6, v6, v91
	v_cndmask_b32_e64 v6, v6, v91, s[6:7]
	v_cndmask_b32_e64 v1, v1, v90, s[6:7]
	s_nop 0
	v_mov_b32_dpp v8, v6 row_shr:2 row_mask:0xf bank_mask:0xf
	v_mov_b32_dpp v7, v1 row_shr:2 row_mask:0xf bank_mask:0xf
	v_add_u32_e32 v7, v1, v7
	v_add_u32_e32 v8, v6, v8
	v_cndmask_b32_e64 v6, v6, v8, s[4:5]
	v_cndmask_b32_e64 v1, v1, v7, s[4:5]
	s_nop 0
	;; [unrolled: 7-line block ×3, first 2 shown]
	v_mov_b32_dpp v8, v6 row_shr:8 row_mask:0xf bank_mask:0xf
	v_mov_b32_dpp v7, v1 row_shr:8 row_mask:0xf bank_mask:0xf
	v_add_u32_e32 v7, v1, v7
	v_add_u32_e32 v8, v6, v8
	v_cndmask_b32_e64 v6, v6, v8, s[8:9]
	v_cndmask_b32_e64 v1, v1, v7, s[8:9]
	v_cmp_eq_u32_e64 s[8:9], 0, v88
	v_mov_b32_dpp v8, v6 row_bcast:15 row_mask:0xf bank_mask:0xf
	v_mov_b32_dpp v7, v1 row_bcast:15 row_mask:0xf bank_mask:0xf
	v_add_u32_e32 v7, v1, v7
	v_add_u32_e32 v8, v6, v8
	v_cndmask_b32_e64 v6, v8, v6, s[8:9]
	v_cndmask_b32_e64 v1, v7, v1, s[8:9]
	s_nop 0
	v_mov_b32_dpp v8, v6 row_bcast:31 row_mask:0xf bank_mask:0xf
	v_mov_b32_dpp v7, v1 row_bcast:31 row_mask:0xf bank_mask:0xf
	v_add_u32_e32 v8, v6, v8
	v_add_u32_e32 v9, v1, v7
	v_cndmask_b32_e32 v7, v6, v8, vcc
	v_cndmask_b32_e32 v6, v1, v9, vcc
	v_cmp_eq_u32_e32 vcc, v87, v0
	s_and_saveexec_b64 s[8:9], vcc
	s_cbranch_execz .LBB666_93
; %bb.92:
	v_lshlrev_b32_e32 v1, 3, v86
	ds_write_b64 v1, v[6:7]
.LBB666_93:
	s_or_b64 exec, exec, s[8:9]
	v_cmp_gt_u32_e32 vcc, 4, v0
	s_waitcnt lgkmcnt(0)
	s_barrier
	s_and_saveexec_b64 s[8:9], vcc
	s_cbranch_execz .LBB666_95
; %bb.94:
	v_lshlrev_b32_e32 v1, 3, v0
	ds_read_b64 v[8:9], v1
	v_and_b32_e32 v10, 3, v85
	v_cmp_eq_u32_e32 vcc, 0, v10
	s_waitcnt lgkmcnt(0)
	v_mov_b32_dpp v11, v8 row_shr:1 row_mask:0xf bank_mask:0xf
	v_mov_b32_dpp v24, v9 row_shr:1 row_mask:0xf bank_mask:0xf
	v_add_u32_e32 v11, v11, v8
	v_add_u32_e32 v24, v24, v9
	v_cndmask_b32_e32 v9, v24, v9, vcc
	v_cndmask_b32_e32 v8, v11, v8, vcc
	v_cmp_lt_u32_e32 vcc, 1, v10
	v_mov_b32_dpp v24, v9 row_shr:2 row_mask:0xf bank_mask:0xf
	v_mov_b32_dpp v11, v8 row_shr:2 row_mask:0xf bank_mask:0xf
	v_cndmask_b32_e32 v10, 0, v11, vcc
	v_cndmask_b32_e32 v11, 0, v24, vcc
	v_add_u32_e32 v9, v11, v9
	v_add_u32_e32 v8, v10, v8
	ds_write_b64 v1, v[8:9]
.LBB666_95:
	s_or_b64 exec, exec, s[8:9]
	v_cmp_gt_u32_e32 vcc, 64, v0
	v_cmp_lt_u32_e64 s[8:9], 63, v0
	s_waitcnt lgkmcnt(0)
	s_barrier
	s_waitcnt lgkmcnt(0)
                                        ; implicit-def: $vgpr25
	s_and_saveexec_b64 s[10:11], s[8:9]
	s_xor_b64 s[8:9], exec, s[10:11]
	s_cbranch_execz .LBB666_97
; %bb.96:
	v_lshl_add_u32 v1, v86, 3, -8
	ds_read_b64 v[24:25], v1
	s_waitcnt lgkmcnt(0)
	v_add_u32_e32 v7, v25, v7
	v_add_u32_e32 v6, v24, v6
.LBB666_97:
	s_andn2_saveexec_b64 s[8:9], s[8:9]
; %bb.98:
                                        ; implicit-def: $vgpr24
; %bb.99:
	s_or_b64 exec, exec, s[8:9]
	v_add_u32_e32 v1, -1, v85
	v_and_b32_e32 v8, 64, v85
	v_cmp_lt_i32_e64 s[8:9], v1, v8
	v_cndmask_b32_e64 v1, v1, v85, s[8:9]
	v_lshlrev_b32_e32 v8, 2, v1
	ds_bpermute_b32 v1, v8, v6
	ds_bpermute_b32 v92, v8, v7
	v_cmp_eq_u32_e64 s[8:9], 0, v85
	s_and_saveexec_b64 s[10:11], vcc
	s_cbranch_execz .LBB666_118
; %bb.100:
	v_mov_b32_e32 v11, 0
	ds_read_b64 v[26:27], v11 offset:24
	s_and_saveexec_b64 s[12:13], s[8:9]
	s_cbranch_execz .LBB666_102
; %bb.101:
	s_add_i32 s14, s33, 64
	s_mov_b32 s15, 0
	s_lshl_b64 s[14:15], s[14:15], 4
	s_waitcnt lgkmcnt(0)
	v_and_b32_e32 v6, 0xff000000, v27
	v_and_b32_e32 v7, 0xff0000, v27
	s_add_u32 s14, s50, s14
	v_or_b32_e32 v6, v7, v6
	v_and_b32_e32 v7, 0xff00, v27
	s_addc_u32 s15, s51, s15
	v_or_b32_e32 v6, v6, v7
	v_or_b32_sdwa v9, v6, v27 dst_sel:DWORD dst_unused:UNUSED_PAD src0_sel:DWORD src1_sel:BYTE_0
	v_mov_b32_e32 v10, 1
	v_mov_b32_e32 v8, v26
	v_pk_mov_b32 v[6:7], s[14:15], s[14:15] op_sel:[0,1]
	;;#ASMSTART
	global_store_dwordx4 v[6:7], v[8:11] off	
s_waitcnt vmcnt(0)
	;;#ASMEND
.LBB666_102:
	s_or_b64 exec, exec, s[12:13]
	v_xad_u32 v28, v85, -1, s33
	v_add_u32_e32 v10, 64, v28
	v_lshlrev_b64 v[6:7], 4, v[10:11]
	v_mov_b32_e32 v8, s51
	v_add_co_u32_e32 v30, vcc, s50, v6
	v_addc_co_u32_e32 v31, vcc, v8, v7, vcc
	;;#ASMSTART
	global_load_dwordx4 v[6:9], v[30:31] off glc	
s_waitcnt vmcnt(0)
	;;#ASMEND
	v_and_b32_e32 v9, 0xff, v7
	v_and_b32_e32 v10, 0xff00, v7
	v_or3_b32 v9, 0, v9, v10
	v_or3_b32 v6, v6, 0, 0
	v_and_b32_e32 v10, 0xff000000, v7
	v_and_b32_e32 v7, 0xff0000, v7
	v_or3_b32 v7, v9, v7, v10
	v_or3_b32 v6, v6, 0, 0
	v_cmp_eq_u16_sdwa s[14:15], v8, v11 src0_sel:BYTE_0 src1_sel:DWORD
	s_and_saveexec_b64 s[12:13], s[14:15]
	s_cbranch_execz .LBB666_106
; %bb.103:
	s_mov_b64 s[14:15], 0
	v_mov_b32_e32 v10, 0
.LBB666_104:                            ; =>This Inner Loop Header: Depth=1
	;;#ASMSTART
	global_load_dwordx4 v[6:9], v[30:31] off glc	
s_waitcnt vmcnt(0)
	;;#ASMEND
	v_cmp_ne_u16_sdwa s[18:19], v8, v10 src0_sel:BYTE_0 src1_sel:DWORD
	s_or_b64 s[14:15], s[18:19], s[14:15]
	s_andn2_b64 exec, exec, s[14:15]
	s_cbranch_execnz .LBB666_104
; %bb.105:
	s_or_b64 exec, exec, s[14:15]
.LBB666_106:
	s_or_b64 exec, exec, s[12:13]
	v_and_b32_e32 v94, 63, v85
	v_cmp_ne_u32_e32 vcc, 63, v94
	v_mov_b32_e32 v93, 2
	v_addc_co_u32_e32 v30, vcc, 0, v85, vcc
	v_cmp_eq_u16_sdwa s[12:13], v8, v93 src0_sel:BYTE_0 src1_sel:DWORD
	v_lshlrev_b64 v[10:11], v85, -1
	v_lshlrev_b32_e32 v95, 2, v30
	v_and_b32_e32 v9, s13, v11
	ds_bpermute_b32 v30, v95, v6
	ds_bpermute_b32 v31, v95, v7
	v_or_b32_e32 v9, 0x80000000, v9
	v_and_b32_e32 v29, s12, v10
	v_ffbl_b32_e32 v9, v9
	v_add_u32_e32 v9, 32, v9
	v_ffbl_b32_e32 v29, v29
	v_min_u32_e32 v9, v29, v9
	s_waitcnt lgkmcnt(1)
	v_add_u32_e32 v29, v30, v6
	s_waitcnt lgkmcnt(0)
	v_add_u32_e32 v30, v31, v7
	v_cmp_lt_u32_e32 vcc, v94, v9
	v_cndmask_b32_e32 v7, v7, v30, vcc
	v_cndmask_b32_e32 v6, v6, v29, vcc
	v_cmp_gt_u32_e32 vcc, 62, v94
	v_cndmask_b32_e64 v29, 0, 1, vcc
	v_lshlrev_b32_e32 v29, 1, v29
	v_add_lshl_u32 v96, v29, v85, 2
	ds_bpermute_b32 v29, v96, v6
	ds_bpermute_b32 v30, v96, v7
	v_add_u32_e32 v97, 2, v94
	v_cmp_gt_u32_e32 vcc, v97, v9
	v_add_u32_e32 v99, 4, v94
	s_waitcnt lgkmcnt(1)
	v_add_u32_e32 v29, v6, v29
	s_waitcnt lgkmcnt(0)
	v_add_u32_e32 v30, v7, v30
	v_cndmask_b32_e32 v7, v30, v7, vcc
	v_cndmask_b32_e32 v6, v29, v6, vcc
	v_cmp_gt_u32_e32 vcc, 60, v94
	v_cndmask_b32_e64 v29, 0, 1, vcc
	v_lshlrev_b32_e32 v29, 2, v29
	v_add_lshl_u32 v98, v29, v85, 2
	ds_bpermute_b32 v29, v98, v6
	ds_bpermute_b32 v30, v98, v7
	v_cmp_gt_u32_e32 vcc, v99, v9
	v_add_u32_e32 v101, 8, v94
	v_add_u32_e32 v103, 16, v94
	s_waitcnt lgkmcnt(1)
	v_add_u32_e32 v29, v6, v29
	s_waitcnt lgkmcnt(0)
	v_add_u32_e32 v30, v7, v30
	v_cndmask_b32_e32 v7, v30, v7, vcc
	v_cndmask_b32_e32 v6, v29, v6, vcc
	v_cmp_gt_u32_e32 vcc, 56, v94
	v_cndmask_b32_e64 v29, 0, 1, vcc
	v_lshlrev_b32_e32 v29, 3, v29
	v_add_lshl_u32 v100, v29, v85, 2
	ds_bpermute_b32 v29, v100, v6
	ds_bpermute_b32 v30, v100, v7
	v_cmp_gt_u32_e32 vcc, v101, v9
	v_add_u32_e32 v105, 32, v94
	s_waitcnt lgkmcnt(1)
	v_add_u32_e32 v29, v6, v29
	s_waitcnt lgkmcnt(0)
	v_add_u32_e32 v30, v7, v30
	v_cndmask_b32_e32 v7, v30, v7, vcc
	v_cndmask_b32_e32 v6, v29, v6, vcc
	v_cmp_gt_u32_e32 vcc, 48, v94
	v_cndmask_b32_e64 v29, 0, 1, vcc
	v_lshlrev_b32_e32 v29, 4, v29
	v_add_lshl_u32 v102, v29, v85, 2
	ds_bpermute_b32 v29, v102, v6
	ds_bpermute_b32 v30, v102, v7
	v_cmp_gt_u32_e32 vcc, v103, v9
	s_waitcnt lgkmcnt(1)
	v_add_u32_e32 v29, v6, v29
	s_waitcnt lgkmcnt(0)
	v_add_u32_e32 v30, v7, v30
	v_cndmask_b32_e32 v7, v30, v7, vcc
	v_cndmask_b32_e32 v6, v29, v6, vcc
	v_cmp_gt_u32_e32 vcc, 32, v94
	v_cndmask_b32_e64 v29, 0, 1, vcc
	v_lshlrev_b32_e32 v29, 5, v29
	v_add_lshl_u32 v104, v29, v85, 2
	ds_bpermute_b32 v29, v104, v6
	ds_bpermute_b32 v30, v104, v7
	v_cmp_le_u32_e32 vcc, v105, v9
	s_waitcnt lgkmcnt(1)
	v_cndmask_b32_e32 v9, 0, v29, vcc
	s_waitcnt lgkmcnt(0)
	v_cndmask_b32_e32 v29, 0, v30, vcc
	v_add_u32_e32 v7, v7, v29
	v_add_u32_e32 v6, v6, v9
	v_mov_b32_e32 v29, 0
	s_branch .LBB666_108
.LBB666_107:                            ;   in Loop: Header=BB666_108 Depth=1
	s_or_b64 exec, exec, s[12:13]
	v_cmp_eq_u16_sdwa s[12:13], v8, v93 src0_sel:BYTE_0 src1_sel:DWORD
	v_and_b32_e32 v9, s13, v11
	ds_bpermute_b32 v33, v95, v6
	ds_bpermute_b32 v106, v95, v7
	v_or_b32_e32 v9, 0x80000000, v9
	v_and_b32_e32 v32, s12, v10
	v_ffbl_b32_e32 v9, v9
	v_add_u32_e32 v9, 32, v9
	v_ffbl_b32_e32 v32, v32
	v_min_u32_e32 v9, v32, v9
	s_waitcnt lgkmcnt(1)
	v_add_u32_e32 v32, v33, v6
	s_waitcnt lgkmcnt(0)
	v_add_u32_e32 v33, v106, v7
	v_cmp_lt_u32_e32 vcc, v94, v9
	v_cndmask_b32_e32 v7, v7, v33, vcc
	v_cndmask_b32_e32 v6, v6, v32, vcc
	ds_bpermute_b32 v32, v96, v6
	ds_bpermute_b32 v33, v96, v7
	v_cmp_gt_u32_e32 vcc, v97, v9
	v_subrev_u32_e32 v28, 64, v28
	s_waitcnt lgkmcnt(1)
	v_add_u32_e32 v32, v6, v32
	s_waitcnt lgkmcnt(0)
	v_add_u32_e32 v33, v7, v33
	v_cndmask_b32_e32 v7, v33, v7, vcc
	v_cndmask_b32_e32 v6, v32, v6, vcc
	ds_bpermute_b32 v32, v98, v6
	ds_bpermute_b32 v33, v98, v7
	v_cmp_gt_u32_e32 vcc, v99, v9
	s_waitcnt lgkmcnt(1)
	v_add_u32_e32 v32, v6, v32
	s_waitcnt lgkmcnt(0)
	v_add_u32_e32 v33, v7, v33
	v_cndmask_b32_e32 v7, v33, v7, vcc
	v_cndmask_b32_e32 v6, v32, v6, vcc
	ds_bpermute_b32 v32, v100, v6
	ds_bpermute_b32 v33, v100, v7
	v_cmp_gt_u32_e32 vcc, v101, v9
	;; [unrolled: 9-line block ×3, first 2 shown]
	s_waitcnt lgkmcnt(1)
	v_add_u32_e32 v32, v6, v32
	s_waitcnt lgkmcnt(0)
	v_add_u32_e32 v33, v7, v33
	v_cndmask_b32_e32 v7, v33, v7, vcc
	v_cndmask_b32_e32 v6, v32, v6, vcc
	ds_bpermute_b32 v32, v104, v6
	ds_bpermute_b32 v33, v104, v7
	v_cmp_le_u32_e32 vcc, v105, v9
	s_waitcnt lgkmcnt(1)
	v_cndmask_b32_e32 v9, 0, v32, vcc
	s_waitcnt lgkmcnt(0)
	v_cndmask_b32_e32 v32, 0, v33, vcc
	v_add3_u32 v7, v32, v31, v7
	v_add3_u32 v6, v9, v30, v6
.LBB666_108:                            ; =>This Loop Header: Depth=1
                                        ;     Child Loop BB666_111 Depth 2
	v_cmp_ne_u16_sdwa s[12:13], v8, v93 src0_sel:BYTE_0 src1_sel:DWORD
	v_cndmask_b32_e64 v8, 0, 1, s[12:13]
	;;#ASMSTART
	;;#ASMEND
	v_cmp_ne_u32_e32 vcc, 0, v8
	s_cmp_lg_u64 vcc, exec
	v_pk_mov_b32 v[30:31], v[6:7], v[6:7] op_sel:[0,1]
	s_cbranch_scc1 .LBB666_113
; %bb.109:                              ;   in Loop: Header=BB666_108 Depth=1
	v_lshlrev_b64 v[6:7], 4, v[28:29]
	v_mov_b32_e32 v8, s51
	v_add_co_u32_e32 v32, vcc, s50, v6
	v_addc_co_u32_e32 v33, vcc, v8, v7, vcc
	;;#ASMSTART
	global_load_dwordx4 v[6:9], v[32:33] off glc	
s_waitcnt vmcnt(0)
	;;#ASMEND
	v_and_b32_e32 v9, 0xff, v7
	v_and_b32_e32 v106, 0xff00, v7
	v_or3_b32 v9, 0, v9, v106
	v_or3_b32 v6, v6, 0, 0
	v_and_b32_e32 v106, 0xff000000, v7
	v_and_b32_e32 v7, 0xff0000, v7
	v_or3_b32 v7, v9, v7, v106
	v_or3_b32 v6, v6, 0, 0
	v_cmp_eq_u16_sdwa s[14:15], v8, v29 src0_sel:BYTE_0 src1_sel:DWORD
	s_and_saveexec_b64 s[12:13], s[14:15]
	s_cbranch_execz .LBB666_107
; %bb.110:                              ;   in Loop: Header=BB666_108 Depth=1
	s_mov_b64 s[14:15], 0
.LBB666_111:                            ;   Parent Loop BB666_108 Depth=1
                                        ; =>  This Inner Loop Header: Depth=2
	;;#ASMSTART
	global_load_dwordx4 v[6:9], v[32:33] off glc	
s_waitcnt vmcnt(0)
	;;#ASMEND
	v_cmp_ne_u16_sdwa s[18:19], v8, v29 src0_sel:BYTE_0 src1_sel:DWORD
	s_or_b64 s[14:15], s[18:19], s[14:15]
	s_andn2_b64 exec, exec, s[14:15]
	s_cbranch_execnz .LBB666_111
; %bb.112:                              ;   in Loop: Header=BB666_108 Depth=1
	s_or_b64 exec, exec, s[14:15]
	s_branch .LBB666_107
.LBB666_113:                            ;   in Loop: Header=BB666_108 Depth=1
                                        ; implicit-def: $vgpr8
                                        ; implicit-def: $vgpr6_vgpr7
	s_cbranch_execz .LBB666_108
; %bb.114:
	s_and_saveexec_b64 s[12:13], s[8:9]
	s_cbranch_execz .LBB666_116
; %bb.115:
	s_add_i32 s14, s33, 64
	s_mov_b32 s15, 0
	v_add_u32_e32 v7, v31, v27
	s_lshl_b64 s[14:15], s[14:15], 4
	s_add_u32 s14, s50, s14
	v_and_b32_e32 v8, 0xff000000, v7
	v_and_b32_e32 v10, 0xff0000, v7
	s_addc_u32 s15, s51, s15
	v_or_b32_e32 v8, v10, v8
	v_and_b32_e32 v10, 0xff00, v7
	v_and_b32_e32 v7, 0xff, v7
	v_add_u32_e32 v6, v30, v26
	v_mov_b32_e32 v9, 0
	v_or3_b32 v7, v8, v10, v7
	v_mov_b32_e32 v8, 2
	v_pk_mov_b32 v[10:11], s[14:15], s[14:15] op_sel:[0,1]
	;;#ASMSTART
	global_store_dwordx4 v[10:11], v[6:9] off	
s_waitcnt vmcnt(0)
	;;#ASMEND
	s_movk_i32 s14, 0x3400
	v_add_u32_e64 v6, s14, 0
	ds_write2_b32 v6, v26, v27 offset1:2
	ds_write2_b32 v6, v30, v31 offset0:4 offset1:6
.LBB666_116:
	s_or_b64 exec, exec, s[12:13]
	s_and_b64 exec, exec, s[0:1]
	s_cbranch_execz .LBB666_118
; %bb.117:
	v_mov_b32_e32 v6, 0
	ds_write_b64 v6, v[30:31] offset:24
.LBB666_118:
	s_or_b64 exec, exec, s[10:11]
	v_mov_b32_e32 v6, 0
	s_waitcnt lgkmcnt(0)
	s_barrier
	ds_read_b64 v[10:11], v6 offset:24
	v_cndmask_b32_e64 v25, v92, v25, s[8:9]
	v_cndmask_b32_e64 v1, v1, v24, s[8:9]
	s_movk_i32 s8, 0x3400
	s_waitcnt lgkmcnt(0)
	v_add_u32_e32 v24, v10, v1
	v_add_u32_e64 v1, s8, 0
	s_barrier
	ds_read2_b32 v[6:7], v1 offset1:2
	ds_read2_b32 v[8:9], v1 offset0:4 offset1:6
	v_add_u32_e32 v1, v11, v25
	v_cndmask_b32_e64 v1, v1, v11, s[0:1]
	v_cndmask_b32_e64 v10, v24, v10, s[0:1]
	s_branch .LBB666_129
.LBB666_119:
                                        ; implicit-def: $vgpr1
                                        ; implicit-def: $vgpr8
                                        ; implicit-def: $vgpr6
                                        ; implicit-def: $vgpr10_vgpr11
	s_cbranch_execz .LBB666_129
; %bb.120:
	s_nop 0
	v_mov_b32_dpp v1, v90 row_shr:1 row_mask:0xf bank_mask:0xf
	s_waitcnt lgkmcnt(1)
	v_mov_b32_dpp v6, v91 row_shr:1 row_mask:0xf bank_mask:0xf
	v_add_u32_e32 v1, v1, v90
	v_add_u32_e32 v6, v6, v91
	v_cndmask_b32_e64 v6, v6, v91, s[6:7]
	v_cndmask_b32_e64 v1, v1, v90, s[6:7]
	v_cmp_lt_u32_e32 vcc, 3, v89
	s_waitcnt lgkmcnt(0)
	v_mov_b32_dpp v8, v6 row_shr:2 row_mask:0xf bank_mask:0xf
	v_mov_b32_dpp v7, v1 row_shr:2 row_mask:0xf bank_mask:0xf
	v_add_u32_e32 v7, v1, v7
	v_add_u32_e32 v8, v6, v8
	v_cndmask_b32_e64 v6, v6, v8, s[4:5]
	v_cndmask_b32_e64 v1, v1, v7, s[4:5]
	s_nop 0
	v_mov_b32_dpp v8, v6 row_shr:4 row_mask:0xf bank_mask:0xf
	v_mov_b32_dpp v7, v1 row_shr:4 row_mask:0xf bank_mask:0xf
	v_add_u32_e32 v7, v1, v7
	v_add_u32_e32 v8, v6, v8
	v_cndmask_b32_e32 v6, v6, v8, vcc
	v_cndmask_b32_e32 v1, v1, v7, vcc
	v_cmp_lt_u32_e32 vcc, 7, v89
	v_mov_b32_dpp v8, v6 row_shr:8 row_mask:0xf bank_mask:0xf
	v_mov_b32_dpp v7, v1 row_shr:8 row_mask:0xf bank_mask:0xf
	v_add_u32_e32 v7, v1, v7
	v_add_u32_e32 v8, v6, v8
	v_cndmask_b32_e32 v6, v6, v8, vcc
	v_cndmask_b32_e32 v1, v1, v7, vcc
	v_cmp_eq_u32_e32 vcc, 0, v88
	v_mov_b32_dpp v8, v6 row_bcast:15 row_mask:0xf bank_mask:0xf
	v_mov_b32_dpp v7, v1 row_bcast:15 row_mask:0xf bank_mask:0xf
	v_add_u32_e32 v7, v1, v7
	v_add_u32_e32 v8, v6, v8
	v_cndmask_b32_e32 v6, v8, v6, vcc
	v_cndmask_b32_e32 v1, v7, v1, vcc
	v_cmp_lt_u32_e32 vcc, 31, v85
	v_mov_b32_dpp v8, v6 row_bcast:31 row_mask:0xf bank_mask:0xf
	v_mov_b32_dpp v7, v1 row_bcast:31 row_mask:0xf bank_mask:0xf
	v_add_u32_e32 v8, v6, v8
	v_add_u32_e32 v9, v1, v7
	v_cndmask_b32_e32 v7, v6, v8, vcc
	v_cndmask_b32_e32 v6, v1, v9, vcc
	v_cmp_eq_u32_e32 vcc, v87, v0
	s_and_saveexec_b64 s[4:5], vcc
	s_cbranch_execz .LBB666_122
; %bb.121:
	v_lshlrev_b32_e32 v1, 3, v86
	ds_write_b64 v1, v[6:7]
.LBB666_122:
	s_or_b64 exec, exec, s[4:5]
	v_cmp_gt_u32_e32 vcc, 4, v0
	s_waitcnt lgkmcnt(0)
	s_barrier
	s_and_saveexec_b64 s[4:5], vcc
	s_cbranch_execz .LBB666_124
; %bb.123:
	v_lshlrev_b32_e32 v1, 3, v0
	ds_read_b64 v[8:9], v1
	v_and_b32_e32 v10, 3, v85
	v_cmp_eq_u32_e32 vcc, 0, v10
	s_waitcnt lgkmcnt(0)
	v_mov_b32_dpp v11, v8 row_shr:1 row_mask:0xf bank_mask:0xf
	v_mov_b32_dpp v24, v9 row_shr:1 row_mask:0xf bank_mask:0xf
	v_add_u32_e32 v11, v11, v8
	v_add_u32_e32 v24, v24, v9
	v_cndmask_b32_e32 v9, v24, v9, vcc
	v_cndmask_b32_e32 v8, v11, v8, vcc
	v_cmp_lt_u32_e32 vcc, 1, v10
	v_mov_b32_dpp v24, v9 row_shr:2 row_mask:0xf bank_mask:0xf
	v_mov_b32_dpp v11, v8 row_shr:2 row_mask:0xf bank_mask:0xf
	v_cndmask_b32_e32 v10, 0, v11, vcc
	v_cndmask_b32_e32 v11, 0, v24, vcc
	v_add_u32_e32 v9, v11, v9
	v_add_u32_e32 v8, v10, v8
	ds_write_b64 v1, v[8:9]
.LBB666_124:
	s_or_b64 exec, exec, s[4:5]
	v_cmp_lt_u32_e32 vcc, 63, v0
	v_mov_b32_e32 v8, 0
	v_mov_b32_e32 v10, 0
	;; [unrolled: 1-line block ×3, first 2 shown]
	s_waitcnt lgkmcnt(0)
	s_barrier
	s_and_saveexec_b64 s[4:5], vcc
	s_cbranch_execz .LBB666_126
; %bb.125:
	v_lshl_add_u32 v1, v86, 3, -8
	ds_read_b64 v[10:11], v1
.LBB666_126:
	s_or_b64 exec, exec, s[4:5]
	s_waitcnt lgkmcnt(0)
	v_add_u32_e32 v9, v11, v7
	v_add_u32_e32 v1, v10, v6
	v_add_u32_e32 v6, -1, v85
	v_and_b32_e32 v7, 64, v85
	v_cmp_lt_i32_e32 vcc, v6, v7
	v_cndmask_b32_e32 v6, v6, v85, vcc
	v_lshlrev_b32_e32 v24, 2, v6
	ds_read_b64 v[6:7], v8 offset:24
	ds_bpermute_b32 v1, v24, v1
	ds_bpermute_b32 v24, v24, v9
	s_waitcnt lgkmcnt(2)
	v_readfirstlane_b32 s6, v7
	s_and_saveexec_b64 s[4:5], s[0:1]
	s_cbranch_execz .LBB666_128
; %bb.127:
	s_add_u32 s8, s50, 0x400
	s_mov_b32 s10, 0
	s_addc_u32 s9, s51, 0
	s_and_b32 s11, s6, 0xff000000
	s_and_b32 s13, s6, 0xff0000
	s_mov_b32 s12, s10
	s_or_b64 s[12:13], s[12:13], s[10:11]
	s_and_b32 s11, s6, 0xff00
	s_or_b64 s[12:13], s[12:13], s[10:11]
	s_and_b32 s11, s6, 0xff
	s_or_b64 s[10:11], s[12:13], s[10:11]
	v_mov_b32_e32 v7, s11
	v_mov_b32_e32 v8, 2
	;; [unrolled: 1-line block ×3, first 2 shown]
	v_pk_mov_b32 v[26:27], s[8:9], s[8:9] op_sel:[0,1]
	;;#ASMSTART
	global_store_dwordx4 v[26:27], v[6:9] off	
s_waitcnt vmcnt(0)
	;;#ASMEND
.LBB666_128:
	s_or_b64 exec, exec, s[4:5]
	v_cmp_eq_u32_e32 vcc, 0, v85
	s_waitcnt lgkmcnt(1)
	v_cndmask_b32_e32 v7, v1, v10, vcc
	s_waitcnt lgkmcnt(0)
	v_cndmask_b32_e32 v1, v24, v11, vcc
	v_mov_b32_e32 v8, 0
	v_cndmask_b32_e64 v1, v1, 0, s[0:1]
	v_cndmask_b32_e64 v10, v7, 0, s[0:1]
	s_barrier
	v_mov_b32_e32 v7, s6
	v_mov_b32_e32 v9, 0
.LBB666_129:
	v_add_u32_e32 v11, v10, v67
	v_add_u32_e32 v26, v1, v68
	;; [unrolled: 1-line block ×13, first 2 shown]
	s_waitcnt vmcnt(0) lgkmcnt(0)
	v_add_co_u32_e32 v2, vcc, v2, v8
	v_add_u32_e32 v68, v62, v74
	v_add_u32_e32 v64, v67, v64
	v_addc_co_u32_e32 v3, vcc, 0, v3, vcc
	v_add_u32_e32 v69, v68, v82
	v_add_u32_e32 v70, v64, v75
	v_sub_co_u32_e32 v24, vcc, v4, v6
	v_add_u32_e32 v71, v69, v76
	v_add_u32_e32 v65, v70, v65
	v_subbrev_co_u32_e32 v25, vcc, 0, v5, vcc
	v_lshlrev_b32_e32 v76, 1, v6
	v_sub_u32_e32 v1, v1, v9
	v_add_u32_e32 v73, v65, v77
	v_add_co_u32_e32 v24, vcc, v24, v9
	v_add_u32_e32 v77, v76, v7
	v_sub_u32_e32 v10, v10, v8
	v_add_u32_e32 v1, v1, v6
	v_addc_co_u32_e32 v25, vcc, 0, v25, vcc
	v_add_u32_e32 v36, v77, v36
	v_and_b32_e32 v38, 1, v38
	v_add_u32_e32 v77, v10, v1
	v_and_b32_e32 v37, 1, v37
	v_sub_u32_e32 v77, v36, v77
	v_cmp_eq_u32_e32 vcc, 1, v38
	v_cndmask_b32_e32 v1, v77, v1, vcc
	v_cmp_eq_u32_e32 vcc, 1, v37
	v_cndmask_b32_e32 v1, v1, v10, vcc
	v_lshlrev_b32_e32 v1, 2, v1
	ds_write_b32 v1, v22
	v_sub_u32_e32 v1, v11, v8
	v_sub_u32_e32 v11, v26, v9
	v_add_u32_e32 v11, v11, v6
	v_add_u32_e32 v26, v11, v1
	v_and_b32_e32 v22, 1, v40
	v_sub_u32_e32 v26, v36, v26
	v_and_b32_e32 v10, 1, v39
	v_add_u32_e32 v26, 1, v26
	v_cmp_eq_u32_e32 vcc, 1, v22
	v_cndmask_b32_e32 v11, v26, v11, vcc
	v_cmp_eq_u32_e32 vcc, 1, v10
	v_cndmask_b32_e32 v1, v11, v1, vcc
	v_lshlrev_b32_e32 v1, 2, v1
	v_sub_u32_e32 v11, v27, v9
	ds_write_b32 v1, v23
	v_sub_u32_e32 v1, v28, v8
	v_add_u32_e32 v11, v11, v6
	v_add_u32_e32 v23, v11, v1
	v_and_b32_e32 v22, 1, v42
	v_sub_u32_e32 v23, v36, v23
	v_and_b32_e32 v10, 1, v41
	v_add_u32_e32 v23, 2, v23
	v_cmp_eq_u32_e32 vcc, 1, v22
	v_cndmask_b32_e32 v11, v23, v11, vcc
	v_cmp_eq_u32_e32 vcc, 1, v10
	v_cndmask_b32_e32 v1, v11, v1, vcc
	v_lshlrev_b32_e32 v1, 2, v1
	v_sub_u32_e32 v11, v30, v9
	ds_write_b32 v1, v20
	;; [unrolled: 14-line block ×8, first 2 shown]
	v_sub_u32_e32 v1, v70, v8
	v_add_u32_e32 v11, v11, v6
	v_add_u32_e32 v16, v1, v11
	v_and_b32_e32 v14, 1, v55
	v_sub_u32_e32 v16, v36, v16
	v_and_b32_e32 v10, 1, v56
	v_add_u32_e32 v16, 9, v16
	v_cmp_eq_u32_e32 vcc, 1, v14
	v_cndmask_b32_e32 v11, v16, v11, vcc
	v_cmp_eq_u32_e32 vcc, 1, v10
	v_add_u32_e32 v72, v71, v83
	v_cndmask_b32_e32 v1, v11, v1, vcc
	v_lshlrev_b32_e32 v1, 2, v1
	v_sub_u32_e32 v11, v72, v9
	ds_write_b32 v1, v15
	v_sub_u32_e32 v1, v65, v8
	v_add_u32_e32 v11, v11, v6
	v_add_u32_e32 v15, v1, v11
	v_and_b32_e32 v14, 1, v57
	v_sub_u32_e32 v15, v36, v15
	v_and_b32_e32 v10, 1, v58
	v_add_u32_e32 v15, 10, v15
	v_cmp_eq_u32_e32 vcc, 1, v14
	v_cndmask_b32_e32 v11, v15, v11, vcc
	v_cmp_eq_u32_e32 vcc, 1, v10
	v_add_u32_e32 v74, v72, v78
	v_cndmask_b32_e32 v1, v11, v1, vcc
	v_lshlrev_b32_e32 v1, 2, v1
	v_sub_u32_e32 v11, v74, v9
	ds_write_b32 v1, v12
	v_sub_u32_e32 v1, v73, v8
	v_add_u32_e32 v11, v11, v6
	v_add_u32_e32 v14, v1, v11
	v_and_b32_e32 v12, 1, v59
	v_sub_u32_e32 v14, v36, v14
	v_and_b32_e32 v10, 1, v60
	v_add_u32_e32 v14, 11, v14
	v_cmp_eq_u32_e32 vcc, 1, v12
	v_cndmask_b32_e32 v11, v14, v11, vcc
	v_cmp_eq_u32_e32 vcc, 1, v10
	v_cndmask_b32_e32 v1, v11, v1, vcc
	v_add_u32_e32 v75, v74, v84
	v_add_u32_e32 v66, v73, v66
	v_lshlrev_b32_e32 v1, 2, v1
	ds_write_b32 v1, v13
	v_sub_u32_e32 v1, v66, v8
	v_sub_u32_e32 v8, v75, v9
	v_add_u32_e32 v8, v8, v6
	v_add_u32_e32 v10, v1, v8
	v_sub_u32_e32 v10, v36, v10
	v_add_u32_e32 v10, 12, v10
	v_cndmask_b32_e64 v8, v10, v8, s[54:55]
	v_cndmask_b32_e64 v1, v8, v1, s[52:53]
	v_lshlrev_b32_e32 v1, 2, v1
	ds_write_b32 v1, v35
	v_mov_b32_e32 v1, s49
	v_add_co_u32_e32 v8, vcc, s48, v34
	v_addc_co_u32_e32 v10, vcc, 0, v1, vcc
	v_add_co_u32_e32 v1, vcc, v7, v76
	v_addc_co_u32_e64 v11, s[4:5], 0, 0, vcc
	v_add_co_u32_e32 v1, vcc, v1, v24
	v_addc_co_u32_e32 v11, vcc, v11, v25, vcc
	v_add_co_u32_e32 v1, vcc, v1, v2
	v_addc_co_u32_e32 v11, vcc, v11, v3, vcc
	v_sub_co_u32_e32 v1, vcc, v8, v1
	v_subb_co_u32_e32 v8, vcc, v10, v11, vcc
	v_lshlrev_b64 v[10:11], 2, v[24:25]
	v_mov_b32_e32 v12, s47
	v_add_co_u32_e32 v10, vcc, s46, v10
	v_addc_co_u32_e32 v11, vcc, v12, v11, vcc
	v_lshlrev_b64 v[12:13], 2, v[2:3]
	v_mov_b32_e32 v15, s45
	v_add_co_u32_e32 v12, vcc, s44, v12
	s_add_u32 s8, s34, -4
	v_addc_co_u32_e32 v13, vcc, v15, v13, vcc
	s_addc_u32 s9, s35, -1
	v_add_u32_e32 v14, v6, v7
	s_and_b64 vcc, exec, s[2:3]
	s_mov_b64 s[2:3], -1
	s_waitcnt lgkmcnt(0)
	s_barrier
	s_cbranch_vccz .LBB666_133
; %bb.130:
	s_and_b64 vcc, exec, s[2:3]
	s_cbranch_vccnz .LBB666_238
.LBB666_131:
	s_and_b64 s[0:1], s[0:1], s[30:31]
	s_and_saveexec_b64 s[2:3], s[0:1]
	s_cbranch_execnz .LBB666_356
.LBB666_132:
	s_endpgm
.LBB666_133:
	v_cmp_le_u32_e32 vcc, v6, v0
	s_and_saveexec_b64 s[2:3], vcc
	s_xor_b64 s[2:3], exec, s[2:3]
	s_cbranch_execz .LBB666_139
; %bb.134:
	v_cmp_le_u32_e32 vcc, v14, v0
	s_and_saveexec_b64 s[4:5], vcc
	s_xor_b64 s[4:5], exec, s[4:5]
	s_cbranch_execz .LBB666_136
; %bb.135:
	v_lshlrev_b32_e32 v15, 2, v0
	v_add_co_u32_e32 v16, vcc, v1, v0
	ds_read_b32 v15, v15
	v_addc_co_u32_e32 v17, vcc, 0, v8, vcc
	v_lshlrev_b64 v[16:17], 2, v[16:17]
	v_mov_b32_e32 v18, s35
	v_sub_co_u32_e32 v16, vcc, s34, v16
	v_subb_co_u32_e32 v17, vcc, v18, v17, vcc
	s_waitcnt lgkmcnt(0)
	global_store_dword v[16:17], v15, off offset:-4
.LBB666_136:
	s_andn2_saveexec_b64 s[4:5], s[4:5]
	s_cbranch_execz .LBB666_138
; %bb.137:
	v_lshlrev_b32_e32 v15, 2, v0
	ds_read_b32 v16, v15
	v_readfirstlane_b32 s6, v10
	v_readfirstlane_b32 s7, v11
	s_waitcnt lgkmcnt(0)
	s_nop 3
	global_store_dword v15, v16, s[6:7]
.LBB666_138:
	s_or_b64 exec, exec, s[4:5]
.LBB666_139:
	s_andn2_saveexec_b64 s[2:3], s[2:3]
	s_cbranch_execz .LBB666_141
; %bb.140:
	v_lshlrev_b32_e32 v15, 2, v0
	ds_read_b32 v16, v15
	v_readfirstlane_b32 s4, v12
	v_readfirstlane_b32 s5, v13
	s_waitcnt lgkmcnt(0)
	s_nop 3
	global_store_dword v15, v16, s[4:5]
.LBB666_141:
	s_or_b64 exec, exec, s[2:3]
	v_or_b32_e32 v15, 0x100, v0
	v_cmp_le_u32_e32 vcc, v6, v15
	s_and_saveexec_b64 s[2:3], vcc
	s_xor_b64 s[2:3], exec, s[2:3]
	s_cbranch_execz .LBB666_147
; %bb.142:
	v_cmp_le_u32_e32 vcc, v14, v15
	s_and_saveexec_b64 s[4:5], vcc
	s_xor_b64 s[4:5], exec, s[4:5]
	s_cbranch_execz .LBB666_144
; %bb.143:
	v_lshlrev_b32_e32 v15, 2, v0
	ds_read_b32 v15, v15 offset:1024
	v_add_co_u32_e32 v16, vcc, v1, v0
	v_addc_co_u32_e32 v17, vcc, 0, v8, vcc
	v_lshlrev_b64 v[16:17], 2, v[16:17]
	v_mov_b32_e32 v18, s9
	v_sub_co_u32_e32 v16, vcc, s8, v16
	v_subb_co_u32_e32 v17, vcc, v18, v17, vcc
	s_waitcnt lgkmcnt(0)
	global_store_dword v[16:17], v15, off offset:-1024
.LBB666_144:
	s_andn2_saveexec_b64 s[4:5], s[4:5]
	s_cbranch_execz .LBB666_146
; %bb.145:
	v_lshlrev_b32_e32 v15, 2, v0
	ds_read_b32 v16, v15 offset:1024
	v_readfirstlane_b32 s6, v10
	v_readfirstlane_b32 s7, v11
	s_waitcnt lgkmcnt(0)
	s_nop 3
	global_store_dword v15, v16, s[6:7] offset:1024
.LBB666_146:
	s_or_b64 exec, exec, s[4:5]
.LBB666_147:
	s_andn2_saveexec_b64 s[2:3], s[2:3]
	s_cbranch_execz .LBB666_149
; %bb.148:
	v_lshlrev_b32_e32 v15, 2, v0
	ds_read_b32 v16, v15 offset:1024
	v_readfirstlane_b32 s4, v12
	v_readfirstlane_b32 s5, v13
	s_waitcnt lgkmcnt(0)
	s_nop 3
	global_store_dword v15, v16, s[4:5] offset:1024
.LBB666_149:
	s_or_b64 exec, exec, s[2:3]
	v_or_b32_e32 v15, 0x200, v0
	v_cmp_le_u32_e32 vcc, v6, v15
	s_and_saveexec_b64 s[2:3], vcc
	s_xor_b64 s[2:3], exec, s[2:3]
	s_cbranch_execz .LBB666_155
; %bb.150:
	v_cmp_le_u32_e32 vcc, v14, v15
	s_and_saveexec_b64 s[4:5], vcc
	s_xor_b64 s[4:5], exec, s[4:5]
	s_cbranch_execz .LBB666_152
; %bb.151:
	v_lshlrev_b32_e32 v15, 2, v0
	ds_read_b32 v15, v15 offset:2048
	v_add_co_u32_e32 v16, vcc, v1, v0
	v_addc_co_u32_e32 v17, vcc, 0, v8, vcc
	v_lshlrev_b64 v[16:17], 2, v[16:17]
	v_mov_b32_e32 v18, s9
	v_sub_co_u32_e32 v16, vcc, s8, v16
	v_subb_co_u32_e32 v17, vcc, v18, v17, vcc
	s_waitcnt lgkmcnt(0)
	global_store_dword v[16:17], v15, off offset:-2048
.LBB666_152:
	s_andn2_saveexec_b64 s[4:5], s[4:5]
	s_cbranch_execz .LBB666_154
; %bb.153:
	v_lshlrev_b32_e32 v15, 2, v0
	ds_read_b32 v16, v15 offset:2048
	v_readfirstlane_b32 s6, v10
	v_readfirstlane_b32 s7, v11
	s_waitcnt lgkmcnt(0)
	s_nop 3
	global_store_dword v15, v16, s[6:7] offset:2048
.LBB666_154:
	s_or_b64 exec, exec, s[4:5]
.LBB666_155:
	s_andn2_saveexec_b64 s[2:3], s[2:3]
	s_cbranch_execz .LBB666_157
; %bb.156:
	v_lshlrev_b32_e32 v15, 2, v0
	ds_read_b32 v16, v15 offset:2048
	v_readfirstlane_b32 s4, v12
	v_readfirstlane_b32 s5, v13
	s_waitcnt lgkmcnt(0)
	s_nop 3
	global_store_dword v15, v16, s[4:5] offset:2048
.LBB666_157:
	;; [unrolled: 47-line block ×3, first 2 shown]
	s_or_b64 exec, exec, s[2:3]
	v_or_b32_e32 v15, 0x400, v0
	v_cmp_le_u32_e32 vcc, v6, v15
	s_and_saveexec_b64 s[2:3], vcc
	s_xor_b64 s[2:3], exec, s[2:3]
	s_cbranch_execz .LBB666_171
; %bb.166:
	v_cmp_le_u32_e32 vcc, v14, v15
	s_and_saveexec_b64 s[4:5], vcc
	s_xor_b64 s[4:5], exec, s[4:5]
	s_cbranch_execz .LBB666_168
; %bb.167:
	v_lshlrev_b32_e32 v15, 2, v0
	ds_read_b32 v15, v15 offset:4096
	v_add_co_u32_e32 v16, vcc, v1, v0
	v_addc_co_u32_e32 v17, vcc, 0, v8, vcc
	v_lshlrev_b64 v[16:17], 2, v[16:17]
	v_mov_b32_e32 v18, s9
	v_sub_co_u32_e32 v16, vcc, s8, v16
	v_subb_co_u32_e32 v17, vcc, v18, v17, vcc
	s_waitcnt lgkmcnt(0)
	global_store_dword v[16:17], v15, off offset:-4096
                                        ; implicit-def: $vgpr15
.LBB666_168:
	s_andn2_saveexec_b64 s[4:5], s[4:5]
	s_cbranch_execz .LBB666_170
; %bb.169:
	v_lshlrev_b32_e32 v16, 2, v0
	ds_read_b32 v16, v16 offset:4096
	v_lshlrev_b32_e32 v15, 2, v15
	v_readfirstlane_b32 s6, v10
	v_readfirstlane_b32 s7, v11
	s_waitcnt lgkmcnt(0)
	s_nop 3
	global_store_dword v15, v16, s[6:7]
.LBB666_170:
	s_or_b64 exec, exec, s[4:5]
                                        ; implicit-def: $vgpr15
.LBB666_171:
	s_andn2_saveexec_b64 s[2:3], s[2:3]
	s_cbranch_execz .LBB666_173
; %bb.172:
	v_lshlrev_b32_e32 v16, 2, v0
	ds_read_b32 v16, v16 offset:4096
	v_lshlrev_b32_e32 v15, 2, v15
	v_readfirstlane_b32 s4, v12
	v_readfirstlane_b32 s5, v13
	s_waitcnt lgkmcnt(0)
	s_nop 3
	global_store_dword v15, v16, s[4:5]
.LBB666_173:
	s_or_b64 exec, exec, s[2:3]
	v_or_b32_e32 v15, 0x500, v0
	v_cmp_le_u32_e32 vcc, v6, v15
	s_and_saveexec_b64 s[2:3], vcc
	s_xor_b64 s[2:3], exec, s[2:3]
	s_cbranch_execz .LBB666_179
; %bb.174:
	v_cmp_le_u32_e32 vcc, v14, v15
	s_and_saveexec_b64 s[4:5], vcc
	s_xor_b64 s[4:5], exec, s[4:5]
	s_cbranch_execz .LBB666_176
; %bb.175:
	v_add_co_u32_e32 v16, vcc, v1, v15
	v_lshlrev_b32_e32 v15, 2, v0
	ds_read_b32 v15, v15 offset:5120
	v_addc_co_u32_e32 v17, vcc, 0, v8, vcc
	v_lshlrev_b64 v[16:17], 2, v[16:17]
	v_mov_b32_e32 v18, s9
	v_sub_co_u32_e32 v16, vcc, s8, v16
	v_subb_co_u32_e32 v17, vcc, v18, v17, vcc
	s_waitcnt lgkmcnt(0)
	global_store_dword v[16:17], v15, off
                                        ; implicit-def: $vgpr15
.LBB666_176:
	s_andn2_saveexec_b64 s[4:5], s[4:5]
	s_cbranch_execz .LBB666_178
; %bb.177:
	v_lshlrev_b32_e32 v16, 2, v0
	ds_read_b32 v16, v16 offset:5120
	v_lshlrev_b32_e32 v15, 2, v15
	v_readfirstlane_b32 s6, v10
	v_readfirstlane_b32 s7, v11
	s_waitcnt lgkmcnt(0)
	s_nop 3
	global_store_dword v15, v16, s[6:7]
.LBB666_178:
	s_or_b64 exec, exec, s[4:5]
                                        ; implicit-def: $vgpr15
.LBB666_179:
	s_andn2_saveexec_b64 s[2:3], s[2:3]
	s_cbranch_execz .LBB666_181
; %bb.180:
	v_lshlrev_b32_e32 v16, 2, v0
	ds_read_b32 v16, v16 offset:5120
	v_lshlrev_b32_e32 v15, 2, v15
	v_readfirstlane_b32 s4, v12
	v_readfirstlane_b32 s5, v13
	s_waitcnt lgkmcnt(0)
	s_nop 3
	global_store_dword v15, v16, s[4:5]
.LBB666_181:
	s_or_b64 exec, exec, s[2:3]
	v_or_b32_e32 v15, 0x600, v0
	v_cmp_le_u32_e32 vcc, v6, v15
	s_and_saveexec_b64 s[2:3], vcc
	s_xor_b64 s[2:3], exec, s[2:3]
	s_cbranch_execz .LBB666_187
; %bb.182:
	v_cmp_le_u32_e32 vcc, v14, v15
	s_and_saveexec_b64 s[4:5], vcc
	s_xor_b64 s[4:5], exec, s[4:5]
	s_cbranch_execz .LBB666_184
; %bb.183:
	v_add_co_u32_e32 v16, vcc, v1, v15
	v_lshlrev_b32_e32 v15, 2, v0
	ds_read_b32 v15, v15 offset:6144
	v_addc_co_u32_e32 v17, vcc, 0, v8, vcc
	v_lshlrev_b64 v[16:17], 2, v[16:17]
	v_mov_b32_e32 v18, s9
	v_sub_co_u32_e32 v16, vcc, s8, v16
	v_subb_co_u32_e32 v17, vcc, v18, v17, vcc
	s_waitcnt lgkmcnt(0)
	global_store_dword v[16:17], v15, off
                                        ; implicit-def: $vgpr15
.LBB666_184:
	s_andn2_saveexec_b64 s[4:5], s[4:5]
	s_cbranch_execz .LBB666_186
; %bb.185:
	v_lshlrev_b32_e32 v16, 2, v0
	ds_read_b32 v16, v16 offset:6144
	v_lshlrev_b32_e32 v15, 2, v15
	v_readfirstlane_b32 s6, v10
	v_readfirstlane_b32 s7, v11
	s_waitcnt lgkmcnt(0)
	s_nop 3
	global_store_dword v15, v16, s[6:7]
.LBB666_186:
	s_or_b64 exec, exec, s[4:5]
                                        ; implicit-def: $vgpr15
.LBB666_187:
	;; [unrolled: 51-line block ×8, first 2 shown]
	s_andn2_saveexec_b64 s[2:3], s[2:3]
	s_cbranch_execz .LBB666_237
; %bb.236:
	v_lshlrev_b32_e32 v16, 2, v0
	ds_read_b32 v16, v16 offset:12288
	v_lshlrev_b32_e32 v15, 2, v15
	v_readfirstlane_b32 s4, v12
	v_readfirstlane_b32 s5, v13
	s_waitcnt lgkmcnt(0)
	s_nop 3
	global_store_dword v15, v16, s[4:5]
.LBB666_237:
	s_or_b64 exec, exec, s[2:3]
	s_branch .LBB666_131
.LBB666_238:
	v_cmp_gt_u32_e32 vcc, s16, v0
	s_and_saveexec_b64 s[2:3], vcc
	s_cbranch_execz .LBB666_247
; %bb.239:
	v_cmp_le_u32_e32 vcc, v6, v0
	s_and_saveexec_b64 s[4:5], vcc
	s_xor_b64 s[4:5], exec, s[4:5]
	s_cbranch_execz .LBB666_245
; %bb.240:
	v_cmp_le_u32_e32 vcc, v14, v0
	s_and_saveexec_b64 s[6:7], vcc
	s_xor_b64 s[6:7], exec, s[6:7]
	s_cbranch_execz .LBB666_242
; %bb.241:
	v_lshlrev_b32_e32 v15, 2, v0
	v_add_co_u32_e32 v16, vcc, v1, v0
	ds_read_b32 v15, v15
	v_addc_co_u32_e32 v17, vcc, 0, v8, vcc
	v_lshlrev_b64 v[16:17], 2, v[16:17]
	v_mov_b32_e32 v18, s35
	v_sub_co_u32_e32 v16, vcc, s34, v16
	v_subb_co_u32_e32 v17, vcc, v18, v17, vcc
	s_waitcnt lgkmcnt(0)
	global_store_dword v[16:17], v15, off offset:-4
.LBB666_242:
	s_andn2_saveexec_b64 s[6:7], s[6:7]
	s_cbranch_execz .LBB666_244
; %bb.243:
	v_lshlrev_b32_e32 v15, 2, v0
	ds_read_b32 v16, v15
	v_readfirstlane_b32 s10, v10
	v_readfirstlane_b32 s11, v11
	s_waitcnt lgkmcnt(0)
	s_nop 3
	global_store_dword v15, v16, s[10:11]
.LBB666_244:
	s_or_b64 exec, exec, s[6:7]
.LBB666_245:
	s_andn2_saveexec_b64 s[4:5], s[4:5]
	s_cbranch_execz .LBB666_247
; %bb.246:
	v_lshlrev_b32_e32 v15, 2, v0
	ds_read_b32 v16, v15
	v_readfirstlane_b32 s4, v12
	v_readfirstlane_b32 s5, v13
	s_waitcnt lgkmcnt(0)
	s_nop 3
	global_store_dword v15, v16, s[4:5]
.LBB666_247:
	s_or_b64 exec, exec, s[2:3]
	v_or_b32_e32 v15, 0x100, v0
	v_cmp_gt_u32_e32 vcc, s16, v15
	s_and_saveexec_b64 s[2:3], vcc
	s_cbranch_execz .LBB666_256
; %bb.248:
	v_cmp_le_u32_e32 vcc, v6, v15
	s_and_saveexec_b64 s[4:5], vcc
	s_xor_b64 s[4:5], exec, s[4:5]
	s_cbranch_execz .LBB666_254
; %bb.249:
	v_cmp_le_u32_e32 vcc, v14, v15
	s_and_saveexec_b64 s[6:7], vcc
	s_xor_b64 s[6:7], exec, s[6:7]
	s_cbranch_execz .LBB666_251
; %bb.250:
	v_lshlrev_b32_e32 v15, 2, v0
	ds_read_b32 v15, v15 offset:1024
	v_add_co_u32_e32 v16, vcc, v1, v0
	v_addc_co_u32_e32 v17, vcc, 0, v8, vcc
	v_lshlrev_b64 v[16:17], 2, v[16:17]
	v_mov_b32_e32 v18, s9
	v_sub_co_u32_e32 v16, vcc, s8, v16
	v_subb_co_u32_e32 v17, vcc, v18, v17, vcc
	s_waitcnt lgkmcnt(0)
	global_store_dword v[16:17], v15, off offset:-1024
.LBB666_251:
	s_andn2_saveexec_b64 s[6:7], s[6:7]
	s_cbranch_execz .LBB666_253
; %bb.252:
	v_lshlrev_b32_e32 v15, 2, v0
	ds_read_b32 v16, v15 offset:1024
	v_readfirstlane_b32 s10, v10
	v_readfirstlane_b32 s11, v11
	s_waitcnt lgkmcnt(0)
	s_nop 3
	global_store_dword v15, v16, s[10:11] offset:1024
.LBB666_253:
	s_or_b64 exec, exec, s[6:7]
.LBB666_254:
	s_andn2_saveexec_b64 s[4:5], s[4:5]
	s_cbranch_execz .LBB666_256
; %bb.255:
	v_lshlrev_b32_e32 v15, 2, v0
	ds_read_b32 v16, v15 offset:1024
	v_readfirstlane_b32 s4, v12
	v_readfirstlane_b32 s5, v13
	s_waitcnt lgkmcnt(0)
	s_nop 3
	global_store_dword v15, v16, s[4:5] offset:1024
.LBB666_256:
	s_or_b64 exec, exec, s[2:3]
	v_or_b32_e32 v15, 0x200, v0
	v_cmp_gt_u32_e32 vcc, s16, v15
	s_and_saveexec_b64 s[2:3], vcc
	s_cbranch_execz .LBB666_265
; %bb.257:
	v_cmp_le_u32_e32 vcc, v6, v15
	s_and_saveexec_b64 s[4:5], vcc
	s_xor_b64 s[4:5], exec, s[4:5]
	s_cbranch_execz .LBB666_263
; %bb.258:
	v_cmp_le_u32_e32 vcc, v14, v15
	s_and_saveexec_b64 s[6:7], vcc
	s_xor_b64 s[6:7], exec, s[6:7]
	s_cbranch_execz .LBB666_260
; %bb.259:
	v_lshlrev_b32_e32 v15, 2, v0
	ds_read_b32 v15, v15 offset:2048
	v_add_co_u32_e32 v16, vcc, v1, v0
	v_addc_co_u32_e32 v17, vcc, 0, v8, vcc
	v_lshlrev_b64 v[16:17], 2, v[16:17]
	v_mov_b32_e32 v18, s9
	v_sub_co_u32_e32 v16, vcc, s8, v16
	v_subb_co_u32_e32 v17, vcc, v18, v17, vcc
	s_waitcnt lgkmcnt(0)
	global_store_dword v[16:17], v15, off offset:-2048
.LBB666_260:
	s_andn2_saveexec_b64 s[6:7], s[6:7]
	s_cbranch_execz .LBB666_262
; %bb.261:
	v_lshlrev_b32_e32 v15, 2, v0
	ds_read_b32 v16, v15 offset:2048
	v_readfirstlane_b32 s10, v10
	v_readfirstlane_b32 s11, v11
	s_waitcnt lgkmcnt(0)
	s_nop 3
	global_store_dword v15, v16, s[10:11] offset:2048
.LBB666_262:
	s_or_b64 exec, exec, s[6:7]
.LBB666_263:
	s_andn2_saveexec_b64 s[4:5], s[4:5]
	s_cbranch_execz .LBB666_265
; %bb.264:
	v_lshlrev_b32_e32 v15, 2, v0
	ds_read_b32 v16, v15 offset:2048
	v_readfirstlane_b32 s4, v12
	v_readfirstlane_b32 s5, v13
	s_waitcnt lgkmcnt(0)
	s_nop 3
	global_store_dword v15, v16, s[4:5] offset:2048
.LBB666_265:
	;; [unrolled: 51-line block ×3, first 2 shown]
	s_or_b64 exec, exec, s[2:3]
	v_or_b32_e32 v15, 0x400, v0
	v_cmp_gt_u32_e32 vcc, s16, v15
	s_and_saveexec_b64 s[2:3], vcc
	s_cbranch_execz .LBB666_283
; %bb.275:
	v_cmp_le_u32_e32 vcc, v6, v15
	s_and_saveexec_b64 s[4:5], vcc
	s_xor_b64 s[4:5], exec, s[4:5]
	s_cbranch_execz .LBB666_281
; %bb.276:
	v_cmp_le_u32_e32 vcc, v14, v15
	s_and_saveexec_b64 s[6:7], vcc
	s_xor_b64 s[6:7], exec, s[6:7]
	s_cbranch_execz .LBB666_278
; %bb.277:
	v_lshlrev_b32_e32 v15, 2, v0
	ds_read_b32 v15, v15 offset:4096
	v_add_co_u32_e32 v16, vcc, v1, v0
	v_addc_co_u32_e32 v17, vcc, 0, v8, vcc
	v_lshlrev_b64 v[16:17], 2, v[16:17]
	v_mov_b32_e32 v18, s9
	v_sub_co_u32_e32 v16, vcc, s8, v16
	v_subb_co_u32_e32 v17, vcc, v18, v17, vcc
	s_waitcnt lgkmcnt(0)
	global_store_dword v[16:17], v15, off offset:-4096
                                        ; implicit-def: $vgpr15
.LBB666_278:
	s_andn2_saveexec_b64 s[6:7], s[6:7]
	s_cbranch_execz .LBB666_280
; %bb.279:
	v_lshlrev_b32_e32 v16, 2, v0
	ds_read_b32 v16, v16 offset:4096
	v_lshlrev_b32_e32 v15, 2, v15
	v_readfirstlane_b32 s10, v10
	v_readfirstlane_b32 s11, v11
	s_waitcnt lgkmcnt(0)
	s_nop 3
	global_store_dword v15, v16, s[10:11]
.LBB666_280:
	s_or_b64 exec, exec, s[6:7]
                                        ; implicit-def: $vgpr15
.LBB666_281:
	s_andn2_saveexec_b64 s[4:5], s[4:5]
	s_cbranch_execz .LBB666_283
; %bb.282:
	v_lshlrev_b32_e32 v16, 2, v0
	ds_read_b32 v16, v16 offset:4096
	v_lshlrev_b32_e32 v15, 2, v15
	v_readfirstlane_b32 s4, v12
	v_readfirstlane_b32 s5, v13
	s_waitcnt lgkmcnt(0)
	s_nop 3
	global_store_dword v15, v16, s[4:5]
.LBB666_283:
	s_or_b64 exec, exec, s[2:3]
	v_or_b32_e32 v15, 0x500, v0
	v_cmp_gt_u32_e32 vcc, s16, v15
	s_and_saveexec_b64 s[2:3], vcc
	s_cbranch_execz .LBB666_292
; %bb.284:
	v_cmp_le_u32_e32 vcc, v6, v15
	s_and_saveexec_b64 s[4:5], vcc
	s_xor_b64 s[4:5], exec, s[4:5]
	s_cbranch_execz .LBB666_290
; %bb.285:
	v_cmp_le_u32_e32 vcc, v14, v15
	s_and_saveexec_b64 s[6:7], vcc
	s_xor_b64 s[6:7], exec, s[6:7]
	s_cbranch_execz .LBB666_287
; %bb.286:
	v_add_co_u32_e32 v16, vcc, v1, v15
	v_lshlrev_b32_e32 v15, 2, v0
	ds_read_b32 v15, v15 offset:5120
	v_addc_co_u32_e32 v17, vcc, 0, v8, vcc
	v_lshlrev_b64 v[16:17], 2, v[16:17]
	v_mov_b32_e32 v18, s9
	v_sub_co_u32_e32 v16, vcc, s8, v16
	v_subb_co_u32_e32 v17, vcc, v18, v17, vcc
	s_waitcnt lgkmcnt(0)
	global_store_dword v[16:17], v15, off
                                        ; implicit-def: $vgpr15
.LBB666_287:
	s_andn2_saveexec_b64 s[6:7], s[6:7]
	s_cbranch_execz .LBB666_289
; %bb.288:
	v_lshlrev_b32_e32 v16, 2, v0
	ds_read_b32 v16, v16 offset:5120
	v_lshlrev_b32_e32 v15, 2, v15
	v_readfirstlane_b32 s10, v10
	v_readfirstlane_b32 s11, v11
	s_waitcnt lgkmcnt(0)
	s_nop 3
	global_store_dword v15, v16, s[10:11]
.LBB666_289:
	s_or_b64 exec, exec, s[6:7]
                                        ; implicit-def: $vgpr15
.LBB666_290:
	s_andn2_saveexec_b64 s[4:5], s[4:5]
	s_cbranch_execz .LBB666_292
; %bb.291:
	v_lshlrev_b32_e32 v16, 2, v0
	ds_read_b32 v16, v16 offset:5120
	v_lshlrev_b32_e32 v15, 2, v15
	v_readfirstlane_b32 s4, v12
	v_readfirstlane_b32 s5, v13
	s_waitcnt lgkmcnt(0)
	s_nop 3
	global_store_dword v15, v16, s[4:5]
.LBB666_292:
	s_or_b64 exec, exec, s[2:3]
	v_or_b32_e32 v15, 0x600, v0
	v_cmp_gt_u32_e32 vcc, s16, v15
	s_and_saveexec_b64 s[2:3], vcc
	s_cbranch_execz .LBB666_301
; %bb.293:
	v_cmp_le_u32_e32 vcc, v6, v15
	s_and_saveexec_b64 s[4:5], vcc
	s_xor_b64 s[4:5], exec, s[4:5]
	s_cbranch_execz .LBB666_299
; %bb.294:
	v_cmp_le_u32_e32 vcc, v14, v15
	s_and_saveexec_b64 s[6:7], vcc
	s_xor_b64 s[6:7], exec, s[6:7]
	s_cbranch_execz .LBB666_296
; %bb.295:
	v_add_co_u32_e32 v16, vcc, v1, v15
	v_lshlrev_b32_e32 v15, 2, v0
	ds_read_b32 v15, v15 offset:6144
	v_addc_co_u32_e32 v17, vcc, 0, v8, vcc
	v_lshlrev_b64 v[16:17], 2, v[16:17]
	v_mov_b32_e32 v18, s9
	v_sub_co_u32_e32 v16, vcc, s8, v16
	v_subb_co_u32_e32 v17, vcc, v18, v17, vcc
	s_waitcnt lgkmcnt(0)
	global_store_dword v[16:17], v15, off
                                        ; implicit-def: $vgpr15
.LBB666_296:
	s_andn2_saveexec_b64 s[6:7], s[6:7]
	s_cbranch_execz .LBB666_298
; %bb.297:
	v_lshlrev_b32_e32 v16, 2, v0
	ds_read_b32 v16, v16 offset:6144
	v_lshlrev_b32_e32 v15, 2, v15
	v_readfirstlane_b32 s10, v10
	v_readfirstlane_b32 s11, v11
	s_waitcnt lgkmcnt(0)
	s_nop 3
	global_store_dword v15, v16, s[10:11]
.LBB666_298:
	s_or_b64 exec, exec, s[6:7]
                                        ; implicit-def: $vgpr15
.LBB666_299:
	s_andn2_saveexec_b64 s[4:5], s[4:5]
	s_cbranch_execz .LBB666_301
; %bb.300:
	v_lshlrev_b32_e32 v16, 2, v0
	ds_read_b32 v16, v16 offset:6144
	v_lshlrev_b32_e32 v15, 2, v15
	v_readfirstlane_b32 s4, v12
	v_readfirstlane_b32 s5, v13
	s_waitcnt lgkmcnt(0)
	s_nop 3
	global_store_dword v15, v16, s[4:5]
.LBB666_301:
	;; [unrolled: 55-line block ×7, first 2 shown]
	s_or_b64 exec, exec, s[2:3]
	v_or_b32_e32 v15, 0xc00, v0
	v_cmp_gt_u32_e32 vcc, s16, v15
	s_and_saveexec_b64 s[2:3], vcc
	s_cbranch_execz .LBB666_355
; %bb.347:
	v_cmp_le_u32_e32 vcc, v6, v15
	s_and_saveexec_b64 s[4:5], vcc
	s_xor_b64 s[4:5], exec, s[4:5]
	s_cbranch_execz .LBB666_353
; %bb.348:
	v_cmp_le_u32_e32 vcc, v14, v15
	s_and_saveexec_b64 s[6:7], vcc
	s_xor_b64 s[6:7], exec, s[6:7]
	s_cbranch_execz .LBB666_350
; %bb.349:
	v_add_co_u32_e32 v10, vcc, v1, v15
	v_lshlrev_b32_e32 v0, 2, v0
	v_addc_co_u32_e32 v11, vcc, 0, v8, vcc
	ds_read_b32 v8, v0 offset:12288
	v_lshlrev_b64 v[0:1], 2, v[10:11]
	v_mov_b32_e32 v10, s9
	v_sub_co_u32_e32 v0, vcc, s8, v0
	v_subb_co_u32_e32 v1, vcc, v10, v1, vcc
	s_waitcnt lgkmcnt(0)
	global_store_dword v[0:1], v8, off
                                        ; implicit-def: $vgpr0
                                        ; implicit-def: $vgpr15
                                        ; implicit-def: $vgpr10_vgpr11
.LBB666_350:
	s_andn2_saveexec_b64 s[6:7], s[6:7]
	s_cbranch_execz .LBB666_352
; %bb.351:
	v_lshlrev_b32_e32 v0, 2, v0
	ds_read_b32 v0, v0 offset:12288
	v_lshlrev_b32_e32 v1, 2, v15
	v_readfirstlane_b32 s8, v10
	v_readfirstlane_b32 s9, v11
	s_waitcnt lgkmcnt(0)
	s_nop 3
	global_store_dword v1, v0, s[8:9]
.LBB666_352:
	s_or_b64 exec, exec, s[6:7]
                                        ; implicit-def: $vgpr0
                                        ; implicit-def: $vgpr15
                                        ; implicit-def: $vgpr12_vgpr13
.LBB666_353:
	s_andn2_saveexec_b64 s[4:5], s[4:5]
	s_cbranch_execz .LBB666_355
; %bb.354:
	v_lshlrev_b32_e32 v0, 2, v0
	ds_read_b32 v0, v0 offset:12288
	v_lshlrev_b32_e32 v1, 2, v15
	v_readfirstlane_b32 s4, v12
	v_readfirstlane_b32 s5, v13
	s_waitcnt lgkmcnt(0)
	s_nop 3
	global_store_dword v1, v0, s[4:5]
.LBB666_355:
	s_or_b64 exec, exec, s[2:3]
	s_and_b64 s[0:1], s[0:1], s[30:31]
	s_and_saveexec_b64 s[2:3], s[0:1]
	s_cbranch_execz .LBB666_132
.LBB666_356:
	v_add_co_u32_e32 v0, vcc, v2, v6
	v_addc_co_u32_e32 v1, vcc, 0, v3, vcc
	v_add_co_u32_e32 v2, vcc, v4, v7
	v_addc_co_u32_e32 v3, vcc, 0, v5, vcc
	v_add_co_u32_e32 v2, vcc, v2, v9
	v_mov_b32_e32 v8, 0
	v_addc_co_u32_e32 v3, vcc, 0, v3, vcc
	global_store_dwordx4 v8, v[0:3], s[28:29]
	s_endpgm
	.section	.rodata,"a",@progbits
	.p2align	6, 0x0
	.amdhsa_kernel _ZN7rocprim17ROCPRIM_400000_NS6detail17trampoline_kernelINS0_13select_configILj256ELj13ELNS0_17block_load_methodE3ELS4_3ELS4_3ELNS0_20block_scan_algorithmE0ELj4294967295EEENS1_25partition_config_selectorILNS1_17partition_subalgoE4EjNS0_10empty_typeEbEEZZNS1_14partition_implILS8_4ELb0ES6_15HIP_vector_typeIjLj2EENS0_17counting_iteratorIjlEEPS9_SG_NS0_5tupleIJPjSI_NS0_16reverse_iteratorISI_EEEEENSH_IJSG_SG_SG_EEES9_SI_JZNS1_25segmented_radix_sort_implINS0_14default_configELb1EPKlPlSQ_SR_N2at6native12_GLOBAL__N_18offset_tEEE10hipError_tPvRmT1_PNSt15iterator_traitsISZ_E10value_typeET2_T3_PNS10_IS15_E10value_typeET4_jRbjT5_S1B_jjP12ihipStream_tbEUljE_ZNSN_ISO_Lb1ESQ_SR_SQ_SR_SV_EESW_SX_SY_SZ_S13_S14_S15_S18_S19_jS1A_jS1B_S1B_jjS1D_bEUljE0_EEESW_SX_SY_S15_S19_S1B_T6_T7_T9_mT8_S1D_bDpT10_ENKUlT_T0_E_clISt17integral_constantIbLb0EES1Q_IbLb1EEEEDaS1M_S1N_EUlS1M_E_NS1_11comp_targetILNS1_3genE4ELNS1_11target_archE910ELNS1_3gpuE8ELNS1_3repE0EEENS1_30default_config_static_selectorELNS0_4arch9wavefront6targetE1EEEvSZ_
		.amdhsa_group_segment_fixed_size 13340
		.amdhsa_private_segment_fixed_size 0
		.amdhsa_kernarg_size 184
		.amdhsa_user_sgpr_count 6
		.amdhsa_user_sgpr_private_segment_buffer 1
		.amdhsa_user_sgpr_dispatch_ptr 0
		.amdhsa_user_sgpr_queue_ptr 0
		.amdhsa_user_sgpr_kernarg_segment_ptr 1
		.amdhsa_user_sgpr_dispatch_id 0
		.amdhsa_user_sgpr_flat_scratch_init 0
		.amdhsa_user_sgpr_kernarg_preload_length 0
		.amdhsa_user_sgpr_kernarg_preload_offset 0
		.amdhsa_user_sgpr_private_segment_size 0
		.amdhsa_uses_dynamic_stack 0
		.amdhsa_system_sgpr_private_segment_wavefront_offset 0
		.amdhsa_system_sgpr_workgroup_id_x 1
		.amdhsa_system_sgpr_workgroup_id_y 0
		.amdhsa_system_sgpr_workgroup_id_z 0
		.amdhsa_system_sgpr_workgroup_info 0
		.amdhsa_system_vgpr_workitem_id 0
		.amdhsa_next_free_vgpr 107
		.amdhsa_next_free_sgpr 87
		.amdhsa_accum_offset 108
		.amdhsa_reserve_vcc 1
		.amdhsa_reserve_flat_scratch 0
		.amdhsa_float_round_mode_32 0
		.amdhsa_float_round_mode_16_64 0
		.amdhsa_float_denorm_mode_32 3
		.amdhsa_float_denorm_mode_16_64 3
		.amdhsa_dx10_clamp 1
		.amdhsa_ieee_mode 1
		.amdhsa_fp16_overflow 0
		.amdhsa_tg_split 0
		.amdhsa_exception_fp_ieee_invalid_op 0
		.amdhsa_exception_fp_denorm_src 0
		.amdhsa_exception_fp_ieee_div_zero 0
		.amdhsa_exception_fp_ieee_overflow 0
		.amdhsa_exception_fp_ieee_underflow 0
		.amdhsa_exception_fp_ieee_inexact 0
		.amdhsa_exception_int_div_zero 0
	.end_amdhsa_kernel
	.section	.text._ZN7rocprim17ROCPRIM_400000_NS6detail17trampoline_kernelINS0_13select_configILj256ELj13ELNS0_17block_load_methodE3ELS4_3ELS4_3ELNS0_20block_scan_algorithmE0ELj4294967295EEENS1_25partition_config_selectorILNS1_17partition_subalgoE4EjNS0_10empty_typeEbEEZZNS1_14partition_implILS8_4ELb0ES6_15HIP_vector_typeIjLj2EENS0_17counting_iteratorIjlEEPS9_SG_NS0_5tupleIJPjSI_NS0_16reverse_iteratorISI_EEEEENSH_IJSG_SG_SG_EEES9_SI_JZNS1_25segmented_radix_sort_implINS0_14default_configELb1EPKlPlSQ_SR_N2at6native12_GLOBAL__N_18offset_tEEE10hipError_tPvRmT1_PNSt15iterator_traitsISZ_E10value_typeET2_T3_PNS10_IS15_E10value_typeET4_jRbjT5_S1B_jjP12ihipStream_tbEUljE_ZNSN_ISO_Lb1ESQ_SR_SQ_SR_SV_EESW_SX_SY_SZ_S13_S14_S15_S18_S19_jS1A_jS1B_S1B_jjS1D_bEUljE0_EEESW_SX_SY_S15_S19_S1B_T6_T7_T9_mT8_S1D_bDpT10_ENKUlT_T0_E_clISt17integral_constantIbLb0EES1Q_IbLb1EEEEDaS1M_S1N_EUlS1M_E_NS1_11comp_targetILNS1_3genE4ELNS1_11target_archE910ELNS1_3gpuE8ELNS1_3repE0EEENS1_30default_config_static_selectorELNS0_4arch9wavefront6targetE1EEEvSZ_,"axG",@progbits,_ZN7rocprim17ROCPRIM_400000_NS6detail17trampoline_kernelINS0_13select_configILj256ELj13ELNS0_17block_load_methodE3ELS4_3ELS4_3ELNS0_20block_scan_algorithmE0ELj4294967295EEENS1_25partition_config_selectorILNS1_17partition_subalgoE4EjNS0_10empty_typeEbEEZZNS1_14partition_implILS8_4ELb0ES6_15HIP_vector_typeIjLj2EENS0_17counting_iteratorIjlEEPS9_SG_NS0_5tupleIJPjSI_NS0_16reverse_iteratorISI_EEEEENSH_IJSG_SG_SG_EEES9_SI_JZNS1_25segmented_radix_sort_implINS0_14default_configELb1EPKlPlSQ_SR_N2at6native12_GLOBAL__N_18offset_tEEE10hipError_tPvRmT1_PNSt15iterator_traitsISZ_E10value_typeET2_T3_PNS10_IS15_E10value_typeET4_jRbjT5_S1B_jjP12ihipStream_tbEUljE_ZNSN_ISO_Lb1ESQ_SR_SQ_SR_SV_EESW_SX_SY_SZ_S13_S14_S15_S18_S19_jS1A_jS1B_S1B_jjS1D_bEUljE0_EEESW_SX_SY_S15_S19_S1B_T6_T7_T9_mT8_S1D_bDpT10_ENKUlT_T0_E_clISt17integral_constantIbLb0EES1Q_IbLb1EEEEDaS1M_S1N_EUlS1M_E_NS1_11comp_targetILNS1_3genE4ELNS1_11target_archE910ELNS1_3gpuE8ELNS1_3repE0EEENS1_30default_config_static_selectorELNS0_4arch9wavefront6targetE1EEEvSZ_,comdat
.Lfunc_end666:
	.size	_ZN7rocprim17ROCPRIM_400000_NS6detail17trampoline_kernelINS0_13select_configILj256ELj13ELNS0_17block_load_methodE3ELS4_3ELS4_3ELNS0_20block_scan_algorithmE0ELj4294967295EEENS1_25partition_config_selectorILNS1_17partition_subalgoE4EjNS0_10empty_typeEbEEZZNS1_14partition_implILS8_4ELb0ES6_15HIP_vector_typeIjLj2EENS0_17counting_iteratorIjlEEPS9_SG_NS0_5tupleIJPjSI_NS0_16reverse_iteratorISI_EEEEENSH_IJSG_SG_SG_EEES9_SI_JZNS1_25segmented_radix_sort_implINS0_14default_configELb1EPKlPlSQ_SR_N2at6native12_GLOBAL__N_18offset_tEEE10hipError_tPvRmT1_PNSt15iterator_traitsISZ_E10value_typeET2_T3_PNS10_IS15_E10value_typeET4_jRbjT5_S1B_jjP12ihipStream_tbEUljE_ZNSN_ISO_Lb1ESQ_SR_SQ_SR_SV_EESW_SX_SY_SZ_S13_S14_S15_S18_S19_jS1A_jS1B_S1B_jjS1D_bEUljE0_EEESW_SX_SY_S15_S19_S1B_T6_T7_T9_mT8_S1D_bDpT10_ENKUlT_T0_E_clISt17integral_constantIbLb0EES1Q_IbLb1EEEEDaS1M_S1N_EUlS1M_E_NS1_11comp_targetILNS1_3genE4ELNS1_11target_archE910ELNS1_3gpuE8ELNS1_3repE0EEENS1_30default_config_static_selectorELNS0_4arch9wavefront6targetE1EEEvSZ_, .Lfunc_end666-_ZN7rocprim17ROCPRIM_400000_NS6detail17trampoline_kernelINS0_13select_configILj256ELj13ELNS0_17block_load_methodE3ELS4_3ELS4_3ELNS0_20block_scan_algorithmE0ELj4294967295EEENS1_25partition_config_selectorILNS1_17partition_subalgoE4EjNS0_10empty_typeEbEEZZNS1_14partition_implILS8_4ELb0ES6_15HIP_vector_typeIjLj2EENS0_17counting_iteratorIjlEEPS9_SG_NS0_5tupleIJPjSI_NS0_16reverse_iteratorISI_EEEEENSH_IJSG_SG_SG_EEES9_SI_JZNS1_25segmented_radix_sort_implINS0_14default_configELb1EPKlPlSQ_SR_N2at6native12_GLOBAL__N_18offset_tEEE10hipError_tPvRmT1_PNSt15iterator_traitsISZ_E10value_typeET2_T3_PNS10_IS15_E10value_typeET4_jRbjT5_S1B_jjP12ihipStream_tbEUljE_ZNSN_ISO_Lb1ESQ_SR_SQ_SR_SV_EESW_SX_SY_SZ_S13_S14_S15_S18_S19_jS1A_jS1B_S1B_jjS1D_bEUljE0_EEESW_SX_SY_S15_S19_S1B_T6_T7_T9_mT8_S1D_bDpT10_ENKUlT_T0_E_clISt17integral_constantIbLb0EES1Q_IbLb1EEEEDaS1M_S1N_EUlS1M_E_NS1_11comp_targetILNS1_3genE4ELNS1_11target_archE910ELNS1_3gpuE8ELNS1_3repE0EEENS1_30default_config_static_selectorELNS0_4arch9wavefront6targetE1EEEvSZ_
                                        ; -- End function
	.section	.AMDGPU.csdata,"",@progbits
; Kernel info:
; codeLenInByte = 13432
; NumSgprs: 91
; NumVgprs: 107
; NumAgprs: 0
; TotalNumVgprs: 107
; ScratchSize: 0
; MemoryBound: 0
; FloatMode: 240
; IeeeMode: 1
; LDSByteSize: 13340 bytes/workgroup (compile time only)
; SGPRBlocks: 11
; VGPRBlocks: 13
; NumSGPRsForWavesPerEU: 91
; NumVGPRsForWavesPerEU: 107
; AccumOffset: 108
; Occupancy: 4
; WaveLimiterHint : 1
; COMPUTE_PGM_RSRC2:SCRATCH_EN: 0
; COMPUTE_PGM_RSRC2:USER_SGPR: 6
; COMPUTE_PGM_RSRC2:TRAP_HANDLER: 0
; COMPUTE_PGM_RSRC2:TGID_X_EN: 1
; COMPUTE_PGM_RSRC2:TGID_Y_EN: 0
; COMPUTE_PGM_RSRC2:TGID_Z_EN: 0
; COMPUTE_PGM_RSRC2:TIDIG_COMP_CNT: 0
; COMPUTE_PGM_RSRC3_GFX90A:ACCUM_OFFSET: 26
; COMPUTE_PGM_RSRC3_GFX90A:TG_SPLIT: 0
	.section	.text._ZN7rocprim17ROCPRIM_400000_NS6detail17trampoline_kernelINS0_13select_configILj256ELj13ELNS0_17block_load_methodE3ELS4_3ELS4_3ELNS0_20block_scan_algorithmE0ELj4294967295EEENS1_25partition_config_selectorILNS1_17partition_subalgoE4EjNS0_10empty_typeEbEEZZNS1_14partition_implILS8_4ELb0ES6_15HIP_vector_typeIjLj2EENS0_17counting_iteratorIjlEEPS9_SG_NS0_5tupleIJPjSI_NS0_16reverse_iteratorISI_EEEEENSH_IJSG_SG_SG_EEES9_SI_JZNS1_25segmented_radix_sort_implINS0_14default_configELb1EPKlPlSQ_SR_N2at6native12_GLOBAL__N_18offset_tEEE10hipError_tPvRmT1_PNSt15iterator_traitsISZ_E10value_typeET2_T3_PNS10_IS15_E10value_typeET4_jRbjT5_S1B_jjP12ihipStream_tbEUljE_ZNSN_ISO_Lb1ESQ_SR_SQ_SR_SV_EESW_SX_SY_SZ_S13_S14_S15_S18_S19_jS1A_jS1B_S1B_jjS1D_bEUljE0_EEESW_SX_SY_S15_S19_S1B_T6_T7_T9_mT8_S1D_bDpT10_ENKUlT_T0_E_clISt17integral_constantIbLb0EES1Q_IbLb1EEEEDaS1M_S1N_EUlS1M_E_NS1_11comp_targetILNS1_3genE3ELNS1_11target_archE908ELNS1_3gpuE7ELNS1_3repE0EEENS1_30default_config_static_selectorELNS0_4arch9wavefront6targetE1EEEvSZ_,"axG",@progbits,_ZN7rocprim17ROCPRIM_400000_NS6detail17trampoline_kernelINS0_13select_configILj256ELj13ELNS0_17block_load_methodE3ELS4_3ELS4_3ELNS0_20block_scan_algorithmE0ELj4294967295EEENS1_25partition_config_selectorILNS1_17partition_subalgoE4EjNS0_10empty_typeEbEEZZNS1_14partition_implILS8_4ELb0ES6_15HIP_vector_typeIjLj2EENS0_17counting_iteratorIjlEEPS9_SG_NS0_5tupleIJPjSI_NS0_16reverse_iteratorISI_EEEEENSH_IJSG_SG_SG_EEES9_SI_JZNS1_25segmented_radix_sort_implINS0_14default_configELb1EPKlPlSQ_SR_N2at6native12_GLOBAL__N_18offset_tEEE10hipError_tPvRmT1_PNSt15iterator_traitsISZ_E10value_typeET2_T3_PNS10_IS15_E10value_typeET4_jRbjT5_S1B_jjP12ihipStream_tbEUljE_ZNSN_ISO_Lb1ESQ_SR_SQ_SR_SV_EESW_SX_SY_SZ_S13_S14_S15_S18_S19_jS1A_jS1B_S1B_jjS1D_bEUljE0_EEESW_SX_SY_S15_S19_S1B_T6_T7_T9_mT8_S1D_bDpT10_ENKUlT_T0_E_clISt17integral_constantIbLb0EES1Q_IbLb1EEEEDaS1M_S1N_EUlS1M_E_NS1_11comp_targetILNS1_3genE3ELNS1_11target_archE908ELNS1_3gpuE7ELNS1_3repE0EEENS1_30default_config_static_selectorELNS0_4arch9wavefront6targetE1EEEvSZ_,comdat
	.globl	_ZN7rocprim17ROCPRIM_400000_NS6detail17trampoline_kernelINS0_13select_configILj256ELj13ELNS0_17block_load_methodE3ELS4_3ELS4_3ELNS0_20block_scan_algorithmE0ELj4294967295EEENS1_25partition_config_selectorILNS1_17partition_subalgoE4EjNS0_10empty_typeEbEEZZNS1_14partition_implILS8_4ELb0ES6_15HIP_vector_typeIjLj2EENS0_17counting_iteratorIjlEEPS9_SG_NS0_5tupleIJPjSI_NS0_16reverse_iteratorISI_EEEEENSH_IJSG_SG_SG_EEES9_SI_JZNS1_25segmented_radix_sort_implINS0_14default_configELb1EPKlPlSQ_SR_N2at6native12_GLOBAL__N_18offset_tEEE10hipError_tPvRmT1_PNSt15iterator_traitsISZ_E10value_typeET2_T3_PNS10_IS15_E10value_typeET4_jRbjT5_S1B_jjP12ihipStream_tbEUljE_ZNSN_ISO_Lb1ESQ_SR_SQ_SR_SV_EESW_SX_SY_SZ_S13_S14_S15_S18_S19_jS1A_jS1B_S1B_jjS1D_bEUljE0_EEESW_SX_SY_S15_S19_S1B_T6_T7_T9_mT8_S1D_bDpT10_ENKUlT_T0_E_clISt17integral_constantIbLb0EES1Q_IbLb1EEEEDaS1M_S1N_EUlS1M_E_NS1_11comp_targetILNS1_3genE3ELNS1_11target_archE908ELNS1_3gpuE7ELNS1_3repE0EEENS1_30default_config_static_selectorELNS0_4arch9wavefront6targetE1EEEvSZ_ ; -- Begin function _ZN7rocprim17ROCPRIM_400000_NS6detail17trampoline_kernelINS0_13select_configILj256ELj13ELNS0_17block_load_methodE3ELS4_3ELS4_3ELNS0_20block_scan_algorithmE0ELj4294967295EEENS1_25partition_config_selectorILNS1_17partition_subalgoE4EjNS0_10empty_typeEbEEZZNS1_14partition_implILS8_4ELb0ES6_15HIP_vector_typeIjLj2EENS0_17counting_iteratorIjlEEPS9_SG_NS0_5tupleIJPjSI_NS0_16reverse_iteratorISI_EEEEENSH_IJSG_SG_SG_EEES9_SI_JZNS1_25segmented_radix_sort_implINS0_14default_configELb1EPKlPlSQ_SR_N2at6native12_GLOBAL__N_18offset_tEEE10hipError_tPvRmT1_PNSt15iterator_traitsISZ_E10value_typeET2_T3_PNS10_IS15_E10value_typeET4_jRbjT5_S1B_jjP12ihipStream_tbEUljE_ZNSN_ISO_Lb1ESQ_SR_SQ_SR_SV_EESW_SX_SY_SZ_S13_S14_S15_S18_S19_jS1A_jS1B_S1B_jjS1D_bEUljE0_EEESW_SX_SY_S15_S19_S1B_T6_T7_T9_mT8_S1D_bDpT10_ENKUlT_T0_E_clISt17integral_constantIbLb0EES1Q_IbLb1EEEEDaS1M_S1N_EUlS1M_E_NS1_11comp_targetILNS1_3genE3ELNS1_11target_archE908ELNS1_3gpuE7ELNS1_3repE0EEENS1_30default_config_static_selectorELNS0_4arch9wavefront6targetE1EEEvSZ_
	.p2align	8
	.type	_ZN7rocprim17ROCPRIM_400000_NS6detail17trampoline_kernelINS0_13select_configILj256ELj13ELNS0_17block_load_methodE3ELS4_3ELS4_3ELNS0_20block_scan_algorithmE0ELj4294967295EEENS1_25partition_config_selectorILNS1_17partition_subalgoE4EjNS0_10empty_typeEbEEZZNS1_14partition_implILS8_4ELb0ES6_15HIP_vector_typeIjLj2EENS0_17counting_iteratorIjlEEPS9_SG_NS0_5tupleIJPjSI_NS0_16reverse_iteratorISI_EEEEENSH_IJSG_SG_SG_EEES9_SI_JZNS1_25segmented_radix_sort_implINS0_14default_configELb1EPKlPlSQ_SR_N2at6native12_GLOBAL__N_18offset_tEEE10hipError_tPvRmT1_PNSt15iterator_traitsISZ_E10value_typeET2_T3_PNS10_IS15_E10value_typeET4_jRbjT5_S1B_jjP12ihipStream_tbEUljE_ZNSN_ISO_Lb1ESQ_SR_SQ_SR_SV_EESW_SX_SY_SZ_S13_S14_S15_S18_S19_jS1A_jS1B_S1B_jjS1D_bEUljE0_EEESW_SX_SY_S15_S19_S1B_T6_T7_T9_mT8_S1D_bDpT10_ENKUlT_T0_E_clISt17integral_constantIbLb0EES1Q_IbLb1EEEEDaS1M_S1N_EUlS1M_E_NS1_11comp_targetILNS1_3genE3ELNS1_11target_archE908ELNS1_3gpuE7ELNS1_3repE0EEENS1_30default_config_static_selectorELNS0_4arch9wavefront6targetE1EEEvSZ_,@function
_ZN7rocprim17ROCPRIM_400000_NS6detail17trampoline_kernelINS0_13select_configILj256ELj13ELNS0_17block_load_methodE3ELS4_3ELS4_3ELNS0_20block_scan_algorithmE0ELj4294967295EEENS1_25partition_config_selectorILNS1_17partition_subalgoE4EjNS0_10empty_typeEbEEZZNS1_14partition_implILS8_4ELb0ES6_15HIP_vector_typeIjLj2EENS0_17counting_iteratorIjlEEPS9_SG_NS0_5tupleIJPjSI_NS0_16reverse_iteratorISI_EEEEENSH_IJSG_SG_SG_EEES9_SI_JZNS1_25segmented_radix_sort_implINS0_14default_configELb1EPKlPlSQ_SR_N2at6native12_GLOBAL__N_18offset_tEEE10hipError_tPvRmT1_PNSt15iterator_traitsISZ_E10value_typeET2_T3_PNS10_IS15_E10value_typeET4_jRbjT5_S1B_jjP12ihipStream_tbEUljE_ZNSN_ISO_Lb1ESQ_SR_SQ_SR_SV_EESW_SX_SY_SZ_S13_S14_S15_S18_S19_jS1A_jS1B_S1B_jjS1D_bEUljE0_EEESW_SX_SY_S15_S19_S1B_T6_T7_T9_mT8_S1D_bDpT10_ENKUlT_T0_E_clISt17integral_constantIbLb0EES1Q_IbLb1EEEEDaS1M_S1N_EUlS1M_E_NS1_11comp_targetILNS1_3genE3ELNS1_11target_archE908ELNS1_3gpuE7ELNS1_3repE0EEENS1_30default_config_static_selectorELNS0_4arch9wavefront6targetE1EEEvSZ_: ; @_ZN7rocprim17ROCPRIM_400000_NS6detail17trampoline_kernelINS0_13select_configILj256ELj13ELNS0_17block_load_methodE3ELS4_3ELS4_3ELNS0_20block_scan_algorithmE0ELj4294967295EEENS1_25partition_config_selectorILNS1_17partition_subalgoE4EjNS0_10empty_typeEbEEZZNS1_14partition_implILS8_4ELb0ES6_15HIP_vector_typeIjLj2EENS0_17counting_iteratorIjlEEPS9_SG_NS0_5tupleIJPjSI_NS0_16reverse_iteratorISI_EEEEENSH_IJSG_SG_SG_EEES9_SI_JZNS1_25segmented_radix_sort_implINS0_14default_configELb1EPKlPlSQ_SR_N2at6native12_GLOBAL__N_18offset_tEEE10hipError_tPvRmT1_PNSt15iterator_traitsISZ_E10value_typeET2_T3_PNS10_IS15_E10value_typeET4_jRbjT5_S1B_jjP12ihipStream_tbEUljE_ZNSN_ISO_Lb1ESQ_SR_SQ_SR_SV_EESW_SX_SY_SZ_S13_S14_S15_S18_S19_jS1A_jS1B_S1B_jjS1D_bEUljE0_EEESW_SX_SY_S15_S19_S1B_T6_T7_T9_mT8_S1D_bDpT10_ENKUlT_T0_E_clISt17integral_constantIbLb0EES1Q_IbLb1EEEEDaS1M_S1N_EUlS1M_E_NS1_11comp_targetILNS1_3genE3ELNS1_11target_archE908ELNS1_3gpuE7ELNS1_3repE0EEENS1_30default_config_static_selectorELNS0_4arch9wavefront6targetE1EEEvSZ_
; %bb.0:
	.section	.rodata,"a",@progbits
	.p2align	6, 0x0
	.amdhsa_kernel _ZN7rocprim17ROCPRIM_400000_NS6detail17trampoline_kernelINS0_13select_configILj256ELj13ELNS0_17block_load_methodE3ELS4_3ELS4_3ELNS0_20block_scan_algorithmE0ELj4294967295EEENS1_25partition_config_selectorILNS1_17partition_subalgoE4EjNS0_10empty_typeEbEEZZNS1_14partition_implILS8_4ELb0ES6_15HIP_vector_typeIjLj2EENS0_17counting_iteratorIjlEEPS9_SG_NS0_5tupleIJPjSI_NS0_16reverse_iteratorISI_EEEEENSH_IJSG_SG_SG_EEES9_SI_JZNS1_25segmented_radix_sort_implINS0_14default_configELb1EPKlPlSQ_SR_N2at6native12_GLOBAL__N_18offset_tEEE10hipError_tPvRmT1_PNSt15iterator_traitsISZ_E10value_typeET2_T3_PNS10_IS15_E10value_typeET4_jRbjT5_S1B_jjP12ihipStream_tbEUljE_ZNSN_ISO_Lb1ESQ_SR_SQ_SR_SV_EESW_SX_SY_SZ_S13_S14_S15_S18_S19_jS1A_jS1B_S1B_jjS1D_bEUljE0_EEESW_SX_SY_S15_S19_S1B_T6_T7_T9_mT8_S1D_bDpT10_ENKUlT_T0_E_clISt17integral_constantIbLb0EES1Q_IbLb1EEEEDaS1M_S1N_EUlS1M_E_NS1_11comp_targetILNS1_3genE3ELNS1_11target_archE908ELNS1_3gpuE7ELNS1_3repE0EEENS1_30default_config_static_selectorELNS0_4arch9wavefront6targetE1EEEvSZ_
		.amdhsa_group_segment_fixed_size 0
		.amdhsa_private_segment_fixed_size 0
		.amdhsa_kernarg_size 184
		.amdhsa_user_sgpr_count 6
		.amdhsa_user_sgpr_private_segment_buffer 1
		.amdhsa_user_sgpr_dispatch_ptr 0
		.amdhsa_user_sgpr_queue_ptr 0
		.amdhsa_user_sgpr_kernarg_segment_ptr 1
		.amdhsa_user_sgpr_dispatch_id 0
		.amdhsa_user_sgpr_flat_scratch_init 0
		.amdhsa_user_sgpr_kernarg_preload_length 0
		.amdhsa_user_sgpr_kernarg_preload_offset 0
		.amdhsa_user_sgpr_private_segment_size 0
		.amdhsa_uses_dynamic_stack 0
		.amdhsa_system_sgpr_private_segment_wavefront_offset 0
		.amdhsa_system_sgpr_workgroup_id_x 1
		.amdhsa_system_sgpr_workgroup_id_y 0
		.amdhsa_system_sgpr_workgroup_id_z 0
		.amdhsa_system_sgpr_workgroup_info 0
		.amdhsa_system_vgpr_workitem_id 0
		.amdhsa_next_free_vgpr 1
		.amdhsa_next_free_sgpr 0
		.amdhsa_accum_offset 4
		.amdhsa_reserve_vcc 0
		.amdhsa_reserve_flat_scratch 0
		.amdhsa_float_round_mode_32 0
		.amdhsa_float_round_mode_16_64 0
		.amdhsa_float_denorm_mode_32 3
		.amdhsa_float_denorm_mode_16_64 3
		.amdhsa_dx10_clamp 1
		.amdhsa_ieee_mode 1
		.amdhsa_fp16_overflow 0
		.amdhsa_tg_split 0
		.amdhsa_exception_fp_ieee_invalid_op 0
		.amdhsa_exception_fp_denorm_src 0
		.amdhsa_exception_fp_ieee_div_zero 0
		.amdhsa_exception_fp_ieee_overflow 0
		.amdhsa_exception_fp_ieee_underflow 0
		.amdhsa_exception_fp_ieee_inexact 0
		.amdhsa_exception_int_div_zero 0
	.end_amdhsa_kernel
	.section	.text._ZN7rocprim17ROCPRIM_400000_NS6detail17trampoline_kernelINS0_13select_configILj256ELj13ELNS0_17block_load_methodE3ELS4_3ELS4_3ELNS0_20block_scan_algorithmE0ELj4294967295EEENS1_25partition_config_selectorILNS1_17partition_subalgoE4EjNS0_10empty_typeEbEEZZNS1_14partition_implILS8_4ELb0ES6_15HIP_vector_typeIjLj2EENS0_17counting_iteratorIjlEEPS9_SG_NS0_5tupleIJPjSI_NS0_16reverse_iteratorISI_EEEEENSH_IJSG_SG_SG_EEES9_SI_JZNS1_25segmented_radix_sort_implINS0_14default_configELb1EPKlPlSQ_SR_N2at6native12_GLOBAL__N_18offset_tEEE10hipError_tPvRmT1_PNSt15iterator_traitsISZ_E10value_typeET2_T3_PNS10_IS15_E10value_typeET4_jRbjT5_S1B_jjP12ihipStream_tbEUljE_ZNSN_ISO_Lb1ESQ_SR_SQ_SR_SV_EESW_SX_SY_SZ_S13_S14_S15_S18_S19_jS1A_jS1B_S1B_jjS1D_bEUljE0_EEESW_SX_SY_S15_S19_S1B_T6_T7_T9_mT8_S1D_bDpT10_ENKUlT_T0_E_clISt17integral_constantIbLb0EES1Q_IbLb1EEEEDaS1M_S1N_EUlS1M_E_NS1_11comp_targetILNS1_3genE3ELNS1_11target_archE908ELNS1_3gpuE7ELNS1_3repE0EEENS1_30default_config_static_selectorELNS0_4arch9wavefront6targetE1EEEvSZ_,"axG",@progbits,_ZN7rocprim17ROCPRIM_400000_NS6detail17trampoline_kernelINS0_13select_configILj256ELj13ELNS0_17block_load_methodE3ELS4_3ELS4_3ELNS0_20block_scan_algorithmE0ELj4294967295EEENS1_25partition_config_selectorILNS1_17partition_subalgoE4EjNS0_10empty_typeEbEEZZNS1_14partition_implILS8_4ELb0ES6_15HIP_vector_typeIjLj2EENS0_17counting_iteratorIjlEEPS9_SG_NS0_5tupleIJPjSI_NS0_16reverse_iteratorISI_EEEEENSH_IJSG_SG_SG_EEES9_SI_JZNS1_25segmented_radix_sort_implINS0_14default_configELb1EPKlPlSQ_SR_N2at6native12_GLOBAL__N_18offset_tEEE10hipError_tPvRmT1_PNSt15iterator_traitsISZ_E10value_typeET2_T3_PNS10_IS15_E10value_typeET4_jRbjT5_S1B_jjP12ihipStream_tbEUljE_ZNSN_ISO_Lb1ESQ_SR_SQ_SR_SV_EESW_SX_SY_SZ_S13_S14_S15_S18_S19_jS1A_jS1B_S1B_jjS1D_bEUljE0_EEESW_SX_SY_S15_S19_S1B_T6_T7_T9_mT8_S1D_bDpT10_ENKUlT_T0_E_clISt17integral_constantIbLb0EES1Q_IbLb1EEEEDaS1M_S1N_EUlS1M_E_NS1_11comp_targetILNS1_3genE3ELNS1_11target_archE908ELNS1_3gpuE7ELNS1_3repE0EEENS1_30default_config_static_selectorELNS0_4arch9wavefront6targetE1EEEvSZ_,comdat
.Lfunc_end667:
	.size	_ZN7rocprim17ROCPRIM_400000_NS6detail17trampoline_kernelINS0_13select_configILj256ELj13ELNS0_17block_load_methodE3ELS4_3ELS4_3ELNS0_20block_scan_algorithmE0ELj4294967295EEENS1_25partition_config_selectorILNS1_17partition_subalgoE4EjNS0_10empty_typeEbEEZZNS1_14partition_implILS8_4ELb0ES6_15HIP_vector_typeIjLj2EENS0_17counting_iteratorIjlEEPS9_SG_NS0_5tupleIJPjSI_NS0_16reverse_iteratorISI_EEEEENSH_IJSG_SG_SG_EEES9_SI_JZNS1_25segmented_radix_sort_implINS0_14default_configELb1EPKlPlSQ_SR_N2at6native12_GLOBAL__N_18offset_tEEE10hipError_tPvRmT1_PNSt15iterator_traitsISZ_E10value_typeET2_T3_PNS10_IS15_E10value_typeET4_jRbjT5_S1B_jjP12ihipStream_tbEUljE_ZNSN_ISO_Lb1ESQ_SR_SQ_SR_SV_EESW_SX_SY_SZ_S13_S14_S15_S18_S19_jS1A_jS1B_S1B_jjS1D_bEUljE0_EEESW_SX_SY_S15_S19_S1B_T6_T7_T9_mT8_S1D_bDpT10_ENKUlT_T0_E_clISt17integral_constantIbLb0EES1Q_IbLb1EEEEDaS1M_S1N_EUlS1M_E_NS1_11comp_targetILNS1_3genE3ELNS1_11target_archE908ELNS1_3gpuE7ELNS1_3repE0EEENS1_30default_config_static_selectorELNS0_4arch9wavefront6targetE1EEEvSZ_, .Lfunc_end667-_ZN7rocprim17ROCPRIM_400000_NS6detail17trampoline_kernelINS0_13select_configILj256ELj13ELNS0_17block_load_methodE3ELS4_3ELS4_3ELNS0_20block_scan_algorithmE0ELj4294967295EEENS1_25partition_config_selectorILNS1_17partition_subalgoE4EjNS0_10empty_typeEbEEZZNS1_14partition_implILS8_4ELb0ES6_15HIP_vector_typeIjLj2EENS0_17counting_iteratorIjlEEPS9_SG_NS0_5tupleIJPjSI_NS0_16reverse_iteratorISI_EEEEENSH_IJSG_SG_SG_EEES9_SI_JZNS1_25segmented_radix_sort_implINS0_14default_configELb1EPKlPlSQ_SR_N2at6native12_GLOBAL__N_18offset_tEEE10hipError_tPvRmT1_PNSt15iterator_traitsISZ_E10value_typeET2_T3_PNS10_IS15_E10value_typeET4_jRbjT5_S1B_jjP12ihipStream_tbEUljE_ZNSN_ISO_Lb1ESQ_SR_SQ_SR_SV_EESW_SX_SY_SZ_S13_S14_S15_S18_S19_jS1A_jS1B_S1B_jjS1D_bEUljE0_EEESW_SX_SY_S15_S19_S1B_T6_T7_T9_mT8_S1D_bDpT10_ENKUlT_T0_E_clISt17integral_constantIbLb0EES1Q_IbLb1EEEEDaS1M_S1N_EUlS1M_E_NS1_11comp_targetILNS1_3genE3ELNS1_11target_archE908ELNS1_3gpuE7ELNS1_3repE0EEENS1_30default_config_static_selectorELNS0_4arch9wavefront6targetE1EEEvSZ_
                                        ; -- End function
	.section	.AMDGPU.csdata,"",@progbits
; Kernel info:
; codeLenInByte = 0
; NumSgprs: 4
; NumVgprs: 0
; NumAgprs: 0
; TotalNumVgprs: 0
; ScratchSize: 0
; MemoryBound: 0
; FloatMode: 240
; IeeeMode: 1
; LDSByteSize: 0 bytes/workgroup (compile time only)
; SGPRBlocks: 0
; VGPRBlocks: 0
; NumSGPRsForWavesPerEU: 4
; NumVGPRsForWavesPerEU: 1
; AccumOffset: 4
; Occupancy: 8
; WaveLimiterHint : 0
; COMPUTE_PGM_RSRC2:SCRATCH_EN: 0
; COMPUTE_PGM_RSRC2:USER_SGPR: 6
; COMPUTE_PGM_RSRC2:TRAP_HANDLER: 0
; COMPUTE_PGM_RSRC2:TGID_X_EN: 1
; COMPUTE_PGM_RSRC2:TGID_Y_EN: 0
; COMPUTE_PGM_RSRC2:TGID_Z_EN: 0
; COMPUTE_PGM_RSRC2:TIDIG_COMP_CNT: 0
; COMPUTE_PGM_RSRC3_GFX90A:ACCUM_OFFSET: 0
; COMPUTE_PGM_RSRC3_GFX90A:TG_SPLIT: 0
	.section	.text._ZN7rocprim17ROCPRIM_400000_NS6detail17trampoline_kernelINS0_13select_configILj256ELj13ELNS0_17block_load_methodE3ELS4_3ELS4_3ELNS0_20block_scan_algorithmE0ELj4294967295EEENS1_25partition_config_selectorILNS1_17partition_subalgoE4EjNS0_10empty_typeEbEEZZNS1_14partition_implILS8_4ELb0ES6_15HIP_vector_typeIjLj2EENS0_17counting_iteratorIjlEEPS9_SG_NS0_5tupleIJPjSI_NS0_16reverse_iteratorISI_EEEEENSH_IJSG_SG_SG_EEES9_SI_JZNS1_25segmented_radix_sort_implINS0_14default_configELb1EPKlPlSQ_SR_N2at6native12_GLOBAL__N_18offset_tEEE10hipError_tPvRmT1_PNSt15iterator_traitsISZ_E10value_typeET2_T3_PNS10_IS15_E10value_typeET4_jRbjT5_S1B_jjP12ihipStream_tbEUljE_ZNSN_ISO_Lb1ESQ_SR_SQ_SR_SV_EESW_SX_SY_SZ_S13_S14_S15_S18_S19_jS1A_jS1B_S1B_jjS1D_bEUljE0_EEESW_SX_SY_S15_S19_S1B_T6_T7_T9_mT8_S1D_bDpT10_ENKUlT_T0_E_clISt17integral_constantIbLb0EES1Q_IbLb1EEEEDaS1M_S1N_EUlS1M_E_NS1_11comp_targetILNS1_3genE2ELNS1_11target_archE906ELNS1_3gpuE6ELNS1_3repE0EEENS1_30default_config_static_selectorELNS0_4arch9wavefront6targetE1EEEvSZ_,"axG",@progbits,_ZN7rocprim17ROCPRIM_400000_NS6detail17trampoline_kernelINS0_13select_configILj256ELj13ELNS0_17block_load_methodE3ELS4_3ELS4_3ELNS0_20block_scan_algorithmE0ELj4294967295EEENS1_25partition_config_selectorILNS1_17partition_subalgoE4EjNS0_10empty_typeEbEEZZNS1_14partition_implILS8_4ELb0ES6_15HIP_vector_typeIjLj2EENS0_17counting_iteratorIjlEEPS9_SG_NS0_5tupleIJPjSI_NS0_16reverse_iteratorISI_EEEEENSH_IJSG_SG_SG_EEES9_SI_JZNS1_25segmented_radix_sort_implINS0_14default_configELb1EPKlPlSQ_SR_N2at6native12_GLOBAL__N_18offset_tEEE10hipError_tPvRmT1_PNSt15iterator_traitsISZ_E10value_typeET2_T3_PNS10_IS15_E10value_typeET4_jRbjT5_S1B_jjP12ihipStream_tbEUljE_ZNSN_ISO_Lb1ESQ_SR_SQ_SR_SV_EESW_SX_SY_SZ_S13_S14_S15_S18_S19_jS1A_jS1B_S1B_jjS1D_bEUljE0_EEESW_SX_SY_S15_S19_S1B_T6_T7_T9_mT8_S1D_bDpT10_ENKUlT_T0_E_clISt17integral_constantIbLb0EES1Q_IbLb1EEEEDaS1M_S1N_EUlS1M_E_NS1_11comp_targetILNS1_3genE2ELNS1_11target_archE906ELNS1_3gpuE6ELNS1_3repE0EEENS1_30default_config_static_selectorELNS0_4arch9wavefront6targetE1EEEvSZ_,comdat
	.globl	_ZN7rocprim17ROCPRIM_400000_NS6detail17trampoline_kernelINS0_13select_configILj256ELj13ELNS0_17block_load_methodE3ELS4_3ELS4_3ELNS0_20block_scan_algorithmE0ELj4294967295EEENS1_25partition_config_selectorILNS1_17partition_subalgoE4EjNS0_10empty_typeEbEEZZNS1_14partition_implILS8_4ELb0ES6_15HIP_vector_typeIjLj2EENS0_17counting_iteratorIjlEEPS9_SG_NS0_5tupleIJPjSI_NS0_16reverse_iteratorISI_EEEEENSH_IJSG_SG_SG_EEES9_SI_JZNS1_25segmented_radix_sort_implINS0_14default_configELb1EPKlPlSQ_SR_N2at6native12_GLOBAL__N_18offset_tEEE10hipError_tPvRmT1_PNSt15iterator_traitsISZ_E10value_typeET2_T3_PNS10_IS15_E10value_typeET4_jRbjT5_S1B_jjP12ihipStream_tbEUljE_ZNSN_ISO_Lb1ESQ_SR_SQ_SR_SV_EESW_SX_SY_SZ_S13_S14_S15_S18_S19_jS1A_jS1B_S1B_jjS1D_bEUljE0_EEESW_SX_SY_S15_S19_S1B_T6_T7_T9_mT8_S1D_bDpT10_ENKUlT_T0_E_clISt17integral_constantIbLb0EES1Q_IbLb1EEEEDaS1M_S1N_EUlS1M_E_NS1_11comp_targetILNS1_3genE2ELNS1_11target_archE906ELNS1_3gpuE6ELNS1_3repE0EEENS1_30default_config_static_selectorELNS0_4arch9wavefront6targetE1EEEvSZ_ ; -- Begin function _ZN7rocprim17ROCPRIM_400000_NS6detail17trampoline_kernelINS0_13select_configILj256ELj13ELNS0_17block_load_methodE3ELS4_3ELS4_3ELNS0_20block_scan_algorithmE0ELj4294967295EEENS1_25partition_config_selectorILNS1_17partition_subalgoE4EjNS0_10empty_typeEbEEZZNS1_14partition_implILS8_4ELb0ES6_15HIP_vector_typeIjLj2EENS0_17counting_iteratorIjlEEPS9_SG_NS0_5tupleIJPjSI_NS0_16reverse_iteratorISI_EEEEENSH_IJSG_SG_SG_EEES9_SI_JZNS1_25segmented_radix_sort_implINS0_14default_configELb1EPKlPlSQ_SR_N2at6native12_GLOBAL__N_18offset_tEEE10hipError_tPvRmT1_PNSt15iterator_traitsISZ_E10value_typeET2_T3_PNS10_IS15_E10value_typeET4_jRbjT5_S1B_jjP12ihipStream_tbEUljE_ZNSN_ISO_Lb1ESQ_SR_SQ_SR_SV_EESW_SX_SY_SZ_S13_S14_S15_S18_S19_jS1A_jS1B_S1B_jjS1D_bEUljE0_EEESW_SX_SY_S15_S19_S1B_T6_T7_T9_mT8_S1D_bDpT10_ENKUlT_T0_E_clISt17integral_constantIbLb0EES1Q_IbLb1EEEEDaS1M_S1N_EUlS1M_E_NS1_11comp_targetILNS1_3genE2ELNS1_11target_archE906ELNS1_3gpuE6ELNS1_3repE0EEENS1_30default_config_static_selectorELNS0_4arch9wavefront6targetE1EEEvSZ_
	.p2align	8
	.type	_ZN7rocprim17ROCPRIM_400000_NS6detail17trampoline_kernelINS0_13select_configILj256ELj13ELNS0_17block_load_methodE3ELS4_3ELS4_3ELNS0_20block_scan_algorithmE0ELj4294967295EEENS1_25partition_config_selectorILNS1_17partition_subalgoE4EjNS0_10empty_typeEbEEZZNS1_14partition_implILS8_4ELb0ES6_15HIP_vector_typeIjLj2EENS0_17counting_iteratorIjlEEPS9_SG_NS0_5tupleIJPjSI_NS0_16reverse_iteratorISI_EEEEENSH_IJSG_SG_SG_EEES9_SI_JZNS1_25segmented_radix_sort_implINS0_14default_configELb1EPKlPlSQ_SR_N2at6native12_GLOBAL__N_18offset_tEEE10hipError_tPvRmT1_PNSt15iterator_traitsISZ_E10value_typeET2_T3_PNS10_IS15_E10value_typeET4_jRbjT5_S1B_jjP12ihipStream_tbEUljE_ZNSN_ISO_Lb1ESQ_SR_SQ_SR_SV_EESW_SX_SY_SZ_S13_S14_S15_S18_S19_jS1A_jS1B_S1B_jjS1D_bEUljE0_EEESW_SX_SY_S15_S19_S1B_T6_T7_T9_mT8_S1D_bDpT10_ENKUlT_T0_E_clISt17integral_constantIbLb0EES1Q_IbLb1EEEEDaS1M_S1N_EUlS1M_E_NS1_11comp_targetILNS1_3genE2ELNS1_11target_archE906ELNS1_3gpuE6ELNS1_3repE0EEENS1_30default_config_static_selectorELNS0_4arch9wavefront6targetE1EEEvSZ_,@function
_ZN7rocprim17ROCPRIM_400000_NS6detail17trampoline_kernelINS0_13select_configILj256ELj13ELNS0_17block_load_methodE3ELS4_3ELS4_3ELNS0_20block_scan_algorithmE0ELj4294967295EEENS1_25partition_config_selectorILNS1_17partition_subalgoE4EjNS0_10empty_typeEbEEZZNS1_14partition_implILS8_4ELb0ES6_15HIP_vector_typeIjLj2EENS0_17counting_iteratorIjlEEPS9_SG_NS0_5tupleIJPjSI_NS0_16reverse_iteratorISI_EEEEENSH_IJSG_SG_SG_EEES9_SI_JZNS1_25segmented_radix_sort_implINS0_14default_configELb1EPKlPlSQ_SR_N2at6native12_GLOBAL__N_18offset_tEEE10hipError_tPvRmT1_PNSt15iterator_traitsISZ_E10value_typeET2_T3_PNS10_IS15_E10value_typeET4_jRbjT5_S1B_jjP12ihipStream_tbEUljE_ZNSN_ISO_Lb1ESQ_SR_SQ_SR_SV_EESW_SX_SY_SZ_S13_S14_S15_S18_S19_jS1A_jS1B_S1B_jjS1D_bEUljE0_EEESW_SX_SY_S15_S19_S1B_T6_T7_T9_mT8_S1D_bDpT10_ENKUlT_T0_E_clISt17integral_constantIbLb0EES1Q_IbLb1EEEEDaS1M_S1N_EUlS1M_E_NS1_11comp_targetILNS1_3genE2ELNS1_11target_archE906ELNS1_3gpuE6ELNS1_3repE0EEENS1_30default_config_static_selectorELNS0_4arch9wavefront6targetE1EEEvSZ_: ; @_ZN7rocprim17ROCPRIM_400000_NS6detail17trampoline_kernelINS0_13select_configILj256ELj13ELNS0_17block_load_methodE3ELS4_3ELS4_3ELNS0_20block_scan_algorithmE0ELj4294967295EEENS1_25partition_config_selectorILNS1_17partition_subalgoE4EjNS0_10empty_typeEbEEZZNS1_14partition_implILS8_4ELb0ES6_15HIP_vector_typeIjLj2EENS0_17counting_iteratorIjlEEPS9_SG_NS0_5tupleIJPjSI_NS0_16reverse_iteratorISI_EEEEENSH_IJSG_SG_SG_EEES9_SI_JZNS1_25segmented_radix_sort_implINS0_14default_configELb1EPKlPlSQ_SR_N2at6native12_GLOBAL__N_18offset_tEEE10hipError_tPvRmT1_PNSt15iterator_traitsISZ_E10value_typeET2_T3_PNS10_IS15_E10value_typeET4_jRbjT5_S1B_jjP12ihipStream_tbEUljE_ZNSN_ISO_Lb1ESQ_SR_SQ_SR_SV_EESW_SX_SY_SZ_S13_S14_S15_S18_S19_jS1A_jS1B_S1B_jjS1D_bEUljE0_EEESW_SX_SY_S15_S19_S1B_T6_T7_T9_mT8_S1D_bDpT10_ENKUlT_T0_E_clISt17integral_constantIbLb0EES1Q_IbLb1EEEEDaS1M_S1N_EUlS1M_E_NS1_11comp_targetILNS1_3genE2ELNS1_11target_archE906ELNS1_3gpuE6ELNS1_3repE0EEENS1_30default_config_static_selectorELNS0_4arch9wavefront6targetE1EEEvSZ_
; %bb.0:
	.section	.rodata,"a",@progbits
	.p2align	6, 0x0
	.amdhsa_kernel _ZN7rocprim17ROCPRIM_400000_NS6detail17trampoline_kernelINS0_13select_configILj256ELj13ELNS0_17block_load_methodE3ELS4_3ELS4_3ELNS0_20block_scan_algorithmE0ELj4294967295EEENS1_25partition_config_selectorILNS1_17partition_subalgoE4EjNS0_10empty_typeEbEEZZNS1_14partition_implILS8_4ELb0ES6_15HIP_vector_typeIjLj2EENS0_17counting_iteratorIjlEEPS9_SG_NS0_5tupleIJPjSI_NS0_16reverse_iteratorISI_EEEEENSH_IJSG_SG_SG_EEES9_SI_JZNS1_25segmented_radix_sort_implINS0_14default_configELb1EPKlPlSQ_SR_N2at6native12_GLOBAL__N_18offset_tEEE10hipError_tPvRmT1_PNSt15iterator_traitsISZ_E10value_typeET2_T3_PNS10_IS15_E10value_typeET4_jRbjT5_S1B_jjP12ihipStream_tbEUljE_ZNSN_ISO_Lb1ESQ_SR_SQ_SR_SV_EESW_SX_SY_SZ_S13_S14_S15_S18_S19_jS1A_jS1B_S1B_jjS1D_bEUljE0_EEESW_SX_SY_S15_S19_S1B_T6_T7_T9_mT8_S1D_bDpT10_ENKUlT_T0_E_clISt17integral_constantIbLb0EES1Q_IbLb1EEEEDaS1M_S1N_EUlS1M_E_NS1_11comp_targetILNS1_3genE2ELNS1_11target_archE906ELNS1_3gpuE6ELNS1_3repE0EEENS1_30default_config_static_selectorELNS0_4arch9wavefront6targetE1EEEvSZ_
		.amdhsa_group_segment_fixed_size 0
		.amdhsa_private_segment_fixed_size 0
		.amdhsa_kernarg_size 184
		.amdhsa_user_sgpr_count 6
		.amdhsa_user_sgpr_private_segment_buffer 1
		.amdhsa_user_sgpr_dispatch_ptr 0
		.amdhsa_user_sgpr_queue_ptr 0
		.amdhsa_user_sgpr_kernarg_segment_ptr 1
		.amdhsa_user_sgpr_dispatch_id 0
		.amdhsa_user_sgpr_flat_scratch_init 0
		.amdhsa_user_sgpr_kernarg_preload_length 0
		.amdhsa_user_sgpr_kernarg_preload_offset 0
		.amdhsa_user_sgpr_private_segment_size 0
		.amdhsa_uses_dynamic_stack 0
		.amdhsa_system_sgpr_private_segment_wavefront_offset 0
		.amdhsa_system_sgpr_workgroup_id_x 1
		.amdhsa_system_sgpr_workgroup_id_y 0
		.amdhsa_system_sgpr_workgroup_id_z 0
		.amdhsa_system_sgpr_workgroup_info 0
		.amdhsa_system_vgpr_workitem_id 0
		.amdhsa_next_free_vgpr 1
		.amdhsa_next_free_sgpr 0
		.amdhsa_accum_offset 4
		.amdhsa_reserve_vcc 0
		.amdhsa_reserve_flat_scratch 0
		.amdhsa_float_round_mode_32 0
		.amdhsa_float_round_mode_16_64 0
		.amdhsa_float_denorm_mode_32 3
		.amdhsa_float_denorm_mode_16_64 3
		.amdhsa_dx10_clamp 1
		.amdhsa_ieee_mode 1
		.amdhsa_fp16_overflow 0
		.amdhsa_tg_split 0
		.amdhsa_exception_fp_ieee_invalid_op 0
		.amdhsa_exception_fp_denorm_src 0
		.amdhsa_exception_fp_ieee_div_zero 0
		.amdhsa_exception_fp_ieee_overflow 0
		.amdhsa_exception_fp_ieee_underflow 0
		.amdhsa_exception_fp_ieee_inexact 0
		.amdhsa_exception_int_div_zero 0
	.end_amdhsa_kernel
	.section	.text._ZN7rocprim17ROCPRIM_400000_NS6detail17trampoline_kernelINS0_13select_configILj256ELj13ELNS0_17block_load_methodE3ELS4_3ELS4_3ELNS0_20block_scan_algorithmE0ELj4294967295EEENS1_25partition_config_selectorILNS1_17partition_subalgoE4EjNS0_10empty_typeEbEEZZNS1_14partition_implILS8_4ELb0ES6_15HIP_vector_typeIjLj2EENS0_17counting_iteratorIjlEEPS9_SG_NS0_5tupleIJPjSI_NS0_16reverse_iteratorISI_EEEEENSH_IJSG_SG_SG_EEES9_SI_JZNS1_25segmented_radix_sort_implINS0_14default_configELb1EPKlPlSQ_SR_N2at6native12_GLOBAL__N_18offset_tEEE10hipError_tPvRmT1_PNSt15iterator_traitsISZ_E10value_typeET2_T3_PNS10_IS15_E10value_typeET4_jRbjT5_S1B_jjP12ihipStream_tbEUljE_ZNSN_ISO_Lb1ESQ_SR_SQ_SR_SV_EESW_SX_SY_SZ_S13_S14_S15_S18_S19_jS1A_jS1B_S1B_jjS1D_bEUljE0_EEESW_SX_SY_S15_S19_S1B_T6_T7_T9_mT8_S1D_bDpT10_ENKUlT_T0_E_clISt17integral_constantIbLb0EES1Q_IbLb1EEEEDaS1M_S1N_EUlS1M_E_NS1_11comp_targetILNS1_3genE2ELNS1_11target_archE906ELNS1_3gpuE6ELNS1_3repE0EEENS1_30default_config_static_selectorELNS0_4arch9wavefront6targetE1EEEvSZ_,"axG",@progbits,_ZN7rocprim17ROCPRIM_400000_NS6detail17trampoline_kernelINS0_13select_configILj256ELj13ELNS0_17block_load_methodE3ELS4_3ELS4_3ELNS0_20block_scan_algorithmE0ELj4294967295EEENS1_25partition_config_selectorILNS1_17partition_subalgoE4EjNS0_10empty_typeEbEEZZNS1_14partition_implILS8_4ELb0ES6_15HIP_vector_typeIjLj2EENS0_17counting_iteratorIjlEEPS9_SG_NS0_5tupleIJPjSI_NS0_16reverse_iteratorISI_EEEEENSH_IJSG_SG_SG_EEES9_SI_JZNS1_25segmented_radix_sort_implINS0_14default_configELb1EPKlPlSQ_SR_N2at6native12_GLOBAL__N_18offset_tEEE10hipError_tPvRmT1_PNSt15iterator_traitsISZ_E10value_typeET2_T3_PNS10_IS15_E10value_typeET4_jRbjT5_S1B_jjP12ihipStream_tbEUljE_ZNSN_ISO_Lb1ESQ_SR_SQ_SR_SV_EESW_SX_SY_SZ_S13_S14_S15_S18_S19_jS1A_jS1B_S1B_jjS1D_bEUljE0_EEESW_SX_SY_S15_S19_S1B_T6_T7_T9_mT8_S1D_bDpT10_ENKUlT_T0_E_clISt17integral_constantIbLb0EES1Q_IbLb1EEEEDaS1M_S1N_EUlS1M_E_NS1_11comp_targetILNS1_3genE2ELNS1_11target_archE906ELNS1_3gpuE6ELNS1_3repE0EEENS1_30default_config_static_selectorELNS0_4arch9wavefront6targetE1EEEvSZ_,comdat
.Lfunc_end668:
	.size	_ZN7rocprim17ROCPRIM_400000_NS6detail17trampoline_kernelINS0_13select_configILj256ELj13ELNS0_17block_load_methodE3ELS4_3ELS4_3ELNS0_20block_scan_algorithmE0ELj4294967295EEENS1_25partition_config_selectorILNS1_17partition_subalgoE4EjNS0_10empty_typeEbEEZZNS1_14partition_implILS8_4ELb0ES6_15HIP_vector_typeIjLj2EENS0_17counting_iteratorIjlEEPS9_SG_NS0_5tupleIJPjSI_NS0_16reverse_iteratorISI_EEEEENSH_IJSG_SG_SG_EEES9_SI_JZNS1_25segmented_radix_sort_implINS0_14default_configELb1EPKlPlSQ_SR_N2at6native12_GLOBAL__N_18offset_tEEE10hipError_tPvRmT1_PNSt15iterator_traitsISZ_E10value_typeET2_T3_PNS10_IS15_E10value_typeET4_jRbjT5_S1B_jjP12ihipStream_tbEUljE_ZNSN_ISO_Lb1ESQ_SR_SQ_SR_SV_EESW_SX_SY_SZ_S13_S14_S15_S18_S19_jS1A_jS1B_S1B_jjS1D_bEUljE0_EEESW_SX_SY_S15_S19_S1B_T6_T7_T9_mT8_S1D_bDpT10_ENKUlT_T0_E_clISt17integral_constantIbLb0EES1Q_IbLb1EEEEDaS1M_S1N_EUlS1M_E_NS1_11comp_targetILNS1_3genE2ELNS1_11target_archE906ELNS1_3gpuE6ELNS1_3repE0EEENS1_30default_config_static_selectorELNS0_4arch9wavefront6targetE1EEEvSZ_, .Lfunc_end668-_ZN7rocprim17ROCPRIM_400000_NS6detail17trampoline_kernelINS0_13select_configILj256ELj13ELNS0_17block_load_methodE3ELS4_3ELS4_3ELNS0_20block_scan_algorithmE0ELj4294967295EEENS1_25partition_config_selectorILNS1_17partition_subalgoE4EjNS0_10empty_typeEbEEZZNS1_14partition_implILS8_4ELb0ES6_15HIP_vector_typeIjLj2EENS0_17counting_iteratorIjlEEPS9_SG_NS0_5tupleIJPjSI_NS0_16reverse_iteratorISI_EEEEENSH_IJSG_SG_SG_EEES9_SI_JZNS1_25segmented_radix_sort_implINS0_14default_configELb1EPKlPlSQ_SR_N2at6native12_GLOBAL__N_18offset_tEEE10hipError_tPvRmT1_PNSt15iterator_traitsISZ_E10value_typeET2_T3_PNS10_IS15_E10value_typeET4_jRbjT5_S1B_jjP12ihipStream_tbEUljE_ZNSN_ISO_Lb1ESQ_SR_SQ_SR_SV_EESW_SX_SY_SZ_S13_S14_S15_S18_S19_jS1A_jS1B_S1B_jjS1D_bEUljE0_EEESW_SX_SY_S15_S19_S1B_T6_T7_T9_mT8_S1D_bDpT10_ENKUlT_T0_E_clISt17integral_constantIbLb0EES1Q_IbLb1EEEEDaS1M_S1N_EUlS1M_E_NS1_11comp_targetILNS1_3genE2ELNS1_11target_archE906ELNS1_3gpuE6ELNS1_3repE0EEENS1_30default_config_static_selectorELNS0_4arch9wavefront6targetE1EEEvSZ_
                                        ; -- End function
	.section	.AMDGPU.csdata,"",@progbits
; Kernel info:
; codeLenInByte = 0
; NumSgprs: 4
; NumVgprs: 0
; NumAgprs: 0
; TotalNumVgprs: 0
; ScratchSize: 0
; MemoryBound: 0
; FloatMode: 240
; IeeeMode: 1
; LDSByteSize: 0 bytes/workgroup (compile time only)
; SGPRBlocks: 0
; VGPRBlocks: 0
; NumSGPRsForWavesPerEU: 4
; NumVGPRsForWavesPerEU: 1
; AccumOffset: 4
; Occupancy: 8
; WaveLimiterHint : 0
; COMPUTE_PGM_RSRC2:SCRATCH_EN: 0
; COMPUTE_PGM_RSRC2:USER_SGPR: 6
; COMPUTE_PGM_RSRC2:TRAP_HANDLER: 0
; COMPUTE_PGM_RSRC2:TGID_X_EN: 1
; COMPUTE_PGM_RSRC2:TGID_Y_EN: 0
; COMPUTE_PGM_RSRC2:TGID_Z_EN: 0
; COMPUTE_PGM_RSRC2:TIDIG_COMP_CNT: 0
; COMPUTE_PGM_RSRC3_GFX90A:ACCUM_OFFSET: 0
; COMPUTE_PGM_RSRC3_GFX90A:TG_SPLIT: 0
	.section	.text._ZN7rocprim17ROCPRIM_400000_NS6detail17trampoline_kernelINS0_13select_configILj256ELj13ELNS0_17block_load_methodE3ELS4_3ELS4_3ELNS0_20block_scan_algorithmE0ELj4294967295EEENS1_25partition_config_selectorILNS1_17partition_subalgoE4EjNS0_10empty_typeEbEEZZNS1_14partition_implILS8_4ELb0ES6_15HIP_vector_typeIjLj2EENS0_17counting_iteratorIjlEEPS9_SG_NS0_5tupleIJPjSI_NS0_16reverse_iteratorISI_EEEEENSH_IJSG_SG_SG_EEES9_SI_JZNS1_25segmented_radix_sort_implINS0_14default_configELb1EPKlPlSQ_SR_N2at6native12_GLOBAL__N_18offset_tEEE10hipError_tPvRmT1_PNSt15iterator_traitsISZ_E10value_typeET2_T3_PNS10_IS15_E10value_typeET4_jRbjT5_S1B_jjP12ihipStream_tbEUljE_ZNSN_ISO_Lb1ESQ_SR_SQ_SR_SV_EESW_SX_SY_SZ_S13_S14_S15_S18_S19_jS1A_jS1B_S1B_jjS1D_bEUljE0_EEESW_SX_SY_S15_S19_S1B_T6_T7_T9_mT8_S1D_bDpT10_ENKUlT_T0_E_clISt17integral_constantIbLb0EES1Q_IbLb1EEEEDaS1M_S1N_EUlS1M_E_NS1_11comp_targetILNS1_3genE10ELNS1_11target_archE1200ELNS1_3gpuE4ELNS1_3repE0EEENS1_30default_config_static_selectorELNS0_4arch9wavefront6targetE1EEEvSZ_,"axG",@progbits,_ZN7rocprim17ROCPRIM_400000_NS6detail17trampoline_kernelINS0_13select_configILj256ELj13ELNS0_17block_load_methodE3ELS4_3ELS4_3ELNS0_20block_scan_algorithmE0ELj4294967295EEENS1_25partition_config_selectorILNS1_17partition_subalgoE4EjNS0_10empty_typeEbEEZZNS1_14partition_implILS8_4ELb0ES6_15HIP_vector_typeIjLj2EENS0_17counting_iteratorIjlEEPS9_SG_NS0_5tupleIJPjSI_NS0_16reverse_iteratorISI_EEEEENSH_IJSG_SG_SG_EEES9_SI_JZNS1_25segmented_radix_sort_implINS0_14default_configELb1EPKlPlSQ_SR_N2at6native12_GLOBAL__N_18offset_tEEE10hipError_tPvRmT1_PNSt15iterator_traitsISZ_E10value_typeET2_T3_PNS10_IS15_E10value_typeET4_jRbjT5_S1B_jjP12ihipStream_tbEUljE_ZNSN_ISO_Lb1ESQ_SR_SQ_SR_SV_EESW_SX_SY_SZ_S13_S14_S15_S18_S19_jS1A_jS1B_S1B_jjS1D_bEUljE0_EEESW_SX_SY_S15_S19_S1B_T6_T7_T9_mT8_S1D_bDpT10_ENKUlT_T0_E_clISt17integral_constantIbLb0EES1Q_IbLb1EEEEDaS1M_S1N_EUlS1M_E_NS1_11comp_targetILNS1_3genE10ELNS1_11target_archE1200ELNS1_3gpuE4ELNS1_3repE0EEENS1_30default_config_static_selectorELNS0_4arch9wavefront6targetE1EEEvSZ_,comdat
	.globl	_ZN7rocprim17ROCPRIM_400000_NS6detail17trampoline_kernelINS0_13select_configILj256ELj13ELNS0_17block_load_methodE3ELS4_3ELS4_3ELNS0_20block_scan_algorithmE0ELj4294967295EEENS1_25partition_config_selectorILNS1_17partition_subalgoE4EjNS0_10empty_typeEbEEZZNS1_14partition_implILS8_4ELb0ES6_15HIP_vector_typeIjLj2EENS0_17counting_iteratorIjlEEPS9_SG_NS0_5tupleIJPjSI_NS0_16reverse_iteratorISI_EEEEENSH_IJSG_SG_SG_EEES9_SI_JZNS1_25segmented_radix_sort_implINS0_14default_configELb1EPKlPlSQ_SR_N2at6native12_GLOBAL__N_18offset_tEEE10hipError_tPvRmT1_PNSt15iterator_traitsISZ_E10value_typeET2_T3_PNS10_IS15_E10value_typeET4_jRbjT5_S1B_jjP12ihipStream_tbEUljE_ZNSN_ISO_Lb1ESQ_SR_SQ_SR_SV_EESW_SX_SY_SZ_S13_S14_S15_S18_S19_jS1A_jS1B_S1B_jjS1D_bEUljE0_EEESW_SX_SY_S15_S19_S1B_T6_T7_T9_mT8_S1D_bDpT10_ENKUlT_T0_E_clISt17integral_constantIbLb0EES1Q_IbLb1EEEEDaS1M_S1N_EUlS1M_E_NS1_11comp_targetILNS1_3genE10ELNS1_11target_archE1200ELNS1_3gpuE4ELNS1_3repE0EEENS1_30default_config_static_selectorELNS0_4arch9wavefront6targetE1EEEvSZ_ ; -- Begin function _ZN7rocprim17ROCPRIM_400000_NS6detail17trampoline_kernelINS0_13select_configILj256ELj13ELNS0_17block_load_methodE3ELS4_3ELS4_3ELNS0_20block_scan_algorithmE0ELj4294967295EEENS1_25partition_config_selectorILNS1_17partition_subalgoE4EjNS0_10empty_typeEbEEZZNS1_14partition_implILS8_4ELb0ES6_15HIP_vector_typeIjLj2EENS0_17counting_iteratorIjlEEPS9_SG_NS0_5tupleIJPjSI_NS0_16reverse_iteratorISI_EEEEENSH_IJSG_SG_SG_EEES9_SI_JZNS1_25segmented_radix_sort_implINS0_14default_configELb1EPKlPlSQ_SR_N2at6native12_GLOBAL__N_18offset_tEEE10hipError_tPvRmT1_PNSt15iterator_traitsISZ_E10value_typeET2_T3_PNS10_IS15_E10value_typeET4_jRbjT5_S1B_jjP12ihipStream_tbEUljE_ZNSN_ISO_Lb1ESQ_SR_SQ_SR_SV_EESW_SX_SY_SZ_S13_S14_S15_S18_S19_jS1A_jS1B_S1B_jjS1D_bEUljE0_EEESW_SX_SY_S15_S19_S1B_T6_T7_T9_mT8_S1D_bDpT10_ENKUlT_T0_E_clISt17integral_constantIbLb0EES1Q_IbLb1EEEEDaS1M_S1N_EUlS1M_E_NS1_11comp_targetILNS1_3genE10ELNS1_11target_archE1200ELNS1_3gpuE4ELNS1_3repE0EEENS1_30default_config_static_selectorELNS0_4arch9wavefront6targetE1EEEvSZ_
	.p2align	8
	.type	_ZN7rocprim17ROCPRIM_400000_NS6detail17trampoline_kernelINS0_13select_configILj256ELj13ELNS0_17block_load_methodE3ELS4_3ELS4_3ELNS0_20block_scan_algorithmE0ELj4294967295EEENS1_25partition_config_selectorILNS1_17partition_subalgoE4EjNS0_10empty_typeEbEEZZNS1_14partition_implILS8_4ELb0ES6_15HIP_vector_typeIjLj2EENS0_17counting_iteratorIjlEEPS9_SG_NS0_5tupleIJPjSI_NS0_16reverse_iteratorISI_EEEEENSH_IJSG_SG_SG_EEES9_SI_JZNS1_25segmented_radix_sort_implINS0_14default_configELb1EPKlPlSQ_SR_N2at6native12_GLOBAL__N_18offset_tEEE10hipError_tPvRmT1_PNSt15iterator_traitsISZ_E10value_typeET2_T3_PNS10_IS15_E10value_typeET4_jRbjT5_S1B_jjP12ihipStream_tbEUljE_ZNSN_ISO_Lb1ESQ_SR_SQ_SR_SV_EESW_SX_SY_SZ_S13_S14_S15_S18_S19_jS1A_jS1B_S1B_jjS1D_bEUljE0_EEESW_SX_SY_S15_S19_S1B_T6_T7_T9_mT8_S1D_bDpT10_ENKUlT_T0_E_clISt17integral_constantIbLb0EES1Q_IbLb1EEEEDaS1M_S1N_EUlS1M_E_NS1_11comp_targetILNS1_3genE10ELNS1_11target_archE1200ELNS1_3gpuE4ELNS1_3repE0EEENS1_30default_config_static_selectorELNS0_4arch9wavefront6targetE1EEEvSZ_,@function
_ZN7rocprim17ROCPRIM_400000_NS6detail17trampoline_kernelINS0_13select_configILj256ELj13ELNS0_17block_load_methodE3ELS4_3ELS4_3ELNS0_20block_scan_algorithmE0ELj4294967295EEENS1_25partition_config_selectorILNS1_17partition_subalgoE4EjNS0_10empty_typeEbEEZZNS1_14partition_implILS8_4ELb0ES6_15HIP_vector_typeIjLj2EENS0_17counting_iteratorIjlEEPS9_SG_NS0_5tupleIJPjSI_NS0_16reverse_iteratorISI_EEEEENSH_IJSG_SG_SG_EEES9_SI_JZNS1_25segmented_radix_sort_implINS0_14default_configELb1EPKlPlSQ_SR_N2at6native12_GLOBAL__N_18offset_tEEE10hipError_tPvRmT1_PNSt15iterator_traitsISZ_E10value_typeET2_T3_PNS10_IS15_E10value_typeET4_jRbjT5_S1B_jjP12ihipStream_tbEUljE_ZNSN_ISO_Lb1ESQ_SR_SQ_SR_SV_EESW_SX_SY_SZ_S13_S14_S15_S18_S19_jS1A_jS1B_S1B_jjS1D_bEUljE0_EEESW_SX_SY_S15_S19_S1B_T6_T7_T9_mT8_S1D_bDpT10_ENKUlT_T0_E_clISt17integral_constantIbLb0EES1Q_IbLb1EEEEDaS1M_S1N_EUlS1M_E_NS1_11comp_targetILNS1_3genE10ELNS1_11target_archE1200ELNS1_3gpuE4ELNS1_3repE0EEENS1_30default_config_static_selectorELNS0_4arch9wavefront6targetE1EEEvSZ_: ; @_ZN7rocprim17ROCPRIM_400000_NS6detail17trampoline_kernelINS0_13select_configILj256ELj13ELNS0_17block_load_methodE3ELS4_3ELS4_3ELNS0_20block_scan_algorithmE0ELj4294967295EEENS1_25partition_config_selectorILNS1_17partition_subalgoE4EjNS0_10empty_typeEbEEZZNS1_14partition_implILS8_4ELb0ES6_15HIP_vector_typeIjLj2EENS0_17counting_iteratorIjlEEPS9_SG_NS0_5tupleIJPjSI_NS0_16reverse_iteratorISI_EEEEENSH_IJSG_SG_SG_EEES9_SI_JZNS1_25segmented_radix_sort_implINS0_14default_configELb1EPKlPlSQ_SR_N2at6native12_GLOBAL__N_18offset_tEEE10hipError_tPvRmT1_PNSt15iterator_traitsISZ_E10value_typeET2_T3_PNS10_IS15_E10value_typeET4_jRbjT5_S1B_jjP12ihipStream_tbEUljE_ZNSN_ISO_Lb1ESQ_SR_SQ_SR_SV_EESW_SX_SY_SZ_S13_S14_S15_S18_S19_jS1A_jS1B_S1B_jjS1D_bEUljE0_EEESW_SX_SY_S15_S19_S1B_T6_T7_T9_mT8_S1D_bDpT10_ENKUlT_T0_E_clISt17integral_constantIbLb0EES1Q_IbLb1EEEEDaS1M_S1N_EUlS1M_E_NS1_11comp_targetILNS1_3genE10ELNS1_11target_archE1200ELNS1_3gpuE4ELNS1_3repE0EEENS1_30default_config_static_selectorELNS0_4arch9wavefront6targetE1EEEvSZ_
; %bb.0:
	.section	.rodata,"a",@progbits
	.p2align	6, 0x0
	.amdhsa_kernel _ZN7rocprim17ROCPRIM_400000_NS6detail17trampoline_kernelINS0_13select_configILj256ELj13ELNS0_17block_load_methodE3ELS4_3ELS4_3ELNS0_20block_scan_algorithmE0ELj4294967295EEENS1_25partition_config_selectorILNS1_17partition_subalgoE4EjNS0_10empty_typeEbEEZZNS1_14partition_implILS8_4ELb0ES6_15HIP_vector_typeIjLj2EENS0_17counting_iteratorIjlEEPS9_SG_NS0_5tupleIJPjSI_NS0_16reverse_iteratorISI_EEEEENSH_IJSG_SG_SG_EEES9_SI_JZNS1_25segmented_radix_sort_implINS0_14default_configELb1EPKlPlSQ_SR_N2at6native12_GLOBAL__N_18offset_tEEE10hipError_tPvRmT1_PNSt15iterator_traitsISZ_E10value_typeET2_T3_PNS10_IS15_E10value_typeET4_jRbjT5_S1B_jjP12ihipStream_tbEUljE_ZNSN_ISO_Lb1ESQ_SR_SQ_SR_SV_EESW_SX_SY_SZ_S13_S14_S15_S18_S19_jS1A_jS1B_S1B_jjS1D_bEUljE0_EEESW_SX_SY_S15_S19_S1B_T6_T7_T9_mT8_S1D_bDpT10_ENKUlT_T0_E_clISt17integral_constantIbLb0EES1Q_IbLb1EEEEDaS1M_S1N_EUlS1M_E_NS1_11comp_targetILNS1_3genE10ELNS1_11target_archE1200ELNS1_3gpuE4ELNS1_3repE0EEENS1_30default_config_static_selectorELNS0_4arch9wavefront6targetE1EEEvSZ_
		.amdhsa_group_segment_fixed_size 0
		.amdhsa_private_segment_fixed_size 0
		.amdhsa_kernarg_size 184
		.amdhsa_user_sgpr_count 6
		.amdhsa_user_sgpr_private_segment_buffer 1
		.amdhsa_user_sgpr_dispatch_ptr 0
		.amdhsa_user_sgpr_queue_ptr 0
		.amdhsa_user_sgpr_kernarg_segment_ptr 1
		.amdhsa_user_sgpr_dispatch_id 0
		.amdhsa_user_sgpr_flat_scratch_init 0
		.amdhsa_user_sgpr_kernarg_preload_length 0
		.amdhsa_user_sgpr_kernarg_preload_offset 0
		.amdhsa_user_sgpr_private_segment_size 0
		.amdhsa_uses_dynamic_stack 0
		.amdhsa_system_sgpr_private_segment_wavefront_offset 0
		.amdhsa_system_sgpr_workgroup_id_x 1
		.amdhsa_system_sgpr_workgroup_id_y 0
		.amdhsa_system_sgpr_workgroup_id_z 0
		.amdhsa_system_sgpr_workgroup_info 0
		.amdhsa_system_vgpr_workitem_id 0
		.amdhsa_next_free_vgpr 1
		.amdhsa_next_free_sgpr 0
		.amdhsa_accum_offset 4
		.amdhsa_reserve_vcc 0
		.amdhsa_reserve_flat_scratch 0
		.amdhsa_float_round_mode_32 0
		.amdhsa_float_round_mode_16_64 0
		.amdhsa_float_denorm_mode_32 3
		.amdhsa_float_denorm_mode_16_64 3
		.amdhsa_dx10_clamp 1
		.amdhsa_ieee_mode 1
		.amdhsa_fp16_overflow 0
		.amdhsa_tg_split 0
		.amdhsa_exception_fp_ieee_invalid_op 0
		.amdhsa_exception_fp_denorm_src 0
		.amdhsa_exception_fp_ieee_div_zero 0
		.amdhsa_exception_fp_ieee_overflow 0
		.amdhsa_exception_fp_ieee_underflow 0
		.amdhsa_exception_fp_ieee_inexact 0
		.amdhsa_exception_int_div_zero 0
	.end_amdhsa_kernel
	.section	.text._ZN7rocprim17ROCPRIM_400000_NS6detail17trampoline_kernelINS0_13select_configILj256ELj13ELNS0_17block_load_methodE3ELS4_3ELS4_3ELNS0_20block_scan_algorithmE0ELj4294967295EEENS1_25partition_config_selectorILNS1_17partition_subalgoE4EjNS0_10empty_typeEbEEZZNS1_14partition_implILS8_4ELb0ES6_15HIP_vector_typeIjLj2EENS0_17counting_iteratorIjlEEPS9_SG_NS0_5tupleIJPjSI_NS0_16reverse_iteratorISI_EEEEENSH_IJSG_SG_SG_EEES9_SI_JZNS1_25segmented_radix_sort_implINS0_14default_configELb1EPKlPlSQ_SR_N2at6native12_GLOBAL__N_18offset_tEEE10hipError_tPvRmT1_PNSt15iterator_traitsISZ_E10value_typeET2_T3_PNS10_IS15_E10value_typeET4_jRbjT5_S1B_jjP12ihipStream_tbEUljE_ZNSN_ISO_Lb1ESQ_SR_SQ_SR_SV_EESW_SX_SY_SZ_S13_S14_S15_S18_S19_jS1A_jS1B_S1B_jjS1D_bEUljE0_EEESW_SX_SY_S15_S19_S1B_T6_T7_T9_mT8_S1D_bDpT10_ENKUlT_T0_E_clISt17integral_constantIbLb0EES1Q_IbLb1EEEEDaS1M_S1N_EUlS1M_E_NS1_11comp_targetILNS1_3genE10ELNS1_11target_archE1200ELNS1_3gpuE4ELNS1_3repE0EEENS1_30default_config_static_selectorELNS0_4arch9wavefront6targetE1EEEvSZ_,"axG",@progbits,_ZN7rocprim17ROCPRIM_400000_NS6detail17trampoline_kernelINS0_13select_configILj256ELj13ELNS0_17block_load_methodE3ELS4_3ELS4_3ELNS0_20block_scan_algorithmE0ELj4294967295EEENS1_25partition_config_selectorILNS1_17partition_subalgoE4EjNS0_10empty_typeEbEEZZNS1_14partition_implILS8_4ELb0ES6_15HIP_vector_typeIjLj2EENS0_17counting_iteratorIjlEEPS9_SG_NS0_5tupleIJPjSI_NS0_16reverse_iteratorISI_EEEEENSH_IJSG_SG_SG_EEES9_SI_JZNS1_25segmented_radix_sort_implINS0_14default_configELb1EPKlPlSQ_SR_N2at6native12_GLOBAL__N_18offset_tEEE10hipError_tPvRmT1_PNSt15iterator_traitsISZ_E10value_typeET2_T3_PNS10_IS15_E10value_typeET4_jRbjT5_S1B_jjP12ihipStream_tbEUljE_ZNSN_ISO_Lb1ESQ_SR_SQ_SR_SV_EESW_SX_SY_SZ_S13_S14_S15_S18_S19_jS1A_jS1B_S1B_jjS1D_bEUljE0_EEESW_SX_SY_S15_S19_S1B_T6_T7_T9_mT8_S1D_bDpT10_ENKUlT_T0_E_clISt17integral_constantIbLb0EES1Q_IbLb1EEEEDaS1M_S1N_EUlS1M_E_NS1_11comp_targetILNS1_3genE10ELNS1_11target_archE1200ELNS1_3gpuE4ELNS1_3repE0EEENS1_30default_config_static_selectorELNS0_4arch9wavefront6targetE1EEEvSZ_,comdat
.Lfunc_end669:
	.size	_ZN7rocprim17ROCPRIM_400000_NS6detail17trampoline_kernelINS0_13select_configILj256ELj13ELNS0_17block_load_methodE3ELS4_3ELS4_3ELNS0_20block_scan_algorithmE0ELj4294967295EEENS1_25partition_config_selectorILNS1_17partition_subalgoE4EjNS0_10empty_typeEbEEZZNS1_14partition_implILS8_4ELb0ES6_15HIP_vector_typeIjLj2EENS0_17counting_iteratorIjlEEPS9_SG_NS0_5tupleIJPjSI_NS0_16reverse_iteratorISI_EEEEENSH_IJSG_SG_SG_EEES9_SI_JZNS1_25segmented_radix_sort_implINS0_14default_configELb1EPKlPlSQ_SR_N2at6native12_GLOBAL__N_18offset_tEEE10hipError_tPvRmT1_PNSt15iterator_traitsISZ_E10value_typeET2_T3_PNS10_IS15_E10value_typeET4_jRbjT5_S1B_jjP12ihipStream_tbEUljE_ZNSN_ISO_Lb1ESQ_SR_SQ_SR_SV_EESW_SX_SY_SZ_S13_S14_S15_S18_S19_jS1A_jS1B_S1B_jjS1D_bEUljE0_EEESW_SX_SY_S15_S19_S1B_T6_T7_T9_mT8_S1D_bDpT10_ENKUlT_T0_E_clISt17integral_constantIbLb0EES1Q_IbLb1EEEEDaS1M_S1N_EUlS1M_E_NS1_11comp_targetILNS1_3genE10ELNS1_11target_archE1200ELNS1_3gpuE4ELNS1_3repE0EEENS1_30default_config_static_selectorELNS0_4arch9wavefront6targetE1EEEvSZ_, .Lfunc_end669-_ZN7rocprim17ROCPRIM_400000_NS6detail17trampoline_kernelINS0_13select_configILj256ELj13ELNS0_17block_load_methodE3ELS4_3ELS4_3ELNS0_20block_scan_algorithmE0ELj4294967295EEENS1_25partition_config_selectorILNS1_17partition_subalgoE4EjNS0_10empty_typeEbEEZZNS1_14partition_implILS8_4ELb0ES6_15HIP_vector_typeIjLj2EENS0_17counting_iteratorIjlEEPS9_SG_NS0_5tupleIJPjSI_NS0_16reverse_iteratorISI_EEEEENSH_IJSG_SG_SG_EEES9_SI_JZNS1_25segmented_radix_sort_implINS0_14default_configELb1EPKlPlSQ_SR_N2at6native12_GLOBAL__N_18offset_tEEE10hipError_tPvRmT1_PNSt15iterator_traitsISZ_E10value_typeET2_T3_PNS10_IS15_E10value_typeET4_jRbjT5_S1B_jjP12ihipStream_tbEUljE_ZNSN_ISO_Lb1ESQ_SR_SQ_SR_SV_EESW_SX_SY_SZ_S13_S14_S15_S18_S19_jS1A_jS1B_S1B_jjS1D_bEUljE0_EEESW_SX_SY_S15_S19_S1B_T6_T7_T9_mT8_S1D_bDpT10_ENKUlT_T0_E_clISt17integral_constantIbLb0EES1Q_IbLb1EEEEDaS1M_S1N_EUlS1M_E_NS1_11comp_targetILNS1_3genE10ELNS1_11target_archE1200ELNS1_3gpuE4ELNS1_3repE0EEENS1_30default_config_static_selectorELNS0_4arch9wavefront6targetE1EEEvSZ_
                                        ; -- End function
	.section	.AMDGPU.csdata,"",@progbits
; Kernel info:
; codeLenInByte = 0
; NumSgprs: 4
; NumVgprs: 0
; NumAgprs: 0
; TotalNumVgprs: 0
; ScratchSize: 0
; MemoryBound: 0
; FloatMode: 240
; IeeeMode: 1
; LDSByteSize: 0 bytes/workgroup (compile time only)
; SGPRBlocks: 0
; VGPRBlocks: 0
; NumSGPRsForWavesPerEU: 4
; NumVGPRsForWavesPerEU: 1
; AccumOffset: 4
; Occupancy: 8
; WaveLimiterHint : 0
; COMPUTE_PGM_RSRC2:SCRATCH_EN: 0
; COMPUTE_PGM_RSRC2:USER_SGPR: 6
; COMPUTE_PGM_RSRC2:TRAP_HANDLER: 0
; COMPUTE_PGM_RSRC2:TGID_X_EN: 1
; COMPUTE_PGM_RSRC2:TGID_Y_EN: 0
; COMPUTE_PGM_RSRC2:TGID_Z_EN: 0
; COMPUTE_PGM_RSRC2:TIDIG_COMP_CNT: 0
; COMPUTE_PGM_RSRC3_GFX90A:ACCUM_OFFSET: 0
; COMPUTE_PGM_RSRC3_GFX90A:TG_SPLIT: 0
	.section	.text._ZN7rocprim17ROCPRIM_400000_NS6detail17trampoline_kernelINS0_13select_configILj256ELj13ELNS0_17block_load_methodE3ELS4_3ELS4_3ELNS0_20block_scan_algorithmE0ELj4294967295EEENS1_25partition_config_selectorILNS1_17partition_subalgoE4EjNS0_10empty_typeEbEEZZNS1_14partition_implILS8_4ELb0ES6_15HIP_vector_typeIjLj2EENS0_17counting_iteratorIjlEEPS9_SG_NS0_5tupleIJPjSI_NS0_16reverse_iteratorISI_EEEEENSH_IJSG_SG_SG_EEES9_SI_JZNS1_25segmented_radix_sort_implINS0_14default_configELb1EPKlPlSQ_SR_N2at6native12_GLOBAL__N_18offset_tEEE10hipError_tPvRmT1_PNSt15iterator_traitsISZ_E10value_typeET2_T3_PNS10_IS15_E10value_typeET4_jRbjT5_S1B_jjP12ihipStream_tbEUljE_ZNSN_ISO_Lb1ESQ_SR_SQ_SR_SV_EESW_SX_SY_SZ_S13_S14_S15_S18_S19_jS1A_jS1B_S1B_jjS1D_bEUljE0_EEESW_SX_SY_S15_S19_S1B_T6_T7_T9_mT8_S1D_bDpT10_ENKUlT_T0_E_clISt17integral_constantIbLb0EES1Q_IbLb1EEEEDaS1M_S1N_EUlS1M_E_NS1_11comp_targetILNS1_3genE9ELNS1_11target_archE1100ELNS1_3gpuE3ELNS1_3repE0EEENS1_30default_config_static_selectorELNS0_4arch9wavefront6targetE1EEEvSZ_,"axG",@progbits,_ZN7rocprim17ROCPRIM_400000_NS6detail17trampoline_kernelINS0_13select_configILj256ELj13ELNS0_17block_load_methodE3ELS4_3ELS4_3ELNS0_20block_scan_algorithmE0ELj4294967295EEENS1_25partition_config_selectorILNS1_17partition_subalgoE4EjNS0_10empty_typeEbEEZZNS1_14partition_implILS8_4ELb0ES6_15HIP_vector_typeIjLj2EENS0_17counting_iteratorIjlEEPS9_SG_NS0_5tupleIJPjSI_NS0_16reverse_iteratorISI_EEEEENSH_IJSG_SG_SG_EEES9_SI_JZNS1_25segmented_radix_sort_implINS0_14default_configELb1EPKlPlSQ_SR_N2at6native12_GLOBAL__N_18offset_tEEE10hipError_tPvRmT1_PNSt15iterator_traitsISZ_E10value_typeET2_T3_PNS10_IS15_E10value_typeET4_jRbjT5_S1B_jjP12ihipStream_tbEUljE_ZNSN_ISO_Lb1ESQ_SR_SQ_SR_SV_EESW_SX_SY_SZ_S13_S14_S15_S18_S19_jS1A_jS1B_S1B_jjS1D_bEUljE0_EEESW_SX_SY_S15_S19_S1B_T6_T7_T9_mT8_S1D_bDpT10_ENKUlT_T0_E_clISt17integral_constantIbLb0EES1Q_IbLb1EEEEDaS1M_S1N_EUlS1M_E_NS1_11comp_targetILNS1_3genE9ELNS1_11target_archE1100ELNS1_3gpuE3ELNS1_3repE0EEENS1_30default_config_static_selectorELNS0_4arch9wavefront6targetE1EEEvSZ_,comdat
	.globl	_ZN7rocprim17ROCPRIM_400000_NS6detail17trampoline_kernelINS0_13select_configILj256ELj13ELNS0_17block_load_methodE3ELS4_3ELS4_3ELNS0_20block_scan_algorithmE0ELj4294967295EEENS1_25partition_config_selectorILNS1_17partition_subalgoE4EjNS0_10empty_typeEbEEZZNS1_14partition_implILS8_4ELb0ES6_15HIP_vector_typeIjLj2EENS0_17counting_iteratorIjlEEPS9_SG_NS0_5tupleIJPjSI_NS0_16reverse_iteratorISI_EEEEENSH_IJSG_SG_SG_EEES9_SI_JZNS1_25segmented_radix_sort_implINS0_14default_configELb1EPKlPlSQ_SR_N2at6native12_GLOBAL__N_18offset_tEEE10hipError_tPvRmT1_PNSt15iterator_traitsISZ_E10value_typeET2_T3_PNS10_IS15_E10value_typeET4_jRbjT5_S1B_jjP12ihipStream_tbEUljE_ZNSN_ISO_Lb1ESQ_SR_SQ_SR_SV_EESW_SX_SY_SZ_S13_S14_S15_S18_S19_jS1A_jS1B_S1B_jjS1D_bEUljE0_EEESW_SX_SY_S15_S19_S1B_T6_T7_T9_mT8_S1D_bDpT10_ENKUlT_T0_E_clISt17integral_constantIbLb0EES1Q_IbLb1EEEEDaS1M_S1N_EUlS1M_E_NS1_11comp_targetILNS1_3genE9ELNS1_11target_archE1100ELNS1_3gpuE3ELNS1_3repE0EEENS1_30default_config_static_selectorELNS0_4arch9wavefront6targetE1EEEvSZ_ ; -- Begin function _ZN7rocprim17ROCPRIM_400000_NS6detail17trampoline_kernelINS0_13select_configILj256ELj13ELNS0_17block_load_methodE3ELS4_3ELS4_3ELNS0_20block_scan_algorithmE0ELj4294967295EEENS1_25partition_config_selectorILNS1_17partition_subalgoE4EjNS0_10empty_typeEbEEZZNS1_14partition_implILS8_4ELb0ES6_15HIP_vector_typeIjLj2EENS0_17counting_iteratorIjlEEPS9_SG_NS0_5tupleIJPjSI_NS0_16reverse_iteratorISI_EEEEENSH_IJSG_SG_SG_EEES9_SI_JZNS1_25segmented_radix_sort_implINS0_14default_configELb1EPKlPlSQ_SR_N2at6native12_GLOBAL__N_18offset_tEEE10hipError_tPvRmT1_PNSt15iterator_traitsISZ_E10value_typeET2_T3_PNS10_IS15_E10value_typeET4_jRbjT5_S1B_jjP12ihipStream_tbEUljE_ZNSN_ISO_Lb1ESQ_SR_SQ_SR_SV_EESW_SX_SY_SZ_S13_S14_S15_S18_S19_jS1A_jS1B_S1B_jjS1D_bEUljE0_EEESW_SX_SY_S15_S19_S1B_T6_T7_T9_mT8_S1D_bDpT10_ENKUlT_T0_E_clISt17integral_constantIbLb0EES1Q_IbLb1EEEEDaS1M_S1N_EUlS1M_E_NS1_11comp_targetILNS1_3genE9ELNS1_11target_archE1100ELNS1_3gpuE3ELNS1_3repE0EEENS1_30default_config_static_selectorELNS0_4arch9wavefront6targetE1EEEvSZ_
	.p2align	8
	.type	_ZN7rocprim17ROCPRIM_400000_NS6detail17trampoline_kernelINS0_13select_configILj256ELj13ELNS0_17block_load_methodE3ELS4_3ELS4_3ELNS0_20block_scan_algorithmE0ELj4294967295EEENS1_25partition_config_selectorILNS1_17partition_subalgoE4EjNS0_10empty_typeEbEEZZNS1_14partition_implILS8_4ELb0ES6_15HIP_vector_typeIjLj2EENS0_17counting_iteratorIjlEEPS9_SG_NS0_5tupleIJPjSI_NS0_16reverse_iteratorISI_EEEEENSH_IJSG_SG_SG_EEES9_SI_JZNS1_25segmented_radix_sort_implINS0_14default_configELb1EPKlPlSQ_SR_N2at6native12_GLOBAL__N_18offset_tEEE10hipError_tPvRmT1_PNSt15iterator_traitsISZ_E10value_typeET2_T3_PNS10_IS15_E10value_typeET4_jRbjT5_S1B_jjP12ihipStream_tbEUljE_ZNSN_ISO_Lb1ESQ_SR_SQ_SR_SV_EESW_SX_SY_SZ_S13_S14_S15_S18_S19_jS1A_jS1B_S1B_jjS1D_bEUljE0_EEESW_SX_SY_S15_S19_S1B_T6_T7_T9_mT8_S1D_bDpT10_ENKUlT_T0_E_clISt17integral_constantIbLb0EES1Q_IbLb1EEEEDaS1M_S1N_EUlS1M_E_NS1_11comp_targetILNS1_3genE9ELNS1_11target_archE1100ELNS1_3gpuE3ELNS1_3repE0EEENS1_30default_config_static_selectorELNS0_4arch9wavefront6targetE1EEEvSZ_,@function
_ZN7rocprim17ROCPRIM_400000_NS6detail17trampoline_kernelINS0_13select_configILj256ELj13ELNS0_17block_load_methodE3ELS4_3ELS4_3ELNS0_20block_scan_algorithmE0ELj4294967295EEENS1_25partition_config_selectorILNS1_17partition_subalgoE4EjNS0_10empty_typeEbEEZZNS1_14partition_implILS8_4ELb0ES6_15HIP_vector_typeIjLj2EENS0_17counting_iteratorIjlEEPS9_SG_NS0_5tupleIJPjSI_NS0_16reverse_iteratorISI_EEEEENSH_IJSG_SG_SG_EEES9_SI_JZNS1_25segmented_radix_sort_implINS0_14default_configELb1EPKlPlSQ_SR_N2at6native12_GLOBAL__N_18offset_tEEE10hipError_tPvRmT1_PNSt15iterator_traitsISZ_E10value_typeET2_T3_PNS10_IS15_E10value_typeET4_jRbjT5_S1B_jjP12ihipStream_tbEUljE_ZNSN_ISO_Lb1ESQ_SR_SQ_SR_SV_EESW_SX_SY_SZ_S13_S14_S15_S18_S19_jS1A_jS1B_S1B_jjS1D_bEUljE0_EEESW_SX_SY_S15_S19_S1B_T6_T7_T9_mT8_S1D_bDpT10_ENKUlT_T0_E_clISt17integral_constantIbLb0EES1Q_IbLb1EEEEDaS1M_S1N_EUlS1M_E_NS1_11comp_targetILNS1_3genE9ELNS1_11target_archE1100ELNS1_3gpuE3ELNS1_3repE0EEENS1_30default_config_static_selectorELNS0_4arch9wavefront6targetE1EEEvSZ_: ; @_ZN7rocprim17ROCPRIM_400000_NS6detail17trampoline_kernelINS0_13select_configILj256ELj13ELNS0_17block_load_methodE3ELS4_3ELS4_3ELNS0_20block_scan_algorithmE0ELj4294967295EEENS1_25partition_config_selectorILNS1_17partition_subalgoE4EjNS0_10empty_typeEbEEZZNS1_14partition_implILS8_4ELb0ES6_15HIP_vector_typeIjLj2EENS0_17counting_iteratorIjlEEPS9_SG_NS0_5tupleIJPjSI_NS0_16reverse_iteratorISI_EEEEENSH_IJSG_SG_SG_EEES9_SI_JZNS1_25segmented_radix_sort_implINS0_14default_configELb1EPKlPlSQ_SR_N2at6native12_GLOBAL__N_18offset_tEEE10hipError_tPvRmT1_PNSt15iterator_traitsISZ_E10value_typeET2_T3_PNS10_IS15_E10value_typeET4_jRbjT5_S1B_jjP12ihipStream_tbEUljE_ZNSN_ISO_Lb1ESQ_SR_SQ_SR_SV_EESW_SX_SY_SZ_S13_S14_S15_S18_S19_jS1A_jS1B_S1B_jjS1D_bEUljE0_EEESW_SX_SY_S15_S19_S1B_T6_T7_T9_mT8_S1D_bDpT10_ENKUlT_T0_E_clISt17integral_constantIbLb0EES1Q_IbLb1EEEEDaS1M_S1N_EUlS1M_E_NS1_11comp_targetILNS1_3genE9ELNS1_11target_archE1100ELNS1_3gpuE3ELNS1_3repE0EEENS1_30default_config_static_selectorELNS0_4arch9wavefront6targetE1EEEvSZ_
; %bb.0:
	.section	.rodata,"a",@progbits
	.p2align	6, 0x0
	.amdhsa_kernel _ZN7rocprim17ROCPRIM_400000_NS6detail17trampoline_kernelINS0_13select_configILj256ELj13ELNS0_17block_load_methodE3ELS4_3ELS4_3ELNS0_20block_scan_algorithmE0ELj4294967295EEENS1_25partition_config_selectorILNS1_17partition_subalgoE4EjNS0_10empty_typeEbEEZZNS1_14partition_implILS8_4ELb0ES6_15HIP_vector_typeIjLj2EENS0_17counting_iteratorIjlEEPS9_SG_NS0_5tupleIJPjSI_NS0_16reverse_iteratorISI_EEEEENSH_IJSG_SG_SG_EEES9_SI_JZNS1_25segmented_radix_sort_implINS0_14default_configELb1EPKlPlSQ_SR_N2at6native12_GLOBAL__N_18offset_tEEE10hipError_tPvRmT1_PNSt15iterator_traitsISZ_E10value_typeET2_T3_PNS10_IS15_E10value_typeET4_jRbjT5_S1B_jjP12ihipStream_tbEUljE_ZNSN_ISO_Lb1ESQ_SR_SQ_SR_SV_EESW_SX_SY_SZ_S13_S14_S15_S18_S19_jS1A_jS1B_S1B_jjS1D_bEUljE0_EEESW_SX_SY_S15_S19_S1B_T6_T7_T9_mT8_S1D_bDpT10_ENKUlT_T0_E_clISt17integral_constantIbLb0EES1Q_IbLb1EEEEDaS1M_S1N_EUlS1M_E_NS1_11comp_targetILNS1_3genE9ELNS1_11target_archE1100ELNS1_3gpuE3ELNS1_3repE0EEENS1_30default_config_static_selectorELNS0_4arch9wavefront6targetE1EEEvSZ_
		.amdhsa_group_segment_fixed_size 0
		.amdhsa_private_segment_fixed_size 0
		.amdhsa_kernarg_size 184
		.amdhsa_user_sgpr_count 6
		.amdhsa_user_sgpr_private_segment_buffer 1
		.amdhsa_user_sgpr_dispatch_ptr 0
		.amdhsa_user_sgpr_queue_ptr 0
		.amdhsa_user_sgpr_kernarg_segment_ptr 1
		.amdhsa_user_sgpr_dispatch_id 0
		.amdhsa_user_sgpr_flat_scratch_init 0
		.amdhsa_user_sgpr_kernarg_preload_length 0
		.amdhsa_user_sgpr_kernarg_preload_offset 0
		.amdhsa_user_sgpr_private_segment_size 0
		.amdhsa_uses_dynamic_stack 0
		.amdhsa_system_sgpr_private_segment_wavefront_offset 0
		.amdhsa_system_sgpr_workgroup_id_x 1
		.amdhsa_system_sgpr_workgroup_id_y 0
		.amdhsa_system_sgpr_workgroup_id_z 0
		.amdhsa_system_sgpr_workgroup_info 0
		.amdhsa_system_vgpr_workitem_id 0
		.amdhsa_next_free_vgpr 1
		.amdhsa_next_free_sgpr 0
		.amdhsa_accum_offset 4
		.amdhsa_reserve_vcc 0
		.amdhsa_reserve_flat_scratch 0
		.amdhsa_float_round_mode_32 0
		.amdhsa_float_round_mode_16_64 0
		.amdhsa_float_denorm_mode_32 3
		.amdhsa_float_denorm_mode_16_64 3
		.amdhsa_dx10_clamp 1
		.amdhsa_ieee_mode 1
		.amdhsa_fp16_overflow 0
		.amdhsa_tg_split 0
		.amdhsa_exception_fp_ieee_invalid_op 0
		.amdhsa_exception_fp_denorm_src 0
		.amdhsa_exception_fp_ieee_div_zero 0
		.amdhsa_exception_fp_ieee_overflow 0
		.amdhsa_exception_fp_ieee_underflow 0
		.amdhsa_exception_fp_ieee_inexact 0
		.amdhsa_exception_int_div_zero 0
	.end_amdhsa_kernel
	.section	.text._ZN7rocprim17ROCPRIM_400000_NS6detail17trampoline_kernelINS0_13select_configILj256ELj13ELNS0_17block_load_methodE3ELS4_3ELS4_3ELNS0_20block_scan_algorithmE0ELj4294967295EEENS1_25partition_config_selectorILNS1_17partition_subalgoE4EjNS0_10empty_typeEbEEZZNS1_14partition_implILS8_4ELb0ES6_15HIP_vector_typeIjLj2EENS0_17counting_iteratorIjlEEPS9_SG_NS0_5tupleIJPjSI_NS0_16reverse_iteratorISI_EEEEENSH_IJSG_SG_SG_EEES9_SI_JZNS1_25segmented_radix_sort_implINS0_14default_configELb1EPKlPlSQ_SR_N2at6native12_GLOBAL__N_18offset_tEEE10hipError_tPvRmT1_PNSt15iterator_traitsISZ_E10value_typeET2_T3_PNS10_IS15_E10value_typeET4_jRbjT5_S1B_jjP12ihipStream_tbEUljE_ZNSN_ISO_Lb1ESQ_SR_SQ_SR_SV_EESW_SX_SY_SZ_S13_S14_S15_S18_S19_jS1A_jS1B_S1B_jjS1D_bEUljE0_EEESW_SX_SY_S15_S19_S1B_T6_T7_T9_mT8_S1D_bDpT10_ENKUlT_T0_E_clISt17integral_constantIbLb0EES1Q_IbLb1EEEEDaS1M_S1N_EUlS1M_E_NS1_11comp_targetILNS1_3genE9ELNS1_11target_archE1100ELNS1_3gpuE3ELNS1_3repE0EEENS1_30default_config_static_selectorELNS0_4arch9wavefront6targetE1EEEvSZ_,"axG",@progbits,_ZN7rocprim17ROCPRIM_400000_NS6detail17trampoline_kernelINS0_13select_configILj256ELj13ELNS0_17block_load_methodE3ELS4_3ELS4_3ELNS0_20block_scan_algorithmE0ELj4294967295EEENS1_25partition_config_selectorILNS1_17partition_subalgoE4EjNS0_10empty_typeEbEEZZNS1_14partition_implILS8_4ELb0ES6_15HIP_vector_typeIjLj2EENS0_17counting_iteratorIjlEEPS9_SG_NS0_5tupleIJPjSI_NS0_16reverse_iteratorISI_EEEEENSH_IJSG_SG_SG_EEES9_SI_JZNS1_25segmented_radix_sort_implINS0_14default_configELb1EPKlPlSQ_SR_N2at6native12_GLOBAL__N_18offset_tEEE10hipError_tPvRmT1_PNSt15iterator_traitsISZ_E10value_typeET2_T3_PNS10_IS15_E10value_typeET4_jRbjT5_S1B_jjP12ihipStream_tbEUljE_ZNSN_ISO_Lb1ESQ_SR_SQ_SR_SV_EESW_SX_SY_SZ_S13_S14_S15_S18_S19_jS1A_jS1B_S1B_jjS1D_bEUljE0_EEESW_SX_SY_S15_S19_S1B_T6_T7_T9_mT8_S1D_bDpT10_ENKUlT_T0_E_clISt17integral_constantIbLb0EES1Q_IbLb1EEEEDaS1M_S1N_EUlS1M_E_NS1_11comp_targetILNS1_3genE9ELNS1_11target_archE1100ELNS1_3gpuE3ELNS1_3repE0EEENS1_30default_config_static_selectorELNS0_4arch9wavefront6targetE1EEEvSZ_,comdat
.Lfunc_end670:
	.size	_ZN7rocprim17ROCPRIM_400000_NS6detail17trampoline_kernelINS0_13select_configILj256ELj13ELNS0_17block_load_methodE3ELS4_3ELS4_3ELNS0_20block_scan_algorithmE0ELj4294967295EEENS1_25partition_config_selectorILNS1_17partition_subalgoE4EjNS0_10empty_typeEbEEZZNS1_14partition_implILS8_4ELb0ES6_15HIP_vector_typeIjLj2EENS0_17counting_iteratorIjlEEPS9_SG_NS0_5tupleIJPjSI_NS0_16reverse_iteratorISI_EEEEENSH_IJSG_SG_SG_EEES9_SI_JZNS1_25segmented_radix_sort_implINS0_14default_configELb1EPKlPlSQ_SR_N2at6native12_GLOBAL__N_18offset_tEEE10hipError_tPvRmT1_PNSt15iterator_traitsISZ_E10value_typeET2_T3_PNS10_IS15_E10value_typeET4_jRbjT5_S1B_jjP12ihipStream_tbEUljE_ZNSN_ISO_Lb1ESQ_SR_SQ_SR_SV_EESW_SX_SY_SZ_S13_S14_S15_S18_S19_jS1A_jS1B_S1B_jjS1D_bEUljE0_EEESW_SX_SY_S15_S19_S1B_T6_T7_T9_mT8_S1D_bDpT10_ENKUlT_T0_E_clISt17integral_constantIbLb0EES1Q_IbLb1EEEEDaS1M_S1N_EUlS1M_E_NS1_11comp_targetILNS1_3genE9ELNS1_11target_archE1100ELNS1_3gpuE3ELNS1_3repE0EEENS1_30default_config_static_selectorELNS0_4arch9wavefront6targetE1EEEvSZ_, .Lfunc_end670-_ZN7rocprim17ROCPRIM_400000_NS6detail17trampoline_kernelINS0_13select_configILj256ELj13ELNS0_17block_load_methodE3ELS4_3ELS4_3ELNS0_20block_scan_algorithmE0ELj4294967295EEENS1_25partition_config_selectorILNS1_17partition_subalgoE4EjNS0_10empty_typeEbEEZZNS1_14partition_implILS8_4ELb0ES6_15HIP_vector_typeIjLj2EENS0_17counting_iteratorIjlEEPS9_SG_NS0_5tupleIJPjSI_NS0_16reverse_iteratorISI_EEEEENSH_IJSG_SG_SG_EEES9_SI_JZNS1_25segmented_radix_sort_implINS0_14default_configELb1EPKlPlSQ_SR_N2at6native12_GLOBAL__N_18offset_tEEE10hipError_tPvRmT1_PNSt15iterator_traitsISZ_E10value_typeET2_T3_PNS10_IS15_E10value_typeET4_jRbjT5_S1B_jjP12ihipStream_tbEUljE_ZNSN_ISO_Lb1ESQ_SR_SQ_SR_SV_EESW_SX_SY_SZ_S13_S14_S15_S18_S19_jS1A_jS1B_S1B_jjS1D_bEUljE0_EEESW_SX_SY_S15_S19_S1B_T6_T7_T9_mT8_S1D_bDpT10_ENKUlT_T0_E_clISt17integral_constantIbLb0EES1Q_IbLb1EEEEDaS1M_S1N_EUlS1M_E_NS1_11comp_targetILNS1_3genE9ELNS1_11target_archE1100ELNS1_3gpuE3ELNS1_3repE0EEENS1_30default_config_static_selectorELNS0_4arch9wavefront6targetE1EEEvSZ_
                                        ; -- End function
	.section	.AMDGPU.csdata,"",@progbits
; Kernel info:
; codeLenInByte = 0
; NumSgprs: 4
; NumVgprs: 0
; NumAgprs: 0
; TotalNumVgprs: 0
; ScratchSize: 0
; MemoryBound: 0
; FloatMode: 240
; IeeeMode: 1
; LDSByteSize: 0 bytes/workgroup (compile time only)
; SGPRBlocks: 0
; VGPRBlocks: 0
; NumSGPRsForWavesPerEU: 4
; NumVGPRsForWavesPerEU: 1
; AccumOffset: 4
; Occupancy: 8
; WaveLimiterHint : 0
; COMPUTE_PGM_RSRC2:SCRATCH_EN: 0
; COMPUTE_PGM_RSRC2:USER_SGPR: 6
; COMPUTE_PGM_RSRC2:TRAP_HANDLER: 0
; COMPUTE_PGM_RSRC2:TGID_X_EN: 1
; COMPUTE_PGM_RSRC2:TGID_Y_EN: 0
; COMPUTE_PGM_RSRC2:TGID_Z_EN: 0
; COMPUTE_PGM_RSRC2:TIDIG_COMP_CNT: 0
; COMPUTE_PGM_RSRC3_GFX90A:ACCUM_OFFSET: 0
; COMPUTE_PGM_RSRC3_GFX90A:TG_SPLIT: 0
	.section	.text._ZN7rocprim17ROCPRIM_400000_NS6detail17trampoline_kernelINS0_13select_configILj256ELj13ELNS0_17block_load_methodE3ELS4_3ELS4_3ELNS0_20block_scan_algorithmE0ELj4294967295EEENS1_25partition_config_selectorILNS1_17partition_subalgoE4EjNS0_10empty_typeEbEEZZNS1_14partition_implILS8_4ELb0ES6_15HIP_vector_typeIjLj2EENS0_17counting_iteratorIjlEEPS9_SG_NS0_5tupleIJPjSI_NS0_16reverse_iteratorISI_EEEEENSH_IJSG_SG_SG_EEES9_SI_JZNS1_25segmented_radix_sort_implINS0_14default_configELb1EPKlPlSQ_SR_N2at6native12_GLOBAL__N_18offset_tEEE10hipError_tPvRmT1_PNSt15iterator_traitsISZ_E10value_typeET2_T3_PNS10_IS15_E10value_typeET4_jRbjT5_S1B_jjP12ihipStream_tbEUljE_ZNSN_ISO_Lb1ESQ_SR_SQ_SR_SV_EESW_SX_SY_SZ_S13_S14_S15_S18_S19_jS1A_jS1B_S1B_jjS1D_bEUljE0_EEESW_SX_SY_S15_S19_S1B_T6_T7_T9_mT8_S1D_bDpT10_ENKUlT_T0_E_clISt17integral_constantIbLb0EES1Q_IbLb1EEEEDaS1M_S1N_EUlS1M_E_NS1_11comp_targetILNS1_3genE8ELNS1_11target_archE1030ELNS1_3gpuE2ELNS1_3repE0EEENS1_30default_config_static_selectorELNS0_4arch9wavefront6targetE1EEEvSZ_,"axG",@progbits,_ZN7rocprim17ROCPRIM_400000_NS6detail17trampoline_kernelINS0_13select_configILj256ELj13ELNS0_17block_load_methodE3ELS4_3ELS4_3ELNS0_20block_scan_algorithmE0ELj4294967295EEENS1_25partition_config_selectorILNS1_17partition_subalgoE4EjNS0_10empty_typeEbEEZZNS1_14partition_implILS8_4ELb0ES6_15HIP_vector_typeIjLj2EENS0_17counting_iteratorIjlEEPS9_SG_NS0_5tupleIJPjSI_NS0_16reverse_iteratorISI_EEEEENSH_IJSG_SG_SG_EEES9_SI_JZNS1_25segmented_radix_sort_implINS0_14default_configELb1EPKlPlSQ_SR_N2at6native12_GLOBAL__N_18offset_tEEE10hipError_tPvRmT1_PNSt15iterator_traitsISZ_E10value_typeET2_T3_PNS10_IS15_E10value_typeET4_jRbjT5_S1B_jjP12ihipStream_tbEUljE_ZNSN_ISO_Lb1ESQ_SR_SQ_SR_SV_EESW_SX_SY_SZ_S13_S14_S15_S18_S19_jS1A_jS1B_S1B_jjS1D_bEUljE0_EEESW_SX_SY_S15_S19_S1B_T6_T7_T9_mT8_S1D_bDpT10_ENKUlT_T0_E_clISt17integral_constantIbLb0EES1Q_IbLb1EEEEDaS1M_S1N_EUlS1M_E_NS1_11comp_targetILNS1_3genE8ELNS1_11target_archE1030ELNS1_3gpuE2ELNS1_3repE0EEENS1_30default_config_static_selectorELNS0_4arch9wavefront6targetE1EEEvSZ_,comdat
	.globl	_ZN7rocprim17ROCPRIM_400000_NS6detail17trampoline_kernelINS0_13select_configILj256ELj13ELNS0_17block_load_methodE3ELS4_3ELS4_3ELNS0_20block_scan_algorithmE0ELj4294967295EEENS1_25partition_config_selectorILNS1_17partition_subalgoE4EjNS0_10empty_typeEbEEZZNS1_14partition_implILS8_4ELb0ES6_15HIP_vector_typeIjLj2EENS0_17counting_iteratorIjlEEPS9_SG_NS0_5tupleIJPjSI_NS0_16reverse_iteratorISI_EEEEENSH_IJSG_SG_SG_EEES9_SI_JZNS1_25segmented_radix_sort_implINS0_14default_configELb1EPKlPlSQ_SR_N2at6native12_GLOBAL__N_18offset_tEEE10hipError_tPvRmT1_PNSt15iterator_traitsISZ_E10value_typeET2_T3_PNS10_IS15_E10value_typeET4_jRbjT5_S1B_jjP12ihipStream_tbEUljE_ZNSN_ISO_Lb1ESQ_SR_SQ_SR_SV_EESW_SX_SY_SZ_S13_S14_S15_S18_S19_jS1A_jS1B_S1B_jjS1D_bEUljE0_EEESW_SX_SY_S15_S19_S1B_T6_T7_T9_mT8_S1D_bDpT10_ENKUlT_T0_E_clISt17integral_constantIbLb0EES1Q_IbLb1EEEEDaS1M_S1N_EUlS1M_E_NS1_11comp_targetILNS1_3genE8ELNS1_11target_archE1030ELNS1_3gpuE2ELNS1_3repE0EEENS1_30default_config_static_selectorELNS0_4arch9wavefront6targetE1EEEvSZ_ ; -- Begin function _ZN7rocprim17ROCPRIM_400000_NS6detail17trampoline_kernelINS0_13select_configILj256ELj13ELNS0_17block_load_methodE3ELS4_3ELS4_3ELNS0_20block_scan_algorithmE0ELj4294967295EEENS1_25partition_config_selectorILNS1_17partition_subalgoE4EjNS0_10empty_typeEbEEZZNS1_14partition_implILS8_4ELb0ES6_15HIP_vector_typeIjLj2EENS0_17counting_iteratorIjlEEPS9_SG_NS0_5tupleIJPjSI_NS0_16reverse_iteratorISI_EEEEENSH_IJSG_SG_SG_EEES9_SI_JZNS1_25segmented_radix_sort_implINS0_14default_configELb1EPKlPlSQ_SR_N2at6native12_GLOBAL__N_18offset_tEEE10hipError_tPvRmT1_PNSt15iterator_traitsISZ_E10value_typeET2_T3_PNS10_IS15_E10value_typeET4_jRbjT5_S1B_jjP12ihipStream_tbEUljE_ZNSN_ISO_Lb1ESQ_SR_SQ_SR_SV_EESW_SX_SY_SZ_S13_S14_S15_S18_S19_jS1A_jS1B_S1B_jjS1D_bEUljE0_EEESW_SX_SY_S15_S19_S1B_T6_T7_T9_mT8_S1D_bDpT10_ENKUlT_T0_E_clISt17integral_constantIbLb0EES1Q_IbLb1EEEEDaS1M_S1N_EUlS1M_E_NS1_11comp_targetILNS1_3genE8ELNS1_11target_archE1030ELNS1_3gpuE2ELNS1_3repE0EEENS1_30default_config_static_selectorELNS0_4arch9wavefront6targetE1EEEvSZ_
	.p2align	8
	.type	_ZN7rocprim17ROCPRIM_400000_NS6detail17trampoline_kernelINS0_13select_configILj256ELj13ELNS0_17block_load_methodE3ELS4_3ELS4_3ELNS0_20block_scan_algorithmE0ELj4294967295EEENS1_25partition_config_selectorILNS1_17partition_subalgoE4EjNS0_10empty_typeEbEEZZNS1_14partition_implILS8_4ELb0ES6_15HIP_vector_typeIjLj2EENS0_17counting_iteratorIjlEEPS9_SG_NS0_5tupleIJPjSI_NS0_16reverse_iteratorISI_EEEEENSH_IJSG_SG_SG_EEES9_SI_JZNS1_25segmented_radix_sort_implINS0_14default_configELb1EPKlPlSQ_SR_N2at6native12_GLOBAL__N_18offset_tEEE10hipError_tPvRmT1_PNSt15iterator_traitsISZ_E10value_typeET2_T3_PNS10_IS15_E10value_typeET4_jRbjT5_S1B_jjP12ihipStream_tbEUljE_ZNSN_ISO_Lb1ESQ_SR_SQ_SR_SV_EESW_SX_SY_SZ_S13_S14_S15_S18_S19_jS1A_jS1B_S1B_jjS1D_bEUljE0_EEESW_SX_SY_S15_S19_S1B_T6_T7_T9_mT8_S1D_bDpT10_ENKUlT_T0_E_clISt17integral_constantIbLb0EES1Q_IbLb1EEEEDaS1M_S1N_EUlS1M_E_NS1_11comp_targetILNS1_3genE8ELNS1_11target_archE1030ELNS1_3gpuE2ELNS1_3repE0EEENS1_30default_config_static_selectorELNS0_4arch9wavefront6targetE1EEEvSZ_,@function
_ZN7rocprim17ROCPRIM_400000_NS6detail17trampoline_kernelINS0_13select_configILj256ELj13ELNS0_17block_load_methodE3ELS4_3ELS4_3ELNS0_20block_scan_algorithmE0ELj4294967295EEENS1_25partition_config_selectorILNS1_17partition_subalgoE4EjNS0_10empty_typeEbEEZZNS1_14partition_implILS8_4ELb0ES6_15HIP_vector_typeIjLj2EENS0_17counting_iteratorIjlEEPS9_SG_NS0_5tupleIJPjSI_NS0_16reverse_iteratorISI_EEEEENSH_IJSG_SG_SG_EEES9_SI_JZNS1_25segmented_radix_sort_implINS0_14default_configELb1EPKlPlSQ_SR_N2at6native12_GLOBAL__N_18offset_tEEE10hipError_tPvRmT1_PNSt15iterator_traitsISZ_E10value_typeET2_T3_PNS10_IS15_E10value_typeET4_jRbjT5_S1B_jjP12ihipStream_tbEUljE_ZNSN_ISO_Lb1ESQ_SR_SQ_SR_SV_EESW_SX_SY_SZ_S13_S14_S15_S18_S19_jS1A_jS1B_S1B_jjS1D_bEUljE0_EEESW_SX_SY_S15_S19_S1B_T6_T7_T9_mT8_S1D_bDpT10_ENKUlT_T0_E_clISt17integral_constantIbLb0EES1Q_IbLb1EEEEDaS1M_S1N_EUlS1M_E_NS1_11comp_targetILNS1_3genE8ELNS1_11target_archE1030ELNS1_3gpuE2ELNS1_3repE0EEENS1_30default_config_static_selectorELNS0_4arch9wavefront6targetE1EEEvSZ_: ; @_ZN7rocprim17ROCPRIM_400000_NS6detail17trampoline_kernelINS0_13select_configILj256ELj13ELNS0_17block_load_methodE3ELS4_3ELS4_3ELNS0_20block_scan_algorithmE0ELj4294967295EEENS1_25partition_config_selectorILNS1_17partition_subalgoE4EjNS0_10empty_typeEbEEZZNS1_14partition_implILS8_4ELb0ES6_15HIP_vector_typeIjLj2EENS0_17counting_iteratorIjlEEPS9_SG_NS0_5tupleIJPjSI_NS0_16reverse_iteratorISI_EEEEENSH_IJSG_SG_SG_EEES9_SI_JZNS1_25segmented_radix_sort_implINS0_14default_configELb1EPKlPlSQ_SR_N2at6native12_GLOBAL__N_18offset_tEEE10hipError_tPvRmT1_PNSt15iterator_traitsISZ_E10value_typeET2_T3_PNS10_IS15_E10value_typeET4_jRbjT5_S1B_jjP12ihipStream_tbEUljE_ZNSN_ISO_Lb1ESQ_SR_SQ_SR_SV_EESW_SX_SY_SZ_S13_S14_S15_S18_S19_jS1A_jS1B_S1B_jjS1D_bEUljE0_EEESW_SX_SY_S15_S19_S1B_T6_T7_T9_mT8_S1D_bDpT10_ENKUlT_T0_E_clISt17integral_constantIbLb0EES1Q_IbLb1EEEEDaS1M_S1N_EUlS1M_E_NS1_11comp_targetILNS1_3genE8ELNS1_11target_archE1030ELNS1_3gpuE2ELNS1_3repE0EEENS1_30default_config_static_selectorELNS0_4arch9wavefront6targetE1EEEvSZ_
; %bb.0:
	.section	.rodata,"a",@progbits
	.p2align	6, 0x0
	.amdhsa_kernel _ZN7rocprim17ROCPRIM_400000_NS6detail17trampoline_kernelINS0_13select_configILj256ELj13ELNS0_17block_load_methodE3ELS4_3ELS4_3ELNS0_20block_scan_algorithmE0ELj4294967295EEENS1_25partition_config_selectorILNS1_17partition_subalgoE4EjNS0_10empty_typeEbEEZZNS1_14partition_implILS8_4ELb0ES6_15HIP_vector_typeIjLj2EENS0_17counting_iteratorIjlEEPS9_SG_NS0_5tupleIJPjSI_NS0_16reverse_iteratorISI_EEEEENSH_IJSG_SG_SG_EEES9_SI_JZNS1_25segmented_radix_sort_implINS0_14default_configELb1EPKlPlSQ_SR_N2at6native12_GLOBAL__N_18offset_tEEE10hipError_tPvRmT1_PNSt15iterator_traitsISZ_E10value_typeET2_T3_PNS10_IS15_E10value_typeET4_jRbjT5_S1B_jjP12ihipStream_tbEUljE_ZNSN_ISO_Lb1ESQ_SR_SQ_SR_SV_EESW_SX_SY_SZ_S13_S14_S15_S18_S19_jS1A_jS1B_S1B_jjS1D_bEUljE0_EEESW_SX_SY_S15_S19_S1B_T6_T7_T9_mT8_S1D_bDpT10_ENKUlT_T0_E_clISt17integral_constantIbLb0EES1Q_IbLb1EEEEDaS1M_S1N_EUlS1M_E_NS1_11comp_targetILNS1_3genE8ELNS1_11target_archE1030ELNS1_3gpuE2ELNS1_3repE0EEENS1_30default_config_static_selectorELNS0_4arch9wavefront6targetE1EEEvSZ_
		.amdhsa_group_segment_fixed_size 0
		.amdhsa_private_segment_fixed_size 0
		.amdhsa_kernarg_size 184
		.amdhsa_user_sgpr_count 6
		.amdhsa_user_sgpr_private_segment_buffer 1
		.amdhsa_user_sgpr_dispatch_ptr 0
		.amdhsa_user_sgpr_queue_ptr 0
		.amdhsa_user_sgpr_kernarg_segment_ptr 1
		.amdhsa_user_sgpr_dispatch_id 0
		.amdhsa_user_sgpr_flat_scratch_init 0
		.amdhsa_user_sgpr_kernarg_preload_length 0
		.amdhsa_user_sgpr_kernarg_preload_offset 0
		.amdhsa_user_sgpr_private_segment_size 0
		.amdhsa_uses_dynamic_stack 0
		.amdhsa_system_sgpr_private_segment_wavefront_offset 0
		.amdhsa_system_sgpr_workgroup_id_x 1
		.amdhsa_system_sgpr_workgroup_id_y 0
		.amdhsa_system_sgpr_workgroup_id_z 0
		.amdhsa_system_sgpr_workgroup_info 0
		.amdhsa_system_vgpr_workitem_id 0
		.amdhsa_next_free_vgpr 1
		.amdhsa_next_free_sgpr 0
		.amdhsa_accum_offset 4
		.amdhsa_reserve_vcc 0
		.amdhsa_reserve_flat_scratch 0
		.amdhsa_float_round_mode_32 0
		.amdhsa_float_round_mode_16_64 0
		.amdhsa_float_denorm_mode_32 3
		.amdhsa_float_denorm_mode_16_64 3
		.amdhsa_dx10_clamp 1
		.amdhsa_ieee_mode 1
		.amdhsa_fp16_overflow 0
		.amdhsa_tg_split 0
		.amdhsa_exception_fp_ieee_invalid_op 0
		.amdhsa_exception_fp_denorm_src 0
		.amdhsa_exception_fp_ieee_div_zero 0
		.amdhsa_exception_fp_ieee_overflow 0
		.amdhsa_exception_fp_ieee_underflow 0
		.amdhsa_exception_fp_ieee_inexact 0
		.amdhsa_exception_int_div_zero 0
	.end_amdhsa_kernel
	.section	.text._ZN7rocprim17ROCPRIM_400000_NS6detail17trampoline_kernelINS0_13select_configILj256ELj13ELNS0_17block_load_methodE3ELS4_3ELS4_3ELNS0_20block_scan_algorithmE0ELj4294967295EEENS1_25partition_config_selectorILNS1_17partition_subalgoE4EjNS0_10empty_typeEbEEZZNS1_14partition_implILS8_4ELb0ES6_15HIP_vector_typeIjLj2EENS0_17counting_iteratorIjlEEPS9_SG_NS0_5tupleIJPjSI_NS0_16reverse_iteratorISI_EEEEENSH_IJSG_SG_SG_EEES9_SI_JZNS1_25segmented_radix_sort_implINS0_14default_configELb1EPKlPlSQ_SR_N2at6native12_GLOBAL__N_18offset_tEEE10hipError_tPvRmT1_PNSt15iterator_traitsISZ_E10value_typeET2_T3_PNS10_IS15_E10value_typeET4_jRbjT5_S1B_jjP12ihipStream_tbEUljE_ZNSN_ISO_Lb1ESQ_SR_SQ_SR_SV_EESW_SX_SY_SZ_S13_S14_S15_S18_S19_jS1A_jS1B_S1B_jjS1D_bEUljE0_EEESW_SX_SY_S15_S19_S1B_T6_T7_T9_mT8_S1D_bDpT10_ENKUlT_T0_E_clISt17integral_constantIbLb0EES1Q_IbLb1EEEEDaS1M_S1N_EUlS1M_E_NS1_11comp_targetILNS1_3genE8ELNS1_11target_archE1030ELNS1_3gpuE2ELNS1_3repE0EEENS1_30default_config_static_selectorELNS0_4arch9wavefront6targetE1EEEvSZ_,"axG",@progbits,_ZN7rocprim17ROCPRIM_400000_NS6detail17trampoline_kernelINS0_13select_configILj256ELj13ELNS0_17block_load_methodE3ELS4_3ELS4_3ELNS0_20block_scan_algorithmE0ELj4294967295EEENS1_25partition_config_selectorILNS1_17partition_subalgoE4EjNS0_10empty_typeEbEEZZNS1_14partition_implILS8_4ELb0ES6_15HIP_vector_typeIjLj2EENS0_17counting_iteratorIjlEEPS9_SG_NS0_5tupleIJPjSI_NS0_16reverse_iteratorISI_EEEEENSH_IJSG_SG_SG_EEES9_SI_JZNS1_25segmented_radix_sort_implINS0_14default_configELb1EPKlPlSQ_SR_N2at6native12_GLOBAL__N_18offset_tEEE10hipError_tPvRmT1_PNSt15iterator_traitsISZ_E10value_typeET2_T3_PNS10_IS15_E10value_typeET4_jRbjT5_S1B_jjP12ihipStream_tbEUljE_ZNSN_ISO_Lb1ESQ_SR_SQ_SR_SV_EESW_SX_SY_SZ_S13_S14_S15_S18_S19_jS1A_jS1B_S1B_jjS1D_bEUljE0_EEESW_SX_SY_S15_S19_S1B_T6_T7_T9_mT8_S1D_bDpT10_ENKUlT_T0_E_clISt17integral_constantIbLb0EES1Q_IbLb1EEEEDaS1M_S1N_EUlS1M_E_NS1_11comp_targetILNS1_3genE8ELNS1_11target_archE1030ELNS1_3gpuE2ELNS1_3repE0EEENS1_30default_config_static_selectorELNS0_4arch9wavefront6targetE1EEEvSZ_,comdat
.Lfunc_end671:
	.size	_ZN7rocprim17ROCPRIM_400000_NS6detail17trampoline_kernelINS0_13select_configILj256ELj13ELNS0_17block_load_methodE3ELS4_3ELS4_3ELNS0_20block_scan_algorithmE0ELj4294967295EEENS1_25partition_config_selectorILNS1_17partition_subalgoE4EjNS0_10empty_typeEbEEZZNS1_14partition_implILS8_4ELb0ES6_15HIP_vector_typeIjLj2EENS0_17counting_iteratorIjlEEPS9_SG_NS0_5tupleIJPjSI_NS0_16reverse_iteratorISI_EEEEENSH_IJSG_SG_SG_EEES9_SI_JZNS1_25segmented_radix_sort_implINS0_14default_configELb1EPKlPlSQ_SR_N2at6native12_GLOBAL__N_18offset_tEEE10hipError_tPvRmT1_PNSt15iterator_traitsISZ_E10value_typeET2_T3_PNS10_IS15_E10value_typeET4_jRbjT5_S1B_jjP12ihipStream_tbEUljE_ZNSN_ISO_Lb1ESQ_SR_SQ_SR_SV_EESW_SX_SY_SZ_S13_S14_S15_S18_S19_jS1A_jS1B_S1B_jjS1D_bEUljE0_EEESW_SX_SY_S15_S19_S1B_T6_T7_T9_mT8_S1D_bDpT10_ENKUlT_T0_E_clISt17integral_constantIbLb0EES1Q_IbLb1EEEEDaS1M_S1N_EUlS1M_E_NS1_11comp_targetILNS1_3genE8ELNS1_11target_archE1030ELNS1_3gpuE2ELNS1_3repE0EEENS1_30default_config_static_selectorELNS0_4arch9wavefront6targetE1EEEvSZ_, .Lfunc_end671-_ZN7rocprim17ROCPRIM_400000_NS6detail17trampoline_kernelINS0_13select_configILj256ELj13ELNS0_17block_load_methodE3ELS4_3ELS4_3ELNS0_20block_scan_algorithmE0ELj4294967295EEENS1_25partition_config_selectorILNS1_17partition_subalgoE4EjNS0_10empty_typeEbEEZZNS1_14partition_implILS8_4ELb0ES6_15HIP_vector_typeIjLj2EENS0_17counting_iteratorIjlEEPS9_SG_NS0_5tupleIJPjSI_NS0_16reverse_iteratorISI_EEEEENSH_IJSG_SG_SG_EEES9_SI_JZNS1_25segmented_radix_sort_implINS0_14default_configELb1EPKlPlSQ_SR_N2at6native12_GLOBAL__N_18offset_tEEE10hipError_tPvRmT1_PNSt15iterator_traitsISZ_E10value_typeET2_T3_PNS10_IS15_E10value_typeET4_jRbjT5_S1B_jjP12ihipStream_tbEUljE_ZNSN_ISO_Lb1ESQ_SR_SQ_SR_SV_EESW_SX_SY_SZ_S13_S14_S15_S18_S19_jS1A_jS1B_S1B_jjS1D_bEUljE0_EEESW_SX_SY_S15_S19_S1B_T6_T7_T9_mT8_S1D_bDpT10_ENKUlT_T0_E_clISt17integral_constantIbLb0EES1Q_IbLb1EEEEDaS1M_S1N_EUlS1M_E_NS1_11comp_targetILNS1_3genE8ELNS1_11target_archE1030ELNS1_3gpuE2ELNS1_3repE0EEENS1_30default_config_static_selectorELNS0_4arch9wavefront6targetE1EEEvSZ_
                                        ; -- End function
	.section	.AMDGPU.csdata,"",@progbits
; Kernel info:
; codeLenInByte = 0
; NumSgprs: 4
; NumVgprs: 0
; NumAgprs: 0
; TotalNumVgprs: 0
; ScratchSize: 0
; MemoryBound: 0
; FloatMode: 240
; IeeeMode: 1
; LDSByteSize: 0 bytes/workgroup (compile time only)
; SGPRBlocks: 0
; VGPRBlocks: 0
; NumSGPRsForWavesPerEU: 4
; NumVGPRsForWavesPerEU: 1
; AccumOffset: 4
; Occupancy: 8
; WaveLimiterHint : 0
; COMPUTE_PGM_RSRC2:SCRATCH_EN: 0
; COMPUTE_PGM_RSRC2:USER_SGPR: 6
; COMPUTE_PGM_RSRC2:TRAP_HANDLER: 0
; COMPUTE_PGM_RSRC2:TGID_X_EN: 1
; COMPUTE_PGM_RSRC2:TGID_Y_EN: 0
; COMPUTE_PGM_RSRC2:TGID_Z_EN: 0
; COMPUTE_PGM_RSRC2:TIDIG_COMP_CNT: 0
; COMPUTE_PGM_RSRC3_GFX90A:ACCUM_OFFSET: 0
; COMPUTE_PGM_RSRC3_GFX90A:TG_SPLIT: 0
	.section	.text._ZN7rocprim17ROCPRIM_400000_NS6detail17trampoline_kernelINS0_13select_configILj256ELj13ELNS0_17block_load_methodE3ELS4_3ELS4_3ELNS0_20block_scan_algorithmE0ELj4294967295EEENS1_25partition_config_selectorILNS1_17partition_subalgoE3EjNS0_10empty_typeEbEEZZNS1_14partition_implILS8_3ELb0ES6_jNS0_17counting_iteratorIjlEEPS9_SE_NS0_5tupleIJPjSE_EEENSF_IJSE_SE_EEES9_SG_JZNS1_25segmented_radix_sort_implINS0_14default_configELb1EPKlPlSM_SN_N2at6native12_GLOBAL__N_18offset_tEEE10hipError_tPvRmT1_PNSt15iterator_traitsISV_E10value_typeET2_T3_PNSW_IS11_E10value_typeET4_jRbjT5_S17_jjP12ihipStream_tbEUljE_EEESS_ST_SU_S11_S15_S17_T6_T7_T9_mT8_S19_bDpT10_ENKUlT_T0_E_clISt17integral_constantIbLb0EES1M_EEDaS1H_S1I_EUlS1H_E_NS1_11comp_targetILNS1_3genE0ELNS1_11target_archE4294967295ELNS1_3gpuE0ELNS1_3repE0EEENS1_30default_config_static_selectorELNS0_4arch9wavefront6targetE1EEEvSV_,"axG",@progbits,_ZN7rocprim17ROCPRIM_400000_NS6detail17trampoline_kernelINS0_13select_configILj256ELj13ELNS0_17block_load_methodE3ELS4_3ELS4_3ELNS0_20block_scan_algorithmE0ELj4294967295EEENS1_25partition_config_selectorILNS1_17partition_subalgoE3EjNS0_10empty_typeEbEEZZNS1_14partition_implILS8_3ELb0ES6_jNS0_17counting_iteratorIjlEEPS9_SE_NS0_5tupleIJPjSE_EEENSF_IJSE_SE_EEES9_SG_JZNS1_25segmented_radix_sort_implINS0_14default_configELb1EPKlPlSM_SN_N2at6native12_GLOBAL__N_18offset_tEEE10hipError_tPvRmT1_PNSt15iterator_traitsISV_E10value_typeET2_T3_PNSW_IS11_E10value_typeET4_jRbjT5_S17_jjP12ihipStream_tbEUljE_EEESS_ST_SU_S11_S15_S17_T6_T7_T9_mT8_S19_bDpT10_ENKUlT_T0_E_clISt17integral_constantIbLb0EES1M_EEDaS1H_S1I_EUlS1H_E_NS1_11comp_targetILNS1_3genE0ELNS1_11target_archE4294967295ELNS1_3gpuE0ELNS1_3repE0EEENS1_30default_config_static_selectorELNS0_4arch9wavefront6targetE1EEEvSV_,comdat
	.globl	_ZN7rocprim17ROCPRIM_400000_NS6detail17trampoline_kernelINS0_13select_configILj256ELj13ELNS0_17block_load_methodE3ELS4_3ELS4_3ELNS0_20block_scan_algorithmE0ELj4294967295EEENS1_25partition_config_selectorILNS1_17partition_subalgoE3EjNS0_10empty_typeEbEEZZNS1_14partition_implILS8_3ELb0ES6_jNS0_17counting_iteratorIjlEEPS9_SE_NS0_5tupleIJPjSE_EEENSF_IJSE_SE_EEES9_SG_JZNS1_25segmented_radix_sort_implINS0_14default_configELb1EPKlPlSM_SN_N2at6native12_GLOBAL__N_18offset_tEEE10hipError_tPvRmT1_PNSt15iterator_traitsISV_E10value_typeET2_T3_PNSW_IS11_E10value_typeET4_jRbjT5_S17_jjP12ihipStream_tbEUljE_EEESS_ST_SU_S11_S15_S17_T6_T7_T9_mT8_S19_bDpT10_ENKUlT_T0_E_clISt17integral_constantIbLb0EES1M_EEDaS1H_S1I_EUlS1H_E_NS1_11comp_targetILNS1_3genE0ELNS1_11target_archE4294967295ELNS1_3gpuE0ELNS1_3repE0EEENS1_30default_config_static_selectorELNS0_4arch9wavefront6targetE1EEEvSV_ ; -- Begin function _ZN7rocprim17ROCPRIM_400000_NS6detail17trampoline_kernelINS0_13select_configILj256ELj13ELNS0_17block_load_methodE3ELS4_3ELS4_3ELNS0_20block_scan_algorithmE0ELj4294967295EEENS1_25partition_config_selectorILNS1_17partition_subalgoE3EjNS0_10empty_typeEbEEZZNS1_14partition_implILS8_3ELb0ES6_jNS0_17counting_iteratorIjlEEPS9_SE_NS0_5tupleIJPjSE_EEENSF_IJSE_SE_EEES9_SG_JZNS1_25segmented_radix_sort_implINS0_14default_configELb1EPKlPlSM_SN_N2at6native12_GLOBAL__N_18offset_tEEE10hipError_tPvRmT1_PNSt15iterator_traitsISV_E10value_typeET2_T3_PNSW_IS11_E10value_typeET4_jRbjT5_S17_jjP12ihipStream_tbEUljE_EEESS_ST_SU_S11_S15_S17_T6_T7_T9_mT8_S19_bDpT10_ENKUlT_T0_E_clISt17integral_constantIbLb0EES1M_EEDaS1H_S1I_EUlS1H_E_NS1_11comp_targetILNS1_3genE0ELNS1_11target_archE4294967295ELNS1_3gpuE0ELNS1_3repE0EEENS1_30default_config_static_selectorELNS0_4arch9wavefront6targetE1EEEvSV_
	.p2align	8
	.type	_ZN7rocprim17ROCPRIM_400000_NS6detail17trampoline_kernelINS0_13select_configILj256ELj13ELNS0_17block_load_methodE3ELS4_3ELS4_3ELNS0_20block_scan_algorithmE0ELj4294967295EEENS1_25partition_config_selectorILNS1_17partition_subalgoE3EjNS0_10empty_typeEbEEZZNS1_14partition_implILS8_3ELb0ES6_jNS0_17counting_iteratorIjlEEPS9_SE_NS0_5tupleIJPjSE_EEENSF_IJSE_SE_EEES9_SG_JZNS1_25segmented_radix_sort_implINS0_14default_configELb1EPKlPlSM_SN_N2at6native12_GLOBAL__N_18offset_tEEE10hipError_tPvRmT1_PNSt15iterator_traitsISV_E10value_typeET2_T3_PNSW_IS11_E10value_typeET4_jRbjT5_S17_jjP12ihipStream_tbEUljE_EEESS_ST_SU_S11_S15_S17_T6_T7_T9_mT8_S19_bDpT10_ENKUlT_T0_E_clISt17integral_constantIbLb0EES1M_EEDaS1H_S1I_EUlS1H_E_NS1_11comp_targetILNS1_3genE0ELNS1_11target_archE4294967295ELNS1_3gpuE0ELNS1_3repE0EEENS1_30default_config_static_selectorELNS0_4arch9wavefront6targetE1EEEvSV_,@function
_ZN7rocprim17ROCPRIM_400000_NS6detail17trampoline_kernelINS0_13select_configILj256ELj13ELNS0_17block_load_methodE3ELS4_3ELS4_3ELNS0_20block_scan_algorithmE0ELj4294967295EEENS1_25partition_config_selectorILNS1_17partition_subalgoE3EjNS0_10empty_typeEbEEZZNS1_14partition_implILS8_3ELb0ES6_jNS0_17counting_iteratorIjlEEPS9_SE_NS0_5tupleIJPjSE_EEENSF_IJSE_SE_EEES9_SG_JZNS1_25segmented_radix_sort_implINS0_14default_configELb1EPKlPlSM_SN_N2at6native12_GLOBAL__N_18offset_tEEE10hipError_tPvRmT1_PNSt15iterator_traitsISV_E10value_typeET2_T3_PNSW_IS11_E10value_typeET4_jRbjT5_S17_jjP12ihipStream_tbEUljE_EEESS_ST_SU_S11_S15_S17_T6_T7_T9_mT8_S19_bDpT10_ENKUlT_T0_E_clISt17integral_constantIbLb0EES1M_EEDaS1H_S1I_EUlS1H_E_NS1_11comp_targetILNS1_3genE0ELNS1_11target_archE4294967295ELNS1_3gpuE0ELNS1_3repE0EEENS1_30default_config_static_selectorELNS0_4arch9wavefront6targetE1EEEvSV_: ; @_ZN7rocprim17ROCPRIM_400000_NS6detail17trampoline_kernelINS0_13select_configILj256ELj13ELNS0_17block_load_methodE3ELS4_3ELS4_3ELNS0_20block_scan_algorithmE0ELj4294967295EEENS1_25partition_config_selectorILNS1_17partition_subalgoE3EjNS0_10empty_typeEbEEZZNS1_14partition_implILS8_3ELb0ES6_jNS0_17counting_iteratorIjlEEPS9_SE_NS0_5tupleIJPjSE_EEENSF_IJSE_SE_EEES9_SG_JZNS1_25segmented_radix_sort_implINS0_14default_configELb1EPKlPlSM_SN_N2at6native12_GLOBAL__N_18offset_tEEE10hipError_tPvRmT1_PNSt15iterator_traitsISV_E10value_typeET2_T3_PNSW_IS11_E10value_typeET4_jRbjT5_S17_jjP12ihipStream_tbEUljE_EEESS_ST_SU_S11_S15_S17_T6_T7_T9_mT8_S19_bDpT10_ENKUlT_T0_E_clISt17integral_constantIbLb0EES1M_EEDaS1H_S1I_EUlS1H_E_NS1_11comp_targetILNS1_3genE0ELNS1_11target_archE4294967295ELNS1_3gpuE0ELNS1_3repE0EEENS1_30default_config_static_selectorELNS0_4arch9wavefront6targetE1EEEvSV_
; %bb.0:
	.section	.rodata,"a",@progbits
	.p2align	6, 0x0
	.amdhsa_kernel _ZN7rocprim17ROCPRIM_400000_NS6detail17trampoline_kernelINS0_13select_configILj256ELj13ELNS0_17block_load_methodE3ELS4_3ELS4_3ELNS0_20block_scan_algorithmE0ELj4294967295EEENS1_25partition_config_selectorILNS1_17partition_subalgoE3EjNS0_10empty_typeEbEEZZNS1_14partition_implILS8_3ELb0ES6_jNS0_17counting_iteratorIjlEEPS9_SE_NS0_5tupleIJPjSE_EEENSF_IJSE_SE_EEES9_SG_JZNS1_25segmented_radix_sort_implINS0_14default_configELb1EPKlPlSM_SN_N2at6native12_GLOBAL__N_18offset_tEEE10hipError_tPvRmT1_PNSt15iterator_traitsISV_E10value_typeET2_T3_PNSW_IS11_E10value_typeET4_jRbjT5_S17_jjP12ihipStream_tbEUljE_EEESS_ST_SU_S11_S15_S17_T6_T7_T9_mT8_S19_bDpT10_ENKUlT_T0_E_clISt17integral_constantIbLb0EES1M_EEDaS1H_S1I_EUlS1H_E_NS1_11comp_targetILNS1_3genE0ELNS1_11target_archE4294967295ELNS1_3gpuE0ELNS1_3repE0EEENS1_30default_config_static_selectorELNS0_4arch9wavefront6targetE1EEEvSV_
		.amdhsa_group_segment_fixed_size 0
		.amdhsa_private_segment_fixed_size 0
		.amdhsa_kernarg_size 144
		.amdhsa_user_sgpr_count 6
		.amdhsa_user_sgpr_private_segment_buffer 1
		.amdhsa_user_sgpr_dispatch_ptr 0
		.amdhsa_user_sgpr_queue_ptr 0
		.amdhsa_user_sgpr_kernarg_segment_ptr 1
		.amdhsa_user_sgpr_dispatch_id 0
		.amdhsa_user_sgpr_flat_scratch_init 0
		.amdhsa_user_sgpr_kernarg_preload_length 0
		.amdhsa_user_sgpr_kernarg_preload_offset 0
		.amdhsa_user_sgpr_private_segment_size 0
		.amdhsa_uses_dynamic_stack 0
		.amdhsa_system_sgpr_private_segment_wavefront_offset 0
		.amdhsa_system_sgpr_workgroup_id_x 1
		.amdhsa_system_sgpr_workgroup_id_y 0
		.amdhsa_system_sgpr_workgroup_id_z 0
		.amdhsa_system_sgpr_workgroup_info 0
		.amdhsa_system_vgpr_workitem_id 0
		.amdhsa_next_free_vgpr 1
		.amdhsa_next_free_sgpr 0
		.amdhsa_accum_offset 4
		.amdhsa_reserve_vcc 0
		.amdhsa_reserve_flat_scratch 0
		.amdhsa_float_round_mode_32 0
		.amdhsa_float_round_mode_16_64 0
		.amdhsa_float_denorm_mode_32 3
		.amdhsa_float_denorm_mode_16_64 3
		.amdhsa_dx10_clamp 1
		.amdhsa_ieee_mode 1
		.amdhsa_fp16_overflow 0
		.amdhsa_tg_split 0
		.amdhsa_exception_fp_ieee_invalid_op 0
		.amdhsa_exception_fp_denorm_src 0
		.amdhsa_exception_fp_ieee_div_zero 0
		.amdhsa_exception_fp_ieee_overflow 0
		.amdhsa_exception_fp_ieee_underflow 0
		.amdhsa_exception_fp_ieee_inexact 0
		.amdhsa_exception_int_div_zero 0
	.end_amdhsa_kernel
	.section	.text._ZN7rocprim17ROCPRIM_400000_NS6detail17trampoline_kernelINS0_13select_configILj256ELj13ELNS0_17block_load_methodE3ELS4_3ELS4_3ELNS0_20block_scan_algorithmE0ELj4294967295EEENS1_25partition_config_selectorILNS1_17partition_subalgoE3EjNS0_10empty_typeEbEEZZNS1_14partition_implILS8_3ELb0ES6_jNS0_17counting_iteratorIjlEEPS9_SE_NS0_5tupleIJPjSE_EEENSF_IJSE_SE_EEES9_SG_JZNS1_25segmented_radix_sort_implINS0_14default_configELb1EPKlPlSM_SN_N2at6native12_GLOBAL__N_18offset_tEEE10hipError_tPvRmT1_PNSt15iterator_traitsISV_E10value_typeET2_T3_PNSW_IS11_E10value_typeET4_jRbjT5_S17_jjP12ihipStream_tbEUljE_EEESS_ST_SU_S11_S15_S17_T6_T7_T9_mT8_S19_bDpT10_ENKUlT_T0_E_clISt17integral_constantIbLb0EES1M_EEDaS1H_S1I_EUlS1H_E_NS1_11comp_targetILNS1_3genE0ELNS1_11target_archE4294967295ELNS1_3gpuE0ELNS1_3repE0EEENS1_30default_config_static_selectorELNS0_4arch9wavefront6targetE1EEEvSV_,"axG",@progbits,_ZN7rocprim17ROCPRIM_400000_NS6detail17trampoline_kernelINS0_13select_configILj256ELj13ELNS0_17block_load_methodE3ELS4_3ELS4_3ELNS0_20block_scan_algorithmE0ELj4294967295EEENS1_25partition_config_selectorILNS1_17partition_subalgoE3EjNS0_10empty_typeEbEEZZNS1_14partition_implILS8_3ELb0ES6_jNS0_17counting_iteratorIjlEEPS9_SE_NS0_5tupleIJPjSE_EEENSF_IJSE_SE_EEES9_SG_JZNS1_25segmented_radix_sort_implINS0_14default_configELb1EPKlPlSM_SN_N2at6native12_GLOBAL__N_18offset_tEEE10hipError_tPvRmT1_PNSt15iterator_traitsISV_E10value_typeET2_T3_PNSW_IS11_E10value_typeET4_jRbjT5_S17_jjP12ihipStream_tbEUljE_EEESS_ST_SU_S11_S15_S17_T6_T7_T9_mT8_S19_bDpT10_ENKUlT_T0_E_clISt17integral_constantIbLb0EES1M_EEDaS1H_S1I_EUlS1H_E_NS1_11comp_targetILNS1_3genE0ELNS1_11target_archE4294967295ELNS1_3gpuE0ELNS1_3repE0EEENS1_30default_config_static_selectorELNS0_4arch9wavefront6targetE1EEEvSV_,comdat
.Lfunc_end672:
	.size	_ZN7rocprim17ROCPRIM_400000_NS6detail17trampoline_kernelINS0_13select_configILj256ELj13ELNS0_17block_load_methodE3ELS4_3ELS4_3ELNS0_20block_scan_algorithmE0ELj4294967295EEENS1_25partition_config_selectorILNS1_17partition_subalgoE3EjNS0_10empty_typeEbEEZZNS1_14partition_implILS8_3ELb0ES6_jNS0_17counting_iteratorIjlEEPS9_SE_NS0_5tupleIJPjSE_EEENSF_IJSE_SE_EEES9_SG_JZNS1_25segmented_radix_sort_implINS0_14default_configELb1EPKlPlSM_SN_N2at6native12_GLOBAL__N_18offset_tEEE10hipError_tPvRmT1_PNSt15iterator_traitsISV_E10value_typeET2_T3_PNSW_IS11_E10value_typeET4_jRbjT5_S17_jjP12ihipStream_tbEUljE_EEESS_ST_SU_S11_S15_S17_T6_T7_T9_mT8_S19_bDpT10_ENKUlT_T0_E_clISt17integral_constantIbLb0EES1M_EEDaS1H_S1I_EUlS1H_E_NS1_11comp_targetILNS1_3genE0ELNS1_11target_archE4294967295ELNS1_3gpuE0ELNS1_3repE0EEENS1_30default_config_static_selectorELNS0_4arch9wavefront6targetE1EEEvSV_, .Lfunc_end672-_ZN7rocprim17ROCPRIM_400000_NS6detail17trampoline_kernelINS0_13select_configILj256ELj13ELNS0_17block_load_methodE3ELS4_3ELS4_3ELNS0_20block_scan_algorithmE0ELj4294967295EEENS1_25partition_config_selectorILNS1_17partition_subalgoE3EjNS0_10empty_typeEbEEZZNS1_14partition_implILS8_3ELb0ES6_jNS0_17counting_iteratorIjlEEPS9_SE_NS0_5tupleIJPjSE_EEENSF_IJSE_SE_EEES9_SG_JZNS1_25segmented_radix_sort_implINS0_14default_configELb1EPKlPlSM_SN_N2at6native12_GLOBAL__N_18offset_tEEE10hipError_tPvRmT1_PNSt15iterator_traitsISV_E10value_typeET2_T3_PNSW_IS11_E10value_typeET4_jRbjT5_S17_jjP12ihipStream_tbEUljE_EEESS_ST_SU_S11_S15_S17_T6_T7_T9_mT8_S19_bDpT10_ENKUlT_T0_E_clISt17integral_constantIbLb0EES1M_EEDaS1H_S1I_EUlS1H_E_NS1_11comp_targetILNS1_3genE0ELNS1_11target_archE4294967295ELNS1_3gpuE0ELNS1_3repE0EEENS1_30default_config_static_selectorELNS0_4arch9wavefront6targetE1EEEvSV_
                                        ; -- End function
	.section	.AMDGPU.csdata,"",@progbits
; Kernel info:
; codeLenInByte = 0
; NumSgprs: 4
; NumVgprs: 0
; NumAgprs: 0
; TotalNumVgprs: 0
; ScratchSize: 0
; MemoryBound: 0
; FloatMode: 240
; IeeeMode: 1
; LDSByteSize: 0 bytes/workgroup (compile time only)
; SGPRBlocks: 0
; VGPRBlocks: 0
; NumSGPRsForWavesPerEU: 4
; NumVGPRsForWavesPerEU: 1
; AccumOffset: 4
; Occupancy: 8
; WaveLimiterHint : 0
; COMPUTE_PGM_RSRC2:SCRATCH_EN: 0
; COMPUTE_PGM_RSRC2:USER_SGPR: 6
; COMPUTE_PGM_RSRC2:TRAP_HANDLER: 0
; COMPUTE_PGM_RSRC2:TGID_X_EN: 1
; COMPUTE_PGM_RSRC2:TGID_Y_EN: 0
; COMPUTE_PGM_RSRC2:TGID_Z_EN: 0
; COMPUTE_PGM_RSRC2:TIDIG_COMP_CNT: 0
; COMPUTE_PGM_RSRC3_GFX90A:ACCUM_OFFSET: 0
; COMPUTE_PGM_RSRC3_GFX90A:TG_SPLIT: 0
	.section	.text._ZN7rocprim17ROCPRIM_400000_NS6detail17trampoline_kernelINS0_13select_configILj256ELj13ELNS0_17block_load_methodE3ELS4_3ELS4_3ELNS0_20block_scan_algorithmE0ELj4294967295EEENS1_25partition_config_selectorILNS1_17partition_subalgoE3EjNS0_10empty_typeEbEEZZNS1_14partition_implILS8_3ELb0ES6_jNS0_17counting_iteratorIjlEEPS9_SE_NS0_5tupleIJPjSE_EEENSF_IJSE_SE_EEES9_SG_JZNS1_25segmented_radix_sort_implINS0_14default_configELb1EPKlPlSM_SN_N2at6native12_GLOBAL__N_18offset_tEEE10hipError_tPvRmT1_PNSt15iterator_traitsISV_E10value_typeET2_T3_PNSW_IS11_E10value_typeET4_jRbjT5_S17_jjP12ihipStream_tbEUljE_EEESS_ST_SU_S11_S15_S17_T6_T7_T9_mT8_S19_bDpT10_ENKUlT_T0_E_clISt17integral_constantIbLb0EES1M_EEDaS1H_S1I_EUlS1H_E_NS1_11comp_targetILNS1_3genE5ELNS1_11target_archE942ELNS1_3gpuE9ELNS1_3repE0EEENS1_30default_config_static_selectorELNS0_4arch9wavefront6targetE1EEEvSV_,"axG",@progbits,_ZN7rocprim17ROCPRIM_400000_NS6detail17trampoline_kernelINS0_13select_configILj256ELj13ELNS0_17block_load_methodE3ELS4_3ELS4_3ELNS0_20block_scan_algorithmE0ELj4294967295EEENS1_25partition_config_selectorILNS1_17partition_subalgoE3EjNS0_10empty_typeEbEEZZNS1_14partition_implILS8_3ELb0ES6_jNS0_17counting_iteratorIjlEEPS9_SE_NS0_5tupleIJPjSE_EEENSF_IJSE_SE_EEES9_SG_JZNS1_25segmented_radix_sort_implINS0_14default_configELb1EPKlPlSM_SN_N2at6native12_GLOBAL__N_18offset_tEEE10hipError_tPvRmT1_PNSt15iterator_traitsISV_E10value_typeET2_T3_PNSW_IS11_E10value_typeET4_jRbjT5_S17_jjP12ihipStream_tbEUljE_EEESS_ST_SU_S11_S15_S17_T6_T7_T9_mT8_S19_bDpT10_ENKUlT_T0_E_clISt17integral_constantIbLb0EES1M_EEDaS1H_S1I_EUlS1H_E_NS1_11comp_targetILNS1_3genE5ELNS1_11target_archE942ELNS1_3gpuE9ELNS1_3repE0EEENS1_30default_config_static_selectorELNS0_4arch9wavefront6targetE1EEEvSV_,comdat
	.globl	_ZN7rocprim17ROCPRIM_400000_NS6detail17trampoline_kernelINS0_13select_configILj256ELj13ELNS0_17block_load_methodE3ELS4_3ELS4_3ELNS0_20block_scan_algorithmE0ELj4294967295EEENS1_25partition_config_selectorILNS1_17partition_subalgoE3EjNS0_10empty_typeEbEEZZNS1_14partition_implILS8_3ELb0ES6_jNS0_17counting_iteratorIjlEEPS9_SE_NS0_5tupleIJPjSE_EEENSF_IJSE_SE_EEES9_SG_JZNS1_25segmented_radix_sort_implINS0_14default_configELb1EPKlPlSM_SN_N2at6native12_GLOBAL__N_18offset_tEEE10hipError_tPvRmT1_PNSt15iterator_traitsISV_E10value_typeET2_T3_PNSW_IS11_E10value_typeET4_jRbjT5_S17_jjP12ihipStream_tbEUljE_EEESS_ST_SU_S11_S15_S17_T6_T7_T9_mT8_S19_bDpT10_ENKUlT_T0_E_clISt17integral_constantIbLb0EES1M_EEDaS1H_S1I_EUlS1H_E_NS1_11comp_targetILNS1_3genE5ELNS1_11target_archE942ELNS1_3gpuE9ELNS1_3repE0EEENS1_30default_config_static_selectorELNS0_4arch9wavefront6targetE1EEEvSV_ ; -- Begin function _ZN7rocprim17ROCPRIM_400000_NS6detail17trampoline_kernelINS0_13select_configILj256ELj13ELNS0_17block_load_methodE3ELS4_3ELS4_3ELNS0_20block_scan_algorithmE0ELj4294967295EEENS1_25partition_config_selectorILNS1_17partition_subalgoE3EjNS0_10empty_typeEbEEZZNS1_14partition_implILS8_3ELb0ES6_jNS0_17counting_iteratorIjlEEPS9_SE_NS0_5tupleIJPjSE_EEENSF_IJSE_SE_EEES9_SG_JZNS1_25segmented_radix_sort_implINS0_14default_configELb1EPKlPlSM_SN_N2at6native12_GLOBAL__N_18offset_tEEE10hipError_tPvRmT1_PNSt15iterator_traitsISV_E10value_typeET2_T3_PNSW_IS11_E10value_typeET4_jRbjT5_S17_jjP12ihipStream_tbEUljE_EEESS_ST_SU_S11_S15_S17_T6_T7_T9_mT8_S19_bDpT10_ENKUlT_T0_E_clISt17integral_constantIbLb0EES1M_EEDaS1H_S1I_EUlS1H_E_NS1_11comp_targetILNS1_3genE5ELNS1_11target_archE942ELNS1_3gpuE9ELNS1_3repE0EEENS1_30default_config_static_selectorELNS0_4arch9wavefront6targetE1EEEvSV_
	.p2align	8
	.type	_ZN7rocprim17ROCPRIM_400000_NS6detail17trampoline_kernelINS0_13select_configILj256ELj13ELNS0_17block_load_methodE3ELS4_3ELS4_3ELNS0_20block_scan_algorithmE0ELj4294967295EEENS1_25partition_config_selectorILNS1_17partition_subalgoE3EjNS0_10empty_typeEbEEZZNS1_14partition_implILS8_3ELb0ES6_jNS0_17counting_iteratorIjlEEPS9_SE_NS0_5tupleIJPjSE_EEENSF_IJSE_SE_EEES9_SG_JZNS1_25segmented_radix_sort_implINS0_14default_configELb1EPKlPlSM_SN_N2at6native12_GLOBAL__N_18offset_tEEE10hipError_tPvRmT1_PNSt15iterator_traitsISV_E10value_typeET2_T3_PNSW_IS11_E10value_typeET4_jRbjT5_S17_jjP12ihipStream_tbEUljE_EEESS_ST_SU_S11_S15_S17_T6_T7_T9_mT8_S19_bDpT10_ENKUlT_T0_E_clISt17integral_constantIbLb0EES1M_EEDaS1H_S1I_EUlS1H_E_NS1_11comp_targetILNS1_3genE5ELNS1_11target_archE942ELNS1_3gpuE9ELNS1_3repE0EEENS1_30default_config_static_selectorELNS0_4arch9wavefront6targetE1EEEvSV_,@function
_ZN7rocprim17ROCPRIM_400000_NS6detail17trampoline_kernelINS0_13select_configILj256ELj13ELNS0_17block_load_methodE3ELS4_3ELS4_3ELNS0_20block_scan_algorithmE0ELj4294967295EEENS1_25partition_config_selectorILNS1_17partition_subalgoE3EjNS0_10empty_typeEbEEZZNS1_14partition_implILS8_3ELb0ES6_jNS0_17counting_iteratorIjlEEPS9_SE_NS0_5tupleIJPjSE_EEENSF_IJSE_SE_EEES9_SG_JZNS1_25segmented_radix_sort_implINS0_14default_configELb1EPKlPlSM_SN_N2at6native12_GLOBAL__N_18offset_tEEE10hipError_tPvRmT1_PNSt15iterator_traitsISV_E10value_typeET2_T3_PNSW_IS11_E10value_typeET4_jRbjT5_S17_jjP12ihipStream_tbEUljE_EEESS_ST_SU_S11_S15_S17_T6_T7_T9_mT8_S19_bDpT10_ENKUlT_T0_E_clISt17integral_constantIbLb0EES1M_EEDaS1H_S1I_EUlS1H_E_NS1_11comp_targetILNS1_3genE5ELNS1_11target_archE942ELNS1_3gpuE9ELNS1_3repE0EEENS1_30default_config_static_selectorELNS0_4arch9wavefront6targetE1EEEvSV_: ; @_ZN7rocprim17ROCPRIM_400000_NS6detail17trampoline_kernelINS0_13select_configILj256ELj13ELNS0_17block_load_methodE3ELS4_3ELS4_3ELNS0_20block_scan_algorithmE0ELj4294967295EEENS1_25partition_config_selectorILNS1_17partition_subalgoE3EjNS0_10empty_typeEbEEZZNS1_14partition_implILS8_3ELb0ES6_jNS0_17counting_iteratorIjlEEPS9_SE_NS0_5tupleIJPjSE_EEENSF_IJSE_SE_EEES9_SG_JZNS1_25segmented_radix_sort_implINS0_14default_configELb1EPKlPlSM_SN_N2at6native12_GLOBAL__N_18offset_tEEE10hipError_tPvRmT1_PNSt15iterator_traitsISV_E10value_typeET2_T3_PNSW_IS11_E10value_typeET4_jRbjT5_S17_jjP12ihipStream_tbEUljE_EEESS_ST_SU_S11_S15_S17_T6_T7_T9_mT8_S19_bDpT10_ENKUlT_T0_E_clISt17integral_constantIbLb0EES1M_EEDaS1H_S1I_EUlS1H_E_NS1_11comp_targetILNS1_3genE5ELNS1_11target_archE942ELNS1_3gpuE9ELNS1_3repE0EEENS1_30default_config_static_selectorELNS0_4arch9wavefront6targetE1EEEvSV_
; %bb.0:
	.section	.rodata,"a",@progbits
	.p2align	6, 0x0
	.amdhsa_kernel _ZN7rocprim17ROCPRIM_400000_NS6detail17trampoline_kernelINS0_13select_configILj256ELj13ELNS0_17block_load_methodE3ELS4_3ELS4_3ELNS0_20block_scan_algorithmE0ELj4294967295EEENS1_25partition_config_selectorILNS1_17partition_subalgoE3EjNS0_10empty_typeEbEEZZNS1_14partition_implILS8_3ELb0ES6_jNS0_17counting_iteratorIjlEEPS9_SE_NS0_5tupleIJPjSE_EEENSF_IJSE_SE_EEES9_SG_JZNS1_25segmented_radix_sort_implINS0_14default_configELb1EPKlPlSM_SN_N2at6native12_GLOBAL__N_18offset_tEEE10hipError_tPvRmT1_PNSt15iterator_traitsISV_E10value_typeET2_T3_PNSW_IS11_E10value_typeET4_jRbjT5_S17_jjP12ihipStream_tbEUljE_EEESS_ST_SU_S11_S15_S17_T6_T7_T9_mT8_S19_bDpT10_ENKUlT_T0_E_clISt17integral_constantIbLb0EES1M_EEDaS1H_S1I_EUlS1H_E_NS1_11comp_targetILNS1_3genE5ELNS1_11target_archE942ELNS1_3gpuE9ELNS1_3repE0EEENS1_30default_config_static_selectorELNS0_4arch9wavefront6targetE1EEEvSV_
		.amdhsa_group_segment_fixed_size 0
		.amdhsa_private_segment_fixed_size 0
		.amdhsa_kernarg_size 144
		.amdhsa_user_sgpr_count 6
		.amdhsa_user_sgpr_private_segment_buffer 1
		.amdhsa_user_sgpr_dispatch_ptr 0
		.amdhsa_user_sgpr_queue_ptr 0
		.amdhsa_user_sgpr_kernarg_segment_ptr 1
		.amdhsa_user_sgpr_dispatch_id 0
		.amdhsa_user_sgpr_flat_scratch_init 0
		.amdhsa_user_sgpr_kernarg_preload_length 0
		.amdhsa_user_sgpr_kernarg_preload_offset 0
		.amdhsa_user_sgpr_private_segment_size 0
		.amdhsa_uses_dynamic_stack 0
		.amdhsa_system_sgpr_private_segment_wavefront_offset 0
		.amdhsa_system_sgpr_workgroup_id_x 1
		.amdhsa_system_sgpr_workgroup_id_y 0
		.amdhsa_system_sgpr_workgroup_id_z 0
		.amdhsa_system_sgpr_workgroup_info 0
		.amdhsa_system_vgpr_workitem_id 0
		.amdhsa_next_free_vgpr 1
		.amdhsa_next_free_sgpr 0
		.amdhsa_accum_offset 4
		.amdhsa_reserve_vcc 0
		.amdhsa_reserve_flat_scratch 0
		.amdhsa_float_round_mode_32 0
		.amdhsa_float_round_mode_16_64 0
		.amdhsa_float_denorm_mode_32 3
		.amdhsa_float_denorm_mode_16_64 3
		.amdhsa_dx10_clamp 1
		.amdhsa_ieee_mode 1
		.amdhsa_fp16_overflow 0
		.amdhsa_tg_split 0
		.amdhsa_exception_fp_ieee_invalid_op 0
		.amdhsa_exception_fp_denorm_src 0
		.amdhsa_exception_fp_ieee_div_zero 0
		.amdhsa_exception_fp_ieee_overflow 0
		.amdhsa_exception_fp_ieee_underflow 0
		.amdhsa_exception_fp_ieee_inexact 0
		.amdhsa_exception_int_div_zero 0
	.end_amdhsa_kernel
	.section	.text._ZN7rocprim17ROCPRIM_400000_NS6detail17trampoline_kernelINS0_13select_configILj256ELj13ELNS0_17block_load_methodE3ELS4_3ELS4_3ELNS0_20block_scan_algorithmE0ELj4294967295EEENS1_25partition_config_selectorILNS1_17partition_subalgoE3EjNS0_10empty_typeEbEEZZNS1_14partition_implILS8_3ELb0ES6_jNS0_17counting_iteratorIjlEEPS9_SE_NS0_5tupleIJPjSE_EEENSF_IJSE_SE_EEES9_SG_JZNS1_25segmented_radix_sort_implINS0_14default_configELb1EPKlPlSM_SN_N2at6native12_GLOBAL__N_18offset_tEEE10hipError_tPvRmT1_PNSt15iterator_traitsISV_E10value_typeET2_T3_PNSW_IS11_E10value_typeET4_jRbjT5_S17_jjP12ihipStream_tbEUljE_EEESS_ST_SU_S11_S15_S17_T6_T7_T9_mT8_S19_bDpT10_ENKUlT_T0_E_clISt17integral_constantIbLb0EES1M_EEDaS1H_S1I_EUlS1H_E_NS1_11comp_targetILNS1_3genE5ELNS1_11target_archE942ELNS1_3gpuE9ELNS1_3repE0EEENS1_30default_config_static_selectorELNS0_4arch9wavefront6targetE1EEEvSV_,"axG",@progbits,_ZN7rocprim17ROCPRIM_400000_NS6detail17trampoline_kernelINS0_13select_configILj256ELj13ELNS0_17block_load_methodE3ELS4_3ELS4_3ELNS0_20block_scan_algorithmE0ELj4294967295EEENS1_25partition_config_selectorILNS1_17partition_subalgoE3EjNS0_10empty_typeEbEEZZNS1_14partition_implILS8_3ELb0ES6_jNS0_17counting_iteratorIjlEEPS9_SE_NS0_5tupleIJPjSE_EEENSF_IJSE_SE_EEES9_SG_JZNS1_25segmented_radix_sort_implINS0_14default_configELb1EPKlPlSM_SN_N2at6native12_GLOBAL__N_18offset_tEEE10hipError_tPvRmT1_PNSt15iterator_traitsISV_E10value_typeET2_T3_PNSW_IS11_E10value_typeET4_jRbjT5_S17_jjP12ihipStream_tbEUljE_EEESS_ST_SU_S11_S15_S17_T6_T7_T9_mT8_S19_bDpT10_ENKUlT_T0_E_clISt17integral_constantIbLb0EES1M_EEDaS1H_S1I_EUlS1H_E_NS1_11comp_targetILNS1_3genE5ELNS1_11target_archE942ELNS1_3gpuE9ELNS1_3repE0EEENS1_30default_config_static_selectorELNS0_4arch9wavefront6targetE1EEEvSV_,comdat
.Lfunc_end673:
	.size	_ZN7rocprim17ROCPRIM_400000_NS6detail17trampoline_kernelINS0_13select_configILj256ELj13ELNS0_17block_load_methodE3ELS4_3ELS4_3ELNS0_20block_scan_algorithmE0ELj4294967295EEENS1_25partition_config_selectorILNS1_17partition_subalgoE3EjNS0_10empty_typeEbEEZZNS1_14partition_implILS8_3ELb0ES6_jNS0_17counting_iteratorIjlEEPS9_SE_NS0_5tupleIJPjSE_EEENSF_IJSE_SE_EEES9_SG_JZNS1_25segmented_radix_sort_implINS0_14default_configELb1EPKlPlSM_SN_N2at6native12_GLOBAL__N_18offset_tEEE10hipError_tPvRmT1_PNSt15iterator_traitsISV_E10value_typeET2_T3_PNSW_IS11_E10value_typeET4_jRbjT5_S17_jjP12ihipStream_tbEUljE_EEESS_ST_SU_S11_S15_S17_T6_T7_T9_mT8_S19_bDpT10_ENKUlT_T0_E_clISt17integral_constantIbLb0EES1M_EEDaS1H_S1I_EUlS1H_E_NS1_11comp_targetILNS1_3genE5ELNS1_11target_archE942ELNS1_3gpuE9ELNS1_3repE0EEENS1_30default_config_static_selectorELNS0_4arch9wavefront6targetE1EEEvSV_, .Lfunc_end673-_ZN7rocprim17ROCPRIM_400000_NS6detail17trampoline_kernelINS0_13select_configILj256ELj13ELNS0_17block_load_methodE3ELS4_3ELS4_3ELNS0_20block_scan_algorithmE0ELj4294967295EEENS1_25partition_config_selectorILNS1_17partition_subalgoE3EjNS0_10empty_typeEbEEZZNS1_14partition_implILS8_3ELb0ES6_jNS0_17counting_iteratorIjlEEPS9_SE_NS0_5tupleIJPjSE_EEENSF_IJSE_SE_EEES9_SG_JZNS1_25segmented_radix_sort_implINS0_14default_configELb1EPKlPlSM_SN_N2at6native12_GLOBAL__N_18offset_tEEE10hipError_tPvRmT1_PNSt15iterator_traitsISV_E10value_typeET2_T3_PNSW_IS11_E10value_typeET4_jRbjT5_S17_jjP12ihipStream_tbEUljE_EEESS_ST_SU_S11_S15_S17_T6_T7_T9_mT8_S19_bDpT10_ENKUlT_T0_E_clISt17integral_constantIbLb0EES1M_EEDaS1H_S1I_EUlS1H_E_NS1_11comp_targetILNS1_3genE5ELNS1_11target_archE942ELNS1_3gpuE9ELNS1_3repE0EEENS1_30default_config_static_selectorELNS0_4arch9wavefront6targetE1EEEvSV_
                                        ; -- End function
	.section	.AMDGPU.csdata,"",@progbits
; Kernel info:
; codeLenInByte = 0
; NumSgprs: 4
; NumVgprs: 0
; NumAgprs: 0
; TotalNumVgprs: 0
; ScratchSize: 0
; MemoryBound: 0
; FloatMode: 240
; IeeeMode: 1
; LDSByteSize: 0 bytes/workgroup (compile time only)
; SGPRBlocks: 0
; VGPRBlocks: 0
; NumSGPRsForWavesPerEU: 4
; NumVGPRsForWavesPerEU: 1
; AccumOffset: 4
; Occupancy: 8
; WaveLimiterHint : 0
; COMPUTE_PGM_RSRC2:SCRATCH_EN: 0
; COMPUTE_PGM_RSRC2:USER_SGPR: 6
; COMPUTE_PGM_RSRC2:TRAP_HANDLER: 0
; COMPUTE_PGM_RSRC2:TGID_X_EN: 1
; COMPUTE_PGM_RSRC2:TGID_Y_EN: 0
; COMPUTE_PGM_RSRC2:TGID_Z_EN: 0
; COMPUTE_PGM_RSRC2:TIDIG_COMP_CNT: 0
; COMPUTE_PGM_RSRC3_GFX90A:ACCUM_OFFSET: 0
; COMPUTE_PGM_RSRC3_GFX90A:TG_SPLIT: 0
	.section	.text._ZN7rocprim17ROCPRIM_400000_NS6detail17trampoline_kernelINS0_13select_configILj256ELj13ELNS0_17block_load_methodE3ELS4_3ELS4_3ELNS0_20block_scan_algorithmE0ELj4294967295EEENS1_25partition_config_selectorILNS1_17partition_subalgoE3EjNS0_10empty_typeEbEEZZNS1_14partition_implILS8_3ELb0ES6_jNS0_17counting_iteratorIjlEEPS9_SE_NS0_5tupleIJPjSE_EEENSF_IJSE_SE_EEES9_SG_JZNS1_25segmented_radix_sort_implINS0_14default_configELb1EPKlPlSM_SN_N2at6native12_GLOBAL__N_18offset_tEEE10hipError_tPvRmT1_PNSt15iterator_traitsISV_E10value_typeET2_T3_PNSW_IS11_E10value_typeET4_jRbjT5_S17_jjP12ihipStream_tbEUljE_EEESS_ST_SU_S11_S15_S17_T6_T7_T9_mT8_S19_bDpT10_ENKUlT_T0_E_clISt17integral_constantIbLb0EES1M_EEDaS1H_S1I_EUlS1H_E_NS1_11comp_targetILNS1_3genE4ELNS1_11target_archE910ELNS1_3gpuE8ELNS1_3repE0EEENS1_30default_config_static_selectorELNS0_4arch9wavefront6targetE1EEEvSV_,"axG",@progbits,_ZN7rocprim17ROCPRIM_400000_NS6detail17trampoline_kernelINS0_13select_configILj256ELj13ELNS0_17block_load_methodE3ELS4_3ELS4_3ELNS0_20block_scan_algorithmE0ELj4294967295EEENS1_25partition_config_selectorILNS1_17partition_subalgoE3EjNS0_10empty_typeEbEEZZNS1_14partition_implILS8_3ELb0ES6_jNS0_17counting_iteratorIjlEEPS9_SE_NS0_5tupleIJPjSE_EEENSF_IJSE_SE_EEES9_SG_JZNS1_25segmented_radix_sort_implINS0_14default_configELb1EPKlPlSM_SN_N2at6native12_GLOBAL__N_18offset_tEEE10hipError_tPvRmT1_PNSt15iterator_traitsISV_E10value_typeET2_T3_PNSW_IS11_E10value_typeET4_jRbjT5_S17_jjP12ihipStream_tbEUljE_EEESS_ST_SU_S11_S15_S17_T6_T7_T9_mT8_S19_bDpT10_ENKUlT_T0_E_clISt17integral_constantIbLb0EES1M_EEDaS1H_S1I_EUlS1H_E_NS1_11comp_targetILNS1_3genE4ELNS1_11target_archE910ELNS1_3gpuE8ELNS1_3repE0EEENS1_30default_config_static_selectorELNS0_4arch9wavefront6targetE1EEEvSV_,comdat
	.globl	_ZN7rocprim17ROCPRIM_400000_NS6detail17trampoline_kernelINS0_13select_configILj256ELj13ELNS0_17block_load_methodE3ELS4_3ELS4_3ELNS0_20block_scan_algorithmE0ELj4294967295EEENS1_25partition_config_selectorILNS1_17partition_subalgoE3EjNS0_10empty_typeEbEEZZNS1_14partition_implILS8_3ELb0ES6_jNS0_17counting_iteratorIjlEEPS9_SE_NS0_5tupleIJPjSE_EEENSF_IJSE_SE_EEES9_SG_JZNS1_25segmented_radix_sort_implINS0_14default_configELb1EPKlPlSM_SN_N2at6native12_GLOBAL__N_18offset_tEEE10hipError_tPvRmT1_PNSt15iterator_traitsISV_E10value_typeET2_T3_PNSW_IS11_E10value_typeET4_jRbjT5_S17_jjP12ihipStream_tbEUljE_EEESS_ST_SU_S11_S15_S17_T6_T7_T9_mT8_S19_bDpT10_ENKUlT_T0_E_clISt17integral_constantIbLb0EES1M_EEDaS1H_S1I_EUlS1H_E_NS1_11comp_targetILNS1_3genE4ELNS1_11target_archE910ELNS1_3gpuE8ELNS1_3repE0EEENS1_30default_config_static_selectorELNS0_4arch9wavefront6targetE1EEEvSV_ ; -- Begin function _ZN7rocprim17ROCPRIM_400000_NS6detail17trampoline_kernelINS0_13select_configILj256ELj13ELNS0_17block_load_methodE3ELS4_3ELS4_3ELNS0_20block_scan_algorithmE0ELj4294967295EEENS1_25partition_config_selectorILNS1_17partition_subalgoE3EjNS0_10empty_typeEbEEZZNS1_14partition_implILS8_3ELb0ES6_jNS0_17counting_iteratorIjlEEPS9_SE_NS0_5tupleIJPjSE_EEENSF_IJSE_SE_EEES9_SG_JZNS1_25segmented_radix_sort_implINS0_14default_configELb1EPKlPlSM_SN_N2at6native12_GLOBAL__N_18offset_tEEE10hipError_tPvRmT1_PNSt15iterator_traitsISV_E10value_typeET2_T3_PNSW_IS11_E10value_typeET4_jRbjT5_S17_jjP12ihipStream_tbEUljE_EEESS_ST_SU_S11_S15_S17_T6_T7_T9_mT8_S19_bDpT10_ENKUlT_T0_E_clISt17integral_constantIbLb0EES1M_EEDaS1H_S1I_EUlS1H_E_NS1_11comp_targetILNS1_3genE4ELNS1_11target_archE910ELNS1_3gpuE8ELNS1_3repE0EEENS1_30default_config_static_selectorELNS0_4arch9wavefront6targetE1EEEvSV_
	.p2align	8
	.type	_ZN7rocprim17ROCPRIM_400000_NS6detail17trampoline_kernelINS0_13select_configILj256ELj13ELNS0_17block_load_methodE3ELS4_3ELS4_3ELNS0_20block_scan_algorithmE0ELj4294967295EEENS1_25partition_config_selectorILNS1_17partition_subalgoE3EjNS0_10empty_typeEbEEZZNS1_14partition_implILS8_3ELb0ES6_jNS0_17counting_iteratorIjlEEPS9_SE_NS0_5tupleIJPjSE_EEENSF_IJSE_SE_EEES9_SG_JZNS1_25segmented_radix_sort_implINS0_14default_configELb1EPKlPlSM_SN_N2at6native12_GLOBAL__N_18offset_tEEE10hipError_tPvRmT1_PNSt15iterator_traitsISV_E10value_typeET2_T3_PNSW_IS11_E10value_typeET4_jRbjT5_S17_jjP12ihipStream_tbEUljE_EEESS_ST_SU_S11_S15_S17_T6_T7_T9_mT8_S19_bDpT10_ENKUlT_T0_E_clISt17integral_constantIbLb0EES1M_EEDaS1H_S1I_EUlS1H_E_NS1_11comp_targetILNS1_3genE4ELNS1_11target_archE910ELNS1_3gpuE8ELNS1_3repE0EEENS1_30default_config_static_selectorELNS0_4arch9wavefront6targetE1EEEvSV_,@function
_ZN7rocprim17ROCPRIM_400000_NS6detail17trampoline_kernelINS0_13select_configILj256ELj13ELNS0_17block_load_methodE3ELS4_3ELS4_3ELNS0_20block_scan_algorithmE0ELj4294967295EEENS1_25partition_config_selectorILNS1_17partition_subalgoE3EjNS0_10empty_typeEbEEZZNS1_14partition_implILS8_3ELb0ES6_jNS0_17counting_iteratorIjlEEPS9_SE_NS0_5tupleIJPjSE_EEENSF_IJSE_SE_EEES9_SG_JZNS1_25segmented_radix_sort_implINS0_14default_configELb1EPKlPlSM_SN_N2at6native12_GLOBAL__N_18offset_tEEE10hipError_tPvRmT1_PNSt15iterator_traitsISV_E10value_typeET2_T3_PNSW_IS11_E10value_typeET4_jRbjT5_S17_jjP12ihipStream_tbEUljE_EEESS_ST_SU_S11_S15_S17_T6_T7_T9_mT8_S19_bDpT10_ENKUlT_T0_E_clISt17integral_constantIbLb0EES1M_EEDaS1H_S1I_EUlS1H_E_NS1_11comp_targetILNS1_3genE4ELNS1_11target_archE910ELNS1_3gpuE8ELNS1_3repE0EEENS1_30default_config_static_selectorELNS0_4arch9wavefront6targetE1EEEvSV_: ; @_ZN7rocprim17ROCPRIM_400000_NS6detail17trampoline_kernelINS0_13select_configILj256ELj13ELNS0_17block_load_methodE3ELS4_3ELS4_3ELNS0_20block_scan_algorithmE0ELj4294967295EEENS1_25partition_config_selectorILNS1_17partition_subalgoE3EjNS0_10empty_typeEbEEZZNS1_14partition_implILS8_3ELb0ES6_jNS0_17counting_iteratorIjlEEPS9_SE_NS0_5tupleIJPjSE_EEENSF_IJSE_SE_EEES9_SG_JZNS1_25segmented_radix_sort_implINS0_14default_configELb1EPKlPlSM_SN_N2at6native12_GLOBAL__N_18offset_tEEE10hipError_tPvRmT1_PNSt15iterator_traitsISV_E10value_typeET2_T3_PNSW_IS11_E10value_typeET4_jRbjT5_S17_jjP12ihipStream_tbEUljE_EEESS_ST_SU_S11_S15_S17_T6_T7_T9_mT8_S19_bDpT10_ENKUlT_T0_E_clISt17integral_constantIbLb0EES1M_EEDaS1H_S1I_EUlS1H_E_NS1_11comp_targetILNS1_3genE4ELNS1_11target_archE910ELNS1_3gpuE8ELNS1_3repE0EEENS1_30default_config_static_selectorELNS0_4arch9wavefront6targetE1EEEvSV_
; %bb.0:
	s_load_dwordx2 s[26:27], s[4:5], 0x58
	s_load_dwordx4 s[20:23], s[4:5], 0x48
	s_load_dword s13, s[4:5], 0x8
	s_load_dwordx2 s[28:29], s[4:5], 0x10
	s_load_dword s12, s[4:5], 0x70
	s_load_dword s7, s[4:5], 0x88
	s_load_dwordx4 s[8:11], s[4:5], 0x78
	s_waitcnt lgkmcnt(0)
	s_load_dwordx2 s[30:31], s[22:23], 0x0
	v_pk_mov_b32 v[2:3], s[26:27], s[26:27] op_sel:[0,1]
	s_add_i32 s2, s12, -1
	s_mulk_i32 s12, 0xd00
	s_add_u32 s0, s28, s12
	s_addc_u32 s1, s29, 0
	s_cmp_eq_u32 s6, s2
	s_cselect_b64 s[22:23], -1, 0
	s_cmp_lg_u32 s6, s2
	s_mul_i32 s42, s6, 0xd00
	v_cmp_lt_u64_e32 vcc, s[0:1], v[2:3]
	s_cselect_b64 s[0:1], -1, 0
	s_or_b64 s[2:3], s[0:1], vcc
	s_add_i32 s0, s13, s42
	s_add_i32 s0, s0, s28
	v_add_u32_e32 v2, s0, v0
	s_mov_b64 s[0:1], -1
	s_and_b64 vcc, exec, s[2:3]
	v_lshlrev_b32_e32 v1, 2, v0
	s_cbranch_vccz .LBB674_2
; %bb.1:
	v_add_u32_e32 v3, 0x100, v2
	v_add_u32_e32 v4, 0x200, v2
	;; [unrolled: 1-line block ×12, first 2 shown]
	ds_write2st64_b32 v1, v2, v3 offset1:4
	ds_write2st64_b32 v1, v4, v5 offset0:8 offset1:12
	ds_write2st64_b32 v1, v6, v7 offset0:16 offset1:20
	;; [unrolled: 1-line block ×5, first 2 shown]
	ds_write_b32 v1, v14 offset:12288
	s_waitcnt lgkmcnt(0)
	s_barrier
	s_mov_b64 s[0:1], 0
.LBB674_2:
	s_andn2_b64 vcc, exec, s[0:1]
	s_add_i32 s12, s12, s28
	s_cbranch_vccnz .LBB674_4
; %bb.3:
	v_add_u32_e32 v3, 0x100, v2
	v_add_u32_e32 v4, 0x200, v2
	;; [unrolled: 1-line block ×12, first 2 shown]
	ds_write2st64_b32 v1, v2, v3 offset1:4
	ds_write2st64_b32 v1, v4, v5 offset0:8 offset1:12
	ds_write2st64_b32 v1, v6, v7 offset0:16 offset1:20
	;; [unrolled: 1-line block ×5, first 2 shown]
	ds_write_b32 v1, v14 offset:12288
	s_waitcnt lgkmcnt(0)
	s_barrier
.LBB674_4:
	v_mul_u32_u24_e32 v33, 13, v0
	v_lshlrev_b32_e32 v2, 2, v33
	s_waitcnt lgkmcnt(0)
	ds_read2_b32 v[30:31], v2 offset1:1
	ds_read2_b32 v[28:29], v2 offset0:2 offset1:3
	ds_read2_b32 v[26:27], v2 offset0:4 offset1:5
	;; [unrolled: 1-line block ×5, first 2 shown]
	ds_read_b32 v32, v2 offset:48
	v_cndmask_b32_e64 v2, 0, 1, s[2:3]
	s_sub_i32 s33, s26, s12
	v_cmp_ne_u32_e64 s[0:1], 1, v2
	s_andn2_b64 vcc, exec, s[2:3]
	s_waitcnt lgkmcnt(0)
	s_barrier
	s_cbranch_vccnz .LBB674_6
; %bb.5:
	v_add_u32_e32 v2, s9, v30
	v_add_u32_e32 v3, s11, v30
	v_mul_lo_u32 v2, v2, s8
	v_mul_lo_u32 v3, v3, s10
	v_sub_u32_e32 v2, v2, v3
	v_add_u32_e32 v3, s9, v31
	v_add_u32_e32 v4, s11, v31
	v_mul_lo_u32 v3, v3, s8
	v_mul_lo_u32 v4, v4, s10
	v_sub_u32_e32 v3, v3, v4
	;; [unrolled: 5-line block ×6, first 2 shown]
	v_add_u32_e32 v8, s9, v24
	v_add_u32_e32 v9, s11, v24
	v_mul_lo_u32 v8, v8, s8
	v_mul_lo_u32 v9, v9, s10
	v_cmp_lt_u32_e32 vcc, s7, v2
	v_sub_u32_e32 v8, v8, v9
	v_add_u32_e32 v9, s9, v25
	v_add_u32_e32 v10, s11, v25
	v_cndmask_b32_e64 v2, 0, 1, vcc
	v_cmp_lt_u32_e32 vcc, s7, v3
	v_mul_lo_u32 v9, v9, s8
	v_mul_lo_u32 v10, v10, s10
	v_cndmask_b32_e64 v3, 0, 1, vcc
	v_cmp_lt_u32_e32 vcc, s7, v4
	v_sub_u32_e32 v9, v9, v10
	v_add_u32_e32 v10, s9, v22
	v_add_u32_e32 v11, s11, v22
	v_cndmask_b32_e64 v4, 0, 1, vcc
	v_cmp_lt_u32_e32 vcc, s7, v5
	v_mul_lo_u32 v10, v10, s8
	v_mul_lo_u32 v11, v11, s10
	v_cndmask_b32_e64 v5, 0, 1, vcc
	;; [unrolled: 9-line block ×4, first 2 shown]
	v_cmp_lt_u32_e32 vcc, s7, v10
	v_sub_u32_e32 v12, v12, v13
	v_add_u32_e32 v13, s9, v21
	v_add_u32_e32 v14, s11, v21
	v_lshlrev_b16_e32 v3, 8, v3
	v_cndmask_b32_e64 v10, 0, 1, vcc
	v_cmp_lt_u32_e32 vcc, s7, v11
	v_mul_lo_u32 v13, v13, s8
	v_mul_lo_u32 v14, v14, s10
	v_or_b32_e32 v2, v2, v3
	v_lshlrev_b16_e32 v3, 8, v5
	v_cndmask_b32_e64 v11, 0, 1, vcc
	v_cmp_lt_u32_e32 vcc, s7, v12
	v_sub_u32_e32 v13, v13, v14
	v_or_b32_sdwa v3, v4, v3 dst_sel:WORD_1 dst_unused:UNUSED_PAD src0_sel:DWORD src1_sel:DWORD
	v_cndmask_b32_e64 v12, 0, 1, vcc
	v_cmp_lt_u32_e32 vcc, s7, v13
	v_add_u32_e32 v14, s9, v32
	v_add_u32_e32 v15, s11, v32
	v_or_b32_sdwa v37, v2, v3 dst_sel:DWORD dst_unused:UNUSED_PAD src0_sel:WORD_0 src1_sel:DWORD
	v_lshlrev_b16_e32 v2, 8, v7
	v_lshlrev_b16_e32 v3, 8, v9
	v_cndmask_b32_e64 v13, 0, 1, vcc
	v_mul_lo_u32 v14, v14, s8
	v_mul_lo_u32 v15, v15, s10
	v_or_b32_e32 v2, v6, v2
	v_or_b32_sdwa v3, v8, v3 dst_sel:WORD_1 dst_unused:UNUSED_PAD src0_sel:DWORD src1_sel:DWORD
	v_sub_u32_e32 v14, v14, v15
	v_or_b32_sdwa v36, v2, v3 dst_sel:DWORD dst_unused:UNUSED_PAD src0_sel:WORD_0 src1_sel:DWORD
	v_lshlrev_b16_e32 v2, 8, v11
	v_lshlrev_b16_e32 v3, 8, v13
	v_cmp_lt_u32_e32 vcc, s7, v14
	v_or_b32_e32 v2, v10, v2
	v_or_b32_sdwa v3, v12, v3 dst_sel:WORD_1 dst_unused:UNUSED_PAD src0_sel:DWORD src1_sel:DWORD
	v_cndmask_b32_e64 v34, 0, 1, vcc
	v_or_b32_sdwa v35, v2, v3 dst_sel:DWORD dst_unused:UNUSED_PAD src0_sel:WORD_0 src1_sel:DWORD
	s_mov_b64 s[2:3], 0
	s_branch .LBB674_7
.LBB674_6:
	s_mov_b64 s[2:3], -1
                                        ; implicit-def: $vgpr34
                                        ; implicit-def: $vgpr35
                                        ; implicit-def: $vgpr36
                                        ; implicit-def: $vgpr37
.LBB674_7:
	s_load_dwordx2 s[24:25], s[4:5], 0x28
	s_load_dwordx2 s[34:35], s[4:5], 0x68
	s_andn2_b64 vcc, exec, s[2:3]
	s_addk_i32 s33, 0xd00
	s_cbranch_vccnz .LBB674_35
; %bb.8:
	v_cmp_gt_u32_e32 vcc, s33, v33
	v_mov_b32_e32 v3, 0
	v_mov_b32_e32 v2, 0
	s_and_saveexec_b64 s[2:3], vcc
; %bb.9:
	v_add_u32_e32 v2, s9, v30
	v_add_u32_e32 v4, s11, v30
	v_mul_lo_u32 v2, v2, s8
	v_mul_lo_u32 v4, v4, s10
	v_sub_u32_e32 v2, v2, v4
	v_cmp_lt_u32_e32 vcc, s7, v2
	v_cndmask_b32_e64 v2, 0, 1, vcc
; %bb.10:
	s_or_b64 exec, exec, s[2:3]
	v_add_u32_e32 v4, 1, v33
	v_cmp_gt_u32_e32 vcc, s33, v4
	s_and_saveexec_b64 s[2:3], vcc
; %bb.11:
	v_add_u32_e32 v3, s9, v31
	v_add_u32_e32 v4, s11, v31
	v_mul_lo_u32 v3, v3, s8
	v_mul_lo_u32 v4, v4, s10
	v_sub_u32_e32 v3, v3, v4
	v_cmp_lt_u32_e32 vcc, s7, v3
	v_cndmask_b32_e64 v3, 0, 1, vcc
; %bb.12:
	s_or_b64 exec, exec, s[2:3]
	v_add_u32_e32 v4, 2, v33
	v_cmp_gt_u32_e32 vcc, s33, v4
	v_mov_b32_e32 v5, 0
	v_mov_b32_e32 v4, 0
	s_and_saveexec_b64 s[2:3], vcc
; %bb.13:
	v_add_u32_e32 v4, s9, v28
	v_add_u32_e32 v6, s11, v28
	v_mul_lo_u32 v4, v4, s8
	v_mul_lo_u32 v6, v6, s10
	v_sub_u32_e32 v4, v4, v6
	v_cmp_lt_u32_e32 vcc, s7, v4
	v_cndmask_b32_e64 v4, 0, 1, vcc
; %bb.14:
	s_or_b64 exec, exec, s[2:3]
	v_add_u32_e32 v6, 3, v33
	v_cmp_gt_u32_e32 vcc, s33, v6
	s_and_saveexec_b64 s[2:3], vcc
; %bb.15:
	v_add_u32_e32 v5, s9, v29
	v_add_u32_e32 v6, s11, v29
	v_mul_lo_u32 v5, v5, s8
	v_mul_lo_u32 v6, v6, s10
	v_sub_u32_e32 v5, v5, v6
	v_cmp_lt_u32_e32 vcc, s7, v5
	v_cndmask_b32_e64 v5, 0, 1, vcc
; %bb.16:
	s_or_b64 exec, exec, s[2:3]
	v_add_u32_e32 v6, 4, v33
	;; [unrolled: 28-line block ×6, first 2 shown]
	v_cmp_gt_u32_e32 vcc, s33, v14
	v_mov_b32_e32 v34, 0
	s_and_saveexec_b64 s[2:3], vcc
; %bb.33:
	v_add_u32_e32 v14, s9, v32
	v_add_u32_e32 v15, s11, v32
	v_mul_lo_u32 v14, v14, s8
	v_mul_lo_u32 v15, v15, s10
	v_sub_u32_e32 v14, v14, v15
	v_cmp_lt_u32_e32 vcc, s7, v14
	v_cndmask_b32_e64 v34, 0, 1, vcc
; %bb.34:
	s_or_b64 exec, exec, s[2:3]
	v_lshlrev_b16_e32 v3, 8, v3
	v_or_b32_e32 v2, v2, v3
	v_lshlrev_b16_e32 v3, 8, v5
	v_or_b32_sdwa v3, v4, v3 dst_sel:WORD_1 dst_unused:UNUSED_PAD src0_sel:DWORD src1_sel:DWORD
	v_or_b32_sdwa v37, v2, v3 dst_sel:DWORD dst_unused:UNUSED_PAD src0_sel:WORD_0 src1_sel:DWORD
	v_lshlrev_b16_e32 v2, 8, v7
	v_lshlrev_b16_e32 v3, 8, v9
	v_or_b32_e32 v2, v6, v2
	v_or_b32_sdwa v3, v8, v3 dst_sel:WORD_1 dst_unused:UNUSED_PAD src0_sel:DWORD src1_sel:DWORD
	v_or_b32_sdwa v36, v2, v3 dst_sel:DWORD dst_unused:UNUSED_PAD src0_sel:WORD_0 src1_sel:DWORD
	v_lshlrev_b16_e32 v2, 8, v11
	v_lshlrev_b16_e32 v3, 8, v13
	v_or_b32_e32 v2, v10, v2
	v_or_b32_sdwa v3, v12, v3 dst_sel:WORD_1 dst_unused:UNUSED_PAD src0_sel:DWORD src1_sel:DWORD
	v_or_b32_sdwa v35, v2, v3 dst_sel:DWORD dst_unused:UNUSED_PAD src0_sel:WORD_0 src1_sel:DWORD
.LBB674_35:
	v_and_b32_e32 v41, 0xff, v37
	v_bfe_u32 v42, v37, 8, 8
	v_bfe_u32 v43, v37, 16, 8
	v_lshrrev_b32_e32 v40, 24, v37
	v_and_b32_e32 v44, 0xff, v36
	v_add3_u32 v3, v42, v41, v43
	v_bfe_u32 v45, v36, 8, 8
	v_bfe_u32 v46, v36, 16, 8
	v_add3_u32 v3, v3, v40, v44
	v_lshrrev_b32_e32 v39, 24, v36
	v_and_b32_e32 v47, 0xff, v35
	v_add3_u32 v3, v3, v45, v46
	v_bfe_u32 v48, v35, 8, 8
	v_bfe_u32 v49, v35, 16, 8
	v_add3_u32 v3, v3, v39, v47
	v_lshrrev_b32_e32 v38, 24, v35
	v_and_b32_e32 v2, 0xff, v34
	v_add3_u32 v3, v3, v48, v49
	v_add3_u32 v52, v3, v38, v2
	v_mbcnt_lo_u32_b32 v2, -1, 0
	v_mbcnt_hi_u32_b32 v50, -1, v2
	v_and_b32_e32 v2, 15, v50
	v_cmp_eq_u32_e64 s[14:15], 0, v2
	v_cmp_lt_u32_e64 s[12:13], 1, v2
	v_cmp_lt_u32_e64 s[10:11], 3, v2
	;; [unrolled: 1-line block ×3, first 2 shown]
	v_and_b32_e32 v2, 16, v50
	v_cmp_eq_u32_e64 s[18:19], 0, v2
	v_or_b32_e32 v2, 63, v0
	s_cmp_lg_u32 s6, 0
	v_cmp_lt_u32_e64 s[2:3], 31, v50
	v_lshrrev_b32_e32 v51, 6, v0
	v_cmp_eq_u32_e64 s[4:5], v2, v0
	s_cbranch_scc0 .LBB674_62
; %bb.36:
	v_mov_b32_dpp v2, v52 row_shr:1 row_mask:0xf bank_mask:0xf
	v_cndmask_b32_e64 v2, v2, 0, s[14:15]
	v_add_u32_e32 v2, v2, v52
	s_nop 1
	v_mov_b32_dpp v3, v2 row_shr:2 row_mask:0xf bank_mask:0xf
	v_cndmask_b32_e64 v3, 0, v3, s[12:13]
	v_add_u32_e32 v2, v2, v3
	s_nop 1
	;; [unrolled: 4-line block ×4, first 2 shown]
	v_mov_b32_dpp v3, v2 row_bcast:15 row_mask:0xf bank_mask:0xf
	v_cndmask_b32_e64 v3, v3, 0, s[18:19]
	v_add_u32_e32 v2, v2, v3
	s_nop 1
	v_mov_b32_dpp v3, v2 row_bcast:31 row_mask:0xf bank_mask:0xf
	v_cndmask_b32_e64 v3, 0, v3, s[2:3]
	v_add_u32_e32 v2, v2, v3
	s_and_saveexec_b64 s[16:17], s[4:5]
	s_cbranch_execz .LBB674_38
; %bb.37:
	v_lshlrev_b32_e32 v3, 2, v51
	ds_write_b32 v3, v2
.LBB674_38:
	s_or_b64 exec, exec, s[16:17]
	v_cmp_gt_u32_e32 vcc, 4, v0
	s_waitcnt lgkmcnt(0)
	s_barrier
	s_and_saveexec_b64 s[16:17], vcc
	s_cbranch_execz .LBB674_40
; %bb.39:
	ds_read_b32 v3, v1
	v_and_b32_e32 v4, 3, v50
	v_cmp_ne_u32_e32 vcc, 0, v4
	s_waitcnt lgkmcnt(0)
	v_mov_b32_dpp v5, v3 row_shr:1 row_mask:0xf bank_mask:0xf
	v_cndmask_b32_e32 v5, 0, v5, vcc
	v_add_u32_e32 v3, v5, v3
	v_cmp_lt_u32_e32 vcc, 1, v4
	s_nop 0
	v_mov_b32_dpp v5, v3 row_shr:2 row_mask:0xf bank_mask:0xf
	v_cndmask_b32_e32 v4, 0, v5, vcc
	v_add_u32_e32 v3, v3, v4
	ds_write_b32 v1, v3
.LBB674_40:
	s_or_b64 exec, exec, s[16:17]
	v_cmp_gt_u32_e32 vcc, 64, v0
	v_cmp_lt_u32_e64 s[16:17], 63, v0
	s_waitcnt lgkmcnt(0)
	s_barrier
	s_waitcnt lgkmcnt(0)
                                        ; implicit-def: $vgpr12
	s_and_saveexec_b64 s[36:37], s[16:17]
	s_cbranch_execz .LBB674_42
; %bb.41:
	v_lshl_add_u32 v3, v51, 2, -4
	ds_read_b32 v12, v3
	s_waitcnt lgkmcnt(0)
	v_add_u32_e32 v2, v12, v2
.LBB674_42:
	s_or_b64 exec, exec, s[36:37]
	v_add_u32_e32 v3, -1, v50
	v_and_b32_e32 v4, 64, v50
	v_cmp_lt_i32_e64 s[16:17], v3, v4
	v_cndmask_b32_e64 v3, v3, v50, s[16:17]
	v_lshlrev_b32_e32 v3, 2, v3
	ds_bpermute_b32 v13, v3, v2
	v_cmp_eq_u32_e64 s[16:17], 0, v50
	s_and_saveexec_b64 s[36:37], vcc
	s_cbranch_execz .LBB674_61
; %bb.43:
	v_mov_b32_e32 v9, 0
	ds_read_b32 v2, v9 offset:12
	s_and_saveexec_b64 s[38:39], s[16:17]
	s_cbranch_execz .LBB674_45
; %bb.44:
	s_add_i32 s40, s6, 64
	s_mov_b32 s41, 0
	s_lshl_b64 s[40:41], s[40:41], 3
	s_add_u32 s40, s34, s40
	v_mov_b32_e32 v3, 1
	s_addc_u32 s41, s35, s41
	s_waitcnt lgkmcnt(0)
	global_store_dwordx2 v9, v[2:3], s[40:41]
.LBB674_45:
	s_or_b64 exec, exec, s[38:39]
	v_xad_u32 v4, v50, -1, s6
	v_add_u32_e32 v8, 64, v4
	v_lshlrev_b64 v[6:7], 3, v[8:9]
	v_mov_b32_e32 v3, s35
	v_add_co_u32_e32 v10, vcc, s34, v6
	v_addc_co_u32_e32 v11, vcc, v3, v7, vcc
	global_load_dwordx2 v[6:7], v[10:11], off glc
	s_waitcnt vmcnt(0)
	v_cmp_eq_u16_sdwa s[40:41], v7, v9 src0_sel:BYTE_0 src1_sel:DWORD
	s_and_saveexec_b64 s[38:39], s[40:41]
	s_cbranch_execz .LBB674_49
; %bb.46:
	s_mov_b64 s[40:41], 0
	v_mov_b32_e32 v3, 0
.LBB674_47:                             ; =>This Inner Loop Header: Depth=1
	global_load_dwordx2 v[6:7], v[10:11], off glc
	s_waitcnt vmcnt(0)
	v_cmp_ne_u16_sdwa s[44:45], v7, v3 src0_sel:BYTE_0 src1_sel:DWORD
	s_or_b64 s[40:41], s[44:45], s[40:41]
	s_andn2_b64 exec, exec, s[40:41]
	s_cbranch_execnz .LBB674_47
; %bb.48:
	s_or_b64 exec, exec, s[40:41]
.LBB674_49:
	s_or_b64 exec, exec, s[38:39]
	v_and_b32_e32 v14, 63, v50
	v_mov_b32_e32 v3, 2
	v_cmp_ne_u32_e32 vcc, 63, v14
	v_cmp_eq_u16_sdwa s[38:39], v7, v3 src0_sel:BYTE_0 src1_sel:DWORD
	v_lshlrev_b64 v[8:9], v50, -1
	v_addc_co_u32_e32 v11, vcc, 0, v50, vcc
	v_and_b32_e32 v5, s39, v9
	v_lshlrev_b32_e32 v15, 2, v11
	v_or_b32_e32 v5, 0x80000000, v5
	ds_bpermute_b32 v11, v15, v6
	v_and_b32_e32 v10, s38, v8
	v_ffbl_b32_e32 v5, v5
	v_add_u32_e32 v5, 32, v5
	v_ffbl_b32_e32 v10, v10
	v_min_u32_e32 v5, v10, v5
	v_cmp_lt_u32_e32 vcc, v14, v5
	s_waitcnt lgkmcnt(0)
	v_cndmask_b32_e32 v10, 0, v11, vcc
	v_cmp_gt_u32_e32 vcc, 62, v14
	v_add_u32_e32 v6, v10, v6
	v_cndmask_b32_e64 v10, 0, 1, vcc
	v_lshlrev_b32_e32 v10, 1, v10
	v_add_lshl_u32 v16, v10, v50, 2
	ds_bpermute_b32 v10, v16, v6
	v_add_u32_e32 v17, 2, v14
	v_cmp_le_u32_e32 vcc, v17, v5
	v_add_u32_e32 v19, 4, v14
	v_add_u32_e32 v54, 8, v14
	s_waitcnt lgkmcnt(0)
	v_cndmask_b32_e32 v10, 0, v10, vcc
	v_cmp_gt_u32_e32 vcc, 60, v14
	v_add_u32_e32 v6, v6, v10
	v_cndmask_b32_e64 v10, 0, 1, vcc
	v_lshlrev_b32_e32 v10, 2, v10
	v_add_lshl_u32 v18, v10, v50, 2
	ds_bpermute_b32 v10, v18, v6
	v_cmp_le_u32_e32 vcc, v19, v5
	v_add_u32_e32 v57, 16, v14
	v_add_u32_e32 v59, 32, v14
	s_waitcnt lgkmcnt(0)
	v_cndmask_b32_e32 v10, 0, v10, vcc
	v_cmp_gt_u32_e32 vcc, 56, v14
	v_add_u32_e32 v6, v6, v10
	v_cndmask_b32_e64 v10, 0, 1, vcc
	v_lshlrev_b32_e32 v10, 3, v10
	v_add_lshl_u32 v53, v10, v50, 2
	ds_bpermute_b32 v10, v53, v6
	v_cmp_le_u32_e32 vcc, v54, v5
	s_waitcnt lgkmcnt(0)
	v_cndmask_b32_e32 v10, 0, v10, vcc
	v_cmp_gt_u32_e32 vcc, 48, v14
	v_add_u32_e32 v6, v6, v10
	v_cndmask_b32_e64 v10, 0, 1, vcc
	v_lshlrev_b32_e32 v10, 4, v10
	v_add_lshl_u32 v56, v10, v50, 2
	ds_bpermute_b32 v10, v56, v6
	v_cmp_le_u32_e32 vcc, v57, v5
	;; [unrolled: 9-line block ×3, first 2 shown]
	s_waitcnt lgkmcnt(0)
	v_cndmask_b32_e32 v5, 0, v10, vcc
	v_add_u32_e32 v6, v6, v5
	v_mov_b32_e32 v5, 0
	s_branch .LBB674_51
.LBB674_50:                             ;   in Loop: Header=BB674_51 Depth=1
	s_or_b64 exec, exec, s[38:39]
	v_cmp_eq_u16_sdwa s[38:39], v7, v3 src0_sel:BYTE_0 src1_sel:DWORD
	v_and_b32_e32 v10, s39, v9
	v_or_b32_e32 v10, 0x80000000, v10
	ds_bpermute_b32 v60, v15, v6
	v_and_b32_e32 v11, s38, v8
	v_ffbl_b32_e32 v10, v10
	v_add_u32_e32 v10, 32, v10
	v_ffbl_b32_e32 v11, v11
	v_min_u32_e32 v10, v11, v10
	v_cmp_lt_u32_e32 vcc, v14, v10
	s_waitcnt lgkmcnt(0)
	v_cndmask_b32_e32 v11, 0, v60, vcc
	v_add_u32_e32 v6, v11, v6
	ds_bpermute_b32 v11, v16, v6
	v_cmp_le_u32_e32 vcc, v17, v10
	v_subrev_u32_e32 v4, 64, v4
	s_waitcnt lgkmcnt(0)
	v_cndmask_b32_e32 v11, 0, v11, vcc
	v_add_u32_e32 v6, v6, v11
	ds_bpermute_b32 v11, v18, v6
	v_cmp_le_u32_e32 vcc, v19, v10
	s_waitcnt lgkmcnt(0)
	v_cndmask_b32_e32 v11, 0, v11, vcc
	v_add_u32_e32 v6, v6, v11
	ds_bpermute_b32 v11, v53, v6
	v_cmp_le_u32_e32 vcc, v54, v10
	;; [unrolled: 5-line block ×4, first 2 shown]
	s_waitcnt lgkmcnt(0)
	v_cndmask_b32_e32 v10, 0, v11, vcc
	v_add3_u32 v6, v10, v55, v6
.LBB674_51:                             ; =>This Loop Header: Depth=1
                                        ;     Child Loop BB674_54 Depth 2
	v_cmp_ne_u16_sdwa s[38:39], v7, v3 src0_sel:BYTE_0 src1_sel:DWORD
	v_cndmask_b32_e64 v7, 0, 1, s[38:39]
	;;#ASMSTART
	;;#ASMEND
	v_cmp_ne_u32_e32 vcc, 0, v7
	s_cmp_lg_u64 vcc, exec
	v_mov_b32_e32 v55, v6
	s_cbranch_scc1 .LBB674_56
; %bb.52:                               ;   in Loop: Header=BB674_51 Depth=1
	v_lshlrev_b64 v[6:7], 3, v[4:5]
	v_mov_b32_e32 v11, s35
	v_add_co_u32_e32 v10, vcc, s34, v6
	v_addc_co_u32_e32 v11, vcc, v11, v7, vcc
	global_load_dwordx2 v[6:7], v[10:11], off glc
	s_waitcnt vmcnt(0)
	v_cmp_eq_u16_sdwa s[40:41], v7, v5 src0_sel:BYTE_0 src1_sel:DWORD
	s_and_saveexec_b64 s[38:39], s[40:41]
	s_cbranch_execz .LBB674_50
; %bb.53:                               ;   in Loop: Header=BB674_51 Depth=1
	s_mov_b64 s[40:41], 0
.LBB674_54:                             ;   Parent Loop BB674_51 Depth=1
                                        ; =>  This Inner Loop Header: Depth=2
	global_load_dwordx2 v[6:7], v[10:11], off glc
	s_waitcnt vmcnt(0)
	v_cmp_ne_u16_sdwa s[44:45], v7, v5 src0_sel:BYTE_0 src1_sel:DWORD
	s_or_b64 s[40:41], s[44:45], s[40:41]
	s_andn2_b64 exec, exec, s[40:41]
	s_cbranch_execnz .LBB674_54
; %bb.55:                               ;   in Loop: Header=BB674_51 Depth=1
	s_or_b64 exec, exec, s[40:41]
	s_branch .LBB674_50
.LBB674_56:                             ;   in Loop: Header=BB674_51 Depth=1
                                        ; implicit-def: $vgpr6
                                        ; implicit-def: $vgpr7
	s_cbranch_execz .LBB674_51
; %bb.57:
	s_and_saveexec_b64 s[38:39], s[16:17]
	s_cbranch_execz .LBB674_59
; %bb.58:
	s_add_i32 s6, s6, 64
	s_mov_b32 s7, 0
	s_lshl_b64 s[6:7], s[6:7], 3
	s_add_u32 s6, s34, s6
	v_add_u32_e32 v4, v55, v2
	v_mov_b32_e32 v5, 2
	s_addc_u32 s7, s35, s7
	v_mov_b32_e32 v3, 0
	global_store_dwordx2 v3, v[4:5], s[6:7]
	s_movk_i32 s6, 0x3400
	v_add_u32_e64 v3, s6, 0
	ds_write2_b32 v3, v2, v55 offset1:2
.LBB674_59:
	s_or_b64 exec, exec, s[38:39]
	v_cmp_eq_u32_e32 vcc, 0, v0
	s_and_b64 exec, exec, vcc
	s_cbranch_execz .LBB674_61
; %bb.60:
	v_mov_b32_e32 v2, 0
	ds_write_b32 v2, v55 offset:12
.LBB674_61:
	s_or_b64 exec, exec, s[36:37]
	v_mov_b32_e32 v2, 0
	s_waitcnt lgkmcnt(0)
	s_barrier
	ds_read_b32 v2, v2 offset:12
	v_cndmask_b32_e64 v3, v13, v12, s[16:17]
	v_cmp_ne_u32_e32 vcc, 0, v0
	v_cndmask_b32_e32 v3, 0, v3, vcc
	s_movk_i32 s6, 0x3400
	s_waitcnt lgkmcnt(0)
	v_add_u32_e32 v2, v2, v3
	v_add_u32_e32 v3, v2, v41
	;; [unrolled: 1-line block ×8, first 2 shown]
	v_add_u32_e64 v12, s6, 0
	v_add_u32_e32 v10, v9, v39
	s_barrier
	ds_read2_b32 v[18:19], v12 offset1:2
	v_add_u32_e32 v11, v10, v47
	v_add_u32_e32 v12, v11, v48
	;; [unrolled: 1-line block ×4, first 2 shown]
	s_branch .LBB674_72
.LBB674_62:
                                        ; implicit-def: $vgpr19
                                        ; implicit-def: $vgpr2_vgpr3_vgpr4_vgpr5_vgpr6_vgpr7_vgpr8_vgpr9_vgpr10_vgpr11_vgpr12_vgpr13_vgpr14_vgpr15_vgpr16_vgpr17
	s_cbranch_execz .LBB674_72
; %bb.63:
	s_nop 0
	v_mov_b32_dpp v2, v52 row_shr:1 row_mask:0xf bank_mask:0xf
	v_cndmask_b32_e64 v2, v2, 0, s[14:15]
	v_add_u32_e32 v2, v2, v52
	s_nop 1
	v_mov_b32_dpp v3, v2 row_shr:2 row_mask:0xf bank_mask:0xf
	v_cndmask_b32_e64 v3, 0, v3, s[12:13]
	v_add_u32_e32 v2, v2, v3
	;; [unrolled: 4-line block ×4, first 2 shown]
	s_nop 1
	v_mov_b32_dpp v3, v2 row_bcast:15 row_mask:0xf bank_mask:0xf
	v_cndmask_b32_e64 v3, v3, 0, s[18:19]
	v_add_u32_e32 v2, v2, v3
	s_nop 1
	v_mov_b32_dpp v3, v2 row_bcast:31 row_mask:0xf bank_mask:0xf
	v_cndmask_b32_e64 v3, 0, v3, s[2:3]
	v_add_u32_e32 v2, v2, v3
	s_and_saveexec_b64 s[2:3], s[4:5]
	s_cbranch_execz .LBB674_65
; %bb.64:
	v_lshlrev_b32_e32 v3, 2, v51
	ds_write_b32 v3, v2
.LBB674_65:
	s_or_b64 exec, exec, s[2:3]
	v_cmp_gt_u32_e32 vcc, 4, v0
	s_waitcnt lgkmcnt(0)
	s_barrier
	s_and_saveexec_b64 s[2:3], vcc
	s_cbranch_execz .LBB674_67
; %bb.66:
	ds_read_b32 v3, v1
	v_and_b32_e32 v4, 3, v50
	v_cmp_ne_u32_e32 vcc, 0, v4
	s_waitcnt lgkmcnt(0)
	v_mov_b32_dpp v5, v3 row_shr:1 row_mask:0xf bank_mask:0xf
	v_cndmask_b32_e32 v5, 0, v5, vcc
	v_add_u32_e32 v3, v5, v3
	v_cmp_lt_u32_e32 vcc, 1, v4
	s_nop 0
	v_mov_b32_dpp v5, v3 row_shr:2 row_mask:0xf bank_mask:0xf
	v_cndmask_b32_e32 v4, 0, v5, vcc
	v_add_u32_e32 v3, v3, v4
	ds_write_b32 v1, v3
.LBB674_67:
	s_or_b64 exec, exec, s[2:3]
	v_cmp_lt_u32_e32 vcc, 63, v0
	v_mov_b32_e32 v4, 0
	v_mov_b32_e32 v3, 0
	s_waitcnt lgkmcnt(0)
	s_barrier
	s_and_saveexec_b64 s[2:3], vcc
	s_cbranch_execz .LBB674_69
; %bb.68:
	v_lshl_add_u32 v3, v51, 2, -4
	ds_read_b32 v3, v3
.LBB674_69:
	s_or_b64 exec, exec, s[2:3]
	v_add_u32_e32 v5, -1, v50
	v_and_b32_e32 v6, 64, v50
	v_cmp_lt_i32_e32 vcc, v5, v6
	v_cndmask_b32_e32 v5, v5, v50, vcc
	s_waitcnt lgkmcnt(0)
	v_add_u32_e32 v2, v3, v2
	v_lshlrev_b32_e32 v5, 2, v5
	ds_bpermute_b32 v2, v5, v2
	ds_read_b32 v18, v4 offset:12
	v_cmp_eq_u32_e32 vcc, 0, v0
	s_and_saveexec_b64 s[2:3], vcc
	s_cbranch_execz .LBB674_71
; %bb.70:
	v_mov_b32_e32 v4, 0
	v_mov_b32_e32 v19, 2
	s_waitcnt lgkmcnt(0)
	global_store_dwordx2 v4, v[18:19], s[34:35] offset:512
.LBB674_71:
	s_or_b64 exec, exec, s[2:3]
	v_cmp_eq_u32_e64 s[2:3], 0, v50
	s_waitcnt lgkmcnt(1)
	v_cndmask_b32_e64 v2, v2, v3, s[2:3]
	v_cndmask_b32_e64 v2, v2, 0, vcc
	v_add_u32_e32 v3, v2, v41
	v_add_u32_e32 v4, v3, v42
	;; [unrolled: 1-line block ×11, first 2 shown]
	v_mov_b32_e32 v19, 0
	v_add_u32_e32 v14, v13, v38
	s_waitcnt lgkmcnt(0)
	s_barrier
.LBB674_72:
	s_waitcnt lgkmcnt(0)
	v_add_u32_e32 v33, v18, v33
	v_sub_u32_e32 v2, v2, v19
	v_and_b32_e32 v42, 1, v37
	v_sub_u32_e32 v41, v33, v2
	v_cmp_eq_u32_e32 vcc, 1, v42
	v_cndmask_b32_e32 v2, v41, v2, vcc
	v_lshlrev_b32_e32 v2, 2, v2
	v_lshrrev_b32_e32 v17, 8, v37
	ds_write_b32 v2, v30
	v_sub_u32_e32 v2, v3, v19
	v_sub_u32_e32 v3, v33, v2
	v_and_b32_e32 v17, 1, v17
	v_add_u32_e32 v3, 1, v3
	v_cmp_eq_u32_e32 vcc, 1, v17
	v_cndmask_b32_e32 v2, v3, v2, vcc
	v_lshlrev_b32_e32 v2, 2, v2
	ds_write_b32 v2, v31
	v_sub_u32_e32 v2, v4, v19
	v_mov_b32_e32 v4, 1
	v_sub_u32_e32 v3, v33, v2
	v_and_b32_sdwa v17, v4, v37 dst_sel:DWORD dst_unused:UNUSED_PAD src0_sel:DWORD src1_sel:WORD_1
	v_add_u32_e32 v3, 2, v3
	v_cmp_eq_u32_e32 vcc, 1, v17
	v_cndmask_b32_e32 v2, v3, v2, vcc
	v_lshlrev_b32_e32 v2, 2, v2
	ds_write_b32 v2, v28
	v_sub_u32_e32 v2, v5, v19
	v_sub_u32_e32 v3, v33, v2
	v_and_b32_e32 v5, 1, v40
	v_add_u32_e32 v3, 3, v3
	v_cmp_eq_u32_e32 vcc, 1, v5
	v_cndmask_b32_e32 v2, v3, v2, vcc
	v_lshlrev_b32_e32 v2, 2, v2
	ds_write_b32 v2, v29
	v_sub_u32_e32 v2, v6, v19
	v_sub_u32_e32 v3, v33, v2
	v_and_b32_e32 v5, 1, v36
	v_add_u32_e32 v3, 4, v3
	v_cmp_eq_u32_e32 vcc, 1, v5
	v_cndmask_b32_e32 v2, v3, v2, vcc
	v_lshlrev_b32_e32 v2, 2, v2
	v_lshrrev_b32_e32 v16, 8, v36
	ds_write_b32 v2, v26
	v_sub_u32_e32 v2, v7, v19
	v_sub_u32_e32 v3, v33, v2
	v_and_b32_e32 v5, 1, v16
	v_add_u32_e32 v3, 5, v3
	v_cmp_eq_u32_e32 vcc, 1, v5
	v_cndmask_b32_e32 v2, v3, v2, vcc
	v_lshlrev_b32_e32 v2, 2, v2
	ds_write_b32 v2, v27
	v_sub_u32_e32 v2, v8, v19
	v_sub_u32_e32 v3, v33, v2
	v_and_b32_sdwa v5, v4, v36 dst_sel:DWORD dst_unused:UNUSED_PAD src0_sel:DWORD src1_sel:WORD_1
	v_add_u32_e32 v3, 6, v3
	v_cmp_eq_u32_e32 vcc, 1, v5
	v_cndmask_b32_e32 v2, v3, v2, vcc
	v_lshlrev_b32_e32 v2, 2, v2
	ds_write_b32 v2, v24
	v_sub_u32_e32 v2, v9, v19
	v_sub_u32_e32 v3, v33, v2
	v_and_b32_e32 v5, 1, v39
	v_add_u32_e32 v3, 7, v3
	v_cmp_eq_u32_e32 vcc, 1, v5
	v_cndmask_b32_e32 v2, v3, v2, vcc
	v_lshlrev_b32_e32 v2, 2, v2
	ds_write_b32 v2, v25
	v_sub_u32_e32 v2, v10, v19
	v_sub_u32_e32 v3, v33, v2
	v_and_b32_e32 v5, 1, v35
	v_add_u32_e32 v3, 8, v3
	v_cmp_eq_u32_e32 vcc, 1, v5
	v_cndmask_b32_e32 v2, v3, v2, vcc
	v_lshlrev_b32_e32 v2, 2, v2
	v_lshrrev_b32_e32 v15, 8, v35
	ds_write_b32 v2, v22
	v_sub_u32_e32 v2, v11, v19
	v_sub_u32_e32 v3, v33, v2
	v_and_b32_e32 v5, 1, v15
	v_add_u32_e32 v3, 9, v3
	v_cmp_eq_u32_e32 vcc, 1, v5
	v_cndmask_b32_e32 v2, v3, v2, vcc
	v_lshlrev_b32_e32 v2, 2, v2
	ds_write_b32 v2, v23
	v_sub_u32_e32 v2, v12, v19
	v_sub_u32_e32 v3, v33, v2
	v_and_b32_sdwa v4, v4, v35 dst_sel:DWORD dst_unused:UNUSED_PAD src0_sel:DWORD src1_sel:WORD_1
	v_add_u32_e32 v3, 10, v3
	v_cmp_eq_u32_e32 vcc, 1, v4
	v_cndmask_b32_e32 v2, v3, v2, vcc
	v_lshlrev_b32_e32 v2, 2, v2
	ds_write_b32 v2, v20
	v_sub_u32_e32 v2, v13, v19
	v_sub_u32_e32 v3, v33, v2
	v_and_b32_e32 v4, 1, v38
	v_add_u32_e32 v3, 11, v3
	v_cmp_eq_u32_e32 vcc, 1, v4
	v_cndmask_b32_e32 v2, v3, v2, vcc
	v_lshlrev_b32_e32 v2, 2, v2
	ds_write_b32 v2, v21
	v_sub_u32_e32 v2, v14, v19
	v_sub_u32_e32 v3, v33, v2
	v_and_b32_e32 v4, 1, v34
	v_add_u32_e32 v3, 12, v3
	v_cmp_eq_u32_e32 vcc, 1, v4
	v_cndmask_b32_e32 v2, v3, v2, vcc
	s_add_u32 s2, s28, s42
	v_lshlrev_b32_e32 v2, 2, v2
	s_addc_u32 s3, s29, 0
	ds_write_b32 v2, v32
	s_waitcnt lgkmcnt(0)
	s_barrier
	ds_read2st64_b32 v[12:13], v1 offset1:4
	ds_read2st64_b32 v[10:11], v1 offset0:8 offset1:12
	ds_read2st64_b32 v[8:9], v1 offset0:16 offset1:20
	;; [unrolled: 1-line block ×5, first 2 shown]
	ds_read_b32 v17, v1 offset:12288
	v_mov_b32_e32 v14, s31
	v_add_co_u32_e32 v1, vcc, s30, v19
	s_sub_u32 s2, s26, s2
	v_addc_co_u32_e32 v16, vcc, 0, v14, vcc
	s_subb_u32 s3, s27, s3
	v_mov_b32_e32 v14, s3
	v_add_co_u32_e32 v15, vcc, s2, v18
	v_addc_co_u32_e32 v14, vcc, 0, v14, vcc
	s_and_b64 vcc, exec, s[0:1]
	v_add_co_u32_e64 v19, s[0:1], v15, v1
	v_or_b32_e32 v32, 0x100, v0
	v_or_b32_e32 v31, 0x200, v0
	;; [unrolled: 1-line block ×12, first 2 shown]
	v_addc_co_u32_e64 v21, s[0:1], v14, v16, s[0:1]
	s_cbranch_vccnz .LBB674_126
; %bb.73:
	v_cmp_ge_u32_e32 vcc, v0, v18
                                        ; implicit-def: $vgpr14_vgpr15
	s_and_saveexec_b64 s[0:1], vcc
	s_xor_b64 s[0:1], exec, s[0:1]
; %bb.74:
	v_not_b32_e32 v14, v0
	v_ashrrev_i32_e32 v15, 31, v14
	v_add_co_u32_e32 v14, vcc, v19, v14
	v_addc_co_u32_e32 v15, vcc, v21, v15, vcc
; %bb.75:
	s_andn2_saveexec_b64 s[0:1], s[0:1]
; %bb.76:
	v_add_co_u32_e32 v14, vcc, v1, v0
	v_addc_co_u32_e32 v15, vcc, 0, v16, vcc
; %bb.77:
	s_or_b64 exec, exec, s[0:1]
	v_lshlrev_b64 v[14:15], 2, v[14:15]
	v_mov_b32_e32 v33, s25
	v_add_co_u32_e32 v14, vcc, s24, v14
	v_addc_co_u32_e32 v15, vcc, v33, v15, vcc
	v_cmp_ge_u32_e32 vcc, v32, v18
	s_waitcnt lgkmcnt(6)
	global_store_dword v[14:15], v12, off
                                        ; implicit-def: $vgpr14_vgpr15
	s_and_saveexec_b64 s[0:1], vcc
	s_xor_b64 s[0:1], exec, s[0:1]
; %bb.78:
	v_xor_b32_e32 v14, 0xfffffeff, v0
	v_ashrrev_i32_e32 v15, 31, v14
	v_add_co_u32_e32 v14, vcc, v19, v14
	v_addc_co_u32_e32 v15, vcc, v21, v15, vcc
; %bb.79:
	s_andn2_saveexec_b64 s[0:1], s[0:1]
; %bb.80:
	v_add_co_u32_e32 v14, vcc, v1, v32
	v_addc_co_u32_e32 v15, vcc, 0, v16, vcc
; %bb.81:
	s_or_b64 exec, exec, s[0:1]
	v_lshlrev_b64 v[14:15], 2, v[14:15]
	v_mov_b32_e32 v33, s25
	v_add_co_u32_e32 v14, vcc, s24, v14
	v_addc_co_u32_e32 v15, vcc, v33, v15, vcc
	v_cmp_ge_u32_e32 vcc, v31, v18
	global_store_dword v[14:15], v13, off
                                        ; implicit-def: $vgpr14_vgpr15
	s_and_saveexec_b64 s[0:1], vcc
	s_xor_b64 s[0:1], exec, s[0:1]
; %bb.82:
	v_xor_b32_e32 v14, 0xfffffdff, v0
	v_ashrrev_i32_e32 v15, 31, v14
	v_add_co_u32_e32 v14, vcc, v19, v14
	v_addc_co_u32_e32 v15, vcc, v21, v15, vcc
; %bb.83:
	s_andn2_saveexec_b64 s[0:1], s[0:1]
; %bb.84:
	v_add_co_u32_e32 v14, vcc, v1, v31
	v_addc_co_u32_e32 v15, vcc, 0, v16, vcc
; %bb.85:
	s_or_b64 exec, exec, s[0:1]
	v_lshlrev_b64 v[14:15], 2, v[14:15]
	v_mov_b32_e32 v33, s25
	v_add_co_u32_e32 v14, vcc, s24, v14
	v_addc_co_u32_e32 v15, vcc, v33, v15, vcc
	v_cmp_ge_u32_e32 vcc, v30, v18
	s_waitcnt lgkmcnt(5)
	global_store_dword v[14:15], v10, off
                                        ; implicit-def: $vgpr14_vgpr15
	s_and_saveexec_b64 s[0:1], vcc
	s_xor_b64 s[0:1], exec, s[0:1]
; %bb.86:
	v_xor_b32_e32 v14, 0xfffffcff, v0
	v_ashrrev_i32_e32 v15, 31, v14
	v_add_co_u32_e32 v14, vcc, v19, v14
	v_addc_co_u32_e32 v15, vcc, v21, v15, vcc
; %bb.87:
	s_andn2_saveexec_b64 s[0:1], s[0:1]
; %bb.88:
	v_add_co_u32_e32 v14, vcc, v1, v30
	v_addc_co_u32_e32 v15, vcc, 0, v16, vcc
; %bb.89:
	s_or_b64 exec, exec, s[0:1]
	v_lshlrev_b64 v[14:15], 2, v[14:15]
	v_mov_b32_e32 v33, s25
	v_add_co_u32_e32 v14, vcc, s24, v14
	v_addc_co_u32_e32 v15, vcc, v33, v15, vcc
	v_cmp_ge_u32_e32 vcc, v29, v18
	global_store_dword v[14:15], v11, off
                                        ; implicit-def: $vgpr14_vgpr15
	s_and_saveexec_b64 s[0:1], vcc
	s_xor_b64 s[0:1], exec, s[0:1]
; %bb.90:
	v_xor_b32_e32 v14, 0xfffffbff, v0
	;; [unrolled: 43-line block ×6, first 2 shown]
	v_ashrrev_i32_e32 v15, 31, v14
	v_add_co_u32_e32 v14, vcc, v19, v14
	v_addc_co_u32_e32 v15, vcc, v21, v15, vcc
; %bb.123:
	s_andn2_saveexec_b64 s[0:1], s[0:1]
; %bb.124:
	v_add_co_u32_e32 v14, vcc, v1, v20
	v_addc_co_u32_e32 v15, vcc, 0, v16, vcc
; %bb.125:
	s_or_b64 exec, exec, s[0:1]
	s_mov_b64 s[0:1], -1
	s_branch .LBB674_206
.LBB674_126:
	s_mov_b64 s[0:1], 0
                                        ; implicit-def: $vgpr14_vgpr15
	s_cbranch_execz .LBB674_206
; %bb.127:
	v_cmp_gt_u32_e32 vcc, s33, v0
	s_and_saveexec_b64 s[2:3], vcc
	s_cbranch_execz .LBB674_163
; %bb.128:
	v_cmp_ge_u32_e32 vcc, v0, v18
                                        ; implicit-def: $vgpr14_vgpr15
	s_and_saveexec_b64 s[4:5], vcc
	s_xor_b64 s[4:5], exec, s[4:5]
; %bb.129:
	v_not_b32_e32 v14, v0
	v_ashrrev_i32_e32 v15, 31, v14
	v_add_co_u32_e32 v14, vcc, v19, v14
	v_addc_co_u32_e32 v15, vcc, v21, v15, vcc
; %bb.130:
	s_andn2_saveexec_b64 s[4:5], s[4:5]
; %bb.131:
	v_add_co_u32_e32 v14, vcc, v1, v0
	v_addc_co_u32_e32 v15, vcc, 0, v16, vcc
; %bb.132:
	s_or_b64 exec, exec, s[4:5]
	v_lshlrev_b64 v[14:15], 2, v[14:15]
	v_mov_b32_e32 v33, s25
	v_add_co_u32_e32 v14, vcc, s24, v14
	v_addc_co_u32_e32 v15, vcc, v33, v15, vcc
	s_waitcnt lgkmcnt(6)
	global_store_dword v[14:15], v12, off
	s_or_b64 exec, exec, s[2:3]
	v_cmp_gt_u32_e32 vcc, s33, v32
	s_and_saveexec_b64 s[2:3], vcc
	s_cbranch_execnz .LBB674_164
.LBB674_133:
	s_or_b64 exec, exec, s[2:3]
	v_cmp_gt_u32_e32 vcc, s33, v31
	s_and_saveexec_b64 s[2:3], vcc
	s_cbranch_execz .LBB674_169
.LBB674_134:
	v_cmp_ge_u32_e32 vcc, v31, v18
                                        ; implicit-def: $vgpr12_vgpr13
	s_and_saveexec_b64 s[4:5], vcc
	s_xor_b64 s[4:5], exec, s[4:5]
	s_cbranch_execz .LBB674_136
; %bb.135:
	s_waitcnt lgkmcnt(6)
	v_xor_b32_e32 v12, 0xfffffdff, v0
	v_ashrrev_i32_e32 v13, 31, v12
	v_add_co_u32_e32 v12, vcc, v19, v12
	v_addc_co_u32_e32 v13, vcc, v21, v13, vcc
                                        ; implicit-def: $vgpr31
.LBB674_136:
	s_andn2_saveexec_b64 s[4:5], s[4:5]
	s_cbranch_execz .LBB674_138
; %bb.137:
	s_waitcnt lgkmcnt(6)
	v_add_co_u32_e32 v12, vcc, v1, v31
	v_addc_co_u32_e32 v13, vcc, 0, v16, vcc
.LBB674_138:
	s_or_b64 exec, exec, s[4:5]
	s_waitcnt lgkmcnt(6)
	v_lshlrev_b64 v[12:13], 2, v[12:13]
	v_mov_b32_e32 v14, s25
	v_add_co_u32_e32 v12, vcc, s24, v12
	v_addc_co_u32_e32 v13, vcc, v14, v13, vcc
	s_waitcnt lgkmcnt(5)
	global_store_dword v[12:13], v10, off
	s_or_b64 exec, exec, s[2:3]
	v_cmp_gt_u32_e32 vcc, s33, v30
	s_and_saveexec_b64 s[2:3], vcc
	s_cbranch_execnz .LBB674_170
.LBB674_139:
	s_or_b64 exec, exec, s[2:3]
	v_cmp_gt_u32_e32 vcc, s33, v29
	s_and_saveexec_b64 s[2:3], vcc
	s_cbranch_execz .LBB674_175
.LBB674_140:
	v_cmp_ge_u32_e32 vcc, v29, v18
                                        ; implicit-def: $vgpr10_vgpr11
	s_and_saveexec_b64 s[4:5], vcc
	s_xor_b64 s[4:5], exec, s[4:5]
	s_cbranch_execz .LBB674_142
; %bb.141:
	s_waitcnt lgkmcnt(5)
	v_xor_b32_e32 v10, 0xfffffbff, v0
	v_ashrrev_i32_e32 v11, 31, v10
	v_add_co_u32_e32 v10, vcc, v19, v10
	v_addc_co_u32_e32 v11, vcc, v21, v11, vcc
                                        ; implicit-def: $vgpr29
.LBB674_142:
	s_andn2_saveexec_b64 s[4:5], s[4:5]
	s_cbranch_execz .LBB674_144
; %bb.143:
	s_waitcnt lgkmcnt(5)
	v_add_co_u32_e32 v10, vcc, v1, v29
	v_addc_co_u32_e32 v11, vcc, 0, v16, vcc
.LBB674_144:
	s_or_b64 exec, exec, s[4:5]
	s_waitcnt lgkmcnt(5)
	v_lshlrev_b64 v[10:11], 2, v[10:11]
	v_mov_b32_e32 v12, s25
	v_add_co_u32_e32 v10, vcc, s24, v10
	v_addc_co_u32_e32 v11, vcc, v12, v11, vcc
	s_waitcnt lgkmcnt(4)
	global_store_dword v[10:11], v8, off
	s_or_b64 exec, exec, s[2:3]
	v_cmp_gt_u32_e32 vcc, s33, v28
	s_and_saveexec_b64 s[2:3], vcc
	s_cbranch_execnz .LBB674_176
.LBB674_145:
	s_or_b64 exec, exec, s[2:3]
	v_cmp_gt_u32_e32 vcc, s33, v27
	s_and_saveexec_b64 s[2:3], vcc
	s_cbranch_execz .LBB674_181
.LBB674_146:
	v_cmp_ge_u32_e32 vcc, v27, v18
                                        ; implicit-def: $vgpr8_vgpr9
	s_and_saveexec_b64 s[4:5], vcc
	s_xor_b64 s[4:5], exec, s[4:5]
	s_cbranch_execz .LBB674_148
; %bb.147:
	s_waitcnt lgkmcnt(4)
	v_xor_b32_e32 v8, 0xfffff9ff, v0
	v_ashrrev_i32_e32 v9, 31, v8
	v_add_co_u32_e32 v8, vcc, v19, v8
	v_addc_co_u32_e32 v9, vcc, v21, v9, vcc
                                        ; implicit-def: $vgpr27
.LBB674_148:
	s_andn2_saveexec_b64 s[4:5], s[4:5]
	s_cbranch_execz .LBB674_150
; %bb.149:
	s_waitcnt lgkmcnt(4)
	v_add_co_u32_e32 v8, vcc, v1, v27
	v_addc_co_u32_e32 v9, vcc, 0, v16, vcc
.LBB674_150:
	s_or_b64 exec, exec, s[4:5]
	s_waitcnt lgkmcnt(4)
	v_lshlrev_b64 v[8:9], 2, v[8:9]
	v_mov_b32_e32 v10, s25
	v_add_co_u32_e32 v8, vcc, s24, v8
	v_addc_co_u32_e32 v9, vcc, v10, v9, vcc
	s_waitcnt lgkmcnt(3)
	global_store_dword v[8:9], v6, off
	s_or_b64 exec, exec, s[2:3]
	v_cmp_gt_u32_e32 vcc, s33, v26
	s_and_saveexec_b64 s[2:3], vcc
	s_cbranch_execnz .LBB674_182
.LBB674_151:
	s_or_b64 exec, exec, s[2:3]
	v_cmp_gt_u32_e32 vcc, s33, v25
	s_and_saveexec_b64 s[2:3], vcc
	s_cbranch_execz .LBB674_187
.LBB674_152:
	v_cmp_ge_u32_e32 vcc, v25, v18
                                        ; implicit-def: $vgpr6_vgpr7
	s_and_saveexec_b64 s[4:5], vcc
	s_xor_b64 s[4:5], exec, s[4:5]
	s_cbranch_execz .LBB674_154
; %bb.153:
	s_waitcnt lgkmcnt(3)
	v_xor_b32_e32 v6, 0xfffff7ff, v0
	v_ashrrev_i32_e32 v7, 31, v6
	v_add_co_u32_e32 v6, vcc, v19, v6
	v_addc_co_u32_e32 v7, vcc, v21, v7, vcc
                                        ; implicit-def: $vgpr25
.LBB674_154:
	s_andn2_saveexec_b64 s[4:5], s[4:5]
	s_cbranch_execz .LBB674_156
; %bb.155:
	s_waitcnt lgkmcnt(3)
	v_add_co_u32_e32 v6, vcc, v1, v25
	v_addc_co_u32_e32 v7, vcc, 0, v16, vcc
.LBB674_156:
	s_or_b64 exec, exec, s[4:5]
	s_waitcnt lgkmcnt(3)
	v_lshlrev_b64 v[6:7], 2, v[6:7]
	v_mov_b32_e32 v8, s25
	v_add_co_u32_e32 v6, vcc, s24, v6
	v_addc_co_u32_e32 v7, vcc, v8, v7, vcc
	s_waitcnt lgkmcnt(2)
	global_store_dword v[6:7], v4, off
	s_or_b64 exec, exec, s[2:3]
	v_cmp_gt_u32_e32 vcc, s33, v24
	s_and_saveexec_b64 s[2:3], vcc
	s_cbranch_execnz .LBB674_188
.LBB674_157:
	s_or_b64 exec, exec, s[2:3]
	v_cmp_gt_u32_e32 vcc, s33, v23
	s_and_saveexec_b64 s[2:3], vcc
	s_cbranch_execz .LBB674_193
.LBB674_158:
	v_cmp_ge_u32_e32 vcc, v23, v18
                                        ; implicit-def: $vgpr4_vgpr5
	s_and_saveexec_b64 s[4:5], vcc
	s_xor_b64 s[4:5], exec, s[4:5]
	s_cbranch_execz .LBB674_160
; %bb.159:
	s_waitcnt lgkmcnt(2)
	v_xor_b32_e32 v4, 0xfffff5ff, v0
	v_ashrrev_i32_e32 v5, 31, v4
	v_add_co_u32_e32 v4, vcc, v19, v4
	v_addc_co_u32_e32 v5, vcc, v21, v5, vcc
                                        ; implicit-def: $vgpr23
.LBB674_160:
	s_andn2_saveexec_b64 s[4:5], s[4:5]
	s_cbranch_execz .LBB674_162
; %bb.161:
	s_waitcnt lgkmcnt(2)
	v_add_co_u32_e32 v4, vcc, v1, v23
	v_addc_co_u32_e32 v5, vcc, 0, v16, vcc
.LBB674_162:
	s_or_b64 exec, exec, s[4:5]
	s_waitcnt lgkmcnt(2)
	v_lshlrev_b64 v[4:5], 2, v[4:5]
	v_mov_b32_e32 v6, s25
	v_add_co_u32_e32 v4, vcc, s24, v4
	v_addc_co_u32_e32 v5, vcc, v6, v5, vcc
	s_waitcnt lgkmcnt(1)
	global_store_dword v[4:5], v2, off
	s_or_b64 exec, exec, s[2:3]
	v_cmp_gt_u32_e32 vcc, s33, v22
	s_and_saveexec_b64 s[2:3], vcc
	s_cbranch_execz .LBB674_199
	s_branch .LBB674_194
.LBB674_163:
	s_or_b64 exec, exec, s[2:3]
	v_cmp_gt_u32_e32 vcc, s33, v32
	s_and_saveexec_b64 s[2:3], vcc
	s_cbranch_execz .LBB674_133
.LBB674_164:
	v_cmp_ge_u32_e32 vcc, v32, v18
                                        ; implicit-def: $vgpr14_vgpr15
	s_and_saveexec_b64 s[4:5], vcc
	s_xor_b64 s[4:5], exec, s[4:5]
	s_cbranch_execz .LBB674_166
; %bb.165:
	s_waitcnt lgkmcnt(6)
	v_xor_b32_e32 v12, 0xfffffeff, v0
	v_ashrrev_i32_e32 v15, 31, v12
	v_add_co_u32_e32 v14, vcc, v19, v12
	v_addc_co_u32_e32 v15, vcc, v21, v15, vcc
                                        ; implicit-def: $vgpr32
.LBB674_166:
	s_andn2_saveexec_b64 s[4:5], s[4:5]
; %bb.167:
	v_add_co_u32_e32 v14, vcc, v1, v32
	v_addc_co_u32_e32 v15, vcc, 0, v16, vcc
; %bb.168:
	s_or_b64 exec, exec, s[4:5]
	v_lshlrev_b64 v[14:15], 2, v[14:15]
	s_waitcnt lgkmcnt(6)
	v_mov_b32_e32 v12, s25
	v_add_co_u32_e32 v14, vcc, s24, v14
	v_addc_co_u32_e32 v15, vcc, v12, v15, vcc
	global_store_dword v[14:15], v13, off
	s_or_b64 exec, exec, s[2:3]
	v_cmp_gt_u32_e32 vcc, s33, v31
	s_and_saveexec_b64 s[2:3], vcc
	s_cbranch_execnz .LBB674_134
.LBB674_169:
	s_or_b64 exec, exec, s[2:3]
	v_cmp_gt_u32_e32 vcc, s33, v30
	s_and_saveexec_b64 s[2:3], vcc
	s_cbranch_execz .LBB674_139
.LBB674_170:
	v_cmp_ge_u32_e32 vcc, v30, v18
                                        ; implicit-def: $vgpr12_vgpr13
	s_and_saveexec_b64 s[4:5], vcc
	s_xor_b64 s[4:5], exec, s[4:5]
	s_cbranch_execz .LBB674_172
; %bb.171:
	s_waitcnt lgkmcnt(5)
	v_xor_b32_e32 v10, 0xfffffcff, v0
	v_ashrrev_i32_e32 v13, 31, v10
	v_add_co_u32_e32 v12, vcc, v19, v10
	v_addc_co_u32_e32 v13, vcc, v21, v13, vcc
                                        ; implicit-def: $vgpr30
.LBB674_172:
	s_andn2_saveexec_b64 s[4:5], s[4:5]
	s_cbranch_execz .LBB674_174
; %bb.173:
	s_waitcnt lgkmcnt(6)
	v_add_co_u32_e32 v12, vcc, v1, v30
	v_addc_co_u32_e32 v13, vcc, 0, v16, vcc
.LBB674_174:
	s_or_b64 exec, exec, s[4:5]
	s_waitcnt lgkmcnt(6)
	v_lshlrev_b64 v[12:13], 2, v[12:13]
	s_waitcnt lgkmcnt(5)
	v_mov_b32_e32 v10, s25
	v_add_co_u32_e32 v12, vcc, s24, v12
	v_addc_co_u32_e32 v13, vcc, v10, v13, vcc
	global_store_dword v[12:13], v11, off
	s_or_b64 exec, exec, s[2:3]
	v_cmp_gt_u32_e32 vcc, s33, v29
	s_and_saveexec_b64 s[2:3], vcc
	s_cbranch_execnz .LBB674_140
.LBB674_175:
	s_or_b64 exec, exec, s[2:3]
	v_cmp_gt_u32_e32 vcc, s33, v28
	s_and_saveexec_b64 s[2:3], vcc
	s_cbranch_execz .LBB674_145
.LBB674_176:
	v_cmp_ge_u32_e32 vcc, v28, v18
                                        ; implicit-def: $vgpr10_vgpr11
	s_and_saveexec_b64 s[4:5], vcc
	s_xor_b64 s[4:5], exec, s[4:5]
	s_cbranch_execz .LBB674_178
; %bb.177:
	s_waitcnt lgkmcnt(4)
	v_xor_b32_e32 v8, 0xfffffaff, v0
	v_ashrrev_i32_e32 v11, 31, v8
	v_add_co_u32_e32 v10, vcc, v19, v8
	v_addc_co_u32_e32 v11, vcc, v21, v11, vcc
                                        ; implicit-def: $vgpr28
.LBB674_178:
	s_andn2_saveexec_b64 s[4:5], s[4:5]
	s_cbranch_execz .LBB674_180
; %bb.179:
	s_waitcnt lgkmcnt(5)
	v_add_co_u32_e32 v10, vcc, v1, v28
	v_addc_co_u32_e32 v11, vcc, 0, v16, vcc
.LBB674_180:
	s_or_b64 exec, exec, s[4:5]
	s_waitcnt lgkmcnt(5)
	v_lshlrev_b64 v[10:11], 2, v[10:11]
	s_waitcnt lgkmcnt(4)
	v_mov_b32_e32 v8, s25
	v_add_co_u32_e32 v10, vcc, s24, v10
	v_addc_co_u32_e32 v11, vcc, v8, v11, vcc
	global_store_dword v[10:11], v9, off
	s_or_b64 exec, exec, s[2:3]
	v_cmp_gt_u32_e32 vcc, s33, v27
	s_and_saveexec_b64 s[2:3], vcc
	s_cbranch_execnz .LBB674_146
.LBB674_181:
	s_or_b64 exec, exec, s[2:3]
	v_cmp_gt_u32_e32 vcc, s33, v26
	s_and_saveexec_b64 s[2:3], vcc
	s_cbranch_execz .LBB674_151
.LBB674_182:
	v_cmp_ge_u32_e32 vcc, v26, v18
                                        ; implicit-def: $vgpr8_vgpr9
	s_and_saveexec_b64 s[4:5], vcc
	s_xor_b64 s[4:5], exec, s[4:5]
	s_cbranch_execz .LBB674_184
; %bb.183:
	s_waitcnt lgkmcnt(3)
	v_xor_b32_e32 v6, 0xfffff8ff, v0
	v_ashrrev_i32_e32 v9, 31, v6
	v_add_co_u32_e32 v8, vcc, v19, v6
	v_addc_co_u32_e32 v9, vcc, v21, v9, vcc
                                        ; implicit-def: $vgpr26
.LBB674_184:
	s_andn2_saveexec_b64 s[4:5], s[4:5]
	s_cbranch_execz .LBB674_186
; %bb.185:
	s_waitcnt lgkmcnt(4)
	v_add_co_u32_e32 v8, vcc, v1, v26
	v_addc_co_u32_e32 v9, vcc, 0, v16, vcc
.LBB674_186:
	s_or_b64 exec, exec, s[4:5]
	s_waitcnt lgkmcnt(4)
	v_lshlrev_b64 v[8:9], 2, v[8:9]
	s_waitcnt lgkmcnt(3)
	v_mov_b32_e32 v6, s25
	v_add_co_u32_e32 v8, vcc, s24, v8
	v_addc_co_u32_e32 v9, vcc, v6, v9, vcc
	global_store_dword v[8:9], v7, off
	s_or_b64 exec, exec, s[2:3]
	v_cmp_gt_u32_e32 vcc, s33, v25
	s_and_saveexec_b64 s[2:3], vcc
	s_cbranch_execnz .LBB674_152
.LBB674_187:
	s_or_b64 exec, exec, s[2:3]
	v_cmp_gt_u32_e32 vcc, s33, v24
	s_and_saveexec_b64 s[2:3], vcc
	s_cbranch_execz .LBB674_157
.LBB674_188:
	v_cmp_ge_u32_e32 vcc, v24, v18
                                        ; implicit-def: $vgpr6_vgpr7
	s_and_saveexec_b64 s[4:5], vcc
	s_xor_b64 s[4:5], exec, s[4:5]
	s_cbranch_execz .LBB674_190
; %bb.189:
	s_waitcnt lgkmcnt(2)
	v_xor_b32_e32 v4, 0xfffff6ff, v0
	v_ashrrev_i32_e32 v7, 31, v4
	v_add_co_u32_e32 v6, vcc, v19, v4
	v_addc_co_u32_e32 v7, vcc, v21, v7, vcc
                                        ; implicit-def: $vgpr24
.LBB674_190:
	s_andn2_saveexec_b64 s[4:5], s[4:5]
	s_cbranch_execz .LBB674_192
; %bb.191:
	s_waitcnt lgkmcnt(3)
	v_add_co_u32_e32 v6, vcc, v1, v24
	v_addc_co_u32_e32 v7, vcc, 0, v16, vcc
.LBB674_192:
	s_or_b64 exec, exec, s[4:5]
	s_waitcnt lgkmcnt(3)
	v_lshlrev_b64 v[6:7], 2, v[6:7]
	s_waitcnt lgkmcnt(2)
	v_mov_b32_e32 v4, s25
	v_add_co_u32_e32 v6, vcc, s24, v6
	v_addc_co_u32_e32 v7, vcc, v4, v7, vcc
	global_store_dword v[6:7], v5, off
	s_or_b64 exec, exec, s[2:3]
	v_cmp_gt_u32_e32 vcc, s33, v23
	s_and_saveexec_b64 s[2:3], vcc
	s_cbranch_execnz .LBB674_158
.LBB674_193:
	s_or_b64 exec, exec, s[2:3]
	v_cmp_gt_u32_e32 vcc, s33, v22
	s_and_saveexec_b64 s[2:3], vcc
	s_cbranch_execz .LBB674_199
.LBB674_194:
	v_cmp_ge_u32_e32 vcc, v22, v18
                                        ; implicit-def: $vgpr4_vgpr5
	s_and_saveexec_b64 s[4:5], vcc
	s_xor_b64 s[4:5], exec, s[4:5]
	s_cbranch_execz .LBB674_196
; %bb.195:
	s_waitcnt lgkmcnt(1)
	v_xor_b32_e32 v2, 0xfffff4ff, v0
	v_ashrrev_i32_e32 v5, 31, v2
	v_add_co_u32_e32 v4, vcc, v19, v2
	v_addc_co_u32_e32 v5, vcc, v21, v5, vcc
                                        ; implicit-def: $vgpr22
.LBB674_196:
	s_andn2_saveexec_b64 s[4:5], s[4:5]
	s_cbranch_execz .LBB674_198
; %bb.197:
	s_waitcnt lgkmcnt(2)
	v_add_co_u32_e32 v4, vcc, v1, v22
	v_addc_co_u32_e32 v5, vcc, 0, v16, vcc
.LBB674_198:
	s_or_b64 exec, exec, s[4:5]
	s_waitcnt lgkmcnt(2)
	v_lshlrev_b64 v[4:5], 2, v[4:5]
	s_waitcnt lgkmcnt(1)
	v_mov_b32_e32 v2, s25
	v_add_co_u32_e32 v4, vcc, s24, v4
	v_addc_co_u32_e32 v5, vcc, v2, v5, vcc
	global_store_dword v[4:5], v3, off
.LBB674_199:
	s_or_b64 exec, exec, s[2:3]
	v_cmp_gt_u32_e32 vcc, s33, v20
                                        ; implicit-def: $vgpr14_vgpr15
	s_and_saveexec_b64 s[2:3], vcc
	s_cbranch_execz .LBB674_205
; %bb.200:
	v_cmp_ge_u32_e32 vcc, v20, v18
                                        ; implicit-def: $vgpr14_vgpr15
	s_and_saveexec_b64 s[4:5], vcc
	s_xor_b64 s[4:5], exec, s[4:5]
	s_cbranch_execz .LBB674_202
; %bb.201:
	s_waitcnt lgkmcnt(1)
	v_xor_b32_e32 v2, 0xfffff3ff, v0
	v_ashrrev_i32_e32 v3, 31, v2
	v_add_co_u32_e32 v14, vcc, v19, v2
	v_addc_co_u32_e32 v15, vcc, v21, v3, vcc
                                        ; implicit-def: $vgpr20
.LBB674_202:
	s_andn2_saveexec_b64 s[4:5], s[4:5]
; %bb.203:
	v_add_co_u32_e32 v14, vcc, v1, v20
	v_addc_co_u32_e32 v15, vcc, 0, v16, vcc
; %bb.204:
	s_or_b64 exec, exec, s[4:5]
	s_or_b64 s[0:1], s[0:1], exec
.LBB674_205:
	s_or_b64 exec, exec, s[2:3]
.LBB674_206:
	s_and_saveexec_b64 s[2:3], s[0:1]
	s_cbranch_execz .LBB674_208
; %bb.207:
	s_waitcnt lgkmcnt(1)
	v_lshlrev_b64 v[2:3], 2, v[14:15]
	v_mov_b32_e32 v4, s25
	v_add_co_u32_e32 v2, vcc, s24, v2
	v_addc_co_u32_e32 v3, vcc, v4, v3, vcc
	s_waitcnt lgkmcnt(0)
	global_store_dword v[2:3], v17, off
.LBB674_208:
	s_or_b64 exec, exec, s[2:3]
	v_cmp_eq_u32_e32 vcc, 0, v0
	s_and_b64 s[0:1], vcc, s[22:23]
	s_and_saveexec_b64 s[2:3], s[0:1]
	s_cbranch_execz .LBB674_210
; %bb.209:
	v_add_co_u32_e32 v0, vcc, v1, v18
	s_waitcnt lgkmcnt(1)
	v_mov_b32_e32 v2, 0
	v_addc_co_u32_e32 v1, vcc, 0, v16, vcc
	global_store_dwordx2 v2, v[0:1], s[20:21]
.LBB674_210:
	s_endpgm
	.section	.rodata,"a",@progbits
	.p2align	6, 0x0
	.amdhsa_kernel _ZN7rocprim17ROCPRIM_400000_NS6detail17trampoline_kernelINS0_13select_configILj256ELj13ELNS0_17block_load_methodE3ELS4_3ELS4_3ELNS0_20block_scan_algorithmE0ELj4294967295EEENS1_25partition_config_selectorILNS1_17partition_subalgoE3EjNS0_10empty_typeEbEEZZNS1_14partition_implILS8_3ELb0ES6_jNS0_17counting_iteratorIjlEEPS9_SE_NS0_5tupleIJPjSE_EEENSF_IJSE_SE_EEES9_SG_JZNS1_25segmented_radix_sort_implINS0_14default_configELb1EPKlPlSM_SN_N2at6native12_GLOBAL__N_18offset_tEEE10hipError_tPvRmT1_PNSt15iterator_traitsISV_E10value_typeET2_T3_PNSW_IS11_E10value_typeET4_jRbjT5_S17_jjP12ihipStream_tbEUljE_EEESS_ST_SU_S11_S15_S17_T6_T7_T9_mT8_S19_bDpT10_ENKUlT_T0_E_clISt17integral_constantIbLb0EES1M_EEDaS1H_S1I_EUlS1H_E_NS1_11comp_targetILNS1_3genE4ELNS1_11target_archE910ELNS1_3gpuE8ELNS1_3repE0EEENS1_30default_config_static_selectorELNS0_4arch9wavefront6targetE1EEEvSV_
		.amdhsa_group_segment_fixed_size 13324
		.amdhsa_private_segment_fixed_size 0
		.amdhsa_kernarg_size 144
		.amdhsa_user_sgpr_count 6
		.amdhsa_user_sgpr_private_segment_buffer 1
		.amdhsa_user_sgpr_dispatch_ptr 0
		.amdhsa_user_sgpr_queue_ptr 0
		.amdhsa_user_sgpr_kernarg_segment_ptr 1
		.amdhsa_user_sgpr_dispatch_id 0
		.amdhsa_user_sgpr_flat_scratch_init 0
		.amdhsa_user_sgpr_kernarg_preload_length 0
		.amdhsa_user_sgpr_kernarg_preload_offset 0
		.amdhsa_user_sgpr_private_segment_size 0
		.amdhsa_uses_dynamic_stack 0
		.amdhsa_system_sgpr_private_segment_wavefront_offset 0
		.amdhsa_system_sgpr_workgroup_id_x 1
		.amdhsa_system_sgpr_workgroup_id_y 0
		.amdhsa_system_sgpr_workgroup_id_z 0
		.amdhsa_system_sgpr_workgroup_info 0
		.amdhsa_system_vgpr_workitem_id 0
		.amdhsa_next_free_vgpr 61
		.amdhsa_next_free_sgpr 46
		.amdhsa_accum_offset 64
		.amdhsa_reserve_vcc 1
		.amdhsa_reserve_flat_scratch 0
		.amdhsa_float_round_mode_32 0
		.amdhsa_float_round_mode_16_64 0
		.amdhsa_float_denorm_mode_32 3
		.amdhsa_float_denorm_mode_16_64 3
		.amdhsa_dx10_clamp 1
		.amdhsa_ieee_mode 1
		.amdhsa_fp16_overflow 0
		.amdhsa_tg_split 0
		.amdhsa_exception_fp_ieee_invalid_op 0
		.amdhsa_exception_fp_denorm_src 0
		.amdhsa_exception_fp_ieee_div_zero 0
		.amdhsa_exception_fp_ieee_overflow 0
		.amdhsa_exception_fp_ieee_underflow 0
		.amdhsa_exception_fp_ieee_inexact 0
		.amdhsa_exception_int_div_zero 0
	.end_amdhsa_kernel
	.section	.text._ZN7rocprim17ROCPRIM_400000_NS6detail17trampoline_kernelINS0_13select_configILj256ELj13ELNS0_17block_load_methodE3ELS4_3ELS4_3ELNS0_20block_scan_algorithmE0ELj4294967295EEENS1_25partition_config_selectorILNS1_17partition_subalgoE3EjNS0_10empty_typeEbEEZZNS1_14partition_implILS8_3ELb0ES6_jNS0_17counting_iteratorIjlEEPS9_SE_NS0_5tupleIJPjSE_EEENSF_IJSE_SE_EEES9_SG_JZNS1_25segmented_radix_sort_implINS0_14default_configELb1EPKlPlSM_SN_N2at6native12_GLOBAL__N_18offset_tEEE10hipError_tPvRmT1_PNSt15iterator_traitsISV_E10value_typeET2_T3_PNSW_IS11_E10value_typeET4_jRbjT5_S17_jjP12ihipStream_tbEUljE_EEESS_ST_SU_S11_S15_S17_T6_T7_T9_mT8_S19_bDpT10_ENKUlT_T0_E_clISt17integral_constantIbLb0EES1M_EEDaS1H_S1I_EUlS1H_E_NS1_11comp_targetILNS1_3genE4ELNS1_11target_archE910ELNS1_3gpuE8ELNS1_3repE0EEENS1_30default_config_static_selectorELNS0_4arch9wavefront6targetE1EEEvSV_,"axG",@progbits,_ZN7rocprim17ROCPRIM_400000_NS6detail17trampoline_kernelINS0_13select_configILj256ELj13ELNS0_17block_load_methodE3ELS4_3ELS4_3ELNS0_20block_scan_algorithmE0ELj4294967295EEENS1_25partition_config_selectorILNS1_17partition_subalgoE3EjNS0_10empty_typeEbEEZZNS1_14partition_implILS8_3ELb0ES6_jNS0_17counting_iteratorIjlEEPS9_SE_NS0_5tupleIJPjSE_EEENSF_IJSE_SE_EEES9_SG_JZNS1_25segmented_radix_sort_implINS0_14default_configELb1EPKlPlSM_SN_N2at6native12_GLOBAL__N_18offset_tEEE10hipError_tPvRmT1_PNSt15iterator_traitsISV_E10value_typeET2_T3_PNSW_IS11_E10value_typeET4_jRbjT5_S17_jjP12ihipStream_tbEUljE_EEESS_ST_SU_S11_S15_S17_T6_T7_T9_mT8_S19_bDpT10_ENKUlT_T0_E_clISt17integral_constantIbLb0EES1M_EEDaS1H_S1I_EUlS1H_E_NS1_11comp_targetILNS1_3genE4ELNS1_11target_archE910ELNS1_3gpuE8ELNS1_3repE0EEENS1_30default_config_static_selectorELNS0_4arch9wavefront6targetE1EEEvSV_,comdat
.Lfunc_end674:
	.size	_ZN7rocprim17ROCPRIM_400000_NS6detail17trampoline_kernelINS0_13select_configILj256ELj13ELNS0_17block_load_methodE3ELS4_3ELS4_3ELNS0_20block_scan_algorithmE0ELj4294967295EEENS1_25partition_config_selectorILNS1_17partition_subalgoE3EjNS0_10empty_typeEbEEZZNS1_14partition_implILS8_3ELb0ES6_jNS0_17counting_iteratorIjlEEPS9_SE_NS0_5tupleIJPjSE_EEENSF_IJSE_SE_EEES9_SG_JZNS1_25segmented_radix_sort_implINS0_14default_configELb1EPKlPlSM_SN_N2at6native12_GLOBAL__N_18offset_tEEE10hipError_tPvRmT1_PNSt15iterator_traitsISV_E10value_typeET2_T3_PNSW_IS11_E10value_typeET4_jRbjT5_S17_jjP12ihipStream_tbEUljE_EEESS_ST_SU_S11_S15_S17_T6_T7_T9_mT8_S19_bDpT10_ENKUlT_T0_E_clISt17integral_constantIbLb0EES1M_EEDaS1H_S1I_EUlS1H_E_NS1_11comp_targetILNS1_3genE4ELNS1_11target_archE910ELNS1_3gpuE8ELNS1_3repE0EEENS1_30default_config_static_selectorELNS0_4arch9wavefront6targetE1EEEvSV_, .Lfunc_end674-_ZN7rocprim17ROCPRIM_400000_NS6detail17trampoline_kernelINS0_13select_configILj256ELj13ELNS0_17block_load_methodE3ELS4_3ELS4_3ELNS0_20block_scan_algorithmE0ELj4294967295EEENS1_25partition_config_selectorILNS1_17partition_subalgoE3EjNS0_10empty_typeEbEEZZNS1_14partition_implILS8_3ELb0ES6_jNS0_17counting_iteratorIjlEEPS9_SE_NS0_5tupleIJPjSE_EEENSF_IJSE_SE_EEES9_SG_JZNS1_25segmented_radix_sort_implINS0_14default_configELb1EPKlPlSM_SN_N2at6native12_GLOBAL__N_18offset_tEEE10hipError_tPvRmT1_PNSt15iterator_traitsISV_E10value_typeET2_T3_PNSW_IS11_E10value_typeET4_jRbjT5_S17_jjP12ihipStream_tbEUljE_EEESS_ST_SU_S11_S15_S17_T6_T7_T9_mT8_S19_bDpT10_ENKUlT_T0_E_clISt17integral_constantIbLb0EES1M_EEDaS1H_S1I_EUlS1H_E_NS1_11comp_targetILNS1_3genE4ELNS1_11target_archE910ELNS1_3gpuE8ELNS1_3repE0EEENS1_30default_config_static_selectorELNS0_4arch9wavefront6targetE1EEEvSV_
                                        ; -- End function
	.section	.AMDGPU.csdata,"",@progbits
; Kernel info:
; codeLenInByte = 7676
; NumSgprs: 50
; NumVgprs: 61
; NumAgprs: 0
; TotalNumVgprs: 61
; ScratchSize: 0
; MemoryBound: 0
; FloatMode: 240
; IeeeMode: 1
; LDSByteSize: 13324 bytes/workgroup (compile time only)
; SGPRBlocks: 6
; VGPRBlocks: 7
; NumSGPRsForWavesPerEU: 50
; NumVGPRsForWavesPerEU: 61
; AccumOffset: 64
; Occupancy: 4
; WaveLimiterHint : 0
; COMPUTE_PGM_RSRC2:SCRATCH_EN: 0
; COMPUTE_PGM_RSRC2:USER_SGPR: 6
; COMPUTE_PGM_RSRC2:TRAP_HANDLER: 0
; COMPUTE_PGM_RSRC2:TGID_X_EN: 1
; COMPUTE_PGM_RSRC2:TGID_Y_EN: 0
; COMPUTE_PGM_RSRC2:TGID_Z_EN: 0
; COMPUTE_PGM_RSRC2:TIDIG_COMP_CNT: 0
; COMPUTE_PGM_RSRC3_GFX90A:ACCUM_OFFSET: 15
; COMPUTE_PGM_RSRC3_GFX90A:TG_SPLIT: 0
	.section	.text._ZN7rocprim17ROCPRIM_400000_NS6detail17trampoline_kernelINS0_13select_configILj256ELj13ELNS0_17block_load_methodE3ELS4_3ELS4_3ELNS0_20block_scan_algorithmE0ELj4294967295EEENS1_25partition_config_selectorILNS1_17partition_subalgoE3EjNS0_10empty_typeEbEEZZNS1_14partition_implILS8_3ELb0ES6_jNS0_17counting_iteratorIjlEEPS9_SE_NS0_5tupleIJPjSE_EEENSF_IJSE_SE_EEES9_SG_JZNS1_25segmented_radix_sort_implINS0_14default_configELb1EPKlPlSM_SN_N2at6native12_GLOBAL__N_18offset_tEEE10hipError_tPvRmT1_PNSt15iterator_traitsISV_E10value_typeET2_T3_PNSW_IS11_E10value_typeET4_jRbjT5_S17_jjP12ihipStream_tbEUljE_EEESS_ST_SU_S11_S15_S17_T6_T7_T9_mT8_S19_bDpT10_ENKUlT_T0_E_clISt17integral_constantIbLb0EES1M_EEDaS1H_S1I_EUlS1H_E_NS1_11comp_targetILNS1_3genE3ELNS1_11target_archE908ELNS1_3gpuE7ELNS1_3repE0EEENS1_30default_config_static_selectorELNS0_4arch9wavefront6targetE1EEEvSV_,"axG",@progbits,_ZN7rocprim17ROCPRIM_400000_NS6detail17trampoline_kernelINS0_13select_configILj256ELj13ELNS0_17block_load_methodE3ELS4_3ELS4_3ELNS0_20block_scan_algorithmE0ELj4294967295EEENS1_25partition_config_selectorILNS1_17partition_subalgoE3EjNS0_10empty_typeEbEEZZNS1_14partition_implILS8_3ELb0ES6_jNS0_17counting_iteratorIjlEEPS9_SE_NS0_5tupleIJPjSE_EEENSF_IJSE_SE_EEES9_SG_JZNS1_25segmented_radix_sort_implINS0_14default_configELb1EPKlPlSM_SN_N2at6native12_GLOBAL__N_18offset_tEEE10hipError_tPvRmT1_PNSt15iterator_traitsISV_E10value_typeET2_T3_PNSW_IS11_E10value_typeET4_jRbjT5_S17_jjP12ihipStream_tbEUljE_EEESS_ST_SU_S11_S15_S17_T6_T7_T9_mT8_S19_bDpT10_ENKUlT_T0_E_clISt17integral_constantIbLb0EES1M_EEDaS1H_S1I_EUlS1H_E_NS1_11comp_targetILNS1_3genE3ELNS1_11target_archE908ELNS1_3gpuE7ELNS1_3repE0EEENS1_30default_config_static_selectorELNS0_4arch9wavefront6targetE1EEEvSV_,comdat
	.globl	_ZN7rocprim17ROCPRIM_400000_NS6detail17trampoline_kernelINS0_13select_configILj256ELj13ELNS0_17block_load_methodE3ELS4_3ELS4_3ELNS0_20block_scan_algorithmE0ELj4294967295EEENS1_25partition_config_selectorILNS1_17partition_subalgoE3EjNS0_10empty_typeEbEEZZNS1_14partition_implILS8_3ELb0ES6_jNS0_17counting_iteratorIjlEEPS9_SE_NS0_5tupleIJPjSE_EEENSF_IJSE_SE_EEES9_SG_JZNS1_25segmented_radix_sort_implINS0_14default_configELb1EPKlPlSM_SN_N2at6native12_GLOBAL__N_18offset_tEEE10hipError_tPvRmT1_PNSt15iterator_traitsISV_E10value_typeET2_T3_PNSW_IS11_E10value_typeET4_jRbjT5_S17_jjP12ihipStream_tbEUljE_EEESS_ST_SU_S11_S15_S17_T6_T7_T9_mT8_S19_bDpT10_ENKUlT_T0_E_clISt17integral_constantIbLb0EES1M_EEDaS1H_S1I_EUlS1H_E_NS1_11comp_targetILNS1_3genE3ELNS1_11target_archE908ELNS1_3gpuE7ELNS1_3repE0EEENS1_30default_config_static_selectorELNS0_4arch9wavefront6targetE1EEEvSV_ ; -- Begin function _ZN7rocprim17ROCPRIM_400000_NS6detail17trampoline_kernelINS0_13select_configILj256ELj13ELNS0_17block_load_methodE3ELS4_3ELS4_3ELNS0_20block_scan_algorithmE0ELj4294967295EEENS1_25partition_config_selectorILNS1_17partition_subalgoE3EjNS0_10empty_typeEbEEZZNS1_14partition_implILS8_3ELb0ES6_jNS0_17counting_iteratorIjlEEPS9_SE_NS0_5tupleIJPjSE_EEENSF_IJSE_SE_EEES9_SG_JZNS1_25segmented_radix_sort_implINS0_14default_configELb1EPKlPlSM_SN_N2at6native12_GLOBAL__N_18offset_tEEE10hipError_tPvRmT1_PNSt15iterator_traitsISV_E10value_typeET2_T3_PNSW_IS11_E10value_typeET4_jRbjT5_S17_jjP12ihipStream_tbEUljE_EEESS_ST_SU_S11_S15_S17_T6_T7_T9_mT8_S19_bDpT10_ENKUlT_T0_E_clISt17integral_constantIbLb0EES1M_EEDaS1H_S1I_EUlS1H_E_NS1_11comp_targetILNS1_3genE3ELNS1_11target_archE908ELNS1_3gpuE7ELNS1_3repE0EEENS1_30default_config_static_selectorELNS0_4arch9wavefront6targetE1EEEvSV_
	.p2align	8
	.type	_ZN7rocprim17ROCPRIM_400000_NS6detail17trampoline_kernelINS0_13select_configILj256ELj13ELNS0_17block_load_methodE3ELS4_3ELS4_3ELNS0_20block_scan_algorithmE0ELj4294967295EEENS1_25partition_config_selectorILNS1_17partition_subalgoE3EjNS0_10empty_typeEbEEZZNS1_14partition_implILS8_3ELb0ES6_jNS0_17counting_iteratorIjlEEPS9_SE_NS0_5tupleIJPjSE_EEENSF_IJSE_SE_EEES9_SG_JZNS1_25segmented_radix_sort_implINS0_14default_configELb1EPKlPlSM_SN_N2at6native12_GLOBAL__N_18offset_tEEE10hipError_tPvRmT1_PNSt15iterator_traitsISV_E10value_typeET2_T3_PNSW_IS11_E10value_typeET4_jRbjT5_S17_jjP12ihipStream_tbEUljE_EEESS_ST_SU_S11_S15_S17_T6_T7_T9_mT8_S19_bDpT10_ENKUlT_T0_E_clISt17integral_constantIbLb0EES1M_EEDaS1H_S1I_EUlS1H_E_NS1_11comp_targetILNS1_3genE3ELNS1_11target_archE908ELNS1_3gpuE7ELNS1_3repE0EEENS1_30default_config_static_selectorELNS0_4arch9wavefront6targetE1EEEvSV_,@function
_ZN7rocprim17ROCPRIM_400000_NS6detail17trampoline_kernelINS0_13select_configILj256ELj13ELNS0_17block_load_methodE3ELS4_3ELS4_3ELNS0_20block_scan_algorithmE0ELj4294967295EEENS1_25partition_config_selectorILNS1_17partition_subalgoE3EjNS0_10empty_typeEbEEZZNS1_14partition_implILS8_3ELb0ES6_jNS0_17counting_iteratorIjlEEPS9_SE_NS0_5tupleIJPjSE_EEENSF_IJSE_SE_EEES9_SG_JZNS1_25segmented_radix_sort_implINS0_14default_configELb1EPKlPlSM_SN_N2at6native12_GLOBAL__N_18offset_tEEE10hipError_tPvRmT1_PNSt15iterator_traitsISV_E10value_typeET2_T3_PNSW_IS11_E10value_typeET4_jRbjT5_S17_jjP12ihipStream_tbEUljE_EEESS_ST_SU_S11_S15_S17_T6_T7_T9_mT8_S19_bDpT10_ENKUlT_T0_E_clISt17integral_constantIbLb0EES1M_EEDaS1H_S1I_EUlS1H_E_NS1_11comp_targetILNS1_3genE3ELNS1_11target_archE908ELNS1_3gpuE7ELNS1_3repE0EEENS1_30default_config_static_selectorELNS0_4arch9wavefront6targetE1EEEvSV_: ; @_ZN7rocprim17ROCPRIM_400000_NS6detail17trampoline_kernelINS0_13select_configILj256ELj13ELNS0_17block_load_methodE3ELS4_3ELS4_3ELNS0_20block_scan_algorithmE0ELj4294967295EEENS1_25partition_config_selectorILNS1_17partition_subalgoE3EjNS0_10empty_typeEbEEZZNS1_14partition_implILS8_3ELb0ES6_jNS0_17counting_iteratorIjlEEPS9_SE_NS0_5tupleIJPjSE_EEENSF_IJSE_SE_EEES9_SG_JZNS1_25segmented_radix_sort_implINS0_14default_configELb1EPKlPlSM_SN_N2at6native12_GLOBAL__N_18offset_tEEE10hipError_tPvRmT1_PNSt15iterator_traitsISV_E10value_typeET2_T3_PNSW_IS11_E10value_typeET4_jRbjT5_S17_jjP12ihipStream_tbEUljE_EEESS_ST_SU_S11_S15_S17_T6_T7_T9_mT8_S19_bDpT10_ENKUlT_T0_E_clISt17integral_constantIbLb0EES1M_EEDaS1H_S1I_EUlS1H_E_NS1_11comp_targetILNS1_3genE3ELNS1_11target_archE908ELNS1_3gpuE7ELNS1_3repE0EEENS1_30default_config_static_selectorELNS0_4arch9wavefront6targetE1EEEvSV_
; %bb.0:
	.section	.rodata,"a",@progbits
	.p2align	6, 0x0
	.amdhsa_kernel _ZN7rocprim17ROCPRIM_400000_NS6detail17trampoline_kernelINS0_13select_configILj256ELj13ELNS0_17block_load_methodE3ELS4_3ELS4_3ELNS0_20block_scan_algorithmE0ELj4294967295EEENS1_25partition_config_selectorILNS1_17partition_subalgoE3EjNS0_10empty_typeEbEEZZNS1_14partition_implILS8_3ELb0ES6_jNS0_17counting_iteratorIjlEEPS9_SE_NS0_5tupleIJPjSE_EEENSF_IJSE_SE_EEES9_SG_JZNS1_25segmented_radix_sort_implINS0_14default_configELb1EPKlPlSM_SN_N2at6native12_GLOBAL__N_18offset_tEEE10hipError_tPvRmT1_PNSt15iterator_traitsISV_E10value_typeET2_T3_PNSW_IS11_E10value_typeET4_jRbjT5_S17_jjP12ihipStream_tbEUljE_EEESS_ST_SU_S11_S15_S17_T6_T7_T9_mT8_S19_bDpT10_ENKUlT_T0_E_clISt17integral_constantIbLb0EES1M_EEDaS1H_S1I_EUlS1H_E_NS1_11comp_targetILNS1_3genE3ELNS1_11target_archE908ELNS1_3gpuE7ELNS1_3repE0EEENS1_30default_config_static_selectorELNS0_4arch9wavefront6targetE1EEEvSV_
		.amdhsa_group_segment_fixed_size 0
		.amdhsa_private_segment_fixed_size 0
		.amdhsa_kernarg_size 144
		.amdhsa_user_sgpr_count 6
		.amdhsa_user_sgpr_private_segment_buffer 1
		.amdhsa_user_sgpr_dispatch_ptr 0
		.amdhsa_user_sgpr_queue_ptr 0
		.amdhsa_user_sgpr_kernarg_segment_ptr 1
		.amdhsa_user_sgpr_dispatch_id 0
		.amdhsa_user_sgpr_flat_scratch_init 0
		.amdhsa_user_sgpr_kernarg_preload_length 0
		.amdhsa_user_sgpr_kernarg_preload_offset 0
		.amdhsa_user_sgpr_private_segment_size 0
		.amdhsa_uses_dynamic_stack 0
		.amdhsa_system_sgpr_private_segment_wavefront_offset 0
		.amdhsa_system_sgpr_workgroup_id_x 1
		.amdhsa_system_sgpr_workgroup_id_y 0
		.amdhsa_system_sgpr_workgroup_id_z 0
		.amdhsa_system_sgpr_workgroup_info 0
		.amdhsa_system_vgpr_workitem_id 0
		.amdhsa_next_free_vgpr 1
		.amdhsa_next_free_sgpr 0
		.amdhsa_accum_offset 4
		.amdhsa_reserve_vcc 0
		.amdhsa_reserve_flat_scratch 0
		.amdhsa_float_round_mode_32 0
		.amdhsa_float_round_mode_16_64 0
		.amdhsa_float_denorm_mode_32 3
		.amdhsa_float_denorm_mode_16_64 3
		.amdhsa_dx10_clamp 1
		.amdhsa_ieee_mode 1
		.amdhsa_fp16_overflow 0
		.amdhsa_tg_split 0
		.amdhsa_exception_fp_ieee_invalid_op 0
		.amdhsa_exception_fp_denorm_src 0
		.amdhsa_exception_fp_ieee_div_zero 0
		.amdhsa_exception_fp_ieee_overflow 0
		.amdhsa_exception_fp_ieee_underflow 0
		.amdhsa_exception_fp_ieee_inexact 0
		.amdhsa_exception_int_div_zero 0
	.end_amdhsa_kernel
	.section	.text._ZN7rocprim17ROCPRIM_400000_NS6detail17trampoline_kernelINS0_13select_configILj256ELj13ELNS0_17block_load_methodE3ELS4_3ELS4_3ELNS0_20block_scan_algorithmE0ELj4294967295EEENS1_25partition_config_selectorILNS1_17partition_subalgoE3EjNS0_10empty_typeEbEEZZNS1_14partition_implILS8_3ELb0ES6_jNS0_17counting_iteratorIjlEEPS9_SE_NS0_5tupleIJPjSE_EEENSF_IJSE_SE_EEES9_SG_JZNS1_25segmented_radix_sort_implINS0_14default_configELb1EPKlPlSM_SN_N2at6native12_GLOBAL__N_18offset_tEEE10hipError_tPvRmT1_PNSt15iterator_traitsISV_E10value_typeET2_T3_PNSW_IS11_E10value_typeET4_jRbjT5_S17_jjP12ihipStream_tbEUljE_EEESS_ST_SU_S11_S15_S17_T6_T7_T9_mT8_S19_bDpT10_ENKUlT_T0_E_clISt17integral_constantIbLb0EES1M_EEDaS1H_S1I_EUlS1H_E_NS1_11comp_targetILNS1_3genE3ELNS1_11target_archE908ELNS1_3gpuE7ELNS1_3repE0EEENS1_30default_config_static_selectorELNS0_4arch9wavefront6targetE1EEEvSV_,"axG",@progbits,_ZN7rocprim17ROCPRIM_400000_NS6detail17trampoline_kernelINS0_13select_configILj256ELj13ELNS0_17block_load_methodE3ELS4_3ELS4_3ELNS0_20block_scan_algorithmE0ELj4294967295EEENS1_25partition_config_selectorILNS1_17partition_subalgoE3EjNS0_10empty_typeEbEEZZNS1_14partition_implILS8_3ELb0ES6_jNS0_17counting_iteratorIjlEEPS9_SE_NS0_5tupleIJPjSE_EEENSF_IJSE_SE_EEES9_SG_JZNS1_25segmented_radix_sort_implINS0_14default_configELb1EPKlPlSM_SN_N2at6native12_GLOBAL__N_18offset_tEEE10hipError_tPvRmT1_PNSt15iterator_traitsISV_E10value_typeET2_T3_PNSW_IS11_E10value_typeET4_jRbjT5_S17_jjP12ihipStream_tbEUljE_EEESS_ST_SU_S11_S15_S17_T6_T7_T9_mT8_S19_bDpT10_ENKUlT_T0_E_clISt17integral_constantIbLb0EES1M_EEDaS1H_S1I_EUlS1H_E_NS1_11comp_targetILNS1_3genE3ELNS1_11target_archE908ELNS1_3gpuE7ELNS1_3repE0EEENS1_30default_config_static_selectorELNS0_4arch9wavefront6targetE1EEEvSV_,comdat
.Lfunc_end675:
	.size	_ZN7rocprim17ROCPRIM_400000_NS6detail17trampoline_kernelINS0_13select_configILj256ELj13ELNS0_17block_load_methodE3ELS4_3ELS4_3ELNS0_20block_scan_algorithmE0ELj4294967295EEENS1_25partition_config_selectorILNS1_17partition_subalgoE3EjNS0_10empty_typeEbEEZZNS1_14partition_implILS8_3ELb0ES6_jNS0_17counting_iteratorIjlEEPS9_SE_NS0_5tupleIJPjSE_EEENSF_IJSE_SE_EEES9_SG_JZNS1_25segmented_radix_sort_implINS0_14default_configELb1EPKlPlSM_SN_N2at6native12_GLOBAL__N_18offset_tEEE10hipError_tPvRmT1_PNSt15iterator_traitsISV_E10value_typeET2_T3_PNSW_IS11_E10value_typeET4_jRbjT5_S17_jjP12ihipStream_tbEUljE_EEESS_ST_SU_S11_S15_S17_T6_T7_T9_mT8_S19_bDpT10_ENKUlT_T0_E_clISt17integral_constantIbLb0EES1M_EEDaS1H_S1I_EUlS1H_E_NS1_11comp_targetILNS1_3genE3ELNS1_11target_archE908ELNS1_3gpuE7ELNS1_3repE0EEENS1_30default_config_static_selectorELNS0_4arch9wavefront6targetE1EEEvSV_, .Lfunc_end675-_ZN7rocprim17ROCPRIM_400000_NS6detail17trampoline_kernelINS0_13select_configILj256ELj13ELNS0_17block_load_methodE3ELS4_3ELS4_3ELNS0_20block_scan_algorithmE0ELj4294967295EEENS1_25partition_config_selectorILNS1_17partition_subalgoE3EjNS0_10empty_typeEbEEZZNS1_14partition_implILS8_3ELb0ES6_jNS0_17counting_iteratorIjlEEPS9_SE_NS0_5tupleIJPjSE_EEENSF_IJSE_SE_EEES9_SG_JZNS1_25segmented_radix_sort_implINS0_14default_configELb1EPKlPlSM_SN_N2at6native12_GLOBAL__N_18offset_tEEE10hipError_tPvRmT1_PNSt15iterator_traitsISV_E10value_typeET2_T3_PNSW_IS11_E10value_typeET4_jRbjT5_S17_jjP12ihipStream_tbEUljE_EEESS_ST_SU_S11_S15_S17_T6_T7_T9_mT8_S19_bDpT10_ENKUlT_T0_E_clISt17integral_constantIbLb0EES1M_EEDaS1H_S1I_EUlS1H_E_NS1_11comp_targetILNS1_3genE3ELNS1_11target_archE908ELNS1_3gpuE7ELNS1_3repE0EEENS1_30default_config_static_selectorELNS0_4arch9wavefront6targetE1EEEvSV_
                                        ; -- End function
	.section	.AMDGPU.csdata,"",@progbits
; Kernel info:
; codeLenInByte = 0
; NumSgprs: 4
; NumVgprs: 0
; NumAgprs: 0
; TotalNumVgprs: 0
; ScratchSize: 0
; MemoryBound: 0
; FloatMode: 240
; IeeeMode: 1
; LDSByteSize: 0 bytes/workgroup (compile time only)
; SGPRBlocks: 0
; VGPRBlocks: 0
; NumSGPRsForWavesPerEU: 4
; NumVGPRsForWavesPerEU: 1
; AccumOffset: 4
; Occupancy: 8
; WaveLimiterHint : 0
; COMPUTE_PGM_RSRC2:SCRATCH_EN: 0
; COMPUTE_PGM_RSRC2:USER_SGPR: 6
; COMPUTE_PGM_RSRC2:TRAP_HANDLER: 0
; COMPUTE_PGM_RSRC2:TGID_X_EN: 1
; COMPUTE_PGM_RSRC2:TGID_Y_EN: 0
; COMPUTE_PGM_RSRC2:TGID_Z_EN: 0
; COMPUTE_PGM_RSRC2:TIDIG_COMP_CNT: 0
; COMPUTE_PGM_RSRC3_GFX90A:ACCUM_OFFSET: 0
; COMPUTE_PGM_RSRC3_GFX90A:TG_SPLIT: 0
	.section	.text._ZN7rocprim17ROCPRIM_400000_NS6detail17trampoline_kernelINS0_13select_configILj256ELj13ELNS0_17block_load_methodE3ELS4_3ELS4_3ELNS0_20block_scan_algorithmE0ELj4294967295EEENS1_25partition_config_selectorILNS1_17partition_subalgoE3EjNS0_10empty_typeEbEEZZNS1_14partition_implILS8_3ELb0ES6_jNS0_17counting_iteratorIjlEEPS9_SE_NS0_5tupleIJPjSE_EEENSF_IJSE_SE_EEES9_SG_JZNS1_25segmented_radix_sort_implINS0_14default_configELb1EPKlPlSM_SN_N2at6native12_GLOBAL__N_18offset_tEEE10hipError_tPvRmT1_PNSt15iterator_traitsISV_E10value_typeET2_T3_PNSW_IS11_E10value_typeET4_jRbjT5_S17_jjP12ihipStream_tbEUljE_EEESS_ST_SU_S11_S15_S17_T6_T7_T9_mT8_S19_bDpT10_ENKUlT_T0_E_clISt17integral_constantIbLb0EES1M_EEDaS1H_S1I_EUlS1H_E_NS1_11comp_targetILNS1_3genE2ELNS1_11target_archE906ELNS1_3gpuE6ELNS1_3repE0EEENS1_30default_config_static_selectorELNS0_4arch9wavefront6targetE1EEEvSV_,"axG",@progbits,_ZN7rocprim17ROCPRIM_400000_NS6detail17trampoline_kernelINS0_13select_configILj256ELj13ELNS0_17block_load_methodE3ELS4_3ELS4_3ELNS0_20block_scan_algorithmE0ELj4294967295EEENS1_25partition_config_selectorILNS1_17partition_subalgoE3EjNS0_10empty_typeEbEEZZNS1_14partition_implILS8_3ELb0ES6_jNS0_17counting_iteratorIjlEEPS9_SE_NS0_5tupleIJPjSE_EEENSF_IJSE_SE_EEES9_SG_JZNS1_25segmented_radix_sort_implINS0_14default_configELb1EPKlPlSM_SN_N2at6native12_GLOBAL__N_18offset_tEEE10hipError_tPvRmT1_PNSt15iterator_traitsISV_E10value_typeET2_T3_PNSW_IS11_E10value_typeET4_jRbjT5_S17_jjP12ihipStream_tbEUljE_EEESS_ST_SU_S11_S15_S17_T6_T7_T9_mT8_S19_bDpT10_ENKUlT_T0_E_clISt17integral_constantIbLb0EES1M_EEDaS1H_S1I_EUlS1H_E_NS1_11comp_targetILNS1_3genE2ELNS1_11target_archE906ELNS1_3gpuE6ELNS1_3repE0EEENS1_30default_config_static_selectorELNS0_4arch9wavefront6targetE1EEEvSV_,comdat
	.globl	_ZN7rocprim17ROCPRIM_400000_NS6detail17trampoline_kernelINS0_13select_configILj256ELj13ELNS0_17block_load_methodE3ELS4_3ELS4_3ELNS0_20block_scan_algorithmE0ELj4294967295EEENS1_25partition_config_selectorILNS1_17partition_subalgoE3EjNS0_10empty_typeEbEEZZNS1_14partition_implILS8_3ELb0ES6_jNS0_17counting_iteratorIjlEEPS9_SE_NS0_5tupleIJPjSE_EEENSF_IJSE_SE_EEES9_SG_JZNS1_25segmented_radix_sort_implINS0_14default_configELb1EPKlPlSM_SN_N2at6native12_GLOBAL__N_18offset_tEEE10hipError_tPvRmT1_PNSt15iterator_traitsISV_E10value_typeET2_T3_PNSW_IS11_E10value_typeET4_jRbjT5_S17_jjP12ihipStream_tbEUljE_EEESS_ST_SU_S11_S15_S17_T6_T7_T9_mT8_S19_bDpT10_ENKUlT_T0_E_clISt17integral_constantIbLb0EES1M_EEDaS1H_S1I_EUlS1H_E_NS1_11comp_targetILNS1_3genE2ELNS1_11target_archE906ELNS1_3gpuE6ELNS1_3repE0EEENS1_30default_config_static_selectorELNS0_4arch9wavefront6targetE1EEEvSV_ ; -- Begin function _ZN7rocprim17ROCPRIM_400000_NS6detail17trampoline_kernelINS0_13select_configILj256ELj13ELNS0_17block_load_methodE3ELS4_3ELS4_3ELNS0_20block_scan_algorithmE0ELj4294967295EEENS1_25partition_config_selectorILNS1_17partition_subalgoE3EjNS0_10empty_typeEbEEZZNS1_14partition_implILS8_3ELb0ES6_jNS0_17counting_iteratorIjlEEPS9_SE_NS0_5tupleIJPjSE_EEENSF_IJSE_SE_EEES9_SG_JZNS1_25segmented_radix_sort_implINS0_14default_configELb1EPKlPlSM_SN_N2at6native12_GLOBAL__N_18offset_tEEE10hipError_tPvRmT1_PNSt15iterator_traitsISV_E10value_typeET2_T3_PNSW_IS11_E10value_typeET4_jRbjT5_S17_jjP12ihipStream_tbEUljE_EEESS_ST_SU_S11_S15_S17_T6_T7_T9_mT8_S19_bDpT10_ENKUlT_T0_E_clISt17integral_constantIbLb0EES1M_EEDaS1H_S1I_EUlS1H_E_NS1_11comp_targetILNS1_3genE2ELNS1_11target_archE906ELNS1_3gpuE6ELNS1_3repE0EEENS1_30default_config_static_selectorELNS0_4arch9wavefront6targetE1EEEvSV_
	.p2align	8
	.type	_ZN7rocprim17ROCPRIM_400000_NS6detail17trampoline_kernelINS0_13select_configILj256ELj13ELNS0_17block_load_methodE3ELS4_3ELS4_3ELNS0_20block_scan_algorithmE0ELj4294967295EEENS1_25partition_config_selectorILNS1_17partition_subalgoE3EjNS0_10empty_typeEbEEZZNS1_14partition_implILS8_3ELb0ES6_jNS0_17counting_iteratorIjlEEPS9_SE_NS0_5tupleIJPjSE_EEENSF_IJSE_SE_EEES9_SG_JZNS1_25segmented_radix_sort_implINS0_14default_configELb1EPKlPlSM_SN_N2at6native12_GLOBAL__N_18offset_tEEE10hipError_tPvRmT1_PNSt15iterator_traitsISV_E10value_typeET2_T3_PNSW_IS11_E10value_typeET4_jRbjT5_S17_jjP12ihipStream_tbEUljE_EEESS_ST_SU_S11_S15_S17_T6_T7_T9_mT8_S19_bDpT10_ENKUlT_T0_E_clISt17integral_constantIbLb0EES1M_EEDaS1H_S1I_EUlS1H_E_NS1_11comp_targetILNS1_3genE2ELNS1_11target_archE906ELNS1_3gpuE6ELNS1_3repE0EEENS1_30default_config_static_selectorELNS0_4arch9wavefront6targetE1EEEvSV_,@function
_ZN7rocprim17ROCPRIM_400000_NS6detail17trampoline_kernelINS0_13select_configILj256ELj13ELNS0_17block_load_methodE3ELS4_3ELS4_3ELNS0_20block_scan_algorithmE0ELj4294967295EEENS1_25partition_config_selectorILNS1_17partition_subalgoE3EjNS0_10empty_typeEbEEZZNS1_14partition_implILS8_3ELb0ES6_jNS0_17counting_iteratorIjlEEPS9_SE_NS0_5tupleIJPjSE_EEENSF_IJSE_SE_EEES9_SG_JZNS1_25segmented_radix_sort_implINS0_14default_configELb1EPKlPlSM_SN_N2at6native12_GLOBAL__N_18offset_tEEE10hipError_tPvRmT1_PNSt15iterator_traitsISV_E10value_typeET2_T3_PNSW_IS11_E10value_typeET4_jRbjT5_S17_jjP12ihipStream_tbEUljE_EEESS_ST_SU_S11_S15_S17_T6_T7_T9_mT8_S19_bDpT10_ENKUlT_T0_E_clISt17integral_constantIbLb0EES1M_EEDaS1H_S1I_EUlS1H_E_NS1_11comp_targetILNS1_3genE2ELNS1_11target_archE906ELNS1_3gpuE6ELNS1_3repE0EEENS1_30default_config_static_selectorELNS0_4arch9wavefront6targetE1EEEvSV_: ; @_ZN7rocprim17ROCPRIM_400000_NS6detail17trampoline_kernelINS0_13select_configILj256ELj13ELNS0_17block_load_methodE3ELS4_3ELS4_3ELNS0_20block_scan_algorithmE0ELj4294967295EEENS1_25partition_config_selectorILNS1_17partition_subalgoE3EjNS0_10empty_typeEbEEZZNS1_14partition_implILS8_3ELb0ES6_jNS0_17counting_iteratorIjlEEPS9_SE_NS0_5tupleIJPjSE_EEENSF_IJSE_SE_EEES9_SG_JZNS1_25segmented_radix_sort_implINS0_14default_configELb1EPKlPlSM_SN_N2at6native12_GLOBAL__N_18offset_tEEE10hipError_tPvRmT1_PNSt15iterator_traitsISV_E10value_typeET2_T3_PNSW_IS11_E10value_typeET4_jRbjT5_S17_jjP12ihipStream_tbEUljE_EEESS_ST_SU_S11_S15_S17_T6_T7_T9_mT8_S19_bDpT10_ENKUlT_T0_E_clISt17integral_constantIbLb0EES1M_EEDaS1H_S1I_EUlS1H_E_NS1_11comp_targetILNS1_3genE2ELNS1_11target_archE906ELNS1_3gpuE6ELNS1_3repE0EEENS1_30default_config_static_selectorELNS0_4arch9wavefront6targetE1EEEvSV_
; %bb.0:
	.section	.rodata,"a",@progbits
	.p2align	6, 0x0
	.amdhsa_kernel _ZN7rocprim17ROCPRIM_400000_NS6detail17trampoline_kernelINS0_13select_configILj256ELj13ELNS0_17block_load_methodE3ELS4_3ELS4_3ELNS0_20block_scan_algorithmE0ELj4294967295EEENS1_25partition_config_selectorILNS1_17partition_subalgoE3EjNS0_10empty_typeEbEEZZNS1_14partition_implILS8_3ELb0ES6_jNS0_17counting_iteratorIjlEEPS9_SE_NS0_5tupleIJPjSE_EEENSF_IJSE_SE_EEES9_SG_JZNS1_25segmented_radix_sort_implINS0_14default_configELb1EPKlPlSM_SN_N2at6native12_GLOBAL__N_18offset_tEEE10hipError_tPvRmT1_PNSt15iterator_traitsISV_E10value_typeET2_T3_PNSW_IS11_E10value_typeET4_jRbjT5_S17_jjP12ihipStream_tbEUljE_EEESS_ST_SU_S11_S15_S17_T6_T7_T9_mT8_S19_bDpT10_ENKUlT_T0_E_clISt17integral_constantIbLb0EES1M_EEDaS1H_S1I_EUlS1H_E_NS1_11comp_targetILNS1_3genE2ELNS1_11target_archE906ELNS1_3gpuE6ELNS1_3repE0EEENS1_30default_config_static_selectorELNS0_4arch9wavefront6targetE1EEEvSV_
		.amdhsa_group_segment_fixed_size 0
		.amdhsa_private_segment_fixed_size 0
		.amdhsa_kernarg_size 144
		.amdhsa_user_sgpr_count 6
		.amdhsa_user_sgpr_private_segment_buffer 1
		.amdhsa_user_sgpr_dispatch_ptr 0
		.amdhsa_user_sgpr_queue_ptr 0
		.amdhsa_user_sgpr_kernarg_segment_ptr 1
		.amdhsa_user_sgpr_dispatch_id 0
		.amdhsa_user_sgpr_flat_scratch_init 0
		.amdhsa_user_sgpr_kernarg_preload_length 0
		.amdhsa_user_sgpr_kernarg_preload_offset 0
		.amdhsa_user_sgpr_private_segment_size 0
		.amdhsa_uses_dynamic_stack 0
		.amdhsa_system_sgpr_private_segment_wavefront_offset 0
		.amdhsa_system_sgpr_workgroup_id_x 1
		.amdhsa_system_sgpr_workgroup_id_y 0
		.amdhsa_system_sgpr_workgroup_id_z 0
		.amdhsa_system_sgpr_workgroup_info 0
		.amdhsa_system_vgpr_workitem_id 0
		.amdhsa_next_free_vgpr 1
		.amdhsa_next_free_sgpr 0
		.amdhsa_accum_offset 4
		.amdhsa_reserve_vcc 0
		.amdhsa_reserve_flat_scratch 0
		.amdhsa_float_round_mode_32 0
		.amdhsa_float_round_mode_16_64 0
		.amdhsa_float_denorm_mode_32 3
		.amdhsa_float_denorm_mode_16_64 3
		.amdhsa_dx10_clamp 1
		.amdhsa_ieee_mode 1
		.amdhsa_fp16_overflow 0
		.amdhsa_tg_split 0
		.amdhsa_exception_fp_ieee_invalid_op 0
		.amdhsa_exception_fp_denorm_src 0
		.amdhsa_exception_fp_ieee_div_zero 0
		.amdhsa_exception_fp_ieee_overflow 0
		.amdhsa_exception_fp_ieee_underflow 0
		.amdhsa_exception_fp_ieee_inexact 0
		.amdhsa_exception_int_div_zero 0
	.end_amdhsa_kernel
	.section	.text._ZN7rocprim17ROCPRIM_400000_NS6detail17trampoline_kernelINS0_13select_configILj256ELj13ELNS0_17block_load_methodE3ELS4_3ELS4_3ELNS0_20block_scan_algorithmE0ELj4294967295EEENS1_25partition_config_selectorILNS1_17partition_subalgoE3EjNS0_10empty_typeEbEEZZNS1_14partition_implILS8_3ELb0ES6_jNS0_17counting_iteratorIjlEEPS9_SE_NS0_5tupleIJPjSE_EEENSF_IJSE_SE_EEES9_SG_JZNS1_25segmented_radix_sort_implINS0_14default_configELb1EPKlPlSM_SN_N2at6native12_GLOBAL__N_18offset_tEEE10hipError_tPvRmT1_PNSt15iterator_traitsISV_E10value_typeET2_T3_PNSW_IS11_E10value_typeET4_jRbjT5_S17_jjP12ihipStream_tbEUljE_EEESS_ST_SU_S11_S15_S17_T6_T7_T9_mT8_S19_bDpT10_ENKUlT_T0_E_clISt17integral_constantIbLb0EES1M_EEDaS1H_S1I_EUlS1H_E_NS1_11comp_targetILNS1_3genE2ELNS1_11target_archE906ELNS1_3gpuE6ELNS1_3repE0EEENS1_30default_config_static_selectorELNS0_4arch9wavefront6targetE1EEEvSV_,"axG",@progbits,_ZN7rocprim17ROCPRIM_400000_NS6detail17trampoline_kernelINS0_13select_configILj256ELj13ELNS0_17block_load_methodE3ELS4_3ELS4_3ELNS0_20block_scan_algorithmE0ELj4294967295EEENS1_25partition_config_selectorILNS1_17partition_subalgoE3EjNS0_10empty_typeEbEEZZNS1_14partition_implILS8_3ELb0ES6_jNS0_17counting_iteratorIjlEEPS9_SE_NS0_5tupleIJPjSE_EEENSF_IJSE_SE_EEES9_SG_JZNS1_25segmented_radix_sort_implINS0_14default_configELb1EPKlPlSM_SN_N2at6native12_GLOBAL__N_18offset_tEEE10hipError_tPvRmT1_PNSt15iterator_traitsISV_E10value_typeET2_T3_PNSW_IS11_E10value_typeET4_jRbjT5_S17_jjP12ihipStream_tbEUljE_EEESS_ST_SU_S11_S15_S17_T6_T7_T9_mT8_S19_bDpT10_ENKUlT_T0_E_clISt17integral_constantIbLb0EES1M_EEDaS1H_S1I_EUlS1H_E_NS1_11comp_targetILNS1_3genE2ELNS1_11target_archE906ELNS1_3gpuE6ELNS1_3repE0EEENS1_30default_config_static_selectorELNS0_4arch9wavefront6targetE1EEEvSV_,comdat
.Lfunc_end676:
	.size	_ZN7rocprim17ROCPRIM_400000_NS6detail17trampoline_kernelINS0_13select_configILj256ELj13ELNS0_17block_load_methodE3ELS4_3ELS4_3ELNS0_20block_scan_algorithmE0ELj4294967295EEENS1_25partition_config_selectorILNS1_17partition_subalgoE3EjNS0_10empty_typeEbEEZZNS1_14partition_implILS8_3ELb0ES6_jNS0_17counting_iteratorIjlEEPS9_SE_NS0_5tupleIJPjSE_EEENSF_IJSE_SE_EEES9_SG_JZNS1_25segmented_radix_sort_implINS0_14default_configELb1EPKlPlSM_SN_N2at6native12_GLOBAL__N_18offset_tEEE10hipError_tPvRmT1_PNSt15iterator_traitsISV_E10value_typeET2_T3_PNSW_IS11_E10value_typeET4_jRbjT5_S17_jjP12ihipStream_tbEUljE_EEESS_ST_SU_S11_S15_S17_T6_T7_T9_mT8_S19_bDpT10_ENKUlT_T0_E_clISt17integral_constantIbLb0EES1M_EEDaS1H_S1I_EUlS1H_E_NS1_11comp_targetILNS1_3genE2ELNS1_11target_archE906ELNS1_3gpuE6ELNS1_3repE0EEENS1_30default_config_static_selectorELNS0_4arch9wavefront6targetE1EEEvSV_, .Lfunc_end676-_ZN7rocprim17ROCPRIM_400000_NS6detail17trampoline_kernelINS0_13select_configILj256ELj13ELNS0_17block_load_methodE3ELS4_3ELS4_3ELNS0_20block_scan_algorithmE0ELj4294967295EEENS1_25partition_config_selectorILNS1_17partition_subalgoE3EjNS0_10empty_typeEbEEZZNS1_14partition_implILS8_3ELb0ES6_jNS0_17counting_iteratorIjlEEPS9_SE_NS0_5tupleIJPjSE_EEENSF_IJSE_SE_EEES9_SG_JZNS1_25segmented_radix_sort_implINS0_14default_configELb1EPKlPlSM_SN_N2at6native12_GLOBAL__N_18offset_tEEE10hipError_tPvRmT1_PNSt15iterator_traitsISV_E10value_typeET2_T3_PNSW_IS11_E10value_typeET4_jRbjT5_S17_jjP12ihipStream_tbEUljE_EEESS_ST_SU_S11_S15_S17_T6_T7_T9_mT8_S19_bDpT10_ENKUlT_T0_E_clISt17integral_constantIbLb0EES1M_EEDaS1H_S1I_EUlS1H_E_NS1_11comp_targetILNS1_3genE2ELNS1_11target_archE906ELNS1_3gpuE6ELNS1_3repE0EEENS1_30default_config_static_selectorELNS0_4arch9wavefront6targetE1EEEvSV_
                                        ; -- End function
	.section	.AMDGPU.csdata,"",@progbits
; Kernel info:
; codeLenInByte = 0
; NumSgprs: 4
; NumVgprs: 0
; NumAgprs: 0
; TotalNumVgprs: 0
; ScratchSize: 0
; MemoryBound: 0
; FloatMode: 240
; IeeeMode: 1
; LDSByteSize: 0 bytes/workgroup (compile time only)
; SGPRBlocks: 0
; VGPRBlocks: 0
; NumSGPRsForWavesPerEU: 4
; NumVGPRsForWavesPerEU: 1
; AccumOffset: 4
; Occupancy: 8
; WaveLimiterHint : 0
; COMPUTE_PGM_RSRC2:SCRATCH_EN: 0
; COMPUTE_PGM_RSRC2:USER_SGPR: 6
; COMPUTE_PGM_RSRC2:TRAP_HANDLER: 0
; COMPUTE_PGM_RSRC2:TGID_X_EN: 1
; COMPUTE_PGM_RSRC2:TGID_Y_EN: 0
; COMPUTE_PGM_RSRC2:TGID_Z_EN: 0
; COMPUTE_PGM_RSRC2:TIDIG_COMP_CNT: 0
; COMPUTE_PGM_RSRC3_GFX90A:ACCUM_OFFSET: 0
; COMPUTE_PGM_RSRC3_GFX90A:TG_SPLIT: 0
	.section	.text._ZN7rocprim17ROCPRIM_400000_NS6detail17trampoline_kernelINS0_13select_configILj256ELj13ELNS0_17block_load_methodE3ELS4_3ELS4_3ELNS0_20block_scan_algorithmE0ELj4294967295EEENS1_25partition_config_selectorILNS1_17partition_subalgoE3EjNS0_10empty_typeEbEEZZNS1_14partition_implILS8_3ELb0ES6_jNS0_17counting_iteratorIjlEEPS9_SE_NS0_5tupleIJPjSE_EEENSF_IJSE_SE_EEES9_SG_JZNS1_25segmented_radix_sort_implINS0_14default_configELb1EPKlPlSM_SN_N2at6native12_GLOBAL__N_18offset_tEEE10hipError_tPvRmT1_PNSt15iterator_traitsISV_E10value_typeET2_T3_PNSW_IS11_E10value_typeET4_jRbjT5_S17_jjP12ihipStream_tbEUljE_EEESS_ST_SU_S11_S15_S17_T6_T7_T9_mT8_S19_bDpT10_ENKUlT_T0_E_clISt17integral_constantIbLb0EES1M_EEDaS1H_S1I_EUlS1H_E_NS1_11comp_targetILNS1_3genE10ELNS1_11target_archE1200ELNS1_3gpuE4ELNS1_3repE0EEENS1_30default_config_static_selectorELNS0_4arch9wavefront6targetE1EEEvSV_,"axG",@progbits,_ZN7rocprim17ROCPRIM_400000_NS6detail17trampoline_kernelINS0_13select_configILj256ELj13ELNS0_17block_load_methodE3ELS4_3ELS4_3ELNS0_20block_scan_algorithmE0ELj4294967295EEENS1_25partition_config_selectorILNS1_17partition_subalgoE3EjNS0_10empty_typeEbEEZZNS1_14partition_implILS8_3ELb0ES6_jNS0_17counting_iteratorIjlEEPS9_SE_NS0_5tupleIJPjSE_EEENSF_IJSE_SE_EEES9_SG_JZNS1_25segmented_radix_sort_implINS0_14default_configELb1EPKlPlSM_SN_N2at6native12_GLOBAL__N_18offset_tEEE10hipError_tPvRmT1_PNSt15iterator_traitsISV_E10value_typeET2_T3_PNSW_IS11_E10value_typeET4_jRbjT5_S17_jjP12ihipStream_tbEUljE_EEESS_ST_SU_S11_S15_S17_T6_T7_T9_mT8_S19_bDpT10_ENKUlT_T0_E_clISt17integral_constantIbLb0EES1M_EEDaS1H_S1I_EUlS1H_E_NS1_11comp_targetILNS1_3genE10ELNS1_11target_archE1200ELNS1_3gpuE4ELNS1_3repE0EEENS1_30default_config_static_selectorELNS0_4arch9wavefront6targetE1EEEvSV_,comdat
	.globl	_ZN7rocprim17ROCPRIM_400000_NS6detail17trampoline_kernelINS0_13select_configILj256ELj13ELNS0_17block_load_methodE3ELS4_3ELS4_3ELNS0_20block_scan_algorithmE0ELj4294967295EEENS1_25partition_config_selectorILNS1_17partition_subalgoE3EjNS0_10empty_typeEbEEZZNS1_14partition_implILS8_3ELb0ES6_jNS0_17counting_iteratorIjlEEPS9_SE_NS0_5tupleIJPjSE_EEENSF_IJSE_SE_EEES9_SG_JZNS1_25segmented_radix_sort_implINS0_14default_configELb1EPKlPlSM_SN_N2at6native12_GLOBAL__N_18offset_tEEE10hipError_tPvRmT1_PNSt15iterator_traitsISV_E10value_typeET2_T3_PNSW_IS11_E10value_typeET4_jRbjT5_S17_jjP12ihipStream_tbEUljE_EEESS_ST_SU_S11_S15_S17_T6_T7_T9_mT8_S19_bDpT10_ENKUlT_T0_E_clISt17integral_constantIbLb0EES1M_EEDaS1H_S1I_EUlS1H_E_NS1_11comp_targetILNS1_3genE10ELNS1_11target_archE1200ELNS1_3gpuE4ELNS1_3repE0EEENS1_30default_config_static_selectorELNS0_4arch9wavefront6targetE1EEEvSV_ ; -- Begin function _ZN7rocprim17ROCPRIM_400000_NS6detail17trampoline_kernelINS0_13select_configILj256ELj13ELNS0_17block_load_methodE3ELS4_3ELS4_3ELNS0_20block_scan_algorithmE0ELj4294967295EEENS1_25partition_config_selectorILNS1_17partition_subalgoE3EjNS0_10empty_typeEbEEZZNS1_14partition_implILS8_3ELb0ES6_jNS0_17counting_iteratorIjlEEPS9_SE_NS0_5tupleIJPjSE_EEENSF_IJSE_SE_EEES9_SG_JZNS1_25segmented_radix_sort_implINS0_14default_configELb1EPKlPlSM_SN_N2at6native12_GLOBAL__N_18offset_tEEE10hipError_tPvRmT1_PNSt15iterator_traitsISV_E10value_typeET2_T3_PNSW_IS11_E10value_typeET4_jRbjT5_S17_jjP12ihipStream_tbEUljE_EEESS_ST_SU_S11_S15_S17_T6_T7_T9_mT8_S19_bDpT10_ENKUlT_T0_E_clISt17integral_constantIbLb0EES1M_EEDaS1H_S1I_EUlS1H_E_NS1_11comp_targetILNS1_3genE10ELNS1_11target_archE1200ELNS1_3gpuE4ELNS1_3repE0EEENS1_30default_config_static_selectorELNS0_4arch9wavefront6targetE1EEEvSV_
	.p2align	8
	.type	_ZN7rocprim17ROCPRIM_400000_NS6detail17trampoline_kernelINS0_13select_configILj256ELj13ELNS0_17block_load_methodE3ELS4_3ELS4_3ELNS0_20block_scan_algorithmE0ELj4294967295EEENS1_25partition_config_selectorILNS1_17partition_subalgoE3EjNS0_10empty_typeEbEEZZNS1_14partition_implILS8_3ELb0ES6_jNS0_17counting_iteratorIjlEEPS9_SE_NS0_5tupleIJPjSE_EEENSF_IJSE_SE_EEES9_SG_JZNS1_25segmented_radix_sort_implINS0_14default_configELb1EPKlPlSM_SN_N2at6native12_GLOBAL__N_18offset_tEEE10hipError_tPvRmT1_PNSt15iterator_traitsISV_E10value_typeET2_T3_PNSW_IS11_E10value_typeET4_jRbjT5_S17_jjP12ihipStream_tbEUljE_EEESS_ST_SU_S11_S15_S17_T6_T7_T9_mT8_S19_bDpT10_ENKUlT_T0_E_clISt17integral_constantIbLb0EES1M_EEDaS1H_S1I_EUlS1H_E_NS1_11comp_targetILNS1_3genE10ELNS1_11target_archE1200ELNS1_3gpuE4ELNS1_3repE0EEENS1_30default_config_static_selectorELNS0_4arch9wavefront6targetE1EEEvSV_,@function
_ZN7rocprim17ROCPRIM_400000_NS6detail17trampoline_kernelINS0_13select_configILj256ELj13ELNS0_17block_load_methodE3ELS4_3ELS4_3ELNS0_20block_scan_algorithmE0ELj4294967295EEENS1_25partition_config_selectorILNS1_17partition_subalgoE3EjNS0_10empty_typeEbEEZZNS1_14partition_implILS8_3ELb0ES6_jNS0_17counting_iteratorIjlEEPS9_SE_NS0_5tupleIJPjSE_EEENSF_IJSE_SE_EEES9_SG_JZNS1_25segmented_radix_sort_implINS0_14default_configELb1EPKlPlSM_SN_N2at6native12_GLOBAL__N_18offset_tEEE10hipError_tPvRmT1_PNSt15iterator_traitsISV_E10value_typeET2_T3_PNSW_IS11_E10value_typeET4_jRbjT5_S17_jjP12ihipStream_tbEUljE_EEESS_ST_SU_S11_S15_S17_T6_T7_T9_mT8_S19_bDpT10_ENKUlT_T0_E_clISt17integral_constantIbLb0EES1M_EEDaS1H_S1I_EUlS1H_E_NS1_11comp_targetILNS1_3genE10ELNS1_11target_archE1200ELNS1_3gpuE4ELNS1_3repE0EEENS1_30default_config_static_selectorELNS0_4arch9wavefront6targetE1EEEvSV_: ; @_ZN7rocprim17ROCPRIM_400000_NS6detail17trampoline_kernelINS0_13select_configILj256ELj13ELNS0_17block_load_methodE3ELS4_3ELS4_3ELNS0_20block_scan_algorithmE0ELj4294967295EEENS1_25partition_config_selectorILNS1_17partition_subalgoE3EjNS0_10empty_typeEbEEZZNS1_14partition_implILS8_3ELb0ES6_jNS0_17counting_iteratorIjlEEPS9_SE_NS0_5tupleIJPjSE_EEENSF_IJSE_SE_EEES9_SG_JZNS1_25segmented_radix_sort_implINS0_14default_configELb1EPKlPlSM_SN_N2at6native12_GLOBAL__N_18offset_tEEE10hipError_tPvRmT1_PNSt15iterator_traitsISV_E10value_typeET2_T3_PNSW_IS11_E10value_typeET4_jRbjT5_S17_jjP12ihipStream_tbEUljE_EEESS_ST_SU_S11_S15_S17_T6_T7_T9_mT8_S19_bDpT10_ENKUlT_T0_E_clISt17integral_constantIbLb0EES1M_EEDaS1H_S1I_EUlS1H_E_NS1_11comp_targetILNS1_3genE10ELNS1_11target_archE1200ELNS1_3gpuE4ELNS1_3repE0EEENS1_30default_config_static_selectorELNS0_4arch9wavefront6targetE1EEEvSV_
; %bb.0:
	.section	.rodata,"a",@progbits
	.p2align	6, 0x0
	.amdhsa_kernel _ZN7rocprim17ROCPRIM_400000_NS6detail17trampoline_kernelINS0_13select_configILj256ELj13ELNS0_17block_load_methodE3ELS4_3ELS4_3ELNS0_20block_scan_algorithmE0ELj4294967295EEENS1_25partition_config_selectorILNS1_17partition_subalgoE3EjNS0_10empty_typeEbEEZZNS1_14partition_implILS8_3ELb0ES6_jNS0_17counting_iteratorIjlEEPS9_SE_NS0_5tupleIJPjSE_EEENSF_IJSE_SE_EEES9_SG_JZNS1_25segmented_radix_sort_implINS0_14default_configELb1EPKlPlSM_SN_N2at6native12_GLOBAL__N_18offset_tEEE10hipError_tPvRmT1_PNSt15iterator_traitsISV_E10value_typeET2_T3_PNSW_IS11_E10value_typeET4_jRbjT5_S17_jjP12ihipStream_tbEUljE_EEESS_ST_SU_S11_S15_S17_T6_T7_T9_mT8_S19_bDpT10_ENKUlT_T0_E_clISt17integral_constantIbLb0EES1M_EEDaS1H_S1I_EUlS1H_E_NS1_11comp_targetILNS1_3genE10ELNS1_11target_archE1200ELNS1_3gpuE4ELNS1_3repE0EEENS1_30default_config_static_selectorELNS0_4arch9wavefront6targetE1EEEvSV_
		.amdhsa_group_segment_fixed_size 0
		.amdhsa_private_segment_fixed_size 0
		.amdhsa_kernarg_size 144
		.amdhsa_user_sgpr_count 6
		.amdhsa_user_sgpr_private_segment_buffer 1
		.amdhsa_user_sgpr_dispatch_ptr 0
		.amdhsa_user_sgpr_queue_ptr 0
		.amdhsa_user_sgpr_kernarg_segment_ptr 1
		.amdhsa_user_sgpr_dispatch_id 0
		.amdhsa_user_sgpr_flat_scratch_init 0
		.amdhsa_user_sgpr_kernarg_preload_length 0
		.amdhsa_user_sgpr_kernarg_preload_offset 0
		.amdhsa_user_sgpr_private_segment_size 0
		.amdhsa_uses_dynamic_stack 0
		.amdhsa_system_sgpr_private_segment_wavefront_offset 0
		.amdhsa_system_sgpr_workgroup_id_x 1
		.amdhsa_system_sgpr_workgroup_id_y 0
		.amdhsa_system_sgpr_workgroup_id_z 0
		.amdhsa_system_sgpr_workgroup_info 0
		.amdhsa_system_vgpr_workitem_id 0
		.amdhsa_next_free_vgpr 1
		.amdhsa_next_free_sgpr 0
		.amdhsa_accum_offset 4
		.amdhsa_reserve_vcc 0
		.amdhsa_reserve_flat_scratch 0
		.amdhsa_float_round_mode_32 0
		.amdhsa_float_round_mode_16_64 0
		.amdhsa_float_denorm_mode_32 3
		.amdhsa_float_denorm_mode_16_64 3
		.amdhsa_dx10_clamp 1
		.amdhsa_ieee_mode 1
		.amdhsa_fp16_overflow 0
		.amdhsa_tg_split 0
		.amdhsa_exception_fp_ieee_invalid_op 0
		.amdhsa_exception_fp_denorm_src 0
		.amdhsa_exception_fp_ieee_div_zero 0
		.amdhsa_exception_fp_ieee_overflow 0
		.amdhsa_exception_fp_ieee_underflow 0
		.amdhsa_exception_fp_ieee_inexact 0
		.amdhsa_exception_int_div_zero 0
	.end_amdhsa_kernel
	.section	.text._ZN7rocprim17ROCPRIM_400000_NS6detail17trampoline_kernelINS0_13select_configILj256ELj13ELNS0_17block_load_methodE3ELS4_3ELS4_3ELNS0_20block_scan_algorithmE0ELj4294967295EEENS1_25partition_config_selectorILNS1_17partition_subalgoE3EjNS0_10empty_typeEbEEZZNS1_14partition_implILS8_3ELb0ES6_jNS0_17counting_iteratorIjlEEPS9_SE_NS0_5tupleIJPjSE_EEENSF_IJSE_SE_EEES9_SG_JZNS1_25segmented_radix_sort_implINS0_14default_configELb1EPKlPlSM_SN_N2at6native12_GLOBAL__N_18offset_tEEE10hipError_tPvRmT1_PNSt15iterator_traitsISV_E10value_typeET2_T3_PNSW_IS11_E10value_typeET4_jRbjT5_S17_jjP12ihipStream_tbEUljE_EEESS_ST_SU_S11_S15_S17_T6_T7_T9_mT8_S19_bDpT10_ENKUlT_T0_E_clISt17integral_constantIbLb0EES1M_EEDaS1H_S1I_EUlS1H_E_NS1_11comp_targetILNS1_3genE10ELNS1_11target_archE1200ELNS1_3gpuE4ELNS1_3repE0EEENS1_30default_config_static_selectorELNS0_4arch9wavefront6targetE1EEEvSV_,"axG",@progbits,_ZN7rocprim17ROCPRIM_400000_NS6detail17trampoline_kernelINS0_13select_configILj256ELj13ELNS0_17block_load_methodE3ELS4_3ELS4_3ELNS0_20block_scan_algorithmE0ELj4294967295EEENS1_25partition_config_selectorILNS1_17partition_subalgoE3EjNS0_10empty_typeEbEEZZNS1_14partition_implILS8_3ELb0ES6_jNS0_17counting_iteratorIjlEEPS9_SE_NS0_5tupleIJPjSE_EEENSF_IJSE_SE_EEES9_SG_JZNS1_25segmented_radix_sort_implINS0_14default_configELb1EPKlPlSM_SN_N2at6native12_GLOBAL__N_18offset_tEEE10hipError_tPvRmT1_PNSt15iterator_traitsISV_E10value_typeET2_T3_PNSW_IS11_E10value_typeET4_jRbjT5_S17_jjP12ihipStream_tbEUljE_EEESS_ST_SU_S11_S15_S17_T6_T7_T9_mT8_S19_bDpT10_ENKUlT_T0_E_clISt17integral_constantIbLb0EES1M_EEDaS1H_S1I_EUlS1H_E_NS1_11comp_targetILNS1_3genE10ELNS1_11target_archE1200ELNS1_3gpuE4ELNS1_3repE0EEENS1_30default_config_static_selectorELNS0_4arch9wavefront6targetE1EEEvSV_,comdat
.Lfunc_end677:
	.size	_ZN7rocprim17ROCPRIM_400000_NS6detail17trampoline_kernelINS0_13select_configILj256ELj13ELNS0_17block_load_methodE3ELS4_3ELS4_3ELNS0_20block_scan_algorithmE0ELj4294967295EEENS1_25partition_config_selectorILNS1_17partition_subalgoE3EjNS0_10empty_typeEbEEZZNS1_14partition_implILS8_3ELb0ES6_jNS0_17counting_iteratorIjlEEPS9_SE_NS0_5tupleIJPjSE_EEENSF_IJSE_SE_EEES9_SG_JZNS1_25segmented_radix_sort_implINS0_14default_configELb1EPKlPlSM_SN_N2at6native12_GLOBAL__N_18offset_tEEE10hipError_tPvRmT1_PNSt15iterator_traitsISV_E10value_typeET2_T3_PNSW_IS11_E10value_typeET4_jRbjT5_S17_jjP12ihipStream_tbEUljE_EEESS_ST_SU_S11_S15_S17_T6_T7_T9_mT8_S19_bDpT10_ENKUlT_T0_E_clISt17integral_constantIbLb0EES1M_EEDaS1H_S1I_EUlS1H_E_NS1_11comp_targetILNS1_3genE10ELNS1_11target_archE1200ELNS1_3gpuE4ELNS1_3repE0EEENS1_30default_config_static_selectorELNS0_4arch9wavefront6targetE1EEEvSV_, .Lfunc_end677-_ZN7rocprim17ROCPRIM_400000_NS6detail17trampoline_kernelINS0_13select_configILj256ELj13ELNS0_17block_load_methodE3ELS4_3ELS4_3ELNS0_20block_scan_algorithmE0ELj4294967295EEENS1_25partition_config_selectorILNS1_17partition_subalgoE3EjNS0_10empty_typeEbEEZZNS1_14partition_implILS8_3ELb0ES6_jNS0_17counting_iteratorIjlEEPS9_SE_NS0_5tupleIJPjSE_EEENSF_IJSE_SE_EEES9_SG_JZNS1_25segmented_radix_sort_implINS0_14default_configELb1EPKlPlSM_SN_N2at6native12_GLOBAL__N_18offset_tEEE10hipError_tPvRmT1_PNSt15iterator_traitsISV_E10value_typeET2_T3_PNSW_IS11_E10value_typeET4_jRbjT5_S17_jjP12ihipStream_tbEUljE_EEESS_ST_SU_S11_S15_S17_T6_T7_T9_mT8_S19_bDpT10_ENKUlT_T0_E_clISt17integral_constantIbLb0EES1M_EEDaS1H_S1I_EUlS1H_E_NS1_11comp_targetILNS1_3genE10ELNS1_11target_archE1200ELNS1_3gpuE4ELNS1_3repE0EEENS1_30default_config_static_selectorELNS0_4arch9wavefront6targetE1EEEvSV_
                                        ; -- End function
	.section	.AMDGPU.csdata,"",@progbits
; Kernel info:
; codeLenInByte = 0
; NumSgprs: 4
; NumVgprs: 0
; NumAgprs: 0
; TotalNumVgprs: 0
; ScratchSize: 0
; MemoryBound: 0
; FloatMode: 240
; IeeeMode: 1
; LDSByteSize: 0 bytes/workgroup (compile time only)
; SGPRBlocks: 0
; VGPRBlocks: 0
; NumSGPRsForWavesPerEU: 4
; NumVGPRsForWavesPerEU: 1
; AccumOffset: 4
; Occupancy: 8
; WaveLimiterHint : 0
; COMPUTE_PGM_RSRC2:SCRATCH_EN: 0
; COMPUTE_PGM_RSRC2:USER_SGPR: 6
; COMPUTE_PGM_RSRC2:TRAP_HANDLER: 0
; COMPUTE_PGM_RSRC2:TGID_X_EN: 1
; COMPUTE_PGM_RSRC2:TGID_Y_EN: 0
; COMPUTE_PGM_RSRC2:TGID_Z_EN: 0
; COMPUTE_PGM_RSRC2:TIDIG_COMP_CNT: 0
; COMPUTE_PGM_RSRC3_GFX90A:ACCUM_OFFSET: 0
; COMPUTE_PGM_RSRC3_GFX90A:TG_SPLIT: 0
	.section	.text._ZN7rocprim17ROCPRIM_400000_NS6detail17trampoline_kernelINS0_13select_configILj256ELj13ELNS0_17block_load_methodE3ELS4_3ELS4_3ELNS0_20block_scan_algorithmE0ELj4294967295EEENS1_25partition_config_selectorILNS1_17partition_subalgoE3EjNS0_10empty_typeEbEEZZNS1_14partition_implILS8_3ELb0ES6_jNS0_17counting_iteratorIjlEEPS9_SE_NS0_5tupleIJPjSE_EEENSF_IJSE_SE_EEES9_SG_JZNS1_25segmented_radix_sort_implINS0_14default_configELb1EPKlPlSM_SN_N2at6native12_GLOBAL__N_18offset_tEEE10hipError_tPvRmT1_PNSt15iterator_traitsISV_E10value_typeET2_T3_PNSW_IS11_E10value_typeET4_jRbjT5_S17_jjP12ihipStream_tbEUljE_EEESS_ST_SU_S11_S15_S17_T6_T7_T9_mT8_S19_bDpT10_ENKUlT_T0_E_clISt17integral_constantIbLb0EES1M_EEDaS1H_S1I_EUlS1H_E_NS1_11comp_targetILNS1_3genE9ELNS1_11target_archE1100ELNS1_3gpuE3ELNS1_3repE0EEENS1_30default_config_static_selectorELNS0_4arch9wavefront6targetE1EEEvSV_,"axG",@progbits,_ZN7rocprim17ROCPRIM_400000_NS6detail17trampoline_kernelINS0_13select_configILj256ELj13ELNS0_17block_load_methodE3ELS4_3ELS4_3ELNS0_20block_scan_algorithmE0ELj4294967295EEENS1_25partition_config_selectorILNS1_17partition_subalgoE3EjNS0_10empty_typeEbEEZZNS1_14partition_implILS8_3ELb0ES6_jNS0_17counting_iteratorIjlEEPS9_SE_NS0_5tupleIJPjSE_EEENSF_IJSE_SE_EEES9_SG_JZNS1_25segmented_radix_sort_implINS0_14default_configELb1EPKlPlSM_SN_N2at6native12_GLOBAL__N_18offset_tEEE10hipError_tPvRmT1_PNSt15iterator_traitsISV_E10value_typeET2_T3_PNSW_IS11_E10value_typeET4_jRbjT5_S17_jjP12ihipStream_tbEUljE_EEESS_ST_SU_S11_S15_S17_T6_T7_T9_mT8_S19_bDpT10_ENKUlT_T0_E_clISt17integral_constantIbLb0EES1M_EEDaS1H_S1I_EUlS1H_E_NS1_11comp_targetILNS1_3genE9ELNS1_11target_archE1100ELNS1_3gpuE3ELNS1_3repE0EEENS1_30default_config_static_selectorELNS0_4arch9wavefront6targetE1EEEvSV_,comdat
	.globl	_ZN7rocprim17ROCPRIM_400000_NS6detail17trampoline_kernelINS0_13select_configILj256ELj13ELNS0_17block_load_methodE3ELS4_3ELS4_3ELNS0_20block_scan_algorithmE0ELj4294967295EEENS1_25partition_config_selectorILNS1_17partition_subalgoE3EjNS0_10empty_typeEbEEZZNS1_14partition_implILS8_3ELb0ES6_jNS0_17counting_iteratorIjlEEPS9_SE_NS0_5tupleIJPjSE_EEENSF_IJSE_SE_EEES9_SG_JZNS1_25segmented_radix_sort_implINS0_14default_configELb1EPKlPlSM_SN_N2at6native12_GLOBAL__N_18offset_tEEE10hipError_tPvRmT1_PNSt15iterator_traitsISV_E10value_typeET2_T3_PNSW_IS11_E10value_typeET4_jRbjT5_S17_jjP12ihipStream_tbEUljE_EEESS_ST_SU_S11_S15_S17_T6_T7_T9_mT8_S19_bDpT10_ENKUlT_T0_E_clISt17integral_constantIbLb0EES1M_EEDaS1H_S1I_EUlS1H_E_NS1_11comp_targetILNS1_3genE9ELNS1_11target_archE1100ELNS1_3gpuE3ELNS1_3repE0EEENS1_30default_config_static_selectorELNS0_4arch9wavefront6targetE1EEEvSV_ ; -- Begin function _ZN7rocprim17ROCPRIM_400000_NS6detail17trampoline_kernelINS0_13select_configILj256ELj13ELNS0_17block_load_methodE3ELS4_3ELS4_3ELNS0_20block_scan_algorithmE0ELj4294967295EEENS1_25partition_config_selectorILNS1_17partition_subalgoE3EjNS0_10empty_typeEbEEZZNS1_14partition_implILS8_3ELb0ES6_jNS0_17counting_iteratorIjlEEPS9_SE_NS0_5tupleIJPjSE_EEENSF_IJSE_SE_EEES9_SG_JZNS1_25segmented_radix_sort_implINS0_14default_configELb1EPKlPlSM_SN_N2at6native12_GLOBAL__N_18offset_tEEE10hipError_tPvRmT1_PNSt15iterator_traitsISV_E10value_typeET2_T3_PNSW_IS11_E10value_typeET4_jRbjT5_S17_jjP12ihipStream_tbEUljE_EEESS_ST_SU_S11_S15_S17_T6_T7_T9_mT8_S19_bDpT10_ENKUlT_T0_E_clISt17integral_constantIbLb0EES1M_EEDaS1H_S1I_EUlS1H_E_NS1_11comp_targetILNS1_3genE9ELNS1_11target_archE1100ELNS1_3gpuE3ELNS1_3repE0EEENS1_30default_config_static_selectorELNS0_4arch9wavefront6targetE1EEEvSV_
	.p2align	8
	.type	_ZN7rocprim17ROCPRIM_400000_NS6detail17trampoline_kernelINS0_13select_configILj256ELj13ELNS0_17block_load_methodE3ELS4_3ELS4_3ELNS0_20block_scan_algorithmE0ELj4294967295EEENS1_25partition_config_selectorILNS1_17partition_subalgoE3EjNS0_10empty_typeEbEEZZNS1_14partition_implILS8_3ELb0ES6_jNS0_17counting_iteratorIjlEEPS9_SE_NS0_5tupleIJPjSE_EEENSF_IJSE_SE_EEES9_SG_JZNS1_25segmented_radix_sort_implINS0_14default_configELb1EPKlPlSM_SN_N2at6native12_GLOBAL__N_18offset_tEEE10hipError_tPvRmT1_PNSt15iterator_traitsISV_E10value_typeET2_T3_PNSW_IS11_E10value_typeET4_jRbjT5_S17_jjP12ihipStream_tbEUljE_EEESS_ST_SU_S11_S15_S17_T6_T7_T9_mT8_S19_bDpT10_ENKUlT_T0_E_clISt17integral_constantIbLb0EES1M_EEDaS1H_S1I_EUlS1H_E_NS1_11comp_targetILNS1_3genE9ELNS1_11target_archE1100ELNS1_3gpuE3ELNS1_3repE0EEENS1_30default_config_static_selectorELNS0_4arch9wavefront6targetE1EEEvSV_,@function
_ZN7rocprim17ROCPRIM_400000_NS6detail17trampoline_kernelINS0_13select_configILj256ELj13ELNS0_17block_load_methodE3ELS4_3ELS4_3ELNS0_20block_scan_algorithmE0ELj4294967295EEENS1_25partition_config_selectorILNS1_17partition_subalgoE3EjNS0_10empty_typeEbEEZZNS1_14partition_implILS8_3ELb0ES6_jNS0_17counting_iteratorIjlEEPS9_SE_NS0_5tupleIJPjSE_EEENSF_IJSE_SE_EEES9_SG_JZNS1_25segmented_radix_sort_implINS0_14default_configELb1EPKlPlSM_SN_N2at6native12_GLOBAL__N_18offset_tEEE10hipError_tPvRmT1_PNSt15iterator_traitsISV_E10value_typeET2_T3_PNSW_IS11_E10value_typeET4_jRbjT5_S17_jjP12ihipStream_tbEUljE_EEESS_ST_SU_S11_S15_S17_T6_T7_T9_mT8_S19_bDpT10_ENKUlT_T0_E_clISt17integral_constantIbLb0EES1M_EEDaS1H_S1I_EUlS1H_E_NS1_11comp_targetILNS1_3genE9ELNS1_11target_archE1100ELNS1_3gpuE3ELNS1_3repE0EEENS1_30default_config_static_selectorELNS0_4arch9wavefront6targetE1EEEvSV_: ; @_ZN7rocprim17ROCPRIM_400000_NS6detail17trampoline_kernelINS0_13select_configILj256ELj13ELNS0_17block_load_methodE3ELS4_3ELS4_3ELNS0_20block_scan_algorithmE0ELj4294967295EEENS1_25partition_config_selectorILNS1_17partition_subalgoE3EjNS0_10empty_typeEbEEZZNS1_14partition_implILS8_3ELb0ES6_jNS0_17counting_iteratorIjlEEPS9_SE_NS0_5tupleIJPjSE_EEENSF_IJSE_SE_EEES9_SG_JZNS1_25segmented_radix_sort_implINS0_14default_configELb1EPKlPlSM_SN_N2at6native12_GLOBAL__N_18offset_tEEE10hipError_tPvRmT1_PNSt15iterator_traitsISV_E10value_typeET2_T3_PNSW_IS11_E10value_typeET4_jRbjT5_S17_jjP12ihipStream_tbEUljE_EEESS_ST_SU_S11_S15_S17_T6_T7_T9_mT8_S19_bDpT10_ENKUlT_T0_E_clISt17integral_constantIbLb0EES1M_EEDaS1H_S1I_EUlS1H_E_NS1_11comp_targetILNS1_3genE9ELNS1_11target_archE1100ELNS1_3gpuE3ELNS1_3repE0EEENS1_30default_config_static_selectorELNS0_4arch9wavefront6targetE1EEEvSV_
; %bb.0:
	.section	.rodata,"a",@progbits
	.p2align	6, 0x0
	.amdhsa_kernel _ZN7rocprim17ROCPRIM_400000_NS6detail17trampoline_kernelINS0_13select_configILj256ELj13ELNS0_17block_load_methodE3ELS4_3ELS4_3ELNS0_20block_scan_algorithmE0ELj4294967295EEENS1_25partition_config_selectorILNS1_17partition_subalgoE3EjNS0_10empty_typeEbEEZZNS1_14partition_implILS8_3ELb0ES6_jNS0_17counting_iteratorIjlEEPS9_SE_NS0_5tupleIJPjSE_EEENSF_IJSE_SE_EEES9_SG_JZNS1_25segmented_radix_sort_implINS0_14default_configELb1EPKlPlSM_SN_N2at6native12_GLOBAL__N_18offset_tEEE10hipError_tPvRmT1_PNSt15iterator_traitsISV_E10value_typeET2_T3_PNSW_IS11_E10value_typeET4_jRbjT5_S17_jjP12ihipStream_tbEUljE_EEESS_ST_SU_S11_S15_S17_T6_T7_T9_mT8_S19_bDpT10_ENKUlT_T0_E_clISt17integral_constantIbLb0EES1M_EEDaS1H_S1I_EUlS1H_E_NS1_11comp_targetILNS1_3genE9ELNS1_11target_archE1100ELNS1_3gpuE3ELNS1_3repE0EEENS1_30default_config_static_selectorELNS0_4arch9wavefront6targetE1EEEvSV_
		.amdhsa_group_segment_fixed_size 0
		.amdhsa_private_segment_fixed_size 0
		.amdhsa_kernarg_size 144
		.amdhsa_user_sgpr_count 6
		.amdhsa_user_sgpr_private_segment_buffer 1
		.amdhsa_user_sgpr_dispatch_ptr 0
		.amdhsa_user_sgpr_queue_ptr 0
		.amdhsa_user_sgpr_kernarg_segment_ptr 1
		.amdhsa_user_sgpr_dispatch_id 0
		.amdhsa_user_sgpr_flat_scratch_init 0
		.amdhsa_user_sgpr_kernarg_preload_length 0
		.amdhsa_user_sgpr_kernarg_preload_offset 0
		.amdhsa_user_sgpr_private_segment_size 0
		.amdhsa_uses_dynamic_stack 0
		.amdhsa_system_sgpr_private_segment_wavefront_offset 0
		.amdhsa_system_sgpr_workgroup_id_x 1
		.amdhsa_system_sgpr_workgroup_id_y 0
		.amdhsa_system_sgpr_workgroup_id_z 0
		.amdhsa_system_sgpr_workgroup_info 0
		.amdhsa_system_vgpr_workitem_id 0
		.amdhsa_next_free_vgpr 1
		.amdhsa_next_free_sgpr 0
		.amdhsa_accum_offset 4
		.amdhsa_reserve_vcc 0
		.amdhsa_reserve_flat_scratch 0
		.amdhsa_float_round_mode_32 0
		.amdhsa_float_round_mode_16_64 0
		.amdhsa_float_denorm_mode_32 3
		.amdhsa_float_denorm_mode_16_64 3
		.amdhsa_dx10_clamp 1
		.amdhsa_ieee_mode 1
		.amdhsa_fp16_overflow 0
		.amdhsa_tg_split 0
		.amdhsa_exception_fp_ieee_invalid_op 0
		.amdhsa_exception_fp_denorm_src 0
		.amdhsa_exception_fp_ieee_div_zero 0
		.amdhsa_exception_fp_ieee_overflow 0
		.amdhsa_exception_fp_ieee_underflow 0
		.amdhsa_exception_fp_ieee_inexact 0
		.amdhsa_exception_int_div_zero 0
	.end_amdhsa_kernel
	.section	.text._ZN7rocprim17ROCPRIM_400000_NS6detail17trampoline_kernelINS0_13select_configILj256ELj13ELNS0_17block_load_methodE3ELS4_3ELS4_3ELNS0_20block_scan_algorithmE0ELj4294967295EEENS1_25partition_config_selectorILNS1_17partition_subalgoE3EjNS0_10empty_typeEbEEZZNS1_14partition_implILS8_3ELb0ES6_jNS0_17counting_iteratorIjlEEPS9_SE_NS0_5tupleIJPjSE_EEENSF_IJSE_SE_EEES9_SG_JZNS1_25segmented_radix_sort_implINS0_14default_configELb1EPKlPlSM_SN_N2at6native12_GLOBAL__N_18offset_tEEE10hipError_tPvRmT1_PNSt15iterator_traitsISV_E10value_typeET2_T3_PNSW_IS11_E10value_typeET4_jRbjT5_S17_jjP12ihipStream_tbEUljE_EEESS_ST_SU_S11_S15_S17_T6_T7_T9_mT8_S19_bDpT10_ENKUlT_T0_E_clISt17integral_constantIbLb0EES1M_EEDaS1H_S1I_EUlS1H_E_NS1_11comp_targetILNS1_3genE9ELNS1_11target_archE1100ELNS1_3gpuE3ELNS1_3repE0EEENS1_30default_config_static_selectorELNS0_4arch9wavefront6targetE1EEEvSV_,"axG",@progbits,_ZN7rocprim17ROCPRIM_400000_NS6detail17trampoline_kernelINS0_13select_configILj256ELj13ELNS0_17block_load_methodE3ELS4_3ELS4_3ELNS0_20block_scan_algorithmE0ELj4294967295EEENS1_25partition_config_selectorILNS1_17partition_subalgoE3EjNS0_10empty_typeEbEEZZNS1_14partition_implILS8_3ELb0ES6_jNS0_17counting_iteratorIjlEEPS9_SE_NS0_5tupleIJPjSE_EEENSF_IJSE_SE_EEES9_SG_JZNS1_25segmented_radix_sort_implINS0_14default_configELb1EPKlPlSM_SN_N2at6native12_GLOBAL__N_18offset_tEEE10hipError_tPvRmT1_PNSt15iterator_traitsISV_E10value_typeET2_T3_PNSW_IS11_E10value_typeET4_jRbjT5_S17_jjP12ihipStream_tbEUljE_EEESS_ST_SU_S11_S15_S17_T6_T7_T9_mT8_S19_bDpT10_ENKUlT_T0_E_clISt17integral_constantIbLb0EES1M_EEDaS1H_S1I_EUlS1H_E_NS1_11comp_targetILNS1_3genE9ELNS1_11target_archE1100ELNS1_3gpuE3ELNS1_3repE0EEENS1_30default_config_static_selectorELNS0_4arch9wavefront6targetE1EEEvSV_,comdat
.Lfunc_end678:
	.size	_ZN7rocprim17ROCPRIM_400000_NS6detail17trampoline_kernelINS0_13select_configILj256ELj13ELNS0_17block_load_methodE3ELS4_3ELS4_3ELNS0_20block_scan_algorithmE0ELj4294967295EEENS1_25partition_config_selectorILNS1_17partition_subalgoE3EjNS0_10empty_typeEbEEZZNS1_14partition_implILS8_3ELb0ES6_jNS0_17counting_iteratorIjlEEPS9_SE_NS0_5tupleIJPjSE_EEENSF_IJSE_SE_EEES9_SG_JZNS1_25segmented_radix_sort_implINS0_14default_configELb1EPKlPlSM_SN_N2at6native12_GLOBAL__N_18offset_tEEE10hipError_tPvRmT1_PNSt15iterator_traitsISV_E10value_typeET2_T3_PNSW_IS11_E10value_typeET4_jRbjT5_S17_jjP12ihipStream_tbEUljE_EEESS_ST_SU_S11_S15_S17_T6_T7_T9_mT8_S19_bDpT10_ENKUlT_T0_E_clISt17integral_constantIbLb0EES1M_EEDaS1H_S1I_EUlS1H_E_NS1_11comp_targetILNS1_3genE9ELNS1_11target_archE1100ELNS1_3gpuE3ELNS1_3repE0EEENS1_30default_config_static_selectorELNS0_4arch9wavefront6targetE1EEEvSV_, .Lfunc_end678-_ZN7rocprim17ROCPRIM_400000_NS6detail17trampoline_kernelINS0_13select_configILj256ELj13ELNS0_17block_load_methodE3ELS4_3ELS4_3ELNS0_20block_scan_algorithmE0ELj4294967295EEENS1_25partition_config_selectorILNS1_17partition_subalgoE3EjNS0_10empty_typeEbEEZZNS1_14partition_implILS8_3ELb0ES6_jNS0_17counting_iteratorIjlEEPS9_SE_NS0_5tupleIJPjSE_EEENSF_IJSE_SE_EEES9_SG_JZNS1_25segmented_radix_sort_implINS0_14default_configELb1EPKlPlSM_SN_N2at6native12_GLOBAL__N_18offset_tEEE10hipError_tPvRmT1_PNSt15iterator_traitsISV_E10value_typeET2_T3_PNSW_IS11_E10value_typeET4_jRbjT5_S17_jjP12ihipStream_tbEUljE_EEESS_ST_SU_S11_S15_S17_T6_T7_T9_mT8_S19_bDpT10_ENKUlT_T0_E_clISt17integral_constantIbLb0EES1M_EEDaS1H_S1I_EUlS1H_E_NS1_11comp_targetILNS1_3genE9ELNS1_11target_archE1100ELNS1_3gpuE3ELNS1_3repE0EEENS1_30default_config_static_selectorELNS0_4arch9wavefront6targetE1EEEvSV_
                                        ; -- End function
	.section	.AMDGPU.csdata,"",@progbits
; Kernel info:
; codeLenInByte = 0
; NumSgprs: 4
; NumVgprs: 0
; NumAgprs: 0
; TotalNumVgprs: 0
; ScratchSize: 0
; MemoryBound: 0
; FloatMode: 240
; IeeeMode: 1
; LDSByteSize: 0 bytes/workgroup (compile time only)
; SGPRBlocks: 0
; VGPRBlocks: 0
; NumSGPRsForWavesPerEU: 4
; NumVGPRsForWavesPerEU: 1
; AccumOffset: 4
; Occupancy: 8
; WaveLimiterHint : 0
; COMPUTE_PGM_RSRC2:SCRATCH_EN: 0
; COMPUTE_PGM_RSRC2:USER_SGPR: 6
; COMPUTE_PGM_RSRC2:TRAP_HANDLER: 0
; COMPUTE_PGM_RSRC2:TGID_X_EN: 1
; COMPUTE_PGM_RSRC2:TGID_Y_EN: 0
; COMPUTE_PGM_RSRC2:TGID_Z_EN: 0
; COMPUTE_PGM_RSRC2:TIDIG_COMP_CNT: 0
; COMPUTE_PGM_RSRC3_GFX90A:ACCUM_OFFSET: 0
; COMPUTE_PGM_RSRC3_GFX90A:TG_SPLIT: 0
	.section	.text._ZN7rocprim17ROCPRIM_400000_NS6detail17trampoline_kernelINS0_13select_configILj256ELj13ELNS0_17block_load_methodE3ELS4_3ELS4_3ELNS0_20block_scan_algorithmE0ELj4294967295EEENS1_25partition_config_selectorILNS1_17partition_subalgoE3EjNS0_10empty_typeEbEEZZNS1_14partition_implILS8_3ELb0ES6_jNS0_17counting_iteratorIjlEEPS9_SE_NS0_5tupleIJPjSE_EEENSF_IJSE_SE_EEES9_SG_JZNS1_25segmented_radix_sort_implINS0_14default_configELb1EPKlPlSM_SN_N2at6native12_GLOBAL__N_18offset_tEEE10hipError_tPvRmT1_PNSt15iterator_traitsISV_E10value_typeET2_T3_PNSW_IS11_E10value_typeET4_jRbjT5_S17_jjP12ihipStream_tbEUljE_EEESS_ST_SU_S11_S15_S17_T6_T7_T9_mT8_S19_bDpT10_ENKUlT_T0_E_clISt17integral_constantIbLb0EES1M_EEDaS1H_S1I_EUlS1H_E_NS1_11comp_targetILNS1_3genE8ELNS1_11target_archE1030ELNS1_3gpuE2ELNS1_3repE0EEENS1_30default_config_static_selectorELNS0_4arch9wavefront6targetE1EEEvSV_,"axG",@progbits,_ZN7rocprim17ROCPRIM_400000_NS6detail17trampoline_kernelINS0_13select_configILj256ELj13ELNS0_17block_load_methodE3ELS4_3ELS4_3ELNS0_20block_scan_algorithmE0ELj4294967295EEENS1_25partition_config_selectorILNS1_17partition_subalgoE3EjNS0_10empty_typeEbEEZZNS1_14partition_implILS8_3ELb0ES6_jNS0_17counting_iteratorIjlEEPS9_SE_NS0_5tupleIJPjSE_EEENSF_IJSE_SE_EEES9_SG_JZNS1_25segmented_radix_sort_implINS0_14default_configELb1EPKlPlSM_SN_N2at6native12_GLOBAL__N_18offset_tEEE10hipError_tPvRmT1_PNSt15iterator_traitsISV_E10value_typeET2_T3_PNSW_IS11_E10value_typeET4_jRbjT5_S17_jjP12ihipStream_tbEUljE_EEESS_ST_SU_S11_S15_S17_T6_T7_T9_mT8_S19_bDpT10_ENKUlT_T0_E_clISt17integral_constantIbLb0EES1M_EEDaS1H_S1I_EUlS1H_E_NS1_11comp_targetILNS1_3genE8ELNS1_11target_archE1030ELNS1_3gpuE2ELNS1_3repE0EEENS1_30default_config_static_selectorELNS0_4arch9wavefront6targetE1EEEvSV_,comdat
	.globl	_ZN7rocprim17ROCPRIM_400000_NS6detail17trampoline_kernelINS0_13select_configILj256ELj13ELNS0_17block_load_methodE3ELS4_3ELS4_3ELNS0_20block_scan_algorithmE0ELj4294967295EEENS1_25partition_config_selectorILNS1_17partition_subalgoE3EjNS0_10empty_typeEbEEZZNS1_14partition_implILS8_3ELb0ES6_jNS0_17counting_iteratorIjlEEPS9_SE_NS0_5tupleIJPjSE_EEENSF_IJSE_SE_EEES9_SG_JZNS1_25segmented_radix_sort_implINS0_14default_configELb1EPKlPlSM_SN_N2at6native12_GLOBAL__N_18offset_tEEE10hipError_tPvRmT1_PNSt15iterator_traitsISV_E10value_typeET2_T3_PNSW_IS11_E10value_typeET4_jRbjT5_S17_jjP12ihipStream_tbEUljE_EEESS_ST_SU_S11_S15_S17_T6_T7_T9_mT8_S19_bDpT10_ENKUlT_T0_E_clISt17integral_constantIbLb0EES1M_EEDaS1H_S1I_EUlS1H_E_NS1_11comp_targetILNS1_3genE8ELNS1_11target_archE1030ELNS1_3gpuE2ELNS1_3repE0EEENS1_30default_config_static_selectorELNS0_4arch9wavefront6targetE1EEEvSV_ ; -- Begin function _ZN7rocprim17ROCPRIM_400000_NS6detail17trampoline_kernelINS0_13select_configILj256ELj13ELNS0_17block_load_methodE3ELS4_3ELS4_3ELNS0_20block_scan_algorithmE0ELj4294967295EEENS1_25partition_config_selectorILNS1_17partition_subalgoE3EjNS0_10empty_typeEbEEZZNS1_14partition_implILS8_3ELb0ES6_jNS0_17counting_iteratorIjlEEPS9_SE_NS0_5tupleIJPjSE_EEENSF_IJSE_SE_EEES9_SG_JZNS1_25segmented_radix_sort_implINS0_14default_configELb1EPKlPlSM_SN_N2at6native12_GLOBAL__N_18offset_tEEE10hipError_tPvRmT1_PNSt15iterator_traitsISV_E10value_typeET2_T3_PNSW_IS11_E10value_typeET4_jRbjT5_S17_jjP12ihipStream_tbEUljE_EEESS_ST_SU_S11_S15_S17_T6_T7_T9_mT8_S19_bDpT10_ENKUlT_T0_E_clISt17integral_constantIbLb0EES1M_EEDaS1H_S1I_EUlS1H_E_NS1_11comp_targetILNS1_3genE8ELNS1_11target_archE1030ELNS1_3gpuE2ELNS1_3repE0EEENS1_30default_config_static_selectorELNS0_4arch9wavefront6targetE1EEEvSV_
	.p2align	8
	.type	_ZN7rocprim17ROCPRIM_400000_NS6detail17trampoline_kernelINS0_13select_configILj256ELj13ELNS0_17block_load_methodE3ELS4_3ELS4_3ELNS0_20block_scan_algorithmE0ELj4294967295EEENS1_25partition_config_selectorILNS1_17partition_subalgoE3EjNS0_10empty_typeEbEEZZNS1_14partition_implILS8_3ELb0ES6_jNS0_17counting_iteratorIjlEEPS9_SE_NS0_5tupleIJPjSE_EEENSF_IJSE_SE_EEES9_SG_JZNS1_25segmented_radix_sort_implINS0_14default_configELb1EPKlPlSM_SN_N2at6native12_GLOBAL__N_18offset_tEEE10hipError_tPvRmT1_PNSt15iterator_traitsISV_E10value_typeET2_T3_PNSW_IS11_E10value_typeET4_jRbjT5_S17_jjP12ihipStream_tbEUljE_EEESS_ST_SU_S11_S15_S17_T6_T7_T9_mT8_S19_bDpT10_ENKUlT_T0_E_clISt17integral_constantIbLb0EES1M_EEDaS1H_S1I_EUlS1H_E_NS1_11comp_targetILNS1_3genE8ELNS1_11target_archE1030ELNS1_3gpuE2ELNS1_3repE0EEENS1_30default_config_static_selectorELNS0_4arch9wavefront6targetE1EEEvSV_,@function
_ZN7rocprim17ROCPRIM_400000_NS6detail17trampoline_kernelINS0_13select_configILj256ELj13ELNS0_17block_load_methodE3ELS4_3ELS4_3ELNS0_20block_scan_algorithmE0ELj4294967295EEENS1_25partition_config_selectorILNS1_17partition_subalgoE3EjNS0_10empty_typeEbEEZZNS1_14partition_implILS8_3ELb0ES6_jNS0_17counting_iteratorIjlEEPS9_SE_NS0_5tupleIJPjSE_EEENSF_IJSE_SE_EEES9_SG_JZNS1_25segmented_radix_sort_implINS0_14default_configELb1EPKlPlSM_SN_N2at6native12_GLOBAL__N_18offset_tEEE10hipError_tPvRmT1_PNSt15iterator_traitsISV_E10value_typeET2_T3_PNSW_IS11_E10value_typeET4_jRbjT5_S17_jjP12ihipStream_tbEUljE_EEESS_ST_SU_S11_S15_S17_T6_T7_T9_mT8_S19_bDpT10_ENKUlT_T0_E_clISt17integral_constantIbLb0EES1M_EEDaS1H_S1I_EUlS1H_E_NS1_11comp_targetILNS1_3genE8ELNS1_11target_archE1030ELNS1_3gpuE2ELNS1_3repE0EEENS1_30default_config_static_selectorELNS0_4arch9wavefront6targetE1EEEvSV_: ; @_ZN7rocprim17ROCPRIM_400000_NS6detail17trampoline_kernelINS0_13select_configILj256ELj13ELNS0_17block_load_methodE3ELS4_3ELS4_3ELNS0_20block_scan_algorithmE0ELj4294967295EEENS1_25partition_config_selectorILNS1_17partition_subalgoE3EjNS0_10empty_typeEbEEZZNS1_14partition_implILS8_3ELb0ES6_jNS0_17counting_iteratorIjlEEPS9_SE_NS0_5tupleIJPjSE_EEENSF_IJSE_SE_EEES9_SG_JZNS1_25segmented_radix_sort_implINS0_14default_configELb1EPKlPlSM_SN_N2at6native12_GLOBAL__N_18offset_tEEE10hipError_tPvRmT1_PNSt15iterator_traitsISV_E10value_typeET2_T3_PNSW_IS11_E10value_typeET4_jRbjT5_S17_jjP12ihipStream_tbEUljE_EEESS_ST_SU_S11_S15_S17_T6_T7_T9_mT8_S19_bDpT10_ENKUlT_T0_E_clISt17integral_constantIbLb0EES1M_EEDaS1H_S1I_EUlS1H_E_NS1_11comp_targetILNS1_3genE8ELNS1_11target_archE1030ELNS1_3gpuE2ELNS1_3repE0EEENS1_30default_config_static_selectorELNS0_4arch9wavefront6targetE1EEEvSV_
; %bb.0:
	.section	.rodata,"a",@progbits
	.p2align	6, 0x0
	.amdhsa_kernel _ZN7rocprim17ROCPRIM_400000_NS6detail17trampoline_kernelINS0_13select_configILj256ELj13ELNS0_17block_load_methodE3ELS4_3ELS4_3ELNS0_20block_scan_algorithmE0ELj4294967295EEENS1_25partition_config_selectorILNS1_17partition_subalgoE3EjNS0_10empty_typeEbEEZZNS1_14partition_implILS8_3ELb0ES6_jNS0_17counting_iteratorIjlEEPS9_SE_NS0_5tupleIJPjSE_EEENSF_IJSE_SE_EEES9_SG_JZNS1_25segmented_radix_sort_implINS0_14default_configELb1EPKlPlSM_SN_N2at6native12_GLOBAL__N_18offset_tEEE10hipError_tPvRmT1_PNSt15iterator_traitsISV_E10value_typeET2_T3_PNSW_IS11_E10value_typeET4_jRbjT5_S17_jjP12ihipStream_tbEUljE_EEESS_ST_SU_S11_S15_S17_T6_T7_T9_mT8_S19_bDpT10_ENKUlT_T0_E_clISt17integral_constantIbLb0EES1M_EEDaS1H_S1I_EUlS1H_E_NS1_11comp_targetILNS1_3genE8ELNS1_11target_archE1030ELNS1_3gpuE2ELNS1_3repE0EEENS1_30default_config_static_selectorELNS0_4arch9wavefront6targetE1EEEvSV_
		.amdhsa_group_segment_fixed_size 0
		.amdhsa_private_segment_fixed_size 0
		.amdhsa_kernarg_size 144
		.amdhsa_user_sgpr_count 6
		.amdhsa_user_sgpr_private_segment_buffer 1
		.amdhsa_user_sgpr_dispatch_ptr 0
		.amdhsa_user_sgpr_queue_ptr 0
		.amdhsa_user_sgpr_kernarg_segment_ptr 1
		.amdhsa_user_sgpr_dispatch_id 0
		.amdhsa_user_sgpr_flat_scratch_init 0
		.amdhsa_user_sgpr_kernarg_preload_length 0
		.amdhsa_user_sgpr_kernarg_preload_offset 0
		.amdhsa_user_sgpr_private_segment_size 0
		.amdhsa_uses_dynamic_stack 0
		.amdhsa_system_sgpr_private_segment_wavefront_offset 0
		.amdhsa_system_sgpr_workgroup_id_x 1
		.amdhsa_system_sgpr_workgroup_id_y 0
		.amdhsa_system_sgpr_workgroup_id_z 0
		.amdhsa_system_sgpr_workgroup_info 0
		.amdhsa_system_vgpr_workitem_id 0
		.amdhsa_next_free_vgpr 1
		.amdhsa_next_free_sgpr 0
		.amdhsa_accum_offset 4
		.amdhsa_reserve_vcc 0
		.amdhsa_reserve_flat_scratch 0
		.amdhsa_float_round_mode_32 0
		.amdhsa_float_round_mode_16_64 0
		.amdhsa_float_denorm_mode_32 3
		.amdhsa_float_denorm_mode_16_64 3
		.amdhsa_dx10_clamp 1
		.amdhsa_ieee_mode 1
		.amdhsa_fp16_overflow 0
		.amdhsa_tg_split 0
		.amdhsa_exception_fp_ieee_invalid_op 0
		.amdhsa_exception_fp_denorm_src 0
		.amdhsa_exception_fp_ieee_div_zero 0
		.amdhsa_exception_fp_ieee_overflow 0
		.amdhsa_exception_fp_ieee_underflow 0
		.amdhsa_exception_fp_ieee_inexact 0
		.amdhsa_exception_int_div_zero 0
	.end_amdhsa_kernel
	.section	.text._ZN7rocprim17ROCPRIM_400000_NS6detail17trampoline_kernelINS0_13select_configILj256ELj13ELNS0_17block_load_methodE3ELS4_3ELS4_3ELNS0_20block_scan_algorithmE0ELj4294967295EEENS1_25partition_config_selectorILNS1_17partition_subalgoE3EjNS0_10empty_typeEbEEZZNS1_14partition_implILS8_3ELb0ES6_jNS0_17counting_iteratorIjlEEPS9_SE_NS0_5tupleIJPjSE_EEENSF_IJSE_SE_EEES9_SG_JZNS1_25segmented_radix_sort_implINS0_14default_configELb1EPKlPlSM_SN_N2at6native12_GLOBAL__N_18offset_tEEE10hipError_tPvRmT1_PNSt15iterator_traitsISV_E10value_typeET2_T3_PNSW_IS11_E10value_typeET4_jRbjT5_S17_jjP12ihipStream_tbEUljE_EEESS_ST_SU_S11_S15_S17_T6_T7_T9_mT8_S19_bDpT10_ENKUlT_T0_E_clISt17integral_constantIbLb0EES1M_EEDaS1H_S1I_EUlS1H_E_NS1_11comp_targetILNS1_3genE8ELNS1_11target_archE1030ELNS1_3gpuE2ELNS1_3repE0EEENS1_30default_config_static_selectorELNS0_4arch9wavefront6targetE1EEEvSV_,"axG",@progbits,_ZN7rocprim17ROCPRIM_400000_NS6detail17trampoline_kernelINS0_13select_configILj256ELj13ELNS0_17block_load_methodE3ELS4_3ELS4_3ELNS0_20block_scan_algorithmE0ELj4294967295EEENS1_25partition_config_selectorILNS1_17partition_subalgoE3EjNS0_10empty_typeEbEEZZNS1_14partition_implILS8_3ELb0ES6_jNS0_17counting_iteratorIjlEEPS9_SE_NS0_5tupleIJPjSE_EEENSF_IJSE_SE_EEES9_SG_JZNS1_25segmented_radix_sort_implINS0_14default_configELb1EPKlPlSM_SN_N2at6native12_GLOBAL__N_18offset_tEEE10hipError_tPvRmT1_PNSt15iterator_traitsISV_E10value_typeET2_T3_PNSW_IS11_E10value_typeET4_jRbjT5_S17_jjP12ihipStream_tbEUljE_EEESS_ST_SU_S11_S15_S17_T6_T7_T9_mT8_S19_bDpT10_ENKUlT_T0_E_clISt17integral_constantIbLb0EES1M_EEDaS1H_S1I_EUlS1H_E_NS1_11comp_targetILNS1_3genE8ELNS1_11target_archE1030ELNS1_3gpuE2ELNS1_3repE0EEENS1_30default_config_static_selectorELNS0_4arch9wavefront6targetE1EEEvSV_,comdat
.Lfunc_end679:
	.size	_ZN7rocprim17ROCPRIM_400000_NS6detail17trampoline_kernelINS0_13select_configILj256ELj13ELNS0_17block_load_methodE3ELS4_3ELS4_3ELNS0_20block_scan_algorithmE0ELj4294967295EEENS1_25partition_config_selectorILNS1_17partition_subalgoE3EjNS0_10empty_typeEbEEZZNS1_14partition_implILS8_3ELb0ES6_jNS0_17counting_iteratorIjlEEPS9_SE_NS0_5tupleIJPjSE_EEENSF_IJSE_SE_EEES9_SG_JZNS1_25segmented_radix_sort_implINS0_14default_configELb1EPKlPlSM_SN_N2at6native12_GLOBAL__N_18offset_tEEE10hipError_tPvRmT1_PNSt15iterator_traitsISV_E10value_typeET2_T3_PNSW_IS11_E10value_typeET4_jRbjT5_S17_jjP12ihipStream_tbEUljE_EEESS_ST_SU_S11_S15_S17_T6_T7_T9_mT8_S19_bDpT10_ENKUlT_T0_E_clISt17integral_constantIbLb0EES1M_EEDaS1H_S1I_EUlS1H_E_NS1_11comp_targetILNS1_3genE8ELNS1_11target_archE1030ELNS1_3gpuE2ELNS1_3repE0EEENS1_30default_config_static_selectorELNS0_4arch9wavefront6targetE1EEEvSV_, .Lfunc_end679-_ZN7rocprim17ROCPRIM_400000_NS6detail17trampoline_kernelINS0_13select_configILj256ELj13ELNS0_17block_load_methodE3ELS4_3ELS4_3ELNS0_20block_scan_algorithmE0ELj4294967295EEENS1_25partition_config_selectorILNS1_17partition_subalgoE3EjNS0_10empty_typeEbEEZZNS1_14partition_implILS8_3ELb0ES6_jNS0_17counting_iteratorIjlEEPS9_SE_NS0_5tupleIJPjSE_EEENSF_IJSE_SE_EEES9_SG_JZNS1_25segmented_radix_sort_implINS0_14default_configELb1EPKlPlSM_SN_N2at6native12_GLOBAL__N_18offset_tEEE10hipError_tPvRmT1_PNSt15iterator_traitsISV_E10value_typeET2_T3_PNSW_IS11_E10value_typeET4_jRbjT5_S17_jjP12ihipStream_tbEUljE_EEESS_ST_SU_S11_S15_S17_T6_T7_T9_mT8_S19_bDpT10_ENKUlT_T0_E_clISt17integral_constantIbLb0EES1M_EEDaS1H_S1I_EUlS1H_E_NS1_11comp_targetILNS1_3genE8ELNS1_11target_archE1030ELNS1_3gpuE2ELNS1_3repE0EEENS1_30default_config_static_selectorELNS0_4arch9wavefront6targetE1EEEvSV_
                                        ; -- End function
	.section	.AMDGPU.csdata,"",@progbits
; Kernel info:
; codeLenInByte = 0
; NumSgprs: 4
; NumVgprs: 0
; NumAgprs: 0
; TotalNumVgprs: 0
; ScratchSize: 0
; MemoryBound: 0
; FloatMode: 240
; IeeeMode: 1
; LDSByteSize: 0 bytes/workgroup (compile time only)
; SGPRBlocks: 0
; VGPRBlocks: 0
; NumSGPRsForWavesPerEU: 4
; NumVGPRsForWavesPerEU: 1
; AccumOffset: 4
; Occupancy: 8
; WaveLimiterHint : 0
; COMPUTE_PGM_RSRC2:SCRATCH_EN: 0
; COMPUTE_PGM_RSRC2:USER_SGPR: 6
; COMPUTE_PGM_RSRC2:TRAP_HANDLER: 0
; COMPUTE_PGM_RSRC2:TGID_X_EN: 1
; COMPUTE_PGM_RSRC2:TGID_Y_EN: 0
; COMPUTE_PGM_RSRC2:TGID_Z_EN: 0
; COMPUTE_PGM_RSRC2:TIDIG_COMP_CNT: 0
; COMPUTE_PGM_RSRC3_GFX90A:ACCUM_OFFSET: 0
; COMPUTE_PGM_RSRC3_GFX90A:TG_SPLIT: 0
	.section	.text._ZN7rocprim17ROCPRIM_400000_NS6detail17trampoline_kernelINS0_13select_configILj256ELj13ELNS0_17block_load_methodE3ELS4_3ELS4_3ELNS0_20block_scan_algorithmE0ELj4294967295EEENS1_25partition_config_selectorILNS1_17partition_subalgoE3EjNS0_10empty_typeEbEEZZNS1_14partition_implILS8_3ELb0ES6_jNS0_17counting_iteratorIjlEEPS9_SE_NS0_5tupleIJPjSE_EEENSF_IJSE_SE_EEES9_SG_JZNS1_25segmented_radix_sort_implINS0_14default_configELb1EPKlPlSM_SN_N2at6native12_GLOBAL__N_18offset_tEEE10hipError_tPvRmT1_PNSt15iterator_traitsISV_E10value_typeET2_T3_PNSW_IS11_E10value_typeET4_jRbjT5_S17_jjP12ihipStream_tbEUljE_EEESS_ST_SU_S11_S15_S17_T6_T7_T9_mT8_S19_bDpT10_ENKUlT_T0_E_clISt17integral_constantIbLb1EES1M_EEDaS1H_S1I_EUlS1H_E_NS1_11comp_targetILNS1_3genE0ELNS1_11target_archE4294967295ELNS1_3gpuE0ELNS1_3repE0EEENS1_30default_config_static_selectorELNS0_4arch9wavefront6targetE1EEEvSV_,"axG",@progbits,_ZN7rocprim17ROCPRIM_400000_NS6detail17trampoline_kernelINS0_13select_configILj256ELj13ELNS0_17block_load_methodE3ELS4_3ELS4_3ELNS0_20block_scan_algorithmE0ELj4294967295EEENS1_25partition_config_selectorILNS1_17partition_subalgoE3EjNS0_10empty_typeEbEEZZNS1_14partition_implILS8_3ELb0ES6_jNS0_17counting_iteratorIjlEEPS9_SE_NS0_5tupleIJPjSE_EEENSF_IJSE_SE_EEES9_SG_JZNS1_25segmented_radix_sort_implINS0_14default_configELb1EPKlPlSM_SN_N2at6native12_GLOBAL__N_18offset_tEEE10hipError_tPvRmT1_PNSt15iterator_traitsISV_E10value_typeET2_T3_PNSW_IS11_E10value_typeET4_jRbjT5_S17_jjP12ihipStream_tbEUljE_EEESS_ST_SU_S11_S15_S17_T6_T7_T9_mT8_S19_bDpT10_ENKUlT_T0_E_clISt17integral_constantIbLb1EES1M_EEDaS1H_S1I_EUlS1H_E_NS1_11comp_targetILNS1_3genE0ELNS1_11target_archE4294967295ELNS1_3gpuE0ELNS1_3repE0EEENS1_30default_config_static_selectorELNS0_4arch9wavefront6targetE1EEEvSV_,comdat
	.globl	_ZN7rocprim17ROCPRIM_400000_NS6detail17trampoline_kernelINS0_13select_configILj256ELj13ELNS0_17block_load_methodE3ELS4_3ELS4_3ELNS0_20block_scan_algorithmE0ELj4294967295EEENS1_25partition_config_selectorILNS1_17partition_subalgoE3EjNS0_10empty_typeEbEEZZNS1_14partition_implILS8_3ELb0ES6_jNS0_17counting_iteratorIjlEEPS9_SE_NS0_5tupleIJPjSE_EEENSF_IJSE_SE_EEES9_SG_JZNS1_25segmented_radix_sort_implINS0_14default_configELb1EPKlPlSM_SN_N2at6native12_GLOBAL__N_18offset_tEEE10hipError_tPvRmT1_PNSt15iterator_traitsISV_E10value_typeET2_T3_PNSW_IS11_E10value_typeET4_jRbjT5_S17_jjP12ihipStream_tbEUljE_EEESS_ST_SU_S11_S15_S17_T6_T7_T9_mT8_S19_bDpT10_ENKUlT_T0_E_clISt17integral_constantIbLb1EES1M_EEDaS1H_S1I_EUlS1H_E_NS1_11comp_targetILNS1_3genE0ELNS1_11target_archE4294967295ELNS1_3gpuE0ELNS1_3repE0EEENS1_30default_config_static_selectorELNS0_4arch9wavefront6targetE1EEEvSV_ ; -- Begin function _ZN7rocprim17ROCPRIM_400000_NS6detail17trampoline_kernelINS0_13select_configILj256ELj13ELNS0_17block_load_methodE3ELS4_3ELS4_3ELNS0_20block_scan_algorithmE0ELj4294967295EEENS1_25partition_config_selectorILNS1_17partition_subalgoE3EjNS0_10empty_typeEbEEZZNS1_14partition_implILS8_3ELb0ES6_jNS0_17counting_iteratorIjlEEPS9_SE_NS0_5tupleIJPjSE_EEENSF_IJSE_SE_EEES9_SG_JZNS1_25segmented_radix_sort_implINS0_14default_configELb1EPKlPlSM_SN_N2at6native12_GLOBAL__N_18offset_tEEE10hipError_tPvRmT1_PNSt15iterator_traitsISV_E10value_typeET2_T3_PNSW_IS11_E10value_typeET4_jRbjT5_S17_jjP12ihipStream_tbEUljE_EEESS_ST_SU_S11_S15_S17_T6_T7_T9_mT8_S19_bDpT10_ENKUlT_T0_E_clISt17integral_constantIbLb1EES1M_EEDaS1H_S1I_EUlS1H_E_NS1_11comp_targetILNS1_3genE0ELNS1_11target_archE4294967295ELNS1_3gpuE0ELNS1_3repE0EEENS1_30default_config_static_selectorELNS0_4arch9wavefront6targetE1EEEvSV_
	.p2align	8
	.type	_ZN7rocprim17ROCPRIM_400000_NS6detail17trampoline_kernelINS0_13select_configILj256ELj13ELNS0_17block_load_methodE3ELS4_3ELS4_3ELNS0_20block_scan_algorithmE0ELj4294967295EEENS1_25partition_config_selectorILNS1_17partition_subalgoE3EjNS0_10empty_typeEbEEZZNS1_14partition_implILS8_3ELb0ES6_jNS0_17counting_iteratorIjlEEPS9_SE_NS0_5tupleIJPjSE_EEENSF_IJSE_SE_EEES9_SG_JZNS1_25segmented_radix_sort_implINS0_14default_configELb1EPKlPlSM_SN_N2at6native12_GLOBAL__N_18offset_tEEE10hipError_tPvRmT1_PNSt15iterator_traitsISV_E10value_typeET2_T3_PNSW_IS11_E10value_typeET4_jRbjT5_S17_jjP12ihipStream_tbEUljE_EEESS_ST_SU_S11_S15_S17_T6_T7_T9_mT8_S19_bDpT10_ENKUlT_T0_E_clISt17integral_constantIbLb1EES1M_EEDaS1H_S1I_EUlS1H_E_NS1_11comp_targetILNS1_3genE0ELNS1_11target_archE4294967295ELNS1_3gpuE0ELNS1_3repE0EEENS1_30default_config_static_selectorELNS0_4arch9wavefront6targetE1EEEvSV_,@function
_ZN7rocprim17ROCPRIM_400000_NS6detail17trampoline_kernelINS0_13select_configILj256ELj13ELNS0_17block_load_methodE3ELS4_3ELS4_3ELNS0_20block_scan_algorithmE0ELj4294967295EEENS1_25partition_config_selectorILNS1_17partition_subalgoE3EjNS0_10empty_typeEbEEZZNS1_14partition_implILS8_3ELb0ES6_jNS0_17counting_iteratorIjlEEPS9_SE_NS0_5tupleIJPjSE_EEENSF_IJSE_SE_EEES9_SG_JZNS1_25segmented_radix_sort_implINS0_14default_configELb1EPKlPlSM_SN_N2at6native12_GLOBAL__N_18offset_tEEE10hipError_tPvRmT1_PNSt15iterator_traitsISV_E10value_typeET2_T3_PNSW_IS11_E10value_typeET4_jRbjT5_S17_jjP12ihipStream_tbEUljE_EEESS_ST_SU_S11_S15_S17_T6_T7_T9_mT8_S19_bDpT10_ENKUlT_T0_E_clISt17integral_constantIbLb1EES1M_EEDaS1H_S1I_EUlS1H_E_NS1_11comp_targetILNS1_3genE0ELNS1_11target_archE4294967295ELNS1_3gpuE0ELNS1_3repE0EEENS1_30default_config_static_selectorELNS0_4arch9wavefront6targetE1EEEvSV_: ; @_ZN7rocprim17ROCPRIM_400000_NS6detail17trampoline_kernelINS0_13select_configILj256ELj13ELNS0_17block_load_methodE3ELS4_3ELS4_3ELNS0_20block_scan_algorithmE0ELj4294967295EEENS1_25partition_config_selectorILNS1_17partition_subalgoE3EjNS0_10empty_typeEbEEZZNS1_14partition_implILS8_3ELb0ES6_jNS0_17counting_iteratorIjlEEPS9_SE_NS0_5tupleIJPjSE_EEENSF_IJSE_SE_EEES9_SG_JZNS1_25segmented_radix_sort_implINS0_14default_configELb1EPKlPlSM_SN_N2at6native12_GLOBAL__N_18offset_tEEE10hipError_tPvRmT1_PNSt15iterator_traitsISV_E10value_typeET2_T3_PNSW_IS11_E10value_typeET4_jRbjT5_S17_jjP12ihipStream_tbEUljE_EEESS_ST_SU_S11_S15_S17_T6_T7_T9_mT8_S19_bDpT10_ENKUlT_T0_E_clISt17integral_constantIbLb1EES1M_EEDaS1H_S1I_EUlS1H_E_NS1_11comp_targetILNS1_3genE0ELNS1_11target_archE4294967295ELNS1_3gpuE0ELNS1_3repE0EEENS1_30default_config_static_selectorELNS0_4arch9wavefront6targetE1EEEvSV_
; %bb.0:
	.section	.rodata,"a",@progbits
	.p2align	6, 0x0
	.amdhsa_kernel _ZN7rocprim17ROCPRIM_400000_NS6detail17trampoline_kernelINS0_13select_configILj256ELj13ELNS0_17block_load_methodE3ELS4_3ELS4_3ELNS0_20block_scan_algorithmE0ELj4294967295EEENS1_25partition_config_selectorILNS1_17partition_subalgoE3EjNS0_10empty_typeEbEEZZNS1_14partition_implILS8_3ELb0ES6_jNS0_17counting_iteratorIjlEEPS9_SE_NS0_5tupleIJPjSE_EEENSF_IJSE_SE_EEES9_SG_JZNS1_25segmented_radix_sort_implINS0_14default_configELb1EPKlPlSM_SN_N2at6native12_GLOBAL__N_18offset_tEEE10hipError_tPvRmT1_PNSt15iterator_traitsISV_E10value_typeET2_T3_PNSW_IS11_E10value_typeET4_jRbjT5_S17_jjP12ihipStream_tbEUljE_EEESS_ST_SU_S11_S15_S17_T6_T7_T9_mT8_S19_bDpT10_ENKUlT_T0_E_clISt17integral_constantIbLb1EES1M_EEDaS1H_S1I_EUlS1H_E_NS1_11comp_targetILNS1_3genE0ELNS1_11target_archE4294967295ELNS1_3gpuE0ELNS1_3repE0EEENS1_30default_config_static_selectorELNS0_4arch9wavefront6targetE1EEEvSV_
		.amdhsa_group_segment_fixed_size 0
		.amdhsa_private_segment_fixed_size 0
		.amdhsa_kernarg_size 152
		.amdhsa_user_sgpr_count 6
		.amdhsa_user_sgpr_private_segment_buffer 1
		.amdhsa_user_sgpr_dispatch_ptr 0
		.amdhsa_user_sgpr_queue_ptr 0
		.amdhsa_user_sgpr_kernarg_segment_ptr 1
		.amdhsa_user_sgpr_dispatch_id 0
		.amdhsa_user_sgpr_flat_scratch_init 0
		.amdhsa_user_sgpr_kernarg_preload_length 0
		.amdhsa_user_sgpr_kernarg_preload_offset 0
		.amdhsa_user_sgpr_private_segment_size 0
		.amdhsa_uses_dynamic_stack 0
		.amdhsa_system_sgpr_private_segment_wavefront_offset 0
		.amdhsa_system_sgpr_workgroup_id_x 1
		.amdhsa_system_sgpr_workgroup_id_y 0
		.amdhsa_system_sgpr_workgroup_id_z 0
		.amdhsa_system_sgpr_workgroup_info 0
		.amdhsa_system_vgpr_workitem_id 0
		.amdhsa_next_free_vgpr 1
		.amdhsa_next_free_sgpr 0
		.amdhsa_accum_offset 4
		.amdhsa_reserve_vcc 0
		.amdhsa_reserve_flat_scratch 0
		.amdhsa_float_round_mode_32 0
		.amdhsa_float_round_mode_16_64 0
		.amdhsa_float_denorm_mode_32 3
		.amdhsa_float_denorm_mode_16_64 3
		.amdhsa_dx10_clamp 1
		.amdhsa_ieee_mode 1
		.amdhsa_fp16_overflow 0
		.amdhsa_tg_split 0
		.amdhsa_exception_fp_ieee_invalid_op 0
		.amdhsa_exception_fp_denorm_src 0
		.amdhsa_exception_fp_ieee_div_zero 0
		.amdhsa_exception_fp_ieee_overflow 0
		.amdhsa_exception_fp_ieee_underflow 0
		.amdhsa_exception_fp_ieee_inexact 0
		.amdhsa_exception_int_div_zero 0
	.end_amdhsa_kernel
	.section	.text._ZN7rocprim17ROCPRIM_400000_NS6detail17trampoline_kernelINS0_13select_configILj256ELj13ELNS0_17block_load_methodE3ELS4_3ELS4_3ELNS0_20block_scan_algorithmE0ELj4294967295EEENS1_25partition_config_selectorILNS1_17partition_subalgoE3EjNS0_10empty_typeEbEEZZNS1_14partition_implILS8_3ELb0ES6_jNS0_17counting_iteratorIjlEEPS9_SE_NS0_5tupleIJPjSE_EEENSF_IJSE_SE_EEES9_SG_JZNS1_25segmented_radix_sort_implINS0_14default_configELb1EPKlPlSM_SN_N2at6native12_GLOBAL__N_18offset_tEEE10hipError_tPvRmT1_PNSt15iterator_traitsISV_E10value_typeET2_T3_PNSW_IS11_E10value_typeET4_jRbjT5_S17_jjP12ihipStream_tbEUljE_EEESS_ST_SU_S11_S15_S17_T6_T7_T9_mT8_S19_bDpT10_ENKUlT_T0_E_clISt17integral_constantIbLb1EES1M_EEDaS1H_S1I_EUlS1H_E_NS1_11comp_targetILNS1_3genE0ELNS1_11target_archE4294967295ELNS1_3gpuE0ELNS1_3repE0EEENS1_30default_config_static_selectorELNS0_4arch9wavefront6targetE1EEEvSV_,"axG",@progbits,_ZN7rocprim17ROCPRIM_400000_NS6detail17trampoline_kernelINS0_13select_configILj256ELj13ELNS0_17block_load_methodE3ELS4_3ELS4_3ELNS0_20block_scan_algorithmE0ELj4294967295EEENS1_25partition_config_selectorILNS1_17partition_subalgoE3EjNS0_10empty_typeEbEEZZNS1_14partition_implILS8_3ELb0ES6_jNS0_17counting_iteratorIjlEEPS9_SE_NS0_5tupleIJPjSE_EEENSF_IJSE_SE_EEES9_SG_JZNS1_25segmented_radix_sort_implINS0_14default_configELb1EPKlPlSM_SN_N2at6native12_GLOBAL__N_18offset_tEEE10hipError_tPvRmT1_PNSt15iterator_traitsISV_E10value_typeET2_T3_PNSW_IS11_E10value_typeET4_jRbjT5_S17_jjP12ihipStream_tbEUljE_EEESS_ST_SU_S11_S15_S17_T6_T7_T9_mT8_S19_bDpT10_ENKUlT_T0_E_clISt17integral_constantIbLb1EES1M_EEDaS1H_S1I_EUlS1H_E_NS1_11comp_targetILNS1_3genE0ELNS1_11target_archE4294967295ELNS1_3gpuE0ELNS1_3repE0EEENS1_30default_config_static_selectorELNS0_4arch9wavefront6targetE1EEEvSV_,comdat
.Lfunc_end680:
	.size	_ZN7rocprim17ROCPRIM_400000_NS6detail17trampoline_kernelINS0_13select_configILj256ELj13ELNS0_17block_load_methodE3ELS4_3ELS4_3ELNS0_20block_scan_algorithmE0ELj4294967295EEENS1_25partition_config_selectorILNS1_17partition_subalgoE3EjNS0_10empty_typeEbEEZZNS1_14partition_implILS8_3ELb0ES6_jNS0_17counting_iteratorIjlEEPS9_SE_NS0_5tupleIJPjSE_EEENSF_IJSE_SE_EEES9_SG_JZNS1_25segmented_radix_sort_implINS0_14default_configELb1EPKlPlSM_SN_N2at6native12_GLOBAL__N_18offset_tEEE10hipError_tPvRmT1_PNSt15iterator_traitsISV_E10value_typeET2_T3_PNSW_IS11_E10value_typeET4_jRbjT5_S17_jjP12ihipStream_tbEUljE_EEESS_ST_SU_S11_S15_S17_T6_T7_T9_mT8_S19_bDpT10_ENKUlT_T0_E_clISt17integral_constantIbLb1EES1M_EEDaS1H_S1I_EUlS1H_E_NS1_11comp_targetILNS1_3genE0ELNS1_11target_archE4294967295ELNS1_3gpuE0ELNS1_3repE0EEENS1_30default_config_static_selectorELNS0_4arch9wavefront6targetE1EEEvSV_, .Lfunc_end680-_ZN7rocprim17ROCPRIM_400000_NS6detail17trampoline_kernelINS0_13select_configILj256ELj13ELNS0_17block_load_methodE3ELS4_3ELS4_3ELNS0_20block_scan_algorithmE0ELj4294967295EEENS1_25partition_config_selectorILNS1_17partition_subalgoE3EjNS0_10empty_typeEbEEZZNS1_14partition_implILS8_3ELb0ES6_jNS0_17counting_iteratorIjlEEPS9_SE_NS0_5tupleIJPjSE_EEENSF_IJSE_SE_EEES9_SG_JZNS1_25segmented_radix_sort_implINS0_14default_configELb1EPKlPlSM_SN_N2at6native12_GLOBAL__N_18offset_tEEE10hipError_tPvRmT1_PNSt15iterator_traitsISV_E10value_typeET2_T3_PNSW_IS11_E10value_typeET4_jRbjT5_S17_jjP12ihipStream_tbEUljE_EEESS_ST_SU_S11_S15_S17_T6_T7_T9_mT8_S19_bDpT10_ENKUlT_T0_E_clISt17integral_constantIbLb1EES1M_EEDaS1H_S1I_EUlS1H_E_NS1_11comp_targetILNS1_3genE0ELNS1_11target_archE4294967295ELNS1_3gpuE0ELNS1_3repE0EEENS1_30default_config_static_selectorELNS0_4arch9wavefront6targetE1EEEvSV_
                                        ; -- End function
	.section	.AMDGPU.csdata,"",@progbits
; Kernel info:
; codeLenInByte = 0
; NumSgprs: 4
; NumVgprs: 0
; NumAgprs: 0
; TotalNumVgprs: 0
; ScratchSize: 0
; MemoryBound: 0
; FloatMode: 240
; IeeeMode: 1
; LDSByteSize: 0 bytes/workgroup (compile time only)
; SGPRBlocks: 0
; VGPRBlocks: 0
; NumSGPRsForWavesPerEU: 4
; NumVGPRsForWavesPerEU: 1
; AccumOffset: 4
; Occupancy: 8
; WaveLimiterHint : 0
; COMPUTE_PGM_RSRC2:SCRATCH_EN: 0
; COMPUTE_PGM_RSRC2:USER_SGPR: 6
; COMPUTE_PGM_RSRC2:TRAP_HANDLER: 0
; COMPUTE_PGM_RSRC2:TGID_X_EN: 1
; COMPUTE_PGM_RSRC2:TGID_Y_EN: 0
; COMPUTE_PGM_RSRC2:TGID_Z_EN: 0
; COMPUTE_PGM_RSRC2:TIDIG_COMP_CNT: 0
; COMPUTE_PGM_RSRC3_GFX90A:ACCUM_OFFSET: 0
; COMPUTE_PGM_RSRC3_GFX90A:TG_SPLIT: 0
	.section	.text._ZN7rocprim17ROCPRIM_400000_NS6detail17trampoline_kernelINS0_13select_configILj256ELj13ELNS0_17block_load_methodE3ELS4_3ELS4_3ELNS0_20block_scan_algorithmE0ELj4294967295EEENS1_25partition_config_selectorILNS1_17partition_subalgoE3EjNS0_10empty_typeEbEEZZNS1_14partition_implILS8_3ELb0ES6_jNS0_17counting_iteratorIjlEEPS9_SE_NS0_5tupleIJPjSE_EEENSF_IJSE_SE_EEES9_SG_JZNS1_25segmented_radix_sort_implINS0_14default_configELb1EPKlPlSM_SN_N2at6native12_GLOBAL__N_18offset_tEEE10hipError_tPvRmT1_PNSt15iterator_traitsISV_E10value_typeET2_T3_PNSW_IS11_E10value_typeET4_jRbjT5_S17_jjP12ihipStream_tbEUljE_EEESS_ST_SU_S11_S15_S17_T6_T7_T9_mT8_S19_bDpT10_ENKUlT_T0_E_clISt17integral_constantIbLb1EES1M_EEDaS1H_S1I_EUlS1H_E_NS1_11comp_targetILNS1_3genE5ELNS1_11target_archE942ELNS1_3gpuE9ELNS1_3repE0EEENS1_30default_config_static_selectorELNS0_4arch9wavefront6targetE1EEEvSV_,"axG",@progbits,_ZN7rocprim17ROCPRIM_400000_NS6detail17trampoline_kernelINS0_13select_configILj256ELj13ELNS0_17block_load_methodE3ELS4_3ELS4_3ELNS0_20block_scan_algorithmE0ELj4294967295EEENS1_25partition_config_selectorILNS1_17partition_subalgoE3EjNS0_10empty_typeEbEEZZNS1_14partition_implILS8_3ELb0ES6_jNS0_17counting_iteratorIjlEEPS9_SE_NS0_5tupleIJPjSE_EEENSF_IJSE_SE_EEES9_SG_JZNS1_25segmented_radix_sort_implINS0_14default_configELb1EPKlPlSM_SN_N2at6native12_GLOBAL__N_18offset_tEEE10hipError_tPvRmT1_PNSt15iterator_traitsISV_E10value_typeET2_T3_PNSW_IS11_E10value_typeET4_jRbjT5_S17_jjP12ihipStream_tbEUljE_EEESS_ST_SU_S11_S15_S17_T6_T7_T9_mT8_S19_bDpT10_ENKUlT_T0_E_clISt17integral_constantIbLb1EES1M_EEDaS1H_S1I_EUlS1H_E_NS1_11comp_targetILNS1_3genE5ELNS1_11target_archE942ELNS1_3gpuE9ELNS1_3repE0EEENS1_30default_config_static_selectorELNS0_4arch9wavefront6targetE1EEEvSV_,comdat
	.globl	_ZN7rocprim17ROCPRIM_400000_NS6detail17trampoline_kernelINS0_13select_configILj256ELj13ELNS0_17block_load_methodE3ELS4_3ELS4_3ELNS0_20block_scan_algorithmE0ELj4294967295EEENS1_25partition_config_selectorILNS1_17partition_subalgoE3EjNS0_10empty_typeEbEEZZNS1_14partition_implILS8_3ELb0ES6_jNS0_17counting_iteratorIjlEEPS9_SE_NS0_5tupleIJPjSE_EEENSF_IJSE_SE_EEES9_SG_JZNS1_25segmented_radix_sort_implINS0_14default_configELb1EPKlPlSM_SN_N2at6native12_GLOBAL__N_18offset_tEEE10hipError_tPvRmT1_PNSt15iterator_traitsISV_E10value_typeET2_T3_PNSW_IS11_E10value_typeET4_jRbjT5_S17_jjP12ihipStream_tbEUljE_EEESS_ST_SU_S11_S15_S17_T6_T7_T9_mT8_S19_bDpT10_ENKUlT_T0_E_clISt17integral_constantIbLb1EES1M_EEDaS1H_S1I_EUlS1H_E_NS1_11comp_targetILNS1_3genE5ELNS1_11target_archE942ELNS1_3gpuE9ELNS1_3repE0EEENS1_30default_config_static_selectorELNS0_4arch9wavefront6targetE1EEEvSV_ ; -- Begin function _ZN7rocprim17ROCPRIM_400000_NS6detail17trampoline_kernelINS0_13select_configILj256ELj13ELNS0_17block_load_methodE3ELS4_3ELS4_3ELNS0_20block_scan_algorithmE0ELj4294967295EEENS1_25partition_config_selectorILNS1_17partition_subalgoE3EjNS0_10empty_typeEbEEZZNS1_14partition_implILS8_3ELb0ES6_jNS0_17counting_iteratorIjlEEPS9_SE_NS0_5tupleIJPjSE_EEENSF_IJSE_SE_EEES9_SG_JZNS1_25segmented_radix_sort_implINS0_14default_configELb1EPKlPlSM_SN_N2at6native12_GLOBAL__N_18offset_tEEE10hipError_tPvRmT1_PNSt15iterator_traitsISV_E10value_typeET2_T3_PNSW_IS11_E10value_typeET4_jRbjT5_S17_jjP12ihipStream_tbEUljE_EEESS_ST_SU_S11_S15_S17_T6_T7_T9_mT8_S19_bDpT10_ENKUlT_T0_E_clISt17integral_constantIbLb1EES1M_EEDaS1H_S1I_EUlS1H_E_NS1_11comp_targetILNS1_3genE5ELNS1_11target_archE942ELNS1_3gpuE9ELNS1_3repE0EEENS1_30default_config_static_selectorELNS0_4arch9wavefront6targetE1EEEvSV_
	.p2align	8
	.type	_ZN7rocprim17ROCPRIM_400000_NS6detail17trampoline_kernelINS0_13select_configILj256ELj13ELNS0_17block_load_methodE3ELS4_3ELS4_3ELNS0_20block_scan_algorithmE0ELj4294967295EEENS1_25partition_config_selectorILNS1_17partition_subalgoE3EjNS0_10empty_typeEbEEZZNS1_14partition_implILS8_3ELb0ES6_jNS0_17counting_iteratorIjlEEPS9_SE_NS0_5tupleIJPjSE_EEENSF_IJSE_SE_EEES9_SG_JZNS1_25segmented_radix_sort_implINS0_14default_configELb1EPKlPlSM_SN_N2at6native12_GLOBAL__N_18offset_tEEE10hipError_tPvRmT1_PNSt15iterator_traitsISV_E10value_typeET2_T3_PNSW_IS11_E10value_typeET4_jRbjT5_S17_jjP12ihipStream_tbEUljE_EEESS_ST_SU_S11_S15_S17_T6_T7_T9_mT8_S19_bDpT10_ENKUlT_T0_E_clISt17integral_constantIbLb1EES1M_EEDaS1H_S1I_EUlS1H_E_NS1_11comp_targetILNS1_3genE5ELNS1_11target_archE942ELNS1_3gpuE9ELNS1_3repE0EEENS1_30default_config_static_selectorELNS0_4arch9wavefront6targetE1EEEvSV_,@function
_ZN7rocprim17ROCPRIM_400000_NS6detail17trampoline_kernelINS0_13select_configILj256ELj13ELNS0_17block_load_methodE3ELS4_3ELS4_3ELNS0_20block_scan_algorithmE0ELj4294967295EEENS1_25partition_config_selectorILNS1_17partition_subalgoE3EjNS0_10empty_typeEbEEZZNS1_14partition_implILS8_3ELb0ES6_jNS0_17counting_iteratorIjlEEPS9_SE_NS0_5tupleIJPjSE_EEENSF_IJSE_SE_EEES9_SG_JZNS1_25segmented_radix_sort_implINS0_14default_configELb1EPKlPlSM_SN_N2at6native12_GLOBAL__N_18offset_tEEE10hipError_tPvRmT1_PNSt15iterator_traitsISV_E10value_typeET2_T3_PNSW_IS11_E10value_typeET4_jRbjT5_S17_jjP12ihipStream_tbEUljE_EEESS_ST_SU_S11_S15_S17_T6_T7_T9_mT8_S19_bDpT10_ENKUlT_T0_E_clISt17integral_constantIbLb1EES1M_EEDaS1H_S1I_EUlS1H_E_NS1_11comp_targetILNS1_3genE5ELNS1_11target_archE942ELNS1_3gpuE9ELNS1_3repE0EEENS1_30default_config_static_selectorELNS0_4arch9wavefront6targetE1EEEvSV_: ; @_ZN7rocprim17ROCPRIM_400000_NS6detail17trampoline_kernelINS0_13select_configILj256ELj13ELNS0_17block_load_methodE3ELS4_3ELS4_3ELNS0_20block_scan_algorithmE0ELj4294967295EEENS1_25partition_config_selectorILNS1_17partition_subalgoE3EjNS0_10empty_typeEbEEZZNS1_14partition_implILS8_3ELb0ES6_jNS0_17counting_iteratorIjlEEPS9_SE_NS0_5tupleIJPjSE_EEENSF_IJSE_SE_EEES9_SG_JZNS1_25segmented_radix_sort_implINS0_14default_configELb1EPKlPlSM_SN_N2at6native12_GLOBAL__N_18offset_tEEE10hipError_tPvRmT1_PNSt15iterator_traitsISV_E10value_typeET2_T3_PNSW_IS11_E10value_typeET4_jRbjT5_S17_jjP12ihipStream_tbEUljE_EEESS_ST_SU_S11_S15_S17_T6_T7_T9_mT8_S19_bDpT10_ENKUlT_T0_E_clISt17integral_constantIbLb1EES1M_EEDaS1H_S1I_EUlS1H_E_NS1_11comp_targetILNS1_3genE5ELNS1_11target_archE942ELNS1_3gpuE9ELNS1_3repE0EEENS1_30default_config_static_selectorELNS0_4arch9wavefront6targetE1EEEvSV_
; %bb.0:
	.section	.rodata,"a",@progbits
	.p2align	6, 0x0
	.amdhsa_kernel _ZN7rocprim17ROCPRIM_400000_NS6detail17trampoline_kernelINS0_13select_configILj256ELj13ELNS0_17block_load_methodE3ELS4_3ELS4_3ELNS0_20block_scan_algorithmE0ELj4294967295EEENS1_25partition_config_selectorILNS1_17partition_subalgoE3EjNS0_10empty_typeEbEEZZNS1_14partition_implILS8_3ELb0ES6_jNS0_17counting_iteratorIjlEEPS9_SE_NS0_5tupleIJPjSE_EEENSF_IJSE_SE_EEES9_SG_JZNS1_25segmented_radix_sort_implINS0_14default_configELb1EPKlPlSM_SN_N2at6native12_GLOBAL__N_18offset_tEEE10hipError_tPvRmT1_PNSt15iterator_traitsISV_E10value_typeET2_T3_PNSW_IS11_E10value_typeET4_jRbjT5_S17_jjP12ihipStream_tbEUljE_EEESS_ST_SU_S11_S15_S17_T6_T7_T9_mT8_S19_bDpT10_ENKUlT_T0_E_clISt17integral_constantIbLb1EES1M_EEDaS1H_S1I_EUlS1H_E_NS1_11comp_targetILNS1_3genE5ELNS1_11target_archE942ELNS1_3gpuE9ELNS1_3repE0EEENS1_30default_config_static_selectorELNS0_4arch9wavefront6targetE1EEEvSV_
		.amdhsa_group_segment_fixed_size 0
		.amdhsa_private_segment_fixed_size 0
		.amdhsa_kernarg_size 152
		.amdhsa_user_sgpr_count 6
		.amdhsa_user_sgpr_private_segment_buffer 1
		.amdhsa_user_sgpr_dispatch_ptr 0
		.amdhsa_user_sgpr_queue_ptr 0
		.amdhsa_user_sgpr_kernarg_segment_ptr 1
		.amdhsa_user_sgpr_dispatch_id 0
		.amdhsa_user_sgpr_flat_scratch_init 0
		.amdhsa_user_sgpr_kernarg_preload_length 0
		.amdhsa_user_sgpr_kernarg_preload_offset 0
		.amdhsa_user_sgpr_private_segment_size 0
		.amdhsa_uses_dynamic_stack 0
		.amdhsa_system_sgpr_private_segment_wavefront_offset 0
		.amdhsa_system_sgpr_workgroup_id_x 1
		.amdhsa_system_sgpr_workgroup_id_y 0
		.amdhsa_system_sgpr_workgroup_id_z 0
		.amdhsa_system_sgpr_workgroup_info 0
		.amdhsa_system_vgpr_workitem_id 0
		.amdhsa_next_free_vgpr 1
		.amdhsa_next_free_sgpr 0
		.amdhsa_accum_offset 4
		.amdhsa_reserve_vcc 0
		.amdhsa_reserve_flat_scratch 0
		.amdhsa_float_round_mode_32 0
		.amdhsa_float_round_mode_16_64 0
		.amdhsa_float_denorm_mode_32 3
		.amdhsa_float_denorm_mode_16_64 3
		.amdhsa_dx10_clamp 1
		.amdhsa_ieee_mode 1
		.amdhsa_fp16_overflow 0
		.amdhsa_tg_split 0
		.amdhsa_exception_fp_ieee_invalid_op 0
		.amdhsa_exception_fp_denorm_src 0
		.amdhsa_exception_fp_ieee_div_zero 0
		.amdhsa_exception_fp_ieee_overflow 0
		.amdhsa_exception_fp_ieee_underflow 0
		.amdhsa_exception_fp_ieee_inexact 0
		.amdhsa_exception_int_div_zero 0
	.end_amdhsa_kernel
	.section	.text._ZN7rocprim17ROCPRIM_400000_NS6detail17trampoline_kernelINS0_13select_configILj256ELj13ELNS0_17block_load_methodE3ELS4_3ELS4_3ELNS0_20block_scan_algorithmE0ELj4294967295EEENS1_25partition_config_selectorILNS1_17partition_subalgoE3EjNS0_10empty_typeEbEEZZNS1_14partition_implILS8_3ELb0ES6_jNS0_17counting_iteratorIjlEEPS9_SE_NS0_5tupleIJPjSE_EEENSF_IJSE_SE_EEES9_SG_JZNS1_25segmented_radix_sort_implINS0_14default_configELb1EPKlPlSM_SN_N2at6native12_GLOBAL__N_18offset_tEEE10hipError_tPvRmT1_PNSt15iterator_traitsISV_E10value_typeET2_T3_PNSW_IS11_E10value_typeET4_jRbjT5_S17_jjP12ihipStream_tbEUljE_EEESS_ST_SU_S11_S15_S17_T6_T7_T9_mT8_S19_bDpT10_ENKUlT_T0_E_clISt17integral_constantIbLb1EES1M_EEDaS1H_S1I_EUlS1H_E_NS1_11comp_targetILNS1_3genE5ELNS1_11target_archE942ELNS1_3gpuE9ELNS1_3repE0EEENS1_30default_config_static_selectorELNS0_4arch9wavefront6targetE1EEEvSV_,"axG",@progbits,_ZN7rocprim17ROCPRIM_400000_NS6detail17trampoline_kernelINS0_13select_configILj256ELj13ELNS0_17block_load_methodE3ELS4_3ELS4_3ELNS0_20block_scan_algorithmE0ELj4294967295EEENS1_25partition_config_selectorILNS1_17partition_subalgoE3EjNS0_10empty_typeEbEEZZNS1_14partition_implILS8_3ELb0ES6_jNS0_17counting_iteratorIjlEEPS9_SE_NS0_5tupleIJPjSE_EEENSF_IJSE_SE_EEES9_SG_JZNS1_25segmented_radix_sort_implINS0_14default_configELb1EPKlPlSM_SN_N2at6native12_GLOBAL__N_18offset_tEEE10hipError_tPvRmT1_PNSt15iterator_traitsISV_E10value_typeET2_T3_PNSW_IS11_E10value_typeET4_jRbjT5_S17_jjP12ihipStream_tbEUljE_EEESS_ST_SU_S11_S15_S17_T6_T7_T9_mT8_S19_bDpT10_ENKUlT_T0_E_clISt17integral_constantIbLb1EES1M_EEDaS1H_S1I_EUlS1H_E_NS1_11comp_targetILNS1_3genE5ELNS1_11target_archE942ELNS1_3gpuE9ELNS1_3repE0EEENS1_30default_config_static_selectorELNS0_4arch9wavefront6targetE1EEEvSV_,comdat
.Lfunc_end681:
	.size	_ZN7rocprim17ROCPRIM_400000_NS6detail17trampoline_kernelINS0_13select_configILj256ELj13ELNS0_17block_load_methodE3ELS4_3ELS4_3ELNS0_20block_scan_algorithmE0ELj4294967295EEENS1_25partition_config_selectorILNS1_17partition_subalgoE3EjNS0_10empty_typeEbEEZZNS1_14partition_implILS8_3ELb0ES6_jNS0_17counting_iteratorIjlEEPS9_SE_NS0_5tupleIJPjSE_EEENSF_IJSE_SE_EEES9_SG_JZNS1_25segmented_radix_sort_implINS0_14default_configELb1EPKlPlSM_SN_N2at6native12_GLOBAL__N_18offset_tEEE10hipError_tPvRmT1_PNSt15iterator_traitsISV_E10value_typeET2_T3_PNSW_IS11_E10value_typeET4_jRbjT5_S17_jjP12ihipStream_tbEUljE_EEESS_ST_SU_S11_S15_S17_T6_T7_T9_mT8_S19_bDpT10_ENKUlT_T0_E_clISt17integral_constantIbLb1EES1M_EEDaS1H_S1I_EUlS1H_E_NS1_11comp_targetILNS1_3genE5ELNS1_11target_archE942ELNS1_3gpuE9ELNS1_3repE0EEENS1_30default_config_static_selectorELNS0_4arch9wavefront6targetE1EEEvSV_, .Lfunc_end681-_ZN7rocprim17ROCPRIM_400000_NS6detail17trampoline_kernelINS0_13select_configILj256ELj13ELNS0_17block_load_methodE3ELS4_3ELS4_3ELNS0_20block_scan_algorithmE0ELj4294967295EEENS1_25partition_config_selectorILNS1_17partition_subalgoE3EjNS0_10empty_typeEbEEZZNS1_14partition_implILS8_3ELb0ES6_jNS0_17counting_iteratorIjlEEPS9_SE_NS0_5tupleIJPjSE_EEENSF_IJSE_SE_EEES9_SG_JZNS1_25segmented_radix_sort_implINS0_14default_configELb1EPKlPlSM_SN_N2at6native12_GLOBAL__N_18offset_tEEE10hipError_tPvRmT1_PNSt15iterator_traitsISV_E10value_typeET2_T3_PNSW_IS11_E10value_typeET4_jRbjT5_S17_jjP12ihipStream_tbEUljE_EEESS_ST_SU_S11_S15_S17_T6_T7_T9_mT8_S19_bDpT10_ENKUlT_T0_E_clISt17integral_constantIbLb1EES1M_EEDaS1H_S1I_EUlS1H_E_NS1_11comp_targetILNS1_3genE5ELNS1_11target_archE942ELNS1_3gpuE9ELNS1_3repE0EEENS1_30default_config_static_selectorELNS0_4arch9wavefront6targetE1EEEvSV_
                                        ; -- End function
	.section	.AMDGPU.csdata,"",@progbits
; Kernel info:
; codeLenInByte = 0
; NumSgprs: 4
; NumVgprs: 0
; NumAgprs: 0
; TotalNumVgprs: 0
; ScratchSize: 0
; MemoryBound: 0
; FloatMode: 240
; IeeeMode: 1
; LDSByteSize: 0 bytes/workgroup (compile time only)
; SGPRBlocks: 0
; VGPRBlocks: 0
; NumSGPRsForWavesPerEU: 4
; NumVGPRsForWavesPerEU: 1
; AccumOffset: 4
; Occupancy: 8
; WaveLimiterHint : 0
; COMPUTE_PGM_RSRC2:SCRATCH_EN: 0
; COMPUTE_PGM_RSRC2:USER_SGPR: 6
; COMPUTE_PGM_RSRC2:TRAP_HANDLER: 0
; COMPUTE_PGM_RSRC2:TGID_X_EN: 1
; COMPUTE_PGM_RSRC2:TGID_Y_EN: 0
; COMPUTE_PGM_RSRC2:TGID_Z_EN: 0
; COMPUTE_PGM_RSRC2:TIDIG_COMP_CNT: 0
; COMPUTE_PGM_RSRC3_GFX90A:ACCUM_OFFSET: 0
; COMPUTE_PGM_RSRC3_GFX90A:TG_SPLIT: 0
	.section	.text._ZN7rocprim17ROCPRIM_400000_NS6detail17trampoline_kernelINS0_13select_configILj256ELj13ELNS0_17block_load_methodE3ELS4_3ELS4_3ELNS0_20block_scan_algorithmE0ELj4294967295EEENS1_25partition_config_selectorILNS1_17partition_subalgoE3EjNS0_10empty_typeEbEEZZNS1_14partition_implILS8_3ELb0ES6_jNS0_17counting_iteratorIjlEEPS9_SE_NS0_5tupleIJPjSE_EEENSF_IJSE_SE_EEES9_SG_JZNS1_25segmented_radix_sort_implINS0_14default_configELb1EPKlPlSM_SN_N2at6native12_GLOBAL__N_18offset_tEEE10hipError_tPvRmT1_PNSt15iterator_traitsISV_E10value_typeET2_T3_PNSW_IS11_E10value_typeET4_jRbjT5_S17_jjP12ihipStream_tbEUljE_EEESS_ST_SU_S11_S15_S17_T6_T7_T9_mT8_S19_bDpT10_ENKUlT_T0_E_clISt17integral_constantIbLb1EES1M_EEDaS1H_S1I_EUlS1H_E_NS1_11comp_targetILNS1_3genE4ELNS1_11target_archE910ELNS1_3gpuE8ELNS1_3repE0EEENS1_30default_config_static_selectorELNS0_4arch9wavefront6targetE1EEEvSV_,"axG",@progbits,_ZN7rocprim17ROCPRIM_400000_NS6detail17trampoline_kernelINS0_13select_configILj256ELj13ELNS0_17block_load_methodE3ELS4_3ELS4_3ELNS0_20block_scan_algorithmE0ELj4294967295EEENS1_25partition_config_selectorILNS1_17partition_subalgoE3EjNS0_10empty_typeEbEEZZNS1_14partition_implILS8_3ELb0ES6_jNS0_17counting_iteratorIjlEEPS9_SE_NS0_5tupleIJPjSE_EEENSF_IJSE_SE_EEES9_SG_JZNS1_25segmented_radix_sort_implINS0_14default_configELb1EPKlPlSM_SN_N2at6native12_GLOBAL__N_18offset_tEEE10hipError_tPvRmT1_PNSt15iterator_traitsISV_E10value_typeET2_T3_PNSW_IS11_E10value_typeET4_jRbjT5_S17_jjP12ihipStream_tbEUljE_EEESS_ST_SU_S11_S15_S17_T6_T7_T9_mT8_S19_bDpT10_ENKUlT_T0_E_clISt17integral_constantIbLb1EES1M_EEDaS1H_S1I_EUlS1H_E_NS1_11comp_targetILNS1_3genE4ELNS1_11target_archE910ELNS1_3gpuE8ELNS1_3repE0EEENS1_30default_config_static_selectorELNS0_4arch9wavefront6targetE1EEEvSV_,comdat
	.globl	_ZN7rocprim17ROCPRIM_400000_NS6detail17trampoline_kernelINS0_13select_configILj256ELj13ELNS0_17block_load_methodE3ELS4_3ELS4_3ELNS0_20block_scan_algorithmE0ELj4294967295EEENS1_25partition_config_selectorILNS1_17partition_subalgoE3EjNS0_10empty_typeEbEEZZNS1_14partition_implILS8_3ELb0ES6_jNS0_17counting_iteratorIjlEEPS9_SE_NS0_5tupleIJPjSE_EEENSF_IJSE_SE_EEES9_SG_JZNS1_25segmented_radix_sort_implINS0_14default_configELb1EPKlPlSM_SN_N2at6native12_GLOBAL__N_18offset_tEEE10hipError_tPvRmT1_PNSt15iterator_traitsISV_E10value_typeET2_T3_PNSW_IS11_E10value_typeET4_jRbjT5_S17_jjP12ihipStream_tbEUljE_EEESS_ST_SU_S11_S15_S17_T6_T7_T9_mT8_S19_bDpT10_ENKUlT_T0_E_clISt17integral_constantIbLb1EES1M_EEDaS1H_S1I_EUlS1H_E_NS1_11comp_targetILNS1_3genE4ELNS1_11target_archE910ELNS1_3gpuE8ELNS1_3repE0EEENS1_30default_config_static_selectorELNS0_4arch9wavefront6targetE1EEEvSV_ ; -- Begin function _ZN7rocprim17ROCPRIM_400000_NS6detail17trampoline_kernelINS0_13select_configILj256ELj13ELNS0_17block_load_methodE3ELS4_3ELS4_3ELNS0_20block_scan_algorithmE0ELj4294967295EEENS1_25partition_config_selectorILNS1_17partition_subalgoE3EjNS0_10empty_typeEbEEZZNS1_14partition_implILS8_3ELb0ES6_jNS0_17counting_iteratorIjlEEPS9_SE_NS0_5tupleIJPjSE_EEENSF_IJSE_SE_EEES9_SG_JZNS1_25segmented_radix_sort_implINS0_14default_configELb1EPKlPlSM_SN_N2at6native12_GLOBAL__N_18offset_tEEE10hipError_tPvRmT1_PNSt15iterator_traitsISV_E10value_typeET2_T3_PNSW_IS11_E10value_typeET4_jRbjT5_S17_jjP12ihipStream_tbEUljE_EEESS_ST_SU_S11_S15_S17_T6_T7_T9_mT8_S19_bDpT10_ENKUlT_T0_E_clISt17integral_constantIbLb1EES1M_EEDaS1H_S1I_EUlS1H_E_NS1_11comp_targetILNS1_3genE4ELNS1_11target_archE910ELNS1_3gpuE8ELNS1_3repE0EEENS1_30default_config_static_selectorELNS0_4arch9wavefront6targetE1EEEvSV_
	.p2align	8
	.type	_ZN7rocprim17ROCPRIM_400000_NS6detail17trampoline_kernelINS0_13select_configILj256ELj13ELNS0_17block_load_methodE3ELS4_3ELS4_3ELNS0_20block_scan_algorithmE0ELj4294967295EEENS1_25partition_config_selectorILNS1_17partition_subalgoE3EjNS0_10empty_typeEbEEZZNS1_14partition_implILS8_3ELb0ES6_jNS0_17counting_iteratorIjlEEPS9_SE_NS0_5tupleIJPjSE_EEENSF_IJSE_SE_EEES9_SG_JZNS1_25segmented_radix_sort_implINS0_14default_configELb1EPKlPlSM_SN_N2at6native12_GLOBAL__N_18offset_tEEE10hipError_tPvRmT1_PNSt15iterator_traitsISV_E10value_typeET2_T3_PNSW_IS11_E10value_typeET4_jRbjT5_S17_jjP12ihipStream_tbEUljE_EEESS_ST_SU_S11_S15_S17_T6_T7_T9_mT8_S19_bDpT10_ENKUlT_T0_E_clISt17integral_constantIbLb1EES1M_EEDaS1H_S1I_EUlS1H_E_NS1_11comp_targetILNS1_3genE4ELNS1_11target_archE910ELNS1_3gpuE8ELNS1_3repE0EEENS1_30default_config_static_selectorELNS0_4arch9wavefront6targetE1EEEvSV_,@function
_ZN7rocprim17ROCPRIM_400000_NS6detail17trampoline_kernelINS0_13select_configILj256ELj13ELNS0_17block_load_methodE3ELS4_3ELS4_3ELNS0_20block_scan_algorithmE0ELj4294967295EEENS1_25partition_config_selectorILNS1_17partition_subalgoE3EjNS0_10empty_typeEbEEZZNS1_14partition_implILS8_3ELb0ES6_jNS0_17counting_iteratorIjlEEPS9_SE_NS0_5tupleIJPjSE_EEENSF_IJSE_SE_EEES9_SG_JZNS1_25segmented_radix_sort_implINS0_14default_configELb1EPKlPlSM_SN_N2at6native12_GLOBAL__N_18offset_tEEE10hipError_tPvRmT1_PNSt15iterator_traitsISV_E10value_typeET2_T3_PNSW_IS11_E10value_typeET4_jRbjT5_S17_jjP12ihipStream_tbEUljE_EEESS_ST_SU_S11_S15_S17_T6_T7_T9_mT8_S19_bDpT10_ENKUlT_T0_E_clISt17integral_constantIbLb1EES1M_EEDaS1H_S1I_EUlS1H_E_NS1_11comp_targetILNS1_3genE4ELNS1_11target_archE910ELNS1_3gpuE8ELNS1_3repE0EEENS1_30default_config_static_selectorELNS0_4arch9wavefront6targetE1EEEvSV_: ; @_ZN7rocprim17ROCPRIM_400000_NS6detail17trampoline_kernelINS0_13select_configILj256ELj13ELNS0_17block_load_methodE3ELS4_3ELS4_3ELNS0_20block_scan_algorithmE0ELj4294967295EEENS1_25partition_config_selectorILNS1_17partition_subalgoE3EjNS0_10empty_typeEbEEZZNS1_14partition_implILS8_3ELb0ES6_jNS0_17counting_iteratorIjlEEPS9_SE_NS0_5tupleIJPjSE_EEENSF_IJSE_SE_EEES9_SG_JZNS1_25segmented_radix_sort_implINS0_14default_configELb1EPKlPlSM_SN_N2at6native12_GLOBAL__N_18offset_tEEE10hipError_tPvRmT1_PNSt15iterator_traitsISV_E10value_typeET2_T3_PNSW_IS11_E10value_typeET4_jRbjT5_S17_jjP12ihipStream_tbEUljE_EEESS_ST_SU_S11_S15_S17_T6_T7_T9_mT8_S19_bDpT10_ENKUlT_T0_E_clISt17integral_constantIbLb1EES1M_EEDaS1H_S1I_EUlS1H_E_NS1_11comp_targetILNS1_3genE4ELNS1_11target_archE910ELNS1_3gpuE8ELNS1_3repE0EEENS1_30default_config_static_selectorELNS0_4arch9wavefront6targetE1EEEvSV_
; %bb.0:
	s_load_dwordx2 s[28:29], s[4:5], 0x10
	s_load_dwordx2 s[24:25], s[4:5], 0x28
	s_load_dwordx2 s[26:27], s[4:5], 0x58
	s_load_dwordx4 s[20:23], s[4:5], 0x48
	s_load_dword s14, s[4:5], 0x90
	s_load_dwordx2 s[30:31], s[4:5], 0x68
	s_load_dwordx4 s[8:11], s[4:5], 0x80
	v_cmp_eq_u32_e64 s[0:1], 0, v0
	s_and_saveexec_b64 s[2:3], s[0:1]
	s_cbranch_execz .LBB682_4
; %bb.1:
	s_mov_b64 s[12:13], exec
	v_mbcnt_lo_u32_b32 v1, s12, 0
	v_mbcnt_hi_u32_b32 v1, s13, v1
	v_cmp_eq_u32_e32 vcc, 0, v1
                                        ; implicit-def: $vgpr2
	s_and_saveexec_b64 s[6:7], vcc
	s_cbranch_execz .LBB682_3
; %bb.2:
	s_load_dwordx2 s[16:17], s[4:5], 0x78
	s_bcnt1_i32_b64 s12, s[12:13]
	v_mov_b32_e32 v2, 0
	v_mov_b32_e32 v3, s12
	s_waitcnt lgkmcnt(0)
	global_atomic_add v2, v2, v3, s[16:17] glc
.LBB682_3:
	s_or_b64 exec, exec, s[6:7]
	s_waitcnt vmcnt(0)
	v_readfirstlane_b32 s6, v2
	v_add_u32_e32 v1, s6, v1
	v_mov_b32_e32 v2, 0
	ds_write_b32 v2, v1
.LBB682_4:
	s_or_b64 exec, exec, s[2:3]
	v_mov_b32_e32 v1, 0
	s_load_dword s2, s[4:5], 0x8
	s_load_dword s6, s[4:5], 0x70
	s_waitcnt lgkmcnt(0)
	s_barrier
	ds_read_b32 v2, v1
	s_waitcnt lgkmcnt(0)
	s_barrier
	global_load_dwordx2 v[20:21], v1, s[22:23]
	s_add_i32 s7, s2, s28
	s_movk_i32 s2, 0xd00
	s_add_i32 s4, s6, -1
	s_mulk_i32 s6, 0xd00
	v_mul_lo_u32 v1, v2, s2
	s_add_u32 s2, s28, s6
	v_readfirstlane_b32 s40, v2
	s_addc_u32 s3, s29, 0
	s_cmp_eq_u32 s40, s4
	v_pk_mov_b32 v[2:3], s[26:27], s[26:27] op_sel:[0,1]
	s_cselect_b64 s[22:23], -1, 0
	s_cmp_lg_u32 s40, s4
	v_cmp_lt_u64_e32 vcc, s[2:3], v[2:3]
	s_cselect_b64 s[2:3], -1, 0
	s_or_b64 s[4:5], vcc, s[2:3]
	v_add_u32_e32 v2, s7, v1
	s_mov_b64 s[2:3], -1
	s_and_b64 vcc, exec, s[4:5]
	v_add_u32_e32 v2, v2, v0
	v_lshlrev_b32_e32 v34, 2, v0
	s_cbranch_vccz .LBB682_6
; %bb.5:
	v_add_u32_e32 v3, 0x100, v2
	v_add_u32_e32 v4, 0x200, v2
	;; [unrolled: 1-line block ×12, first 2 shown]
	ds_write2st64_b32 v34, v2, v3 offset1:4
	ds_write2st64_b32 v34, v4, v5 offset0:8 offset1:12
	ds_write2st64_b32 v34, v6, v7 offset0:16 offset1:20
	;; [unrolled: 1-line block ×5, first 2 shown]
	ds_write_b32 v34, v14 offset:12288
	s_waitcnt lgkmcnt(0)
	s_barrier
	s_mov_b64 s[2:3], 0
.LBB682_6:
	s_andn2_b64 vcc, exec, s[2:3]
	s_add_i32 s6, s6, s28
	s_cbranch_vccnz .LBB682_8
; %bb.7:
	v_add_u32_e32 v3, 0x100, v2
	v_add_u32_e32 v4, 0x200, v2
	;; [unrolled: 1-line block ×12, first 2 shown]
	ds_write2st64_b32 v34, v2, v3 offset1:4
	ds_write2st64_b32 v34, v4, v5 offset0:8 offset1:12
	ds_write2st64_b32 v34, v6, v7 offset0:16 offset1:20
	;; [unrolled: 1-line block ×5, first 2 shown]
	ds_write_b32 v34, v14 offset:12288
	s_waitcnt lgkmcnt(0)
	s_barrier
.LBB682_8:
	v_mul_u32_u24_e32 v36, 13, v0
	v_lshlrev_b32_e32 v2, 2, v36
	ds_read2_b32 v[32:33], v2 offset1:1
	ds_read2_b32 v[30:31], v2 offset0:2 offset1:3
	ds_read2_b32 v[28:29], v2 offset0:4 offset1:5
	;; [unrolled: 1-line block ×5, first 2 shown]
	ds_read_b32 v35, v2 offset:48
	v_cndmask_b32_e64 v2, 0, 1, s[4:5]
	s_sub_i32 s33, s26, s6
	v_cmp_ne_u32_e64 s[2:3], 1, v2
	s_andn2_b64 vcc, exec, s[4:5]
	s_waitcnt lgkmcnt(0)
	s_barrier
	s_cbranch_vccnz .LBB682_10
; %bb.9:
	v_add_u32_e32 v2, s9, v32
	v_add_u32_e32 v3, s11, v32
	v_mul_lo_u32 v2, v2, s8
	v_mul_lo_u32 v3, v3, s10
	v_sub_u32_e32 v2, v2, v3
	v_add_u32_e32 v3, s9, v33
	v_add_u32_e32 v4, s11, v33
	v_mul_lo_u32 v3, v3, s8
	v_mul_lo_u32 v4, v4, s10
	v_sub_u32_e32 v3, v3, v4
	;; [unrolled: 5-line block ×6, first 2 shown]
	v_add_u32_e32 v8, s9, v26
	v_add_u32_e32 v9, s11, v26
	v_mul_lo_u32 v8, v8, s8
	v_mul_lo_u32 v9, v9, s10
	v_cmp_lt_u32_e32 vcc, s14, v2
	v_sub_u32_e32 v8, v8, v9
	v_add_u32_e32 v9, s9, v27
	v_add_u32_e32 v10, s11, v27
	v_cndmask_b32_e64 v2, 0, 1, vcc
	v_cmp_lt_u32_e32 vcc, s14, v3
	v_mul_lo_u32 v9, v9, s8
	v_mul_lo_u32 v10, v10, s10
	v_cndmask_b32_e64 v3, 0, 1, vcc
	v_cmp_lt_u32_e32 vcc, s14, v4
	v_sub_u32_e32 v9, v9, v10
	v_add_u32_e32 v10, s9, v24
	v_add_u32_e32 v11, s11, v24
	v_cndmask_b32_e64 v4, 0, 1, vcc
	v_cmp_lt_u32_e32 vcc, s14, v5
	v_mul_lo_u32 v10, v10, s8
	v_mul_lo_u32 v11, v11, s10
	v_cndmask_b32_e64 v5, 0, 1, vcc
	v_cmp_lt_u32_e32 vcc, s14, v6
	v_sub_u32_e32 v10, v10, v11
	v_add_u32_e32 v11, s9, v25
	v_add_u32_e32 v12, s11, v25
	v_cndmask_b32_e64 v6, 0, 1, vcc
	v_cmp_lt_u32_e32 vcc, s14, v7
	v_mul_lo_u32 v11, v11, s8
	v_mul_lo_u32 v12, v12, s10
	v_cndmask_b32_e64 v7, 0, 1, vcc
	v_cmp_lt_u32_e32 vcc, s14, v8
	v_sub_u32_e32 v11, v11, v12
	v_add_u32_e32 v12, s9, v22
	v_add_u32_e32 v13, s11, v22
	v_cndmask_b32_e64 v8, 0, 1, vcc
	v_cmp_lt_u32_e32 vcc, s14, v9
	v_mul_lo_u32 v12, v12, s8
	v_mul_lo_u32 v13, v13, s10
	v_cndmask_b32_e64 v9, 0, 1, vcc
	v_cmp_lt_u32_e32 vcc, s14, v10
	v_sub_u32_e32 v12, v12, v13
	v_add_u32_e32 v13, s9, v23
	v_add_u32_e32 v14, s11, v23
	v_lshlrev_b16_e32 v3, 8, v3
	v_cndmask_b32_e64 v10, 0, 1, vcc
	v_cmp_lt_u32_e32 vcc, s14, v11
	v_mul_lo_u32 v13, v13, s8
	v_mul_lo_u32 v14, v14, s10
	v_or_b32_e32 v2, v2, v3
	v_lshlrev_b16_e32 v3, 8, v5
	v_cndmask_b32_e64 v11, 0, 1, vcc
	v_cmp_lt_u32_e32 vcc, s14, v12
	v_sub_u32_e32 v13, v13, v14
	v_or_b32_sdwa v3, v4, v3 dst_sel:WORD_1 dst_unused:UNUSED_PAD src0_sel:DWORD src1_sel:DWORD
	v_cndmask_b32_e64 v12, 0, 1, vcc
	v_cmp_lt_u32_e32 vcc, s14, v13
	v_add_u32_e32 v14, s9, v35
	v_add_u32_e32 v15, s11, v35
	v_or_b32_sdwa v40, v2, v3 dst_sel:DWORD dst_unused:UNUSED_PAD src0_sel:WORD_0 src1_sel:DWORD
	v_lshlrev_b16_e32 v2, 8, v7
	v_lshlrev_b16_e32 v3, 8, v9
	v_cndmask_b32_e64 v13, 0, 1, vcc
	v_mul_lo_u32 v14, v14, s8
	v_mul_lo_u32 v15, v15, s10
	v_or_b32_e32 v2, v6, v2
	v_or_b32_sdwa v3, v8, v3 dst_sel:WORD_1 dst_unused:UNUSED_PAD src0_sel:DWORD src1_sel:DWORD
	v_sub_u32_e32 v14, v14, v15
	v_or_b32_sdwa v39, v2, v3 dst_sel:DWORD dst_unused:UNUSED_PAD src0_sel:WORD_0 src1_sel:DWORD
	v_lshlrev_b16_e32 v2, 8, v11
	v_lshlrev_b16_e32 v3, 8, v13
	v_cmp_lt_u32_e32 vcc, s14, v14
	v_or_b32_e32 v2, v10, v2
	v_or_b32_sdwa v3, v12, v3 dst_sel:WORD_1 dst_unused:UNUSED_PAD src0_sel:DWORD src1_sel:DWORD
	v_cndmask_b32_e64 v37, 0, 1, vcc
	v_or_b32_sdwa v38, v2, v3 dst_sel:DWORD dst_unused:UNUSED_PAD src0_sel:WORD_0 src1_sel:DWORD
	s_addk_i32 s33, 0xd00
	s_cbranch_execz .LBB682_11
	s_branch .LBB682_38
.LBB682_10:
                                        ; implicit-def: $vgpr37
                                        ; implicit-def: $vgpr38
                                        ; implicit-def: $vgpr39
                                        ; implicit-def: $vgpr40
	s_addk_i32 s33, 0xd00
.LBB682_11:
	v_cmp_gt_u32_e32 vcc, s33, v36
	v_mov_b32_e32 v3, 0
	v_mov_b32_e32 v2, 0
	s_and_saveexec_b64 s[4:5], vcc
; %bb.12:
	v_add_u32_e32 v2, s9, v32
	v_add_u32_e32 v4, s11, v32
	v_mul_lo_u32 v2, v2, s8
	v_mul_lo_u32 v4, v4, s10
	v_sub_u32_e32 v2, v2, v4
	v_cmp_lt_u32_e32 vcc, s14, v2
	v_cndmask_b32_e64 v2, 0, 1, vcc
; %bb.13:
	s_or_b64 exec, exec, s[4:5]
	v_add_u32_e32 v4, 1, v36
	v_cmp_gt_u32_e32 vcc, s33, v4
	s_and_saveexec_b64 s[4:5], vcc
; %bb.14:
	v_add_u32_e32 v3, s9, v33
	v_add_u32_e32 v4, s11, v33
	v_mul_lo_u32 v3, v3, s8
	v_mul_lo_u32 v4, v4, s10
	v_sub_u32_e32 v3, v3, v4
	v_cmp_lt_u32_e32 vcc, s14, v3
	v_cndmask_b32_e64 v3, 0, 1, vcc
; %bb.15:
	s_or_b64 exec, exec, s[4:5]
	v_add_u32_e32 v4, 2, v36
	v_cmp_gt_u32_e32 vcc, s33, v4
	v_mov_b32_e32 v5, 0
	v_mov_b32_e32 v4, 0
	s_and_saveexec_b64 s[4:5], vcc
; %bb.16:
	v_add_u32_e32 v4, s9, v30
	v_add_u32_e32 v6, s11, v30
	v_mul_lo_u32 v4, v4, s8
	v_mul_lo_u32 v6, v6, s10
	v_sub_u32_e32 v4, v4, v6
	v_cmp_lt_u32_e32 vcc, s14, v4
	v_cndmask_b32_e64 v4, 0, 1, vcc
; %bb.17:
	s_or_b64 exec, exec, s[4:5]
	v_add_u32_e32 v6, 3, v36
	v_cmp_gt_u32_e32 vcc, s33, v6
	s_and_saveexec_b64 s[4:5], vcc
; %bb.18:
	v_add_u32_e32 v5, s9, v31
	v_add_u32_e32 v6, s11, v31
	v_mul_lo_u32 v5, v5, s8
	v_mul_lo_u32 v6, v6, s10
	v_sub_u32_e32 v5, v5, v6
	v_cmp_lt_u32_e32 vcc, s14, v5
	v_cndmask_b32_e64 v5, 0, 1, vcc
; %bb.19:
	s_or_b64 exec, exec, s[4:5]
	v_add_u32_e32 v6, 4, v36
	;; [unrolled: 28-line block ×6, first 2 shown]
	v_cmp_gt_u32_e32 vcc, s33, v14
	v_mov_b32_e32 v37, 0
	s_and_saveexec_b64 s[4:5], vcc
; %bb.36:
	v_add_u32_e32 v14, s9, v35
	v_add_u32_e32 v15, s11, v35
	v_mul_lo_u32 v14, v14, s8
	v_mul_lo_u32 v15, v15, s10
	v_sub_u32_e32 v14, v14, v15
	v_cmp_lt_u32_e32 vcc, s14, v14
	v_cndmask_b32_e64 v37, 0, 1, vcc
; %bb.37:
	s_or_b64 exec, exec, s[4:5]
	v_lshlrev_b16_e32 v3, 8, v3
	v_or_b32_e32 v2, v2, v3
	v_lshlrev_b16_e32 v3, 8, v5
	v_or_b32_sdwa v3, v4, v3 dst_sel:WORD_1 dst_unused:UNUSED_PAD src0_sel:DWORD src1_sel:DWORD
	v_or_b32_sdwa v40, v2, v3 dst_sel:DWORD dst_unused:UNUSED_PAD src0_sel:WORD_0 src1_sel:DWORD
	v_lshlrev_b16_e32 v2, 8, v7
	v_lshlrev_b16_e32 v3, 8, v9
	v_or_b32_e32 v2, v6, v2
	v_or_b32_sdwa v3, v8, v3 dst_sel:WORD_1 dst_unused:UNUSED_PAD src0_sel:DWORD src1_sel:DWORD
	v_or_b32_sdwa v39, v2, v3 dst_sel:DWORD dst_unused:UNUSED_PAD src0_sel:WORD_0 src1_sel:DWORD
	v_lshlrev_b16_e32 v2, 8, v11
	v_lshlrev_b16_e32 v3, 8, v13
	v_or_b32_e32 v2, v10, v2
	v_or_b32_sdwa v3, v12, v3 dst_sel:WORD_1 dst_unused:UNUSED_PAD src0_sel:DWORD src1_sel:DWORD
	v_or_b32_sdwa v38, v2, v3 dst_sel:DWORD dst_unused:UNUSED_PAD src0_sel:WORD_0 src1_sel:DWORD
.LBB682_38:
	v_and_b32_e32 v44, 0xff, v40
	v_bfe_u32 v45, v40, 8, 8
	v_bfe_u32 v46, v40, 16, 8
	v_lshrrev_b32_e32 v43, 24, v40
	v_and_b32_e32 v47, 0xff, v39
	v_add3_u32 v3, v45, v44, v46
	v_bfe_u32 v48, v39, 8, 8
	v_bfe_u32 v49, v39, 16, 8
	v_add3_u32 v3, v3, v43, v47
	v_lshrrev_b32_e32 v42, 24, v39
	v_and_b32_e32 v50, 0xff, v38
	v_add3_u32 v3, v3, v48, v49
	v_bfe_u32 v51, v38, 8, 8
	v_bfe_u32 v52, v38, 16, 8
	v_add3_u32 v3, v3, v42, v50
	v_lshrrev_b32_e32 v41, 24, v38
	v_and_b32_e32 v2, 0xff, v37
	v_add3_u32 v3, v3, v51, v52
	v_add3_u32 v55, v3, v41, v2
	v_mbcnt_lo_u32_b32 v2, -1, 0
	v_mbcnt_hi_u32_b32 v53, -1, v2
	v_and_b32_e32 v2, 15, v53
	v_cmp_eq_u32_e64 s[16:17], 0, v2
	v_cmp_lt_u32_e64 s[14:15], 1, v2
	v_cmp_lt_u32_e64 s[12:13], 3, v2
	;; [unrolled: 1-line block ×3, first 2 shown]
	v_and_b32_e32 v2, 16, v53
	v_cmp_eq_u32_e64 s[8:9], 0, v2
	v_or_b32_e32 v2, 63, v0
	s_cmp_lg_u32 s40, 0
	v_cmp_lt_u32_e64 s[4:5], 31, v53
	v_lshrrev_b32_e32 v54, 6, v0
	v_cmp_eq_u32_e64 s[6:7], v2, v0
	s_cbranch_scc0 .LBB682_69
; %bb.39:
	v_mov_b32_dpp v2, v55 row_shr:1 row_mask:0xf bank_mask:0xf
	v_cndmask_b32_e64 v2, v2, 0, s[16:17]
	v_add_u32_e32 v2, v2, v55
	s_nop 1
	v_mov_b32_dpp v3, v2 row_shr:2 row_mask:0xf bank_mask:0xf
	v_cndmask_b32_e64 v3, 0, v3, s[14:15]
	v_add_u32_e32 v2, v2, v3
	s_nop 1
	;; [unrolled: 4-line block ×4, first 2 shown]
	v_mov_b32_dpp v3, v2 row_bcast:15 row_mask:0xf bank_mask:0xf
	v_cndmask_b32_e64 v3, v3, 0, s[8:9]
	v_add_u32_e32 v2, v2, v3
	s_nop 1
	v_mov_b32_dpp v3, v2 row_bcast:31 row_mask:0xf bank_mask:0xf
	v_cndmask_b32_e64 v3, 0, v3, s[4:5]
	v_add_u32_e32 v2, v2, v3
	s_and_saveexec_b64 s[18:19], s[6:7]
	s_cbranch_execz .LBB682_41
; %bb.40:
	v_lshlrev_b32_e32 v3, 2, v54
	ds_write_b32 v3, v2
.LBB682_41:
	s_or_b64 exec, exec, s[18:19]
	v_cmp_gt_u32_e32 vcc, 4, v0
	s_waitcnt lgkmcnt(0)
	s_barrier
	s_and_saveexec_b64 s[18:19], vcc
	s_cbranch_execz .LBB682_43
; %bb.42:
	ds_read_b32 v3, v34
	v_and_b32_e32 v4, 3, v53
	v_cmp_ne_u32_e32 vcc, 0, v4
	s_waitcnt lgkmcnt(0)
	v_mov_b32_dpp v5, v3 row_shr:1 row_mask:0xf bank_mask:0xf
	v_cndmask_b32_e32 v5, 0, v5, vcc
	v_add_u32_e32 v3, v5, v3
	v_cmp_lt_u32_e32 vcc, 1, v4
	s_nop 0
	v_mov_b32_dpp v5, v3 row_shr:2 row_mask:0xf bank_mask:0xf
	v_cndmask_b32_e32 v4, 0, v5, vcc
	v_add_u32_e32 v3, v3, v4
	ds_write_b32 v34, v3
.LBB682_43:
	s_or_b64 exec, exec, s[18:19]
	v_cmp_gt_u32_e32 vcc, 64, v0
	v_cmp_lt_u32_e64 s[18:19], 63, v0
	s_waitcnt lgkmcnt(0)
	s_barrier
	s_waitcnt lgkmcnt(0)
                                        ; implicit-def: $vgpr12
	s_and_saveexec_b64 s[34:35], s[18:19]
	s_cbranch_execz .LBB682_45
; %bb.44:
	v_lshl_add_u32 v3, v54, 2, -4
	ds_read_b32 v12, v3
	s_waitcnt lgkmcnt(0)
	v_add_u32_e32 v2, v12, v2
.LBB682_45:
	s_or_b64 exec, exec, s[34:35]
	v_add_u32_e32 v3, -1, v53
	v_and_b32_e32 v4, 64, v53
	v_cmp_lt_i32_e64 s[18:19], v3, v4
	v_cndmask_b32_e64 v3, v3, v53, s[18:19]
	v_lshlrev_b32_e32 v3, 2, v3
	ds_bpermute_b32 v13, v3, v2
	v_cmp_eq_u32_e64 s[18:19], 0, v53
	s_and_saveexec_b64 s[34:35], vcc
	s_cbranch_execz .LBB682_68
; %bb.46:
	v_mov_b32_e32 v11, 0
	ds_read_b32 v2, v11 offset:12
	s_and_saveexec_b64 s[36:37], s[18:19]
	s_cbranch_execz .LBB682_48
; %bb.47:
	s_add_i32 s38, s40, 64
	s_mov_b32 s39, 0
	s_lshl_b64 s[38:39], s[38:39], 3
	s_add_u32 s38, s30, s38
	v_mov_b32_e32 v3, 1
	s_addc_u32 s39, s31, s39
	s_waitcnt lgkmcnt(0)
	global_store_dwordx2 v11, v[2:3], s[38:39]
.LBB682_48:
	s_or_b64 exec, exec, s[36:37]
	v_xad_u32 v4, v53, -1, s40
	v_add_u32_e32 v10, 64, v4
	v_lshlrev_b64 v[6:7], 3, v[10:11]
	v_mov_b32_e32 v3, s31
	v_add_co_u32_e32 v6, vcc, s30, v6
	v_addc_co_u32_e32 v7, vcc, v3, v7, vcc
	global_load_dwordx2 v[8:9], v[6:7], off glc
	s_waitcnt vmcnt(0)
	v_cmp_eq_u16_sdwa s[38:39], v9, v11 src0_sel:BYTE_0 src1_sel:DWORD
	s_and_saveexec_b64 s[36:37], s[38:39]
	s_cbranch_execz .LBB682_54
; %bb.49:
	s_mov_b32 s41, 1
	s_mov_b64 s[38:39], 0
	v_mov_b32_e32 v3, 0
.LBB682_50:                             ; =>This Loop Header: Depth=1
                                        ;     Child Loop BB682_51 Depth 2
	s_max_u32 s42, s41, 1
.LBB682_51:                             ;   Parent Loop BB682_50 Depth=1
                                        ; =>  This Inner Loop Header: Depth=2
	s_add_i32 s42, s42, -1
	s_cmp_eq_u32 s42, 0
	s_sleep 1
	s_cbranch_scc0 .LBB682_51
; %bb.52:                               ;   in Loop: Header=BB682_50 Depth=1
	global_load_dwordx2 v[8:9], v[6:7], off glc
	s_cmp_lt_u32 s41, 32
	s_cselect_b64 s[42:43], -1, 0
	s_cmp_lg_u64 s[42:43], 0
	s_addc_u32 s41, s41, 0
	s_waitcnt vmcnt(0)
	v_cmp_ne_u16_sdwa s[42:43], v9, v3 src0_sel:BYTE_0 src1_sel:DWORD
	s_or_b64 s[38:39], s[42:43], s[38:39]
	s_andn2_b64 exec, exec, s[38:39]
	s_cbranch_execnz .LBB682_50
; %bb.53:
	s_or_b64 exec, exec, s[38:39]
.LBB682_54:
	s_or_b64 exec, exec, s[36:37]
	v_and_b32_e32 v14, 63, v53
	v_mov_b32_e32 v3, 2
	v_cmp_ne_u32_e32 vcc, 63, v14
	v_cmp_eq_u16_sdwa s[36:37], v9, v3 src0_sel:BYTE_0 src1_sel:DWORD
	v_lshlrev_b64 v[6:7], v53, -1
	v_addc_co_u32_e32 v11, vcc, 0, v53, vcc
	v_and_b32_e32 v5, s37, v7
	v_lshlrev_b32_e32 v15, 2, v11
	v_or_b32_e32 v5, 0x80000000, v5
	ds_bpermute_b32 v11, v15, v8
	v_and_b32_e32 v10, s36, v6
	v_ffbl_b32_e32 v5, v5
	v_add_u32_e32 v5, 32, v5
	v_ffbl_b32_e32 v10, v10
	v_min_u32_e32 v5, v10, v5
	v_cmp_lt_u32_e32 vcc, v14, v5
	s_waitcnt lgkmcnt(0)
	v_cndmask_b32_e32 v10, 0, v11, vcc
	v_cmp_gt_u32_e32 vcc, 62, v14
	v_add_u32_e32 v8, v10, v8
	v_cndmask_b32_e64 v10, 0, 1, vcc
	v_lshlrev_b32_e32 v10, 1, v10
	v_add_lshl_u32 v16, v10, v53, 2
	ds_bpermute_b32 v10, v16, v8
	v_add_u32_e32 v17, 2, v14
	v_cmp_le_u32_e32 vcc, v17, v5
	v_add_u32_e32 v19, 4, v14
	v_add_u32_e32 v57, 8, v14
	s_waitcnt lgkmcnt(0)
	v_cndmask_b32_e32 v10, 0, v10, vcc
	v_cmp_gt_u32_e32 vcc, 60, v14
	v_add_u32_e32 v8, v8, v10
	v_cndmask_b32_e64 v10, 0, 1, vcc
	v_lshlrev_b32_e32 v10, 2, v10
	v_add_lshl_u32 v18, v10, v53, 2
	ds_bpermute_b32 v10, v18, v8
	v_cmp_le_u32_e32 vcc, v19, v5
	v_add_u32_e32 v60, 16, v14
	v_add_u32_e32 v62, 32, v14
	s_waitcnt lgkmcnt(0)
	v_cndmask_b32_e32 v10, 0, v10, vcc
	v_cmp_gt_u32_e32 vcc, 56, v14
	v_add_u32_e32 v8, v8, v10
	v_cndmask_b32_e64 v10, 0, 1, vcc
	v_lshlrev_b32_e32 v10, 3, v10
	v_add_lshl_u32 v56, v10, v53, 2
	ds_bpermute_b32 v10, v56, v8
	v_cmp_le_u32_e32 vcc, v57, v5
	s_waitcnt lgkmcnt(0)
	v_cndmask_b32_e32 v10, 0, v10, vcc
	v_cmp_gt_u32_e32 vcc, 48, v14
	v_add_u32_e32 v8, v8, v10
	v_cndmask_b32_e64 v10, 0, 1, vcc
	v_lshlrev_b32_e32 v10, 4, v10
	v_add_lshl_u32 v59, v10, v53, 2
	ds_bpermute_b32 v10, v59, v8
	v_cmp_le_u32_e32 vcc, v60, v5
	s_waitcnt lgkmcnt(0)
	v_cndmask_b32_e32 v10, 0, v10, vcc
	v_cmp_gt_u32_e32 vcc, 32, v14
	v_add_u32_e32 v8, v8, v10
	v_cndmask_b32_e64 v10, 0, 1, vcc
	v_lshlrev_b32_e32 v10, 5, v10
	v_add_lshl_u32 v61, v10, v53, 2
	ds_bpermute_b32 v10, v61, v8
	v_cmp_le_u32_e32 vcc, v62, v5
	s_waitcnt lgkmcnt(0)
	v_cndmask_b32_e32 v5, 0, v10, vcc
	v_add_u32_e32 v8, v8, v5
	v_mov_b32_e32 v5, 0
	s_branch .LBB682_56
.LBB682_55:                             ;   in Loop: Header=BB682_56 Depth=1
	s_or_b64 exec, exec, s[36:37]
	v_cmp_eq_u16_sdwa s[36:37], v9, v3 src0_sel:BYTE_0 src1_sel:DWORD
	v_and_b32_e32 v10, s37, v7
	v_or_b32_e32 v10, 0x80000000, v10
	ds_bpermute_b32 v63, v15, v8
	v_and_b32_e32 v11, s36, v6
	v_ffbl_b32_e32 v10, v10
	v_add_u32_e32 v10, 32, v10
	v_ffbl_b32_e32 v11, v11
	v_min_u32_e32 v10, v11, v10
	v_cmp_lt_u32_e32 vcc, v14, v10
	s_waitcnt lgkmcnt(0)
	v_cndmask_b32_e32 v11, 0, v63, vcc
	v_add_u32_e32 v8, v11, v8
	ds_bpermute_b32 v11, v16, v8
	v_cmp_le_u32_e32 vcc, v17, v10
	v_subrev_u32_e32 v4, 64, v4
	s_waitcnt lgkmcnt(0)
	v_cndmask_b32_e32 v11, 0, v11, vcc
	v_add_u32_e32 v8, v8, v11
	ds_bpermute_b32 v11, v18, v8
	v_cmp_le_u32_e32 vcc, v19, v10
	s_waitcnt lgkmcnt(0)
	v_cndmask_b32_e32 v11, 0, v11, vcc
	v_add_u32_e32 v8, v8, v11
	ds_bpermute_b32 v11, v56, v8
	v_cmp_le_u32_e32 vcc, v57, v10
	s_waitcnt lgkmcnt(0)
	v_cndmask_b32_e32 v11, 0, v11, vcc
	v_add_u32_e32 v8, v8, v11
	ds_bpermute_b32 v11, v59, v8
	v_cmp_le_u32_e32 vcc, v60, v10
	s_waitcnt lgkmcnt(0)
	v_cndmask_b32_e32 v11, 0, v11, vcc
	v_add_u32_e32 v8, v8, v11
	ds_bpermute_b32 v11, v61, v8
	v_cmp_le_u32_e32 vcc, v62, v10
	s_waitcnt lgkmcnt(0)
	v_cndmask_b32_e32 v10, 0, v11, vcc
	v_add3_u32 v8, v10, v58, v8
.LBB682_56:                             ; =>This Loop Header: Depth=1
                                        ;     Child Loop BB682_59 Depth 2
                                        ;       Child Loop BB682_60 Depth 3
	v_cmp_ne_u16_sdwa s[36:37], v9, v3 src0_sel:BYTE_0 src1_sel:DWORD
	v_cndmask_b32_e64 v9, 0, 1, s[36:37]
	;;#ASMSTART
	;;#ASMEND
	v_cmp_ne_u32_e32 vcc, 0, v9
	s_cmp_lg_u64 vcc, exec
	v_mov_b32_e32 v58, v8
	s_cbranch_scc1 .LBB682_63
; %bb.57:                               ;   in Loop: Header=BB682_56 Depth=1
	v_lshlrev_b64 v[8:9], 3, v[4:5]
	v_mov_b32_e32 v11, s31
	v_add_co_u32_e32 v10, vcc, s30, v8
	v_addc_co_u32_e32 v11, vcc, v11, v9, vcc
	global_load_dwordx2 v[8:9], v[10:11], off glc
	s_waitcnt vmcnt(0)
	v_cmp_eq_u16_sdwa s[38:39], v9, v5 src0_sel:BYTE_0 src1_sel:DWORD
	s_and_saveexec_b64 s[36:37], s[38:39]
	s_cbranch_execz .LBB682_55
; %bb.58:                               ;   in Loop: Header=BB682_56 Depth=1
	s_mov_b32 s41, 1
	s_mov_b64 s[38:39], 0
.LBB682_59:                             ;   Parent Loop BB682_56 Depth=1
                                        ; =>  This Loop Header: Depth=2
                                        ;       Child Loop BB682_60 Depth 3
	s_max_u32 s42, s41, 1
.LBB682_60:                             ;   Parent Loop BB682_56 Depth=1
                                        ;     Parent Loop BB682_59 Depth=2
                                        ; =>    This Inner Loop Header: Depth=3
	s_add_i32 s42, s42, -1
	s_cmp_eq_u32 s42, 0
	s_sleep 1
	s_cbranch_scc0 .LBB682_60
; %bb.61:                               ;   in Loop: Header=BB682_59 Depth=2
	global_load_dwordx2 v[8:9], v[10:11], off glc
	s_cmp_lt_u32 s41, 32
	s_cselect_b64 s[42:43], -1, 0
	s_cmp_lg_u64 s[42:43], 0
	s_addc_u32 s41, s41, 0
	s_waitcnt vmcnt(0)
	v_cmp_ne_u16_sdwa s[42:43], v9, v5 src0_sel:BYTE_0 src1_sel:DWORD
	s_or_b64 s[38:39], s[42:43], s[38:39]
	s_andn2_b64 exec, exec, s[38:39]
	s_cbranch_execnz .LBB682_59
; %bb.62:                               ;   in Loop: Header=BB682_56 Depth=1
	s_or_b64 exec, exec, s[38:39]
	s_branch .LBB682_55
.LBB682_63:                             ;   in Loop: Header=BB682_56 Depth=1
                                        ; implicit-def: $vgpr8
                                        ; implicit-def: $vgpr9
	s_cbranch_execz .LBB682_56
; %bb.64:
	s_and_saveexec_b64 s[36:37], s[18:19]
	s_cbranch_execz .LBB682_66
; %bb.65:
	s_add_i32 s38, s40, 64
	s_mov_b32 s39, 0
	s_lshl_b64 s[38:39], s[38:39], 3
	s_add_u32 s38, s30, s38
	v_add_u32_e32 v4, v58, v2
	v_mov_b32_e32 v5, 2
	s_addc_u32 s39, s31, s39
	v_mov_b32_e32 v3, 0
	global_store_dwordx2 v3, v[4:5], s[38:39]
	s_movk_i32 s38, 0x3400
	v_add_u32_e64 v3, s38, 0
	ds_write2_b32 v3, v2, v58 offset1:2
.LBB682_66:
	s_or_b64 exec, exec, s[36:37]
	s_and_b64 exec, exec, s[0:1]
	s_cbranch_execz .LBB682_68
; %bb.67:
	v_mov_b32_e32 v2, 0
	ds_write_b32 v2, v58 offset:12
.LBB682_68:
	s_or_b64 exec, exec, s[34:35]
	v_mov_b32_e32 v2, 0
	s_waitcnt lgkmcnt(0)
	s_barrier
	ds_read_b32 v2, v2 offset:12
	v_cndmask_b32_e64 v3, v13, v12, s[18:19]
	v_cndmask_b32_e64 v3, v3, 0, s[0:1]
	s_movk_i32 s18, 0x3400
	v_add_u32_e64 v12, s18, 0
	s_waitcnt lgkmcnt(0)
	v_add_u32_e32 v2, v2, v3
	v_add_u32_e32 v3, v2, v44
	;; [unrolled: 1-line block ×9, first 2 shown]
	s_barrier
	ds_read2_b32 v[18:19], v12 offset1:2
	v_add_u32_e32 v11, v10, v50
	v_add_u32_e32 v12, v11, v51
	;; [unrolled: 1-line block ×4, first 2 shown]
	s_branch .LBB682_79
.LBB682_69:
                                        ; implicit-def: $vgpr19
                                        ; implicit-def: $vgpr2_vgpr3_vgpr4_vgpr5_vgpr6_vgpr7_vgpr8_vgpr9_vgpr10_vgpr11_vgpr12_vgpr13_vgpr14_vgpr15_vgpr16_vgpr17
	s_cbranch_execz .LBB682_79
; %bb.70:
	s_nop 0
	v_mov_b32_dpp v2, v55 row_shr:1 row_mask:0xf bank_mask:0xf
	v_cndmask_b32_e64 v2, v2, 0, s[16:17]
	v_add_u32_e32 v2, v2, v55
	s_nop 1
	v_mov_b32_dpp v3, v2 row_shr:2 row_mask:0xf bank_mask:0xf
	v_cndmask_b32_e64 v3, 0, v3, s[14:15]
	v_add_u32_e32 v2, v2, v3
	s_nop 1
	v_mov_b32_dpp v3, v2 row_shr:4 row_mask:0xf bank_mask:0xf
	v_cndmask_b32_e64 v3, 0, v3, s[12:13]
	v_add_u32_e32 v2, v2, v3
	s_nop 1
	v_mov_b32_dpp v3, v2 row_shr:8 row_mask:0xf bank_mask:0xf
	v_cndmask_b32_e64 v3, 0, v3, s[10:11]
	v_add_u32_e32 v2, v2, v3
	s_nop 1
	v_mov_b32_dpp v3, v2 row_bcast:15 row_mask:0xf bank_mask:0xf
	v_cndmask_b32_e64 v3, v3, 0, s[8:9]
	v_add_u32_e32 v2, v2, v3
	s_nop 1
	v_mov_b32_dpp v3, v2 row_bcast:31 row_mask:0xf bank_mask:0xf
	v_cndmask_b32_e64 v3, 0, v3, s[4:5]
	v_add_u32_e32 v2, v2, v3
	s_and_saveexec_b64 s[4:5], s[6:7]
	s_cbranch_execz .LBB682_72
; %bb.71:
	v_lshlrev_b32_e32 v3, 2, v54
	ds_write_b32 v3, v2
.LBB682_72:
	s_or_b64 exec, exec, s[4:5]
	v_cmp_gt_u32_e32 vcc, 4, v0
	s_waitcnt lgkmcnt(0)
	s_barrier
	s_and_saveexec_b64 s[4:5], vcc
	s_cbranch_execz .LBB682_74
; %bb.73:
	ds_read_b32 v3, v34
	v_and_b32_e32 v4, 3, v53
	v_cmp_ne_u32_e32 vcc, 0, v4
	s_waitcnt lgkmcnt(0)
	v_mov_b32_dpp v5, v3 row_shr:1 row_mask:0xf bank_mask:0xf
	v_cndmask_b32_e32 v5, 0, v5, vcc
	v_add_u32_e32 v3, v5, v3
	v_cmp_lt_u32_e32 vcc, 1, v4
	s_nop 0
	v_mov_b32_dpp v5, v3 row_shr:2 row_mask:0xf bank_mask:0xf
	v_cndmask_b32_e32 v4, 0, v5, vcc
	v_add_u32_e32 v3, v3, v4
	ds_write_b32 v34, v3
.LBB682_74:
	s_or_b64 exec, exec, s[4:5]
	v_cmp_lt_u32_e32 vcc, 63, v0
	v_mov_b32_e32 v4, 0
	v_mov_b32_e32 v3, 0
	s_waitcnt lgkmcnt(0)
	s_barrier
	s_and_saveexec_b64 s[4:5], vcc
	s_cbranch_execz .LBB682_76
; %bb.75:
	v_lshl_add_u32 v3, v54, 2, -4
	ds_read_b32 v3, v3
.LBB682_76:
	s_or_b64 exec, exec, s[4:5]
	v_add_u32_e32 v5, -1, v53
	v_and_b32_e32 v6, 64, v53
	v_cmp_lt_i32_e32 vcc, v5, v6
	v_cndmask_b32_e32 v5, v5, v53, vcc
	s_waitcnt lgkmcnt(0)
	v_add_u32_e32 v2, v3, v2
	v_lshlrev_b32_e32 v5, 2, v5
	ds_bpermute_b32 v2, v5, v2
	ds_read_b32 v18, v4 offset:12
	s_and_saveexec_b64 s[4:5], s[0:1]
	s_cbranch_execz .LBB682_78
; %bb.77:
	v_mov_b32_e32 v4, 0
	v_mov_b32_e32 v19, 2
	s_waitcnt lgkmcnt(0)
	global_store_dwordx2 v4, v[18:19], s[30:31] offset:512
.LBB682_78:
	s_or_b64 exec, exec, s[4:5]
	v_cmp_eq_u32_e32 vcc, 0, v53
	s_waitcnt lgkmcnt(1)
	v_cndmask_b32_e32 v2, v2, v3, vcc
	v_cndmask_b32_e64 v2, v2, 0, s[0:1]
	v_add_u32_e32 v3, v2, v44
	v_add_u32_e32 v4, v3, v45
	;; [unrolled: 1-line block ×11, first 2 shown]
	v_mov_b32_e32 v19, 0
	v_add_u32_e32 v14, v13, v41
	s_waitcnt lgkmcnt(0)
	s_barrier
.LBB682_79:
	s_waitcnt lgkmcnt(0)
	v_add_u32_e32 v36, v18, v36
	v_sub_u32_e32 v2, v2, v19
	v_and_b32_e32 v45, 1, v40
	v_sub_u32_e32 v44, v36, v2
	v_cmp_eq_u32_e32 vcc, 1, v45
	v_cndmask_b32_e32 v2, v44, v2, vcc
	v_lshlrev_b32_e32 v2, 2, v2
	v_lshrrev_b32_e32 v17, 8, v40
	ds_write_b32 v2, v32
	v_sub_u32_e32 v2, v3, v19
	v_sub_u32_e32 v3, v36, v2
	v_and_b32_e32 v17, 1, v17
	v_add_u32_e32 v3, 1, v3
	v_cmp_eq_u32_e32 vcc, 1, v17
	v_cndmask_b32_e32 v2, v3, v2, vcc
	v_lshlrev_b32_e32 v2, 2, v2
	ds_write_b32 v2, v33
	v_sub_u32_e32 v2, v4, v19
	v_mov_b32_e32 v4, 1
	v_sub_u32_e32 v3, v36, v2
	v_and_b32_sdwa v17, v4, v40 dst_sel:DWORD dst_unused:UNUSED_PAD src0_sel:DWORD src1_sel:WORD_1
	v_add_u32_e32 v3, 2, v3
	v_cmp_eq_u32_e32 vcc, 1, v17
	v_cndmask_b32_e32 v2, v3, v2, vcc
	v_lshlrev_b32_e32 v2, 2, v2
	ds_write_b32 v2, v30
	v_sub_u32_e32 v2, v5, v19
	v_sub_u32_e32 v3, v36, v2
	v_and_b32_e32 v5, 1, v43
	v_add_u32_e32 v3, 3, v3
	v_cmp_eq_u32_e32 vcc, 1, v5
	v_cndmask_b32_e32 v2, v3, v2, vcc
	v_lshlrev_b32_e32 v2, 2, v2
	ds_write_b32 v2, v31
	v_sub_u32_e32 v2, v6, v19
	v_sub_u32_e32 v3, v36, v2
	v_and_b32_e32 v5, 1, v39
	v_add_u32_e32 v3, 4, v3
	v_cmp_eq_u32_e32 vcc, 1, v5
	v_cndmask_b32_e32 v2, v3, v2, vcc
	v_lshlrev_b32_e32 v2, 2, v2
	v_lshrrev_b32_e32 v16, 8, v39
	ds_write_b32 v2, v28
	v_sub_u32_e32 v2, v7, v19
	v_sub_u32_e32 v3, v36, v2
	v_and_b32_e32 v5, 1, v16
	v_add_u32_e32 v3, 5, v3
	v_cmp_eq_u32_e32 vcc, 1, v5
	v_cndmask_b32_e32 v2, v3, v2, vcc
	v_lshlrev_b32_e32 v2, 2, v2
	ds_write_b32 v2, v29
	v_sub_u32_e32 v2, v8, v19
	v_sub_u32_e32 v3, v36, v2
	v_and_b32_sdwa v5, v4, v39 dst_sel:DWORD dst_unused:UNUSED_PAD src0_sel:DWORD src1_sel:WORD_1
	v_add_u32_e32 v3, 6, v3
	v_cmp_eq_u32_e32 vcc, 1, v5
	v_cndmask_b32_e32 v2, v3, v2, vcc
	v_lshlrev_b32_e32 v2, 2, v2
	ds_write_b32 v2, v26
	v_sub_u32_e32 v2, v9, v19
	v_sub_u32_e32 v3, v36, v2
	v_and_b32_e32 v5, 1, v42
	v_add_u32_e32 v3, 7, v3
	v_cmp_eq_u32_e32 vcc, 1, v5
	v_cndmask_b32_e32 v2, v3, v2, vcc
	v_lshlrev_b32_e32 v2, 2, v2
	ds_write_b32 v2, v27
	v_sub_u32_e32 v2, v10, v19
	v_sub_u32_e32 v3, v36, v2
	v_and_b32_e32 v5, 1, v38
	v_add_u32_e32 v3, 8, v3
	v_cmp_eq_u32_e32 vcc, 1, v5
	v_cndmask_b32_e32 v2, v3, v2, vcc
	v_lshlrev_b32_e32 v2, 2, v2
	v_lshrrev_b32_e32 v15, 8, v38
	ds_write_b32 v2, v24
	v_sub_u32_e32 v2, v11, v19
	v_sub_u32_e32 v3, v36, v2
	v_and_b32_e32 v5, 1, v15
	v_add_u32_e32 v3, 9, v3
	v_cmp_eq_u32_e32 vcc, 1, v5
	v_cndmask_b32_e32 v2, v3, v2, vcc
	v_lshlrev_b32_e32 v2, 2, v2
	ds_write_b32 v2, v25
	v_sub_u32_e32 v2, v12, v19
	v_sub_u32_e32 v3, v36, v2
	v_and_b32_sdwa v4, v4, v38 dst_sel:DWORD dst_unused:UNUSED_PAD src0_sel:DWORD src1_sel:WORD_1
	v_add_u32_e32 v3, 10, v3
	v_cmp_eq_u32_e32 vcc, 1, v4
	v_cndmask_b32_e32 v2, v3, v2, vcc
	v_lshlrev_b32_e32 v2, 2, v2
	ds_write_b32 v2, v22
	v_sub_u32_e32 v2, v13, v19
	v_sub_u32_e32 v3, v36, v2
	v_and_b32_e32 v4, 1, v41
	v_add_u32_e32 v3, 11, v3
	v_cmp_eq_u32_e32 vcc, 1, v4
	v_cndmask_b32_e32 v2, v3, v2, vcc
	v_lshlrev_b32_e32 v2, 2, v2
	ds_write_b32 v2, v23
	v_sub_u32_e32 v2, v14, v19
	v_sub_u32_e32 v3, v36, v2
	v_and_b32_e32 v4, 1, v37
	v_add_u32_e32 v3, 12, v3
	v_cmp_eq_u32_e32 vcc, 1, v4
	v_cndmask_b32_e32 v2, v3, v2, vcc
	s_waitcnt vmcnt(0)
	v_add_co_u32_e32 v16, vcc, v20, v19
	v_addc_co_u32_e32 v17, vcc, 0, v21, vcc
	v_mov_b32_e32 v14, s29
	v_add_co_u32_e32 v1, vcc, s28, v1
	v_addc_co_u32_e32 v14, vcc, 0, v14, vcc
	v_lshlrev_b32_e32 v2, 2, v2
	v_mov_b32_e32 v15, s27
	v_sub_co_u32_e32 v1, vcc, s26, v1
	ds_write_b32 v2, v35
	s_waitcnt lgkmcnt(0)
	s_barrier
	ds_read2st64_b32 v[12:13], v34 offset1:4
	ds_read2st64_b32 v[10:11], v34 offset0:8 offset1:12
	ds_read2st64_b32 v[8:9], v34 offset0:16 offset1:20
	;; [unrolled: 1-line block ×5, first 2 shown]
	ds_read_b32 v22, v34 offset:12288
	v_subb_co_u32_e32 v14, vcc, v15, v14, vcc
	v_add_co_u32_e32 v1, vcc, v1, v18
	v_addc_co_u32_e32 v14, vcc, 0, v14, vcc
	s_and_b64 vcc, exec, s[2:3]
	v_add_co_u32_e64 v1, s[2:3], v1, v16
	v_or_b32_e32 v35, 0x100, v0
	v_or_b32_e32 v33, 0x200, v0
	;; [unrolled: 1-line block ×12, first 2 shown]
	v_addc_co_u32_e64 v19, s[2:3], v14, v17, s[2:3]
	s_cbranch_vccnz .LBB682_136
; %bb.80:
	v_cmp_ge_u32_e32 vcc, v0, v18
                                        ; implicit-def: $vgpr14_vgpr15
	s_and_saveexec_b64 s[2:3], vcc
	s_xor_b64 s[2:3], exec, s[2:3]
; %bb.81:
	v_not_b32_e32 v14, v0
	v_ashrrev_i32_e32 v15, 31, v14
	v_add_co_u32_e32 v14, vcc, v1, v14
	v_addc_co_u32_e32 v15, vcc, v19, v15, vcc
; %bb.82:
	s_andn2_saveexec_b64 s[2:3], s[2:3]
; %bb.83:
	v_add_co_u32_e32 v14, vcc, v16, v0
	v_addc_co_u32_e32 v15, vcc, 0, v17, vcc
; %bb.84:
	s_or_b64 exec, exec, s[2:3]
	v_lshlrev_b64 v[14:15], 2, v[14:15]
	v_mov_b32_e32 v20, s25
	v_add_co_u32_e32 v14, vcc, s24, v14
	v_addc_co_u32_e32 v15, vcc, v20, v15, vcc
	v_cmp_ge_u32_e32 vcc, v35, v18
	s_waitcnt lgkmcnt(6)
	global_store_dword v[14:15], v12, off
                                        ; implicit-def: $vgpr14_vgpr15
	s_and_saveexec_b64 s[2:3], vcc
	s_xor_b64 s[2:3], exec, s[2:3]
; %bb.85:
	v_xor_b32_e32 v14, 0xfffffeff, v0
	v_ashrrev_i32_e32 v15, 31, v14
	v_add_co_u32_e32 v14, vcc, v1, v14
	v_addc_co_u32_e32 v15, vcc, v19, v15, vcc
; %bb.86:
	s_andn2_saveexec_b64 s[2:3], s[2:3]
; %bb.87:
	v_add_co_u32_e32 v14, vcc, v16, v35
	v_addc_co_u32_e32 v15, vcc, 0, v17, vcc
; %bb.88:
	s_or_b64 exec, exec, s[2:3]
	v_lshlrev_b64 v[14:15], 2, v[14:15]
	v_mov_b32_e32 v20, s25
	v_add_co_u32_e32 v14, vcc, s24, v14
	v_addc_co_u32_e32 v15, vcc, v20, v15, vcc
	v_cmp_ge_u32_e32 vcc, v33, v18
	global_store_dword v[14:15], v13, off
                                        ; implicit-def: $vgpr14_vgpr15
	s_and_saveexec_b64 s[2:3], vcc
	s_xor_b64 s[2:3], exec, s[2:3]
; %bb.89:
	v_xor_b32_e32 v14, 0xfffffdff, v0
	v_ashrrev_i32_e32 v15, 31, v14
	v_add_co_u32_e32 v14, vcc, v1, v14
	v_addc_co_u32_e32 v15, vcc, v19, v15, vcc
; %bb.90:
	s_andn2_saveexec_b64 s[2:3], s[2:3]
; %bb.91:
	v_add_co_u32_e32 v14, vcc, v16, v33
	v_addc_co_u32_e32 v15, vcc, 0, v17, vcc
; %bb.92:
	s_or_b64 exec, exec, s[2:3]
	v_lshlrev_b64 v[14:15], 2, v[14:15]
	v_mov_b32_e32 v20, s25
	v_add_co_u32_e32 v14, vcc, s24, v14
	v_addc_co_u32_e32 v15, vcc, v20, v15, vcc
	v_cmp_ge_u32_e32 vcc, v32, v18
	s_waitcnt lgkmcnt(5)
	global_store_dword v[14:15], v10, off
                                        ; implicit-def: $vgpr14_vgpr15
	s_and_saveexec_b64 s[2:3], vcc
	s_xor_b64 s[2:3], exec, s[2:3]
; %bb.93:
	v_xor_b32_e32 v14, 0xfffffcff, v0
	v_ashrrev_i32_e32 v15, 31, v14
	v_add_co_u32_e32 v14, vcc, v1, v14
	v_addc_co_u32_e32 v15, vcc, v19, v15, vcc
; %bb.94:
	s_andn2_saveexec_b64 s[2:3], s[2:3]
; %bb.95:
	v_add_co_u32_e32 v14, vcc, v16, v32
	v_addc_co_u32_e32 v15, vcc, 0, v17, vcc
; %bb.96:
	s_or_b64 exec, exec, s[2:3]
	v_lshlrev_b64 v[14:15], 2, v[14:15]
	v_mov_b32_e32 v20, s25
	v_add_co_u32_e32 v14, vcc, s24, v14
	v_addc_co_u32_e32 v15, vcc, v20, v15, vcc
	v_cmp_ge_u32_e32 vcc, v31, v18
	global_store_dword v[14:15], v11, off
                                        ; implicit-def: $vgpr14_vgpr15
	s_and_saveexec_b64 s[2:3], vcc
	s_xor_b64 s[2:3], exec, s[2:3]
; %bb.97:
	v_xor_b32_e32 v14, 0xfffffbff, v0
	;; [unrolled: 43-line block ×6, first 2 shown]
	v_ashrrev_i32_e32 v15, 31, v14
	v_add_co_u32_e32 v14, vcc, v1, v14
	v_addc_co_u32_e32 v15, vcc, v19, v15, vcc
; %bb.130:
	s_andn2_saveexec_b64 s[2:3], s[2:3]
; %bb.131:
	v_add_co_u32_e32 v14, vcc, v16, v23
	v_addc_co_u32_e32 v15, vcc, 0, v17, vcc
; %bb.132:
	s_or_b64 exec, exec, s[2:3]
	s_mov_b64 s[2:3], -1
.LBB682_133:
	s_and_saveexec_b64 s[4:5], s[2:3]
	s_cbranch_execz .LBB682_216
.LBB682_134:
	v_lshlrev_b64 v[0:1], 2, v[14:15]
	s_waitcnt lgkmcnt(1)
	v_mov_b32_e32 v2, s25
	v_add_co_u32_e32 v0, vcc, s24, v0
	v_addc_co_u32_e32 v1, vcc, v2, v1, vcc
	s_waitcnt lgkmcnt(0)
	global_store_dword v[0:1], v22, off
	s_or_b64 exec, exec, s[4:5]
	s_and_b64 s[0:1], s[0:1], s[22:23]
	s_and_saveexec_b64 s[2:3], s[0:1]
	s_cbranch_execnz .LBB682_217
.LBB682_135:
	s_endpgm
.LBB682_136:
	s_mov_b64 s[2:3], 0
                                        ; implicit-def: $vgpr14_vgpr15
	s_cbranch_execz .LBB682_133
; %bb.137:
	v_cmp_gt_u32_e32 vcc, s33, v0
	s_and_saveexec_b64 s[4:5], vcc
	s_cbranch_execz .LBB682_173
; %bb.138:
	v_cmp_ge_u32_e32 vcc, v0, v18
                                        ; implicit-def: $vgpr14_vgpr15
	s_and_saveexec_b64 s[6:7], vcc
	s_xor_b64 s[6:7], exec, s[6:7]
; %bb.139:
	v_not_b32_e32 v14, v0
	v_ashrrev_i32_e32 v15, 31, v14
	v_add_co_u32_e32 v14, vcc, v1, v14
	v_addc_co_u32_e32 v15, vcc, v19, v15, vcc
; %bb.140:
	s_andn2_saveexec_b64 s[6:7], s[6:7]
; %bb.141:
	v_add_co_u32_e32 v14, vcc, v16, v0
	v_addc_co_u32_e32 v15, vcc, 0, v17, vcc
; %bb.142:
	s_or_b64 exec, exec, s[6:7]
	v_lshlrev_b64 v[14:15], 2, v[14:15]
	v_mov_b32_e32 v20, s25
	v_add_co_u32_e32 v14, vcc, s24, v14
	v_addc_co_u32_e32 v15, vcc, v20, v15, vcc
	s_waitcnt lgkmcnt(6)
	global_store_dword v[14:15], v12, off
	s_or_b64 exec, exec, s[4:5]
	v_cmp_gt_u32_e32 vcc, s33, v35
	s_and_saveexec_b64 s[4:5], vcc
	s_cbranch_execnz .LBB682_174
.LBB682_143:
	s_or_b64 exec, exec, s[4:5]
	v_cmp_gt_u32_e32 vcc, s33, v33
	s_and_saveexec_b64 s[4:5], vcc
	s_cbranch_execz .LBB682_179
.LBB682_144:
	v_cmp_ge_u32_e32 vcc, v33, v18
                                        ; implicit-def: $vgpr12_vgpr13
	s_and_saveexec_b64 s[6:7], vcc
	s_xor_b64 s[6:7], exec, s[6:7]
	s_cbranch_execz .LBB682_146
; %bb.145:
	s_waitcnt lgkmcnt(6)
	v_xor_b32_e32 v12, 0xfffffdff, v0
	v_ashrrev_i32_e32 v13, 31, v12
	v_add_co_u32_e32 v12, vcc, v1, v12
	v_addc_co_u32_e32 v13, vcc, v19, v13, vcc
                                        ; implicit-def: $vgpr33
.LBB682_146:
	s_andn2_saveexec_b64 s[6:7], s[6:7]
	s_cbranch_execz .LBB682_148
; %bb.147:
	s_waitcnt lgkmcnt(6)
	v_add_co_u32_e32 v12, vcc, v16, v33
	v_addc_co_u32_e32 v13, vcc, 0, v17, vcc
.LBB682_148:
	s_or_b64 exec, exec, s[6:7]
	s_waitcnt lgkmcnt(6)
	v_lshlrev_b64 v[12:13], 2, v[12:13]
	v_mov_b32_e32 v14, s25
	v_add_co_u32_e32 v12, vcc, s24, v12
	v_addc_co_u32_e32 v13, vcc, v14, v13, vcc
	s_waitcnt lgkmcnt(5)
	global_store_dword v[12:13], v10, off
	s_or_b64 exec, exec, s[4:5]
	v_cmp_gt_u32_e32 vcc, s33, v32
	s_and_saveexec_b64 s[4:5], vcc
	s_cbranch_execnz .LBB682_180
.LBB682_149:
	s_or_b64 exec, exec, s[4:5]
	v_cmp_gt_u32_e32 vcc, s33, v31
	s_and_saveexec_b64 s[4:5], vcc
	s_cbranch_execz .LBB682_185
.LBB682_150:
	v_cmp_ge_u32_e32 vcc, v31, v18
                                        ; implicit-def: $vgpr10_vgpr11
	s_and_saveexec_b64 s[6:7], vcc
	s_xor_b64 s[6:7], exec, s[6:7]
	s_cbranch_execz .LBB682_152
; %bb.151:
	s_waitcnt lgkmcnt(5)
	v_xor_b32_e32 v10, 0xfffffbff, v0
	v_ashrrev_i32_e32 v11, 31, v10
	v_add_co_u32_e32 v10, vcc, v1, v10
	v_addc_co_u32_e32 v11, vcc, v19, v11, vcc
                                        ; implicit-def: $vgpr31
.LBB682_152:
	s_andn2_saveexec_b64 s[6:7], s[6:7]
	s_cbranch_execz .LBB682_154
; %bb.153:
	s_waitcnt lgkmcnt(5)
	v_add_co_u32_e32 v10, vcc, v16, v31
	v_addc_co_u32_e32 v11, vcc, 0, v17, vcc
.LBB682_154:
	s_or_b64 exec, exec, s[6:7]
	s_waitcnt lgkmcnt(5)
	v_lshlrev_b64 v[10:11], 2, v[10:11]
	v_mov_b32_e32 v12, s25
	v_add_co_u32_e32 v10, vcc, s24, v10
	v_addc_co_u32_e32 v11, vcc, v12, v11, vcc
	s_waitcnt lgkmcnt(4)
	global_store_dword v[10:11], v8, off
	s_or_b64 exec, exec, s[4:5]
	v_cmp_gt_u32_e32 vcc, s33, v30
	s_and_saveexec_b64 s[4:5], vcc
	s_cbranch_execnz .LBB682_186
.LBB682_155:
	s_or_b64 exec, exec, s[4:5]
	v_cmp_gt_u32_e32 vcc, s33, v29
	s_and_saveexec_b64 s[4:5], vcc
	s_cbranch_execz .LBB682_191
.LBB682_156:
	v_cmp_ge_u32_e32 vcc, v29, v18
                                        ; implicit-def: $vgpr8_vgpr9
	s_and_saveexec_b64 s[6:7], vcc
	s_xor_b64 s[6:7], exec, s[6:7]
	s_cbranch_execz .LBB682_158
; %bb.157:
	s_waitcnt lgkmcnt(4)
	v_xor_b32_e32 v8, 0xfffff9ff, v0
	v_ashrrev_i32_e32 v9, 31, v8
	v_add_co_u32_e32 v8, vcc, v1, v8
	v_addc_co_u32_e32 v9, vcc, v19, v9, vcc
                                        ; implicit-def: $vgpr29
.LBB682_158:
	s_andn2_saveexec_b64 s[6:7], s[6:7]
	s_cbranch_execz .LBB682_160
; %bb.159:
	s_waitcnt lgkmcnt(4)
	v_add_co_u32_e32 v8, vcc, v16, v29
	v_addc_co_u32_e32 v9, vcc, 0, v17, vcc
.LBB682_160:
	s_or_b64 exec, exec, s[6:7]
	s_waitcnt lgkmcnt(4)
	v_lshlrev_b64 v[8:9], 2, v[8:9]
	v_mov_b32_e32 v10, s25
	v_add_co_u32_e32 v8, vcc, s24, v8
	v_addc_co_u32_e32 v9, vcc, v10, v9, vcc
	s_waitcnt lgkmcnt(3)
	global_store_dword v[8:9], v6, off
	s_or_b64 exec, exec, s[4:5]
	v_cmp_gt_u32_e32 vcc, s33, v28
	s_and_saveexec_b64 s[4:5], vcc
	s_cbranch_execnz .LBB682_192
.LBB682_161:
	s_or_b64 exec, exec, s[4:5]
	v_cmp_gt_u32_e32 vcc, s33, v27
	s_and_saveexec_b64 s[4:5], vcc
	s_cbranch_execz .LBB682_197
.LBB682_162:
	v_cmp_ge_u32_e32 vcc, v27, v18
                                        ; implicit-def: $vgpr6_vgpr7
	s_and_saveexec_b64 s[6:7], vcc
	s_xor_b64 s[6:7], exec, s[6:7]
	s_cbranch_execz .LBB682_164
; %bb.163:
	s_waitcnt lgkmcnt(3)
	v_xor_b32_e32 v6, 0xfffff7ff, v0
	v_ashrrev_i32_e32 v7, 31, v6
	v_add_co_u32_e32 v6, vcc, v1, v6
	v_addc_co_u32_e32 v7, vcc, v19, v7, vcc
                                        ; implicit-def: $vgpr27
.LBB682_164:
	s_andn2_saveexec_b64 s[6:7], s[6:7]
	s_cbranch_execz .LBB682_166
; %bb.165:
	s_waitcnt lgkmcnt(3)
	v_add_co_u32_e32 v6, vcc, v16, v27
	v_addc_co_u32_e32 v7, vcc, 0, v17, vcc
.LBB682_166:
	s_or_b64 exec, exec, s[6:7]
	s_waitcnt lgkmcnt(3)
	v_lshlrev_b64 v[6:7], 2, v[6:7]
	v_mov_b32_e32 v8, s25
	v_add_co_u32_e32 v6, vcc, s24, v6
	v_addc_co_u32_e32 v7, vcc, v8, v7, vcc
	s_waitcnt lgkmcnt(2)
	global_store_dword v[6:7], v4, off
	s_or_b64 exec, exec, s[4:5]
	v_cmp_gt_u32_e32 vcc, s33, v26
	s_and_saveexec_b64 s[4:5], vcc
	s_cbranch_execnz .LBB682_198
.LBB682_167:
	s_or_b64 exec, exec, s[4:5]
	v_cmp_gt_u32_e32 vcc, s33, v25
	s_and_saveexec_b64 s[4:5], vcc
	s_cbranch_execz .LBB682_203
.LBB682_168:
	v_cmp_ge_u32_e32 vcc, v25, v18
                                        ; implicit-def: $vgpr4_vgpr5
	s_and_saveexec_b64 s[6:7], vcc
	s_xor_b64 s[6:7], exec, s[6:7]
	s_cbranch_execz .LBB682_170
; %bb.169:
	s_waitcnt lgkmcnt(2)
	v_xor_b32_e32 v4, 0xfffff5ff, v0
	v_ashrrev_i32_e32 v5, 31, v4
	v_add_co_u32_e32 v4, vcc, v1, v4
	v_addc_co_u32_e32 v5, vcc, v19, v5, vcc
                                        ; implicit-def: $vgpr25
.LBB682_170:
	s_andn2_saveexec_b64 s[6:7], s[6:7]
	s_cbranch_execz .LBB682_172
; %bb.171:
	s_waitcnt lgkmcnt(2)
	v_add_co_u32_e32 v4, vcc, v16, v25
	v_addc_co_u32_e32 v5, vcc, 0, v17, vcc
.LBB682_172:
	s_or_b64 exec, exec, s[6:7]
	s_waitcnt lgkmcnt(2)
	v_lshlrev_b64 v[4:5], 2, v[4:5]
	v_mov_b32_e32 v6, s25
	v_add_co_u32_e32 v4, vcc, s24, v4
	v_addc_co_u32_e32 v5, vcc, v6, v5, vcc
	s_waitcnt lgkmcnt(1)
	global_store_dword v[4:5], v2, off
	s_or_b64 exec, exec, s[4:5]
	v_cmp_gt_u32_e32 vcc, s33, v24
	s_and_saveexec_b64 s[4:5], vcc
	s_cbranch_execz .LBB682_209
	s_branch .LBB682_204
.LBB682_173:
	s_or_b64 exec, exec, s[4:5]
	v_cmp_gt_u32_e32 vcc, s33, v35
	s_and_saveexec_b64 s[4:5], vcc
	s_cbranch_execz .LBB682_143
.LBB682_174:
	v_cmp_ge_u32_e32 vcc, v35, v18
                                        ; implicit-def: $vgpr14_vgpr15
	s_and_saveexec_b64 s[6:7], vcc
	s_xor_b64 s[6:7], exec, s[6:7]
	s_cbranch_execz .LBB682_176
; %bb.175:
	s_waitcnt lgkmcnt(6)
	v_xor_b32_e32 v12, 0xfffffeff, v0
	v_ashrrev_i32_e32 v15, 31, v12
	v_add_co_u32_e32 v14, vcc, v1, v12
	v_addc_co_u32_e32 v15, vcc, v19, v15, vcc
                                        ; implicit-def: $vgpr35
.LBB682_176:
	s_andn2_saveexec_b64 s[6:7], s[6:7]
; %bb.177:
	v_add_co_u32_e32 v14, vcc, v16, v35
	v_addc_co_u32_e32 v15, vcc, 0, v17, vcc
; %bb.178:
	s_or_b64 exec, exec, s[6:7]
	v_lshlrev_b64 v[14:15], 2, v[14:15]
	s_waitcnt lgkmcnt(6)
	v_mov_b32_e32 v12, s25
	v_add_co_u32_e32 v14, vcc, s24, v14
	v_addc_co_u32_e32 v15, vcc, v12, v15, vcc
	global_store_dword v[14:15], v13, off
	s_or_b64 exec, exec, s[4:5]
	v_cmp_gt_u32_e32 vcc, s33, v33
	s_and_saveexec_b64 s[4:5], vcc
	s_cbranch_execnz .LBB682_144
.LBB682_179:
	s_or_b64 exec, exec, s[4:5]
	v_cmp_gt_u32_e32 vcc, s33, v32
	s_and_saveexec_b64 s[4:5], vcc
	s_cbranch_execz .LBB682_149
.LBB682_180:
	v_cmp_ge_u32_e32 vcc, v32, v18
                                        ; implicit-def: $vgpr12_vgpr13
	s_and_saveexec_b64 s[6:7], vcc
	s_xor_b64 s[6:7], exec, s[6:7]
	s_cbranch_execz .LBB682_182
; %bb.181:
	s_waitcnt lgkmcnt(5)
	v_xor_b32_e32 v10, 0xfffffcff, v0
	v_ashrrev_i32_e32 v13, 31, v10
	v_add_co_u32_e32 v12, vcc, v1, v10
	v_addc_co_u32_e32 v13, vcc, v19, v13, vcc
                                        ; implicit-def: $vgpr32
.LBB682_182:
	s_andn2_saveexec_b64 s[6:7], s[6:7]
	s_cbranch_execz .LBB682_184
; %bb.183:
	s_waitcnt lgkmcnt(6)
	v_add_co_u32_e32 v12, vcc, v16, v32
	v_addc_co_u32_e32 v13, vcc, 0, v17, vcc
.LBB682_184:
	s_or_b64 exec, exec, s[6:7]
	s_waitcnt lgkmcnt(6)
	v_lshlrev_b64 v[12:13], 2, v[12:13]
	s_waitcnt lgkmcnt(5)
	v_mov_b32_e32 v10, s25
	v_add_co_u32_e32 v12, vcc, s24, v12
	v_addc_co_u32_e32 v13, vcc, v10, v13, vcc
	global_store_dword v[12:13], v11, off
	s_or_b64 exec, exec, s[4:5]
	v_cmp_gt_u32_e32 vcc, s33, v31
	s_and_saveexec_b64 s[4:5], vcc
	s_cbranch_execnz .LBB682_150
.LBB682_185:
	s_or_b64 exec, exec, s[4:5]
	v_cmp_gt_u32_e32 vcc, s33, v30
	s_and_saveexec_b64 s[4:5], vcc
	s_cbranch_execz .LBB682_155
.LBB682_186:
	v_cmp_ge_u32_e32 vcc, v30, v18
                                        ; implicit-def: $vgpr10_vgpr11
	s_and_saveexec_b64 s[6:7], vcc
	s_xor_b64 s[6:7], exec, s[6:7]
	s_cbranch_execz .LBB682_188
; %bb.187:
	s_waitcnt lgkmcnt(4)
	v_xor_b32_e32 v8, 0xfffffaff, v0
	v_ashrrev_i32_e32 v11, 31, v8
	v_add_co_u32_e32 v10, vcc, v1, v8
	v_addc_co_u32_e32 v11, vcc, v19, v11, vcc
                                        ; implicit-def: $vgpr30
.LBB682_188:
	s_andn2_saveexec_b64 s[6:7], s[6:7]
	s_cbranch_execz .LBB682_190
; %bb.189:
	s_waitcnt lgkmcnt(5)
	v_add_co_u32_e32 v10, vcc, v16, v30
	v_addc_co_u32_e32 v11, vcc, 0, v17, vcc
.LBB682_190:
	s_or_b64 exec, exec, s[6:7]
	s_waitcnt lgkmcnt(5)
	v_lshlrev_b64 v[10:11], 2, v[10:11]
	s_waitcnt lgkmcnt(4)
	v_mov_b32_e32 v8, s25
	v_add_co_u32_e32 v10, vcc, s24, v10
	v_addc_co_u32_e32 v11, vcc, v8, v11, vcc
	global_store_dword v[10:11], v9, off
	s_or_b64 exec, exec, s[4:5]
	v_cmp_gt_u32_e32 vcc, s33, v29
	s_and_saveexec_b64 s[4:5], vcc
	s_cbranch_execnz .LBB682_156
.LBB682_191:
	s_or_b64 exec, exec, s[4:5]
	v_cmp_gt_u32_e32 vcc, s33, v28
	s_and_saveexec_b64 s[4:5], vcc
	s_cbranch_execz .LBB682_161
.LBB682_192:
	v_cmp_ge_u32_e32 vcc, v28, v18
                                        ; implicit-def: $vgpr8_vgpr9
	s_and_saveexec_b64 s[6:7], vcc
	s_xor_b64 s[6:7], exec, s[6:7]
	s_cbranch_execz .LBB682_194
; %bb.193:
	s_waitcnt lgkmcnt(3)
	v_xor_b32_e32 v6, 0xfffff8ff, v0
	v_ashrrev_i32_e32 v9, 31, v6
	v_add_co_u32_e32 v8, vcc, v1, v6
	v_addc_co_u32_e32 v9, vcc, v19, v9, vcc
                                        ; implicit-def: $vgpr28
.LBB682_194:
	s_andn2_saveexec_b64 s[6:7], s[6:7]
	s_cbranch_execz .LBB682_196
; %bb.195:
	s_waitcnt lgkmcnt(4)
	v_add_co_u32_e32 v8, vcc, v16, v28
	v_addc_co_u32_e32 v9, vcc, 0, v17, vcc
.LBB682_196:
	s_or_b64 exec, exec, s[6:7]
	s_waitcnt lgkmcnt(4)
	v_lshlrev_b64 v[8:9], 2, v[8:9]
	s_waitcnt lgkmcnt(3)
	v_mov_b32_e32 v6, s25
	v_add_co_u32_e32 v8, vcc, s24, v8
	v_addc_co_u32_e32 v9, vcc, v6, v9, vcc
	global_store_dword v[8:9], v7, off
	s_or_b64 exec, exec, s[4:5]
	v_cmp_gt_u32_e32 vcc, s33, v27
	s_and_saveexec_b64 s[4:5], vcc
	s_cbranch_execnz .LBB682_162
.LBB682_197:
	s_or_b64 exec, exec, s[4:5]
	v_cmp_gt_u32_e32 vcc, s33, v26
	s_and_saveexec_b64 s[4:5], vcc
	s_cbranch_execz .LBB682_167
.LBB682_198:
	v_cmp_ge_u32_e32 vcc, v26, v18
                                        ; implicit-def: $vgpr6_vgpr7
	s_and_saveexec_b64 s[6:7], vcc
	s_xor_b64 s[6:7], exec, s[6:7]
	s_cbranch_execz .LBB682_200
; %bb.199:
	s_waitcnt lgkmcnt(2)
	v_xor_b32_e32 v4, 0xfffff6ff, v0
	v_ashrrev_i32_e32 v7, 31, v4
	v_add_co_u32_e32 v6, vcc, v1, v4
	v_addc_co_u32_e32 v7, vcc, v19, v7, vcc
                                        ; implicit-def: $vgpr26
.LBB682_200:
	s_andn2_saveexec_b64 s[6:7], s[6:7]
	s_cbranch_execz .LBB682_202
; %bb.201:
	s_waitcnt lgkmcnt(3)
	v_add_co_u32_e32 v6, vcc, v16, v26
	v_addc_co_u32_e32 v7, vcc, 0, v17, vcc
.LBB682_202:
	s_or_b64 exec, exec, s[6:7]
	s_waitcnt lgkmcnt(3)
	v_lshlrev_b64 v[6:7], 2, v[6:7]
	s_waitcnt lgkmcnt(2)
	v_mov_b32_e32 v4, s25
	v_add_co_u32_e32 v6, vcc, s24, v6
	v_addc_co_u32_e32 v7, vcc, v4, v7, vcc
	global_store_dword v[6:7], v5, off
	s_or_b64 exec, exec, s[4:5]
	v_cmp_gt_u32_e32 vcc, s33, v25
	s_and_saveexec_b64 s[4:5], vcc
	s_cbranch_execnz .LBB682_168
.LBB682_203:
	s_or_b64 exec, exec, s[4:5]
	v_cmp_gt_u32_e32 vcc, s33, v24
	s_and_saveexec_b64 s[4:5], vcc
	s_cbranch_execz .LBB682_209
.LBB682_204:
	v_cmp_ge_u32_e32 vcc, v24, v18
                                        ; implicit-def: $vgpr4_vgpr5
	s_and_saveexec_b64 s[6:7], vcc
	s_xor_b64 s[6:7], exec, s[6:7]
	s_cbranch_execz .LBB682_206
; %bb.205:
	s_waitcnt lgkmcnt(1)
	v_xor_b32_e32 v2, 0xfffff4ff, v0
	v_ashrrev_i32_e32 v5, 31, v2
	v_add_co_u32_e32 v4, vcc, v1, v2
	v_addc_co_u32_e32 v5, vcc, v19, v5, vcc
                                        ; implicit-def: $vgpr24
.LBB682_206:
	s_andn2_saveexec_b64 s[6:7], s[6:7]
	s_cbranch_execz .LBB682_208
; %bb.207:
	s_waitcnt lgkmcnt(2)
	v_add_co_u32_e32 v4, vcc, v16, v24
	v_addc_co_u32_e32 v5, vcc, 0, v17, vcc
.LBB682_208:
	s_or_b64 exec, exec, s[6:7]
	s_waitcnt lgkmcnt(2)
	v_lshlrev_b64 v[4:5], 2, v[4:5]
	s_waitcnt lgkmcnt(1)
	v_mov_b32_e32 v2, s25
	v_add_co_u32_e32 v4, vcc, s24, v4
	v_addc_co_u32_e32 v5, vcc, v2, v5, vcc
	global_store_dword v[4:5], v3, off
.LBB682_209:
	s_or_b64 exec, exec, s[4:5]
	v_cmp_gt_u32_e32 vcc, s33, v23
                                        ; implicit-def: $vgpr14_vgpr15
	s_and_saveexec_b64 s[4:5], vcc
	s_cbranch_execz .LBB682_215
; %bb.210:
	v_cmp_ge_u32_e32 vcc, v23, v18
                                        ; implicit-def: $vgpr14_vgpr15
	s_and_saveexec_b64 s[6:7], vcc
	s_xor_b64 s[6:7], exec, s[6:7]
	s_cbranch_execz .LBB682_212
; %bb.211:
	v_xor_b32_e32 v0, 0xfffff3ff, v0
	s_waitcnt lgkmcnt(1)
	v_ashrrev_i32_e32 v2, 31, v0
	v_add_co_u32_e32 v14, vcc, v1, v0
	v_addc_co_u32_e32 v15, vcc, v19, v2, vcc
                                        ; implicit-def: $vgpr23
.LBB682_212:
	s_andn2_saveexec_b64 s[6:7], s[6:7]
; %bb.213:
	v_add_co_u32_e32 v14, vcc, v16, v23
	v_addc_co_u32_e32 v15, vcc, 0, v17, vcc
; %bb.214:
	s_or_b64 exec, exec, s[6:7]
	s_or_b64 s[2:3], s[2:3], exec
.LBB682_215:
	s_or_b64 exec, exec, s[4:5]
	s_and_saveexec_b64 s[4:5], s[2:3]
	s_cbranch_execnz .LBB682_134
.LBB682_216:
	s_or_b64 exec, exec, s[4:5]
	s_and_b64 s[0:1], s[0:1], s[22:23]
	s_and_saveexec_b64 s[2:3], s[0:1]
	s_cbranch_execz .LBB682_135
.LBB682_217:
	v_add_co_u32_e32 v0, vcc, v16, v18
	s_waitcnt lgkmcnt(1)
	v_mov_b32_e32 v2, 0
	v_addc_co_u32_e32 v1, vcc, 0, v17, vcc
	global_store_dwordx2 v2, v[0:1], s[20:21]
	s_endpgm
	.section	.rodata,"a",@progbits
	.p2align	6, 0x0
	.amdhsa_kernel _ZN7rocprim17ROCPRIM_400000_NS6detail17trampoline_kernelINS0_13select_configILj256ELj13ELNS0_17block_load_methodE3ELS4_3ELS4_3ELNS0_20block_scan_algorithmE0ELj4294967295EEENS1_25partition_config_selectorILNS1_17partition_subalgoE3EjNS0_10empty_typeEbEEZZNS1_14partition_implILS8_3ELb0ES6_jNS0_17counting_iteratorIjlEEPS9_SE_NS0_5tupleIJPjSE_EEENSF_IJSE_SE_EEES9_SG_JZNS1_25segmented_radix_sort_implINS0_14default_configELb1EPKlPlSM_SN_N2at6native12_GLOBAL__N_18offset_tEEE10hipError_tPvRmT1_PNSt15iterator_traitsISV_E10value_typeET2_T3_PNSW_IS11_E10value_typeET4_jRbjT5_S17_jjP12ihipStream_tbEUljE_EEESS_ST_SU_S11_S15_S17_T6_T7_T9_mT8_S19_bDpT10_ENKUlT_T0_E_clISt17integral_constantIbLb1EES1M_EEDaS1H_S1I_EUlS1H_E_NS1_11comp_targetILNS1_3genE4ELNS1_11target_archE910ELNS1_3gpuE8ELNS1_3repE0EEENS1_30default_config_static_selectorELNS0_4arch9wavefront6targetE1EEEvSV_
		.amdhsa_group_segment_fixed_size 13324
		.amdhsa_private_segment_fixed_size 0
		.amdhsa_kernarg_size 152
		.amdhsa_user_sgpr_count 6
		.amdhsa_user_sgpr_private_segment_buffer 1
		.amdhsa_user_sgpr_dispatch_ptr 0
		.amdhsa_user_sgpr_queue_ptr 0
		.amdhsa_user_sgpr_kernarg_segment_ptr 1
		.amdhsa_user_sgpr_dispatch_id 0
		.amdhsa_user_sgpr_flat_scratch_init 0
		.amdhsa_user_sgpr_kernarg_preload_length 0
		.amdhsa_user_sgpr_kernarg_preload_offset 0
		.amdhsa_user_sgpr_private_segment_size 0
		.amdhsa_uses_dynamic_stack 0
		.amdhsa_system_sgpr_private_segment_wavefront_offset 0
		.amdhsa_system_sgpr_workgroup_id_x 1
		.amdhsa_system_sgpr_workgroup_id_y 0
		.amdhsa_system_sgpr_workgroup_id_z 0
		.amdhsa_system_sgpr_workgroup_info 0
		.amdhsa_system_vgpr_workitem_id 0
		.amdhsa_next_free_vgpr 64
		.amdhsa_next_free_sgpr 44
		.amdhsa_accum_offset 64
		.amdhsa_reserve_vcc 1
		.amdhsa_reserve_flat_scratch 0
		.amdhsa_float_round_mode_32 0
		.amdhsa_float_round_mode_16_64 0
		.amdhsa_float_denorm_mode_32 3
		.amdhsa_float_denorm_mode_16_64 3
		.amdhsa_dx10_clamp 1
		.amdhsa_ieee_mode 1
		.amdhsa_fp16_overflow 0
		.amdhsa_tg_split 0
		.amdhsa_exception_fp_ieee_invalid_op 0
		.amdhsa_exception_fp_denorm_src 0
		.amdhsa_exception_fp_ieee_div_zero 0
		.amdhsa_exception_fp_ieee_overflow 0
		.amdhsa_exception_fp_ieee_underflow 0
		.amdhsa_exception_fp_ieee_inexact 0
		.amdhsa_exception_int_div_zero 0
	.end_amdhsa_kernel
	.section	.text._ZN7rocprim17ROCPRIM_400000_NS6detail17trampoline_kernelINS0_13select_configILj256ELj13ELNS0_17block_load_methodE3ELS4_3ELS4_3ELNS0_20block_scan_algorithmE0ELj4294967295EEENS1_25partition_config_selectorILNS1_17partition_subalgoE3EjNS0_10empty_typeEbEEZZNS1_14partition_implILS8_3ELb0ES6_jNS0_17counting_iteratorIjlEEPS9_SE_NS0_5tupleIJPjSE_EEENSF_IJSE_SE_EEES9_SG_JZNS1_25segmented_radix_sort_implINS0_14default_configELb1EPKlPlSM_SN_N2at6native12_GLOBAL__N_18offset_tEEE10hipError_tPvRmT1_PNSt15iterator_traitsISV_E10value_typeET2_T3_PNSW_IS11_E10value_typeET4_jRbjT5_S17_jjP12ihipStream_tbEUljE_EEESS_ST_SU_S11_S15_S17_T6_T7_T9_mT8_S19_bDpT10_ENKUlT_T0_E_clISt17integral_constantIbLb1EES1M_EEDaS1H_S1I_EUlS1H_E_NS1_11comp_targetILNS1_3genE4ELNS1_11target_archE910ELNS1_3gpuE8ELNS1_3repE0EEENS1_30default_config_static_selectorELNS0_4arch9wavefront6targetE1EEEvSV_,"axG",@progbits,_ZN7rocprim17ROCPRIM_400000_NS6detail17trampoline_kernelINS0_13select_configILj256ELj13ELNS0_17block_load_methodE3ELS4_3ELS4_3ELNS0_20block_scan_algorithmE0ELj4294967295EEENS1_25partition_config_selectorILNS1_17partition_subalgoE3EjNS0_10empty_typeEbEEZZNS1_14partition_implILS8_3ELb0ES6_jNS0_17counting_iteratorIjlEEPS9_SE_NS0_5tupleIJPjSE_EEENSF_IJSE_SE_EEES9_SG_JZNS1_25segmented_radix_sort_implINS0_14default_configELb1EPKlPlSM_SN_N2at6native12_GLOBAL__N_18offset_tEEE10hipError_tPvRmT1_PNSt15iterator_traitsISV_E10value_typeET2_T3_PNSW_IS11_E10value_typeET4_jRbjT5_S17_jjP12ihipStream_tbEUljE_EEESS_ST_SU_S11_S15_S17_T6_T7_T9_mT8_S19_bDpT10_ENKUlT_T0_E_clISt17integral_constantIbLb1EES1M_EEDaS1H_S1I_EUlS1H_E_NS1_11comp_targetILNS1_3genE4ELNS1_11target_archE910ELNS1_3gpuE8ELNS1_3repE0EEENS1_30default_config_static_selectorELNS0_4arch9wavefront6targetE1EEEvSV_,comdat
.Lfunc_end682:
	.size	_ZN7rocprim17ROCPRIM_400000_NS6detail17trampoline_kernelINS0_13select_configILj256ELj13ELNS0_17block_load_methodE3ELS4_3ELS4_3ELNS0_20block_scan_algorithmE0ELj4294967295EEENS1_25partition_config_selectorILNS1_17partition_subalgoE3EjNS0_10empty_typeEbEEZZNS1_14partition_implILS8_3ELb0ES6_jNS0_17counting_iteratorIjlEEPS9_SE_NS0_5tupleIJPjSE_EEENSF_IJSE_SE_EEES9_SG_JZNS1_25segmented_radix_sort_implINS0_14default_configELb1EPKlPlSM_SN_N2at6native12_GLOBAL__N_18offset_tEEE10hipError_tPvRmT1_PNSt15iterator_traitsISV_E10value_typeET2_T3_PNSW_IS11_E10value_typeET4_jRbjT5_S17_jjP12ihipStream_tbEUljE_EEESS_ST_SU_S11_S15_S17_T6_T7_T9_mT8_S19_bDpT10_ENKUlT_T0_E_clISt17integral_constantIbLb1EES1M_EEDaS1H_S1I_EUlS1H_E_NS1_11comp_targetILNS1_3genE4ELNS1_11target_archE910ELNS1_3gpuE8ELNS1_3repE0EEENS1_30default_config_static_selectorELNS0_4arch9wavefront6targetE1EEEvSV_, .Lfunc_end682-_ZN7rocprim17ROCPRIM_400000_NS6detail17trampoline_kernelINS0_13select_configILj256ELj13ELNS0_17block_load_methodE3ELS4_3ELS4_3ELNS0_20block_scan_algorithmE0ELj4294967295EEENS1_25partition_config_selectorILNS1_17partition_subalgoE3EjNS0_10empty_typeEbEEZZNS1_14partition_implILS8_3ELb0ES6_jNS0_17counting_iteratorIjlEEPS9_SE_NS0_5tupleIJPjSE_EEENSF_IJSE_SE_EEES9_SG_JZNS1_25segmented_radix_sort_implINS0_14default_configELb1EPKlPlSM_SN_N2at6native12_GLOBAL__N_18offset_tEEE10hipError_tPvRmT1_PNSt15iterator_traitsISV_E10value_typeET2_T3_PNSW_IS11_E10value_typeET4_jRbjT5_S17_jjP12ihipStream_tbEUljE_EEESS_ST_SU_S11_S15_S17_T6_T7_T9_mT8_S19_bDpT10_ENKUlT_T0_E_clISt17integral_constantIbLb1EES1M_EEDaS1H_S1I_EUlS1H_E_NS1_11comp_targetILNS1_3genE4ELNS1_11target_archE910ELNS1_3gpuE8ELNS1_3repE0EEENS1_30default_config_static_selectorELNS0_4arch9wavefront6targetE1EEEvSV_
                                        ; -- End function
	.section	.AMDGPU.csdata,"",@progbits
; Kernel info:
; codeLenInByte = 7896
; NumSgprs: 48
; NumVgprs: 64
; NumAgprs: 0
; TotalNumVgprs: 64
; ScratchSize: 0
; MemoryBound: 0
; FloatMode: 240
; IeeeMode: 1
; LDSByteSize: 13324 bytes/workgroup (compile time only)
; SGPRBlocks: 5
; VGPRBlocks: 7
; NumSGPRsForWavesPerEU: 48
; NumVGPRsForWavesPerEU: 64
; AccumOffset: 64
; Occupancy: 4
; WaveLimiterHint : 0
; COMPUTE_PGM_RSRC2:SCRATCH_EN: 0
; COMPUTE_PGM_RSRC2:USER_SGPR: 6
; COMPUTE_PGM_RSRC2:TRAP_HANDLER: 0
; COMPUTE_PGM_RSRC2:TGID_X_EN: 1
; COMPUTE_PGM_RSRC2:TGID_Y_EN: 0
; COMPUTE_PGM_RSRC2:TGID_Z_EN: 0
; COMPUTE_PGM_RSRC2:TIDIG_COMP_CNT: 0
; COMPUTE_PGM_RSRC3_GFX90A:ACCUM_OFFSET: 15
; COMPUTE_PGM_RSRC3_GFX90A:TG_SPLIT: 0
	.section	.text._ZN7rocprim17ROCPRIM_400000_NS6detail17trampoline_kernelINS0_13select_configILj256ELj13ELNS0_17block_load_methodE3ELS4_3ELS4_3ELNS0_20block_scan_algorithmE0ELj4294967295EEENS1_25partition_config_selectorILNS1_17partition_subalgoE3EjNS0_10empty_typeEbEEZZNS1_14partition_implILS8_3ELb0ES6_jNS0_17counting_iteratorIjlEEPS9_SE_NS0_5tupleIJPjSE_EEENSF_IJSE_SE_EEES9_SG_JZNS1_25segmented_radix_sort_implINS0_14default_configELb1EPKlPlSM_SN_N2at6native12_GLOBAL__N_18offset_tEEE10hipError_tPvRmT1_PNSt15iterator_traitsISV_E10value_typeET2_T3_PNSW_IS11_E10value_typeET4_jRbjT5_S17_jjP12ihipStream_tbEUljE_EEESS_ST_SU_S11_S15_S17_T6_T7_T9_mT8_S19_bDpT10_ENKUlT_T0_E_clISt17integral_constantIbLb1EES1M_EEDaS1H_S1I_EUlS1H_E_NS1_11comp_targetILNS1_3genE3ELNS1_11target_archE908ELNS1_3gpuE7ELNS1_3repE0EEENS1_30default_config_static_selectorELNS0_4arch9wavefront6targetE1EEEvSV_,"axG",@progbits,_ZN7rocprim17ROCPRIM_400000_NS6detail17trampoline_kernelINS0_13select_configILj256ELj13ELNS0_17block_load_methodE3ELS4_3ELS4_3ELNS0_20block_scan_algorithmE0ELj4294967295EEENS1_25partition_config_selectorILNS1_17partition_subalgoE3EjNS0_10empty_typeEbEEZZNS1_14partition_implILS8_3ELb0ES6_jNS0_17counting_iteratorIjlEEPS9_SE_NS0_5tupleIJPjSE_EEENSF_IJSE_SE_EEES9_SG_JZNS1_25segmented_radix_sort_implINS0_14default_configELb1EPKlPlSM_SN_N2at6native12_GLOBAL__N_18offset_tEEE10hipError_tPvRmT1_PNSt15iterator_traitsISV_E10value_typeET2_T3_PNSW_IS11_E10value_typeET4_jRbjT5_S17_jjP12ihipStream_tbEUljE_EEESS_ST_SU_S11_S15_S17_T6_T7_T9_mT8_S19_bDpT10_ENKUlT_T0_E_clISt17integral_constantIbLb1EES1M_EEDaS1H_S1I_EUlS1H_E_NS1_11comp_targetILNS1_3genE3ELNS1_11target_archE908ELNS1_3gpuE7ELNS1_3repE0EEENS1_30default_config_static_selectorELNS0_4arch9wavefront6targetE1EEEvSV_,comdat
	.globl	_ZN7rocprim17ROCPRIM_400000_NS6detail17trampoline_kernelINS0_13select_configILj256ELj13ELNS0_17block_load_methodE3ELS4_3ELS4_3ELNS0_20block_scan_algorithmE0ELj4294967295EEENS1_25partition_config_selectorILNS1_17partition_subalgoE3EjNS0_10empty_typeEbEEZZNS1_14partition_implILS8_3ELb0ES6_jNS0_17counting_iteratorIjlEEPS9_SE_NS0_5tupleIJPjSE_EEENSF_IJSE_SE_EEES9_SG_JZNS1_25segmented_radix_sort_implINS0_14default_configELb1EPKlPlSM_SN_N2at6native12_GLOBAL__N_18offset_tEEE10hipError_tPvRmT1_PNSt15iterator_traitsISV_E10value_typeET2_T3_PNSW_IS11_E10value_typeET4_jRbjT5_S17_jjP12ihipStream_tbEUljE_EEESS_ST_SU_S11_S15_S17_T6_T7_T9_mT8_S19_bDpT10_ENKUlT_T0_E_clISt17integral_constantIbLb1EES1M_EEDaS1H_S1I_EUlS1H_E_NS1_11comp_targetILNS1_3genE3ELNS1_11target_archE908ELNS1_3gpuE7ELNS1_3repE0EEENS1_30default_config_static_selectorELNS0_4arch9wavefront6targetE1EEEvSV_ ; -- Begin function _ZN7rocprim17ROCPRIM_400000_NS6detail17trampoline_kernelINS0_13select_configILj256ELj13ELNS0_17block_load_methodE3ELS4_3ELS4_3ELNS0_20block_scan_algorithmE0ELj4294967295EEENS1_25partition_config_selectorILNS1_17partition_subalgoE3EjNS0_10empty_typeEbEEZZNS1_14partition_implILS8_3ELb0ES6_jNS0_17counting_iteratorIjlEEPS9_SE_NS0_5tupleIJPjSE_EEENSF_IJSE_SE_EEES9_SG_JZNS1_25segmented_radix_sort_implINS0_14default_configELb1EPKlPlSM_SN_N2at6native12_GLOBAL__N_18offset_tEEE10hipError_tPvRmT1_PNSt15iterator_traitsISV_E10value_typeET2_T3_PNSW_IS11_E10value_typeET4_jRbjT5_S17_jjP12ihipStream_tbEUljE_EEESS_ST_SU_S11_S15_S17_T6_T7_T9_mT8_S19_bDpT10_ENKUlT_T0_E_clISt17integral_constantIbLb1EES1M_EEDaS1H_S1I_EUlS1H_E_NS1_11comp_targetILNS1_3genE3ELNS1_11target_archE908ELNS1_3gpuE7ELNS1_3repE0EEENS1_30default_config_static_selectorELNS0_4arch9wavefront6targetE1EEEvSV_
	.p2align	8
	.type	_ZN7rocprim17ROCPRIM_400000_NS6detail17trampoline_kernelINS0_13select_configILj256ELj13ELNS0_17block_load_methodE3ELS4_3ELS4_3ELNS0_20block_scan_algorithmE0ELj4294967295EEENS1_25partition_config_selectorILNS1_17partition_subalgoE3EjNS0_10empty_typeEbEEZZNS1_14partition_implILS8_3ELb0ES6_jNS0_17counting_iteratorIjlEEPS9_SE_NS0_5tupleIJPjSE_EEENSF_IJSE_SE_EEES9_SG_JZNS1_25segmented_radix_sort_implINS0_14default_configELb1EPKlPlSM_SN_N2at6native12_GLOBAL__N_18offset_tEEE10hipError_tPvRmT1_PNSt15iterator_traitsISV_E10value_typeET2_T3_PNSW_IS11_E10value_typeET4_jRbjT5_S17_jjP12ihipStream_tbEUljE_EEESS_ST_SU_S11_S15_S17_T6_T7_T9_mT8_S19_bDpT10_ENKUlT_T0_E_clISt17integral_constantIbLb1EES1M_EEDaS1H_S1I_EUlS1H_E_NS1_11comp_targetILNS1_3genE3ELNS1_11target_archE908ELNS1_3gpuE7ELNS1_3repE0EEENS1_30default_config_static_selectorELNS0_4arch9wavefront6targetE1EEEvSV_,@function
_ZN7rocprim17ROCPRIM_400000_NS6detail17trampoline_kernelINS0_13select_configILj256ELj13ELNS0_17block_load_methodE3ELS4_3ELS4_3ELNS0_20block_scan_algorithmE0ELj4294967295EEENS1_25partition_config_selectorILNS1_17partition_subalgoE3EjNS0_10empty_typeEbEEZZNS1_14partition_implILS8_3ELb0ES6_jNS0_17counting_iteratorIjlEEPS9_SE_NS0_5tupleIJPjSE_EEENSF_IJSE_SE_EEES9_SG_JZNS1_25segmented_radix_sort_implINS0_14default_configELb1EPKlPlSM_SN_N2at6native12_GLOBAL__N_18offset_tEEE10hipError_tPvRmT1_PNSt15iterator_traitsISV_E10value_typeET2_T3_PNSW_IS11_E10value_typeET4_jRbjT5_S17_jjP12ihipStream_tbEUljE_EEESS_ST_SU_S11_S15_S17_T6_T7_T9_mT8_S19_bDpT10_ENKUlT_T0_E_clISt17integral_constantIbLb1EES1M_EEDaS1H_S1I_EUlS1H_E_NS1_11comp_targetILNS1_3genE3ELNS1_11target_archE908ELNS1_3gpuE7ELNS1_3repE0EEENS1_30default_config_static_selectorELNS0_4arch9wavefront6targetE1EEEvSV_: ; @_ZN7rocprim17ROCPRIM_400000_NS6detail17trampoline_kernelINS0_13select_configILj256ELj13ELNS0_17block_load_methodE3ELS4_3ELS4_3ELNS0_20block_scan_algorithmE0ELj4294967295EEENS1_25partition_config_selectorILNS1_17partition_subalgoE3EjNS0_10empty_typeEbEEZZNS1_14partition_implILS8_3ELb0ES6_jNS0_17counting_iteratorIjlEEPS9_SE_NS0_5tupleIJPjSE_EEENSF_IJSE_SE_EEES9_SG_JZNS1_25segmented_radix_sort_implINS0_14default_configELb1EPKlPlSM_SN_N2at6native12_GLOBAL__N_18offset_tEEE10hipError_tPvRmT1_PNSt15iterator_traitsISV_E10value_typeET2_T3_PNSW_IS11_E10value_typeET4_jRbjT5_S17_jjP12ihipStream_tbEUljE_EEESS_ST_SU_S11_S15_S17_T6_T7_T9_mT8_S19_bDpT10_ENKUlT_T0_E_clISt17integral_constantIbLb1EES1M_EEDaS1H_S1I_EUlS1H_E_NS1_11comp_targetILNS1_3genE3ELNS1_11target_archE908ELNS1_3gpuE7ELNS1_3repE0EEENS1_30default_config_static_selectorELNS0_4arch9wavefront6targetE1EEEvSV_
; %bb.0:
	.section	.rodata,"a",@progbits
	.p2align	6, 0x0
	.amdhsa_kernel _ZN7rocprim17ROCPRIM_400000_NS6detail17trampoline_kernelINS0_13select_configILj256ELj13ELNS0_17block_load_methodE3ELS4_3ELS4_3ELNS0_20block_scan_algorithmE0ELj4294967295EEENS1_25partition_config_selectorILNS1_17partition_subalgoE3EjNS0_10empty_typeEbEEZZNS1_14partition_implILS8_3ELb0ES6_jNS0_17counting_iteratorIjlEEPS9_SE_NS0_5tupleIJPjSE_EEENSF_IJSE_SE_EEES9_SG_JZNS1_25segmented_radix_sort_implINS0_14default_configELb1EPKlPlSM_SN_N2at6native12_GLOBAL__N_18offset_tEEE10hipError_tPvRmT1_PNSt15iterator_traitsISV_E10value_typeET2_T3_PNSW_IS11_E10value_typeET4_jRbjT5_S17_jjP12ihipStream_tbEUljE_EEESS_ST_SU_S11_S15_S17_T6_T7_T9_mT8_S19_bDpT10_ENKUlT_T0_E_clISt17integral_constantIbLb1EES1M_EEDaS1H_S1I_EUlS1H_E_NS1_11comp_targetILNS1_3genE3ELNS1_11target_archE908ELNS1_3gpuE7ELNS1_3repE0EEENS1_30default_config_static_selectorELNS0_4arch9wavefront6targetE1EEEvSV_
		.amdhsa_group_segment_fixed_size 0
		.amdhsa_private_segment_fixed_size 0
		.amdhsa_kernarg_size 152
		.amdhsa_user_sgpr_count 6
		.amdhsa_user_sgpr_private_segment_buffer 1
		.amdhsa_user_sgpr_dispatch_ptr 0
		.amdhsa_user_sgpr_queue_ptr 0
		.amdhsa_user_sgpr_kernarg_segment_ptr 1
		.amdhsa_user_sgpr_dispatch_id 0
		.amdhsa_user_sgpr_flat_scratch_init 0
		.amdhsa_user_sgpr_kernarg_preload_length 0
		.amdhsa_user_sgpr_kernarg_preload_offset 0
		.amdhsa_user_sgpr_private_segment_size 0
		.amdhsa_uses_dynamic_stack 0
		.amdhsa_system_sgpr_private_segment_wavefront_offset 0
		.amdhsa_system_sgpr_workgroup_id_x 1
		.amdhsa_system_sgpr_workgroup_id_y 0
		.amdhsa_system_sgpr_workgroup_id_z 0
		.amdhsa_system_sgpr_workgroup_info 0
		.amdhsa_system_vgpr_workitem_id 0
		.amdhsa_next_free_vgpr 1
		.amdhsa_next_free_sgpr 0
		.amdhsa_accum_offset 4
		.amdhsa_reserve_vcc 0
		.amdhsa_reserve_flat_scratch 0
		.amdhsa_float_round_mode_32 0
		.amdhsa_float_round_mode_16_64 0
		.amdhsa_float_denorm_mode_32 3
		.amdhsa_float_denorm_mode_16_64 3
		.amdhsa_dx10_clamp 1
		.amdhsa_ieee_mode 1
		.amdhsa_fp16_overflow 0
		.amdhsa_tg_split 0
		.amdhsa_exception_fp_ieee_invalid_op 0
		.amdhsa_exception_fp_denorm_src 0
		.amdhsa_exception_fp_ieee_div_zero 0
		.amdhsa_exception_fp_ieee_overflow 0
		.amdhsa_exception_fp_ieee_underflow 0
		.amdhsa_exception_fp_ieee_inexact 0
		.amdhsa_exception_int_div_zero 0
	.end_amdhsa_kernel
	.section	.text._ZN7rocprim17ROCPRIM_400000_NS6detail17trampoline_kernelINS0_13select_configILj256ELj13ELNS0_17block_load_methodE3ELS4_3ELS4_3ELNS0_20block_scan_algorithmE0ELj4294967295EEENS1_25partition_config_selectorILNS1_17partition_subalgoE3EjNS0_10empty_typeEbEEZZNS1_14partition_implILS8_3ELb0ES6_jNS0_17counting_iteratorIjlEEPS9_SE_NS0_5tupleIJPjSE_EEENSF_IJSE_SE_EEES9_SG_JZNS1_25segmented_radix_sort_implINS0_14default_configELb1EPKlPlSM_SN_N2at6native12_GLOBAL__N_18offset_tEEE10hipError_tPvRmT1_PNSt15iterator_traitsISV_E10value_typeET2_T3_PNSW_IS11_E10value_typeET4_jRbjT5_S17_jjP12ihipStream_tbEUljE_EEESS_ST_SU_S11_S15_S17_T6_T7_T9_mT8_S19_bDpT10_ENKUlT_T0_E_clISt17integral_constantIbLb1EES1M_EEDaS1H_S1I_EUlS1H_E_NS1_11comp_targetILNS1_3genE3ELNS1_11target_archE908ELNS1_3gpuE7ELNS1_3repE0EEENS1_30default_config_static_selectorELNS0_4arch9wavefront6targetE1EEEvSV_,"axG",@progbits,_ZN7rocprim17ROCPRIM_400000_NS6detail17trampoline_kernelINS0_13select_configILj256ELj13ELNS0_17block_load_methodE3ELS4_3ELS4_3ELNS0_20block_scan_algorithmE0ELj4294967295EEENS1_25partition_config_selectorILNS1_17partition_subalgoE3EjNS0_10empty_typeEbEEZZNS1_14partition_implILS8_3ELb0ES6_jNS0_17counting_iteratorIjlEEPS9_SE_NS0_5tupleIJPjSE_EEENSF_IJSE_SE_EEES9_SG_JZNS1_25segmented_radix_sort_implINS0_14default_configELb1EPKlPlSM_SN_N2at6native12_GLOBAL__N_18offset_tEEE10hipError_tPvRmT1_PNSt15iterator_traitsISV_E10value_typeET2_T3_PNSW_IS11_E10value_typeET4_jRbjT5_S17_jjP12ihipStream_tbEUljE_EEESS_ST_SU_S11_S15_S17_T6_T7_T9_mT8_S19_bDpT10_ENKUlT_T0_E_clISt17integral_constantIbLb1EES1M_EEDaS1H_S1I_EUlS1H_E_NS1_11comp_targetILNS1_3genE3ELNS1_11target_archE908ELNS1_3gpuE7ELNS1_3repE0EEENS1_30default_config_static_selectorELNS0_4arch9wavefront6targetE1EEEvSV_,comdat
.Lfunc_end683:
	.size	_ZN7rocprim17ROCPRIM_400000_NS6detail17trampoline_kernelINS0_13select_configILj256ELj13ELNS0_17block_load_methodE3ELS4_3ELS4_3ELNS0_20block_scan_algorithmE0ELj4294967295EEENS1_25partition_config_selectorILNS1_17partition_subalgoE3EjNS0_10empty_typeEbEEZZNS1_14partition_implILS8_3ELb0ES6_jNS0_17counting_iteratorIjlEEPS9_SE_NS0_5tupleIJPjSE_EEENSF_IJSE_SE_EEES9_SG_JZNS1_25segmented_radix_sort_implINS0_14default_configELb1EPKlPlSM_SN_N2at6native12_GLOBAL__N_18offset_tEEE10hipError_tPvRmT1_PNSt15iterator_traitsISV_E10value_typeET2_T3_PNSW_IS11_E10value_typeET4_jRbjT5_S17_jjP12ihipStream_tbEUljE_EEESS_ST_SU_S11_S15_S17_T6_T7_T9_mT8_S19_bDpT10_ENKUlT_T0_E_clISt17integral_constantIbLb1EES1M_EEDaS1H_S1I_EUlS1H_E_NS1_11comp_targetILNS1_3genE3ELNS1_11target_archE908ELNS1_3gpuE7ELNS1_3repE0EEENS1_30default_config_static_selectorELNS0_4arch9wavefront6targetE1EEEvSV_, .Lfunc_end683-_ZN7rocprim17ROCPRIM_400000_NS6detail17trampoline_kernelINS0_13select_configILj256ELj13ELNS0_17block_load_methodE3ELS4_3ELS4_3ELNS0_20block_scan_algorithmE0ELj4294967295EEENS1_25partition_config_selectorILNS1_17partition_subalgoE3EjNS0_10empty_typeEbEEZZNS1_14partition_implILS8_3ELb0ES6_jNS0_17counting_iteratorIjlEEPS9_SE_NS0_5tupleIJPjSE_EEENSF_IJSE_SE_EEES9_SG_JZNS1_25segmented_radix_sort_implINS0_14default_configELb1EPKlPlSM_SN_N2at6native12_GLOBAL__N_18offset_tEEE10hipError_tPvRmT1_PNSt15iterator_traitsISV_E10value_typeET2_T3_PNSW_IS11_E10value_typeET4_jRbjT5_S17_jjP12ihipStream_tbEUljE_EEESS_ST_SU_S11_S15_S17_T6_T7_T9_mT8_S19_bDpT10_ENKUlT_T0_E_clISt17integral_constantIbLb1EES1M_EEDaS1H_S1I_EUlS1H_E_NS1_11comp_targetILNS1_3genE3ELNS1_11target_archE908ELNS1_3gpuE7ELNS1_3repE0EEENS1_30default_config_static_selectorELNS0_4arch9wavefront6targetE1EEEvSV_
                                        ; -- End function
	.section	.AMDGPU.csdata,"",@progbits
; Kernel info:
; codeLenInByte = 0
; NumSgprs: 4
; NumVgprs: 0
; NumAgprs: 0
; TotalNumVgprs: 0
; ScratchSize: 0
; MemoryBound: 0
; FloatMode: 240
; IeeeMode: 1
; LDSByteSize: 0 bytes/workgroup (compile time only)
; SGPRBlocks: 0
; VGPRBlocks: 0
; NumSGPRsForWavesPerEU: 4
; NumVGPRsForWavesPerEU: 1
; AccumOffset: 4
; Occupancy: 8
; WaveLimiterHint : 0
; COMPUTE_PGM_RSRC2:SCRATCH_EN: 0
; COMPUTE_PGM_RSRC2:USER_SGPR: 6
; COMPUTE_PGM_RSRC2:TRAP_HANDLER: 0
; COMPUTE_PGM_RSRC2:TGID_X_EN: 1
; COMPUTE_PGM_RSRC2:TGID_Y_EN: 0
; COMPUTE_PGM_RSRC2:TGID_Z_EN: 0
; COMPUTE_PGM_RSRC2:TIDIG_COMP_CNT: 0
; COMPUTE_PGM_RSRC3_GFX90A:ACCUM_OFFSET: 0
; COMPUTE_PGM_RSRC3_GFX90A:TG_SPLIT: 0
	.section	.text._ZN7rocprim17ROCPRIM_400000_NS6detail17trampoline_kernelINS0_13select_configILj256ELj13ELNS0_17block_load_methodE3ELS4_3ELS4_3ELNS0_20block_scan_algorithmE0ELj4294967295EEENS1_25partition_config_selectorILNS1_17partition_subalgoE3EjNS0_10empty_typeEbEEZZNS1_14partition_implILS8_3ELb0ES6_jNS0_17counting_iteratorIjlEEPS9_SE_NS0_5tupleIJPjSE_EEENSF_IJSE_SE_EEES9_SG_JZNS1_25segmented_radix_sort_implINS0_14default_configELb1EPKlPlSM_SN_N2at6native12_GLOBAL__N_18offset_tEEE10hipError_tPvRmT1_PNSt15iterator_traitsISV_E10value_typeET2_T3_PNSW_IS11_E10value_typeET4_jRbjT5_S17_jjP12ihipStream_tbEUljE_EEESS_ST_SU_S11_S15_S17_T6_T7_T9_mT8_S19_bDpT10_ENKUlT_T0_E_clISt17integral_constantIbLb1EES1M_EEDaS1H_S1I_EUlS1H_E_NS1_11comp_targetILNS1_3genE2ELNS1_11target_archE906ELNS1_3gpuE6ELNS1_3repE0EEENS1_30default_config_static_selectorELNS0_4arch9wavefront6targetE1EEEvSV_,"axG",@progbits,_ZN7rocprim17ROCPRIM_400000_NS6detail17trampoline_kernelINS0_13select_configILj256ELj13ELNS0_17block_load_methodE3ELS4_3ELS4_3ELNS0_20block_scan_algorithmE0ELj4294967295EEENS1_25partition_config_selectorILNS1_17partition_subalgoE3EjNS0_10empty_typeEbEEZZNS1_14partition_implILS8_3ELb0ES6_jNS0_17counting_iteratorIjlEEPS9_SE_NS0_5tupleIJPjSE_EEENSF_IJSE_SE_EEES9_SG_JZNS1_25segmented_radix_sort_implINS0_14default_configELb1EPKlPlSM_SN_N2at6native12_GLOBAL__N_18offset_tEEE10hipError_tPvRmT1_PNSt15iterator_traitsISV_E10value_typeET2_T3_PNSW_IS11_E10value_typeET4_jRbjT5_S17_jjP12ihipStream_tbEUljE_EEESS_ST_SU_S11_S15_S17_T6_T7_T9_mT8_S19_bDpT10_ENKUlT_T0_E_clISt17integral_constantIbLb1EES1M_EEDaS1H_S1I_EUlS1H_E_NS1_11comp_targetILNS1_3genE2ELNS1_11target_archE906ELNS1_3gpuE6ELNS1_3repE0EEENS1_30default_config_static_selectorELNS0_4arch9wavefront6targetE1EEEvSV_,comdat
	.globl	_ZN7rocprim17ROCPRIM_400000_NS6detail17trampoline_kernelINS0_13select_configILj256ELj13ELNS0_17block_load_methodE3ELS4_3ELS4_3ELNS0_20block_scan_algorithmE0ELj4294967295EEENS1_25partition_config_selectorILNS1_17partition_subalgoE3EjNS0_10empty_typeEbEEZZNS1_14partition_implILS8_3ELb0ES6_jNS0_17counting_iteratorIjlEEPS9_SE_NS0_5tupleIJPjSE_EEENSF_IJSE_SE_EEES9_SG_JZNS1_25segmented_radix_sort_implINS0_14default_configELb1EPKlPlSM_SN_N2at6native12_GLOBAL__N_18offset_tEEE10hipError_tPvRmT1_PNSt15iterator_traitsISV_E10value_typeET2_T3_PNSW_IS11_E10value_typeET4_jRbjT5_S17_jjP12ihipStream_tbEUljE_EEESS_ST_SU_S11_S15_S17_T6_T7_T9_mT8_S19_bDpT10_ENKUlT_T0_E_clISt17integral_constantIbLb1EES1M_EEDaS1H_S1I_EUlS1H_E_NS1_11comp_targetILNS1_3genE2ELNS1_11target_archE906ELNS1_3gpuE6ELNS1_3repE0EEENS1_30default_config_static_selectorELNS0_4arch9wavefront6targetE1EEEvSV_ ; -- Begin function _ZN7rocprim17ROCPRIM_400000_NS6detail17trampoline_kernelINS0_13select_configILj256ELj13ELNS0_17block_load_methodE3ELS4_3ELS4_3ELNS0_20block_scan_algorithmE0ELj4294967295EEENS1_25partition_config_selectorILNS1_17partition_subalgoE3EjNS0_10empty_typeEbEEZZNS1_14partition_implILS8_3ELb0ES6_jNS0_17counting_iteratorIjlEEPS9_SE_NS0_5tupleIJPjSE_EEENSF_IJSE_SE_EEES9_SG_JZNS1_25segmented_radix_sort_implINS0_14default_configELb1EPKlPlSM_SN_N2at6native12_GLOBAL__N_18offset_tEEE10hipError_tPvRmT1_PNSt15iterator_traitsISV_E10value_typeET2_T3_PNSW_IS11_E10value_typeET4_jRbjT5_S17_jjP12ihipStream_tbEUljE_EEESS_ST_SU_S11_S15_S17_T6_T7_T9_mT8_S19_bDpT10_ENKUlT_T0_E_clISt17integral_constantIbLb1EES1M_EEDaS1H_S1I_EUlS1H_E_NS1_11comp_targetILNS1_3genE2ELNS1_11target_archE906ELNS1_3gpuE6ELNS1_3repE0EEENS1_30default_config_static_selectorELNS0_4arch9wavefront6targetE1EEEvSV_
	.p2align	8
	.type	_ZN7rocprim17ROCPRIM_400000_NS6detail17trampoline_kernelINS0_13select_configILj256ELj13ELNS0_17block_load_methodE3ELS4_3ELS4_3ELNS0_20block_scan_algorithmE0ELj4294967295EEENS1_25partition_config_selectorILNS1_17partition_subalgoE3EjNS0_10empty_typeEbEEZZNS1_14partition_implILS8_3ELb0ES6_jNS0_17counting_iteratorIjlEEPS9_SE_NS0_5tupleIJPjSE_EEENSF_IJSE_SE_EEES9_SG_JZNS1_25segmented_radix_sort_implINS0_14default_configELb1EPKlPlSM_SN_N2at6native12_GLOBAL__N_18offset_tEEE10hipError_tPvRmT1_PNSt15iterator_traitsISV_E10value_typeET2_T3_PNSW_IS11_E10value_typeET4_jRbjT5_S17_jjP12ihipStream_tbEUljE_EEESS_ST_SU_S11_S15_S17_T6_T7_T9_mT8_S19_bDpT10_ENKUlT_T0_E_clISt17integral_constantIbLb1EES1M_EEDaS1H_S1I_EUlS1H_E_NS1_11comp_targetILNS1_3genE2ELNS1_11target_archE906ELNS1_3gpuE6ELNS1_3repE0EEENS1_30default_config_static_selectorELNS0_4arch9wavefront6targetE1EEEvSV_,@function
_ZN7rocprim17ROCPRIM_400000_NS6detail17trampoline_kernelINS0_13select_configILj256ELj13ELNS0_17block_load_methodE3ELS4_3ELS4_3ELNS0_20block_scan_algorithmE0ELj4294967295EEENS1_25partition_config_selectorILNS1_17partition_subalgoE3EjNS0_10empty_typeEbEEZZNS1_14partition_implILS8_3ELb0ES6_jNS0_17counting_iteratorIjlEEPS9_SE_NS0_5tupleIJPjSE_EEENSF_IJSE_SE_EEES9_SG_JZNS1_25segmented_radix_sort_implINS0_14default_configELb1EPKlPlSM_SN_N2at6native12_GLOBAL__N_18offset_tEEE10hipError_tPvRmT1_PNSt15iterator_traitsISV_E10value_typeET2_T3_PNSW_IS11_E10value_typeET4_jRbjT5_S17_jjP12ihipStream_tbEUljE_EEESS_ST_SU_S11_S15_S17_T6_T7_T9_mT8_S19_bDpT10_ENKUlT_T0_E_clISt17integral_constantIbLb1EES1M_EEDaS1H_S1I_EUlS1H_E_NS1_11comp_targetILNS1_3genE2ELNS1_11target_archE906ELNS1_3gpuE6ELNS1_3repE0EEENS1_30default_config_static_selectorELNS0_4arch9wavefront6targetE1EEEvSV_: ; @_ZN7rocprim17ROCPRIM_400000_NS6detail17trampoline_kernelINS0_13select_configILj256ELj13ELNS0_17block_load_methodE3ELS4_3ELS4_3ELNS0_20block_scan_algorithmE0ELj4294967295EEENS1_25partition_config_selectorILNS1_17partition_subalgoE3EjNS0_10empty_typeEbEEZZNS1_14partition_implILS8_3ELb0ES6_jNS0_17counting_iteratorIjlEEPS9_SE_NS0_5tupleIJPjSE_EEENSF_IJSE_SE_EEES9_SG_JZNS1_25segmented_radix_sort_implINS0_14default_configELb1EPKlPlSM_SN_N2at6native12_GLOBAL__N_18offset_tEEE10hipError_tPvRmT1_PNSt15iterator_traitsISV_E10value_typeET2_T3_PNSW_IS11_E10value_typeET4_jRbjT5_S17_jjP12ihipStream_tbEUljE_EEESS_ST_SU_S11_S15_S17_T6_T7_T9_mT8_S19_bDpT10_ENKUlT_T0_E_clISt17integral_constantIbLb1EES1M_EEDaS1H_S1I_EUlS1H_E_NS1_11comp_targetILNS1_3genE2ELNS1_11target_archE906ELNS1_3gpuE6ELNS1_3repE0EEENS1_30default_config_static_selectorELNS0_4arch9wavefront6targetE1EEEvSV_
; %bb.0:
	.section	.rodata,"a",@progbits
	.p2align	6, 0x0
	.amdhsa_kernel _ZN7rocprim17ROCPRIM_400000_NS6detail17trampoline_kernelINS0_13select_configILj256ELj13ELNS0_17block_load_methodE3ELS4_3ELS4_3ELNS0_20block_scan_algorithmE0ELj4294967295EEENS1_25partition_config_selectorILNS1_17partition_subalgoE3EjNS0_10empty_typeEbEEZZNS1_14partition_implILS8_3ELb0ES6_jNS0_17counting_iteratorIjlEEPS9_SE_NS0_5tupleIJPjSE_EEENSF_IJSE_SE_EEES9_SG_JZNS1_25segmented_radix_sort_implINS0_14default_configELb1EPKlPlSM_SN_N2at6native12_GLOBAL__N_18offset_tEEE10hipError_tPvRmT1_PNSt15iterator_traitsISV_E10value_typeET2_T3_PNSW_IS11_E10value_typeET4_jRbjT5_S17_jjP12ihipStream_tbEUljE_EEESS_ST_SU_S11_S15_S17_T6_T7_T9_mT8_S19_bDpT10_ENKUlT_T0_E_clISt17integral_constantIbLb1EES1M_EEDaS1H_S1I_EUlS1H_E_NS1_11comp_targetILNS1_3genE2ELNS1_11target_archE906ELNS1_3gpuE6ELNS1_3repE0EEENS1_30default_config_static_selectorELNS0_4arch9wavefront6targetE1EEEvSV_
		.amdhsa_group_segment_fixed_size 0
		.amdhsa_private_segment_fixed_size 0
		.amdhsa_kernarg_size 152
		.amdhsa_user_sgpr_count 6
		.amdhsa_user_sgpr_private_segment_buffer 1
		.amdhsa_user_sgpr_dispatch_ptr 0
		.amdhsa_user_sgpr_queue_ptr 0
		.amdhsa_user_sgpr_kernarg_segment_ptr 1
		.amdhsa_user_sgpr_dispatch_id 0
		.amdhsa_user_sgpr_flat_scratch_init 0
		.amdhsa_user_sgpr_kernarg_preload_length 0
		.amdhsa_user_sgpr_kernarg_preload_offset 0
		.amdhsa_user_sgpr_private_segment_size 0
		.amdhsa_uses_dynamic_stack 0
		.amdhsa_system_sgpr_private_segment_wavefront_offset 0
		.amdhsa_system_sgpr_workgroup_id_x 1
		.amdhsa_system_sgpr_workgroup_id_y 0
		.amdhsa_system_sgpr_workgroup_id_z 0
		.amdhsa_system_sgpr_workgroup_info 0
		.amdhsa_system_vgpr_workitem_id 0
		.amdhsa_next_free_vgpr 1
		.amdhsa_next_free_sgpr 0
		.amdhsa_accum_offset 4
		.amdhsa_reserve_vcc 0
		.amdhsa_reserve_flat_scratch 0
		.amdhsa_float_round_mode_32 0
		.amdhsa_float_round_mode_16_64 0
		.amdhsa_float_denorm_mode_32 3
		.amdhsa_float_denorm_mode_16_64 3
		.amdhsa_dx10_clamp 1
		.amdhsa_ieee_mode 1
		.amdhsa_fp16_overflow 0
		.amdhsa_tg_split 0
		.amdhsa_exception_fp_ieee_invalid_op 0
		.amdhsa_exception_fp_denorm_src 0
		.amdhsa_exception_fp_ieee_div_zero 0
		.amdhsa_exception_fp_ieee_overflow 0
		.amdhsa_exception_fp_ieee_underflow 0
		.amdhsa_exception_fp_ieee_inexact 0
		.amdhsa_exception_int_div_zero 0
	.end_amdhsa_kernel
	.section	.text._ZN7rocprim17ROCPRIM_400000_NS6detail17trampoline_kernelINS0_13select_configILj256ELj13ELNS0_17block_load_methodE3ELS4_3ELS4_3ELNS0_20block_scan_algorithmE0ELj4294967295EEENS1_25partition_config_selectorILNS1_17partition_subalgoE3EjNS0_10empty_typeEbEEZZNS1_14partition_implILS8_3ELb0ES6_jNS0_17counting_iteratorIjlEEPS9_SE_NS0_5tupleIJPjSE_EEENSF_IJSE_SE_EEES9_SG_JZNS1_25segmented_radix_sort_implINS0_14default_configELb1EPKlPlSM_SN_N2at6native12_GLOBAL__N_18offset_tEEE10hipError_tPvRmT1_PNSt15iterator_traitsISV_E10value_typeET2_T3_PNSW_IS11_E10value_typeET4_jRbjT5_S17_jjP12ihipStream_tbEUljE_EEESS_ST_SU_S11_S15_S17_T6_T7_T9_mT8_S19_bDpT10_ENKUlT_T0_E_clISt17integral_constantIbLb1EES1M_EEDaS1H_S1I_EUlS1H_E_NS1_11comp_targetILNS1_3genE2ELNS1_11target_archE906ELNS1_3gpuE6ELNS1_3repE0EEENS1_30default_config_static_selectorELNS0_4arch9wavefront6targetE1EEEvSV_,"axG",@progbits,_ZN7rocprim17ROCPRIM_400000_NS6detail17trampoline_kernelINS0_13select_configILj256ELj13ELNS0_17block_load_methodE3ELS4_3ELS4_3ELNS0_20block_scan_algorithmE0ELj4294967295EEENS1_25partition_config_selectorILNS1_17partition_subalgoE3EjNS0_10empty_typeEbEEZZNS1_14partition_implILS8_3ELb0ES6_jNS0_17counting_iteratorIjlEEPS9_SE_NS0_5tupleIJPjSE_EEENSF_IJSE_SE_EEES9_SG_JZNS1_25segmented_radix_sort_implINS0_14default_configELb1EPKlPlSM_SN_N2at6native12_GLOBAL__N_18offset_tEEE10hipError_tPvRmT1_PNSt15iterator_traitsISV_E10value_typeET2_T3_PNSW_IS11_E10value_typeET4_jRbjT5_S17_jjP12ihipStream_tbEUljE_EEESS_ST_SU_S11_S15_S17_T6_T7_T9_mT8_S19_bDpT10_ENKUlT_T0_E_clISt17integral_constantIbLb1EES1M_EEDaS1H_S1I_EUlS1H_E_NS1_11comp_targetILNS1_3genE2ELNS1_11target_archE906ELNS1_3gpuE6ELNS1_3repE0EEENS1_30default_config_static_selectorELNS0_4arch9wavefront6targetE1EEEvSV_,comdat
.Lfunc_end684:
	.size	_ZN7rocprim17ROCPRIM_400000_NS6detail17trampoline_kernelINS0_13select_configILj256ELj13ELNS0_17block_load_methodE3ELS4_3ELS4_3ELNS0_20block_scan_algorithmE0ELj4294967295EEENS1_25partition_config_selectorILNS1_17partition_subalgoE3EjNS0_10empty_typeEbEEZZNS1_14partition_implILS8_3ELb0ES6_jNS0_17counting_iteratorIjlEEPS9_SE_NS0_5tupleIJPjSE_EEENSF_IJSE_SE_EEES9_SG_JZNS1_25segmented_radix_sort_implINS0_14default_configELb1EPKlPlSM_SN_N2at6native12_GLOBAL__N_18offset_tEEE10hipError_tPvRmT1_PNSt15iterator_traitsISV_E10value_typeET2_T3_PNSW_IS11_E10value_typeET4_jRbjT5_S17_jjP12ihipStream_tbEUljE_EEESS_ST_SU_S11_S15_S17_T6_T7_T9_mT8_S19_bDpT10_ENKUlT_T0_E_clISt17integral_constantIbLb1EES1M_EEDaS1H_S1I_EUlS1H_E_NS1_11comp_targetILNS1_3genE2ELNS1_11target_archE906ELNS1_3gpuE6ELNS1_3repE0EEENS1_30default_config_static_selectorELNS0_4arch9wavefront6targetE1EEEvSV_, .Lfunc_end684-_ZN7rocprim17ROCPRIM_400000_NS6detail17trampoline_kernelINS0_13select_configILj256ELj13ELNS0_17block_load_methodE3ELS4_3ELS4_3ELNS0_20block_scan_algorithmE0ELj4294967295EEENS1_25partition_config_selectorILNS1_17partition_subalgoE3EjNS0_10empty_typeEbEEZZNS1_14partition_implILS8_3ELb0ES6_jNS0_17counting_iteratorIjlEEPS9_SE_NS0_5tupleIJPjSE_EEENSF_IJSE_SE_EEES9_SG_JZNS1_25segmented_radix_sort_implINS0_14default_configELb1EPKlPlSM_SN_N2at6native12_GLOBAL__N_18offset_tEEE10hipError_tPvRmT1_PNSt15iterator_traitsISV_E10value_typeET2_T3_PNSW_IS11_E10value_typeET4_jRbjT5_S17_jjP12ihipStream_tbEUljE_EEESS_ST_SU_S11_S15_S17_T6_T7_T9_mT8_S19_bDpT10_ENKUlT_T0_E_clISt17integral_constantIbLb1EES1M_EEDaS1H_S1I_EUlS1H_E_NS1_11comp_targetILNS1_3genE2ELNS1_11target_archE906ELNS1_3gpuE6ELNS1_3repE0EEENS1_30default_config_static_selectorELNS0_4arch9wavefront6targetE1EEEvSV_
                                        ; -- End function
	.section	.AMDGPU.csdata,"",@progbits
; Kernel info:
; codeLenInByte = 0
; NumSgprs: 4
; NumVgprs: 0
; NumAgprs: 0
; TotalNumVgprs: 0
; ScratchSize: 0
; MemoryBound: 0
; FloatMode: 240
; IeeeMode: 1
; LDSByteSize: 0 bytes/workgroup (compile time only)
; SGPRBlocks: 0
; VGPRBlocks: 0
; NumSGPRsForWavesPerEU: 4
; NumVGPRsForWavesPerEU: 1
; AccumOffset: 4
; Occupancy: 8
; WaveLimiterHint : 0
; COMPUTE_PGM_RSRC2:SCRATCH_EN: 0
; COMPUTE_PGM_RSRC2:USER_SGPR: 6
; COMPUTE_PGM_RSRC2:TRAP_HANDLER: 0
; COMPUTE_PGM_RSRC2:TGID_X_EN: 1
; COMPUTE_PGM_RSRC2:TGID_Y_EN: 0
; COMPUTE_PGM_RSRC2:TGID_Z_EN: 0
; COMPUTE_PGM_RSRC2:TIDIG_COMP_CNT: 0
; COMPUTE_PGM_RSRC3_GFX90A:ACCUM_OFFSET: 0
; COMPUTE_PGM_RSRC3_GFX90A:TG_SPLIT: 0
	.section	.text._ZN7rocprim17ROCPRIM_400000_NS6detail17trampoline_kernelINS0_13select_configILj256ELj13ELNS0_17block_load_methodE3ELS4_3ELS4_3ELNS0_20block_scan_algorithmE0ELj4294967295EEENS1_25partition_config_selectorILNS1_17partition_subalgoE3EjNS0_10empty_typeEbEEZZNS1_14partition_implILS8_3ELb0ES6_jNS0_17counting_iteratorIjlEEPS9_SE_NS0_5tupleIJPjSE_EEENSF_IJSE_SE_EEES9_SG_JZNS1_25segmented_radix_sort_implINS0_14default_configELb1EPKlPlSM_SN_N2at6native12_GLOBAL__N_18offset_tEEE10hipError_tPvRmT1_PNSt15iterator_traitsISV_E10value_typeET2_T3_PNSW_IS11_E10value_typeET4_jRbjT5_S17_jjP12ihipStream_tbEUljE_EEESS_ST_SU_S11_S15_S17_T6_T7_T9_mT8_S19_bDpT10_ENKUlT_T0_E_clISt17integral_constantIbLb1EES1M_EEDaS1H_S1I_EUlS1H_E_NS1_11comp_targetILNS1_3genE10ELNS1_11target_archE1200ELNS1_3gpuE4ELNS1_3repE0EEENS1_30default_config_static_selectorELNS0_4arch9wavefront6targetE1EEEvSV_,"axG",@progbits,_ZN7rocprim17ROCPRIM_400000_NS6detail17trampoline_kernelINS0_13select_configILj256ELj13ELNS0_17block_load_methodE3ELS4_3ELS4_3ELNS0_20block_scan_algorithmE0ELj4294967295EEENS1_25partition_config_selectorILNS1_17partition_subalgoE3EjNS0_10empty_typeEbEEZZNS1_14partition_implILS8_3ELb0ES6_jNS0_17counting_iteratorIjlEEPS9_SE_NS0_5tupleIJPjSE_EEENSF_IJSE_SE_EEES9_SG_JZNS1_25segmented_radix_sort_implINS0_14default_configELb1EPKlPlSM_SN_N2at6native12_GLOBAL__N_18offset_tEEE10hipError_tPvRmT1_PNSt15iterator_traitsISV_E10value_typeET2_T3_PNSW_IS11_E10value_typeET4_jRbjT5_S17_jjP12ihipStream_tbEUljE_EEESS_ST_SU_S11_S15_S17_T6_T7_T9_mT8_S19_bDpT10_ENKUlT_T0_E_clISt17integral_constantIbLb1EES1M_EEDaS1H_S1I_EUlS1H_E_NS1_11comp_targetILNS1_3genE10ELNS1_11target_archE1200ELNS1_3gpuE4ELNS1_3repE0EEENS1_30default_config_static_selectorELNS0_4arch9wavefront6targetE1EEEvSV_,comdat
	.globl	_ZN7rocprim17ROCPRIM_400000_NS6detail17trampoline_kernelINS0_13select_configILj256ELj13ELNS0_17block_load_methodE3ELS4_3ELS4_3ELNS0_20block_scan_algorithmE0ELj4294967295EEENS1_25partition_config_selectorILNS1_17partition_subalgoE3EjNS0_10empty_typeEbEEZZNS1_14partition_implILS8_3ELb0ES6_jNS0_17counting_iteratorIjlEEPS9_SE_NS0_5tupleIJPjSE_EEENSF_IJSE_SE_EEES9_SG_JZNS1_25segmented_radix_sort_implINS0_14default_configELb1EPKlPlSM_SN_N2at6native12_GLOBAL__N_18offset_tEEE10hipError_tPvRmT1_PNSt15iterator_traitsISV_E10value_typeET2_T3_PNSW_IS11_E10value_typeET4_jRbjT5_S17_jjP12ihipStream_tbEUljE_EEESS_ST_SU_S11_S15_S17_T6_T7_T9_mT8_S19_bDpT10_ENKUlT_T0_E_clISt17integral_constantIbLb1EES1M_EEDaS1H_S1I_EUlS1H_E_NS1_11comp_targetILNS1_3genE10ELNS1_11target_archE1200ELNS1_3gpuE4ELNS1_3repE0EEENS1_30default_config_static_selectorELNS0_4arch9wavefront6targetE1EEEvSV_ ; -- Begin function _ZN7rocprim17ROCPRIM_400000_NS6detail17trampoline_kernelINS0_13select_configILj256ELj13ELNS0_17block_load_methodE3ELS4_3ELS4_3ELNS0_20block_scan_algorithmE0ELj4294967295EEENS1_25partition_config_selectorILNS1_17partition_subalgoE3EjNS0_10empty_typeEbEEZZNS1_14partition_implILS8_3ELb0ES6_jNS0_17counting_iteratorIjlEEPS9_SE_NS0_5tupleIJPjSE_EEENSF_IJSE_SE_EEES9_SG_JZNS1_25segmented_radix_sort_implINS0_14default_configELb1EPKlPlSM_SN_N2at6native12_GLOBAL__N_18offset_tEEE10hipError_tPvRmT1_PNSt15iterator_traitsISV_E10value_typeET2_T3_PNSW_IS11_E10value_typeET4_jRbjT5_S17_jjP12ihipStream_tbEUljE_EEESS_ST_SU_S11_S15_S17_T6_T7_T9_mT8_S19_bDpT10_ENKUlT_T0_E_clISt17integral_constantIbLb1EES1M_EEDaS1H_S1I_EUlS1H_E_NS1_11comp_targetILNS1_3genE10ELNS1_11target_archE1200ELNS1_3gpuE4ELNS1_3repE0EEENS1_30default_config_static_selectorELNS0_4arch9wavefront6targetE1EEEvSV_
	.p2align	8
	.type	_ZN7rocprim17ROCPRIM_400000_NS6detail17trampoline_kernelINS0_13select_configILj256ELj13ELNS0_17block_load_methodE3ELS4_3ELS4_3ELNS0_20block_scan_algorithmE0ELj4294967295EEENS1_25partition_config_selectorILNS1_17partition_subalgoE3EjNS0_10empty_typeEbEEZZNS1_14partition_implILS8_3ELb0ES6_jNS0_17counting_iteratorIjlEEPS9_SE_NS0_5tupleIJPjSE_EEENSF_IJSE_SE_EEES9_SG_JZNS1_25segmented_radix_sort_implINS0_14default_configELb1EPKlPlSM_SN_N2at6native12_GLOBAL__N_18offset_tEEE10hipError_tPvRmT1_PNSt15iterator_traitsISV_E10value_typeET2_T3_PNSW_IS11_E10value_typeET4_jRbjT5_S17_jjP12ihipStream_tbEUljE_EEESS_ST_SU_S11_S15_S17_T6_T7_T9_mT8_S19_bDpT10_ENKUlT_T0_E_clISt17integral_constantIbLb1EES1M_EEDaS1H_S1I_EUlS1H_E_NS1_11comp_targetILNS1_3genE10ELNS1_11target_archE1200ELNS1_3gpuE4ELNS1_3repE0EEENS1_30default_config_static_selectorELNS0_4arch9wavefront6targetE1EEEvSV_,@function
_ZN7rocprim17ROCPRIM_400000_NS6detail17trampoline_kernelINS0_13select_configILj256ELj13ELNS0_17block_load_methodE3ELS4_3ELS4_3ELNS0_20block_scan_algorithmE0ELj4294967295EEENS1_25partition_config_selectorILNS1_17partition_subalgoE3EjNS0_10empty_typeEbEEZZNS1_14partition_implILS8_3ELb0ES6_jNS0_17counting_iteratorIjlEEPS9_SE_NS0_5tupleIJPjSE_EEENSF_IJSE_SE_EEES9_SG_JZNS1_25segmented_radix_sort_implINS0_14default_configELb1EPKlPlSM_SN_N2at6native12_GLOBAL__N_18offset_tEEE10hipError_tPvRmT1_PNSt15iterator_traitsISV_E10value_typeET2_T3_PNSW_IS11_E10value_typeET4_jRbjT5_S17_jjP12ihipStream_tbEUljE_EEESS_ST_SU_S11_S15_S17_T6_T7_T9_mT8_S19_bDpT10_ENKUlT_T0_E_clISt17integral_constantIbLb1EES1M_EEDaS1H_S1I_EUlS1H_E_NS1_11comp_targetILNS1_3genE10ELNS1_11target_archE1200ELNS1_3gpuE4ELNS1_3repE0EEENS1_30default_config_static_selectorELNS0_4arch9wavefront6targetE1EEEvSV_: ; @_ZN7rocprim17ROCPRIM_400000_NS6detail17trampoline_kernelINS0_13select_configILj256ELj13ELNS0_17block_load_methodE3ELS4_3ELS4_3ELNS0_20block_scan_algorithmE0ELj4294967295EEENS1_25partition_config_selectorILNS1_17partition_subalgoE3EjNS0_10empty_typeEbEEZZNS1_14partition_implILS8_3ELb0ES6_jNS0_17counting_iteratorIjlEEPS9_SE_NS0_5tupleIJPjSE_EEENSF_IJSE_SE_EEES9_SG_JZNS1_25segmented_radix_sort_implINS0_14default_configELb1EPKlPlSM_SN_N2at6native12_GLOBAL__N_18offset_tEEE10hipError_tPvRmT1_PNSt15iterator_traitsISV_E10value_typeET2_T3_PNSW_IS11_E10value_typeET4_jRbjT5_S17_jjP12ihipStream_tbEUljE_EEESS_ST_SU_S11_S15_S17_T6_T7_T9_mT8_S19_bDpT10_ENKUlT_T0_E_clISt17integral_constantIbLb1EES1M_EEDaS1H_S1I_EUlS1H_E_NS1_11comp_targetILNS1_3genE10ELNS1_11target_archE1200ELNS1_3gpuE4ELNS1_3repE0EEENS1_30default_config_static_selectorELNS0_4arch9wavefront6targetE1EEEvSV_
; %bb.0:
	.section	.rodata,"a",@progbits
	.p2align	6, 0x0
	.amdhsa_kernel _ZN7rocprim17ROCPRIM_400000_NS6detail17trampoline_kernelINS0_13select_configILj256ELj13ELNS0_17block_load_methodE3ELS4_3ELS4_3ELNS0_20block_scan_algorithmE0ELj4294967295EEENS1_25partition_config_selectorILNS1_17partition_subalgoE3EjNS0_10empty_typeEbEEZZNS1_14partition_implILS8_3ELb0ES6_jNS0_17counting_iteratorIjlEEPS9_SE_NS0_5tupleIJPjSE_EEENSF_IJSE_SE_EEES9_SG_JZNS1_25segmented_radix_sort_implINS0_14default_configELb1EPKlPlSM_SN_N2at6native12_GLOBAL__N_18offset_tEEE10hipError_tPvRmT1_PNSt15iterator_traitsISV_E10value_typeET2_T3_PNSW_IS11_E10value_typeET4_jRbjT5_S17_jjP12ihipStream_tbEUljE_EEESS_ST_SU_S11_S15_S17_T6_T7_T9_mT8_S19_bDpT10_ENKUlT_T0_E_clISt17integral_constantIbLb1EES1M_EEDaS1H_S1I_EUlS1H_E_NS1_11comp_targetILNS1_3genE10ELNS1_11target_archE1200ELNS1_3gpuE4ELNS1_3repE0EEENS1_30default_config_static_selectorELNS0_4arch9wavefront6targetE1EEEvSV_
		.amdhsa_group_segment_fixed_size 0
		.amdhsa_private_segment_fixed_size 0
		.amdhsa_kernarg_size 152
		.amdhsa_user_sgpr_count 6
		.amdhsa_user_sgpr_private_segment_buffer 1
		.amdhsa_user_sgpr_dispatch_ptr 0
		.amdhsa_user_sgpr_queue_ptr 0
		.amdhsa_user_sgpr_kernarg_segment_ptr 1
		.amdhsa_user_sgpr_dispatch_id 0
		.amdhsa_user_sgpr_flat_scratch_init 0
		.amdhsa_user_sgpr_kernarg_preload_length 0
		.amdhsa_user_sgpr_kernarg_preload_offset 0
		.amdhsa_user_sgpr_private_segment_size 0
		.amdhsa_uses_dynamic_stack 0
		.amdhsa_system_sgpr_private_segment_wavefront_offset 0
		.amdhsa_system_sgpr_workgroup_id_x 1
		.amdhsa_system_sgpr_workgroup_id_y 0
		.amdhsa_system_sgpr_workgroup_id_z 0
		.amdhsa_system_sgpr_workgroup_info 0
		.amdhsa_system_vgpr_workitem_id 0
		.amdhsa_next_free_vgpr 1
		.amdhsa_next_free_sgpr 0
		.amdhsa_accum_offset 4
		.amdhsa_reserve_vcc 0
		.amdhsa_reserve_flat_scratch 0
		.amdhsa_float_round_mode_32 0
		.amdhsa_float_round_mode_16_64 0
		.amdhsa_float_denorm_mode_32 3
		.amdhsa_float_denorm_mode_16_64 3
		.amdhsa_dx10_clamp 1
		.amdhsa_ieee_mode 1
		.amdhsa_fp16_overflow 0
		.amdhsa_tg_split 0
		.amdhsa_exception_fp_ieee_invalid_op 0
		.amdhsa_exception_fp_denorm_src 0
		.amdhsa_exception_fp_ieee_div_zero 0
		.amdhsa_exception_fp_ieee_overflow 0
		.amdhsa_exception_fp_ieee_underflow 0
		.amdhsa_exception_fp_ieee_inexact 0
		.amdhsa_exception_int_div_zero 0
	.end_amdhsa_kernel
	.section	.text._ZN7rocprim17ROCPRIM_400000_NS6detail17trampoline_kernelINS0_13select_configILj256ELj13ELNS0_17block_load_methodE3ELS4_3ELS4_3ELNS0_20block_scan_algorithmE0ELj4294967295EEENS1_25partition_config_selectorILNS1_17partition_subalgoE3EjNS0_10empty_typeEbEEZZNS1_14partition_implILS8_3ELb0ES6_jNS0_17counting_iteratorIjlEEPS9_SE_NS0_5tupleIJPjSE_EEENSF_IJSE_SE_EEES9_SG_JZNS1_25segmented_radix_sort_implINS0_14default_configELb1EPKlPlSM_SN_N2at6native12_GLOBAL__N_18offset_tEEE10hipError_tPvRmT1_PNSt15iterator_traitsISV_E10value_typeET2_T3_PNSW_IS11_E10value_typeET4_jRbjT5_S17_jjP12ihipStream_tbEUljE_EEESS_ST_SU_S11_S15_S17_T6_T7_T9_mT8_S19_bDpT10_ENKUlT_T0_E_clISt17integral_constantIbLb1EES1M_EEDaS1H_S1I_EUlS1H_E_NS1_11comp_targetILNS1_3genE10ELNS1_11target_archE1200ELNS1_3gpuE4ELNS1_3repE0EEENS1_30default_config_static_selectorELNS0_4arch9wavefront6targetE1EEEvSV_,"axG",@progbits,_ZN7rocprim17ROCPRIM_400000_NS6detail17trampoline_kernelINS0_13select_configILj256ELj13ELNS0_17block_load_methodE3ELS4_3ELS4_3ELNS0_20block_scan_algorithmE0ELj4294967295EEENS1_25partition_config_selectorILNS1_17partition_subalgoE3EjNS0_10empty_typeEbEEZZNS1_14partition_implILS8_3ELb0ES6_jNS0_17counting_iteratorIjlEEPS9_SE_NS0_5tupleIJPjSE_EEENSF_IJSE_SE_EEES9_SG_JZNS1_25segmented_radix_sort_implINS0_14default_configELb1EPKlPlSM_SN_N2at6native12_GLOBAL__N_18offset_tEEE10hipError_tPvRmT1_PNSt15iterator_traitsISV_E10value_typeET2_T3_PNSW_IS11_E10value_typeET4_jRbjT5_S17_jjP12ihipStream_tbEUljE_EEESS_ST_SU_S11_S15_S17_T6_T7_T9_mT8_S19_bDpT10_ENKUlT_T0_E_clISt17integral_constantIbLb1EES1M_EEDaS1H_S1I_EUlS1H_E_NS1_11comp_targetILNS1_3genE10ELNS1_11target_archE1200ELNS1_3gpuE4ELNS1_3repE0EEENS1_30default_config_static_selectorELNS0_4arch9wavefront6targetE1EEEvSV_,comdat
.Lfunc_end685:
	.size	_ZN7rocprim17ROCPRIM_400000_NS6detail17trampoline_kernelINS0_13select_configILj256ELj13ELNS0_17block_load_methodE3ELS4_3ELS4_3ELNS0_20block_scan_algorithmE0ELj4294967295EEENS1_25partition_config_selectorILNS1_17partition_subalgoE3EjNS0_10empty_typeEbEEZZNS1_14partition_implILS8_3ELb0ES6_jNS0_17counting_iteratorIjlEEPS9_SE_NS0_5tupleIJPjSE_EEENSF_IJSE_SE_EEES9_SG_JZNS1_25segmented_radix_sort_implINS0_14default_configELb1EPKlPlSM_SN_N2at6native12_GLOBAL__N_18offset_tEEE10hipError_tPvRmT1_PNSt15iterator_traitsISV_E10value_typeET2_T3_PNSW_IS11_E10value_typeET4_jRbjT5_S17_jjP12ihipStream_tbEUljE_EEESS_ST_SU_S11_S15_S17_T6_T7_T9_mT8_S19_bDpT10_ENKUlT_T0_E_clISt17integral_constantIbLb1EES1M_EEDaS1H_S1I_EUlS1H_E_NS1_11comp_targetILNS1_3genE10ELNS1_11target_archE1200ELNS1_3gpuE4ELNS1_3repE0EEENS1_30default_config_static_selectorELNS0_4arch9wavefront6targetE1EEEvSV_, .Lfunc_end685-_ZN7rocprim17ROCPRIM_400000_NS6detail17trampoline_kernelINS0_13select_configILj256ELj13ELNS0_17block_load_methodE3ELS4_3ELS4_3ELNS0_20block_scan_algorithmE0ELj4294967295EEENS1_25partition_config_selectorILNS1_17partition_subalgoE3EjNS0_10empty_typeEbEEZZNS1_14partition_implILS8_3ELb0ES6_jNS0_17counting_iteratorIjlEEPS9_SE_NS0_5tupleIJPjSE_EEENSF_IJSE_SE_EEES9_SG_JZNS1_25segmented_radix_sort_implINS0_14default_configELb1EPKlPlSM_SN_N2at6native12_GLOBAL__N_18offset_tEEE10hipError_tPvRmT1_PNSt15iterator_traitsISV_E10value_typeET2_T3_PNSW_IS11_E10value_typeET4_jRbjT5_S17_jjP12ihipStream_tbEUljE_EEESS_ST_SU_S11_S15_S17_T6_T7_T9_mT8_S19_bDpT10_ENKUlT_T0_E_clISt17integral_constantIbLb1EES1M_EEDaS1H_S1I_EUlS1H_E_NS1_11comp_targetILNS1_3genE10ELNS1_11target_archE1200ELNS1_3gpuE4ELNS1_3repE0EEENS1_30default_config_static_selectorELNS0_4arch9wavefront6targetE1EEEvSV_
                                        ; -- End function
	.section	.AMDGPU.csdata,"",@progbits
; Kernel info:
; codeLenInByte = 0
; NumSgprs: 4
; NumVgprs: 0
; NumAgprs: 0
; TotalNumVgprs: 0
; ScratchSize: 0
; MemoryBound: 0
; FloatMode: 240
; IeeeMode: 1
; LDSByteSize: 0 bytes/workgroup (compile time only)
; SGPRBlocks: 0
; VGPRBlocks: 0
; NumSGPRsForWavesPerEU: 4
; NumVGPRsForWavesPerEU: 1
; AccumOffset: 4
; Occupancy: 8
; WaveLimiterHint : 0
; COMPUTE_PGM_RSRC2:SCRATCH_EN: 0
; COMPUTE_PGM_RSRC2:USER_SGPR: 6
; COMPUTE_PGM_RSRC2:TRAP_HANDLER: 0
; COMPUTE_PGM_RSRC2:TGID_X_EN: 1
; COMPUTE_PGM_RSRC2:TGID_Y_EN: 0
; COMPUTE_PGM_RSRC2:TGID_Z_EN: 0
; COMPUTE_PGM_RSRC2:TIDIG_COMP_CNT: 0
; COMPUTE_PGM_RSRC3_GFX90A:ACCUM_OFFSET: 0
; COMPUTE_PGM_RSRC3_GFX90A:TG_SPLIT: 0
	.section	.text._ZN7rocprim17ROCPRIM_400000_NS6detail17trampoline_kernelINS0_13select_configILj256ELj13ELNS0_17block_load_methodE3ELS4_3ELS4_3ELNS0_20block_scan_algorithmE0ELj4294967295EEENS1_25partition_config_selectorILNS1_17partition_subalgoE3EjNS0_10empty_typeEbEEZZNS1_14partition_implILS8_3ELb0ES6_jNS0_17counting_iteratorIjlEEPS9_SE_NS0_5tupleIJPjSE_EEENSF_IJSE_SE_EEES9_SG_JZNS1_25segmented_radix_sort_implINS0_14default_configELb1EPKlPlSM_SN_N2at6native12_GLOBAL__N_18offset_tEEE10hipError_tPvRmT1_PNSt15iterator_traitsISV_E10value_typeET2_T3_PNSW_IS11_E10value_typeET4_jRbjT5_S17_jjP12ihipStream_tbEUljE_EEESS_ST_SU_S11_S15_S17_T6_T7_T9_mT8_S19_bDpT10_ENKUlT_T0_E_clISt17integral_constantIbLb1EES1M_EEDaS1H_S1I_EUlS1H_E_NS1_11comp_targetILNS1_3genE9ELNS1_11target_archE1100ELNS1_3gpuE3ELNS1_3repE0EEENS1_30default_config_static_selectorELNS0_4arch9wavefront6targetE1EEEvSV_,"axG",@progbits,_ZN7rocprim17ROCPRIM_400000_NS6detail17trampoline_kernelINS0_13select_configILj256ELj13ELNS0_17block_load_methodE3ELS4_3ELS4_3ELNS0_20block_scan_algorithmE0ELj4294967295EEENS1_25partition_config_selectorILNS1_17partition_subalgoE3EjNS0_10empty_typeEbEEZZNS1_14partition_implILS8_3ELb0ES6_jNS0_17counting_iteratorIjlEEPS9_SE_NS0_5tupleIJPjSE_EEENSF_IJSE_SE_EEES9_SG_JZNS1_25segmented_radix_sort_implINS0_14default_configELb1EPKlPlSM_SN_N2at6native12_GLOBAL__N_18offset_tEEE10hipError_tPvRmT1_PNSt15iterator_traitsISV_E10value_typeET2_T3_PNSW_IS11_E10value_typeET4_jRbjT5_S17_jjP12ihipStream_tbEUljE_EEESS_ST_SU_S11_S15_S17_T6_T7_T9_mT8_S19_bDpT10_ENKUlT_T0_E_clISt17integral_constantIbLb1EES1M_EEDaS1H_S1I_EUlS1H_E_NS1_11comp_targetILNS1_3genE9ELNS1_11target_archE1100ELNS1_3gpuE3ELNS1_3repE0EEENS1_30default_config_static_selectorELNS0_4arch9wavefront6targetE1EEEvSV_,comdat
	.globl	_ZN7rocprim17ROCPRIM_400000_NS6detail17trampoline_kernelINS0_13select_configILj256ELj13ELNS0_17block_load_methodE3ELS4_3ELS4_3ELNS0_20block_scan_algorithmE0ELj4294967295EEENS1_25partition_config_selectorILNS1_17partition_subalgoE3EjNS0_10empty_typeEbEEZZNS1_14partition_implILS8_3ELb0ES6_jNS0_17counting_iteratorIjlEEPS9_SE_NS0_5tupleIJPjSE_EEENSF_IJSE_SE_EEES9_SG_JZNS1_25segmented_radix_sort_implINS0_14default_configELb1EPKlPlSM_SN_N2at6native12_GLOBAL__N_18offset_tEEE10hipError_tPvRmT1_PNSt15iterator_traitsISV_E10value_typeET2_T3_PNSW_IS11_E10value_typeET4_jRbjT5_S17_jjP12ihipStream_tbEUljE_EEESS_ST_SU_S11_S15_S17_T6_T7_T9_mT8_S19_bDpT10_ENKUlT_T0_E_clISt17integral_constantIbLb1EES1M_EEDaS1H_S1I_EUlS1H_E_NS1_11comp_targetILNS1_3genE9ELNS1_11target_archE1100ELNS1_3gpuE3ELNS1_3repE0EEENS1_30default_config_static_selectorELNS0_4arch9wavefront6targetE1EEEvSV_ ; -- Begin function _ZN7rocprim17ROCPRIM_400000_NS6detail17trampoline_kernelINS0_13select_configILj256ELj13ELNS0_17block_load_methodE3ELS4_3ELS4_3ELNS0_20block_scan_algorithmE0ELj4294967295EEENS1_25partition_config_selectorILNS1_17partition_subalgoE3EjNS0_10empty_typeEbEEZZNS1_14partition_implILS8_3ELb0ES6_jNS0_17counting_iteratorIjlEEPS9_SE_NS0_5tupleIJPjSE_EEENSF_IJSE_SE_EEES9_SG_JZNS1_25segmented_radix_sort_implINS0_14default_configELb1EPKlPlSM_SN_N2at6native12_GLOBAL__N_18offset_tEEE10hipError_tPvRmT1_PNSt15iterator_traitsISV_E10value_typeET2_T3_PNSW_IS11_E10value_typeET4_jRbjT5_S17_jjP12ihipStream_tbEUljE_EEESS_ST_SU_S11_S15_S17_T6_T7_T9_mT8_S19_bDpT10_ENKUlT_T0_E_clISt17integral_constantIbLb1EES1M_EEDaS1H_S1I_EUlS1H_E_NS1_11comp_targetILNS1_3genE9ELNS1_11target_archE1100ELNS1_3gpuE3ELNS1_3repE0EEENS1_30default_config_static_selectorELNS0_4arch9wavefront6targetE1EEEvSV_
	.p2align	8
	.type	_ZN7rocprim17ROCPRIM_400000_NS6detail17trampoline_kernelINS0_13select_configILj256ELj13ELNS0_17block_load_methodE3ELS4_3ELS4_3ELNS0_20block_scan_algorithmE0ELj4294967295EEENS1_25partition_config_selectorILNS1_17partition_subalgoE3EjNS0_10empty_typeEbEEZZNS1_14partition_implILS8_3ELb0ES6_jNS0_17counting_iteratorIjlEEPS9_SE_NS0_5tupleIJPjSE_EEENSF_IJSE_SE_EEES9_SG_JZNS1_25segmented_radix_sort_implINS0_14default_configELb1EPKlPlSM_SN_N2at6native12_GLOBAL__N_18offset_tEEE10hipError_tPvRmT1_PNSt15iterator_traitsISV_E10value_typeET2_T3_PNSW_IS11_E10value_typeET4_jRbjT5_S17_jjP12ihipStream_tbEUljE_EEESS_ST_SU_S11_S15_S17_T6_T7_T9_mT8_S19_bDpT10_ENKUlT_T0_E_clISt17integral_constantIbLb1EES1M_EEDaS1H_S1I_EUlS1H_E_NS1_11comp_targetILNS1_3genE9ELNS1_11target_archE1100ELNS1_3gpuE3ELNS1_3repE0EEENS1_30default_config_static_selectorELNS0_4arch9wavefront6targetE1EEEvSV_,@function
_ZN7rocprim17ROCPRIM_400000_NS6detail17trampoline_kernelINS0_13select_configILj256ELj13ELNS0_17block_load_methodE3ELS4_3ELS4_3ELNS0_20block_scan_algorithmE0ELj4294967295EEENS1_25partition_config_selectorILNS1_17partition_subalgoE3EjNS0_10empty_typeEbEEZZNS1_14partition_implILS8_3ELb0ES6_jNS0_17counting_iteratorIjlEEPS9_SE_NS0_5tupleIJPjSE_EEENSF_IJSE_SE_EEES9_SG_JZNS1_25segmented_radix_sort_implINS0_14default_configELb1EPKlPlSM_SN_N2at6native12_GLOBAL__N_18offset_tEEE10hipError_tPvRmT1_PNSt15iterator_traitsISV_E10value_typeET2_T3_PNSW_IS11_E10value_typeET4_jRbjT5_S17_jjP12ihipStream_tbEUljE_EEESS_ST_SU_S11_S15_S17_T6_T7_T9_mT8_S19_bDpT10_ENKUlT_T0_E_clISt17integral_constantIbLb1EES1M_EEDaS1H_S1I_EUlS1H_E_NS1_11comp_targetILNS1_3genE9ELNS1_11target_archE1100ELNS1_3gpuE3ELNS1_3repE0EEENS1_30default_config_static_selectorELNS0_4arch9wavefront6targetE1EEEvSV_: ; @_ZN7rocprim17ROCPRIM_400000_NS6detail17trampoline_kernelINS0_13select_configILj256ELj13ELNS0_17block_load_methodE3ELS4_3ELS4_3ELNS0_20block_scan_algorithmE0ELj4294967295EEENS1_25partition_config_selectorILNS1_17partition_subalgoE3EjNS0_10empty_typeEbEEZZNS1_14partition_implILS8_3ELb0ES6_jNS0_17counting_iteratorIjlEEPS9_SE_NS0_5tupleIJPjSE_EEENSF_IJSE_SE_EEES9_SG_JZNS1_25segmented_radix_sort_implINS0_14default_configELb1EPKlPlSM_SN_N2at6native12_GLOBAL__N_18offset_tEEE10hipError_tPvRmT1_PNSt15iterator_traitsISV_E10value_typeET2_T3_PNSW_IS11_E10value_typeET4_jRbjT5_S17_jjP12ihipStream_tbEUljE_EEESS_ST_SU_S11_S15_S17_T6_T7_T9_mT8_S19_bDpT10_ENKUlT_T0_E_clISt17integral_constantIbLb1EES1M_EEDaS1H_S1I_EUlS1H_E_NS1_11comp_targetILNS1_3genE9ELNS1_11target_archE1100ELNS1_3gpuE3ELNS1_3repE0EEENS1_30default_config_static_selectorELNS0_4arch9wavefront6targetE1EEEvSV_
; %bb.0:
	.section	.rodata,"a",@progbits
	.p2align	6, 0x0
	.amdhsa_kernel _ZN7rocprim17ROCPRIM_400000_NS6detail17trampoline_kernelINS0_13select_configILj256ELj13ELNS0_17block_load_methodE3ELS4_3ELS4_3ELNS0_20block_scan_algorithmE0ELj4294967295EEENS1_25partition_config_selectorILNS1_17partition_subalgoE3EjNS0_10empty_typeEbEEZZNS1_14partition_implILS8_3ELb0ES6_jNS0_17counting_iteratorIjlEEPS9_SE_NS0_5tupleIJPjSE_EEENSF_IJSE_SE_EEES9_SG_JZNS1_25segmented_radix_sort_implINS0_14default_configELb1EPKlPlSM_SN_N2at6native12_GLOBAL__N_18offset_tEEE10hipError_tPvRmT1_PNSt15iterator_traitsISV_E10value_typeET2_T3_PNSW_IS11_E10value_typeET4_jRbjT5_S17_jjP12ihipStream_tbEUljE_EEESS_ST_SU_S11_S15_S17_T6_T7_T9_mT8_S19_bDpT10_ENKUlT_T0_E_clISt17integral_constantIbLb1EES1M_EEDaS1H_S1I_EUlS1H_E_NS1_11comp_targetILNS1_3genE9ELNS1_11target_archE1100ELNS1_3gpuE3ELNS1_3repE0EEENS1_30default_config_static_selectorELNS0_4arch9wavefront6targetE1EEEvSV_
		.amdhsa_group_segment_fixed_size 0
		.amdhsa_private_segment_fixed_size 0
		.amdhsa_kernarg_size 152
		.amdhsa_user_sgpr_count 6
		.amdhsa_user_sgpr_private_segment_buffer 1
		.amdhsa_user_sgpr_dispatch_ptr 0
		.amdhsa_user_sgpr_queue_ptr 0
		.amdhsa_user_sgpr_kernarg_segment_ptr 1
		.amdhsa_user_sgpr_dispatch_id 0
		.amdhsa_user_sgpr_flat_scratch_init 0
		.amdhsa_user_sgpr_kernarg_preload_length 0
		.amdhsa_user_sgpr_kernarg_preload_offset 0
		.amdhsa_user_sgpr_private_segment_size 0
		.amdhsa_uses_dynamic_stack 0
		.amdhsa_system_sgpr_private_segment_wavefront_offset 0
		.amdhsa_system_sgpr_workgroup_id_x 1
		.amdhsa_system_sgpr_workgroup_id_y 0
		.amdhsa_system_sgpr_workgroup_id_z 0
		.amdhsa_system_sgpr_workgroup_info 0
		.amdhsa_system_vgpr_workitem_id 0
		.amdhsa_next_free_vgpr 1
		.amdhsa_next_free_sgpr 0
		.amdhsa_accum_offset 4
		.amdhsa_reserve_vcc 0
		.amdhsa_reserve_flat_scratch 0
		.amdhsa_float_round_mode_32 0
		.amdhsa_float_round_mode_16_64 0
		.amdhsa_float_denorm_mode_32 3
		.amdhsa_float_denorm_mode_16_64 3
		.amdhsa_dx10_clamp 1
		.amdhsa_ieee_mode 1
		.amdhsa_fp16_overflow 0
		.amdhsa_tg_split 0
		.amdhsa_exception_fp_ieee_invalid_op 0
		.amdhsa_exception_fp_denorm_src 0
		.amdhsa_exception_fp_ieee_div_zero 0
		.amdhsa_exception_fp_ieee_overflow 0
		.amdhsa_exception_fp_ieee_underflow 0
		.amdhsa_exception_fp_ieee_inexact 0
		.amdhsa_exception_int_div_zero 0
	.end_amdhsa_kernel
	.section	.text._ZN7rocprim17ROCPRIM_400000_NS6detail17trampoline_kernelINS0_13select_configILj256ELj13ELNS0_17block_load_methodE3ELS4_3ELS4_3ELNS0_20block_scan_algorithmE0ELj4294967295EEENS1_25partition_config_selectorILNS1_17partition_subalgoE3EjNS0_10empty_typeEbEEZZNS1_14partition_implILS8_3ELb0ES6_jNS0_17counting_iteratorIjlEEPS9_SE_NS0_5tupleIJPjSE_EEENSF_IJSE_SE_EEES9_SG_JZNS1_25segmented_radix_sort_implINS0_14default_configELb1EPKlPlSM_SN_N2at6native12_GLOBAL__N_18offset_tEEE10hipError_tPvRmT1_PNSt15iterator_traitsISV_E10value_typeET2_T3_PNSW_IS11_E10value_typeET4_jRbjT5_S17_jjP12ihipStream_tbEUljE_EEESS_ST_SU_S11_S15_S17_T6_T7_T9_mT8_S19_bDpT10_ENKUlT_T0_E_clISt17integral_constantIbLb1EES1M_EEDaS1H_S1I_EUlS1H_E_NS1_11comp_targetILNS1_3genE9ELNS1_11target_archE1100ELNS1_3gpuE3ELNS1_3repE0EEENS1_30default_config_static_selectorELNS0_4arch9wavefront6targetE1EEEvSV_,"axG",@progbits,_ZN7rocprim17ROCPRIM_400000_NS6detail17trampoline_kernelINS0_13select_configILj256ELj13ELNS0_17block_load_methodE3ELS4_3ELS4_3ELNS0_20block_scan_algorithmE0ELj4294967295EEENS1_25partition_config_selectorILNS1_17partition_subalgoE3EjNS0_10empty_typeEbEEZZNS1_14partition_implILS8_3ELb0ES6_jNS0_17counting_iteratorIjlEEPS9_SE_NS0_5tupleIJPjSE_EEENSF_IJSE_SE_EEES9_SG_JZNS1_25segmented_radix_sort_implINS0_14default_configELb1EPKlPlSM_SN_N2at6native12_GLOBAL__N_18offset_tEEE10hipError_tPvRmT1_PNSt15iterator_traitsISV_E10value_typeET2_T3_PNSW_IS11_E10value_typeET4_jRbjT5_S17_jjP12ihipStream_tbEUljE_EEESS_ST_SU_S11_S15_S17_T6_T7_T9_mT8_S19_bDpT10_ENKUlT_T0_E_clISt17integral_constantIbLb1EES1M_EEDaS1H_S1I_EUlS1H_E_NS1_11comp_targetILNS1_3genE9ELNS1_11target_archE1100ELNS1_3gpuE3ELNS1_3repE0EEENS1_30default_config_static_selectorELNS0_4arch9wavefront6targetE1EEEvSV_,comdat
.Lfunc_end686:
	.size	_ZN7rocprim17ROCPRIM_400000_NS6detail17trampoline_kernelINS0_13select_configILj256ELj13ELNS0_17block_load_methodE3ELS4_3ELS4_3ELNS0_20block_scan_algorithmE0ELj4294967295EEENS1_25partition_config_selectorILNS1_17partition_subalgoE3EjNS0_10empty_typeEbEEZZNS1_14partition_implILS8_3ELb0ES6_jNS0_17counting_iteratorIjlEEPS9_SE_NS0_5tupleIJPjSE_EEENSF_IJSE_SE_EEES9_SG_JZNS1_25segmented_radix_sort_implINS0_14default_configELb1EPKlPlSM_SN_N2at6native12_GLOBAL__N_18offset_tEEE10hipError_tPvRmT1_PNSt15iterator_traitsISV_E10value_typeET2_T3_PNSW_IS11_E10value_typeET4_jRbjT5_S17_jjP12ihipStream_tbEUljE_EEESS_ST_SU_S11_S15_S17_T6_T7_T9_mT8_S19_bDpT10_ENKUlT_T0_E_clISt17integral_constantIbLb1EES1M_EEDaS1H_S1I_EUlS1H_E_NS1_11comp_targetILNS1_3genE9ELNS1_11target_archE1100ELNS1_3gpuE3ELNS1_3repE0EEENS1_30default_config_static_selectorELNS0_4arch9wavefront6targetE1EEEvSV_, .Lfunc_end686-_ZN7rocprim17ROCPRIM_400000_NS6detail17trampoline_kernelINS0_13select_configILj256ELj13ELNS0_17block_load_methodE3ELS4_3ELS4_3ELNS0_20block_scan_algorithmE0ELj4294967295EEENS1_25partition_config_selectorILNS1_17partition_subalgoE3EjNS0_10empty_typeEbEEZZNS1_14partition_implILS8_3ELb0ES6_jNS0_17counting_iteratorIjlEEPS9_SE_NS0_5tupleIJPjSE_EEENSF_IJSE_SE_EEES9_SG_JZNS1_25segmented_radix_sort_implINS0_14default_configELb1EPKlPlSM_SN_N2at6native12_GLOBAL__N_18offset_tEEE10hipError_tPvRmT1_PNSt15iterator_traitsISV_E10value_typeET2_T3_PNSW_IS11_E10value_typeET4_jRbjT5_S17_jjP12ihipStream_tbEUljE_EEESS_ST_SU_S11_S15_S17_T6_T7_T9_mT8_S19_bDpT10_ENKUlT_T0_E_clISt17integral_constantIbLb1EES1M_EEDaS1H_S1I_EUlS1H_E_NS1_11comp_targetILNS1_3genE9ELNS1_11target_archE1100ELNS1_3gpuE3ELNS1_3repE0EEENS1_30default_config_static_selectorELNS0_4arch9wavefront6targetE1EEEvSV_
                                        ; -- End function
	.section	.AMDGPU.csdata,"",@progbits
; Kernel info:
; codeLenInByte = 0
; NumSgprs: 4
; NumVgprs: 0
; NumAgprs: 0
; TotalNumVgprs: 0
; ScratchSize: 0
; MemoryBound: 0
; FloatMode: 240
; IeeeMode: 1
; LDSByteSize: 0 bytes/workgroup (compile time only)
; SGPRBlocks: 0
; VGPRBlocks: 0
; NumSGPRsForWavesPerEU: 4
; NumVGPRsForWavesPerEU: 1
; AccumOffset: 4
; Occupancy: 8
; WaveLimiterHint : 0
; COMPUTE_PGM_RSRC2:SCRATCH_EN: 0
; COMPUTE_PGM_RSRC2:USER_SGPR: 6
; COMPUTE_PGM_RSRC2:TRAP_HANDLER: 0
; COMPUTE_PGM_RSRC2:TGID_X_EN: 1
; COMPUTE_PGM_RSRC2:TGID_Y_EN: 0
; COMPUTE_PGM_RSRC2:TGID_Z_EN: 0
; COMPUTE_PGM_RSRC2:TIDIG_COMP_CNT: 0
; COMPUTE_PGM_RSRC3_GFX90A:ACCUM_OFFSET: 0
; COMPUTE_PGM_RSRC3_GFX90A:TG_SPLIT: 0
	.section	.text._ZN7rocprim17ROCPRIM_400000_NS6detail17trampoline_kernelINS0_13select_configILj256ELj13ELNS0_17block_load_methodE3ELS4_3ELS4_3ELNS0_20block_scan_algorithmE0ELj4294967295EEENS1_25partition_config_selectorILNS1_17partition_subalgoE3EjNS0_10empty_typeEbEEZZNS1_14partition_implILS8_3ELb0ES6_jNS0_17counting_iteratorIjlEEPS9_SE_NS0_5tupleIJPjSE_EEENSF_IJSE_SE_EEES9_SG_JZNS1_25segmented_radix_sort_implINS0_14default_configELb1EPKlPlSM_SN_N2at6native12_GLOBAL__N_18offset_tEEE10hipError_tPvRmT1_PNSt15iterator_traitsISV_E10value_typeET2_T3_PNSW_IS11_E10value_typeET4_jRbjT5_S17_jjP12ihipStream_tbEUljE_EEESS_ST_SU_S11_S15_S17_T6_T7_T9_mT8_S19_bDpT10_ENKUlT_T0_E_clISt17integral_constantIbLb1EES1M_EEDaS1H_S1I_EUlS1H_E_NS1_11comp_targetILNS1_3genE8ELNS1_11target_archE1030ELNS1_3gpuE2ELNS1_3repE0EEENS1_30default_config_static_selectorELNS0_4arch9wavefront6targetE1EEEvSV_,"axG",@progbits,_ZN7rocprim17ROCPRIM_400000_NS6detail17trampoline_kernelINS0_13select_configILj256ELj13ELNS0_17block_load_methodE3ELS4_3ELS4_3ELNS0_20block_scan_algorithmE0ELj4294967295EEENS1_25partition_config_selectorILNS1_17partition_subalgoE3EjNS0_10empty_typeEbEEZZNS1_14partition_implILS8_3ELb0ES6_jNS0_17counting_iteratorIjlEEPS9_SE_NS0_5tupleIJPjSE_EEENSF_IJSE_SE_EEES9_SG_JZNS1_25segmented_radix_sort_implINS0_14default_configELb1EPKlPlSM_SN_N2at6native12_GLOBAL__N_18offset_tEEE10hipError_tPvRmT1_PNSt15iterator_traitsISV_E10value_typeET2_T3_PNSW_IS11_E10value_typeET4_jRbjT5_S17_jjP12ihipStream_tbEUljE_EEESS_ST_SU_S11_S15_S17_T6_T7_T9_mT8_S19_bDpT10_ENKUlT_T0_E_clISt17integral_constantIbLb1EES1M_EEDaS1H_S1I_EUlS1H_E_NS1_11comp_targetILNS1_3genE8ELNS1_11target_archE1030ELNS1_3gpuE2ELNS1_3repE0EEENS1_30default_config_static_selectorELNS0_4arch9wavefront6targetE1EEEvSV_,comdat
	.globl	_ZN7rocprim17ROCPRIM_400000_NS6detail17trampoline_kernelINS0_13select_configILj256ELj13ELNS0_17block_load_methodE3ELS4_3ELS4_3ELNS0_20block_scan_algorithmE0ELj4294967295EEENS1_25partition_config_selectorILNS1_17partition_subalgoE3EjNS0_10empty_typeEbEEZZNS1_14partition_implILS8_3ELb0ES6_jNS0_17counting_iteratorIjlEEPS9_SE_NS0_5tupleIJPjSE_EEENSF_IJSE_SE_EEES9_SG_JZNS1_25segmented_radix_sort_implINS0_14default_configELb1EPKlPlSM_SN_N2at6native12_GLOBAL__N_18offset_tEEE10hipError_tPvRmT1_PNSt15iterator_traitsISV_E10value_typeET2_T3_PNSW_IS11_E10value_typeET4_jRbjT5_S17_jjP12ihipStream_tbEUljE_EEESS_ST_SU_S11_S15_S17_T6_T7_T9_mT8_S19_bDpT10_ENKUlT_T0_E_clISt17integral_constantIbLb1EES1M_EEDaS1H_S1I_EUlS1H_E_NS1_11comp_targetILNS1_3genE8ELNS1_11target_archE1030ELNS1_3gpuE2ELNS1_3repE0EEENS1_30default_config_static_selectorELNS0_4arch9wavefront6targetE1EEEvSV_ ; -- Begin function _ZN7rocprim17ROCPRIM_400000_NS6detail17trampoline_kernelINS0_13select_configILj256ELj13ELNS0_17block_load_methodE3ELS4_3ELS4_3ELNS0_20block_scan_algorithmE0ELj4294967295EEENS1_25partition_config_selectorILNS1_17partition_subalgoE3EjNS0_10empty_typeEbEEZZNS1_14partition_implILS8_3ELb0ES6_jNS0_17counting_iteratorIjlEEPS9_SE_NS0_5tupleIJPjSE_EEENSF_IJSE_SE_EEES9_SG_JZNS1_25segmented_radix_sort_implINS0_14default_configELb1EPKlPlSM_SN_N2at6native12_GLOBAL__N_18offset_tEEE10hipError_tPvRmT1_PNSt15iterator_traitsISV_E10value_typeET2_T3_PNSW_IS11_E10value_typeET4_jRbjT5_S17_jjP12ihipStream_tbEUljE_EEESS_ST_SU_S11_S15_S17_T6_T7_T9_mT8_S19_bDpT10_ENKUlT_T0_E_clISt17integral_constantIbLb1EES1M_EEDaS1H_S1I_EUlS1H_E_NS1_11comp_targetILNS1_3genE8ELNS1_11target_archE1030ELNS1_3gpuE2ELNS1_3repE0EEENS1_30default_config_static_selectorELNS0_4arch9wavefront6targetE1EEEvSV_
	.p2align	8
	.type	_ZN7rocprim17ROCPRIM_400000_NS6detail17trampoline_kernelINS0_13select_configILj256ELj13ELNS0_17block_load_methodE3ELS4_3ELS4_3ELNS0_20block_scan_algorithmE0ELj4294967295EEENS1_25partition_config_selectorILNS1_17partition_subalgoE3EjNS0_10empty_typeEbEEZZNS1_14partition_implILS8_3ELb0ES6_jNS0_17counting_iteratorIjlEEPS9_SE_NS0_5tupleIJPjSE_EEENSF_IJSE_SE_EEES9_SG_JZNS1_25segmented_radix_sort_implINS0_14default_configELb1EPKlPlSM_SN_N2at6native12_GLOBAL__N_18offset_tEEE10hipError_tPvRmT1_PNSt15iterator_traitsISV_E10value_typeET2_T3_PNSW_IS11_E10value_typeET4_jRbjT5_S17_jjP12ihipStream_tbEUljE_EEESS_ST_SU_S11_S15_S17_T6_T7_T9_mT8_S19_bDpT10_ENKUlT_T0_E_clISt17integral_constantIbLb1EES1M_EEDaS1H_S1I_EUlS1H_E_NS1_11comp_targetILNS1_3genE8ELNS1_11target_archE1030ELNS1_3gpuE2ELNS1_3repE0EEENS1_30default_config_static_selectorELNS0_4arch9wavefront6targetE1EEEvSV_,@function
_ZN7rocprim17ROCPRIM_400000_NS6detail17trampoline_kernelINS0_13select_configILj256ELj13ELNS0_17block_load_methodE3ELS4_3ELS4_3ELNS0_20block_scan_algorithmE0ELj4294967295EEENS1_25partition_config_selectorILNS1_17partition_subalgoE3EjNS0_10empty_typeEbEEZZNS1_14partition_implILS8_3ELb0ES6_jNS0_17counting_iteratorIjlEEPS9_SE_NS0_5tupleIJPjSE_EEENSF_IJSE_SE_EEES9_SG_JZNS1_25segmented_radix_sort_implINS0_14default_configELb1EPKlPlSM_SN_N2at6native12_GLOBAL__N_18offset_tEEE10hipError_tPvRmT1_PNSt15iterator_traitsISV_E10value_typeET2_T3_PNSW_IS11_E10value_typeET4_jRbjT5_S17_jjP12ihipStream_tbEUljE_EEESS_ST_SU_S11_S15_S17_T6_T7_T9_mT8_S19_bDpT10_ENKUlT_T0_E_clISt17integral_constantIbLb1EES1M_EEDaS1H_S1I_EUlS1H_E_NS1_11comp_targetILNS1_3genE8ELNS1_11target_archE1030ELNS1_3gpuE2ELNS1_3repE0EEENS1_30default_config_static_selectorELNS0_4arch9wavefront6targetE1EEEvSV_: ; @_ZN7rocprim17ROCPRIM_400000_NS6detail17trampoline_kernelINS0_13select_configILj256ELj13ELNS0_17block_load_methodE3ELS4_3ELS4_3ELNS0_20block_scan_algorithmE0ELj4294967295EEENS1_25partition_config_selectorILNS1_17partition_subalgoE3EjNS0_10empty_typeEbEEZZNS1_14partition_implILS8_3ELb0ES6_jNS0_17counting_iteratorIjlEEPS9_SE_NS0_5tupleIJPjSE_EEENSF_IJSE_SE_EEES9_SG_JZNS1_25segmented_radix_sort_implINS0_14default_configELb1EPKlPlSM_SN_N2at6native12_GLOBAL__N_18offset_tEEE10hipError_tPvRmT1_PNSt15iterator_traitsISV_E10value_typeET2_T3_PNSW_IS11_E10value_typeET4_jRbjT5_S17_jjP12ihipStream_tbEUljE_EEESS_ST_SU_S11_S15_S17_T6_T7_T9_mT8_S19_bDpT10_ENKUlT_T0_E_clISt17integral_constantIbLb1EES1M_EEDaS1H_S1I_EUlS1H_E_NS1_11comp_targetILNS1_3genE8ELNS1_11target_archE1030ELNS1_3gpuE2ELNS1_3repE0EEENS1_30default_config_static_selectorELNS0_4arch9wavefront6targetE1EEEvSV_
; %bb.0:
	.section	.rodata,"a",@progbits
	.p2align	6, 0x0
	.amdhsa_kernel _ZN7rocprim17ROCPRIM_400000_NS6detail17trampoline_kernelINS0_13select_configILj256ELj13ELNS0_17block_load_methodE3ELS4_3ELS4_3ELNS0_20block_scan_algorithmE0ELj4294967295EEENS1_25partition_config_selectorILNS1_17partition_subalgoE3EjNS0_10empty_typeEbEEZZNS1_14partition_implILS8_3ELb0ES6_jNS0_17counting_iteratorIjlEEPS9_SE_NS0_5tupleIJPjSE_EEENSF_IJSE_SE_EEES9_SG_JZNS1_25segmented_radix_sort_implINS0_14default_configELb1EPKlPlSM_SN_N2at6native12_GLOBAL__N_18offset_tEEE10hipError_tPvRmT1_PNSt15iterator_traitsISV_E10value_typeET2_T3_PNSW_IS11_E10value_typeET4_jRbjT5_S17_jjP12ihipStream_tbEUljE_EEESS_ST_SU_S11_S15_S17_T6_T7_T9_mT8_S19_bDpT10_ENKUlT_T0_E_clISt17integral_constantIbLb1EES1M_EEDaS1H_S1I_EUlS1H_E_NS1_11comp_targetILNS1_3genE8ELNS1_11target_archE1030ELNS1_3gpuE2ELNS1_3repE0EEENS1_30default_config_static_selectorELNS0_4arch9wavefront6targetE1EEEvSV_
		.amdhsa_group_segment_fixed_size 0
		.amdhsa_private_segment_fixed_size 0
		.amdhsa_kernarg_size 152
		.amdhsa_user_sgpr_count 6
		.amdhsa_user_sgpr_private_segment_buffer 1
		.amdhsa_user_sgpr_dispatch_ptr 0
		.amdhsa_user_sgpr_queue_ptr 0
		.amdhsa_user_sgpr_kernarg_segment_ptr 1
		.amdhsa_user_sgpr_dispatch_id 0
		.amdhsa_user_sgpr_flat_scratch_init 0
		.amdhsa_user_sgpr_kernarg_preload_length 0
		.amdhsa_user_sgpr_kernarg_preload_offset 0
		.amdhsa_user_sgpr_private_segment_size 0
		.amdhsa_uses_dynamic_stack 0
		.amdhsa_system_sgpr_private_segment_wavefront_offset 0
		.amdhsa_system_sgpr_workgroup_id_x 1
		.amdhsa_system_sgpr_workgroup_id_y 0
		.amdhsa_system_sgpr_workgroup_id_z 0
		.amdhsa_system_sgpr_workgroup_info 0
		.amdhsa_system_vgpr_workitem_id 0
		.amdhsa_next_free_vgpr 1
		.amdhsa_next_free_sgpr 0
		.amdhsa_accum_offset 4
		.amdhsa_reserve_vcc 0
		.amdhsa_reserve_flat_scratch 0
		.amdhsa_float_round_mode_32 0
		.amdhsa_float_round_mode_16_64 0
		.amdhsa_float_denorm_mode_32 3
		.amdhsa_float_denorm_mode_16_64 3
		.amdhsa_dx10_clamp 1
		.amdhsa_ieee_mode 1
		.amdhsa_fp16_overflow 0
		.amdhsa_tg_split 0
		.amdhsa_exception_fp_ieee_invalid_op 0
		.amdhsa_exception_fp_denorm_src 0
		.amdhsa_exception_fp_ieee_div_zero 0
		.amdhsa_exception_fp_ieee_overflow 0
		.amdhsa_exception_fp_ieee_underflow 0
		.amdhsa_exception_fp_ieee_inexact 0
		.amdhsa_exception_int_div_zero 0
	.end_amdhsa_kernel
	.section	.text._ZN7rocprim17ROCPRIM_400000_NS6detail17trampoline_kernelINS0_13select_configILj256ELj13ELNS0_17block_load_methodE3ELS4_3ELS4_3ELNS0_20block_scan_algorithmE0ELj4294967295EEENS1_25partition_config_selectorILNS1_17partition_subalgoE3EjNS0_10empty_typeEbEEZZNS1_14partition_implILS8_3ELb0ES6_jNS0_17counting_iteratorIjlEEPS9_SE_NS0_5tupleIJPjSE_EEENSF_IJSE_SE_EEES9_SG_JZNS1_25segmented_radix_sort_implINS0_14default_configELb1EPKlPlSM_SN_N2at6native12_GLOBAL__N_18offset_tEEE10hipError_tPvRmT1_PNSt15iterator_traitsISV_E10value_typeET2_T3_PNSW_IS11_E10value_typeET4_jRbjT5_S17_jjP12ihipStream_tbEUljE_EEESS_ST_SU_S11_S15_S17_T6_T7_T9_mT8_S19_bDpT10_ENKUlT_T0_E_clISt17integral_constantIbLb1EES1M_EEDaS1H_S1I_EUlS1H_E_NS1_11comp_targetILNS1_3genE8ELNS1_11target_archE1030ELNS1_3gpuE2ELNS1_3repE0EEENS1_30default_config_static_selectorELNS0_4arch9wavefront6targetE1EEEvSV_,"axG",@progbits,_ZN7rocprim17ROCPRIM_400000_NS6detail17trampoline_kernelINS0_13select_configILj256ELj13ELNS0_17block_load_methodE3ELS4_3ELS4_3ELNS0_20block_scan_algorithmE0ELj4294967295EEENS1_25partition_config_selectorILNS1_17partition_subalgoE3EjNS0_10empty_typeEbEEZZNS1_14partition_implILS8_3ELb0ES6_jNS0_17counting_iteratorIjlEEPS9_SE_NS0_5tupleIJPjSE_EEENSF_IJSE_SE_EEES9_SG_JZNS1_25segmented_radix_sort_implINS0_14default_configELb1EPKlPlSM_SN_N2at6native12_GLOBAL__N_18offset_tEEE10hipError_tPvRmT1_PNSt15iterator_traitsISV_E10value_typeET2_T3_PNSW_IS11_E10value_typeET4_jRbjT5_S17_jjP12ihipStream_tbEUljE_EEESS_ST_SU_S11_S15_S17_T6_T7_T9_mT8_S19_bDpT10_ENKUlT_T0_E_clISt17integral_constantIbLb1EES1M_EEDaS1H_S1I_EUlS1H_E_NS1_11comp_targetILNS1_3genE8ELNS1_11target_archE1030ELNS1_3gpuE2ELNS1_3repE0EEENS1_30default_config_static_selectorELNS0_4arch9wavefront6targetE1EEEvSV_,comdat
.Lfunc_end687:
	.size	_ZN7rocprim17ROCPRIM_400000_NS6detail17trampoline_kernelINS0_13select_configILj256ELj13ELNS0_17block_load_methodE3ELS4_3ELS4_3ELNS0_20block_scan_algorithmE0ELj4294967295EEENS1_25partition_config_selectorILNS1_17partition_subalgoE3EjNS0_10empty_typeEbEEZZNS1_14partition_implILS8_3ELb0ES6_jNS0_17counting_iteratorIjlEEPS9_SE_NS0_5tupleIJPjSE_EEENSF_IJSE_SE_EEES9_SG_JZNS1_25segmented_radix_sort_implINS0_14default_configELb1EPKlPlSM_SN_N2at6native12_GLOBAL__N_18offset_tEEE10hipError_tPvRmT1_PNSt15iterator_traitsISV_E10value_typeET2_T3_PNSW_IS11_E10value_typeET4_jRbjT5_S17_jjP12ihipStream_tbEUljE_EEESS_ST_SU_S11_S15_S17_T6_T7_T9_mT8_S19_bDpT10_ENKUlT_T0_E_clISt17integral_constantIbLb1EES1M_EEDaS1H_S1I_EUlS1H_E_NS1_11comp_targetILNS1_3genE8ELNS1_11target_archE1030ELNS1_3gpuE2ELNS1_3repE0EEENS1_30default_config_static_selectorELNS0_4arch9wavefront6targetE1EEEvSV_, .Lfunc_end687-_ZN7rocprim17ROCPRIM_400000_NS6detail17trampoline_kernelINS0_13select_configILj256ELj13ELNS0_17block_load_methodE3ELS4_3ELS4_3ELNS0_20block_scan_algorithmE0ELj4294967295EEENS1_25partition_config_selectorILNS1_17partition_subalgoE3EjNS0_10empty_typeEbEEZZNS1_14partition_implILS8_3ELb0ES6_jNS0_17counting_iteratorIjlEEPS9_SE_NS0_5tupleIJPjSE_EEENSF_IJSE_SE_EEES9_SG_JZNS1_25segmented_radix_sort_implINS0_14default_configELb1EPKlPlSM_SN_N2at6native12_GLOBAL__N_18offset_tEEE10hipError_tPvRmT1_PNSt15iterator_traitsISV_E10value_typeET2_T3_PNSW_IS11_E10value_typeET4_jRbjT5_S17_jjP12ihipStream_tbEUljE_EEESS_ST_SU_S11_S15_S17_T6_T7_T9_mT8_S19_bDpT10_ENKUlT_T0_E_clISt17integral_constantIbLb1EES1M_EEDaS1H_S1I_EUlS1H_E_NS1_11comp_targetILNS1_3genE8ELNS1_11target_archE1030ELNS1_3gpuE2ELNS1_3repE0EEENS1_30default_config_static_selectorELNS0_4arch9wavefront6targetE1EEEvSV_
                                        ; -- End function
	.section	.AMDGPU.csdata,"",@progbits
; Kernel info:
; codeLenInByte = 0
; NumSgprs: 4
; NumVgprs: 0
; NumAgprs: 0
; TotalNumVgprs: 0
; ScratchSize: 0
; MemoryBound: 0
; FloatMode: 240
; IeeeMode: 1
; LDSByteSize: 0 bytes/workgroup (compile time only)
; SGPRBlocks: 0
; VGPRBlocks: 0
; NumSGPRsForWavesPerEU: 4
; NumVGPRsForWavesPerEU: 1
; AccumOffset: 4
; Occupancy: 8
; WaveLimiterHint : 0
; COMPUTE_PGM_RSRC2:SCRATCH_EN: 0
; COMPUTE_PGM_RSRC2:USER_SGPR: 6
; COMPUTE_PGM_RSRC2:TRAP_HANDLER: 0
; COMPUTE_PGM_RSRC2:TGID_X_EN: 1
; COMPUTE_PGM_RSRC2:TGID_Y_EN: 0
; COMPUTE_PGM_RSRC2:TGID_Z_EN: 0
; COMPUTE_PGM_RSRC2:TIDIG_COMP_CNT: 0
; COMPUTE_PGM_RSRC3_GFX90A:ACCUM_OFFSET: 0
; COMPUTE_PGM_RSRC3_GFX90A:TG_SPLIT: 0
	.section	.text._ZN7rocprim17ROCPRIM_400000_NS6detail17trampoline_kernelINS0_13select_configILj256ELj13ELNS0_17block_load_methodE3ELS4_3ELS4_3ELNS0_20block_scan_algorithmE0ELj4294967295EEENS1_25partition_config_selectorILNS1_17partition_subalgoE3EjNS0_10empty_typeEbEEZZNS1_14partition_implILS8_3ELb0ES6_jNS0_17counting_iteratorIjlEEPS9_SE_NS0_5tupleIJPjSE_EEENSF_IJSE_SE_EEES9_SG_JZNS1_25segmented_radix_sort_implINS0_14default_configELb1EPKlPlSM_SN_N2at6native12_GLOBAL__N_18offset_tEEE10hipError_tPvRmT1_PNSt15iterator_traitsISV_E10value_typeET2_T3_PNSW_IS11_E10value_typeET4_jRbjT5_S17_jjP12ihipStream_tbEUljE_EEESS_ST_SU_S11_S15_S17_T6_T7_T9_mT8_S19_bDpT10_ENKUlT_T0_E_clISt17integral_constantIbLb1EES1L_IbLb0EEEEDaS1H_S1I_EUlS1H_E_NS1_11comp_targetILNS1_3genE0ELNS1_11target_archE4294967295ELNS1_3gpuE0ELNS1_3repE0EEENS1_30default_config_static_selectorELNS0_4arch9wavefront6targetE1EEEvSV_,"axG",@progbits,_ZN7rocprim17ROCPRIM_400000_NS6detail17trampoline_kernelINS0_13select_configILj256ELj13ELNS0_17block_load_methodE3ELS4_3ELS4_3ELNS0_20block_scan_algorithmE0ELj4294967295EEENS1_25partition_config_selectorILNS1_17partition_subalgoE3EjNS0_10empty_typeEbEEZZNS1_14partition_implILS8_3ELb0ES6_jNS0_17counting_iteratorIjlEEPS9_SE_NS0_5tupleIJPjSE_EEENSF_IJSE_SE_EEES9_SG_JZNS1_25segmented_radix_sort_implINS0_14default_configELb1EPKlPlSM_SN_N2at6native12_GLOBAL__N_18offset_tEEE10hipError_tPvRmT1_PNSt15iterator_traitsISV_E10value_typeET2_T3_PNSW_IS11_E10value_typeET4_jRbjT5_S17_jjP12ihipStream_tbEUljE_EEESS_ST_SU_S11_S15_S17_T6_T7_T9_mT8_S19_bDpT10_ENKUlT_T0_E_clISt17integral_constantIbLb1EES1L_IbLb0EEEEDaS1H_S1I_EUlS1H_E_NS1_11comp_targetILNS1_3genE0ELNS1_11target_archE4294967295ELNS1_3gpuE0ELNS1_3repE0EEENS1_30default_config_static_selectorELNS0_4arch9wavefront6targetE1EEEvSV_,comdat
	.globl	_ZN7rocprim17ROCPRIM_400000_NS6detail17trampoline_kernelINS0_13select_configILj256ELj13ELNS0_17block_load_methodE3ELS4_3ELS4_3ELNS0_20block_scan_algorithmE0ELj4294967295EEENS1_25partition_config_selectorILNS1_17partition_subalgoE3EjNS0_10empty_typeEbEEZZNS1_14partition_implILS8_3ELb0ES6_jNS0_17counting_iteratorIjlEEPS9_SE_NS0_5tupleIJPjSE_EEENSF_IJSE_SE_EEES9_SG_JZNS1_25segmented_radix_sort_implINS0_14default_configELb1EPKlPlSM_SN_N2at6native12_GLOBAL__N_18offset_tEEE10hipError_tPvRmT1_PNSt15iterator_traitsISV_E10value_typeET2_T3_PNSW_IS11_E10value_typeET4_jRbjT5_S17_jjP12ihipStream_tbEUljE_EEESS_ST_SU_S11_S15_S17_T6_T7_T9_mT8_S19_bDpT10_ENKUlT_T0_E_clISt17integral_constantIbLb1EES1L_IbLb0EEEEDaS1H_S1I_EUlS1H_E_NS1_11comp_targetILNS1_3genE0ELNS1_11target_archE4294967295ELNS1_3gpuE0ELNS1_3repE0EEENS1_30default_config_static_selectorELNS0_4arch9wavefront6targetE1EEEvSV_ ; -- Begin function _ZN7rocprim17ROCPRIM_400000_NS6detail17trampoline_kernelINS0_13select_configILj256ELj13ELNS0_17block_load_methodE3ELS4_3ELS4_3ELNS0_20block_scan_algorithmE0ELj4294967295EEENS1_25partition_config_selectorILNS1_17partition_subalgoE3EjNS0_10empty_typeEbEEZZNS1_14partition_implILS8_3ELb0ES6_jNS0_17counting_iteratorIjlEEPS9_SE_NS0_5tupleIJPjSE_EEENSF_IJSE_SE_EEES9_SG_JZNS1_25segmented_radix_sort_implINS0_14default_configELb1EPKlPlSM_SN_N2at6native12_GLOBAL__N_18offset_tEEE10hipError_tPvRmT1_PNSt15iterator_traitsISV_E10value_typeET2_T3_PNSW_IS11_E10value_typeET4_jRbjT5_S17_jjP12ihipStream_tbEUljE_EEESS_ST_SU_S11_S15_S17_T6_T7_T9_mT8_S19_bDpT10_ENKUlT_T0_E_clISt17integral_constantIbLb1EES1L_IbLb0EEEEDaS1H_S1I_EUlS1H_E_NS1_11comp_targetILNS1_3genE0ELNS1_11target_archE4294967295ELNS1_3gpuE0ELNS1_3repE0EEENS1_30default_config_static_selectorELNS0_4arch9wavefront6targetE1EEEvSV_
	.p2align	8
	.type	_ZN7rocprim17ROCPRIM_400000_NS6detail17trampoline_kernelINS0_13select_configILj256ELj13ELNS0_17block_load_methodE3ELS4_3ELS4_3ELNS0_20block_scan_algorithmE0ELj4294967295EEENS1_25partition_config_selectorILNS1_17partition_subalgoE3EjNS0_10empty_typeEbEEZZNS1_14partition_implILS8_3ELb0ES6_jNS0_17counting_iteratorIjlEEPS9_SE_NS0_5tupleIJPjSE_EEENSF_IJSE_SE_EEES9_SG_JZNS1_25segmented_radix_sort_implINS0_14default_configELb1EPKlPlSM_SN_N2at6native12_GLOBAL__N_18offset_tEEE10hipError_tPvRmT1_PNSt15iterator_traitsISV_E10value_typeET2_T3_PNSW_IS11_E10value_typeET4_jRbjT5_S17_jjP12ihipStream_tbEUljE_EEESS_ST_SU_S11_S15_S17_T6_T7_T9_mT8_S19_bDpT10_ENKUlT_T0_E_clISt17integral_constantIbLb1EES1L_IbLb0EEEEDaS1H_S1I_EUlS1H_E_NS1_11comp_targetILNS1_3genE0ELNS1_11target_archE4294967295ELNS1_3gpuE0ELNS1_3repE0EEENS1_30default_config_static_selectorELNS0_4arch9wavefront6targetE1EEEvSV_,@function
_ZN7rocprim17ROCPRIM_400000_NS6detail17trampoline_kernelINS0_13select_configILj256ELj13ELNS0_17block_load_methodE3ELS4_3ELS4_3ELNS0_20block_scan_algorithmE0ELj4294967295EEENS1_25partition_config_selectorILNS1_17partition_subalgoE3EjNS0_10empty_typeEbEEZZNS1_14partition_implILS8_3ELb0ES6_jNS0_17counting_iteratorIjlEEPS9_SE_NS0_5tupleIJPjSE_EEENSF_IJSE_SE_EEES9_SG_JZNS1_25segmented_radix_sort_implINS0_14default_configELb1EPKlPlSM_SN_N2at6native12_GLOBAL__N_18offset_tEEE10hipError_tPvRmT1_PNSt15iterator_traitsISV_E10value_typeET2_T3_PNSW_IS11_E10value_typeET4_jRbjT5_S17_jjP12ihipStream_tbEUljE_EEESS_ST_SU_S11_S15_S17_T6_T7_T9_mT8_S19_bDpT10_ENKUlT_T0_E_clISt17integral_constantIbLb1EES1L_IbLb0EEEEDaS1H_S1I_EUlS1H_E_NS1_11comp_targetILNS1_3genE0ELNS1_11target_archE4294967295ELNS1_3gpuE0ELNS1_3repE0EEENS1_30default_config_static_selectorELNS0_4arch9wavefront6targetE1EEEvSV_: ; @_ZN7rocprim17ROCPRIM_400000_NS6detail17trampoline_kernelINS0_13select_configILj256ELj13ELNS0_17block_load_methodE3ELS4_3ELS4_3ELNS0_20block_scan_algorithmE0ELj4294967295EEENS1_25partition_config_selectorILNS1_17partition_subalgoE3EjNS0_10empty_typeEbEEZZNS1_14partition_implILS8_3ELb0ES6_jNS0_17counting_iteratorIjlEEPS9_SE_NS0_5tupleIJPjSE_EEENSF_IJSE_SE_EEES9_SG_JZNS1_25segmented_radix_sort_implINS0_14default_configELb1EPKlPlSM_SN_N2at6native12_GLOBAL__N_18offset_tEEE10hipError_tPvRmT1_PNSt15iterator_traitsISV_E10value_typeET2_T3_PNSW_IS11_E10value_typeET4_jRbjT5_S17_jjP12ihipStream_tbEUljE_EEESS_ST_SU_S11_S15_S17_T6_T7_T9_mT8_S19_bDpT10_ENKUlT_T0_E_clISt17integral_constantIbLb1EES1L_IbLb0EEEEDaS1H_S1I_EUlS1H_E_NS1_11comp_targetILNS1_3genE0ELNS1_11target_archE4294967295ELNS1_3gpuE0ELNS1_3repE0EEENS1_30default_config_static_selectorELNS0_4arch9wavefront6targetE1EEEvSV_
; %bb.0:
	.section	.rodata,"a",@progbits
	.p2align	6, 0x0
	.amdhsa_kernel _ZN7rocprim17ROCPRIM_400000_NS6detail17trampoline_kernelINS0_13select_configILj256ELj13ELNS0_17block_load_methodE3ELS4_3ELS4_3ELNS0_20block_scan_algorithmE0ELj4294967295EEENS1_25partition_config_selectorILNS1_17partition_subalgoE3EjNS0_10empty_typeEbEEZZNS1_14partition_implILS8_3ELb0ES6_jNS0_17counting_iteratorIjlEEPS9_SE_NS0_5tupleIJPjSE_EEENSF_IJSE_SE_EEES9_SG_JZNS1_25segmented_radix_sort_implINS0_14default_configELb1EPKlPlSM_SN_N2at6native12_GLOBAL__N_18offset_tEEE10hipError_tPvRmT1_PNSt15iterator_traitsISV_E10value_typeET2_T3_PNSW_IS11_E10value_typeET4_jRbjT5_S17_jjP12ihipStream_tbEUljE_EEESS_ST_SU_S11_S15_S17_T6_T7_T9_mT8_S19_bDpT10_ENKUlT_T0_E_clISt17integral_constantIbLb1EES1L_IbLb0EEEEDaS1H_S1I_EUlS1H_E_NS1_11comp_targetILNS1_3genE0ELNS1_11target_archE4294967295ELNS1_3gpuE0ELNS1_3repE0EEENS1_30default_config_static_selectorELNS0_4arch9wavefront6targetE1EEEvSV_
		.amdhsa_group_segment_fixed_size 0
		.amdhsa_private_segment_fixed_size 0
		.amdhsa_kernarg_size 144
		.amdhsa_user_sgpr_count 6
		.amdhsa_user_sgpr_private_segment_buffer 1
		.amdhsa_user_sgpr_dispatch_ptr 0
		.amdhsa_user_sgpr_queue_ptr 0
		.amdhsa_user_sgpr_kernarg_segment_ptr 1
		.amdhsa_user_sgpr_dispatch_id 0
		.amdhsa_user_sgpr_flat_scratch_init 0
		.amdhsa_user_sgpr_kernarg_preload_length 0
		.amdhsa_user_sgpr_kernarg_preload_offset 0
		.amdhsa_user_sgpr_private_segment_size 0
		.amdhsa_uses_dynamic_stack 0
		.amdhsa_system_sgpr_private_segment_wavefront_offset 0
		.amdhsa_system_sgpr_workgroup_id_x 1
		.amdhsa_system_sgpr_workgroup_id_y 0
		.amdhsa_system_sgpr_workgroup_id_z 0
		.amdhsa_system_sgpr_workgroup_info 0
		.amdhsa_system_vgpr_workitem_id 0
		.amdhsa_next_free_vgpr 1
		.amdhsa_next_free_sgpr 0
		.amdhsa_accum_offset 4
		.amdhsa_reserve_vcc 0
		.amdhsa_reserve_flat_scratch 0
		.amdhsa_float_round_mode_32 0
		.amdhsa_float_round_mode_16_64 0
		.amdhsa_float_denorm_mode_32 3
		.amdhsa_float_denorm_mode_16_64 3
		.amdhsa_dx10_clamp 1
		.amdhsa_ieee_mode 1
		.amdhsa_fp16_overflow 0
		.amdhsa_tg_split 0
		.amdhsa_exception_fp_ieee_invalid_op 0
		.amdhsa_exception_fp_denorm_src 0
		.amdhsa_exception_fp_ieee_div_zero 0
		.amdhsa_exception_fp_ieee_overflow 0
		.amdhsa_exception_fp_ieee_underflow 0
		.amdhsa_exception_fp_ieee_inexact 0
		.amdhsa_exception_int_div_zero 0
	.end_amdhsa_kernel
	.section	.text._ZN7rocprim17ROCPRIM_400000_NS6detail17trampoline_kernelINS0_13select_configILj256ELj13ELNS0_17block_load_methodE3ELS4_3ELS4_3ELNS0_20block_scan_algorithmE0ELj4294967295EEENS1_25partition_config_selectorILNS1_17partition_subalgoE3EjNS0_10empty_typeEbEEZZNS1_14partition_implILS8_3ELb0ES6_jNS0_17counting_iteratorIjlEEPS9_SE_NS0_5tupleIJPjSE_EEENSF_IJSE_SE_EEES9_SG_JZNS1_25segmented_radix_sort_implINS0_14default_configELb1EPKlPlSM_SN_N2at6native12_GLOBAL__N_18offset_tEEE10hipError_tPvRmT1_PNSt15iterator_traitsISV_E10value_typeET2_T3_PNSW_IS11_E10value_typeET4_jRbjT5_S17_jjP12ihipStream_tbEUljE_EEESS_ST_SU_S11_S15_S17_T6_T7_T9_mT8_S19_bDpT10_ENKUlT_T0_E_clISt17integral_constantIbLb1EES1L_IbLb0EEEEDaS1H_S1I_EUlS1H_E_NS1_11comp_targetILNS1_3genE0ELNS1_11target_archE4294967295ELNS1_3gpuE0ELNS1_3repE0EEENS1_30default_config_static_selectorELNS0_4arch9wavefront6targetE1EEEvSV_,"axG",@progbits,_ZN7rocprim17ROCPRIM_400000_NS6detail17trampoline_kernelINS0_13select_configILj256ELj13ELNS0_17block_load_methodE3ELS4_3ELS4_3ELNS0_20block_scan_algorithmE0ELj4294967295EEENS1_25partition_config_selectorILNS1_17partition_subalgoE3EjNS0_10empty_typeEbEEZZNS1_14partition_implILS8_3ELb0ES6_jNS0_17counting_iteratorIjlEEPS9_SE_NS0_5tupleIJPjSE_EEENSF_IJSE_SE_EEES9_SG_JZNS1_25segmented_radix_sort_implINS0_14default_configELb1EPKlPlSM_SN_N2at6native12_GLOBAL__N_18offset_tEEE10hipError_tPvRmT1_PNSt15iterator_traitsISV_E10value_typeET2_T3_PNSW_IS11_E10value_typeET4_jRbjT5_S17_jjP12ihipStream_tbEUljE_EEESS_ST_SU_S11_S15_S17_T6_T7_T9_mT8_S19_bDpT10_ENKUlT_T0_E_clISt17integral_constantIbLb1EES1L_IbLb0EEEEDaS1H_S1I_EUlS1H_E_NS1_11comp_targetILNS1_3genE0ELNS1_11target_archE4294967295ELNS1_3gpuE0ELNS1_3repE0EEENS1_30default_config_static_selectorELNS0_4arch9wavefront6targetE1EEEvSV_,comdat
.Lfunc_end688:
	.size	_ZN7rocprim17ROCPRIM_400000_NS6detail17trampoline_kernelINS0_13select_configILj256ELj13ELNS0_17block_load_methodE3ELS4_3ELS4_3ELNS0_20block_scan_algorithmE0ELj4294967295EEENS1_25partition_config_selectorILNS1_17partition_subalgoE3EjNS0_10empty_typeEbEEZZNS1_14partition_implILS8_3ELb0ES6_jNS0_17counting_iteratorIjlEEPS9_SE_NS0_5tupleIJPjSE_EEENSF_IJSE_SE_EEES9_SG_JZNS1_25segmented_radix_sort_implINS0_14default_configELb1EPKlPlSM_SN_N2at6native12_GLOBAL__N_18offset_tEEE10hipError_tPvRmT1_PNSt15iterator_traitsISV_E10value_typeET2_T3_PNSW_IS11_E10value_typeET4_jRbjT5_S17_jjP12ihipStream_tbEUljE_EEESS_ST_SU_S11_S15_S17_T6_T7_T9_mT8_S19_bDpT10_ENKUlT_T0_E_clISt17integral_constantIbLb1EES1L_IbLb0EEEEDaS1H_S1I_EUlS1H_E_NS1_11comp_targetILNS1_3genE0ELNS1_11target_archE4294967295ELNS1_3gpuE0ELNS1_3repE0EEENS1_30default_config_static_selectorELNS0_4arch9wavefront6targetE1EEEvSV_, .Lfunc_end688-_ZN7rocprim17ROCPRIM_400000_NS6detail17trampoline_kernelINS0_13select_configILj256ELj13ELNS0_17block_load_methodE3ELS4_3ELS4_3ELNS0_20block_scan_algorithmE0ELj4294967295EEENS1_25partition_config_selectorILNS1_17partition_subalgoE3EjNS0_10empty_typeEbEEZZNS1_14partition_implILS8_3ELb0ES6_jNS0_17counting_iteratorIjlEEPS9_SE_NS0_5tupleIJPjSE_EEENSF_IJSE_SE_EEES9_SG_JZNS1_25segmented_radix_sort_implINS0_14default_configELb1EPKlPlSM_SN_N2at6native12_GLOBAL__N_18offset_tEEE10hipError_tPvRmT1_PNSt15iterator_traitsISV_E10value_typeET2_T3_PNSW_IS11_E10value_typeET4_jRbjT5_S17_jjP12ihipStream_tbEUljE_EEESS_ST_SU_S11_S15_S17_T6_T7_T9_mT8_S19_bDpT10_ENKUlT_T0_E_clISt17integral_constantIbLb1EES1L_IbLb0EEEEDaS1H_S1I_EUlS1H_E_NS1_11comp_targetILNS1_3genE0ELNS1_11target_archE4294967295ELNS1_3gpuE0ELNS1_3repE0EEENS1_30default_config_static_selectorELNS0_4arch9wavefront6targetE1EEEvSV_
                                        ; -- End function
	.section	.AMDGPU.csdata,"",@progbits
; Kernel info:
; codeLenInByte = 0
; NumSgprs: 4
; NumVgprs: 0
; NumAgprs: 0
; TotalNumVgprs: 0
; ScratchSize: 0
; MemoryBound: 0
; FloatMode: 240
; IeeeMode: 1
; LDSByteSize: 0 bytes/workgroup (compile time only)
; SGPRBlocks: 0
; VGPRBlocks: 0
; NumSGPRsForWavesPerEU: 4
; NumVGPRsForWavesPerEU: 1
; AccumOffset: 4
; Occupancy: 8
; WaveLimiterHint : 0
; COMPUTE_PGM_RSRC2:SCRATCH_EN: 0
; COMPUTE_PGM_RSRC2:USER_SGPR: 6
; COMPUTE_PGM_RSRC2:TRAP_HANDLER: 0
; COMPUTE_PGM_RSRC2:TGID_X_EN: 1
; COMPUTE_PGM_RSRC2:TGID_Y_EN: 0
; COMPUTE_PGM_RSRC2:TGID_Z_EN: 0
; COMPUTE_PGM_RSRC2:TIDIG_COMP_CNT: 0
; COMPUTE_PGM_RSRC3_GFX90A:ACCUM_OFFSET: 0
; COMPUTE_PGM_RSRC3_GFX90A:TG_SPLIT: 0
	.section	.text._ZN7rocprim17ROCPRIM_400000_NS6detail17trampoline_kernelINS0_13select_configILj256ELj13ELNS0_17block_load_methodE3ELS4_3ELS4_3ELNS0_20block_scan_algorithmE0ELj4294967295EEENS1_25partition_config_selectorILNS1_17partition_subalgoE3EjNS0_10empty_typeEbEEZZNS1_14partition_implILS8_3ELb0ES6_jNS0_17counting_iteratorIjlEEPS9_SE_NS0_5tupleIJPjSE_EEENSF_IJSE_SE_EEES9_SG_JZNS1_25segmented_radix_sort_implINS0_14default_configELb1EPKlPlSM_SN_N2at6native12_GLOBAL__N_18offset_tEEE10hipError_tPvRmT1_PNSt15iterator_traitsISV_E10value_typeET2_T3_PNSW_IS11_E10value_typeET4_jRbjT5_S17_jjP12ihipStream_tbEUljE_EEESS_ST_SU_S11_S15_S17_T6_T7_T9_mT8_S19_bDpT10_ENKUlT_T0_E_clISt17integral_constantIbLb1EES1L_IbLb0EEEEDaS1H_S1I_EUlS1H_E_NS1_11comp_targetILNS1_3genE5ELNS1_11target_archE942ELNS1_3gpuE9ELNS1_3repE0EEENS1_30default_config_static_selectorELNS0_4arch9wavefront6targetE1EEEvSV_,"axG",@progbits,_ZN7rocprim17ROCPRIM_400000_NS6detail17trampoline_kernelINS0_13select_configILj256ELj13ELNS0_17block_load_methodE3ELS4_3ELS4_3ELNS0_20block_scan_algorithmE0ELj4294967295EEENS1_25partition_config_selectorILNS1_17partition_subalgoE3EjNS0_10empty_typeEbEEZZNS1_14partition_implILS8_3ELb0ES6_jNS0_17counting_iteratorIjlEEPS9_SE_NS0_5tupleIJPjSE_EEENSF_IJSE_SE_EEES9_SG_JZNS1_25segmented_radix_sort_implINS0_14default_configELb1EPKlPlSM_SN_N2at6native12_GLOBAL__N_18offset_tEEE10hipError_tPvRmT1_PNSt15iterator_traitsISV_E10value_typeET2_T3_PNSW_IS11_E10value_typeET4_jRbjT5_S17_jjP12ihipStream_tbEUljE_EEESS_ST_SU_S11_S15_S17_T6_T7_T9_mT8_S19_bDpT10_ENKUlT_T0_E_clISt17integral_constantIbLb1EES1L_IbLb0EEEEDaS1H_S1I_EUlS1H_E_NS1_11comp_targetILNS1_3genE5ELNS1_11target_archE942ELNS1_3gpuE9ELNS1_3repE0EEENS1_30default_config_static_selectorELNS0_4arch9wavefront6targetE1EEEvSV_,comdat
	.globl	_ZN7rocprim17ROCPRIM_400000_NS6detail17trampoline_kernelINS0_13select_configILj256ELj13ELNS0_17block_load_methodE3ELS4_3ELS4_3ELNS0_20block_scan_algorithmE0ELj4294967295EEENS1_25partition_config_selectorILNS1_17partition_subalgoE3EjNS0_10empty_typeEbEEZZNS1_14partition_implILS8_3ELb0ES6_jNS0_17counting_iteratorIjlEEPS9_SE_NS0_5tupleIJPjSE_EEENSF_IJSE_SE_EEES9_SG_JZNS1_25segmented_radix_sort_implINS0_14default_configELb1EPKlPlSM_SN_N2at6native12_GLOBAL__N_18offset_tEEE10hipError_tPvRmT1_PNSt15iterator_traitsISV_E10value_typeET2_T3_PNSW_IS11_E10value_typeET4_jRbjT5_S17_jjP12ihipStream_tbEUljE_EEESS_ST_SU_S11_S15_S17_T6_T7_T9_mT8_S19_bDpT10_ENKUlT_T0_E_clISt17integral_constantIbLb1EES1L_IbLb0EEEEDaS1H_S1I_EUlS1H_E_NS1_11comp_targetILNS1_3genE5ELNS1_11target_archE942ELNS1_3gpuE9ELNS1_3repE0EEENS1_30default_config_static_selectorELNS0_4arch9wavefront6targetE1EEEvSV_ ; -- Begin function _ZN7rocprim17ROCPRIM_400000_NS6detail17trampoline_kernelINS0_13select_configILj256ELj13ELNS0_17block_load_methodE3ELS4_3ELS4_3ELNS0_20block_scan_algorithmE0ELj4294967295EEENS1_25partition_config_selectorILNS1_17partition_subalgoE3EjNS0_10empty_typeEbEEZZNS1_14partition_implILS8_3ELb0ES6_jNS0_17counting_iteratorIjlEEPS9_SE_NS0_5tupleIJPjSE_EEENSF_IJSE_SE_EEES9_SG_JZNS1_25segmented_radix_sort_implINS0_14default_configELb1EPKlPlSM_SN_N2at6native12_GLOBAL__N_18offset_tEEE10hipError_tPvRmT1_PNSt15iterator_traitsISV_E10value_typeET2_T3_PNSW_IS11_E10value_typeET4_jRbjT5_S17_jjP12ihipStream_tbEUljE_EEESS_ST_SU_S11_S15_S17_T6_T7_T9_mT8_S19_bDpT10_ENKUlT_T0_E_clISt17integral_constantIbLb1EES1L_IbLb0EEEEDaS1H_S1I_EUlS1H_E_NS1_11comp_targetILNS1_3genE5ELNS1_11target_archE942ELNS1_3gpuE9ELNS1_3repE0EEENS1_30default_config_static_selectorELNS0_4arch9wavefront6targetE1EEEvSV_
	.p2align	8
	.type	_ZN7rocprim17ROCPRIM_400000_NS6detail17trampoline_kernelINS0_13select_configILj256ELj13ELNS0_17block_load_methodE3ELS4_3ELS4_3ELNS0_20block_scan_algorithmE0ELj4294967295EEENS1_25partition_config_selectorILNS1_17partition_subalgoE3EjNS0_10empty_typeEbEEZZNS1_14partition_implILS8_3ELb0ES6_jNS0_17counting_iteratorIjlEEPS9_SE_NS0_5tupleIJPjSE_EEENSF_IJSE_SE_EEES9_SG_JZNS1_25segmented_radix_sort_implINS0_14default_configELb1EPKlPlSM_SN_N2at6native12_GLOBAL__N_18offset_tEEE10hipError_tPvRmT1_PNSt15iterator_traitsISV_E10value_typeET2_T3_PNSW_IS11_E10value_typeET4_jRbjT5_S17_jjP12ihipStream_tbEUljE_EEESS_ST_SU_S11_S15_S17_T6_T7_T9_mT8_S19_bDpT10_ENKUlT_T0_E_clISt17integral_constantIbLb1EES1L_IbLb0EEEEDaS1H_S1I_EUlS1H_E_NS1_11comp_targetILNS1_3genE5ELNS1_11target_archE942ELNS1_3gpuE9ELNS1_3repE0EEENS1_30default_config_static_selectorELNS0_4arch9wavefront6targetE1EEEvSV_,@function
_ZN7rocprim17ROCPRIM_400000_NS6detail17trampoline_kernelINS0_13select_configILj256ELj13ELNS0_17block_load_methodE3ELS4_3ELS4_3ELNS0_20block_scan_algorithmE0ELj4294967295EEENS1_25partition_config_selectorILNS1_17partition_subalgoE3EjNS0_10empty_typeEbEEZZNS1_14partition_implILS8_3ELb0ES6_jNS0_17counting_iteratorIjlEEPS9_SE_NS0_5tupleIJPjSE_EEENSF_IJSE_SE_EEES9_SG_JZNS1_25segmented_radix_sort_implINS0_14default_configELb1EPKlPlSM_SN_N2at6native12_GLOBAL__N_18offset_tEEE10hipError_tPvRmT1_PNSt15iterator_traitsISV_E10value_typeET2_T3_PNSW_IS11_E10value_typeET4_jRbjT5_S17_jjP12ihipStream_tbEUljE_EEESS_ST_SU_S11_S15_S17_T6_T7_T9_mT8_S19_bDpT10_ENKUlT_T0_E_clISt17integral_constantIbLb1EES1L_IbLb0EEEEDaS1H_S1I_EUlS1H_E_NS1_11comp_targetILNS1_3genE5ELNS1_11target_archE942ELNS1_3gpuE9ELNS1_3repE0EEENS1_30default_config_static_selectorELNS0_4arch9wavefront6targetE1EEEvSV_: ; @_ZN7rocprim17ROCPRIM_400000_NS6detail17trampoline_kernelINS0_13select_configILj256ELj13ELNS0_17block_load_methodE3ELS4_3ELS4_3ELNS0_20block_scan_algorithmE0ELj4294967295EEENS1_25partition_config_selectorILNS1_17partition_subalgoE3EjNS0_10empty_typeEbEEZZNS1_14partition_implILS8_3ELb0ES6_jNS0_17counting_iteratorIjlEEPS9_SE_NS0_5tupleIJPjSE_EEENSF_IJSE_SE_EEES9_SG_JZNS1_25segmented_radix_sort_implINS0_14default_configELb1EPKlPlSM_SN_N2at6native12_GLOBAL__N_18offset_tEEE10hipError_tPvRmT1_PNSt15iterator_traitsISV_E10value_typeET2_T3_PNSW_IS11_E10value_typeET4_jRbjT5_S17_jjP12ihipStream_tbEUljE_EEESS_ST_SU_S11_S15_S17_T6_T7_T9_mT8_S19_bDpT10_ENKUlT_T0_E_clISt17integral_constantIbLb1EES1L_IbLb0EEEEDaS1H_S1I_EUlS1H_E_NS1_11comp_targetILNS1_3genE5ELNS1_11target_archE942ELNS1_3gpuE9ELNS1_3repE0EEENS1_30default_config_static_selectorELNS0_4arch9wavefront6targetE1EEEvSV_
; %bb.0:
	.section	.rodata,"a",@progbits
	.p2align	6, 0x0
	.amdhsa_kernel _ZN7rocprim17ROCPRIM_400000_NS6detail17trampoline_kernelINS0_13select_configILj256ELj13ELNS0_17block_load_methodE3ELS4_3ELS4_3ELNS0_20block_scan_algorithmE0ELj4294967295EEENS1_25partition_config_selectorILNS1_17partition_subalgoE3EjNS0_10empty_typeEbEEZZNS1_14partition_implILS8_3ELb0ES6_jNS0_17counting_iteratorIjlEEPS9_SE_NS0_5tupleIJPjSE_EEENSF_IJSE_SE_EEES9_SG_JZNS1_25segmented_radix_sort_implINS0_14default_configELb1EPKlPlSM_SN_N2at6native12_GLOBAL__N_18offset_tEEE10hipError_tPvRmT1_PNSt15iterator_traitsISV_E10value_typeET2_T3_PNSW_IS11_E10value_typeET4_jRbjT5_S17_jjP12ihipStream_tbEUljE_EEESS_ST_SU_S11_S15_S17_T6_T7_T9_mT8_S19_bDpT10_ENKUlT_T0_E_clISt17integral_constantIbLb1EES1L_IbLb0EEEEDaS1H_S1I_EUlS1H_E_NS1_11comp_targetILNS1_3genE5ELNS1_11target_archE942ELNS1_3gpuE9ELNS1_3repE0EEENS1_30default_config_static_selectorELNS0_4arch9wavefront6targetE1EEEvSV_
		.amdhsa_group_segment_fixed_size 0
		.amdhsa_private_segment_fixed_size 0
		.amdhsa_kernarg_size 144
		.amdhsa_user_sgpr_count 6
		.amdhsa_user_sgpr_private_segment_buffer 1
		.amdhsa_user_sgpr_dispatch_ptr 0
		.amdhsa_user_sgpr_queue_ptr 0
		.amdhsa_user_sgpr_kernarg_segment_ptr 1
		.amdhsa_user_sgpr_dispatch_id 0
		.amdhsa_user_sgpr_flat_scratch_init 0
		.amdhsa_user_sgpr_kernarg_preload_length 0
		.amdhsa_user_sgpr_kernarg_preload_offset 0
		.amdhsa_user_sgpr_private_segment_size 0
		.amdhsa_uses_dynamic_stack 0
		.amdhsa_system_sgpr_private_segment_wavefront_offset 0
		.amdhsa_system_sgpr_workgroup_id_x 1
		.amdhsa_system_sgpr_workgroup_id_y 0
		.amdhsa_system_sgpr_workgroup_id_z 0
		.amdhsa_system_sgpr_workgroup_info 0
		.amdhsa_system_vgpr_workitem_id 0
		.amdhsa_next_free_vgpr 1
		.amdhsa_next_free_sgpr 0
		.amdhsa_accum_offset 4
		.amdhsa_reserve_vcc 0
		.amdhsa_reserve_flat_scratch 0
		.amdhsa_float_round_mode_32 0
		.amdhsa_float_round_mode_16_64 0
		.amdhsa_float_denorm_mode_32 3
		.amdhsa_float_denorm_mode_16_64 3
		.amdhsa_dx10_clamp 1
		.amdhsa_ieee_mode 1
		.amdhsa_fp16_overflow 0
		.amdhsa_tg_split 0
		.amdhsa_exception_fp_ieee_invalid_op 0
		.amdhsa_exception_fp_denorm_src 0
		.amdhsa_exception_fp_ieee_div_zero 0
		.amdhsa_exception_fp_ieee_overflow 0
		.amdhsa_exception_fp_ieee_underflow 0
		.amdhsa_exception_fp_ieee_inexact 0
		.amdhsa_exception_int_div_zero 0
	.end_amdhsa_kernel
	.section	.text._ZN7rocprim17ROCPRIM_400000_NS6detail17trampoline_kernelINS0_13select_configILj256ELj13ELNS0_17block_load_methodE3ELS4_3ELS4_3ELNS0_20block_scan_algorithmE0ELj4294967295EEENS1_25partition_config_selectorILNS1_17partition_subalgoE3EjNS0_10empty_typeEbEEZZNS1_14partition_implILS8_3ELb0ES6_jNS0_17counting_iteratorIjlEEPS9_SE_NS0_5tupleIJPjSE_EEENSF_IJSE_SE_EEES9_SG_JZNS1_25segmented_radix_sort_implINS0_14default_configELb1EPKlPlSM_SN_N2at6native12_GLOBAL__N_18offset_tEEE10hipError_tPvRmT1_PNSt15iterator_traitsISV_E10value_typeET2_T3_PNSW_IS11_E10value_typeET4_jRbjT5_S17_jjP12ihipStream_tbEUljE_EEESS_ST_SU_S11_S15_S17_T6_T7_T9_mT8_S19_bDpT10_ENKUlT_T0_E_clISt17integral_constantIbLb1EES1L_IbLb0EEEEDaS1H_S1I_EUlS1H_E_NS1_11comp_targetILNS1_3genE5ELNS1_11target_archE942ELNS1_3gpuE9ELNS1_3repE0EEENS1_30default_config_static_selectorELNS0_4arch9wavefront6targetE1EEEvSV_,"axG",@progbits,_ZN7rocprim17ROCPRIM_400000_NS6detail17trampoline_kernelINS0_13select_configILj256ELj13ELNS0_17block_load_methodE3ELS4_3ELS4_3ELNS0_20block_scan_algorithmE0ELj4294967295EEENS1_25partition_config_selectorILNS1_17partition_subalgoE3EjNS0_10empty_typeEbEEZZNS1_14partition_implILS8_3ELb0ES6_jNS0_17counting_iteratorIjlEEPS9_SE_NS0_5tupleIJPjSE_EEENSF_IJSE_SE_EEES9_SG_JZNS1_25segmented_radix_sort_implINS0_14default_configELb1EPKlPlSM_SN_N2at6native12_GLOBAL__N_18offset_tEEE10hipError_tPvRmT1_PNSt15iterator_traitsISV_E10value_typeET2_T3_PNSW_IS11_E10value_typeET4_jRbjT5_S17_jjP12ihipStream_tbEUljE_EEESS_ST_SU_S11_S15_S17_T6_T7_T9_mT8_S19_bDpT10_ENKUlT_T0_E_clISt17integral_constantIbLb1EES1L_IbLb0EEEEDaS1H_S1I_EUlS1H_E_NS1_11comp_targetILNS1_3genE5ELNS1_11target_archE942ELNS1_3gpuE9ELNS1_3repE0EEENS1_30default_config_static_selectorELNS0_4arch9wavefront6targetE1EEEvSV_,comdat
.Lfunc_end689:
	.size	_ZN7rocprim17ROCPRIM_400000_NS6detail17trampoline_kernelINS0_13select_configILj256ELj13ELNS0_17block_load_methodE3ELS4_3ELS4_3ELNS0_20block_scan_algorithmE0ELj4294967295EEENS1_25partition_config_selectorILNS1_17partition_subalgoE3EjNS0_10empty_typeEbEEZZNS1_14partition_implILS8_3ELb0ES6_jNS0_17counting_iteratorIjlEEPS9_SE_NS0_5tupleIJPjSE_EEENSF_IJSE_SE_EEES9_SG_JZNS1_25segmented_radix_sort_implINS0_14default_configELb1EPKlPlSM_SN_N2at6native12_GLOBAL__N_18offset_tEEE10hipError_tPvRmT1_PNSt15iterator_traitsISV_E10value_typeET2_T3_PNSW_IS11_E10value_typeET4_jRbjT5_S17_jjP12ihipStream_tbEUljE_EEESS_ST_SU_S11_S15_S17_T6_T7_T9_mT8_S19_bDpT10_ENKUlT_T0_E_clISt17integral_constantIbLb1EES1L_IbLb0EEEEDaS1H_S1I_EUlS1H_E_NS1_11comp_targetILNS1_3genE5ELNS1_11target_archE942ELNS1_3gpuE9ELNS1_3repE0EEENS1_30default_config_static_selectorELNS0_4arch9wavefront6targetE1EEEvSV_, .Lfunc_end689-_ZN7rocprim17ROCPRIM_400000_NS6detail17trampoline_kernelINS0_13select_configILj256ELj13ELNS0_17block_load_methodE3ELS4_3ELS4_3ELNS0_20block_scan_algorithmE0ELj4294967295EEENS1_25partition_config_selectorILNS1_17partition_subalgoE3EjNS0_10empty_typeEbEEZZNS1_14partition_implILS8_3ELb0ES6_jNS0_17counting_iteratorIjlEEPS9_SE_NS0_5tupleIJPjSE_EEENSF_IJSE_SE_EEES9_SG_JZNS1_25segmented_radix_sort_implINS0_14default_configELb1EPKlPlSM_SN_N2at6native12_GLOBAL__N_18offset_tEEE10hipError_tPvRmT1_PNSt15iterator_traitsISV_E10value_typeET2_T3_PNSW_IS11_E10value_typeET4_jRbjT5_S17_jjP12ihipStream_tbEUljE_EEESS_ST_SU_S11_S15_S17_T6_T7_T9_mT8_S19_bDpT10_ENKUlT_T0_E_clISt17integral_constantIbLb1EES1L_IbLb0EEEEDaS1H_S1I_EUlS1H_E_NS1_11comp_targetILNS1_3genE5ELNS1_11target_archE942ELNS1_3gpuE9ELNS1_3repE0EEENS1_30default_config_static_selectorELNS0_4arch9wavefront6targetE1EEEvSV_
                                        ; -- End function
	.section	.AMDGPU.csdata,"",@progbits
; Kernel info:
; codeLenInByte = 0
; NumSgprs: 4
; NumVgprs: 0
; NumAgprs: 0
; TotalNumVgprs: 0
; ScratchSize: 0
; MemoryBound: 0
; FloatMode: 240
; IeeeMode: 1
; LDSByteSize: 0 bytes/workgroup (compile time only)
; SGPRBlocks: 0
; VGPRBlocks: 0
; NumSGPRsForWavesPerEU: 4
; NumVGPRsForWavesPerEU: 1
; AccumOffset: 4
; Occupancy: 8
; WaveLimiterHint : 0
; COMPUTE_PGM_RSRC2:SCRATCH_EN: 0
; COMPUTE_PGM_RSRC2:USER_SGPR: 6
; COMPUTE_PGM_RSRC2:TRAP_HANDLER: 0
; COMPUTE_PGM_RSRC2:TGID_X_EN: 1
; COMPUTE_PGM_RSRC2:TGID_Y_EN: 0
; COMPUTE_PGM_RSRC2:TGID_Z_EN: 0
; COMPUTE_PGM_RSRC2:TIDIG_COMP_CNT: 0
; COMPUTE_PGM_RSRC3_GFX90A:ACCUM_OFFSET: 0
; COMPUTE_PGM_RSRC3_GFX90A:TG_SPLIT: 0
	.section	.text._ZN7rocprim17ROCPRIM_400000_NS6detail17trampoline_kernelINS0_13select_configILj256ELj13ELNS0_17block_load_methodE3ELS4_3ELS4_3ELNS0_20block_scan_algorithmE0ELj4294967295EEENS1_25partition_config_selectorILNS1_17partition_subalgoE3EjNS0_10empty_typeEbEEZZNS1_14partition_implILS8_3ELb0ES6_jNS0_17counting_iteratorIjlEEPS9_SE_NS0_5tupleIJPjSE_EEENSF_IJSE_SE_EEES9_SG_JZNS1_25segmented_radix_sort_implINS0_14default_configELb1EPKlPlSM_SN_N2at6native12_GLOBAL__N_18offset_tEEE10hipError_tPvRmT1_PNSt15iterator_traitsISV_E10value_typeET2_T3_PNSW_IS11_E10value_typeET4_jRbjT5_S17_jjP12ihipStream_tbEUljE_EEESS_ST_SU_S11_S15_S17_T6_T7_T9_mT8_S19_bDpT10_ENKUlT_T0_E_clISt17integral_constantIbLb1EES1L_IbLb0EEEEDaS1H_S1I_EUlS1H_E_NS1_11comp_targetILNS1_3genE4ELNS1_11target_archE910ELNS1_3gpuE8ELNS1_3repE0EEENS1_30default_config_static_selectorELNS0_4arch9wavefront6targetE1EEEvSV_,"axG",@progbits,_ZN7rocprim17ROCPRIM_400000_NS6detail17trampoline_kernelINS0_13select_configILj256ELj13ELNS0_17block_load_methodE3ELS4_3ELS4_3ELNS0_20block_scan_algorithmE0ELj4294967295EEENS1_25partition_config_selectorILNS1_17partition_subalgoE3EjNS0_10empty_typeEbEEZZNS1_14partition_implILS8_3ELb0ES6_jNS0_17counting_iteratorIjlEEPS9_SE_NS0_5tupleIJPjSE_EEENSF_IJSE_SE_EEES9_SG_JZNS1_25segmented_radix_sort_implINS0_14default_configELb1EPKlPlSM_SN_N2at6native12_GLOBAL__N_18offset_tEEE10hipError_tPvRmT1_PNSt15iterator_traitsISV_E10value_typeET2_T3_PNSW_IS11_E10value_typeET4_jRbjT5_S17_jjP12ihipStream_tbEUljE_EEESS_ST_SU_S11_S15_S17_T6_T7_T9_mT8_S19_bDpT10_ENKUlT_T0_E_clISt17integral_constantIbLb1EES1L_IbLb0EEEEDaS1H_S1I_EUlS1H_E_NS1_11comp_targetILNS1_3genE4ELNS1_11target_archE910ELNS1_3gpuE8ELNS1_3repE0EEENS1_30default_config_static_selectorELNS0_4arch9wavefront6targetE1EEEvSV_,comdat
	.globl	_ZN7rocprim17ROCPRIM_400000_NS6detail17trampoline_kernelINS0_13select_configILj256ELj13ELNS0_17block_load_methodE3ELS4_3ELS4_3ELNS0_20block_scan_algorithmE0ELj4294967295EEENS1_25partition_config_selectorILNS1_17partition_subalgoE3EjNS0_10empty_typeEbEEZZNS1_14partition_implILS8_3ELb0ES6_jNS0_17counting_iteratorIjlEEPS9_SE_NS0_5tupleIJPjSE_EEENSF_IJSE_SE_EEES9_SG_JZNS1_25segmented_radix_sort_implINS0_14default_configELb1EPKlPlSM_SN_N2at6native12_GLOBAL__N_18offset_tEEE10hipError_tPvRmT1_PNSt15iterator_traitsISV_E10value_typeET2_T3_PNSW_IS11_E10value_typeET4_jRbjT5_S17_jjP12ihipStream_tbEUljE_EEESS_ST_SU_S11_S15_S17_T6_T7_T9_mT8_S19_bDpT10_ENKUlT_T0_E_clISt17integral_constantIbLb1EES1L_IbLb0EEEEDaS1H_S1I_EUlS1H_E_NS1_11comp_targetILNS1_3genE4ELNS1_11target_archE910ELNS1_3gpuE8ELNS1_3repE0EEENS1_30default_config_static_selectorELNS0_4arch9wavefront6targetE1EEEvSV_ ; -- Begin function _ZN7rocprim17ROCPRIM_400000_NS6detail17trampoline_kernelINS0_13select_configILj256ELj13ELNS0_17block_load_methodE3ELS4_3ELS4_3ELNS0_20block_scan_algorithmE0ELj4294967295EEENS1_25partition_config_selectorILNS1_17partition_subalgoE3EjNS0_10empty_typeEbEEZZNS1_14partition_implILS8_3ELb0ES6_jNS0_17counting_iteratorIjlEEPS9_SE_NS0_5tupleIJPjSE_EEENSF_IJSE_SE_EEES9_SG_JZNS1_25segmented_radix_sort_implINS0_14default_configELb1EPKlPlSM_SN_N2at6native12_GLOBAL__N_18offset_tEEE10hipError_tPvRmT1_PNSt15iterator_traitsISV_E10value_typeET2_T3_PNSW_IS11_E10value_typeET4_jRbjT5_S17_jjP12ihipStream_tbEUljE_EEESS_ST_SU_S11_S15_S17_T6_T7_T9_mT8_S19_bDpT10_ENKUlT_T0_E_clISt17integral_constantIbLb1EES1L_IbLb0EEEEDaS1H_S1I_EUlS1H_E_NS1_11comp_targetILNS1_3genE4ELNS1_11target_archE910ELNS1_3gpuE8ELNS1_3repE0EEENS1_30default_config_static_selectorELNS0_4arch9wavefront6targetE1EEEvSV_
	.p2align	8
	.type	_ZN7rocprim17ROCPRIM_400000_NS6detail17trampoline_kernelINS0_13select_configILj256ELj13ELNS0_17block_load_methodE3ELS4_3ELS4_3ELNS0_20block_scan_algorithmE0ELj4294967295EEENS1_25partition_config_selectorILNS1_17partition_subalgoE3EjNS0_10empty_typeEbEEZZNS1_14partition_implILS8_3ELb0ES6_jNS0_17counting_iteratorIjlEEPS9_SE_NS0_5tupleIJPjSE_EEENSF_IJSE_SE_EEES9_SG_JZNS1_25segmented_radix_sort_implINS0_14default_configELb1EPKlPlSM_SN_N2at6native12_GLOBAL__N_18offset_tEEE10hipError_tPvRmT1_PNSt15iterator_traitsISV_E10value_typeET2_T3_PNSW_IS11_E10value_typeET4_jRbjT5_S17_jjP12ihipStream_tbEUljE_EEESS_ST_SU_S11_S15_S17_T6_T7_T9_mT8_S19_bDpT10_ENKUlT_T0_E_clISt17integral_constantIbLb1EES1L_IbLb0EEEEDaS1H_S1I_EUlS1H_E_NS1_11comp_targetILNS1_3genE4ELNS1_11target_archE910ELNS1_3gpuE8ELNS1_3repE0EEENS1_30default_config_static_selectorELNS0_4arch9wavefront6targetE1EEEvSV_,@function
_ZN7rocprim17ROCPRIM_400000_NS6detail17trampoline_kernelINS0_13select_configILj256ELj13ELNS0_17block_load_methodE3ELS4_3ELS4_3ELNS0_20block_scan_algorithmE0ELj4294967295EEENS1_25partition_config_selectorILNS1_17partition_subalgoE3EjNS0_10empty_typeEbEEZZNS1_14partition_implILS8_3ELb0ES6_jNS0_17counting_iteratorIjlEEPS9_SE_NS0_5tupleIJPjSE_EEENSF_IJSE_SE_EEES9_SG_JZNS1_25segmented_radix_sort_implINS0_14default_configELb1EPKlPlSM_SN_N2at6native12_GLOBAL__N_18offset_tEEE10hipError_tPvRmT1_PNSt15iterator_traitsISV_E10value_typeET2_T3_PNSW_IS11_E10value_typeET4_jRbjT5_S17_jjP12ihipStream_tbEUljE_EEESS_ST_SU_S11_S15_S17_T6_T7_T9_mT8_S19_bDpT10_ENKUlT_T0_E_clISt17integral_constantIbLb1EES1L_IbLb0EEEEDaS1H_S1I_EUlS1H_E_NS1_11comp_targetILNS1_3genE4ELNS1_11target_archE910ELNS1_3gpuE8ELNS1_3repE0EEENS1_30default_config_static_selectorELNS0_4arch9wavefront6targetE1EEEvSV_: ; @_ZN7rocprim17ROCPRIM_400000_NS6detail17trampoline_kernelINS0_13select_configILj256ELj13ELNS0_17block_load_methodE3ELS4_3ELS4_3ELNS0_20block_scan_algorithmE0ELj4294967295EEENS1_25partition_config_selectorILNS1_17partition_subalgoE3EjNS0_10empty_typeEbEEZZNS1_14partition_implILS8_3ELb0ES6_jNS0_17counting_iteratorIjlEEPS9_SE_NS0_5tupleIJPjSE_EEENSF_IJSE_SE_EEES9_SG_JZNS1_25segmented_radix_sort_implINS0_14default_configELb1EPKlPlSM_SN_N2at6native12_GLOBAL__N_18offset_tEEE10hipError_tPvRmT1_PNSt15iterator_traitsISV_E10value_typeET2_T3_PNSW_IS11_E10value_typeET4_jRbjT5_S17_jjP12ihipStream_tbEUljE_EEESS_ST_SU_S11_S15_S17_T6_T7_T9_mT8_S19_bDpT10_ENKUlT_T0_E_clISt17integral_constantIbLb1EES1L_IbLb0EEEEDaS1H_S1I_EUlS1H_E_NS1_11comp_targetILNS1_3genE4ELNS1_11target_archE910ELNS1_3gpuE8ELNS1_3repE0EEENS1_30default_config_static_selectorELNS0_4arch9wavefront6targetE1EEEvSV_
; %bb.0:
	s_load_dwordx2 s[26:27], s[4:5], 0x58
	s_load_dwordx4 s[20:23], s[4:5], 0x48
	s_load_dword s13, s[4:5], 0x8
	s_load_dwordx2 s[28:29], s[4:5], 0x10
	s_load_dword s12, s[4:5], 0x70
	s_load_dword s7, s[4:5], 0x88
	s_load_dwordx4 s[8:11], s[4:5], 0x78
	s_waitcnt lgkmcnt(0)
	s_load_dwordx2 s[30:31], s[22:23], 0x0
	v_pk_mov_b32 v[2:3], s[26:27], s[26:27] op_sel:[0,1]
	s_add_i32 s2, s12, -1
	s_mulk_i32 s12, 0xd00
	s_add_u32 s0, s28, s12
	s_addc_u32 s1, s29, 0
	s_cmp_eq_u32 s6, s2
	s_cselect_b64 s[22:23], -1, 0
	s_cmp_lg_u32 s6, s2
	s_mul_i32 s42, s6, 0xd00
	v_cmp_lt_u64_e32 vcc, s[0:1], v[2:3]
	s_cselect_b64 s[0:1], -1, 0
	s_or_b64 s[2:3], s[0:1], vcc
	s_add_i32 s0, s13, s42
	s_add_i32 s0, s0, s28
	v_add_u32_e32 v2, s0, v0
	s_mov_b64 s[0:1], -1
	s_and_b64 vcc, exec, s[2:3]
	v_lshlrev_b32_e32 v1, 2, v0
	s_cbranch_vccz .LBB690_2
; %bb.1:
	v_add_u32_e32 v3, 0x100, v2
	v_add_u32_e32 v4, 0x200, v2
	;; [unrolled: 1-line block ×12, first 2 shown]
	ds_write2st64_b32 v1, v2, v3 offset1:4
	ds_write2st64_b32 v1, v4, v5 offset0:8 offset1:12
	ds_write2st64_b32 v1, v6, v7 offset0:16 offset1:20
	;; [unrolled: 1-line block ×5, first 2 shown]
	ds_write_b32 v1, v14 offset:12288
	s_waitcnt lgkmcnt(0)
	s_barrier
	s_mov_b64 s[0:1], 0
.LBB690_2:
	s_andn2_b64 vcc, exec, s[0:1]
	s_add_i32 s12, s12, s28
	s_cbranch_vccnz .LBB690_4
; %bb.3:
	v_add_u32_e32 v3, 0x100, v2
	v_add_u32_e32 v4, 0x200, v2
	;; [unrolled: 1-line block ×12, first 2 shown]
	ds_write2st64_b32 v1, v2, v3 offset1:4
	ds_write2st64_b32 v1, v4, v5 offset0:8 offset1:12
	ds_write2st64_b32 v1, v6, v7 offset0:16 offset1:20
	;; [unrolled: 1-line block ×5, first 2 shown]
	ds_write_b32 v1, v14 offset:12288
	s_waitcnt lgkmcnt(0)
	s_barrier
.LBB690_4:
	v_mul_u32_u24_e32 v33, 13, v0
	v_lshlrev_b32_e32 v2, 2, v33
	s_waitcnt lgkmcnt(0)
	ds_read2_b32 v[30:31], v2 offset1:1
	ds_read2_b32 v[28:29], v2 offset0:2 offset1:3
	ds_read2_b32 v[26:27], v2 offset0:4 offset1:5
	;; [unrolled: 1-line block ×5, first 2 shown]
	ds_read_b32 v32, v2 offset:48
	v_cndmask_b32_e64 v2, 0, 1, s[2:3]
	s_sub_i32 s33, s26, s12
	v_cmp_ne_u32_e64 s[0:1], 1, v2
	s_andn2_b64 vcc, exec, s[2:3]
	s_waitcnt lgkmcnt(0)
	s_barrier
	s_cbranch_vccnz .LBB690_6
; %bb.5:
	v_add_u32_e32 v2, s9, v30
	v_add_u32_e32 v3, s11, v30
	v_mul_lo_u32 v2, v2, s8
	v_mul_lo_u32 v3, v3, s10
	v_sub_u32_e32 v2, v2, v3
	v_add_u32_e32 v3, s9, v31
	v_add_u32_e32 v4, s11, v31
	v_mul_lo_u32 v3, v3, s8
	v_mul_lo_u32 v4, v4, s10
	v_sub_u32_e32 v3, v3, v4
	;; [unrolled: 5-line block ×6, first 2 shown]
	v_add_u32_e32 v8, s9, v24
	v_add_u32_e32 v9, s11, v24
	v_mul_lo_u32 v8, v8, s8
	v_mul_lo_u32 v9, v9, s10
	v_cmp_lt_u32_e32 vcc, s7, v2
	v_sub_u32_e32 v8, v8, v9
	v_add_u32_e32 v9, s9, v25
	v_add_u32_e32 v10, s11, v25
	v_cndmask_b32_e64 v2, 0, 1, vcc
	v_cmp_lt_u32_e32 vcc, s7, v3
	v_mul_lo_u32 v9, v9, s8
	v_mul_lo_u32 v10, v10, s10
	v_cndmask_b32_e64 v3, 0, 1, vcc
	v_cmp_lt_u32_e32 vcc, s7, v4
	v_sub_u32_e32 v9, v9, v10
	v_add_u32_e32 v10, s9, v22
	v_add_u32_e32 v11, s11, v22
	v_cndmask_b32_e64 v4, 0, 1, vcc
	v_cmp_lt_u32_e32 vcc, s7, v5
	v_mul_lo_u32 v10, v10, s8
	v_mul_lo_u32 v11, v11, s10
	v_cndmask_b32_e64 v5, 0, 1, vcc
	;; [unrolled: 9-line block ×4, first 2 shown]
	v_cmp_lt_u32_e32 vcc, s7, v10
	v_sub_u32_e32 v12, v12, v13
	v_add_u32_e32 v13, s9, v21
	v_add_u32_e32 v14, s11, v21
	v_lshlrev_b16_e32 v3, 8, v3
	v_cndmask_b32_e64 v10, 0, 1, vcc
	v_cmp_lt_u32_e32 vcc, s7, v11
	v_mul_lo_u32 v13, v13, s8
	v_mul_lo_u32 v14, v14, s10
	v_or_b32_e32 v2, v2, v3
	v_lshlrev_b16_e32 v3, 8, v5
	v_cndmask_b32_e64 v11, 0, 1, vcc
	v_cmp_lt_u32_e32 vcc, s7, v12
	v_sub_u32_e32 v13, v13, v14
	v_or_b32_sdwa v3, v4, v3 dst_sel:WORD_1 dst_unused:UNUSED_PAD src0_sel:DWORD src1_sel:DWORD
	v_cndmask_b32_e64 v12, 0, 1, vcc
	v_cmp_lt_u32_e32 vcc, s7, v13
	v_add_u32_e32 v14, s9, v32
	v_add_u32_e32 v15, s11, v32
	v_or_b32_sdwa v37, v2, v3 dst_sel:DWORD dst_unused:UNUSED_PAD src0_sel:WORD_0 src1_sel:DWORD
	v_lshlrev_b16_e32 v2, 8, v7
	v_lshlrev_b16_e32 v3, 8, v9
	v_cndmask_b32_e64 v13, 0, 1, vcc
	v_mul_lo_u32 v14, v14, s8
	v_mul_lo_u32 v15, v15, s10
	v_or_b32_e32 v2, v6, v2
	v_or_b32_sdwa v3, v8, v3 dst_sel:WORD_1 dst_unused:UNUSED_PAD src0_sel:DWORD src1_sel:DWORD
	v_sub_u32_e32 v14, v14, v15
	v_or_b32_sdwa v36, v2, v3 dst_sel:DWORD dst_unused:UNUSED_PAD src0_sel:WORD_0 src1_sel:DWORD
	v_lshlrev_b16_e32 v2, 8, v11
	v_lshlrev_b16_e32 v3, 8, v13
	v_cmp_lt_u32_e32 vcc, s7, v14
	v_or_b32_e32 v2, v10, v2
	v_or_b32_sdwa v3, v12, v3 dst_sel:WORD_1 dst_unused:UNUSED_PAD src0_sel:DWORD src1_sel:DWORD
	v_cndmask_b32_e64 v34, 0, 1, vcc
	v_or_b32_sdwa v35, v2, v3 dst_sel:DWORD dst_unused:UNUSED_PAD src0_sel:WORD_0 src1_sel:DWORD
	s_mov_b64 s[2:3], 0
	s_branch .LBB690_7
.LBB690_6:
	s_mov_b64 s[2:3], -1
                                        ; implicit-def: $vgpr34
                                        ; implicit-def: $vgpr35
                                        ; implicit-def: $vgpr36
                                        ; implicit-def: $vgpr37
.LBB690_7:
	s_load_dwordx2 s[24:25], s[4:5], 0x28
	s_load_dwordx2 s[34:35], s[4:5], 0x68
	s_andn2_b64 vcc, exec, s[2:3]
	s_addk_i32 s33, 0xd00
	s_cbranch_vccnz .LBB690_35
; %bb.8:
	v_cmp_gt_u32_e32 vcc, s33, v33
	v_mov_b32_e32 v3, 0
	v_mov_b32_e32 v2, 0
	s_and_saveexec_b64 s[2:3], vcc
; %bb.9:
	v_add_u32_e32 v2, s9, v30
	v_add_u32_e32 v4, s11, v30
	v_mul_lo_u32 v2, v2, s8
	v_mul_lo_u32 v4, v4, s10
	v_sub_u32_e32 v2, v2, v4
	v_cmp_lt_u32_e32 vcc, s7, v2
	v_cndmask_b32_e64 v2, 0, 1, vcc
; %bb.10:
	s_or_b64 exec, exec, s[2:3]
	v_add_u32_e32 v4, 1, v33
	v_cmp_gt_u32_e32 vcc, s33, v4
	s_and_saveexec_b64 s[2:3], vcc
; %bb.11:
	v_add_u32_e32 v3, s9, v31
	v_add_u32_e32 v4, s11, v31
	v_mul_lo_u32 v3, v3, s8
	v_mul_lo_u32 v4, v4, s10
	v_sub_u32_e32 v3, v3, v4
	v_cmp_lt_u32_e32 vcc, s7, v3
	v_cndmask_b32_e64 v3, 0, 1, vcc
; %bb.12:
	s_or_b64 exec, exec, s[2:3]
	v_add_u32_e32 v4, 2, v33
	v_cmp_gt_u32_e32 vcc, s33, v4
	v_mov_b32_e32 v5, 0
	v_mov_b32_e32 v4, 0
	s_and_saveexec_b64 s[2:3], vcc
; %bb.13:
	v_add_u32_e32 v4, s9, v28
	v_add_u32_e32 v6, s11, v28
	v_mul_lo_u32 v4, v4, s8
	v_mul_lo_u32 v6, v6, s10
	v_sub_u32_e32 v4, v4, v6
	v_cmp_lt_u32_e32 vcc, s7, v4
	v_cndmask_b32_e64 v4, 0, 1, vcc
; %bb.14:
	s_or_b64 exec, exec, s[2:3]
	v_add_u32_e32 v6, 3, v33
	v_cmp_gt_u32_e32 vcc, s33, v6
	s_and_saveexec_b64 s[2:3], vcc
; %bb.15:
	v_add_u32_e32 v5, s9, v29
	v_add_u32_e32 v6, s11, v29
	v_mul_lo_u32 v5, v5, s8
	v_mul_lo_u32 v6, v6, s10
	v_sub_u32_e32 v5, v5, v6
	v_cmp_lt_u32_e32 vcc, s7, v5
	v_cndmask_b32_e64 v5, 0, 1, vcc
; %bb.16:
	s_or_b64 exec, exec, s[2:3]
	v_add_u32_e32 v6, 4, v33
	;; [unrolled: 28-line block ×6, first 2 shown]
	v_cmp_gt_u32_e32 vcc, s33, v14
	v_mov_b32_e32 v34, 0
	s_and_saveexec_b64 s[2:3], vcc
; %bb.33:
	v_add_u32_e32 v14, s9, v32
	v_add_u32_e32 v15, s11, v32
	v_mul_lo_u32 v14, v14, s8
	v_mul_lo_u32 v15, v15, s10
	v_sub_u32_e32 v14, v14, v15
	v_cmp_lt_u32_e32 vcc, s7, v14
	v_cndmask_b32_e64 v34, 0, 1, vcc
; %bb.34:
	s_or_b64 exec, exec, s[2:3]
	v_lshlrev_b16_e32 v3, 8, v3
	v_or_b32_e32 v2, v2, v3
	v_lshlrev_b16_e32 v3, 8, v5
	v_or_b32_sdwa v3, v4, v3 dst_sel:WORD_1 dst_unused:UNUSED_PAD src0_sel:DWORD src1_sel:DWORD
	v_or_b32_sdwa v37, v2, v3 dst_sel:DWORD dst_unused:UNUSED_PAD src0_sel:WORD_0 src1_sel:DWORD
	v_lshlrev_b16_e32 v2, 8, v7
	v_lshlrev_b16_e32 v3, 8, v9
	v_or_b32_e32 v2, v6, v2
	v_or_b32_sdwa v3, v8, v3 dst_sel:WORD_1 dst_unused:UNUSED_PAD src0_sel:DWORD src1_sel:DWORD
	v_or_b32_sdwa v36, v2, v3 dst_sel:DWORD dst_unused:UNUSED_PAD src0_sel:WORD_0 src1_sel:DWORD
	v_lshlrev_b16_e32 v2, 8, v11
	v_lshlrev_b16_e32 v3, 8, v13
	v_or_b32_e32 v2, v10, v2
	v_or_b32_sdwa v3, v12, v3 dst_sel:WORD_1 dst_unused:UNUSED_PAD src0_sel:DWORD src1_sel:DWORD
	v_or_b32_sdwa v35, v2, v3 dst_sel:DWORD dst_unused:UNUSED_PAD src0_sel:WORD_0 src1_sel:DWORD
.LBB690_35:
	v_and_b32_e32 v41, 0xff, v37
	v_bfe_u32 v42, v37, 8, 8
	v_bfe_u32 v43, v37, 16, 8
	v_lshrrev_b32_e32 v40, 24, v37
	v_and_b32_e32 v44, 0xff, v36
	v_add3_u32 v3, v42, v41, v43
	v_bfe_u32 v45, v36, 8, 8
	v_bfe_u32 v46, v36, 16, 8
	v_add3_u32 v3, v3, v40, v44
	v_lshrrev_b32_e32 v39, 24, v36
	v_and_b32_e32 v47, 0xff, v35
	v_add3_u32 v3, v3, v45, v46
	v_bfe_u32 v48, v35, 8, 8
	v_bfe_u32 v49, v35, 16, 8
	v_add3_u32 v3, v3, v39, v47
	v_lshrrev_b32_e32 v38, 24, v35
	v_and_b32_e32 v2, 0xff, v34
	v_add3_u32 v3, v3, v48, v49
	v_add3_u32 v52, v3, v38, v2
	v_mbcnt_lo_u32_b32 v2, -1, 0
	v_mbcnt_hi_u32_b32 v50, -1, v2
	v_and_b32_e32 v2, 15, v50
	v_cmp_eq_u32_e64 s[14:15], 0, v2
	v_cmp_lt_u32_e64 s[12:13], 1, v2
	v_cmp_lt_u32_e64 s[10:11], 3, v2
	;; [unrolled: 1-line block ×3, first 2 shown]
	v_and_b32_e32 v2, 16, v50
	v_cmp_eq_u32_e64 s[18:19], 0, v2
	v_or_b32_e32 v2, 63, v0
	s_cmp_lg_u32 s6, 0
	v_cmp_lt_u32_e64 s[2:3], 31, v50
	v_lshrrev_b32_e32 v51, 6, v0
	v_cmp_eq_u32_e64 s[4:5], v2, v0
	s_cbranch_scc0 .LBB690_66
; %bb.36:
	v_mov_b32_dpp v2, v52 row_shr:1 row_mask:0xf bank_mask:0xf
	v_cndmask_b32_e64 v2, v2, 0, s[14:15]
	v_add_u32_e32 v2, v2, v52
	s_nop 1
	v_mov_b32_dpp v3, v2 row_shr:2 row_mask:0xf bank_mask:0xf
	v_cndmask_b32_e64 v3, 0, v3, s[12:13]
	v_add_u32_e32 v2, v2, v3
	s_nop 1
	;; [unrolled: 4-line block ×4, first 2 shown]
	v_mov_b32_dpp v3, v2 row_bcast:15 row_mask:0xf bank_mask:0xf
	v_cndmask_b32_e64 v3, v3, 0, s[18:19]
	v_add_u32_e32 v2, v2, v3
	s_nop 1
	v_mov_b32_dpp v3, v2 row_bcast:31 row_mask:0xf bank_mask:0xf
	v_cndmask_b32_e64 v3, 0, v3, s[2:3]
	v_add_u32_e32 v2, v2, v3
	s_and_saveexec_b64 s[16:17], s[4:5]
	s_cbranch_execz .LBB690_38
; %bb.37:
	v_lshlrev_b32_e32 v3, 2, v51
	ds_write_b32 v3, v2
.LBB690_38:
	s_or_b64 exec, exec, s[16:17]
	v_cmp_gt_u32_e32 vcc, 4, v0
	s_waitcnt lgkmcnt(0)
	s_barrier
	s_and_saveexec_b64 s[16:17], vcc
	s_cbranch_execz .LBB690_40
; %bb.39:
	ds_read_b32 v3, v1
	v_and_b32_e32 v4, 3, v50
	v_cmp_ne_u32_e32 vcc, 0, v4
	s_waitcnt lgkmcnt(0)
	v_mov_b32_dpp v5, v3 row_shr:1 row_mask:0xf bank_mask:0xf
	v_cndmask_b32_e32 v5, 0, v5, vcc
	v_add_u32_e32 v3, v5, v3
	v_cmp_lt_u32_e32 vcc, 1, v4
	s_nop 0
	v_mov_b32_dpp v5, v3 row_shr:2 row_mask:0xf bank_mask:0xf
	v_cndmask_b32_e32 v4, 0, v5, vcc
	v_add_u32_e32 v3, v3, v4
	ds_write_b32 v1, v3
.LBB690_40:
	s_or_b64 exec, exec, s[16:17]
	v_cmp_gt_u32_e32 vcc, 64, v0
	v_cmp_lt_u32_e64 s[16:17], 63, v0
	s_waitcnt lgkmcnt(0)
	s_barrier
	s_waitcnt lgkmcnt(0)
                                        ; implicit-def: $vgpr12
	s_and_saveexec_b64 s[36:37], s[16:17]
	s_cbranch_execz .LBB690_42
; %bb.41:
	v_lshl_add_u32 v3, v51, 2, -4
	ds_read_b32 v12, v3
	s_waitcnt lgkmcnt(0)
	v_add_u32_e32 v2, v12, v2
.LBB690_42:
	s_or_b64 exec, exec, s[36:37]
	v_add_u32_e32 v3, -1, v50
	v_and_b32_e32 v4, 64, v50
	v_cmp_lt_i32_e64 s[16:17], v3, v4
	v_cndmask_b32_e64 v3, v3, v50, s[16:17]
	v_lshlrev_b32_e32 v3, 2, v3
	ds_bpermute_b32 v13, v3, v2
	v_cmp_eq_u32_e64 s[16:17], 0, v50
	s_and_saveexec_b64 s[36:37], vcc
	s_cbranch_execz .LBB690_65
; %bb.43:
	v_mov_b32_e32 v11, 0
	ds_read_b32 v2, v11 offset:12
	s_and_saveexec_b64 s[38:39], s[16:17]
	s_cbranch_execz .LBB690_45
; %bb.44:
	s_add_i32 s40, s6, 64
	s_mov_b32 s41, 0
	s_lshl_b64 s[40:41], s[40:41], 3
	s_add_u32 s40, s34, s40
	v_mov_b32_e32 v3, 1
	s_addc_u32 s41, s35, s41
	s_waitcnt lgkmcnt(0)
	global_store_dwordx2 v11, v[2:3], s[40:41]
.LBB690_45:
	s_or_b64 exec, exec, s[38:39]
	v_xad_u32 v4, v50, -1, s6
	v_add_u32_e32 v10, 64, v4
	v_lshlrev_b64 v[6:7], 3, v[10:11]
	v_mov_b32_e32 v3, s35
	v_add_co_u32_e32 v6, vcc, s34, v6
	v_addc_co_u32_e32 v7, vcc, v3, v7, vcc
	global_load_dwordx2 v[8:9], v[6:7], off glc
	s_waitcnt vmcnt(0)
	v_cmp_eq_u16_sdwa s[40:41], v9, v11 src0_sel:BYTE_0 src1_sel:DWORD
	s_and_saveexec_b64 s[38:39], s[40:41]
	s_cbranch_execz .LBB690_51
; %bb.46:
	s_mov_b32 s7, 1
	s_mov_b64 s[40:41], 0
	v_mov_b32_e32 v3, 0
.LBB690_47:                             ; =>This Loop Header: Depth=1
                                        ;     Child Loop BB690_48 Depth 2
	s_max_u32 s43, s7, 1
.LBB690_48:                             ;   Parent Loop BB690_47 Depth=1
                                        ; =>  This Inner Loop Header: Depth=2
	s_add_i32 s43, s43, -1
	s_cmp_eq_u32 s43, 0
	s_sleep 1
	s_cbranch_scc0 .LBB690_48
; %bb.49:                               ;   in Loop: Header=BB690_47 Depth=1
	global_load_dwordx2 v[8:9], v[6:7], off glc
	s_cmp_lt_u32 s7, 32
	s_cselect_b64 s[44:45], -1, 0
	s_cmp_lg_u64 s[44:45], 0
	s_addc_u32 s7, s7, 0
	s_waitcnt vmcnt(0)
	v_cmp_ne_u16_sdwa s[44:45], v9, v3 src0_sel:BYTE_0 src1_sel:DWORD
	s_or_b64 s[40:41], s[44:45], s[40:41]
	s_andn2_b64 exec, exec, s[40:41]
	s_cbranch_execnz .LBB690_47
; %bb.50:
	s_or_b64 exec, exec, s[40:41]
.LBB690_51:
	s_or_b64 exec, exec, s[38:39]
	v_and_b32_e32 v14, 63, v50
	v_mov_b32_e32 v3, 2
	v_cmp_ne_u32_e32 vcc, 63, v14
	v_cmp_eq_u16_sdwa s[38:39], v9, v3 src0_sel:BYTE_0 src1_sel:DWORD
	v_lshlrev_b64 v[6:7], v50, -1
	v_addc_co_u32_e32 v11, vcc, 0, v50, vcc
	v_and_b32_e32 v5, s39, v7
	v_lshlrev_b32_e32 v15, 2, v11
	v_or_b32_e32 v5, 0x80000000, v5
	ds_bpermute_b32 v11, v15, v8
	v_and_b32_e32 v10, s38, v6
	v_ffbl_b32_e32 v5, v5
	v_add_u32_e32 v5, 32, v5
	v_ffbl_b32_e32 v10, v10
	v_min_u32_e32 v5, v10, v5
	v_cmp_lt_u32_e32 vcc, v14, v5
	s_waitcnt lgkmcnt(0)
	v_cndmask_b32_e32 v10, 0, v11, vcc
	v_cmp_gt_u32_e32 vcc, 62, v14
	v_add_u32_e32 v8, v10, v8
	v_cndmask_b32_e64 v10, 0, 1, vcc
	v_lshlrev_b32_e32 v10, 1, v10
	v_add_lshl_u32 v16, v10, v50, 2
	ds_bpermute_b32 v10, v16, v8
	v_add_u32_e32 v17, 2, v14
	v_cmp_le_u32_e32 vcc, v17, v5
	v_add_u32_e32 v19, 4, v14
	v_add_u32_e32 v54, 8, v14
	s_waitcnt lgkmcnt(0)
	v_cndmask_b32_e32 v10, 0, v10, vcc
	v_cmp_gt_u32_e32 vcc, 60, v14
	v_add_u32_e32 v8, v8, v10
	v_cndmask_b32_e64 v10, 0, 1, vcc
	v_lshlrev_b32_e32 v10, 2, v10
	v_add_lshl_u32 v18, v10, v50, 2
	ds_bpermute_b32 v10, v18, v8
	v_cmp_le_u32_e32 vcc, v19, v5
	v_add_u32_e32 v57, 16, v14
	v_add_u32_e32 v59, 32, v14
	s_waitcnt lgkmcnt(0)
	v_cndmask_b32_e32 v10, 0, v10, vcc
	v_cmp_gt_u32_e32 vcc, 56, v14
	v_add_u32_e32 v8, v8, v10
	v_cndmask_b32_e64 v10, 0, 1, vcc
	v_lshlrev_b32_e32 v10, 3, v10
	v_add_lshl_u32 v53, v10, v50, 2
	ds_bpermute_b32 v10, v53, v8
	v_cmp_le_u32_e32 vcc, v54, v5
	s_waitcnt lgkmcnt(0)
	v_cndmask_b32_e32 v10, 0, v10, vcc
	v_cmp_gt_u32_e32 vcc, 48, v14
	v_add_u32_e32 v8, v8, v10
	v_cndmask_b32_e64 v10, 0, 1, vcc
	v_lshlrev_b32_e32 v10, 4, v10
	v_add_lshl_u32 v56, v10, v50, 2
	ds_bpermute_b32 v10, v56, v8
	v_cmp_le_u32_e32 vcc, v57, v5
	;; [unrolled: 9-line block ×3, first 2 shown]
	s_waitcnt lgkmcnt(0)
	v_cndmask_b32_e32 v5, 0, v10, vcc
	v_add_u32_e32 v8, v8, v5
	v_mov_b32_e32 v5, 0
	s_branch .LBB690_53
.LBB690_52:                             ;   in Loop: Header=BB690_53 Depth=1
	s_or_b64 exec, exec, s[38:39]
	v_cmp_eq_u16_sdwa s[38:39], v9, v3 src0_sel:BYTE_0 src1_sel:DWORD
	v_and_b32_e32 v10, s39, v7
	v_or_b32_e32 v10, 0x80000000, v10
	ds_bpermute_b32 v60, v15, v8
	v_and_b32_e32 v11, s38, v6
	v_ffbl_b32_e32 v10, v10
	v_add_u32_e32 v10, 32, v10
	v_ffbl_b32_e32 v11, v11
	v_min_u32_e32 v10, v11, v10
	v_cmp_lt_u32_e32 vcc, v14, v10
	s_waitcnt lgkmcnt(0)
	v_cndmask_b32_e32 v11, 0, v60, vcc
	v_add_u32_e32 v8, v11, v8
	ds_bpermute_b32 v11, v16, v8
	v_cmp_le_u32_e32 vcc, v17, v10
	v_subrev_u32_e32 v4, 64, v4
	s_waitcnt lgkmcnt(0)
	v_cndmask_b32_e32 v11, 0, v11, vcc
	v_add_u32_e32 v8, v8, v11
	ds_bpermute_b32 v11, v18, v8
	v_cmp_le_u32_e32 vcc, v19, v10
	s_waitcnt lgkmcnt(0)
	v_cndmask_b32_e32 v11, 0, v11, vcc
	v_add_u32_e32 v8, v8, v11
	ds_bpermute_b32 v11, v53, v8
	v_cmp_le_u32_e32 vcc, v54, v10
	;; [unrolled: 5-line block ×4, first 2 shown]
	s_waitcnt lgkmcnt(0)
	v_cndmask_b32_e32 v10, 0, v11, vcc
	v_add3_u32 v8, v10, v55, v8
.LBB690_53:                             ; =>This Loop Header: Depth=1
                                        ;     Child Loop BB690_56 Depth 2
                                        ;       Child Loop BB690_57 Depth 3
	v_cmp_ne_u16_sdwa s[38:39], v9, v3 src0_sel:BYTE_0 src1_sel:DWORD
	v_cndmask_b32_e64 v9, 0, 1, s[38:39]
	;;#ASMSTART
	;;#ASMEND
	v_cmp_ne_u32_e32 vcc, 0, v9
	s_cmp_lg_u64 vcc, exec
	v_mov_b32_e32 v55, v8
	s_cbranch_scc1 .LBB690_60
; %bb.54:                               ;   in Loop: Header=BB690_53 Depth=1
	v_lshlrev_b64 v[8:9], 3, v[4:5]
	v_mov_b32_e32 v11, s35
	v_add_co_u32_e32 v10, vcc, s34, v8
	v_addc_co_u32_e32 v11, vcc, v11, v9, vcc
	global_load_dwordx2 v[8:9], v[10:11], off glc
	s_waitcnt vmcnt(0)
	v_cmp_eq_u16_sdwa s[40:41], v9, v5 src0_sel:BYTE_0 src1_sel:DWORD
	s_and_saveexec_b64 s[38:39], s[40:41]
	s_cbranch_execz .LBB690_52
; %bb.55:                               ;   in Loop: Header=BB690_53 Depth=1
	s_mov_b32 s7, 1
	s_mov_b64 s[40:41], 0
.LBB690_56:                             ;   Parent Loop BB690_53 Depth=1
                                        ; =>  This Loop Header: Depth=2
                                        ;       Child Loop BB690_57 Depth 3
	s_max_u32 s43, s7, 1
.LBB690_57:                             ;   Parent Loop BB690_53 Depth=1
                                        ;     Parent Loop BB690_56 Depth=2
                                        ; =>    This Inner Loop Header: Depth=3
	s_add_i32 s43, s43, -1
	s_cmp_eq_u32 s43, 0
	s_sleep 1
	s_cbranch_scc0 .LBB690_57
; %bb.58:                               ;   in Loop: Header=BB690_56 Depth=2
	global_load_dwordx2 v[8:9], v[10:11], off glc
	s_cmp_lt_u32 s7, 32
	s_cselect_b64 s[44:45], -1, 0
	s_cmp_lg_u64 s[44:45], 0
	s_addc_u32 s7, s7, 0
	s_waitcnt vmcnt(0)
	v_cmp_ne_u16_sdwa s[44:45], v9, v5 src0_sel:BYTE_0 src1_sel:DWORD
	s_or_b64 s[40:41], s[44:45], s[40:41]
	s_andn2_b64 exec, exec, s[40:41]
	s_cbranch_execnz .LBB690_56
; %bb.59:                               ;   in Loop: Header=BB690_53 Depth=1
	s_or_b64 exec, exec, s[40:41]
	s_branch .LBB690_52
.LBB690_60:                             ;   in Loop: Header=BB690_53 Depth=1
                                        ; implicit-def: $vgpr8
                                        ; implicit-def: $vgpr9
	s_cbranch_execz .LBB690_53
; %bb.61:
	s_and_saveexec_b64 s[38:39], s[16:17]
	s_cbranch_execz .LBB690_63
; %bb.62:
	s_add_i32 s6, s6, 64
	s_mov_b32 s7, 0
	s_lshl_b64 s[6:7], s[6:7], 3
	s_add_u32 s6, s34, s6
	v_add_u32_e32 v4, v55, v2
	v_mov_b32_e32 v5, 2
	s_addc_u32 s7, s35, s7
	v_mov_b32_e32 v3, 0
	global_store_dwordx2 v3, v[4:5], s[6:7]
	s_movk_i32 s6, 0x3400
	v_add_u32_e64 v3, s6, 0
	ds_write2_b32 v3, v2, v55 offset1:2
.LBB690_63:
	s_or_b64 exec, exec, s[38:39]
	v_cmp_eq_u32_e32 vcc, 0, v0
	s_and_b64 exec, exec, vcc
	s_cbranch_execz .LBB690_65
; %bb.64:
	v_mov_b32_e32 v2, 0
	ds_write_b32 v2, v55 offset:12
.LBB690_65:
	s_or_b64 exec, exec, s[36:37]
	v_mov_b32_e32 v2, 0
	s_waitcnt lgkmcnt(0)
	s_barrier
	ds_read_b32 v2, v2 offset:12
	v_cndmask_b32_e64 v3, v13, v12, s[16:17]
	v_cmp_ne_u32_e32 vcc, 0, v0
	v_cndmask_b32_e32 v3, 0, v3, vcc
	s_movk_i32 s6, 0x3400
	s_waitcnt lgkmcnt(0)
	v_add_u32_e32 v2, v2, v3
	v_add_u32_e32 v3, v2, v41
	;; [unrolled: 1-line block ×8, first 2 shown]
	v_add_u32_e64 v12, s6, 0
	v_add_u32_e32 v10, v9, v39
	s_barrier
	ds_read2_b32 v[18:19], v12 offset1:2
	v_add_u32_e32 v11, v10, v47
	v_add_u32_e32 v12, v11, v48
	;; [unrolled: 1-line block ×4, first 2 shown]
	s_branch .LBB690_76
.LBB690_66:
                                        ; implicit-def: $vgpr19
                                        ; implicit-def: $vgpr2_vgpr3_vgpr4_vgpr5_vgpr6_vgpr7_vgpr8_vgpr9_vgpr10_vgpr11_vgpr12_vgpr13_vgpr14_vgpr15_vgpr16_vgpr17
	s_cbranch_execz .LBB690_76
; %bb.67:
	s_nop 0
	v_mov_b32_dpp v2, v52 row_shr:1 row_mask:0xf bank_mask:0xf
	v_cndmask_b32_e64 v2, v2, 0, s[14:15]
	v_add_u32_e32 v2, v2, v52
	s_nop 1
	v_mov_b32_dpp v3, v2 row_shr:2 row_mask:0xf bank_mask:0xf
	v_cndmask_b32_e64 v3, 0, v3, s[12:13]
	v_add_u32_e32 v2, v2, v3
	;; [unrolled: 4-line block ×4, first 2 shown]
	s_nop 1
	v_mov_b32_dpp v3, v2 row_bcast:15 row_mask:0xf bank_mask:0xf
	v_cndmask_b32_e64 v3, v3, 0, s[18:19]
	v_add_u32_e32 v2, v2, v3
	s_nop 1
	v_mov_b32_dpp v3, v2 row_bcast:31 row_mask:0xf bank_mask:0xf
	v_cndmask_b32_e64 v3, 0, v3, s[2:3]
	v_add_u32_e32 v2, v2, v3
	s_and_saveexec_b64 s[2:3], s[4:5]
	s_cbranch_execz .LBB690_69
; %bb.68:
	v_lshlrev_b32_e32 v3, 2, v51
	ds_write_b32 v3, v2
.LBB690_69:
	s_or_b64 exec, exec, s[2:3]
	v_cmp_gt_u32_e32 vcc, 4, v0
	s_waitcnt lgkmcnt(0)
	s_barrier
	s_and_saveexec_b64 s[2:3], vcc
	s_cbranch_execz .LBB690_71
; %bb.70:
	ds_read_b32 v3, v1
	v_and_b32_e32 v4, 3, v50
	v_cmp_ne_u32_e32 vcc, 0, v4
	s_waitcnt lgkmcnt(0)
	v_mov_b32_dpp v5, v3 row_shr:1 row_mask:0xf bank_mask:0xf
	v_cndmask_b32_e32 v5, 0, v5, vcc
	v_add_u32_e32 v3, v5, v3
	v_cmp_lt_u32_e32 vcc, 1, v4
	s_nop 0
	v_mov_b32_dpp v5, v3 row_shr:2 row_mask:0xf bank_mask:0xf
	v_cndmask_b32_e32 v4, 0, v5, vcc
	v_add_u32_e32 v3, v3, v4
	ds_write_b32 v1, v3
.LBB690_71:
	s_or_b64 exec, exec, s[2:3]
	v_cmp_lt_u32_e32 vcc, 63, v0
	v_mov_b32_e32 v4, 0
	v_mov_b32_e32 v3, 0
	s_waitcnt lgkmcnt(0)
	s_barrier
	s_and_saveexec_b64 s[2:3], vcc
	s_cbranch_execz .LBB690_73
; %bb.72:
	v_lshl_add_u32 v3, v51, 2, -4
	ds_read_b32 v3, v3
.LBB690_73:
	s_or_b64 exec, exec, s[2:3]
	v_add_u32_e32 v5, -1, v50
	v_and_b32_e32 v6, 64, v50
	v_cmp_lt_i32_e32 vcc, v5, v6
	v_cndmask_b32_e32 v5, v5, v50, vcc
	s_waitcnt lgkmcnt(0)
	v_add_u32_e32 v2, v3, v2
	v_lshlrev_b32_e32 v5, 2, v5
	ds_bpermute_b32 v2, v5, v2
	ds_read_b32 v18, v4 offset:12
	v_cmp_eq_u32_e32 vcc, 0, v0
	s_and_saveexec_b64 s[2:3], vcc
	s_cbranch_execz .LBB690_75
; %bb.74:
	v_mov_b32_e32 v4, 0
	v_mov_b32_e32 v19, 2
	s_waitcnt lgkmcnt(0)
	global_store_dwordx2 v4, v[18:19], s[34:35] offset:512
.LBB690_75:
	s_or_b64 exec, exec, s[2:3]
	v_cmp_eq_u32_e64 s[2:3], 0, v50
	s_waitcnt lgkmcnt(1)
	v_cndmask_b32_e64 v2, v2, v3, s[2:3]
	v_cndmask_b32_e64 v2, v2, 0, vcc
	v_add_u32_e32 v3, v2, v41
	v_add_u32_e32 v4, v3, v42
	;; [unrolled: 1-line block ×11, first 2 shown]
	v_mov_b32_e32 v19, 0
	v_add_u32_e32 v14, v13, v38
	s_waitcnt lgkmcnt(0)
	s_barrier
.LBB690_76:
	s_waitcnt lgkmcnt(0)
	v_add_u32_e32 v33, v18, v33
	v_sub_u32_e32 v2, v2, v19
	v_and_b32_e32 v42, 1, v37
	v_sub_u32_e32 v41, v33, v2
	v_cmp_eq_u32_e32 vcc, 1, v42
	v_cndmask_b32_e32 v2, v41, v2, vcc
	v_lshlrev_b32_e32 v2, 2, v2
	v_lshrrev_b32_e32 v17, 8, v37
	ds_write_b32 v2, v30
	v_sub_u32_e32 v2, v3, v19
	v_sub_u32_e32 v3, v33, v2
	v_and_b32_e32 v17, 1, v17
	v_add_u32_e32 v3, 1, v3
	v_cmp_eq_u32_e32 vcc, 1, v17
	v_cndmask_b32_e32 v2, v3, v2, vcc
	v_lshlrev_b32_e32 v2, 2, v2
	ds_write_b32 v2, v31
	v_sub_u32_e32 v2, v4, v19
	v_mov_b32_e32 v4, 1
	v_sub_u32_e32 v3, v33, v2
	v_and_b32_sdwa v17, v4, v37 dst_sel:DWORD dst_unused:UNUSED_PAD src0_sel:DWORD src1_sel:WORD_1
	v_add_u32_e32 v3, 2, v3
	v_cmp_eq_u32_e32 vcc, 1, v17
	v_cndmask_b32_e32 v2, v3, v2, vcc
	v_lshlrev_b32_e32 v2, 2, v2
	ds_write_b32 v2, v28
	v_sub_u32_e32 v2, v5, v19
	v_sub_u32_e32 v3, v33, v2
	v_and_b32_e32 v5, 1, v40
	v_add_u32_e32 v3, 3, v3
	v_cmp_eq_u32_e32 vcc, 1, v5
	v_cndmask_b32_e32 v2, v3, v2, vcc
	v_lshlrev_b32_e32 v2, 2, v2
	ds_write_b32 v2, v29
	v_sub_u32_e32 v2, v6, v19
	v_sub_u32_e32 v3, v33, v2
	v_and_b32_e32 v5, 1, v36
	v_add_u32_e32 v3, 4, v3
	v_cmp_eq_u32_e32 vcc, 1, v5
	v_cndmask_b32_e32 v2, v3, v2, vcc
	v_lshlrev_b32_e32 v2, 2, v2
	v_lshrrev_b32_e32 v16, 8, v36
	ds_write_b32 v2, v26
	v_sub_u32_e32 v2, v7, v19
	v_sub_u32_e32 v3, v33, v2
	v_and_b32_e32 v5, 1, v16
	v_add_u32_e32 v3, 5, v3
	v_cmp_eq_u32_e32 vcc, 1, v5
	v_cndmask_b32_e32 v2, v3, v2, vcc
	v_lshlrev_b32_e32 v2, 2, v2
	ds_write_b32 v2, v27
	v_sub_u32_e32 v2, v8, v19
	v_sub_u32_e32 v3, v33, v2
	v_and_b32_sdwa v5, v4, v36 dst_sel:DWORD dst_unused:UNUSED_PAD src0_sel:DWORD src1_sel:WORD_1
	v_add_u32_e32 v3, 6, v3
	v_cmp_eq_u32_e32 vcc, 1, v5
	v_cndmask_b32_e32 v2, v3, v2, vcc
	v_lshlrev_b32_e32 v2, 2, v2
	ds_write_b32 v2, v24
	v_sub_u32_e32 v2, v9, v19
	v_sub_u32_e32 v3, v33, v2
	v_and_b32_e32 v5, 1, v39
	v_add_u32_e32 v3, 7, v3
	v_cmp_eq_u32_e32 vcc, 1, v5
	v_cndmask_b32_e32 v2, v3, v2, vcc
	v_lshlrev_b32_e32 v2, 2, v2
	ds_write_b32 v2, v25
	v_sub_u32_e32 v2, v10, v19
	v_sub_u32_e32 v3, v33, v2
	v_and_b32_e32 v5, 1, v35
	v_add_u32_e32 v3, 8, v3
	v_cmp_eq_u32_e32 vcc, 1, v5
	v_cndmask_b32_e32 v2, v3, v2, vcc
	v_lshlrev_b32_e32 v2, 2, v2
	v_lshrrev_b32_e32 v15, 8, v35
	ds_write_b32 v2, v22
	v_sub_u32_e32 v2, v11, v19
	v_sub_u32_e32 v3, v33, v2
	v_and_b32_e32 v5, 1, v15
	v_add_u32_e32 v3, 9, v3
	v_cmp_eq_u32_e32 vcc, 1, v5
	v_cndmask_b32_e32 v2, v3, v2, vcc
	v_lshlrev_b32_e32 v2, 2, v2
	ds_write_b32 v2, v23
	v_sub_u32_e32 v2, v12, v19
	v_sub_u32_e32 v3, v33, v2
	v_and_b32_sdwa v4, v4, v35 dst_sel:DWORD dst_unused:UNUSED_PAD src0_sel:DWORD src1_sel:WORD_1
	v_add_u32_e32 v3, 10, v3
	v_cmp_eq_u32_e32 vcc, 1, v4
	v_cndmask_b32_e32 v2, v3, v2, vcc
	v_lshlrev_b32_e32 v2, 2, v2
	ds_write_b32 v2, v20
	v_sub_u32_e32 v2, v13, v19
	v_sub_u32_e32 v3, v33, v2
	v_and_b32_e32 v4, 1, v38
	v_add_u32_e32 v3, 11, v3
	v_cmp_eq_u32_e32 vcc, 1, v4
	v_cndmask_b32_e32 v2, v3, v2, vcc
	v_lshlrev_b32_e32 v2, 2, v2
	ds_write_b32 v2, v21
	v_sub_u32_e32 v2, v14, v19
	v_sub_u32_e32 v3, v33, v2
	v_and_b32_e32 v4, 1, v34
	v_add_u32_e32 v3, 12, v3
	v_cmp_eq_u32_e32 vcc, 1, v4
	v_cndmask_b32_e32 v2, v3, v2, vcc
	s_add_u32 s2, s28, s42
	v_lshlrev_b32_e32 v2, 2, v2
	s_addc_u32 s3, s29, 0
	ds_write_b32 v2, v32
	s_waitcnt lgkmcnt(0)
	s_barrier
	ds_read2st64_b32 v[12:13], v1 offset1:4
	ds_read2st64_b32 v[10:11], v1 offset0:8 offset1:12
	ds_read2st64_b32 v[8:9], v1 offset0:16 offset1:20
	ds_read2st64_b32 v[6:7], v1 offset0:24 offset1:28
	ds_read2st64_b32 v[4:5], v1 offset0:32 offset1:36
	ds_read2st64_b32 v[2:3], v1 offset0:40 offset1:44
	ds_read_b32 v17, v1 offset:12288
	v_mov_b32_e32 v14, s31
	v_add_co_u32_e32 v1, vcc, s30, v19
	s_sub_u32 s2, s26, s2
	v_addc_co_u32_e32 v16, vcc, 0, v14, vcc
	s_subb_u32 s3, s27, s3
	v_mov_b32_e32 v14, s3
	v_add_co_u32_e32 v15, vcc, s2, v18
	v_addc_co_u32_e32 v14, vcc, 0, v14, vcc
	s_and_b64 vcc, exec, s[0:1]
	v_add_co_u32_e64 v19, s[0:1], v15, v1
	v_or_b32_e32 v32, 0x100, v0
	v_or_b32_e32 v31, 0x200, v0
	;; [unrolled: 1-line block ×12, first 2 shown]
	v_addc_co_u32_e64 v21, s[0:1], v14, v16, s[0:1]
	s_cbranch_vccnz .LBB690_130
; %bb.77:
	v_cmp_ge_u32_e32 vcc, v0, v18
                                        ; implicit-def: $vgpr14_vgpr15
	s_and_saveexec_b64 s[0:1], vcc
	s_xor_b64 s[0:1], exec, s[0:1]
; %bb.78:
	v_not_b32_e32 v14, v0
	v_ashrrev_i32_e32 v15, 31, v14
	v_add_co_u32_e32 v14, vcc, v19, v14
	v_addc_co_u32_e32 v15, vcc, v21, v15, vcc
; %bb.79:
	s_andn2_saveexec_b64 s[0:1], s[0:1]
; %bb.80:
	v_add_co_u32_e32 v14, vcc, v1, v0
	v_addc_co_u32_e32 v15, vcc, 0, v16, vcc
; %bb.81:
	s_or_b64 exec, exec, s[0:1]
	v_lshlrev_b64 v[14:15], 2, v[14:15]
	v_mov_b32_e32 v33, s25
	v_add_co_u32_e32 v14, vcc, s24, v14
	v_addc_co_u32_e32 v15, vcc, v33, v15, vcc
	v_cmp_ge_u32_e32 vcc, v32, v18
	s_waitcnt lgkmcnt(6)
	global_store_dword v[14:15], v12, off
                                        ; implicit-def: $vgpr14_vgpr15
	s_and_saveexec_b64 s[0:1], vcc
	s_xor_b64 s[0:1], exec, s[0:1]
; %bb.82:
	v_xor_b32_e32 v14, 0xfffffeff, v0
	v_ashrrev_i32_e32 v15, 31, v14
	v_add_co_u32_e32 v14, vcc, v19, v14
	v_addc_co_u32_e32 v15, vcc, v21, v15, vcc
; %bb.83:
	s_andn2_saveexec_b64 s[0:1], s[0:1]
; %bb.84:
	v_add_co_u32_e32 v14, vcc, v1, v32
	v_addc_co_u32_e32 v15, vcc, 0, v16, vcc
; %bb.85:
	s_or_b64 exec, exec, s[0:1]
	v_lshlrev_b64 v[14:15], 2, v[14:15]
	v_mov_b32_e32 v33, s25
	v_add_co_u32_e32 v14, vcc, s24, v14
	v_addc_co_u32_e32 v15, vcc, v33, v15, vcc
	v_cmp_ge_u32_e32 vcc, v31, v18
	global_store_dword v[14:15], v13, off
                                        ; implicit-def: $vgpr14_vgpr15
	s_and_saveexec_b64 s[0:1], vcc
	s_xor_b64 s[0:1], exec, s[0:1]
; %bb.86:
	v_xor_b32_e32 v14, 0xfffffdff, v0
	v_ashrrev_i32_e32 v15, 31, v14
	v_add_co_u32_e32 v14, vcc, v19, v14
	v_addc_co_u32_e32 v15, vcc, v21, v15, vcc
; %bb.87:
	s_andn2_saveexec_b64 s[0:1], s[0:1]
; %bb.88:
	v_add_co_u32_e32 v14, vcc, v1, v31
	v_addc_co_u32_e32 v15, vcc, 0, v16, vcc
; %bb.89:
	s_or_b64 exec, exec, s[0:1]
	v_lshlrev_b64 v[14:15], 2, v[14:15]
	v_mov_b32_e32 v33, s25
	v_add_co_u32_e32 v14, vcc, s24, v14
	v_addc_co_u32_e32 v15, vcc, v33, v15, vcc
	v_cmp_ge_u32_e32 vcc, v30, v18
	s_waitcnt lgkmcnt(5)
	global_store_dword v[14:15], v10, off
                                        ; implicit-def: $vgpr14_vgpr15
	s_and_saveexec_b64 s[0:1], vcc
	s_xor_b64 s[0:1], exec, s[0:1]
; %bb.90:
	v_xor_b32_e32 v14, 0xfffffcff, v0
	v_ashrrev_i32_e32 v15, 31, v14
	v_add_co_u32_e32 v14, vcc, v19, v14
	v_addc_co_u32_e32 v15, vcc, v21, v15, vcc
; %bb.91:
	s_andn2_saveexec_b64 s[0:1], s[0:1]
; %bb.92:
	v_add_co_u32_e32 v14, vcc, v1, v30
	v_addc_co_u32_e32 v15, vcc, 0, v16, vcc
; %bb.93:
	s_or_b64 exec, exec, s[0:1]
	v_lshlrev_b64 v[14:15], 2, v[14:15]
	v_mov_b32_e32 v33, s25
	v_add_co_u32_e32 v14, vcc, s24, v14
	v_addc_co_u32_e32 v15, vcc, v33, v15, vcc
	v_cmp_ge_u32_e32 vcc, v29, v18
	global_store_dword v[14:15], v11, off
                                        ; implicit-def: $vgpr14_vgpr15
	s_and_saveexec_b64 s[0:1], vcc
	s_xor_b64 s[0:1], exec, s[0:1]
; %bb.94:
	v_xor_b32_e32 v14, 0xfffffbff, v0
	;; [unrolled: 43-line block ×6, first 2 shown]
	v_ashrrev_i32_e32 v15, 31, v14
	v_add_co_u32_e32 v14, vcc, v19, v14
	v_addc_co_u32_e32 v15, vcc, v21, v15, vcc
; %bb.127:
	s_andn2_saveexec_b64 s[0:1], s[0:1]
; %bb.128:
	v_add_co_u32_e32 v14, vcc, v1, v20
	v_addc_co_u32_e32 v15, vcc, 0, v16, vcc
; %bb.129:
	s_or_b64 exec, exec, s[0:1]
	s_mov_b64 s[0:1], -1
	s_branch .LBB690_210
.LBB690_130:
	s_mov_b64 s[0:1], 0
                                        ; implicit-def: $vgpr14_vgpr15
	s_cbranch_execz .LBB690_210
; %bb.131:
	v_cmp_gt_u32_e32 vcc, s33, v0
	s_and_saveexec_b64 s[2:3], vcc
	s_cbranch_execz .LBB690_167
; %bb.132:
	v_cmp_ge_u32_e32 vcc, v0, v18
                                        ; implicit-def: $vgpr14_vgpr15
	s_and_saveexec_b64 s[4:5], vcc
	s_xor_b64 s[4:5], exec, s[4:5]
; %bb.133:
	v_not_b32_e32 v14, v0
	v_ashrrev_i32_e32 v15, 31, v14
	v_add_co_u32_e32 v14, vcc, v19, v14
	v_addc_co_u32_e32 v15, vcc, v21, v15, vcc
; %bb.134:
	s_andn2_saveexec_b64 s[4:5], s[4:5]
; %bb.135:
	v_add_co_u32_e32 v14, vcc, v1, v0
	v_addc_co_u32_e32 v15, vcc, 0, v16, vcc
; %bb.136:
	s_or_b64 exec, exec, s[4:5]
	v_lshlrev_b64 v[14:15], 2, v[14:15]
	v_mov_b32_e32 v33, s25
	v_add_co_u32_e32 v14, vcc, s24, v14
	v_addc_co_u32_e32 v15, vcc, v33, v15, vcc
	s_waitcnt lgkmcnt(6)
	global_store_dword v[14:15], v12, off
	s_or_b64 exec, exec, s[2:3]
	v_cmp_gt_u32_e32 vcc, s33, v32
	s_and_saveexec_b64 s[2:3], vcc
	s_cbranch_execnz .LBB690_168
.LBB690_137:
	s_or_b64 exec, exec, s[2:3]
	v_cmp_gt_u32_e32 vcc, s33, v31
	s_and_saveexec_b64 s[2:3], vcc
	s_cbranch_execz .LBB690_173
.LBB690_138:
	v_cmp_ge_u32_e32 vcc, v31, v18
                                        ; implicit-def: $vgpr12_vgpr13
	s_and_saveexec_b64 s[4:5], vcc
	s_xor_b64 s[4:5], exec, s[4:5]
	s_cbranch_execz .LBB690_140
; %bb.139:
	s_waitcnt lgkmcnt(6)
	v_xor_b32_e32 v12, 0xfffffdff, v0
	v_ashrrev_i32_e32 v13, 31, v12
	v_add_co_u32_e32 v12, vcc, v19, v12
	v_addc_co_u32_e32 v13, vcc, v21, v13, vcc
                                        ; implicit-def: $vgpr31
.LBB690_140:
	s_andn2_saveexec_b64 s[4:5], s[4:5]
	s_cbranch_execz .LBB690_142
; %bb.141:
	s_waitcnt lgkmcnt(6)
	v_add_co_u32_e32 v12, vcc, v1, v31
	v_addc_co_u32_e32 v13, vcc, 0, v16, vcc
.LBB690_142:
	s_or_b64 exec, exec, s[4:5]
	s_waitcnt lgkmcnt(6)
	v_lshlrev_b64 v[12:13], 2, v[12:13]
	v_mov_b32_e32 v14, s25
	v_add_co_u32_e32 v12, vcc, s24, v12
	v_addc_co_u32_e32 v13, vcc, v14, v13, vcc
	s_waitcnt lgkmcnt(5)
	global_store_dword v[12:13], v10, off
	s_or_b64 exec, exec, s[2:3]
	v_cmp_gt_u32_e32 vcc, s33, v30
	s_and_saveexec_b64 s[2:3], vcc
	s_cbranch_execnz .LBB690_174
.LBB690_143:
	s_or_b64 exec, exec, s[2:3]
	v_cmp_gt_u32_e32 vcc, s33, v29
	s_and_saveexec_b64 s[2:3], vcc
	s_cbranch_execz .LBB690_179
.LBB690_144:
	v_cmp_ge_u32_e32 vcc, v29, v18
                                        ; implicit-def: $vgpr10_vgpr11
	s_and_saveexec_b64 s[4:5], vcc
	s_xor_b64 s[4:5], exec, s[4:5]
	s_cbranch_execz .LBB690_146
; %bb.145:
	s_waitcnt lgkmcnt(5)
	v_xor_b32_e32 v10, 0xfffffbff, v0
	v_ashrrev_i32_e32 v11, 31, v10
	v_add_co_u32_e32 v10, vcc, v19, v10
	v_addc_co_u32_e32 v11, vcc, v21, v11, vcc
                                        ; implicit-def: $vgpr29
.LBB690_146:
	s_andn2_saveexec_b64 s[4:5], s[4:5]
	s_cbranch_execz .LBB690_148
; %bb.147:
	s_waitcnt lgkmcnt(5)
	v_add_co_u32_e32 v10, vcc, v1, v29
	v_addc_co_u32_e32 v11, vcc, 0, v16, vcc
.LBB690_148:
	s_or_b64 exec, exec, s[4:5]
	s_waitcnt lgkmcnt(5)
	v_lshlrev_b64 v[10:11], 2, v[10:11]
	v_mov_b32_e32 v12, s25
	v_add_co_u32_e32 v10, vcc, s24, v10
	v_addc_co_u32_e32 v11, vcc, v12, v11, vcc
	s_waitcnt lgkmcnt(4)
	global_store_dword v[10:11], v8, off
	s_or_b64 exec, exec, s[2:3]
	v_cmp_gt_u32_e32 vcc, s33, v28
	s_and_saveexec_b64 s[2:3], vcc
	s_cbranch_execnz .LBB690_180
.LBB690_149:
	s_or_b64 exec, exec, s[2:3]
	v_cmp_gt_u32_e32 vcc, s33, v27
	s_and_saveexec_b64 s[2:3], vcc
	s_cbranch_execz .LBB690_185
.LBB690_150:
	v_cmp_ge_u32_e32 vcc, v27, v18
                                        ; implicit-def: $vgpr8_vgpr9
	s_and_saveexec_b64 s[4:5], vcc
	s_xor_b64 s[4:5], exec, s[4:5]
	s_cbranch_execz .LBB690_152
; %bb.151:
	s_waitcnt lgkmcnt(4)
	v_xor_b32_e32 v8, 0xfffff9ff, v0
	v_ashrrev_i32_e32 v9, 31, v8
	v_add_co_u32_e32 v8, vcc, v19, v8
	v_addc_co_u32_e32 v9, vcc, v21, v9, vcc
                                        ; implicit-def: $vgpr27
.LBB690_152:
	s_andn2_saveexec_b64 s[4:5], s[4:5]
	s_cbranch_execz .LBB690_154
; %bb.153:
	s_waitcnt lgkmcnt(4)
	v_add_co_u32_e32 v8, vcc, v1, v27
	v_addc_co_u32_e32 v9, vcc, 0, v16, vcc
.LBB690_154:
	s_or_b64 exec, exec, s[4:5]
	s_waitcnt lgkmcnt(4)
	v_lshlrev_b64 v[8:9], 2, v[8:9]
	v_mov_b32_e32 v10, s25
	v_add_co_u32_e32 v8, vcc, s24, v8
	v_addc_co_u32_e32 v9, vcc, v10, v9, vcc
	s_waitcnt lgkmcnt(3)
	global_store_dword v[8:9], v6, off
	s_or_b64 exec, exec, s[2:3]
	v_cmp_gt_u32_e32 vcc, s33, v26
	s_and_saveexec_b64 s[2:3], vcc
	s_cbranch_execnz .LBB690_186
.LBB690_155:
	s_or_b64 exec, exec, s[2:3]
	v_cmp_gt_u32_e32 vcc, s33, v25
	s_and_saveexec_b64 s[2:3], vcc
	s_cbranch_execz .LBB690_191
.LBB690_156:
	v_cmp_ge_u32_e32 vcc, v25, v18
                                        ; implicit-def: $vgpr6_vgpr7
	s_and_saveexec_b64 s[4:5], vcc
	s_xor_b64 s[4:5], exec, s[4:5]
	s_cbranch_execz .LBB690_158
; %bb.157:
	s_waitcnt lgkmcnt(3)
	v_xor_b32_e32 v6, 0xfffff7ff, v0
	v_ashrrev_i32_e32 v7, 31, v6
	v_add_co_u32_e32 v6, vcc, v19, v6
	v_addc_co_u32_e32 v7, vcc, v21, v7, vcc
                                        ; implicit-def: $vgpr25
.LBB690_158:
	s_andn2_saveexec_b64 s[4:5], s[4:5]
	s_cbranch_execz .LBB690_160
; %bb.159:
	s_waitcnt lgkmcnt(3)
	v_add_co_u32_e32 v6, vcc, v1, v25
	v_addc_co_u32_e32 v7, vcc, 0, v16, vcc
.LBB690_160:
	s_or_b64 exec, exec, s[4:5]
	s_waitcnt lgkmcnt(3)
	v_lshlrev_b64 v[6:7], 2, v[6:7]
	v_mov_b32_e32 v8, s25
	v_add_co_u32_e32 v6, vcc, s24, v6
	v_addc_co_u32_e32 v7, vcc, v8, v7, vcc
	s_waitcnt lgkmcnt(2)
	global_store_dword v[6:7], v4, off
	s_or_b64 exec, exec, s[2:3]
	v_cmp_gt_u32_e32 vcc, s33, v24
	s_and_saveexec_b64 s[2:3], vcc
	s_cbranch_execnz .LBB690_192
.LBB690_161:
	s_or_b64 exec, exec, s[2:3]
	v_cmp_gt_u32_e32 vcc, s33, v23
	s_and_saveexec_b64 s[2:3], vcc
	s_cbranch_execz .LBB690_197
.LBB690_162:
	v_cmp_ge_u32_e32 vcc, v23, v18
                                        ; implicit-def: $vgpr4_vgpr5
	s_and_saveexec_b64 s[4:5], vcc
	s_xor_b64 s[4:5], exec, s[4:5]
	s_cbranch_execz .LBB690_164
; %bb.163:
	s_waitcnt lgkmcnt(2)
	v_xor_b32_e32 v4, 0xfffff5ff, v0
	v_ashrrev_i32_e32 v5, 31, v4
	v_add_co_u32_e32 v4, vcc, v19, v4
	v_addc_co_u32_e32 v5, vcc, v21, v5, vcc
                                        ; implicit-def: $vgpr23
.LBB690_164:
	s_andn2_saveexec_b64 s[4:5], s[4:5]
	s_cbranch_execz .LBB690_166
; %bb.165:
	s_waitcnt lgkmcnt(2)
	v_add_co_u32_e32 v4, vcc, v1, v23
	v_addc_co_u32_e32 v5, vcc, 0, v16, vcc
.LBB690_166:
	s_or_b64 exec, exec, s[4:5]
	s_waitcnt lgkmcnt(2)
	v_lshlrev_b64 v[4:5], 2, v[4:5]
	v_mov_b32_e32 v6, s25
	v_add_co_u32_e32 v4, vcc, s24, v4
	v_addc_co_u32_e32 v5, vcc, v6, v5, vcc
	s_waitcnt lgkmcnt(1)
	global_store_dword v[4:5], v2, off
	s_or_b64 exec, exec, s[2:3]
	v_cmp_gt_u32_e32 vcc, s33, v22
	s_and_saveexec_b64 s[2:3], vcc
	s_cbranch_execz .LBB690_203
	s_branch .LBB690_198
.LBB690_167:
	s_or_b64 exec, exec, s[2:3]
	v_cmp_gt_u32_e32 vcc, s33, v32
	s_and_saveexec_b64 s[2:3], vcc
	s_cbranch_execz .LBB690_137
.LBB690_168:
	v_cmp_ge_u32_e32 vcc, v32, v18
                                        ; implicit-def: $vgpr14_vgpr15
	s_and_saveexec_b64 s[4:5], vcc
	s_xor_b64 s[4:5], exec, s[4:5]
	s_cbranch_execz .LBB690_170
; %bb.169:
	s_waitcnt lgkmcnt(6)
	v_xor_b32_e32 v12, 0xfffffeff, v0
	v_ashrrev_i32_e32 v15, 31, v12
	v_add_co_u32_e32 v14, vcc, v19, v12
	v_addc_co_u32_e32 v15, vcc, v21, v15, vcc
                                        ; implicit-def: $vgpr32
.LBB690_170:
	s_andn2_saveexec_b64 s[4:5], s[4:5]
; %bb.171:
	v_add_co_u32_e32 v14, vcc, v1, v32
	v_addc_co_u32_e32 v15, vcc, 0, v16, vcc
; %bb.172:
	s_or_b64 exec, exec, s[4:5]
	v_lshlrev_b64 v[14:15], 2, v[14:15]
	s_waitcnt lgkmcnt(6)
	v_mov_b32_e32 v12, s25
	v_add_co_u32_e32 v14, vcc, s24, v14
	v_addc_co_u32_e32 v15, vcc, v12, v15, vcc
	global_store_dword v[14:15], v13, off
	s_or_b64 exec, exec, s[2:3]
	v_cmp_gt_u32_e32 vcc, s33, v31
	s_and_saveexec_b64 s[2:3], vcc
	s_cbranch_execnz .LBB690_138
.LBB690_173:
	s_or_b64 exec, exec, s[2:3]
	v_cmp_gt_u32_e32 vcc, s33, v30
	s_and_saveexec_b64 s[2:3], vcc
	s_cbranch_execz .LBB690_143
.LBB690_174:
	v_cmp_ge_u32_e32 vcc, v30, v18
                                        ; implicit-def: $vgpr12_vgpr13
	s_and_saveexec_b64 s[4:5], vcc
	s_xor_b64 s[4:5], exec, s[4:5]
	s_cbranch_execz .LBB690_176
; %bb.175:
	s_waitcnt lgkmcnt(5)
	v_xor_b32_e32 v10, 0xfffffcff, v0
	v_ashrrev_i32_e32 v13, 31, v10
	v_add_co_u32_e32 v12, vcc, v19, v10
	v_addc_co_u32_e32 v13, vcc, v21, v13, vcc
                                        ; implicit-def: $vgpr30
.LBB690_176:
	s_andn2_saveexec_b64 s[4:5], s[4:5]
	s_cbranch_execz .LBB690_178
; %bb.177:
	s_waitcnt lgkmcnt(6)
	v_add_co_u32_e32 v12, vcc, v1, v30
	v_addc_co_u32_e32 v13, vcc, 0, v16, vcc
.LBB690_178:
	s_or_b64 exec, exec, s[4:5]
	s_waitcnt lgkmcnt(6)
	v_lshlrev_b64 v[12:13], 2, v[12:13]
	s_waitcnt lgkmcnt(5)
	v_mov_b32_e32 v10, s25
	v_add_co_u32_e32 v12, vcc, s24, v12
	v_addc_co_u32_e32 v13, vcc, v10, v13, vcc
	global_store_dword v[12:13], v11, off
	s_or_b64 exec, exec, s[2:3]
	v_cmp_gt_u32_e32 vcc, s33, v29
	s_and_saveexec_b64 s[2:3], vcc
	s_cbranch_execnz .LBB690_144
.LBB690_179:
	s_or_b64 exec, exec, s[2:3]
	v_cmp_gt_u32_e32 vcc, s33, v28
	s_and_saveexec_b64 s[2:3], vcc
	s_cbranch_execz .LBB690_149
.LBB690_180:
	v_cmp_ge_u32_e32 vcc, v28, v18
                                        ; implicit-def: $vgpr10_vgpr11
	s_and_saveexec_b64 s[4:5], vcc
	s_xor_b64 s[4:5], exec, s[4:5]
	s_cbranch_execz .LBB690_182
; %bb.181:
	s_waitcnt lgkmcnt(4)
	v_xor_b32_e32 v8, 0xfffffaff, v0
	v_ashrrev_i32_e32 v11, 31, v8
	v_add_co_u32_e32 v10, vcc, v19, v8
	v_addc_co_u32_e32 v11, vcc, v21, v11, vcc
                                        ; implicit-def: $vgpr28
.LBB690_182:
	s_andn2_saveexec_b64 s[4:5], s[4:5]
	s_cbranch_execz .LBB690_184
; %bb.183:
	s_waitcnt lgkmcnt(5)
	v_add_co_u32_e32 v10, vcc, v1, v28
	v_addc_co_u32_e32 v11, vcc, 0, v16, vcc
.LBB690_184:
	s_or_b64 exec, exec, s[4:5]
	s_waitcnt lgkmcnt(5)
	v_lshlrev_b64 v[10:11], 2, v[10:11]
	s_waitcnt lgkmcnt(4)
	v_mov_b32_e32 v8, s25
	v_add_co_u32_e32 v10, vcc, s24, v10
	v_addc_co_u32_e32 v11, vcc, v8, v11, vcc
	global_store_dword v[10:11], v9, off
	s_or_b64 exec, exec, s[2:3]
	v_cmp_gt_u32_e32 vcc, s33, v27
	s_and_saveexec_b64 s[2:3], vcc
	s_cbranch_execnz .LBB690_150
.LBB690_185:
	s_or_b64 exec, exec, s[2:3]
	v_cmp_gt_u32_e32 vcc, s33, v26
	s_and_saveexec_b64 s[2:3], vcc
	s_cbranch_execz .LBB690_155
.LBB690_186:
	v_cmp_ge_u32_e32 vcc, v26, v18
                                        ; implicit-def: $vgpr8_vgpr9
	s_and_saveexec_b64 s[4:5], vcc
	s_xor_b64 s[4:5], exec, s[4:5]
	s_cbranch_execz .LBB690_188
; %bb.187:
	s_waitcnt lgkmcnt(3)
	v_xor_b32_e32 v6, 0xfffff8ff, v0
	v_ashrrev_i32_e32 v9, 31, v6
	v_add_co_u32_e32 v8, vcc, v19, v6
	v_addc_co_u32_e32 v9, vcc, v21, v9, vcc
                                        ; implicit-def: $vgpr26
.LBB690_188:
	s_andn2_saveexec_b64 s[4:5], s[4:5]
	s_cbranch_execz .LBB690_190
; %bb.189:
	s_waitcnt lgkmcnt(4)
	v_add_co_u32_e32 v8, vcc, v1, v26
	v_addc_co_u32_e32 v9, vcc, 0, v16, vcc
.LBB690_190:
	s_or_b64 exec, exec, s[4:5]
	s_waitcnt lgkmcnt(4)
	v_lshlrev_b64 v[8:9], 2, v[8:9]
	s_waitcnt lgkmcnt(3)
	v_mov_b32_e32 v6, s25
	v_add_co_u32_e32 v8, vcc, s24, v8
	v_addc_co_u32_e32 v9, vcc, v6, v9, vcc
	global_store_dword v[8:9], v7, off
	s_or_b64 exec, exec, s[2:3]
	v_cmp_gt_u32_e32 vcc, s33, v25
	s_and_saveexec_b64 s[2:3], vcc
	s_cbranch_execnz .LBB690_156
.LBB690_191:
	s_or_b64 exec, exec, s[2:3]
	v_cmp_gt_u32_e32 vcc, s33, v24
	s_and_saveexec_b64 s[2:3], vcc
	s_cbranch_execz .LBB690_161
.LBB690_192:
	v_cmp_ge_u32_e32 vcc, v24, v18
                                        ; implicit-def: $vgpr6_vgpr7
	s_and_saveexec_b64 s[4:5], vcc
	s_xor_b64 s[4:5], exec, s[4:5]
	s_cbranch_execz .LBB690_194
; %bb.193:
	s_waitcnt lgkmcnt(2)
	v_xor_b32_e32 v4, 0xfffff6ff, v0
	v_ashrrev_i32_e32 v7, 31, v4
	v_add_co_u32_e32 v6, vcc, v19, v4
	v_addc_co_u32_e32 v7, vcc, v21, v7, vcc
                                        ; implicit-def: $vgpr24
.LBB690_194:
	s_andn2_saveexec_b64 s[4:5], s[4:5]
	s_cbranch_execz .LBB690_196
; %bb.195:
	s_waitcnt lgkmcnt(3)
	v_add_co_u32_e32 v6, vcc, v1, v24
	v_addc_co_u32_e32 v7, vcc, 0, v16, vcc
.LBB690_196:
	s_or_b64 exec, exec, s[4:5]
	s_waitcnt lgkmcnt(3)
	v_lshlrev_b64 v[6:7], 2, v[6:7]
	s_waitcnt lgkmcnt(2)
	v_mov_b32_e32 v4, s25
	v_add_co_u32_e32 v6, vcc, s24, v6
	v_addc_co_u32_e32 v7, vcc, v4, v7, vcc
	global_store_dword v[6:7], v5, off
	s_or_b64 exec, exec, s[2:3]
	v_cmp_gt_u32_e32 vcc, s33, v23
	s_and_saveexec_b64 s[2:3], vcc
	s_cbranch_execnz .LBB690_162
.LBB690_197:
	s_or_b64 exec, exec, s[2:3]
	v_cmp_gt_u32_e32 vcc, s33, v22
	s_and_saveexec_b64 s[2:3], vcc
	s_cbranch_execz .LBB690_203
.LBB690_198:
	v_cmp_ge_u32_e32 vcc, v22, v18
                                        ; implicit-def: $vgpr4_vgpr5
	s_and_saveexec_b64 s[4:5], vcc
	s_xor_b64 s[4:5], exec, s[4:5]
	s_cbranch_execz .LBB690_200
; %bb.199:
	s_waitcnt lgkmcnt(1)
	v_xor_b32_e32 v2, 0xfffff4ff, v0
	v_ashrrev_i32_e32 v5, 31, v2
	v_add_co_u32_e32 v4, vcc, v19, v2
	v_addc_co_u32_e32 v5, vcc, v21, v5, vcc
                                        ; implicit-def: $vgpr22
.LBB690_200:
	s_andn2_saveexec_b64 s[4:5], s[4:5]
	s_cbranch_execz .LBB690_202
; %bb.201:
	s_waitcnt lgkmcnt(2)
	v_add_co_u32_e32 v4, vcc, v1, v22
	v_addc_co_u32_e32 v5, vcc, 0, v16, vcc
.LBB690_202:
	s_or_b64 exec, exec, s[4:5]
	s_waitcnt lgkmcnt(2)
	v_lshlrev_b64 v[4:5], 2, v[4:5]
	s_waitcnt lgkmcnt(1)
	v_mov_b32_e32 v2, s25
	v_add_co_u32_e32 v4, vcc, s24, v4
	v_addc_co_u32_e32 v5, vcc, v2, v5, vcc
	global_store_dword v[4:5], v3, off
.LBB690_203:
	s_or_b64 exec, exec, s[2:3]
	v_cmp_gt_u32_e32 vcc, s33, v20
                                        ; implicit-def: $vgpr14_vgpr15
	s_and_saveexec_b64 s[2:3], vcc
	s_cbranch_execz .LBB690_209
; %bb.204:
	v_cmp_ge_u32_e32 vcc, v20, v18
                                        ; implicit-def: $vgpr14_vgpr15
	s_and_saveexec_b64 s[4:5], vcc
	s_xor_b64 s[4:5], exec, s[4:5]
	s_cbranch_execz .LBB690_206
; %bb.205:
	s_waitcnt lgkmcnt(1)
	v_xor_b32_e32 v2, 0xfffff3ff, v0
	v_ashrrev_i32_e32 v3, 31, v2
	v_add_co_u32_e32 v14, vcc, v19, v2
	v_addc_co_u32_e32 v15, vcc, v21, v3, vcc
                                        ; implicit-def: $vgpr20
.LBB690_206:
	s_andn2_saveexec_b64 s[4:5], s[4:5]
; %bb.207:
	v_add_co_u32_e32 v14, vcc, v1, v20
	v_addc_co_u32_e32 v15, vcc, 0, v16, vcc
; %bb.208:
	s_or_b64 exec, exec, s[4:5]
	s_or_b64 s[0:1], s[0:1], exec
.LBB690_209:
	s_or_b64 exec, exec, s[2:3]
.LBB690_210:
	s_and_saveexec_b64 s[2:3], s[0:1]
	s_cbranch_execz .LBB690_212
; %bb.211:
	s_waitcnt lgkmcnt(1)
	v_lshlrev_b64 v[2:3], 2, v[14:15]
	v_mov_b32_e32 v4, s25
	v_add_co_u32_e32 v2, vcc, s24, v2
	v_addc_co_u32_e32 v3, vcc, v4, v3, vcc
	s_waitcnt lgkmcnt(0)
	global_store_dword v[2:3], v17, off
.LBB690_212:
	s_or_b64 exec, exec, s[2:3]
	v_cmp_eq_u32_e32 vcc, 0, v0
	s_and_b64 s[0:1], vcc, s[22:23]
	s_and_saveexec_b64 s[2:3], s[0:1]
	s_cbranch_execz .LBB690_214
; %bb.213:
	v_add_co_u32_e32 v0, vcc, v1, v18
	s_waitcnt lgkmcnt(1)
	v_mov_b32_e32 v2, 0
	v_addc_co_u32_e32 v1, vcc, 0, v16, vcc
	global_store_dwordx2 v2, v[0:1], s[20:21]
.LBB690_214:
	s_endpgm
	.section	.rodata,"a",@progbits
	.p2align	6, 0x0
	.amdhsa_kernel _ZN7rocprim17ROCPRIM_400000_NS6detail17trampoline_kernelINS0_13select_configILj256ELj13ELNS0_17block_load_methodE3ELS4_3ELS4_3ELNS0_20block_scan_algorithmE0ELj4294967295EEENS1_25partition_config_selectorILNS1_17partition_subalgoE3EjNS0_10empty_typeEbEEZZNS1_14partition_implILS8_3ELb0ES6_jNS0_17counting_iteratorIjlEEPS9_SE_NS0_5tupleIJPjSE_EEENSF_IJSE_SE_EEES9_SG_JZNS1_25segmented_radix_sort_implINS0_14default_configELb1EPKlPlSM_SN_N2at6native12_GLOBAL__N_18offset_tEEE10hipError_tPvRmT1_PNSt15iterator_traitsISV_E10value_typeET2_T3_PNSW_IS11_E10value_typeET4_jRbjT5_S17_jjP12ihipStream_tbEUljE_EEESS_ST_SU_S11_S15_S17_T6_T7_T9_mT8_S19_bDpT10_ENKUlT_T0_E_clISt17integral_constantIbLb1EES1L_IbLb0EEEEDaS1H_S1I_EUlS1H_E_NS1_11comp_targetILNS1_3genE4ELNS1_11target_archE910ELNS1_3gpuE8ELNS1_3repE0EEENS1_30default_config_static_selectorELNS0_4arch9wavefront6targetE1EEEvSV_
		.amdhsa_group_segment_fixed_size 13324
		.amdhsa_private_segment_fixed_size 0
		.amdhsa_kernarg_size 144
		.amdhsa_user_sgpr_count 6
		.amdhsa_user_sgpr_private_segment_buffer 1
		.amdhsa_user_sgpr_dispatch_ptr 0
		.amdhsa_user_sgpr_queue_ptr 0
		.amdhsa_user_sgpr_kernarg_segment_ptr 1
		.amdhsa_user_sgpr_dispatch_id 0
		.amdhsa_user_sgpr_flat_scratch_init 0
		.amdhsa_user_sgpr_kernarg_preload_length 0
		.amdhsa_user_sgpr_kernarg_preload_offset 0
		.amdhsa_user_sgpr_private_segment_size 0
		.amdhsa_uses_dynamic_stack 0
		.amdhsa_system_sgpr_private_segment_wavefront_offset 0
		.amdhsa_system_sgpr_workgroup_id_x 1
		.amdhsa_system_sgpr_workgroup_id_y 0
		.amdhsa_system_sgpr_workgroup_id_z 0
		.amdhsa_system_sgpr_workgroup_info 0
		.amdhsa_system_vgpr_workitem_id 0
		.amdhsa_next_free_vgpr 61
		.amdhsa_next_free_sgpr 46
		.amdhsa_accum_offset 64
		.amdhsa_reserve_vcc 1
		.amdhsa_reserve_flat_scratch 0
		.amdhsa_float_round_mode_32 0
		.amdhsa_float_round_mode_16_64 0
		.amdhsa_float_denorm_mode_32 3
		.amdhsa_float_denorm_mode_16_64 3
		.amdhsa_dx10_clamp 1
		.amdhsa_ieee_mode 1
		.amdhsa_fp16_overflow 0
		.amdhsa_tg_split 0
		.amdhsa_exception_fp_ieee_invalid_op 0
		.amdhsa_exception_fp_denorm_src 0
		.amdhsa_exception_fp_ieee_div_zero 0
		.amdhsa_exception_fp_ieee_overflow 0
		.amdhsa_exception_fp_ieee_underflow 0
		.amdhsa_exception_fp_ieee_inexact 0
		.amdhsa_exception_int_div_zero 0
	.end_amdhsa_kernel
	.section	.text._ZN7rocprim17ROCPRIM_400000_NS6detail17trampoline_kernelINS0_13select_configILj256ELj13ELNS0_17block_load_methodE3ELS4_3ELS4_3ELNS0_20block_scan_algorithmE0ELj4294967295EEENS1_25partition_config_selectorILNS1_17partition_subalgoE3EjNS0_10empty_typeEbEEZZNS1_14partition_implILS8_3ELb0ES6_jNS0_17counting_iteratorIjlEEPS9_SE_NS0_5tupleIJPjSE_EEENSF_IJSE_SE_EEES9_SG_JZNS1_25segmented_radix_sort_implINS0_14default_configELb1EPKlPlSM_SN_N2at6native12_GLOBAL__N_18offset_tEEE10hipError_tPvRmT1_PNSt15iterator_traitsISV_E10value_typeET2_T3_PNSW_IS11_E10value_typeET4_jRbjT5_S17_jjP12ihipStream_tbEUljE_EEESS_ST_SU_S11_S15_S17_T6_T7_T9_mT8_S19_bDpT10_ENKUlT_T0_E_clISt17integral_constantIbLb1EES1L_IbLb0EEEEDaS1H_S1I_EUlS1H_E_NS1_11comp_targetILNS1_3genE4ELNS1_11target_archE910ELNS1_3gpuE8ELNS1_3repE0EEENS1_30default_config_static_selectorELNS0_4arch9wavefront6targetE1EEEvSV_,"axG",@progbits,_ZN7rocprim17ROCPRIM_400000_NS6detail17trampoline_kernelINS0_13select_configILj256ELj13ELNS0_17block_load_methodE3ELS4_3ELS4_3ELNS0_20block_scan_algorithmE0ELj4294967295EEENS1_25partition_config_selectorILNS1_17partition_subalgoE3EjNS0_10empty_typeEbEEZZNS1_14partition_implILS8_3ELb0ES6_jNS0_17counting_iteratorIjlEEPS9_SE_NS0_5tupleIJPjSE_EEENSF_IJSE_SE_EEES9_SG_JZNS1_25segmented_radix_sort_implINS0_14default_configELb1EPKlPlSM_SN_N2at6native12_GLOBAL__N_18offset_tEEE10hipError_tPvRmT1_PNSt15iterator_traitsISV_E10value_typeET2_T3_PNSW_IS11_E10value_typeET4_jRbjT5_S17_jjP12ihipStream_tbEUljE_EEESS_ST_SU_S11_S15_S17_T6_T7_T9_mT8_S19_bDpT10_ENKUlT_T0_E_clISt17integral_constantIbLb1EES1L_IbLb0EEEEDaS1H_S1I_EUlS1H_E_NS1_11comp_targetILNS1_3genE4ELNS1_11target_archE910ELNS1_3gpuE8ELNS1_3repE0EEENS1_30default_config_static_selectorELNS0_4arch9wavefront6targetE1EEEvSV_,comdat
.Lfunc_end690:
	.size	_ZN7rocprim17ROCPRIM_400000_NS6detail17trampoline_kernelINS0_13select_configILj256ELj13ELNS0_17block_load_methodE3ELS4_3ELS4_3ELNS0_20block_scan_algorithmE0ELj4294967295EEENS1_25partition_config_selectorILNS1_17partition_subalgoE3EjNS0_10empty_typeEbEEZZNS1_14partition_implILS8_3ELb0ES6_jNS0_17counting_iteratorIjlEEPS9_SE_NS0_5tupleIJPjSE_EEENSF_IJSE_SE_EEES9_SG_JZNS1_25segmented_radix_sort_implINS0_14default_configELb1EPKlPlSM_SN_N2at6native12_GLOBAL__N_18offset_tEEE10hipError_tPvRmT1_PNSt15iterator_traitsISV_E10value_typeET2_T3_PNSW_IS11_E10value_typeET4_jRbjT5_S17_jjP12ihipStream_tbEUljE_EEESS_ST_SU_S11_S15_S17_T6_T7_T9_mT8_S19_bDpT10_ENKUlT_T0_E_clISt17integral_constantIbLb1EES1L_IbLb0EEEEDaS1H_S1I_EUlS1H_E_NS1_11comp_targetILNS1_3genE4ELNS1_11target_archE910ELNS1_3gpuE8ELNS1_3repE0EEENS1_30default_config_static_selectorELNS0_4arch9wavefront6targetE1EEEvSV_, .Lfunc_end690-_ZN7rocprim17ROCPRIM_400000_NS6detail17trampoline_kernelINS0_13select_configILj256ELj13ELNS0_17block_load_methodE3ELS4_3ELS4_3ELNS0_20block_scan_algorithmE0ELj4294967295EEENS1_25partition_config_selectorILNS1_17partition_subalgoE3EjNS0_10empty_typeEbEEZZNS1_14partition_implILS8_3ELb0ES6_jNS0_17counting_iteratorIjlEEPS9_SE_NS0_5tupleIJPjSE_EEENSF_IJSE_SE_EEES9_SG_JZNS1_25segmented_radix_sort_implINS0_14default_configELb1EPKlPlSM_SN_N2at6native12_GLOBAL__N_18offset_tEEE10hipError_tPvRmT1_PNSt15iterator_traitsISV_E10value_typeET2_T3_PNSW_IS11_E10value_typeET4_jRbjT5_S17_jjP12ihipStream_tbEUljE_EEESS_ST_SU_S11_S15_S17_T6_T7_T9_mT8_S19_bDpT10_ENKUlT_T0_E_clISt17integral_constantIbLb1EES1L_IbLb0EEEEDaS1H_S1I_EUlS1H_E_NS1_11comp_targetILNS1_3genE4ELNS1_11target_archE910ELNS1_3gpuE8ELNS1_3repE0EEENS1_30default_config_static_selectorELNS0_4arch9wavefront6targetE1EEEvSV_
                                        ; -- End function
	.section	.AMDGPU.csdata,"",@progbits
; Kernel info:
; codeLenInByte = 7756
; NumSgprs: 50
; NumVgprs: 61
; NumAgprs: 0
; TotalNumVgprs: 61
; ScratchSize: 0
; MemoryBound: 0
; FloatMode: 240
; IeeeMode: 1
; LDSByteSize: 13324 bytes/workgroup (compile time only)
; SGPRBlocks: 6
; VGPRBlocks: 7
; NumSGPRsForWavesPerEU: 50
; NumVGPRsForWavesPerEU: 61
; AccumOffset: 64
; Occupancy: 4
; WaveLimiterHint : 0
; COMPUTE_PGM_RSRC2:SCRATCH_EN: 0
; COMPUTE_PGM_RSRC2:USER_SGPR: 6
; COMPUTE_PGM_RSRC2:TRAP_HANDLER: 0
; COMPUTE_PGM_RSRC2:TGID_X_EN: 1
; COMPUTE_PGM_RSRC2:TGID_Y_EN: 0
; COMPUTE_PGM_RSRC2:TGID_Z_EN: 0
; COMPUTE_PGM_RSRC2:TIDIG_COMP_CNT: 0
; COMPUTE_PGM_RSRC3_GFX90A:ACCUM_OFFSET: 15
; COMPUTE_PGM_RSRC3_GFX90A:TG_SPLIT: 0
	.section	.text._ZN7rocprim17ROCPRIM_400000_NS6detail17trampoline_kernelINS0_13select_configILj256ELj13ELNS0_17block_load_methodE3ELS4_3ELS4_3ELNS0_20block_scan_algorithmE0ELj4294967295EEENS1_25partition_config_selectorILNS1_17partition_subalgoE3EjNS0_10empty_typeEbEEZZNS1_14partition_implILS8_3ELb0ES6_jNS0_17counting_iteratorIjlEEPS9_SE_NS0_5tupleIJPjSE_EEENSF_IJSE_SE_EEES9_SG_JZNS1_25segmented_radix_sort_implINS0_14default_configELb1EPKlPlSM_SN_N2at6native12_GLOBAL__N_18offset_tEEE10hipError_tPvRmT1_PNSt15iterator_traitsISV_E10value_typeET2_T3_PNSW_IS11_E10value_typeET4_jRbjT5_S17_jjP12ihipStream_tbEUljE_EEESS_ST_SU_S11_S15_S17_T6_T7_T9_mT8_S19_bDpT10_ENKUlT_T0_E_clISt17integral_constantIbLb1EES1L_IbLb0EEEEDaS1H_S1I_EUlS1H_E_NS1_11comp_targetILNS1_3genE3ELNS1_11target_archE908ELNS1_3gpuE7ELNS1_3repE0EEENS1_30default_config_static_selectorELNS0_4arch9wavefront6targetE1EEEvSV_,"axG",@progbits,_ZN7rocprim17ROCPRIM_400000_NS6detail17trampoline_kernelINS0_13select_configILj256ELj13ELNS0_17block_load_methodE3ELS4_3ELS4_3ELNS0_20block_scan_algorithmE0ELj4294967295EEENS1_25partition_config_selectorILNS1_17partition_subalgoE3EjNS0_10empty_typeEbEEZZNS1_14partition_implILS8_3ELb0ES6_jNS0_17counting_iteratorIjlEEPS9_SE_NS0_5tupleIJPjSE_EEENSF_IJSE_SE_EEES9_SG_JZNS1_25segmented_radix_sort_implINS0_14default_configELb1EPKlPlSM_SN_N2at6native12_GLOBAL__N_18offset_tEEE10hipError_tPvRmT1_PNSt15iterator_traitsISV_E10value_typeET2_T3_PNSW_IS11_E10value_typeET4_jRbjT5_S17_jjP12ihipStream_tbEUljE_EEESS_ST_SU_S11_S15_S17_T6_T7_T9_mT8_S19_bDpT10_ENKUlT_T0_E_clISt17integral_constantIbLb1EES1L_IbLb0EEEEDaS1H_S1I_EUlS1H_E_NS1_11comp_targetILNS1_3genE3ELNS1_11target_archE908ELNS1_3gpuE7ELNS1_3repE0EEENS1_30default_config_static_selectorELNS0_4arch9wavefront6targetE1EEEvSV_,comdat
	.globl	_ZN7rocprim17ROCPRIM_400000_NS6detail17trampoline_kernelINS0_13select_configILj256ELj13ELNS0_17block_load_methodE3ELS4_3ELS4_3ELNS0_20block_scan_algorithmE0ELj4294967295EEENS1_25partition_config_selectorILNS1_17partition_subalgoE3EjNS0_10empty_typeEbEEZZNS1_14partition_implILS8_3ELb0ES6_jNS0_17counting_iteratorIjlEEPS9_SE_NS0_5tupleIJPjSE_EEENSF_IJSE_SE_EEES9_SG_JZNS1_25segmented_radix_sort_implINS0_14default_configELb1EPKlPlSM_SN_N2at6native12_GLOBAL__N_18offset_tEEE10hipError_tPvRmT1_PNSt15iterator_traitsISV_E10value_typeET2_T3_PNSW_IS11_E10value_typeET4_jRbjT5_S17_jjP12ihipStream_tbEUljE_EEESS_ST_SU_S11_S15_S17_T6_T7_T9_mT8_S19_bDpT10_ENKUlT_T0_E_clISt17integral_constantIbLb1EES1L_IbLb0EEEEDaS1H_S1I_EUlS1H_E_NS1_11comp_targetILNS1_3genE3ELNS1_11target_archE908ELNS1_3gpuE7ELNS1_3repE0EEENS1_30default_config_static_selectorELNS0_4arch9wavefront6targetE1EEEvSV_ ; -- Begin function _ZN7rocprim17ROCPRIM_400000_NS6detail17trampoline_kernelINS0_13select_configILj256ELj13ELNS0_17block_load_methodE3ELS4_3ELS4_3ELNS0_20block_scan_algorithmE0ELj4294967295EEENS1_25partition_config_selectorILNS1_17partition_subalgoE3EjNS0_10empty_typeEbEEZZNS1_14partition_implILS8_3ELb0ES6_jNS0_17counting_iteratorIjlEEPS9_SE_NS0_5tupleIJPjSE_EEENSF_IJSE_SE_EEES9_SG_JZNS1_25segmented_radix_sort_implINS0_14default_configELb1EPKlPlSM_SN_N2at6native12_GLOBAL__N_18offset_tEEE10hipError_tPvRmT1_PNSt15iterator_traitsISV_E10value_typeET2_T3_PNSW_IS11_E10value_typeET4_jRbjT5_S17_jjP12ihipStream_tbEUljE_EEESS_ST_SU_S11_S15_S17_T6_T7_T9_mT8_S19_bDpT10_ENKUlT_T0_E_clISt17integral_constantIbLb1EES1L_IbLb0EEEEDaS1H_S1I_EUlS1H_E_NS1_11comp_targetILNS1_3genE3ELNS1_11target_archE908ELNS1_3gpuE7ELNS1_3repE0EEENS1_30default_config_static_selectorELNS0_4arch9wavefront6targetE1EEEvSV_
	.p2align	8
	.type	_ZN7rocprim17ROCPRIM_400000_NS6detail17trampoline_kernelINS0_13select_configILj256ELj13ELNS0_17block_load_methodE3ELS4_3ELS4_3ELNS0_20block_scan_algorithmE0ELj4294967295EEENS1_25partition_config_selectorILNS1_17partition_subalgoE3EjNS0_10empty_typeEbEEZZNS1_14partition_implILS8_3ELb0ES6_jNS0_17counting_iteratorIjlEEPS9_SE_NS0_5tupleIJPjSE_EEENSF_IJSE_SE_EEES9_SG_JZNS1_25segmented_radix_sort_implINS0_14default_configELb1EPKlPlSM_SN_N2at6native12_GLOBAL__N_18offset_tEEE10hipError_tPvRmT1_PNSt15iterator_traitsISV_E10value_typeET2_T3_PNSW_IS11_E10value_typeET4_jRbjT5_S17_jjP12ihipStream_tbEUljE_EEESS_ST_SU_S11_S15_S17_T6_T7_T9_mT8_S19_bDpT10_ENKUlT_T0_E_clISt17integral_constantIbLb1EES1L_IbLb0EEEEDaS1H_S1I_EUlS1H_E_NS1_11comp_targetILNS1_3genE3ELNS1_11target_archE908ELNS1_3gpuE7ELNS1_3repE0EEENS1_30default_config_static_selectorELNS0_4arch9wavefront6targetE1EEEvSV_,@function
_ZN7rocprim17ROCPRIM_400000_NS6detail17trampoline_kernelINS0_13select_configILj256ELj13ELNS0_17block_load_methodE3ELS4_3ELS4_3ELNS0_20block_scan_algorithmE0ELj4294967295EEENS1_25partition_config_selectorILNS1_17partition_subalgoE3EjNS0_10empty_typeEbEEZZNS1_14partition_implILS8_3ELb0ES6_jNS0_17counting_iteratorIjlEEPS9_SE_NS0_5tupleIJPjSE_EEENSF_IJSE_SE_EEES9_SG_JZNS1_25segmented_radix_sort_implINS0_14default_configELb1EPKlPlSM_SN_N2at6native12_GLOBAL__N_18offset_tEEE10hipError_tPvRmT1_PNSt15iterator_traitsISV_E10value_typeET2_T3_PNSW_IS11_E10value_typeET4_jRbjT5_S17_jjP12ihipStream_tbEUljE_EEESS_ST_SU_S11_S15_S17_T6_T7_T9_mT8_S19_bDpT10_ENKUlT_T0_E_clISt17integral_constantIbLb1EES1L_IbLb0EEEEDaS1H_S1I_EUlS1H_E_NS1_11comp_targetILNS1_3genE3ELNS1_11target_archE908ELNS1_3gpuE7ELNS1_3repE0EEENS1_30default_config_static_selectorELNS0_4arch9wavefront6targetE1EEEvSV_: ; @_ZN7rocprim17ROCPRIM_400000_NS6detail17trampoline_kernelINS0_13select_configILj256ELj13ELNS0_17block_load_methodE3ELS4_3ELS4_3ELNS0_20block_scan_algorithmE0ELj4294967295EEENS1_25partition_config_selectorILNS1_17partition_subalgoE3EjNS0_10empty_typeEbEEZZNS1_14partition_implILS8_3ELb0ES6_jNS0_17counting_iteratorIjlEEPS9_SE_NS0_5tupleIJPjSE_EEENSF_IJSE_SE_EEES9_SG_JZNS1_25segmented_radix_sort_implINS0_14default_configELb1EPKlPlSM_SN_N2at6native12_GLOBAL__N_18offset_tEEE10hipError_tPvRmT1_PNSt15iterator_traitsISV_E10value_typeET2_T3_PNSW_IS11_E10value_typeET4_jRbjT5_S17_jjP12ihipStream_tbEUljE_EEESS_ST_SU_S11_S15_S17_T6_T7_T9_mT8_S19_bDpT10_ENKUlT_T0_E_clISt17integral_constantIbLb1EES1L_IbLb0EEEEDaS1H_S1I_EUlS1H_E_NS1_11comp_targetILNS1_3genE3ELNS1_11target_archE908ELNS1_3gpuE7ELNS1_3repE0EEENS1_30default_config_static_selectorELNS0_4arch9wavefront6targetE1EEEvSV_
; %bb.0:
	.section	.rodata,"a",@progbits
	.p2align	6, 0x0
	.amdhsa_kernel _ZN7rocprim17ROCPRIM_400000_NS6detail17trampoline_kernelINS0_13select_configILj256ELj13ELNS0_17block_load_methodE3ELS4_3ELS4_3ELNS0_20block_scan_algorithmE0ELj4294967295EEENS1_25partition_config_selectorILNS1_17partition_subalgoE3EjNS0_10empty_typeEbEEZZNS1_14partition_implILS8_3ELb0ES6_jNS0_17counting_iteratorIjlEEPS9_SE_NS0_5tupleIJPjSE_EEENSF_IJSE_SE_EEES9_SG_JZNS1_25segmented_radix_sort_implINS0_14default_configELb1EPKlPlSM_SN_N2at6native12_GLOBAL__N_18offset_tEEE10hipError_tPvRmT1_PNSt15iterator_traitsISV_E10value_typeET2_T3_PNSW_IS11_E10value_typeET4_jRbjT5_S17_jjP12ihipStream_tbEUljE_EEESS_ST_SU_S11_S15_S17_T6_T7_T9_mT8_S19_bDpT10_ENKUlT_T0_E_clISt17integral_constantIbLb1EES1L_IbLb0EEEEDaS1H_S1I_EUlS1H_E_NS1_11comp_targetILNS1_3genE3ELNS1_11target_archE908ELNS1_3gpuE7ELNS1_3repE0EEENS1_30default_config_static_selectorELNS0_4arch9wavefront6targetE1EEEvSV_
		.amdhsa_group_segment_fixed_size 0
		.amdhsa_private_segment_fixed_size 0
		.amdhsa_kernarg_size 144
		.amdhsa_user_sgpr_count 6
		.amdhsa_user_sgpr_private_segment_buffer 1
		.amdhsa_user_sgpr_dispatch_ptr 0
		.amdhsa_user_sgpr_queue_ptr 0
		.amdhsa_user_sgpr_kernarg_segment_ptr 1
		.amdhsa_user_sgpr_dispatch_id 0
		.amdhsa_user_sgpr_flat_scratch_init 0
		.amdhsa_user_sgpr_kernarg_preload_length 0
		.amdhsa_user_sgpr_kernarg_preload_offset 0
		.amdhsa_user_sgpr_private_segment_size 0
		.amdhsa_uses_dynamic_stack 0
		.amdhsa_system_sgpr_private_segment_wavefront_offset 0
		.amdhsa_system_sgpr_workgroup_id_x 1
		.amdhsa_system_sgpr_workgroup_id_y 0
		.amdhsa_system_sgpr_workgroup_id_z 0
		.amdhsa_system_sgpr_workgroup_info 0
		.amdhsa_system_vgpr_workitem_id 0
		.amdhsa_next_free_vgpr 1
		.amdhsa_next_free_sgpr 0
		.amdhsa_accum_offset 4
		.amdhsa_reserve_vcc 0
		.amdhsa_reserve_flat_scratch 0
		.amdhsa_float_round_mode_32 0
		.amdhsa_float_round_mode_16_64 0
		.amdhsa_float_denorm_mode_32 3
		.amdhsa_float_denorm_mode_16_64 3
		.amdhsa_dx10_clamp 1
		.amdhsa_ieee_mode 1
		.amdhsa_fp16_overflow 0
		.amdhsa_tg_split 0
		.amdhsa_exception_fp_ieee_invalid_op 0
		.amdhsa_exception_fp_denorm_src 0
		.amdhsa_exception_fp_ieee_div_zero 0
		.amdhsa_exception_fp_ieee_overflow 0
		.amdhsa_exception_fp_ieee_underflow 0
		.amdhsa_exception_fp_ieee_inexact 0
		.amdhsa_exception_int_div_zero 0
	.end_amdhsa_kernel
	.section	.text._ZN7rocprim17ROCPRIM_400000_NS6detail17trampoline_kernelINS0_13select_configILj256ELj13ELNS0_17block_load_methodE3ELS4_3ELS4_3ELNS0_20block_scan_algorithmE0ELj4294967295EEENS1_25partition_config_selectorILNS1_17partition_subalgoE3EjNS0_10empty_typeEbEEZZNS1_14partition_implILS8_3ELb0ES6_jNS0_17counting_iteratorIjlEEPS9_SE_NS0_5tupleIJPjSE_EEENSF_IJSE_SE_EEES9_SG_JZNS1_25segmented_radix_sort_implINS0_14default_configELb1EPKlPlSM_SN_N2at6native12_GLOBAL__N_18offset_tEEE10hipError_tPvRmT1_PNSt15iterator_traitsISV_E10value_typeET2_T3_PNSW_IS11_E10value_typeET4_jRbjT5_S17_jjP12ihipStream_tbEUljE_EEESS_ST_SU_S11_S15_S17_T6_T7_T9_mT8_S19_bDpT10_ENKUlT_T0_E_clISt17integral_constantIbLb1EES1L_IbLb0EEEEDaS1H_S1I_EUlS1H_E_NS1_11comp_targetILNS1_3genE3ELNS1_11target_archE908ELNS1_3gpuE7ELNS1_3repE0EEENS1_30default_config_static_selectorELNS0_4arch9wavefront6targetE1EEEvSV_,"axG",@progbits,_ZN7rocprim17ROCPRIM_400000_NS6detail17trampoline_kernelINS0_13select_configILj256ELj13ELNS0_17block_load_methodE3ELS4_3ELS4_3ELNS0_20block_scan_algorithmE0ELj4294967295EEENS1_25partition_config_selectorILNS1_17partition_subalgoE3EjNS0_10empty_typeEbEEZZNS1_14partition_implILS8_3ELb0ES6_jNS0_17counting_iteratorIjlEEPS9_SE_NS0_5tupleIJPjSE_EEENSF_IJSE_SE_EEES9_SG_JZNS1_25segmented_radix_sort_implINS0_14default_configELb1EPKlPlSM_SN_N2at6native12_GLOBAL__N_18offset_tEEE10hipError_tPvRmT1_PNSt15iterator_traitsISV_E10value_typeET2_T3_PNSW_IS11_E10value_typeET4_jRbjT5_S17_jjP12ihipStream_tbEUljE_EEESS_ST_SU_S11_S15_S17_T6_T7_T9_mT8_S19_bDpT10_ENKUlT_T0_E_clISt17integral_constantIbLb1EES1L_IbLb0EEEEDaS1H_S1I_EUlS1H_E_NS1_11comp_targetILNS1_3genE3ELNS1_11target_archE908ELNS1_3gpuE7ELNS1_3repE0EEENS1_30default_config_static_selectorELNS0_4arch9wavefront6targetE1EEEvSV_,comdat
.Lfunc_end691:
	.size	_ZN7rocprim17ROCPRIM_400000_NS6detail17trampoline_kernelINS0_13select_configILj256ELj13ELNS0_17block_load_methodE3ELS4_3ELS4_3ELNS0_20block_scan_algorithmE0ELj4294967295EEENS1_25partition_config_selectorILNS1_17partition_subalgoE3EjNS0_10empty_typeEbEEZZNS1_14partition_implILS8_3ELb0ES6_jNS0_17counting_iteratorIjlEEPS9_SE_NS0_5tupleIJPjSE_EEENSF_IJSE_SE_EEES9_SG_JZNS1_25segmented_radix_sort_implINS0_14default_configELb1EPKlPlSM_SN_N2at6native12_GLOBAL__N_18offset_tEEE10hipError_tPvRmT1_PNSt15iterator_traitsISV_E10value_typeET2_T3_PNSW_IS11_E10value_typeET4_jRbjT5_S17_jjP12ihipStream_tbEUljE_EEESS_ST_SU_S11_S15_S17_T6_T7_T9_mT8_S19_bDpT10_ENKUlT_T0_E_clISt17integral_constantIbLb1EES1L_IbLb0EEEEDaS1H_S1I_EUlS1H_E_NS1_11comp_targetILNS1_3genE3ELNS1_11target_archE908ELNS1_3gpuE7ELNS1_3repE0EEENS1_30default_config_static_selectorELNS0_4arch9wavefront6targetE1EEEvSV_, .Lfunc_end691-_ZN7rocprim17ROCPRIM_400000_NS6detail17trampoline_kernelINS0_13select_configILj256ELj13ELNS0_17block_load_methodE3ELS4_3ELS4_3ELNS0_20block_scan_algorithmE0ELj4294967295EEENS1_25partition_config_selectorILNS1_17partition_subalgoE3EjNS0_10empty_typeEbEEZZNS1_14partition_implILS8_3ELb0ES6_jNS0_17counting_iteratorIjlEEPS9_SE_NS0_5tupleIJPjSE_EEENSF_IJSE_SE_EEES9_SG_JZNS1_25segmented_radix_sort_implINS0_14default_configELb1EPKlPlSM_SN_N2at6native12_GLOBAL__N_18offset_tEEE10hipError_tPvRmT1_PNSt15iterator_traitsISV_E10value_typeET2_T3_PNSW_IS11_E10value_typeET4_jRbjT5_S17_jjP12ihipStream_tbEUljE_EEESS_ST_SU_S11_S15_S17_T6_T7_T9_mT8_S19_bDpT10_ENKUlT_T0_E_clISt17integral_constantIbLb1EES1L_IbLb0EEEEDaS1H_S1I_EUlS1H_E_NS1_11comp_targetILNS1_3genE3ELNS1_11target_archE908ELNS1_3gpuE7ELNS1_3repE0EEENS1_30default_config_static_selectorELNS0_4arch9wavefront6targetE1EEEvSV_
                                        ; -- End function
	.section	.AMDGPU.csdata,"",@progbits
; Kernel info:
; codeLenInByte = 0
; NumSgprs: 4
; NumVgprs: 0
; NumAgprs: 0
; TotalNumVgprs: 0
; ScratchSize: 0
; MemoryBound: 0
; FloatMode: 240
; IeeeMode: 1
; LDSByteSize: 0 bytes/workgroup (compile time only)
; SGPRBlocks: 0
; VGPRBlocks: 0
; NumSGPRsForWavesPerEU: 4
; NumVGPRsForWavesPerEU: 1
; AccumOffset: 4
; Occupancy: 8
; WaveLimiterHint : 0
; COMPUTE_PGM_RSRC2:SCRATCH_EN: 0
; COMPUTE_PGM_RSRC2:USER_SGPR: 6
; COMPUTE_PGM_RSRC2:TRAP_HANDLER: 0
; COMPUTE_PGM_RSRC2:TGID_X_EN: 1
; COMPUTE_PGM_RSRC2:TGID_Y_EN: 0
; COMPUTE_PGM_RSRC2:TGID_Z_EN: 0
; COMPUTE_PGM_RSRC2:TIDIG_COMP_CNT: 0
; COMPUTE_PGM_RSRC3_GFX90A:ACCUM_OFFSET: 0
; COMPUTE_PGM_RSRC3_GFX90A:TG_SPLIT: 0
	.section	.text._ZN7rocprim17ROCPRIM_400000_NS6detail17trampoline_kernelINS0_13select_configILj256ELj13ELNS0_17block_load_methodE3ELS4_3ELS4_3ELNS0_20block_scan_algorithmE0ELj4294967295EEENS1_25partition_config_selectorILNS1_17partition_subalgoE3EjNS0_10empty_typeEbEEZZNS1_14partition_implILS8_3ELb0ES6_jNS0_17counting_iteratorIjlEEPS9_SE_NS0_5tupleIJPjSE_EEENSF_IJSE_SE_EEES9_SG_JZNS1_25segmented_radix_sort_implINS0_14default_configELb1EPKlPlSM_SN_N2at6native12_GLOBAL__N_18offset_tEEE10hipError_tPvRmT1_PNSt15iterator_traitsISV_E10value_typeET2_T3_PNSW_IS11_E10value_typeET4_jRbjT5_S17_jjP12ihipStream_tbEUljE_EEESS_ST_SU_S11_S15_S17_T6_T7_T9_mT8_S19_bDpT10_ENKUlT_T0_E_clISt17integral_constantIbLb1EES1L_IbLb0EEEEDaS1H_S1I_EUlS1H_E_NS1_11comp_targetILNS1_3genE2ELNS1_11target_archE906ELNS1_3gpuE6ELNS1_3repE0EEENS1_30default_config_static_selectorELNS0_4arch9wavefront6targetE1EEEvSV_,"axG",@progbits,_ZN7rocprim17ROCPRIM_400000_NS6detail17trampoline_kernelINS0_13select_configILj256ELj13ELNS0_17block_load_methodE3ELS4_3ELS4_3ELNS0_20block_scan_algorithmE0ELj4294967295EEENS1_25partition_config_selectorILNS1_17partition_subalgoE3EjNS0_10empty_typeEbEEZZNS1_14partition_implILS8_3ELb0ES6_jNS0_17counting_iteratorIjlEEPS9_SE_NS0_5tupleIJPjSE_EEENSF_IJSE_SE_EEES9_SG_JZNS1_25segmented_radix_sort_implINS0_14default_configELb1EPKlPlSM_SN_N2at6native12_GLOBAL__N_18offset_tEEE10hipError_tPvRmT1_PNSt15iterator_traitsISV_E10value_typeET2_T3_PNSW_IS11_E10value_typeET4_jRbjT5_S17_jjP12ihipStream_tbEUljE_EEESS_ST_SU_S11_S15_S17_T6_T7_T9_mT8_S19_bDpT10_ENKUlT_T0_E_clISt17integral_constantIbLb1EES1L_IbLb0EEEEDaS1H_S1I_EUlS1H_E_NS1_11comp_targetILNS1_3genE2ELNS1_11target_archE906ELNS1_3gpuE6ELNS1_3repE0EEENS1_30default_config_static_selectorELNS0_4arch9wavefront6targetE1EEEvSV_,comdat
	.globl	_ZN7rocprim17ROCPRIM_400000_NS6detail17trampoline_kernelINS0_13select_configILj256ELj13ELNS0_17block_load_methodE3ELS4_3ELS4_3ELNS0_20block_scan_algorithmE0ELj4294967295EEENS1_25partition_config_selectorILNS1_17partition_subalgoE3EjNS0_10empty_typeEbEEZZNS1_14partition_implILS8_3ELb0ES6_jNS0_17counting_iteratorIjlEEPS9_SE_NS0_5tupleIJPjSE_EEENSF_IJSE_SE_EEES9_SG_JZNS1_25segmented_radix_sort_implINS0_14default_configELb1EPKlPlSM_SN_N2at6native12_GLOBAL__N_18offset_tEEE10hipError_tPvRmT1_PNSt15iterator_traitsISV_E10value_typeET2_T3_PNSW_IS11_E10value_typeET4_jRbjT5_S17_jjP12ihipStream_tbEUljE_EEESS_ST_SU_S11_S15_S17_T6_T7_T9_mT8_S19_bDpT10_ENKUlT_T0_E_clISt17integral_constantIbLb1EES1L_IbLb0EEEEDaS1H_S1I_EUlS1H_E_NS1_11comp_targetILNS1_3genE2ELNS1_11target_archE906ELNS1_3gpuE6ELNS1_3repE0EEENS1_30default_config_static_selectorELNS0_4arch9wavefront6targetE1EEEvSV_ ; -- Begin function _ZN7rocprim17ROCPRIM_400000_NS6detail17trampoline_kernelINS0_13select_configILj256ELj13ELNS0_17block_load_methodE3ELS4_3ELS4_3ELNS0_20block_scan_algorithmE0ELj4294967295EEENS1_25partition_config_selectorILNS1_17partition_subalgoE3EjNS0_10empty_typeEbEEZZNS1_14partition_implILS8_3ELb0ES6_jNS0_17counting_iteratorIjlEEPS9_SE_NS0_5tupleIJPjSE_EEENSF_IJSE_SE_EEES9_SG_JZNS1_25segmented_radix_sort_implINS0_14default_configELb1EPKlPlSM_SN_N2at6native12_GLOBAL__N_18offset_tEEE10hipError_tPvRmT1_PNSt15iterator_traitsISV_E10value_typeET2_T3_PNSW_IS11_E10value_typeET4_jRbjT5_S17_jjP12ihipStream_tbEUljE_EEESS_ST_SU_S11_S15_S17_T6_T7_T9_mT8_S19_bDpT10_ENKUlT_T0_E_clISt17integral_constantIbLb1EES1L_IbLb0EEEEDaS1H_S1I_EUlS1H_E_NS1_11comp_targetILNS1_3genE2ELNS1_11target_archE906ELNS1_3gpuE6ELNS1_3repE0EEENS1_30default_config_static_selectorELNS0_4arch9wavefront6targetE1EEEvSV_
	.p2align	8
	.type	_ZN7rocprim17ROCPRIM_400000_NS6detail17trampoline_kernelINS0_13select_configILj256ELj13ELNS0_17block_load_methodE3ELS4_3ELS4_3ELNS0_20block_scan_algorithmE0ELj4294967295EEENS1_25partition_config_selectorILNS1_17partition_subalgoE3EjNS0_10empty_typeEbEEZZNS1_14partition_implILS8_3ELb0ES6_jNS0_17counting_iteratorIjlEEPS9_SE_NS0_5tupleIJPjSE_EEENSF_IJSE_SE_EEES9_SG_JZNS1_25segmented_radix_sort_implINS0_14default_configELb1EPKlPlSM_SN_N2at6native12_GLOBAL__N_18offset_tEEE10hipError_tPvRmT1_PNSt15iterator_traitsISV_E10value_typeET2_T3_PNSW_IS11_E10value_typeET4_jRbjT5_S17_jjP12ihipStream_tbEUljE_EEESS_ST_SU_S11_S15_S17_T6_T7_T9_mT8_S19_bDpT10_ENKUlT_T0_E_clISt17integral_constantIbLb1EES1L_IbLb0EEEEDaS1H_S1I_EUlS1H_E_NS1_11comp_targetILNS1_3genE2ELNS1_11target_archE906ELNS1_3gpuE6ELNS1_3repE0EEENS1_30default_config_static_selectorELNS0_4arch9wavefront6targetE1EEEvSV_,@function
_ZN7rocprim17ROCPRIM_400000_NS6detail17trampoline_kernelINS0_13select_configILj256ELj13ELNS0_17block_load_methodE3ELS4_3ELS4_3ELNS0_20block_scan_algorithmE0ELj4294967295EEENS1_25partition_config_selectorILNS1_17partition_subalgoE3EjNS0_10empty_typeEbEEZZNS1_14partition_implILS8_3ELb0ES6_jNS0_17counting_iteratorIjlEEPS9_SE_NS0_5tupleIJPjSE_EEENSF_IJSE_SE_EEES9_SG_JZNS1_25segmented_radix_sort_implINS0_14default_configELb1EPKlPlSM_SN_N2at6native12_GLOBAL__N_18offset_tEEE10hipError_tPvRmT1_PNSt15iterator_traitsISV_E10value_typeET2_T3_PNSW_IS11_E10value_typeET4_jRbjT5_S17_jjP12ihipStream_tbEUljE_EEESS_ST_SU_S11_S15_S17_T6_T7_T9_mT8_S19_bDpT10_ENKUlT_T0_E_clISt17integral_constantIbLb1EES1L_IbLb0EEEEDaS1H_S1I_EUlS1H_E_NS1_11comp_targetILNS1_3genE2ELNS1_11target_archE906ELNS1_3gpuE6ELNS1_3repE0EEENS1_30default_config_static_selectorELNS0_4arch9wavefront6targetE1EEEvSV_: ; @_ZN7rocprim17ROCPRIM_400000_NS6detail17trampoline_kernelINS0_13select_configILj256ELj13ELNS0_17block_load_methodE3ELS4_3ELS4_3ELNS0_20block_scan_algorithmE0ELj4294967295EEENS1_25partition_config_selectorILNS1_17partition_subalgoE3EjNS0_10empty_typeEbEEZZNS1_14partition_implILS8_3ELb0ES6_jNS0_17counting_iteratorIjlEEPS9_SE_NS0_5tupleIJPjSE_EEENSF_IJSE_SE_EEES9_SG_JZNS1_25segmented_radix_sort_implINS0_14default_configELb1EPKlPlSM_SN_N2at6native12_GLOBAL__N_18offset_tEEE10hipError_tPvRmT1_PNSt15iterator_traitsISV_E10value_typeET2_T3_PNSW_IS11_E10value_typeET4_jRbjT5_S17_jjP12ihipStream_tbEUljE_EEESS_ST_SU_S11_S15_S17_T6_T7_T9_mT8_S19_bDpT10_ENKUlT_T0_E_clISt17integral_constantIbLb1EES1L_IbLb0EEEEDaS1H_S1I_EUlS1H_E_NS1_11comp_targetILNS1_3genE2ELNS1_11target_archE906ELNS1_3gpuE6ELNS1_3repE0EEENS1_30default_config_static_selectorELNS0_4arch9wavefront6targetE1EEEvSV_
; %bb.0:
	.section	.rodata,"a",@progbits
	.p2align	6, 0x0
	.amdhsa_kernel _ZN7rocprim17ROCPRIM_400000_NS6detail17trampoline_kernelINS0_13select_configILj256ELj13ELNS0_17block_load_methodE3ELS4_3ELS4_3ELNS0_20block_scan_algorithmE0ELj4294967295EEENS1_25partition_config_selectorILNS1_17partition_subalgoE3EjNS0_10empty_typeEbEEZZNS1_14partition_implILS8_3ELb0ES6_jNS0_17counting_iteratorIjlEEPS9_SE_NS0_5tupleIJPjSE_EEENSF_IJSE_SE_EEES9_SG_JZNS1_25segmented_radix_sort_implINS0_14default_configELb1EPKlPlSM_SN_N2at6native12_GLOBAL__N_18offset_tEEE10hipError_tPvRmT1_PNSt15iterator_traitsISV_E10value_typeET2_T3_PNSW_IS11_E10value_typeET4_jRbjT5_S17_jjP12ihipStream_tbEUljE_EEESS_ST_SU_S11_S15_S17_T6_T7_T9_mT8_S19_bDpT10_ENKUlT_T0_E_clISt17integral_constantIbLb1EES1L_IbLb0EEEEDaS1H_S1I_EUlS1H_E_NS1_11comp_targetILNS1_3genE2ELNS1_11target_archE906ELNS1_3gpuE6ELNS1_3repE0EEENS1_30default_config_static_selectorELNS0_4arch9wavefront6targetE1EEEvSV_
		.amdhsa_group_segment_fixed_size 0
		.amdhsa_private_segment_fixed_size 0
		.amdhsa_kernarg_size 144
		.amdhsa_user_sgpr_count 6
		.amdhsa_user_sgpr_private_segment_buffer 1
		.amdhsa_user_sgpr_dispatch_ptr 0
		.amdhsa_user_sgpr_queue_ptr 0
		.amdhsa_user_sgpr_kernarg_segment_ptr 1
		.amdhsa_user_sgpr_dispatch_id 0
		.amdhsa_user_sgpr_flat_scratch_init 0
		.amdhsa_user_sgpr_kernarg_preload_length 0
		.amdhsa_user_sgpr_kernarg_preload_offset 0
		.amdhsa_user_sgpr_private_segment_size 0
		.amdhsa_uses_dynamic_stack 0
		.amdhsa_system_sgpr_private_segment_wavefront_offset 0
		.amdhsa_system_sgpr_workgroup_id_x 1
		.amdhsa_system_sgpr_workgroup_id_y 0
		.amdhsa_system_sgpr_workgroup_id_z 0
		.amdhsa_system_sgpr_workgroup_info 0
		.amdhsa_system_vgpr_workitem_id 0
		.amdhsa_next_free_vgpr 1
		.amdhsa_next_free_sgpr 0
		.amdhsa_accum_offset 4
		.amdhsa_reserve_vcc 0
		.amdhsa_reserve_flat_scratch 0
		.amdhsa_float_round_mode_32 0
		.amdhsa_float_round_mode_16_64 0
		.amdhsa_float_denorm_mode_32 3
		.amdhsa_float_denorm_mode_16_64 3
		.amdhsa_dx10_clamp 1
		.amdhsa_ieee_mode 1
		.amdhsa_fp16_overflow 0
		.amdhsa_tg_split 0
		.amdhsa_exception_fp_ieee_invalid_op 0
		.amdhsa_exception_fp_denorm_src 0
		.amdhsa_exception_fp_ieee_div_zero 0
		.amdhsa_exception_fp_ieee_overflow 0
		.amdhsa_exception_fp_ieee_underflow 0
		.amdhsa_exception_fp_ieee_inexact 0
		.amdhsa_exception_int_div_zero 0
	.end_amdhsa_kernel
	.section	.text._ZN7rocprim17ROCPRIM_400000_NS6detail17trampoline_kernelINS0_13select_configILj256ELj13ELNS0_17block_load_methodE3ELS4_3ELS4_3ELNS0_20block_scan_algorithmE0ELj4294967295EEENS1_25partition_config_selectorILNS1_17partition_subalgoE3EjNS0_10empty_typeEbEEZZNS1_14partition_implILS8_3ELb0ES6_jNS0_17counting_iteratorIjlEEPS9_SE_NS0_5tupleIJPjSE_EEENSF_IJSE_SE_EEES9_SG_JZNS1_25segmented_radix_sort_implINS0_14default_configELb1EPKlPlSM_SN_N2at6native12_GLOBAL__N_18offset_tEEE10hipError_tPvRmT1_PNSt15iterator_traitsISV_E10value_typeET2_T3_PNSW_IS11_E10value_typeET4_jRbjT5_S17_jjP12ihipStream_tbEUljE_EEESS_ST_SU_S11_S15_S17_T6_T7_T9_mT8_S19_bDpT10_ENKUlT_T0_E_clISt17integral_constantIbLb1EES1L_IbLb0EEEEDaS1H_S1I_EUlS1H_E_NS1_11comp_targetILNS1_3genE2ELNS1_11target_archE906ELNS1_3gpuE6ELNS1_3repE0EEENS1_30default_config_static_selectorELNS0_4arch9wavefront6targetE1EEEvSV_,"axG",@progbits,_ZN7rocprim17ROCPRIM_400000_NS6detail17trampoline_kernelINS0_13select_configILj256ELj13ELNS0_17block_load_methodE3ELS4_3ELS4_3ELNS0_20block_scan_algorithmE0ELj4294967295EEENS1_25partition_config_selectorILNS1_17partition_subalgoE3EjNS0_10empty_typeEbEEZZNS1_14partition_implILS8_3ELb0ES6_jNS0_17counting_iteratorIjlEEPS9_SE_NS0_5tupleIJPjSE_EEENSF_IJSE_SE_EEES9_SG_JZNS1_25segmented_radix_sort_implINS0_14default_configELb1EPKlPlSM_SN_N2at6native12_GLOBAL__N_18offset_tEEE10hipError_tPvRmT1_PNSt15iterator_traitsISV_E10value_typeET2_T3_PNSW_IS11_E10value_typeET4_jRbjT5_S17_jjP12ihipStream_tbEUljE_EEESS_ST_SU_S11_S15_S17_T6_T7_T9_mT8_S19_bDpT10_ENKUlT_T0_E_clISt17integral_constantIbLb1EES1L_IbLb0EEEEDaS1H_S1I_EUlS1H_E_NS1_11comp_targetILNS1_3genE2ELNS1_11target_archE906ELNS1_3gpuE6ELNS1_3repE0EEENS1_30default_config_static_selectorELNS0_4arch9wavefront6targetE1EEEvSV_,comdat
.Lfunc_end692:
	.size	_ZN7rocprim17ROCPRIM_400000_NS6detail17trampoline_kernelINS0_13select_configILj256ELj13ELNS0_17block_load_methodE3ELS4_3ELS4_3ELNS0_20block_scan_algorithmE0ELj4294967295EEENS1_25partition_config_selectorILNS1_17partition_subalgoE3EjNS0_10empty_typeEbEEZZNS1_14partition_implILS8_3ELb0ES6_jNS0_17counting_iteratorIjlEEPS9_SE_NS0_5tupleIJPjSE_EEENSF_IJSE_SE_EEES9_SG_JZNS1_25segmented_radix_sort_implINS0_14default_configELb1EPKlPlSM_SN_N2at6native12_GLOBAL__N_18offset_tEEE10hipError_tPvRmT1_PNSt15iterator_traitsISV_E10value_typeET2_T3_PNSW_IS11_E10value_typeET4_jRbjT5_S17_jjP12ihipStream_tbEUljE_EEESS_ST_SU_S11_S15_S17_T6_T7_T9_mT8_S19_bDpT10_ENKUlT_T0_E_clISt17integral_constantIbLb1EES1L_IbLb0EEEEDaS1H_S1I_EUlS1H_E_NS1_11comp_targetILNS1_3genE2ELNS1_11target_archE906ELNS1_3gpuE6ELNS1_3repE0EEENS1_30default_config_static_selectorELNS0_4arch9wavefront6targetE1EEEvSV_, .Lfunc_end692-_ZN7rocprim17ROCPRIM_400000_NS6detail17trampoline_kernelINS0_13select_configILj256ELj13ELNS0_17block_load_methodE3ELS4_3ELS4_3ELNS0_20block_scan_algorithmE0ELj4294967295EEENS1_25partition_config_selectorILNS1_17partition_subalgoE3EjNS0_10empty_typeEbEEZZNS1_14partition_implILS8_3ELb0ES6_jNS0_17counting_iteratorIjlEEPS9_SE_NS0_5tupleIJPjSE_EEENSF_IJSE_SE_EEES9_SG_JZNS1_25segmented_radix_sort_implINS0_14default_configELb1EPKlPlSM_SN_N2at6native12_GLOBAL__N_18offset_tEEE10hipError_tPvRmT1_PNSt15iterator_traitsISV_E10value_typeET2_T3_PNSW_IS11_E10value_typeET4_jRbjT5_S17_jjP12ihipStream_tbEUljE_EEESS_ST_SU_S11_S15_S17_T6_T7_T9_mT8_S19_bDpT10_ENKUlT_T0_E_clISt17integral_constantIbLb1EES1L_IbLb0EEEEDaS1H_S1I_EUlS1H_E_NS1_11comp_targetILNS1_3genE2ELNS1_11target_archE906ELNS1_3gpuE6ELNS1_3repE0EEENS1_30default_config_static_selectorELNS0_4arch9wavefront6targetE1EEEvSV_
                                        ; -- End function
	.section	.AMDGPU.csdata,"",@progbits
; Kernel info:
; codeLenInByte = 0
; NumSgprs: 4
; NumVgprs: 0
; NumAgprs: 0
; TotalNumVgprs: 0
; ScratchSize: 0
; MemoryBound: 0
; FloatMode: 240
; IeeeMode: 1
; LDSByteSize: 0 bytes/workgroup (compile time only)
; SGPRBlocks: 0
; VGPRBlocks: 0
; NumSGPRsForWavesPerEU: 4
; NumVGPRsForWavesPerEU: 1
; AccumOffset: 4
; Occupancy: 8
; WaveLimiterHint : 0
; COMPUTE_PGM_RSRC2:SCRATCH_EN: 0
; COMPUTE_PGM_RSRC2:USER_SGPR: 6
; COMPUTE_PGM_RSRC2:TRAP_HANDLER: 0
; COMPUTE_PGM_RSRC2:TGID_X_EN: 1
; COMPUTE_PGM_RSRC2:TGID_Y_EN: 0
; COMPUTE_PGM_RSRC2:TGID_Z_EN: 0
; COMPUTE_PGM_RSRC2:TIDIG_COMP_CNT: 0
; COMPUTE_PGM_RSRC3_GFX90A:ACCUM_OFFSET: 0
; COMPUTE_PGM_RSRC3_GFX90A:TG_SPLIT: 0
	.section	.text._ZN7rocprim17ROCPRIM_400000_NS6detail17trampoline_kernelINS0_13select_configILj256ELj13ELNS0_17block_load_methodE3ELS4_3ELS4_3ELNS0_20block_scan_algorithmE0ELj4294967295EEENS1_25partition_config_selectorILNS1_17partition_subalgoE3EjNS0_10empty_typeEbEEZZNS1_14partition_implILS8_3ELb0ES6_jNS0_17counting_iteratorIjlEEPS9_SE_NS0_5tupleIJPjSE_EEENSF_IJSE_SE_EEES9_SG_JZNS1_25segmented_radix_sort_implINS0_14default_configELb1EPKlPlSM_SN_N2at6native12_GLOBAL__N_18offset_tEEE10hipError_tPvRmT1_PNSt15iterator_traitsISV_E10value_typeET2_T3_PNSW_IS11_E10value_typeET4_jRbjT5_S17_jjP12ihipStream_tbEUljE_EEESS_ST_SU_S11_S15_S17_T6_T7_T9_mT8_S19_bDpT10_ENKUlT_T0_E_clISt17integral_constantIbLb1EES1L_IbLb0EEEEDaS1H_S1I_EUlS1H_E_NS1_11comp_targetILNS1_3genE10ELNS1_11target_archE1200ELNS1_3gpuE4ELNS1_3repE0EEENS1_30default_config_static_selectorELNS0_4arch9wavefront6targetE1EEEvSV_,"axG",@progbits,_ZN7rocprim17ROCPRIM_400000_NS6detail17trampoline_kernelINS0_13select_configILj256ELj13ELNS0_17block_load_methodE3ELS4_3ELS4_3ELNS0_20block_scan_algorithmE0ELj4294967295EEENS1_25partition_config_selectorILNS1_17partition_subalgoE3EjNS0_10empty_typeEbEEZZNS1_14partition_implILS8_3ELb0ES6_jNS0_17counting_iteratorIjlEEPS9_SE_NS0_5tupleIJPjSE_EEENSF_IJSE_SE_EEES9_SG_JZNS1_25segmented_radix_sort_implINS0_14default_configELb1EPKlPlSM_SN_N2at6native12_GLOBAL__N_18offset_tEEE10hipError_tPvRmT1_PNSt15iterator_traitsISV_E10value_typeET2_T3_PNSW_IS11_E10value_typeET4_jRbjT5_S17_jjP12ihipStream_tbEUljE_EEESS_ST_SU_S11_S15_S17_T6_T7_T9_mT8_S19_bDpT10_ENKUlT_T0_E_clISt17integral_constantIbLb1EES1L_IbLb0EEEEDaS1H_S1I_EUlS1H_E_NS1_11comp_targetILNS1_3genE10ELNS1_11target_archE1200ELNS1_3gpuE4ELNS1_3repE0EEENS1_30default_config_static_selectorELNS0_4arch9wavefront6targetE1EEEvSV_,comdat
	.globl	_ZN7rocprim17ROCPRIM_400000_NS6detail17trampoline_kernelINS0_13select_configILj256ELj13ELNS0_17block_load_methodE3ELS4_3ELS4_3ELNS0_20block_scan_algorithmE0ELj4294967295EEENS1_25partition_config_selectorILNS1_17partition_subalgoE3EjNS0_10empty_typeEbEEZZNS1_14partition_implILS8_3ELb0ES6_jNS0_17counting_iteratorIjlEEPS9_SE_NS0_5tupleIJPjSE_EEENSF_IJSE_SE_EEES9_SG_JZNS1_25segmented_radix_sort_implINS0_14default_configELb1EPKlPlSM_SN_N2at6native12_GLOBAL__N_18offset_tEEE10hipError_tPvRmT1_PNSt15iterator_traitsISV_E10value_typeET2_T3_PNSW_IS11_E10value_typeET4_jRbjT5_S17_jjP12ihipStream_tbEUljE_EEESS_ST_SU_S11_S15_S17_T6_T7_T9_mT8_S19_bDpT10_ENKUlT_T0_E_clISt17integral_constantIbLb1EES1L_IbLb0EEEEDaS1H_S1I_EUlS1H_E_NS1_11comp_targetILNS1_3genE10ELNS1_11target_archE1200ELNS1_3gpuE4ELNS1_3repE0EEENS1_30default_config_static_selectorELNS0_4arch9wavefront6targetE1EEEvSV_ ; -- Begin function _ZN7rocprim17ROCPRIM_400000_NS6detail17trampoline_kernelINS0_13select_configILj256ELj13ELNS0_17block_load_methodE3ELS4_3ELS4_3ELNS0_20block_scan_algorithmE0ELj4294967295EEENS1_25partition_config_selectorILNS1_17partition_subalgoE3EjNS0_10empty_typeEbEEZZNS1_14partition_implILS8_3ELb0ES6_jNS0_17counting_iteratorIjlEEPS9_SE_NS0_5tupleIJPjSE_EEENSF_IJSE_SE_EEES9_SG_JZNS1_25segmented_radix_sort_implINS0_14default_configELb1EPKlPlSM_SN_N2at6native12_GLOBAL__N_18offset_tEEE10hipError_tPvRmT1_PNSt15iterator_traitsISV_E10value_typeET2_T3_PNSW_IS11_E10value_typeET4_jRbjT5_S17_jjP12ihipStream_tbEUljE_EEESS_ST_SU_S11_S15_S17_T6_T7_T9_mT8_S19_bDpT10_ENKUlT_T0_E_clISt17integral_constantIbLb1EES1L_IbLb0EEEEDaS1H_S1I_EUlS1H_E_NS1_11comp_targetILNS1_3genE10ELNS1_11target_archE1200ELNS1_3gpuE4ELNS1_3repE0EEENS1_30default_config_static_selectorELNS0_4arch9wavefront6targetE1EEEvSV_
	.p2align	8
	.type	_ZN7rocprim17ROCPRIM_400000_NS6detail17trampoline_kernelINS0_13select_configILj256ELj13ELNS0_17block_load_methodE3ELS4_3ELS4_3ELNS0_20block_scan_algorithmE0ELj4294967295EEENS1_25partition_config_selectorILNS1_17partition_subalgoE3EjNS0_10empty_typeEbEEZZNS1_14partition_implILS8_3ELb0ES6_jNS0_17counting_iteratorIjlEEPS9_SE_NS0_5tupleIJPjSE_EEENSF_IJSE_SE_EEES9_SG_JZNS1_25segmented_radix_sort_implINS0_14default_configELb1EPKlPlSM_SN_N2at6native12_GLOBAL__N_18offset_tEEE10hipError_tPvRmT1_PNSt15iterator_traitsISV_E10value_typeET2_T3_PNSW_IS11_E10value_typeET4_jRbjT5_S17_jjP12ihipStream_tbEUljE_EEESS_ST_SU_S11_S15_S17_T6_T7_T9_mT8_S19_bDpT10_ENKUlT_T0_E_clISt17integral_constantIbLb1EES1L_IbLb0EEEEDaS1H_S1I_EUlS1H_E_NS1_11comp_targetILNS1_3genE10ELNS1_11target_archE1200ELNS1_3gpuE4ELNS1_3repE0EEENS1_30default_config_static_selectorELNS0_4arch9wavefront6targetE1EEEvSV_,@function
_ZN7rocprim17ROCPRIM_400000_NS6detail17trampoline_kernelINS0_13select_configILj256ELj13ELNS0_17block_load_methodE3ELS4_3ELS4_3ELNS0_20block_scan_algorithmE0ELj4294967295EEENS1_25partition_config_selectorILNS1_17partition_subalgoE3EjNS0_10empty_typeEbEEZZNS1_14partition_implILS8_3ELb0ES6_jNS0_17counting_iteratorIjlEEPS9_SE_NS0_5tupleIJPjSE_EEENSF_IJSE_SE_EEES9_SG_JZNS1_25segmented_radix_sort_implINS0_14default_configELb1EPKlPlSM_SN_N2at6native12_GLOBAL__N_18offset_tEEE10hipError_tPvRmT1_PNSt15iterator_traitsISV_E10value_typeET2_T3_PNSW_IS11_E10value_typeET4_jRbjT5_S17_jjP12ihipStream_tbEUljE_EEESS_ST_SU_S11_S15_S17_T6_T7_T9_mT8_S19_bDpT10_ENKUlT_T0_E_clISt17integral_constantIbLb1EES1L_IbLb0EEEEDaS1H_S1I_EUlS1H_E_NS1_11comp_targetILNS1_3genE10ELNS1_11target_archE1200ELNS1_3gpuE4ELNS1_3repE0EEENS1_30default_config_static_selectorELNS0_4arch9wavefront6targetE1EEEvSV_: ; @_ZN7rocprim17ROCPRIM_400000_NS6detail17trampoline_kernelINS0_13select_configILj256ELj13ELNS0_17block_load_methodE3ELS4_3ELS4_3ELNS0_20block_scan_algorithmE0ELj4294967295EEENS1_25partition_config_selectorILNS1_17partition_subalgoE3EjNS0_10empty_typeEbEEZZNS1_14partition_implILS8_3ELb0ES6_jNS0_17counting_iteratorIjlEEPS9_SE_NS0_5tupleIJPjSE_EEENSF_IJSE_SE_EEES9_SG_JZNS1_25segmented_radix_sort_implINS0_14default_configELb1EPKlPlSM_SN_N2at6native12_GLOBAL__N_18offset_tEEE10hipError_tPvRmT1_PNSt15iterator_traitsISV_E10value_typeET2_T3_PNSW_IS11_E10value_typeET4_jRbjT5_S17_jjP12ihipStream_tbEUljE_EEESS_ST_SU_S11_S15_S17_T6_T7_T9_mT8_S19_bDpT10_ENKUlT_T0_E_clISt17integral_constantIbLb1EES1L_IbLb0EEEEDaS1H_S1I_EUlS1H_E_NS1_11comp_targetILNS1_3genE10ELNS1_11target_archE1200ELNS1_3gpuE4ELNS1_3repE0EEENS1_30default_config_static_selectorELNS0_4arch9wavefront6targetE1EEEvSV_
; %bb.0:
	.section	.rodata,"a",@progbits
	.p2align	6, 0x0
	.amdhsa_kernel _ZN7rocprim17ROCPRIM_400000_NS6detail17trampoline_kernelINS0_13select_configILj256ELj13ELNS0_17block_load_methodE3ELS4_3ELS4_3ELNS0_20block_scan_algorithmE0ELj4294967295EEENS1_25partition_config_selectorILNS1_17partition_subalgoE3EjNS0_10empty_typeEbEEZZNS1_14partition_implILS8_3ELb0ES6_jNS0_17counting_iteratorIjlEEPS9_SE_NS0_5tupleIJPjSE_EEENSF_IJSE_SE_EEES9_SG_JZNS1_25segmented_radix_sort_implINS0_14default_configELb1EPKlPlSM_SN_N2at6native12_GLOBAL__N_18offset_tEEE10hipError_tPvRmT1_PNSt15iterator_traitsISV_E10value_typeET2_T3_PNSW_IS11_E10value_typeET4_jRbjT5_S17_jjP12ihipStream_tbEUljE_EEESS_ST_SU_S11_S15_S17_T6_T7_T9_mT8_S19_bDpT10_ENKUlT_T0_E_clISt17integral_constantIbLb1EES1L_IbLb0EEEEDaS1H_S1I_EUlS1H_E_NS1_11comp_targetILNS1_3genE10ELNS1_11target_archE1200ELNS1_3gpuE4ELNS1_3repE0EEENS1_30default_config_static_selectorELNS0_4arch9wavefront6targetE1EEEvSV_
		.amdhsa_group_segment_fixed_size 0
		.amdhsa_private_segment_fixed_size 0
		.amdhsa_kernarg_size 144
		.amdhsa_user_sgpr_count 6
		.amdhsa_user_sgpr_private_segment_buffer 1
		.amdhsa_user_sgpr_dispatch_ptr 0
		.amdhsa_user_sgpr_queue_ptr 0
		.amdhsa_user_sgpr_kernarg_segment_ptr 1
		.amdhsa_user_sgpr_dispatch_id 0
		.amdhsa_user_sgpr_flat_scratch_init 0
		.amdhsa_user_sgpr_kernarg_preload_length 0
		.amdhsa_user_sgpr_kernarg_preload_offset 0
		.amdhsa_user_sgpr_private_segment_size 0
		.amdhsa_uses_dynamic_stack 0
		.amdhsa_system_sgpr_private_segment_wavefront_offset 0
		.amdhsa_system_sgpr_workgroup_id_x 1
		.amdhsa_system_sgpr_workgroup_id_y 0
		.amdhsa_system_sgpr_workgroup_id_z 0
		.amdhsa_system_sgpr_workgroup_info 0
		.amdhsa_system_vgpr_workitem_id 0
		.amdhsa_next_free_vgpr 1
		.amdhsa_next_free_sgpr 0
		.amdhsa_accum_offset 4
		.amdhsa_reserve_vcc 0
		.amdhsa_reserve_flat_scratch 0
		.amdhsa_float_round_mode_32 0
		.amdhsa_float_round_mode_16_64 0
		.amdhsa_float_denorm_mode_32 3
		.amdhsa_float_denorm_mode_16_64 3
		.amdhsa_dx10_clamp 1
		.amdhsa_ieee_mode 1
		.amdhsa_fp16_overflow 0
		.amdhsa_tg_split 0
		.amdhsa_exception_fp_ieee_invalid_op 0
		.amdhsa_exception_fp_denorm_src 0
		.amdhsa_exception_fp_ieee_div_zero 0
		.amdhsa_exception_fp_ieee_overflow 0
		.amdhsa_exception_fp_ieee_underflow 0
		.amdhsa_exception_fp_ieee_inexact 0
		.amdhsa_exception_int_div_zero 0
	.end_amdhsa_kernel
	.section	.text._ZN7rocprim17ROCPRIM_400000_NS6detail17trampoline_kernelINS0_13select_configILj256ELj13ELNS0_17block_load_methodE3ELS4_3ELS4_3ELNS0_20block_scan_algorithmE0ELj4294967295EEENS1_25partition_config_selectorILNS1_17partition_subalgoE3EjNS0_10empty_typeEbEEZZNS1_14partition_implILS8_3ELb0ES6_jNS0_17counting_iteratorIjlEEPS9_SE_NS0_5tupleIJPjSE_EEENSF_IJSE_SE_EEES9_SG_JZNS1_25segmented_radix_sort_implINS0_14default_configELb1EPKlPlSM_SN_N2at6native12_GLOBAL__N_18offset_tEEE10hipError_tPvRmT1_PNSt15iterator_traitsISV_E10value_typeET2_T3_PNSW_IS11_E10value_typeET4_jRbjT5_S17_jjP12ihipStream_tbEUljE_EEESS_ST_SU_S11_S15_S17_T6_T7_T9_mT8_S19_bDpT10_ENKUlT_T0_E_clISt17integral_constantIbLb1EES1L_IbLb0EEEEDaS1H_S1I_EUlS1H_E_NS1_11comp_targetILNS1_3genE10ELNS1_11target_archE1200ELNS1_3gpuE4ELNS1_3repE0EEENS1_30default_config_static_selectorELNS0_4arch9wavefront6targetE1EEEvSV_,"axG",@progbits,_ZN7rocprim17ROCPRIM_400000_NS6detail17trampoline_kernelINS0_13select_configILj256ELj13ELNS0_17block_load_methodE3ELS4_3ELS4_3ELNS0_20block_scan_algorithmE0ELj4294967295EEENS1_25partition_config_selectorILNS1_17partition_subalgoE3EjNS0_10empty_typeEbEEZZNS1_14partition_implILS8_3ELb0ES6_jNS0_17counting_iteratorIjlEEPS9_SE_NS0_5tupleIJPjSE_EEENSF_IJSE_SE_EEES9_SG_JZNS1_25segmented_radix_sort_implINS0_14default_configELb1EPKlPlSM_SN_N2at6native12_GLOBAL__N_18offset_tEEE10hipError_tPvRmT1_PNSt15iterator_traitsISV_E10value_typeET2_T3_PNSW_IS11_E10value_typeET4_jRbjT5_S17_jjP12ihipStream_tbEUljE_EEESS_ST_SU_S11_S15_S17_T6_T7_T9_mT8_S19_bDpT10_ENKUlT_T0_E_clISt17integral_constantIbLb1EES1L_IbLb0EEEEDaS1H_S1I_EUlS1H_E_NS1_11comp_targetILNS1_3genE10ELNS1_11target_archE1200ELNS1_3gpuE4ELNS1_3repE0EEENS1_30default_config_static_selectorELNS0_4arch9wavefront6targetE1EEEvSV_,comdat
.Lfunc_end693:
	.size	_ZN7rocprim17ROCPRIM_400000_NS6detail17trampoline_kernelINS0_13select_configILj256ELj13ELNS0_17block_load_methodE3ELS4_3ELS4_3ELNS0_20block_scan_algorithmE0ELj4294967295EEENS1_25partition_config_selectorILNS1_17partition_subalgoE3EjNS0_10empty_typeEbEEZZNS1_14partition_implILS8_3ELb0ES6_jNS0_17counting_iteratorIjlEEPS9_SE_NS0_5tupleIJPjSE_EEENSF_IJSE_SE_EEES9_SG_JZNS1_25segmented_radix_sort_implINS0_14default_configELb1EPKlPlSM_SN_N2at6native12_GLOBAL__N_18offset_tEEE10hipError_tPvRmT1_PNSt15iterator_traitsISV_E10value_typeET2_T3_PNSW_IS11_E10value_typeET4_jRbjT5_S17_jjP12ihipStream_tbEUljE_EEESS_ST_SU_S11_S15_S17_T6_T7_T9_mT8_S19_bDpT10_ENKUlT_T0_E_clISt17integral_constantIbLb1EES1L_IbLb0EEEEDaS1H_S1I_EUlS1H_E_NS1_11comp_targetILNS1_3genE10ELNS1_11target_archE1200ELNS1_3gpuE4ELNS1_3repE0EEENS1_30default_config_static_selectorELNS0_4arch9wavefront6targetE1EEEvSV_, .Lfunc_end693-_ZN7rocprim17ROCPRIM_400000_NS6detail17trampoline_kernelINS0_13select_configILj256ELj13ELNS0_17block_load_methodE3ELS4_3ELS4_3ELNS0_20block_scan_algorithmE0ELj4294967295EEENS1_25partition_config_selectorILNS1_17partition_subalgoE3EjNS0_10empty_typeEbEEZZNS1_14partition_implILS8_3ELb0ES6_jNS0_17counting_iteratorIjlEEPS9_SE_NS0_5tupleIJPjSE_EEENSF_IJSE_SE_EEES9_SG_JZNS1_25segmented_radix_sort_implINS0_14default_configELb1EPKlPlSM_SN_N2at6native12_GLOBAL__N_18offset_tEEE10hipError_tPvRmT1_PNSt15iterator_traitsISV_E10value_typeET2_T3_PNSW_IS11_E10value_typeET4_jRbjT5_S17_jjP12ihipStream_tbEUljE_EEESS_ST_SU_S11_S15_S17_T6_T7_T9_mT8_S19_bDpT10_ENKUlT_T0_E_clISt17integral_constantIbLb1EES1L_IbLb0EEEEDaS1H_S1I_EUlS1H_E_NS1_11comp_targetILNS1_3genE10ELNS1_11target_archE1200ELNS1_3gpuE4ELNS1_3repE0EEENS1_30default_config_static_selectorELNS0_4arch9wavefront6targetE1EEEvSV_
                                        ; -- End function
	.section	.AMDGPU.csdata,"",@progbits
; Kernel info:
; codeLenInByte = 0
; NumSgprs: 4
; NumVgprs: 0
; NumAgprs: 0
; TotalNumVgprs: 0
; ScratchSize: 0
; MemoryBound: 0
; FloatMode: 240
; IeeeMode: 1
; LDSByteSize: 0 bytes/workgroup (compile time only)
; SGPRBlocks: 0
; VGPRBlocks: 0
; NumSGPRsForWavesPerEU: 4
; NumVGPRsForWavesPerEU: 1
; AccumOffset: 4
; Occupancy: 8
; WaveLimiterHint : 0
; COMPUTE_PGM_RSRC2:SCRATCH_EN: 0
; COMPUTE_PGM_RSRC2:USER_SGPR: 6
; COMPUTE_PGM_RSRC2:TRAP_HANDLER: 0
; COMPUTE_PGM_RSRC2:TGID_X_EN: 1
; COMPUTE_PGM_RSRC2:TGID_Y_EN: 0
; COMPUTE_PGM_RSRC2:TGID_Z_EN: 0
; COMPUTE_PGM_RSRC2:TIDIG_COMP_CNT: 0
; COMPUTE_PGM_RSRC3_GFX90A:ACCUM_OFFSET: 0
; COMPUTE_PGM_RSRC3_GFX90A:TG_SPLIT: 0
	.section	.text._ZN7rocprim17ROCPRIM_400000_NS6detail17trampoline_kernelINS0_13select_configILj256ELj13ELNS0_17block_load_methodE3ELS4_3ELS4_3ELNS0_20block_scan_algorithmE0ELj4294967295EEENS1_25partition_config_selectorILNS1_17partition_subalgoE3EjNS0_10empty_typeEbEEZZNS1_14partition_implILS8_3ELb0ES6_jNS0_17counting_iteratorIjlEEPS9_SE_NS0_5tupleIJPjSE_EEENSF_IJSE_SE_EEES9_SG_JZNS1_25segmented_radix_sort_implINS0_14default_configELb1EPKlPlSM_SN_N2at6native12_GLOBAL__N_18offset_tEEE10hipError_tPvRmT1_PNSt15iterator_traitsISV_E10value_typeET2_T3_PNSW_IS11_E10value_typeET4_jRbjT5_S17_jjP12ihipStream_tbEUljE_EEESS_ST_SU_S11_S15_S17_T6_T7_T9_mT8_S19_bDpT10_ENKUlT_T0_E_clISt17integral_constantIbLb1EES1L_IbLb0EEEEDaS1H_S1I_EUlS1H_E_NS1_11comp_targetILNS1_3genE9ELNS1_11target_archE1100ELNS1_3gpuE3ELNS1_3repE0EEENS1_30default_config_static_selectorELNS0_4arch9wavefront6targetE1EEEvSV_,"axG",@progbits,_ZN7rocprim17ROCPRIM_400000_NS6detail17trampoline_kernelINS0_13select_configILj256ELj13ELNS0_17block_load_methodE3ELS4_3ELS4_3ELNS0_20block_scan_algorithmE0ELj4294967295EEENS1_25partition_config_selectorILNS1_17partition_subalgoE3EjNS0_10empty_typeEbEEZZNS1_14partition_implILS8_3ELb0ES6_jNS0_17counting_iteratorIjlEEPS9_SE_NS0_5tupleIJPjSE_EEENSF_IJSE_SE_EEES9_SG_JZNS1_25segmented_radix_sort_implINS0_14default_configELb1EPKlPlSM_SN_N2at6native12_GLOBAL__N_18offset_tEEE10hipError_tPvRmT1_PNSt15iterator_traitsISV_E10value_typeET2_T3_PNSW_IS11_E10value_typeET4_jRbjT5_S17_jjP12ihipStream_tbEUljE_EEESS_ST_SU_S11_S15_S17_T6_T7_T9_mT8_S19_bDpT10_ENKUlT_T0_E_clISt17integral_constantIbLb1EES1L_IbLb0EEEEDaS1H_S1I_EUlS1H_E_NS1_11comp_targetILNS1_3genE9ELNS1_11target_archE1100ELNS1_3gpuE3ELNS1_3repE0EEENS1_30default_config_static_selectorELNS0_4arch9wavefront6targetE1EEEvSV_,comdat
	.globl	_ZN7rocprim17ROCPRIM_400000_NS6detail17trampoline_kernelINS0_13select_configILj256ELj13ELNS0_17block_load_methodE3ELS4_3ELS4_3ELNS0_20block_scan_algorithmE0ELj4294967295EEENS1_25partition_config_selectorILNS1_17partition_subalgoE3EjNS0_10empty_typeEbEEZZNS1_14partition_implILS8_3ELb0ES6_jNS0_17counting_iteratorIjlEEPS9_SE_NS0_5tupleIJPjSE_EEENSF_IJSE_SE_EEES9_SG_JZNS1_25segmented_radix_sort_implINS0_14default_configELb1EPKlPlSM_SN_N2at6native12_GLOBAL__N_18offset_tEEE10hipError_tPvRmT1_PNSt15iterator_traitsISV_E10value_typeET2_T3_PNSW_IS11_E10value_typeET4_jRbjT5_S17_jjP12ihipStream_tbEUljE_EEESS_ST_SU_S11_S15_S17_T6_T7_T9_mT8_S19_bDpT10_ENKUlT_T0_E_clISt17integral_constantIbLb1EES1L_IbLb0EEEEDaS1H_S1I_EUlS1H_E_NS1_11comp_targetILNS1_3genE9ELNS1_11target_archE1100ELNS1_3gpuE3ELNS1_3repE0EEENS1_30default_config_static_selectorELNS0_4arch9wavefront6targetE1EEEvSV_ ; -- Begin function _ZN7rocprim17ROCPRIM_400000_NS6detail17trampoline_kernelINS0_13select_configILj256ELj13ELNS0_17block_load_methodE3ELS4_3ELS4_3ELNS0_20block_scan_algorithmE0ELj4294967295EEENS1_25partition_config_selectorILNS1_17partition_subalgoE3EjNS0_10empty_typeEbEEZZNS1_14partition_implILS8_3ELb0ES6_jNS0_17counting_iteratorIjlEEPS9_SE_NS0_5tupleIJPjSE_EEENSF_IJSE_SE_EEES9_SG_JZNS1_25segmented_radix_sort_implINS0_14default_configELb1EPKlPlSM_SN_N2at6native12_GLOBAL__N_18offset_tEEE10hipError_tPvRmT1_PNSt15iterator_traitsISV_E10value_typeET2_T3_PNSW_IS11_E10value_typeET4_jRbjT5_S17_jjP12ihipStream_tbEUljE_EEESS_ST_SU_S11_S15_S17_T6_T7_T9_mT8_S19_bDpT10_ENKUlT_T0_E_clISt17integral_constantIbLb1EES1L_IbLb0EEEEDaS1H_S1I_EUlS1H_E_NS1_11comp_targetILNS1_3genE9ELNS1_11target_archE1100ELNS1_3gpuE3ELNS1_3repE0EEENS1_30default_config_static_selectorELNS0_4arch9wavefront6targetE1EEEvSV_
	.p2align	8
	.type	_ZN7rocprim17ROCPRIM_400000_NS6detail17trampoline_kernelINS0_13select_configILj256ELj13ELNS0_17block_load_methodE3ELS4_3ELS4_3ELNS0_20block_scan_algorithmE0ELj4294967295EEENS1_25partition_config_selectorILNS1_17partition_subalgoE3EjNS0_10empty_typeEbEEZZNS1_14partition_implILS8_3ELb0ES6_jNS0_17counting_iteratorIjlEEPS9_SE_NS0_5tupleIJPjSE_EEENSF_IJSE_SE_EEES9_SG_JZNS1_25segmented_radix_sort_implINS0_14default_configELb1EPKlPlSM_SN_N2at6native12_GLOBAL__N_18offset_tEEE10hipError_tPvRmT1_PNSt15iterator_traitsISV_E10value_typeET2_T3_PNSW_IS11_E10value_typeET4_jRbjT5_S17_jjP12ihipStream_tbEUljE_EEESS_ST_SU_S11_S15_S17_T6_T7_T9_mT8_S19_bDpT10_ENKUlT_T0_E_clISt17integral_constantIbLb1EES1L_IbLb0EEEEDaS1H_S1I_EUlS1H_E_NS1_11comp_targetILNS1_3genE9ELNS1_11target_archE1100ELNS1_3gpuE3ELNS1_3repE0EEENS1_30default_config_static_selectorELNS0_4arch9wavefront6targetE1EEEvSV_,@function
_ZN7rocprim17ROCPRIM_400000_NS6detail17trampoline_kernelINS0_13select_configILj256ELj13ELNS0_17block_load_methodE3ELS4_3ELS4_3ELNS0_20block_scan_algorithmE0ELj4294967295EEENS1_25partition_config_selectorILNS1_17partition_subalgoE3EjNS0_10empty_typeEbEEZZNS1_14partition_implILS8_3ELb0ES6_jNS0_17counting_iteratorIjlEEPS9_SE_NS0_5tupleIJPjSE_EEENSF_IJSE_SE_EEES9_SG_JZNS1_25segmented_radix_sort_implINS0_14default_configELb1EPKlPlSM_SN_N2at6native12_GLOBAL__N_18offset_tEEE10hipError_tPvRmT1_PNSt15iterator_traitsISV_E10value_typeET2_T3_PNSW_IS11_E10value_typeET4_jRbjT5_S17_jjP12ihipStream_tbEUljE_EEESS_ST_SU_S11_S15_S17_T6_T7_T9_mT8_S19_bDpT10_ENKUlT_T0_E_clISt17integral_constantIbLb1EES1L_IbLb0EEEEDaS1H_S1I_EUlS1H_E_NS1_11comp_targetILNS1_3genE9ELNS1_11target_archE1100ELNS1_3gpuE3ELNS1_3repE0EEENS1_30default_config_static_selectorELNS0_4arch9wavefront6targetE1EEEvSV_: ; @_ZN7rocprim17ROCPRIM_400000_NS6detail17trampoline_kernelINS0_13select_configILj256ELj13ELNS0_17block_load_methodE3ELS4_3ELS4_3ELNS0_20block_scan_algorithmE0ELj4294967295EEENS1_25partition_config_selectorILNS1_17partition_subalgoE3EjNS0_10empty_typeEbEEZZNS1_14partition_implILS8_3ELb0ES6_jNS0_17counting_iteratorIjlEEPS9_SE_NS0_5tupleIJPjSE_EEENSF_IJSE_SE_EEES9_SG_JZNS1_25segmented_radix_sort_implINS0_14default_configELb1EPKlPlSM_SN_N2at6native12_GLOBAL__N_18offset_tEEE10hipError_tPvRmT1_PNSt15iterator_traitsISV_E10value_typeET2_T3_PNSW_IS11_E10value_typeET4_jRbjT5_S17_jjP12ihipStream_tbEUljE_EEESS_ST_SU_S11_S15_S17_T6_T7_T9_mT8_S19_bDpT10_ENKUlT_T0_E_clISt17integral_constantIbLb1EES1L_IbLb0EEEEDaS1H_S1I_EUlS1H_E_NS1_11comp_targetILNS1_3genE9ELNS1_11target_archE1100ELNS1_3gpuE3ELNS1_3repE0EEENS1_30default_config_static_selectorELNS0_4arch9wavefront6targetE1EEEvSV_
; %bb.0:
	.section	.rodata,"a",@progbits
	.p2align	6, 0x0
	.amdhsa_kernel _ZN7rocprim17ROCPRIM_400000_NS6detail17trampoline_kernelINS0_13select_configILj256ELj13ELNS0_17block_load_methodE3ELS4_3ELS4_3ELNS0_20block_scan_algorithmE0ELj4294967295EEENS1_25partition_config_selectorILNS1_17partition_subalgoE3EjNS0_10empty_typeEbEEZZNS1_14partition_implILS8_3ELb0ES6_jNS0_17counting_iteratorIjlEEPS9_SE_NS0_5tupleIJPjSE_EEENSF_IJSE_SE_EEES9_SG_JZNS1_25segmented_radix_sort_implINS0_14default_configELb1EPKlPlSM_SN_N2at6native12_GLOBAL__N_18offset_tEEE10hipError_tPvRmT1_PNSt15iterator_traitsISV_E10value_typeET2_T3_PNSW_IS11_E10value_typeET4_jRbjT5_S17_jjP12ihipStream_tbEUljE_EEESS_ST_SU_S11_S15_S17_T6_T7_T9_mT8_S19_bDpT10_ENKUlT_T0_E_clISt17integral_constantIbLb1EES1L_IbLb0EEEEDaS1H_S1I_EUlS1H_E_NS1_11comp_targetILNS1_3genE9ELNS1_11target_archE1100ELNS1_3gpuE3ELNS1_3repE0EEENS1_30default_config_static_selectorELNS0_4arch9wavefront6targetE1EEEvSV_
		.amdhsa_group_segment_fixed_size 0
		.amdhsa_private_segment_fixed_size 0
		.amdhsa_kernarg_size 144
		.amdhsa_user_sgpr_count 6
		.amdhsa_user_sgpr_private_segment_buffer 1
		.amdhsa_user_sgpr_dispatch_ptr 0
		.amdhsa_user_sgpr_queue_ptr 0
		.amdhsa_user_sgpr_kernarg_segment_ptr 1
		.amdhsa_user_sgpr_dispatch_id 0
		.amdhsa_user_sgpr_flat_scratch_init 0
		.amdhsa_user_sgpr_kernarg_preload_length 0
		.amdhsa_user_sgpr_kernarg_preload_offset 0
		.amdhsa_user_sgpr_private_segment_size 0
		.amdhsa_uses_dynamic_stack 0
		.amdhsa_system_sgpr_private_segment_wavefront_offset 0
		.amdhsa_system_sgpr_workgroup_id_x 1
		.amdhsa_system_sgpr_workgroup_id_y 0
		.amdhsa_system_sgpr_workgroup_id_z 0
		.amdhsa_system_sgpr_workgroup_info 0
		.amdhsa_system_vgpr_workitem_id 0
		.amdhsa_next_free_vgpr 1
		.amdhsa_next_free_sgpr 0
		.amdhsa_accum_offset 4
		.amdhsa_reserve_vcc 0
		.amdhsa_reserve_flat_scratch 0
		.amdhsa_float_round_mode_32 0
		.amdhsa_float_round_mode_16_64 0
		.amdhsa_float_denorm_mode_32 3
		.amdhsa_float_denorm_mode_16_64 3
		.amdhsa_dx10_clamp 1
		.amdhsa_ieee_mode 1
		.amdhsa_fp16_overflow 0
		.amdhsa_tg_split 0
		.amdhsa_exception_fp_ieee_invalid_op 0
		.amdhsa_exception_fp_denorm_src 0
		.amdhsa_exception_fp_ieee_div_zero 0
		.amdhsa_exception_fp_ieee_overflow 0
		.amdhsa_exception_fp_ieee_underflow 0
		.amdhsa_exception_fp_ieee_inexact 0
		.amdhsa_exception_int_div_zero 0
	.end_amdhsa_kernel
	.section	.text._ZN7rocprim17ROCPRIM_400000_NS6detail17trampoline_kernelINS0_13select_configILj256ELj13ELNS0_17block_load_methodE3ELS4_3ELS4_3ELNS0_20block_scan_algorithmE0ELj4294967295EEENS1_25partition_config_selectorILNS1_17partition_subalgoE3EjNS0_10empty_typeEbEEZZNS1_14partition_implILS8_3ELb0ES6_jNS0_17counting_iteratorIjlEEPS9_SE_NS0_5tupleIJPjSE_EEENSF_IJSE_SE_EEES9_SG_JZNS1_25segmented_radix_sort_implINS0_14default_configELb1EPKlPlSM_SN_N2at6native12_GLOBAL__N_18offset_tEEE10hipError_tPvRmT1_PNSt15iterator_traitsISV_E10value_typeET2_T3_PNSW_IS11_E10value_typeET4_jRbjT5_S17_jjP12ihipStream_tbEUljE_EEESS_ST_SU_S11_S15_S17_T6_T7_T9_mT8_S19_bDpT10_ENKUlT_T0_E_clISt17integral_constantIbLb1EES1L_IbLb0EEEEDaS1H_S1I_EUlS1H_E_NS1_11comp_targetILNS1_3genE9ELNS1_11target_archE1100ELNS1_3gpuE3ELNS1_3repE0EEENS1_30default_config_static_selectorELNS0_4arch9wavefront6targetE1EEEvSV_,"axG",@progbits,_ZN7rocprim17ROCPRIM_400000_NS6detail17trampoline_kernelINS0_13select_configILj256ELj13ELNS0_17block_load_methodE3ELS4_3ELS4_3ELNS0_20block_scan_algorithmE0ELj4294967295EEENS1_25partition_config_selectorILNS1_17partition_subalgoE3EjNS0_10empty_typeEbEEZZNS1_14partition_implILS8_3ELb0ES6_jNS0_17counting_iteratorIjlEEPS9_SE_NS0_5tupleIJPjSE_EEENSF_IJSE_SE_EEES9_SG_JZNS1_25segmented_radix_sort_implINS0_14default_configELb1EPKlPlSM_SN_N2at6native12_GLOBAL__N_18offset_tEEE10hipError_tPvRmT1_PNSt15iterator_traitsISV_E10value_typeET2_T3_PNSW_IS11_E10value_typeET4_jRbjT5_S17_jjP12ihipStream_tbEUljE_EEESS_ST_SU_S11_S15_S17_T6_T7_T9_mT8_S19_bDpT10_ENKUlT_T0_E_clISt17integral_constantIbLb1EES1L_IbLb0EEEEDaS1H_S1I_EUlS1H_E_NS1_11comp_targetILNS1_3genE9ELNS1_11target_archE1100ELNS1_3gpuE3ELNS1_3repE0EEENS1_30default_config_static_selectorELNS0_4arch9wavefront6targetE1EEEvSV_,comdat
.Lfunc_end694:
	.size	_ZN7rocprim17ROCPRIM_400000_NS6detail17trampoline_kernelINS0_13select_configILj256ELj13ELNS0_17block_load_methodE3ELS4_3ELS4_3ELNS0_20block_scan_algorithmE0ELj4294967295EEENS1_25partition_config_selectorILNS1_17partition_subalgoE3EjNS0_10empty_typeEbEEZZNS1_14partition_implILS8_3ELb0ES6_jNS0_17counting_iteratorIjlEEPS9_SE_NS0_5tupleIJPjSE_EEENSF_IJSE_SE_EEES9_SG_JZNS1_25segmented_radix_sort_implINS0_14default_configELb1EPKlPlSM_SN_N2at6native12_GLOBAL__N_18offset_tEEE10hipError_tPvRmT1_PNSt15iterator_traitsISV_E10value_typeET2_T3_PNSW_IS11_E10value_typeET4_jRbjT5_S17_jjP12ihipStream_tbEUljE_EEESS_ST_SU_S11_S15_S17_T6_T7_T9_mT8_S19_bDpT10_ENKUlT_T0_E_clISt17integral_constantIbLb1EES1L_IbLb0EEEEDaS1H_S1I_EUlS1H_E_NS1_11comp_targetILNS1_3genE9ELNS1_11target_archE1100ELNS1_3gpuE3ELNS1_3repE0EEENS1_30default_config_static_selectorELNS0_4arch9wavefront6targetE1EEEvSV_, .Lfunc_end694-_ZN7rocprim17ROCPRIM_400000_NS6detail17trampoline_kernelINS0_13select_configILj256ELj13ELNS0_17block_load_methodE3ELS4_3ELS4_3ELNS0_20block_scan_algorithmE0ELj4294967295EEENS1_25partition_config_selectorILNS1_17partition_subalgoE3EjNS0_10empty_typeEbEEZZNS1_14partition_implILS8_3ELb0ES6_jNS0_17counting_iteratorIjlEEPS9_SE_NS0_5tupleIJPjSE_EEENSF_IJSE_SE_EEES9_SG_JZNS1_25segmented_radix_sort_implINS0_14default_configELb1EPKlPlSM_SN_N2at6native12_GLOBAL__N_18offset_tEEE10hipError_tPvRmT1_PNSt15iterator_traitsISV_E10value_typeET2_T3_PNSW_IS11_E10value_typeET4_jRbjT5_S17_jjP12ihipStream_tbEUljE_EEESS_ST_SU_S11_S15_S17_T6_T7_T9_mT8_S19_bDpT10_ENKUlT_T0_E_clISt17integral_constantIbLb1EES1L_IbLb0EEEEDaS1H_S1I_EUlS1H_E_NS1_11comp_targetILNS1_3genE9ELNS1_11target_archE1100ELNS1_3gpuE3ELNS1_3repE0EEENS1_30default_config_static_selectorELNS0_4arch9wavefront6targetE1EEEvSV_
                                        ; -- End function
	.section	.AMDGPU.csdata,"",@progbits
; Kernel info:
; codeLenInByte = 0
; NumSgprs: 4
; NumVgprs: 0
; NumAgprs: 0
; TotalNumVgprs: 0
; ScratchSize: 0
; MemoryBound: 0
; FloatMode: 240
; IeeeMode: 1
; LDSByteSize: 0 bytes/workgroup (compile time only)
; SGPRBlocks: 0
; VGPRBlocks: 0
; NumSGPRsForWavesPerEU: 4
; NumVGPRsForWavesPerEU: 1
; AccumOffset: 4
; Occupancy: 8
; WaveLimiterHint : 0
; COMPUTE_PGM_RSRC2:SCRATCH_EN: 0
; COMPUTE_PGM_RSRC2:USER_SGPR: 6
; COMPUTE_PGM_RSRC2:TRAP_HANDLER: 0
; COMPUTE_PGM_RSRC2:TGID_X_EN: 1
; COMPUTE_PGM_RSRC2:TGID_Y_EN: 0
; COMPUTE_PGM_RSRC2:TGID_Z_EN: 0
; COMPUTE_PGM_RSRC2:TIDIG_COMP_CNT: 0
; COMPUTE_PGM_RSRC3_GFX90A:ACCUM_OFFSET: 0
; COMPUTE_PGM_RSRC3_GFX90A:TG_SPLIT: 0
	.section	.text._ZN7rocprim17ROCPRIM_400000_NS6detail17trampoline_kernelINS0_13select_configILj256ELj13ELNS0_17block_load_methodE3ELS4_3ELS4_3ELNS0_20block_scan_algorithmE0ELj4294967295EEENS1_25partition_config_selectorILNS1_17partition_subalgoE3EjNS0_10empty_typeEbEEZZNS1_14partition_implILS8_3ELb0ES6_jNS0_17counting_iteratorIjlEEPS9_SE_NS0_5tupleIJPjSE_EEENSF_IJSE_SE_EEES9_SG_JZNS1_25segmented_radix_sort_implINS0_14default_configELb1EPKlPlSM_SN_N2at6native12_GLOBAL__N_18offset_tEEE10hipError_tPvRmT1_PNSt15iterator_traitsISV_E10value_typeET2_T3_PNSW_IS11_E10value_typeET4_jRbjT5_S17_jjP12ihipStream_tbEUljE_EEESS_ST_SU_S11_S15_S17_T6_T7_T9_mT8_S19_bDpT10_ENKUlT_T0_E_clISt17integral_constantIbLb1EES1L_IbLb0EEEEDaS1H_S1I_EUlS1H_E_NS1_11comp_targetILNS1_3genE8ELNS1_11target_archE1030ELNS1_3gpuE2ELNS1_3repE0EEENS1_30default_config_static_selectorELNS0_4arch9wavefront6targetE1EEEvSV_,"axG",@progbits,_ZN7rocprim17ROCPRIM_400000_NS6detail17trampoline_kernelINS0_13select_configILj256ELj13ELNS0_17block_load_methodE3ELS4_3ELS4_3ELNS0_20block_scan_algorithmE0ELj4294967295EEENS1_25partition_config_selectorILNS1_17partition_subalgoE3EjNS0_10empty_typeEbEEZZNS1_14partition_implILS8_3ELb0ES6_jNS0_17counting_iteratorIjlEEPS9_SE_NS0_5tupleIJPjSE_EEENSF_IJSE_SE_EEES9_SG_JZNS1_25segmented_radix_sort_implINS0_14default_configELb1EPKlPlSM_SN_N2at6native12_GLOBAL__N_18offset_tEEE10hipError_tPvRmT1_PNSt15iterator_traitsISV_E10value_typeET2_T3_PNSW_IS11_E10value_typeET4_jRbjT5_S17_jjP12ihipStream_tbEUljE_EEESS_ST_SU_S11_S15_S17_T6_T7_T9_mT8_S19_bDpT10_ENKUlT_T0_E_clISt17integral_constantIbLb1EES1L_IbLb0EEEEDaS1H_S1I_EUlS1H_E_NS1_11comp_targetILNS1_3genE8ELNS1_11target_archE1030ELNS1_3gpuE2ELNS1_3repE0EEENS1_30default_config_static_selectorELNS0_4arch9wavefront6targetE1EEEvSV_,comdat
	.globl	_ZN7rocprim17ROCPRIM_400000_NS6detail17trampoline_kernelINS0_13select_configILj256ELj13ELNS0_17block_load_methodE3ELS4_3ELS4_3ELNS0_20block_scan_algorithmE0ELj4294967295EEENS1_25partition_config_selectorILNS1_17partition_subalgoE3EjNS0_10empty_typeEbEEZZNS1_14partition_implILS8_3ELb0ES6_jNS0_17counting_iteratorIjlEEPS9_SE_NS0_5tupleIJPjSE_EEENSF_IJSE_SE_EEES9_SG_JZNS1_25segmented_radix_sort_implINS0_14default_configELb1EPKlPlSM_SN_N2at6native12_GLOBAL__N_18offset_tEEE10hipError_tPvRmT1_PNSt15iterator_traitsISV_E10value_typeET2_T3_PNSW_IS11_E10value_typeET4_jRbjT5_S17_jjP12ihipStream_tbEUljE_EEESS_ST_SU_S11_S15_S17_T6_T7_T9_mT8_S19_bDpT10_ENKUlT_T0_E_clISt17integral_constantIbLb1EES1L_IbLb0EEEEDaS1H_S1I_EUlS1H_E_NS1_11comp_targetILNS1_3genE8ELNS1_11target_archE1030ELNS1_3gpuE2ELNS1_3repE0EEENS1_30default_config_static_selectorELNS0_4arch9wavefront6targetE1EEEvSV_ ; -- Begin function _ZN7rocprim17ROCPRIM_400000_NS6detail17trampoline_kernelINS0_13select_configILj256ELj13ELNS0_17block_load_methodE3ELS4_3ELS4_3ELNS0_20block_scan_algorithmE0ELj4294967295EEENS1_25partition_config_selectorILNS1_17partition_subalgoE3EjNS0_10empty_typeEbEEZZNS1_14partition_implILS8_3ELb0ES6_jNS0_17counting_iteratorIjlEEPS9_SE_NS0_5tupleIJPjSE_EEENSF_IJSE_SE_EEES9_SG_JZNS1_25segmented_radix_sort_implINS0_14default_configELb1EPKlPlSM_SN_N2at6native12_GLOBAL__N_18offset_tEEE10hipError_tPvRmT1_PNSt15iterator_traitsISV_E10value_typeET2_T3_PNSW_IS11_E10value_typeET4_jRbjT5_S17_jjP12ihipStream_tbEUljE_EEESS_ST_SU_S11_S15_S17_T6_T7_T9_mT8_S19_bDpT10_ENKUlT_T0_E_clISt17integral_constantIbLb1EES1L_IbLb0EEEEDaS1H_S1I_EUlS1H_E_NS1_11comp_targetILNS1_3genE8ELNS1_11target_archE1030ELNS1_3gpuE2ELNS1_3repE0EEENS1_30default_config_static_selectorELNS0_4arch9wavefront6targetE1EEEvSV_
	.p2align	8
	.type	_ZN7rocprim17ROCPRIM_400000_NS6detail17trampoline_kernelINS0_13select_configILj256ELj13ELNS0_17block_load_methodE3ELS4_3ELS4_3ELNS0_20block_scan_algorithmE0ELj4294967295EEENS1_25partition_config_selectorILNS1_17partition_subalgoE3EjNS0_10empty_typeEbEEZZNS1_14partition_implILS8_3ELb0ES6_jNS0_17counting_iteratorIjlEEPS9_SE_NS0_5tupleIJPjSE_EEENSF_IJSE_SE_EEES9_SG_JZNS1_25segmented_radix_sort_implINS0_14default_configELb1EPKlPlSM_SN_N2at6native12_GLOBAL__N_18offset_tEEE10hipError_tPvRmT1_PNSt15iterator_traitsISV_E10value_typeET2_T3_PNSW_IS11_E10value_typeET4_jRbjT5_S17_jjP12ihipStream_tbEUljE_EEESS_ST_SU_S11_S15_S17_T6_T7_T9_mT8_S19_bDpT10_ENKUlT_T0_E_clISt17integral_constantIbLb1EES1L_IbLb0EEEEDaS1H_S1I_EUlS1H_E_NS1_11comp_targetILNS1_3genE8ELNS1_11target_archE1030ELNS1_3gpuE2ELNS1_3repE0EEENS1_30default_config_static_selectorELNS0_4arch9wavefront6targetE1EEEvSV_,@function
_ZN7rocprim17ROCPRIM_400000_NS6detail17trampoline_kernelINS0_13select_configILj256ELj13ELNS0_17block_load_methodE3ELS4_3ELS4_3ELNS0_20block_scan_algorithmE0ELj4294967295EEENS1_25partition_config_selectorILNS1_17partition_subalgoE3EjNS0_10empty_typeEbEEZZNS1_14partition_implILS8_3ELb0ES6_jNS0_17counting_iteratorIjlEEPS9_SE_NS0_5tupleIJPjSE_EEENSF_IJSE_SE_EEES9_SG_JZNS1_25segmented_radix_sort_implINS0_14default_configELb1EPKlPlSM_SN_N2at6native12_GLOBAL__N_18offset_tEEE10hipError_tPvRmT1_PNSt15iterator_traitsISV_E10value_typeET2_T3_PNSW_IS11_E10value_typeET4_jRbjT5_S17_jjP12ihipStream_tbEUljE_EEESS_ST_SU_S11_S15_S17_T6_T7_T9_mT8_S19_bDpT10_ENKUlT_T0_E_clISt17integral_constantIbLb1EES1L_IbLb0EEEEDaS1H_S1I_EUlS1H_E_NS1_11comp_targetILNS1_3genE8ELNS1_11target_archE1030ELNS1_3gpuE2ELNS1_3repE0EEENS1_30default_config_static_selectorELNS0_4arch9wavefront6targetE1EEEvSV_: ; @_ZN7rocprim17ROCPRIM_400000_NS6detail17trampoline_kernelINS0_13select_configILj256ELj13ELNS0_17block_load_methodE3ELS4_3ELS4_3ELNS0_20block_scan_algorithmE0ELj4294967295EEENS1_25partition_config_selectorILNS1_17partition_subalgoE3EjNS0_10empty_typeEbEEZZNS1_14partition_implILS8_3ELb0ES6_jNS0_17counting_iteratorIjlEEPS9_SE_NS0_5tupleIJPjSE_EEENSF_IJSE_SE_EEES9_SG_JZNS1_25segmented_radix_sort_implINS0_14default_configELb1EPKlPlSM_SN_N2at6native12_GLOBAL__N_18offset_tEEE10hipError_tPvRmT1_PNSt15iterator_traitsISV_E10value_typeET2_T3_PNSW_IS11_E10value_typeET4_jRbjT5_S17_jjP12ihipStream_tbEUljE_EEESS_ST_SU_S11_S15_S17_T6_T7_T9_mT8_S19_bDpT10_ENKUlT_T0_E_clISt17integral_constantIbLb1EES1L_IbLb0EEEEDaS1H_S1I_EUlS1H_E_NS1_11comp_targetILNS1_3genE8ELNS1_11target_archE1030ELNS1_3gpuE2ELNS1_3repE0EEENS1_30default_config_static_selectorELNS0_4arch9wavefront6targetE1EEEvSV_
; %bb.0:
	.section	.rodata,"a",@progbits
	.p2align	6, 0x0
	.amdhsa_kernel _ZN7rocprim17ROCPRIM_400000_NS6detail17trampoline_kernelINS0_13select_configILj256ELj13ELNS0_17block_load_methodE3ELS4_3ELS4_3ELNS0_20block_scan_algorithmE0ELj4294967295EEENS1_25partition_config_selectorILNS1_17partition_subalgoE3EjNS0_10empty_typeEbEEZZNS1_14partition_implILS8_3ELb0ES6_jNS0_17counting_iteratorIjlEEPS9_SE_NS0_5tupleIJPjSE_EEENSF_IJSE_SE_EEES9_SG_JZNS1_25segmented_radix_sort_implINS0_14default_configELb1EPKlPlSM_SN_N2at6native12_GLOBAL__N_18offset_tEEE10hipError_tPvRmT1_PNSt15iterator_traitsISV_E10value_typeET2_T3_PNSW_IS11_E10value_typeET4_jRbjT5_S17_jjP12ihipStream_tbEUljE_EEESS_ST_SU_S11_S15_S17_T6_T7_T9_mT8_S19_bDpT10_ENKUlT_T0_E_clISt17integral_constantIbLb1EES1L_IbLb0EEEEDaS1H_S1I_EUlS1H_E_NS1_11comp_targetILNS1_3genE8ELNS1_11target_archE1030ELNS1_3gpuE2ELNS1_3repE0EEENS1_30default_config_static_selectorELNS0_4arch9wavefront6targetE1EEEvSV_
		.amdhsa_group_segment_fixed_size 0
		.amdhsa_private_segment_fixed_size 0
		.amdhsa_kernarg_size 144
		.amdhsa_user_sgpr_count 6
		.amdhsa_user_sgpr_private_segment_buffer 1
		.amdhsa_user_sgpr_dispatch_ptr 0
		.amdhsa_user_sgpr_queue_ptr 0
		.amdhsa_user_sgpr_kernarg_segment_ptr 1
		.amdhsa_user_sgpr_dispatch_id 0
		.amdhsa_user_sgpr_flat_scratch_init 0
		.amdhsa_user_sgpr_kernarg_preload_length 0
		.amdhsa_user_sgpr_kernarg_preload_offset 0
		.amdhsa_user_sgpr_private_segment_size 0
		.amdhsa_uses_dynamic_stack 0
		.amdhsa_system_sgpr_private_segment_wavefront_offset 0
		.amdhsa_system_sgpr_workgroup_id_x 1
		.amdhsa_system_sgpr_workgroup_id_y 0
		.amdhsa_system_sgpr_workgroup_id_z 0
		.amdhsa_system_sgpr_workgroup_info 0
		.amdhsa_system_vgpr_workitem_id 0
		.amdhsa_next_free_vgpr 1
		.amdhsa_next_free_sgpr 0
		.amdhsa_accum_offset 4
		.amdhsa_reserve_vcc 0
		.amdhsa_reserve_flat_scratch 0
		.amdhsa_float_round_mode_32 0
		.amdhsa_float_round_mode_16_64 0
		.amdhsa_float_denorm_mode_32 3
		.amdhsa_float_denorm_mode_16_64 3
		.amdhsa_dx10_clamp 1
		.amdhsa_ieee_mode 1
		.amdhsa_fp16_overflow 0
		.amdhsa_tg_split 0
		.amdhsa_exception_fp_ieee_invalid_op 0
		.amdhsa_exception_fp_denorm_src 0
		.amdhsa_exception_fp_ieee_div_zero 0
		.amdhsa_exception_fp_ieee_overflow 0
		.amdhsa_exception_fp_ieee_underflow 0
		.amdhsa_exception_fp_ieee_inexact 0
		.amdhsa_exception_int_div_zero 0
	.end_amdhsa_kernel
	.section	.text._ZN7rocprim17ROCPRIM_400000_NS6detail17trampoline_kernelINS0_13select_configILj256ELj13ELNS0_17block_load_methodE3ELS4_3ELS4_3ELNS0_20block_scan_algorithmE0ELj4294967295EEENS1_25partition_config_selectorILNS1_17partition_subalgoE3EjNS0_10empty_typeEbEEZZNS1_14partition_implILS8_3ELb0ES6_jNS0_17counting_iteratorIjlEEPS9_SE_NS0_5tupleIJPjSE_EEENSF_IJSE_SE_EEES9_SG_JZNS1_25segmented_radix_sort_implINS0_14default_configELb1EPKlPlSM_SN_N2at6native12_GLOBAL__N_18offset_tEEE10hipError_tPvRmT1_PNSt15iterator_traitsISV_E10value_typeET2_T3_PNSW_IS11_E10value_typeET4_jRbjT5_S17_jjP12ihipStream_tbEUljE_EEESS_ST_SU_S11_S15_S17_T6_T7_T9_mT8_S19_bDpT10_ENKUlT_T0_E_clISt17integral_constantIbLb1EES1L_IbLb0EEEEDaS1H_S1I_EUlS1H_E_NS1_11comp_targetILNS1_3genE8ELNS1_11target_archE1030ELNS1_3gpuE2ELNS1_3repE0EEENS1_30default_config_static_selectorELNS0_4arch9wavefront6targetE1EEEvSV_,"axG",@progbits,_ZN7rocprim17ROCPRIM_400000_NS6detail17trampoline_kernelINS0_13select_configILj256ELj13ELNS0_17block_load_methodE3ELS4_3ELS4_3ELNS0_20block_scan_algorithmE0ELj4294967295EEENS1_25partition_config_selectorILNS1_17partition_subalgoE3EjNS0_10empty_typeEbEEZZNS1_14partition_implILS8_3ELb0ES6_jNS0_17counting_iteratorIjlEEPS9_SE_NS0_5tupleIJPjSE_EEENSF_IJSE_SE_EEES9_SG_JZNS1_25segmented_radix_sort_implINS0_14default_configELb1EPKlPlSM_SN_N2at6native12_GLOBAL__N_18offset_tEEE10hipError_tPvRmT1_PNSt15iterator_traitsISV_E10value_typeET2_T3_PNSW_IS11_E10value_typeET4_jRbjT5_S17_jjP12ihipStream_tbEUljE_EEESS_ST_SU_S11_S15_S17_T6_T7_T9_mT8_S19_bDpT10_ENKUlT_T0_E_clISt17integral_constantIbLb1EES1L_IbLb0EEEEDaS1H_S1I_EUlS1H_E_NS1_11comp_targetILNS1_3genE8ELNS1_11target_archE1030ELNS1_3gpuE2ELNS1_3repE0EEENS1_30default_config_static_selectorELNS0_4arch9wavefront6targetE1EEEvSV_,comdat
.Lfunc_end695:
	.size	_ZN7rocprim17ROCPRIM_400000_NS6detail17trampoline_kernelINS0_13select_configILj256ELj13ELNS0_17block_load_methodE3ELS4_3ELS4_3ELNS0_20block_scan_algorithmE0ELj4294967295EEENS1_25partition_config_selectorILNS1_17partition_subalgoE3EjNS0_10empty_typeEbEEZZNS1_14partition_implILS8_3ELb0ES6_jNS0_17counting_iteratorIjlEEPS9_SE_NS0_5tupleIJPjSE_EEENSF_IJSE_SE_EEES9_SG_JZNS1_25segmented_radix_sort_implINS0_14default_configELb1EPKlPlSM_SN_N2at6native12_GLOBAL__N_18offset_tEEE10hipError_tPvRmT1_PNSt15iterator_traitsISV_E10value_typeET2_T3_PNSW_IS11_E10value_typeET4_jRbjT5_S17_jjP12ihipStream_tbEUljE_EEESS_ST_SU_S11_S15_S17_T6_T7_T9_mT8_S19_bDpT10_ENKUlT_T0_E_clISt17integral_constantIbLb1EES1L_IbLb0EEEEDaS1H_S1I_EUlS1H_E_NS1_11comp_targetILNS1_3genE8ELNS1_11target_archE1030ELNS1_3gpuE2ELNS1_3repE0EEENS1_30default_config_static_selectorELNS0_4arch9wavefront6targetE1EEEvSV_, .Lfunc_end695-_ZN7rocprim17ROCPRIM_400000_NS6detail17trampoline_kernelINS0_13select_configILj256ELj13ELNS0_17block_load_methodE3ELS4_3ELS4_3ELNS0_20block_scan_algorithmE0ELj4294967295EEENS1_25partition_config_selectorILNS1_17partition_subalgoE3EjNS0_10empty_typeEbEEZZNS1_14partition_implILS8_3ELb0ES6_jNS0_17counting_iteratorIjlEEPS9_SE_NS0_5tupleIJPjSE_EEENSF_IJSE_SE_EEES9_SG_JZNS1_25segmented_radix_sort_implINS0_14default_configELb1EPKlPlSM_SN_N2at6native12_GLOBAL__N_18offset_tEEE10hipError_tPvRmT1_PNSt15iterator_traitsISV_E10value_typeET2_T3_PNSW_IS11_E10value_typeET4_jRbjT5_S17_jjP12ihipStream_tbEUljE_EEESS_ST_SU_S11_S15_S17_T6_T7_T9_mT8_S19_bDpT10_ENKUlT_T0_E_clISt17integral_constantIbLb1EES1L_IbLb0EEEEDaS1H_S1I_EUlS1H_E_NS1_11comp_targetILNS1_3genE8ELNS1_11target_archE1030ELNS1_3gpuE2ELNS1_3repE0EEENS1_30default_config_static_selectorELNS0_4arch9wavefront6targetE1EEEvSV_
                                        ; -- End function
	.section	.AMDGPU.csdata,"",@progbits
; Kernel info:
; codeLenInByte = 0
; NumSgprs: 4
; NumVgprs: 0
; NumAgprs: 0
; TotalNumVgprs: 0
; ScratchSize: 0
; MemoryBound: 0
; FloatMode: 240
; IeeeMode: 1
; LDSByteSize: 0 bytes/workgroup (compile time only)
; SGPRBlocks: 0
; VGPRBlocks: 0
; NumSGPRsForWavesPerEU: 4
; NumVGPRsForWavesPerEU: 1
; AccumOffset: 4
; Occupancy: 8
; WaveLimiterHint : 0
; COMPUTE_PGM_RSRC2:SCRATCH_EN: 0
; COMPUTE_PGM_RSRC2:USER_SGPR: 6
; COMPUTE_PGM_RSRC2:TRAP_HANDLER: 0
; COMPUTE_PGM_RSRC2:TGID_X_EN: 1
; COMPUTE_PGM_RSRC2:TGID_Y_EN: 0
; COMPUTE_PGM_RSRC2:TGID_Z_EN: 0
; COMPUTE_PGM_RSRC2:TIDIG_COMP_CNT: 0
; COMPUTE_PGM_RSRC3_GFX90A:ACCUM_OFFSET: 0
; COMPUTE_PGM_RSRC3_GFX90A:TG_SPLIT: 0
	.section	.text._ZN7rocprim17ROCPRIM_400000_NS6detail17trampoline_kernelINS0_13select_configILj256ELj13ELNS0_17block_load_methodE3ELS4_3ELS4_3ELNS0_20block_scan_algorithmE0ELj4294967295EEENS1_25partition_config_selectorILNS1_17partition_subalgoE3EjNS0_10empty_typeEbEEZZNS1_14partition_implILS8_3ELb0ES6_jNS0_17counting_iteratorIjlEEPS9_SE_NS0_5tupleIJPjSE_EEENSF_IJSE_SE_EEES9_SG_JZNS1_25segmented_radix_sort_implINS0_14default_configELb1EPKlPlSM_SN_N2at6native12_GLOBAL__N_18offset_tEEE10hipError_tPvRmT1_PNSt15iterator_traitsISV_E10value_typeET2_T3_PNSW_IS11_E10value_typeET4_jRbjT5_S17_jjP12ihipStream_tbEUljE_EEESS_ST_SU_S11_S15_S17_T6_T7_T9_mT8_S19_bDpT10_ENKUlT_T0_E_clISt17integral_constantIbLb0EES1L_IbLb1EEEEDaS1H_S1I_EUlS1H_E_NS1_11comp_targetILNS1_3genE0ELNS1_11target_archE4294967295ELNS1_3gpuE0ELNS1_3repE0EEENS1_30default_config_static_selectorELNS0_4arch9wavefront6targetE1EEEvSV_,"axG",@progbits,_ZN7rocprim17ROCPRIM_400000_NS6detail17trampoline_kernelINS0_13select_configILj256ELj13ELNS0_17block_load_methodE3ELS4_3ELS4_3ELNS0_20block_scan_algorithmE0ELj4294967295EEENS1_25partition_config_selectorILNS1_17partition_subalgoE3EjNS0_10empty_typeEbEEZZNS1_14partition_implILS8_3ELb0ES6_jNS0_17counting_iteratorIjlEEPS9_SE_NS0_5tupleIJPjSE_EEENSF_IJSE_SE_EEES9_SG_JZNS1_25segmented_radix_sort_implINS0_14default_configELb1EPKlPlSM_SN_N2at6native12_GLOBAL__N_18offset_tEEE10hipError_tPvRmT1_PNSt15iterator_traitsISV_E10value_typeET2_T3_PNSW_IS11_E10value_typeET4_jRbjT5_S17_jjP12ihipStream_tbEUljE_EEESS_ST_SU_S11_S15_S17_T6_T7_T9_mT8_S19_bDpT10_ENKUlT_T0_E_clISt17integral_constantIbLb0EES1L_IbLb1EEEEDaS1H_S1I_EUlS1H_E_NS1_11comp_targetILNS1_3genE0ELNS1_11target_archE4294967295ELNS1_3gpuE0ELNS1_3repE0EEENS1_30default_config_static_selectorELNS0_4arch9wavefront6targetE1EEEvSV_,comdat
	.globl	_ZN7rocprim17ROCPRIM_400000_NS6detail17trampoline_kernelINS0_13select_configILj256ELj13ELNS0_17block_load_methodE3ELS4_3ELS4_3ELNS0_20block_scan_algorithmE0ELj4294967295EEENS1_25partition_config_selectorILNS1_17partition_subalgoE3EjNS0_10empty_typeEbEEZZNS1_14partition_implILS8_3ELb0ES6_jNS0_17counting_iteratorIjlEEPS9_SE_NS0_5tupleIJPjSE_EEENSF_IJSE_SE_EEES9_SG_JZNS1_25segmented_radix_sort_implINS0_14default_configELb1EPKlPlSM_SN_N2at6native12_GLOBAL__N_18offset_tEEE10hipError_tPvRmT1_PNSt15iterator_traitsISV_E10value_typeET2_T3_PNSW_IS11_E10value_typeET4_jRbjT5_S17_jjP12ihipStream_tbEUljE_EEESS_ST_SU_S11_S15_S17_T6_T7_T9_mT8_S19_bDpT10_ENKUlT_T0_E_clISt17integral_constantIbLb0EES1L_IbLb1EEEEDaS1H_S1I_EUlS1H_E_NS1_11comp_targetILNS1_3genE0ELNS1_11target_archE4294967295ELNS1_3gpuE0ELNS1_3repE0EEENS1_30default_config_static_selectorELNS0_4arch9wavefront6targetE1EEEvSV_ ; -- Begin function _ZN7rocprim17ROCPRIM_400000_NS6detail17trampoline_kernelINS0_13select_configILj256ELj13ELNS0_17block_load_methodE3ELS4_3ELS4_3ELNS0_20block_scan_algorithmE0ELj4294967295EEENS1_25partition_config_selectorILNS1_17partition_subalgoE3EjNS0_10empty_typeEbEEZZNS1_14partition_implILS8_3ELb0ES6_jNS0_17counting_iteratorIjlEEPS9_SE_NS0_5tupleIJPjSE_EEENSF_IJSE_SE_EEES9_SG_JZNS1_25segmented_radix_sort_implINS0_14default_configELb1EPKlPlSM_SN_N2at6native12_GLOBAL__N_18offset_tEEE10hipError_tPvRmT1_PNSt15iterator_traitsISV_E10value_typeET2_T3_PNSW_IS11_E10value_typeET4_jRbjT5_S17_jjP12ihipStream_tbEUljE_EEESS_ST_SU_S11_S15_S17_T6_T7_T9_mT8_S19_bDpT10_ENKUlT_T0_E_clISt17integral_constantIbLb0EES1L_IbLb1EEEEDaS1H_S1I_EUlS1H_E_NS1_11comp_targetILNS1_3genE0ELNS1_11target_archE4294967295ELNS1_3gpuE0ELNS1_3repE0EEENS1_30default_config_static_selectorELNS0_4arch9wavefront6targetE1EEEvSV_
	.p2align	8
	.type	_ZN7rocprim17ROCPRIM_400000_NS6detail17trampoline_kernelINS0_13select_configILj256ELj13ELNS0_17block_load_methodE3ELS4_3ELS4_3ELNS0_20block_scan_algorithmE0ELj4294967295EEENS1_25partition_config_selectorILNS1_17partition_subalgoE3EjNS0_10empty_typeEbEEZZNS1_14partition_implILS8_3ELb0ES6_jNS0_17counting_iteratorIjlEEPS9_SE_NS0_5tupleIJPjSE_EEENSF_IJSE_SE_EEES9_SG_JZNS1_25segmented_radix_sort_implINS0_14default_configELb1EPKlPlSM_SN_N2at6native12_GLOBAL__N_18offset_tEEE10hipError_tPvRmT1_PNSt15iterator_traitsISV_E10value_typeET2_T3_PNSW_IS11_E10value_typeET4_jRbjT5_S17_jjP12ihipStream_tbEUljE_EEESS_ST_SU_S11_S15_S17_T6_T7_T9_mT8_S19_bDpT10_ENKUlT_T0_E_clISt17integral_constantIbLb0EES1L_IbLb1EEEEDaS1H_S1I_EUlS1H_E_NS1_11comp_targetILNS1_3genE0ELNS1_11target_archE4294967295ELNS1_3gpuE0ELNS1_3repE0EEENS1_30default_config_static_selectorELNS0_4arch9wavefront6targetE1EEEvSV_,@function
_ZN7rocprim17ROCPRIM_400000_NS6detail17trampoline_kernelINS0_13select_configILj256ELj13ELNS0_17block_load_methodE3ELS4_3ELS4_3ELNS0_20block_scan_algorithmE0ELj4294967295EEENS1_25partition_config_selectorILNS1_17partition_subalgoE3EjNS0_10empty_typeEbEEZZNS1_14partition_implILS8_3ELb0ES6_jNS0_17counting_iteratorIjlEEPS9_SE_NS0_5tupleIJPjSE_EEENSF_IJSE_SE_EEES9_SG_JZNS1_25segmented_radix_sort_implINS0_14default_configELb1EPKlPlSM_SN_N2at6native12_GLOBAL__N_18offset_tEEE10hipError_tPvRmT1_PNSt15iterator_traitsISV_E10value_typeET2_T3_PNSW_IS11_E10value_typeET4_jRbjT5_S17_jjP12ihipStream_tbEUljE_EEESS_ST_SU_S11_S15_S17_T6_T7_T9_mT8_S19_bDpT10_ENKUlT_T0_E_clISt17integral_constantIbLb0EES1L_IbLb1EEEEDaS1H_S1I_EUlS1H_E_NS1_11comp_targetILNS1_3genE0ELNS1_11target_archE4294967295ELNS1_3gpuE0ELNS1_3repE0EEENS1_30default_config_static_selectorELNS0_4arch9wavefront6targetE1EEEvSV_: ; @_ZN7rocprim17ROCPRIM_400000_NS6detail17trampoline_kernelINS0_13select_configILj256ELj13ELNS0_17block_load_methodE3ELS4_3ELS4_3ELNS0_20block_scan_algorithmE0ELj4294967295EEENS1_25partition_config_selectorILNS1_17partition_subalgoE3EjNS0_10empty_typeEbEEZZNS1_14partition_implILS8_3ELb0ES6_jNS0_17counting_iteratorIjlEEPS9_SE_NS0_5tupleIJPjSE_EEENSF_IJSE_SE_EEES9_SG_JZNS1_25segmented_radix_sort_implINS0_14default_configELb1EPKlPlSM_SN_N2at6native12_GLOBAL__N_18offset_tEEE10hipError_tPvRmT1_PNSt15iterator_traitsISV_E10value_typeET2_T3_PNSW_IS11_E10value_typeET4_jRbjT5_S17_jjP12ihipStream_tbEUljE_EEESS_ST_SU_S11_S15_S17_T6_T7_T9_mT8_S19_bDpT10_ENKUlT_T0_E_clISt17integral_constantIbLb0EES1L_IbLb1EEEEDaS1H_S1I_EUlS1H_E_NS1_11comp_targetILNS1_3genE0ELNS1_11target_archE4294967295ELNS1_3gpuE0ELNS1_3repE0EEENS1_30default_config_static_selectorELNS0_4arch9wavefront6targetE1EEEvSV_
; %bb.0:
	.section	.rodata,"a",@progbits
	.p2align	6, 0x0
	.amdhsa_kernel _ZN7rocprim17ROCPRIM_400000_NS6detail17trampoline_kernelINS0_13select_configILj256ELj13ELNS0_17block_load_methodE3ELS4_3ELS4_3ELNS0_20block_scan_algorithmE0ELj4294967295EEENS1_25partition_config_selectorILNS1_17partition_subalgoE3EjNS0_10empty_typeEbEEZZNS1_14partition_implILS8_3ELb0ES6_jNS0_17counting_iteratorIjlEEPS9_SE_NS0_5tupleIJPjSE_EEENSF_IJSE_SE_EEES9_SG_JZNS1_25segmented_radix_sort_implINS0_14default_configELb1EPKlPlSM_SN_N2at6native12_GLOBAL__N_18offset_tEEE10hipError_tPvRmT1_PNSt15iterator_traitsISV_E10value_typeET2_T3_PNSW_IS11_E10value_typeET4_jRbjT5_S17_jjP12ihipStream_tbEUljE_EEESS_ST_SU_S11_S15_S17_T6_T7_T9_mT8_S19_bDpT10_ENKUlT_T0_E_clISt17integral_constantIbLb0EES1L_IbLb1EEEEDaS1H_S1I_EUlS1H_E_NS1_11comp_targetILNS1_3genE0ELNS1_11target_archE4294967295ELNS1_3gpuE0ELNS1_3repE0EEENS1_30default_config_static_selectorELNS0_4arch9wavefront6targetE1EEEvSV_
		.amdhsa_group_segment_fixed_size 0
		.amdhsa_private_segment_fixed_size 0
		.amdhsa_kernarg_size 152
		.amdhsa_user_sgpr_count 6
		.amdhsa_user_sgpr_private_segment_buffer 1
		.amdhsa_user_sgpr_dispatch_ptr 0
		.amdhsa_user_sgpr_queue_ptr 0
		.amdhsa_user_sgpr_kernarg_segment_ptr 1
		.amdhsa_user_sgpr_dispatch_id 0
		.amdhsa_user_sgpr_flat_scratch_init 0
		.amdhsa_user_sgpr_kernarg_preload_length 0
		.amdhsa_user_sgpr_kernarg_preload_offset 0
		.amdhsa_user_sgpr_private_segment_size 0
		.amdhsa_uses_dynamic_stack 0
		.amdhsa_system_sgpr_private_segment_wavefront_offset 0
		.amdhsa_system_sgpr_workgroup_id_x 1
		.amdhsa_system_sgpr_workgroup_id_y 0
		.amdhsa_system_sgpr_workgroup_id_z 0
		.amdhsa_system_sgpr_workgroup_info 0
		.amdhsa_system_vgpr_workitem_id 0
		.amdhsa_next_free_vgpr 1
		.amdhsa_next_free_sgpr 0
		.amdhsa_accum_offset 4
		.amdhsa_reserve_vcc 0
		.amdhsa_reserve_flat_scratch 0
		.amdhsa_float_round_mode_32 0
		.amdhsa_float_round_mode_16_64 0
		.amdhsa_float_denorm_mode_32 3
		.amdhsa_float_denorm_mode_16_64 3
		.amdhsa_dx10_clamp 1
		.amdhsa_ieee_mode 1
		.amdhsa_fp16_overflow 0
		.amdhsa_tg_split 0
		.amdhsa_exception_fp_ieee_invalid_op 0
		.amdhsa_exception_fp_denorm_src 0
		.amdhsa_exception_fp_ieee_div_zero 0
		.amdhsa_exception_fp_ieee_overflow 0
		.amdhsa_exception_fp_ieee_underflow 0
		.amdhsa_exception_fp_ieee_inexact 0
		.amdhsa_exception_int_div_zero 0
	.end_amdhsa_kernel
	.section	.text._ZN7rocprim17ROCPRIM_400000_NS6detail17trampoline_kernelINS0_13select_configILj256ELj13ELNS0_17block_load_methodE3ELS4_3ELS4_3ELNS0_20block_scan_algorithmE0ELj4294967295EEENS1_25partition_config_selectorILNS1_17partition_subalgoE3EjNS0_10empty_typeEbEEZZNS1_14partition_implILS8_3ELb0ES6_jNS0_17counting_iteratorIjlEEPS9_SE_NS0_5tupleIJPjSE_EEENSF_IJSE_SE_EEES9_SG_JZNS1_25segmented_radix_sort_implINS0_14default_configELb1EPKlPlSM_SN_N2at6native12_GLOBAL__N_18offset_tEEE10hipError_tPvRmT1_PNSt15iterator_traitsISV_E10value_typeET2_T3_PNSW_IS11_E10value_typeET4_jRbjT5_S17_jjP12ihipStream_tbEUljE_EEESS_ST_SU_S11_S15_S17_T6_T7_T9_mT8_S19_bDpT10_ENKUlT_T0_E_clISt17integral_constantIbLb0EES1L_IbLb1EEEEDaS1H_S1I_EUlS1H_E_NS1_11comp_targetILNS1_3genE0ELNS1_11target_archE4294967295ELNS1_3gpuE0ELNS1_3repE0EEENS1_30default_config_static_selectorELNS0_4arch9wavefront6targetE1EEEvSV_,"axG",@progbits,_ZN7rocprim17ROCPRIM_400000_NS6detail17trampoline_kernelINS0_13select_configILj256ELj13ELNS0_17block_load_methodE3ELS4_3ELS4_3ELNS0_20block_scan_algorithmE0ELj4294967295EEENS1_25partition_config_selectorILNS1_17partition_subalgoE3EjNS0_10empty_typeEbEEZZNS1_14partition_implILS8_3ELb0ES6_jNS0_17counting_iteratorIjlEEPS9_SE_NS0_5tupleIJPjSE_EEENSF_IJSE_SE_EEES9_SG_JZNS1_25segmented_radix_sort_implINS0_14default_configELb1EPKlPlSM_SN_N2at6native12_GLOBAL__N_18offset_tEEE10hipError_tPvRmT1_PNSt15iterator_traitsISV_E10value_typeET2_T3_PNSW_IS11_E10value_typeET4_jRbjT5_S17_jjP12ihipStream_tbEUljE_EEESS_ST_SU_S11_S15_S17_T6_T7_T9_mT8_S19_bDpT10_ENKUlT_T0_E_clISt17integral_constantIbLb0EES1L_IbLb1EEEEDaS1H_S1I_EUlS1H_E_NS1_11comp_targetILNS1_3genE0ELNS1_11target_archE4294967295ELNS1_3gpuE0ELNS1_3repE0EEENS1_30default_config_static_selectorELNS0_4arch9wavefront6targetE1EEEvSV_,comdat
.Lfunc_end696:
	.size	_ZN7rocprim17ROCPRIM_400000_NS6detail17trampoline_kernelINS0_13select_configILj256ELj13ELNS0_17block_load_methodE3ELS4_3ELS4_3ELNS0_20block_scan_algorithmE0ELj4294967295EEENS1_25partition_config_selectorILNS1_17partition_subalgoE3EjNS0_10empty_typeEbEEZZNS1_14partition_implILS8_3ELb0ES6_jNS0_17counting_iteratorIjlEEPS9_SE_NS0_5tupleIJPjSE_EEENSF_IJSE_SE_EEES9_SG_JZNS1_25segmented_radix_sort_implINS0_14default_configELb1EPKlPlSM_SN_N2at6native12_GLOBAL__N_18offset_tEEE10hipError_tPvRmT1_PNSt15iterator_traitsISV_E10value_typeET2_T3_PNSW_IS11_E10value_typeET4_jRbjT5_S17_jjP12ihipStream_tbEUljE_EEESS_ST_SU_S11_S15_S17_T6_T7_T9_mT8_S19_bDpT10_ENKUlT_T0_E_clISt17integral_constantIbLb0EES1L_IbLb1EEEEDaS1H_S1I_EUlS1H_E_NS1_11comp_targetILNS1_3genE0ELNS1_11target_archE4294967295ELNS1_3gpuE0ELNS1_3repE0EEENS1_30default_config_static_selectorELNS0_4arch9wavefront6targetE1EEEvSV_, .Lfunc_end696-_ZN7rocprim17ROCPRIM_400000_NS6detail17trampoline_kernelINS0_13select_configILj256ELj13ELNS0_17block_load_methodE3ELS4_3ELS4_3ELNS0_20block_scan_algorithmE0ELj4294967295EEENS1_25partition_config_selectorILNS1_17partition_subalgoE3EjNS0_10empty_typeEbEEZZNS1_14partition_implILS8_3ELb0ES6_jNS0_17counting_iteratorIjlEEPS9_SE_NS0_5tupleIJPjSE_EEENSF_IJSE_SE_EEES9_SG_JZNS1_25segmented_radix_sort_implINS0_14default_configELb1EPKlPlSM_SN_N2at6native12_GLOBAL__N_18offset_tEEE10hipError_tPvRmT1_PNSt15iterator_traitsISV_E10value_typeET2_T3_PNSW_IS11_E10value_typeET4_jRbjT5_S17_jjP12ihipStream_tbEUljE_EEESS_ST_SU_S11_S15_S17_T6_T7_T9_mT8_S19_bDpT10_ENKUlT_T0_E_clISt17integral_constantIbLb0EES1L_IbLb1EEEEDaS1H_S1I_EUlS1H_E_NS1_11comp_targetILNS1_3genE0ELNS1_11target_archE4294967295ELNS1_3gpuE0ELNS1_3repE0EEENS1_30default_config_static_selectorELNS0_4arch9wavefront6targetE1EEEvSV_
                                        ; -- End function
	.section	.AMDGPU.csdata,"",@progbits
; Kernel info:
; codeLenInByte = 0
; NumSgprs: 4
; NumVgprs: 0
; NumAgprs: 0
; TotalNumVgprs: 0
; ScratchSize: 0
; MemoryBound: 0
; FloatMode: 240
; IeeeMode: 1
; LDSByteSize: 0 bytes/workgroup (compile time only)
; SGPRBlocks: 0
; VGPRBlocks: 0
; NumSGPRsForWavesPerEU: 4
; NumVGPRsForWavesPerEU: 1
; AccumOffset: 4
; Occupancy: 8
; WaveLimiterHint : 0
; COMPUTE_PGM_RSRC2:SCRATCH_EN: 0
; COMPUTE_PGM_RSRC2:USER_SGPR: 6
; COMPUTE_PGM_RSRC2:TRAP_HANDLER: 0
; COMPUTE_PGM_RSRC2:TGID_X_EN: 1
; COMPUTE_PGM_RSRC2:TGID_Y_EN: 0
; COMPUTE_PGM_RSRC2:TGID_Z_EN: 0
; COMPUTE_PGM_RSRC2:TIDIG_COMP_CNT: 0
; COMPUTE_PGM_RSRC3_GFX90A:ACCUM_OFFSET: 0
; COMPUTE_PGM_RSRC3_GFX90A:TG_SPLIT: 0
	.section	.text._ZN7rocprim17ROCPRIM_400000_NS6detail17trampoline_kernelINS0_13select_configILj256ELj13ELNS0_17block_load_methodE3ELS4_3ELS4_3ELNS0_20block_scan_algorithmE0ELj4294967295EEENS1_25partition_config_selectorILNS1_17partition_subalgoE3EjNS0_10empty_typeEbEEZZNS1_14partition_implILS8_3ELb0ES6_jNS0_17counting_iteratorIjlEEPS9_SE_NS0_5tupleIJPjSE_EEENSF_IJSE_SE_EEES9_SG_JZNS1_25segmented_radix_sort_implINS0_14default_configELb1EPKlPlSM_SN_N2at6native12_GLOBAL__N_18offset_tEEE10hipError_tPvRmT1_PNSt15iterator_traitsISV_E10value_typeET2_T3_PNSW_IS11_E10value_typeET4_jRbjT5_S17_jjP12ihipStream_tbEUljE_EEESS_ST_SU_S11_S15_S17_T6_T7_T9_mT8_S19_bDpT10_ENKUlT_T0_E_clISt17integral_constantIbLb0EES1L_IbLb1EEEEDaS1H_S1I_EUlS1H_E_NS1_11comp_targetILNS1_3genE5ELNS1_11target_archE942ELNS1_3gpuE9ELNS1_3repE0EEENS1_30default_config_static_selectorELNS0_4arch9wavefront6targetE1EEEvSV_,"axG",@progbits,_ZN7rocprim17ROCPRIM_400000_NS6detail17trampoline_kernelINS0_13select_configILj256ELj13ELNS0_17block_load_methodE3ELS4_3ELS4_3ELNS0_20block_scan_algorithmE0ELj4294967295EEENS1_25partition_config_selectorILNS1_17partition_subalgoE3EjNS0_10empty_typeEbEEZZNS1_14partition_implILS8_3ELb0ES6_jNS0_17counting_iteratorIjlEEPS9_SE_NS0_5tupleIJPjSE_EEENSF_IJSE_SE_EEES9_SG_JZNS1_25segmented_radix_sort_implINS0_14default_configELb1EPKlPlSM_SN_N2at6native12_GLOBAL__N_18offset_tEEE10hipError_tPvRmT1_PNSt15iterator_traitsISV_E10value_typeET2_T3_PNSW_IS11_E10value_typeET4_jRbjT5_S17_jjP12ihipStream_tbEUljE_EEESS_ST_SU_S11_S15_S17_T6_T7_T9_mT8_S19_bDpT10_ENKUlT_T0_E_clISt17integral_constantIbLb0EES1L_IbLb1EEEEDaS1H_S1I_EUlS1H_E_NS1_11comp_targetILNS1_3genE5ELNS1_11target_archE942ELNS1_3gpuE9ELNS1_3repE0EEENS1_30default_config_static_selectorELNS0_4arch9wavefront6targetE1EEEvSV_,comdat
	.globl	_ZN7rocprim17ROCPRIM_400000_NS6detail17trampoline_kernelINS0_13select_configILj256ELj13ELNS0_17block_load_methodE3ELS4_3ELS4_3ELNS0_20block_scan_algorithmE0ELj4294967295EEENS1_25partition_config_selectorILNS1_17partition_subalgoE3EjNS0_10empty_typeEbEEZZNS1_14partition_implILS8_3ELb0ES6_jNS0_17counting_iteratorIjlEEPS9_SE_NS0_5tupleIJPjSE_EEENSF_IJSE_SE_EEES9_SG_JZNS1_25segmented_radix_sort_implINS0_14default_configELb1EPKlPlSM_SN_N2at6native12_GLOBAL__N_18offset_tEEE10hipError_tPvRmT1_PNSt15iterator_traitsISV_E10value_typeET2_T3_PNSW_IS11_E10value_typeET4_jRbjT5_S17_jjP12ihipStream_tbEUljE_EEESS_ST_SU_S11_S15_S17_T6_T7_T9_mT8_S19_bDpT10_ENKUlT_T0_E_clISt17integral_constantIbLb0EES1L_IbLb1EEEEDaS1H_S1I_EUlS1H_E_NS1_11comp_targetILNS1_3genE5ELNS1_11target_archE942ELNS1_3gpuE9ELNS1_3repE0EEENS1_30default_config_static_selectorELNS0_4arch9wavefront6targetE1EEEvSV_ ; -- Begin function _ZN7rocprim17ROCPRIM_400000_NS6detail17trampoline_kernelINS0_13select_configILj256ELj13ELNS0_17block_load_methodE3ELS4_3ELS4_3ELNS0_20block_scan_algorithmE0ELj4294967295EEENS1_25partition_config_selectorILNS1_17partition_subalgoE3EjNS0_10empty_typeEbEEZZNS1_14partition_implILS8_3ELb0ES6_jNS0_17counting_iteratorIjlEEPS9_SE_NS0_5tupleIJPjSE_EEENSF_IJSE_SE_EEES9_SG_JZNS1_25segmented_radix_sort_implINS0_14default_configELb1EPKlPlSM_SN_N2at6native12_GLOBAL__N_18offset_tEEE10hipError_tPvRmT1_PNSt15iterator_traitsISV_E10value_typeET2_T3_PNSW_IS11_E10value_typeET4_jRbjT5_S17_jjP12ihipStream_tbEUljE_EEESS_ST_SU_S11_S15_S17_T6_T7_T9_mT8_S19_bDpT10_ENKUlT_T0_E_clISt17integral_constantIbLb0EES1L_IbLb1EEEEDaS1H_S1I_EUlS1H_E_NS1_11comp_targetILNS1_3genE5ELNS1_11target_archE942ELNS1_3gpuE9ELNS1_3repE0EEENS1_30default_config_static_selectorELNS0_4arch9wavefront6targetE1EEEvSV_
	.p2align	8
	.type	_ZN7rocprim17ROCPRIM_400000_NS6detail17trampoline_kernelINS0_13select_configILj256ELj13ELNS0_17block_load_methodE3ELS4_3ELS4_3ELNS0_20block_scan_algorithmE0ELj4294967295EEENS1_25partition_config_selectorILNS1_17partition_subalgoE3EjNS0_10empty_typeEbEEZZNS1_14partition_implILS8_3ELb0ES6_jNS0_17counting_iteratorIjlEEPS9_SE_NS0_5tupleIJPjSE_EEENSF_IJSE_SE_EEES9_SG_JZNS1_25segmented_radix_sort_implINS0_14default_configELb1EPKlPlSM_SN_N2at6native12_GLOBAL__N_18offset_tEEE10hipError_tPvRmT1_PNSt15iterator_traitsISV_E10value_typeET2_T3_PNSW_IS11_E10value_typeET4_jRbjT5_S17_jjP12ihipStream_tbEUljE_EEESS_ST_SU_S11_S15_S17_T6_T7_T9_mT8_S19_bDpT10_ENKUlT_T0_E_clISt17integral_constantIbLb0EES1L_IbLb1EEEEDaS1H_S1I_EUlS1H_E_NS1_11comp_targetILNS1_3genE5ELNS1_11target_archE942ELNS1_3gpuE9ELNS1_3repE0EEENS1_30default_config_static_selectorELNS0_4arch9wavefront6targetE1EEEvSV_,@function
_ZN7rocprim17ROCPRIM_400000_NS6detail17trampoline_kernelINS0_13select_configILj256ELj13ELNS0_17block_load_methodE3ELS4_3ELS4_3ELNS0_20block_scan_algorithmE0ELj4294967295EEENS1_25partition_config_selectorILNS1_17partition_subalgoE3EjNS0_10empty_typeEbEEZZNS1_14partition_implILS8_3ELb0ES6_jNS0_17counting_iteratorIjlEEPS9_SE_NS0_5tupleIJPjSE_EEENSF_IJSE_SE_EEES9_SG_JZNS1_25segmented_radix_sort_implINS0_14default_configELb1EPKlPlSM_SN_N2at6native12_GLOBAL__N_18offset_tEEE10hipError_tPvRmT1_PNSt15iterator_traitsISV_E10value_typeET2_T3_PNSW_IS11_E10value_typeET4_jRbjT5_S17_jjP12ihipStream_tbEUljE_EEESS_ST_SU_S11_S15_S17_T6_T7_T9_mT8_S19_bDpT10_ENKUlT_T0_E_clISt17integral_constantIbLb0EES1L_IbLb1EEEEDaS1H_S1I_EUlS1H_E_NS1_11comp_targetILNS1_3genE5ELNS1_11target_archE942ELNS1_3gpuE9ELNS1_3repE0EEENS1_30default_config_static_selectorELNS0_4arch9wavefront6targetE1EEEvSV_: ; @_ZN7rocprim17ROCPRIM_400000_NS6detail17trampoline_kernelINS0_13select_configILj256ELj13ELNS0_17block_load_methodE3ELS4_3ELS4_3ELNS0_20block_scan_algorithmE0ELj4294967295EEENS1_25partition_config_selectorILNS1_17partition_subalgoE3EjNS0_10empty_typeEbEEZZNS1_14partition_implILS8_3ELb0ES6_jNS0_17counting_iteratorIjlEEPS9_SE_NS0_5tupleIJPjSE_EEENSF_IJSE_SE_EEES9_SG_JZNS1_25segmented_radix_sort_implINS0_14default_configELb1EPKlPlSM_SN_N2at6native12_GLOBAL__N_18offset_tEEE10hipError_tPvRmT1_PNSt15iterator_traitsISV_E10value_typeET2_T3_PNSW_IS11_E10value_typeET4_jRbjT5_S17_jjP12ihipStream_tbEUljE_EEESS_ST_SU_S11_S15_S17_T6_T7_T9_mT8_S19_bDpT10_ENKUlT_T0_E_clISt17integral_constantIbLb0EES1L_IbLb1EEEEDaS1H_S1I_EUlS1H_E_NS1_11comp_targetILNS1_3genE5ELNS1_11target_archE942ELNS1_3gpuE9ELNS1_3repE0EEENS1_30default_config_static_selectorELNS0_4arch9wavefront6targetE1EEEvSV_
; %bb.0:
	.section	.rodata,"a",@progbits
	.p2align	6, 0x0
	.amdhsa_kernel _ZN7rocprim17ROCPRIM_400000_NS6detail17trampoline_kernelINS0_13select_configILj256ELj13ELNS0_17block_load_methodE3ELS4_3ELS4_3ELNS0_20block_scan_algorithmE0ELj4294967295EEENS1_25partition_config_selectorILNS1_17partition_subalgoE3EjNS0_10empty_typeEbEEZZNS1_14partition_implILS8_3ELb0ES6_jNS0_17counting_iteratorIjlEEPS9_SE_NS0_5tupleIJPjSE_EEENSF_IJSE_SE_EEES9_SG_JZNS1_25segmented_radix_sort_implINS0_14default_configELb1EPKlPlSM_SN_N2at6native12_GLOBAL__N_18offset_tEEE10hipError_tPvRmT1_PNSt15iterator_traitsISV_E10value_typeET2_T3_PNSW_IS11_E10value_typeET4_jRbjT5_S17_jjP12ihipStream_tbEUljE_EEESS_ST_SU_S11_S15_S17_T6_T7_T9_mT8_S19_bDpT10_ENKUlT_T0_E_clISt17integral_constantIbLb0EES1L_IbLb1EEEEDaS1H_S1I_EUlS1H_E_NS1_11comp_targetILNS1_3genE5ELNS1_11target_archE942ELNS1_3gpuE9ELNS1_3repE0EEENS1_30default_config_static_selectorELNS0_4arch9wavefront6targetE1EEEvSV_
		.amdhsa_group_segment_fixed_size 0
		.amdhsa_private_segment_fixed_size 0
		.amdhsa_kernarg_size 152
		.amdhsa_user_sgpr_count 6
		.amdhsa_user_sgpr_private_segment_buffer 1
		.amdhsa_user_sgpr_dispatch_ptr 0
		.amdhsa_user_sgpr_queue_ptr 0
		.amdhsa_user_sgpr_kernarg_segment_ptr 1
		.amdhsa_user_sgpr_dispatch_id 0
		.amdhsa_user_sgpr_flat_scratch_init 0
		.amdhsa_user_sgpr_kernarg_preload_length 0
		.amdhsa_user_sgpr_kernarg_preload_offset 0
		.amdhsa_user_sgpr_private_segment_size 0
		.amdhsa_uses_dynamic_stack 0
		.amdhsa_system_sgpr_private_segment_wavefront_offset 0
		.amdhsa_system_sgpr_workgroup_id_x 1
		.amdhsa_system_sgpr_workgroup_id_y 0
		.amdhsa_system_sgpr_workgroup_id_z 0
		.amdhsa_system_sgpr_workgroup_info 0
		.amdhsa_system_vgpr_workitem_id 0
		.amdhsa_next_free_vgpr 1
		.amdhsa_next_free_sgpr 0
		.amdhsa_accum_offset 4
		.amdhsa_reserve_vcc 0
		.amdhsa_reserve_flat_scratch 0
		.amdhsa_float_round_mode_32 0
		.amdhsa_float_round_mode_16_64 0
		.amdhsa_float_denorm_mode_32 3
		.amdhsa_float_denorm_mode_16_64 3
		.amdhsa_dx10_clamp 1
		.amdhsa_ieee_mode 1
		.amdhsa_fp16_overflow 0
		.amdhsa_tg_split 0
		.amdhsa_exception_fp_ieee_invalid_op 0
		.amdhsa_exception_fp_denorm_src 0
		.amdhsa_exception_fp_ieee_div_zero 0
		.amdhsa_exception_fp_ieee_overflow 0
		.amdhsa_exception_fp_ieee_underflow 0
		.amdhsa_exception_fp_ieee_inexact 0
		.amdhsa_exception_int_div_zero 0
	.end_amdhsa_kernel
	.section	.text._ZN7rocprim17ROCPRIM_400000_NS6detail17trampoline_kernelINS0_13select_configILj256ELj13ELNS0_17block_load_methodE3ELS4_3ELS4_3ELNS0_20block_scan_algorithmE0ELj4294967295EEENS1_25partition_config_selectorILNS1_17partition_subalgoE3EjNS0_10empty_typeEbEEZZNS1_14partition_implILS8_3ELb0ES6_jNS0_17counting_iteratorIjlEEPS9_SE_NS0_5tupleIJPjSE_EEENSF_IJSE_SE_EEES9_SG_JZNS1_25segmented_radix_sort_implINS0_14default_configELb1EPKlPlSM_SN_N2at6native12_GLOBAL__N_18offset_tEEE10hipError_tPvRmT1_PNSt15iterator_traitsISV_E10value_typeET2_T3_PNSW_IS11_E10value_typeET4_jRbjT5_S17_jjP12ihipStream_tbEUljE_EEESS_ST_SU_S11_S15_S17_T6_T7_T9_mT8_S19_bDpT10_ENKUlT_T0_E_clISt17integral_constantIbLb0EES1L_IbLb1EEEEDaS1H_S1I_EUlS1H_E_NS1_11comp_targetILNS1_3genE5ELNS1_11target_archE942ELNS1_3gpuE9ELNS1_3repE0EEENS1_30default_config_static_selectorELNS0_4arch9wavefront6targetE1EEEvSV_,"axG",@progbits,_ZN7rocprim17ROCPRIM_400000_NS6detail17trampoline_kernelINS0_13select_configILj256ELj13ELNS0_17block_load_methodE3ELS4_3ELS4_3ELNS0_20block_scan_algorithmE0ELj4294967295EEENS1_25partition_config_selectorILNS1_17partition_subalgoE3EjNS0_10empty_typeEbEEZZNS1_14partition_implILS8_3ELb0ES6_jNS0_17counting_iteratorIjlEEPS9_SE_NS0_5tupleIJPjSE_EEENSF_IJSE_SE_EEES9_SG_JZNS1_25segmented_radix_sort_implINS0_14default_configELb1EPKlPlSM_SN_N2at6native12_GLOBAL__N_18offset_tEEE10hipError_tPvRmT1_PNSt15iterator_traitsISV_E10value_typeET2_T3_PNSW_IS11_E10value_typeET4_jRbjT5_S17_jjP12ihipStream_tbEUljE_EEESS_ST_SU_S11_S15_S17_T6_T7_T9_mT8_S19_bDpT10_ENKUlT_T0_E_clISt17integral_constantIbLb0EES1L_IbLb1EEEEDaS1H_S1I_EUlS1H_E_NS1_11comp_targetILNS1_3genE5ELNS1_11target_archE942ELNS1_3gpuE9ELNS1_3repE0EEENS1_30default_config_static_selectorELNS0_4arch9wavefront6targetE1EEEvSV_,comdat
.Lfunc_end697:
	.size	_ZN7rocprim17ROCPRIM_400000_NS6detail17trampoline_kernelINS0_13select_configILj256ELj13ELNS0_17block_load_methodE3ELS4_3ELS4_3ELNS0_20block_scan_algorithmE0ELj4294967295EEENS1_25partition_config_selectorILNS1_17partition_subalgoE3EjNS0_10empty_typeEbEEZZNS1_14partition_implILS8_3ELb0ES6_jNS0_17counting_iteratorIjlEEPS9_SE_NS0_5tupleIJPjSE_EEENSF_IJSE_SE_EEES9_SG_JZNS1_25segmented_radix_sort_implINS0_14default_configELb1EPKlPlSM_SN_N2at6native12_GLOBAL__N_18offset_tEEE10hipError_tPvRmT1_PNSt15iterator_traitsISV_E10value_typeET2_T3_PNSW_IS11_E10value_typeET4_jRbjT5_S17_jjP12ihipStream_tbEUljE_EEESS_ST_SU_S11_S15_S17_T6_T7_T9_mT8_S19_bDpT10_ENKUlT_T0_E_clISt17integral_constantIbLb0EES1L_IbLb1EEEEDaS1H_S1I_EUlS1H_E_NS1_11comp_targetILNS1_3genE5ELNS1_11target_archE942ELNS1_3gpuE9ELNS1_3repE0EEENS1_30default_config_static_selectorELNS0_4arch9wavefront6targetE1EEEvSV_, .Lfunc_end697-_ZN7rocprim17ROCPRIM_400000_NS6detail17trampoline_kernelINS0_13select_configILj256ELj13ELNS0_17block_load_methodE3ELS4_3ELS4_3ELNS0_20block_scan_algorithmE0ELj4294967295EEENS1_25partition_config_selectorILNS1_17partition_subalgoE3EjNS0_10empty_typeEbEEZZNS1_14partition_implILS8_3ELb0ES6_jNS0_17counting_iteratorIjlEEPS9_SE_NS0_5tupleIJPjSE_EEENSF_IJSE_SE_EEES9_SG_JZNS1_25segmented_radix_sort_implINS0_14default_configELb1EPKlPlSM_SN_N2at6native12_GLOBAL__N_18offset_tEEE10hipError_tPvRmT1_PNSt15iterator_traitsISV_E10value_typeET2_T3_PNSW_IS11_E10value_typeET4_jRbjT5_S17_jjP12ihipStream_tbEUljE_EEESS_ST_SU_S11_S15_S17_T6_T7_T9_mT8_S19_bDpT10_ENKUlT_T0_E_clISt17integral_constantIbLb0EES1L_IbLb1EEEEDaS1H_S1I_EUlS1H_E_NS1_11comp_targetILNS1_3genE5ELNS1_11target_archE942ELNS1_3gpuE9ELNS1_3repE0EEENS1_30default_config_static_selectorELNS0_4arch9wavefront6targetE1EEEvSV_
                                        ; -- End function
	.section	.AMDGPU.csdata,"",@progbits
; Kernel info:
; codeLenInByte = 0
; NumSgprs: 4
; NumVgprs: 0
; NumAgprs: 0
; TotalNumVgprs: 0
; ScratchSize: 0
; MemoryBound: 0
; FloatMode: 240
; IeeeMode: 1
; LDSByteSize: 0 bytes/workgroup (compile time only)
; SGPRBlocks: 0
; VGPRBlocks: 0
; NumSGPRsForWavesPerEU: 4
; NumVGPRsForWavesPerEU: 1
; AccumOffset: 4
; Occupancy: 8
; WaveLimiterHint : 0
; COMPUTE_PGM_RSRC2:SCRATCH_EN: 0
; COMPUTE_PGM_RSRC2:USER_SGPR: 6
; COMPUTE_PGM_RSRC2:TRAP_HANDLER: 0
; COMPUTE_PGM_RSRC2:TGID_X_EN: 1
; COMPUTE_PGM_RSRC2:TGID_Y_EN: 0
; COMPUTE_PGM_RSRC2:TGID_Z_EN: 0
; COMPUTE_PGM_RSRC2:TIDIG_COMP_CNT: 0
; COMPUTE_PGM_RSRC3_GFX90A:ACCUM_OFFSET: 0
; COMPUTE_PGM_RSRC3_GFX90A:TG_SPLIT: 0
	.section	.text._ZN7rocprim17ROCPRIM_400000_NS6detail17trampoline_kernelINS0_13select_configILj256ELj13ELNS0_17block_load_methodE3ELS4_3ELS4_3ELNS0_20block_scan_algorithmE0ELj4294967295EEENS1_25partition_config_selectorILNS1_17partition_subalgoE3EjNS0_10empty_typeEbEEZZNS1_14partition_implILS8_3ELb0ES6_jNS0_17counting_iteratorIjlEEPS9_SE_NS0_5tupleIJPjSE_EEENSF_IJSE_SE_EEES9_SG_JZNS1_25segmented_radix_sort_implINS0_14default_configELb1EPKlPlSM_SN_N2at6native12_GLOBAL__N_18offset_tEEE10hipError_tPvRmT1_PNSt15iterator_traitsISV_E10value_typeET2_T3_PNSW_IS11_E10value_typeET4_jRbjT5_S17_jjP12ihipStream_tbEUljE_EEESS_ST_SU_S11_S15_S17_T6_T7_T9_mT8_S19_bDpT10_ENKUlT_T0_E_clISt17integral_constantIbLb0EES1L_IbLb1EEEEDaS1H_S1I_EUlS1H_E_NS1_11comp_targetILNS1_3genE4ELNS1_11target_archE910ELNS1_3gpuE8ELNS1_3repE0EEENS1_30default_config_static_selectorELNS0_4arch9wavefront6targetE1EEEvSV_,"axG",@progbits,_ZN7rocprim17ROCPRIM_400000_NS6detail17trampoline_kernelINS0_13select_configILj256ELj13ELNS0_17block_load_methodE3ELS4_3ELS4_3ELNS0_20block_scan_algorithmE0ELj4294967295EEENS1_25partition_config_selectorILNS1_17partition_subalgoE3EjNS0_10empty_typeEbEEZZNS1_14partition_implILS8_3ELb0ES6_jNS0_17counting_iteratorIjlEEPS9_SE_NS0_5tupleIJPjSE_EEENSF_IJSE_SE_EEES9_SG_JZNS1_25segmented_radix_sort_implINS0_14default_configELb1EPKlPlSM_SN_N2at6native12_GLOBAL__N_18offset_tEEE10hipError_tPvRmT1_PNSt15iterator_traitsISV_E10value_typeET2_T3_PNSW_IS11_E10value_typeET4_jRbjT5_S17_jjP12ihipStream_tbEUljE_EEESS_ST_SU_S11_S15_S17_T6_T7_T9_mT8_S19_bDpT10_ENKUlT_T0_E_clISt17integral_constantIbLb0EES1L_IbLb1EEEEDaS1H_S1I_EUlS1H_E_NS1_11comp_targetILNS1_3genE4ELNS1_11target_archE910ELNS1_3gpuE8ELNS1_3repE0EEENS1_30default_config_static_selectorELNS0_4arch9wavefront6targetE1EEEvSV_,comdat
	.globl	_ZN7rocprim17ROCPRIM_400000_NS6detail17trampoline_kernelINS0_13select_configILj256ELj13ELNS0_17block_load_methodE3ELS4_3ELS4_3ELNS0_20block_scan_algorithmE0ELj4294967295EEENS1_25partition_config_selectorILNS1_17partition_subalgoE3EjNS0_10empty_typeEbEEZZNS1_14partition_implILS8_3ELb0ES6_jNS0_17counting_iteratorIjlEEPS9_SE_NS0_5tupleIJPjSE_EEENSF_IJSE_SE_EEES9_SG_JZNS1_25segmented_radix_sort_implINS0_14default_configELb1EPKlPlSM_SN_N2at6native12_GLOBAL__N_18offset_tEEE10hipError_tPvRmT1_PNSt15iterator_traitsISV_E10value_typeET2_T3_PNSW_IS11_E10value_typeET4_jRbjT5_S17_jjP12ihipStream_tbEUljE_EEESS_ST_SU_S11_S15_S17_T6_T7_T9_mT8_S19_bDpT10_ENKUlT_T0_E_clISt17integral_constantIbLb0EES1L_IbLb1EEEEDaS1H_S1I_EUlS1H_E_NS1_11comp_targetILNS1_3genE4ELNS1_11target_archE910ELNS1_3gpuE8ELNS1_3repE0EEENS1_30default_config_static_selectorELNS0_4arch9wavefront6targetE1EEEvSV_ ; -- Begin function _ZN7rocprim17ROCPRIM_400000_NS6detail17trampoline_kernelINS0_13select_configILj256ELj13ELNS0_17block_load_methodE3ELS4_3ELS4_3ELNS0_20block_scan_algorithmE0ELj4294967295EEENS1_25partition_config_selectorILNS1_17partition_subalgoE3EjNS0_10empty_typeEbEEZZNS1_14partition_implILS8_3ELb0ES6_jNS0_17counting_iteratorIjlEEPS9_SE_NS0_5tupleIJPjSE_EEENSF_IJSE_SE_EEES9_SG_JZNS1_25segmented_radix_sort_implINS0_14default_configELb1EPKlPlSM_SN_N2at6native12_GLOBAL__N_18offset_tEEE10hipError_tPvRmT1_PNSt15iterator_traitsISV_E10value_typeET2_T3_PNSW_IS11_E10value_typeET4_jRbjT5_S17_jjP12ihipStream_tbEUljE_EEESS_ST_SU_S11_S15_S17_T6_T7_T9_mT8_S19_bDpT10_ENKUlT_T0_E_clISt17integral_constantIbLb0EES1L_IbLb1EEEEDaS1H_S1I_EUlS1H_E_NS1_11comp_targetILNS1_3genE4ELNS1_11target_archE910ELNS1_3gpuE8ELNS1_3repE0EEENS1_30default_config_static_selectorELNS0_4arch9wavefront6targetE1EEEvSV_
	.p2align	8
	.type	_ZN7rocprim17ROCPRIM_400000_NS6detail17trampoline_kernelINS0_13select_configILj256ELj13ELNS0_17block_load_methodE3ELS4_3ELS4_3ELNS0_20block_scan_algorithmE0ELj4294967295EEENS1_25partition_config_selectorILNS1_17partition_subalgoE3EjNS0_10empty_typeEbEEZZNS1_14partition_implILS8_3ELb0ES6_jNS0_17counting_iteratorIjlEEPS9_SE_NS0_5tupleIJPjSE_EEENSF_IJSE_SE_EEES9_SG_JZNS1_25segmented_radix_sort_implINS0_14default_configELb1EPKlPlSM_SN_N2at6native12_GLOBAL__N_18offset_tEEE10hipError_tPvRmT1_PNSt15iterator_traitsISV_E10value_typeET2_T3_PNSW_IS11_E10value_typeET4_jRbjT5_S17_jjP12ihipStream_tbEUljE_EEESS_ST_SU_S11_S15_S17_T6_T7_T9_mT8_S19_bDpT10_ENKUlT_T0_E_clISt17integral_constantIbLb0EES1L_IbLb1EEEEDaS1H_S1I_EUlS1H_E_NS1_11comp_targetILNS1_3genE4ELNS1_11target_archE910ELNS1_3gpuE8ELNS1_3repE0EEENS1_30default_config_static_selectorELNS0_4arch9wavefront6targetE1EEEvSV_,@function
_ZN7rocprim17ROCPRIM_400000_NS6detail17trampoline_kernelINS0_13select_configILj256ELj13ELNS0_17block_load_methodE3ELS4_3ELS4_3ELNS0_20block_scan_algorithmE0ELj4294967295EEENS1_25partition_config_selectorILNS1_17partition_subalgoE3EjNS0_10empty_typeEbEEZZNS1_14partition_implILS8_3ELb0ES6_jNS0_17counting_iteratorIjlEEPS9_SE_NS0_5tupleIJPjSE_EEENSF_IJSE_SE_EEES9_SG_JZNS1_25segmented_radix_sort_implINS0_14default_configELb1EPKlPlSM_SN_N2at6native12_GLOBAL__N_18offset_tEEE10hipError_tPvRmT1_PNSt15iterator_traitsISV_E10value_typeET2_T3_PNSW_IS11_E10value_typeET4_jRbjT5_S17_jjP12ihipStream_tbEUljE_EEESS_ST_SU_S11_S15_S17_T6_T7_T9_mT8_S19_bDpT10_ENKUlT_T0_E_clISt17integral_constantIbLb0EES1L_IbLb1EEEEDaS1H_S1I_EUlS1H_E_NS1_11comp_targetILNS1_3genE4ELNS1_11target_archE910ELNS1_3gpuE8ELNS1_3repE0EEENS1_30default_config_static_selectorELNS0_4arch9wavefront6targetE1EEEvSV_: ; @_ZN7rocprim17ROCPRIM_400000_NS6detail17trampoline_kernelINS0_13select_configILj256ELj13ELNS0_17block_load_methodE3ELS4_3ELS4_3ELNS0_20block_scan_algorithmE0ELj4294967295EEENS1_25partition_config_selectorILNS1_17partition_subalgoE3EjNS0_10empty_typeEbEEZZNS1_14partition_implILS8_3ELb0ES6_jNS0_17counting_iteratorIjlEEPS9_SE_NS0_5tupleIJPjSE_EEENSF_IJSE_SE_EEES9_SG_JZNS1_25segmented_radix_sort_implINS0_14default_configELb1EPKlPlSM_SN_N2at6native12_GLOBAL__N_18offset_tEEE10hipError_tPvRmT1_PNSt15iterator_traitsISV_E10value_typeET2_T3_PNSW_IS11_E10value_typeET4_jRbjT5_S17_jjP12ihipStream_tbEUljE_EEESS_ST_SU_S11_S15_S17_T6_T7_T9_mT8_S19_bDpT10_ENKUlT_T0_E_clISt17integral_constantIbLb0EES1L_IbLb1EEEEDaS1H_S1I_EUlS1H_E_NS1_11comp_targetILNS1_3genE4ELNS1_11target_archE910ELNS1_3gpuE8ELNS1_3repE0EEENS1_30default_config_static_selectorELNS0_4arch9wavefront6targetE1EEEvSV_
; %bb.0:
	s_load_dwordx2 s[28:29], s[4:5], 0x10
	s_load_dwordx2 s[24:25], s[4:5], 0x28
	;; [unrolled: 1-line block ×3, first 2 shown]
	s_load_dwordx4 s[20:23], s[4:5], 0x48
	s_load_dword s14, s[4:5], 0x90
	s_load_dwordx2 s[30:31], s[4:5], 0x68
	s_load_dwordx4 s[8:11], s[4:5], 0x80
	v_cmp_eq_u32_e64 s[0:1], 0, v0
	s_and_saveexec_b64 s[2:3], s[0:1]
	s_cbranch_execz .LBB698_4
; %bb.1:
	s_mov_b64 s[12:13], exec
	v_mbcnt_lo_u32_b32 v1, s12, 0
	v_mbcnt_hi_u32_b32 v1, s13, v1
	v_cmp_eq_u32_e32 vcc, 0, v1
                                        ; implicit-def: $vgpr2
	s_and_saveexec_b64 s[6:7], vcc
	s_cbranch_execz .LBB698_3
; %bb.2:
	s_load_dwordx2 s[16:17], s[4:5], 0x78
	s_bcnt1_i32_b64 s12, s[12:13]
	v_mov_b32_e32 v2, 0
	v_mov_b32_e32 v3, s12
	s_waitcnt lgkmcnt(0)
	global_atomic_add v2, v2, v3, s[16:17] glc
.LBB698_3:
	s_or_b64 exec, exec, s[6:7]
	s_waitcnt vmcnt(0)
	v_readfirstlane_b32 s6, v2
	v_add_u32_e32 v1, s6, v1
	v_mov_b32_e32 v2, 0
	ds_write_b32 v2, v1
.LBB698_4:
	s_or_b64 exec, exec, s[2:3]
	v_mov_b32_e32 v1, 0
	s_load_dword s2, s[4:5], 0x8
	s_load_dword s6, s[4:5], 0x70
	s_waitcnt lgkmcnt(0)
	s_barrier
	ds_read_b32 v2, v1
	s_waitcnt lgkmcnt(0)
	s_barrier
	global_load_dwordx2 v[20:21], v1, s[22:23]
	s_add_i32 s7, s2, s28
	s_movk_i32 s2, 0xd00
	s_add_i32 s4, s6, -1
	s_mulk_i32 s6, 0xd00
	v_mul_lo_u32 v34, v2, s2
	s_add_u32 s2, s28, s6
	v_readfirstlane_b32 s40, v2
	s_addc_u32 s3, s29, 0
	s_cmp_eq_u32 s40, s4
	v_pk_mov_b32 v[2:3], s[26:27], s[26:27] op_sel:[0,1]
	s_cselect_b64 s[22:23], -1, 0
	s_cmp_lg_u32 s40, s4
	v_cmp_lt_u64_e32 vcc, s[2:3], v[2:3]
	s_cselect_b64 s[2:3], -1, 0
	s_or_b64 s[4:5], vcc, s[2:3]
	v_add_u32_e32 v1, s7, v34
	s_mov_b64 s[2:3], -1
	s_and_b64 vcc, exec, s[4:5]
	v_add_u32_e32 v2, v1, v0
	v_lshlrev_b32_e32 v1, 2, v0
	s_cbranch_vccz .LBB698_6
; %bb.5:
	v_add_u32_e32 v3, 0x100, v2
	v_add_u32_e32 v4, 0x200, v2
	;; [unrolled: 1-line block ×12, first 2 shown]
	ds_write2st64_b32 v1, v2, v3 offset1:4
	ds_write2st64_b32 v1, v4, v5 offset0:8 offset1:12
	ds_write2st64_b32 v1, v6, v7 offset0:16 offset1:20
	;; [unrolled: 1-line block ×5, first 2 shown]
	ds_write_b32 v1, v14 offset:12288
	s_waitcnt lgkmcnt(0)
	s_barrier
	s_mov_b64 s[2:3], 0
.LBB698_6:
	s_andn2_b64 vcc, exec, s[2:3]
	s_add_i32 s6, s6, s28
	s_cbranch_vccnz .LBB698_8
; %bb.7:
	v_add_u32_e32 v3, 0x100, v2
	v_add_u32_e32 v4, 0x200, v2
	;; [unrolled: 1-line block ×12, first 2 shown]
	ds_write2st64_b32 v1, v2, v3 offset1:4
	ds_write2st64_b32 v1, v4, v5 offset0:8 offset1:12
	ds_write2st64_b32 v1, v6, v7 offset0:16 offset1:20
	;; [unrolled: 1-line block ×5, first 2 shown]
	ds_write_b32 v1, v14 offset:12288
	s_waitcnt lgkmcnt(0)
	s_barrier
.LBB698_8:
	v_mul_u32_u24_e32 v36, 13, v0
	v_lshlrev_b32_e32 v2, 2, v36
	ds_read2_b32 v[32:33], v2 offset1:1
	ds_read2_b32 v[30:31], v2 offset0:2 offset1:3
	ds_read2_b32 v[28:29], v2 offset0:4 offset1:5
	;; [unrolled: 1-line block ×5, first 2 shown]
	ds_read_b32 v35, v2 offset:48
	v_cndmask_b32_e64 v2, 0, 1, s[4:5]
	s_sub_i32 s33, s26, s6
	v_cmp_ne_u32_e64 s[2:3], 1, v2
	s_andn2_b64 vcc, exec, s[4:5]
	s_waitcnt lgkmcnt(0)
	s_barrier
	s_cbranch_vccnz .LBB698_10
; %bb.9:
	v_add_u32_e32 v2, s9, v32
	v_add_u32_e32 v3, s11, v32
	v_mul_lo_u32 v2, v2, s8
	v_mul_lo_u32 v3, v3, s10
	v_sub_u32_e32 v2, v2, v3
	v_add_u32_e32 v3, s9, v33
	v_add_u32_e32 v4, s11, v33
	v_mul_lo_u32 v3, v3, s8
	v_mul_lo_u32 v4, v4, s10
	v_sub_u32_e32 v3, v3, v4
	;; [unrolled: 5-line block ×6, first 2 shown]
	v_add_u32_e32 v8, s9, v26
	v_add_u32_e32 v9, s11, v26
	v_mul_lo_u32 v8, v8, s8
	v_mul_lo_u32 v9, v9, s10
	v_cmp_lt_u32_e32 vcc, s14, v2
	v_sub_u32_e32 v8, v8, v9
	v_add_u32_e32 v9, s9, v27
	v_add_u32_e32 v10, s11, v27
	v_cndmask_b32_e64 v2, 0, 1, vcc
	v_cmp_lt_u32_e32 vcc, s14, v3
	v_mul_lo_u32 v9, v9, s8
	v_mul_lo_u32 v10, v10, s10
	v_cndmask_b32_e64 v3, 0, 1, vcc
	v_cmp_lt_u32_e32 vcc, s14, v4
	v_sub_u32_e32 v9, v9, v10
	v_add_u32_e32 v10, s9, v24
	v_add_u32_e32 v11, s11, v24
	v_cndmask_b32_e64 v4, 0, 1, vcc
	v_cmp_lt_u32_e32 vcc, s14, v5
	v_mul_lo_u32 v10, v10, s8
	v_mul_lo_u32 v11, v11, s10
	v_cndmask_b32_e64 v5, 0, 1, vcc
	;; [unrolled: 9-line block ×4, first 2 shown]
	v_cmp_lt_u32_e32 vcc, s14, v10
	v_sub_u32_e32 v12, v12, v13
	v_add_u32_e32 v13, s9, v23
	v_add_u32_e32 v14, s11, v23
	v_lshlrev_b16_e32 v3, 8, v3
	v_cndmask_b32_e64 v10, 0, 1, vcc
	v_cmp_lt_u32_e32 vcc, s14, v11
	v_mul_lo_u32 v13, v13, s8
	v_mul_lo_u32 v14, v14, s10
	v_or_b32_e32 v2, v2, v3
	v_lshlrev_b16_e32 v3, 8, v5
	v_cndmask_b32_e64 v11, 0, 1, vcc
	v_cmp_lt_u32_e32 vcc, s14, v12
	v_sub_u32_e32 v13, v13, v14
	v_or_b32_sdwa v3, v4, v3 dst_sel:WORD_1 dst_unused:UNUSED_PAD src0_sel:DWORD src1_sel:DWORD
	v_cndmask_b32_e64 v12, 0, 1, vcc
	v_cmp_lt_u32_e32 vcc, s14, v13
	v_add_u32_e32 v14, s9, v35
	v_add_u32_e32 v15, s11, v35
	v_or_b32_sdwa v40, v2, v3 dst_sel:DWORD dst_unused:UNUSED_PAD src0_sel:WORD_0 src1_sel:DWORD
	v_lshlrev_b16_e32 v2, 8, v7
	v_lshlrev_b16_e32 v3, 8, v9
	v_cndmask_b32_e64 v13, 0, 1, vcc
	v_mul_lo_u32 v14, v14, s8
	v_mul_lo_u32 v15, v15, s10
	v_or_b32_e32 v2, v6, v2
	v_or_b32_sdwa v3, v8, v3 dst_sel:WORD_1 dst_unused:UNUSED_PAD src0_sel:DWORD src1_sel:DWORD
	v_sub_u32_e32 v14, v14, v15
	v_or_b32_sdwa v39, v2, v3 dst_sel:DWORD dst_unused:UNUSED_PAD src0_sel:WORD_0 src1_sel:DWORD
	v_lshlrev_b16_e32 v2, 8, v11
	v_lshlrev_b16_e32 v3, 8, v13
	v_cmp_lt_u32_e32 vcc, s14, v14
	v_or_b32_e32 v2, v10, v2
	v_or_b32_sdwa v3, v12, v3 dst_sel:WORD_1 dst_unused:UNUSED_PAD src0_sel:DWORD src1_sel:DWORD
	v_cndmask_b32_e64 v37, 0, 1, vcc
	v_or_b32_sdwa v38, v2, v3 dst_sel:DWORD dst_unused:UNUSED_PAD src0_sel:WORD_0 src1_sel:DWORD
	s_addk_i32 s33, 0xd00
	s_cbranch_execz .LBB698_11
	s_branch .LBB698_38
.LBB698_10:
                                        ; implicit-def: $vgpr37
                                        ; implicit-def: $vgpr38
                                        ; implicit-def: $vgpr39
                                        ; implicit-def: $vgpr40
	s_addk_i32 s33, 0xd00
.LBB698_11:
	v_cmp_gt_u32_e32 vcc, s33, v36
	v_mov_b32_e32 v3, 0
	v_mov_b32_e32 v2, 0
	s_and_saveexec_b64 s[4:5], vcc
; %bb.12:
	v_add_u32_e32 v2, s9, v32
	v_add_u32_e32 v4, s11, v32
	v_mul_lo_u32 v2, v2, s8
	v_mul_lo_u32 v4, v4, s10
	v_sub_u32_e32 v2, v2, v4
	v_cmp_lt_u32_e32 vcc, s14, v2
	v_cndmask_b32_e64 v2, 0, 1, vcc
; %bb.13:
	s_or_b64 exec, exec, s[4:5]
	v_add_u32_e32 v4, 1, v36
	v_cmp_gt_u32_e32 vcc, s33, v4
	s_and_saveexec_b64 s[4:5], vcc
; %bb.14:
	v_add_u32_e32 v3, s9, v33
	v_add_u32_e32 v4, s11, v33
	v_mul_lo_u32 v3, v3, s8
	v_mul_lo_u32 v4, v4, s10
	v_sub_u32_e32 v3, v3, v4
	v_cmp_lt_u32_e32 vcc, s14, v3
	v_cndmask_b32_e64 v3, 0, 1, vcc
; %bb.15:
	s_or_b64 exec, exec, s[4:5]
	v_add_u32_e32 v4, 2, v36
	v_cmp_gt_u32_e32 vcc, s33, v4
	v_mov_b32_e32 v5, 0
	v_mov_b32_e32 v4, 0
	s_and_saveexec_b64 s[4:5], vcc
; %bb.16:
	v_add_u32_e32 v4, s9, v30
	v_add_u32_e32 v6, s11, v30
	v_mul_lo_u32 v4, v4, s8
	v_mul_lo_u32 v6, v6, s10
	v_sub_u32_e32 v4, v4, v6
	v_cmp_lt_u32_e32 vcc, s14, v4
	v_cndmask_b32_e64 v4, 0, 1, vcc
; %bb.17:
	s_or_b64 exec, exec, s[4:5]
	v_add_u32_e32 v6, 3, v36
	v_cmp_gt_u32_e32 vcc, s33, v6
	s_and_saveexec_b64 s[4:5], vcc
; %bb.18:
	v_add_u32_e32 v5, s9, v31
	v_add_u32_e32 v6, s11, v31
	v_mul_lo_u32 v5, v5, s8
	v_mul_lo_u32 v6, v6, s10
	v_sub_u32_e32 v5, v5, v6
	v_cmp_lt_u32_e32 vcc, s14, v5
	v_cndmask_b32_e64 v5, 0, 1, vcc
; %bb.19:
	s_or_b64 exec, exec, s[4:5]
	v_add_u32_e32 v6, 4, v36
	;; [unrolled: 28-line block ×6, first 2 shown]
	v_cmp_gt_u32_e32 vcc, s33, v14
	v_mov_b32_e32 v37, 0
	s_and_saveexec_b64 s[4:5], vcc
; %bb.36:
	v_add_u32_e32 v14, s9, v35
	v_add_u32_e32 v15, s11, v35
	v_mul_lo_u32 v14, v14, s8
	v_mul_lo_u32 v15, v15, s10
	v_sub_u32_e32 v14, v14, v15
	v_cmp_lt_u32_e32 vcc, s14, v14
	v_cndmask_b32_e64 v37, 0, 1, vcc
; %bb.37:
	s_or_b64 exec, exec, s[4:5]
	v_lshlrev_b16_e32 v3, 8, v3
	v_or_b32_e32 v2, v2, v3
	v_lshlrev_b16_e32 v3, 8, v5
	v_or_b32_sdwa v3, v4, v3 dst_sel:WORD_1 dst_unused:UNUSED_PAD src0_sel:DWORD src1_sel:DWORD
	v_or_b32_sdwa v40, v2, v3 dst_sel:DWORD dst_unused:UNUSED_PAD src0_sel:WORD_0 src1_sel:DWORD
	v_lshlrev_b16_e32 v2, 8, v7
	v_lshlrev_b16_e32 v3, 8, v9
	v_or_b32_e32 v2, v6, v2
	v_or_b32_sdwa v3, v8, v3 dst_sel:WORD_1 dst_unused:UNUSED_PAD src0_sel:DWORD src1_sel:DWORD
	v_or_b32_sdwa v39, v2, v3 dst_sel:DWORD dst_unused:UNUSED_PAD src0_sel:WORD_0 src1_sel:DWORD
	v_lshlrev_b16_e32 v2, 8, v11
	v_lshlrev_b16_e32 v3, 8, v13
	v_or_b32_e32 v2, v10, v2
	v_or_b32_sdwa v3, v12, v3 dst_sel:WORD_1 dst_unused:UNUSED_PAD src0_sel:DWORD src1_sel:DWORD
	v_or_b32_sdwa v38, v2, v3 dst_sel:DWORD dst_unused:UNUSED_PAD src0_sel:WORD_0 src1_sel:DWORD
.LBB698_38:
	v_and_b32_e32 v44, 0xff, v40
	v_bfe_u32 v45, v40, 8, 8
	v_bfe_u32 v46, v40, 16, 8
	v_lshrrev_b32_e32 v43, 24, v40
	v_and_b32_e32 v47, 0xff, v39
	v_add3_u32 v3, v45, v44, v46
	v_bfe_u32 v48, v39, 8, 8
	v_bfe_u32 v49, v39, 16, 8
	v_add3_u32 v3, v3, v43, v47
	v_lshrrev_b32_e32 v42, 24, v39
	v_and_b32_e32 v50, 0xff, v38
	v_add3_u32 v3, v3, v48, v49
	v_bfe_u32 v51, v38, 8, 8
	v_bfe_u32 v52, v38, 16, 8
	v_add3_u32 v3, v3, v42, v50
	v_lshrrev_b32_e32 v41, 24, v38
	v_and_b32_e32 v2, 0xff, v37
	v_add3_u32 v3, v3, v51, v52
	v_add3_u32 v55, v3, v41, v2
	v_mbcnt_lo_u32_b32 v2, -1, 0
	v_mbcnt_hi_u32_b32 v53, -1, v2
	v_and_b32_e32 v2, 15, v53
	v_cmp_eq_u32_e64 s[16:17], 0, v2
	v_cmp_lt_u32_e64 s[14:15], 1, v2
	v_cmp_lt_u32_e64 s[12:13], 3, v2
	;; [unrolled: 1-line block ×3, first 2 shown]
	v_and_b32_e32 v2, 16, v53
	v_cmp_eq_u32_e64 s[8:9], 0, v2
	v_or_b32_e32 v2, 63, v0
	s_cmp_lg_u32 s40, 0
	v_cmp_lt_u32_e64 s[4:5], 31, v53
	v_lshrrev_b32_e32 v54, 6, v0
	v_cmp_eq_u32_e64 s[6:7], v2, v0
	s_cbranch_scc0 .LBB698_65
; %bb.39:
	v_mov_b32_dpp v2, v55 row_shr:1 row_mask:0xf bank_mask:0xf
	v_cndmask_b32_e64 v2, v2, 0, s[16:17]
	v_add_u32_e32 v2, v2, v55
	s_nop 1
	v_mov_b32_dpp v3, v2 row_shr:2 row_mask:0xf bank_mask:0xf
	v_cndmask_b32_e64 v3, 0, v3, s[14:15]
	v_add_u32_e32 v2, v2, v3
	s_nop 1
	;; [unrolled: 4-line block ×4, first 2 shown]
	v_mov_b32_dpp v3, v2 row_bcast:15 row_mask:0xf bank_mask:0xf
	v_cndmask_b32_e64 v3, v3, 0, s[8:9]
	v_add_u32_e32 v2, v2, v3
	s_nop 1
	v_mov_b32_dpp v3, v2 row_bcast:31 row_mask:0xf bank_mask:0xf
	v_cndmask_b32_e64 v3, 0, v3, s[4:5]
	v_add_u32_e32 v2, v2, v3
	s_and_saveexec_b64 s[18:19], s[6:7]
	s_cbranch_execz .LBB698_41
; %bb.40:
	v_lshlrev_b32_e32 v3, 2, v54
	ds_write_b32 v3, v2
.LBB698_41:
	s_or_b64 exec, exec, s[18:19]
	v_cmp_gt_u32_e32 vcc, 4, v0
	s_waitcnt lgkmcnt(0)
	s_barrier
	s_and_saveexec_b64 s[18:19], vcc
	s_cbranch_execz .LBB698_43
; %bb.42:
	ds_read_b32 v3, v1
	v_and_b32_e32 v4, 3, v53
	v_cmp_ne_u32_e32 vcc, 0, v4
	s_waitcnt lgkmcnt(0)
	v_mov_b32_dpp v5, v3 row_shr:1 row_mask:0xf bank_mask:0xf
	v_cndmask_b32_e32 v5, 0, v5, vcc
	v_add_u32_e32 v3, v5, v3
	v_cmp_lt_u32_e32 vcc, 1, v4
	s_nop 0
	v_mov_b32_dpp v5, v3 row_shr:2 row_mask:0xf bank_mask:0xf
	v_cndmask_b32_e32 v4, 0, v5, vcc
	v_add_u32_e32 v3, v3, v4
	ds_write_b32 v1, v3
.LBB698_43:
	s_or_b64 exec, exec, s[18:19]
	v_cmp_gt_u32_e32 vcc, 64, v0
	v_cmp_lt_u32_e64 s[18:19], 63, v0
	s_waitcnt lgkmcnt(0)
	s_barrier
	s_waitcnt lgkmcnt(0)
                                        ; implicit-def: $vgpr12
	s_and_saveexec_b64 s[34:35], s[18:19]
	s_cbranch_execz .LBB698_45
; %bb.44:
	v_lshl_add_u32 v3, v54, 2, -4
	ds_read_b32 v12, v3
	s_waitcnt lgkmcnt(0)
	v_add_u32_e32 v2, v12, v2
.LBB698_45:
	s_or_b64 exec, exec, s[34:35]
	v_add_u32_e32 v3, -1, v53
	v_and_b32_e32 v4, 64, v53
	v_cmp_lt_i32_e64 s[18:19], v3, v4
	v_cndmask_b32_e64 v3, v3, v53, s[18:19]
	v_lshlrev_b32_e32 v3, 2, v3
	ds_bpermute_b32 v13, v3, v2
	v_cmp_eq_u32_e64 s[18:19], 0, v53
	s_and_saveexec_b64 s[34:35], vcc
	s_cbranch_execz .LBB698_64
; %bb.46:
	v_mov_b32_e32 v9, 0
	ds_read_b32 v2, v9 offset:12
	s_and_saveexec_b64 s[36:37], s[18:19]
	s_cbranch_execz .LBB698_48
; %bb.47:
	s_add_i32 s38, s40, 64
	s_mov_b32 s39, 0
	s_lshl_b64 s[38:39], s[38:39], 3
	s_add_u32 s38, s30, s38
	v_mov_b32_e32 v3, 1
	s_addc_u32 s39, s31, s39
	s_waitcnt lgkmcnt(0)
	global_store_dwordx2 v9, v[2:3], s[38:39]
.LBB698_48:
	s_or_b64 exec, exec, s[36:37]
	v_xad_u32 v4, v53, -1, s40
	v_add_u32_e32 v8, 64, v4
	v_lshlrev_b64 v[6:7], 3, v[8:9]
	v_mov_b32_e32 v3, s31
	v_add_co_u32_e32 v10, vcc, s30, v6
	v_addc_co_u32_e32 v11, vcc, v3, v7, vcc
	global_load_dwordx2 v[6:7], v[10:11], off glc
	s_waitcnt vmcnt(0)
	v_cmp_eq_u16_sdwa s[38:39], v7, v9 src0_sel:BYTE_0 src1_sel:DWORD
	s_and_saveexec_b64 s[36:37], s[38:39]
	s_cbranch_execz .LBB698_52
; %bb.49:
	s_mov_b64 s[38:39], 0
	v_mov_b32_e32 v3, 0
.LBB698_50:                             ; =>This Inner Loop Header: Depth=1
	global_load_dwordx2 v[6:7], v[10:11], off glc
	s_waitcnt vmcnt(0)
	v_cmp_ne_u16_sdwa s[42:43], v7, v3 src0_sel:BYTE_0 src1_sel:DWORD
	s_or_b64 s[38:39], s[42:43], s[38:39]
	s_andn2_b64 exec, exec, s[38:39]
	s_cbranch_execnz .LBB698_50
; %bb.51:
	s_or_b64 exec, exec, s[38:39]
.LBB698_52:
	s_or_b64 exec, exec, s[36:37]
	v_and_b32_e32 v14, 63, v53
	v_mov_b32_e32 v3, 2
	v_cmp_ne_u32_e32 vcc, 63, v14
	v_cmp_eq_u16_sdwa s[36:37], v7, v3 src0_sel:BYTE_0 src1_sel:DWORD
	v_lshlrev_b64 v[8:9], v53, -1
	v_addc_co_u32_e32 v11, vcc, 0, v53, vcc
	v_and_b32_e32 v5, s37, v9
	v_lshlrev_b32_e32 v15, 2, v11
	v_or_b32_e32 v5, 0x80000000, v5
	ds_bpermute_b32 v11, v15, v6
	v_and_b32_e32 v10, s36, v8
	v_ffbl_b32_e32 v5, v5
	v_add_u32_e32 v5, 32, v5
	v_ffbl_b32_e32 v10, v10
	v_min_u32_e32 v5, v10, v5
	v_cmp_lt_u32_e32 vcc, v14, v5
	s_waitcnt lgkmcnt(0)
	v_cndmask_b32_e32 v10, 0, v11, vcc
	v_cmp_gt_u32_e32 vcc, 62, v14
	v_add_u32_e32 v6, v10, v6
	v_cndmask_b32_e64 v10, 0, 1, vcc
	v_lshlrev_b32_e32 v10, 1, v10
	v_add_lshl_u32 v16, v10, v53, 2
	ds_bpermute_b32 v10, v16, v6
	v_add_u32_e32 v17, 2, v14
	v_cmp_le_u32_e32 vcc, v17, v5
	v_add_u32_e32 v19, 4, v14
	v_add_u32_e32 v57, 8, v14
	s_waitcnt lgkmcnt(0)
	v_cndmask_b32_e32 v10, 0, v10, vcc
	v_cmp_gt_u32_e32 vcc, 60, v14
	v_add_u32_e32 v6, v6, v10
	v_cndmask_b32_e64 v10, 0, 1, vcc
	v_lshlrev_b32_e32 v10, 2, v10
	v_add_lshl_u32 v18, v10, v53, 2
	ds_bpermute_b32 v10, v18, v6
	v_cmp_le_u32_e32 vcc, v19, v5
	v_add_u32_e32 v60, 16, v14
	v_add_u32_e32 v62, 32, v14
	s_waitcnt lgkmcnt(0)
	v_cndmask_b32_e32 v10, 0, v10, vcc
	v_cmp_gt_u32_e32 vcc, 56, v14
	v_add_u32_e32 v6, v6, v10
	v_cndmask_b32_e64 v10, 0, 1, vcc
	v_lshlrev_b32_e32 v10, 3, v10
	v_add_lshl_u32 v56, v10, v53, 2
	ds_bpermute_b32 v10, v56, v6
	v_cmp_le_u32_e32 vcc, v57, v5
	s_waitcnt lgkmcnt(0)
	v_cndmask_b32_e32 v10, 0, v10, vcc
	v_cmp_gt_u32_e32 vcc, 48, v14
	v_add_u32_e32 v6, v6, v10
	v_cndmask_b32_e64 v10, 0, 1, vcc
	v_lshlrev_b32_e32 v10, 4, v10
	v_add_lshl_u32 v59, v10, v53, 2
	ds_bpermute_b32 v10, v59, v6
	v_cmp_le_u32_e32 vcc, v60, v5
	;; [unrolled: 9-line block ×3, first 2 shown]
	s_waitcnt lgkmcnt(0)
	v_cndmask_b32_e32 v5, 0, v10, vcc
	v_add_u32_e32 v6, v6, v5
	v_mov_b32_e32 v5, 0
	s_branch .LBB698_54
.LBB698_53:                             ;   in Loop: Header=BB698_54 Depth=1
	s_or_b64 exec, exec, s[36:37]
	v_cmp_eq_u16_sdwa s[36:37], v7, v3 src0_sel:BYTE_0 src1_sel:DWORD
	v_and_b32_e32 v10, s37, v9
	v_or_b32_e32 v10, 0x80000000, v10
	ds_bpermute_b32 v63, v15, v6
	v_and_b32_e32 v11, s36, v8
	v_ffbl_b32_e32 v10, v10
	v_add_u32_e32 v10, 32, v10
	v_ffbl_b32_e32 v11, v11
	v_min_u32_e32 v10, v11, v10
	v_cmp_lt_u32_e32 vcc, v14, v10
	s_waitcnt lgkmcnt(0)
	v_cndmask_b32_e32 v11, 0, v63, vcc
	v_add_u32_e32 v6, v11, v6
	ds_bpermute_b32 v11, v16, v6
	v_cmp_le_u32_e32 vcc, v17, v10
	v_subrev_u32_e32 v4, 64, v4
	s_waitcnt lgkmcnt(0)
	v_cndmask_b32_e32 v11, 0, v11, vcc
	v_add_u32_e32 v6, v6, v11
	ds_bpermute_b32 v11, v18, v6
	v_cmp_le_u32_e32 vcc, v19, v10
	s_waitcnt lgkmcnt(0)
	v_cndmask_b32_e32 v11, 0, v11, vcc
	v_add_u32_e32 v6, v6, v11
	ds_bpermute_b32 v11, v56, v6
	v_cmp_le_u32_e32 vcc, v57, v10
	;; [unrolled: 5-line block ×4, first 2 shown]
	s_waitcnt lgkmcnt(0)
	v_cndmask_b32_e32 v10, 0, v11, vcc
	v_add3_u32 v6, v10, v58, v6
.LBB698_54:                             ; =>This Loop Header: Depth=1
                                        ;     Child Loop BB698_57 Depth 2
	v_cmp_ne_u16_sdwa s[36:37], v7, v3 src0_sel:BYTE_0 src1_sel:DWORD
	v_cndmask_b32_e64 v7, 0, 1, s[36:37]
	;;#ASMSTART
	;;#ASMEND
	v_cmp_ne_u32_e32 vcc, 0, v7
	s_cmp_lg_u64 vcc, exec
	v_mov_b32_e32 v58, v6
	s_cbranch_scc1 .LBB698_59
; %bb.55:                               ;   in Loop: Header=BB698_54 Depth=1
	v_lshlrev_b64 v[6:7], 3, v[4:5]
	v_mov_b32_e32 v11, s31
	v_add_co_u32_e32 v10, vcc, s30, v6
	v_addc_co_u32_e32 v11, vcc, v11, v7, vcc
	global_load_dwordx2 v[6:7], v[10:11], off glc
	s_waitcnt vmcnt(0)
	v_cmp_eq_u16_sdwa s[38:39], v7, v5 src0_sel:BYTE_0 src1_sel:DWORD
	s_and_saveexec_b64 s[36:37], s[38:39]
	s_cbranch_execz .LBB698_53
; %bb.56:                               ;   in Loop: Header=BB698_54 Depth=1
	s_mov_b64 s[38:39], 0
.LBB698_57:                             ;   Parent Loop BB698_54 Depth=1
                                        ; =>  This Inner Loop Header: Depth=2
	global_load_dwordx2 v[6:7], v[10:11], off glc
	s_waitcnt vmcnt(0)
	v_cmp_ne_u16_sdwa s[42:43], v7, v5 src0_sel:BYTE_0 src1_sel:DWORD
	s_or_b64 s[38:39], s[42:43], s[38:39]
	s_andn2_b64 exec, exec, s[38:39]
	s_cbranch_execnz .LBB698_57
; %bb.58:                               ;   in Loop: Header=BB698_54 Depth=1
	s_or_b64 exec, exec, s[38:39]
	s_branch .LBB698_53
.LBB698_59:                             ;   in Loop: Header=BB698_54 Depth=1
                                        ; implicit-def: $vgpr6
                                        ; implicit-def: $vgpr7
	s_cbranch_execz .LBB698_54
; %bb.60:
	s_and_saveexec_b64 s[36:37], s[18:19]
	s_cbranch_execz .LBB698_62
; %bb.61:
	s_add_i32 s38, s40, 64
	s_mov_b32 s39, 0
	s_lshl_b64 s[38:39], s[38:39], 3
	s_add_u32 s38, s30, s38
	v_add_u32_e32 v4, v58, v2
	v_mov_b32_e32 v5, 2
	s_addc_u32 s39, s31, s39
	v_mov_b32_e32 v3, 0
	global_store_dwordx2 v3, v[4:5], s[38:39]
	s_movk_i32 s38, 0x3400
	v_add_u32_e64 v3, s38, 0
	ds_write2_b32 v3, v2, v58 offset1:2
.LBB698_62:
	s_or_b64 exec, exec, s[36:37]
	s_and_b64 exec, exec, s[0:1]
	s_cbranch_execz .LBB698_64
; %bb.63:
	v_mov_b32_e32 v2, 0
	ds_write_b32 v2, v58 offset:12
.LBB698_64:
	s_or_b64 exec, exec, s[34:35]
	v_mov_b32_e32 v2, 0
	s_waitcnt lgkmcnt(0)
	s_barrier
	ds_read_b32 v2, v2 offset:12
	v_cndmask_b32_e64 v3, v13, v12, s[18:19]
	v_cndmask_b32_e64 v3, v3, 0, s[0:1]
	s_movk_i32 s18, 0x3400
	v_add_u32_e64 v12, s18, 0
	s_waitcnt lgkmcnt(0)
	v_add_u32_e32 v2, v2, v3
	v_add_u32_e32 v3, v2, v44
	;; [unrolled: 1-line block ×9, first 2 shown]
	s_barrier
	ds_read2_b32 v[18:19], v12 offset1:2
	v_add_u32_e32 v11, v10, v50
	v_add_u32_e32 v12, v11, v51
	;; [unrolled: 1-line block ×4, first 2 shown]
	s_branch .LBB698_75
.LBB698_65:
                                        ; implicit-def: $vgpr19
                                        ; implicit-def: $vgpr2_vgpr3_vgpr4_vgpr5_vgpr6_vgpr7_vgpr8_vgpr9_vgpr10_vgpr11_vgpr12_vgpr13_vgpr14_vgpr15_vgpr16_vgpr17
	s_cbranch_execz .LBB698_75
; %bb.66:
	s_nop 0
	v_mov_b32_dpp v2, v55 row_shr:1 row_mask:0xf bank_mask:0xf
	v_cndmask_b32_e64 v2, v2, 0, s[16:17]
	v_add_u32_e32 v2, v2, v55
	s_nop 1
	v_mov_b32_dpp v3, v2 row_shr:2 row_mask:0xf bank_mask:0xf
	v_cndmask_b32_e64 v3, 0, v3, s[14:15]
	v_add_u32_e32 v2, v2, v3
	s_nop 1
	v_mov_b32_dpp v3, v2 row_shr:4 row_mask:0xf bank_mask:0xf
	v_cndmask_b32_e64 v3, 0, v3, s[12:13]
	v_add_u32_e32 v2, v2, v3
	s_nop 1
	v_mov_b32_dpp v3, v2 row_shr:8 row_mask:0xf bank_mask:0xf
	v_cndmask_b32_e64 v3, 0, v3, s[10:11]
	v_add_u32_e32 v2, v2, v3
	s_nop 1
	v_mov_b32_dpp v3, v2 row_bcast:15 row_mask:0xf bank_mask:0xf
	v_cndmask_b32_e64 v3, v3, 0, s[8:9]
	v_add_u32_e32 v2, v2, v3
	s_nop 1
	v_mov_b32_dpp v3, v2 row_bcast:31 row_mask:0xf bank_mask:0xf
	v_cndmask_b32_e64 v3, 0, v3, s[4:5]
	v_add_u32_e32 v2, v2, v3
	s_and_saveexec_b64 s[4:5], s[6:7]
	s_cbranch_execz .LBB698_68
; %bb.67:
	v_lshlrev_b32_e32 v3, 2, v54
	ds_write_b32 v3, v2
.LBB698_68:
	s_or_b64 exec, exec, s[4:5]
	v_cmp_gt_u32_e32 vcc, 4, v0
	s_waitcnt lgkmcnt(0)
	s_barrier
	s_and_saveexec_b64 s[4:5], vcc
	s_cbranch_execz .LBB698_70
; %bb.69:
	ds_read_b32 v3, v1
	v_and_b32_e32 v4, 3, v53
	v_cmp_ne_u32_e32 vcc, 0, v4
	s_waitcnt lgkmcnt(0)
	v_mov_b32_dpp v5, v3 row_shr:1 row_mask:0xf bank_mask:0xf
	v_cndmask_b32_e32 v5, 0, v5, vcc
	v_add_u32_e32 v3, v5, v3
	v_cmp_lt_u32_e32 vcc, 1, v4
	s_nop 0
	v_mov_b32_dpp v5, v3 row_shr:2 row_mask:0xf bank_mask:0xf
	v_cndmask_b32_e32 v4, 0, v5, vcc
	v_add_u32_e32 v3, v3, v4
	ds_write_b32 v1, v3
.LBB698_70:
	s_or_b64 exec, exec, s[4:5]
	v_cmp_lt_u32_e32 vcc, 63, v0
	v_mov_b32_e32 v4, 0
	v_mov_b32_e32 v3, 0
	s_waitcnt lgkmcnt(0)
	s_barrier
	s_and_saveexec_b64 s[4:5], vcc
	s_cbranch_execz .LBB698_72
; %bb.71:
	v_lshl_add_u32 v3, v54, 2, -4
	ds_read_b32 v3, v3
.LBB698_72:
	s_or_b64 exec, exec, s[4:5]
	v_add_u32_e32 v5, -1, v53
	v_and_b32_e32 v6, 64, v53
	v_cmp_lt_i32_e32 vcc, v5, v6
	v_cndmask_b32_e32 v5, v5, v53, vcc
	s_waitcnt lgkmcnt(0)
	v_add_u32_e32 v2, v3, v2
	v_lshlrev_b32_e32 v5, 2, v5
	ds_bpermute_b32 v2, v5, v2
	ds_read_b32 v18, v4 offset:12
	s_and_saveexec_b64 s[4:5], s[0:1]
	s_cbranch_execz .LBB698_74
; %bb.73:
	v_mov_b32_e32 v4, 0
	v_mov_b32_e32 v19, 2
	s_waitcnt lgkmcnt(0)
	global_store_dwordx2 v4, v[18:19], s[30:31] offset:512
.LBB698_74:
	s_or_b64 exec, exec, s[4:5]
	v_cmp_eq_u32_e32 vcc, 0, v53
	s_waitcnt lgkmcnt(1)
	v_cndmask_b32_e32 v2, v2, v3, vcc
	v_cndmask_b32_e64 v2, v2, 0, s[0:1]
	v_add_u32_e32 v3, v2, v44
	v_add_u32_e32 v4, v3, v45
	;; [unrolled: 1-line block ×11, first 2 shown]
	v_mov_b32_e32 v19, 0
	v_add_u32_e32 v14, v13, v41
	s_waitcnt lgkmcnt(0)
	s_barrier
.LBB698_75:
	s_waitcnt lgkmcnt(0)
	v_add_u32_e32 v36, v18, v36
	v_sub_u32_e32 v2, v2, v19
	v_and_b32_e32 v45, 1, v40
	v_sub_u32_e32 v44, v36, v2
	v_cmp_eq_u32_e32 vcc, 1, v45
	v_cndmask_b32_e32 v2, v44, v2, vcc
	v_lshlrev_b32_e32 v2, 2, v2
	v_lshrrev_b32_e32 v17, 8, v40
	ds_write_b32 v2, v32
	v_sub_u32_e32 v2, v3, v19
	v_sub_u32_e32 v3, v36, v2
	v_and_b32_e32 v17, 1, v17
	v_add_u32_e32 v3, 1, v3
	v_cmp_eq_u32_e32 vcc, 1, v17
	v_cndmask_b32_e32 v2, v3, v2, vcc
	v_lshlrev_b32_e32 v2, 2, v2
	ds_write_b32 v2, v33
	v_sub_u32_e32 v2, v4, v19
	v_mov_b32_e32 v4, 1
	v_sub_u32_e32 v3, v36, v2
	v_and_b32_sdwa v17, v4, v40 dst_sel:DWORD dst_unused:UNUSED_PAD src0_sel:DWORD src1_sel:WORD_1
	v_add_u32_e32 v3, 2, v3
	v_cmp_eq_u32_e32 vcc, 1, v17
	v_cndmask_b32_e32 v2, v3, v2, vcc
	v_lshlrev_b32_e32 v2, 2, v2
	ds_write_b32 v2, v30
	v_sub_u32_e32 v2, v5, v19
	v_sub_u32_e32 v3, v36, v2
	v_and_b32_e32 v5, 1, v43
	v_add_u32_e32 v3, 3, v3
	v_cmp_eq_u32_e32 vcc, 1, v5
	v_cndmask_b32_e32 v2, v3, v2, vcc
	v_lshlrev_b32_e32 v2, 2, v2
	ds_write_b32 v2, v31
	v_sub_u32_e32 v2, v6, v19
	v_sub_u32_e32 v3, v36, v2
	v_and_b32_e32 v5, 1, v39
	v_add_u32_e32 v3, 4, v3
	v_cmp_eq_u32_e32 vcc, 1, v5
	v_cndmask_b32_e32 v2, v3, v2, vcc
	v_lshlrev_b32_e32 v2, 2, v2
	v_lshrrev_b32_e32 v16, 8, v39
	ds_write_b32 v2, v28
	v_sub_u32_e32 v2, v7, v19
	v_sub_u32_e32 v3, v36, v2
	v_and_b32_e32 v5, 1, v16
	v_add_u32_e32 v3, 5, v3
	v_cmp_eq_u32_e32 vcc, 1, v5
	v_cndmask_b32_e32 v2, v3, v2, vcc
	v_lshlrev_b32_e32 v2, 2, v2
	ds_write_b32 v2, v29
	v_sub_u32_e32 v2, v8, v19
	v_sub_u32_e32 v3, v36, v2
	v_and_b32_sdwa v5, v4, v39 dst_sel:DWORD dst_unused:UNUSED_PAD src0_sel:DWORD src1_sel:WORD_1
	v_add_u32_e32 v3, 6, v3
	v_cmp_eq_u32_e32 vcc, 1, v5
	v_cndmask_b32_e32 v2, v3, v2, vcc
	v_lshlrev_b32_e32 v2, 2, v2
	ds_write_b32 v2, v26
	v_sub_u32_e32 v2, v9, v19
	v_sub_u32_e32 v3, v36, v2
	v_and_b32_e32 v5, 1, v42
	v_add_u32_e32 v3, 7, v3
	v_cmp_eq_u32_e32 vcc, 1, v5
	v_cndmask_b32_e32 v2, v3, v2, vcc
	v_lshlrev_b32_e32 v2, 2, v2
	ds_write_b32 v2, v27
	v_sub_u32_e32 v2, v10, v19
	v_sub_u32_e32 v3, v36, v2
	v_and_b32_e32 v5, 1, v38
	v_add_u32_e32 v3, 8, v3
	v_cmp_eq_u32_e32 vcc, 1, v5
	v_cndmask_b32_e32 v2, v3, v2, vcc
	v_lshlrev_b32_e32 v2, 2, v2
	v_lshrrev_b32_e32 v15, 8, v38
	ds_write_b32 v2, v24
	v_sub_u32_e32 v2, v11, v19
	v_sub_u32_e32 v3, v36, v2
	v_and_b32_e32 v5, 1, v15
	v_add_u32_e32 v3, 9, v3
	v_cmp_eq_u32_e32 vcc, 1, v5
	v_cndmask_b32_e32 v2, v3, v2, vcc
	v_lshlrev_b32_e32 v2, 2, v2
	ds_write_b32 v2, v25
	v_sub_u32_e32 v2, v12, v19
	v_sub_u32_e32 v3, v36, v2
	v_and_b32_sdwa v4, v4, v38 dst_sel:DWORD dst_unused:UNUSED_PAD src0_sel:DWORD src1_sel:WORD_1
	v_add_u32_e32 v3, 10, v3
	v_cmp_eq_u32_e32 vcc, 1, v4
	v_cndmask_b32_e32 v2, v3, v2, vcc
	v_lshlrev_b32_e32 v2, 2, v2
	ds_write_b32 v2, v22
	v_sub_u32_e32 v2, v13, v19
	v_sub_u32_e32 v3, v36, v2
	v_and_b32_e32 v4, 1, v41
	v_add_u32_e32 v3, 11, v3
	v_cmp_eq_u32_e32 vcc, 1, v4
	v_cndmask_b32_e32 v2, v3, v2, vcc
	v_lshlrev_b32_e32 v2, 2, v2
	ds_write_b32 v2, v23
	v_sub_u32_e32 v2, v14, v19
	v_sub_u32_e32 v3, v36, v2
	v_and_b32_e32 v4, 1, v37
	v_add_u32_e32 v3, 12, v3
	v_cmp_eq_u32_e32 vcc, 1, v4
	v_cndmask_b32_e32 v2, v3, v2, vcc
	v_lshlrev_b32_e32 v2, 2, v2
	ds_write_b32 v2, v35
	s_waitcnt lgkmcnt(0)
	s_barrier
	ds_read2st64_b32 v[12:13], v1 offset1:4
	ds_read2st64_b32 v[10:11], v1 offset0:8 offset1:12
	ds_read2st64_b32 v[8:9], v1 offset0:16 offset1:20
	;; [unrolled: 1-line block ×5, first 2 shown]
	ds_read_b32 v17, v1 offset:12288
	s_waitcnt vmcnt(0)
	v_add_co_u32_e32 v1, vcc, v20, v19
	v_addc_co_u32_e32 v16, vcc, 0, v21, vcc
	v_mov_b32_e32 v14, s29
	v_add_co_u32_e32 v15, vcc, s28, v34
	v_addc_co_u32_e32 v14, vcc, 0, v14, vcc
	v_mov_b32_e32 v19, s27
	v_sub_co_u32_e32 v15, vcc, s26, v15
	v_subb_co_u32_e32 v14, vcc, v19, v14, vcc
	v_add_co_u32_e32 v15, vcc, v15, v18
	v_addc_co_u32_e32 v14, vcc, 0, v14, vcc
	s_and_b64 vcc, exec, s[2:3]
	v_add_co_u32_e64 v19, s[2:3], v15, v1
	v_or_b32_e32 v33, 0x100, v0
	v_or_b32_e32 v32, 0x200, v0
	;; [unrolled: 1-line block ×12, first 2 shown]
	v_addc_co_u32_e64 v20, s[2:3], v14, v16, s[2:3]
	s_cbranch_vccnz .LBB698_132
; %bb.76:
	v_cmp_ge_u32_e32 vcc, v0, v18
                                        ; implicit-def: $vgpr14_vgpr15
	s_and_saveexec_b64 s[2:3], vcc
	s_xor_b64 s[2:3], exec, s[2:3]
; %bb.77:
	v_not_b32_e32 v14, v0
	v_ashrrev_i32_e32 v15, 31, v14
	v_add_co_u32_e32 v14, vcc, v19, v14
	v_addc_co_u32_e32 v15, vcc, v20, v15, vcc
; %bb.78:
	s_andn2_saveexec_b64 s[2:3], s[2:3]
; %bb.79:
	v_add_co_u32_e32 v14, vcc, v1, v0
	v_addc_co_u32_e32 v15, vcc, 0, v16, vcc
; %bb.80:
	s_or_b64 exec, exec, s[2:3]
	v_lshlrev_b64 v[14:15], 2, v[14:15]
	v_mov_b32_e32 v21, s25
	v_add_co_u32_e32 v14, vcc, s24, v14
	v_addc_co_u32_e32 v15, vcc, v21, v15, vcc
	v_cmp_ge_u32_e32 vcc, v33, v18
	s_waitcnt lgkmcnt(6)
	global_store_dword v[14:15], v12, off
                                        ; implicit-def: $vgpr14_vgpr15
	s_and_saveexec_b64 s[2:3], vcc
	s_xor_b64 s[2:3], exec, s[2:3]
; %bb.81:
	v_xor_b32_e32 v14, 0xfffffeff, v0
	v_ashrrev_i32_e32 v15, 31, v14
	v_add_co_u32_e32 v14, vcc, v19, v14
	v_addc_co_u32_e32 v15, vcc, v20, v15, vcc
; %bb.82:
	s_andn2_saveexec_b64 s[2:3], s[2:3]
; %bb.83:
	v_add_co_u32_e32 v14, vcc, v1, v33
	v_addc_co_u32_e32 v15, vcc, 0, v16, vcc
; %bb.84:
	s_or_b64 exec, exec, s[2:3]
	v_lshlrev_b64 v[14:15], 2, v[14:15]
	v_mov_b32_e32 v21, s25
	v_add_co_u32_e32 v14, vcc, s24, v14
	v_addc_co_u32_e32 v15, vcc, v21, v15, vcc
	v_cmp_ge_u32_e32 vcc, v32, v18
	global_store_dword v[14:15], v13, off
                                        ; implicit-def: $vgpr14_vgpr15
	s_and_saveexec_b64 s[2:3], vcc
	s_xor_b64 s[2:3], exec, s[2:3]
; %bb.85:
	v_xor_b32_e32 v14, 0xfffffdff, v0
	v_ashrrev_i32_e32 v15, 31, v14
	v_add_co_u32_e32 v14, vcc, v19, v14
	v_addc_co_u32_e32 v15, vcc, v20, v15, vcc
; %bb.86:
	s_andn2_saveexec_b64 s[2:3], s[2:3]
; %bb.87:
	v_add_co_u32_e32 v14, vcc, v1, v32
	v_addc_co_u32_e32 v15, vcc, 0, v16, vcc
; %bb.88:
	s_or_b64 exec, exec, s[2:3]
	v_lshlrev_b64 v[14:15], 2, v[14:15]
	v_mov_b32_e32 v21, s25
	v_add_co_u32_e32 v14, vcc, s24, v14
	v_addc_co_u32_e32 v15, vcc, v21, v15, vcc
	v_cmp_ge_u32_e32 vcc, v31, v18
	s_waitcnt lgkmcnt(5)
	global_store_dword v[14:15], v10, off
                                        ; implicit-def: $vgpr14_vgpr15
	s_and_saveexec_b64 s[2:3], vcc
	s_xor_b64 s[2:3], exec, s[2:3]
; %bb.89:
	v_xor_b32_e32 v14, 0xfffffcff, v0
	v_ashrrev_i32_e32 v15, 31, v14
	v_add_co_u32_e32 v14, vcc, v19, v14
	v_addc_co_u32_e32 v15, vcc, v20, v15, vcc
; %bb.90:
	s_andn2_saveexec_b64 s[2:3], s[2:3]
; %bb.91:
	v_add_co_u32_e32 v14, vcc, v1, v31
	v_addc_co_u32_e32 v15, vcc, 0, v16, vcc
; %bb.92:
	s_or_b64 exec, exec, s[2:3]
	v_lshlrev_b64 v[14:15], 2, v[14:15]
	v_mov_b32_e32 v21, s25
	v_add_co_u32_e32 v14, vcc, s24, v14
	v_addc_co_u32_e32 v15, vcc, v21, v15, vcc
	v_cmp_ge_u32_e32 vcc, v30, v18
	global_store_dword v[14:15], v11, off
                                        ; implicit-def: $vgpr14_vgpr15
	s_and_saveexec_b64 s[2:3], vcc
	s_xor_b64 s[2:3], exec, s[2:3]
; %bb.93:
	v_xor_b32_e32 v14, 0xfffffbff, v0
	;; [unrolled: 43-line block ×6, first 2 shown]
	v_ashrrev_i32_e32 v15, 31, v14
	v_add_co_u32_e32 v14, vcc, v19, v14
	v_addc_co_u32_e32 v15, vcc, v20, v15, vcc
; %bb.126:
	s_andn2_saveexec_b64 s[2:3], s[2:3]
; %bb.127:
	v_add_co_u32_e32 v14, vcc, v1, v22
	v_addc_co_u32_e32 v15, vcc, 0, v16, vcc
; %bb.128:
	s_or_b64 exec, exec, s[2:3]
	s_mov_b64 s[2:3], -1
.LBB698_129:
	s_and_saveexec_b64 s[4:5], s[2:3]
	s_cbranch_execz .LBB698_212
.LBB698_130:
	s_waitcnt lgkmcnt(1)
	v_lshlrev_b64 v[2:3], 2, v[14:15]
	v_mov_b32_e32 v0, s25
	v_add_co_u32_e32 v2, vcc, s24, v2
	v_addc_co_u32_e32 v3, vcc, v0, v3, vcc
	s_waitcnt lgkmcnt(0)
	global_store_dword v[2:3], v17, off
	s_or_b64 exec, exec, s[4:5]
	s_and_b64 s[0:1], s[0:1], s[22:23]
	s_and_saveexec_b64 s[2:3], s[0:1]
	s_cbranch_execnz .LBB698_213
.LBB698_131:
	s_endpgm
.LBB698_132:
	s_mov_b64 s[2:3], 0
                                        ; implicit-def: $vgpr14_vgpr15
	s_cbranch_execz .LBB698_129
; %bb.133:
	v_cmp_gt_u32_e32 vcc, s33, v0
	s_and_saveexec_b64 s[4:5], vcc
	s_cbranch_execz .LBB698_169
; %bb.134:
	v_cmp_ge_u32_e32 vcc, v0, v18
                                        ; implicit-def: $vgpr14_vgpr15
	s_and_saveexec_b64 s[6:7], vcc
	s_xor_b64 s[6:7], exec, s[6:7]
; %bb.135:
	v_not_b32_e32 v14, v0
	v_ashrrev_i32_e32 v15, 31, v14
	v_add_co_u32_e32 v14, vcc, v19, v14
	v_addc_co_u32_e32 v15, vcc, v20, v15, vcc
; %bb.136:
	s_andn2_saveexec_b64 s[6:7], s[6:7]
; %bb.137:
	v_add_co_u32_e32 v14, vcc, v1, v0
	v_addc_co_u32_e32 v15, vcc, 0, v16, vcc
; %bb.138:
	s_or_b64 exec, exec, s[6:7]
	v_lshlrev_b64 v[14:15], 2, v[14:15]
	v_mov_b32_e32 v21, s25
	v_add_co_u32_e32 v14, vcc, s24, v14
	v_addc_co_u32_e32 v15, vcc, v21, v15, vcc
	s_waitcnt lgkmcnt(6)
	global_store_dword v[14:15], v12, off
	s_or_b64 exec, exec, s[4:5]
	v_cmp_gt_u32_e32 vcc, s33, v33
	s_and_saveexec_b64 s[4:5], vcc
	s_cbranch_execnz .LBB698_170
.LBB698_139:
	s_or_b64 exec, exec, s[4:5]
	v_cmp_gt_u32_e32 vcc, s33, v32
	s_and_saveexec_b64 s[4:5], vcc
	s_cbranch_execz .LBB698_175
.LBB698_140:
	v_cmp_ge_u32_e32 vcc, v32, v18
                                        ; implicit-def: $vgpr12_vgpr13
	s_and_saveexec_b64 s[6:7], vcc
	s_xor_b64 s[6:7], exec, s[6:7]
	s_cbranch_execz .LBB698_142
; %bb.141:
	s_waitcnt lgkmcnt(6)
	v_xor_b32_e32 v12, 0xfffffdff, v0
	v_ashrrev_i32_e32 v13, 31, v12
	v_add_co_u32_e32 v12, vcc, v19, v12
	v_addc_co_u32_e32 v13, vcc, v20, v13, vcc
                                        ; implicit-def: $vgpr32
.LBB698_142:
	s_andn2_saveexec_b64 s[6:7], s[6:7]
	s_cbranch_execz .LBB698_144
; %bb.143:
	s_waitcnt lgkmcnt(6)
	v_add_co_u32_e32 v12, vcc, v1, v32
	v_addc_co_u32_e32 v13, vcc, 0, v16, vcc
.LBB698_144:
	s_or_b64 exec, exec, s[6:7]
	s_waitcnt lgkmcnt(6)
	v_lshlrev_b64 v[12:13], 2, v[12:13]
	v_mov_b32_e32 v14, s25
	v_add_co_u32_e32 v12, vcc, s24, v12
	v_addc_co_u32_e32 v13, vcc, v14, v13, vcc
	s_waitcnt lgkmcnt(5)
	global_store_dword v[12:13], v10, off
	s_or_b64 exec, exec, s[4:5]
	v_cmp_gt_u32_e32 vcc, s33, v31
	s_and_saveexec_b64 s[4:5], vcc
	s_cbranch_execnz .LBB698_176
.LBB698_145:
	s_or_b64 exec, exec, s[4:5]
	v_cmp_gt_u32_e32 vcc, s33, v30
	s_and_saveexec_b64 s[4:5], vcc
	s_cbranch_execz .LBB698_181
.LBB698_146:
	v_cmp_ge_u32_e32 vcc, v30, v18
                                        ; implicit-def: $vgpr10_vgpr11
	s_and_saveexec_b64 s[6:7], vcc
	s_xor_b64 s[6:7], exec, s[6:7]
	s_cbranch_execz .LBB698_148
; %bb.147:
	s_waitcnt lgkmcnt(5)
	v_xor_b32_e32 v10, 0xfffffbff, v0
	v_ashrrev_i32_e32 v11, 31, v10
	v_add_co_u32_e32 v10, vcc, v19, v10
	v_addc_co_u32_e32 v11, vcc, v20, v11, vcc
                                        ; implicit-def: $vgpr30
.LBB698_148:
	s_andn2_saveexec_b64 s[6:7], s[6:7]
	s_cbranch_execz .LBB698_150
; %bb.149:
	s_waitcnt lgkmcnt(5)
	v_add_co_u32_e32 v10, vcc, v1, v30
	v_addc_co_u32_e32 v11, vcc, 0, v16, vcc
.LBB698_150:
	s_or_b64 exec, exec, s[6:7]
	s_waitcnt lgkmcnt(5)
	v_lshlrev_b64 v[10:11], 2, v[10:11]
	v_mov_b32_e32 v12, s25
	v_add_co_u32_e32 v10, vcc, s24, v10
	v_addc_co_u32_e32 v11, vcc, v12, v11, vcc
	s_waitcnt lgkmcnt(4)
	global_store_dword v[10:11], v8, off
	s_or_b64 exec, exec, s[4:5]
	v_cmp_gt_u32_e32 vcc, s33, v29
	s_and_saveexec_b64 s[4:5], vcc
	s_cbranch_execnz .LBB698_182
.LBB698_151:
	s_or_b64 exec, exec, s[4:5]
	v_cmp_gt_u32_e32 vcc, s33, v28
	s_and_saveexec_b64 s[4:5], vcc
	s_cbranch_execz .LBB698_187
.LBB698_152:
	v_cmp_ge_u32_e32 vcc, v28, v18
                                        ; implicit-def: $vgpr8_vgpr9
	s_and_saveexec_b64 s[6:7], vcc
	s_xor_b64 s[6:7], exec, s[6:7]
	s_cbranch_execz .LBB698_154
; %bb.153:
	s_waitcnt lgkmcnt(4)
	v_xor_b32_e32 v8, 0xfffff9ff, v0
	v_ashrrev_i32_e32 v9, 31, v8
	v_add_co_u32_e32 v8, vcc, v19, v8
	v_addc_co_u32_e32 v9, vcc, v20, v9, vcc
                                        ; implicit-def: $vgpr28
.LBB698_154:
	s_andn2_saveexec_b64 s[6:7], s[6:7]
	s_cbranch_execz .LBB698_156
; %bb.155:
	s_waitcnt lgkmcnt(4)
	v_add_co_u32_e32 v8, vcc, v1, v28
	v_addc_co_u32_e32 v9, vcc, 0, v16, vcc
.LBB698_156:
	s_or_b64 exec, exec, s[6:7]
	s_waitcnt lgkmcnt(4)
	v_lshlrev_b64 v[8:9], 2, v[8:9]
	v_mov_b32_e32 v10, s25
	v_add_co_u32_e32 v8, vcc, s24, v8
	v_addc_co_u32_e32 v9, vcc, v10, v9, vcc
	s_waitcnt lgkmcnt(3)
	global_store_dword v[8:9], v6, off
	s_or_b64 exec, exec, s[4:5]
	v_cmp_gt_u32_e32 vcc, s33, v27
	s_and_saveexec_b64 s[4:5], vcc
	s_cbranch_execnz .LBB698_188
.LBB698_157:
	s_or_b64 exec, exec, s[4:5]
	v_cmp_gt_u32_e32 vcc, s33, v26
	s_and_saveexec_b64 s[4:5], vcc
	s_cbranch_execz .LBB698_193
.LBB698_158:
	v_cmp_ge_u32_e32 vcc, v26, v18
                                        ; implicit-def: $vgpr6_vgpr7
	s_and_saveexec_b64 s[6:7], vcc
	s_xor_b64 s[6:7], exec, s[6:7]
	s_cbranch_execz .LBB698_160
; %bb.159:
	s_waitcnt lgkmcnt(3)
	v_xor_b32_e32 v6, 0xfffff7ff, v0
	v_ashrrev_i32_e32 v7, 31, v6
	v_add_co_u32_e32 v6, vcc, v19, v6
	v_addc_co_u32_e32 v7, vcc, v20, v7, vcc
                                        ; implicit-def: $vgpr26
.LBB698_160:
	s_andn2_saveexec_b64 s[6:7], s[6:7]
	s_cbranch_execz .LBB698_162
; %bb.161:
	s_waitcnt lgkmcnt(3)
	v_add_co_u32_e32 v6, vcc, v1, v26
	v_addc_co_u32_e32 v7, vcc, 0, v16, vcc
.LBB698_162:
	s_or_b64 exec, exec, s[6:7]
	s_waitcnt lgkmcnt(3)
	v_lshlrev_b64 v[6:7], 2, v[6:7]
	v_mov_b32_e32 v8, s25
	v_add_co_u32_e32 v6, vcc, s24, v6
	v_addc_co_u32_e32 v7, vcc, v8, v7, vcc
	s_waitcnt lgkmcnt(2)
	global_store_dword v[6:7], v4, off
	s_or_b64 exec, exec, s[4:5]
	v_cmp_gt_u32_e32 vcc, s33, v25
	s_and_saveexec_b64 s[4:5], vcc
	s_cbranch_execnz .LBB698_194
.LBB698_163:
	s_or_b64 exec, exec, s[4:5]
	v_cmp_gt_u32_e32 vcc, s33, v24
	s_and_saveexec_b64 s[4:5], vcc
	s_cbranch_execz .LBB698_199
.LBB698_164:
	v_cmp_ge_u32_e32 vcc, v24, v18
                                        ; implicit-def: $vgpr4_vgpr5
	s_and_saveexec_b64 s[6:7], vcc
	s_xor_b64 s[6:7], exec, s[6:7]
	s_cbranch_execz .LBB698_166
; %bb.165:
	s_waitcnt lgkmcnt(2)
	v_xor_b32_e32 v4, 0xfffff5ff, v0
	v_ashrrev_i32_e32 v5, 31, v4
	v_add_co_u32_e32 v4, vcc, v19, v4
	v_addc_co_u32_e32 v5, vcc, v20, v5, vcc
                                        ; implicit-def: $vgpr24
.LBB698_166:
	s_andn2_saveexec_b64 s[6:7], s[6:7]
	s_cbranch_execz .LBB698_168
; %bb.167:
	s_waitcnt lgkmcnt(2)
	v_add_co_u32_e32 v4, vcc, v1, v24
	v_addc_co_u32_e32 v5, vcc, 0, v16, vcc
.LBB698_168:
	s_or_b64 exec, exec, s[6:7]
	s_waitcnt lgkmcnt(2)
	v_lshlrev_b64 v[4:5], 2, v[4:5]
	v_mov_b32_e32 v6, s25
	v_add_co_u32_e32 v4, vcc, s24, v4
	v_addc_co_u32_e32 v5, vcc, v6, v5, vcc
	s_waitcnt lgkmcnt(1)
	global_store_dword v[4:5], v2, off
	s_or_b64 exec, exec, s[4:5]
	v_cmp_gt_u32_e32 vcc, s33, v23
	s_and_saveexec_b64 s[4:5], vcc
	s_cbranch_execz .LBB698_205
	s_branch .LBB698_200
.LBB698_169:
	s_or_b64 exec, exec, s[4:5]
	v_cmp_gt_u32_e32 vcc, s33, v33
	s_and_saveexec_b64 s[4:5], vcc
	s_cbranch_execz .LBB698_139
.LBB698_170:
	v_cmp_ge_u32_e32 vcc, v33, v18
                                        ; implicit-def: $vgpr14_vgpr15
	s_and_saveexec_b64 s[6:7], vcc
	s_xor_b64 s[6:7], exec, s[6:7]
	s_cbranch_execz .LBB698_172
; %bb.171:
	s_waitcnt lgkmcnt(6)
	v_xor_b32_e32 v12, 0xfffffeff, v0
	v_ashrrev_i32_e32 v15, 31, v12
	v_add_co_u32_e32 v14, vcc, v19, v12
	v_addc_co_u32_e32 v15, vcc, v20, v15, vcc
                                        ; implicit-def: $vgpr33
.LBB698_172:
	s_andn2_saveexec_b64 s[6:7], s[6:7]
; %bb.173:
	v_add_co_u32_e32 v14, vcc, v1, v33
	v_addc_co_u32_e32 v15, vcc, 0, v16, vcc
; %bb.174:
	s_or_b64 exec, exec, s[6:7]
	v_lshlrev_b64 v[14:15], 2, v[14:15]
	s_waitcnt lgkmcnt(6)
	v_mov_b32_e32 v12, s25
	v_add_co_u32_e32 v14, vcc, s24, v14
	v_addc_co_u32_e32 v15, vcc, v12, v15, vcc
	global_store_dword v[14:15], v13, off
	s_or_b64 exec, exec, s[4:5]
	v_cmp_gt_u32_e32 vcc, s33, v32
	s_and_saveexec_b64 s[4:5], vcc
	s_cbranch_execnz .LBB698_140
.LBB698_175:
	s_or_b64 exec, exec, s[4:5]
	v_cmp_gt_u32_e32 vcc, s33, v31
	s_and_saveexec_b64 s[4:5], vcc
	s_cbranch_execz .LBB698_145
.LBB698_176:
	v_cmp_ge_u32_e32 vcc, v31, v18
                                        ; implicit-def: $vgpr12_vgpr13
	s_and_saveexec_b64 s[6:7], vcc
	s_xor_b64 s[6:7], exec, s[6:7]
	s_cbranch_execz .LBB698_178
; %bb.177:
	s_waitcnt lgkmcnt(5)
	v_xor_b32_e32 v10, 0xfffffcff, v0
	v_ashrrev_i32_e32 v13, 31, v10
	v_add_co_u32_e32 v12, vcc, v19, v10
	v_addc_co_u32_e32 v13, vcc, v20, v13, vcc
                                        ; implicit-def: $vgpr31
.LBB698_178:
	s_andn2_saveexec_b64 s[6:7], s[6:7]
	s_cbranch_execz .LBB698_180
; %bb.179:
	s_waitcnt lgkmcnt(6)
	v_add_co_u32_e32 v12, vcc, v1, v31
	v_addc_co_u32_e32 v13, vcc, 0, v16, vcc
.LBB698_180:
	s_or_b64 exec, exec, s[6:7]
	s_waitcnt lgkmcnt(6)
	v_lshlrev_b64 v[12:13], 2, v[12:13]
	s_waitcnt lgkmcnt(5)
	v_mov_b32_e32 v10, s25
	v_add_co_u32_e32 v12, vcc, s24, v12
	v_addc_co_u32_e32 v13, vcc, v10, v13, vcc
	global_store_dword v[12:13], v11, off
	s_or_b64 exec, exec, s[4:5]
	v_cmp_gt_u32_e32 vcc, s33, v30
	s_and_saveexec_b64 s[4:5], vcc
	s_cbranch_execnz .LBB698_146
.LBB698_181:
	s_or_b64 exec, exec, s[4:5]
	v_cmp_gt_u32_e32 vcc, s33, v29
	s_and_saveexec_b64 s[4:5], vcc
	s_cbranch_execz .LBB698_151
.LBB698_182:
	v_cmp_ge_u32_e32 vcc, v29, v18
                                        ; implicit-def: $vgpr10_vgpr11
	s_and_saveexec_b64 s[6:7], vcc
	s_xor_b64 s[6:7], exec, s[6:7]
	s_cbranch_execz .LBB698_184
; %bb.183:
	s_waitcnt lgkmcnt(4)
	v_xor_b32_e32 v8, 0xfffffaff, v0
	v_ashrrev_i32_e32 v11, 31, v8
	v_add_co_u32_e32 v10, vcc, v19, v8
	v_addc_co_u32_e32 v11, vcc, v20, v11, vcc
                                        ; implicit-def: $vgpr29
.LBB698_184:
	s_andn2_saveexec_b64 s[6:7], s[6:7]
	s_cbranch_execz .LBB698_186
; %bb.185:
	s_waitcnt lgkmcnt(5)
	v_add_co_u32_e32 v10, vcc, v1, v29
	v_addc_co_u32_e32 v11, vcc, 0, v16, vcc
.LBB698_186:
	s_or_b64 exec, exec, s[6:7]
	s_waitcnt lgkmcnt(5)
	v_lshlrev_b64 v[10:11], 2, v[10:11]
	s_waitcnt lgkmcnt(4)
	v_mov_b32_e32 v8, s25
	v_add_co_u32_e32 v10, vcc, s24, v10
	v_addc_co_u32_e32 v11, vcc, v8, v11, vcc
	global_store_dword v[10:11], v9, off
	s_or_b64 exec, exec, s[4:5]
	v_cmp_gt_u32_e32 vcc, s33, v28
	s_and_saveexec_b64 s[4:5], vcc
	s_cbranch_execnz .LBB698_152
.LBB698_187:
	s_or_b64 exec, exec, s[4:5]
	v_cmp_gt_u32_e32 vcc, s33, v27
	s_and_saveexec_b64 s[4:5], vcc
	s_cbranch_execz .LBB698_157
.LBB698_188:
	v_cmp_ge_u32_e32 vcc, v27, v18
                                        ; implicit-def: $vgpr8_vgpr9
	s_and_saveexec_b64 s[6:7], vcc
	s_xor_b64 s[6:7], exec, s[6:7]
	s_cbranch_execz .LBB698_190
; %bb.189:
	s_waitcnt lgkmcnt(3)
	v_xor_b32_e32 v6, 0xfffff8ff, v0
	v_ashrrev_i32_e32 v9, 31, v6
	v_add_co_u32_e32 v8, vcc, v19, v6
	v_addc_co_u32_e32 v9, vcc, v20, v9, vcc
                                        ; implicit-def: $vgpr27
.LBB698_190:
	s_andn2_saveexec_b64 s[6:7], s[6:7]
	s_cbranch_execz .LBB698_192
; %bb.191:
	s_waitcnt lgkmcnt(4)
	v_add_co_u32_e32 v8, vcc, v1, v27
	v_addc_co_u32_e32 v9, vcc, 0, v16, vcc
.LBB698_192:
	s_or_b64 exec, exec, s[6:7]
	s_waitcnt lgkmcnt(4)
	v_lshlrev_b64 v[8:9], 2, v[8:9]
	s_waitcnt lgkmcnt(3)
	v_mov_b32_e32 v6, s25
	v_add_co_u32_e32 v8, vcc, s24, v8
	v_addc_co_u32_e32 v9, vcc, v6, v9, vcc
	global_store_dword v[8:9], v7, off
	s_or_b64 exec, exec, s[4:5]
	v_cmp_gt_u32_e32 vcc, s33, v26
	s_and_saveexec_b64 s[4:5], vcc
	s_cbranch_execnz .LBB698_158
.LBB698_193:
	s_or_b64 exec, exec, s[4:5]
	v_cmp_gt_u32_e32 vcc, s33, v25
	s_and_saveexec_b64 s[4:5], vcc
	s_cbranch_execz .LBB698_163
.LBB698_194:
	v_cmp_ge_u32_e32 vcc, v25, v18
                                        ; implicit-def: $vgpr6_vgpr7
	s_and_saveexec_b64 s[6:7], vcc
	s_xor_b64 s[6:7], exec, s[6:7]
	s_cbranch_execz .LBB698_196
; %bb.195:
	s_waitcnt lgkmcnt(2)
	v_xor_b32_e32 v4, 0xfffff6ff, v0
	v_ashrrev_i32_e32 v7, 31, v4
	v_add_co_u32_e32 v6, vcc, v19, v4
	v_addc_co_u32_e32 v7, vcc, v20, v7, vcc
                                        ; implicit-def: $vgpr25
.LBB698_196:
	s_andn2_saveexec_b64 s[6:7], s[6:7]
	s_cbranch_execz .LBB698_198
; %bb.197:
	s_waitcnt lgkmcnt(3)
	v_add_co_u32_e32 v6, vcc, v1, v25
	v_addc_co_u32_e32 v7, vcc, 0, v16, vcc
.LBB698_198:
	s_or_b64 exec, exec, s[6:7]
	s_waitcnt lgkmcnt(3)
	v_lshlrev_b64 v[6:7], 2, v[6:7]
	s_waitcnt lgkmcnt(2)
	v_mov_b32_e32 v4, s25
	v_add_co_u32_e32 v6, vcc, s24, v6
	v_addc_co_u32_e32 v7, vcc, v4, v7, vcc
	global_store_dword v[6:7], v5, off
	s_or_b64 exec, exec, s[4:5]
	v_cmp_gt_u32_e32 vcc, s33, v24
	s_and_saveexec_b64 s[4:5], vcc
	s_cbranch_execnz .LBB698_164
.LBB698_199:
	s_or_b64 exec, exec, s[4:5]
	v_cmp_gt_u32_e32 vcc, s33, v23
	s_and_saveexec_b64 s[4:5], vcc
	s_cbranch_execz .LBB698_205
.LBB698_200:
	v_cmp_ge_u32_e32 vcc, v23, v18
                                        ; implicit-def: $vgpr4_vgpr5
	s_and_saveexec_b64 s[6:7], vcc
	s_xor_b64 s[6:7], exec, s[6:7]
	s_cbranch_execz .LBB698_202
; %bb.201:
	s_waitcnt lgkmcnt(1)
	v_xor_b32_e32 v2, 0xfffff4ff, v0
	v_ashrrev_i32_e32 v5, 31, v2
	v_add_co_u32_e32 v4, vcc, v19, v2
	v_addc_co_u32_e32 v5, vcc, v20, v5, vcc
                                        ; implicit-def: $vgpr23
.LBB698_202:
	s_andn2_saveexec_b64 s[6:7], s[6:7]
	s_cbranch_execz .LBB698_204
; %bb.203:
	s_waitcnt lgkmcnt(2)
	v_add_co_u32_e32 v4, vcc, v1, v23
	v_addc_co_u32_e32 v5, vcc, 0, v16, vcc
.LBB698_204:
	s_or_b64 exec, exec, s[6:7]
	s_waitcnt lgkmcnt(2)
	v_lshlrev_b64 v[4:5], 2, v[4:5]
	s_waitcnt lgkmcnt(1)
	v_mov_b32_e32 v2, s25
	v_add_co_u32_e32 v4, vcc, s24, v4
	v_addc_co_u32_e32 v5, vcc, v2, v5, vcc
	global_store_dword v[4:5], v3, off
.LBB698_205:
	s_or_b64 exec, exec, s[4:5]
	v_cmp_gt_u32_e32 vcc, s33, v22
                                        ; implicit-def: $vgpr14_vgpr15
	s_and_saveexec_b64 s[4:5], vcc
	s_cbranch_execz .LBB698_211
; %bb.206:
	v_cmp_ge_u32_e32 vcc, v22, v18
                                        ; implicit-def: $vgpr14_vgpr15
	s_and_saveexec_b64 s[6:7], vcc
	s_xor_b64 s[6:7], exec, s[6:7]
	s_cbranch_execz .LBB698_208
; %bb.207:
	v_xor_b32_e32 v0, 0xfffff3ff, v0
	s_waitcnt lgkmcnt(1)
	v_ashrrev_i32_e32 v2, 31, v0
	v_add_co_u32_e32 v14, vcc, v19, v0
	v_addc_co_u32_e32 v15, vcc, v20, v2, vcc
                                        ; implicit-def: $vgpr22
.LBB698_208:
	s_andn2_saveexec_b64 s[6:7], s[6:7]
; %bb.209:
	v_add_co_u32_e32 v14, vcc, v1, v22
	v_addc_co_u32_e32 v15, vcc, 0, v16, vcc
; %bb.210:
	s_or_b64 exec, exec, s[6:7]
	s_or_b64 s[2:3], s[2:3], exec
.LBB698_211:
	s_or_b64 exec, exec, s[4:5]
	s_and_saveexec_b64 s[4:5], s[2:3]
	s_cbranch_execnz .LBB698_130
.LBB698_212:
	s_or_b64 exec, exec, s[4:5]
	s_and_b64 s[0:1], s[0:1], s[22:23]
	s_and_saveexec_b64 s[2:3], s[0:1]
	s_cbranch_execz .LBB698_131
.LBB698_213:
	v_add_co_u32_e32 v0, vcc, v1, v18
	s_waitcnt lgkmcnt(1)
	v_mov_b32_e32 v2, 0
	v_addc_co_u32_e32 v1, vcc, 0, v16, vcc
	global_store_dwordx2 v2, v[0:1], s[20:21]
	s_endpgm
	.section	.rodata,"a",@progbits
	.p2align	6, 0x0
	.amdhsa_kernel _ZN7rocprim17ROCPRIM_400000_NS6detail17trampoline_kernelINS0_13select_configILj256ELj13ELNS0_17block_load_methodE3ELS4_3ELS4_3ELNS0_20block_scan_algorithmE0ELj4294967295EEENS1_25partition_config_selectorILNS1_17partition_subalgoE3EjNS0_10empty_typeEbEEZZNS1_14partition_implILS8_3ELb0ES6_jNS0_17counting_iteratorIjlEEPS9_SE_NS0_5tupleIJPjSE_EEENSF_IJSE_SE_EEES9_SG_JZNS1_25segmented_radix_sort_implINS0_14default_configELb1EPKlPlSM_SN_N2at6native12_GLOBAL__N_18offset_tEEE10hipError_tPvRmT1_PNSt15iterator_traitsISV_E10value_typeET2_T3_PNSW_IS11_E10value_typeET4_jRbjT5_S17_jjP12ihipStream_tbEUljE_EEESS_ST_SU_S11_S15_S17_T6_T7_T9_mT8_S19_bDpT10_ENKUlT_T0_E_clISt17integral_constantIbLb0EES1L_IbLb1EEEEDaS1H_S1I_EUlS1H_E_NS1_11comp_targetILNS1_3genE4ELNS1_11target_archE910ELNS1_3gpuE8ELNS1_3repE0EEENS1_30default_config_static_selectorELNS0_4arch9wavefront6targetE1EEEvSV_
		.amdhsa_group_segment_fixed_size 13324
		.amdhsa_private_segment_fixed_size 0
		.amdhsa_kernarg_size 152
		.amdhsa_user_sgpr_count 6
		.amdhsa_user_sgpr_private_segment_buffer 1
		.amdhsa_user_sgpr_dispatch_ptr 0
		.amdhsa_user_sgpr_queue_ptr 0
		.amdhsa_user_sgpr_kernarg_segment_ptr 1
		.amdhsa_user_sgpr_dispatch_id 0
		.amdhsa_user_sgpr_flat_scratch_init 0
		.amdhsa_user_sgpr_kernarg_preload_length 0
		.amdhsa_user_sgpr_kernarg_preload_offset 0
		.amdhsa_user_sgpr_private_segment_size 0
		.amdhsa_uses_dynamic_stack 0
		.amdhsa_system_sgpr_private_segment_wavefront_offset 0
		.amdhsa_system_sgpr_workgroup_id_x 1
		.amdhsa_system_sgpr_workgroup_id_y 0
		.amdhsa_system_sgpr_workgroup_id_z 0
		.amdhsa_system_sgpr_workgroup_info 0
		.amdhsa_system_vgpr_workitem_id 0
		.amdhsa_next_free_vgpr 64
		.amdhsa_next_free_sgpr 44
		.amdhsa_accum_offset 64
		.amdhsa_reserve_vcc 1
		.amdhsa_reserve_flat_scratch 0
		.amdhsa_float_round_mode_32 0
		.amdhsa_float_round_mode_16_64 0
		.amdhsa_float_denorm_mode_32 3
		.amdhsa_float_denorm_mode_16_64 3
		.amdhsa_dx10_clamp 1
		.amdhsa_ieee_mode 1
		.amdhsa_fp16_overflow 0
		.amdhsa_tg_split 0
		.amdhsa_exception_fp_ieee_invalid_op 0
		.amdhsa_exception_fp_denorm_src 0
		.amdhsa_exception_fp_ieee_div_zero 0
		.amdhsa_exception_fp_ieee_overflow 0
		.amdhsa_exception_fp_ieee_underflow 0
		.amdhsa_exception_fp_ieee_inexact 0
		.amdhsa_exception_int_div_zero 0
	.end_amdhsa_kernel
	.section	.text._ZN7rocprim17ROCPRIM_400000_NS6detail17trampoline_kernelINS0_13select_configILj256ELj13ELNS0_17block_load_methodE3ELS4_3ELS4_3ELNS0_20block_scan_algorithmE0ELj4294967295EEENS1_25partition_config_selectorILNS1_17partition_subalgoE3EjNS0_10empty_typeEbEEZZNS1_14partition_implILS8_3ELb0ES6_jNS0_17counting_iteratorIjlEEPS9_SE_NS0_5tupleIJPjSE_EEENSF_IJSE_SE_EEES9_SG_JZNS1_25segmented_radix_sort_implINS0_14default_configELb1EPKlPlSM_SN_N2at6native12_GLOBAL__N_18offset_tEEE10hipError_tPvRmT1_PNSt15iterator_traitsISV_E10value_typeET2_T3_PNSW_IS11_E10value_typeET4_jRbjT5_S17_jjP12ihipStream_tbEUljE_EEESS_ST_SU_S11_S15_S17_T6_T7_T9_mT8_S19_bDpT10_ENKUlT_T0_E_clISt17integral_constantIbLb0EES1L_IbLb1EEEEDaS1H_S1I_EUlS1H_E_NS1_11comp_targetILNS1_3genE4ELNS1_11target_archE910ELNS1_3gpuE8ELNS1_3repE0EEENS1_30default_config_static_selectorELNS0_4arch9wavefront6targetE1EEEvSV_,"axG",@progbits,_ZN7rocprim17ROCPRIM_400000_NS6detail17trampoline_kernelINS0_13select_configILj256ELj13ELNS0_17block_load_methodE3ELS4_3ELS4_3ELNS0_20block_scan_algorithmE0ELj4294967295EEENS1_25partition_config_selectorILNS1_17partition_subalgoE3EjNS0_10empty_typeEbEEZZNS1_14partition_implILS8_3ELb0ES6_jNS0_17counting_iteratorIjlEEPS9_SE_NS0_5tupleIJPjSE_EEENSF_IJSE_SE_EEES9_SG_JZNS1_25segmented_radix_sort_implINS0_14default_configELb1EPKlPlSM_SN_N2at6native12_GLOBAL__N_18offset_tEEE10hipError_tPvRmT1_PNSt15iterator_traitsISV_E10value_typeET2_T3_PNSW_IS11_E10value_typeET4_jRbjT5_S17_jjP12ihipStream_tbEUljE_EEESS_ST_SU_S11_S15_S17_T6_T7_T9_mT8_S19_bDpT10_ENKUlT_T0_E_clISt17integral_constantIbLb0EES1L_IbLb1EEEEDaS1H_S1I_EUlS1H_E_NS1_11comp_targetILNS1_3genE4ELNS1_11target_archE910ELNS1_3gpuE8ELNS1_3repE0EEENS1_30default_config_static_selectorELNS0_4arch9wavefront6targetE1EEEvSV_,comdat
.Lfunc_end698:
	.size	_ZN7rocprim17ROCPRIM_400000_NS6detail17trampoline_kernelINS0_13select_configILj256ELj13ELNS0_17block_load_methodE3ELS4_3ELS4_3ELNS0_20block_scan_algorithmE0ELj4294967295EEENS1_25partition_config_selectorILNS1_17partition_subalgoE3EjNS0_10empty_typeEbEEZZNS1_14partition_implILS8_3ELb0ES6_jNS0_17counting_iteratorIjlEEPS9_SE_NS0_5tupleIJPjSE_EEENSF_IJSE_SE_EEES9_SG_JZNS1_25segmented_radix_sort_implINS0_14default_configELb1EPKlPlSM_SN_N2at6native12_GLOBAL__N_18offset_tEEE10hipError_tPvRmT1_PNSt15iterator_traitsISV_E10value_typeET2_T3_PNSW_IS11_E10value_typeET4_jRbjT5_S17_jjP12ihipStream_tbEUljE_EEESS_ST_SU_S11_S15_S17_T6_T7_T9_mT8_S19_bDpT10_ENKUlT_T0_E_clISt17integral_constantIbLb0EES1L_IbLb1EEEEDaS1H_S1I_EUlS1H_E_NS1_11comp_targetILNS1_3genE4ELNS1_11target_archE910ELNS1_3gpuE8ELNS1_3repE0EEENS1_30default_config_static_selectorELNS0_4arch9wavefront6targetE1EEEvSV_, .Lfunc_end698-_ZN7rocprim17ROCPRIM_400000_NS6detail17trampoline_kernelINS0_13select_configILj256ELj13ELNS0_17block_load_methodE3ELS4_3ELS4_3ELNS0_20block_scan_algorithmE0ELj4294967295EEENS1_25partition_config_selectorILNS1_17partition_subalgoE3EjNS0_10empty_typeEbEEZZNS1_14partition_implILS8_3ELb0ES6_jNS0_17counting_iteratorIjlEEPS9_SE_NS0_5tupleIJPjSE_EEENSF_IJSE_SE_EEES9_SG_JZNS1_25segmented_radix_sort_implINS0_14default_configELb1EPKlPlSM_SN_N2at6native12_GLOBAL__N_18offset_tEEE10hipError_tPvRmT1_PNSt15iterator_traitsISV_E10value_typeET2_T3_PNSW_IS11_E10value_typeET4_jRbjT5_S17_jjP12ihipStream_tbEUljE_EEESS_ST_SU_S11_S15_S17_T6_T7_T9_mT8_S19_bDpT10_ENKUlT_T0_E_clISt17integral_constantIbLb0EES1L_IbLb1EEEEDaS1H_S1I_EUlS1H_E_NS1_11comp_targetILNS1_3genE4ELNS1_11target_archE910ELNS1_3gpuE8ELNS1_3repE0EEENS1_30default_config_static_selectorELNS0_4arch9wavefront6targetE1EEEvSV_
                                        ; -- End function
	.section	.AMDGPU.csdata,"",@progbits
; Kernel info:
; codeLenInByte = 7816
; NumSgprs: 48
; NumVgprs: 64
; NumAgprs: 0
; TotalNumVgprs: 64
; ScratchSize: 0
; MemoryBound: 0
; FloatMode: 240
; IeeeMode: 1
; LDSByteSize: 13324 bytes/workgroup (compile time only)
; SGPRBlocks: 5
; VGPRBlocks: 7
; NumSGPRsForWavesPerEU: 48
; NumVGPRsForWavesPerEU: 64
; AccumOffset: 64
; Occupancy: 4
; WaveLimiterHint : 0
; COMPUTE_PGM_RSRC2:SCRATCH_EN: 0
; COMPUTE_PGM_RSRC2:USER_SGPR: 6
; COMPUTE_PGM_RSRC2:TRAP_HANDLER: 0
; COMPUTE_PGM_RSRC2:TGID_X_EN: 1
; COMPUTE_PGM_RSRC2:TGID_Y_EN: 0
; COMPUTE_PGM_RSRC2:TGID_Z_EN: 0
; COMPUTE_PGM_RSRC2:TIDIG_COMP_CNT: 0
; COMPUTE_PGM_RSRC3_GFX90A:ACCUM_OFFSET: 15
; COMPUTE_PGM_RSRC3_GFX90A:TG_SPLIT: 0
	.section	.text._ZN7rocprim17ROCPRIM_400000_NS6detail17trampoline_kernelINS0_13select_configILj256ELj13ELNS0_17block_load_methodE3ELS4_3ELS4_3ELNS0_20block_scan_algorithmE0ELj4294967295EEENS1_25partition_config_selectorILNS1_17partition_subalgoE3EjNS0_10empty_typeEbEEZZNS1_14partition_implILS8_3ELb0ES6_jNS0_17counting_iteratorIjlEEPS9_SE_NS0_5tupleIJPjSE_EEENSF_IJSE_SE_EEES9_SG_JZNS1_25segmented_radix_sort_implINS0_14default_configELb1EPKlPlSM_SN_N2at6native12_GLOBAL__N_18offset_tEEE10hipError_tPvRmT1_PNSt15iterator_traitsISV_E10value_typeET2_T3_PNSW_IS11_E10value_typeET4_jRbjT5_S17_jjP12ihipStream_tbEUljE_EEESS_ST_SU_S11_S15_S17_T6_T7_T9_mT8_S19_bDpT10_ENKUlT_T0_E_clISt17integral_constantIbLb0EES1L_IbLb1EEEEDaS1H_S1I_EUlS1H_E_NS1_11comp_targetILNS1_3genE3ELNS1_11target_archE908ELNS1_3gpuE7ELNS1_3repE0EEENS1_30default_config_static_selectorELNS0_4arch9wavefront6targetE1EEEvSV_,"axG",@progbits,_ZN7rocprim17ROCPRIM_400000_NS6detail17trampoline_kernelINS0_13select_configILj256ELj13ELNS0_17block_load_methodE3ELS4_3ELS4_3ELNS0_20block_scan_algorithmE0ELj4294967295EEENS1_25partition_config_selectorILNS1_17partition_subalgoE3EjNS0_10empty_typeEbEEZZNS1_14partition_implILS8_3ELb0ES6_jNS0_17counting_iteratorIjlEEPS9_SE_NS0_5tupleIJPjSE_EEENSF_IJSE_SE_EEES9_SG_JZNS1_25segmented_radix_sort_implINS0_14default_configELb1EPKlPlSM_SN_N2at6native12_GLOBAL__N_18offset_tEEE10hipError_tPvRmT1_PNSt15iterator_traitsISV_E10value_typeET2_T3_PNSW_IS11_E10value_typeET4_jRbjT5_S17_jjP12ihipStream_tbEUljE_EEESS_ST_SU_S11_S15_S17_T6_T7_T9_mT8_S19_bDpT10_ENKUlT_T0_E_clISt17integral_constantIbLb0EES1L_IbLb1EEEEDaS1H_S1I_EUlS1H_E_NS1_11comp_targetILNS1_3genE3ELNS1_11target_archE908ELNS1_3gpuE7ELNS1_3repE0EEENS1_30default_config_static_selectorELNS0_4arch9wavefront6targetE1EEEvSV_,comdat
	.globl	_ZN7rocprim17ROCPRIM_400000_NS6detail17trampoline_kernelINS0_13select_configILj256ELj13ELNS0_17block_load_methodE3ELS4_3ELS4_3ELNS0_20block_scan_algorithmE0ELj4294967295EEENS1_25partition_config_selectorILNS1_17partition_subalgoE3EjNS0_10empty_typeEbEEZZNS1_14partition_implILS8_3ELb0ES6_jNS0_17counting_iteratorIjlEEPS9_SE_NS0_5tupleIJPjSE_EEENSF_IJSE_SE_EEES9_SG_JZNS1_25segmented_radix_sort_implINS0_14default_configELb1EPKlPlSM_SN_N2at6native12_GLOBAL__N_18offset_tEEE10hipError_tPvRmT1_PNSt15iterator_traitsISV_E10value_typeET2_T3_PNSW_IS11_E10value_typeET4_jRbjT5_S17_jjP12ihipStream_tbEUljE_EEESS_ST_SU_S11_S15_S17_T6_T7_T9_mT8_S19_bDpT10_ENKUlT_T0_E_clISt17integral_constantIbLb0EES1L_IbLb1EEEEDaS1H_S1I_EUlS1H_E_NS1_11comp_targetILNS1_3genE3ELNS1_11target_archE908ELNS1_3gpuE7ELNS1_3repE0EEENS1_30default_config_static_selectorELNS0_4arch9wavefront6targetE1EEEvSV_ ; -- Begin function _ZN7rocprim17ROCPRIM_400000_NS6detail17trampoline_kernelINS0_13select_configILj256ELj13ELNS0_17block_load_methodE3ELS4_3ELS4_3ELNS0_20block_scan_algorithmE0ELj4294967295EEENS1_25partition_config_selectorILNS1_17partition_subalgoE3EjNS0_10empty_typeEbEEZZNS1_14partition_implILS8_3ELb0ES6_jNS0_17counting_iteratorIjlEEPS9_SE_NS0_5tupleIJPjSE_EEENSF_IJSE_SE_EEES9_SG_JZNS1_25segmented_radix_sort_implINS0_14default_configELb1EPKlPlSM_SN_N2at6native12_GLOBAL__N_18offset_tEEE10hipError_tPvRmT1_PNSt15iterator_traitsISV_E10value_typeET2_T3_PNSW_IS11_E10value_typeET4_jRbjT5_S17_jjP12ihipStream_tbEUljE_EEESS_ST_SU_S11_S15_S17_T6_T7_T9_mT8_S19_bDpT10_ENKUlT_T0_E_clISt17integral_constantIbLb0EES1L_IbLb1EEEEDaS1H_S1I_EUlS1H_E_NS1_11comp_targetILNS1_3genE3ELNS1_11target_archE908ELNS1_3gpuE7ELNS1_3repE0EEENS1_30default_config_static_selectorELNS0_4arch9wavefront6targetE1EEEvSV_
	.p2align	8
	.type	_ZN7rocprim17ROCPRIM_400000_NS6detail17trampoline_kernelINS0_13select_configILj256ELj13ELNS0_17block_load_methodE3ELS4_3ELS4_3ELNS0_20block_scan_algorithmE0ELj4294967295EEENS1_25partition_config_selectorILNS1_17partition_subalgoE3EjNS0_10empty_typeEbEEZZNS1_14partition_implILS8_3ELb0ES6_jNS0_17counting_iteratorIjlEEPS9_SE_NS0_5tupleIJPjSE_EEENSF_IJSE_SE_EEES9_SG_JZNS1_25segmented_radix_sort_implINS0_14default_configELb1EPKlPlSM_SN_N2at6native12_GLOBAL__N_18offset_tEEE10hipError_tPvRmT1_PNSt15iterator_traitsISV_E10value_typeET2_T3_PNSW_IS11_E10value_typeET4_jRbjT5_S17_jjP12ihipStream_tbEUljE_EEESS_ST_SU_S11_S15_S17_T6_T7_T9_mT8_S19_bDpT10_ENKUlT_T0_E_clISt17integral_constantIbLb0EES1L_IbLb1EEEEDaS1H_S1I_EUlS1H_E_NS1_11comp_targetILNS1_3genE3ELNS1_11target_archE908ELNS1_3gpuE7ELNS1_3repE0EEENS1_30default_config_static_selectorELNS0_4arch9wavefront6targetE1EEEvSV_,@function
_ZN7rocprim17ROCPRIM_400000_NS6detail17trampoline_kernelINS0_13select_configILj256ELj13ELNS0_17block_load_methodE3ELS4_3ELS4_3ELNS0_20block_scan_algorithmE0ELj4294967295EEENS1_25partition_config_selectorILNS1_17partition_subalgoE3EjNS0_10empty_typeEbEEZZNS1_14partition_implILS8_3ELb0ES6_jNS0_17counting_iteratorIjlEEPS9_SE_NS0_5tupleIJPjSE_EEENSF_IJSE_SE_EEES9_SG_JZNS1_25segmented_radix_sort_implINS0_14default_configELb1EPKlPlSM_SN_N2at6native12_GLOBAL__N_18offset_tEEE10hipError_tPvRmT1_PNSt15iterator_traitsISV_E10value_typeET2_T3_PNSW_IS11_E10value_typeET4_jRbjT5_S17_jjP12ihipStream_tbEUljE_EEESS_ST_SU_S11_S15_S17_T6_T7_T9_mT8_S19_bDpT10_ENKUlT_T0_E_clISt17integral_constantIbLb0EES1L_IbLb1EEEEDaS1H_S1I_EUlS1H_E_NS1_11comp_targetILNS1_3genE3ELNS1_11target_archE908ELNS1_3gpuE7ELNS1_3repE0EEENS1_30default_config_static_selectorELNS0_4arch9wavefront6targetE1EEEvSV_: ; @_ZN7rocprim17ROCPRIM_400000_NS6detail17trampoline_kernelINS0_13select_configILj256ELj13ELNS0_17block_load_methodE3ELS4_3ELS4_3ELNS0_20block_scan_algorithmE0ELj4294967295EEENS1_25partition_config_selectorILNS1_17partition_subalgoE3EjNS0_10empty_typeEbEEZZNS1_14partition_implILS8_3ELb0ES6_jNS0_17counting_iteratorIjlEEPS9_SE_NS0_5tupleIJPjSE_EEENSF_IJSE_SE_EEES9_SG_JZNS1_25segmented_radix_sort_implINS0_14default_configELb1EPKlPlSM_SN_N2at6native12_GLOBAL__N_18offset_tEEE10hipError_tPvRmT1_PNSt15iterator_traitsISV_E10value_typeET2_T3_PNSW_IS11_E10value_typeET4_jRbjT5_S17_jjP12ihipStream_tbEUljE_EEESS_ST_SU_S11_S15_S17_T6_T7_T9_mT8_S19_bDpT10_ENKUlT_T0_E_clISt17integral_constantIbLb0EES1L_IbLb1EEEEDaS1H_S1I_EUlS1H_E_NS1_11comp_targetILNS1_3genE3ELNS1_11target_archE908ELNS1_3gpuE7ELNS1_3repE0EEENS1_30default_config_static_selectorELNS0_4arch9wavefront6targetE1EEEvSV_
; %bb.0:
	.section	.rodata,"a",@progbits
	.p2align	6, 0x0
	.amdhsa_kernel _ZN7rocprim17ROCPRIM_400000_NS6detail17trampoline_kernelINS0_13select_configILj256ELj13ELNS0_17block_load_methodE3ELS4_3ELS4_3ELNS0_20block_scan_algorithmE0ELj4294967295EEENS1_25partition_config_selectorILNS1_17partition_subalgoE3EjNS0_10empty_typeEbEEZZNS1_14partition_implILS8_3ELb0ES6_jNS0_17counting_iteratorIjlEEPS9_SE_NS0_5tupleIJPjSE_EEENSF_IJSE_SE_EEES9_SG_JZNS1_25segmented_radix_sort_implINS0_14default_configELb1EPKlPlSM_SN_N2at6native12_GLOBAL__N_18offset_tEEE10hipError_tPvRmT1_PNSt15iterator_traitsISV_E10value_typeET2_T3_PNSW_IS11_E10value_typeET4_jRbjT5_S17_jjP12ihipStream_tbEUljE_EEESS_ST_SU_S11_S15_S17_T6_T7_T9_mT8_S19_bDpT10_ENKUlT_T0_E_clISt17integral_constantIbLb0EES1L_IbLb1EEEEDaS1H_S1I_EUlS1H_E_NS1_11comp_targetILNS1_3genE3ELNS1_11target_archE908ELNS1_3gpuE7ELNS1_3repE0EEENS1_30default_config_static_selectorELNS0_4arch9wavefront6targetE1EEEvSV_
		.amdhsa_group_segment_fixed_size 0
		.amdhsa_private_segment_fixed_size 0
		.amdhsa_kernarg_size 152
		.amdhsa_user_sgpr_count 6
		.amdhsa_user_sgpr_private_segment_buffer 1
		.amdhsa_user_sgpr_dispatch_ptr 0
		.amdhsa_user_sgpr_queue_ptr 0
		.amdhsa_user_sgpr_kernarg_segment_ptr 1
		.amdhsa_user_sgpr_dispatch_id 0
		.amdhsa_user_sgpr_flat_scratch_init 0
		.amdhsa_user_sgpr_kernarg_preload_length 0
		.amdhsa_user_sgpr_kernarg_preload_offset 0
		.amdhsa_user_sgpr_private_segment_size 0
		.amdhsa_uses_dynamic_stack 0
		.amdhsa_system_sgpr_private_segment_wavefront_offset 0
		.amdhsa_system_sgpr_workgroup_id_x 1
		.amdhsa_system_sgpr_workgroup_id_y 0
		.amdhsa_system_sgpr_workgroup_id_z 0
		.amdhsa_system_sgpr_workgroup_info 0
		.amdhsa_system_vgpr_workitem_id 0
		.amdhsa_next_free_vgpr 1
		.amdhsa_next_free_sgpr 0
		.amdhsa_accum_offset 4
		.amdhsa_reserve_vcc 0
		.amdhsa_reserve_flat_scratch 0
		.amdhsa_float_round_mode_32 0
		.amdhsa_float_round_mode_16_64 0
		.amdhsa_float_denorm_mode_32 3
		.amdhsa_float_denorm_mode_16_64 3
		.amdhsa_dx10_clamp 1
		.amdhsa_ieee_mode 1
		.amdhsa_fp16_overflow 0
		.amdhsa_tg_split 0
		.amdhsa_exception_fp_ieee_invalid_op 0
		.amdhsa_exception_fp_denorm_src 0
		.amdhsa_exception_fp_ieee_div_zero 0
		.amdhsa_exception_fp_ieee_overflow 0
		.amdhsa_exception_fp_ieee_underflow 0
		.amdhsa_exception_fp_ieee_inexact 0
		.amdhsa_exception_int_div_zero 0
	.end_amdhsa_kernel
	.section	.text._ZN7rocprim17ROCPRIM_400000_NS6detail17trampoline_kernelINS0_13select_configILj256ELj13ELNS0_17block_load_methodE3ELS4_3ELS4_3ELNS0_20block_scan_algorithmE0ELj4294967295EEENS1_25partition_config_selectorILNS1_17partition_subalgoE3EjNS0_10empty_typeEbEEZZNS1_14partition_implILS8_3ELb0ES6_jNS0_17counting_iteratorIjlEEPS9_SE_NS0_5tupleIJPjSE_EEENSF_IJSE_SE_EEES9_SG_JZNS1_25segmented_radix_sort_implINS0_14default_configELb1EPKlPlSM_SN_N2at6native12_GLOBAL__N_18offset_tEEE10hipError_tPvRmT1_PNSt15iterator_traitsISV_E10value_typeET2_T3_PNSW_IS11_E10value_typeET4_jRbjT5_S17_jjP12ihipStream_tbEUljE_EEESS_ST_SU_S11_S15_S17_T6_T7_T9_mT8_S19_bDpT10_ENKUlT_T0_E_clISt17integral_constantIbLb0EES1L_IbLb1EEEEDaS1H_S1I_EUlS1H_E_NS1_11comp_targetILNS1_3genE3ELNS1_11target_archE908ELNS1_3gpuE7ELNS1_3repE0EEENS1_30default_config_static_selectorELNS0_4arch9wavefront6targetE1EEEvSV_,"axG",@progbits,_ZN7rocprim17ROCPRIM_400000_NS6detail17trampoline_kernelINS0_13select_configILj256ELj13ELNS0_17block_load_methodE3ELS4_3ELS4_3ELNS0_20block_scan_algorithmE0ELj4294967295EEENS1_25partition_config_selectorILNS1_17partition_subalgoE3EjNS0_10empty_typeEbEEZZNS1_14partition_implILS8_3ELb0ES6_jNS0_17counting_iteratorIjlEEPS9_SE_NS0_5tupleIJPjSE_EEENSF_IJSE_SE_EEES9_SG_JZNS1_25segmented_radix_sort_implINS0_14default_configELb1EPKlPlSM_SN_N2at6native12_GLOBAL__N_18offset_tEEE10hipError_tPvRmT1_PNSt15iterator_traitsISV_E10value_typeET2_T3_PNSW_IS11_E10value_typeET4_jRbjT5_S17_jjP12ihipStream_tbEUljE_EEESS_ST_SU_S11_S15_S17_T6_T7_T9_mT8_S19_bDpT10_ENKUlT_T0_E_clISt17integral_constantIbLb0EES1L_IbLb1EEEEDaS1H_S1I_EUlS1H_E_NS1_11comp_targetILNS1_3genE3ELNS1_11target_archE908ELNS1_3gpuE7ELNS1_3repE0EEENS1_30default_config_static_selectorELNS0_4arch9wavefront6targetE1EEEvSV_,comdat
.Lfunc_end699:
	.size	_ZN7rocprim17ROCPRIM_400000_NS6detail17trampoline_kernelINS0_13select_configILj256ELj13ELNS0_17block_load_methodE3ELS4_3ELS4_3ELNS0_20block_scan_algorithmE0ELj4294967295EEENS1_25partition_config_selectorILNS1_17partition_subalgoE3EjNS0_10empty_typeEbEEZZNS1_14partition_implILS8_3ELb0ES6_jNS0_17counting_iteratorIjlEEPS9_SE_NS0_5tupleIJPjSE_EEENSF_IJSE_SE_EEES9_SG_JZNS1_25segmented_radix_sort_implINS0_14default_configELb1EPKlPlSM_SN_N2at6native12_GLOBAL__N_18offset_tEEE10hipError_tPvRmT1_PNSt15iterator_traitsISV_E10value_typeET2_T3_PNSW_IS11_E10value_typeET4_jRbjT5_S17_jjP12ihipStream_tbEUljE_EEESS_ST_SU_S11_S15_S17_T6_T7_T9_mT8_S19_bDpT10_ENKUlT_T0_E_clISt17integral_constantIbLb0EES1L_IbLb1EEEEDaS1H_S1I_EUlS1H_E_NS1_11comp_targetILNS1_3genE3ELNS1_11target_archE908ELNS1_3gpuE7ELNS1_3repE0EEENS1_30default_config_static_selectorELNS0_4arch9wavefront6targetE1EEEvSV_, .Lfunc_end699-_ZN7rocprim17ROCPRIM_400000_NS6detail17trampoline_kernelINS0_13select_configILj256ELj13ELNS0_17block_load_methodE3ELS4_3ELS4_3ELNS0_20block_scan_algorithmE0ELj4294967295EEENS1_25partition_config_selectorILNS1_17partition_subalgoE3EjNS0_10empty_typeEbEEZZNS1_14partition_implILS8_3ELb0ES6_jNS0_17counting_iteratorIjlEEPS9_SE_NS0_5tupleIJPjSE_EEENSF_IJSE_SE_EEES9_SG_JZNS1_25segmented_radix_sort_implINS0_14default_configELb1EPKlPlSM_SN_N2at6native12_GLOBAL__N_18offset_tEEE10hipError_tPvRmT1_PNSt15iterator_traitsISV_E10value_typeET2_T3_PNSW_IS11_E10value_typeET4_jRbjT5_S17_jjP12ihipStream_tbEUljE_EEESS_ST_SU_S11_S15_S17_T6_T7_T9_mT8_S19_bDpT10_ENKUlT_T0_E_clISt17integral_constantIbLb0EES1L_IbLb1EEEEDaS1H_S1I_EUlS1H_E_NS1_11comp_targetILNS1_3genE3ELNS1_11target_archE908ELNS1_3gpuE7ELNS1_3repE0EEENS1_30default_config_static_selectorELNS0_4arch9wavefront6targetE1EEEvSV_
                                        ; -- End function
	.section	.AMDGPU.csdata,"",@progbits
; Kernel info:
; codeLenInByte = 0
; NumSgprs: 4
; NumVgprs: 0
; NumAgprs: 0
; TotalNumVgprs: 0
; ScratchSize: 0
; MemoryBound: 0
; FloatMode: 240
; IeeeMode: 1
; LDSByteSize: 0 bytes/workgroup (compile time only)
; SGPRBlocks: 0
; VGPRBlocks: 0
; NumSGPRsForWavesPerEU: 4
; NumVGPRsForWavesPerEU: 1
; AccumOffset: 4
; Occupancy: 8
; WaveLimiterHint : 0
; COMPUTE_PGM_RSRC2:SCRATCH_EN: 0
; COMPUTE_PGM_RSRC2:USER_SGPR: 6
; COMPUTE_PGM_RSRC2:TRAP_HANDLER: 0
; COMPUTE_PGM_RSRC2:TGID_X_EN: 1
; COMPUTE_PGM_RSRC2:TGID_Y_EN: 0
; COMPUTE_PGM_RSRC2:TGID_Z_EN: 0
; COMPUTE_PGM_RSRC2:TIDIG_COMP_CNT: 0
; COMPUTE_PGM_RSRC3_GFX90A:ACCUM_OFFSET: 0
; COMPUTE_PGM_RSRC3_GFX90A:TG_SPLIT: 0
	.section	.text._ZN7rocprim17ROCPRIM_400000_NS6detail17trampoline_kernelINS0_13select_configILj256ELj13ELNS0_17block_load_methodE3ELS4_3ELS4_3ELNS0_20block_scan_algorithmE0ELj4294967295EEENS1_25partition_config_selectorILNS1_17partition_subalgoE3EjNS0_10empty_typeEbEEZZNS1_14partition_implILS8_3ELb0ES6_jNS0_17counting_iteratorIjlEEPS9_SE_NS0_5tupleIJPjSE_EEENSF_IJSE_SE_EEES9_SG_JZNS1_25segmented_radix_sort_implINS0_14default_configELb1EPKlPlSM_SN_N2at6native12_GLOBAL__N_18offset_tEEE10hipError_tPvRmT1_PNSt15iterator_traitsISV_E10value_typeET2_T3_PNSW_IS11_E10value_typeET4_jRbjT5_S17_jjP12ihipStream_tbEUljE_EEESS_ST_SU_S11_S15_S17_T6_T7_T9_mT8_S19_bDpT10_ENKUlT_T0_E_clISt17integral_constantIbLb0EES1L_IbLb1EEEEDaS1H_S1I_EUlS1H_E_NS1_11comp_targetILNS1_3genE2ELNS1_11target_archE906ELNS1_3gpuE6ELNS1_3repE0EEENS1_30default_config_static_selectorELNS0_4arch9wavefront6targetE1EEEvSV_,"axG",@progbits,_ZN7rocprim17ROCPRIM_400000_NS6detail17trampoline_kernelINS0_13select_configILj256ELj13ELNS0_17block_load_methodE3ELS4_3ELS4_3ELNS0_20block_scan_algorithmE0ELj4294967295EEENS1_25partition_config_selectorILNS1_17partition_subalgoE3EjNS0_10empty_typeEbEEZZNS1_14partition_implILS8_3ELb0ES6_jNS0_17counting_iteratorIjlEEPS9_SE_NS0_5tupleIJPjSE_EEENSF_IJSE_SE_EEES9_SG_JZNS1_25segmented_radix_sort_implINS0_14default_configELb1EPKlPlSM_SN_N2at6native12_GLOBAL__N_18offset_tEEE10hipError_tPvRmT1_PNSt15iterator_traitsISV_E10value_typeET2_T3_PNSW_IS11_E10value_typeET4_jRbjT5_S17_jjP12ihipStream_tbEUljE_EEESS_ST_SU_S11_S15_S17_T6_T7_T9_mT8_S19_bDpT10_ENKUlT_T0_E_clISt17integral_constantIbLb0EES1L_IbLb1EEEEDaS1H_S1I_EUlS1H_E_NS1_11comp_targetILNS1_3genE2ELNS1_11target_archE906ELNS1_3gpuE6ELNS1_3repE0EEENS1_30default_config_static_selectorELNS0_4arch9wavefront6targetE1EEEvSV_,comdat
	.globl	_ZN7rocprim17ROCPRIM_400000_NS6detail17trampoline_kernelINS0_13select_configILj256ELj13ELNS0_17block_load_methodE3ELS4_3ELS4_3ELNS0_20block_scan_algorithmE0ELj4294967295EEENS1_25partition_config_selectorILNS1_17partition_subalgoE3EjNS0_10empty_typeEbEEZZNS1_14partition_implILS8_3ELb0ES6_jNS0_17counting_iteratorIjlEEPS9_SE_NS0_5tupleIJPjSE_EEENSF_IJSE_SE_EEES9_SG_JZNS1_25segmented_radix_sort_implINS0_14default_configELb1EPKlPlSM_SN_N2at6native12_GLOBAL__N_18offset_tEEE10hipError_tPvRmT1_PNSt15iterator_traitsISV_E10value_typeET2_T3_PNSW_IS11_E10value_typeET4_jRbjT5_S17_jjP12ihipStream_tbEUljE_EEESS_ST_SU_S11_S15_S17_T6_T7_T9_mT8_S19_bDpT10_ENKUlT_T0_E_clISt17integral_constantIbLb0EES1L_IbLb1EEEEDaS1H_S1I_EUlS1H_E_NS1_11comp_targetILNS1_3genE2ELNS1_11target_archE906ELNS1_3gpuE6ELNS1_3repE0EEENS1_30default_config_static_selectorELNS0_4arch9wavefront6targetE1EEEvSV_ ; -- Begin function _ZN7rocprim17ROCPRIM_400000_NS6detail17trampoline_kernelINS0_13select_configILj256ELj13ELNS0_17block_load_methodE3ELS4_3ELS4_3ELNS0_20block_scan_algorithmE0ELj4294967295EEENS1_25partition_config_selectorILNS1_17partition_subalgoE3EjNS0_10empty_typeEbEEZZNS1_14partition_implILS8_3ELb0ES6_jNS0_17counting_iteratorIjlEEPS9_SE_NS0_5tupleIJPjSE_EEENSF_IJSE_SE_EEES9_SG_JZNS1_25segmented_radix_sort_implINS0_14default_configELb1EPKlPlSM_SN_N2at6native12_GLOBAL__N_18offset_tEEE10hipError_tPvRmT1_PNSt15iterator_traitsISV_E10value_typeET2_T3_PNSW_IS11_E10value_typeET4_jRbjT5_S17_jjP12ihipStream_tbEUljE_EEESS_ST_SU_S11_S15_S17_T6_T7_T9_mT8_S19_bDpT10_ENKUlT_T0_E_clISt17integral_constantIbLb0EES1L_IbLb1EEEEDaS1H_S1I_EUlS1H_E_NS1_11comp_targetILNS1_3genE2ELNS1_11target_archE906ELNS1_3gpuE6ELNS1_3repE0EEENS1_30default_config_static_selectorELNS0_4arch9wavefront6targetE1EEEvSV_
	.p2align	8
	.type	_ZN7rocprim17ROCPRIM_400000_NS6detail17trampoline_kernelINS0_13select_configILj256ELj13ELNS0_17block_load_methodE3ELS4_3ELS4_3ELNS0_20block_scan_algorithmE0ELj4294967295EEENS1_25partition_config_selectorILNS1_17partition_subalgoE3EjNS0_10empty_typeEbEEZZNS1_14partition_implILS8_3ELb0ES6_jNS0_17counting_iteratorIjlEEPS9_SE_NS0_5tupleIJPjSE_EEENSF_IJSE_SE_EEES9_SG_JZNS1_25segmented_radix_sort_implINS0_14default_configELb1EPKlPlSM_SN_N2at6native12_GLOBAL__N_18offset_tEEE10hipError_tPvRmT1_PNSt15iterator_traitsISV_E10value_typeET2_T3_PNSW_IS11_E10value_typeET4_jRbjT5_S17_jjP12ihipStream_tbEUljE_EEESS_ST_SU_S11_S15_S17_T6_T7_T9_mT8_S19_bDpT10_ENKUlT_T0_E_clISt17integral_constantIbLb0EES1L_IbLb1EEEEDaS1H_S1I_EUlS1H_E_NS1_11comp_targetILNS1_3genE2ELNS1_11target_archE906ELNS1_3gpuE6ELNS1_3repE0EEENS1_30default_config_static_selectorELNS0_4arch9wavefront6targetE1EEEvSV_,@function
_ZN7rocprim17ROCPRIM_400000_NS6detail17trampoline_kernelINS0_13select_configILj256ELj13ELNS0_17block_load_methodE3ELS4_3ELS4_3ELNS0_20block_scan_algorithmE0ELj4294967295EEENS1_25partition_config_selectorILNS1_17partition_subalgoE3EjNS0_10empty_typeEbEEZZNS1_14partition_implILS8_3ELb0ES6_jNS0_17counting_iteratorIjlEEPS9_SE_NS0_5tupleIJPjSE_EEENSF_IJSE_SE_EEES9_SG_JZNS1_25segmented_radix_sort_implINS0_14default_configELb1EPKlPlSM_SN_N2at6native12_GLOBAL__N_18offset_tEEE10hipError_tPvRmT1_PNSt15iterator_traitsISV_E10value_typeET2_T3_PNSW_IS11_E10value_typeET4_jRbjT5_S17_jjP12ihipStream_tbEUljE_EEESS_ST_SU_S11_S15_S17_T6_T7_T9_mT8_S19_bDpT10_ENKUlT_T0_E_clISt17integral_constantIbLb0EES1L_IbLb1EEEEDaS1H_S1I_EUlS1H_E_NS1_11comp_targetILNS1_3genE2ELNS1_11target_archE906ELNS1_3gpuE6ELNS1_3repE0EEENS1_30default_config_static_selectorELNS0_4arch9wavefront6targetE1EEEvSV_: ; @_ZN7rocprim17ROCPRIM_400000_NS6detail17trampoline_kernelINS0_13select_configILj256ELj13ELNS0_17block_load_methodE3ELS4_3ELS4_3ELNS0_20block_scan_algorithmE0ELj4294967295EEENS1_25partition_config_selectorILNS1_17partition_subalgoE3EjNS0_10empty_typeEbEEZZNS1_14partition_implILS8_3ELb0ES6_jNS0_17counting_iteratorIjlEEPS9_SE_NS0_5tupleIJPjSE_EEENSF_IJSE_SE_EEES9_SG_JZNS1_25segmented_radix_sort_implINS0_14default_configELb1EPKlPlSM_SN_N2at6native12_GLOBAL__N_18offset_tEEE10hipError_tPvRmT1_PNSt15iterator_traitsISV_E10value_typeET2_T3_PNSW_IS11_E10value_typeET4_jRbjT5_S17_jjP12ihipStream_tbEUljE_EEESS_ST_SU_S11_S15_S17_T6_T7_T9_mT8_S19_bDpT10_ENKUlT_T0_E_clISt17integral_constantIbLb0EES1L_IbLb1EEEEDaS1H_S1I_EUlS1H_E_NS1_11comp_targetILNS1_3genE2ELNS1_11target_archE906ELNS1_3gpuE6ELNS1_3repE0EEENS1_30default_config_static_selectorELNS0_4arch9wavefront6targetE1EEEvSV_
; %bb.0:
	.section	.rodata,"a",@progbits
	.p2align	6, 0x0
	.amdhsa_kernel _ZN7rocprim17ROCPRIM_400000_NS6detail17trampoline_kernelINS0_13select_configILj256ELj13ELNS0_17block_load_methodE3ELS4_3ELS4_3ELNS0_20block_scan_algorithmE0ELj4294967295EEENS1_25partition_config_selectorILNS1_17partition_subalgoE3EjNS0_10empty_typeEbEEZZNS1_14partition_implILS8_3ELb0ES6_jNS0_17counting_iteratorIjlEEPS9_SE_NS0_5tupleIJPjSE_EEENSF_IJSE_SE_EEES9_SG_JZNS1_25segmented_radix_sort_implINS0_14default_configELb1EPKlPlSM_SN_N2at6native12_GLOBAL__N_18offset_tEEE10hipError_tPvRmT1_PNSt15iterator_traitsISV_E10value_typeET2_T3_PNSW_IS11_E10value_typeET4_jRbjT5_S17_jjP12ihipStream_tbEUljE_EEESS_ST_SU_S11_S15_S17_T6_T7_T9_mT8_S19_bDpT10_ENKUlT_T0_E_clISt17integral_constantIbLb0EES1L_IbLb1EEEEDaS1H_S1I_EUlS1H_E_NS1_11comp_targetILNS1_3genE2ELNS1_11target_archE906ELNS1_3gpuE6ELNS1_3repE0EEENS1_30default_config_static_selectorELNS0_4arch9wavefront6targetE1EEEvSV_
		.amdhsa_group_segment_fixed_size 0
		.amdhsa_private_segment_fixed_size 0
		.amdhsa_kernarg_size 152
		.amdhsa_user_sgpr_count 6
		.amdhsa_user_sgpr_private_segment_buffer 1
		.amdhsa_user_sgpr_dispatch_ptr 0
		.amdhsa_user_sgpr_queue_ptr 0
		.amdhsa_user_sgpr_kernarg_segment_ptr 1
		.amdhsa_user_sgpr_dispatch_id 0
		.amdhsa_user_sgpr_flat_scratch_init 0
		.amdhsa_user_sgpr_kernarg_preload_length 0
		.amdhsa_user_sgpr_kernarg_preload_offset 0
		.amdhsa_user_sgpr_private_segment_size 0
		.amdhsa_uses_dynamic_stack 0
		.amdhsa_system_sgpr_private_segment_wavefront_offset 0
		.amdhsa_system_sgpr_workgroup_id_x 1
		.amdhsa_system_sgpr_workgroup_id_y 0
		.amdhsa_system_sgpr_workgroup_id_z 0
		.amdhsa_system_sgpr_workgroup_info 0
		.amdhsa_system_vgpr_workitem_id 0
		.amdhsa_next_free_vgpr 1
		.amdhsa_next_free_sgpr 0
		.amdhsa_accum_offset 4
		.amdhsa_reserve_vcc 0
		.amdhsa_reserve_flat_scratch 0
		.amdhsa_float_round_mode_32 0
		.amdhsa_float_round_mode_16_64 0
		.amdhsa_float_denorm_mode_32 3
		.amdhsa_float_denorm_mode_16_64 3
		.amdhsa_dx10_clamp 1
		.amdhsa_ieee_mode 1
		.amdhsa_fp16_overflow 0
		.amdhsa_tg_split 0
		.amdhsa_exception_fp_ieee_invalid_op 0
		.amdhsa_exception_fp_denorm_src 0
		.amdhsa_exception_fp_ieee_div_zero 0
		.amdhsa_exception_fp_ieee_overflow 0
		.amdhsa_exception_fp_ieee_underflow 0
		.amdhsa_exception_fp_ieee_inexact 0
		.amdhsa_exception_int_div_zero 0
	.end_amdhsa_kernel
	.section	.text._ZN7rocprim17ROCPRIM_400000_NS6detail17trampoline_kernelINS0_13select_configILj256ELj13ELNS0_17block_load_methodE3ELS4_3ELS4_3ELNS0_20block_scan_algorithmE0ELj4294967295EEENS1_25partition_config_selectorILNS1_17partition_subalgoE3EjNS0_10empty_typeEbEEZZNS1_14partition_implILS8_3ELb0ES6_jNS0_17counting_iteratorIjlEEPS9_SE_NS0_5tupleIJPjSE_EEENSF_IJSE_SE_EEES9_SG_JZNS1_25segmented_radix_sort_implINS0_14default_configELb1EPKlPlSM_SN_N2at6native12_GLOBAL__N_18offset_tEEE10hipError_tPvRmT1_PNSt15iterator_traitsISV_E10value_typeET2_T3_PNSW_IS11_E10value_typeET4_jRbjT5_S17_jjP12ihipStream_tbEUljE_EEESS_ST_SU_S11_S15_S17_T6_T7_T9_mT8_S19_bDpT10_ENKUlT_T0_E_clISt17integral_constantIbLb0EES1L_IbLb1EEEEDaS1H_S1I_EUlS1H_E_NS1_11comp_targetILNS1_3genE2ELNS1_11target_archE906ELNS1_3gpuE6ELNS1_3repE0EEENS1_30default_config_static_selectorELNS0_4arch9wavefront6targetE1EEEvSV_,"axG",@progbits,_ZN7rocprim17ROCPRIM_400000_NS6detail17trampoline_kernelINS0_13select_configILj256ELj13ELNS0_17block_load_methodE3ELS4_3ELS4_3ELNS0_20block_scan_algorithmE0ELj4294967295EEENS1_25partition_config_selectorILNS1_17partition_subalgoE3EjNS0_10empty_typeEbEEZZNS1_14partition_implILS8_3ELb0ES6_jNS0_17counting_iteratorIjlEEPS9_SE_NS0_5tupleIJPjSE_EEENSF_IJSE_SE_EEES9_SG_JZNS1_25segmented_radix_sort_implINS0_14default_configELb1EPKlPlSM_SN_N2at6native12_GLOBAL__N_18offset_tEEE10hipError_tPvRmT1_PNSt15iterator_traitsISV_E10value_typeET2_T3_PNSW_IS11_E10value_typeET4_jRbjT5_S17_jjP12ihipStream_tbEUljE_EEESS_ST_SU_S11_S15_S17_T6_T7_T9_mT8_S19_bDpT10_ENKUlT_T0_E_clISt17integral_constantIbLb0EES1L_IbLb1EEEEDaS1H_S1I_EUlS1H_E_NS1_11comp_targetILNS1_3genE2ELNS1_11target_archE906ELNS1_3gpuE6ELNS1_3repE0EEENS1_30default_config_static_selectorELNS0_4arch9wavefront6targetE1EEEvSV_,comdat
.Lfunc_end700:
	.size	_ZN7rocprim17ROCPRIM_400000_NS6detail17trampoline_kernelINS0_13select_configILj256ELj13ELNS0_17block_load_methodE3ELS4_3ELS4_3ELNS0_20block_scan_algorithmE0ELj4294967295EEENS1_25partition_config_selectorILNS1_17partition_subalgoE3EjNS0_10empty_typeEbEEZZNS1_14partition_implILS8_3ELb0ES6_jNS0_17counting_iteratorIjlEEPS9_SE_NS0_5tupleIJPjSE_EEENSF_IJSE_SE_EEES9_SG_JZNS1_25segmented_radix_sort_implINS0_14default_configELb1EPKlPlSM_SN_N2at6native12_GLOBAL__N_18offset_tEEE10hipError_tPvRmT1_PNSt15iterator_traitsISV_E10value_typeET2_T3_PNSW_IS11_E10value_typeET4_jRbjT5_S17_jjP12ihipStream_tbEUljE_EEESS_ST_SU_S11_S15_S17_T6_T7_T9_mT8_S19_bDpT10_ENKUlT_T0_E_clISt17integral_constantIbLb0EES1L_IbLb1EEEEDaS1H_S1I_EUlS1H_E_NS1_11comp_targetILNS1_3genE2ELNS1_11target_archE906ELNS1_3gpuE6ELNS1_3repE0EEENS1_30default_config_static_selectorELNS0_4arch9wavefront6targetE1EEEvSV_, .Lfunc_end700-_ZN7rocprim17ROCPRIM_400000_NS6detail17trampoline_kernelINS0_13select_configILj256ELj13ELNS0_17block_load_methodE3ELS4_3ELS4_3ELNS0_20block_scan_algorithmE0ELj4294967295EEENS1_25partition_config_selectorILNS1_17partition_subalgoE3EjNS0_10empty_typeEbEEZZNS1_14partition_implILS8_3ELb0ES6_jNS0_17counting_iteratorIjlEEPS9_SE_NS0_5tupleIJPjSE_EEENSF_IJSE_SE_EEES9_SG_JZNS1_25segmented_radix_sort_implINS0_14default_configELb1EPKlPlSM_SN_N2at6native12_GLOBAL__N_18offset_tEEE10hipError_tPvRmT1_PNSt15iterator_traitsISV_E10value_typeET2_T3_PNSW_IS11_E10value_typeET4_jRbjT5_S17_jjP12ihipStream_tbEUljE_EEESS_ST_SU_S11_S15_S17_T6_T7_T9_mT8_S19_bDpT10_ENKUlT_T0_E_clISt17integral_constantIbLb0EES1L_IbLb1EEEEDaS1H_S1I_EUlS1H_E_NS1_11comp_targetILNS1_3genE2ELNS1_11target_archE906ELNS1_3gpuE6ELNS1_3repE0EEENS1_30default_config_static_selectorELNS0_4arch9wavefront6targetE1EEEvSV_
                                        ; -- End function
	.section	.AMDGPU.csdata,"",@progbits
; Kernel info:
; codeLenInByte = 0
; NumSgprs: 4
; NumVgprs: 0
; NumAgprs: 0
; TotalNumVgprs: 0
; ScratchSize: 0
; MemoryBound: 0
; FloatMode: 240
; IeeeMode: 1
; LDSByteSize: 0 bytes/workgroup (compile time only)
; SGPRBlocks: 0
; VGPRBlocks: 0
; NumSGPRsForWavesPerEU: 4
; NumVGPRsForWavesPerEU: 1
; AccumOffset: 4
; Occupancy: 8
; WaveLimiterHint : 0
; COMPUTE_PGM_RSRC2:SCRATCH_EN: 0
; COMPUTE_PGM_RSRC2:USER_SGPR: 6
; COMPUTE_PGM_RSRC2:TRAP_HANDLER: 0
; COMPUTE_PGM_RSRC2:TGID_X_EN: 1
; COMPUTE_PGM_RSRC2:TGID_Y_EN: 0
; COMPUTE_PGM_RSRC2:TGID_Z_EN: 0
; COMPUTE_PGM_RSRC2:TIDIG_COMP_CNT: 0
; COMPUTE_PGM_RSRC3_GFX90A:ACCUM_OFFSET: 0
; COMPUTE_PGM_RSRC3_GFX90A:TG_SPLIT: 0
	.section	.text._ZN7rocprim17ROCPRIM_400000_NS6detail17trampoline_kernelINS0_13select_configILj256ELj13ELNS0_17block_load_methodE3ELS4_3ELS4_3ELNS0_20block_scan_algorithmE0ELj4294967295EEENS1_25partition_config_selectorILNS1_17partition_subalgoE3EjNS0_10empty_typeEbEEZZNS1_14partition_implILS8_3ELb0ES6_jNS0_17counting_iteratorIjlEEPS9_SE_NS0_5tupleIJPjSE_EEENSF_IJSE_SE_EEES9_SG_JZNS1_25segmented_radix_sort_implINS0_14default_configELb1EPKlPlSM_SN_N2at6native12_GLOBAL__N_18offset_tEEE10hipError_tPvRmT1_PNSt15iterator_traitsISV_E10value_typeET2_T3_PNSW_IS11_E10value_typeET4_jRbjT5_S17_jjP12ihipStream_tbEUljE_EEESS_ST_SU_S11_S15_S17_T6_T7_T9_mT8_S19_bDpT10_ENKUlT_T0_E_clISt17integral_constantIbLb0EES1L_IbLb1EEEEDaS1H_S1I_EUlS1H_E_NS1_11comp_targetILNS1_3genE10ELNS1_11target_archE1200ELNS1_3gpuE4ELNS1_3repE0EEENS1_30default_config_static_selectorELNS0_4arch9wavefront6targetE1EEEvSV_,"axG",@progbits,_ZN7rocprim17ROCPRIM_400000_NS6detail17trampoline_kernelINS0_13select_configILj256ELj13ELNS0_17block_load_methodE3ELS4_3ELS4_3ELNS0_20block_scan_algorithmE0ELj4294967295EEENS1_25partition_config_selectorILNS1_17partition_subalgoE3EjNS0_10empty_typeEbEEZZNS1_14partition_implILS8_3ELb0ES6_jNS0_17counting_iteratorIjlEEPS9_SE_NS0_5tupleIJPjSE_EEENSF_IJSE_SE_EEES9_SG_JZNS1_25segmented_radix_sort_implINS0_14default_configELb1EPKlPlSM_SN_N2at6native12_GLOBAL__N_18offset_tEEE10hipError_tPvRmT1_PNSt15iterator_traitsISV_E10value_typeET2_T3_PNSW_IS11_E10value_typeET4_jRbjT5_S17_jjP12ihipStream_tbEUljE_EEESS_ST_SU_S11_S15_S17_T6_T7_T9_mT8_S19_bDpT10_ENKUlT_T0_E_clISt17integral_constantIbLb0EES1L_IbLb1EEEEDaS1H_S1I_EUlS1H_E_NS1_11comp_targetILNS1_3genE10ELNS1_11target_archE1200ELNS1_3gpuE4ELNS1_3repE0EEENS1_30default_config_static_selectorELNS0_4arch9wavefront6targetE1EEEvSV_,comdat
	.globl	_ZN7rocprim17ROCPRIM_400000_NS6detail17trampoline_kernelINS0_13select_configILj256ELj13ELNS0_17block_load_methodE3ELS4_3ELS4_3ELNS0_20block_scan_algorithmE0ELj4294967295EEENS1_25partition_config_selectorILNS1_17partition_subalgoE3EjNS0_10empty_typeEbEEZZNS1_14partition_implILS8_3ELb0ES6_jNS0_17counting_iteratorIjlEEPS9_SE_NS0_5tupleIJPjSE_EEENSF_IJSE_SE_EEES9_SG_JZNS1_25segmented_radix_sort_implINS0_14default_configELb1EPKlPlSM_SN_N2at6native12_GLOBAL__N_18offset_tEEE10hipError_tPvRmT1_PNSt15iterator_traitsISV_E10value_typeET2_T3_PNSW_IS11_E10value_typeET4_jRbjT5_S17_jjP12ihipStream_tbEUljE_EEESS_ST_SU_S11_S15_S17_T6_T7_T9_mT8_S19_bDpT10_ENKUlT_T0_E_clISt17integral_constantIbLb0EES1L_IbLb1EEEEDaS1H_S1I_EUlS1H_E_NS1_11comp_targetILNS1_3genE10ELNS1_11target_archE1200ELNS1_3gpuE4ELNS1_3repE0EEENS1_30default_config_static_selectorELNS0_4arch9wavefront6targetE1EEEvSV_ ; -- Begin function _ZN7rocprim17ROCPRIM_400000_NS6detail17trampoline_kernelINS0_13select_configILj256ELj13ELNS0_17block_load_methodE3ELS4_3ELS4_3ELNS0_20block_scan_algorithmE0ELj4294967295EEENS1_25partition_config_selectorILNS1_17partition_subalgoE3EjNS0_10empty_typeEbEEZZNS1_14partition_implILS8_3ELb0ES6_jNS0_17counting_iteratorIjlEEPS9_SE_NS0_5tupleIJPjSE_EEENSF_IJSE_SE_EEES9_SG_JZNS1_25segmented_radix_sort_implINS0_14default_configELb1EPKlPlSM_SN_N2at6native12_GLOBAL__N_18offset_tEEE10hipError_tPvRmT1_PNSt15iterator_traitsISV_E10value_typeET2_T3_PNSW_IS11_E10value_typeET4_jRbjT5_S17_jjP12ihipStream_tbEUljE_EEESS_ST_SU_S11_S15_S17_T6_T7_T9_mT8_S19_bDpT10_ENKUlT_T0_E_clISt17integral_constantIbLb0EES1L_IbLb1EEEEDaS1H_S1I_EUlS1H_E_NS1_11comp_targetILNS1_3genE10ELNS1_11target_archE1200ELNS1_3gpuE4ELNS1_3repE0EEENS1_30default_config_static_selectorELNS0_4arch9wavefront6targetE1EEEvSV_
	.p2align	8
	.type	_ZN7rocprim17ROCPRIM_400000_NS6detail17trampoline_kernelINS0_13select_configILj256ELj13ELNS0_17block_load_methodE3ELS4_3ELS4_3ELNS0_20block_scan_algorithmE0ELj4294967295EEENS1_25partition_config_selectorILNS1_17partition_subalgoE3EjNS0_10empty_typeEbEEZZNS1_14partition_implILS8_3ELb0ES6_jNS0_17counting_iteratorIjlEEPS9_SE_NS0_5tupleIJPjSE_EEENSF_IJSE_SE_EEES9_SG_JZNS1_25segmented_radix_sort_implINS0_14default_configELb1EPKlPlSM_SN_N2at6native12_GLOBAL__N_18offset_tEEE10hipError_tPvRmT1_PNSt15iterator_traitsISV_E10value_typeET2_T3_PNSW_IS11_E10value_typeET4_jRbjT5_S17_jjP12ihipStream_tbEUljE_EEESS_ST_SU_S11_S15_S17_T6_T7_T9_mT8_S19_bDpT10_ENKUlT_T0_E_clISt17integral_constantIbLb0EES1L_IbLb1EEEEDaS1H_S1I_EUlS1H_E_NS1_11comp_targetILNS1_3genE10ELNS1_11target_archE1200ELNS1_3gpuE4ELNS1_3repE0EEENS1_30default_config_static_selectorELNS0_4arch9wavefront6targetE1EEEvSV_,@function
_ZN7rocprim17ROCPRIM_400000_NS6detail17trampoline_kernelINS0_13select_configILj256ELj13ELNS0_17block_load_methodE3ELS4_3ELS4_3ELNS0_20block_scan_algorithmE0ELj4294967295EEENS1_25partition_config_selectorILNS1_17partition_subalgoE3EjNS0_10empty_typeEbEEZZNS1_14partition_implILS8_3ELb0ES6_jNS0_17counting_iteratorIjlEEPS9_SE_NS0_5tupleIJPjSE_EEENSF_IJSE_SE_EEES9_SG_JZNS1_25segmented_radix_sort_implINS0_14default_configELb1EPKlPlSM_SN_N2at6native12_GLOBAL__N_18offset_tEEE10hipError_tPvRmT1_PNSt15iterator_traitsISV_E10value_typeET2_T3_PNSW_IS11_E10value_typeET4_jRbjT5_S17_jjP12ihipStream_tbEUljE_EEESS_ST_SU_S11_S15_S17_T6_T7_T9_mT8_S19_bDpT10_ENKUlT_T0_E_clISt17integral_constantIbLb0EES1L_IbLb1EEEEDaS1H_S1I_EUlS1H_E_NS1_11comp_targetILNS1_3genE10ELNS1_11target_archE1200ELNS1_3gpuE4ELNS1_3repE0EEENS1_30default_config_static_selectorELNS0_4arch9wavefront6targetE1EEEvSV_: ; @_ZN7rocprim17ROCPRIM_400000_NS6detail17trampoline_kernelINS0_13select_configILj256ELj13ELNS0_17block_load_methodE3ELS4_3ELS4_3ELNS0_20block_scan_algorithmE0ELj4294967295EEENS1_25partition_config_selectorILNS1_17partition_subalgoE3EjNS0_10empty_typeEbEEZZNS1_14partition_implILS8_3ELb0ES6_jNS0_17counting_iteratorIjlEEPS9_SE_NS0_5tupleIJPjSE_EEENSF_IJSE_SE_EEES9_SG_JZNS1_25segmented_radix_sort_implINS0_14default_configELb1EPKlPlSM_SN_N2at6native12_GLOBAL__N_18offset_tEEE10hipError_tPvRmT1_PNSt15iterator_traitsISV_E10value_typeET2_T3_PNSW_IS11_E10value_typeET4_jRbjT5_S17_jjP12ihipStream_tbEUljE_EEESS_ST_SU_S11_S15_S17_T6_T7_T9_mT8_S19_bDpT10_ENKUlT_T0_E_clISt17integral_constantIbLb0EES1L_IbLb1EEEEDaS1H_S1I_EUlS1H_E_NS1_11comp_targetILNS1_3genE10ELNS1_11target_archE1200ELNS1_3gpuE4ELNS1_3repE0EEENS1_30default_config_static_selectorELNS0_4arch9wavefront6targetE1EEEvSV_
; %bb.0:
	.section	.rodata,"a",@progbits
	.p2align	6, 0x0
	.amdhsa_kernel _ZN7rocprim17ROCPRIM_400000_NS6detail17trampoline_kernelINS0_13select_configILj256ELj13ELNS0_17block_load_methodE3ELS4_3ELS4_3ELNS0_20block_scan_algorithmE0ELj4294967295EEENS1_25partition_config_selectorILNS1_17partition_subalgoE3EjNS0_10empty_typeEbEEZZNS1_14partition_implILS8_3ELb0ES6_jNS0_17counting_iteratorIjlEEPS9_SE_NS0_5tupleIJPjSE_EEENSF_IJSE_SE_EEES9_SG_JZNS1_25segmented_radix_sort_implINS0_14default_configELb1EPKlPlSM_SN_N2at6native12_GLOBAL__N_18offset_tEEE10hipError_tPvRmT1_PNSt15iterator_traitsISV_E10value_typeET2_T3_PNSW_IS11_E10value_typeET4_jRbjT5_S17_jjP12ihipStream_tbEUljE_EEESS_ST_SU_S11_S15_S17_T6_T7_T9_mT8_S19_bDpT10_ENKUlT_T0_E_clISt17integral_constantIbLb0EES1L_IbLb1EEEEDaS1H_S1I_EUlS1H_E_NS1_11comp_targetILNS1_3genE10ELNS1_11target_archE1200ELNS1_3gpuE4ELNS1_3repE0EEENS1_30default_config_static_selectorELNS0_4arch9wavefront6targetE1EEEvSV_
		.amdhsa_group_segment_fixed_size 0
		.amdhsa_private_segment_fixed_size 0
		.amdhsa_kernarg_size 152
		.amdhsa_user_sgpr_count 6
		.amdhsa_user_sgpr_private_segment_buffer 1
		.amdhsa_user_sgpr_dispatch_ptr 0
		.amdhsa_user_sgpr_queue_ptr 0
		.amdhsa_user_sgpr_kernarg_segment_ptr 1
		.amdhsa_user_sgpr_dispatch_id 0
		.amdhsa_user_sgpr_flat_scratch_init 0
		.amdhsa_user_sgpr_kernarg_preload_length 0
		.amdhsa_user_sgpr_kernarg_preload_offset 0
		.amdhsa_user_sgpr_private_segment_size 0
		.amdhsa_uses_dynamic_stack 0
		.amdhsa_system_sgpr_private_segment_wavefront_offset 0
		.amdhsa_system_sgpr_workgroup_id_x 1
		.amdhsa_system_sgpr_workgroup_id_y 0
		.amdhsa_system_sgpr_workgroup_id_z 0
		.amdhsa_system_sgpr_workgroup_info 0
		.amdhsa_system_vgpr_workitem_id 0
		.amdhsa_next_free_vgpr 1
		.amdhsa_next_free_sgpr 0
		.amdhsa_accum_offset 4
		.amdhsa_reserve_vcc 0
		.amdhsa_reserve_flat_scratch 0
		.amdhsa_float_round_mode_32 0
		.amdhsa_float_round_mode_16_64 0
		.amdhsa_float_denorm_mode_32 3
		.amdhsa_float_denorm_mode_16_64 3
		.amdhsa_dx10_clamp 1
		.amdhsa_ieee_mode 1
		.amdhsa_fp16_overflow 0
		.amdhsa_tg_split 0
		.amdhsa_exception_fp_ieee_invalid_op 0
		.amdhsa_exception_fp_denorm_src 0
		.amdhsa_exception_fp_ieee_div_zero 0
		.amdhsa_exception_fp_ieee_overflow 0
		.amdhsa_exception_fp_ieee_underflow 0
		.amdhsa_exception_fp_ieee_inexact 0
		.amdhsa_exception_int_div_zero 0
	.end_amdhsa_kernel
	.section	.text._ZN7rocprim17ROCPRIM_400000_NS6detail17trampoline_kernelINS0_13select_configILj256ELj13ELNS0_17block_load_methodE3ELS4_3ELS4_3ELNS0_20block_scan_algorithmE0ELj4294967295EEENS1_25partition_config_selectorILNS1_17partition_subalgoE3EjNS0_10empty_typeEbEEZZNS1_14partition_implILS8_3ELb0ES6_jNS0_17counting_iteratorIjlEEPS9_SE_NS0_5tupleIJPjSE_EEENSF_IJSE_SE_EEES9_SG_JZNS1_25segmented_radix_sort_implINS0_14default_configELb1EPKlPlSM_SN_N2at6native12_GLOBAL__N_18offset_tEEE10hipError_tPvRmT1_PNSt15iterator_traitsISV_E10value_typeET2_T3_PNSW_IS11_E10value_typeET4_jRbjT5_S17_jjP12ihipStream_tbEUljE_EEESS_ST_SU_S11_S15_S17_T6_T7_T9_mT8_S19_bDpT10_ENKUlT_T0_E_clISt17integral_constantIbLb0EES1L_IbLb1EEEEDaS1H_S1I_EUlS1H_E_NS1_11comp_targetILNS1_3genE10ELNS1_11target_archE1200ELNS1_3gpuE4ELNS1_3repE0EEENS1_30default_config_static_selectorELNS0_4arch9wavefront6targetE1EEEvSV_,"axG",@progbits,_ZN7rocprim17ROCPRIM_400000_NS6detail17trampoline_kernelINS0_13select_configILj256ELj13ELNS0_17block_load_methodE3ELS4_3ELS4_3ELNS0_20block_scan_algorithmE0ELj4294967295EEENS1_25partition_config_selectorILNS1_17partition_subalgoE3EjNS0_10empty_typeEbEEZZNS1_14partition_implILS8_3ELb0ES6_jNS0_17counting_iteratorIjlEEPS9_SE_NS0_5tupleIJPjSE_EEENSF_IJSE_SE_EEES9_SG_JZNS1_25segmented_radix_sort_implINS0_14default_configELb1EPKlPlSM_SN_N2at6native12_GLOBAL__N_18offset_tEEE10hipError_tPvRmT1_PNSt15iterator_traitsISV_E10value_typeET2_T3_PNSW_IS11_E10value_typeET4_jRbjT5_S17_jjP12ihipStream_tbEUljE_EEESS_ST_SU_S11_S15_S17_T6_T7_T9_mT8_S19_bDpT10_ENKUlT_T0_E_clISt17integral_constantIbLb0EES1L_IbLb1EEEEDaS1H_S1I_EUlS1H_E_NS1_11comp_targetILNS1_3genE10ELNS1_11target_archE1200ELNS1_3gpuE4ELNS1_3repE0EEENS1_30default_config_static_selectorELNS0_4arch9wavefront6targetE1EEEvSV_,comdat
.Lfunc_end701:
	.size	_ZN7rocprim17ROCPRIM_400000_NS6detail17trampoline_kernelINS0_13select_configILj256ELj13ELNS0_17block_load_methodE3ELS4_3ELS4_3ELNS0_20block_scan_algorithmE0ELj4294967295EEENS1_25partition_config_selectorILNS1_17partition_subalgoE3EjNS0_10empty_typeEbEEZZNS1_14partition_implILS8_3ELb0ES6_jNS0_17counting_iteratorIjlEEPS9_SE_NS0_5tupleIJPjSE_EEENSF_IJSE_SE_EEES9_SG_JZNS1_25segmented_radix_sort_implINS0_14default_configELb1EPKlPlSM_SN_N2at6native12_GLOBAL__N_18offset_tEEE10hipError_tPvRmT1_PNSt15iterator_traitsISV_E10value_typeET2_T3_PNSW_IS11_E10value_typeET4_jRbjT5_S17_jjP12ihipStream_tbEUljE_EEESS_ST_SU_S11_S15_S17_T6_T7_T9_mT8_S19_bDpT10_ENKUlT_T0_E_clISt17integral_constantIbLb0EES1L_IbLb1EEEEDaS1H_S1I_EUlS1H_E_NS1_11comp_targetILNS1_3genE10ELNS1_11target_archE1200ELNS1_3gpuE4ELNS1_3repE0EEENS1_30default_config_static_selectorELNS0_4arch9wavefront6targetE1EEEvSV_, .Lfunc_end701-_ZN7rocprim17ROCPRIM_400000_NS6detail17trampoline_kernelINS0_13select_configILj256ELj13ELNS0_17block_load_methodE3ELS4_3ELS4_3ELNS0_20block_scan_algorithmE0ELj4294967295EEENS1_25partition_config_selectorILNS1_17partition_subalgoE3EjNS0_10empty_typeEbEEZZNS1_14partition_implILS8_3ELb0ES6_jNS0_17counting_iteratorIjlEEPS9_SE_NS0_5tupleIJPjSE_EEENSF_IJSE_SE_EEES9_SG_JZNS1_25segmented_radix_sort_implINS0_14default_configELb1EPKlPlSM_SN_N2at6native12_GLOBAL__N_18offset_tEEE10hipError_tPvRmT1_PNSt15iterator_traitsISV_E10value_typeET2_T3_PNSW_IS11_E10value_typeET4_jRbjT5_S17_jjP12ihipStream_tbEUljE_EEESS_ST_SU_S11_S15_S17_T6_T7_T9_mT8_S19_bDpT10_ENKUlT_T0_E_clISt17integral_constantIbLb0EES1L_IbLb1EEEEDaS1H_S1I_EUlS1H_E_NS1_11comp_targetILNS1_3genE10ELNS1_11target_archE1200ELNS1_3gpuE4ELNS1_3repE0EEENS1_30default_config_static_selectorELNS0_4arch9wavefront6targetE1EEEvSV_
                                        ; -- End function
	.section	.AMDGPU.csdata,"",@progbits
; Kernel info:
; codeLenInByte = 0
; NumSgprs: 4
; NumVgprs: 0
; NumAgprs: 0
; TotalNumVgprs: 0
; ScratchSize: 0
; MemoryBound: 0
; FloatMode: 240
; IeeeMode: 1
; LDSByteSize: 0 bytes/workgroup (compile time only)
; SGPRBlocks: 0
; VGPRBlocks: 0
; NumSGPRsForWavesPerEU: 4
; NumVGPRsForWavesPerEU: 1
; AccumOffset: 4
; Occupancy: 8
; WaveLimiterHint : 0
; COMPUTE_PGM_RSRC2:SCRATCH_EN: 0
; COMPUTE_PGM_RSRC2:USER_SGPR: 6
; COMPUTE_PGM_RSRC2:TRAP_HANDLER: 0
; COMPUTE_PGM_RSRC2:TGID_X_EN: 1
; COMPUTE_PGM_RSRC2:TGID_Y_EN: 0
; COMPUTE_PGM_RSRC2:TGID_Z_EN: 0
; COMPUTE_PGM_RSRC2:TIDIG_COMP_CNT: 0
; COMPUTE_PGM_RSRC3_GFX90A:ACCUM_OFFSET: 0
; COMPUTE_PGM_RSRC3_GFX90A:TG_SPLIT: 0
	.section	.text._ZN7rocprim17ROCPRIM_400000_NS6detail17trampoline_kernelINS0_13select_configILj256ELj13ELNS0_17block_load_methodE3ELS4_3ELS4_3ELNS0_20block_scan_algorithmE0ELj4294967295EEENS1_25partition_config_selectorILNS1_17partition_subalgoE3EjNS0_10empty_typeEbEEZZNS1_14partition_implILS8_3ELb0ES6_jNS0_17counting_iteratorIjlEEPS9_SE_NS0_5tupleIJPjSE_EEENSF_IJSE_SE_EEES9_SG_JZNS1_25segmented_radix_sort_implINS0_14default_configELb1EPKlPlSM_SN_N2at6native12_GLOBAL__N_18offset_tEEE10hipError_tPvRmT1_PNSt15iterator_traitsISV_E10value_typeET2_T3_PNSW_IS11_E10value_typeET4_jRbjT5_S17_jjP12ihipStream_tbEUljE_EEESS_ST_SU_S11_S15_S17_T6_T7_T9_mT8_S19_bDpT10_ENKUlT_T0_E_clISt17integral_constantIbLb0EES1L_IbLb1EEEEDaS1H_S1I_EUlS1H_E_NS1_11comp_targetILNS1_3genE9ELNS1_11target_archE1100ELNS1_3gpuE3ELNS1_3repE0EEENS1_30default_config_static_selectorELNS0_4arch9wavefront6targetE1EEEvSV_,"axG",@progbits,_ZN7rocprim17ROCPRIM_400000_NS6detail17trampoline_kernelINS0_13select_configILj256ELj13ELNS0_17block_load_methodE3ELS4_3ELS4_3ELNS0_20block_scan_algorithmE0ELj4294967295EEENS1_25partition_config_selectorILNS1_17partition_subalgoE3EjNS0_10empty_typeEbEEZZNS1_14partition_implILS8_3ELb0ES6_jNS0_17counting_iteratorIjlEEPS9_SE_NS0_5tupleIJPjSE_EEENSF_IJSE_SE_EEES9_SG_JZNS1_25segmented_radix_sort_implINS0_14default_configELb1EPKlPlSM_SN_N2at6native12_GLOBAL__N_18offset_tEEE10hipError_tPvRmT1_PNSt15iterator_traitsISV_E10value_typeET2_T3_PNSW_IS11_E10value_typeET4_jRbjT5_S17_jjP12ihipStream_tbEUljE_EEESS_ST_SU_S11_S15_S17_T6_T7_T9_mT8_S19_bDpT10_ENKUlT_T0_E_clISt17integral_constantIbLb0EES1L_IbLb1EEEEDaS1H_S1I_EUlS1H_E_NS1_11comp_targetILNS1_3genE9ELNS1_11target_archE1100ELNS1_3gpuE3ELNS1_3repE0EEENS1_30default_config_static_selectorELNS0_4arch9wavefront6targetE1EEEvSV_,comdat
	.globl	_ZN7rocprim17ROCPRIM_400000_NS6detail17trampoline_kernelINS0_13select_configILj256ELj13ELNS0_17block_load_methodE3ELS4_3ELS4_3ELNS0_20block_scan_algorithmE0ELj4294967295EEENS1_25partition_config_selectorILNS1_17partition_subalgoE3EjNS0_10empty_typeEbEEZZNS1_14partition_implILS8_3ELb0ES6_jNS0_17counting_iteratorIjlEEPS9_SE_NS0_5tupleIJPjSE_EEENSF_IJSE_SE_EEES9_SG_JZNS1_25segmented_radix_sort_implINS0_14default_configELb1EPKlPlSM_SN_N2at6native12_GLOBAL__N_18offset_tEEE10hipError_tPvRmT1_PNSt15iterator_traitsISV_E10value_typeET2_T3_PNSW_IS11_E10value_typeET4_jRbjT5_S17_jjP12ihipStream_tbEUljE_EEESS_ST_SU_S11_S15_S17_T6_T7_T9_mT8_S19_bDpT10_ENKUlT_T0_E_clISt17integral_constantIbLb0EES1L_IbLb1EEEEDaS1H_S1I_EUlS1H_E_NS1_11comp_targetILNS1_3genE9ELNS1_11target_archE1100ELNS1_3gpuE3ELNS1_3repE0EEENS1_30default_config_static_selectorELNS0_4arch9wavefront6targetE1EEEvSV_ ; -- Begin function _ZN7rocprim17ROCPRIM_400000_NS6detail17trampoline_kernelINS0_13select_configILj256ELj13ELNS0_17block_load_methodE3ELS4_3ELS4_3ELNS0_20block_scan_algorithmE0ELj4294967295EEENS1_25partition_config_selectorILNS1_17partition_subalgoE3EjNS0_10empty_typeEbEEZZNS1_14partition_implILS8_3ELb0ES6_jNS0_17counting_iteratorIjlEEPS9_SE_NS0_5tupleIJPjSE_EEENSF_IJSE_SE_EEES9_SG_JZNS1_25segmented_radix_sort_implINS0_14default_configELb1EPKlPlSM_SN_N2at6native12_GLOBAL__N_18offset_tEEE10hipError_tPvRmT1_PNSt15iterator_traitsISV_E10value_typeET2_T3_PNSW_IS11_E10value_typeET4_jRbjT5_S17_jjP12ihipStream_tbEUljE_EEESS_ST_SU_S11_S15_S17_T6_T7_T9_mT8_S19_bDpT10_ENKUlT_T0_E_clISt17integral_constantIbLb0EES1L_IbLb1EEEEDaS1H_S1I_EUlS1H_E_NS1_11comp_targetILNS1_3genE9ELNS1_11target_archE1100ELNS1_3gpuE3ELNS1_3repE0EEENS1_30default_config_static_selectorELNS0_4arch9wavefront6targetE1EEEvSV_
	.p2align	8
	.type	_ZN7rocprim17ROCPRIM_400000_NS6detail17trampoline_kernelINS0_13select_configILj256ELj13ELNS0_17block_load_methodE3ELS4_3ELS4_3ELNS0_20block_scan_algorithmE0ELj4294967295EEENS1_25partition_config_selectorILNS1_17partition_subalgoE3EjNS0_10empty_typeEbEEZZNS1_14partition_implILS8_3ELb0ES6_jNS0_17counting_iteratorIjlEEPS9_SE_NS0_5tupleIJPjSE_EEENSF_IJSE_SE_EEES9_SG_JZNS1_25segmented_radix_sort_implINS0_14default_configELb1EPKlPlSM_SN_N2at6native12_GLOBAL__N_18offset_tEEE10hipError_tPvRmT1_PNSt15iterator_traitsISV_E10value_typeET2_T3_PNSW_IS11_E10value_typeET4_jRbjT5_S17_jjP12ihipStream_tbEUljE_EEESS_ST_SU_S11_S15_S17_T6_T7_T9_mT8_S19_bDpT10_ENKUlT_T0_E_clISt17integral_constantIbLb0EES1L_IbLb1EEEEDaS1H_S1I_EUlS1H_E_NS1_11comp_targetILNS1_3genE9ELNS1_11target_archE1100ELNS1_3gpuE3ELNS1_3repE0EEENS1_30default_config_static_selectorELNS0_4arch9wavefront6targetE1EEEvSV_,@function
_ZN7rocprim17ROCPRIM_400000_NS6detail17trampoline_kernelINS0_13select_configILj256ELj13ELNS0_17block_load_methodE3ELS4_3ELS4_3ELNS0_20block_scan_algorithmE0ELj4294967295EEENS1_25partition_config_selectorILNS1_17partition_subalgoE3EjNS0_10empty_typeEbEEZZNS1_14partition_implILS8_3ELb0ES6_jNS0_17counting_iteratorIjlEEPS9_SE_NS0_5tupleIJPjSE_EEENSF_IJSE_SE_EEES9_SG_JZNS1_25segmented_radix_sort_implINS0_14default_configELb1EPKlPlSM_SN_N2at6native12_GLOBAL__N_18offset_tEEE10hipError_tPvRmT1_PNSt15iterator_traitsISV_E10value_typeET2_T3_PNSW_IS11_E10value_typeET4_jRbjT5_S17_jjP12ihipStream_tbEUljE_EEESS_ST_SU_S11_S15_S17_T6_T7_T9_mT8_S19_bDpT10_ENKUlT_T0_E_clISt17integral_constantIbLb0EES1L_IbLb1EEEEDaS1H_S1I_EUlS1H_E_NS1_11comp_targetILNS1_3genE9ELNS1_11target_archE1100ELNS1_3gpuE3ELNS1_3repE0EEENS1_30default_config_static_selectorELNS0_4arch9wavefront6targetE1EEEvSV_: ; @_ZN7rocprim17ROCPRIM_400000_NS6detail17trampoline_kernelINS0_13select_configILj256ELj13ELNS0_17block_load_methodE3ELS4_3ELS4_3ELNS0_20block_scan_algorithmE0ELj4294967295EEENS1_25partition_config_selectorILNS1_17partition_subalgoE3EjNS0_10empty_typeEbEEZZNS1_14partition_implILS8_3ELb0ES6_jNS0_17counting_iteratorIjlEEPS9_SE_NS0_5tupleIJPjSE_EEENSF_IJSE_SE_EEES9_SG_JZNS1_25segmented_radix_sort_implINS0_14default_configELb1EPKlPlSM_SN_N2at6native12_GLOBAL__N_18offset_tEEE10hipError_tPvRmT1_PNSt15iterator_traitsISV_E10value_typeET2_T3_PNSW_IS11_E10value_typeET4_jRbjT5_S17_jjP12ihipStream_tbEUljE_EEESS_ST_SU_S11_S15_S17_T6_T7_T9_mT8_S19_bDpT10_ENKUlT_T0_E_clISt17integral_constantIbLb0EES1L_IbLb1EEEEDaS1H_S1I_EUlS1H_E_NS1_11comp_targetILNS1_3genE9ELNS1_11target_archE1100ELNS1_3gpuE3ELNS1_3repE0EEENS1_30default_config_static_selectorELNS0_4arch9wavefront6targetE1EEEvSV_
; %bb.0:
	.section	.rodata,"a",@progbits
	.p2align	6, 0x0
	.amdhsa_kernel _ZN7rocprim17ROCPRIM_400000_NS6detail17trampoline_kernelINS0_13select_configILj256ELj13ELNS0_17block_load_methodE3ELS4_3ELS4_3ELNS0_20block_scan_algorithmE0ELj4294967295EEENS1_25partition_config_selectorILNS1_17partition_subalgoE3EjNS0_10empty_typeEbEEZZNS1_14partition_implILS8_3ELb0ES6_jNS0_17counting_iteratorIjlEEPS9_SE_NS0_5tupleIJPjSE_EEENSF_IJSE_SE_EEES9_SG_JZNS1_25segmented_radix_sort_implINS0_14default_configELb1EPKlPlSM_SN_N2at6native12_GLOBAL__N_18offset_tEEE10hipError_tPvRmT1_PNSt15iterator_traitsISV_E10value_typeET2_T3_PNSW_IS11_E10value_typeET4_jRbjT5_S17_jjP12ihipStream_tbEUljE_EEESS_ST_SU_S11_S15_S17_T6_T7_T9_mT8_S19_bDpT10_ENKUlT_T0_E_clISt17integral_constantIbLb0EES1L_IbLb1EEEEDaS1H_S1I_EUlS1H_E_NS1_11comp_targetILNS1_3genE9ELNS1_11target_archE1100ELNS1_3gpuE3ELNS1_3repE0EEENS1_30default_config_static_selectorELNS0_4arch9wavefront6targetE1EEEvSV_
		.amdhsa_group_segment_fixed_size 0
		.amdhsa_private_segment_fixed_size 0
		.amdhsa_kernarg_size 152
		.amdhsa_user_sgpr_count 6
		.amdhsa_user_sgpr_private_segment_buffer 1
		.amdhsa_user_sgpr_dispatch_ptr 0
		.amdhsa_user_sgpr_queue_ptr 0
		.amdhsa_user_sgpr_kernarg_segment_ptr 1
		.amdhsa_user_sgpr_dispatch_id 0
		.amdhsa_user_sgpr_flat_scratch_init 0
		.amdhsa_user_sgpr_kernarg_preload_length 0
		.amdhsa_user_sgpr_kernarg_preload_offset 0
		.amdhsa_user_sgpr_private_segment_size 0
		.amdhsa_uses_dynamic_stack 0
		.amdhsa_system_sgpr_private_segment_wavefront_offset 0
		.amdhsa_system_sgpr_workgroup_id_x 1
		.amdhsa_system_sgpr_workgroup_id_y 0
		.amdhsa_system_sgpr_workgroup_id_z 0
		.amdhsa_system_sgpr_workgroup_info 0
		.amdhsa_system_vgpr_workitem_id 0
		.amdhsa_next_free_vgpr 1
		.amdhsa_next_free_sgpr 0
		.amdhsa_accum_offset 4
		.amdhsa_reserve_vcc 0
		.amdhsa_reserve_flat_scratch 0
		.amdhsa_float_round_mode_32 0
		.amdhsa_float_round_mode_16_64 0
		.amdhsa_float_denorm_mode_32 3
		.amdhsa_float_denorm_mode_16_64 3
		.amdhsa_dx10_clamp 1
		.amdhsa_ieee_mode 1
		.amdhsa_fp16_overflow 0
		.amdhsa_tg_split 0
		.amdhsa_exception_fp_ieee_invalid_op 0
		.amdhsa_exception_fp_denorm_src 0
		.amdhsa_exception_fp_ieee_div_zero 0
		.amdhsa_exception_fp_ieee_overflow 0
		.amdhsa_exception_fp_ieee_underflow 0
		.amdhsa_exception_fp_ieee_inexact 0
		.amdhsa_exception_int_div_zero 0
	.end_amdhsa_kernel
	.section	.text._ZN7rocprim17ROCPRIM_400000_NS6detail17trampoline_kernelINS0_13select_configILj256ELj13ELNS0_17block_load_methodE3ELS4_3ELS4_3ELNS0_20block_scan_algorithmE0ELj4294967295EEENS1_25partition_config_selectorILNS1_17partition_subalgoE3EjNS0_10empty_typeEbEEZZNS1_14partition_implILS8_3ELb0ES6_jNS0_17counting_iteratorIjlEEPS9_SE_NS0_5tupleIJPjSE_EEENSF_IJSE_SE_EEES9_SG_JZNS1_25segmented_radix_sort_implINS0_14default_configELb1EPKlPlSM_SN_N2at6native12_GLOBAL__N_18offset_tEEE10hipError_tPvRmT1_PNSt15iterator_traitsISV_E10value_typeET2_T3_PNSW_IS11_E10value_typeET4_jRbjT5_S17_jjP12ihipStream_tbEUljE_EEESS_ST_SU_S11_S15_S17_T6_T7_T9_mT8_S19_bDpT10_ENKUlT_T0_E_clISt17integral_constantIbLb0EES1L_IbLb1EEEEDaS1H_S1I_EUlS1H_E_NS1_11comp_targetILNS1_3genE9ELNS1_11target_archE1100ELNS1_3gpuE3ELNS1_3repE0EEENS1_30default_config_static_selectorELNS0_4arch9wavefront6targetE1EEEvSV_,"axG",@progbits,_ZN7rocprim17ROCPRIM_400000_NS6detail17trampoline_kernelINS0_13select_configILj256ELj13ELNS0_17block_load_methodE3ELS4_3ELS4_3ELNS0_20block_scan_algorithmE0ELj4294967295EEENS1_25partition_config_selectorILNS1_17partition_subalgoE3EjNS0_10empty_typeEbEEZZNS1_14partition_implILS8_3ELb0ES6_jNS0_17counting_iteratorIjlEEPS9_SE_NS0_5tupleIJPjSE_EEENSF_IJSE_SE_EEES9_SG_JZNS1_25segmented_radix_sort_implINS0_14default_configELb1EPKlPlSM_SN_N2at6native12_GLOBAL__N_18offset_tEEE10hipError_tPvRmT1_PNSt15iterator_traitsISV_E10value_typeET2_T3_PNSW_IS11_E10value_typeET4_jRbjT5_S17_jjP12ihipStream_tbEUljE_EEESS_ST_SU_S11_S15_S17_T6_T7_T9_mT8_S19_bDpT10_ENKUlT_T0_E_clISt17integral_constantIbLb0EES1L_IbLb1EEEEDaS1H_S1I_EUlS1H_E_NS1_11comp_targetILNS1_3genE9ELNS1_11target_archE1100ELNS1_3gpuE3ELNS1_3repE0EEENS1_30default_config_static_selectorELNS0_4arch9wavefront6targetE1EEEvSV_,comdat
.Lfunc_end702:
	.size	_ZN7rocprim17ROCPRIM_400000_NS6detail17trampoline_kernelINS0_13select_configILj256ELj13ELNS0_17block_load_methodE3ELS4_3ELS4_3ELNS0_20block_scan_algorithmE0ELj4294967295EEENS1_25partition_config_selectorILNS1_17partition_subalgoE3EjNS0_10empty_typeEbEEZZNS1_14partition_implILS8_3ELb0ES6_jNS0_17counting_iteratorIjlEEPS9_SE_NS0_5tupleIJPjSE_EEENSF_IJSE_SE_EEES9_SG_JZNS1_25segmented_radix_sort_implINS0_14default_configELb1EPKlPlSM_SN_N2at6native12_GLOBAL__N_18offset_tEEE10hipError_tPvRmT1_PNSt15iterator_traitsISV_E10value_typeET2_T3_PNSW_IS11_E10value_typeET4_jRbjT5_S17_jjP12ihipStream_tbEUljE_EEESS_ST_SU_S11_S15_S17_T6_T7_T9_mT8_S19_bDpT10_ENKUlT_T0_E_clISt17integral_constantIbLb0EES1L_IbLb1EEEEDaS1H_S1I_EUlS1H_E_NS1_11comp_targetILNS1_3genE9ELNS1_11target_archE1100ELNS1_3gpuE3ELNS1_3repE0EEENS1_30default_config_static_selectorELNS0_4arch9wavefront6targetE1EEEvSV_, .Lfunc_end702-_ZN7rocprim17ROCPRIM_400000_NS6detail17trampoline_kernelINS0_13select_configILj256ELj13ELNS0_17block_load_methodE3ELS4_3ELS4_3ELNS0_20block_scan_algorithmE0ELj4294967295EEENS1_25partition_config_selectorILNS1_17partition_subalgoE3EjNS0_10empty_typeEbEEZZNS1_14partition_implILS8_3ELb0ES6_jNS0_17counting_iteratorIjlEEPS9_SE_NS0_5tupleIJPjSE_EEENSF_IJSE_SE_EEES9_SG_JZNS1_25segmented_radix_sort_implINS0_14default_configELb1EPKlPlSM_SN_N2at6native12_GLOBAL__N_18offset_tEEE10hipError_tPvRmT1_PNSt15iterator_traitsISV_E10value_typeET2_T3_PNSW_IS11_E10value_typeET4_jRbjT5_S17_jjP12ihipStream_tbEUljE_EEESS_ST_SU_S11_S15_S17_T6_T7_T9_mT8_S19_bDpT10_ENKUlT_T0_E_clISt17integral_constantIbLb0EES1L_IbLb1EEEEDaS1H_S1I_EUlS1H_E_NS1_11comp_targetILNS1_3genE9ELNS1_11target_archE1100ELNS1_3gpuE3ELNS1_3repE0EEENS1_30default_config_static_selectorELNS0_4arch9wavefront6targetE1EEEvSV_
                                        ; -- End function
	.section	.AMDGPU.csdata,"",@progbits
; Kernel info:
; codeLenInByte = 0
; NumSgprs: 4
; NumVgprs: 0
; NumAgprs: 0
; TotalNumVgprs: 0
; ScratchSize: 0
; MemoryBound: 0
; FloatMode: 240
; IeeeMode: 1
; LDSByteSize: 0 bytes/workgroup (compile time only)
; SGPRBlocks: 0
; VGPRBlocks: 0
; NumSGPRsForWavesPerEU: 4
; NumVGPRsForWavesPerEU: 1
; AccumOffset: 4
; Occupancy: 8
; WaveLimiterHint : 0
; COMPUTE_PGM_RSRC2:SCRATCH_EN: 0
; COMPUTE_PGM_RSRC2:USER_SGPR: 6
; COMPUTE_PGM_RSRC2:TRAP_HANDLER: 0
; COMPUTE_PGM_RSRC2:TGID_X_EN: 1
; COMPUTE_PGM_RSRC2:TGID_Y_EN: 0
; COMPUTE_PGM_RSRC2:TGID_Z_EN: 0
; COMPUTE_PGM_RSRC2:TIDIG_COMP_CNT: 0
; COMPUTE_PGM_RSRC3_GFX90A:ACCUM_OFFSET: 0
; COMPUTE_PGM_RSRC3_GFX90A:TG_SPLIT: 0
	.section	.text._ZN7rocprim17ROCPRIM_400000_NS6detail17trampoline_kernelINS0_13select_configILj256ELj13ELNS0_17block_load_methodE3ELS4_3ELS4_3ELNS0_20block_scan_algorithmE0ELj4294967295EEENS1_25partition_config_selectorILNS1_17partition_subalgoE3EjNS0_10empty_typeEbEEZZNS1_14partition_implILS8_3ELb0ES6_jNS0_17counting_iteratorIjlEEPS9_SE_NS0_5tupleIJPjSE_EEENSF_IJSE_SE_EEES9_SG_JZNS1_25segmented_radix_sort_implINS0_14default_configELb1EPKlPlSM_SN_N2at6native12_GLOBAL__N_18offset_tEEE10hipError_tPvRmT1_PNSt15iterator_traitsISV_E10value_typeET2_T3_PNSW_IS11_E10value_typeET4_jRbjT5_S17_jjP12ihipStream_tbEUljE_EEESS_ST_SU_S11_S15_S17_T6_T7_T9_mT8_S19_bDpT10_ENKUlT_T0_E_clISt17integral_constantIbLb0EES1L_IbLb1EEEEDaS1H_S1I_EUlS1H_E_NS1_11comp_targetILNS1_3genE8ELNS1_11target_archE1030ELNS1_3gpuE2ELNS1_3repE0EEENS1_30default_config_static_selectorELNS0_4arch9wavefront6targetE1EEEvSV_,"axG",@progbits,_ZN7rocprim17ROCPRIM_400000_NS6detail17trampoline_kernelINS0_13select_configILj256ELj13ELNS0_17block_load_methodE3ELS4_3ELS4_3ELNS0_20block_scan_algorithmE0ELj4294967295EEENS1_25partition_config_selectorILNS1_17partition_subalgoE3EjNS0_10empty_typeEbEEZZNS1_14partition_implILS8_3ELb0ES6_jNS0_17counting_iteratorIjlEEPS9_SE_NS0_5tupleIJPjSE_EEENSF_IJSE_SE_EEES9_SG_JZNS1_25segmented_radix_sort_implINS0_14default_configELb1EPKlPlSM_SN_N2at6native12_GLOBAL__N_18offset_tEEE10hipError_tPvRmT1_PNSt15iterator_traitsISV_E10value_typeET2_T3_PNSW_IS11_E10value_typeET4_jRbjT5_S17_jjP12ihipStream_tbEUljE_EEESS_ST_SU_S11_S15_S17_T6_T7_T9_mT8_S19_bDpT10_ENKUlT_T0_E_clISt17integral_constantIbLb0EES1L_IbLb1EEEEDaS1H_S1I_EUlS1H_E_NS1_11comp_targetILNS1_3genE8ELNS1_11target_archE1030ELNS1_3gpuE2ELNS1_3repE0EEENS1_30default_config_static_selectorELNS0_4arch9wavefront6targetE1EEEvSV_,comdat
	.globl	_ZN7rocprim17ROCPRIM_400000_NS6detail17trampoline_kernelINS0_13select_configILj256ELj13ELNS0_17block_load_methodE3ELS4_3ELS4_3ELNS0_20block_scan_algorithmE0ELj4294967295EEENS1_25partition_config_selectorILNS1_17partition_subalgoE3EjNS0_10empty_typeEbEEZZNS1_14partition_implILS8_3ELb0ES6_jNS0_17counting_iteratorIjlEEPS9_SE_NS0_5tupleIJPjSE_EEENSF_IJSE_SE_EEES9_SG_JZNS1_25segmented_radix_sort_implINS0_14default_configELb1EPKlPlSM_SN_N2at6native12_GLOBAL__N_18offset_tEEE10hipError_tPvRmT1_PNSt15iterator_traitsISV_E10value_typeET2_T3_PNSW_IS11_E10value_typeET4_jRbjT5_S17_jjP12ihipStream_tbEUljE_EEESS_ST_SU_S11_S15_S17_T6_T7_T9_mT8_S19_bDpT10_ENKUlT_T0_E_clISt17integral_constantIbLb0EES1L_IbLb1EEEEDaS1H_S1I_EUlS1H_E_NS1_11comp_targetILNS1_3genE8ELNS1_11target_archE1030ELNS1_3gpuE2ELNS1_3repE0EEENS1_30default_config_static_selectorELNS0_4arch9wavefront6targetE1EEEvSV_ ; -- Begin function _ZN7rocprim17ROCPRIM_400000_NS6detail17trampoline_kernelINS0_13select_configILj256ELj13ELNS0_17block_load_methodE3ELS4_3ELS4_3ELNS0_20block_scan_algorithmE0ELj4294967295EEENS1_25partition_config_selectorILNS1_17partition_subalgoE3EjNS0_10empty_typeEbEEZZNS1_14partition_implILS8_3ELb0ES6_jNS0_17counting_iteratorIjlEEPS9_SE_NS0_5tupleIJPjSE_EEENSF_IJSE_SE_EEES9_SG_JZNS1_25segmented_radix_sort_implINS0_14default_configELb1EPKlPlSM_SN_N2at6native12_GLOBAL__N_18offset_tEEE10hipError_tPvRmT1_PNSt15iterator_traitsISV_E10value_typeET2_T3_PNSW_IS11_E10value_typeET4_jRbjT5_S17_jjP12ihipStream_tbEUljE_EEESS_ST_SU_S11_S15_S17_T6_T7_T9_mT8_S19_bDpT10_ENKUlT_T0_E_clISt17integral_constantIbLb0EES1L_IbLb1EEEEDaS1H_S1I_EUlS1H_E_NS1_11comp_targetILNS1_3genE8ELNS1_11target_archE1030ELNS1_3gpuE2ELNS1_3repE0EEENS1_30default_config_static_selectorELNS0_4arch9wavefront6targetE1EEEvSV_
	.p2align	8
	.type	_ZN7rocprim17ROCPRIM_400000_NS6detail17trampoline_kernelINS0_13select_configILj256ELj13ELNS0_17block_load_methodE3ELS4_3ELS4_3ELNS0_20block_scan_algorithmE0ELj4294967295EEENS1_25partition_config_selectorILNS1_17partition_subalgoE3EjNS0_10empty_typeEbEEZZNS1_14partition_implILS8_3ELb0ES6_jNS0_17counting_iteratorIjlEEPS9_SE_NS0_5tupleIJPjSE_EEENSF_IJSE_SE_EEES9_SG_JZNS1_25segmented_radix_sort_implINS0_14default_configELb1EPKlPlSM_SN_N2at6native12_GLOBAL__N_18offset_tEEE10hipError_tPvRmT1_PNSt15iterator_traitsISV_E10value_typeET2_T3_PNSW_IS11_E10value_typeET4_jRbjT5_S17_jjP12ihipStream_tbEUljE_EEESS_ST_SU_S11_S15_S17_T6_T7_T9_mT8_S19_bDpT10_ENKUlT_T0_E_clISt17integral_constantIbLb0EES1L_IbLb1EEEEDaS1H_S1I_EUlS1H_E_NS1_11comp_targetILNS1_3genE8ELNS1_11target_archE1030ELNS1_3gpuE2ELNS1_3repE0EEENS1_30default_config_static_selectorELNS0_4arch9wavefront6targetE1EEEvSV_,@function
_ZN7rocprim17ROCPRIM_400000_NS6detail17trampoline_kernelINS0_13select_configILj256ELj13ELNS0_17block_load_methodE3ELS4_3ELS4_3ELNS0_20block_scan_algorithmE0ELj4294967295EEENS1_25partition_config_selectorILNS1_17partition_subalgoE3EjNS0_10empty_typeEbEEZZNS1_14partition_implILS8_3ELb0ES6_jNS0_17counting_iteratorIjlEEPS9_SE_NS0_5tupleIJPjSE_EEENSF_IJSE_SE_EEES9_SG_JZNS1_25segmented_radix_sort_implINS0_14default_configELb1EPKlPlSM_SN_N2at6native12_GLOBAL__N_18offset_tEEE10hipError_tPvRmT1_PNSt15iterator_traitsISV_E10value_typeET2_T3_PNSW_IS11_E10value_typeET4_jRbjT5_S17_jjP12ihipStream_tbEUljE_EEESS_ST_SU_S11_S15_S17_T6_T7_T9_mT8_S19_bDpT10_ENKUlT_T0_E_clISt17integral_constantIbLb0EES1L_IbLb1EEEEDaS1H_S1I_EUlS1H_E_NS1_11comp_targetILNS1_3genE8ELNS1_11target_archE1030ELNS1_3gpuE2ELNS1_3repE0EEENS1_30default_config_static_selectorELNS0_4arch9wavefront6targetE1EEEvSV_: ; @_ZN7rocprim17ROCPRIM_400000_NS6detail17trampoline_kernelINS0_13select_configILj256ELj13ELNS0_17block_load_methodE3ELS4_3ELS4_3ELNS0_20block_scan_algorithmE0ELj4294967295EEENS1_25partition_config_selectorILNS1_17partition_subalgoE3EjNS0_10empty_typeEbEEZZNS1_14partition_implILS8_3ELb0ES6_jNS0_17counting_iteratorIjlEEPS9_SE_NS0_5tupleIJPjSE_EEENSF_IJSE_SE_EEES9_SG_JZNS1_25segmented_radix_sort_implINS0_14default_configELb1EPKlPlSM_SN_N2at6native12_GLOBAL__N_18offset_tEEE10hipError_tPvRmT1_PNSt15iterator_traitsISV_E10value_typeET2_T3_PNSW_IS11_E10value_typeET4_jRbjT5_S17_jjP12ihipStream_tbEUljE_EEESS_ST_SU_S11_S15_S17_T6_T7_T9_mT8_S19_bDpT10_ENKUlT_T0_E_clISt17integral_constantIbLb0EES1L_IbLb1EEEEDaS1H_S1I_EUlS1H_E_NS1_11comp_targetILNS1_3genE8ELNS1_11target_archE1030ELNS1_3gpuE2ELNS1_3repE0EEENS1_30default_config_static_selectorELNS0_4arch9wavefront6targetE1EEEvSV_
; %bb.0:
	.section	.rodata,"a",@progbits
	.p2align	6, 0x0
	.amdhsa_kernel _ZN7rocprim17ROCPRIM_400000_NS6detail17trampoline_kernelINS0_13select_configILj256ELj13ELNS0_17block_load_methodE3ELS4_3ELS4_3ELNS0_20block_scan_algorithmE0ELj4294967295EEENS1_25partition_config_selectorILNS1_17partition_subalgoE3EjNS0_10empty_typeEbEEZZNS1_14partition_implILS8_3ELb0ES6_jNS0_17counting_iteratorIjlEEPS9_SE_NS0_5tupleIJPjSE_EEENSF_IJSE_SE_EEES9_SG_JZNS1_25segmented_radix_sort_implINS0_14default_configELb1EPKlPlSM_SN_N2at6native12_GLOBAL__N_18offset_tEEE10hipError_tPvRmT1_PNSt15iterator_traitsISV_E10value_typeET2_T3_PNSW_IS11_E10value_typeET4_jRbjT5_S17_jjP12ihipStream_tbEUljE_EEESS_ST_SU_S11_S15_S17_T6_T7_T9_mT8_S19_bDpT10_ENKUlT_T0_E_clISt17integral_constantIbLb0EES1L_IbLb1EEEEDaS1H_S1I_EUlS1H_E_NS1_11comp_targetILNS1_3genE8ELNS1_11target_archE1030ELNS1_3gpuE2ELNS1_3repE0EEENS1_30default_config_static_selectorELNS0_4arch9wavefront6targetE1EEEvSV_
		.amdhsa_group_segment_fixed_size 0
		.amdhsa_private_segment_fixed_size 0
		.amdhsa_kernarg_size 152
		.amdhsa_user_sgpr_count 6
		.amdhsa_user_sgpr_private_segment_buffer 1
		.amdhsa_user_sgpr_dispatch_ptr 0
		.amdhsa_user_sgpr_queue_ptr 0
		.amdhsa_user_sgpr_kernarg_segment_ptr 1
		.amdhsa_user_sgpr_dispatch_id 0
		.amdhsa_user_sgpr_flat_scratch_init 0
		.amdhsa_user_sgpr_kernarg_preload_length 0
		.amdhsa_user_sgpr_kernarg_preload_offset 0
		.amdhsa_user_sgpr_private_segment_size 0
		.amdhsa_uses_dynamic_stack 0
		.amdhsa_system_sgpr_private_segment_wavefront_offset 0
		.amdhsa_system_sgpr_workgroup_id_x 1
		.amdhsa_system_sgpr_workgroup_id_y 0
		.amdhsa_system_sgpr_workgroup_id_z 0
		.amdhsa_system_sgpr_workgroup_info 0
		.amdhsa_system_vgpr_workitem_id 0
		.amdhsa_next_free_vgpr 1
		.amdhsa_next_free_sgpr 0
		.amdhsa_accum_offset 4
		.amdhsa_reserve_vcc 0
		.amdhsa_reserve_flat_scratch 0
		.amdhsa_float_round_mode_32 0
		.amdhsa_float_round_mode_16_64 0
		.amdhsa_float_denorm_mode_32 3
		.amdhsa_float_denorm_mode_16_64 3
		.amdhsa_dx10_clamp 1
		.amdhsa_ieee_mode 1
		.amdhsa_fp16_overflow 0
		.amdhsa_tg_split 0
		.amdhsa_exception_fp_ieee_invalid_op 0
		.amdhsa_exception_fp_denorm_src 0
		.amdhsa_exception_fp_ieee_div_zero 0
		.amdhsa_exception_fp_ieee_overflow 0
		.amdhsa_exception_fp_ieee_underflow 0
		.amdhsa_exception_fp_ieee_inexact 0
		.amdhsa_exception_int_div_zero 0
	.end_amdhsa_kernel
	.section	.text._ZN7rocprim17ROCPRIM_400000_NS6detail17trampoline_kernelINS0_13select_configILj256ELj13ELNS0_17block_load_methodE3ELS4_3ELS4_3ELNS0_20block_scan_algorithmE0ELj4294967295EEENS1_25partition_config_selectorILNS1_17partition_subalgoE3EjNS0_10empty_typeEbEEZZNS1_14partition_implILS8_3ELb0ES6_jNS0_17counting_iteratorIjlEEPS9_SE_NS0_5tupleIJPjSE_EEENSF_IJSE_SE_EEES9_SG_JZNS1_25segmented_radix_sort_implINS0_14default_configELb1EPKlPlSM_SN_N2at6native12_GLOBAL__N_18offset_tEEE10hipError_tPvRmT1_PNSt15iterator_traitsISV_E10value_typeET2_T3_PNSW_IS11_E10value_typeET4_jRbjT5_S17_jjP12ihipStream_tbEUljE_EEESS_ST_SU_S11_S15_S17_T6_T7_T9_mT8_S19_bDpT10_ENKUlT_T0_E_clISt17integral_constantIbLb0EES1L_IbLb1EEEEDaS1H_S1I_EUlS1H_E_NS1_11comp_targetILNS1_3genE8ELNS1_11target_archE1030ELNS1_3gpuE2ELNS1_3repE0EEENS1_30default_config_static_selectorELNS0_4arch9wavefront6targetE1EEEvSV_,"axG",@progbits,_ZN7rocprim17ROCPRIM_400000_NS6detail17trampoline_kernelINS0_13select_configILj256ELj13ELNS0_17block_load_methodE3ELS4_3ELS4_3ELNS0_20block_scan_algorithmE0ELj4294967295EEENS1_25partition_config_selectorILNS1_17partition_subalgoE3EjNS0_10empty_typeEbEEZZNS1_14partition_implILS8_3ELb0ES6_jNS0_17counting_iteratorIjlEEPS9_SE_NS0_5tupleIJPjSE_EEENSF_IJSE_SE_EEES9_SG_JZNS1_25segmented_radix_sort_implINS0_14default_configELb1EPKlPlSM_SN_N2at6native12_GLOBAL__N_18offset_tEEE10hipError_tPvRmT1_PNSt15iterator_traitsISV_E10value_typeET2_T3_PNSW_IS11_E10value_typeET4_jRbjT5_S17_jjP12ihipStream_tbEUljE_EEESS_ST_SU_S11_S15_S17_T6_T7_T9_mT8_S19_bDpT10_ENKUlT_T0_E_clISt17integral_constantIbLb0EES1L_IbLb1EEEEDaS1H_S1I_EUlS1H_E_NS1_11comp_targetILNS1_3genE8ELNS1_11target_archE1030ELNS1_3gpuE2ELNS1_3repE0EEENS1_30default_config_static_selectorELNS0_4arch9wavefront6targetE1EEEvSV_,comdat
.Lfunc_end703:
	.size	_ZN7rocprim17ROCPRIM_400000_NS6detail17trampoline_kernelINS0_13select_configILj256ELj13ELNS0_17block_load_methodE3ELS4_3ELS4_3ELNS0_20block_scan_algorithmE0ELj4294967295EEENS1_25partition_config_selectorILNS1_17partition_subalgoE3EjNS0_10empty_typeEbEEZZNS1_14partition_implILS8_3ELb0ES6_jNS0_17counting_iteratorIjlEEPS9_SE_NS0_5tupleIJPjSE_EEENSF_IJSE_SE_EEES9_SG_JZNS1_25segmented_radix_sort_implINS0_14default_configELb1EPKlPlSM_SN_N2at6native12_GLOBAL__N_18offset_tEEE10hipError_tPvRmT1_PNSt15iterator_traitsISV_E10value_typeET2_T3_PNSW_IS11_E10value_typeET4_jRbjT5_S17_jjP12ihipStream_tbEUljE_EEESS_ST_SU_S11_S15_S17_T6_T7_T9_mT8_S19_bDpT10_ENKUlT_T0_E_clISt17integral_constantIbLb0EES1L_IbLb1EEEEDaS1H_S1I_EUlS1H_E_NS1_11comp_targetILNS1_3genE8ELNS1_11target_archE1030ELNS1_3gpuE2ELNS1_3repE0EEENS1_30default_config_static_selectorELNS0_4arch9wavefront6targetE1EEEvSV_, .Lfunc_end703-_ZN7rocprim17ROCPRIM_400000_NS6detail17trampoline_kernelINS0_13select_configILj256ELj13ELNS0_17block_load_methodE3ELS4_3ELS4_3ELNS0_20block_scan_algorithmE0ELj4294967295EEENS1_25partition_config_selectorILNS1_17partition_subalgoE3EjNS0_10empty_typeEbEEZZNS1_14partition_implILS8_3ELb0ES6_jNS0_17counting_iteratorIjlEEPS9_SE_NS0_5tupleIJPjSE_EEENSF_IJSE_SE_EEES9_SG_JZNS1_25segmented_radix_sort_implINS0_14default_configELb1EPKlPlSM_SN_N2at6native12_GLOBAL__N_18offset_tEEE10hipError_tPvRmT1_PNSt15iterator_traitsISV_E10value_typeET2_T3_PNSW_IS11_E10value_typeET4_jRbjT5_S17_jjP12ihipStream_tbEUljE_EEESS_ST_SU_S11_S15_S17_T6_T7_T9_mT8_S19_bDpT10_ENKUlT_T0_E_clISt17integral_constantIbLb0EES1L_IbLb1EEEEDaS1H_S1I_EUlS1H_E_NS1_11comp_targetILNS1_3genE8ELNS1_11target_archE1030ELNS1_3gpuE2ELNS1_3repE0EEENS1_30default_config_static_selectorELNS0_4arch9wavefront6targetE1EEEvSV_
                                        ; -- End function
	.section	.AMDGPU.csdata,"",@progbits
; Kernel info:
; codeLenInByte = 0
; NumSgprs: 4
; NumVgprs: 0
; NumAgprs: 0
; TotalNumVgprs: 0
; ScratchSize: 0
; MemoryBound: 0
; FloatMode: 240
; IeeeMode: 1
; LDSByteSize: 0 bytes/workgroup (compile time only)
; SGPRBlocks: 0
; VGPRBlocks: 0
; NumSGPRsForWavesPerEU: 4
; NumVGPRsForWavesPerEU: 1
; AccumOffset: 4
; Occupancy: 8
; WaveLimiterHint : 0
; COMPUTE_PGM_RSRC2:SCRATCH_EN: 0
; COMPUTE_PGM_RSRC2:USER_SGPR: 6
; COMPUTE_PGM_RSRC2:TRAP_HANDLER: 0
; COMPUTE_PGM_RSRC2:TGID_X_EN: 1
; COMPUTE_PGM_RSRC2:TGID_Y_EN: 0
; COMPUTE_PGM_RSRC2:TGID_Z_EN: 0
; COMPUTE_PGM_RSRC2:TIDIG_COMP_CNT: 0
; COMPUTE_PGM_RSRC3_GFX90A:ACCUM_OFFSET: 0
; COMPUTE_PGM_RSRC3_GFX90A:TG_SPLIT: 0
	.section	.text._ZN7rocprim17ROCPRIM_400000_NS6detail17trampoline_kernelINS0_14default_configENS1_36segmented_radix_sort_config_selectorIllEEZNS1_25segmented_radix_sort_implIS3_Lb1EPKlPlS8_S9_N2at6native12_GLOBAL__N_18offset_tEEE10hipError_tPvRmT1_PNSt15iterator_traitsISH_E10value_typeET2_T3_PNSI_ISN_E10value_typeET4_jRbjT5_ST_jjP12ihipStream_tbEUlT_E_NS1_11comp_targetILNS1_3genE0ELNS1_11target_archE4294967295ELNS1_3gpuE0ELNS1_3repE0EEENS1_30default_config_static_selectorELNS0_4arch9wavefront6targetE1EEEvSH_,"axG",@progbits,_ZN7rocprim17ROCPRIM_400000_NS6detail17trampoline_kernelINS0_14default_configENS1_36segmented_radix_sort_config_selectorIllEEZNS1_25segmented_radix_sort_implIS3_Lb1EPKlPlS8_S9_N2at6native12_GLOBAL__N_18offset_tEEE10hipError_tPvRmT1_PNSt15iterator_traitsISH_E10value_typeET2_T3_PNSI_ISN_E10value_typeET4_jRbjT5_ST_jjP12ihipStream_tbEUlT_E_NS1_11comp_targetILNS1_3genE0ELNS1_11target_archE4294967295ELNS1_3gpuE0ELNS1_3repE0EEENS1_30default_config_static_selectorELNS0_4arch9wavefront6targetE1EEEvSH_,comdat
	.globl	_ZN7rocprim17ROCPRIM_400000_NS6detail17trampoline_kernelINS0_14default_configENS1_36segmented_radix_sort_config_selectorIllEEZNS1_25segmented_radix_sort_implIS3_Lb1EPKlPlS8_S9_N2at6native12_GLOBAL__N_18offset_tEEE10hipError_tPvRmT1_PNSt15iterator_traitsISH_E10value_typeET2_T3_PNSI_ISN_E10value_typeET4_jRbjT5_ST_jjP12ihipStream_tbEUlT_E_NS1_11comp_targetILNS1_3genE0ELNS1_11target_archE4294967295ELNS1_3gpuE0ELNS1_3repE0EEENS1_30default_config_static_selectorELNS0_4arch9wavefront6targetE1EEEvSH_ ; -- Begin function _ZN7rocprim17ROCPRIM_400000_NS6detail17trampoline_kernelINS0_14default_configENS1_36segmented_radix_sort_config_selectorIllEEZNS1_25segmented_radix_sort_implIS3_Lb1EPKlPlS8_S9_N2at6native12_GLOBAL__N_18offset_tEEE10hipError_tPvRmT1_PNSt15iterator_traitsISH_E10value_typeET2_T3_PNSI_ISN_E10value_typeET4_jRbjT5_ST_jjP12ihipStream_tbEUlT_E_NS1_11comp_targetILNS1_3genE0ELNS1_11target_archE4294967295ELNS1_3gpuE0ELNS1_3repE0EEENS1_30default_config_static_selectorELNS0_4arch9wavefront6targetE1EEEvSH_
	.p2align	8
	.type	_ZN7rocprim17ROCPRIM_400000_NS6detail17trampoline_kernelINS0_14default_configENS1_36segmented_radix_sort_config_selectorIllEEZNS1_25segmented_radix_sort_implIS3_Lb1EPKlPlS8_S9_N2at6native12_GLOBAL__N_18offset_tEEE10hipError_tPvRmT1_PNSt15iterator_traitsISH_E10value_typeET2_T3_PNSI_ISN_E10value_typeET4_jRbjT5_ST_jjP12ihipStream_tbEUlT_E_NS1_11comp_targetILNS1_3genE0ELNS1_11target_archE4294967295ELNS1_3gpuE0ELNS1_3repE0EEENS1_30default_config_static_selectorELNS0_4arch9wavefront6targetE1EEEvSH_,@function
_ZN7rocprim17ROCPRIM_400000_NS6detail17trampoline_kernelINS0_14default_configENS1_36segmented_radix_sort_config_selectorIllEEZNS1_25segmented_radix_sort_implIS3_Lb1EPKlPlS8_S9_N2at6native12_GLOBAL__N_18offset_tEEE10hipError_tPvRmT1_PNSt15iterator_traitsISH_E10value_typeET2_T3_PNSI_ISN_E10value_typeET4_jRbjT5_ST_jjP12ihipStream_tbEUlT_E_NS1_11comp_targetILNS1_3genE0ELNS1_11target_archE4294967295ELNS1_3gpuE0ELNS1_3repE0EEENS1_30default_config_static_selectorELNS0_4arch9wavefront6targetE1EEEvSH_: ; @_ZN7rocprim17ROCPRIM_400000_NS6detail17trampoline_kernelINS0_14default_configENS1_36segmented_radix_sort_config_selectorIllEEZNS1_25segmented_radix_sort_implIS3_Lb1EPKlPlS8_S9_N2at6native12_GLOBAL__N_18offset_tEEE10hipError_tPvRmT1_PNSt15iterator_traitsISH_E10value_typeET2_T3_PNSI_ISN_E10value_typeET4_jRbjT5_ST_jjP12ihipStream_tbEUlT_E_NS1_11comp_targetILNS1_3genE0ELNS1_11target_archE4294967295ELNS1_3gpuE0ELNS1_3repE0EEENS1_30default_config_static_selectorELNS0_4arch9wavefront6targetE1EEEvSH_
; %bb.0:
	.section	.rodata,"a",@progbits
	.p2align	6, 0x0
	.amdhsa_kernel _ZN7rocprim17ROCPRIM_400000_NS6detail17trampoline_kernelINS0_14default_configENS1_36segmented_radix_sort_config_selectorIllEEZNS1_25segmented_radix_sort_implIS3_Lb1EPKlPlS8_S9_N2at6native12_GLOBAL__N_18offset_tEEE10hipError_tPvRmT1_PNSt15iterator_traitsISH_E10value_typeET2_T3_PNSI_ISN_E10value_typeET4_jRbjT5_ST_jjP12ihipStream_tbEUlT_E_NS1_11comp_targetILNS1_3genE0ELNS1_11target_archE4294967295ELNS1_3gpuE0ELNS1_3repE0EEENS1_30default_config_static_selectorELNS0_4arch9wavefront6targetE1EEEvSH_
		.amdhsa_group_segment_fixed_size 0
		.amdhsa_private_segment_fixed_size 0
		.amdhsa_kernarg_size 96
		.amdhsa_user_sgpr_count 6
		.amdhsa_user_sgpr_private_segment_buffer 1
		.amdhsa_user_sgpr_dispatch_ptr 0
		.amdhsa_user_sgpr_queue_ptr 0
		.amdhsa_user_sgpr_kernarg_segment_ptr 1
		.amdhsa_user_sgpr_dispatch_id 0
		.amdhsa_user_sgpr_flat_scratch_init 0
		.amdhsa_user_sgpr_kernarg_preload_length 0
		.amdhsa_user_sgpr_kernarg_preload_offset 0
		.amdhsa_user_sgpr_private_segment_size 0
		.amdhsa_uses_dynamic_stack 0
		.amdhsa_system_sgpr_private_segment_wavefront_offset 0
		.amdhsa_system_sgpr_workgroup_id_x 1
		.amdhsa_system_sgpr_workgroup_id_y 0
		.amdhsa_system_sgpr_workgroup_id_z 0
		.amdhsa_system_sgpr_workgroup_info 0
		.amdhsa_system_vgpr_workitem_id 0
		.amdhsa_next_free_vgpr 1
		.amdhsa_next_free_sgpr 0
		.amdhsa_accum_offset 4
		.amdhsa_reserve_vcc 0
		.amdhsa_reserve_flat_scratch 0
		.amdhsa_float_round_mode_32 0
		.amdhsa_float_round_mode_16_64 0
		.amdhsa_float_denorm_mode_32 3
		.amdhsa_float_denorm_mode_16_64 3
		.amdhsa_dx10_clamp 1
		.amdhsa_ieee_mode 1
		.amdhsa_fp16_overflow 0
		.amdhsa_tg_split 0
		.amdhsa_exception_fp_ieee_invalid_op 0
		.amdhsa_exception_fp_denorm_src 0
		.amdhsa_exception_fp_ieee_div_zero 0
		.amdhsa_exception_fp_ieee_overflow 0
		.amdhsa_exception_fp_ieee_underflow 0
		.amdhsa_exception_fp_ieee_inexact 0
		.amdhsa_exception_int_div_zero 0
	.end_amdhsa_kernel
	.section	.text._ZN7rocprim17ROCPRIM_400000_NS6detail17trampoline_kernelINS0_14default_configENS1_36segmented_radix_sort_config_selectorIllEEZNS1_25segmented_radix_sort_implIS3_Lb1EPKlPlS8_S9_N2at6native12_GLOBAL__N_18offset_tEEE10hipError_tPvRmT1_PNSt15iterator_traitsISH_E10value_typeET2_T3_PNSI_ISN_E10value_typeET4_jRbjT5_ST_jjP12ihipStream_tbEUlT_E_NS1_11comp_targetILNS1_3genE0ELNS1_11target_archE4294967295ELNS1_3gpuE0ELNS1_3repE0EEENS1_30default_config_static_selectorELNS0_4arch9wavefront6targetE1EEEvSH_,"axG",@progbits,_ZN7rocprim17ROCPRIM_400000_NS6detail17trampoline_kernelINS0_14default_configENS1_36segmented_radix_sort_config_selectorIllEEZNS1_25segmented_radix_sort_implIS3_Lb1EPKlPlS8_S9_N2at6native12_GLOBAL__N_18offset_tEEE10hipError_tPvRmT1_PNSt15iterator_traitsISH_E10value_typeET2_T3_PNSI_ISN_E10value_typeET4_jRbjT5_ST_jjP12ihipStream_tbEUlT_E_NS1_11comp_targetILNS1_3genE0ELNS1_11target_archE4294967295ELNS1_3gpuE0ELNS1_3repE0EEENS1_30default_config_static_selectorELNS0_4arch9wavefront6targetE1EEEvSH_,comdat
.Lfunc_end704:
	.size	_ZN7rocprim17ROCPRIM_400000_NS6detail17trampoline_kernelINS0_14default_configENS1_36segmented_radix_sort_config_selectorIllEEZNS1_25segmented_radix_sort_implIS3_Lb1EPKlPlS8_S9_N2at6native12_GLOBAL__N_18offset_tEEE10hipError_tPvRmT1_PNSt15iterator_traitsISH_E10value_typeET2_T3_PNSI_ISN_E10value_typeET4_jRbjT5_ST_jjP12ihipStream_tbEUlT_E_NS1_11comp_targetILNS1_3genE0ELNS1_11target_archE4294967295ELNS1_3gpuE0ELNS1_3repE0EEENS1_30default_config_static_selectorELNS0_4arch9wavefront6targetE1EEEvSH_, .Lfunc_end704-_ZN7rocprim17ROCPRIM_400000_NS6detail17trampoline_kernelINS0_14default_configENS1_36segmented_radix_sort_config_selectorIllEEZNS1_25segmented_radix_sort_implIS3_Lb1EPKlPlS8_S9_N2at6native12_GLOBAL__N_18offset_tEEE10hipError_tPvRmT1_PNSt15iterator_traitsISH_E10value_typeET2_T3_PNSI_ISN_E10value_typeET4_jRbjT5_ST_jjP12ihipStream_tbEUlT_E_NS1_11comp_targetILNS1_3genE0ELNS1_11target_archE4294967295ELNS1_3gpuE0ELNS1_3repE0EEENS1_30default_config_static_selectorELNS0_4arch9wavefront6targetE1EEEvSH_
                                        ; -- End function
	.section	.AMDGPU.csdata,"",@progbits
; Kernel info:
; codeLenInByte = 0
; NumSgprs: 4
; NumVgprs: 0
; NumAgprs: 0
; TotalNumVgprs: 0
; ScratchSize: 0
; MemoryBound: 0
; FloatMode: 240
; IeeeMode: 1
; LDSByteSize: 0 bytes/workgroup (compile time only)
; SGPRBlocks: 0
; VGPRBlocks: 0
; NumSGPRsForWavesPerEU: 4
; NumVGPRsForWavesPerEU: 1
; AccumOffset: 4
; Occupancy: 8
; WaveLimiterHint : 0
; COMPUTE_PGM_RSRC2:SCRATCH_EN: 0
; COMPUTE_PGM_RSRC2:USER_SGPR: 6
; COMPUTE_PGM_RSRC2:TRAP_HANDLER: 0
; COMPUTE_PGM_RSRC2:TGID_X_EN: 1
; COMPUTE_PGM_RSRC2:TGID_Y_EN: 0
; COMPUTE_PGM_RSRC2:TGID_Z_EN: 0
; COMPUTE_PGM_RSRC2:TIDIG_COMP_CNT: 0
; COMPUTE_PGM_RSRC3_GFX90A:ACCUM_OFFSET: 0
; COMPUTE_PGM_RSRC3_GFX90A:TG_SPLIT: 0
	.section	.text._ZN7rocprim17ROCPRIM_400000_NS6detail17trampoline_kernelINS0_14default_configENS1_36segmented_radix_sort_config_selectorIllEEZNS1_25segmented_radix_sort_implIS3_Lb1EPKlPlS8_S9_N2at6native12_GLOBAL__N_18offset_tEEE10hipError_tPvRmT1_PNSt15iterator_traitsISH_E10value_typeET2_T3_PNSI_ISN_E10value_typeET4_jRbjT5_ST_jjP12ihipStream_tbEUlT_E_NS1_11comp_targetILNS1_3genE5ELNS1_11target_archE942ELNS1_3gpuE9ELNS1_3repE0EEENS1_30default_config_static_selectorELNS0_4arch9wavefront6targetE1EEEvSH_,"axG",@progbits,_ZN7rocprim17ROCPRIM_400000_NS6detail17trampoline_kernelINS0_14default_configENS1_36segmented_radix_sort_config_selectorIllEEZNS1_25segmented_radix_sort_implIS3_Lb1EPKlPlS8_S9_N2at6native12_GLOBAL__N_18offset_tEEE10hipError_tPvRmT1_PNSt15iterator_traitsISH_E10value_typeET2_T3_PNSI_ISN_E10value_typeET4_jRbjT5_ST_jjP12ihipStream_tbEUlT_E_NS1_11comp_targetILNS1_3genE5ELNS1_11target_archE942ELNS1_3gpuE9ELNS1_3repE0EEENS1_30default_config_static_selectorELNS0_4arch9wavefront6targetE1EEEvSH_,comdat
	.globl	_ZN7rocprim17ROCPRIM_400000_NS6detail17trampoline_kernelINS0_14default_configENS1_36segmented_radix_sort_config_selectorIllEEZNS1_25segmented_radix_sort_implIS3_Lb1EPKlPlS8_S9_N2at6native12_GLOBAL__N_18offset_tEEE10hipError_tPvRmT1_PNSt15iterator_traitsISH_E10value_typeET2_T3_PNSI_ISN_E10value_typeET4_jRbjT5_ST_jjP12ihipStream_tbEUlT_E_NS1_11comp_targetILNS1_3genE5ELNS1_11target_archE942ELNS1_3gpuE9ELNS1_3repE0EEENS1_30default_config_static_selectorELNS0_4arch9wavefront6targetE1EEEvSH_ ; -- Begin function _ZN7rocprim17ROCPRIM_400000_NS6detail17trampoline_kernelINS0_14default_configENS1_36segmented_radix_sort_config_selectorIllEEZNS1_25segmented_radix_sort_implIS3_Lb1EPKlPlS8_S9_N2at6native12_GLOBAL__N_18offset_tEEE10hipError_tPvRmT1_PNSt15iterator_traitsISH_E10value_typeET2_T3_PNSI_ISN_E10value_typeET4_jRbjT5_ST_jjP12ihipStream_tbEUlT_E_NS1_11comp_targetILNS1_3genE5ELNS1_11target_archE942ELNS1_3gpuE9ELNS1_3repE0EEENS1_30default_config_static_selectorELNS0_4arch9wavefront6targetE1EEEvSH_
	.p2align	8
	.type	_ZN7rocprim17ROCPRIM_400000_NS6detail17trampoline_kernelINS0_14default_configENS1_36segmented_radix_sort_config_selectorIllEEZNS1_25segmented_radix_sort_implIS3_Lb1EPKlPlS8_S9_N2at6native12_GLOBAL__N_18offset_tEEE10hipError_tPvRmT1_PNSt15iterator_traitsISH_E10value_typeET2_T3_PNSI_ISN_E10value_typeET4_jRbjT5_ST_jjP12ihipStream_tbEUlT_E_NS1_11comp_targetILNS1_3genE5ELNS1_11target_archE942ELNS1_3gpuE9ELNS1_3repE0EEENS1_30default_config_static_selectorELNS0_4arch9wavefront6targetE1EEEvSH_,@function
_ZN7rocprim17ROCPRIM_400000_NS6detail17trampoline_kernelINS0_14default_configENS1_36segmented_radix_sort_config_selectorIllEEZNS1_25segmented_radix_sort_implIS3_Lb1EPKlPlS8_S9_N2at6native12_GLOBAL__N_18offset_tEEE10hipError_tPvRmT1_PNSt15iterator_traitsISH_E10value_typeET2_T3_PNSI_ISN_E10value_typeET4_jRbjT5_ST_jjP12ihipStream_tbEUlT_E_NS1_11comp_targetILNS1_3genE5ELNS1_11target_archE942ELNS1_3gpuE9ELNS1_3repE0EEENS1_30default_config_static_selectorELNS0_4arch9wavefront6targetE1EEEvSH_: ; @_ZN7rocprim17ROCPRIM_400000_NS6detail17trampoline_kernelINS0_14default_configENS1_36segmented_radix_sort_config_selectorIllEEZNS1_25segmented_radix_sort_implIS3_Lb1EPKlPlS8_S9_N2at6native12_GLOBAL__N_18offset_tEEE10hipError_tPvRmT1_PNSt15iterator_traitsISH_E10value_typeET2_T3_PNSI_ISN_E10value_typeET4_jRbjT5_ST_jjP12ihipStream_tbEUlT_E_NS1_11comp_targetILNS1_3genE5ELNS1_11target_archE942ELNS1_3gpuE9ELNS1_3repE0EEENS1_30default_config_static_selectorELNS0_4arch9wavefront6targetE1EEEvSH_
; %bb.0:
	.section	.rodata,"a",@progbits
	.p2align	6, 0x0
	.amdhsa_kernel _ZN7rocprim17ROCPRIM_400000_NS6detail17trampoline_kernelINS0_14default_configENS1_36segmented_radix_sort_config_selectorIllEEZNS1_25segmented_radix_sort_implIS3_Lb1EPKlPlS8_S9_N2at6native12_GLOBAL__N_18offset_tEEE10hipError_tPvRmT1_PNSt15iterator_traitsISH_E10value_typeET2_T3_PNSI_ISN_E10value_typeET4_jRbjT5_ST_jjP12ihipStream_tbEUlT_E_NS1_11comp_targetILNS1_3genE5ELNS1_11target_archE942ELNS1_3gpuE9ELNS1_3repE0EEENS1_30default_config_static_selectorELNS0_4arch9wavefront6targetE1EEEvSH_
		.amdhsa_group_segment_fixed_size 0
		.amdhsa_private_segment_fixed_size 0
		.amdhsa_kernarg_size 96
		.amdhsa_user_sgpr_count 6
		.amdhsa_user_sgpr_private_segment_buffer 1
		.amdhsa_user_sgpr_dispatch_ptr 0
		.amdhsa_user_sgpr_queue_ptr 0
		.amdhsa_user_sgpr_kernarg_segment_ptr 1
		.amdhsa_user_sgpr_dispatch_id 0
		.amdhsa_user_sgpr_flat_scratch_init 0
		.amdhsa_user_sgpr_kernarg_preload_length 0
		.amdhsa_user_sgpr_kernarg_preload_offset 0
		.amdhsa_user_sgpr_private_segment_size 0
		.amdhsa_uses_dynamic_stack 0
		.amdhsa_system_sgpr_private_segment_wavefront_offset 0
		.amdhsa_system_sgpr_workgroup_id_x 1
		.amdhsa_system_sgpr_workgroup_id_y 0
		.amdhsa_system_sgpr_workgroup_id_z 0
		.amdhsa_system_sgpr_workgroup_info 0
		.amdhsa_system_vgpr_workitem_id 0
		.amdhsa_next_free_vgpr 1
		.amdhsa_next_free_sgpr 0
		.amdhsa_accum_offset 4
		.amdhsa_reserve_vcc 0
		.amdhsa_reserve_flat_scratch 0
		.amdhsa_float_round_mode_32 0
		.amdhsa_float_round_mode_16_64 0
		.amdhsa_float_denorm_mode_32 3
		.amdhsa_float_denorm_mode_16_64 3
		.amdhsa_dx10_clamp 1
		.amdhsa_ieee_mode 1
		.amdhsa_fp16_overflow 0
		.amdhsa_tg_split 0
		.amdhsa_exception_fp_ieee_invalid_op 0
		.amdhsa_exception_fp_denorm_src 0
		.amdhsa_exception_fp_ieee_div_zero 0
		.amdhsa_exception_fp_ieee_overflow 0
		.amdhsa_exception_fp_ieee_underflow 0
		.amdhsa_exception_fp_ieee_inexact 0
		.amdhsa_exception_int_div_zero 0
	.end_amdhsa_kernel
	.section	.text._ZN7rocprim17ROCPRIM_400000_NS6detail17trampoline_kernelINS0_14default_configENS1_36segmented_radix_sort_config_selectorIllEEZNS1_25segmented_radix_sort_implIS3_Lb1EPKlPlS8_S9_N2at6native12_GLOBAL__N_18offset_tEEE10hipError_tPvRmT1_PNSt15iterator_traitsISH_E10value_typeET2_T3_PNSI_ISN_E10value_typeET4_jRbjT5_ST_jjP12ihipStream_tbEUlT_E_NS1_11comp_targetILNS1_3genE5ELNS1_11target_archE942ELNS1_3gpuE9ELNS1_3repE0EEENS1_30default_config_static_selectorELNS0_4arch9wavefront6targetE1EEEvSH_,"axG",@progbits,_ZN7rocprim17ROCPRIM_400000_NS6detail17trampoline_kernelINS0_14default_configENS1_36segmented_radix_sort_config_selectorIllEEZNS1_25segmented_radix_sort_implIS3_Lb1EPKlPlS8_S9_N2at6native12_GLOBAL__N_18offset_tEEE10hipError_tPvRmT1_PNSt15iterator_traitsISH_E10value_typeET2_T3_PNSI_ISN_E10value_typeET4_jRbjT5_ST_jjP12ihipStream_tbEUlT_E_NS1_11comp_targetILNS1_3genE5ELNS1_11target_archE942ELNS1_3gpuE9ELNS1_3repE0EEENS1_30default_config_static_selectorELNS0_4arch9wavefront6targetE1EEEvSH_,comdat
.Lfunc_end705:
	.size	_ZN7rocprim17ROCPRIM_400000_NS6detail17trampoline_kernelINS0_14default_configENS1_36segmented_radix_sort_config_selectorIllEEZNS1_25segmented_radix_sort_implIS3_Lb1EPKlPlS8_S9_N2at6native12_GLOBAL__N_18offset_tEEE10hipError_tPvRmT1_PNSt15iterator_traitsISH_E10value_typeET2_T3_PNSI_ISN_E10value_typeET4_jRbjT5_ST_jjP12ihipStream_tbEUlT_E_NS1_11comp_targetILNS1_3genE5ELNS1_11target_archE942ELNS1_3gpuE9ELNS1_3repE0EEENS1_30default_config_static_selectorELNS0_4arch9wavefront6targetE1EEEvSH_, .Lfunc_end705-_ZN7rocprim17ROCPRIM_400000_NS6detail17trampoline_kernelINS0_14default_configENS1_36segmented_radix_sort_config_selectorIllEEZNS1_25segmented_radix_sort_implIS3_Lb1EPKlPlS8_S9_N2at6native12_GLOBAL__N_18offset_tEEE10hipError_tPvRmT1_PNSt15iterator_traitsISH_E10value_typeET2_T3_PNSI_ISN_E10value_typeET4_jRbjT5_ST_jjP12ihipStream_tbEUlT_E_NS1_11comp_targetILNS1_3genE5ELNS1_11target_archE942ELNS1_3gpuE9ELNS1_3repE0EEENS1_30default_config_static_selectorELNS0_4arch9wavefront6targetE1EEEvSH_
                                        ; -- End function
	.section	.AMDGPU.csdata,"",@progbits
; Kernel info:
; codeLenInByte = 0
; NumSgprs: 4
; NumVgprs: 0
; NumAgprs: 0
; TotalNumVgprs: 0
; ScratchSize: 0
; MemoryBound: 0
; FloatMode: 240
; IeeeMode: 1
; LDSByteSize: 0 bytes/workgroup (compile time only)
; SGPRBlocks: 0
; VGPRBlocks: 0
; NumSGPRsForWavesPerEU: 4
; NumVGPRsForWavesPerEU: 1
; AccumOffset: 4
; Occupancy: 8
; WaveLimiterHint : 0
; COMPUTE_PGM_RSRC2:SCRATCH_EN: 0
; COMPUTE_PGM_RSRC2:USER_SGPR: 6
; COMPUTE_PGM_RSRC2:TRAP_HANDLER: 0
; COMPUTE_PGM_RSRC2:TGID_X_EN: 1
; COMPUTE_PGM_RSRC2:TGID_Y_EN: 0
; COMPUTE_PGM_RSRC2:TGID_Z_EN: 0
; COMPUTE_PGM_RSRC2:TIDIG_COMP_CNT: 0
; COMPUTE_PGM_RSRC3_GFX90A:ACCUM_OFFSET: 0
; COMPUTE_PGM_RSRC3_GFX90A:TG_SPLIT: 0
	.text
	.p2align	2                               ; -- Begin function _ZN7rocprim17ROCPRIM_400000_NS6detail40segmented_radix_sort_single_block_helperIllLj256ELj16ELb1EE4sortIPKlPlS6_S7_EEbT_T0_T1_T2_jjjjRNS3_12storage_typeE
	.type	_ZN7rocprim17ROCPRIM_400000_NS6detail40segmented_radix_sort_single_block_helperIllLj256ELj16ELb1EE4sortIPKlPlS6_S7_EEbT_T0_T1_T2_jjjjRNS3_12storage_typeE,@function
_ZN7rocprim17ROCPRIM_400000_NS6detail40segmented_radix_sort_single_block_helperIllLj256ELj16ELb1EE4sortIPKlPlS6_S7_EEbT_T0_T1_T2_jjjjRNS3_12storage_typeE: ; @_ZN7rocprim17ROCPRIM_400000_NS6detail40segmented_radix_sort_single_block_helperIllLj256ELj16ELb1EE4sortIPKlPlS6_S7_EEbT_T0_T1_T2_jjjjRNS3_12storage_typeE
; %bb.0:
	s_waitcnt vmcnt(0) expcnt(0) lgkmcnt(0)
	s_or_saveexec_b64 s[4:5], -1
	buffer_store_dword v154, off, s[0:3], s32 offset:120 ; 4-byte Folded Spill
	s_mov_b64 exec, s[4:5]
	v_accvgpr_write_b32 a4, v40             ;  Reload Reuse
	v_accvgpr_write_b32 a5, v41             ;  Reload Reuse
	;; [unrolled: 1-line block ×6, first 2 shown]
	v_accvgpr_write_b32 a10, v46            ;  Reload Reuse
	v_accvgpr_write_b32 a11, v47            ;  Reload Reuse
	;; [unrolled: 1-line block ×22, first 2 shown]
	buffer_store_dword v92, off, s[0:3], s32 offset:116 ; 4-byte Folded Spill
	buffer_store_dword v93, off, s[0:3], s32 offset:112 ; 4-byte Folded Spill
	;; [unrolled: 1-line block ×29, first 2 shown]
	buffer_store_dword v153, off, s[0:3], s32 ; 4-byte Folded Spill
	v_writelane_b32 v154, s34, 0
	v_writelane_b32 v154, s35, 1
	v_writelane_b32 v154, s36, 2
	v_writelane_b32 v154, s37, 3
	v_writelane_b32 v154, s38, 4
	v_writelane_b32 v154, s39, 5
	v_writelane_b32 v154, s40, 6
	v_writelane_b32 v154, s41, 7
	v_writelane_b32 v154, s42, 8
	v_writelane_b32 v154, s43, 9
	v_writelane_b32 v154, s44, 10
	v_writelane_b32 v154, s45, 11
	v_writelane_b32 v154, s46, 12
	v_writelane_b32 v154, s47, 13
	v_writelane_b32 v154, s30, 14
	v_writelane_b32 v154, s31, 15
	v_sub_u32_e32 v142, v9, v8
	s_movk_i32 s4, 0x1001
	v_cmp_gt_u32_e32 vcc, s4, v142
	s_and_saveexec_b64 s[42:43], vcc
	s_cbranch_execz .LBB706_372
; %bb.1:
	s_movk_i32 s4, 0x800
	v_cmp_lt_u32_e32 vcc, s4, v142
	v_bfe_u32 v14, v31, 10, 10
	v_bfe_u32 v16, v31, 20, 10
	v_mbcnt_lo_u32_b32 v15, -1, 0
	s_and_saveexec_b64 s[4:5], vcc
	s_xor_b64 s[44:45], exec, s[4:5]
	s_cbranch_execz .LBB706_143
; %bb.2:
	s_load_dwordx2 s[4:5], s[8:9], 0x0
	v_mov_b32_e32 v9, 0
	v_mbcnt_hi_u32_b32 v69, -1, v15
	v_lshlrev_b64 v[20:21], 3, v[8:9]
	v_and_b32_e32 v68, 63, v69
	s_waitcnt lgkmcnt(0)
	s_cmp_lt_u32 s12, s4
	s_cselect_b32 s6, 12, 18
	s_cmp_lt_u32 s13, s5
	s_cselect_b32 s4, 14, 20
	s_add_u32 s4, s8, s4
	s_addc_u32 s5, s9, 0
	s_add_u32 s6, s8, s6
	global_load_ushort v17, v9, s[4:5]
	s_addc_u32 s7, s9, 0
	global_load_ushort v18, v9, s[6:7]
	v_add_co_u32_e32 v0, vcc, v0, v20
	v_addc_co_u32_e32 v1, vcc, v1, v21, vcc
	v_lshlrev_b32_e32 v23, 3, v68
	v_and_b32_e32 v22, 0x3ff, v31
	v_add_co_u32_e32 v15, vcc, v0, v23
	v_addc_co_u32_e32 v19, vcc, 0, v1, vcc
	s_mov_b32 s10, 0
	s_brev_b32 s11, 1
	s_waitcnt vmcnt(1)
	v_mad_u32_u24 v0, v16, v17, v14
	s_waitcnt vmcnt(0)
	v_mad_u64_u32 v[0:1], s[4:5], v0, v18, v[22:23]
	v_lshlrev_b32_e32 v1, 4, v0
	v_and_b32_e32 v8, 0xfffffc00, v1
	v_lshlrev_b64 v[16:17], 3, v[8:9]
	v_or_b32_e32 v1, v8, v68
	v_add_co_u32_e32 v18, vcc, v15, v16
	v_addc_co_u32_e32 v19, vcc, v19, v17, vcc
	v_cmp_lt_u32_e64 s[4:5], v1, v142
	v_pk_mov_b32 v[8:9], s[10:11], s[10:11] op_sel:[0,1]
	s_and_saveexec_b64 s[6:7], s[4:5]
	s_cbranch_execz .LBB706_4
; %bb.3:
	flat_load_dwordx2 v[8:9], v[18:19]
.LBB706_4:
	s_or_b64 exec, exec, s[6:7]
	v_or_b32_e32 v14, 64, v1
	v_cmp_lt_u32_e64 s[6:7], v14, v142
	v_pk_mov_b32 v[14:15], s[10:11], s[10:11] op_sel:[0,1]
	s_and_saveexec_b64 s[10:11], s[6:7]
	s_cbranch_execz .LBB706_6
; %bb.5:
	flat_load_dwordx2 v[14:15], v[18:19] offset:512
.LBB706_6:
	s_or_b64 exec, exec, s[10:11]
	s_mov_b32 s14, 0
	v_or_b32_e32 v24, 0x80, v1
	s_brev_b32 s15, 1
	v_cmp_lt_u32_e64 s[10:11], v24, v142
	v_pk_mov_b32 v[24:25], s[14:15], s[14:15] op_sel:[0,1]
	s_and_saveexec_b64 s[16:17], s[10:11]
	s_cbranch_execz .LBB706_8
; %bb.7:
	flat_load_dwordx2 v[24:25], v[18:19] offset:1024
.LBB706_8:
	s_or_b64 exec, exec, s[16:17]
	v_or_b32_e32 v26, 0xc0, v1
	v_cmp_lt_u32_e64 s[40:41], v26, v142
	v_pk_mov_b32 v[26:27], s[14:15], s[14:15] op_sel:[0,1]
	s_and_saveexec_b64 s[14:15], s[40:41]
	s_cbranch_execz .LBB706_10
; %bb.9:
	flat_load_dwordx2 v[26:27], v[18:19] offset:1536
.LBB706_10:
	s_or_b64 exec, exec, s[14:15]
	s_mov_b32 s18, 0
	v_or_b32_e32 v28, 0x100, v1
	s_brev_b32 s19, 1
	v_cmp_lt_u32_e64 s[14:15], v28, v142
	v_pk_mov_b32 v[28:29], s[18:19], s[18:19] op_sel:[0,1]
	s_and_saveexec_b64 s[16:17], s[14:15]
	s_cbranch_execz .LBB706_12
; %bb.11:
	flat_load_dwordx2 v[28:29], v[18:19] offset:2048
.LBB706_12:
	;; [unrolled: 20-line block ×3, first 2 shown]
	s_or_b64 exec, exec, s[20:21]
	v_or_b32_e32 v34, 0x1c0, v1
	v_cmp_lt_u32_e64 s[20:21], v34, v142
	v_pk_mov_b32 v[34:35], s[22:23], s[22:23] op_sel:[0,1]
	s_and_saveexec_b64 s[22:23], s[20:21]
	s_cbranch_execz .LBB706_18
; %bb.17:
	flat_load_dwordx2 v[34:35], v[18:19] offset:3584
.LBB706_18:
	s_or_b64 exec, exec, s[22:23]
	s_mov_b32 s26, 0
	v_or_b32_e32 v36, 0x200, v1
	s_brev_b32 s27, 1
	v_cmp_lt_u32_e64 s[22:23], v36, v142
	v_pk_mov_b32 v[36:37], s[26:27], s[26:27] op_sel:[0,1]
	s_and_saveexec_b64 s[24:25], s[22:23]
	s_cbranch_execz .LBB706_20
; %bb.19:
	v_add_co_u32_e32 v36, vcc, 0x1000, v18
	v_addc_co_u32_e32 v37, vcc, 0, v19, vcc
	flat_load_dwordx2 v[36:37], v[36:37]
.LBB706_20:
	s_or_b64 exec, exec, s[24:25]
	v_or_b32_e32 v38, 0x240, v1
	v_cmp_lt_u32_e64 s[24:25], v38, v142
	v_pk_mov_b32 v[38:39], s[26:27], s[26:27] op_sel:[0,1]
	s_and_saveexec_b64 s[26:27], s[24:25]
	s_cbranch_execz .LBB706_22
; %bb.21:
	v_add_co_u32_e32 v38, vcc, 0x1000, v18
	v_addc_co_u32_e32 v39, vcc, 0, v19, vcc
	flat_load_dwordx2 v[38:39], v[38:39] offset:512
.LBB706_22:
	s_or_b64 exec, exec, s[26:27]
	s_mov_b32 s30, 0
	v_or_b32_e32 v48, 0x280, v1
	s_brev_b32 s31, 1
	v_cmp_lt_u32_e64 s[26:27], v48, v142
	v_pk_mov_b32 v[48:49], s[30:31], s[30:31] op_sel:[0,1]
	s_and_saveexec_b64 s[28:29], s[26:27]
	s_cbranch_execz .LBB706_24
; %bb.23:
	v_add_co_u32_e32 v48, vcc, 0x1000, v18
	v_addc_co_u32_e32 v49, vcc, 0, v19, vcc
	flat_load_dwordx2 v[48:49], v[48:49] offset:1024
.LBB706_24:
	s_or_b64 exec, exec, s[28:29]
	v_or_b32_e32 v50, 0x2c0, v1
	v_cmp_lt_u32_e64 s[28:29], v50, v142
	v_pk_mov_b32 v[50:51], s[30:31], s[30:31] op_sel:[0,1]
	s_and_saveexec_b64 s[30:31], s[28:29]
	s_cbranch_execz .LBB706_26
; %bb.25:
	v_add_co_u32_e32 v50, vcc, 0x1000, v18
	v_addc_co_u32_e32 v51, vcc, 0, v19, vcc
	flat_load_dwordx2 v[50:51], v[50:51] offset:1536
.LBB706_26:
	s_or_b64 exec, exec, s[30:31]
	s_mov_b32 s36, 0
	v_or_b32_e32 v52, 0x300, v1
	s_brev_b32 s37, 1
	v_cmp_lt_u32_e64 s[30:31], v52, v142
	v_pk_mov_b32 v[52:53], s[36:37], s[36:37] op_sel:[0,1]
	s_and_saveexec_b64 s[34:35], s[30:31]
	s_cbranch_execz .LBB706_28
; %bb.27:
	v_add_co_u32_e32 v52, vcc, 0x1000, v18
	v_addc_co_u32_e32 v53, vcc, 0, v19, vcc
	flat_load_dwordx2 v[52:53], v[52:53] offset:2048
.LBB706_28:
	;; [unrolled: 24-line block ×3, first 2 shown]
	s_or_b64 exec, exec, s[38:39]
	v_or_b32_e32 v1, 0x3c0, v1
	v_cmp_lt_u32_e64 s[38:39], v1, v142
	v_pk_mov_b32 v[66:67], s[46:47], s[46:47] op_sel:[0,1]
	s_and_saveexec_b64 s[46:47], s[38:39]
	s_cbranch_execz .LBB706_34
; %bb.33:
	v_add_co_u32_e32 v18, vcc, 0x1000, v18
	v_addc_co_u32_e32 v19, vcc, 0, v19, vcc
	flat_load_dwordx2 v[66:67], v[18:19] offset:3584
.LBB706_34:
	s_or_b64 exec, exec, s[46:47]
	v_add_co_u32_e32 v1, vcc, v4, v20
	v_addc_co_u32_e32 v4, vcc, v5, v21, vcc
	v_add_co_u32_e32 v1, vcc, v1, v23
	v_addc_co_u32_e32 v5, vcc, 0, v4, vcc
	;; [unrolled: 2-line block ×3, first 2 shown]
                                        ; implicit-def: $vgpr16_vgpr17
	s_and_saveexec_b64 vcc, s[4:5]
	s_cbranch_execnz .LBB706_196
; %bb.35:
	s_or_b64 exec, exec, vcc
                                        ; implicit-def: $vgpr18_vgpr19
	s_and_saveexec_b64 s[4:5], s[6:7]
	s_cbranch_execnz .LBB706_197
.LBB706_36:
	s_or_b64 exec, exec, s[4:5]
                                        ; implicit-def: $vgpr182_vgpr183
	s_and_saveexec_b64 s[4:5], s[10:11]
	s_cbranch_execnz .LBB706_198
.LBB706_37:
	s_or_b64 exec, exec, s[4:5]
                                        ; implicit-def: $vgpr192_vgpr193
	s_and_saveexec_b64 s[4:5], s[40:41]
	s_cbranch_execnz .LBB706_199
.LBB706_38:
	s_or_b64 exec, exec, s[4:5]
                                        ; implicit-def: $vgpr194_vgpr195
	s_and_saveexec_b64 s[4:5], s[14:15]
	s_cbranch_execnz .LBB706_200
.LBB706_39:
	s_or_b64 exec, exec, s[4:5]
                                        ; implicit-def: $vgpr196_vgpr197
	s_and_saveexec_b64 s[4:5], s[16:17]
	s_cbranch_execnz .LBB706_201
.LBB706_40:
	s_or_b64 exec, exec, s[4:5]
                                        ; implicit-def: $vgpr198_vgpr199
	s_and_saveexec_b64 s[4:5], s[18:19]
	s_cbranch_execnz .LBB706_202
.LBB706_41:
	s_or_b64 exec, exec, s[4:5]
                                        ; implicit-def: $vgpr208_vgpr209
	s_and_saveexec_b64 s[4:5], s[20:21]
	s_cbranch_execnz .LBB706_203
.LBB706_42:
	s_or_b64 exec, exec, s[4:5]
                                        ; implicit-def: $vgpr210_vgpr211
	s_and_saveexec_b64 s[4:5], s[22:23]
	s_cbranch_execnz .LBB706_204
.LBB706_43:
	s_or_b64 exec, exec, s[4:5]
                                        ; implicit-def: $vgpr212_vgpr213
	s_and_saveexec_b64 s[4:5], s[24:25]
	s_cbranch_execnz .LBB706_205
.LBB706_44:
	s_or_b64 exec, exec, s[4:5]
                                        ; implicit-def: $vgpr214_vgpr215
	s_and_saveexec_b64 s[4:5], s[26:27]
	s_cbranch_execnz .LBB706_206
.LBB706_45:
	s_or_b64 exec, exec, s[4:5]
                                        ; implicit-def: $vgpr224_vgpr225
	s_and_saveexec_b64 s[4:5], s[28:29]
	s_cbranch_execnz .LBB706_207
.LBB706_46:
	s_or_b64 exec, exec, s[4:5]
                                        ; implicit-def: $vgpr226_vgpr227
	s_and_saveexec_b64 s[4:5], s[30:31]
	s_cbranch_execnz .LBB706_208
.LBB706_47:
	s_or_b64 exec, exec, s[4:5]
                                        ; implicit-def: $vgpr230_vgpr231
	s_and_saveexec_b64 s[4:5], s[34:35]
	s_cbranch_execnz .LBB706_209
.LBB706_48:
	s_or_b64 exec, exec, s[4:5]
                                        ; implicit-def: $agpr0_agpr1
	s_and_saveexec_b64 s[4:5], s[36:37]
	s_cbranch_execnz .LBB706_210
.LBB706_49:
	s_or_b64 exec, exec, s[4:5]
                                        ; implicit-def: $agpr2_agpr3
	s_and_saveexec_b64 s[4:5], s[38:39]
	s_cbranch_execz .LBB706_51
.LBB706_50:
	v_add_co_u32_e32 v4, vcc, 0x1000, v4
	v_addc_co_u32_e32 v5, vcc, 0, v5, vcc
	flat_load_dwordx2 a[2:3], v[4:5] offset:3584
.LBB706_51:
	s_or_b64 exec, exec, s[4:5]
	s_waitcnt vmcnt(0) lgkmcnt(0)
	v_xor_b32_e32 v242, -1, v24
	v_add_co_u32_e32 v1, vcc, 16, v12
	v_and_b32_e32 v24, 0x3c0, v22
	v_xor_b32_e32 v241, 0x7fffffff, v15
	v_addc_co_u32_e32 v23, vcc, 0, v13, vcc
	v_lshlrev_b32_e32 v15, 4, v22
	v_min_u32_e32 v24, 0xc0, v24
	v_add_co_u32_e32 v4, vcc, v12, v15
	v_or_b32_e32 v24, 63, v24
	v_xor_b32_e32 v229, 0x7fffffff, v9
	v_xor_b32_e32 v243, 0x7fffffff, v25
	s_getpc_b64 s[4:5]
	s_add_u32 s4, s4, _ZN7rocprim17ROCPRIM_400000_NS16block_radix_sortIlLj256ELj16ElLj1ELj1ELj8ELNS0_26block_radix_rank_algorithmE2ELNS0_18block_padding_hintE2ELNS0_4arch9wavefront6targetE1EE19radix_bits_per_passE@rel32@lo+4
	s_addc_u32 s5, s5, _ZN7rocprim17ROCPRIM_400000_NS16block_radix_sortIlLj256ELj16ElLj1ELj1ELj8ELNS0_26block_radix_rank_algorithmE2ELNS0_18block_padding_hintE2ELNS0_4arch9wavefront6targetE1EE19radix_bits_per_passE@rel32@hi+12
	v_addc_co_u32_e32 v5, vcc, 0, v13, vcc
	v_and_b32_e32 v9, 15, v69
	v_cmp_eq_u32_e64 s[16:17], v24, v22
	v_add_u32_e32 v24, -1, v69
	v_and_b32_e32 v25, 64, v69
	s_load_dword s46, s[4:5], 0x0
	v_cmp_eq_u32_e32 vcc, 0, v9
	v_cmp_lt_u32_e64 s[4:5], 1, v9
	v_cmp_lt_u32_e64 s[6:7], 3, v9
	;; [unrolled: 1-line block ×3, first 2 shown]
	v_and_b32_e32 v9, 16, v69
	v_cmp_lt_i32_e64 s[22:23], v24, v25
	v_cmp_eq_u32_e64 s[34:35], 0, v9
	v_lshrrev_b32_e32 v9, 6, v22
	v_cndmask_b32_e64 v24, v24, v69, s[22:23]
	v_lshlrev_b32_e32 v152, 2, v24
	v_lshlrev_b32_e32 v24, 2, v9
	v_add_co_u32_e64 v70, s[26:27], v12, v24
	v_xor_b32_e32 v228, -1, v8
	v_lshlrev_b32_e32 v8, 2, v22
	v_addc_co_u32_e64 v71, s[26:27], 0, v13, s[26:27]
	v_add_co_u32_e64 v80, s[26:27], v12, v8
	v_xor_b32_e32 v240, -1, v14
	v_mov_b32_e32 v14, 0
	v_addc_co_u32_e64 v81, s[26:27], 0, v13, s[26:27]
	v_and_b32_e32 v8, 3, v69
	v_cmp_eq_u32_e64 s[26:27], 0, v8
	v_cmp_lt_u32_e64 s[28:29], 1, v8
	v_add_u32_e32 v8, -1, v9
	v_mov_b32_e32 v9, v14
	v_lshlrev_b64 v[8:9], 2, v[8:9]
	v_add_co_u32_e64 v82, s[30:31], v12, v8
	v_addc_co_u32_e64 v83, s[30:31], v13, v9, s[30:31]
	s_movk_i32 s30, 0x3c00
	v_and_or_b32 v8, v15, s30, v68
	v_lshlrev_b32_e32 v8, 3, v8
	v_add_co_u32_e64 v84, s[30:31], v12, v8
	v_addc_co_u32_e64 v85, s[30:31], 0, v13, s[30:31]
	v_or_b32_e32 v9, 0x1000, v8
	v_add_co_u32_e64 v86, s[30:31], v12, v9
	v_addc_co_u32_e64 v87, s[30:31], 0, v13, s[30:31]
	v_or_b32_e32 v9, 0x1200, v8
	;; [unrolled: 3-line block ×8, first 2 shown]
	v_add_co_u32_e64 v116, s[30:31], v12, v8
	v_xor_b32_e32 v47, 0x7fffffff, v27
	v_xor_b32_e32 v46, -1, v26
	v_xor_b32_e32 v63, 0x7fffffff, v29
	v_xor_b32_e32 v62, -1, v28
	;; [unrolled: 2-line block ×13, first 2 shown]
	v_lshrrev_b32_e32 v143, 6, v0
	v_cmp_lt_u32_e64 s[14:15], 31, v69
	v_cmp_gt_u32_e64 s[18:19], 4, v22
	v_cmp_lt_u32_e64 s[20:21], 63, v22
	v_cmp_eq_u32_e64 s[22:23], 0, v69
	v_cmp_eq_u32_e64 s[24:25], 0, v22
	v_addc_co_u32_e64 v117, s[30:31], 0, v13, s[30:31]
	v_sub_u32_e32 v153, v11, v10
	s_mov_b64 s[38:39], 0
	s_waitcnt lgkmcnt(0)
	s_barrier
	s_branch .LBB706_53
.LBB706_52:                             ;   in Loop: Header=BB706_53 Depth=1
	s_or_b64 exec, exec, s[36:37]
	s_and_b64 s[30:31], exec, s[40:41]
	s_or_b64 s[38:39], s[30:31], s[38:39]
	s_andn2_b64 exec, exec, s[38:39]
	s_cbranch_execz .LBB706_93
.LBB706_53:                             ; =>This Inner Loop Header: Depth=1
	s_waitcnt vmcnt(0)
	v_pk_mov_b32 v[68:69], v[16:17], v[16:17] op_sel:[0,1]
	v_pk_mov_b32 v[66:67], v[18:19], v[18:19] op_sel:[0,1]
	v_min_u32_e32 v18, s46, v153
	v_mov_b32_e32 v15, v14
	v_mov_b32_e32 v16, v14
	;; [unrolled: 1-line block ×3, first 2 shown]
	v_pk_mov_b32 v[180:181], v[228:229], v[228:229] op_sel:[0,1]
	flat_store_dwordx4 v[4:5], v[14:17] offset:16
	v_pk_mov_b32 v[64:65], v[182:183], v[182:183] op_sel:[0,1]
	v_lshlrev_b32_e64 v15, v18, -1
	v_not_b32_e32 v18, v15
	v_lshrrev_b64 v[16:17], v10, v[180:181]
	v_and_b32_e32 v19, v16, v18
	v_lshl_add_u32 v16, v19, 2, v143
	v_mov_b32_e32 v17, v14
	v_lshlrev_b64 v[16:17], 2, v[16:17]
	v_add_co_u32_e64 v182, s[30:31], v1, v16
	v_addc_co_u32_e64 v183, s[30:31], v23, v17, s[30:31]
	v_and_b32_e32 v15, 1, v19
	v_add_co_u32_e64 v16, s[30:31], -1, v15
	v_addc_co_u32_e64 v17, s[30:31], 0, -1, s[30:31]
	v_cmp_ne_u32_e64 s[30:31], 0, v15
	v_xor_b32_e32 v15, s31, v17
	v_and_b32_e32 v17, exec_hi, v15
	v_lshlrev_b32_e32 v15, 30, v19
	v_xor_b32_e32 v16, s30, v16
	v_cmp_gt_i64_e64 s[30:31], 0, v[14:15]
	v_not_b32_e32 v15, v15
	v_ashrrev_i32_e32 v15, 31, v15
	v_pk_mov_b32 v[54:55], v[192:193], v[192:193] op_sel:[0,1]
	v_and_b32_e32 v16, exec_lo, v16
	v_xor_b32_e32 v192, s31, v15
	v_xor_b32_e32 v15, s30, v15
	v_and_b32_e32 v16, v16, v15
	v_lshlrev_b32_e32 v15, 29, v19
	v_cmp_gt_i64_e64 s[30:31], 0, v[14:15]
	v_not_b32_e32 v15, v15
	v_ashrrev_i32_e32 v15, 31, v15
	v_and_b32_e32 v17, v17, v192
	v_xor_b32_e32 v192, s31, v15
	v_xor_b32_e32 v15, s30, v15
	v_and_b32_e32 v16, v16, v15
	v_lshlrev_b32_e32 v15, 28, v19
	v_cmp_gt_i64_e64 s[30:31], 0, v[14:15]
	v_not_b32_e32 v15, v15
	v_ashrrev_i32_e32 v15, 31, v15
	v_and_b32_e32 v17, v17, v192
	;; [unrolled: 8-line block ×5, first 2 shown]
	v_xor_b32_e32 v192, s31, v15
	v_xor_b32_e32 v15, s30, v15
	v_and_b32_e32 v16, v16, v15
	v_lshlrev_b32_e32 v15, 24, v19
	v_cmp_gt_i64_e64 s[30:31], 0, v[14:15]
	v_not_b32_e32 v15, v15
	v_ashrrev_i32_e32 v15, 31, v15
	v_xor_b32_e32 v19, s31, v15
	v_xor_b32_e32 v15, s30, v15
	v_and_b32_e32 v17, v17, v192
	v_and_b32_e32 v16, v16, v15
	;; [unrolled: 1-line block ×3, first 2 shown]
	v_mbcnt_lo_u32_b32 v15, v16, 0
	v_mbcnt_hi_u32_b32 v246, v17, v15
	v_accvgpr_read_b32 v25, a1
	v_accvgpr_read_b32 v9, a3
	v_cmp_eq_u32_e64 s[30:31], 0, v246
	v_cmp_ne_u64_e64 s[36:37], 0, v[16:17]
	v_pk_mov_b32 v[52:53], v[194:195], v[194:195] op_sel:[0,1]
	v_pk_mov_b32 v[50:51], v[196:197], v[196:197] op_sel:[0,1]
	;; [unrolled: 1-line block ×10, first 2 shown]
	v_accvgpr_read_b32 v24, a0
	v_accvgpr_read_b32 v8, a2
	v_pk_mov_b32 v[178:179], v[240:241], v[240:241] op_sel:[0,1]
	v_pk_mov_b32 v[176:177], v[242:243], v[242:243] op_sel:[0,1]
	;; [unrolled: 1-line block ×15, first 2 shown]
	s_and_b64 s[36:37], s[36:37], s[30:31]
	s_waitcnt lgkmcnt(0)
	s_barrier
	s_waitcnt lgkmcnt(0)
	; wave barrier
	s_and_saveexec_b64 s[30:31], s[36:37]
	s_cbranch_execz .LBB706_55
; %bb.54:                               ;   in Loop: Header=BB706_53 Depth=1
	v_bcnt_u32_b32 v15, v16, 0
	v_bcnt_u32_b32 v15, v17, v15
	flat_store_dword v[182:183], v15
.LBB706_55:                             ;   in Loop: Header=BB706_53 Depth=1
	s_or_b64 exec, exec, s[30:31]
	v_lshrrev_b64 v[16:17], v10, v[178:179]
	v_and_b32_e32 v19, v16, v18
	v_lshl_add_u32 v16, v19, 2, v143
	v_mov_b32_e32 v17, v14
	v_lshlrev_b64 v[16:17], 2, v[16:17]
	v_add_co_u32_e64 v192, s[30:31], v1, v16
	v_addc_co_u32_e64 v193, s[30:31], v23, v17, s[30:31]
	; wave barrier
	flat_load_dword v247, v[192:193]
	v_and_b32_e32 v15, 1, v19
	v_add_co_u32_e64 v16, s[30:31], -1, v15
	v_addc_co_u32_e64 v17, s[30:31], 0, -1, s[30:31]
	v_cmp_ne_u32_e64 s[30:31], 0, v15
	v_xor_b32_e32 v15, s31, v17
	v_and_b32_e32 v17, exec_hi, v15
	v_lshlrev_b32_e32 v15, 30, v19
	v_xor_b32_e32 v16, s30, v16
	v_cmp_gt_i64_e64 s[30:31], 0, v[14:15]
	v_not_b32_e32 v15, v15
	v_ashrrev_i32_e32 v15, 31, v15
	v_and_b32_e32 v16, exec_lo, v16
	v_xor_b32_e32 v194, s31, v15
	v_xor_b32_e32 v15, s30, v15
	v_and_b32_e32 v16, v16, v15
	v_lshlrev_b32_e32 v15, 29, v19
	v_cmp_gt_i64_e64 s[30:31], 0, v[14:15]
	v_not_b32_e32 v15, v15
	v_ashrrev_i32_e32 v15, 31, v15
	v_and_b32_e32 v17, v17, v194
	v_xor_b32_e32 v194, s31, v15
	v_xor_b32_e32 v15, s30, v15
	v_and_b32_e32 v16, v16, v15
	v_lshlrev_b32_e32 v15, 28, v19
	v_cmp_gt_i64_e64 s[30:31], 0, v[14:15]
	v_not_b32_e32 v15, v15
	v_ashrrev_i32_e32 v15, 31, v15
	v_and_b32_e32 v17, v17, v194
	;; [unrolled: 8-line block ×5, first 2 shown]
	v_xor_b32_e32 v194, s31, v15
	v_xor_b32_e32 v15, s30, v15
	v_and_b32_e32 v16, v16, v15
	v_lshlrev_b32_e32 v15, 24, v19
	v_cmp_gt_i64_e64 s[30:31], 0, v[14:15]
	v_not_b32_e32 v15, v15
	v_ashrrev_i32_e32 v15, 31, v15
	v_xor_b32_e32 v19, s31, v15
	v_xor_b32_e32 v15, s30, v15
	v_and_b32_e32 v17, v17, v194
	v_and_b32_e32 v16, v16, v15
	;; [unrolled: 1-line block ×3, first 2 shown]
	v_mbcnt_lo_u32_b32 v15, v16, 0
	v_mbcnt_hi_u32_b32 v40, v17, v15
	v_cmp_eq_u32_e64 s[30:31], 0, v40
	v_cmp_ne_u64_e64 s[36:37], 0, v[16:17]
	s_and_b64 s[36:37], s[36:37], s[30:31]
	; wave barrier
	s_and_saveexec_b64 s[30:31], s[36:37]
	s_cbranch_execz .LBB706_57
; %bb.56:                               ;   in Loop: Header=BB706_53 Depth=1
	v_bcnt_u32_b32 v15, v16, 0
	v_bcnt_u32_b32 v15, v17, v15
	s_waitcnt vmcnt(0) lgkmcnt(0)
	v_add_u32_e32 v15, v247, v15
	flat_store_dword v[192:193], v15
.LBB706_57:                             ;   in Loop: Header=BB706_53 Depth=1
	s_or_b64 exec, exec, s[30:31]
	v_lshrrev_b64 v[16:17], v10, v[176:177]
	v_and_b32_e32 v19, v16, v18
	v_lshl_add_u32 v16, v19, 2, v143
	v_mov_b32_e32 v17, v14
	v_lshlrev_b64 v[16:17], 2, v[16:17]
	v_add_co_u32_e64 v194, s[30:31], v1, v16
	v_addc_co_u32_e64 v195, s[30:31], v23, v17, s[30:31]
	; wave barrier
	flat_load_dword v41, v[194:195]
	v_and_b32_e32 v15, 1, v19
	v_add_co_u32_e64 v16, s[30:31], -1, v15
	v_addc_co_u32_e64 v17, s[30:31], 0, -1, s[30:31]
	v_cmp_ne_u32_e64 s[30:31], 0, v15
	v_xor_b32_e32 v15, s31, v17
	v_and_b32_e32 v17, exec_hi, v15
	v_lshlrev_b32_e32 v15, 30, v19
	v_xor_b32_e32 v16, s30, v16
	v_cmp_gt_i64_e64 s[30:31], 0, v[14:15]
	v_not_b32_e32 v15, v15
	v_ashrrev_i32_e32 v15, 31, v15
	v_and_b32_e32 v16, exec_lo, v16
	v_xor_b32_e32 v196, s31, v15
	v_xor_b32_e32 v15, s30, v15
	v_and_b32_e32 v16, v16, v15
	v_lshlrev_b32_e32 v15, 29, v19
	v_cmp_gt_i64_e64 s[30:31], 0, v[14:15]
	v_not_b32_e32 v15, v15
	v_ashrrev_i32_e32 v15, 31, v15
	v_and_b32_e32 v17, v17, v196
	v_xor_b32_e32 v196, s31, v15
	v_xor_b32_e32 v15, s30, v15
	v_and_b32_e32 v16, v16, v15
	v_lshlrev_b32_e32 v15, 28, v19
	v_cmp_gt_i64_e64 s[30:31], 0, v[14:15]
	v_not_b32_e32 v15, v15
	v_ashrrev_i32_e32 v15, 31, v15
	v_and_b32_e32 v17, v17, v196
	;; [unrolled: 8-line block ×5, first 2 shown]
	v_xor_b32_e32 v196, s31, v15
	v_xor_b32_e32 v15, s30, v15
	v_and_b32_e32 v16, v16, v15
	v_lshlrev_b32_e32 v15, 24, v19
	v_cmp_gt_i64_e64 s[30:31], 0, v[14:15]
	v_not_b32_e32 v15, v15
	v_ashrrev_i32_e32 v15, 31, v15
	v_xor_b32_e32 v19, s31, v15
	v_xor_b32_e32 v15, s30, v15
	v_and_b32_e32 v17, v17, v196
	v_and_b32_e32 v16, v16, v15
	;; [unrolled: 1-line block ×3, first 2 shown]
	v_mbcnt_lo_u32_b32 v15, v16, 0
	v_mbcnt_hi_u32_b32 v42, v17, v15
	v_cmp_eq_u32_e64 s[30:31], 0, v42
	v_cmp_ne_u64_e64 s[36:37], 0, v[16:17]
	s_and_b64 s[36:37], s[36:37], s[30:31]
	; wave barrier
	s_and_saveexec_b64 s[30:31], s[36:37]
	s_cbranch_execz .LBB706_59
; %bb.58:                               ;   in Loop: Header=BB706_53 Depth=1
	v_bcnt_u32_b32 v15, v16, 0
	v_bcnt_u32_b32 v15, v17, v15
	s_waitcnt vmcnt(0) lgkmcnt(0)
	v_add_u32_e32 v15, v41, v15
	flat_store_dword v[194:195], v15
.LBB706_59:                             ;   in Loop: Header=BB706_53 Depth=1
	s_or_b64 exec, exec, s[30:31]
	v_lshrrev_b64 v[16:17], v10, v[166:167]
	v_and_b32_e32 v19, v16, v18
	v_lshl_add_u32 v16, v19, 2, v143
	v_mov_b32_e32 v17, v14
	v_lshlrev_b64 v[16:17], 2, v[16:17]
	v_add_co_u32_e64 v196, s[30:31], v1, v16
	v_addc_co_u32_e64 v197, s[30:31], v23, v17, s[30:31]
	; wave barrier
	flat_load_dword v43, v[196:197]
	v_and_b32_e32 v15, 1, v19
	v_add_co_u32_e64 v16, s[30:31], -1, v15
	v_addc_co_u32_e64 v17, s[30:31], 0, -1, s[30:31]
	v_cmp_ne_u32_e64 s[30:31], 0, v15
	v_xor_b32_e32 v15, s31, v17
	v_and_b32_e32 v17, exec_hi, v15
	v_lshlrev_b32_e32 v15, 30, v19
	v_xor_b32_e32 v16, s30, v16
	v_cmp_gt_i64_e64 s[30:31], 0, v[14:15]
	v_not_b32_e32 v15, v15
	v_ashrrev_i32_e32 v15, 31, v15
	v_and_b32_e32 v16, exec_lo, v16
	v_xor_b32_e32 v198, s31, v15
	v_xor_b32_e32 v15, s30, v15
	v_and_b32_e32 v16, v16, v15
	v_lshlrev_b32_e32 v15, 29, v19
	v_cmp_gt_i64_e64 s[30:31], 0, v[14:15]
	v_not_b32_e32 v15, v15
	v_ashrrev_i32_e32 v15, 31, v15
	v_and_b32_e32 v17, v17, v198
	v_xor_b32_e32 v198, s31, v15
	v_xor_b32_e32 v15, s30, v15
	v_and_b32_e32 v16, v16, v15
	v_lshlrev_b32_e32 v15, 28, v19
	v_cmp_gt_i64_e64 s[30:31], 0, v[14:15]
	v_not_b32_e32 v15, v15
	v_ashrrev_i32_e32 v15, 31, v15
	v_and_b32_e32 v17, v17, v198
	;; [unrolled: 8-line block ×5, first 2 shown]
	v_xor_b32_e32 v198, s31, v15
	v_xor_b32_e32 v15, s30, v15
	v_and_b32_e32 v16, v16, v15
	v_lshlrev_b32_e32 v15, 24, v19
	v_cmp_gt_i64_e64 s[30:31], 0, v[14:15]
	v_not_b32_e32 v15, v15
	v_ashrrev_i32_e32 v15, 31, v15
	v_xor_b32_e32 v19, s31, v15
	v_xor_b32_e32 v15, s30, v15
	v_and_b32_e32 v17, v17, v198
	v_and_b32_e32 v16, v16, v15
	;; [unrolled: 1-line block ×3, first 2 shown]
	v_mbcnt_lo_u32_b32 v15, v16, 0
	v_mbcnt_hi_u32_b32 v44, v17, v15
	v_cmp_eq_u32_e64 s[30:31], 0, v44
	v_cmp_ne_u64_e64 s[36:37], 0, v[16:17]
	s_and_b64 s[36:37], s[36:37], s[30:31]
	; wave barrier
	s_and_saveexec_b64 s[30:31], s[36:37]
	s_cbranch_execz .LBB706_61
; %bb.60:                               ;   in Loop: Header=BB706_53 Depth=1
	v_bcnt_u32_b32 v15, v16, 0
	v_bcnt_u32_b32 v15, v17, v15
	s_waitcnt vmcnt(0) lgkmcnt(0)
	v_add_u32_e32 v15, v43, v15
	flat_store_dword v[196:197], v15
.LBB706_61:                             ;   in Loop: Header=BB706_53 Depth=1
	s_or_b64 exec, exec, s[30:31]
	v_lshrrev_b64 v[16:17], v10, v[164:165]
	v_and_b32_e32 v19, v16, v18
	v_lshl_add_u32 v16, v19, 2, v143
	v_mov_b32_e32 v17, v14
	v_lshlrev_b64 v[16:17], 2, v[16:17]
	v_add_co_u32_e64 v198, s[30:31], v1, v16
	v_addc_co_u32_e64 v199, s[30:31], v23, v17, s[30:31]
	; wave barrier
	flat_load_dword v45, v[198:199]
	v_and_b32_e32 v15, 1, v19
	v_add_co_u32_e64 v16, s[30:31], -1, v15
	v_addc_co_u32_e64 v17, s[30:31], 0, -1, s[30:31]
	v_cmp_ne_u32_e64 s[30:31], 0, v15
	v_xor_b32_e32 v15, s31, v17
	v_and_b32_e32 v17, exec_hi, v15
	v_lshlrev_b32_e32 v15, 30, v19
	v_xor_b32_e32 v16, s30, v16
	v_cmp_gt_i64_e64 s[30:31], 0, v[14:15]
	v_not_b32_e32 v15, v15
	v_ashrrev_i32_e32 v15, 31, v15
	v_and_b32_e32 v16, exec_lo, v16
	v_xor_b32_e32 v208, s31, v15
	v_xor_b32_e32 v15, s30, v15
	v_and_b32_e32 v16, v16, v15
	v_lshlrev_b32_e32 v15, 29, v19
	v_cmp_gt_i64_e64 s[30:31], 0, v[14:15]
	v_not_b32_e32 v15, v15
	v_ashrrev_i32_e32 v15, 31, v15
	v_and_b32_e32 v17, v17, v208
	v_xor_b32_e32 v208, s31, v15
	v_xor_b32_e32 v15, s30, v15
	v_and_b32_e32 v16, v16, v15
	v_lshlrev_b32_e32 v15, 28, v19
	v_cmp_gt_i64_e64 s[30:31], 0, v[14:15]
	v_not_b32_e32 v15, v15
	v_ashrrev_i32_e32 v15, 31, v15
	v_and_b32_e32 v17, v17, v208
	;; [unrolled: 8-line block ×5, first 2 shown]
	v_xor_b32_e32 v208, s31, v15
	v_xor_b32_e32 v15, s30, v15
	v_and_b32_e32 v16, v16, v15
	v_lshlrev_b32_e32 v15, 24, v19
	v_cmp_gt_i64_e64 s[30:31], 0, v[14:15]
	v_not_b32_e32 v15, v15
	v_ashrrev_i32_e32 v15, 31, v15
	v_xor_b32_e32 v19, s31, v15
	v_xor_b32_e32 v15, s30, v15
	v_and_b32_e32 v17, v17, v208
	v_and_b32_e32 v16, v16, v15
	;; [unrolled: 1-line block ×3, first 2 shown]
	v_mbcnt_lo_u32_b32 v15, v16, 0
	v_mbcnt_hi_u32_b32 v46, v17, v15
	v_cmp_eq_u32_e64 s[30:31], 0, v46
	v_cmp_ne_u64_e64 s[36:37], 0, v[16:17]
	s_and_b64 s[36:37], s[36:37], s[30:31]
	; wave barrier
	s_and_saveexec_b64 s[30:31], s[36:37]
	s_cbranch_execz .LBB706_63
; %bb.62:                               ;   in Loop: Header=BB706_53 Depth=1
	v_bcnt_u32_b32 v15, v16, 0
	v_bcnt_u32_b32 v15, v17, v15
	s_waitcnt vmcnt(0) lgkmcnt(0)
	v_add_u32_e32 v15, v45, v15
	flat_store_dword v[198:199], v15
.LBB706_63:                             ;   in Loop: Header=BB706_53 Depth=1
	s_or_b64 exec, exec, s[30:31]
	v_lshrrev_b64 v[16:17], v10, v[162:163]
	v_and_b32_e32 v19, v16, v18
	v_lshl_add_u32 v16, v19, 2, v143
	v_mov_b32_e32 v17, v14
	v_lshlrev_b64 v[16:17], 2, v[16:17]
	v_add_co_u32_e64 v208, s[30:31], v1, v16
	v_addc_co_u32_e64 v209, s[30:31], v23, v17, s[30:31]
	; wave barrier
	flat_load_dword v47, v[208:209]
	v_and_b32_e32 v15, 1, v19
	v_add_co_u32_e64 v16, s[30:31], -1, v15
	v_addc_co_u32_e64 v17, s[30:31], 0, -1, s[30:31]
	v_cmp_ne_u32_e64 s[30:31], 0, v15
	v_xor_b32_e32 v15, s31, v17
	v_and_b32_e32 v17, exec_hi, v15
	v_lshlrev_b32_e32 v15, 30, v19
	v_xor_b32_e32 v16, s30, v16
	v_cmp_gt_i64_e64 s[30:31], 0, v[14:15]
	v_not_b32_e32 v15, v15
	v_ashrrev_i32_e32 v15, 31, v15
	v_and_b32_e32 v16, exec_lo, v16
	v_xor_b32_e32 v210, s31, v15
	v_xor_b32_e32 v15, s30, v15
	v_and_b32_e32 v16, v16, v15
	v_lshlrev_b32_e32 v15, 29, v19
	v_cmp_gt_i64_e64 s[30:31], 0, v[14:15]
	v_not_b32_e32 v15, v15
	v_ashrrev_i32_e32 v15, 31, v15
	v_and_b32_e32 v17, v17, v210
	v_xor_b32_e32 v210, s31, v15
	v_xor_b32_e32 v15, s30, v15
	v_and_b32_e32 v16, v16, v15
	v_lshlrev_b32_e32 v15, 28, v19
	v_cmp_gt_i64_e64 s[30:31], 0, v[14:15]
	v_not_b32_e32 v15, v15
	v_ashrrev_i32_e32 v15, 31, v15
	v_and_b32_e32 v17, v17, v210
	v_xor_b32_e32 v210, s31, v15
	v_xor_b32_e32 v15, s30, v15
	v_and_b32_e32 v16, v16, v15
	v_lshlrev_b32_e32 v15, 27, v19
	v_cmp_gt_i64_e64 s[30:31], 0, v[14:15]
	v_not_b32_e32 v15, v15
	v_ashrrev_i32_e32 v15, 31, v15
	v_and_b32_e32 v17, v17, v210
	v_xor_b32_e32 v210, s31, v15
	v_xor_b32_e32 v15, s30, v15
	v_and_b32_e32 v16, v16, v15
	v_lshlrev_b32_e32 v15, 26, v19
	v_cmp_gt_i64_e64 s[30:31], 0, v[14:15]
	v_not_b32_e32 v15, v15
	v_ashrrev_i32_e32 v15, 31, v15
	v_and_b32_e32 v17, v17, v210
	v_xor_b32_e32 v210, s31, v15
	v_xor_b32_e32 v15, s30, v15
	v_and_b32_e32 v16, v16, v15
	v_lshlrev_b32_e32 v15, 25, v19
	v_cmp_gt_i64_e64 s[30:31], 0, v[14:15]
	v_not_b32_e32 v15, v15
	v_ashrrev_i32_e32 v15, 31, v15
	v_and_b32_e32 v17, v17, v210
	v_xor_b32_e32 v210, s31, v15
	v_xor_b32_e32 v15, s30, v15
	v_and_b32_e32 v16, v16, v15
	v_lshlrev_b32_e32 v15, 24, v19
	v_cmp_gt_i64_e64 s[30:31], 0, v[14:15]
	v_not_b32_e32 v15, v15
	v_ashrrev_i32_e32 v15, 31, v15
	v_xor_b32_e32 v19, s31, v15
	v_xor_b32_e32 v15, s30, v15
	v_and_b32_e32 v17, v17, v210
	v_and_b32_e32 v16, v16, v15
	;; [unrolled: 1-line block ×3, first 2 shown]
	v_mbcnt_lo_u32_b32 v15, v16, 0
	v_mbcnt_hi_u32_b32 v56, v17, v15
	v_cmp_eq_u32_e64 s[30:31], 0, v56
	v_cmp_ne_u64_e64 s[36:37], 0, v[16:17]
	s_and_b64 s[36:37], s[36:37], s[30:31]
	; wave barrier
	s_and_saveexec_b64 s[30:31], s[36:37]
	s_cbranch_execz .LBB706_65
; %bb.64:                               ;   in Loop: Header=BB706_53 Depth=1
	v_bcnt_u32_b32 v15, v16, 0
	v_bcnt_u32_b32 v15, v17, v15
	s_waitcnt vmcnt(0) lgkmcnt(0)
	v_add_u32_e32 v15, v47, v15
	flat_store_dword v[208:209], v15
.LBB706_65:                             ;   in Loop: Header=BB706_53 Depth=1
	s_or_b64 exec, exec, s[30:31]
	v_lshrrev_b64 v[16:17], v10, v[160:161]
	v_and_b32_e32 v19, v16, v18
	v_lshl_add_u32 v16, v19, 2, v143
	v_mov_b32_e32 v17, v14
	v_lshlrev_b64 v[16:17], 2, v[16:17]
	v_add_co_u32_e64 v210, s[30:31], v1, v16
	v_addc_co_u32_e64 v211, s[30:31], v23, v17, s[30:31]
	; wave barrier
	flat_load_dword v57, v[210:211]
	v_and_b32_e32 v15, 1, v19
	v_add_co_u32_e64 v16, s[30:31], -1, v15
	v_addc_co_u32_e64 v17, s[30:31], 0, -1, s[30:31]
	v_cmp_ne_u32_e64 s[30:31], 0, v15
	v_xor_b32_e32 v15, s31, v17
	v_and_b32_e32 v17, exec_hi, v15
	v_lshlrev_b32_e32 v15, 30, v19
	v_xor_b32_e32 v16, s30, v16
	v_cmp_gt_i64_e64 s[30:31], 0, v[14:15]
	v_not_b32_e32 v15, v15
	v_ashrrev_i32_e32 v15, 31, v15
	v_and_b32_e32 v16, exec_lo, v16
	v_xor_b32_e32 v212, s31, v15
	v_xor_b32_e32 v15, s30, v15
	v_and_b32_e32 v16, v16, v15
	v_lshlrev_b32_e32 v15, 29, v19
	v_cmp_gt_i64_e64 s[30:31], 0, v[14:15]
	v_not_b32_e32 v15, v15
	v_ashrrev_i32_e32 v15, 31, v15
	v_and_b32_e32 v17, v17, v212
	v_xor_b32_e32 v212, s31, v15
	v_xor_b32_e32 v15, s30, v15
	v_and_b32_e32 v16, v16, v15
	v_lshlrev_b32_e32 v15, 28, v19
	v_cmp_gt_i64_e64 s[30:31], 0, v[14:15]
	v_not_b32_e32 v15, v15
	v_ashrrev_i32_e32 v15, 31, v15
	v_and_b32_e32 v17, v17, v212
	;; [unrolled: 8-line block ×5, first 2 shown]
	v_xor_b32_e32 v212, s31, v15
	v_xor_b32_e32 v15, s30, v15
	v_and_b32_e32 v16, v16, v15
	v_lshlrev_b32_e32 v15, 24, v19
	v_cmp_gt_i64_e64 s[30:31], 0, v[14:15]
	v_not_b32_e32 v15, v15
	v_ashrrev_i32_e32 v15, 31, v15
	v_xor_b32_e32 v19, s31, v15
	v_xor_b32_e32 v15, s30, v15
	v_and_b32_e32 v17, v17, v212
	v_and_b32_e32 v16, v16, v15
	;; [unrolled: 1-line block ×3, first 2 shown]
	v_mbcnt_lo_u32_b32 v15, v16, 0
	v_mbcnt_hi_u32_b32 v58, v17, v15
	v_cmp_eq_u32_e64 s[30:31], 0, v58
	v_cmp_ne_u64_e64 s[36:37], 0, v[16:17]
	s_and_b64 s[36:37], s[36:37], s[30:31]
	; wave barrier
	s_and_saveexec_b64 s[30:31], s[36:37]
	s_cbranch_execz .LBB706_67
; %bb.66:                               ;   in Loop: Header=BB706_53 Depth=1
	v_bcnt_u32_b32 v15, v16, 0
	v_bcnt_u32_b32 v15, v17, v15
	s_waitcnt vmcnt(0) lgkmcnt(0)
	v_add_u32_e32 v15, v57, v15
	flat_store_dword v[210:211], v15
.LBB706_67:                             ;   in Loop: Header=BB706_53 Depth=1
	s_or_b64 exec, exec, s[30:31]
	v_lshrrev_b64 v[16:17], v10, v[150:151]
	v_and_b32_e32 v19, v16, v18
	v_lshl_add_u32 v16, v19, 2, v143
	v_mov_b32_e32 v17, v14
	v_lshlrev_b64 v[16:17], 2, v[16:17]
	v_add_co_u32_e64 v212, s[30:31], v1, v16
	v_addc_co_u32_e64 v213, s[30:31], v23, v17, s[30:31]
	; wave barrier
	flat_load_dword v59, v[212:213]
	v_and_b32_e32 v15, 1, v19
	v_add_co_u32_e64 v16, s[30:31], -1, v15
	v_addc_co_u32_e64 v17, s[30:31], 0, -1, s[30:31]
	v_cmp_ne_u32_e64 s[30:31], 0, v15
	v_xor_b32_e32 v15, s31, v17
	v_and_b32_e32 v17, exec_hi, v15
	v_lshlrev_b32_e32 v15, 30, v19
	v_xor_b32_e32 v16, s30, v16
	v_cmp_gt_i64_e64 s[30:31], 0, v[14:15]
	v_not_b32_e32 v15, v15
	v_ashrrev_i32_e32 v15, 31, v15
	v_and_b32_e32 v16, exec_lo, v16
	v_xor_b32_e32 v214, s31, v15
	v_xor_b32_e32 v15, s30, v15
	v_and_b32_e32 v16, v16, v15
	v_lshlrev_b32_e32 v15, 29, v19
	v_cmp_gt_i64_e64 s[30:31], 0, v[14:15]
	v_not_b32_e32 v15, v15
	v_ashrrev_i32_e32 v15, 31, v15
	v_and_b32_e32 v17, v17, v214
	v_xor_b32_e32 v214, s31, v15
	v_xor_b32_e32 v15, s30, v15
	v_and_b32_e32 v16, v16, v15
	v_lshlrev_b32_e32 v15, 28, v19
	v_cmp_gt_i64_e64 s[30:31], 0, v[14:15]
	v_not_b32_e32 v15, v15
	v_ashrrev_i32_e32 v15, 31, v15
	v_and_b32_e32 v17, v17, v214
	v_xor_b32_e32 v214, s31, v15
	v_xor_b32_e32 v15, s30, v15
	v_and_b32_e32 v16, v16, v15
	v_lshlrev_b32_e32 v15, 27, v19
	v_cmp_gt_i64_e64 s[30:31], 0, v[14:15]
	v_not_b32_e32 v15, v15
	v_ashrrev_i32_e32 v15, 31, v15
	v_and_b32_e32 v17, v17, v214
	v_xor_b32_e32 v214, s31, v15
	v_xor_b32_e32 v15, s30, v15
	v_and_b32_e32 v16, v16, v15
	v_lshlrev_b32_e32 v15, 26, v19
	v_cmp_gt_i64_e64 s[30:31], 0, v[14:15]
	v_not_b32_e32 v15, v15
	v_ashrrev_i32_e32 v15, 31, v15
	v_and_b32_e32 v17, v17, v214
	v_xor_b32_e32 v214, s31, v15
	v_xor_b32_e32 v15, s30, v15
	v_and_b32_e32 v16, v16, v15
	v_lshlrev_b32_e32 v15, 25, v19
	v_cmp_gt_i64_e64 s[30:31], 0, v[14:15]
	v_not_b32_e32 v15, v15
	v_ashrrev_i32_e32 v15, 31, v15
	v_and_b32_e32 v17, v17, v214
	v_xor_b32_e32 v214, s31, v15
	v_xor_b32_e32 v15, s30, v15
	v_and_b32_e32 v16, v16, v15
	v_lshlrev_b32_e32 v15, 24, v19
	v_cmp_gt_i64_e64 s[30:31], 0, v[14:15]
	v_not_b32_e32 v15, v15
	v_ashrrev_i32_e32 v15, 31, v15
	v_xor_b32_e32 v19, s31, v15
	v_xor_b32_e32 v15, s30, v15
	v_and_b32_e32 v17, v17, v214
	v_and_b32_e32 v16, v16, v15
	;; [unrolled: 1-line block ×3, first 2 shown]
	v_mbcnt_lo_u32_b32 v15, v16, 0
	v_mbcnt_hi_u32_b32 v60, v17, v15
	v_cmp_eq_u32_e64 s[30:31], 0, v60
	v_cmp_ne_u64_e64 s[36:37], 0, v[16:17]
	s_and_b64 s[36:37], s[36:37], s[30:31]
	; wave barrier
	s_and_saveexec_b64 s[30:31], s[36:37]
	s_cbranch_execz .LBB706_69
; %bb.68:                               ;   in Loop: Header=BB706_53 Depth=1
	v_bcnt_u32_b32 v15, v16, 0
	v_bcnt_u32_b32 v15, v17, v15
	s_waitcnt vmcnt(0) lgkmcnt(0)
	v_add_u32_e32 v15, v59, v15
	flat_store_dword v[212:213], v15
.LBB706_69:                             ;   in Loop: Header=BB706_53 Depth=1
	s_or_b64 exec, exec, s[30:31]
	v_lshrrev_b64 v[16:17], v10, v[148:149]
	v_and_b32_e32 v19, v16, v18
	v_lshl_add_u32 v16, v19, 2, v143
	v_mov_b32_e32 v17, v14
	v_lshlrev_b64 v[16:17], 2, v[16:17]
	v_add_co_u32_e64 v214, s[30:31], v1, v16
	v_addc_co_u32_e64 v215, s[30:31], v23, v17, s[30:31]
	; wave barrier
	flat_load_dword v61, v[214:215]
	v_and_b32_e32 v15, 1, v19
	v_add_co_u32_e64 v16, s[30:31], -1, v15
	v_addc_co_u32_e64 v17, s[30:31], 0, -1, s[30:31]
	v_cmp_ne_u32_e64 s[30:31], 0, v15
	v_xor_b32_e32 v15, s31, v17
	v_and_b32_e32 v17, exec_hi, v15
	v_lshlrev_b32_e32 v15, 30, v19
	v_xor_b32_e32 v16, s30, v16
	v_cmp_gt_i64_e64 s[30:31], 0, v[14:15]
	v_not_b32_e32 v15, v15
	v_ashrrev_i32_e32 v15, 31, v15
	v_and_b32_e32 v16, exec_lo, v16
	v_xor_b32_e32 v224, s31, v15
	v_xor_b32_e32 v15, s30, v15
	v_and_b32_e32 v16, v16, v15
	v_lshlrev_b32_e32 v15, 29, v19
	v_cmp_gt_i64_e64 s[30:31], 0, v[14:15]
	v_not_b32_e32 v15, v15
	v_ashrrev_i32_e32 v15, 31, v15
	v_and_b32_e32 v17, v17, v224
	v_xor_b32_e32 v224, s31, v15
	v_xor_b32_e32 v15, s30, v15
	v_and_b32_e32 v16, v16, v15
	v_lshlrev_b32_e32 v15, 28, v19
	v_cmp_gt_i64_e64 s[30:31], 0, v[14:15]
	v_not_b32_e32 v15, v15
	v_ashrrev_i32_e32 v15, 31, v15
	v_and_b32_e32 v17, v17, v224
	;; [unrolled: 8-line block ×5, first 2 shown]
	v_xor_b32_e32 v224, s31, v15
	v_xor_b32_e32 v15, s30, v15
	v_and_b32_e32 v16, v16, v15
	v_lshlrev_b32_e32 v15, 24, v19
	v_cmp_gt_i64_e64 s[30:31], 0, v[14:15]
	v_not_b32_e32 v15, v15
	v_ashrrev_i32_e32 v15, 31, v15
	v_xor_b32_e32 v19, s31, v15
	v_xor_b32_e32 v15, s30, v15
	v_and_b32_e32 v17, v17, v224
	v_and_b32_e32 v16, v16, v15
	;; [unrolled: 1-line block ×3, first 2 shown]
	v_mbcnt_lo_u32_b32 v15, v16, 0
	v_mbcnt_hi_u32_b32 v62, v17, v15
	v_cmp_eq_u32_e64 s[30:31], 0, v62
	v_cmp_ne_u64_e64 s[36:37], 0, v[16:17]
	s_and_b64 s[36:37], s[36:37], s[30:31]
	; wave barrier
	s_and_saveexec_b64 s[30:31], s[36:37]
	s_cbranch_execz .LBB706_71
; %bb.70:                               ;   in Loop: Header=BB706_53 Depth=1
	v_bcnt_u32_b32 v15, v16, 0
	v_bcnt_u32_b32 v15, v17, v15
	s_waitcnt vmcnt(0) lgkmcnt(0)
	v_add_u32_e32 v15, v61, v15
	flat_store_dword v[214:215], v15
.LBB706_71:                             ;   in Loop: Header=BB706_53 Depth=1
	s_or_b64 exec, exec, s[30:31]
	v_lshrrev_b64 v[16:17], v10, v[146:147]
	v_and_b32_e32 v19, v16, v18
	v_lshl_add_u32 v16, v19, 2, v143
	v_mov_b32_e32 v17, v14
	v_lshlrev_b64 v[16:17], 2, v[16:17]
	v_add_co_u32_e64 v224, s[30:31], v1, v16
	v_addc_co_u32_e64 v225, s[30:31], v23, v17, s[30:31]
	; wave barrier
	flat_load_dword v63, v[224:225]
	v_and_b32_e32 v15, 1, v19
	v_add_co_u32_e64 v16, s[30:31], -1, v15
	v_addc_co_u32_e64 v17, s[30:31], 0, -1, s[30:31]
	v_cmp_ne_u32_e64 s[30:31], 0, v15
	v_xor_b32_e32 v15, s31, v17
	v_and_b32_e32 v17, exec_hi, v15
	v_lshlrev_b32_e32 v15, 30, v19
	v_xor_b32_e32 v16, s30, v16
	v_cmp_gt_i64_e64 s[30:31], 0, v[14:15]
	v_not_b32_e32 v15, v15
	v_ashrrev_i32_e32 v15, 31, v15
	v_and_b32_e32 v16, exec_lo, v16
	v_xor_b32_e32 v226, s31, v15
	v_xor_b32_e32 v15, s30, v15
	v_and_b32_e32 v16, v16, v15
	v_lshlrev_b32_e32 v15, 29, v19
	v_cmp_gt_i64_e64 s[30:31], 0, v[14:15]
	v_not_b32_e32 v15, v15
	v_ashrrev_i32_e32 v15, 31, v15
	v_and_b32_e32 v17, v17, v226
	v_xor_b32_e32 v226, s31, v15
	v_xor_b32_e32 v15, s30, v15
	v_and_b32_e32 v16, v16, v15
	v_lshlrev_b32_e32 v15, 28, v19
	v_cmp_gt_i64_e64 s[30:31], 0, v[14:15]
	v_not_b32_e32 v15, v15
	v_ashrrev_i32_e32 v15, 31, v15
	v_and_b32_e32 v17, v17, v226
	;; [unrolled: 8-line block ×5, first 2 shown]
	v_xor_b32_e32 v226, s31, v15
	v_xor_b32_e32 v15, s30, v15
	v_and_b32_e32 v16, v16, v15
	v_lshlrev_b32_e32 v15, 24, v19
	v_cmp_gt_i64_e64 s[30:31], 0, v[14:15]
	v_not_b32_e32 v15, v15
	v_ashrrev_i32_e32 v15, 31, v15
	v_xor_b32_e32 v19, s31, v15
	v_xor_b32_e32 v15, s30, v15
	v_and_b32_e32 v17, v17, v226
	v_and_b32_e32 v16, v16, v15
	;; [unrolled: 1-line block ×3, first 2 shown]
	v_mbcnt_lo_u32_b32 v15, v16, 0
	v_mbcnt_hi_u32_b32 v72, v17, v15
	v_cmp_eq_u32_e64 s[30:31], 0, v72
	v_cmp_ne_u64_e64 s[36:37], 0, v[16:17]
	s_and_b64 s[36:37], s[36:37], s[30:31]
	; wave barrier
	s_and_saveexec_b64 s[30:31], s[36:37]
	s_cbranch_execz .LBB706_73
; %bb.72:                               ;   in Loop: Header=BB706_53 Depth=1
	v_bcnt_u32_b32 v15, v16, 0
	v_bcnt_u32_b32 v15, v17, v15
	s_waitcnt vmcnt(0) lgkmcnt(0)
	v_add_u32_e32 v15, v63, v15
	flat_store_dword v[224:225], v15
.LBB706_73:                             ;   in Loop: Header=BB706_53 Depth=1
	s_or_b64 exec, exec, s[30:31]
	v_lshrrev_b64 v[16:17], v10, v[144:145]
	v_and_b32_e32 v19, v16, v18
	v_lshl_add_u32 v16, v19, 2, v143
	v_mov_b32_e32 v17, v14
	v_lshlrev_b64 v[16:17], 2, v[16:17]
	v_add_co_u32_e64 v226, s[30:31], v1, v16
	v_addc_co_u32_e64 v227, s[30:31], v23, v17, s[30:31]
	; wave barrier
	flat_load_dword v73, v[226:227]
	v_and_b32_e32 v15, 1, v19
	v_add_co_u32_e64 v16, s[30:31], -1, v15
	v_addc_co_u32_e64 v17, s[30:31], 0, -1, s[30:31]
	v_cmp_ne_u32_e64 s[30:31], 0, v15
	v_xor_b32_e32 v15, s31, v17
	v_and_b32_e32 v17, exec_hi, v15
	v_lshlrev_b32_e32 v15, 30, v19
	v_xor_b32_e32 v16, s30, v16
	v_cmp_gt_i64_e64 s[30:31], 0, v[14:15]
	v_not_b32_e32 v15, v15
	v_ashrrev_i32_e32 v15, 31, v15
	v_and_b32_e32 v16, exec_lo, v16
	v_xor_b32_e32 v228, s31, v15
	v_xor_b32_e32 v15, s30, v15
	v_and_b32_e32 v16, v16, v15
	v_lshlrev_b32_e32 v15, 29, v19
	v_cmp_gt_i64_e64 s[30:31], 0, v[14:15]
	v_not_b32_e32 v15, v15
	v_ashrrev_i32_e32 v15, 31, v15
	v_and_b32_e32 v17, v17, v228
	v_xor_b32_e32 v228, s31, v15
	v_xor_b32_e32 v15, s30, v15
	v_and_b32_e32 v16, v16, v15
	v_lshlrev_b32_e32 v15, 28, v19
	v_cmp_gt_i64_e64 s[30:31], 0, v[14:15]
	v_not_b32_e32 v15, v15
	v_ashrrev_i32_e32 v15, 31, v15
	v_and_b32_e32 v17, v17, v228
	;; [unrolled: 8-line block ×5, first 2 shown]
	v_xor_b32_e32 v228, s31, v15
	v_xor_b32_e32 v15, s30, v15
	v_and_b32_e32 v16, v16, v15
	v_lshlrev_b32_e32 v15, 24, v19
	v_cmp_gt_i64_e64 s[30:31], 0, v[14:15]
	v_not_b32_e32 v15, v15
	v_ashrrev_i32_e32 v15, 31, v15
	v_xor_b32_e32 v19, s31, v15
	v_xor_b32_e32 v15, s30, v15
	v_and_b32_e32 v17, v17, v228
	v_and_b32_e32 v16, v16, v15
	;; [unrolled: 1-line block ×3, first 2 shown]
	v_mbcnt_lo_u32_b32 v15, v16, 0
	v_mbcnt_hi_u32_b32 v74, v17, v15
	v_cmp_eq_u32_e64 s[30:31], 0, v74
	v_cmp_ne_u64_e64 s[36:37], 0, v[16:17]
	s_and_b64 s[36:37], s[36:37], s[30:31]
	; wave barrier
	s_and_saveexec_b64 s[30:31], s[36:37]
	s_cbranch_execz .LBB706_75
; %bb.74:                               ;   in Loop: Header=BB706_53 Depth=1
	v_bcnt_u32_b32 v15, v16, 0
	v_bcnt_u32_b32 v15, v17, v15
	s_waitcnt vmcnt(0) lgkmcnt(0)
	v_add_u32_e32 v15, v73, v15
	flat_store_dword v[226:227], v15
.LBB706_75:                             ;   in Loop: Header=BB706_53 Depth=1
	s_or_b64 exec, exec, s[30:31]
	v_lshrrev_b64 v[16:17], v10, v[134:135]
	v_and_b32_e32 v19, v16, v18
	v_lshl_add_u32 v16, v19, 2, v143
	v_mov_b32_e32 v17, v14
	v_lshlrev_b64 v[16:17], 2, v[16:17]
	v_add_co_u32_e64 v228, s[30:31], v1, v16
	v_addc_co_u32_e64 v229, s[30:31], v23, v17, s[30:31]
	; wave barrier
	flat_load_dword v75, v[228:229]
	v_and_b32_e32 v15, 1, v19
	v_add_co_u32_e64 v16, s[30:31], -1, v15
	v_addc_co_u32_e64 v17, s[30:31], 0, -1, s[30:31]
	v_cmp_ne_u32_e64 s[30:31], 0, v15
	v_xor_b32_e32 v15, s31, v17
	v_and_b32_e32 v17, exec_hi, v15
	v_lshlrev_b32_e32 v15, 30, v19
	v_xor_b32_e32 v16, s30, v16
	v_cmp_gt_i64_e64 s[30:31], 0, v[14:15]
	v_not_b32_e32 v15, v15
	v_ashrrev_i32_e32 v15, 31, v15
	v_and_b32_e32 v16, exec_lo, v16
	v_xor_b32_e32 v230, s31, v15
	v_xor_b32_e32 v15, s30, v15
	v_and_b32_e32 v16, v16, v15
	v_lshlrev_b32_e32 v15, 29, v19
	v_cmp_gt_i64_e64 s[30:31], 0, v[14:15]
	v_not_b32_e32 v15, v15
	v_ashrrev_i32_e32 v15, 31, v15
	v_and_b32_e32 v17, v17, v230
	v_xor_b32_e32 v230, s31, v15
	v_xor_b32_e32 v15, s30, v15
	v_and_b32_e32 v16, v16, v15
	v_lshlrev_b32_e32 v15, 28, v19
	v_cmp_gt_i64_e64 s[30:31], 0, v[14:15]
	v_not_b32_e32 v15, v15
	v_ashrrev_i32_e32 v15, 31, v15
	v_and_b32_e32 v17, v17, v230
	;; [unrolled: 8-line block ×5, first 2 shown]
	v_xor_b32_e32 v230, s31, v15
	v_xor_b32_e32 v15, s30, v15
	v_and_b32_e32 v16, v16, v15
	v_lshlrev_b32_e32 v15, 24, v19
	v_cmp_gt_i64_e64 s[30:31], 0, v[14:15]
	v_not_b32_e32 v15, v15
	v_ashrrev_i32_e32 v15, 31, v15
	v_xor_b32_e32 v19, s31, v15
	v_xor_b32_e32 v15, s30, v15
	v_and_b32_e32 v17, v17, v230
	v_and_b32_e32 v16, v16, v15
	;; [unrolled: 1-line block ×3, first 2 shown]
	v_mbcnt_lo_u32_b32 v15, v16, 0
	v_mbcnt_hi_u32_b32 v76, v17, v15
	v_cmp_eq_u32_e64 s[30:31], 0, v76
	v_cmp_ne_u64_e64 s[36:37], 0, v[16:17]
	s_and_b64 s[36:37], s[36:37], s[30:31]
	; wave barrier
	s_and_saveexec_b64 s[30:31], s[36:37]
	s_cbranch_execz .LBB706_77
; %bb.76:                               ;   in Loop: Header=BB706_53 Depth=1
	v_bcnt_u32_b32 v15, v16, 0
	v_bcnt_u32_b32 v15, v17, v15
	s_waitcnt vmcnt(0) lgkmcnt(0)
	v_add_u32_e32 v15, v75, v15
	flat_store_dword v[228:229], v15
.LBB706_77:                             ;   in Loop: Header=BB706_53 Depth=1
	s_or_b64 exec, exec, s[30:31]
	v_lshrrev_b64 v[16:17], v10, v[132:133]
	v_and_b32_e32 v19, v16, v18
	v_lshl_add_u32 v16, v19, 2, v143
	v_mov_b32_e32 v17, v14
	v_lshlrev_b64 v[16:17], 2, v[16:17]
	v_add_co_u32_e64 v230, s[30:31], v1, v16
	v_addc_co_u32_e64 v231, s[30:31], v23, v17, s[30:31]
	; wave barrier
	flat_load_dword v77, v[230:231]
	v_and_b32_e32 v15, 1, v19
	v_add_co_u32_e64 v16, s[30:31], -1, v15
	v_addc_co_u32_e64 v17, s[30:31], 0, -1, s[30:31]
	v_cmp_ne_u32_e64 s[30:31], 0, v15
	v_xor_b32_e32 v15, s31, v17
	v_and_b32_e32 v17, exec_hi, v15
	v_lshlrev_b32_e32 v15, 30, v19
	v_xor_b32_e32 v16, s30, v16
	v_cmp_gt_i64_e64 s[30:31], 0, v[14:15]
	v_not_b32_e32 v15, v15
	v_ashrrev_i32_e32 v15, 31, v15
	v_and_b32_e32 v16, exec_lo, v16
	v_xor_b32_e32 v240, s31, v15
	v_xor_b32_e32 v15, s30, v15
	v_and_b32_e32 v16, v16, v15
	v_lshlrev_b32_e32 v15, 29, v19
	v_cmp_gt_i64_e64 s[30:31], 0, v[14:15]
	v_not_b32_e32 v15, v15
	v_ashrrev_i32_e32 v15, 31, v15
	v_and_b32_e32 v17, v17, v240
	v_xor_b32_e32 v240, s31, v15
	v_xor_b32_e32 v15, s30, v15
	v_and_b32_e32 v16, v16, v15
	v_lshlrev_b32_e32 v15, 28, v19
	v_cmp_gt_i64_e64 s[30:31], 0, v[14:15]
	v_not_b32_e32 v15, v15
	v_ashrrev_i32_e32 v15, 31, v15
	v_and_b32_e32 v17, v17, v240
	;; [unrolled: 8-line block ×5, first 2 shown]
	v_xor_b32_e32 v240, s31, v15
	v_xor_b32_e32 v15, s30, v15
	v_and_b32_e32 v16, v16, v15
	v_lshlrev_b32_e32 v15, 24, v19
	v_cmp_gt_i64_e64 s[30:31], 0, v[14:15]
	v_not_b32_e32 v15, v15
	v_ashrrev_i32_e32 v15, 31, v15
	v_xor_b32_e32 v19, s31, v15
	v_xor_b32_e32 v15, s30, v15
	v_and_b32_e32 v17, v17, v240
	v_and_b32_e32 v16, v16, v15
	v_and_b32_e32 v17, v17, v19
	v_mbcnt_lo_u32_b32 v15, v16, 0
	v_mbcnt_hi_u32_b32 v78, v17, v15
	v_cmp_eq_u32_e64 s[30:31], 0, v78
	v_cmp_ne_u64_e64 s[36:37], 0, v[16:17]
	s_and_b64 s[36:37], s[36:37], s[30:31]
	; wave barrier
	s_and_saveexec_b64 s[30:31], s[36:37]
	s_cbranch_execz .LBB706_79
; %bb.78:                               ;   in Loop: Header=BB706_53 Depth=1
	v_bcnt_u32_b32 v15, v16, 0
	v_bcnt_u32_b32 v15, v17, v15
	s_waitcnt vmcnt(0) lgkmcnt(0)
	v_add_u32_e32 v15, v77, v15
	flat_store_dword v[230:231], v15
.LBB706_79:                             ;   in Loop: Header=BB706_53 Depth=1
	s_or_b64 exec, exec, s[30:31]
	v_lshrrev_b64 v[16:17], v10, v[130:131]
	v_and_b32_e32 v19, v16, v18
	v_lshl_add_u32 v16, v19, 2, v143
	v_mov_b32_e32 v17, v14
	v_lshlrev_b64 v[16:17], 2, v[16:17]
	v_add_co_u32_e64 v240, s[30:31], v1, v16
	v_addc_co_u32_e64 v241, s[30:31], v23, v17, s[30:31]
	; wave barrier
	flat_load_dword v79, v[240:241]
	v_and_b32_e32 v15, 1, v19
	v_add_co_u32_e64 v16, s[30:31], -1, v15
	v_addc_co_u32_e64 v17, s[30:31], 0, -1, s[30:31]
	v_cmp_ne_u32_e64 s[30:31], 0, v15
	v_xor_b32_e32 v15, s31, v17
	v_and_b32_e32 v17, exec_hi, v15
	v_lshlrev_b32_e32 v15, 30, v19
	v_xor_b32_e32 v16, s30, v16
	v_cmp_gt_i64_e64 s[30:31], 0, v[14:15]
	v_not_b32_e32 v15, v15
	v_ashrrev_i32_e32 v15, 31, v15
	v_and_b32_e32 v16, exec_lo, v16
	v_xor_b32_e32 v242, s31, v15
	v_xor_b32_e32 v15, s30, v15
	v_and_b32_e32 v16, v16, v15
	v_lshlrev_b32_e32 v15, 29, v19
	v_cmp_gt_i64_e64 s[30:31], 0, v[14:15]
	v_not_b32_e32 v15, v15
	v_ashrrev_i32_e32 v15, 31, v15
	v_and_b32_e32 v17, v17, v242
	v_xor_b32_e32 v242, s31, v15
	v_xor_b32_e32 v15, s30, v15
	v_and_b32_e32 v16, v16, v15
	v_lshlrev_b32_e32 v15, 28, v19
	v_cmp_gt_i64_e64 s[30:31], 0, v[14:15]
	v_not_b32_e32 v15, v15
	v_ashrrev_i32_e32 v15, 31, v15
	v_and_b32_e32 v17, v17, v242
	;; [unrolled: 8-line block ×5, first 2 shown]
	v_xor_b32_e32 v242, s31, v15
	v_xor_b32_e32 v15, s30, v15
	v_and_b32_e32 v16, v16, v15
	v_lshlrev_b32_e32 v15, 24, v19
	v_cmp_gt_i64_e64 s[30:31], 0, v[14:15]
	v_not_b32_e32 v15, v15
	v_ashrrev_i32_e32 v15, 31, v15
	v_xor_b32_e32 v19, s31, v15
	v_xor_b32_e32 v15, s30, v15
	v_and_b32_e32 v17, v17, v242
	v_and_b32_e32 v16, v16, v15
	;; [unrolled: 1-line block ×3, first 2 shown]
	v_mbcnt_lo_u32_b32 v15, v16, 0
	v_mbcnt_hi_u32_b32 v88, v17, v15
	v_cmp_eq_u32_e64 s[30:31], 0, v88
	v_cmp_ne_u64_e64 s[36:37], 0, v[16:17]
	s_and_b64 s[36:37], s[36:37], s[30:31]
	; wave barrier
	s_and_saveexec_b64 s[30:31], s[36:37]
	s_cbranch_execz .LBB706_81
; %bb.80:                               ;   in Loop: Header=BB706_53 Depth=1
	v_bcnt_u32_b32 v15, v16, 0
	v_bcnt_u32_b32 v15, v17, v15
	s_waitcnt vmcnt(0) lgkmcnt(0)
	v_add_u32_e32 v15, v79, v15
	flat_store_dword v[240:241], v15
.LBB706_81:                             ;   in Loop: Header=BB706_53 Depth=1
	s_or_b64 exec, exec, s[30:31]
	v_lshrrev_b64 v[16:17], v10, v[128:129]
	v_and_b32_e32 v19, v16, v18
	v_lshl_add_u32 v16, v19, 2, v143
	v_mov_b32_e32 v17, v14
	v_lshlrev_b64 v[16:17], 2, v[16:17]
	v_add_co_u32_e64 v242, s[30:31], v1, v16
	v_addc_co_u32_e64 v243, s[30:31], v23, v17, s[30:31]
	; wave barrier
	flat_load_dword v89, v[242:243]
	v_and_b32_e32 v15, 1, v19
	v_add_co_u32_e64 v16, s[30:31], -1, v15
	v_addc_co_u32_e64 v17, s[30:31], 0, -1, s[30:31]
	v_cmp_ne_u32_e64 s[30:31], 0, v15
	v_xor_b32_e32 v15, s31, v17
	v_and_b32_e32 v17, exec_hi, v15
	v_lshlrev_b32_e32 v15, 30, v19
	v_xor_b32_e32 v16, s30, v16
	v_cmp_gt_i64_e64 s[30:31], 0, v[14:15]
	v_not_b32_e32 v15, v15
	v_ashrrev_i32_e32 v15, 31, v15
	v_and_b32_e32 v16, exec_lo, v16
	v_xor_b32_e32 v244, s31, v15
	v_xor_b32_e32 v15, s30, v15
	v_and_b32_e32 v16, v16, v15
	v_lshlrev_b32_e32 v15, 29, v19
	v_cmp_gt_i64_e64 s[30:31], 0, v[14:15]
	v_not_b32_e32 v15, v15
	v_ashrrev_i32_e32 v15, 31, v15
	v_and_b32_e32 v17, v17, v244
	v_xor_b32_e32 v244, s31, v15
	v_xor_b32_e32 v15, s30, v15
	v_and_b32_e32 v16, v16, v15
	v_lshlrev_b32_e32 v15, 28, v19
	v_cmp_gt_i64_e64 s[30:31], 0, v[14:15]
	v_not_b32_e32 v15, v15
	v_ashrrev_i32_e32 v15, 31, v15
	v_and_b32_e32 v17, v17, v244
	;; [unrolled: 8-line block ×5, first 2 shown]
	v_xor_b32_e32 v244, s31, v15
	v_xor_b32_e32 v15, s30, v15
	v_and_b32_e32 v16, v16, v15
	v_lshlrev_b32_e32 v15, 24, v19
	v_cmp_gt_i64_e64 s[30:31], 0, v[14:15]
	v_not_b32_e32 v15, v15
	v_ashrrev_i32_e32 v15, 31, v15
	v_xor_b32_e32 v19, s31, v15
	v_xor_b32_e32 v15, s30, v15
	v_and_b32_e32 v17, v17, v244
	v_and_b32_e32 v16, v16, v15
	;; [unrolled: 1-line block ×3, first 2 shown]
	v_mbcnt_lo_u32_b32 v15, v16, 0
	v_mbcnt_hi_u32_b32 v90, v17, v15
	v_cmp_eq_u32_e64 s[30:31], 0, v90
	v_cmp_ne_u64_e64 s[36:37], 0, v[16:17]
	s_and_b64 s[36:37], s[36:37], s[30:31]
	; wave barrier
	s_and_saveexec_b64 s[30:31], s[36:37]
	s_cbranch_execz .LBB706_83
; %bb.82:                               ;   in Loop: Header=BB706_53 Depth=1
	v_bcnt_u32_b32 v15, v16, 0
	v_bcnt_u32_b32 v15, v17, v15
	s_waitcnt vmcnt(0) lgkmcnt(0)
	v_add_u32_e32 v15, v89, v15
	flat_store_dword v[242:243], v15
.LBB706_83:                             ;   in Loop: Header=BB706_53 Depth=1
	s_or_b64 exec, exec, s[30:31]
	v_lshrrev_b64 v[16:17], v10, v[118:119]
	v_and_b32_e32 v18, v16, v18
	v_lshl_add_u32 v16, v18, 2, v143
	v_mov_b32_e32 v17, v14
	v_lshlrev_b64 v[16:17], 2, v[16:17]
	v_add_co_u32_e64 v244, s[30:31], v1, v16
	v_addc_co_u32_e64 v245, s[30:31], v23, v17, s[30:31]
	; wave barrier
	flat_load_dword v91, v[244:245]
	v_and_b32_e32 v15, 1, v18
	v_add_co_u32_e64 v16, s[30:31], -1, v15
	v_addc_co_u32_e64 v17, s[30:31], 0, -1, s[30:31]
	v_cmp_ne_u32_e64 s[30:31], 0, v15
	v_xor_b32_e32 v15, s31, v17
	v_and_b32_e32 v17, exec_hi, v15
	v_lshlrev_b32_e32 v15, 30, v18
	v_xor_b32_e32 v16, s30, v16
	v_cmp_gt_i64_e64 s[30:31], 0, v[14:15]
	v_not_b32_e32 v15, v15
	v_ashrrev_i32_e32 v15, 31, v15
	v_and_b32_e32 v16, exec_lo, v16
	v_xor_b32_e32 v19, s31, v15
	v_xor_b32_e32 v15, s30, v15
	v_and_b32_e32 v16, v16, v15
	v_lshlrev_b32_e32 v15, 29, v18
	v_cmp_gt_i64_e64 s[30:31], 0, v[14:15]
	v_not_b32_e32 v15, v15
	v_ashrrev_i32_e32 v15, 31, v15
	v_and_b32_e32 v17, v17, v19
	v_xor_b32_e32 v19, s31, v15
	v_xor_b32_e32 v15, s30, v15
	v_and_b32_e32 v16, v16, v15
	v_lshlrev_b32_e32 v15, 28, v18
	v_cmp_gt_i64_e64 s[30:31], 0, v[14:15]
	v_not_b32_e32 v15, v15
	v_ashrrev_i32_e32 v15, 31, v15
	v_and_b32_e32 v17, v17, v19
	;; [unrolled: 8-line block ×5, first 2 shown]
	v_xor_b32_e32 v19, s31, v15
	v_xor_b32_e32 v15, s30, v15
	v_and_b32_e32 v16, v16, v15
	v_lshlrev_b32_e32 v15, 24, v18
	v_cmp_gt_i64_e64 s[30:31], 0, v[14:15]
	v_not_b32_e32 v15, v15
	v_ashrrev_i32_e32 v15, 31, v15
	v_xor_b32_e32 v18, s31, v15
	v_xor_b32_e32 v15, s30, v15
	v_and_b32_e32 v17, v17, v19
	v_and_b32_e32 v16, v16, v15
	;; [unrolled: 1-line block ×3, first 2 shown]
	v_mbcnt_lo_u32_b32 v15, v16, 0
	v_mbcnt_hi_u32_b32 v15, v17, v15
	v_cmp_eq_u32_e64 s[30:31], 0, v15
	v_cmp_ne_u64_e64 s[36:37], 0, v[16:17]
	s_and_b64 s[36:37], s[36:37], s[30:31]
	; wave barrier
	s_and_saveexec_b64 s[30:31], s[36:37]
	s_cbranch_execz .LBB706_85
; %bb.84:                               ;   in Loop: Header=BB706_53 Depth=1
	v_bcnt_u32_b32 v16, v16, 0
	v_bcnt_u32_b32 v16, v17, v16
	s_waitcnt vmcnt(0) lgkmcnt(0)
	v_add_u32_e32 v16, v91, v16
	flat_store_dword v[244:245], v16
.LBB706_85:                             ;   in Loop: Header=BB706_53 Depth=1
	s_or_b64 exec, exec, s[30:31]
	; wave barrier
	s_waitcnt lgkmcnt(0)
	s_barrier
	flat_load_dwordx4 v[16:19], v[4:5] offset:16
	s_waitcnt vmcnt(0) lgkmcnt(0)
	v_add_u32_e32 v92, v17, v16
	v_add3_u32 v19, v92, v18, v19
	s_nop 1
	v_mov_b32_dpp v92, v19 row_shr:1 row_mask:0xf bank_mask:0xf
	v_cndmask_b32_e64 v92, v92, 0, vcc
	v_add_u32_e32 v19, v92, v19
	s_nop 1
	v_mov_b32_dpp v92, v19 row_shr:2 row_mask:0xf bank_mask:0xf
	v_cndmask_b32_e64 v92, 0, v92, s[4:5]
	v_add_u32_e32 v19, v19, v92
	s_nop 1
	v_mov_b32_dpp v92, v19 row_shr:4 row_mask:0xf bank_mask:0xf
	v_cndmask_b32_e64 v92, 0, v92, s[6:7]
	v_add_u32_e32 v19, v19, v92
	s_nop 1
	v_mov_b32_dpp v92, v19 row_shr:8 row_mask:0xf bank_mask:0xf
	v_cndmask_b32_e64 v92, 0, v92, s[10:11]
	v_add_u32_e32 v19, v19, v92
	s_nop 1
	v_mov_b32_dpp v92, v19 row_bcast:15 row_mask:0xf bank_mask:0xf
	v_cndmask_b32_e64 v92, v92, 0, s[34:35]
	v_add_u32_e32 v19, v19, v92
	s_nop 1
	v_mov_b32_dpp v92, v19 row_bcast:31 row_mask:0xf bank_mask:0xf
	v_cndmask_b32_e64 v92, 0, v92, s[14:15]
	v_add_u32_e32 v19, v19, v92
	s_and_saveexec_b64 s[30:31], s[16:17]
	s_cbranch_execz .LBB706_87
; %bb.86:                               ;   in Loop: Header=BB706_53 Depth=1
	flat_store_dword v[70:71], v19
.LBB706_87:                             ;   in Loop: Header=BB706_53 Depth=1
	s_or_b64 exec, exec, s[30:31]
	s_waitcnt lgkmcnt(0)
	s_barrier
	s_and_saveexec_b64 s[30:31], s[18:19]
	s_cbranch_execz .LBB706_89
; %bb.88:                               ;   in Loop: Header=BB706_53 Depth=1
	flat_load_dword v92, v[80:81]
	s_waitcnt vmcnt(0) lgkmcnt(0)
	s_nop 0
	v_mov_b32_dpp v93, v92 row_shr:1 row_mask:0xf bank_mask:0xf
	v_cndmask_b32_e64 v93, v93, 0, s[26:27]
	v_add_u32_e32 v92, v93, v92
	s_nop 1
	v_mov_b32_dpp v93, v92 row_shr:2 row_mask:0xf bank_mask:0xf
	v_cndmask_b32_e64 v93, 0, v93, s[28:29]
	v_add_u32_e32 v92, v92, v93
	flat_store_dword v[80:81], v92
.LBB706_89:                             ;   in Loop: Header=BB706_53 Depth=1
	s_or_b64 exec, exec, s[30:31]
	v_mov_b32_e32 v92, 0
	s_waitcnt lgkmcnt(0)
	s_barrier
	s_and_saveexec_b64 s[30:31], s[20:21]
	s_cbranch_execz .LBB706_91
; %bb.90:                               ;   in Loop: Header=BB706_53 Depth=1
	flat_load_dword v92, v[82:83]
.LBB706_91:                             ;   in Loop: Header=BB706_53 Depth=1
	s_or_b64 exec, exec, s[30:31]
	s_waitcnt vmcnt(0) lgkmcnt(0)
	v_add_u32_e32 v19, v92, v19
	ds_bpermute_b32 v19, v152, v19
	v_add_u32_e32 v10, 8, v10
	v_cmp_lt_u32_e64 s[30:31], v10, v11
	s_mov_b64 s[40:41], -1
                                        ; implicit-def: $agpr0_agpr1
                                        ; implicit-def: $agpr2_agpr3
                                        ; implicit-def: $vgpr106_vgpr107
                                        ; implicit-def: $vgpr110_vgpr111
                                        ; implicit-def: $vgpr122_vgpr123
                                        ; implicit-def: $vgpr126_vgpr127
                                        ; implicit-def: $vgpr136_vgpr137
                                        ; implicit-def: $vgpr138_vgpr139
                                        ; implicit-def: $vgpr140_vgpr141
	s_waitcnt lgkmcnt(0)
	v_cndmask_b32_e64 v19, v19, v92, s[22:23]
	v_cndmask_b32_e64 v92, v19, 0, s[24:25]
	v_add_u32_e32 v93, v92, v16
	v_add_u32_e32 v94, v93, v17
	;; [unrolled: 1-line block ×3, first 2 shown]
	flat_store_dwordx4 v[4:5], v[92:95] offset:16
	s_waitcnt lgkmcnt(0)
	s_barrier
	flat_load_dword v16, v[182:183]
	flat_load_dword v18, v[192:193]
	s_nop 0
	flat_load_dword v182, v[194:195]
	flat_load_dword v192, v[196:197]
	s_nop 0
	;; [unrolled: 3-line block ×4, first 2 shown]
	flat_load_dword v210, v[214:215]
	flat_load_dword v211, v[224:225]
	;; [unrolled: 1-line block ×3, first 2 shown]
	s_nop 0
	flat_load_dword v215, v[228:229]
	flat_load_dword v225, v[230:231]
	;; [unrolled: 1-line block ×3, first 2 shown]
	s_nop 0
	flat_load_dword v229, v[242:243]
	flat_load_dword v231, v[244:245]
	v_mov_b32_e32 v17, v14
	v_mov_b32_e32 v19, v14
	;; [unrolled: 1-line block ×9, first 2 shown]
	s_waitcnt lgkmcnt(0)
                                        ; implicit-def: $vgpr242_vgpr243
                                        ; implicit-def: $vgpr94_vgpr95
	s_waitcnt vmcnt(0) lgkmcnt(0)
	v_add_u32_e32 v16, v16, v246
	v_lshlrev_b64 v[16:17], 3, v[16:17]
	v_add3_u32 v18, v40, v247, v18
	v_add_co_u32_e64 v244, s[36:37], v12, v16
	v_lshlrev_b64 v[18:19], 3, v[18:19]
	v_addc_co_u32_e64 v245, s[36:37], v13, v17, s[36:37]
	v_add3_u32 v182, v42, v41, v182
	v_add_co_u32_e64 v246, s[36:37], v12, v18
	v_lshlrev_b64 v[182:183], 3, v[182:183]
	v_addc_co_u32_e64 v247, s[36:37], v13, v19, s[36:37]
	;; [unrolled: 4-line block ×7, first 2 shown]
	v_add3_u32 v210, v62, v61, v210
	v_add3_u32 v212, v72, v63, v211
	v_add_co_u32_e64 v60, s[36:37], v12, v208
	v_mov_b32_e32 v211, v14
	v_addc_co_u32_e64 v61, s[36:37], v13, v209, s[36:37]
	v_lshlrev_b64 v[16:17], 3, v[210:211]
	v_add3_u32 v214, v74, v73, v213
	v_add_co_u32_e64 v72, s[36:37], v12, v16
	v_mov_b32_e32 v213, v14
	v_addc_co_u32_e64 v73, s[36:37], v13, v17, s[36:37]
	v_lshlrev_b64 v[16:17], 3, v[212:213]
	v_add3_u32 v224, v76, v75, v215
	v_add_co_u32_e64 v76, s[36:37], v12, v16
	v_mov_b32_e32 v215, v14
	v_add3_u32 v226, v78, v77, v225
	v_addc_co_u32_e64 v77, s[36:37], v13, v17, s[36:37]
	v_lshlrev_b64 v[16:17], 3, v[214:215]
	v_add3_u32 v228, v88, v79, v227
	v_add_co_u32_e64 v88, s[36:37], v12, v16
	v_mov_b32_e32 v225, v14
	v_add3_u32 v230, v90, v89, v229
	v_addc_co_u32_e64 v89, s[36:37], v13, v17, s[36:37]
	v_lshlrev_b64 v[16:17], 3, v[224:225]
	v_add_co_u32_e64 v92, s[36:37], v12, v16
	v_mov_b32_e32 v227, v14
	v_addc_co_u32_e64 v93, s[36:37], v13, v17, s[36:37]
	v_lshlrev_b64 v[16:17], 3, v[226:227]
	v_add_co_u32_e64 v104, s[36:37], v12, v16
	v_mov_b32_e32 v229, v14
	v_addc_co_u32_e64 v105, s[36:37], v13, v17, s[36:37]
	v_lshlrev_b64 v[16:17], 3, v[228:229]
	v_add3_u32 v240, v15, v91, v231
	v_add_co_u32_e64 v108, s[36:37], v12, v16
	v_mov_b32_e32 v231, v14
	v_addc_co_u32_e64 v109, s[36:37], v13, v17, s[36:37]
	v_lshlrev_b64 v[16:17], 3, v[230:231]
	v_add_co_u32_e64 v120, s[36:37], v12, v16
	v_addc_co_u32_e64 v121, s[36:37], v13, v17, s[36:37]
	v_lshlrev_b64 v[16:17], 3, v[240:241]
	v_add_co_u32_e64 v124, s[36:37], v12, v16
	v_addc_co_u32_e64 v125, s[36:37], v13, v17, s[36:37]
                                        ; implicit-def: $vgpr16_vgpr17
                                        ; implicit-def: $vgpr18_vgpr19
                                        ; implicit-def: $vgpr182_vgpr183
                                        ; implicit-def: $vgpr192_vgpr193
                                        ; implicit-def: $vgpr194_vgpr195
                                        ; implicit-def: $vgpr196_vgpr197
                                        ; implicit-def: $vgpr198_vgpr199
                                        ; implicit-def: $vgpr208_vgpr209
                                        ; implicit-def: $vgpr210_vgpr211
                                        ; implicit-def: $vgpr212_vgpr213
                                        ; implicit-def: $vgpr214_vgpr215
                                        ; implicit-def: $vgpr224_vgpr225
                                        ; implicit-def: $vgpr226_vgpr227
                                        ; implicit-def: $vgpr230_vgpr231
                                        ; implicit-def: $vgpr228_vgpr229
                                        ; implicit-def: $vgpr240_vgpr241
                                        ; implicit-def: $vgpr46_vgpr47
                                        ; implicit-def: $vgpr62_vgpr63
                                        ; implicit-def: $vgpr74_vgpr75
                                        ; implicit-def: $vgpr78_vgpr79
                                        ; implicit-def: $vgpr90_vgpr91
	s_and_saveexec_b64 s[36:37], s[30:31]
	s_cbranch_execz .LBB706_52
; %bb.92:                               ;   in Loop: Header=BB706_53 Depth=1
	s_barrier
	flat_store_dwordx2 v[244:245], v[180:181]
	flat_store_dwordx2 v[246:247], v[178:179]
	;; [unrolled: 1-line block ×16, first 2 shown]
	s_waitcnt lgkmcnt(0)
	s_barrier
	flat_load_dwordx2 v[228:229], v[84:85]
	flat_load_dwordx2 v[240:241], v[84:85] offset:512
	flat_load_dwordx2 v[242:243], v[84:85] offset:1024
	;; [unrolled: 1-line block ×7, first 2 shown]
	flat_load_dwordx2 v[94:95], v[86:87]
	flat_load_dwordx2 v[106:107], v[96:97]
	flat_load_dwordx2 v[110:111], v[98:99]
	flat_load_dwordx2 v[122:123], v[100:101]
	flat_load_dwordx2 v[126:127], v[102:103]
	flat_load_dwordx2 v[136:137], v[112:113]
	flat_load_dwordx2 v[138:139], v[114:115]
	flat_load_dwordx2 v[140:141], v[116:117]
	s_waitcnt lgkmcnt(0)
	s_barrier
	flat_store_dwordx2 v[244:245], v[68:69]
	flat_store_dwordx2 v[246:247], v[66:67]
	;; [unrolled: 1-line block ×16, first 2 shown]
	s_waitcnt lgkmcnt(0)
	s_barrier
	flat_load_dwordx2 v[16:17], v[84:85]
	flat_load_dwordx2 v[18:19], v[84:85] offset:512
	flat_load_dwordx2 v[182:183], v[84:85] offset:1024
	;; [unrolled: 1-line block ×7, first 2 shown]
	flat_load_dwordx2 v[210:211], v[86:87]
	flat_load_dwordx2 v[212:213], v[96:97]
	;; [unrolled: 1-line block ×8, first 2 shown]
	v_add_u32_e32 v153, -8, v153
	s_xor_b64 s[40:41], exec, -1
	s_waitcnt lgkmcnt(0)
	s_barrier
	s_branch .LBB706_52
.LBB706_93:
	s_or_b64 exec, exec, s[38:39]
	v_lshlrev_b32_e32 v1, 3, v22
	v_add_co_u32_e32 v4, vcc, v12, v1
	v_addc_co_u32_e32 v5, vcc, 0, v13, vcc
	s_movk_i32 s4, 0x1000
	s_barrier
	flat_store_dwordx2 v[244:245], v[180:181]
	flat_store_dwordx2 v[246:247], v[178:179]
	;; [unrolled: 1-line block ×16, first 2 shown]
	v_add_co_u32_e32 v134, vcc, s4, v4
	v_lshlrev_b32_e32 v1, 3, v22
	v_addc_co_u32_e32 v135, vcc, 0, v5, vcc
	v_or_b32_e32 v10, 0x2000, v1
	v_add_co_u32_e32 v144, vcc, v12, v10
	s_movk_i32 s4, 0x2000
	v_addc_co_u32_e32 v145, vcc, 0, v13, vcc
	v_add_co_u32_e32 v146, vcc, s4, v4
	v_addc_co_u32_e32 v147, vcc, 0, v5, vcc
	s_movk_i32 s4, 0x3000
	v_add_co_u32_e32 v148, vcc, s4, v4
	v_addc_co_u32_e32 v149, vcc, 0, v5, vcc
	v_or_b32_e32 v10, 0x4000, v1
	v_add_co_u32_e32 v150, vcc, v12, v10
	s_movk_i32 s4, 0x4000
	v_addc_co_u32_e32 v151, vcc, 0, v13, vcc
	v_add_co_u32_e32 v160, vcc, s4, v4
	v_addc_co_u32_e32 v161, vcc, 0, v5, vcc
	s_movk_i32 s4, 0x5000
	v_add_co_u32_e32 v162, vcc, s4, v4
	;; [unrolled: 9-line block ×3, first 2 shown]
	s_waitcnt lgkmcnt(0)
	s_barrier
	flat_load_dwordx2 v[132:133], v[4:5]
	flat_load_dwordx2 v[130:131], v[4:5] offset:2048
	flat_load_dwordx2 v[128:129], v[134:135]
	flat_load_dwordx2 v[118:119], v[134:135] offset:2048
	;; [unrolled: 2-line block ×6, first 2 shown]
	v_addc_co_u32_e32 v177, vcc, 0, v5, vcc
	flat_load_dwordx2 v[84:85], v[164:165]
	flat_load_dwordx2 v[82:83], v[166:167] offset:2048
	flat_load_dwordx2 v[80:81], v[176:177]
	flat_load_dwordx2 v[70:71], v[176:177] offset:2048
	s_waitcnt lgkmcnt(0)
	s_barrier
	flat_store_dwordx2 v[244:245], v[68:69]
	flat_store_dwordx2 v[246:247], v[66:67]
	flat_store_dwordx2 v[40:41], v[64:65]
	flat_store_dwordx2 v[42:43], v[54:55]
	flat_store_dwordx2 v[44:45], v[52:53]
	flat_store_dwordx2 v[56:57], v[50:51]
	flat_store_dwordx2 v[58:59], v[48:49]
	flat_store_dwordx2 v[60:61], v[38:39]
	flat_store_dwordx2 v[72:73], v[36:37]
	flat_store_dwordx2 v[76:77], v[34:35]
	flat_store_dwordx2 v[88:89], v[32:33]
	flat_store_dwordx2 v[92:93], v[30:31]
	flat_store_dwordx2 v[104:105], v[28:29]
	flat_store_dwordx2 v[108:109], v[26:27]
	flat_store_dwordx2 v[120:121], v[24:25]
	flat_store_dwordx2 v[124:125], v[8:9]
	s_waitcnt lgkmcnt(0)
	s_barrier
	flat_load_dwordx2 v[38:39], v[4:5]
	flat_load_dwordx2 v[36:37], v[4:5] offset:2048
	flat_load_dwordx2 v[34:35], v[134:135]
	flat_load_dwordx2 v[32:33], v[134:135] offset:2048
	;; [unrolled: 2-line block ×4, first 2 shown]
	flat_load_dwordx2 v[22:23], v[150:151]
	s_waitcnt vmcnt(0)
	flat_load_dwordx2 v[18:19], v[160:161] offset:2048
	flat_load_dwordx2 v[16:17], v[162:163]
	flat_load_dwordx2 v[14:15], v[162:163] offset:2048
	flat_load_dwordx2 v[12:13], v[164:165]
	;; [unrolled: 2-line block ×3, first 2 shown]
                                        ; kill: killed $vgpr144 killed $vgpr145
                                        ; kill: killed $vgpr150 killed $vgpr151
                                        ; kill: killed $vgpr164 killed $vgpr165
                                        ; kill: killed $vgpr148 killed $vgpr149
                                        ; kill: killed $vgpr146 killed $vgpr147
                                        ; kill: killed $vgpr162 killed $vgpr163
                                        ; kill: killed $vgpr4 killed $vgpr5
                                        ; kill: killed $vgpr160 killed $vgpr161
                                        ; kill: killed $vgpr166 killed $vgpr167
                                        ; kill: killed $vgpr134 killed $vgpr135
	flat_load_dwordx2 v[4:5], v[176:177] offset:2048
	v_mov_b32_e32 v1, 0
	v_add_co_u32_e32 v48, vcc, v2, v20
	v_addc_co_u32_e32 v49, vcc, v3, v21, vcc
	v_lshlrev_b64 v[2:3], 3, v[0:1]
	v_add_co_u32_e32 v48, vcc, v48, v2
	v_addc_co_u32_e32 v49, vcc, v49, v3, vcc
	v_cmp_lt_u32_e64 s[4:5], v0, v142
	s_waitcnt lgkmcnt(0)
	s_barrier
	s_and_saveexec_b64 s[6:7], s[4:5]
	s_cbranch_execz .LBB706_95
; %bb.94:
	v_xor_b32_e32 v51, 0x7fffffff, v133
	v_not_b32_e32 v50, v132
	flat_store_dwordx2 v[48:49], v[50:51]
.LBB706_95:
	s_or_b64 exec, exec, s[6:7]
	v_add_u32_e32 v1, 0x100, v0
	v_cmp_lt_u32_e64 s[6:7], v1, v142
	s_and_saveexec_b64 s[10:11], s[6:7]
	s_cbranch_execz .LBB706_97
; %bb.96:
	v_xor_b32_e32 v51, 0x7fffffff, v131
	v_not_b32_e32 v50, v130
	flat_store_dwordx2 v[48:49], v[50:51] offset:2048
.LBB706_97:
	s_or_b64 exec, exec, s[10:11]
	v_add_u32_e32 v1, 0x200, v0
	v_cmp_lt_u32_e64 s[10:11], v1, v142
	s_and_saveexec_b64 s[14:15], s[10:11]
	s_cbranch_execz .LBB706_99
; %bb.98:
	v_add_co_u32_e32 v52, vcc, 0x1000, v48
	v_xor_b32_e32 v51, 0x7fffffff, v129
	v_not_b32_e32 v50, v128
	v_addc_co_u32_e32 v53, vcc, 0, v49, vcc
	flat_store_dwordx2 v[52:53], v[50:51]
.LBB706_99:
	s_or_b64 exec, exec, s[14:15]
	v_add_u32_e32 v1, 0x300, v0
	v_cmp_lt_u32_e64 s[40:41], v1, v142
	s_and_saveexec_b64 s[14:15], s[40:41]
	s_cbranch_execz .LBB706_101
; %bb.100:
	v_add_co_u32_e32 v52, vcc, 0x1000, v48
	v_xor_b32_e32 v51, 0x7fffffff, v119
	v_not_b32_e32 v50, v118
	v_addc_co_u32_e32 v53, vcc, 0, v49, vcc
	flat_store_dwordx2 v[52:53], v[50:51] offset:2048
.LBB706_101:
	s_or_b64 exec, exec, s[14:15]
	v_add_u32_e32 v1, 0x400, v0
	v_cmp_lt_u32_e64 s[14:15], v1, v142
	s_and_saveexec_b64 s[16:17], s[14:15]
	s_cbranch_execz .LBB706_103
; %bb.102:
	v_add_co_u32_e32 v52, vcc, 0x2000, v48
	v_xor_b32_e32 v51, 0x7fffffff, v117
	v_not_b32_e32 v50, v116
	v_addc_co_u32_e32 v53, vcc, 0, v49, vcc
	flat_store_dwordx2 v[52:53], v[50:51]
.LBB706_103:
	s_or_b64 exec, exec, s[16:17]
	v_add_u32_e32 v1, 0x500, v0
	v_cmp_lt_u32_e64 s[16:17], v1, v142
	s_and_saveexec_b64 s[18:19], s[16:17]
	s_cbranch_execz .LBB706_105
; %bb.104:
	v_add_co_u32_e32 v52, vcc, 0x2000, v48
	v_xor_b32_e32 v51, 0x7fffffff, v115
	v_not_b32_e32 v50, v114
	v_addc_co_u32_e32 v53, vcc, 0, v49, vcc
	flat_store_dwordx2 v[52:53], v[50:51] offset:2048
.LBB706_105:
	;; [unrolled: 24-line block ×7, first 2 shown]
	s_or_b64 exec, exec, s[46:47]
	v_add_co_u32_e32 v0, vcc, v6, v20
	v_addc_co_u32_e32 v1, vcc, v7, v21, vcc
	v_add_co_u32_e32 v0, vcc, v0, v2
	v_addc_co_u32_e32 v1, vcc, v1, v3, vcc
	s_and_saveexec_b64 vcc, s[4:5]
	s_cbranch_execnz .LBB706_211
; %bb.126:
	s_or_b64 exec, exec, vcc
	s_and_saveexec_b64 s[4:5], s[6:7]
	s_cbranch_execnz .LBB706_212
.LBB706_127:
	s_or_b64 exec, exec, s[4:5]
	s_and_saveexec_b64 s[4:5], s[10:11]
	s_cbranch_execnz .LBB706_213
.LBB706_128:
	s_or_b64 exec, exec, s[4:5]
	s_and_saveexec_b64 s[4:5], s[40:41]
	s_cbranch_execnz .LBB706_214
.LBB706_129:
	s_or_b64 exec, exec, s[4:5]
	s_and_saveexec_b64 s[4:5], s[14:15]
	s_cbranch_execnz .LBB706_215
.LBB706_130:
	s_or_b64 exec, exec, s[4:5]
	s_and_saveexec_b64 s[4:5], s[16:17]
	s_cbranch_execnz .LBB706_216
.LBB706_131:
	s_or_b64 exec, exec, s[4:5]
	s_and_saveexec_b64 s[4:5], s[18:19]
	s_cbranch_execnz .LBB706_217
.LBB706_132:
	s_or_b64 exec, exec, s[4:5]
	s_and_saveexec_b64 s[4:5], s[20:21]
	s_cbranch_execnz .LBB706_218
.LBB706_133:
	s_or_b64 exec, exec, s[4:5]
	s_and_saveexec_b64 s[4:5], s[22:23]
	s_cbranch_execnz .LBB706_219
.LBB706_134:
	s_or_b64 exec, exec, s[4:5]
	s_and_saveexec_b64 s[4:5], s[24:25]
	s_cbranch_execnz .LBB706_220
.LBB706_135:
	s_or_b64 exec, exec, s[4:5]
	s_and_saveexec_b64 s[4:5], s[26:27]
	s_cbranch_execnz .LBB706_221
.LBB706_136:
	s_or_b64 exec, exec, s[4:5]
	s_and_saveexec_b64 s[4:5], s[28:29]
	s_cbranch_execnz .LBB706_222
.LBB706_137:
	s_or_b64 exec, exec, s[4:5]
	s_and_saveexec_b64 s[4:5], s[30:31]
	s_cbranch_execnz .LBB706_223
.LBB706_138:
	s_or_b64 exec, exec, s[4:5]
	s_and_saveexec_b64 s[4:5], s[34:35]
	s_cbranch_execnz .LBB706_224
.LBB706_139:
	s_or_b64 exec, exec, s[4:5]
	s_and_saveexec_b64 s[4:5], s[36:37]
	s_cbranch_execnz .LBB706_225
.LBB706_140:
	s_or_b64 exec, exec, s[4:5]
	s_and_saveexec_b64 s[4:5], s[38:39]
	s_cbranch_execz .LBB706_142
.LBB706_141:
	v_add_co_u32_e32 v0, vcc, 0x7000, v0
	v_addc_co_u32_e32 v1, vcc, 0, v1, vcc
	s_waitcnt vmcnt(0)
	flat_store_dwordx2 v[0:1], v[4:5] offset:2048
.LBB706_142:
	s_or_b64 exec, exec, s[4:5]
                                        ; implicit-def: $vgpr142
                                        ; implicit-def: $vgpr0
                                        ; implicit-def: $vgpr1
                                        ; implicit-def: $vgpr2
                                        ; implicit-def: $vgpr3
                                        ; implicit-def: $vgpr4
                                        ; implicit-def: $vgpr5
                                        ; implicit-def: $vgpr6
                                        ; implicit-def: $vgpr7
                                        ; implicit-def: $vgpr8
                                        ; implicit-def: $vgpr10
                                        ; implicit-def: $vgpr11
                                        ; implicit-def: $vgpr12
                                        ; implicit-def: $vgpr13
                                        ; implicit-def: $vgpr31
                                        ; implicit-def: $vgpr14
                                        ; implicit-def: $vgpr16
                                        ; implicit-def: $vgpr15
.LBB706_143:
	s_andn2_saveexec_b64 s[4:5], s[44:45]
	s_cbranch_execz .LBB706_372
; %bb.144:
	s_movk_i32 s4, 0x400
	v_cmp_lt_u32_e32 vcc, s4, v142
	s_and_saveexec_b64 s[4:5], vcc
	s_xor_b64 s[38:39], exec, s[4:5]
	s_cbranch_execz .LBB706_252
; %bb.145:
	s_load_dwordx2 s[4:5], s[8:9], 0x0
	s_waitcnt vmcnt(0)
	v_mov_b32_e32 v9, 0
	v_mbcnt_hi_u32_b32 v37, -1, v15
	v_lshlrev_b64 v[20:21], 3, v[8:9]
	v_and_b32_e32 v36, 63, v37
	s_waitcnt lgkmcnt(0)
	s_cmp_lt_u32 s12, s4
	s_cselect_b32 s6, 12, 18
	s_cmp_lt_u32 s13, s5
	s_cselect_b32 s4, 14, 20
	s_add_u32 s4, s8, s4
	s_addc_u32 s5, s9, 0
	s_add_u32 s6, s8, s6
	global_load_ushort v17, v9, s[4:5]
	s_addc_u32 s7, s9, 0
	global_load_ushort v18, v9, s[6:7]
	v_add_co_u32_e32 v0, vcc, v0, v20
	v_addc_co_u32_e32 v1, vcc, v1, v21, vcc
	v_lshlrev_b32_e32 v23, 3, v36
	v_and_b32_e32 v22, 0x3ff, v31
	v_add_co_u32_e32 v15, vcc, v0, v23
	v_addc_co_u32_e32 v19, vcc, 0, v1, vcc
	s_mov_b32 s6, 0
	s_brev_b32 s7, 1
	s_waitcnt vmcnt(1)
	v_mad_u32_u24 v0, v16, v17, v14
	s_waitcnt vmcnt(0)
	v_mad_u64_u32 v[0:1], s[4:5], v0, v18, v[22:23]
	v_lshlrev_b32_e32 v1, 3, v0
	v_and_b32_e32 v8, 0xfffffe00, v1
	v_lshlrev_b64 v[16:17], 3, v[8:9]
	v_add_co_u32_e32 v18, vcc, v15, v16
	v_or_b32_e32 v1, v8, v36
	v_addc_co_u32_e32 v19, vcc, v19, v17, vcc
	v_cmp_lt_u32_e32 vcc, v1, v142
	v_pk_mov_b32 v[8:9], s[6:7], s[6:7] op_sel:[0,1]
	s_and_saveexec_b64 s[4:5], vcc
	s_cbranch_execz .LBB706_147
; %bb.146:
	flat_load_dwordx2 v[8:9], v[18:19]
.LBB706_147:
	s_or_b64 exec, exec, s[4:5]
	v_or_b32_e32 v14, 64, v1
	v_cmp_lt_u32_e64 s[4:5], v14, v142
	v_pk_mov_b32 v[14:15], s[6:7], s[6:7] op_sel:[0,1]
	s_and_saveexec_b64 s[6:7], s[4:5]
	s_cbranch_execz .LBB706_149
; %bb.148:
	flat_load_dwordx2 v[14:15], v[18:19] offset:512
.LBB706_149:
	s_or_b64 exec, exec, s[6:7]
	s_mov_b32 s14, 0
	v_or_b32_e32 v24, 0x80, v1
	s_brev_b32 s15, 1
	v_cmp_lt_u32_e64 s[6:7], v24, v142
	v_pk_mov_b32 v[24:25], s[14:15], s[14:15] op_sel:[0,1]
	s_and_saveexec_b64 s[10:11], s[6:7]
	s_cbranch_execz .LBB706_151
; %bb.150:
	flat_load_dwordx2 v[24:25], v[18:19] offset:1024
.LBB706_151:
	s_or_b64 exec, exec, s[10:11]
	v_or_b32_e32 v26, 0xc0, v1
	v_cmp_lt_u32_e64 s[10:11], v26, v142
	v_pk_mov_b32 v[26:27], s[14:15], s[14:15] op_sel:[0,1]
	s_and_saveexec_b64 s[14:15], s[10:11]
	s_cbranch_execz .LBB706_153
; %bb.152:
	flat_load_dwordx2 v[26:27], v[18:19] offset:1536
.LBB706_153:
	s_or_b64 exec, exec, s[14:15]
	s_mov_b32 s16, 0
	v_or_b32_e32 v28, 0x100, v1
	s_brev_b32 s17, 1
	v_cmp_lt_u32_e64 s[20:21], v28, v142
	v_pk_mov_b32 v[28:29], s[16:17], s[16:17] op_sel:[0,1]
	s_and_saveexec_b64 s[14:15], s[20:21]
	s_cbranch_execz .LBB706_155
; %bb.154:
	flat_load_dwordx2 v[28:29], v[18:19] offset:2048
.LBB706_155:
	;; [unrolled: 20-line block ×3, first 2 shown]
	s_or_b64 exec, exec, s[18:19]
	v_or_b32_e32 v1, 0x1c0, v1
	v_cmp_lt_u32_e64 s[18:19], v1, v142
	v_pk_mov_b32 v[34:35], s[22:23], s[22:23] op_sel:[0,1]
	s_and_saveexec_b64 s[22:23], s[18:19]
	s_cbranch_execz .LBB706_161
; %bb.160:
	flat_load_dwordx2 v[34:35], v[18:19] offset:3584
.LBB706_161:
	s_or_b64 exec, exec, s[22:23]
	v_add_co_u32_e64 v1, s[22:23], v4, v20
	v_addc_co_u32_e64 v4, s[22:23], v5, v21, s[22:23]
	v_add_co_u32_e64 v1, s[22:23], v1, v23
	v_addc_co_u32_e64 v5, s[22:23], 0, v4, s[22:23]
	;; [unrolled: 2-line block ×3, first 2 shown]
                                        ; implicit-def: $vgpr16_vgpr17
	s_and_saveexec_b64 s[22:23], vcc
	s_cbranch_execnz .LBB706_285
; %bb.162:
	s_or_b64 exec, exec, s[22:23]
                                        ; implicit-def: $vgpr18_vgpr19
	s_and_saveexec_b64 s[22:23], s[4:5]
	s_cbranch_execnz .LBB706_286
.LBB706_163:
	s_or_b64 exec, exec, s[22:23]
                                        ; implicit-def: $vgpr86_vgpr87
	s_and_saveexec_b64 s[4:5], s[6:7]
	s_cbranch_execnz .LBB706_287
.LBB706_164:
	s_or_b64 exec, exec, s[4:5]
                                        ; implicit-def: $vgpr96_vgpr97
	s_and_saveexec_b64 s[4:5], s[10:11]
	s_cbranch_execnz .LBB706_288
.LBB706_165:
	s_or_b64 exec, exec, s[4:5]
                                        ; implicit-def: $vgpr98_vgpr99
	s_and_saveexec_b64 s[4:5], s[20:21]
	s_cbranch_execnz .LBB706_289
.LBB706_166:
	s_or_b64 exec, exec, s[4:5]
                                        ; implicit-def: $vgpr100_vgpr101
	s_and_saveexec_b64 s[4:5], s[14:15]
	s_cbranch_execnz .LBB706_290
.LBB706_167:
	s_or_b64 exec, exec, s[4:5]
                                        ; implicit-def: $vgpr112_vgpr113
	s_and_saveexec_b64 s[4:5], s[16:17]
	s_cbranch_execnz .LBB706_291
.LBB706_168:
	s_or_b64 exec, exec, s[4:5]
                                        ; implicit-def: $vgpr118_vgpr119
	s_and_saveexec_b64 s[4:5], s[18:19]
	s_cbranch_execz .LBB706_170
.LBB706_169:
	flat_load_dwordx2 v[118:119], v[4:5] offset:3584
.LBB706_170:
	s_or_b64 exec, exec, s[4:5]
	s_waitcnt vmcnt(0) lgkmcnt(0)
	v_xor_b32_e32 v115, 0x7fffffff, v15
	v_add_co_u32_e32 v1, vcc, 16, v12
	v_and_b32_e32 v15, 0x3c0, v22
	v_addc_co_u32_e32 v23, vcc, 0, v13, vcc
	v_lshlrev_b32_e32 v4, 4, v22
	v_min_u32_e32 v15, 0xc0, v15
	v_add_co_u32_e32 v4, vcc, v12, v4
	v_or_b32_e32 v15, 63, v15
	v_xor_b32_e32 v103, 0x7fffffff, v9
	v_xor_b32_e32 v116, -1, v24
	s_getpc_b64 s[4:5]
	s_add_u32 s4, s4, _ZN7rocprim17ROCPRIM_400000_NS16block_radix_sortIlLj256ELj8ElLj1ELj1ELj8ELNS0_26block_radix_rank_algorithmE2ELNS0_18block_padding_hintE2ELNS0_4arch9wavefront6targetE1EE19radix_bits_per_passE@rel32@lo+4
	s_addc_u32 s5, s5, _ZN7rocprim17ROCPRIM_400000_NS16block_radix_sortIlLj256ELj8ElLj1ELj1ELj8ELNS0_26block_radix_rank_algorithmE2ELNS0_18block_padding_hintE2ELNS0_4arch9wavefront6targetE1EE19radix_bits_per_passE@rel32@hi+12
	v_addc_co_u32_e32 v5, vcc, 0, v13, vcc
	v_and_b32_e32 v9, 15, v37
	v_cmp_eq_u32_e64 s[16:17], v15, v22
	v_add_u32_e32 v15, -1, v37
	v_and_b32_e32 v24, 64, v37
	s_load_dword s46, s[4:5], 0x0
	v_cmp_eq_u32_e32 vcc, 0, v9
	v_cmp_lt_u32_e64 s[4:5], 1, v9
	v_cmp_lt_u32_e64 s[6:7], 3, v9
	;; [unrolled: 1-line block ×3, first 2 shown]
	v_and_b32_e32 v9, 16, v37
	v_cmp_lt_i32_e64 s[22:23], v15, v24
	v_cmp_eq_u32_e64 s[30:31], 0, v9
	v_lshrrev_b32_e32 v9, 6, v22
	v_cndmask_b32_e64 v15, v15, v37, s[22:23]
	v_lshlrev_b32_e32 v179, 2, v15
	v_lshlrev_b32_e32 v15, 2, v9
	v_add_co_u32_e64 v38, s[26:27], v12, v15
	v_xor_b32_e32 v102, -1, v8
	v_lshlrev_b32_e32 v8, 2, v22
	v_addc_co_u32_e64 v39, s[26:27], 0, v13, s[26:27]
	v_add_co_u32_e64 v48, s[26:27], v12, v8
	v_xor_b32_e32 v114, -1, v14
	v_mov_b32_e32 v14, 0
	v_addc_co_u32_e64 v49, s[26:27], 0, v13, s[26:27]
	v_and_b32_e32 v8, 3, v37
	v_cmp_eq_u32_e64 s[26:27], 0, v8
	v_cmp_lt_u32_e64 s[28:29], 1, v8
	v_add_u32_e32 v8, -1, v9
	v_mov_b32_e32 v9, v14
	v_lshlrev_b64 v[8:9], 2, v[8:9]
	v_add_co_u32_e64 v50, s[34:35], v12, v8
	v_addc_co_u32_e64 v51, s[34:35], v13, v9, s[34:35]
	v_lshlrev_b32_e32 v8, 3, v22
	s_movk_i32 s34, 0x1e00
	v_and_or_b32 v8, v8, s34, v36
	v_lshlrev_b32_e32 v8, 3, v8
	v_add_co_u32_e64 v52, s[34:35], v12, v8
	v_xor_b32_e32 v117, 0x7fffffff, v25
	v_xor_b32_e32 v129, 0x7fffffff, v27
	v_xor_b32_e32 v128, -1, v26
	v_xor_b32_e32 v131, 0x7fffffff, v29
	v_xor_b32_e32 v130, -1, v28
	;; [unrolled: 2-line block ×5, first 2 shown]
	v_lshrrev_b32_e32 v178, 6, v0
	v_cmp_lt_u32_e64 s[14:15], 31, v37
	v_cmp_gt_u32_e64 s[18:19], 4, v22
	v_cmp_lt_u32_e64 s[20:21], 63, v22
	v_cmp_eq_u32_e64 s[22:23], 0, v37
	v_cmp_eq_u32_e64 s[24:25], 0, v22
	v_addc_co_u32_e64 v53, s[34:35], 0, v13, s[34:35]
	v_sub_u32_e32 v180, v11, v10
	s_mov_b64 s[40:41], 0
	s_waitcnt lgkmcnt(0)
	s_barrier
	s_branch .LBB706_172
.LBB706_171:                            ;   in Loop: Header=BB706_172 Depth=1
	s_or_b64 exec, exec, s[36:37]
	s_and_b64 s[34:35], exec, s[44:45]
	s_or_b64 s[40:41], s[34:35], s[40:41]
	s_andn2_b64 exec, exec, s[40:41]
	s_cbranch_execz .LBB706_226
.LBB706_172:                            ; =>This Inner Loop Header: Depth=1
	s_waitcnt vmcnt(0)
	v_pk_mov_b32 v[36:37], v[16:17], v[16:17] op_sel:[0,1]
	v_pk_mov_b32 v[34:35], v[18:19], v[18:19] op_sel:[0,1]
	v_min_u32_e32 v18, s46, v180
	v_mov_b32_e32 v15, v14
	v_mov_b32_e32 v16, v14
	;; [unrolled: 1-line block ×3, first 2 shown]
	v_pk_mov_b32 v[84:85], v[102:103], v[102:103] op_sel:[0,1]
	flat_store_dwordx4 v[4:5], v[14:17] offset:16
	v_pk_mov_b32 v[32:33], v[86:87], v[86:87] op_sel:[0,1]
	v_lshlrev_b32_e64 v15, v18, -1
	v_not_b32_e32 v18, v15
	v_lshrrev_b64 v[16:17], v10, v[84:85]
	v_and_b32_e32 v19, v16, v18
	v_lshl_add_u32 v16, v19, 2, v178
	v_mov_b32_e32 v17, v14
	v_lshlrev_b64 v[16:17], 2, v[16:17]
	v_add_co_u32_e64 v86, s[34:35], v1, v16
	v_addc_co_u32_e64 v87, s[34:35], v23, v17, s[34:35]
	v_and_b32_e32 v15, 1, v19
	v_add_co_u32_e64 v16, s[34:35], -1, v15
	v_addc_co_u32_e64 v17, s[34:35], 0, -1, s[34:35]
	v_cmp_ne_u32_e64 s[34:35], 0, v15
	v_xor_b32_e32 v15, s35, v17
	v_and_b32_e32 v17, exec_hi, v15
	v_lshlrev_b32_e32 v15, 30, v19
	v_xor_b32_e32 v16, s34, v16
	v_cmp_gt_i64_e64 s[34:35], 0, v[14:15]
	v_not_b32_e32 v15, v15
	v_ashrrev_i32_e32 v15, 31, v15
	v_pk_mov_b32 v[30:31], v[96:97], v[96:97] op_sel:[0,1]
	v_and_b32_e32 v16, exec_lo, v16
	v_xor_b32_e32 v96, s35, v15
	v_xor_b32_e32 v15, s34, v15
	v_and_b32_e32 v16, v16, v15
	v_lshlrev_b32_e32 v15, 29, v19
	v_cmp_gt_i64_e64 s[34:35], 0, v[14:15]
	v_not_b32_e32 v15, v15
	v_ashrrev_i32_e32 v15, 31, v15
	v_and_b32_e32 v17, v17, v96
	v_xor_b32_e32 v96, s35, v15
	v_xor_b32_e32 v15, s34, v15
	v_and_b32_e32 v16, v16, v15
	v_lshlrev_b32_e32 v15, 28, v19
	v_cmp_gt_i64_e64 s[34:35], 0, v[14:15]
	v_not_b32_e32 v15, v15
	v_ashrrev_i32_e32 v15, 31, v15
	v_and_b32_e32 v17, v17, v96
	;; [unrolled: 8-line block ×5, first 2 shown]
	v_xor_b32_e32 v96, s35, v15
	v_xor_b32_e32 v15, s34, v15
	v_and_b32_e32 v16, v16, v15
	v_lshlrev_b32_e32 v15, 24, v19
	v_cmp_gt_i64_e64 s[34:35], 0, v[14:15]
	v_not_b32_e32 v15, v15
	v_ashrrev_i32_e32 v15, 31, v15
	v_xor_b32_e32 v19, s35, v15
	v_xor_b32_e32 v15, s34, v15
	v_and_b32_e32 v17, v17, v96
	v_and_b32_e32 v16, v16, v15
	;; [unrolled: 1-line block ×3, first 2 shown]
	v_mbcnt_lo_u32_b32 v15, v16, 0
	v_pk_mov_b32 v[8:9], v[118:119], v[118:119] op_sel:[0,1]
	v_mbcnt_hi_u32_b32 v118, v17, v15
	v_cmp_eq_u32_e64 s[34:35], 0, v118
	v_cmp_ne_u64_e64 s[36:37], 0, v[16:17]
	v_pk_mov_b32 v[28:29], v[98:99], v[98:99] op_sel:[0,1]
	v_pk_mov_b32 v[26:27], v[100:101], v[100:101] op_sel:[0,1]
	;; [unrolled: 1-line block ×10, first 2 shown]
	s_and_b64 s[36:37], s[36:37], s[34:35]
	s_waitcnt lgkmcnt(0)
	s_barrier
	s_waitcnt lgkmcnt(0)
	; wave barrier
	s_and_saveexec_b64 s[34:35], s[36:37]
	s_cbranch_execz .LBB706_174
; %bb.173:                              ;   in Loop: Header=BB706_172 Depth=1
	v_bcnt_u32_b32 v15, v16, 0
	v_bcnt_u32_b32 v15, v17, v15
	flat_store_dword v[86:87], v15
.LBB706_174:                            ;   in Loop: Header=BB706_172 Depth=1
	s_or_b64 exec, exec, s[34:35]
	v_lshrrev_b64 v[16:17], v10, v[82:83]
	v_and_b32_e32 v19, v16, v18
	v_lshl_add_u32 v16, v19, 2, v178
	v_mov_b32_e32 v17, v14
	v_lshlrev_b64 v[16:17], 2, v[16:17]
	v_add_co_u32_e64 v96, s[34:35], v1, v16
	v_addc_co_u32_e64 v97, s[34:35], v23, v17, s[34:35]
	; wave barrier
	flat_load_dword v119, v[96:97]
	v_and_b32_e32 v15, 1, v19
	v_add_co_u32_e64 v16, s[34:35], -1, v15
	v_addc_co_u32_e64 v17, s[34:35], 0, -1, s[34:35]
	v_cmp_ne_u32_e64 s[34:35], 0, v15
	v_xor_b32_e32 v15, s35, v17
	v_and_b32_e32 v17, exec_hi, v15
	v_lshlrev_b32_e32 v15, 30, v19
	v_xor_b32_e32 v16, s34, v16
	v_cmp_gt_i64_e64 s[34:35], 0, v[14:15]
	v_not_b32_e32 v15, v15
	v_ashrrev_i32_e32 v15, 31, v15
	v_and_b32_e32 v16, exec_lo, v16
	v_xor_b32_e32 v98, s35, v15
	v_xor_b32_e32 v15, s34, v15
	v_and_b32_e32 v16, v16, v15
	v_lshlrev_b32_e32 v15, 29, v19
	v_cmp_gt_i64_e64 s[34:35], 0, v[14:15]
	v_not_b32_e32 v15, v15
	v_ashrrev_i32_e32 v15, 31, v15
	v_and_b32_e32 v17, v17, v98
	v_xor_b32_e32 v98, s35, v15
	v_xor_b32_e32 v15, s34, v15
	v_and_b32_e32 v16, v16, v15
	v_lshlrev_b32_e32 v15, 28, v19
	v_cmp_gt_i64_e64 s[34:35], 0, v[14:15]
	v_not_b32_e32 v15, v15
	v_ashrrev_i32_e32 v15, 31, v15
	v_and_b32_e32 v17, v17, v98
	;; [unrolled: 8-line block ×5, first 2 shown]
	v_xor_b32_e32 v98, s35, v15
	v_xor_b32_e32 v15, s34, v15
	v_and_b32_e32 v16, v16, v15
	v_lshlrev_b32_e32 v15, 24, v19
	v_cmp_gt_i64_e64 s[34:35], 0, v[14:15]
	v_not_b32_e32 v15, v15
	v_ashrrev_i32_e32 v15, 31, v15
	v_xor_b32_e32 v19, s35, v15
	v_xor_b32_e32 v15, s34, v15
	v_and_b32_e32 v17, v17, v98
	v_and_b32_e32 v16, v16, v15
	;; [unrolled: 1-line block ×3, first 2 shown]
	v_mbcnt_lo_u32_b32 v15, v16, 0
	v_mbcnt_hi_u32_b32 v128, v17, v15
	v_cmp_eq_u32_e64 s[34:35], 0, v128
	v_cmp_ne_u64_e64 s[36:37], 0, v[16:17]
	s_and_b64 s[36:37], s[36:37], s[34:35]
	; wave barrier
	s_and_saveexec_b64 s[34:35], s[36:37]
	s_cbranch_execz .LBB706_176
; %bb.175:                              ;   in Loop: Header=BB706_172 Depth=1
	v_bcnt_u32_b32 v15, v16, 0
	v_bcnt_u32_b32 v15, v17, v15
	s_waitcnt vmcnt(0) lgkmcnt(0)
	v_add_u32_e32 v15, v119, v15
	flat_store_dword v[96:97], v15
.LBB706_176:                            ;   in Loop: Header=BB706_172 Depth=1
	s_or_b64 exec, exec, s[34:35]
	v_lshrrev_b64 v[16:17], v10, v[80:81]
	v_and_b32_e32 v19, v16, v18
	v_lshl_add_u32 v16, v19, 2, v178
	v_mov_b32_e32 v17, v14
	v_lshlrev_b64 v[16:17], 2, v[16:17]
	v_add_co_u32_e64 v98, s[34:35], v1, v16
	v_addc_co_u32_e64 v99, s[34:35], v23, v17, s[34:35]
	; wave barrier
	flat_load_dword v129, v[98:99]
	v_and_b32_e32 v15, 1, v19
	v_add_co_u32_e64 v16, s[34:35], -1, v15
	v_addc_co_u32_e64 v17, s[34:35], 0, -1, s[34:35]
	v_cmp_ne_u32_e64 s[34:35], 0, v15
	v_xor_b32_e32 v15, s35, v17
	v_and_b32_e32 v17, exec_hi, v15
	v_lshlrev_b32_e32 v15, 30, v19
	v_xor_b32_e32 v16, s34, v16
	v_cmp_gt_i64_e64 s[34:35], 0, v[14:15]
	v_not_b32_e32 v15, v15
	v_ashrrev_i32_e32 v15, 31, v15
	v_and_b32_e32 v16, exec_lo, v16
	v_xor_b32_e32 v100, s35, v15
	v_xor_b32_e32 v15, s34, v15
	v_and_b32_e32 v16, v16, v15
	v_lshlrev_b32_e32 v15, 29, v19
	v_cmp_gt_i64_e64 s[34:35], 0, v[14:15]
	v_not_b32_e32 v15, v15
	v_ashrrev_i32_e32 v15, 31, v15
	v_and_b32_e32 v17, v17, v100
	v_xor_b32_e32 v100, s35, v15
	v_xor_b32_e32 v15, s34, v15
	v_and_b32_e32 v16, v16, v15
	v_lshlrev_b32_e32 v15, 28, v19
	v_cmp_gt_i64_e64 s[34:35], 0, v[14:15]
	v_not_b32_e32 v15, v15
	v_ashrrev_i32_e32 v15, 31, v15
	v_and_b32_e32 v17, v17, v100
	;; [unrolled: 8-line block ×5, first 2 shown]
	v_xor_b32_e32 v100, s35, v15
	v_xor_b32_e32 v15, s34, v15
	v_and_b32_e32 v16, v16, v15
	v_lshlrev_b32_e32 v15, 24, v19
	v_cmp_gt_i64_e64 s[34:35], 0, v[14:15]
	v_not_b32_e32 v15, v15
	v_ashrrev_i32_e32 v15, 31, v15
	v_xor_b32_e32 v19, s35, v15
	v_xor_b32_e32 v15, s34, v15
	v_and_b32_e32 v17, v17, v100
	v_and_b32_e32 v16, v16, v15
	;; [unrolled: 1-line block ×3, first 2 shown]
	v_mbcnt_lo_u32_b32 v15, v16, 0
	v_mbcnt_hi_u32_b32 v130, v17, v15
	v_cmp_eq_u32_e64 s[34:35], 0, v130
	v_cmp_ne_u64_e64 s[36:37], 0, v[16:17]
	s_and_b64 s[36:37], s[36:37], s[34:35]
	; wave barrier
	s_and_saveexec_b64 s[34:35], s[36:37]
	s_cbranch_execz .LBB706_178
; %bb.177:                              ;   in Loop: Header=BB706_172 Depth=1
	v_bcnt_u32_b32 v15, v16, 0
	v_bcnt_u32_b32 v15, v17, v15
	s_waitcnt vmcnt(0) lgkmcnt(0)
	v_add_u32_e32 v15, v129, v15
	flat_store_dword v[98:99], v15
.LBB706_178:                            ;   in Loop: Header=BB706_172 Depth=1
	s_or_b64 exec, exec, s[34:35]
	v_lshrrev_b64 v[16:17], v10, v[70:71]
	v_and_b32_e32 v19, v16, v18
	v_lshl_add_u32 v16, v19, 2, v178
	v_mov_b32_e32 v17, v14
	v_lshlrev_b64 v[16:17], 2, v[16:17]
	v_add_co_u32_e64 v100, s[34:35], v1, v16
	v_addc_co_u32_e64 v101, s[34:35], v23, v17, s[34:35]
	; wave barrier
	flat_load_dword v131, v[100:101]
	v_and_b32_e32 v15, 1, v19
	v_add_co_u32_e64 v16, s[34:35], -1, v15
	v_addc_co_u32_e64 v17, s[34:35], 0, -1, s[34:35]
	v_cmp_ne_u32_e64 s[34:35], 0, v15
	v_xor_b32_e32 v15, s35, v17
	v_and_b32_e32 v17, exec_hi, v15
	v_lshlrev_b32_e32 v15, 30, v19
	v_xor_b32_e32 v16, s34, v16
	v_cmp_gt_i64_e64 s[34:35], 0, v[14:15]
	v_not_b32_e32 v15, v15
	v_ashrrev_i32_e32 v15, 31, v15
	v_and_b32_e32 v16, exec_lo, v16
	v_xor_b32_e32 v102, s35, v15
	v_xor_b32_e32 v15, s34, v15
	v_and_b32_e32 v16, v16, v15
	v_lshlrev_b32_e32 v15, 29, v19
	v_cmp_gt_i64_e64 s[34:35], 0, v[14:15]
	v_not_b32_e32 v15, v15
	v_ashrrev_i32_e32 v15, 31, v15
	v_and_b32_e32 v17, v17, v102
	v_xor_b32_e32 v102, s35, v15
	v_xor_b32_e32 v15, s34, v15
	v_and_b32_e32 v16, v16, v15
	v_lshlrev_b32_e32 v15, 28, v19
	v_cmp_gt_i64_e64 s[34:35], 0, v[14:15]
	v_not_b32_e32 v15, v15
	v_ashrrev_i32_e32 v15, 31, v15
	v_and_b32_e32 v17, v17, v102
	v_xor_b32_e32 v102, s35, v15
	v_xor_b32_e32 v15, s34, v15
	v_and_b32_e32 v16, v16, v15
	v_lshlrev_b32_e32 v15, 27, v19
	v_cmp_gt_i64_e64 s[34:35], 0, v[14:15]
	v_not_b32_e32 v15, v15
	v_ashrrev_i32_e32 v15, 31, v15
	v_and_b32_e32 v17, v17, v102
	v_xor_b32_e32 v102, s35, v15
	v_xor_b32_e32 v15, s34, v15
	v_and_b32_e32 v16, v16, v15
	v_lshlrev_b32_e32 v15, 26, v19
	v_cmp_gt_i64_e64 s[34:35], 0, v[14:15]
	v_not_b32_e32 v15, v15
	v_ashrrev_i32_e32 v15, 31, v15
	v_and_b32_e32 v17, v17, v102
	v_xor_b32_e32 v102, s35, v15
	v_xor_b32_e32 v15, s34, v15
	v_and_b32_e32 v16, v16, v15
	v_lshlrev_b32_e32 v15, 25, v19
	v_cmp_gt_i64_e64 s[34:35], 0, v[14:15]
	v_not_b32_e32 v15, v15
	v_ashrrev_i32_e32 v15, 31, v15
	v_and_b32_e32 v17, v17, v102
	v_xor_b32_e32 v102, s35, v15
	v_xor_b32_e32 v15, s34, v15
	v_and_b32_e32 v16, v16, v15
	v_lshlrev_b32_e32 v15, 24, v19
	v_cmp_gt_i64_e64 s[34:35], 0, v[14:15]
	v_not_b32_e32 v15, v15
	v_ashrrev_i32_e32 v15, 31, v15
	v_xor_b32_e32 v19, s35, v15
	v_xor_b32_e32 v15, s34, v15
	v_and_b32_e32 v17, v17, v102
	v_and_b32_e32 v16, v16, v15
	;; [unrolled: 1-line block ×3, first 2 shown]
	v_mbcnt_lo_u32_b32 v15, v16, 0
	v_mbcnt_hi_u32_b32 v132, v17, v15
	v_cmp_eq_u32_e64 s[34:35], 0, v132
	v_cmp_ne_u64_e64 s[36:37], 0, v[16:17]
	s_and_b64 s[36:37], s[36:37], s[34:35]
	; wave barrier
	s_and_saveexec_b64 s[34:35], s[36:37]
	s_cbranch_execz .LBB706_180
; %bb.179:                              ;   in Loop: Header=BB706_172 Depth=1
	v_bcnt_u32_b32 v15, v16, 0
	v_bcnt_u32_b32 v15, v17, v15
	s_waitcnt vmcnt(0) lgkmcnt(0)
	v_add_u32_e32 v15, v131, v15
	flat_store_dword v[100:101], v15
.LBB706_180:                            ;   in Loop: Header=BB706_172 Depth=1
	s_or_b64 exec, exec, s[34:35]
	v_lshrrev_b64 v[16:17], v10, v[68:69]
	v_and_b32_e32 v19, v16, v18
	v_lshl_add_u32 v16, v19, 2, v178
	v_mov_b32_e32 v17, v14
	v_lshlrev_b64 v[16:17], 2, v[16:17]
	v_add_co_u32_e64 v102, s[34:35], v1, v16
	v_addc_co_u32_e64 v103, s[34:35], v23, v17, s[34:35]
	; wave barrier
	flat_load_dword v133, v[102:103]
	v_and_b32_e32 v15, 1, v19
	v_add_co_u32_e64 v16, s[34:35], -1, v15
	v_addc_co_u32_e64 v17, s[34:35], 0, -1, s[34:35]
	v_cmp_ne_u32_e64 s[34:35], 0, v15
	v_xor_b32_e32 v15, s35, v17
	v_and_b32_e32 v17, exec_hi, v15
	v_lshlrev_b32_e32 v15, 30, v19
	v_xor_b32_e32 v16, s34, v16
	v_cmp_gt_i64_e64 s[34:35], 0, v[14:15]
	v_not_b32_e32 v15, v15
	v_ashrrev_i32_e32 v15, 31, v15
	v_and_b32_e32 v16, exec_lo, v16
	v_xor_b32_e32 v112, s35, v15
	v_xor_b32_e32 v15, s34, v15
	v_and_b32_e32 v16, v16, v15
	v_lshlrev_b32_e32 v15, 29, v19
	v_cmp_gt_i64_e64 s[34:35], 0, v[14:15]
	v_not_b32_e32 v15, v15
	v_ashrrev_i32_e32 v15, 31, v15
	v_and_b32_e32 v17, v17, v112
	v_xor_b32_e32 v112, s35, v15
	v_xor_b32_e32 v15, s34, v15
	v_and_b32_e32 v16, v16, v15
	v_lshlrev_b32_e32 v15, 28, v19
	v_cmp_gt_i64_e64 s[34:35], 0, v[14:15]
	v_not_b32_e32 v15, v15
	v_ashrrev_i32_e32 v15, 31, v15
	v_and_b32_e32 v17, v17, v112
	;; [unrolled: 8-line block ×5, first 2 shown]
	v_xor_b32_e32 v112, s35, v15
	v_xor_b32_e32 v15, s34, v15
	v_and_b32_e32 v16, v16, v15
	v_lshlrev_b32_e32 v15, 24, v19
	v_cmp_gt_i64_e64 s[34:35], 0, v[14:15]
	v_not_b32_e32 v15, v15
	v_ashrrev_i32_e32 v15, 31, v15
	v_xor_b32_e32 v19, s35, v15
	v_xor_b32_e32 v15, s34, v15
	v_and_b32_e32 v17, v17, v112
	v_and_b32_e32 v16, v16, v15
	v_and_b32_e32 v17, v17, v19
	v_mbcnt_lo_u32_b32 v15, v16, 0
	v_mbcnt_hi_u32_b32 v134, v17, v15
	v_cmp_eq_u32_e64 s[34:35], 0, v134
	v_cmp_ne_u64_e64 s[36:37], 0, v[16:17]
	s_and_b64 s[36:37], s[36:37], s[34:35]
	; wave barrier
	s_and_saveexec_b64 s[34:35], s[36:37]
	s_cbranch_execz .LBB706_182
; %bb.181:                              ;   in Loop: Header=BB706_172 Depth=1
	v_bcnt_u32_b32 v15, v16, 0
	v_bcnt_u32_b32 v15, v17, v15
	s_waitcnt vmcnt(0) lgkmcnt(0)
	v_add_u32_e32 v15, v133, v15
	flat_store_dword v[102:103], v15
.LBB706_182:                            ;   in Loop: Header=BB706_172 Depth=1
	s_or_b64 exec, exec, s[34:35]
	v_lshrrev_b64 v[16:17], v10, v[66:67]
	v_and_b32_e32 v19, v16, v18
	v_lshl_add_u32 v16, v19, 2, v178
	v_mov_b32_e32 v17, v14
	v_lshlrev_b64 v[16:17], 2, v[16:17]
	v_add_co_u32_e64 v112, s[34:35], v1, v16
	v_addc_co_u32_e64 v113, s[34:35], v23, v17, s[34:35]
	; wave barrier
	flat_load_dword v135, v[112:113]
	v_and_b32_e32 v15, 1, v19
	v_add_co_u32_e64 v16, s[34:35], -1, v15
	v_addc_co_u32_e64 v17, s[34:35], 0, -1, s[34:35]
	v_cmp_ne_u32_e64 s[34:35], 0, v15
	v_xor_b32_e32 v15, s35, v17
	v_and_b32_e32 v17, exec_hi, v15
	v_lshlrev_b32_e32 v15, 30, v19
	v_xor_b32_e32 v16, s34, v16
	v_cmp_gt_i64_e64 s[34:35], 0, v[14:15]
	v_not_b32_e32 v15, v15
	v_ashrrev_i32_e32 v15, 31, v15
	v_and_b32_e32 v16, exec_lo, v16
	v_xor_b32_e32 v114, s35, v15
	v_xor_b32_e32 v15, s34, v15
	v_and_b32_e32 v16, v16, v15
	v_lshlrev_b32_e32 v15, 29, v19
	v_cmp_gt_i64_e64 s[34:35], 0, v[14:15]
	v_not_b32_e32 v15, v15
	v_ashrrev_i32_e32 v15, 31, v15
	v_and_b32_e32 v17, v17, v114
	v_xor_b32_e32 v114, s35, v15
	v_xor_b32_e32 v15, s34, v15
	v_and_b32_e32 v16, v16, v15
	v_lshlrev_b32_e32 v15, 28, v19
	v_cmp_gt_i64_e64 s[34:35], 0, v[14:15]
	v_not_b32_e32 v15, v15
	v_ashrrev_i32_e32 v15, 31, v15
	v_and_b32_e32 v17, v17, v114
	;; [unrolled: 8-line block ×5, first 2 shown]
	v_xor_b32_e32 v114, s35, v15
	v_xor_b32_e32 v15, s34, v15
	v_and_b32_e32 v16, v16, v15
	v_lshlrev_b32_e32 v15, 24, v19
	v_cmp_gt_i64_e64 s[34:35], 0, v[14:15]
	v_not_b32_e32 v15, v15
	v_ashrrev_i32_e32 v15, 31, v15
	v_xor_b32_e32 v19, s35, v15
	v_xor_b32_e32 v15, s34, v15
	v_and_b32_e32 v17, v17, v114
	v_and_b32_e32 v16, v16, v15
	;; [unrolled: 1-line block ×3, first 2 shown]
	v_mbcnt_lo_u32_b32 v15, v16, 0
	v_mbcnt_hi_u32_b32 v144, v17, v15
	v_cmp_eq_u32_e64 s[34:35], 0, v144
	v_cmp_ne_u64_e64 s[36:37], 0, v[16:17]
	s_and_b64 s[36:37], s[36:37], s[34:35]
	; wave barrier
	s_and_saveexec_b64 s[34:35], s[36:37]
	s_cbranch_execz .LBB706_184
; %bb.183:                              ;   in Loop: Header=BB706_172 Depth=1
	v_bcnt_u32_b32 v15, v16, 0
	v_bcnt_u32_b32 v15, v17, v15
	s_waitcnt vmcnt(0) lgkmcnt(0)
	v_add_u32_e32 v15, v135, v15
	flat_store_dword v[112:113], v15
.LBB706_184:                            ;   in Loop: Header=BB706_172 Depth=1
	s_or_b64 exec, exec, s[34:35]
	v_lshrrev_b64 v[16:17], v10, v[64:65]
	v_and_b32_e32 v19, v16, v18
	v_lshl_add_u32 v16, v19, 2, v178
	v_mov_b32_e32 v17, v14
	v_lshlrev_b64 v[16:17], 2, v[16:17]
	v_add_co_u32_e64 v114, s[34:35], v1, v16
	v_addc_co_u32_e64 v115, s[34:35], v23, v17, s[34:35]
	; wave barrier
	flat_load_dword v145, v[114:115]
	v_and_b32_e32 v15, 1, v19
	v_add_co_u32_e64 v16, s[34:35], -1, v15
	v_addc_co_u32_e64 v17, s[34:35], 0, -1, s[34:35]
	v_cmp_ne_u32_e64 s[34:35], 0, v15
	v_xor_b32_e32 v15, s35, v17
	v_and_b32_e32 v17, exec_hi, v15
	v_lshlrev_b32_e32 v15, 30, v19
	v_xor_b32_e32 v16, s34, v16
	v_cmp_gt_i64_e64 s[34:35], 0, v[14:15]
	v_not_b32_e32 v15, v15
	v_ashrrev_i32_e32 v15, 31, v15
	v_and_b32_e32 v16, exec_lo, v16
	v_xor_b32_e32 v116, s35, v15
	v_xor_b32_e32 v15, s34, v15
	v_and_b32_e32 v16, v16, v15
	v_lshlrev_b32_e32 v15, 29, v19
	v_cmp_gt_i64_e64 s[34:35], 0, v[14:15]
	v_not_b32_e32 v15, v15
	v_ashrrev_i32_e32 v15, 31, v15
	v_and_b32_e32 v17, v17, v116
	v_xor_b32_e32 v116, s35, v15
	v_xor_b32_e32 v15, s34, v15
	v_and_b32_e32 v16, v16, v15
	v_lshlrev_b32_e32 v15, 28, v19
	v_cmp_gt_i64_e64 s[34:35], 0, v[14:15]
	v_not_b32_e32 v15, v15
	v_ashrrev_i32_e32 v15, 31, v15
	v_and_b32_e32 v17, v17, v116
	v_xor_b32_e32 v116, s35, v15
	v_xor_b32_e32 v15, s34, v15
	v_and_b32_e32 v16, v16, v15
	v_lshlrev_b32_e32 v15, 27, v19
	v_cmp_gt_i64_e64 s[34:35], 0, v[14:15]
	v_not_b32_e32 v15, v15
	v_ashrrev_i32_e32 v15, 31, v15
	v_and_b32_e32 v17, v17, v116
	v_xor_b32_e32 v116, s35, v15
	v_xor_b32_e32 v15, s34, v15
	v_and_b32_e32 v16, v16, v15
	v_lshlrev_b32_e32 v15, 26, v19
	v_cmp_gt_i64_e64 s[34:35], 0, v[14:15]
	v_not_b32_e32 v15, v15
	v_ashrrev_i32_e32 v15, 31, v15
	v_and_b32_e32 v17, v17, v116
	v_xor_b32_e32 v116, s35, v15
	v_xor_b32_e32 v15, s34, v15
	v_and_b32_e32 v16, v16, v15
	v_lshlrev_b32_e32 v15, 25, v19
	v_cmp_gt_i64_e64 s[34:35], 0, v[14:15]
	v_not_b32_e32 v15, v15
	v_ashrrev_i32_e32 v15, 31, v15
	v_and_b32_e32 v17, v17, v116
	v_xor_b32_e32 v116, s35, v15
	v_xor_b32_e32 v15, s34, v15
	v_and_b32_e32 v16, v16, v15
	v_lshlrev_b32_e32 v15, 24, v19
	v_cmp_gt_i64_e64 s[34:35], 0, v[14:15]
	v_not_b32_e32 v15, v15
	v_ashrrev_i32_e32 v15, 31, v15
	v_xor_b32_e32 v19, s35, v15
	v_xor_b32_e32 v15, s34, v15
	v_and_b32_e32 v17, v17, v116
	v_and_b32_e32 v16, v16, v15
	;; [unrolled: 1-line block ×3, first 2 shown]
	v_mbcnt_lo_u32_b32 v15, v16, 0
	v_mbcnt_hi_u32_b32 v146, v17, v15
	v_cmp_eq_u32_e64 s[34:35], 0, v146
	v_cmp_ne_u64_e64 s[36:37], 0, v[16:17]
	s_and_b64 s[36:37], s[36:37], s[34:35]
	; wave barrier
	s_and_saveexec_b64 s[34:35], s[36:37]
	s_cbranch_execz .LBB706_186
; %bb.185:                              ;   in Loop: Header=BB706_172 Depth=1
	v_bcnt_u32_b32 v15, v16, 0
	v_bcnt_u32_b32 v15, v17, v15
	s_waitcnt vmcnt(0) lgkmcnt(0)
	v_add_u32_e32 v15, v145, v15
	flat_store_dword v[114:115], v15
.LBB706_186:                            ;   in Loop: Header=BB706_172 Depth=1
	s_or_b64 exec, exec, s[34:35]
	v_lshrrev_b64 v[16:17], v10, v[54:55]
	v_and_b32_e32 v18, v16, v18
	v_lshl_add_u32 v16, v18, 2, v178
	v_mov_b32_e32 v17, v14
	v_lshlrev_b64 v[16:17], 2, v[16:17]
	v_add_co_u32_e64 v116, s[34:35], v1, v16
	v_addc_co_u32_e64 v117, s[34:35], v23, v17, s[34:35]
	; wave barrier
	flat_load_dword v147, v[116:117]
	v_and_b32_e32 v15, 1, v18
	v_add_co_u32_e64 v16, s[34:35], -1, v15
	v_addc_co_u32_e64 v17, s[34:35], 0, -1, s[34:35]
	v_cmp_ne_u32_e64 s[34:35], 0, v15
	v_xor_b32_e32 v15, s35, v17
	v_and_b32_e32 v17, exec_hi, v15
	v_lshlrev_b32_e32 v15, 30, v18
	v_xor_b32_e32 v16, s34, v16
	v_cmp_gt_i64_e64 s[34:35], 0, v[14:15]
	v_not_b32_e32 v15, v15
	v_ashrrev_i32_e32 v15, 31, v15
	v_and_b32_e32 v16, exec_lo, v16
	v_xor_b32_e32 v19, s35, v15
	v_xor_b32_e32 v15, s34, v15
	v_and_b32_e32 v16, v16, v15
	v_lshlrev_b32_e32 v15, 29, v18
	v_cmp_gt_i64_e64 s[34:35], 0, v[14:15]
	v_not_b32_e32 v15, v15
	v_ashrrev_i32_e32 v15, 31, v15
	v_and_b32_e32 v17, v17, v19
	v_xor_b32_e32 v19, s35, v15
	v_xor_b32_e32 v15, s34, v15
	v_and_b32_e32 v16, v16, v15
	v_lshlrev_b32_e32 v15, 28, v18
	v_cmp_gt_i64_e64 s[34:35], 0, v[14:15]
	v_not_b32_e32 v15, v15
	v_ashrrev_i32_e32 v15, 31, v15
	v_and_b32_e32 v17, v17, v19
	;; [unrolled: 8-line block ×5, first 2 shown]
	v_xor_b32_e32 v19, s35, v15
	v_xor_b32_e32 v15, s34, v15
	v_and_b32_e32 v16, v16, v15
	v_lshlrev_b32_e32 v15, 24, v18
	v_cmp_gt_i64_e64 s[34:35], 0, v[14:15]
	v_not_b32_e32 v15, v15
	v_ashrrev_i32_e32 v15, 31, v15
	v_xor_b32_e32 v18, s35, v15
	v_xor_b32_e32 v15, s34, v15
	v_and_b32_e32 v17, v17, v19
	v_and_b32_e32 v16, v16, v15
	;; [unrolled: 1-line block ×3, first 2 shown]
	v_mbcnt_lo_u32_b32 v15, v16, 0
	v_mbcnt_hi_u32_b32 v15, v17, v15
	v_cmp_eq_u32_e64 s[34:35], 0, v15
	v_cmp_ne_u64_e64 s[36:37], 0, v[16:17]
	s_and_b64 s[36:37], s[36:37], s[34:35]
	; wave barrier
	s_and_saveexec_b64 s[34:35], s[36:37]
	s_cbranch_execz .LBB706_188
; %bb.187:                              ;   in Loop: Header=BB706_172 Depth=1
	v_bcnt_u32_b32 v16, v16, 0
	v_bcnt_u32_b32 v16, v17, v16
	s_waitcnt vmcnt(0) lgkmcnt(0)
	v_add_u32_e32 v16, v147, v16
	flat_store_dword v[116:117], v16
.LBB706_188:                            ;   in Loop: Header=BB706_172 Depth=1
	s_or_b64 exec, exec, s[34:35]
	; wave barrier
	s_waitcnt lgkmcnt(0)
	s_barrier
	flat_load_dwordx4 v[16:19], v[4:5] offset:16
	s_waitcnt vmcnt(0) lgkmcnt(0)
	v_add_u32_e32 v148, v17, v16
	v_add3_u32 v19, v148, v18, v19
	s_nop 1
	v_mov_b32_dpp v148, v19 row_shr:1 row_mask:0xf bank_mask:0xf
	v_cndmask_b32_e64 v148, v148, 0, vcc
	v_add_u32_e32 v19, v148, v19
	s_nop 1
	v_mov_b32_dpp v148, v19 row_shr:2 row_mask:0xf bank_mask:0xf
	v_cndmask_b32_e64 v148, 0, v148, s[4:5]
	v_add_u32_e32 v19, v19, v148
	s_nop 1
	v_mov_b32_dpp v148, v19 row_shr:4 row_mask:0xf bank_mask:0xf
	v_cndmask_b32_e64 v148, 0, v148, s[6:7]
	v_add_u32_e32 v19, v19, v148
	s_nop 1
	v_mov_b32_dpp v148, v19 row_shr:8 row_mask:0xf bank_mask:0xf
	v_cndmask_b32_e64 v148, 0, v148, s[10:11]
	v_add_u32_e32 v19, v19, v148
	s_nop 1
	v_mov_b32_dpp v148, v19 row_bcast:15 row_mask:0xf bank_mask:0xf
	v_cndmask_b32_e64 v148, v148, 0, s[30:31]
	v_add_u32_e32 v19, v19, v148
	s_nop 1
	v_mov_b32_dpp v148, v19 row_bcast:31 row_mask:0xf bank_mask:0xf
	v_cndmask_b32_e64 v148, 0, v148, s[14:15]
	v_add_u32_e32 v19, v19, v148
	s_and_saveexec_b64 s[34:35], s[16:17]
	s_cbranch_execz .LBB706_190
; %bb.189:                              ;   in Loop: Header=BB706_172 Depth=1
	flat_store_dword v[38:39], v19
.LBB706_190:                            ;   in Loop: Header=BB706_172 Depth=1
	s_or_b64 exec, exec, s[34:35]
	s_waitcnt lgkmcnt(0)
	s_barrier
	s_and_saveexec_b64 s[34:35], s[18:19]
	s_cbranch_execz .LBB706_192
; %bb.191:                              ;   in Loop: Header=BB706_172 Depth=1
	flat_load_dword v148, v[48:49]
	s_waitcnt vmcnt(0) lgkmcnt(0)
	s_nop 0
	v_mov_b32_dpp v149, v148 row_shr:1 row_mask:0xf bank_mask:0xf
	v_cndmask_b32_e64 v149, v149, 0, s[26:27]
	v_add_u32_e32 v148, v149, v148
	s_nop 1
	v_mov_b32_dpp v149, v148 row_shr:2 row_mask:0xf bank_mask:0xf
	v_cndmask_b32_e64 v149, 0, v149, s[28:29]
	v_add_u32_e32 v148, v148, v149
	flat_store_dword v[48:49], v148
.LBB706_192:                            ;   in Loop: Header=BB706_172 Depth=1
	s_or_b64 exec, exec, s[34:35]
	v_mov_b32_e32 v148, 0
	s_waitcnt lgkmcnt(0)
	s_barrier
	s_and_saveexec_b64 s[34:35], s[20:21]
	s_cbranch_execz .LBB706_194
; %bb.193:                              ;   in Loop: Header=BB706_172 Depth=1
	flat_load_dword v148, v[50:51]
.LBB706_194:                            ;   in Loop: Header=BB706_172 Depth=1
	s_or_b64 exec, exec, s[34:35]
	s_waitcnt vmcnt(0) lgkmcnt(0)
	v_add_u32_e32 v19, v148, v19
	ds_bpermute_b32 v19, v179, v19
	v_add_u32_e32 v10, 8, v10
	v_cmp_lt_u32_e64 s[34:35], v10, v11
	s_mov_b64 s[44:45], -1
                                        ; implicit-def: $vgpr176_vgpr177
	s_waitcnt lgkmcnt(0)
	v_cndmask_b32_e64 v19, v19, v148, s[22:23]
	v_cndmask_b32_e64 v148, v19, 0, s[24:25]
	v_add_u32_e32 v149, v148, v16
	v_add_u32_e32 v150, v149, v17
	;; [unrolled: 1-line block ×3, first 2 shown]
	flat_store_dwordx4 v[4:5], v[148:151] offset:16
	s_waitcnt lgkmcnt(0)
	s_barrier
	flat_load_dword v16, v[86:87]
	flat_load_dword v18, v[96:97]
	;; [unrolled: 1-line block ×8, first 2 shown]
	v_mov_b32_e32 v17, v14
	v_mov_b32_e32 v19, v14
	;; [unrolled: 1-line block ×8, first 2 shown]
	s_waitcnt lgkmcnt(0)
                                        ; implicit-def: $vgpr114_vgpr115
                                        ; implicit-def: $vgpr116_vgpr117
	s_waitcnt vmcnt(0) lgkmcnt(0)
	v_add_u32_e32 v16, v16, v118
	v_lshlrev_b64 v[16:17], 3, v[16:17]
	v_add3_u32 v18, v128, v119, v18
	v_lshlrev_b64 v[18:19], 3, v[18:19]
	v_add3_u32 v98, v134, v133, v150
	v_add_co_u32_e64 v134, s[36:37], v12, v16
	v_add3_u32 v100, v144, v135, v151
	v_addc_co_u32_e64 v135, s[36:37], v13, v17, s[36:37]
	v_add3_u32 v86, v130, v129, v148
	v_add_co_u32_e64 v144, s[36:37], v12, v18
	v_add3_u32 v102, v146, v145, v160
	v_lshlrev_b64 v[86:87], 3, v[86:87]
	v_addc_co_u32_e64 v145, s[36:37], v13, v19, s[36:37]
	v_add3_u32 v96, v132, v131, v149
	v_add_co_u32_e64 v146, s[36:37], v12, v86
	v_add3_u32 v112, v15, v147, v161
	v_lshlrev_b64 v[96:97], 3, v[96:97]
	v_addc_co_u32_e64 v147, s[36:37], v13, v87, s[36:37]
	v_add_co_u32_e64 v148, s[36:37], v12, v96
	v_lshlrev_b64 v[98:99], 3, v[98:99]
	v_addc_co_u32_e64 v149, s[36:37], v13, v97, s[36:37]
	v_add_co_u32_e64 v160, s[36:37], v12, v98
	;; [unrolled: 3-line block ×5, first 2 shown]
	v_addc_co_u32_e64 v167, s[36:37], v13, v113, s[36:37]
                                        ; implicit-def: $vgpr16_vgpr17
                                        ; implicit-def: $vgpr18_vgpr19
                                        ; implicit-def: $vgpr86_vgpr87
                                        ; implicit-def: $vgpr96_vgpr97
                                        ; implicit-def: $vgpr98_vgpr99
                                        ; implicit-def: $vgpr100_vgpr101
                                        ; implicit-def: $vgpr112_vgpr113
                                        ; implicit-def: $vgpr118_vgpr119
                                        ; implicit-def: $vgpr102_vgpr103
                                        ; implicit-def: $vgpr128_vgpr129
                                        ; implicit-def: $vgpr130_vgpr131
                                        ; implicit-def: $vgpr132_vgpr133
                                        ; implicit-def: $vgpr150_vgpr151
	s_and_saveexec_b64 s[36:37], s[34:35]
	s_cbranch_execz .LBB706_171
; %bb.195:                              ;   in Loop: Header=BB706_172 Depth=1
	s_barrier
	flat_store_dwordx2 v[134:135], v[84:85]
	flat_store_dwordx2 v[144:145], v[82:83]
	;; [unrolled: 1-line block ×8, first 2 shown]
	s_waitcnt lgkmcnt(0)
	s_barrier
	flat_load_dwordx2 v[102:103], v[52:53]
	flat_load_dwordx2 v[114:115], v[52:53] offset:512
	flat_load_dwordx2 v[116:117], v[52:53] offset:1024
	flat_load_dwordx2 v[128:129], v[52:53] offset:1536
	flat_load_dwordx2 v[130:131], v[52:53] offset:2048
	flat_load_dwordx2 v[132:133], v[52:53] offset:2560
	flat_load_dwordx2 v[150:151], v[52:53] offset:3072
	flat_load_dwordx2 v[176:177], v[52:53] offset:3584
	s_waitcnt lgkmcnt(0)
	s_barrier
	flat_store_dwordx2 v[134:135], v[36:37]
	flat_store_dwordx2 v[144:145], v[34:35]
	;; [unrolled: 1-line block ×8, first 2 shown]
	s_waitcnt lgkmcnt(0)
	s_barrier
	flat_load_dwordx2 v[16:17], v[52:53]
	flat_load_dwordx2 v[18:19], v[52:53] offset:512
	flat_load_dwordx2 v[86:87], v[52:53] offset:1024
	;; [unrolled: 1-line block ×7, first 2 shown]
	v_add_u32_e32 v180, -8, v180
	s_xor_b64 s[44:45], exec, -1
	s_waitcnt lgkmcnt(0)
	s_barrier
	s_branch .LBB706_171
.LBB706_196:
	flat_load_dwordx2 v[16:17], v[4:5]
	s_or_b64 exec, exec, vcc
                                        ; implicit-def: $vgpr18_vgpr19
	s_and_saveexec_b64 s[4:5], s[6:7]
	s_cbranch_execz .LBB706_36
.LBB706_197:
	flat_load_dwordx2 v[18:19], v[4:5] offset:512
	s_or_b64 exec, exec, s[4:5]
                                        ; implicit-def: $vgpr182_vgpr183
	s_and_saveexec_b64 s[4:5], s[10:11]
	s_cbranch_execz .LBB706_37
.LBB706_198:
	flat_load_dwordx2 v[182:183], v[4:5] offset:1024
	s_or_b64 exec, exec, s[4:5]
                                        ; implicit-def: $vgpr192_vgpr193
	s_and_saveexec_b64 s[4:5], s[40:41]
	s_cbranch_execz .LBB706_38
.LBB706_199:
	flat_load_dwordx2 v[192:193], v[4:5] offset:1536
	s_or_b64 exec, exec, s[4:5]
                                        ; implicit-def: $vgpr194_vgpr195
	s_and_saveexec_b64 s[4:5], s[14:15]
	s_cbranch_execz .LBB706_39
.LBB706_200:
	flat_load_dwordx2 v[194:195], v[4:5] offset:2048
	s_or_b64 exec, exec, s[4:5]
                                        ; implicit-def: $vgpr196_vgpr197
	s_and_saveexec_b64 s[4:5], s[16:17]
	s_cbranch_execz .LBB706_40
.LBB706_201:
	flat_load_dwordx2 v[196:197], v[4:5] offset:2560
	s_or_b64 exec, exec, s[4:5]
                                        ; implicit-def: $vgpr198_vgpr199
	s_and_saveexec_b64 s[4:5], s[18:19]
	s_cbranch_execz .LBB706_41
.LBB706_202:
	flat_load_dwordx2 v[198:199], v[4:5] offset:3072
	s_or_b64 exec, exec, s[4:5]
                                        ; implicit-def: $vgpr208_vgpr209
	s_and_saveexec_b64 s[4:5], s[20:21]
	s_cbranch_execz .LBB706_42
.LBB706_203:
	flat_load_dwordx2 v[208:209], v[4:5] offset:3584
	s_or_b64 exec, exec, s[4:5]
                                        ; implicit-def: $vgpr210_vgpr211
	s_and_saveexec_b64 s[4:5], s[22:23]
	s_cbranch_execz .LBB706_43
.LBB706_204:
	v_add_co_u32_e32 v70, vcc, 0x1000, v4
	v_addc_co_u32_e32 v71, vcc, 0, v5, vcc
	flat_load_dwordx2 v[210:211], v[70:71]
	s_or_b64 exec, exec, s[4:5]
                                        ; implicit-def: $vgpr212_vgpr213
	s_and_saveexec_b64 s[4:5], s[24:25]
	s_cbranch_execz .LBB706_44
.LBB706_205:
	v_add_co_u32_e32 v70, vcc, 0x1000, v4
	v_addc_co_u32_e32 v71, vcc, 0, v5, vcc
	flat_load_dwordx2 v[212:213], v[70:71] offset:512
	s_or_b64 exec, exec, s[4:5]
                                        ; implicit-def: $vgpr214_vgpr215
	s_and_saveexec_b64 s[4:5], s[26:27]
	s_cbranch_execz .LBB706_45
.LBB706_206:
	v_add_co_u32_e32 v70, vcc, 0x1000, v4
	v_addc_co_u32_e32 v71, vcc, 0, v5, vcc
	flat_load_dwordx2 v[214:215], v[70:71] offset:1024
	s_or_b64 exec, exec, s[4:5]
                                        ; implicit-def: $vgpr224_vgpr225
	s_and_saveexec_b64 s[4:5], s[28:29]
	s_cbranch_execz .LBB706_46
.LBB706_207:
	v_add_co_u32_e32 v70, vcc, 0x1000, v4
	v_addc_co_u32_e32 v71, vcc, 0, v5, vcc
	flat_load_dwordx2 v[224:225], v[70:71] offset:1536
	s_or_b64 exec, exec, s[4:5]
                                        ; implicit-def: $vgpr226_vgpr227
	s_and_saveexec_b64 s[4:5], s[30:31]
	s_cbranch_execz .LBB706_47
.LBB706_208:
	v_add_co_u32_e32 v70, vcc, 0x1000, v4
	v_addc_co_u32_e32 v71, vcc, 0, v5, vcc
	flat_load_dwordx2 v[226:227], v[70:71] offset:2048
	s_or_b64 exec, exec, s[4:5]
                                        ; implicit-def: $vgpr230_vgpr231
	s_and_saveexec_b64 s[4:5], s[34:35]
	s_cbranch_execz .LBB706_48
.LBB706_209:
	v_add_co_u32_e32 v70, vcc, 0x1000, v4
	v_addc_co_u32_e32 v71, vcc, 0, v5, vcc
	flat_load_dwordx2 v[230:231], v[70:71] offset:2560
	s_or_b64 exec, exec, s[4:5]
                                        ; implicit-def: $agpr0_agpr1
	s_and_saveexec_b64 s[4:5], s[36:37]
	s_cbranch_execz .LBB706_49
.LBB706_210:
	v_add_co_u32_e32 v70, vcc, 0x1000, v4
	v_addc_co_u32_e32 v71, vcc, 0, v5, vcc
	flat_load_dwordx2 a[0:1], v[70:71] offset:3072
	s_or_b64 exec, exec, s[4:5]
                                        ; implicit-def: $agpr2_agpr3
	s_and_saveexec_b64 s[4:5], s[38:39]
	s_cbranch_execnz .LBB706_50
	s_branch .LBB706_51
.LBB706_211:
	flat_store_dwordx2 v[0:1], v[38:39]
	s_or_b64 exec, exec, vcc
	s_and_saveexec_b64 s[4:5], s[6:7]
	s_cbranch_execz .LBB706_127
.LBB706_212:
	flat_store_dwordx2 v[0:1], v[36:37] offset:2048
	s_or_b64 exec, exec, s[4:5]
	s_and_saveexec_b64 s[4:5], s[10:11]
	s_cbranch_execz .LBB706_128
.LBB706_213:
	v_add_co_u32_e32 v2, vcc, 0x1000, v0
	v_addc_co_u32_e32 v3, vcc, 0, v1, vcc
	flat_store_dwordx2 v[2:3], v[34:35]
	s_or_b64 exec, exec, s[4:5]
	s_and_saveexec_b64 s[4:5], s[40:41]
	s_cbranch_execz .LBB706_129
.LBB706_214:
	v_add_co_u32_e32 v2, vcc, 0x1000, v0
	v_addc_co_u32_e32 v3, vcc, 0, v1, vcc
	flat_store_dwordx2 v[2:3], v[32:33] offset:2048
	s_or_b64 exec, exec, s[4:5]
	s_and_saveexec_b64 s[4:5], s[14:15]
	s_cbranch_execz .LBB706_130
.LBB706_215:
	v_add_co_u32_e32 v2, vcc, 0x2000, v0
	v_addc_co_u32_e32 v3, vcc, 0, v1, vcc
	flat_store_dwordx2 v[2:3], v[30:31]
	s_or_b64 exec, exec, s[4:5]
	s_and_saveexec_b64 s[4:5], s[16:17]
	s_cbranch_execz .LBB706_131
.LBB706_216:
	v_add_co_u32_e32 v2, vcc, 0x2000, v0
	v_addc_co_u32_e32 v3, vcc, 0, v1, vcc
	flat_store_dwordx2 v[2:3], v[28:29] offset:2048
	s_or_b64 exec, exec, s[4:5]
	s_and_saveexec_b64 s[4:5], s[18:19]
	s_cbranch_execz .LBB706_132
.LBB706_217:
	v_add_co_u32_e32 v2, vcc, 0x3000, v0
	v_addc_co_u32_e32 v3, vcc, 0, v1, vcc
	flat_store_dwordx2 v[2:3], v[26:27]
	s_or_b64 exec, exec, s[4:5]
	s_and_saveexec_b64 s[4:5], s[20:21]
	s_cbranch_execz .LBB706_133
.LBB706_218:
	v_add_co_u32_e32 v2, vcc, 0x3000, v0
	v_addc_co_u32_e32 v3, vcc, 0, v1, vcc
	flat_store_dwordx2 v[2:3], v[24:25] offset:2048
	s_or_b64 exec, exec, s[4:5]
	s_and_saveexec_b64 s[4:5], s[22:23]
	s_cbranch_execz .LBB706_134
.LBB706_219:
	v_add_co_u32_e32 v2, vcc, 0x4000, v0
	v_addc_co_u32_e32 v3, vcc, 0, v1, vcc
	flat_store_dwordx2 v[2:3], v[22:23]
	s_or_b64 exec, exec, s[4:5]
	s_and_saveexec_b64 s[4:5], s[24:25]
	s_cbranch_execz .LBB706_135
.LBB706_220:
	v_add_co_u32_e32 v2, vcc, 0x4000, v0
	v_addc_co_u32_e32 v3, vcc, 0, v1, vcc
	s_waitcnt vmcnt(0)
	flat_store_dwordx2 v[2:3], v[18:19] offset:2048
	s_or_b64 exec, exec, s[4:5]
	s_and_saveexec_b64 s[4:5], s[26:27]
	s_cbranch_execz .LBB706_136
.LBB706_221:
	v_add_co_u32_e32 v2, vcc, 0x5000, v0
	v_addc_co_u32_e32 v3, vcc, 0, v1, vcc
	s_waitcnt vmcnt(0)
	flat_store_dwordx2 v[2:3], v[16:17]
	s_or_b64 exec, exec, s[4:5]
	s_and_saveexec_b64 s[4:5], s[28:29]
	s_cbranch_execz .LBB706_137
.LBB706_222:
	v_add_co_u32_e32 v2, vcc, 0x5000, v0
	v_addc_co_u32_e32 v3, vcc, 0, v1, vcc
	s_waitcnt vmcnt(0)
	flat_store_dwordx2 v[2:3], v[14:15] offset:2048
	s_or_b64 exec, exec, s[4:5]
	s_and_saveexec_b64 s[4:5], s[30:31]
	s_cbranch_execz .LBB706_138
.LBB706_223:
	v_add_co_u32_e32 v2, vcc, 0x6000, v0
	v_addc_co_u32_e32 v3, vcc, 0, v1, vcc
	s_waitcnt vmcnt(0)
	flat_store_dwordx2 v[2:3], v[12:13]
	s_or_b64 exec, exec, s[4:5]
	s_and_saveexec_b64 s[4:5], s[34:35]
	s_cbranch_execz .LBB706_139
.LBB706_224:
	v_add_co_u32_e32 v2, vcc, 0x6000, v0
	v_addc_co_u32_e32 v3, vcc, 0, v1, vcc
	s_waitcnt vmcnt(0)
	flat_store_dwordx2 v[2:3], v[10:11] offset:2048
	s_or_b64 exec, exec, s[4:5]
	s_and_saveexec_b64 s[4:5], s[36:37]
	s_cbranch_execz .LBB706_140
.LBB706_225:
	v_add_co_u32_e32 v2, vcc, 0x7000, v0
	v_addc_co_u32_e32 v3, vcc, 0, v1, vcc
	s_waitcnt vmcnt(0)
	flat_store_dwordx2 v[2:3], v[8:9]
	s_or_b64 exec, exec, s[4:5]
	s_and_saveexec_b64 s[4:5], s[38:39]
	s_cbranch_execnz .LBB706_141
	s_branch .LBB706_142
.LBB706_226:
	s_or_b64 exec, exec, s[40:41]
	v_lshlrev_b32_e32 v1, 3, v22
	s_barrier
	flat_store_dwordx2 v[134:135], v[84:85]
	flat_store_dwordx2 v[144:145], v[82:83]
	;; [unrolled: 1-line block ×8, first 2 shown]
	v_add_co_u32_e32 v70, vcc, v12, v1
	v_addc_co_u32_e32 v71, vcc, 0, v13, vcc
	s_movk_i32 s4, 0x1000
	v_add_co_u32_e32 v80, vcc, s4, v70
	v_mov_b32_e32 v1, 0x2000
	v_addc_co_u32_e32 v81, vcc, 0, v71, vcc
	v_lshl_or_b32 v1, v22, 3, v1
	v_add_co_u32_e32 v82, vcc, v12, v1
	s_movk_i32 s4, 0x2000
	v_addc_co_u32_e32 v83, vcc, 0, v13, vcc
	v_add_co_u32_e32 v84, vcc, s4, v70
	v_addc_co_u32_e32 v85, vcc, 0, v71, vcc
	s_movk_i32 s4, 0x3000
	s_waitcnt vmcnt(0)
	v_add_co_u32_e32 v86, vcc, s4, v70
	s_waitcnt lgkmcnt(0)
	s_barrier
	flat_load_dwordx2 v[68:69], v[70:71]
	flat_load_dwordx2 v[66:67], v[70:71] offset:2048
	flat_load_dwordx2 v[64:65], v[80:81]
	flat_load_dwordx2 v[54:55], v[80:81] offset:2048
	v_addc_co_u32_e32 v87, vcc, 0, v71, vcc
	flat_load_dwordx2 v[52:53], v[82:83]
	flat_load_dwordx2 v[50:51], v[84:85] offset:2048
	flat_load_dwordx2 v[48:49], v[86:87]
	flat_load_dwordx2 v[38:39], v[86:87] offset:2048
	s_waitcnt lgkmcnt(0)
	s_barrier
	flat_store_dwordx2 v[134:135], v[36:37]
	flat_store_dwordx2 v[144:145], v[34:35]
	;; [unrolled: 1-line block ×8, first 2 shown]
	s_waitcnt lgkmcnt(0)
	s_barrier
	flat_load_dwordx2 v[22:23], v[70:71]
	flat_load_dwordx2 v[18:19], v[70:71] offset:2048
	flat_load_dwordx2 v[16:17], v[80:81]
	flat_load_dwordx2 v[14:15], v[80:81] offset:2048
	;; [unrolled: 2-line block ×4, first 2 shown]
	v_mov_b32_e32 v1, 0
	v_add_co_u32_e32 v24, vcc, v2, v20
	v_addc_co_u32_e32 v25, vcc, v3, v21, vcc
	v_lshlrev_b64 v[2:3], 3, v[0:1]
	v_add_co_u32_e32 v24, vcc, v24, v2
	v_addc_co_u32_e32 v25, vcc, v25, v3, vcc
	v_cmp_lt_u32_e64 s[4:5], v0, v142
	s_waitcnt lgkmcnt(0)
	s_barrier
	s_and_saveexec_b64 s[6:7], s[4:5]
	s_cbranch_execz .LBB706_228
; %bb.227:
	s_waitcnt vmcnt(0)
	v_xor_b32_e32 v27, 0x7fffffff, v69
	v_not_b32_e32 v26, v68
	flat_store_dwordx2 v[24:25], v[26:27]
.LBB706_228:
	s_or_b64 exec, exec, s[6:7]
	v_add_u32_e32 v1, 0x100, v0
	v_cmp_lt_u32_e64 s[6:7], v1, v142
	s_and_saveexec_b64 s[10:11], s[6:7]
	s_cbranch_execz .LBB706_230
; %bb.229:
	s_waitcnt vmcnt(0)
	v_xor_b32_e32 v27, 0x7fffffff, v67
	v_not_b32_e32 v26, v66
	flat_store_dwordx2 v[24:25], v[26:27] offset:2048
.LBB706_230:
	s_or_b64 exec, exec, s[10:11]
	v_add_u32_e32 v1, 0x200, v0
	v_cmp_lt_u32_e64 s[10:11], v1, v142
	s_and_saveexec_b64 s[14:15], s[10:11]
	s_cbranch_execz .LBB706_232
; %bb.231:
	v_add_co_u32_e32 v28, vcc, 0x1000, v24
	s_waitcnt vmcnt(0)
	v_xor_b32_e32 v27, 0x7fffffff, v65
	v_not_b32_e32 v26, v64
	v_addc_co_u32_e32 v29, vcc, 0, v25, vcc
	flat_store_dwordx2 v[28:29], v[26:27]
.LBB706_232:
	s_or_b64 exec, exec, s[14:15]
	v_add_u32_e32 v1, 0x300, v0
	v_cmp_lt_u32_e64 s[22:23], v1, v142
	s_and_saveexec_b64 s[14:15], s[22:23]
	s_cbranch_execz .LBB706_234
; %bb.233:
	v_add_co_u32_e32 v28, vcc, 0x1000, v24
	s_waitcnt vmcnt(0)
	v_xor_b32_e32 v27, 0x7fffffff, v55
	v_not_b32_e32 v26, v54
	v_addc_co_u32_e32 v29, vcc, 0, v25, vcc
	flat_store_dwordx2 v[28:29], v[26:27] offset:2048
.LBB706_234:
	s_or_b64 exec, exec, s[14:15]
	v_add_u32_e32 v1, 0x400, v0
	v_cmp_lt_u32_e64 s[14:15], v1, v142
	s_and_saveexec_b64 s[16:17], s[14:15]
	s_cbranch_execz .LBB706_236
; %bb.235:
	v_add_co_u32_e32 v28, vcc, 0x2000, v24
	s_waitcnt vmcnt(0)
	v_xor_b32_e32 v27, 0x7fffffff, v53
	v_not_b32_e32 v26, v52
	v_addc_co_u32_e32 v29, vcc, 0, v25, vcc
	flat_store_dwordx2 v[28:29], v[26:27]
.LBB706_236:
	s_or_b64 exec, exec, s[16:17]
	v_add_u32_e32 v1, 0x500, v0
	v_cmp_lt_u32_e64 s[16:17], v1, v142
	s_and_saveexec_b64 s[18:19], s[16:17]
	s_cbranch_execz .LBB706_238
; %bb.237:
	v_add_co_u32_e32 v28, vcc, 0x2000, v24
	s_waitcnt vmcnt(0)
	v_xor_b32_e32 v27, 0x7fffffff, v51
	v_not_b32_e32 v26, v50
	v_addc_co_u32_e32 v29, vcc, 0, v25, vcc
	flat_store_dwordx2 v[28:29], v[26:27] offset:2048
.LBB706_238:
	;; [unrolled: 26-line block ×3, first 2 shown]
	s_or_b64 exec, exec, s[24:25]
	v_add_co_u32_e32 v0, vcc, v6, v20
	v_addc_co_u32_e32 v1, vcc, v7, v21, vcc
	v_add_co_u32_e32 v0, vcc, v0, v2
	v_addc_co_u32_e32 v1, vcc, v1, v3, vcc
	s_and_saveexec_b64 s[24:25], s[4:5]
	s_cbranch_execnz .LBB706_292
; %bb.243:
	s_or_b64 exec, exec, s[24:25]
	s_and_saveexec_b64 s[4:5], s[6:7]
	s_cbranch_execnz .LBB706_293
.LBB706_244:
	s_or_b64 exec, exec, s[4:5]
	s_and_saveexec_b64 s[4:5], s[10:11]
	s_cbranch_execnz .LBB706_294
.LBB706_245:
	s_or_b64 exec, exec, s[4:5]
	s_and_saveexec_b64 s[4:5], s[22:23]
	s_cbranch_execnz .LBB706_295
.LBB706_246:
	s_or_b64 exec, exec, s[4:5]
	s_and_saveexec_b64 s[4:5], s[14:15]
	s_cbranch_execnz .LBB706_296
.LBB706_247:
	s_or_b64 exec, exec, s[4:5]
	s_and_saveexec_b64 s[4:5], s[16:17]
	s_cbranch_execnz .LBB706_297
.LBB706_248:
	s_or_b64 exec, exec, s[4:5]
	s_and_saveexec_b64 s[4:5], s[18:19]
	s_cbranch_execnz .LBB706_298
.LBB706_249:
	s_or_b64 exec, exec, s[4:5]
	s_and_saveexec_b64 s[4:5], s[20:21]
	s_cbranch_execz .LBB706_251
.LBB706_250:
	v_add_co_u32_e32 v0, vcc, 0x3000, v0
	v_addc_co_u32_e32 v1, vcc, 0, v1, vcc
	s_waitcnt vmcnt(0)
	flat_store_dwordx2 v[0:1], v[4:5] offset:2048
.LBB706_251:
	s_or_b64 exec, exec, s[4:5]
                                        ; implicit-def: $vgpr142
                                        ; implicit-def: $vgpr0
                                        ; implicit-def: $vgpr1
                                        ; implicit-def: $vgpr2
                                        ; implicit-def: $vgpr3
                                        ; implicit-def: $vgpr4
                                        ; implicit-def: $vgpr5
                                        ; implicit-def: $vgpr6
                                        ; implicit-def: $vgpr7
                                        ; implicit-def: $vgpr8
                                        ; implicit-def: $vgpr10
                                        ; implicit-def: $vgpr11
                                        ; implicit-def: $vgpr12
                                        ; implicit-def: $vgpr13
                                        ; implicit-def: $vgpr31
                                        ; implicit-def: $vgpr14
                                        ; implicit-def: $vgpr16
                                        ; implicit-def: $vgpr15
.LBB706_252:
	s_andn2_saveexec_b64 s[4:5], s[38:39]
	s_cbranch_execz .LBB706_372
; %bb.253:
	s_movk_i32 s4, 0x200
	v_cmp_lt_u32_e32 vcc, s4, v142
	s_and_saveexec_b64 s[4:5], vcc
	s_xor_b64 s[38:39], exec, s[4:5]
	s_cbranch_execz .LBB706_313
; %bb.254:
	s_load_dwordx2 s[4:5], s[8:9], 0x0
	s_waitcnt vmcnt(0)
	v_mov_b32_e32 v9, 0
	v_mbcnt_hi_u32_b32 v30, -1, v15
	v_lshlrev_b64 v[22:23], 3, v[8:9]
	v_and_b32_e32 v24, 0x3ff, v31
	s_waitcnt lgkmcnt(0)
	s_cmp_lt_u32 s12, s4
	s_cselect_b32 s6, 12, 18
	s_cmp_lt_u32 s13, s5
	s_cselect_b32 s4, 14, 20
	s_add_u32 s4, s8, s4
	s_addc_u32 s5, s9, 0
	s_add_u32 s6, s8, s6
	global_load_ushort v17, v9, s[4:5]
	s_addc_u32 s7, s9, 0
	global_load_ushort v18, v9, s[6:7]
	v_and_b32_e32 v31, 63, v30
	v_add_co_u32_e32 v0, vcc, v0, v22
	v_addc_co_u32_e32 v1, vcc, v1, v23, vcc
	v_lshlrev_b32_e32 v25, 3, v31
	v_add_co_u32_e32 v15, vcc, v0, v25
	v_addc_co_u32_e32 v19, vcc, 0, v1, vcc
	s_mov_b32 s16, 0
	s_brev_b32 s17, 1
	s_mov_b32 s18, s16
	s_mov_b32 s19, s17
	;; [unrolled: 1-line block ×6, first 2 shown]
	s_waitcnt vmcnt(1)
	v_mad_u32_u24 v0, v16, v17, v14
	s_waitcnt vmcnt(0)
	v_mad_u64_u32 v[0:1], s[4:5], v0, v18, v[24:25]
	v_lshlrev_b32_e32 v1, 2, v0
	v_and_b32_e32 v8, 0xffffff00, v1
	v_lshlrev_b64 v[26:27], 3, v[8:9]
	v_add_co_u32_e32 v28, vcc, v15, v26
	v_or_b32_e32 v1, v8, v31
	v_addc_co_u32_e32 v29, vcc, v19, v27, vcc
	v_pk_mov_b32 v[14:15], s[16:17], s[16:17] op_sel:[0,1]
	v_cmp_lt_u32_e32 vcc, v1, v142
	v_pk_mov_b32 v[16:17], s[18:19], s[18:19] op_sel:[0,1]
	v_pk_mov_b32 v[18:19], s[20:21], s[20:21] op_sel:[0,1]
	v_pk_mov_b32 v[20:21], s[22:23], s[22:23] op_sel:[0,1]
	s_and_saveexec_b64 s[4:5], vcc
	s_cbranch_execz .LBB706_256
; %bb.255:
	flat_load_dwordx2 v[14:15], v[28:29]
	v_bfrev_b32_e32 v17, 1
	v_mov_b32_e32 v16, v9
	v_mov_b32_e32 v18, v9
	v_mov_b32_e32 v19, v17
	v_mov_b32_e32 v20, v9
	v_mov_b32_e32 v21, v17
.LBB706_256:
	s_or_b64 exec, exec, s[4:5]
	v_or_b32_e32 v8, 64, v1
	v_cmp_lt_u32_e64 s[4:5], v8, v142
	s_and_saveexec_b64 s[6:7], s[4:5]
	s_cbranch_execz .LBB706_258
; %bb.257:
	flat_load_dwordx2 v[16:17], v[28:29] offset:512
.LBB706_258:
	s_or_b64 exec, exec, s[6:7]
	v_or_b32_e32 v8, 0x80, v1
	v_cmp_lt_u32_e64 s[6:7], v8, v142
	s_and_saveexec_b64 s[10:11], s[6:7]
	s_cbranch_execz .LBB706_260
; %bb.259:
	flat_load_dwordx2 v[18:19], v[28:29] offset:1024
.LBB706_260:
	s_or_b64 exec, exec, s[10:11]
	v_or_b32_e32 v1, 0xc0, v1
	v_cmp_lt_u32_e64 s[10:11], v1, v142
	s_and_saveexec_b64 s[14:15], s[10:11]
	s_cbranch_execz .LBB706_262
; %bb.261:
	flat_load_dwordx2 v[20:21], v[28:29] offset:1536
.LBB706_262:
	s_or_b64 exec, exec, s[14:15]
	v_add_co_u32_e64 v1, s[14:15], v4, v22
	v_addc_co_u32_e64 v4, s[14:15], v5, v23, s[14:15]
	v_add_co_u32_e64 v1, s[14:15], v1, v25
	v_addc_co_u32_e64 v5, s[14:15], 0, v4, s[14:15]
	;; [unrolled: 2-line block ×3, first 2 shown]
                                        ; implicit-def: $vgpr54_vgpr55
	s_and_saveexec_b64 s[14:15], vcc
	s_cbranch_execnz .LBB706_337
; %bb.263:
	s_or_b64 exec, exec, s[14:15]
                                        ; implicit-def: $vgpr64_vgpr65
	s_and_saveexec_b64 s[14:15], s[4:5]
	s_cbranch_execnz .LBB706_338
.LBB706_264:
	s_or_b64 exec, exec, s[14:15]
                                        ; implicit-def: $vgpr66_vgpr67
	s_and_saveexec_b64 s[4:5], s[6:7]
	s_cbranch_execnz .LBB706_339
.LBB706_265:
	s_or_b64 exec, exec, s[4:5]
                                        ; implicit-def: $vgpr70_vgpr71
	s_and_saveexec_b64 s[4:5], s[10:11]
	s_cbranch_execz .LBB706_267
.LBB706_266:
	flat_load_dwordx2 v[70:71], v[4:5] offset:1536
.LBB706_267:
	s_or_b64 exec, exec, s[4:5]
	v_add_co_u32_e32 v1, vcc, 16, v12
	v_addc_co_u32_e32 v25, vcc, 0, v13, vcc
	v_lshlrev_b32_e32 v4, 4, v24
	v_add_co_u32_e32 v4, vcc, v12, v4
	s_getpc_b64 s[4:5]
	s_add_u32 s4, s4, _ZN7rocprim17ROCPRIM_400000_NS16block_radix_sortIlLj256ELj4ElLj1ELj1ELj8ELNS0_26block_radix_rank_algorithmE2ELNS0_18block_padding_hintE2ELNS0_4arch9wavefront6targetE1EE19radix_bits_per_passE@rel32@lo+4
	s_addc_u32 s5, s5, _ZN7rocprim17ROCPRIM_400000_NS16block_radix_sortIlLj256ELj4ElLj1ELj1ELj8ELNS0_26block_radix_rank_algorithmE2ELNS0_18block_padding_hintE2ELNS0_4arch9wavefront6targetE1EE19radix_bits_per_passE@rel32@hi+12
	v_addc_co_u32_e32 v5, vcc, 0, v13, vcc
	v_and_b32_e32 v8, 15, v30
	s_load_dword s46, s[4:5], 0x0
	v_cmp_eq_u32_e32 vcc, 0, v8
	v_cmp_lt_u32_e64 s[4:5], 1, v8
	v_cmp_lt_u32_e64 s[6:7], 3, v8
	v_cmp_lt_u32_e64 s[10:11], 7, v8
	v_and_b32_e32 v8, 16, v30
	v_cmp_eq_u32_e64 s[30:31], 0, v8
	v_and_b32_e32 v8, 0x3c0, v24
	v_min_u32_e32 v8, 0xc0, v8
	v_or_b32_e32 v8, 63, v8
	v_cmp_eq_u32_e64 s[16:17], v8, v24
	v_add_u32_e32 v8, -1, v30
	v_and_b32_e32 v9, 64, v30
	v_cmp_lt_i32_e64 s[22:23], v8, v9
	v_lshrrev_b32_e32 v26, 6, v24
	v_cndmask_b32_e64 v8, v8, v30, s[22:23]
	v_lshlrev_b32_e32 v99, 2, v8
	v_lshlrev_b32_e32 v8, 2, v26
	v_add_co_u32_e64 v8, s[26:27], v12, v8
	s_waitcnt vmcnt(0) lgkmcnt(0)
	v_xor_b32_e32 v69, 0x7fffffff, v15
	v_lshlrev_b32_e32 v15, 2, v24
	v_addc_co_u32_e64 v9, s[26:27], 0, v13, s[26:27]
	v_xor_b32_e32 v80, -1, v20
	v_add_co_u32_e64 v20, s[26:27], v12, v15
	v_xor_b32_e32 v68, -1, v14
	v_xor_b32_e32 v81, 0x7fffffff, v21
	v_mov_b32_e32 v14, 0
	v_addc_co_u32_e64 v21, s[26:27], 0, v13, s[26:27]
	v_and_b32_e32 v27, 3, v30
	v_cmp_eq_u32_e64 s[26:27], 0, v27
	v_cmp_lt_u32_e64 s[28:29], 1, v27
	v_add_u32_e32 v26, -1, v26
	v_mov_b32_e32 v27, v14
	v_lshlrev_b64 v[26:27], 2, v[26:27]
	v_add_co_u32_e64 v34, s[34:35], v12, v26
	v_addc_co_u32_e64 v35, s[34:35], v13, v27, s[34:35]
	s_movk_i32 s34, 0xf00
	v_and_or_b32 v15, v15, s34, v31
	v_lshlrev_b32_e32 v15, 3, v15
	v_add_co_u32_e64 v36, s[34:35], v12, v15
	v_xor_b32_e32 v17, 0x7fffffff, v17
	v_xor_b32_e32 v16, -1, v16
	v_xor_b32_e32 v19, 0x7fffffff, v19
	v_xor_b32_e32 v18, -1, v18
	v_lshrrev_b32_e32 v98, 6, v0
	v_cmp_lt_u32_e64 s[14:15], 31, v30
	v_cmp_gt_u32_e64 s[18:19], 4, v24
	v_cmp_lt_u32_e64 s[20:21], 63, v24
	v_cmp_eq_u32_e64 s[22:23], 0, v30
	v_cmp_eq_u32_e64 s[24:25], 0, v24
	v_addc_co_u32_e64 v37, s[34:35], 0, v13, s[34:35]
	v_sub_u32_e32 v100, v11, v10
	s_mov_b64 s[40:41], 0
	s_barrier
	s_branch .LBB706_269
.LBB706_268:                            ;   in Loop: Header=BB706_269 Depth=1
	s_or_b64 exec, exec, s[36:37]
	s_and_b64 s[34:35], exec, s[44:45]
	s_or_b64 s[40:41], s[34:35], s[40:41]
	s_andn2_b64 exec, exec, s[40:41]
	s_cbranch_execz .LBB706_299
.LBB706_269:                            ; =>This Inner Loop Header: Depth=1
	s_waitcnt vmcnt(0)
	v_pk_mov_b32 v[48:49], v[18:19], v[18:19] op_sel:[0,1]
	v_pk_mov_b32 v[50:51], v[16:17], v[16:17] op_sel:[0,1]
	v_min_u32_e32 v18, s46, v100
	v_mov_b32_e32 v15, v14
	v_mov_b32_e32 v16, v14
	;; [unrolled: 1-line block ×3, first 2 shown]
	v_pk_mov_b32 v[52:53], v[68:69], v[68:69] op_sel:[0,1]
	flat_store_dwordx4 v[4:5], v[14:17] offset:16
	v_pk_mov_b32 v[32:33], v[54:55], v[54:55] op_sel:[0,1]
	v_lshlrev_b32_e64 v15, v18, -1
	v_not_b32_e32 v18, v15
	v_lshrrev_b64 v[16:17], v10, v[52:53]
	v_and_b32_e32 v19, v16, v18
	v_lshl_add_u32 v16, v19, 2, v98
	v_mov_b32_e32 v17, v14
	v_lshlrev_b64 v[16:17], 2, v[16:17]
	v_add_co_u32_e64 v54, s[34:35], v1, v16
	v_addc_co_u32_e64 v55, s[34:35], v25, v17, s[34:35]
	v_and_b32_e32 v15, 1, v19
	v_add_co_u32_e64 v16, s[34:35], -1, v15
	v_addc_co_u32_e64 v17, s[34:35], 0, -1, s[34:35]
	v_cmp_ne_u32_e64 s[34:35], 0, v15
	v_xor_b32_e32 v15, s35, v17
	v_and_b32_e32 v17, exec_hi, v15
	v_lshlrev_b32_e32 v15, 30, v19
	v_xor_b32_e32 v16, s34, v16
	v_cmp_gt_i64_e64 s[34:35], 0, v[14:15]
	v_not_b32_e32 v15, v15
	v_ashrrev_i32_e32 v15, 31, v15
	v_pk_mov_b32 v[30:31], v[64:65], v[64:65] op_sel:[0,1]
	v_and_b32_e32 v16, exec_lo, v16
	v_xor_b32_e32 v64, s35, v15
	v_xor_b32_e32 v15, s34, v15
	v_and_b32_e32 v16, v16, v15
	v_lshlrev_b32_e32 v15, 29, v19
	v_cmp_gt_i64_e64 s[34:35], 0, v[14:15]
	v_not_b32_e32 v15, v15
	v_ashrrev_i32_e32 v15, 31, v15
	v_and_b32_e32 v17, v17, v64
	v_xor_b32_e32 v64, s35, v15
	v_xor_b32_e32 v15, s34, v15
	v_and_b32_e32 v16, v16, v15
	v_lshlrev_b32_e32 v15, 28, v19
	v_cmp_gt_i64_e64 s[34:35], 0, v[14:15]
	v_not_b32_e32 v15, v15
	v_ashrrev_i32_e32 v15, 31, v15
	v_and_b32_e32 v17, v17, v64
	;; [unrolled: 8-line block ×5, first 2 shown]
	v_xor_b32_e32 v64, s35, v15
	v_xor_b32_e32 v15, s34, v15
	v_and_b32_e32 v16, v16, v15
	v_lshlrev_b32_e32 v15, 24, v19
	v_cmp_gt_i64_e64 s[34:35], 0, v[14:15]
	v_not_b32_e32 v15, v15
	v_ashrrev_i32_e32 v15, 31, v15
	v_xor_b32_e32 v19, s35, v15
	v_xor_b32_e32 v15, s34, v15
	v_and_b32_e32 v17, v17, v64
	v_and_b32_e32 v16, v16, v15
	v_and_b32_e32 v17, v17, v19
	v_mbcnt_lo_u32_b32 v15, v16, 0
	v_pk_mov_b32 v[26:27], v[70:71], v[70:71] op_sel:[0,1]
	v_mbcnt_hi_u32_b32 v70, v17, v15
	v_cmp_eq_u32_e64 s[34:35], 0, v70
	v_cmp_ne_u64_e64 s[36:37], 0, v[16:17]
	v_pk_mov_b32 v[38:39], v[80:81], v[80:81] op_sel:[0,1]
	v_pk_mov_b32 v[28:29], v[66:67], v[66:67] op_sel:[0,1]
	s_and_b64 s[36:37], s[36:37], s[34:35]
	s_waitcnt lgkmcnt(0)
	s_barrier
	s_waitcnt lgkmcnt(0)
	; wave barrier
	s_and_saveexec_b64 s[34:35], s[36:37]
	s_cbranch_execz .LBB706_271
; %bb.270:                              ;   in Loop: Header=BB706_269 Depth=1
	v_bcnt_u32_b32 v15, v16, 0
	v_bcnt_u32_b32 v15, v17, v15
	flat_store_dword v[54:55], v15
.LBB706_271:                            ;   in Loop: Header=BB706_269 Depth=1
	s_or_b64 exec, exec, s[34:35]
	v_lshrrev_b64 v[16:17], v10, v[50:51]
	v_and_b32_e32 v19, v16, v18
	v_lshl_add_u32 v16, v19, 2, v98
	v_mov_b32_e32 v17, v14
	v_lshlrev_b64 v[16:17], 2, v[16:17]
	v_add_co_u32_e64 v64, s[34:35], v1, v16
	v_addc_co_u32_e64 v65, s[34:35], v25, v17, s[34:35]
	; wave barrier
	flat_load_dword v71, v[64:65]
	v_and_b32_e32 v15, 1, v19
	v_add_co_u32_e64 v16, s[34:35], -1, v15
	v_addc_co_u32_e64 v17, s[34:35], 0, -1, s[34:35]
	v_cmp_ne_u32_e64 s[34:35], 0, v15
	v_xor_b32_e32 v15, s35, v17
	v_and_b32_e32 v17, exec_hi, v15
	v_lshlrev_b32_e32 v15, 30, v19
	v_xor_b32_e32 v16, s34, v16
	v_cmp_gt_i64_e64 s[34:35], 0, v[14:15]
	v_not_b32_e32 v15, v15
	v_ashrrev_i32_e32 v15, 31, v15
	v_and_b32_e32 v16, exec_lo, v16
	v_xor_b32_e32 v66, s35, v15
	v_xor_b32_e32 v15, s34, v15
	v_and_b32_e32 v16, v16, v15
	v_lshlrev_b32_e32 v15, 29, v19
	v_cmp_gt_i64_e64 s[34:35], 0, v[14:15]
	v_not_b32_e32 v15, v15
	v_ashrrev_i32_e32 v15, 31, v15
	v_and_b32_e32 v17, v17, v66
	v_xor_b32_e32 v66, s35, v15
	v_xor_b32_e32 v15, s34, v15
	v_and_b32_e32 v16, v16, v15
	v_lshlrev_b32_e32 v15, 28, v19
	v_cmp_gt_i64_e64 s[34:35], 0, v[14:15]
	v_not_b32_e32 v15, v15
	v_ashrrev_i32_e32 v15, 31, v15
	v_and_b32_e32 v17, v17, v66
	;; [unrolled: 8-line block ×5, first 2 shown]
	v_xor_b32_e32 v66, s35, v15
	v_xor_b32_e32 v15, s34, v15
	v_and_b32_e32 v16, v16, v15
	v_lshlrev_b32_e32 v15, 24, v19
	v_cmp_gt_i64_e64 s[34:35], 0, v[14:15]
	v_not_b32_e32 v15, v15
	v_ashrrev_i32_e32 v15, 31, v15
	v_xor_b32_e32 v19, s35, v15
	v_xor_b32_e32 v15, s34, v15
	v_and_b32_e32 v17, v17, v66
	v_and_b32_e32 v16, v16, v15
	;; [unrolled: 1-line block ×3, first 2 shown]
	v_mbcnt_lo_u32_b32 v15, v16, 0
	v_mbcnt_hi_u32_b32 v80, v17, v15
	v_cmp_eq_u32_e64 s[34:35], 0, v80
	v_cmp_ne_u64_e64 s[36:37], 0, v[16:17]
	s_and_b64 s[36:37], s[36:37], s[34:35]
	; wave barrier
	s_and_saveexec_b64 s[34:35], s[36:37]
	s_cbranch_execz .LBB706_273
; %bb.272:                              ;   in Loop: Header=BB706_269 Depth=1
	v_bcnt_u32_b32 v15, v16, 0
	v_bcnt_u32_b32 v15, v17, v15
	s_waitcnt vmcnt(0) lgkmcnt(0)
	v_add_u32_e32 v15, v71, v15
	flat_store_dword v[64:65], v15
.LBB706_273:                            ;   in Loop: Header=BB706_269 Depth=1
	s_or_b64 exec, exec, s[34:35]
	v_lshrrev_b64 v[16:17], v10, v[48:49]
	v_and_b32_e32 v19, v16, v18
	v_lshl_add_u32 v16, v19, 2, v98
	v_mov_b32_e32 v17, v14
	v_lshlrev_b64 v[16:17], 2, v[16:17]
	v_add_co_u32_e64 v66, s[34:35], v1, v16
	v_addc_co_u32_e64 v67, s[34:35], v25, v17, s[34:35]
	; wave barrier
	flat_load_dword v81, v[66:67]
	v_and_b32_e32 v15, 1, v19
	v_add_co_u32_e64 v16, s[34:35], -1, v15
	v_addc_co_u32_e64 v17, s[34:35], 0, -1, s[34:35]
	v_cmp_ne_u32_e64 s[34:35], 0, v15
	v_xor_b32_e32 v15, s35, v17
	v_and_b32_e32 v17, exec_hi, v15
	v_lshlrev_b32_e32 v15, 30, v19
	v_xor_b32_e32 v16, s34, v16
	v_cmp_gt_i64_e64 s[34:35], 0, v[14:15]
	v_not_b32_e32 v15, v15
	v_ashrrev_i32_e32 v15, 31, v15
	v_and_b32_e32 v16, exec_lo, v16
	v_xor_b32_e32 v68, s35, v15
	v_xor_b32_e32 v15, s34, v15
	v_and_b32_e32 v16, v16, v15
	v_lshlrev_b32_e32 v15, 29, v19
	v_cmp_gt_i64_e64 s[34:35], 0, v[14:15]
	v_not_b32_e32 v15, v15
	v_ashrrev_i32_e32 v15, 31, v15
	v_and_b32_e32 v17, v17, v68
	v_xor_b32_e32 v68, s35, v15
	v_xor_b32_e32 v15, s34, v15
	v_and_b32_e32 v16, v16, v15
	v_lshlrev_b32_e32 v15, 28, v19
	v_cmp_gt_i64_e64 s[34:35], 0, v[14:15]
	v_not_b32_e32 v15, v15
	v_ashrrev_i32_e32 v15, 31, v15
	v_and_b32_e32 v17, v17, v68
	v_xor_b32_e32 v68, s35, v15
	v_xor_b32_e32 v15, s34, v15
	v_and_b32_e32 v16, v16, v15
	v_lshlrev_b32_e32 v15, 27, v19
	v_cmp_gt_i64_e64 s[34:35], 0, v[14:15]
	v_not_b32_e32 v15, v15
	v_ashrrev_i32_e32 v15, 31, v15
	v_and_b32_e32 v17, v17, v68
	v_xor_b32_e32 v68, s35, v15
	v_xor_b32_e32 v15, s34, v15
	v_and_b32_e32 v16, v16, v15
	v_lshlrev_b32_e32 v15, 26, v19
	v_cmp_gt_i64_e64 s[34:35], 0, v[14:15]
	v_not_b32_e32 v15, v15
	v_ashrrev_i32_e32 v15, 31, v15
	v_and_b32_e32 v17, v17, v68
	v_xor_b32_e32 v68, s35, v15
	v_xor_b32_e32 v15, s34, v15
	v_and_b32_e32 v16, v16, v15
	v_lshlrev_b32_e32 v15, 25, v19
	v_cmp_gt_i64_e64 s[34:35], 0, v[14:15]
	v_not_b32_e32 v15, v15
	v_ashrrev_i32_e32 v15, 31, v15
	v_and_b32_e32 v17, v17, v68
	v_xor_b32_e32 v68, s35, v15
	v_xor_b32_e32 v15, s34, v15
	v_and_b32_e32 v16, v16, v15
	v_lshlrev_b32_e32 v15, 24, v19
	v_cmp_gt_i64_e64 s[34:35], 0, v[14:15]
	v_not_b32_e32 v15, v15
	v_ashrrev_i32_e32 v15, 31, v15
	v_xor_b32_e32 v19, s35, v15
	v_xor_b32_e32 v15, s34, v15
	v_and_b32_e32 v17, v17, v68
	v_and_b32_e32 v16, v16, v15
	;; [unrolled: 1-line block ×3, first 2 shown]
	v_mbcnt_lo_u32_b32 v15, v16, 0
	v_mbcnt_hi_u32_b32 v82, v17, v15
	v_cmp_eq_u32_e64 s[34:35], 0, v82
	v_cmp_ne_u64_e64 s[36:37], 0, v[16:17]
	s_and_b64 s[36:37], s[36:37], s[34:35]
	; wave barrier
	s_and_saveexec_b64 s[34:35], s[36:37]
	s_cbranch_execz .LBB706_275
; %bb.274:                              ;   in Loop: Header=BB706_269 Depth=1
	v_bcnt_u32_b32 v15, v16, 0
	v_bcnt_u32_b32 v15, v17, v15
	s_waitcnt vmcnt(0) lgkmcnt(0)
	v_add_u32_e32 v15, v81, v15
	flat_store_dword v[66:67], v15
.LBB706_275:                            ;   in Loop: Header=BB706_269 Depth=1
	s_or_b64 exec, exec, s[34:35]
	v_lshrrev_b64 v[16:17], v10, v[38:39]
	v_and_b32_e32 v18, v16, v18
	v_lshl_add_u32 v16, v18, 2, v98
	v_mov_b32_e32 v17, v14
	v_lshlrev_b64 v[16:17], 2, v[16:17]
	v_add_co_u32_e64 v68, s[34:35], v1, v16
	v_addc_co_u32_e64 v69, s[34:35], v25, v17, s[34:35]
	; wave barrier
	flat_load_dword v83, v[68:69]
	v_and_b32_e32 v15, 1, v18
	v_add_co_u32_e64 v16, s[34:35], -1, v15
	v_addc_co_u32_e64 v17, s[34:35], 0, -1, s[34:35]
	v_cmp_ne_u32_e64 s[34:35], 0, v15
	v_xor_b32_e32 v15, s35, v17
	v_and_b32_e32 v17, exec_hi, v15
	v_lshlrev_b32_e32 v15, 30, v18
	v_xor_b32_e32 v16, s34, v16
	v_cmp_gt_i64_e64 s[34:35], 0, v[14:15]
	v_not_b32_e32 v15, v15
	v_ashrrev_i32_e32 v15, 31, v15
	v_and_b32_e32 v16, exec_lo, v16
	v_xor_b32_e32 v19, s35, v15
	v_xor_b32_e32 v15, s34, v15
	v_and_b32_e32 v16, v16, v15
	v_lshlrev_b32_e32 v15, 29, v18
	v_cmp_gt_i64_e64 s[34:35], 0, v[14:15]
	v_not_b32_e32 v15, v15
	v_ashrrev_i32_e32 v15, 31, v15
	v_and_b32_e32 v17, v17, v19
	v_xor_b32_e32 v19, s35, v15
	v_xor_b32_e32 v15, s34, v15
	v_and_b32_e32 v16, v16, v15
	v_lshlrev_b32_e32 v15, 28, v18
	v_cmp_gt_i64_e64 s[34:35], 0, v[14:15]
	v_not_b32_e32 v15, v15
	v_ashrrev_i32_e32 v15, 31, v15
	v_and_b32_e32 v17, v17, v19
	;; [unrolled: 8-line block ×5, first 2 shown]
	v_xor_b32_e32 v19, s35, v15
	v_xor_b32_e32 v15, s34, v15
	v_and_b32_e32 v16, v16, v15
	v_lshlrev_b32_e32 v15, 24, v18
	v_cmp_gt_i64_e64 s[34:35], 0, v[14:15]
	v_not_b32_e32 v15, v15
	v_ashrrev_i32_e32 v15, 31, v15
	v_xor_b32_e32 v18, s35, v15
	v_xor_b32_e32 v15, s34, v15
	v_and_b32_e32 v17, v17, v19
	v_and_b32_e32 v16, v16, v15
	;; [unrolled: 1-line block ×3, first 2 shown]
	v_mbcnt_lo_u32_b32 v15, v16, 0
	v_mbcnt_hi_u32_b32 v15, v17, v15
	v_cmp_eq_u32_e64 s[34:35], 0, v15
	v_cmp_ne_u64_e64 s[36:37], 0, v[16:17]
	s_and_b64 s[36:37], s[36:37], s[34:35]
	; wave barrier
	s_and_saveexec_b64 s[34:35], s[36:37]
	s_cbranch_execz .LBB706_277
; %bb.276:                              ;   in Loop: Header=BB706_269 Depth=1
	v_bcnt_u32_b32 v16, v16, 0
	v_bcnt_u32_b32 v16, v17, v16
	s_waitcnt vmcnt(0) lgkmcnt(0)
	v_add_u32_e32 v16, v83, v16
	flat_store_dword v[68:69], v16
.LBB706_277:                            ;   in Loop: Header=BB706_269 Depth=1
	s_or_b64 exec, exec, s[34:35]
	; wave barrier
	s_waitcnt lgkmcnt(0)
	s_barrier
	flat_load_dwordx4 v[16:19], v[4:5] offset:16
	s_waitcnt vmcnt(0) lgkmcnt(0)
	v_add_u32_e32 v84, v17, v16
	v_add3_u32 v19, v84, v18, v19
	s_nop 1
	v_mov_b32_dpp v84, v19 row_shr:1 row_mask:0xf bank_mask:0xf
	v_cndmask_b32_e64 v84, v84, 0, vcc
	v_add_u32_e32 v19, v84, v19
	s_nop 1
	v_mov_b32_dpp v84, v19 row_shr:2 row_mask:0xf bank_mask:0xf
	v_cndmask_b32_e64 v84, 0, v84, s[4:5]
	v_add_u32_e32 v19, v19, v84
	s_nop 1
	v_mov_b32_dpp v84, v19 row_shr:4 row_mask:0xf bank_mask:0xf
	v_cndmask_b32_e64 v84, 0, v84, s[6:7]
	;; [unrolled: 4-line block ×3, first 2 shown]
	v_add_u32_e32 v19, v19, v84
	s_nop 1
	v_mov_b32_dpp v84, v19 row_bcast:15 row_mask:0xf bank_mask:0xf
	v_cndmask_b32_e64 v84, v84, 0, s[30:31]
	v_add_u32_e32 v19, v19, v84
	s_nop 1
	v_mov_b32_dpp v84, v19 row_bcast:31 row_mask:0xf bank_mask:0xf
	v_cndmask_b32_e64 v84, 0, v84, s[14:15]
	v_add_u32_e32 v19, v19, v84
	s_and_saveexec_b64 s[34:35], s[16:17]
	s_cbranch_execz .LBB706_279
; %bb.278:                              ;   in Loop: Header=BB706_269 Depth=1
	flat_store_dword v[8:9], v19
.LBB706_279:                            ;   in Loop: Header=BB706_269 Depth=1
	s_or_b64 exec, exec, s[34:35]
	s_waitcnt lgkmcnt(0)
	s_barrier
	s_and_saveexec_b64 s[34:35], s[18:19]
	s_cbranch_execz .LBB706_281
; %bb.280:                              ;   in Loop: Header=BB706_269 Depth=1
	flat_load_dword v84, v[20:21]
	s_waitcnt vmcnt(0) lgkmcnt(0)
	s_nop 0
	v_mov_b32_dpp v85, v84 row_shr:1 row_mask:0xf bank_mask:0xf
	v_cndmask_b32_e64 v85, v85, 0, s[26:27]
	v_add_u32_e32 v84, v85, v84
	s_nop 1
	v_mov_b32_dpp v85, v84 row_shr:2 row_mask:0xf bank_mask:0xf
	v_cndmask_b32_e64 v85, 0, v85, s[28:29]
	v_add_u32_e32 v84, v84, v85
	flat_store_dword v[20:21], v84
.LBB706_281:                            ;   in Loop: Header=BB706_269 Depth=1
	s_or_b64 exec, exec, s[34:35]
	v_mov_b32_e32 v84, 0
	s_waitcnt lgkmcnt(0)
	s_barrier
	s_and_saveexec_b64 s[34:35], s[20:21]
	s_cbranch_execz .LBB706_283
; %bb.282:                              ;   in Loop: Header=BB706_269 Depth=1
	flat_load_dword v84, v[34:35]
.LBB706_283:                            ;   in Loop: Header=BB706_269 Depth=1
	s_or_b64 exec, exec, s[34:35]
	s_waitcnt vmcnt(0) lgkmcnt(0)
	v_add_u32_e32 v19, v84, v19
	ds_bpermute_b32 v19, v99, v19
	v_add_u32_e32 v10, 8, v10
	v_cmp_lt_u32_e64 s[34:35], v10, v11
	s_mov_b64 s[44:45], -1
	s_waitcnt lgkmcnt(0)
	v_cndmask_b32_e64 v19, v19, v84, s[22:23]
	v_cndmask_b32_e64 v84, v19, 0, s[24:25]
	v_add_u32_e32 v85, v84, v16
	v_add_u32_e32 v86, v85, v17
	;; [unrolled: 1-line block ×3, first 2 shown]
	flat_store_dwordx4 v[4:5], v[84:87] offset:16
	s_waitcnt lgkmcnt(0)
	s_barrier
	flat_load_dword v16, v[54:55]
	flat_load_dword v18, v[64:65]
	;; [unrolled: 1-line block ×4, first 2 shown]
	v_mov_b32_e32 v17, v14
	v_mov_b32_e32 v19, v14
	;; [unrolled: 1-line block ×4, first 2 shown]
	s_waitcnt lgkmcnt(0)
                                        ; implicit-def: $vgpr68_vgpr69
                                        ; implicit-def: $vgpr66_vgpr67
	s_waitcnt vmcnt(0) lgkmcnt(0)
	v_add_u32_e32 v16, v16, v70
	v_lshlrev_b64 v[16:17], 3, v[16:17]
	v_add3_u32 v18, v80, v71, v18
	v_add3_u32 v54, v82, v81, v84
	v_add_co_u32_e64 v82, s[36:37], v12, v16
	v_add3_u32 v64, v15, v83, v85
	v_lshlrev_b64 v[18:19], 3, v[18:19]
	v_addc_co_u32_e64 v83, s[36:37], v13, v17, s[36:37]
	v_add_co_u32_e64 v84, s[36:37], v12, v18
	v_lshlrev_b64 v[54:55], 3, v[54:55]
	v_addc_co_u32_e64 v85, s[36:37], v13, v19, s[36:37]
	v_add_co_u32_e64 v86, s[36:37], v12, v54
	;; [unrolled: 3-line block ×3, first 2 shown]
	v_addc_co_u32_e64 v97, s[36:37], v13, v65, s[36:37]
                                        ; implicit-def: $vgpr80_vgpr81
                                        ; implicit-def: $vgpr18_vgpr19
                                        ; implicit-def: $vgpr16_vgpr17
                                        ; implicit-def: $vgpr54_vgpr55
                                        ; implicit-def: $vgpr64_vgpr65
                                        ; implicit-def: $vgpr70_vgpr71
	s_and_saveexec_b64 s[36:37], s[34:35]
	s_cbranch_execz .LBB706_268
; %bb.284:                              ;   in Loop: Header=BB706_269 Depth=1
	s_barrier
	flat_store_dwordx2 v[82:83], v[52:53]
	flat_store_dwordx2 v[84:85], v[50:51]
	;; [unrolled: 1-line block ×4, first 2 shown]
	s_waitcnt lgkmcnt(0)
	s_barrier
	flat_load_dwordx2 v[68:69], v[36:37]
	flat_load_dwordx2 v[16:17], v[36:37] offset:512
	flat_load_dwordx2 v[18:19], v[36:37] offset:1024
	;; [unrolled: 1-line block ×3, first 2 shown]
	s_waitcnt lgkmcnt(0)
	s_barrier
	flat_store_dwordx2 v[82:83], v[32:33]
	flat_store_dwordx2 v[84:85], v[30:31]
	;; [unrolled: 1-line block ×4, first 2 shown]
	s_waitcnt lgkmcnt(0)
	s_barrier
	flat_load_dwordx2 v[54:55], v[36:37]
	flat_load_dwordx2 v[64:65], v[36:37] offset:512
	flat_load_dwordx2 v[66:67], v[36:37] offset:1024
	;; [unrolled: 1-line block ×3, first 2 shown]
	v_add_u32_e32 v100, -8, v100
	s_xor_b64 s[44:45], exec, -1
	s_waitcnt lgkmcnt(0)
	s_barrier
	s_branch .LBB706_268
.LBB706_285:
	flat_load_dwordx2 v[16:17], v[4:5]
	s_or_b64 exec, exec, s[22:23]
                                        ; implicit-def: $vgpr18_vgpr19
	s_and_saveexec_b64 s[22:23], s[4:5]
	s_cbranch_execz .LBB706_163
.LBB706_286:
	flat_load_dwordx2 v[18:19], v[4:5] offset:512
	s_or_b64 exec, exec, s[22:23]
                                        ; implicit-def: $vgpr86_vgpr87
	s_and_saveexec_b64 s[4:5], s[6:7]
	s_cbranch_execz .LBB706_164
.LBB706_287:
	flat_load_dwordx2 v[86:87], v[4:5] offset:1024
	s_or_b64 exec, exec, s[4:5]
                                        ; implicit-def: $vgpr96_vgpr97
	s_and_saveexec_b64 s[4:5], s[10:11]
	s_cbranch_execz .LBB706_165
.LBB706_288:
	flat_load_dwordx2 v[96:97], v[4:5] offset:1536
	s_or_b64 exec, exec, s[4:5]
                                        ; implicit-def: $vgpr98_vgpr99
	s_and_saveexec_b64 s[4:5], s[20:21]
	s_cbranch_execz .LBB706_166
.LBB706_289:
	flat_load_dwordx2 v[98:99], v[4:5] offset:2048
	s_or_b64 exec, exec, s[4:5]
                                        ; implicit-def: $vgpr100_vgpr101
	s_and_saveexec_b64 s[4:5], s[14:15]
	s_cbranch_execz .LBB706_167
.LBB706_290:
	flat_load_dwordx2 v[100:101], v[4:5] offset:2560
	s_or_b64 exec, exec, s[4:5]
                                        ; implicit-def: $vgpr112_vgpr113
	s_and_saveexec_b64 s[4:5], s[16:17]
	s_cbranch_execz .LBB706_168
.LBB706_291:
	flat_load_dwordx2 v[112:113], v[4:5] offset:3072
	s_or_b64 exec, exec, s[4:5]
                                        ; implicit-def: $vgpr118_vgpr119
	s_and_saveexec_b64 s[4:5], s[18:19]
	s_cbranch_execnz .LBB706_169
	s_branch .LBB706_170
.LBB706_292:
	s_waitcnt vmcnt(0)
	flat_store_dwordx2 v[0:1], v[22:23]
	s_or_b64 exec, exec, s[24:25]
	s_and_saveexec_b64 s[4:5], s[6:7]
	s_cbranch_execz .LBB706_244
.LBB706_293:
	s_waitcnt vmcnt(0)
	flat_store_dwordx2 v[0:1], v[18:19] offset:2048
	s_or_b64 exec, exec, s[4:5]
	s_and_saveexec_b64 s[4:5], s[10:11]
	s_cbranch_execz .LBB706_245
.LBB706_294:
	v_add_co_u32_e32 v2, vcc, 0x1000, v0
	v_addc_co_u32_e32 v3, vcc, 0, v1, vcc
	s_waitcnt vmcnt(0)
	flat_store_dwordx2 v[2:3], v[16:17]
	s_or_b64 exec, exec, s[4:5]
	s_and_saveexec_b64 s[4:5], s[22:23]
	s_cbranch_execz .LBB706_246
.LBB706_295:
	v_add_co_u32_e32 v2, vcc, 0x1000, v0
	v_addc_co_u32_e32 v3, vcc, 0, v1, vcc
	s_waitcnt vmcnt(0)
	flat_store_dwordx2 v[2:3], v[14:15] offset:2048
	s_or_b64 exec, exec, s[4:5]
	s_and_saveexec_b64 s[4:5], s[14:15]
	s_cbranch_execz .LBB706_247
.LBB706_296:
	v_add_co_u32_e32 v2, vcc, 0x2000, v0
	v_addc_co_u32_e32 v3, vcc, 0, v1, vcc
	s_waitcnt vmcnt(0)
	flat_store_dwordx2 v[2:3], v[12:13]
	s_or_b64 exec, exec, s[4:5]
	s_and_saveexec_b64 s[4:5], s[16:17]
	s_cbranch_execz .LBB706_248
.LBB706_297:
	v_add_co_u32_e32 v2, vcc, 0x2000, v0
	v_addc_co_u32_e32 v3, vcc, 0, v1, vcc
	s_waitcnt vmcnt(0)
	flat_store_dwordx2 v[2:3], v[10:11] offset:2048
	s_or_b64 exec, exec, s[4:5]
	s_and_saveexec_b64 s[4:5], s[18:19]
	s_cbranch_execz .LBB706_249
.LBB706_298:
	v_add_co_u32_e32 v2, vcc, 0x3000, v0
	v_addc_co_u32_e32 v3, vcc, 0, v1, vcc
	s_waitcnt vmcnt(0)
	flat_store_dwordx2 v[2:3], v[8:9]
	s_or_b64 exec, exec, s[4:5]
	s_and_saveexec_b64 s[4:5], s[20:21]
	s_cbranch_execnz .LBB706_250
	s_branch .LBB706_251
.LBB706_299:
	s_or_b64 exec, exec, s[40:41]
	v_lshlrev_b32_e32 v1, 3, v24
	s_waitcnt vmcnt(0)
	v_add_co_u32_e32 v18, vcc, v12, v1
	v_addc_co_u32_e32 v19, vcc, 0, v13, vcc
	s_movk_i32 s4, 0x1000
	v_add_co_u32_e32 v34, vcc, s4, v18
	s_barrier
	flat_store_dwordx2 v[82:83], v[52:53]
	flat_store_dwordx2 v[84:85], v[50:51]
	;; [unrolled: 1-line block ×4, first 2 shown]
	s_waitcnt lgkmcnt(0)
	s_barrier
	v_addc_co_u32_e32 v35, vcc, 0, v19, vcc
	flat_load_dwordx2 v[24:25], v[18:19]
	flat_load_dwordx2 v[20:21], v[18:19] offset:2048
	flat_load_dwordx2 v[16:17], v[34:35]
	flat_load_dwordx2 v[14:15], v[34:35] offset:2048
	s_waitcnt lgkmcnt(0)
	s_barrier
	flat_store_dwordx2 v[82:83], v[32:33]
	flat_store_dwordx2 v[84:85], v[30:31]
	;; [unrolled: 1-line block ×4, first 2 shown]
	s_waitcnt lgkmcnt(0)
	s_barrier
	flat_load_dwordx2 v[12:13], v[18:19]
	flat_load_dwordx2 v[10:11], v[18:19] offset:2048
	flat_load_dwordx2 v[8:9], v[34:35]
	flat_load_dwordx2 v[4:5], v[34:35] offset:2048
	v_mov_b32_e32 v1, 0
	v_add_co_u32_e32 v18, vcc, v2, v22
	v_addc_co_u32_e32 v19, vcc, v3, v23, vcc
	v_lshlrev_b64 v[2:3], 3, v[0:1]
	v_add_co_u32_e32 v18, vcc, v18, v2
	v_addc_co_u32_e32 v19, vcc, v19, v3, vcc
	v_cmp_lt_u32_e64 s[4:5], v0, v142
	s_waitcnt lgkmcnt(0)
	s_barrier
	s_and_saveexec_b64 s[6:7], s[4:5]
	s_cbranch_execz .LBB706_301
; %bb.300:
	s_waitcnt vmcnt(0)
	v_xor_b32_e32 v25, 0x7fffffff, v25
	v_not_b32_e32 v24, v24
	flat_store_dwordx2 v[18:19], v[24:25]
.LBB706_301:
	s_or_b64 exec, exec, s[6:7]
	v_add_u32_e32 v1, 0x100, v0
	v_cmp_lt_u32_e64 s[6:7], v1, v142
	s_and_saveexec_b64 s[10:11], s[6:7]
	s_cbranch_execz .LBB706_303
; %bb.302:
	s_waitcnt vmcnt(0)
	v_xor_b32_e32 v21, 0x7fffffff, v21
	v_not_b32_e32 v20, v20
	flat_store_dwordx2 v[18:19], v[20:21] offset:2048
.LBB706_303:
	s_or_b64 exec, exec, s[10:11]
	v_add_u32_e32 v1, 0x200, v0
	v_cmp_lt_u32_e64 s[10:11], v1, v142
	s_and_saveexec_b64 s[14:15], s[10:11]
	s_cbranch_execz .LBB706_305
; %bb.304:
	s_waitcnt vmcnt(0)
	v_add_co_u32_e32 v20, vcc, 0x1000, v18
	v_xor_b32_e32 v17, 0x7fffffff, v17
	v_not_b32_e32 v16, v16
	v_addc_co_u32_e32 v21, vcc, 0, v19, vcc
	flat_store_dwordx2 v[20:21], v[16:17]
.LBB706_305:
	s_or_b64 exec, exec, s[14:15]
	v_add_u32_e32 v0, 0x300, v0
	v_cmp_lt_u32_e64 s[14:15], v0, v142
	s_and_saveexec_b64 s[16:17], s[14:15]
	s_cbranch_execz .LBB706_307
; %bb.306:
	s_waitcnt vmcnt(0)
	v_not_b32_e32 v0, v14
	v_add_co_u32_e32 v14, vcc, 0x1000, v18
	v_xor_b32_e32 v1, 0x7fffffff, v15
	v_addc_co_u32_e32 v15, vcc, 0, v19, vcc
	flat_store_dwordx2 v[14:15], v[0:1] offset:2048
.LBB706_307:
	s_or_b64 exec, exec, s[16:17]
	v_add_co_u32_e32 v0, vcc, v6, v22
	v_addc_co_u32_e32 v1, vcc, v7, v23, vcc
	v_add_co_u32_e32 v0, vcc, v0, v2
	v_addc_co_u32_e32 v1, vcc, v1, v3, vcc
	s_and_saveexec_b64 s[16:17], s[4:5]
	s_cbranch_execnz .LBB706_340
; %bb.308:
	s_or_b64 exec, exec, s[16:17]
	s_and_saveexec_b64 s[4:5], s[6:7]
	s_cbranch_execnz .LBB706_341
.LBB706_309:
	s_or_b64 exec, exec, s[4:5]
	s_and_saveexec_b64 s[4:5], s[10:11]
	s_cbranch_execnz .LBB706_342
.LBB706_310:
	s_or_b64 exec, exec, s[4:5]
	s_and_saveexec_b64 s[4:5], s[14:15]
	s_cbranch_execz .LBB706_312
.LBB706_311:
	v_add_co_u32_e32 v0, vcc, 0x1000, v0
	v_addc_co_u32_e32 v1, vcc, 0, v1, vcc
	s_waitcnt vmcnt(0)
	flat_store_dwordx2 v[0:1], v[4:5] offset:2048
.LBB706_312:
	s_or_b64 exec, exec, s[4:5]
                                        ; implicit-def: $vgpr142
                                        ; implicit-def: $vgpr0
                                        ; implicit-def: $vgpr1
                                        ; implicit-def: $vgpr2
                                        ; implicit-def: $vgpr3
                                        ; implicit-def: $vgpr4
                                        ; implicit-def: $vgpr5
                                        ; implicit-def: $vgpr6
                                        ; implicit-def: $vgpr7
                                        ; implicit-def: $vgpr8
                                        ; implicit-def: $vgpr10
                                        ; implicit-def: $vgpr11
                                        ; implicit-def: $vgpr12
                                        ; implicit-def: $vgpr13
                                        ; implicit-def: $vgpr31
                                        ; implicit-def: $vgpr14
                                        ; implicit-def: $vgpr16
                                        ; implicit-def: $vgpr15
.LBB706_313:
	s_andn2_saveexec_b64 s[4:5], s[38:39]
	s_cbranch_execz .LBB706_372
; %bb.314:
	s_load_dwordx2 s[4:5], s[8:9], 0x0
	s_waitcnt vmcnt(0)
	v_mov_b32_e32 v9, 0
	v_and_b32_e32 v26, 0x3ff, v31
	v_lshlrev_b64 v[22:23], 3, v[8:9]
	s_waitcnt lgkmcnt(0)
	s_cmp_lt_u32 s12, s4
	s_cselect_b32 s6, 12, 18
	s_cmp_lt_u32 s13, s5
	s_cselect_b32 s4, 14, 20
	s_add_u32 s4, s8, s4
	s_addc_u32 s5, s9, 0
	s_add_u32 s6, s8, s6
	global_load_ushort v17, v9, s[4:5]
	s_addc_u32 s7, s9, 0
	global_load_ushort v18, v9, s[6:7]
	s_movk_i32 s5, 0x100
	s_mov_b32 s4, 0
	v_cmp_lt_u32_e32 vcc, s5, v142
	s_waitcnt vmcnt(1)
	v_mad_u32_u24 v14, v16, v17, v14
	s_waitcnt vmcnt(0)
	v_mad_u64_u32 v[24:25], s[6:7], v14, v18, v[26:27]
	s_and_saveexec_b64 s[6:7], vcc
	s_xor_b64 s[34:35], exec, s[6:7]
	s_cbranch_execz .LBB706_352
; %bb.315:
	v_mbcnt_hi_u32_b32 v30, -1, v15
	v_add_co_u32_e32 v0, vcc, v0, v22
	v_and_b32_e32 v32, 63, v30
	v_addc_co_u32_e32 v1, vcc, v1, v23, vcc
	v_lshlrev_b32_e32 v8, 1, v24
	v_lshlrev_b32_e32 v20, 3, v32
	v_and_b32_e32 v8, 0xffffff80, v8
	v_add_co_u32_e32 v14, vcc, v0, v20
	v_addc_co_u32_e32 v15, vcc, 0, v1, vcc
	v_lshlrev_b64 v[0:1], 3, v[8:9]
	s_brev_b32 s5, 1
	v_add_co_u32_e32 v18, vcc, v14, v0
	s_mov_b32 s6, s4
	s_mov_b32 s7, s5
	v_addc_co_u32_e32 v19, vcc, v15, v1, vcc
	v_or_b32_e32 v8, v32, v8
	v_pk_mov_b32 v[16:17], s[6:7], s[6:7] op_sel:[0,1]
	v_cmp_lt_u32_e32 vcc, v8, v142
	v_pk_mov_b32 v[14:15], s[4:5], s[4:5] op_sel:[0,1]
	s_and_saveexec_b64 s[4:5], vcc
	s_cbranch_execz .LBB706_317
; %bb.316:
	flat_load_dwordx2 v[14:15], v[18:19]
	v_mov_b32_e32 v16, 0
	v_bfrev_b32_e32 v17, 1
.LBB706_317:
	s_or_b64 exec, exec, s[4:5]
	v_or_b32_e32 v8, 64, v8
	v_cmp_lt_u32_e64 s[4:5], v8, v142
	s_and_saveexec_b64 s[6:7], s[4:5]
	s_cbranch_execz .LBB706_319
; %bb.318:
	flat_load_dwordx2 v[16:17], v[18:19] offset:512
.LBB706_319:
	s_or_b64 exec, exec, s[6:7]
	v_add_co_u32_e64 v4, s[6:7], v4, v22
	v_addc_co_u32_e64 v5, s[6:7], v5, v23, s[6:7]
	v_add_co_u32_e64 v4, s[6:7], v4, v20
	v_addc_co_u32_e64 v5, s[6:7], 0, v5, s[6:7]
	;; [unrolled: 2-line block ×3, first 2 shown]
                                        ; implicit-def: $vgpr18_vgpr19
	s_and_saveexec_b64 s[6:7], vcc
	s_cbranch_execz .LBB706_321
; %bb.320:
	flat_load_dwordx2 v[18:19], v[0:1]
.LBB706_321:
	s_or_b64 exec, exec, s[6:7]
                                        ; implicit-def: $vgpr20_vgpr21
	s_and_saveexec_b64 s[6:7], s[4:5]
	s_cbranch_execz .LBB706_323
; %bb.322:
	flat_load_dwordx2 v[20:21], v[0:1] offset:512
.LBB706_323:
	s_or_b64 exec, exec, s[6:7]
	v_add_co_u32_e32 v25, vcc, 16, v12
	v_addc_co_u32_e32 v27, vcc, 0, v13, vcc
	v_lshlrev_b32_e32 v4, 4, v26
	v_add_co_u32_e32 v4, vcc, v12, v4
	s_getpc_b64 s[4:5]
	s_add_u32 s4, s4, _ZN7rocprim17ROCPRIM_400000_NS16block_radix_sortIlLj256ELj2ElLj1ELj1ELj8ELNS0_26block_radix_rank_algorithmE2ELNS0_18block_padding_hintE2ELNS0_4arch9wavefront6targetE1EE19radix_bits_per_passE@rel32@lo+4
	s_addc_u32 s5, s5, _ZN7rocprim17ROCPRIM_400000_NS16block_radix_sortIlLj256ELj2ElLj1ELj1ELj8ELNS0_26block_radix_rank_algorithmE2ELNS0_18block_padding_hintE2ELNS0_4arch9wavefront6targetE1EE19radix_bits_per_passE@rel32@hi+12
	v_addc_co_u32_e32 v5, vcc, 0, v13, vcc
	v_and_b32_e32 v8, 15, v30
	s_load_dword s40, s[4:5], 0x0
	v_cmp_eq_u32_e32 vcc, 0, v8
	v_cmp_lt_u32_e64 s[4:5], 1, v8
	v_cmp_lt_u32_e64 s[6:7], 3, v8
	;; [unrolled: 1-line block ×3, first 2 shown]
	v_and_b32_e32 v8, 16, v30
	v_cmp_eq_u32_e64 s[10:11], 0, v8
	v_and_b32_e32 v8, 0x3c0, v26
	v_min_u32_e32 v8, 0xc0, v8
	v_or_b32_e32 v8, 63, v8
	v_cmp_eq_u32_e64 s[14:15], v8, v26
	v_add_u32_e32 v8, -1, v30
	v_and_b32_e32 v9, 64, v30
	v_cmp_lt_i32_e64 s[20:21], v8, v9
	s_waitcnt vmcnt(0) lgkmcnt(0)
	v_xor_b32_e32 v50, -1, v14
	v_lshrrev_b32_e32 v14, 6, v26
	v_cndmask_b32_e64 v8, v8, v30, s[20:21]
	v_lshlrev_b32_e32 v67, 2, v8
	v_lshlrev_b32_e32 v8, 2, v14
	v_add_co_u32_e64 v8, s[24:25], v12, v8
	v_lshlrev_b32_e32 v0, 2, v26
	v_addc_co_u32_e64 v9, s[24:25], 0, v13, s[24:25]
	v_add_co_u32_e64 v28, s[24:25], v12, v0
	v_addc_co_u32_e64 v29, s[24:25], 0, v13, s[24:25]
	v_and_b32_e32 v0, 3, v30
	v_mov_b32_e32 v1, 0
	v_cmp_eq_u32_e64 s[24:25], 0, v0
	v_cmp_lt_u32_e64 s[26:27], 1, v0
	v_add_u32_e32 v0, -1, v14
	v_xor_b32_e32 v51, 0x7fffffff, v15
	v_lshlrev_b64 v[14:15], 2, v[0:1]
	v_cmp_lt_u32_e64 s[12:13], 31, v30
	v_cmp_eq_u32_e64 s[20:21], 0, v30
	v_add_co_u32_e64 v30, s[28:29], v12, v14
	v_addc_co_u32_e64 v31, s[28:29], v13, v15, s[28:29]
	v_lshlrev_b32_e32 v0, 1, v26
	s_movk_i32 s28, 0x780
	v_and_or_b32 v0, v0, s28, v32
	v_lshlrev_b32_e32 v0, 3, v0
	v_add_co_u32_e64 v34, s[28:29], v12, v0
	v_xor_b32_e32 v53, 0x7fffffff, v17
	v_xor_b32_e32 v52, -1, v16
	v_lshrrev_b32_e32 v66, 6, v24
	v_cmp_gt_u32_e64 s[16:17], 4, v26
	v_cmp_lt_u32_e64 s[18:19], 63, v26
	v_cmp_eq_u32_e64 s[22:23], 0, v26
	v_addc_co_u32_e64 v35, s[28:29], 0, v13, s[28:29]
	v_sub_u32_e32 v68, v11, v10
	s_mov_b64 s[36:37], 0
	v_mov_b32_e32 v14, v1
	v_mov_b32_e32 v15, v1
	;; [unrolled: 1-line block ×4, first 2 shown]
	s_barrier
	s_branch .LBB706_325
.LBB706_324:                            ;   in Loop: Header=BB706_325 Depth=1
	s_or_b64 exec, exec, s[30:31]
	s_and_b64 s[28:29], exec, s[38:39]
	s_or_b64 s[36:37], s[28:29], s[36:37]
	s_andn2_b64 exec, exec, s[36:37]
	s_cbranch_execz .LBB706_343
.LBB706_325:                            ; =>This Inner Loop Header: Depth=1
	v_min_u32_e32 v0, s40, v68
	s_waitcnt vmcnt(0)
	v_pk_mov_b32 v[48:49], v[50:51], v[50:51] op_sel:[0,1]
	v_lshlrev_b32_e64 v0, v0, -1
	v_pk_mov_b32 v[32:33], v[20:21], v[20:21] op_sel:[0,1]
	v_pk_mov_b32 v[36:37], v[18:19], v[18:19] op_sel:[0,1]
	v_not_b32_e32 v20, v0
	v_lshrrev_b64 v[18:19], v10, v[48:49]
	v_and_b32_e32 v21, v18, v20
	v_lshl_add_u32 v0, v21, 2, v66
	v_lshlrev_b64 v[18:19], 2, v[0:1]
	v_add_co_u32_e64 v50, s[28:29], v25, v18
	v_addc_co_u32_e64 v51, s[28:29], v27, v19, s[28:29]
	v_and_b32_e32 v0, 1, v21
	v_add_co_u32_e64 v18, s[28:29], -1, v0
	v_addc_co_u32_e64 v19, s[28:29], 0, -1, s[28:29]
	v_cmp_ne_u32_e64 s[28:29], 0, v0
	v_xor_b32_e32 v18, s28, v18
	v_pk_mov_b32 v[38:39], v[52:53], v[52:53] op_sel:[0,1]
	v_xor_b32_e32 v0, s29, v19
	v_and_b32_e32 v52, exec_lo, v18
	v_lshlrev_b32_e32 v19, 30, v21
	v_mov_b32_e32 v18, v1
	v_cmp_gt_i64_e64 s[28:29], 0, v[18:19]
	v_not_b32_e32 v18, v19
	v_ashrrev_i32_e32 v18, 31, v18
	v_and_b32_e32 v0, exec_hi, v0
	v_xor_b32_e32 v19, s29, v18
	v_xor_b32_e32 v18, s28, v18
	v_and_b32_e32 v0, v0, v19
	v_and_b32_e32 v52, v52, v18
	v_lshlrev_b32_e32 v19, 29, v21
	v_mov_b32_e32 v18, v1
	v_cmp_gt_i64_e64 s[28:29], 0, v[18:19]
	v_not_b32_e32 v18, v19
	v_ashrrev_i32_e32 v18, 31, v18
	v_xor_b32_e32 v19, s29, v18
	v_xor_b32_e32 v18, s28, v18
	v_and_b32_e32 v0, v0, v19
	v_and_b32_e32 v52, v52, v18
	v_lshlrev_b32_e32 v19, 28, v21
	v_mov_b32_e32 v18, v1
	v_cmp_gt_i64_e64 s[28:29], 0, v[18:19]
	v_not_b32_e32 v18, v19
	v_ashrrev_i32_e32 v18, 31, v18
	;; [unrolled: 9-line block ×6, first 2 shown]
	v_xor_b32_e32 v19, s29, v18
	v_xor_b32_e32 v18, s28, v18
	v_and_b32_e32 v18, v52, v18
	v_and_b32_e32 v19, v0, v19
	v_mbcnt_lo_u32_b32 v0, v18, 0
	v_mbcnt_hi_u32_b32 v54, v19, v0
	v_cmp_eq_u32_e64 s[28:29], 0, v54
	v_cmp_ne_u64_e64 s[30:31], 0, v[18:19]
	s_and_b64 s[30:31], s[30:31], s[28:29]
	flat_store_dwordx4 v[4:5], v[14:17] offset:16
	s_waitcnt lgkmcnt(0)
	s_barrier
	s_waitcnt lgkmcnt(0)
	; wave barrier
	s_and_saveexec_b64 s[28:29], s[30:31]
	s_cbranch_execz .LBB706_327
; %bb.326:                              ;   in Loop: Header=BB706_325 Depth=1
	v_bcnt_u32_b32 v0, v18, 0
	v_bcnt_u32_b32 v0, v19, v0
	flat_store_dword v[50:51], v0
.LBB706_327:                            ;   in Loop: Header=BB706_325 Depth=1
	s_or_b64 exec, exec, s[28:29]
	v_lshrrev_b64 v[18:19], v10, v[38:39]
	v_and_b32_e32 v20, v18, v20
	v_lshl_add_u32 v0, v20, 2, v66
	v_lshlrev_b64 v[18:19], 2, v[0:1]
	v_add_co_u32_e64 v52, s[28:29], v25, v18
	v_addc_co_u32_e64 v53, s[28:29], v27, v19, s[28:29]
	; wave barrier
	flat_load_dword v55, v[52:53]
	v_and_b32_e32 v0, 1, v20
	v_add_co_u32_e64 v18, s[28:29], -1, v0
	v_addc_co_u32_e64 v19, s[28:29], 0, -1, s[28:29]
	v_cmp_ne_u32_e64 s[28:29], 0, v0
	v_xor_b32_e32 v18, s28, v18
	v_xor_b32_e32 v0, s29, v19
	v_and_b32_e32 v21, exec_lo, v18
	v_lshlrev_b32_e32 v19, 30, v20
	v_mov_b32_e32 v18, v1
	v_cmp_gt_i64_e64 s[28:29], 0, v[18:19]
	v_not_b32_e32 v18, v19
	v_ashrrev_i32_e32 v18, 31, v18
	v_and_b32_e32 v0, exec_hi, v0
	v_xor_b32_e32 v19, s29, v18
	v_xor_b32_e32 v18, s28, v18
	v_and_b32_e32 v0, v0, v19
	v_and_b32_e32 v21, v21, v18
	v_lshlrev_b32_e32 v19, 29, v20
	v_mov_b32_e32 v18, v1
	v_cmp_gt_i64_e64 s[28:29], 0, v[18:19]
	v_not_b32_e32 v18, v19
	v_ashrrev_i32_e32 v18, 31, v18
	v_xor_b32_e32 v19, s29, v18
	v_xor_b32_e32 v18, s28, v18
	v_and_b32_e32 v0, v0, v19
	v_and_b32_e32 v21, v21, v18
	v_lshlrev_b32_e32 v19, 28, v20
	v_mov_b32_e32 v18, v1
	v_cmp_gt_i64_e64 s[28:29], 0, v[18:19]
	v_not_b32_e32 v18, v19
	v_ashrrev_i32_e32 v18, 31, v18
	;; [unrolled: 9-line block ×6, first 2 shown]
	v_xor_b32_e32 v19, s29, v18
	v_xor_b32_e32 v18, s28, v18
	v_and_b32_e32 v18, v21, v18
	v_and_b32_e32 v19, v0, v19
	v_mbcnt_lo_u32_b32 v0, v18, 0
	v_mbcnt_hi_u32_b32 v64, v19, v0
	v_cmp_eq_u32_e64 s[28:29], 0, v64
	v_cmp_ne_u64_e64 s[30:31], 0, v[18:19]
	s_and_b64 s[30:31], s[30:31], s[28:29]
	; wave barrier
	s_and_saveexec_b64 s[28:29], s[30:31]
	s_cbranch_execz .LBB706_329
; %bb.328:                              ;   in Loop: Header=BB706_325 Depth=1
	v_bcnt_u32_b32 v0, v18, 0
	v_bcnt_u32_b32 v0, v19, v0
	s_waitcnt vmcnt(0) lgkmcnt(0)
	v_add_u32_e32 v0, v55, v0
	flat_store_dword v[52:53], v0
.LBB706_329:                            ;   in Loop: Header=BB706_325 Depth=1
	s_or_b64 exec, exec, s[28:29]
	; wave barrier
	s_waitcnt lgkmcnt(0)
	s_barrier
	flat_load_dwordx4 v[18:21], v[4:5] offset:16
	s_waitcnt vmcnt(0) lgkmcnt(0)
	v_add_u32_e32 v0, v19, v18
	v_add3_u32 v0, v0, v20, v21
	s_nop 1
	v_mov_b32_dpp v21, v0 row_shr:1 row_mask:0xf bank_mask:0xf
	v_cndmask_b32_e64 v21, v21, 0, vcc
	v_add_u32_e32 v0, v21, v0
	s_nop 1
	v_mov_b32_dpp v21, v0 row_shr:2 row_mask:0xf bank_mask:0xf
	v_cndmask_b32_e64 v21, 0, v21, s[4:5]
	v_add_u32_e32 v0, v0, v21
	s_nop 1
	v_mov_b32_dpp v21, v0 row_shr:4 row_mask:0xf bank_mask:0xf
	v_cndmask_b32_e64 v21, 0, v21, s[6:7]
	;; [unrolled: 4-line block ×3, first 2 shown]
	v_add_u32_e32 v0, v0, v21
	s_nop 1
	v_mov_b32_dpp v21, v0 row_bcast:15 row_mask:0xf bank_mask:0xf
	v_cndmask_b32_e64 v21, v21, 0, s[10:11]
	v_add_u32_e32 v0, v0, v21
	s_nop 1
	v_mov_b32_dpp v21, v0 row_bcast:31 row_mask:0xf bank_mask:0xf
	v_cndmask_b32_e64 v21, 0, v21, s[12:13]
	v_add_u32_e32 v0, v0, v21
	s_and_saveexec_b64 s[28:29], s[14:15]
	s_cbranch_execz .LBB706_331
; %bb.330:                              ;   in Loop: Header=BB706_325 Depth=1
	flat_store_dword v[8:9], v0
.LBB706_331:                            ;   in Loop: Header=BB706_325 Depth=1
	s_or_b64 exec, exec, s[28:29]
	s_waitcnt lgkmcnt(0)
	s_barrier
	s_and_saveexec_b64 s[28:29], s[16:17]
	s_cbranch_execz .LBB706_333
; %bb.332:                              ;   in Loop: Header=BB706_325 Depth=1
	flat_load_dword v21, v[28:29]
	s_waitcnt vmcnt(0) lgkmcnt(0)
	s_nop 0
	v_mov_b32_dpp v65, v21 row_shr:1 row_mask:0xf bank_mask:0xf
	v_cndmask_b32_e64 v65, v65, 0, s[24:25]
	v_add_u32_e32 v21, v65, v21
	s_nop 1
	v_mov_b32_dpp v65, v21 row_shr:2 row_mask:0xf bank_mask:0xf
	v_cndmask_b32_e64 v65, 0, v65, s[26:27]
	v_add_u32_e32 v21, v21, v65
	flat_store_dword v[28:29], v21
.LBB706_333:                            ;   in Loop: Header=BB706_325 Depth=1
	s_or_b64 exec, exec, s[28:29]
	v_mov_b32_e32 v21, 0
	s_waitcnt lgkmcnt(0)
	s_barrier
	s_and_saveexec_b64 s[28:29], s[18:19]
	s_cbranch_execz .LBB706_335
; %bb.334:                              ;   in Loop: Header=BB706_325 Depth=1
	flat_load_dword v21, v[30:31]
.LBB706_335:                            ;   in Loop: Header=BB706_325 Depth=1
	s_or_b64 exec, exec, s[28:29]
	s_waitcnt vmcnt(0) lgkmcnt(0)
	v_add_u32_e32 v0, v21, v0
	ds_bpermute_b32 v0, v67, v0
	v_add_u32_e32 v10, 8, v10
	v_cmp_lt_u32_e64 s[28:29], v10, v11
	s_mov_b64 s[38:39], -1
	s_waitcnt lgkmcnt(0)
	v_cndmask_b32_e64 v0, v0, v21, s[20:21]
	v_cndmask_b32_e64 v80, v0, 0, s[22:23]
	v_add_u32_e32 v81, v80, v18
	v_add_u32_e32 v82, v81, v19
	;; [unrolled: 1-line block ×3, first 2 shown]
	flat_store_dwordx4 v[4:5], v[80:83] offset:16
	s_waitcnt lgkmcnt(0)
	s_barrier
	flat_load_dword v0, v[50:51]
	flat_load_dword v18, v[52:53]
	v_mov_b32_e32 v19, v1
	s_waitcnt lgkmcnt(0)
                                        ; implicit-def: $vgpr52_vgpr53
                                        ; implicit-def: $vgpr50_vgpr51
	s_waitcnt vmcnt(0) lgkmcnt(0)
	v_add_u32_e32 v0, v0, v54
	v_lshlrev_b64 v[20:21], 3, v[0:1]
	v_add3_u32 v18, v64, v55, v18
	v_add_co_u32_e64 v54, s[30:31], v12, v20
	v_lshlrev_b64 v[18:19], 3, v[18:19]
	v_addc_co_u32_e64 v55, s[30:31], v13, v21, s[30:31]
	v_add_co_u32_e64 v64, s[30:31], v12, v18
	v_addc_co_u32_e64 v65, s[30:31], v13, v19, s[30:31]
                                        ; implicit-def: $vgpr20_vgpr21
                                        ; implicit-def: $vgpr18_vgpr19
	s_and_saveexec_b64 s[30:31], s[28:29]
	s_cbranch_execz .LBB706_324
; %bb.336:                              ;   in Loop: Header=BB706_325 Depth=1
	s_barrier
	flat_store_dwordx2 v[54:55], v[48:49]
	flat_store_dwordx2 v[64:65], v[38:39]
	s_waitcnt lgkmcnt(0)
	s_barrier
	flat_load_dwordx2 v[50:51], v[34:35]
	flat_load_dwordx2 v[52:53], v[34:35] offset:512
	s_waitcnt lgkmcnt(0)
	s_barrier
	flat_store_dwordx2 v[54:55], v[36:37]
	flat_store_dwordx2 v[64:65], v[32:33]
	s_waitcnt lgkmcnt(0)
	s_barrier
	flat_load_dwordx2 v[18:19], v[34:35]
	flat_load_dwordx2 v[20:21], v[34:35] offset:512
	v_add_u32_e32 v68, -8, v68
	s_xor_b64 s[38:39], exec, -1
	s_waitcnt lgkmcnt(0)
	s_barrier
	s_branch .LBB706_324
.LBB706_337:
	flat_load_dwordx2 v[54:55], v[4:5]
	s_or_b64 exec, exec, s[14:15]
                                        ; implicit-def: $vgpr64_vgpr65
	s_and_saveexec_b64 s[14:15], s[4:5]
	s_cbranch_execz .LBB706_264
.LBB706_338:
	flat_load_dwordx2 v[64:65], v[4:5] offset:512
	s_or_b64 exec, exec, s[14:15]
                                        ; implicit-def: $vgpr66_vgpr67
	s_and_saveexec_b64 s[4:5], s[6:7]
	s_cbranch_execz .LBB706_265
.LBB706_339:
	flat_load_dwordx2 v[66:67], v[4:5] offset:1024
	s_or_b64 exec, exec, s[4:5]
                                        ; implicit-def: $vgpr70_vgpr71
	s_and_saveexec_b64 s[4:5], s[10:11]
	s_cbranch_execnz .LBB706_266
	s_branch .LBB706_267
.LBB706_340:
	s_waitcnt vmcnt(0)
	flat_store_dwordx2 v[0:1], v[12:13]
	s_or_b64 exec, exec, s[16:17]
	s_and_saveexec_b64 s[4:5], s[6:7]
	s_cbranch_execz .LBB706_309
.LBB706_341:
	s_waitcnt vmcnt(0)
	flat_store_dwordx2 v[0:1], v[10:11] offset:2048
	s_or_b64 exec, exec, s[4:5]
	s_and_saveexec_b64 s[4:5], s[10:11]
	s_cbranch_execz .LBB706_310
.LBB706_342:
	v_add_co_u32_e32 v2, vcc, 0x1000, v0
	v_addc_co_u32_e32 v3, vcc, 0, v1, vcc
	s_waitcnt vmcnt(0)
	flat_store_dwordx2 v[2:3], v[8:9]
	s_or_b64 exec, exec, s[4:5]
	s_and_saveexec_b64 s[4:5], s[14:15]
	s_cbranch_execnz .LBB706_311
	s_branch .LBB706_312
.LBB706_343:
	s_or_b64 exec, exec, s[36:37]
	v_lshlrev_b32_e32 v0, 3, v26
	v_add_co_u32_e32 v12, vcc, v12, v0
	v_addc_co_u32_e32 v13, vcc, 0, v13, vcc
	s_barrier
	flat_store_dwordx2 v[54:55], v[48:49]
	flat_store_dwordx2 v[64:65], v[38:39]
	s_waitcnt lgkmcnt(0)
	s_barrier
	flat_load_dwordx2 v[10:11], v[12:13]
	flat_load_dwordx2 v[8:9], v[12:13] offset:2048
	s_waitcnt lgkmcnt(0)
	s_barrier
	flat_store_dwordx2 v[54:55], v[36:37]
	flat_store_dwordx2 v[64:65], v[32:33]
	s_waitcnt lgkmcnt(0)
	s_barrier
	flat_load_dwordx2 v[4:5], v[12:13]
	flat_load_dwordx2 v[0:1], v[12:13] offset:2048
	v_mov_b32_e32 v25, 0
	v_add_co_u32_e32 v12, vcc, v2, v22
	v_addc_co_u32_e32 v13, vcc, v3, v23, vcc
	v_lshlrev_b64 v[2:3], 3, v[24:25]
	v_add_co_u32_e32 v12, vcc, v12, v2
	v_addc_co_u32_e32 v13, vcc, v13, v3, vcc
	v_cmp_lt_u32_e32 vcc, v24, v142
	s_waitcnt lgkmcnt(0)
	s_barrier
	s_and_saveexec_b64 s[4:5], vcc
	s_cbranch_execz .LBB706_345
; %bb.344:
	s_waitcnt vmcnt(0)
	v_xor_b32_e32 v11, 0x7fffffff, v11
	v_not_b32_e32 v10, v10
	flat_store_dwordx2 v[12:13], v[10:11]
.LBB706_345:
	s_or_b64 exec, exec, s[4:5]
	s_waitcnt vmcnt(0)
	v_add_u32_e32 v10, 0x100, v24
	v_cmp_lt_u32_e64 s[4:5], v10, v142
	s_and_saveexec_b64 s[6:7], s[4:5]
	s_cbranch_execz .LBB706_347
; %bb.346:
	v_xor_b32_e32 v9, 0x7fffffff, v9
	v_not_b32_e32 v8, v8
	flat_store_dwordx2 v[12:13], v[8:9] offset:2048
.LBB706_347:
	s_or_b64 exec, exec, s[6:7]
	v_add_co_u32_e64 v6, s[6:7], v6, v22
	v_addc_co_u32_e64 v7, s[6:7], v7, v23, s[6:7]
	v_add_co_u32_e64 v2, s[6:7], v6, v2
	v_addc_co_u32_e64 v3, s[6:7], v7, v3, s[6:7]
	s_and_saveexec_b64 s[6:7], vcc
	s_cbranch_execz .LBB706_349
; %bb.348:
	flat_store_dwordx2 v[2:3], v[4:5]
.LBB706_349:
	s_or_b64 exec, exec, s[6:7]
	s_and_saveexec_b64 s[6:7], s[4:5]
	s_cbranch_execz .LBB706_351
; %bb.350:
	flat_store_dwordx2 v[2:3], v[0:1] offset:2048
.LBB706_351:
	s_or_b64 exec, exec, s[6:7]
                                        ; implicit-def: $vgpr26
                                        ; implicit-def: $vgpr24_vgpr25
                                        ; implicit-def: $vgpr22_vgpr23
                                        ; implicit-def: $vgpr142
                                        ; implicit-def: $vgpr0
                                        ; implicit-def: $vgpr1
                                        ; implicit-def: $vgpr2
                                        ; implicit-def: $vgpr3
                                        ; implicit-def: $vgpr4
                                        ; implicit-def: $vgpr5
                                        ; implicit-def: $vgpr6
                                        ; implicit-def: $vgpr7
                                        ; implicit-def: $vgpr10
                                        ; implicit-def: $vgpr11
                                        ; implicit-def: $vgpr12
                                        ; implicit-def: $vgpr13
                                        ; implicit-def: $vgpr15
.LBB706_352:
	s_andn2_saveexec_b64 s[4:5], s[34:35]
	s_cbranch_execz .LBB706_372
; %bb.353:
	v_mbcnt_hi_u32_b32 v15, -1, v15
	v_and_b32_e32 v14, 63, v15
	v_bfi_b32 v9, 63, v15, v24
	v_and_b32_e32 v8, 0xffffffc0, v24
	v_cmp_lt_u32_e32 vcc, v9, v142
	v_pk_mov_b32 v[18:19], -1, -1
	v_lshlrev_b32_e32 v16, 3, v14
	s_and_saveexec_b64 s[6:7], vcc
	s_cbranch_execz .LBB706_355
; %bb.354:
	v_add_co_u32_e64 v0, s[4:5], v0, v22
	v_addc_co_u32_e64 v1, s[4:5], v1, v23, s[4:5]
	v_mov_b32_e32 v9, 0
	v_add_co_u32_e64 v17, s[4:5], v0, v16
	v_addc_co_u32_e64 v18, s[4:5], 0, v1, s[4:5]
	v_lshlrev_b64 v[0:1], 3, v[8:9]
	v_add_co_u32_e64 v0, s[4:5], v17, v0
	v_addc_co_u32_e64 v1, s[4:5], v18, v1, s[4:5]
	flat_load_dwordx2 v[0:1], v[0:1]
	s_waitcnt vmcnt(0) lgkmcnt(0)
	v_xor_b32_e32 v19, 0x7fffffff, v1
	v_not_b32_e32 v18, v0
.LBB706_355:
	s_or_b64 exec, exec, s[6:7]
                                        ; implicit-def: $vgpr20_vgpr21
	s_and_saveexec_b64 s[4:5], vcc
	s_cbranch_execz .LBB706_357
; %bb.356:
	v_add_co_u32_e32 v0, vcc, v4, v22
	v_addc_co_u32_e32 v1, vcc, v5, v23, vcc
	v_mov_b32_e32 v9, 0
	v_add_co_u32_e32 v4, vcc, v0, v16
	v_addc_co_u32_e32 v5, vcc, 0, v1, vcc
	v_lshlrev_b64 v[0:1], 3, v[8:9]
	v_add_co_u32_e32 v0, vcc, v4, v0
	v_addc_co_u32_e32 v1, vcc, v5, v1, vcc
	flat_load_dwordx2 v[20:21], v[0:1]
.LBB706_357:
	s_or_b64 exec, exec, s[4:5]
	v_add_co_u32_e32 v25, vcc, 16, v12
	v_addc_co_u32_e32 v27, vcc, 0, v13, vcc
	v_lshlrev_b32_e32 v4, 4, v26
	v_add_co_u32_e32 v4, vcc, v12, v4
	s_getpc_b64 s[4:5]
	s_add_u32 s4, s4, _ZN7rocprim17ROCPRIM_400000_NS16block_radix_sortIlLj256ELj1ElLj1ELj1ELj8ELNS0_26block_radix_rank_algorithmE2ELNS0_18block_padding_hintE2ELNS0_4arch9wavefront6targetE1EE19radix_bits_per_passE@rel32@lo+4
	s_addc_u32 s5, s5, _ZN7rocprim17ROCPRIM_400000_NS16block_radix_sortIlLj256ELj1ElLj1ELj1ELj8ELNS0_26block_radix_rank_algorithmE2ELNS0_18block_padding_hintE2ELNS0_4arch9wavefront6targetE1EE19radix_bits_per_passE@rel32@hi+12
	v_addc_co_u32_e32 v5, vcc, 0, v13, vcc
	v_and_b32_e32 v8, 15, v15
	s_load_dword s38, s[4:5], 0x0
	v_cmp_eq_u32_e32 vcc, 0, v8
	v_cmp_lt_u32_e64 s[4:5], 1, v8
	v_cmp_lt_u32_e64 s[6:7], 3, v8
	;; [unrolled: 1-line block ×3, first 2 shown]
	v_and_b32_e32 v8, 16, v15
	v_and_b32_e32 v32, 0x3c0, v26
	v_cmp_eq_u32_e64 s[10:11], 0, v8
	v_min_u32_e32 v8, 0xc0, v32
	v_or_b32_e32 v8, 63, v8
	v_cmp_eq_u32_e64 s[14:15], v8, v26
	v_add_u32_e32 v8, -1, v15
	v_and_b32_e32 v9, 64, v15
	v_cmp_lt_i32_e64 s[20:21], v8, v9
	v_lshrrev_b32_e32 v16, 6, v26
	v_cndmask_b32_e64 v8, v8, v15, s[20:21]
	v_lshlrev_b32_e32 v49, 2, v8
	v_lshlrev_b32_e32 v8, 2, v16
	v_add_co_u32_e64 v28, s[24:25], v12, v8
	v_lshlrev_b32_e32 v0, 2, v26
	v_addc_co_u32_e64 v29, s[24:25], 0, v13, s[24:25]
	v_add_co_u32_e64 v8, s[24:25], v12, v0
	v_addc_co_u32_e64 v9, s[24:25], 0, v13, s[24:25]
	v_and_b32_e32 v0, 3, v15
	v_mov_b32_e32 v1, 0
	v_cmp_eq_u32_e64 s[24:25], 0, v0
	v_cmp_lt_u32_e64 s[26:27], 1, v0
	v_add_u32_e32 v0, -1, v16
	v_lshlrev_b64 v[16:17], 2, v[0:1]
	v_add_co_u32_e64 v30, s[28:29], v12, v16
	v_or_b32_e32 v0, v14, v32
	v_addc_co_u32_e64 v31, s[28:29], v13, v17, s[28:29]
	v_lshlrev_b32_e32 v0, 3, v0
	v_add_co_u32_e64 v34, s[28:29], v12, v0
	v_lshrrev_b32_e32 v48, 6, v24
	v_cmp_lt_u32_e64 s[12:13], 31, v15
	v_cmp_gt_u32_e64 s[16:17], 4, v26
	v_cmp_lt_u32_e64 s[18:19], 63, v26
	v_cmp_eq_u32_e64 s[20:21], 0, v15
	v_cmp_eq_u32_e64 s[22:23], 0, v26
	v_addc_co_u32_e64 v35, s[28:29], 0, v13, s[28:29]
	v_sub_u32_e32 v50, v11, v10
	s_mov_b64 s[34:35], 0
	v_mov_b32_e32 v14, v1
	v_mov_b32_e32 v15, v1
	v_mov_b32_e32 v16, v1
	v_mov_b32_e32 v17, v1
	s_waitcnt lgkmcnt(0)
	s_barrier
	s_branch .LBB706_359
.LBB706_358:                            ;   in Loop: Header=BB706_359 Depth=1
	s_or_b64 exec, exec, s[30:31]
	s_and_b64 s[28:29], exec, s[36:37]
	s_or_b64 s[34:35], s[28:29], s[34:35]
	s_andn2_b64 exec, exec, s[34:35]
	s_cbranch_execz .LBB706_369
.LBB706_359:                            ; =>This Inner Loop Header: Depth=1
	s_waitcnt vmcnt(0)
	v_pk_mov_b32 v[36:37], v[18:19], v[18:19] op_sel:[0,1]
	v_min_u32_e32 v0, s38, v50
	v_lshrrev_b64 v[18:19], v10, v[36:37]
	s_waitcnt vmcnt(0)
	v_pk_mov_b32 v[32:33], v[20:21], v[20:21] op_sel:[0,1]
	v_bfe_u32 v20, v18, 0, v0
	v_lshl_add_u32 v0, v20, 2, v48
	v_lshlrev_b64 v[18:19], 2, v[0:1]
	v_add_co_u32_e64 v38, s[28:29], v25, v18
	v_addc_co_u32_e64 v39, s[28:29], v27, v19, s[28:29]
	v_and_b32_e32 v0, 1, v20
	v_add_co_u32_e64 v18, s[28:29], -1, v0
	v_addc_co_u32_e64 v19, s[28:29], 0, -1, s[28:29]
	v_cmp_ne_u32_e64 s[28:29], 0, v0
	v_xor_b32_e32 v18, s28, v18
	v_xor_b32_e32 v0, s29, v19
	v_and_b32_e32 v21, exec_lo, v18
	v_lshlrev_b32_e32 v19, 30, v20
	v_mov_b32_e32 v18, v1
	v_cmp_gt_i64_e64 s[28:29], 0, v[18:19]
	v_not_b32_e32 v18, v19
	v_ashrrev_i32_e32 v18, 31, v18
	v_and_b32_e32 v0, exec_hi, v0
	v_xor_b32_e32 v19, s29, v18
	v_xor_b32_e32 v18, s28, v18
	v_and_b32_e32 v0, v0, v19
	v_and_b32_e32 v21, v21, v18
	v_lshlrev_b32_e32 v19, 29, v20
	v_mov_b32_e32 v18, v1
	v_cmp_gt_i64_e64 s[28:29], 0, v[18:19]
	v_not_b32_e32 v18, v19
	v_ashrrev_i32_e32 v18, 31, v18
	v_xor_b32_e32 v19, s29, v18
	v_xor_b32_e32 v18, s28, v18
	v_and_b32_e32 v0, v0, v19
	v_and_b32_e32 v21, v21, v18
	v_lshlrev_b32_e32 v19, 28, v20
	v_mov_b32_e32 v18, v1
	v_cmp_gt_i64_e64 s[28:29], 0, v[18:19]
	v_not_b32_e32 v18, v19
	v_ashrrev_i32_e32 v18, 31, v18
	;; [unrolled: 9-line block ×6, first 2 shown]
	v_xor_b32_e32 v19, s29, v18
	v_xor_b32_e32 v18, s28, v18
	v_and_b32_e32 v18, v21, v18
	v_and_b32_e32 v19, v0, v19
	v_mbcnt_lo_u32_b32 v0, v18, 0
	v_mbcnt_hi_u32_b32 v0, v19, v0
	v_cmp_eq_u32_e64 s[28:29], 0, v0
	v_cmp_ne_u64_e64 s[30:31], 0, v[18:19]
	s_and_b64 s[30:31], s[30:31], s[28:29]
	flat_store_dwordx4 v[4:5], v[14:17] offset:16
	s_waitcnt lgkmcnt(0)
	s_barrier
	s_waitcnt lgkmcnt(0)
	; wave barrier
	s_and_saveexec_b64 s[28:29], s[30:31]
	s_cbranch_execz .LBB706_361
; %bb.360:                              ;   in Loop: Header=BB706_359 Depth=1
	v_bcnt_u32_b32 v18, v18, 0
	v_bcnt_u32_b32 v18, v19, v18
	flat_store_dword v[38:39], v18
.LBB706_361:                            ;   in Loop: Header=BB706_359 Depth=1
	s_or_b64 exec, exec, s[28:29]
	; wave barrier
	s_waitcnt lgkmcnt(0)
	s_barrier
	flat_load_dwordx4 v[18:21], v[4:5] offset:16
	s_waitcnt vmcnt(0) lgkmcnt(0)
	v_add_u32_e32 v51, v19, v18
	v_add3_u32 v21, v51, v20, v21
	s_nop 1
	v_mov_b32_dpp v51, v21 row_shr:1 row_mask:0xf bank_mask:0xf
	v_cndmask_b32_e64 v51, v51, 0, vcc
	v_add_u32_e32 v21, v51, v21
	s_nop 1
	v_mov_b32_dpp v51, v21 row_shr:2 row_mask:0xf bank_mask:0xf
	v_cndmask_b32_e64 v51, 0, v51, s[4:5]
	v_add_u32_e32 v21, v21, v51
	s_nop 1
	v_mov_b32_dpp v51, v21 row_shr:4 row_mask:0xf bank_mask:0xf
	v_cndmask_b32_e64 v51, 0, v51, s[6:7]
	;; [unrolled: 4-line block ×3, first 2 shown]
	v_add_u32_e32 v21, v21, v51
	s_nop 1
	v_mov_b32_dpp v51, v21 row_bcast:15 row_mask:0xf bank_mask:0xf
	v_cndmask_b32_e64 v51, v51, 0, s[10:11]
	v_add_u32_e32 v21, v21, v51
	s_nop 1
	v_mov_b32_dpp v51, v21 row_bcast:31 row_mask:0xf bank_mask:0xf
	v_cndmask_b32_e64 v51, 0, v51, s[12:13]
	v_add_u32_e32 v21, v21, v51
	s_and_saveexec_b64 s[28:29], s[14:15]
	s_cbranch_execz .LBB706_363
; %bb.362:                              ;   in Loop: Header=BB706_359 Depth=1
	flat_store_dword v[28:29], v21
.LBB706_363:                            ;   in Loop: Header=BB706_359 Depth=1
	s_or_b64 exec, exec, s[28:29]
	s_waitcnt lgkmcnt(0)
	s_barrier
	s_and_saveexec_b64 s[28:29], s[16:17]
	s_cbranch_execz .LBB706_365
; %bb.364:                              ;   in Loop: Header=BB706_359 Depth=1
	flat_load_dword v51, v[8:9]
	s_waitcnt vmcnt(0) lgkmcnt(0)
	s_nop 0
	v_mov_b32_dpp v52, v51 row_shr:1 row_mask:0xf bank_mask:0xf
	v_cndmask_b32_e64 v52, v52, 0, s[24:25]
	v_add_u32_e32 v51, v52, v51
	s_nop 1
	v_mov_b32_dpp v52, v51 row_shr:2 row_mask:0xf bank_mask:0xf
	v_cndmask_b32_e64 v52, 0, v52, s[26:27]
	v_add_u32_e32 v51, v51, v52
	flat_store_dword v[8:9], v51
.LBB706_365:                            ;   in Loop: Header=BB706_359 Depth=1
	s_or_b64 exec, exec, s[28:29]
	v_mov_b32_e32 v51, 0
	s_waitcnt lgkmcnt(0)
	s_barrier
	s_and_saveexec_b64 s[28:29], s[18:19]
	s_cbranch_execz .LBB706_367
; %bb.366:                              ;   in Loop: Header=BB706_359 Depth=1
	flat_load_dword v51, v[30:31]
.LBB706_367:                            ;   in Loop: Header=BB706_359 Depth=1
	s_or_b64 exec, exec, s[28:29]
	s_waitcnt vmcnt(0) lgkmcnt(0)
	v_add_u32_e32 v21, v51, v21
	ds_bpermute_b32 v21, v49, v21
	v_add_u32_e32 v10, 8, v10
	v_cmp_lt_u32_e64 s[28:29], v10, v11
	s_mov_b64 s[36:37], -1
	s_waitcnt lgkmcnt(0)
	v_cndmask_b32_e64 v21, v21, v51, s[20:21]
	v_cndmask_b32_e64 v52, v21, 0, s[22:23]
	v_add_u32_e32 v53, v52, v18
	v_add_u32_e32 v54, v53, v19
	;; [unrolled: 1-line block ×3, first 2 shown]
	flat_store_dwordx4 v[4:5], v[52:55] offset:16
	s_waitcnt lgkmcnt(0)
	s_barrier
	flat_load_dword v18, v[38:39]
	s_waitcnt lgkmcnt(0)
                                        ; implicit-def: $vgpr20_vgpr21
	s_waitcnt vmcnt(0) lgkmcnt(0)
	v_add_u32_e32 v0, v18, v0
	v_lshlrev_b64 v[18:19], 3, v[0:1]
	v_add_co_u32_e64 v38, s[30:31], v12, v18
	v_addc_co_u32_e64 v39, s[30:31], v13, v19, s[30:31]
                                        ; implicit-def: $vgpr18_vgpr19
	s_and_saveexec_b64 s[30:31], s[28:29]
	s_cbranch_execz .LBB706_358
; %bb.368:                              ;   in Loop: Header=BB706_359 Depth=1
	s_barrier
	flat_store_dwordx2 v[38:39], v[36:37]
	s_waitcnt lgkmcnt(0)
	s_barrier
	flat_load_dwordx2 v[18:19], v[34:35]
	s_waitcnt lgkmcnt(0)
	s_barrier
	flat_store_dwordx2 v[38:39], v[32:33]
	s_waitcnt lgkmcnt(0)
	s_barrier
	flat_load_dwordx2 v[20:21], v[34:35]
	v_add_u32_e32 v50, -8, v50
	s_xor_b64 s[36:37], exec, -1
	s_waitcnt lgkmcnt(0)
	s_barrier
	s_branch .LBB706_358
.LBB706_369:
	s_or_b64 exec, exec, s[34:35]
	v_lshlrev_b32_e32 v0, 2, v26
	v_add_co_u32_e32 v0, vcc, v8, v0
	v_addc_co_u32_e32 v1, vcc, 0, v9, vcc
	s_barrier
	flat_store_dwordx2 v[38:39], v[36:37]
	s_waitcnt lgkmcnt(0)
	s_barrier
	flat_load_dwordx2 v[4:5], v[0:1]
	s_waitcnt lgkmcnt(0)
	s_barrier
	flat_store_dwordx2 v[38:39], v[32:33]
	s_waitcnt lgkmcnt(0)
	s_barrier
	flat_load_dwordx2 v[0:1], v[0:1]
	v_mov_b32_e32 v25, 0
	v_cmp_lt_u32_e32 vcc, v24, v142
	s_waitcnt lgkmcnt(0)
	s_barrier
	s_and_saveexec_b64 s[4:5], vcc
	s_cbranch_execz .LBB706_371
; %bb.370:
	v_add_co_u32_e32 v8, vcc, v2, v22
	v_addc_co_u32_e32 v9, vcc, v3, v23, vcc
	v_lshlrev_b64 v[2:3], 3, v[24:25]
	v_add_co_u32_e32 v8, vcc, v8, v2
	v_addc_co_u32_e32 v9, vcc, v9, v3, vcc
	v_add_co_u32_e32 v6, vcc, v6, v22
	v_addc_co_u32_e32 v7, vcc, v7, v23, vcc
	s_waitcnt vmcnt(0)
	v_xor_b32_e32 v5, 0x7fffffff, v5
	v_not_b32_e32 v4, v4
	v_add_co_u32_e32 v2, vcc, v6, v2
	v_addc_co_u32_e32 v3, vcc, v7, v3, vcc
	flat_store_dwordx2 v[8:9], v[4:5]
	flat_store_dwordx2 v[2:3], v[0:1]
.LBB706_371:
	s_or_b64 exec, exec, s[4:5]
.LBB706_372:
	s_or_b64 exec, exec, s[42:43]
	buffer_load_dword v153, off, s[0:3], s32 ; 4-byte Folded Reload
	buffer_load_dword v152, off, s[0:3], s32 offset:4 ; 4-byte Folded Reload
	buffer_load_dword v143, off, s[0:3], s32 offset:8 ; 4-byte Folded Reload
	;; [unrolled: 1-line block ×29, first 2 shown]
	v_readlane_b32 s30, v154, 14
	v_readlane_b32 s31, v154, 15
	;; [unrolled: 1-line block ×16, first 2 shown]
	v_accvgpr_read_b32 v91, a31             ;  Reload Reuse
	v_accvgpr_read_b32 v90, a30             ;  Reload Reuse
	v_accvgpr_read_b32 v89, a29             ;  Reload Reuse
	v_accvgpr_read_b32 v88, a28             ;  Reload Reuse
	v_accvgpr_read_b32 v79, a27             ;  Reload Reuse
	v_accvgpr_read_b32 v78, a26             ;  Reload Reuse
	v_accvgpr_read_b32 v77, a25             ;  Reload Reuse
	v_accvgpr_read_b32 v76, a24             ;  Reload Reuse
	v_accvgpr_read_b32 v75, a23             ;  Reload Reuse
	v_accvgpr_read_b32 v74, a22             ;  Reload Reuse
	v_accvgpr_read_b32 v73, a21             ;  Reload Reuse
	v_accvgpr_read_b32 v72, a20             ;  Reload Reuse
	v_accvgpr_read_b32 v63, a19             ;  Reload Reuse
	v_accvgpr_read_b32 v62, a18             ;  Reload Reuse
	v_accvgpr_read_b32 v61, a17             ;  Reload Reuse
	v_accvgpr_read_b32 v60, a16             ;  Reload Reuse
	v_accvgpr_read_b32 v59, a15             ;  Reload Reuse
	v_accvgpr_read_b32 v58, a14             ;  Reload Reuse
	v_accvgpr_read_b32 v57, a13             ;  Reload Reuse
	v_accvgpr_read_b32 v56, a12             ;  Reload Reuse
	v_accvgpr_read_b32 v47, a11             ;  Reload Reuse
	v_accvgpr_read_b32 v46, a10             ;  Reload Reuse
	v_accvgpr_read_b32 v45, a9              ;  Reload Reuse
	v_accvgpr_read_b32 v44, a8              ;  Reload Reuse
	;; [unrolled: 1-line block ×6, first 2 shown]
	s_or_saveexec_b64 s[4:5], -1
	buffer_load_dword v154, off, s[0:3], s32 offset:120 ; 4-byte Folded Reload
	s_mov_b64 exec, s[4:5]
	s_waitcnt vmcnt(0) lgkmcnt(0)
	s_setpc_b64 s[30:31]
.Lfunc_end706:
	.size	_ZN7rocprim17ROCPRIM_400000_NS6detail40segmented_radix_sort_single_block_helperIllLj256ELj16ELb1EE4sortIPKlPlS6_S7_EEbT_T0_T1_T2_jjjjRNS3_12storage_typeE, .Lfunc_end706-_ZN7rocprim17ROCPRIM_400000_NS6detail40segmented_radix_sort_single_block_helperIllLj256ELj16ELb1EE4sortIPKlPlS6_S7_EEbT_T0_T1_T2_jjjjRNS3_12storage_typeE
                                        ; -- End function
	.section	.AMDGPU.csdata,"",@progbits
; Function info:
; codeLenInByte = 30892
; NumSgprs: 52
; NumVgprs: 248
; NumAgprs: 32
; TotalNumVgprs: 280
; ScratchSize: 128
; MemoryBound: 1
	.section	.text._ZN7rocprim17ROCPRIM_400000_NS6detail17trampoline_kernelINS0_14default_configENS1_36segmented_radix_sort_config_selectorIllEEZNS1_25segmented_radix_sort_implIS3_Lb1EPKlPlS8_S9_N2at6native12_GLOBAL__N_18offset_tEEE10hipError_tPvRmT1_PNSt15iterator_traitsISH_E10value_typeET2_T3_PNSI_ISN_E10value_typeET4_jRbjT5_ST_jjP12ihipStream_tbEUlT_E_NS1_11comp_targetILNS1_3genE4ELNS1_11target_archE910ELNS1_3gpuE8ELNS1_3repE0EEENS1_30default_config_static_selectorELNS0_4arch9wavefront6targetE1EEEvSH_,"axG",@progbits,_ZN7rocprim17ROCPRIM_400000_NS6detail17trampoline_kernelINS0_14default_configENS1_36segmented_radix_sort_config_selectorIllEEZNS1_25segmented_radix_sort_implIS3_Lb1EPKlPlS8_S9_N2at6native12_GLOBAL__N_18offset_tEEE10hipError_tPvRmT1_PNSt15iterator_traitsISH_E10value_typeET2_T3_PNSI_ISN_E10value_typeET4_jRbjT5_ST_jjP12ihipStream_tbEUlT_E_NS1_11comp_targetILNS1_3genE4ELNS1_11target_archE910ELNS1_3gpuE8ELNS1_3repE0EEENS1_30default_config_static_selectorELNS0_4arch9wavefront6targetE1EEEvSH_,comdat
	.globl	_ZN7rocprim17ROCPRIM_400000_NS6detail17trampoline_kernelINS0_14default_configENS1_36segmented_radix_sort_config_selectorIllEEZNS1_25segmented_radix_sort_implIS3_Lb1EPKlPlS8_S9_N2at6native12_GLOBAL__N_18offset_tEEE10hipError_tPvRmT1_PNSt15iterator_traitsISH_E10value_typeET2_T3_PNSI_ISN_E10value_typeET4_jRbjT5_ST_jjP12ihipStream_tbEUlT_E_NS1_11comp_targetILNS1_3genE4ELNS1_11target_archE910ELNS1_3gpuE8ELNS1_3repE0EEENS1_30default_config_static_selectorELNS0_4arch9wavefront6targetE1EEEvSH_ ; -- Begin function _ZN7rocprim17ROCPRIM_400000_NS6detail17trampoline_kernelINS0_14default_configENS1_36segmented_radix_sort_config_selectorIllEEZNS1_25segmented_radix_sort_implIS3_Lb1EPKlPlS8_S9_N2at6native12_GLOBAL__N_18offset_tEEE10hipError_tPvRmT1_PNSt15iterator_traitsISH_E10value_typeET2_T3_PNSI_ISN_E10value_typeET4_jRbjT5_ST_jjP12ihipStream_tbEUlT_E_NS1_11comp_targetILNS1_3genE4ELNS1_11target_archE910ELNS1_3gpuE8ELNS1_3repE0EEENS1_30default_config_static_selectorELNS0_4arch9wavefront6targetE1EEEvSH_
	.p2align	8
	.type	_ZN7rocprim17ROCPRIM_400000_NS6detail17trampoline_kernelINS0_14default_configENS1_36segmented_radix_sort_config_selectorIllEEZNS1_25segmented_radix_sort_implIS3_Lb1EPKlPlS8_S9_N2at6native12_GLOBAL__N_18offset_tEEE10hipError_tPvRmT1_PNSt15iterator_traitsISH_E10value_typeET2_T3_PNSI_ISN_E10value_typeET4_jRbjT5_ST_jjP12ihipStream_tbEUlT_E_NS1_11comp_targetILNS1_3genE4ELNS1_11target_archE910ELNS1_3gpuE8ELNS1_3repE0EEENS1_30default_config_static_selectorELNS0_4arch9wavefront6targetE1EEEvSH_,@function
_ZN7rocprim17ROCPRIM_400000_NS6detail17trampoline_kernelINS0_14default_configENS1_36segmented_radix_sort_config_selectorIllEEZNS1_25segmented_radix_sort_implIS3_Lb1EPKlPlS8_S9_N2at6native12_GLOBAL__N_18offset_tEEE10hipError_tPvRmT1_PNSt15iterator_traitsISH_E10value_typeET2_T3_PNSI_ISN_E10value_typeET4_jRbjT5_ST_jjP12ihipStream_tbEUlT_E_NS1_11comp_targetILNS1_3genE4ELNS1_11target_archE910ELNS1_3gpuE8ELNS1_3repE0EEENS1_30default_config_static_selectorELNS0_4arch9wavefront6targetE1EEEvSH_: ; @_ZN7rocprim17ROCPRIM_400000_NS6detail17trampoline_kernelINS0_14default_configENS1_36segmented_radix_sort_config_selectorIllEEZNS1_25segmented_radix_sort_implIS3_Lb1EPKlPlS8_S9_N2at6native12_GLOBAL__N_18offset_tEEE10hipError_tPvRmT1_PNSt15iterator_traitsISH_E10value_typeET2_T3_PNSI_ISN_E10value_typeET4_jRbjT5_ST_jjP12ihipStream_tbEUlT_E_NS1_11comp_targetILNS1_3genE4ELNS1_11target_archE910ELNS1_3gpuE8ELNS1_3repE0EEENS1_30default_config_static_selectorELNS0_4arch9wavefront6targetE1EEEvSH_
; %bb.0:
	s_add_u32 flat_scratch_lo, s6, s10
	s_addc_u32 flat_scratch_hi, s7, 0
	s_mov_b64 s[48:49], s[4:5]
	s_load_dwordx2 s[12:13], s[4:5], 0x38
	s_nop 0
	s_load_dwordx4 s[4:7], s[4:5], 0x40
	s_add_u32 s0, s0, s10
                                        ; implicit-def: $vgpr235 : SGPR spill to VGPR lane
	s_mov_b32 s11, 0
	s_mov_b32 s10, s8
	s_addc_u32 s1, s1, 0
	v_writelane_b32 v235, s9, 0
	s_lshl_b64 s[10:11], s[10:11], 2
	v_writelane_b32 v235, s8, 1
	s_waitcnt lgkmcnt(0)
	s_add_u32 s8, s12, s10
	s_addc_u32 s9, s13, s11
	s_load_dword s8, s[8:9], 0x0
	s_mov_b32 s32, 0
	s_waitcnt lgkmcnt(0)
	s_add_i32 s5, s8, s5
	s_add_i32 s94, s8, s7
	s_mul_i32 s5, s5, s4
	s_mul_i32 s94, s94, s6
	s_cmp_le_u32 s94, s5
	s_cbranch_scc1 .LBB707_1190
; %bb.1:
	s_load_dword s4, s[48:49], 0x30
	s_load_dwordx4 s[80:83], s[48:49], 0x20
	s_load_dwordx4 s[52:55], s[48:49], 0x50
	s_load_dwordx8 s[72:79], s[48:49], 0x0
	v_writelane_b32 v235, s5, 2
	s_waitcnt lgkmcnt(0)
	s_bitcmp1_b32 s4, 0
	s_cselect_b64 s[70:71], -1, 0
	s_sub_i32 s85, s94, s5
	s_cmpk_lt_u32 s85, 0x1001
	s_mov_b64 s[4:5], -1
	s_cbranch_scc0 .LBB707_7
; %bb.2:
	s_and_b32 s4, s52, 1
	v_cndmask_b32_e64 v1, 0, 1, s[70:71]
	v_cmp_ne_u32_e32 vcc, s4, v1
	s_mov_b64 s[4:5], -1
	s_cbranch_vccnz .LBB707_4
; %bb.3:
	s_mov_b64 s[4:5], src_shared_base
	s_add_u32 s8, s48, 0x60
	v_readlane_b32 s4, v235, 2
	s_addc_u32 s9, s49, 0
	v_readlane_b32 s12, v235, 1
	v_readlane_b32 s13, v235, 0
	v_mov_b32_e32 v31, v0
	v_mov_b32_e32 v40, v0
	;; [unrolled: 1-line block ×16, first 2 shown]
	s_getpc_b64 s[6:7]
	s_add_u32 s6, s6, _ZN7rocprim17ROCPRIM_400000_NS6detail40segmented_radix_sort_single_block_helperIllLj256ELj16ELb1EE4sortIPKlPlS6_S7_EEbT_T0_T1_T2_jjjjRNS3_12storage_typeE@rel32@lo+4
	s_addc_u32 s7, s7, _ZN7rocprim17ROCPRIM_400000_NS6detail40segmented_radix_sort_single_block_helperIllLj256ELj16ELb1EE4sortIPKlPlS6_S7_EEbT_T0_T1_T2_jjjjRNS3_12storage_typeE@rel32@hi+12
	s_swappc_b64 s[30:31], s[6:7]
	v_mov_b32_e32 v0, v40
	s_mov_b64 s[4:5], 0
.LBB707_4:
	s_andn2_b64 vcc, exec, s[4:5]
	s_cbranch_vccnz .LBB707_6
; %bb.5:
	s_mov_b64 s[4:5], src_shared_base
	s_add_u32 s8, s48, 0x60
	v_readlane_b32 s4, v235, 2
	s_addc_u32 s9, s49, 0
	v_readlane_b32 s12, v235, 1
	v_readlane_b32 s13, v235, 0
	v_mov_b32_e32 v31, v0
	v_mov_b32_e32 v40, v0
	v_mov_b32_e32 v0, s72
	v_mov_b32_e32 v1, s73
	v_mov_b32_e32 v2, s74
	v_mov_b32_e32 v3, s75
	v_mov_b32_e32 v4, s78
	v_mov_b32_e32 v5, s79
	v_mov_b32_e32 v6, s80
	v_mov_b32_e32 v7, s81
	v_mov_b32_e32 v8, s4
	v_mov_b32_e32 v9, s94
	v_mov_b32_e32 v10, s53
	v_mov_b32_e32 v11, s54
	v_mov_b32_e32 v12, 0
	v_mov_b32_e32 v13, s5
	s_getpc_b64 s[6:7]
	s_add_u32 s6, s6, _ZN7rocprim17ROCPRIM_400000_NS6detail40segmented_radix_sort_single_block_helperIllLj256ELj16ELb1EE4sortIPKlPlS6_S7_EEbT_T0_T1_T2_jjjjRNS3_12storage_typeE@rel32@lo+4
	s_addc_u32 s7, s7, _ZN7rocprim17ROCPRIM_400000_NS6detail40segmented_radix_sort_single_block_helperIllLj256ELj16ELb1EE4sortIPKlPlS6_S7_EEbT_T0_T1_T2_jjjjRNS3_12storage_typeE@rel32@hi+12
	s_swappc_b64 s[30:31], s[6:7]
	v_mov_b32_e32 v0, v40
.LBB707_6:
	s_mov_b64 s[4:5], 0
.LBB707_7:
	s_andn2_b64 vcc, exec, s[4:5]
	s_cbranch_vccnz .LBB707_1190
; %bb.8:
	s_cmp_ge_u32 s53, s54
	s_cbranch_scc1 .LBB707_1190
; %bb.9:
	v_and_b32_e32 v2, 0x3ff, v0
	v_lshlrev_b32_e32 v5, 3, v2
	v_lshlrev_b32_e32 v33, 4, v2
	v_mov_b32_e32 v10, s77
	v_add_co_u32_e32 v9, vcc, s76, v5
	v_and_b32_e32 v34, 0xc00, v33
	v_bfe_u32 v23, v0, 20, 10
	v_bfe_u32 v25, v0, 10, 10
	v_mul_u32_u24_e32 v0, 5, v2
	v_mov_b32_e32 v29, 0x410
	v_addc_co_u32_e32 v11, vcc, 0, v10, vcc
	v_lshl_add_u32 v31, v0, 2, v29
	v_lshlrev_b32_e32 v0, 3, v34
	v_mov_b32_e32 v35, s83
	v_add_co_u32_e32 v100, vcc, s82, v0
	v_addc_co_u32_e32 v101, vcc, 0, v35, vcc
	v_mov_b32_e32 v35, s77
	v_add_co_u32_e32 v102, vcc, s76, v0
	v_addc_co_u32_e32 v103, vcc, 0, v35, vcc
	;; [unrolled: 3-line block ×6, first 2 shown]
	v_add_u32_e32 v104, 0x400, v5
	v_mov_b32_e32 v5, s79
	v_add_co_u32_e32 v113, vcc, s78, v0
	v_addc_co_u32_e32 v114, vcc, 0, v5, vcc
	v_add_co_u32_e32 v115, vcc, s72, v0
	v_mbcnt_lo_u32_b32 v0, -1, 0
	v_lshlrev_b32_e32 v3, 2, v2
	v_or_b32_e32 v15, 63, v2
	v_mbcnt_hi_u32_b32 v134, -1, v0
	v_mad_u32_u24 v13, v2, 12, v3
	v_cmp_eq_u32_e64 s[6:7], v15, v2
	v_lshrrev_b32_e32 v15, 4, v2
	s_mov_b32 s84, s53
	v_and_b32_e32 v0, 63, v134
	s_mov_b32 s33, s53
	v_readlane_b32 s38, v235, 2
	v_writelane_b32 v235, s52, 3
	s_mov_b32 s88, 0
	s_movk_i32 s4, 0x100
	v_or_b32_e32 v6, 0x200, v2
	v_or_b32_e32 v8, 0x300, v2
	v_and_b32_e32 v1, 3, v2
	v_or_b32_e32 v10, 0x400, v2
	v_or_b32_e32 v12, 0x500, v2
	;; [unrolled: 1-line block ×12, first 2 shown]
	v_and_b32_e32 v15, 12, v15
	s_add_u32 s90, s48, 0x60
	v_add_u32_e32 v27, v13, v3
	s_movk_i32 s14, 0xff
	v_mov_b32_e32 v5, s73
	v_or_b32_e32 v142, v0, v34
	v_writelane_b32 v235, s53, 4
	s_brev_b32 s89, 1
	v_mov_b32_e32 v4, 0
	v_or_b32_e32 v7, 0x100, v2
	v_cmp_gt_u32_e64 s[4:5], s4, v2
	v_or_b32_e32 v17, 0x8400, v15
	v_cmp_gt_u32_e64 s[8:9], 4, v2
	v_add_u32_e32 v19, 0x8400, v3
	v_cmp_lt_u32_e64 s[10:11], 63, v2
	v_add_u32_e32 v21, 0x83fc, v15
	s_addc_u32 s91, s49, 0
	v_sub_u32_e32 v33, v27, v33
	v_cmp_eq_u32_e64 s[12:13], 0, v2
	v_cmp_ne_u32_e64 s[14:15], s14, v2
	v_addc_co_u32_e32 v116, vcc, 0, v5, vcc
	s_movk_i32 s95, 0x2000
	s_movk_i32 s96, 0x3000
	;; [unrolled: 1-line block ×5, first 2 shown]
	v_mov_b32_e32 v117, 1
	v_lshlrev_b32_e32 v118, 3, v2
	v_lshlrev_b32_e32 v119, 3, v6
	;; [unrolled: 1-line block ×16, first 2 shown]
	v_and_b32_e32 v135, 15, v134
	v_bfe_i32 v136, v134, 4, 1
	v_and_b32_e32 v137, 16, v134
	v_and_b32_e32 v138, 3, v134
	v_add_u32_e32 v139, -1, v134
	v_and_b32_e32 v140, 64, v134
	v_lshlrev_b32_e32 v141, 3, v0
	v_or_b32_e32 v143, 64, v142
	v_or_b32_e32 v144, 0x80, v142
	;; [unrolled: 1-line block ×15, first 2 shown]
	v_writelane_b32 v235, s54, 5
	v_writelane_b32 v235, s55, 6
	s_branch .LBB707_12
.LBB707_10:                             ;   in Loop: Header=BB707_12 Depth=1
	v_readlane_b32 s38, v235, 2
	s_waitcnt lgkmcnt(0)
	s_barrier
.LBB707_11:                             ;   in Loop: Header=BB707_12 Depth=1
	v_readlane_b32 s52, v235, 3
	s_add_i32 s33, s33, 8
	v_readlane_b32 s54, v235, 5
	v_readlane_b32 s53, v235, 4
	s_cmp_ge_u32 s33, s54
	v_readlane_b32 s55, v235, 6
	s_cbranch_scc1 .LBB707_1190
.LBB707_12:                             ; =>This Loop Header: Depth=1
                                        ;     Child Loop BB707_16 Depth 2
                                        ;     Child Loop BB707_98 Depth 2
	;; [unrolled: 1-line block ×8, first 2 shown]
	s_sub_i32 s16, s54, s33
	s_xor_b64 s[70:71], s[70:71], -1
	s_min_u32 s68, s16, 8
	s_cmp_lg_u32 s33, s53
	s_mov_b64 s[16:17], -1
	ds_write2st64_b32 v3, v4, v4 offset1:4
	ds_write2st64_b32 v3, v4, v4 offset0:8 offset1:12
	s_waitcnt lgkmcnt(0)
	s_cbranch_scc0 .LBB707_602
; %bb.13:                               ;   in Loop: Header=BB707_12 Depth=1
	s_lshl_b32 s16, -1, s68
	s_not_b32 s69, s16
	s_mov_b64 s[16:17], -1
	s_and_b64 vcc, exec, s[70:71]
	s_cbranch_vccz .LBB707_307
; %bb.14:                               ;   in Loop: Header=BB707_12 Depth=1
	s_mov_b32 s24, s85
	s_mov_b32 s18, s38
	s_barrier
	s_waitcnt lgkmcnt(0)
                                        ; implicit-def: $vgpr62_vgpr63
                                        ; implicit-def: $vgpr0_vgpr1
                                        ; implicit-def: $vgpr34_vgpr35
                                        ; implicit-def: $vgpr36_vgpr37
                                        ; implicit-def: $vgpr38_vgpr39
                                        ; implicit-def: $vgpr40_vgpr41
                                        ; implicit-def: $vgpr42_vgpr43
                                        ; implicit-def: $vgpr44_vgpr45
                                        ; implicit-def: $vgpr46_vgpr47
                                        ; implicit-def: $vgpr48_vgpr49
                                        ; implicit-def: $vgpr50_vgpr51
                                        ; implicit-def: $vgpr52_vgpr53
                                        ; implicit-def: $vgpr54_vgpr55
                                        ; implicit-def: $vgpr56_vgpr57
                                        ; implicit-def: $vgpr58_vgpr59
                                        ; implicit-def: $vgpr60_vgpr61
	s_branch .LBB707_16
.LBB707_15:                             ;   in Loop: Header=BB707_16 Depth=2
	s_or_b64 exec, exec, s[16:17]
	s_addk_i32 s24, 0xf000
	s_cmp_ge_u32 s25, s94
	s_mov_b32 s18, s25
	s_cbranch_scc1 .LBB707_86
.LBB707_16:                             ;   Parent Loop BB707_12 Depth=1
                                        ; =>  This Inner Loop Header: Depth=2
	s_add_i32 s25, s18, 0x1000
	s_cmp_gt_u32 s25, s94
	s_cbranch_scc1 .LBB707_19
; %bb.17:                               ;   in Loop: Header=BB707_16 Depth=2
	s_mov_b32 s19, s88
	s_lshl_b64 s[16:17], s[18:19], 3
	v_mov_b32_e32 v5, s17
	v_add_co_u32_e32 v64, vcc, s16, v9
	v_addc_co_u32_e32 v65, vcc, v11, v5, vcc
	s_waitcnt vmcnt(11)
	v_add_co_u32_e32 v72, vcc, 0x1000, v64
	v_addc_co_u32_e32 v73, vcc, 0, v65, vcc
	s_waitcnt vmcnt(5)
	;; [unrolled: 3-line block ×3, first 2 shown]
	v_add_co_u32_e32 v82, vcc, s96, v64
	v_addc_co_u32_e32 v83, vcc, 0, v65, vcc
	v_add_co_u32_e32 v86, vcc, s97, v64
	v_addc_co_u32_e32 v87, vcc, 0, v65, vcc
	;; [unrolled: 2-line block ×4, first 2 shown]
	global_load_dwordx2 v[66:67], v[64:65], off
	global_load_dwordx2 v[68:69], v[64:65], off offset:2048
	global_load_dwordx2 v[70:71], v[72:73], off
	s_nop 0
	global_load_dwordx2 v[72:73], v[72:73], off offset:2048
	s_nop 0
	global_load_dwordx2 v[74:75], v[82:83], off
	global_load_dwordx2 v[76:77], v[82:83], off offset:2048
	global_load_dwordx2 v[80:81], v[88:89], off offset:-4096
	global_load_dwordx2 v[84:85], v[88:89], off
	s_nop 0
	global_load_dwordx2 v[88:89], v[88:89], off offset:2048
	s_nop 0
	global_load_dwordx2 v[78:79], v[78:79], off offset:2048
	s_nop 0
	global_load_dwordx2 v[86:87], v[86:87], off offset:2048
	s_nop 0
	global_load_dwordx2 v[90:91], v[92:93], off
	s_nop 0
	global_load_dwordx2 v[92:93], v[92:93], off offset:2048
	s_waitcnt vmcnt(13)
	v_add_co_u32_e32 v94, vcc, 0x7000, v64
	v_addc_co_u32_e32 v95, vcc, 0, v65, vcc
	global_load_dwordx2 v[82:83], v[82:83], off offset:-4096
	s_nop 0
	global_load_dwordx2 v[94:95], v[94:95], off
	v_add_co_u32_e32 v64, vcc, 0x7800, v64
	s_movk_i32 s26, 0x1000
	v_addc_co_u32_e32 v65, vcc, 0, v65, vcc
	s_mov_b64 s[16:17], -1
	s_cbranch_execz .LBB707_20
; %bb.18:                               ;   in Loop: Header=BB707_16 Depth=2
                                        ; implicit-def: $vgpr60_vgpr61
                                        ; implicit-def: $vgpr58_vgpr59
                                        ; implicit-def: $vgpr56_vgpr57
                                        ; implicit-def: $vgpr54_vgpr55
                                        ; implicit-def: $vgpr52_vgpr53
                                        ; implicit-def: $vgpr50_vgpr51
                                        ; implicit-def: $vgpr48_vgpr49
                                        ; implicit-def: $vgpr46_vgpr47
                                        ; implicit-def: $vgpr44_vgpr45
                                        ; implicit-def: $vgpr42_vgpr43
                                        ; implicit-def: $vgpr40_vgpr41
                                        ; implicit-def: $vgpr38_vgpr39
                                        ; implicit-def: $vgpr36_vgpr37
                                        ; implicit-def: $vgpr34_vgpr35
                                        ; implicit-def: $vgpr0_vgpr1
                                        ; implicit-def: $vgpr62_vgpr63
	v_mov_b32_e32 v5, s24
	s_and_saveexec_b64 s[18:19], s[16:17]
	s_cbranch_execnz .LBB707_39
	s_branch .LBB707_40
.LBB707_19:                             ;   in Loop: Header=BB707_16 Depth=2
	s_mov_b64 s[16:17], 0
                                        ; implicit-def: $sgpr26
                                        ; implicit-def: $vgpr66_vgpr67
                                        ; implicit-def: $vgpr68_vgpr69
                                        ; implicit-def: $vgpr70_vgpr71
                                        ; implicit-def: $vgpr72_vgpr73
                                        ; implicit-def: $vgpr82_vgpr83
                                        ; implicit-def: $vgpr78_vgpr79
                                        ; implicit-def: $vgpr74_vgpr75
                                        ; implicit-def: $vgpr76_vgpr77
                                        ; implicit-def: $vgpr80_vgpr81
                                        ; implicit-def: $vgpr86_vgpr87
                                        ; implicit-def: $vgpr84_vgpr85
                                        ; implicit-def: $vgpr88_vgpr89
                                        ; implicit-def: $vgpr90_vgpr91
                                        ; implicit-def: $vgpr92_vgpr93
                                        ; implicit-def: $vgpr94_vgpr95
                                        ; implicit-def: $vgpr64_vgpr65
.LBB707_20:                             ;   in Loop: Header=BB707_16 Depth=2
	s_mov_b32 s19, s88
	s_lshl_b64 s[20:21], s[18:19], 3
	s_add_u32 s20, s76, s20
	s_addc_u32 s21, s77, s21
	v_cmp_gt_u32_e32 vcc, s24, v2
	s_and_saveexec_b64 s[22:23], vcc
	s_cbranch_execz .LBB707_72
; %bb.21:                               ;   in Loop: Header=BB707_16 Depth=2
	global_load_dwordx2 v[60:61], v118, s[20:21]
	s_or_b64 exec, exec, s[22:23]
	v_cmp_gt_u32_e32 vcc, s24, v7
	s_and_saveexec_b64 s[22:23], vcc
	s_cbranch_execnz .LBB707_73
.LBB707_22:                             ;   in Loop: Header=BB707_16 Depth=2
	s_or_b64 exec, exec, s[22:23]
	v_cmp_gt_u32_e32 vcc, s24, v6
	s_and_saveexec_b64 s[22:23], vcc
	s_cbranch_execz .LBB707_74
.LBB707_23:                             ;   in Loop: Header=BB707_16 Depth=2
	global_load_dwordx2 v[56:57], v119, s[20:21]
	s_or_b64 exec, exec, s[22:23]
	v_cmp_gt_u32_e32 vcc, s24, v8
	s_and_saveexec_b64 s[22:23], vcc
	s_cbranch_execnz .LBB707_75
.LBB707_24:                             ;   in Loop: Header=BB707_16 Depth=2
	s_or_b64 exec, exec, s[22:23]
	v_cmp_gt_u32_e32 vcc, s24, v10
	s_and_saveexec_b64 s[22:23], vcc
	s_cbranch_execz .LBB707_76
.LBB707_25:                             ;   in Loop: Header=BB707_16 Depth=2
	global_load_dwordx2 v[52:53], v121, s[20:21]
	s_or_b64 exec, exec, s[22:23]
	v_cmp_gt_u32_e32 vcc, s24, v12
	s_and_saveexec_b64 s[22:23], vcc
	s_cbranch_execnz .LBB707_77
.LBB707_26:                             ;   in Loop: Header=BB707_16 Depth=2
	s_or_b64 exec, exec, s[22:23]
	v_cmp_gt_u32_e32 vcc, s24, v14
	s_and_saveexec_b64 s[22:23], vcc
	s_cbranch_execz .LBB707_78
.LBB707_27:                             ;   in Loop: Header=BB707_16 Depth=2
	global_load_dwordx2 v[48:49], v123, s[20:21]
	s_or_b64 exec, exec, s[22:23]
	v_cmp_gt_u32_e32 vcc, s24, v16
	s_and_saveexec_b64 s[22:23], vcc
	s_cbranch_execnz .LBB707_79
.LBB707_28:                             ;   in Loop: Header=BB707_16 Depth=2
	s_or_b64 exec, exec, s[22:23]
	v_cmp_gt_u32_e32 vcc, s24, v18
	s_and_saveexec_b64 s[22:23], vcc
	s_cbranch_execz .LBB707_80
.LBB707_29:                             ;   in Loop: Header=BB707_16 Depth=2
	global_load_dwordx2 v[44:45], v125, s[20:21]
	s_or_b64 exec, exec, s[22:23]
	v_cmp_gt_u32_e32 vcc, s24, v20
	s_and_saveexec_b64 s[22:23], vcc
	s_cbranch_execnz .LBB707_81
.LBB707_30:                             ;   in Loop: Header=BB707_16 Depth=2
	s_or_b64 exec, exec, s[22:23]
	v_cmp_gt_u32_e32 vcc, s24, v22
	s_and_saveexec_b64 s[22:23], vcc
	s_cbranch_execz .LBB707_82
.LBB707_31:                             ;   in Loop: Header=BB707_16 Depth=2
	global_load_dwordx2 v[40:41], v127, s[20:21]
	s_or_b64 exec, exec, s[22:23]
	v_cmp_gt_u32_e32 vcc, s24, v24
	s_and_saveexec_b64 s[22:23], vcc
	s_cbranch_execnz .LBB707_83
.LBB707_32:                             ;   in Loop: Header=BB707_16 Depth=2
	s_or_b64 exec, exec, s[22:23]
	v_cmp_gt_u32_e32 vcc, s24, v26
	s_and_saveexec_b64 s[22:23], vcc
	s_cbranch_execz .LBB707_84
.LBB707_33:                             ;   in Loop: Header=BB707_16 Depth=2
	global_load_dwordx2 v[36:37], v129, s[20:21]
	s_or_b64 exec, exec, s[22:23]
	v_cmp_gt_u32_e32 vcc, s24, v28
	s_and_saveexec_b64 s[22:23], vcc
	s_cbranch_execnz .LBB707_85
.LBB707_34:                             ;   in Loop: Header=BB707_16 Depth=2
	s_or_b64 exec, exec, s[22:23]
	v_cmp_gt_u32_e32 vcc, s24, v30
	s_and_saveexec_b64 s[22:23], vcc
	s_cbranch_execz .LBB707_36
.LBB707_35:                             ;   in Loop: Header=BB707_16 Depth=2
	global_load_dwordx2 v[0:1], v131, s[20:21]
.LBB707_36:                             ;   in Loop: Header=BB707_16 Depth=2
	s_or_b64 exec, exec, s[22:23]
	v_cmp_gt_u32_e32 vcc, s24, v32
                                        ; implicit-def: $sgpr26
                                        ; implicit-def: $vgpr64_vgpr65
	s_and_saveexec_b64 s[22:23], vcc
; %bb.37:                               ;   in Loop: Header=BB707_16 Depth=2
	v_mov_b32_e32 v5, s21
	v_add_co_u32_e32 v64, vcc, s20, v132
	s_sub_i32 s26, s94, s18
	v_addc_co_u32_e32 v65, vcc, 0, v5, vcc
	s_or_b64 s[16:17], s[16:17], exec
                                        ; implicit-def: $vgpr62_vgpr63
; %bb.38:                               ;   in Loop: Header=BB707_16 Depth=2
	s_or_b64 exec, exec, s[22:23]
	s_waitcnt vmcnt(0)
	v_pk_mov_b32 v[66:67], v[60:61], v[60:61] op_sel:[0,1]
	v_pk_mov_b32 v[68:69], v[58:59], v[58:59] op_sel:[0,1]
	;; [unrolled: 1-line block ×15, first 2 shown]
	v_mov_b32_e32 v5, s24
	s_and_saveexec_b64 s[18:19], s[16:17]
	s_cbranch_execz .LBB707_40
.LBB707_39:                             ;   in Loop: Header=BB707_16 Depth=2
	global_load_dwordx2 v[62:63], v[64:65], off
	v_mov_b32_e32 v5, s26
	s_waitcnt vmcnt(1)
	v_pk_mov_b32 v[0:1], v[94:95], v[94:95] op_sel:[0,1]
	v_pk_mov_b32 v[34:35], v[92:93], v[92:93] op_sel:[0,1]
	;; [unrolled: 1-line block ×15, first 2 shown]
.LBB707_40:                             ;   in Loop: Header=BB707_16 Depth=2
	s_or_b64 exec, exec, s[18:19]
	v_cmp_lt_u32_e32 vcc, v2, v5
	s_and_saveexec_b64 s[16:17], vcc
	s_cbranch_execz .LBB707_56
; %bb.41:                               ;   in Loop: Header=BB707_16 Depth=2
	v_xor_b32_e32 v65, 0x7fffffff, v61
	v_not_b32_e32 v64, v60
	v_lshrrev_b64 v[64:65], s33, v[64:65]
	v_and_b32_e32 v64, s69, v64
	v_lshl_or_b32 v64, v64, 4, v133
	ds_add_u32 v64, v117
	s_or_b64 exec, exec, s[16:17]
	v_cmp_lt_u32_e32 vcc, v7, v5
	s_and_saveexec_b64 s[16:17], vcc
	s_cbranch_execnz .LBB707_57
.LBB707_42:                             ;   in Loop: Header=BB707_16 Depth=2
	s_or_b64 exec, exec, s[16:17]
	v_cmp_lt_u32_e32 vcc, v6, v5
	s_and_saveexec_b64 s[16:17], vcc
	s_cbranch_execz .LBB707_58
.LBB707_43:                             ;   in Loop: Header=BB707_16 Depth=2
	v_xor_b32_e32 v65, 0x7fffffff, v57
	v_not_b32_e32 v64, v56
	v_lshrrev_b64 v[64:65], s33, v[64:65]
	v_and_b32_e32 v64, s69, v64
	v_lshl_or_b32 v64, v64, 4, v133
	ds_add_u32 v64, v117
	s_or_b64 exec, exec, s[16:17]
	v_cmp_lt_u32_e32 vcc, v8, v5
	s_and_saveexec_b64 s[16:17], vcc
	s_cbranch_execnz .LBB707_59
.LBB707_44:                             ;   in Loop: Header=BB707_16 Depth=2
	s_or_b64 exec, exec, s[16:17]
	v_cmp_lt_u32_e32 vcc, v10, v5
	s_and_saveexec_b64 s[16:17], vcc
	s_cbranch_execz .LBB707_60
.LBB707_45:                             ;   in Loop: Header=BB707_16 Depth=2
	v_xor_b32_e32 v65, 0x7fffffff, v53
	v_not_b32_e32 v64, v52
	v_lshrrev_b64 v[64:65], s33, v[64:65]
	v_and_b32_e32 v64, s69, v64
	v_lshl_or_b32 v64, v64, 4, v133
	ds_add_u32 v64, v117
	s_or_b64 exec, exec, s[16:17]
	v_cmp_lt_u32_e32 vcc, v12, v5
	s_and_saveexec_b64 s[16:17], vcc
	s_cbranch_execnz .LBB707_61
.LBB707_46:                             ;   in Loop: Header=BB707_16 Depth=2
	s_or_b64 exec, exec, s[16:17]
	v_cmp_lt_u32_e32 vcc, v14, v5
	s_and_saveexec_b64 s[16:17], vcc
	s_cbranch_execz .LBB707_62
.LBB707_47:                             ;   in Loop: Header=BB707_16 Depth=2
	v_xor_b32_e32 v65, 0x7fffffff, v49
	v_not_b32_e32 v64, v48
	v_lshrrev_b64 v[64:65], s33, v[64:65]
	v_and_b32_e32 v64, s69, v64
	v_lshl_or_b32 v64, v64, 4, v133
	ds_add_u32 v64, v117
	s_or_b64 exec, exec, s[16:17]
	v_cmp_lt_u32_e32 vcc, v16, v5
	s_and_saveexec_b64 s[16:17], vcc
	s_cbranch_execnz .LBB707_63
.LBB707_48:                             ;   in Loop: Header=BB707_16 Depth=2
	s_or_b64 exec, exec, s[16:17]
	v_cmp_lt_u32_e32 vcc, v18, v5
	s_and_saveexec_b64 s[16:17], vcc
	s_cbranch_execz .LBB707_64
.LBB707_49:                             ;   in Loop: Header=BB707_16 Depth=2
	v_xor_b32_e32 v65, 0x7fffffff, v45
	v_not_b32_e32 v64, v44
	v_lshrrev_b64 v[64:65], s33, v[64:65]
	v_and_b32_e32 v64, s69, v64
	v_lshl_or_b32 v64, v64, 4, v133
	ds_add_u32 v64, v117
	s_or_b64 exec, exec, s[16:17]
	v_cmp_lt_u32_e32 vcc, v20, v5
	s_and_saveexec_b64 s[16:17], vcc
	s_cbranch_execnz .LBB707_65
.LBB707_50:                             ;   in Loop: Header=BB707_16 Depth=2
	s_or_b64 exec, exec, s[16:17]
	v_cmp_lt_u32_e32 vcc, v22, v5
	s_and_saveexec_b64 s[16:17], vcc
	s_cbranch_execz .LBB707_66
.LBB707_51:                             ;   in Loop: Header=BB707_16 Depth=2
	v_xor_b32_e32 v65, 0x7fffffff, v41
	v_not_b32_e32 v64, v40
	v_lshrrev_b64 v[64:65], s33, v[64:65]
	v_and_b32_e32 v64, s69, v64
	v_lshl_or_b32 v64, v64, 4, v133
	ds_add_u32 v64, v117
	s_or_b64 exec, exec, s[16:17]
	v_cmp_lt_u32_e32 vcc, v24, v5
	s_and_saveexec_b64 s[16:17], vcc
	s_cbranch_execnz .LBB707_67
.LBB707_52:                             ;   in Loop: Header=BB707_16 Depth=2
	s_or_b64 exec, exec, s[16:17]
	v_cmp_lt_u32_e32 vcc, v26, v5
	s_and_saveexec_b64 s[16:17], vcc
	s_cbranch_execz .LBB707_68
.LBB707_53:                             ;   in Loop: Header=BB707_16 Depth=2
	v_xor_b32_e32 v65, 0x7fffffff, v37
	v_not_b32_e32 v64, v36
	v_lshrrev_b64 v[64:65], s33, v[64:65]
	v_and_b32_e32 v64, s69, v64
	v_lshl_or_b32 v64, v64, 4, v133
	ds_add_u32 v64, v117
	s_or_b64 exec, exec, s[16:17]
	v_cmp_lt_u32_e32 vcc, v28, v5
	s_and_saveexec_b64 s[16:17], vcc
	s_cbranch_execnz .LBB707_69
.LBB707_54:                             ;   in Loop: Header=BB707_16 Depth=2
	s_or_b64 exec, exec, s[16:17]
	v_cmp_lt_u32_e32 vcc, v30, v5
	s_and_saveexec_b64 s[16:17], vcc
	s_cbranch_execz .LBB707_70
.LBB707_55:                             ;   in Loop: Header=BB707_16 Depth=2
	v_xor_b32_e32 v65, 0x7fffffff, v1
	v_not_b32_e32 v64, v0
	v_lshrrev_b64 v[64:65], s33, v[64:65]
	v_and_b32_e32 v64, s69, v64
	v_lshl_or_b32 v64, v64, 4, v133
	ds_add_u32 v64, v117
	s_or_b64 exec, exec, s[16:17]
	v_cmp_lt_u32_e32 vcc, v32, v5
	s_and_saveexec_b64 s[16:17], vcc
	s_cbranch_execz .LBB707_15
	s_branch .LBB707_71
.LBB707_56:                             ;   in Loop: Header=BB707_16 Depth=2
	s_or_b64 exec, exec, s[16:17]
	v_cmp_lt_u32_e32 vcc, v7, v5
	s_and_saveexec_b64 s[16:17], vcc
	s_cbranch_execz .LBB707_42
.LBB707_57:                             ;   in Loop: Header=BB707_16 Depth=2
	v_xor_b32_e32 v65, 0x7fffffff, v59
	v_not_b32_e32 v64, v58
	v_lshrrev_b64 v[64:65], s33, v[64:65]
	v_and_b32_e32 v64, s69, v64
	v_lshl_or_b32 v64, v64, 4, v133
	ds_add_u32 v64, v117
	s_or_b64 exec, exec, s[16:17]
	v_cmp_lt_u32_e32 vcc, v6, v5
	s_and_saveexec_b64 s[16:17], vcc
	s_cbranch_execnz .LBB707_43
.LBB707_58:                             ;   in Loop: Header=BB707_16 Depth=2
	s_or_b64 exec, exec, s[16:17]
	v_cmp_lt_u32_e32 vcc, v8, v5
	s_and_saveexec_b64 s[16:17], vcc
	s_cbranch_execz .LBB707_44
.LBB707_59:                             ;   in Loop: Header=BB707_16 Depth=2
	v_xor_b32_e32 v65, 0x7fffffff, v55
	v_not_b32_e32 v64, v54
	v_lshrrev_b64 v[64:65], s33, v[64:65]
	v_and_b32_e32 v64, s69, v64
	v_lshl_or_b32 v64, v64, 4, v133
	ds_add_u32 v64, v117
	s_or_b64 exec, exec, s[16:17]
	v_cmp_lt_u32_e32 vcc, v10, v5
	s_and_saveexec_b64 s[16:17], vcc
	s_cbranch_execnz .LBB707_45
.LBB707_60:                             ;   in Loop: Header=BB707_16 Depth=2
	s_or_b64 exec, exec, s[16:17]
	v_cmp_lt_u32_e32 vcc, v12, v5
	s_and_saveexec_b64 s[16:17], vcc
	s_cbranch_execz .LBB707_46
.LBB707_61:                             ;   in Loop: Header=BB707_16 Depth=2
	v_xor_b32_e32 v65, 0x7fffffff, v51
	v_not_b32_e32 v64, v50
	v_lshrrev_b64 v[64:65], s33, v[64:65]
	v_and_b32_e32 v64, s69, v64
	v_lshl_or_b32 v64, v64, 4, v133
	ds_add_u32 v64, v117
	s_or_b64 exec, exec, s[16:17]
	v_cmp_lt_u32_e32 vcc, v14, v5
	s_and_saveexec_b64 s[16:17], vcc
	s_cbranch_execnz .LBB707_47
.LBB707_62:                             ;   in Loop: Header=BB707_16 Depth=2
	s_or_b64 exec, exec, s[16:17]
	v_cmp_lt_u32_e32 vcc, v16, v5
	s_and_saveexec_b64 s[16:17], vcc
	s_cbranch_execz .LBB707_48
.LBB707_63:                             ;   in Loop: Header=BB707_16 Depth=2
	v_xor_b32_e32 v65, 0x7fffffff, v47
	v_not_b32_e32 v64, v46
	v_lshrrev_b64 v[64:65], s33, v[64:65]
	v_and_b32_e32 v64, s69, v64
	v_lshl_or_b32 v64, v64, 4, v133
	ds_add_u32 v64, v117
	s_or_b64 exec, exec, s[16:17]
	v_cmp_lt_u32_e32 vcc, v18, v5
	s_and_saveexec_b64 s[16:17], vcc
	s_cbranch_execnz .LBB707_49
.LBB707_64:                             ;   in Loop: Header=BB707_16 Depth=2
	s_or_b64 exec, exec, s[16:17]
	v_cmp_lt_u32_e32 vcc, v20, v5
	s_and_saveexec_b64 s[16:17], vcc
	s_cbranch_execz .LBB707_50
.LBB707_65:                             ;   in Loop: Header=BB707_16 Depth=2
	v_xor_b32_e32 v65, 0x7fffffff, v43
	v_not_b32_e32 v64, v42
	v_lshrrev_b64 v[64:65], s33, v[64:65]
	v_and_b32_e32 v64, s69, v64
	v_lshl_or_b32 v64, v64, 4, v133
	ds_add_u32 v64, v117
	s_or_b64 exec, exec, s[16:17]
	v_cmp_lt_u32_e32 vcc, v22, v5
	s_and_saveexec_b64 s[16:17], vcc
	s_cbranch_execnz .LBB707_51
.LBB707_66:                             ;   in Loop: Header=BB707_16 Depth=2
	s_or_b64 exec, exec, s[16:17]
	v_cmp_lt_u32_e32 vcc, v24, v5
	s_and_saveexec_b64 s[16:17], vcc
	s_cbranch_execz .LBB707_52
.LBB707_67:                             ;   in Loop: Header=BB707_16 Depth=2
	v_xor_b32_e32 v65, 0x7fffffff, v39
	v_not_b32_e32 v64, v38
	v_lshrrev_b64 v[64:65], s33, v[64:65]
	v_and_b32_e32 v64, s69, v64
	v_lshl_or_b32 v64, v64, 4, v133
	ds_add_u32 v64, v117
	s_or_b64 exec, exec, s[16:17]
	v_cmp_lt_u32_e32 vcc, v26, v5
	s_and_saveexec_b64 s[16:17], vcc
	s_cbranch_execnz .LBB707_53
.LBB707_68:                             ;   in Loop: Header=BB707_16 Depth=2
	s_or_b64 exec, exec, s[16:17]
	v_cmp_lt_u32_e32 vcc, v28, v5
	s_and_saveexec_b64 s[16:17], vcc
	s_cbranch_execz .LBB707_54
.LBB707_69:                             ;   in Loop: Header=BB707_16 Depth=2
	v_xor_b32_e32 v65, 0x7fffffff, v35
	v_not_b32_e32 v64, v34
	v_lshrrev_b64 v[64:65], s33, v[64:65]
	v_and_b32_e32 v64, s69, v64
	v_lshl_or_b32 v64, v64, 4, v133
	ds_add_u32 v64, v117
	s_or_b64 exec, exec, s[16:17]
	v_cmp_lt_u32_e32 vcc, v30, v5
	s_and_saveexec_b64 s[16:17], vcc
	s_cbranch_execnz .LBB707_55
.LBB707_70:                             ;   in Loop: Header=BB707_16 Depth=2
	s_or_b64 exec, exec, s[16:17]
	v_cmp_lt_u32_e32 vcc, v32, v5
	s_and_saveexec_b64 s[16:17], vcc
	s_cbranch_execz .LBB707_15
.LBB707_71:                             ;   in Loop: Header=BB707_16 Depth=2
	s_waitcnt vmcnt(0)
	v_xor_b32_e32 v65, 0x7fffffff, v63
	v_not_b32_e32 v64, v62
	v_lshrrev_b64 v[64:65], s33, v[64:65]
	v_and_b32_e32 v5, s69, v64
	v_lshl_or_b32 v5, v5, 4, v133
	ds_add_u32 v5, v117
	s_branch .LBB707_15
.LBB707_72:                             ;   in Loop: Header=BB707_16 Depth=2
	s_or_b64 exec, exec, s[22:23]
	v_cmp_gt_u32_e32 vcc, s24, v7
	s_and_saveexec_b64 s[22:23], vcc
	s_cbranch_execz .LBB707_22
.LBB707_73:                             ;   in Loop: Header=BB707_16 Depth=2
	global_load_dwordx2 v[58:59], v118, s[20:21] offset:2048
	s_or_b64 exec, exec, s[22:23]
	v_cmp_gt_u32_e32 vcc, s24, v6
	s_and_saveexec_b64 s[22:23], vcc
	s_cbranch_execnz .LBB707_23
.LBB707_74:                             ;   in Loop: Header=BB707_16 Depth=2
	s_or_b64 exec, exec, s[22:23]
	v_cmp_gt_u32_e32 vcc, s24, v8
	s_and_saveexec_b64 s[22:23], vcc
	s_cbranch_execz .LBB707_24
.LBB707_75:                             ;   in Loop: Header=BB707_16 Depth=2
	global_load_dwordx2 v[54:55], v120, s[20:21]
	s_or_b64 exec, exec, s[22:23]
	v_cmp_gt_u32_e32 vcc, s24, v10
	s_and_saveexec_b64 s[22:23], vcc
	s_cbranch_execnz .LBB707_25
.LBB707_76:                             ;   in Loop: Header=BB707_16 Depth=2
	s_or_b64 exec, exec, s[22:23]
	v_cmp_gt_u32_e32 vcc, s24, v12
	s_and_saveexec_b64 s[22:23], vcc
	s_cbranch_execz .LBB707_26
.LBB707_77:                             ;   in Loop: Header=BB707_16 Depth=2
	global_load_dwordx2 v[50:51], v122, s[20:21]
	s_or_b64 exec, exec, s[22:23]
	v_cmp_gt_u32_e32 vcc, s24, v14
	s_and_saveexec_b64 s[22:23], vcc
	s_cbranch_execnz .LBB707_27
.LBB707_78:                             ;   in Loop: Header=BB707_16 Depth=2
	s_or_b64 exec, exec, s[22:23]
	v_cmp_gt_u32_e32 vcc, s24, v16
	s_and_saveexec_b64 s[22:23], vcc
	s_cbranch_execz .LBB707_28
.LBB707_79:                             ;   in Loop: Header=BB707_16 Depth=2
	global_load_dwordx2 v[46:47], v124, s[20:21]
	s_or_b64 exec, exec, s[22:23]
	v_cmp_gt_u32_e32 vcc, s24, v18
	s_and_saveexec_b64 s[22:23], vcc
	s_cbranch_execnz .LBB707_29
.LBB707_80:                             ;   in Loop: Header=BB707_16 Depth=2
	s_or_b64 exec, exec, s[22:23]
	v_cmp_gt_u32_e32 vcc, s24, v20
	s_and_saveexec_b64 s[22:23], vcc
	s_cbranch_execz .LBB707_30
.LBB707_81:                             ;   in Loop: Header=BB707_16 Depth=2
	global_load_dwordx2 v[42:43], v126, s[20:21]
	s_or_b64 exec, exec, s[22:23]
	v_cmp_gt_u32_e32 vcc, s24, v22
	s_and_saveexec_b64 s[22:23], vcc
	s_cbranch_execnz .LBB707_31
.LBB707_82:                             ;   in Loop: Header=BB707_16 Depth=2
	s_or_b64 exec, exec, s[22:23]
	v_cmp_gt_u32_e32 vcc, s24, v24
	s_and_saveexec_b64 s[22:23], vcc
	s_cbranch_execz .LBB707_32
.LBB707_83:                             ;   in Loop: Header=BB707_16 Depth=2
	global_load_dwordx2 v[38:39], v128, s[20:21]
	s_or_b64 exec, exec, s[22:23]
	v_cmp_gt_u32_e32 vcc, s24, v26
	s_and_saveexec_b64 s[22:23], vcc
	s_cbranch_execnz .LBB707_33
.LBB707_84:                             ;   in Loop: Header=BB707_16 Depth=2
	s_or_b64 exec, exec, s[22:23]
	v_cmp_gt_u32_e32 vcc, s24, v28
	s_and_saveexec_b64 s[22:23], vcc
	s_cbranch_execz .LBB707_34
.LBB707_85:                             ;   in Loop: Header=BB707_16 Depth=2
	global_load_dwordx2 v[34:35], v130, s[20:21]
	s_or_b64 exec, exec, s[22:23]
	v_cmp_gt_u32_e32 vcc, s24, v30
	s_and_saveexec_b64 s[22:23], vcc
	s_cbranch_execz .LBB707_36
	s_branch .LBB707_35
.LBB707_86:                             ;   in Loop: Header=BB707_12 Depth=1
	v_mov_b32_e32 v0, 0
	s_waitcnt lgkmcnt(0)
	s_barrier
	s_and_saveexec_b64 s[16:17], s[4:5]
	s_cbranch_execz .LBB707_88
; %bb.87:                               ;   in Loop: Header=BB707_12 Depth=1
	ds_read2_b64 v[34:37], v13 offset1:1
	s_waitcnt lgkmcnt(0)
	v_add_u32_e32 v0, v35, v34
	v_add3_u32 v0, v0, v36, v37
.LBB707_88:                             ;   in Loop: Header=BB707_12 Depth=1
	s_or_b64 exec, exec, s[16:17]
	s_nop 0
	v_mov_b32_dpp v1, v0 row_shr:1 row_mask:0xf bank_mask:0xf
	v_cmp_eq_u32_e64 s[16:17], 0, v135
	v_cndmask_b32_e64 v1, v1, 0, s[16:17]
	v_add_u32_e32 v0, v1, v0
	v_cmp_lt_u32_e64 s[18:19], 1, v135
	v_cmp_lt_u32_e64 s[20:21], 3, v135
	v_mov_b32_dpp v1, v0 row_shr:2 row_mask:0xf bank_mask:0xf
	v_cndmask_b32_e64 v1, 0, v1, s[18:19]
	v_add_u32_e32 v0, v0, v1
	v_cmp_lt_u32_e64 s[22:23], 7, v135
	v_cmp_lt_u32_e64 s[26:27], 31, v134
	v_mov_b32_dpp v1, v0 row_shr:4 row_mask:0xf bank_mask:0xf
	v_cndmask_b32_e64 v1, 0, v1, s[20:21]
	v_add_u32_e32 v0, v0, v1
	v_cmp_eq_u32_e64 s[24:25], 0, v137
	s_nop 0
	v_mov_b32_dpp v1, v0 row_shr:8 row_mask:0xf bank_mask:0xf
	v_cndmask_b32_e64 v1, 0, v1, s[22:23]
	v_add_u32_e32 v0, v0, v1
	s_nop 1
	v_mov_b32_dpp v1, v0 row_bcast:15 row_mask:0xf bank_mask:0xf
	v_and_b32_e32 v1, v136, v1
	v_add_u32_e32 v0, v0, v1
	s_nop 1
	v_mov_b32_dpp v1, v0 row_bcast:31 row_mask:0xf bank_mask:0xf
	v_cndmask_b32_e64 v1, 0, v1, s[26:27]
	v_add_u32_e32 v0, v0, v1
	s_and_saveexec_b64 s[28:29], s[6:7]
	s_cbranch_execz .LBB707_90
; %bb.89:                               ;   in Loop: Header=BB707_12 Depth=1
	ds_write_b32 v17, v0
.LBB707_90:                             ;   in Loop: Header=BB707_12 Depth=1
	s_or_b64 exec, exec, s[28:29]
	s_waitcnt lgkmcnt(0)
	s_barrier
	s_and_saveexec_b64 s[28:29], s[8:9]
	s_cbranch_execz .LBB707_92
; %bb.91:                               ;   in Loop: Header=BB707_12 Depth=1
	ds_read_b32 v1, v19
	v_cmp_ne_u32_e32 vcc, 0, v138
	s_waitcnt lgkmcnt(0)
	v_mov_b32_dpp v5, v1 row_shr:1 row_mask:0xf bank_mask:0xf
	v_cndmask_b32_e32 v5, 0, v5, vcc
	v_add_u32_e32 v1, v5, v1
	v_cmp_lt_u32_e32 vcc, 1, v138
	s_nop 0
	v_mov_b32_dpp v5, v1 row_shr:2 row_mask:0xf bank_mask:0xf
	v_cndmask_b32_e32 v5, 0, v5, vcc
	v_add_u32_e32 v1, v1, v5
	ds_write_b32 v19, v1
.LBB707_92:                             ;   in Loop: Header=BB707_12 Depth=1
	s_or_b64 exec, exec, s[28:29]
	v_mov_b32_e32 v1, 0
	s_waitcnt lgkmcnt(0)
	s_barrier
	s_and_saveexec_b64 s[28:29], s[10:11]
	s_cbranch_execz .LBB707_94
; %bb.93:                               ;   in Loop: Header=BB707_12 Depth=1
	ds_read_b32 v1, v21
.LBB707_94:                             ;   in Loop: Header=BB707_12 Depth=1
	s_or_b64 exec, exec, s[28:29]
	v_cmp_lt_i32_e32 vcc, v139, v140
	v_cndmask_b32_e32 v5, v139, v134, vcc
	s_waitcnt lgkmcnt(0)
	v_add_u32_e32 v0, v1, v0
	v_lshlrev_b32_e32 v158, 2, v5
	ds_bpermute_b32 v0, v158, v0
	v_cmp_eq_u32_e64 s[28:29], 0, v134
	s_waitcnt lgkmcnt(0)
	s_barrier
	s_and_saveexec_b64 s[30:31], s[4:5]
	s_cbranch_execz .LBB707_96
; %bb.95:                               ;   in Loop: Header=BB707_12 Depth=1
	v_cndmask_b32_e64 v0, v0, v1, s[28:29]
	v_add_u32_e32 v0, s38, v0
	ds_write_b32 v3, v0
.LBB707_96:                             ;   in Loop: Header=BB707_12 Depth=1
	s_or_b64 exec, exec, s[30:31]
	s_load_dword s30, s[90:91], 0x4
	s_load_dword s36, s[90:91], 0xc
	v_readlane_b32 s31, v235, 0
	v_add_co_u32_e32 v159, vcc, v100, v141
	s_waitcnt lgkmcnt(0)
	s_cmp_lt_u32 s31, s30
	s_cselect_b32 s30, 14, 20
	s_add_u32 s30, s90, s30
	s_addc_u32 s31, s91, 0
	global_load_ushort v5, v4, s[30:31]
	v_addc_co_u32_e32 v160, vcc, 0, v101, vcc
	v_add_co_u32_e32 v161, vcc, v102, v141
	v_addc_co_u32_e32 v162, vcc, 0, v103, vcc
	s_and_b32 s36, s36, 0xffff
	v_add_co_u32_e32 v176, vcc, 0x1e00, v161
	v_cmp_eq_u32_e64 s[30:31], 0, v138
	v_cmp_lt_u32_e64 s[34:35], 1, v138
	s_mov_b32 s87, s85
	v_addc_co_u32_e32 v179, vcc, 0, v162, vcc
	s_mov_b32 s78, s38
                                        ; implicit-def: $vgpr0_vgpr1
                                        ; implicit-def: $vgpr34_vgpr35
                                        ; implicit-def: $vgpr36_vgpr37
                                        ; implicit-def: $vgpr40_vgpr41
                                        ; implicit-def: $vgpr44_vgpr45
                                        ; implicit-def: $vgpr48_vgpr49
                                        ; implicit-def: $vgpr52_vgpr53
                                        ; implicit-def: $vgpr56_vgpr57
                                        ; implicit-def: $vgpr38_vgpr39
                                        ; implicit-def: $vgpr42_vgpr43
                                        ; implicit-def: $vgpr46_vgpr47
                                        ; implicit-def: $vgpr50_vgpr51
                                        ; implicit-def: $vgpr54_vgpr55
                                        ; implicit-def: $vgpr58_vgpr59
                                        ; implicit-def: $vgpr60_vgpr61
                                        ; implicit-def: $vgpr62_vgpr63
                                        ; implicit-def: $vgpr163
                                        ; implicit-def: $vgpr164
                                        ; implicit-def: $vgpr165
                                        ; implicit-def: $vgpr166
                                        ; implicit-def: $vgpr167
                                        ; implicit-def: $vgpr168
                                        ; implicit-def: $vgpr169
                                        ; implicit-def: $vgpr170
                                        ; implicit-def: $vgpr171
                                        ; implicit-def: $vgpr172
                                        ; implicit-def: $vgpr173
                                        ; implicit-def: $vgpr174
                                        ; implicit-def: $vgpr175
                                        ; implicit-def: $vgpr177
                                        ; implicit-def: $vgpr178
                                        ; implicit-def: $vgpr180
	s_waitcnt vmcnt(0)
	v_mad_u32_u24 v5, v23, v5, v25
	v_mad_u64_u32 v[64:65], s[36:37], v5, s36, v[2:3]
	v_lshrrev_b32_e32 v181, 6, v64
	s_branch .LBB707_98
.LBB707_97:                             ;   in Loop: Header=BB707_98 Depth=2
	s_or_b64 exec, exec, s[36:37]
	s_addk_i32 s87, 0xf000
	s_cmp_lt_u32 s86, s94
	s_mov_b32 s78, s86
	s_cbranch_scc0 .LBB707_306
.LBB707_98:                             ;   Parent Loop BB707_12 Depth=1
                                        ; =>  This Inner Loop Header: Depth=2
	s_add_i32 s86, s78, 0x1000
	s_cmp_gt_u32 s86, s94
	s_cbranch_scc1 .LBB707_100
; %bb.99:                               ;   in Loop: Header=BB707_98 Depth=2
	s_mov_b32 s79, s88
	s_lshl_b64 s[36:37], s[78:79], 3
	v_mov_b32_e32 v5, s37
	v_add_co_u32_e32 v68, vcc, s36, v161
	v_addc_co_u32_e32 v69, vcc, v162, v5, vcc
	global_load_dwordx2 v[64:65], v[68:69], off
	global_load_dwordx2 v[66:67], v[68:69], off offset:512
	global_load_dwordx2 v[74:75], v[68:69], off offset:1024
	;; [unrolled: 1-line block ×7, first 2 shown]
	v_add_co_u32_e32 v68, vcc, 0x1000, v68
	v_addc_co_u32_e32 v69, vcc, 0, v69, vcc
	global_load_dwordx2 v[92:93], v[68:69], off
	global_load_dwordx2 v[88:89], v[68:69], off offset:512
	global_load_dwordx2 v[84:85], v[68:69], off offset:1024
	;; [unrolled: 1-line block ×5, first 2 shown]
	s_nop 0
	global_load_dwordx2 v[68:69], v[68:69], off offset:3072
	s_movk_i32 s40, 0x1000
	s_mov_b64 s[36:37], -1
	s_cbranch_execz .LBB707_101
	s_branch .LBB707_132
.LBB707_100:                            ;   in Loop: Header=BB707_98 Depth=2
	s_mov_b64 s[36:37], 0
                                        ; implicit-def: $sgpr40
                                        ; implicit-def: $vgpr64_vgpr65
                                        ; implicit-def: $vgpr66_vgpr67
                                        ; implicit-def: $vgpr74_vgpr75
                                        ; implicit-def: $vgpr78_vgpr79
                                        ; implicit-def: $vgpr82_vgpr83
                                        ; implicit-def: $vgpr86_vgpr87
                                        ; implicit-def: $vgpr90_vgpr91
                                        ; implicit-def: $vgpr94_vgpr95
                                        ; implicit-def: $vgpr92_vgpr93
                                        ; implicit-def: $vgpr88_vgpr89
                                        ; implicit-def: $vgpr84_vgpr85
                                        ; implicit-def: $vgpr80_vgpr81
                                        ; implicit-def: $vgpr76_vgpr77
                                        ; implicit-def: $vgpr72_vgpr73
                                        ; implicit-def: $vgpr68_vgpr69
.LBB707_101:                            ;   in Loop: Header=BB707_98 Depth=2
	s_mov_b32 s79, s88
	s_lshl_b64 s[36:37], s[78:79], 3
	v_mov_b32_e32 v5, s37
	v_add_co_u32_e32 v70, vcc, s36, v161
	v_addc_co_u32_e32 v71, vcc, v162, v5, vcc
	v_cmp_gt_u32_e32 vcc, s87, v142
	s_waitcnt vmcnt(14)
	v_pk_mov_b32 v[64:65], s[88:89], s[88:89] op_sel:[0,1]
	s_and_saveexec_b64 s[36:37], vcc
	s_cbranch_execz .LBB707_103
; %bb.102:                              ;   in Loop: Header=BB707_98 Depth=2
	global_load_dwordx2 v[64:65], v[70:71], off
.LBB707_103:                            ;   in Loop: Header=BB707_98 Depth=2
	s_or_b64 exec, exec, s[36:37]
	v_cmp_gt_u32_e32 vcc, s87, v143
	s_waitcnt vmcnt(13)
	v_pk_mov_b32 v[66:67], s[88:89], s[88:89] op_sel:[0,1]
	s_and_saveexec_b64 s[36:37], vcc
	s_cbranch_execz .LBB707_105
; %bb.104:                              ;   in Loop: Header=BB707_98 Depth=2
	global_load_dwordx2 v[66:67], v[70:71], off offset:512
.LBB707_105:                            ;   in Loop: Header=BB707_98 Depth=2
	s_or_b64 exec, exec, s[36:37]
	v_cmp_gt_u32_e32 vcc, s87, v144
	s_waitcnt vmcnt(12)
	v_pk_mov_b32 v[74:75], s[88:89], s[88:89] op_sel:[0,1]
	s_and_saveexec_b64 s[36:37], vcc
	s_cbranch_execz .LBB707_107
; %bb.106:                              ;   in Loop: Header=BB707_98 Depth=2
	global_load_dwordx2 v[74:75], v[70:71], off offset:1024
.LBB707_107:                            ;   in Loop: Header=BB707_98 Depth=2
	;; [unrolled: 9-line block ×7, first 2 shown]
	s_or_b64 exec, exec, s[36:37]
	v_cmp_gt_u32_e32 vcc, s87, v150
	s_waitcnt vmcnt(6)
	v_pk_mov_b32 v[92:93], s[88:89], s[88:89] op_sel:[0,1]
	s_and_saveexec_b64 s[36:37], vcc
	s_cbranch_execz .LBB707_119
; %bb.118:                              ;   in Loop: Header=BB707_98 Depth=2
	s_waitcnt vmcnt(0)
	v_add_co_u32_e32 v68, vcc, 0x1000, v70
	v_addc_co_u32_e32 v69, vcc, 0, v71, vcc
	global_load_dwordx2 v[92:93], v[68:69], off
.LBB707_119:                            ;   in Loop: Header=BB707_98 Depth=2
	s_or_b64 exec, exec, s[36:37]
	v_cmp_gt_u32_e32 vcc, s87, v151
	s_waitcnt vmcnt(5)
	v_pk_mov_b32 v[88:89], s[88:89], s[88:89] op_sel:[0,1]
	s_and_saveexec_b64 s[36:37], vcc
	s_cbranch_execz .LBB707_121
; %bb.120:                              ;   in Loop: Header=BB707_98 Depth=2
	s_waitcnt vmcnt(0)
	v_add_co_u32_e32 v68, vcc, 0x1000, v70
	v_addc_co_u32_e32 v69, vcc, 0, v71, vcc
	global_load_dwordx2 v[88:89], v[68:69], off offset:512
.LBB707_121:                            ;   in Loop: Header=BB707_98 Depth=2
	s_or_b64 exec, exec, s[36:37]
	v_cmp_gt_u32_e32 vcc, s87, v152
	s_waitcnt vmcnt(4)
	v_pk_mov_b32 v[84:85], s[88:89], s[88:89] op_sel:[0,1]
	s_and_saveexec_b64 s[36:37], vcc
	s_cbranch_execz .LBB707_123
; %bb.122:                              ;   in Loop: Header=BB707_98 Depth=2
	s_waitcnt vmcnt(0)
	v_add_co_u32_e32 v68, vcc, 0x1000, v70
	v_addc_co_u32_e32 v69, vcc, 0, v71, vcc
	global_load_dwordx2 v[84:85], v[68:69], off offset:1024
.LBB707_123:                            ;   in Loop: Header=BB707_98 Depth=2
	;; [unrolled: 12-line block ×5, first 2 shown]
	s_or_b64 exec, exec, s[36:37]
	v_cmp_gt_u32_e32 vcc, s87, v156
	s_waitcnt vmcnt(0)
	v_pk_mov_b32 v[68:69], s[88:89], s[88:89] op_sel:[0,1]
	s_and_saveexec_b64 s[36:37], vcc
	s_cbranch_execz .LBB707_131
; %bb.130:                              ;   in Loop: Header=BB707_98 Depth=2
	v_add_co_u32_e32 v68, vcc, 0x1000, v70
	v_addc_co_u32_e32 v69, vcc, 0, v71, vcc
	global_load_dwordx2 v[68:69], v[68:69], off offset:3072
.LBB707_131:                            ;   in Loop: Header=BB707_98 Depth=2
	s_or_b64 exec, exec, s[36:37]
	s_sub_i32 s40, s94, s78
	v_cmp_gt_u32_e64 s[36:37], s87, v157
.LBB707_132:                            ;   in Loop: Header=BB707_98 Depth=2
	v_pk_mov_b32 v[70:71], s[88:89], s[88:89] op_sel:[0,1]
	v_mov_b32_e32 v182, s87
	s_and_saveexec_b64 s[38:39], s[36:37]
	s_cbranch_execz .LBB707_134
; %bb.133:                              ;   in Loop: Header=BB707_98 Depth=2
	s_lshl_b64 s[36:37], s[78:79], 3
	v_mov_b32_e32 v5, s37
	v_add_co_u32_e32 v70, vcc, s36, v176
	v_addc_co_u32_e32 v71, vcc, v179, v5, vcc
	global_load_dwordx2 v[70:71], v[70:71], off
	v_mov_b32_e32 v182, s40
.LBB707_134:                            ;   in Loop: Header=BB707_98 Depth=2
	s_or_b64 exec, exec, s[38:39]
	s_waitcnt vmcnt(14)
	v_xor_b32_e32 v65, 0x7fffffff, v65
	v_not_b32_e32 v64, v64
	v_lshrrev_b64 v[96:97], s33, v[64:65]
	v_add_u32_e32 v5, 0x410, v27
	v_and_b32_e32 v96, s69, v96
	ds_write2_b32 v5, v4, v4 offset1:1
	ds_write2_b32 v31, v4, v4 offset0:2 offset1:3
	ds_write_b32 v31, v4 offset:16
	v_mad_u32_u24 v5, v96, 5, v181
	v_lshl_add_u32 v183, v5, 2, v29
	v_and_b32_e32 v5, 1, v96
	v_add_co_u32_e32 v97, vcc, -1, v5
	v_addc_co_u32_e64 v98, s[36:37], 0, -1, vcc
	v_cmp_ne_u32_e32 vcc, 0, v5
	v_xor_b32_e32 v5, vcc_hi, v98
	v_and_b32_e32 v98, exec_hi, v5
	v_lshlrev_b32_e32 v5, 30, v96
	v_xor_b32_e32 v97, vcc_lo, v97
	v_cmp_gt_i64_e32 vcc, 0, v[4:5]
	v_not_b32_e32 v5, v5
	v_ashrrev_i32_e32 v5, 31, v5
	v_and_b32_e32 v97, exec_lo, v97
	v_xor_b32_e32 v99, vcc_hi, v5
	v_xor_b32_e32 v5, vcc_lo, v5
	v_and_b32_e32 v97, v97, v5
	v_lshlrev_b32_e32 v5, 29, v96
	v_cmp_gt_i64_e32 vcc, 0, v[4:5]
	v_not_b32_e32 v5, v5
	v_ashrrev_i32_e32 v5, 31, v5
	v_and_b32_e32 v98, v98, v99
	v_xor_b32_e32 v99, vcc_hi, v5
	v_xor_b32_e32 v5, vcc_lo, v5
	v_and_b32_e32 v97, v97, v5
	v_lshlrev_b32_e32 v5, 28, v96
	v_cmp_gt_i64_e32 vcc, 0, v[4:5]
	v_not_b32_e32 v5, v5
	v_ashrrev_i32_e32 v5, 31, v5
	v_and_b32_e32 v98, v98, v99
	;; [unrolled: 8-line block ×5, first 2 shown]
	v_xor_b32_e32 v99, vcc_hi, v5
	v_xor_b32_e32 v5, vcc_lo, v5
	v_and_b32_e32 v98, v98, v99
	v_and_b32_e32 v99, v97, v5
	v_lshlrev_b32_e32 v5, 24, v96
	v_cmp_gt_i64_e32 vcc, 0, v[4:5]
	v_not_b32_e32 v5, v5
	v_ashrrev_i32_e32 v5, 31, v5
	v_xor_b32_e32 v96, vcc_hi, v5
	v_xor_b32_e32 v5, vcc_lo, v5
	v_and_b32_e32 v97, v98, v96
	v_and_b32_e32 v96, v99, v5
	v_mbcnt_lo_u32_b32 v5, v96, 0
	v_mbcnt_hi_u32_b32 v184, v97, v5
	v_cmp_eq_u32_e32 vcc, 0, v184
	v_cmp_ne_u64_e64 s[36:37], 0, v[96:97]
	s_and_b64 s[38:39], s[36:37], vcc
	s_waitcnt lgkmcnt(0)
	s_barrier
	s_waitcnt lgkmcnt(0)
	; wave barrier
	s_and_saveexec_b64 s[36:37], s[38:39]
	s_cbranch_execz .LBB707_136
; %bb.135:                              ;   in Loop: Header=BB707_98 Depth=2
	v_bcnt_u32_b32 v5, v96, 0
	v_bcnt_u32_b32 v5, v97, v5
	ds_write_b32 v183, v5
.LBB707_136:                            ;   in Loop: Header=BB707_98 Depth=2
	s_or_b64 exec, exec, s[36:37]
	s_waitcnt vmcnt(13)
	v_xor_b32_e32 v67, 0x7fffffff, v67
	v_not_b32_e32 v66, v66
	v_lshrrev_b64 v[96:97], s33, v[66:67]
	v_and_b32_e32 v96, s69, v96
	v_mul_u32_u24_e32 v5, 5, v96
	v_add_lshl_u32 v5, v5, v181, 2
	; wave barrier
	v_add_u32_e32 v186, 0x410, v5
	ds_read_b32 v185, v5 offset:1040
	v_and_b32_e32 v5, 1, v96
	v_add_co_u32_e32 v97, vcc, -1, v5
	v_addc_co_u32_e64 v98, s[36:37], 0, -1, vcc
	v_cmp_ne_u32_e32 vcc, 0, v5
	v_xor_b32_e32 v5, vcc_hi, v98
	v_and_b32_e32 v98, exec_hi, v5
	v_lshlrev_b32_e32 v5, 30, v96
	v_xor_b32_e32 v97, vcc_lo, v97
	v_cmp_gt_i64_e32 vcc, 0, v[4:5]
	v_not_b32_e32 v5, v5
	v_ashrrev_i32_e32 v5, 31, v5
	v_and_b32_e32 v97, exec_lo, v97
	v_xor_b32_e32 v99, vcc_hi, v5
	v_xor_b32_e32 v5, vcc_lo, v5
	v_and_b32_e32 v97, v97, v5
	v_lshlrev_b32_e32 v5, 29, v96
	v_cmp_gt_i64_e32 vcc, 0, v[4:5]
	v_not_b32_e32 v5, v5
	v_ashrrev_i32_e32 v5, 31, v5
	v_and_b32_e32 v98, v98, v99
	v_xor_b32_e32 v99, vcc_hi, v5
	v_xor_b32_e32 v5, vcc_lo, v5
	v_and_b32_e32 v97, v97, v5
	v_lshlrev_b32_e32 v5, 28, v96
	v_cmp_gt_i64_e32 vcc, 0, v[4:5]
	v_not_b32_e32 v5, v5
	v_ashrrev_i32_e32 v5, 31, v5
	v_and_b32_e32 v98, v98, v99
	;; [unrolled: 8-line block ×5, first 2 shown]
	v_xor_b32_e32 v99, vcc_hi, v5
	v_xor_b32_e32 v5, vcc_lo, v5
	v_and_b32_e32 v98, v98, v99
	v_and_b32_e32 v99, v97, v5
	v_lshlrev_b32_e32 v5, 24, v96
	v_cmp_gt_i64_e32 vcc, 0, v[4:5]
	v_not_b32_e32 v5, v5
	v_ashrrev_i32_e32 v5, 31, v5
	v_xor_b32_e32 v96, vcc_hi, v5
	v_xor_b32_e32 v5, vcc_lo, v5
	v_and_b32_e32 v97, v98, v96
	v_and_b32_e32 v96, v99, v5
	v_mbcnt_lo_u32_b32 v5, v96, 0
	v_mbcnt_hi_u32_b32 v187, v97, v5
	v_cmp_eq_u32_e32 vcc, 0, v187
	v_cmp_ne_u64_e64 s[36:37], 0, v[96:97]
	s_and_b64 s[38:39], s[36:37], vcc
	; wave barrier
	s_and_saveexec_b64 s[36:37], s[38:39]
	s_cbranch_execz .LBB707_138
; %bb.137:                              ;   in Loop: Header=BB707_98 Depth=2
	v_bcnt_u32_b32 v5, v96, 0
	v_bcnt_u32_b32 v5, v97, v5
	s_waitcnt lgkmcnt(0)
	v_add_u32_e32 v5, v185, v5
	ds_write_b32 v186, v5
.LBB707_138:                            ;   in Loop: Header=BB707_98 Depth=2
	s_or_b64 exec, exec, s[36:37]
	s_waitcnt vmcnt(12)
	v_xor_b32_e32 v75, 0x7fffffff, v75
	v_not_b32_e32 v74, v74
	v_lshrrev_b64 v[96:97], s33, v[74:75]
	v_and_b32_e32 v96, s69, v96
	v_mul_u32_u24_e32 v5, 5, v96
	v_add_lshl_u32 v5, v5, v181, 2
	; wave barrier
	v_add_u32_e32 v189, 0x410, v5
	ds_read_b32 v188, v5 offset:1040
	v_and_b32_e32 v5, 1, v96
	v_add_co_u32_e32 v97, vcc, -1, v5
	v_addc_co_u32_e64 v98, s[36:37], 0, -1, vcc
	v_cmp_ne_u32_e32 vcc, 0, v5
	v_xor_b32_e32 v5, vcc_hi, v98
	v_and_b32_e32 v98, exec_hi, v5
	v_lshlrev_b32_e32 v5, 30, v96
	v_xor_b32_e32 v97, vcc_lo, v97
	v_cmp_gt_i64_e32 vcc, 0, v[4:5]
	v_not_b32_e32 v5, v5
	v_ashrrev_i32_e32 v5, 31, v5
	v_and_b32_e32 v97, exec_lo, v97
	v_xor_b32_e32 v99, vcc_hi, v5
	v_xor_b32_e32 v5, vcc_lo, v5
	v_and_b32_e32 v97, v97, v5
	v_lshlrev_b32_e32 v5, 29, v96
	v_cmp_gt_i64_e32 vcc, 0, v[4:5]
	v_not_b32_e32 v5, v5
	v_ashrrev_i32_e32 v5, 31, v5
	v_and_b32_e32 v98, v98, v99
	v_xor_b32_e32 v99, vcc_hi, v5
	v_xor_b32_e32 v5, vcc_lo, v5
	v_and_b32_e32 v97, v97, v5
	v_lshlrev_b32_e32 v5, 28, v96
	v_cmp_gt_i64_e32 vcc, 0, v[4:5]
	v_not_b32_e32 v5, v5
	v_ashrrev_i32_e32 v5, 31, v5
	v_and_b32_e32 v98, v98, v99
	;; [unrolled: 8-line block ×5, first 2 shown]
	v_xor_b32_e32 v99, vcc_hi, v5
	v_xor_b32_e32 v5, vcc_lo, v5
	v_and_b32_e32 v98, v98, v99
	v_and_b32_e32 v99, v97, v5
	v_lshlrev_b32_e32 v5, 24, v96
	v_cmp_gt_i64_e32 vcc, 0, v[4:5]
	v_not_b32_e32 v5, v5
	v_ashrrev_i32_e32 v5, 31, v5
	v_xor_b32_e32 v96, vcc_hi, v5
	v_xor_b32_e32 v5, vcc_lo, v5
	v_and_b32_e32 v97, v98, v96
	v_and_b32_e32 v96, v99, v5
	v_mbcnt_lo_u32_b32 v5, v96, 0
	v_mbcnt_hi_u32_b32 v190, v97, v5
	v_cmp_eq_u32_e32 vcc, 0, v190
	v_cmp_ne_u64_e64 s[36:37], 0, v[96:97]
	s_and_b64 s[38:39], s[36:37], vcc
	; wave barrier
	s_and_saveexec_b64 s[36:37], s[38:39]
	s_cbranch_execz .LBB707_140
; %bb.139:                              ;   in Loop: Header=BB707_98 Depth=2
	v_bcnt_u32_b32 v5, v96, 0
	v_bcnt_u32_b32 v5, v97, v5
	s_waitcnt lgkmcnt(0)
	v_add_u32_e32 v5, v188, v5
	ds_write_b32 v189, v5
.LBB707_140:                            ;   in Loop: Header=BB707_98 Depth=2
	s_or_b64 exec, exec, s[36:37]
	s_waitcnt vmcnt(11)
	v_xor_b32_e32 v79, 0x7fffffff, v79
	v_not_b32_e32 v78, v78
	v_lshrrev_b64 v[96:97], s33, v[78:79]
	v_and_b32_e32 v96, s69, v96
	v_mul_u32_u24_e32 v5, 5, v96
	v_add_lshl_u32 v5, v5, v181, 2
	; wave barrier
	v_add_u32_e32 v192, 0x410, v5
	ds_read_b32 v191, v5 offset:1040
	v_and_b32_e32 v5, 1, v96
	v_add_co_u32_e32 v97, vcc, -1, v5
	v_addc_co_u32_e64 v98, s[36:37], 0, -1, vcc
	v_cmp_ne_u32_e32 vcc, 0, v5
	v_xor_b32_e32 v5, vcc_hi, v98
	v_and_b32_e32 v98, exec_hi, v5
	v_lshlrev_b32_e32 v5, 30, v96
	v_xor_b32_e32 v97, vcc_lo, v97
	v_cmp_gt_i64_e32 vcc, 0, v[4:5]
	v_not_b32_e32 v5, v5
	v_ashrrev_i32_e32 v5, 31, v5
	v_and_b32_e32 v97, exec_lo, v97
	v_xor_b32_e32 v99, vcc_hi, v5
	v_xor_b32_e32 v5, vcc_lo, v5
	v_and_b32_e32 v97, v97, v5
	v_lshlrev_b32_e32 v5, 29, v96
	v_cmp_gt_i64_e32 vcc, 0, v[4:5]
	v_not_b32_e32 v5, v5
	v_ashrrev_i32_e32 v5, 31, v5
	v_and_b32_e32 v98, v98, v99
	v_xor_b32_e32 v99, vcc_hi, v5
	v_xor_b32_e32 v5, vcc_lo, v5
	v_and_b32_e32 v97, v97, v5
	v_lshlrev_b32_e32 v5, 28, v96
	v_cmp_gt_i64_e32 vcc, 0, v[4:5]
	v_not_b32_e32 v5, v5
	v_ashrrev_i32_e32 v5, 31, v5
	v_and_b32_e32 v98, v98, v99
	;; [unrolled: 8-line block ×5, first 2 shown]
	v_xor_b32_e32 v99, vcc_hi, v5
	v_xor_b32_e32 v5, vcc_lo, v5
	v_and_b32_e32 v98, v98, v99
	v_and_b32_e32 v99, v97, v5
	v_lshlrev_b32_e32 v5, 24, v96
	v_cmp_gt_i64_e32 vcc, 0, v[4:5]
	v_not_b32_e32 v5, v5
	v_ashrrev_i32_e32 v5, 31, v5
	v_xor_b32_e32 v96, vcc_hi, v5
	v_xor_b32_e32 v5, vcc_lo, v5
	v_and_b32_e32 v97, v98, v96
	v_and_b32_e32 v96, v99, v5
	v_mbcnt_lo_u32_b32 v5, v96, 0
	v_mbcnt_hi_u32_b32 v193, v97, v5
	v_cmp_eq_u32_e32 vcc, 0, v193
	v_cmp_ne_u64_e64 s[36:37], 0, v[96:97]
	s_and_b64 s[38:39], s[36:37], vcc
	; wave barrier
	s_and_saveexec_b64 s[36:37], s[38:39]
	s_cbranch_execz .LBB707_142
; %bb.141:                              ;   in Loop: Header=BB707_98 Depth=2
	v_bcnt_u32_b32 v5, v96, 0
	v_bcnt_u32_b32 v5, v97, v5
	s_waitcnt lgkmcnt(0)
	v_add_u32_e32 v5, v191, v5
	ds_write_b32 v192, v5
.LBB707_142:                            ;   in Loop: Header=BB707_98 Depth=2
	s_or_b64 exec, exec, s[36:37]
	s_waitcnt vmcnt(10)
	v_xor_b32_e32 v83, 0x7fffffff, v83
	v_not_b32_e32 v82, v82
	v_lshrrev_b64 v[96:97], s33, v[82:83]
	v_and_b32_e32 v96, s69, v96
	v_mul_u32_u24_e32 v5, 5, v96
	v_add_lshl_u32 v5, v5, v181, 2
	; wave barrier
	v_add_u32_e32 v195, 0x410, v5
	ds_read_b32 v194, v5 offset:1040
	v_and_b32_e32 v5, 1, v96
	v_add_co_u32_e32 v97, vcc, -1, v5
	v_addc_co_u32_e64 v98, s[36:37], 0, -1, vcc
	v_cmp_ne_u32_e32 vcc, 0, v5
	v_xor_b32_e32 v5, vcc_hi, v98
	v_and_b32_e32 v98, exec_hi, v5
	v_lshlrev_b32_e32 v5, 30, v96
	v_xor_b32_e32 v97, vcc_lo, v97
	v_cmp_gt_i64_e32 vcc, 0, v[4:5]
	v_not_b32_e32 v5, v5
	v_ashrrev_i32_e32 v5, 31, v5
	v_and_b32_e32 v97, exec_lo, v97
	v_xor_b32_e32 v99, vcc_hi, v5
	v_xor_b32_e32 v5, vcc_lo, v5
	v_and_b32_e32 v97, v97, v5
	v_lshlrev_b32_e32 v5, 29, v96
	v_cmp_gt_i64_e32 vcc, 0, v[4:5]
	v_not_b32_e32 v5, v5
	v_ashrrev_i32_e32 v5, 31, v5
	v_and_b32_e32 v98, v98, v99
	v_xor_b32_e32 v99, vcc_hi, v5
	v_xor_b32_e32 v5, vcc_lo, v5
	v_and_b32_e32 v97, v97, v5
	v_lshlrev_b32_e32 v5, 28, v96
	v_cmp_gt_i64_e32 vcc, 0, v[4:5]
	v_not_b32_e32 v5, v5
	v_ashrrev_i32_e32 v5, 31, v5
	v_and_b32_e32 v98, v98, v99
	;; [unrolled: 8-line block ×5, first 2 shown]
	v_xor_b32_e32 v99, vcc_hi, v5
	v_xor_b32_e32 v5, vcc_lo, v5
	v_and_b32_e32 v98, v98, v99
	v_and_b32_e32 v99, v97, v5
	v_lshlrev_b32_e32 v5, 24, v96
	v_cmp_gt_i64_e32 vcc, 0, v[4:5]
	v_not_b32_e32 v5, v5
	v_ashrrev_i32_e32 v5, 31, v5
	v_xor_b32_e32 v96, vcc_hi, v5
	v_xor_b32_e32 v5, vcc_lo, v5
	v_and_b32_e32 v97, v98, v96
	v_and_b32_e32 v96, v99, v5
	v_mbcnt_lo_u32_b32 v5, v96, 0
	v_mbcnt_hi_u32_b32 v196, v97, v5
	v_cmp_eq_u32_e32 vcc, 0, v196
	v_cmp_ne_u64_e64 s[36:37], 0, v[96:97]
	s_and_b64 s[38:39], s[36:37], vcc
	; wave barrier
	s_and_saveexec_b64 s[36:37], s[38:39]
	s_cbranch_execz .LBB707_144
; %bb.143:                              ;   in Loop: Header=BB707_98 Depth=2
	v_bcnt_u32_b32 v5, v96, 0
	v_bcnt_u32_b32 v5, v97, v5
	s_waitcnt lgkmcnt(0)
	v_add_u32_e32 v5, v194, v5
	ds_write_b32 v195, v5
.LBB707_144:                            ;   in Loop: Header=BB707_98 Depth=2
	s_or_b64 exec, exec, s[36:37]
	s_waitcnt vmcnt(9)
	v_xor_b32_e32 v87, 0x7fffffff, v87
	v_not_b32_e32 v86, v86
	v_lshrrev_b64 v[96:97], s33, v[86:87]
	v_and_b32_e32 v96, s69, v96
	v_mul_u32_u24_e32 v5, 5, v96
	v_add_lshl_u32 v5, v5, v181, 2
	; wave barrier
	v_add_u32_e32 v198, 0x410, v5
	ds_read_b32 v197, v5 offset:1040
	v_and_b32_e32 v5, 1, v96
	v_add_co_u32_e32 v97, vcc, -1, v5
	v_addc_co_u32_e64 v98, s[36:37], 0, -1, vcc
	v_cmp_ne_u32_e32 vcc, 0, v5
	v_xor_b32_e32 v5, vcc_hi, v98
	v_and_b32_e32 v98, exec_hi, v5
	v_lshlrev_b32_e32 v5, 30, v96
	v_xor_b32_e32 v97, vcc_lo, v97
	v_cmp_gt_i64_e32 vcc, 0, v[4:5]
	v_not_b32_e32 v5, v5
	v_ashrrev_i32_e32 v5, 31, v5
	v_and_b32_e32 v97, exec_lo, v97
	v_xor_b32_e32 v99, vcc_hi, v5
	v_xor_b32_e32 v5, vcc_lo, v5
	v_and_b32_e32 v97, v97, v5
	v_lshlrev_b32_e32 v5, 29, v96
	v_cmp_gt_i64_e32 vcc, 0, v[4:5]
	v_not_b32_e32 v5, v5
	v_ashrrev_i32_e32 v5, 31, v5
	v_and_b32_e32 v98, v98, v99
	v_xor_b32_e32 v99, vcc_hi, v5
	v_xor_b32_e32 v5, vcc_lo, v5
	v_and_b32_e32 v97, v97, v5
	v_lshlrev_b32_e32 v5, 28, v96
	v_cmp_gt_i64_e32 vcc, 0, v[4:5]
	v_not_b32_e32 v5, v5
	v_ashrrev_i32_e32 v5, 31, v5
	v_and_b32_e32 v98, v98, v99
	;; [unrolled: 8-line block ×5, first 2 shown]
	v_xor_b32_e32 v99, vcc_hi, v5
	v_xor_b32_e32 v5, vcc_lo, v5
	v_and_b32_e32 v98, v98, v99
	v_and_b32_e32 v99, v97, v5
	v_lshlrev_b32_e32 v5, 24, v96
	v_cmp_gt_i64_e32 vcc, 0, v[4:5]
	v_not_b32_e32 v5, v5
	v_ashrrev_i32_e32 v5, 31, v5
	v_xor_b32_e32 v96, vcc_hi, v5
	v_xor_b32_e32 v5, vcc_lo, v5
	v_and_b32_e32 v97, v98, v96
	v_and_b32_e32 v96, v99, v5
	v_mbcnt_lo_u32_b32 v5, v96, 0
	v_mbcnt_hi_u32_b32 v199, v97, v5
	v_cmp_eq_u32_e32 vcc, 0, v199
	v_cmp_ne_u64_e64 s[36:37], 0, v[96:97]
	s_and_b64 s[38:39], s[36:37], vcc
	; wave barrier
	s_and_saveexec_b64 s[36:37], s[38:39]
	s_cbranch_execz .LBB707_146
; %bb.145:                              ;   in Loop: Header=BB707_98 Depth=2
	v_bcnt_u32_b32 v5, v96, 0
	v_bcnt_u32_b32 v5, v97, v5
	s_waitcnt lgkmcnt(0)
	v_add_u32_e32 v5, v197, v5
	ds_write_b32 v198, v5
.LBB707_146:                            ;   in Loop: Header=BB707_98 Depth=2
	s_or_b64 exec, exec, s[36:37]
	s_waitcnt vmcnt(8)
	v_xor_b32_e32 v91, 0x7fffffff, v91
	v_not_b32_e32 v90, v90
	v_lshrrev_b64 v[96:97], s33, v[90:91]
	v_and_b32_e32 v96, s69, v96
	v_mul_u32_u24_e32 v5, 5, v96
	v_add_lshl_u32 v5, v5, v181, 2
	; wave barrier
	v_add_u32_e32 v201, 0x410, v5
	ds_read_b32 v200, v5 offset:1040
	v_and_b32_e32 v5, 1, v96
	v_add_co_u32_e32 v97, vcc, -1, v5
	v_addc_co_u32_e64 v98, s[36:37], 0, -1, vcc
	v_cmp_ne_u32_e32 vcc, 0, v5
	v_xor_b32_e32 v5, vcc_hi, v98
	v_and_b32_e32 v98, exec_hi, v5
	v_lshlrev_b32_e32 v5, 30, v96
	v_xor_b32_e32 v97, vcc_lo, v97
	v_cmp_gt_i64_e32 vcc, 0, v[4:5]
	v_not_b32_e32 v5, v5
	v_ashrrev_i32_e32 v5, 31, v5
	v_and_b32_e32 v97, exec_lo, v97
	v_xor_b32_e32 v99, vcc_hi, v5
	v_xor_b32_e32 v5, vcc_lo, v5
	v_and_b32_e32 v97, v97, v5
	v_lshlrev_b32_e32 v5, 29, v96
	v_cmp_gt_i64_e32 vcc, 0, v[4:5]
	v_not_b32_e32 v5, v5
	v_ashrrev_i32_e32 v5, 31, v5
	v_and_b32_e32 v98, v98, v99
	v_xor_b32_e32 v99, vcc_hi, v5
	v_xor_b32_e32 v5, vcc_lo, v5
	v_and_b32_e32 v97, v97, v5
	v_lshlrev_b32_e32 v5, 28, v96
	v_cmp_gt_i64_e32 vcc, 0, v[4:5]
	v_not_b32_e32 v5, v5
	v_ashrrev_i32_e32 v5, 31, v5
	v_and_b32_e32 v98, v98, v99
	;; [unrolled: 8-line block ×5, first 2 shown]
	v_xor_b32_e32 v99, vcc_hi, v5
	v_xor_b32_e32 v5, vcc_lo, v5
	v_and_b32_e32 v98, v98, v99
	v_and_b32_e32 v99, v97, v5
	v_lshlrev_b32_e32 v5, 24, v96
	v_cmp_gt_i64_e32 vcc, 0, v[4:5]
	v_not_b32_e32 v5, v5
	v_ashrrev_i32_e32 v5, 31, v5
	v_xor_b32_e32 v96, vcc_hi, v5
	v_xor_b32_e32 v5, vcc_lo, v5
	v_and_b32_e32 v97, v98, v96
	v_and_b32_e32 v96, v99, v5
	v_mbcnt_lo_u32_b32 v5, v96, 0
	v_mbcnt_hi_u32_b32 v202, v97, v5
	v_cmp_eq_u32_e32 vcc, 0, v202
	v_cmp_ne_u64_e64 s[36:37], 0, v[96:97]
	s_and_b64 s[38:39], s[36:37], vcc
	; wave barrier
	s_and_saveexec_b64 s[36:37], s[38:39]
	s_cbranch_execz .LBB707_148
; %bb.147:                              ;   in Loop: Header=BB707_98 Depth=2
	v_bcnt_u32_b32 v5, v96, 0
	v_bcnt_u32_b32 v5, v97, v5
	s_waitcnt lgkmcnt(0)
	v_add_u32_e32 v5, v200, v5
	ds_write_b32 v201, v5
.LBB707_148:                            ;   in Loop: Header=BB707_98 Depth=2
	s_or_b64 exec, exec, s[36:37]
	s_waitcnt vmcnt(7)
	v_xor_b32_e32 v95, 0x7fffffff, v95
	v_not_b32_e32 v94, v94
	v_lshrrev_b64 v[96:97], s33, v[94:95]
	v_and_b32_e32 v96, s69, v96
	v_mul_u32_u24_e32 v5, 5, v96
	v_add_lshl_u32 v5, v5, v181, 2
	; wave barrier
	v_add_u32_e32 v204, 0x410, v5
	ds_read_b32 v203, v5 offset:1040
	v_and_b32_e32 v5, 1, v96
	v_add_co_u32_e32 v97, vcc, -1, v5
	v_addc_co_u32_e64 v98, s[36:37], 0, -1, vcc
	v_cmp_ne_u32_e32 vcc, 0, v5
	v_xor_b32_e32 v5, vcc_hi, v98
	v_and_b32_e32 v98, exec_hi, v5
	v_lshlrev_b32_e32 v5, 30, v96
	v_xor_b32_e32 v97, vcc_lo, v97
	v_cmp_gt_i64_e32 vcc, 0, v[4:5]
	v_not_b32_e32 v5, v5
	v_ashrrev_i32_e32 v5, 31, v5
	v_and_b32_e32 v97, exec_lo, v97
	v_xor_b32_e32 v99, vcc_hi, v5
	v_xor_b32_e32 v5, vcc_lo, v5
	v_and_b32_e32 v97, v97, v5
	v_lshlrev_b32_e32 v5, 29, v96
	v_cmp_gt_i64_e32 vcc, 0, v[4:5]
	v_not_b32_e32 v5, v5
	v_ashrrev_i32_e32 v5, 31, v5
	v_and_b32_e32 v98, v98, v99
	v_xor_b32_e32 v99, vcc_hi, v5
	v_xor_b32_e32 v5, vcc_lo, v5
	v_and_b32_e32 v97, v97, v5
	v_lshlrev_b32_e32 v5, 28, v96
	v_cmp_gt_i64_e32 vcc, 0, v[4:5]
	v_not_b32_e32 v5, v5
	v_ashrrev_i32_e32 v5, 31, v5
	v_and_b32_e32 v98, v98, v99
	;; [unrolled: 8-line block ×5, first 2 shown]
	v_xor_b32_e32 v99, vcc_hi, v5
	v_xor_b32_e32 v5, vcc_lo, v5
	v_and_b32_e32 v98, v98, v99
	v_and_b32_e32 v99, v97, v5
	v_lshlrev_b32_e32 v5, 24, v96
	v_cmp_gt_i64_e32 vcc, 0, v[4:5]
	v_not_b32_e32 v5, v5
	v_ashrrev_i32_e32 v5, 31, v5
	v_xor_b32_e32 v96, vcc_hi, v5
	v_xor_b32_e32 v5, vcc_lo, v5
	v_and_b32_e32 v97, v98, v96
	v_and_b32_e32 v96, v99, v5
	v_mbcnt_lo_u32_b32 v5, v96, 0
	v_mbcnt_hi_u32_b32 v205, v97, v5
	v_cmp_eq_u32_e32 vcc, 0, v205
	v_cmp_ne_u64_e64 s[36:37], 0, v[96:97]
	s_and_b64 s[38:39], s[36:37], vcc
	; wave barrier
	s_and_saveexec_b64 s[36:37], s[38:39]
	s_cbranch_execz .LBB707_150
; %bb.149:                              ;   in Loop: Header=BB707_98 Depth=2
	v_bcnt_u32_b32 v5, v96, 0
	v_bcnt_u32_b32 v5, v97, v5
	s_waitcnt lgkmcnt(0)
	v_add_u32_e32 v5, v203, v5
	ds_write_b32 v204, v5
.LBB707_150:                            ;   in Loop: Header=BB707_98 Depth=2
	s_or_b64 exec, exec, s[36:37]
	s_waitcnt vmcnt(6)
	v_xor_b32_e32 v93, 0x7fffffff, v93
	v_not_b32_e32 v92, v92
	v_lshrrev_b64 v[96:97], s33, v[92:93]
	v_and_b32_e32 v96, s69, v96
	v_mul_u32_u24_e32 v5, 5, v96
	v_add_lshl_u32 v5, v5, v181, 2
	; wave barrier
	v_add_u32_e32 v207, 0x410, v5
	ds_read_b32 v206, v5 offset:1040
	v_and_b32_e32 v5, 1, v96
	v_add_co_u32_e32 v97, vcc, -1, v5
	v_addc_co_u32_e64 v98, s[36:37], 0, -1, vcc
	v_cmp_ne_u32_e32 vcc, 0, v5
	v_xor_b32_e32 v5, vcc_hi, v98
	v_and_b32_e32 v98, exec_hi, v5
	v_lshlrev_b32_e32 v5, 30, v96
	v_xor_b32_e32 v97, vcc_lo, v97
	v_cmp_gt_i64_e32 vcc, 0, v[4:5]
	v_not_b32_e32 v5, v5
	v_ashrrev_i32_e32 v5, 31, v5
	v_and_b32_e32 v97, exec_lo, v97
	v_xor_b32_e32 v99, vcc_hi, v5
	v_xor_b32_e32 v5, vcc_lo, v5
	v_and_b32_e32 v97, v97, v5
	v_lshlrev_b32_e32 v5, 29, v96
	v_cmp_gt_i64_e32 vcc, 0, v[4:5]
	v_not_b32_e32 v5, v5
	v_ashrrev_i32_e32 v5, 31, v5
	v_and_b32_e32 v98, v98, v99
	v_xor_b32_e32 v99, vcc_hi, v5
	v_xor_b32_e32 v5, vcc_lo, v5
	v_and_b32_e32 v97, v97, v5
	v_lshlrev_b32_e32 v5, 28, v96
	v_cmp_gt_i64_e32 vcc, 0, v[4:5]
	v_not_b32_e32 v5, v5
	v_ashrrev_i32_e32 v5, 31, v5
	v_and_b32_e32 v98, v98, v99
	;; [unrolled: 8-line block ×5, first 2 shown]
	v_xor_b32_e32 v99, vcc_hi, v5
	v_xor_b32_e32 v5, vcc_lo, v5
	v_and_b32_e32 v98, v98, v99
	v_and_b32_e32 v99, v97, v5
	v_lshlrev_b32_e32 v5, 24, v96
	v_cmp_gt_i64_e32 vcc, 0, v[4:5]
	v_not_b32_e32 v5, v5
	v_ashrrev_i32_e32 v5, 31, v5
	v_xor_b32_e32 v96, vcc_hi, v5
	v_xor_b32_e32 v5, vcc_lo, v5
	v_and_b32_e32 v97, v98, v96
	v_and_b32_e32 v96, v99, v5
	v_mbcnt_lo_u32_b32 v5, v96, 0
	v_mbcnt_hi_u32_b32 v208, v97, v5
	v_cmp_eq_u32_e32 vcc, 0, v208
	v_cmp_ne_u64_e64 s[36:37], 0, v[96:97]
	s_and_b64 s[38:39], s[36:37], vcc
	; wave barrier
	s_and_saveexec_b64 s[36:37], s[38:39]
	s_cbranch_execz .LBB707_152
; %bb.151:                              ;   in Loop: Header=BB707_98 Depth=2
	v_bcnt_u32_b32 v5, v96, 0
	v_bcnt_u32_b32 v5, v97, v5
	s_waitcnt lgkmcnt(0)
	v_add_u32_e32 v5, v206, v5
	ds_write_b32 v207, v5
.LBB707_152:                            ;   in Loop: Header=BB707_98 Depth=2
	s_or_b64 exec, exec, s[36:37]
	s_waitcnt vmcnt(5)
	v_xor_b32_e32 v89, 0x7fffffff, v89
	v_not_b32_e32 v88, v88
	v_lshrrev_b64 v[96:97], s33, v[88:89]
	v_and_b32_e32 v96, s69, v96
	v_mul_u32_u24_e32 v5, 5, v96
	v_add_lshl_u32 v5, v5, v181, 2
	; wave barrier
	v_add_u32_e32 v210, 0x410, v5
	ds_read_b32 v209, v5 offset:1040
	v_and_b32_e32 v5, 1, v96
	v_add_co_u32_e32 v97, vcc, -1, v5
	v_addc_co_u32_e64 v98, s[36:37], 0, -1, vcc
	v_cmp_ne_u32_e32 vcc, 0, v5
	v_xor_b32_e32 v5, vcc_hi, v98
	v_and_b32_e32 v98, exec_hi, v5
	v_lshlrev_b32_e32 v5, 30, v96
	v_xor_b32_e32 v97, vcc_lo, v97
	v_cmp_gt_i64_e32 vcc, 0, v[4:5]
	v_not_b32_e32 v5, v5
	v_ashrrev_i32_e32 v5, 31, v5
	v_and_b32_e32 v97, exec_lo, v97
	v_xor_b32_e32 v99, vcc_hi, v5
	v_xor_b32_e32 v5, vcc_lo, v5
	v_and_b32_e32 v97, v97, v5
	v_lshlrev_b32_e32 v5, 29, v96
	v_cmp_gt_i64_e32 vcc, 0, v[4:5]
	v_not_b32_e32 v5, v5
	v_ashrrev_i32_e32 v5, 31, v5
	v_and_b32_e32 v98, v98, v99
	v_xor_b32_e32 v99, vcc_hi, v5
	v_xor_b32_e32 v5, vcc_lo, v5
	v_and_b32_e32 v97, v97, v5
	v_lshlrev_b32_e32 v5, 28, v96
	v_cmp_gt_i64_e32 vcc, 0, v[4:5]
	v_not_b32_e32 v5, v5
	v_ashrrev_i32_e32 v5, 31, v5
	v_and_b32_e32 v98, v98, v99
	;; [unrolled: 8-line block ×5, first 2 shown]
	v_xor_b32_e32 v99, vcc_hi, v5
	v_xor_b32_e32 v5, vcc_lo, v5
	v_and_b32_e32 v98, v98, v99
	v_and_b32_e32 v99, v97, v5
	v_lshlrev_b32_e32 v5, 24, v96
	v_cmp_gt_i64_e32 vcc, 0, v[4:5]
	v_not_b32_e32 v5, v5
	v_ashrrev_i32_e32 v5, 31, v5
	v_xor_b32_e32 v96, vcc_hi, v5
	v_xor_b32_e32 v5, vcc_lo, v5
	v_and_b32_e32 v97, v98, v96
	v_and_b32_e32 v96, v99, v5
	v_mbcnt_lo_u32_b32 v5, v96, 0
	v_mbcnt_hi_u32_b32 v211, v97, v5
	v_cmp_eq_u32_e32 vcc, 0, v211
	v_cmp_ne_u64_e64 s[36:37], 0, v[96:97]
	s_and_b64 s[38:39], s[36:37], vcc
	; wave barrier
	s_and_saveexec_b64 s[36:37], s[38:39]
	s_cbranch_execz .LBB707_154
; %bb.153:                              ;   in Loop: Header=BB707_98 Depth=2
	v_bcnt_u32_b32 v5, v96, 0
	v_bcnt_u32_b32 v5, v97, v5
	s_waitcnt lgkmcnt(0)
	v_add_u32_e32 v5, v209, v5
	ds_write_b32 v210, v5
.LBB707_154:                            ;   in Loop: Header=BB707_98 Depth=2
	s_or_b64 exec, exec, s[36:37]
	s_waitcnt vmcnt(4)
	v_xor_b32_e32 v85, 0x7fffffff, v85
	v_not_b32_e32 v84, v84
	v_lshrrev_b64 v[96:97], s33, v[84:85]
	v_and_b32_e32 v96, s69, v96
	v_mul_u32_u24_e32 v5, 5, v96
	v_add_lshl_u32 v5, v5, v181, 2
	; wave barrier
	v_add_u32_e32 v213, 0x410, v5
	ds_read_b32 v212, v5 offset:1040
	v_and_b32_e32 v5, 1, v96
	v_add_co_u32_e32 v97, vcc, -1, v5
	v_addc_co_u32_e64 v98, s[36:37], 0, -1, vcc
	v_cmp_ne_u32_e32 vcc, 0, v5
	v_xor_b32_e32 v5, vcc_hi, v98
	v_and_b32_e32 v98, exec_hi, v5
	v_lshlrev_b32_e32 v5, 30, v96
	v_xor_b32_e32 v97, vcc_lo, v97
	v_cmp_gt_i64_e32 vcc, 0, v[4:5]
	v_not_b32_e32 v5, v5
	v_ashrrev_i32_e32 v5, 31, v5
	v_and_b32_e32 v97, exec_lo, v97
	v_xor_b32_e32 v99, vcc_hi, v5
	v_xor_b32_e32 v5, vcc_lo, v5
	v_and_b32_e32 v97, v97, v5
	v_lshlrev_b32_e32 v5, 29, v96
	v_cmp_gt_i64_e32 vcc, 0, v[4:5]
	v_not_b32_e32 v5, v5
	v_ashrrev_i32_e32 v5, 31, v5
	v_and_b32_e32 v98, v98, v99
	v_xor_b32_e32 v99, vcc_hi, v5
	v_xor_b32_e32 v5, vcc_lo, v5
	v_and_b32_e32 v97, v97, v5
	v_lshlrev_b32_e32 v5, 28, v96
	v_cmp_gt_i64_e32 vcc, 0, v[4:5]
	v_not_b32_e32 v5, v5
	v_ashrrev_i32_e32 v5, 31, v5
	v_and_b32_e32 v98, v98, v99
	;; [unrolled: 8-line block ×5, first 2 shown]
	v_xor_b32_e32 v99, vcc_hi, v5
	v_xor_b32_e32 v5, vcc_lo, v5
	v_and_b32_e32 v98, v98, v99
	v_and_b32_e32 v99, v97, v5
	v_lshlrev_b32_e32 v5, 24, v96
	v_cmp_gt_i64_e32 vcc, 0, v[4:5]
	v_not_b32_e32 v5, v5
	v_ashrrev_i32_e32 v5, 31, v5
	v_xor_b32_e32 v96, vcc_hi, v5
	v_xor_b32_e32 v5, vcc_lo, v5
	v_and_b32_e32 v97, v98, v96
	v_and_b32_e32 v96, v99, v5
	v_mbcnt_lo_u32_b32 v5, v96, 0
	v_mbcnt_hi_u32_b32 v214, v97, v5
	v_cmp_eq_u32_e32 vcc, 0, v214
	v_cmp_ne_u64_e64 s[36:37], 0, v[96:97]
	s_and_b64 s[38:39], s[36:37], vcc
	; wave barrier
	s_and_saveexec_b64 s[36:37], s[38:39]
	s_cbranch_execz .LBB707_156
; %bb.155:                              ;   in Loop: Header=BB707_98 Depth=2
	v_bcnt_u32_b32 v5, v96, 0
	v_bcnt_u32_b32 v5, v97, v5
	s_waitcnt lgkmcnt(0)
	v_add_u32_e32 v5, v212, v5
	ds_write_b32 v213, v5
.LBB707_156:                            ;   in Loop: Header=BB707_98 Depth=2
	s_or_b64 exec, exec, s[36:37]
	s_waitcnt vmcnt(3)
	v_xor_b32_e32 v81, 0x7fffffff, v81
	v_not_b32_e32 v80, v80
	v_lshrrev_b64 v[96:97], s33, v[80:81]
	v_and_b32_e32 v96, s69, v96
	v_mul_u32_u24_e32 v5, 5, v96
	v_add_lshl_u32 v5, v5, v181, 2
	; wave barrier
	v_add_u32_e32 v216, 0x410, v5
	ds_read_b32 v215, v5 offset:1040
	v_and_b32_e32 v5, 1, v96
	v_add_co_u32_e32 v97, vcc, -1, v5
	v_addc_co_u32_e64 v98, s[36:37], 0, -1, vcc
	v_cmp_ne_u32_e32 vcc, 0, v5
	v_xor_b32_e32 v5, vcc_hi, v98
	v_and_b32_e32 v98, exec_hi, v5
	v_lshlrev_b32_e32 v5, 30, v96
	v_xor_b32_e32 v97, vcc_lo, v97
	v_cmp_gt_i64_e32 vcc, 0, v[4:5]
	v_not_b32_e32 v5, v5
	v_ashrrev_i32_e32 v5, 31, v5
	v_and_b32_e32 v97, exec_lo, v97
	v_xor_b32_e32 v99, vcc_hi, v5
	v_xor_b32_e32 v5, vcc_lo, v5
	v_and_b32_e32 v97, v97, v5
	v_lshlrev_b32_e32 v5, 29, v96
	v_cmp_gt_i64_e32 vcc, 0, v[4:5]
	v_not_b32_e32 v5, v5
	v_ashrrev_i32_e32 v5, 31, v5
	v_and_b32_e32 v98, v98, v99
	v_xor_b32_e32 v99, vcc_hi, v5
	v_xor_b32_e32 v5, vcc_lo, v5
	v_and_b32_e32 v97, v97, v5
	v_lshlrev_b32_e32 v5, 28, v96
	v_cmp_gt_i64_e32 vcc, 0, v[4:5]
	v_not_b32_e32 v5, v5
	v_ashrrev_i32_e32 v5, 31, v5
	v_and_b32_e32 v98, v98, v99
	;; [unrolled: 8-line block ×5, first 2 shown]
	v_xor_b32_e32 v99, vcc_hi, v5
	v_xor_b32_e32 v5, vcc_lo, v5
	v_and_b32_e32 v98, v98, v99
	v_and_b32_e32 v99, v97, v5
	v_lshlrev_b32_e32 v5, 24, v96
	v_cmp_gt_i64_e32 vcc, 0, v[4:5]
	v_not_b32_e32 v5, v5
	v_ashrrev_i32_e32 v5, 31, v5
	v_xor_b32_e32 v96, vcc_hi, v5
	v_xor_b32_e32 v5, vcc_lo, v5
	v_and_b32_e32 v97, v98, v96
	v_and_b32_e32 v96, v99, v5
	v_mbcnt_lo_u32_b32 v5, v96, 0
	v_mbcnt_hi_u32_b32 v217, v97, v5
	v_cmp_eq_u32_e32 vcc, 0, v217
	v_cmp_ne_u64_e64 s[36:37], 0, v[96:97]
	s_and_b64 s[38:39], s[36:37], vcc
	; wave barrier
	s_and_saveexec_b64 s[36:37], s[38:39]
	s_cbranch_execz .LBB707_158
; %bb.157:                              ;   in Loop: Header=BB707_98 Depth=2
	v_bcnt_u32_b32 v5, v96, 0
	v_bcnt_u32_b32 v5, v97, v5
	s_waitcnt lgkmcnt(0)
	v_add_u32_e32 v5, v215, v5
	ds_write_b32 v216, v5
.LBB707_158:                            ;   in Loop: Header=BB707_98 Depth=2
	s_or_b64 exec, exec, s[36:37]
	s_waitcnt vmcnt(2)
	v_xor_b32_e32 v77, 0x7fffffff, v77
	v_not_b32_e32 v76, v76
	v_lshrrev_b64 v[96:97], s33, v[76:77]
	v_and_b32_e32 v96, s69, v96
	v_mul_u32_u24_e32 v5, 5, v96
	v_add_lshl_u32 v5, v5, v181, 2
	; wave barrier
	v_add_u32_e32 v219, 0x410, v5
	ds_read_b32 v218, v5 offset:1040
	v_and_b32_e32 v5, 1, v96
	v_add_co_u32_e32 v97, vcc, -1, v5
	v_addc_co_u32_e64 v98, s[36:37], 0, -1, vcc
	v_cmp_ne_u32_e32 vcc, 0, v5
	v_xor_b32_e32 v5, vcc_hi, v98
	v_and_b32_e32 v98, exec_hi, v5
	v_lshlrev_b32_e32 v5, 30, v96
	v_xor_b32_e32 v97, vcc_lo, v97
	v_cmp_gt_i64_e32 vcc, 0, v[4:5]
	v_not_b32_e32 v5, v5
	v_ashrrev_i32_e32 v5, 31, v5
	v_and_b32_e32 v97, exec_lo, v97
	v_xor_b32_e32 v99, vcc_hi, v5
	v_xor_b32_e32 v5, vcc_lo, v5
	v_and_b32_e32 v97, v97, v5
	v_lshlrev_b32_e32 v5, 29, v96
	v_cmp_gt_i64_e32 vcc, 0, v[4:5]
	v_not_b32_e32 v5, v5
	v_ashrrev_i32_e32 v5, 31, v5
	v_and_b32_e32 v98, v98, v99
	v_xor_b32_e32 v99, vcc_hi, v5
	v_xor_b32_e32 v5, vcc_lo, v5
	v_and_b32_e32 v97, v97, v5
	v_lshlrev_b32_e32 v5, 28, v96
	v_cmp_gt_i64_e32 vcc, 0, v[4:5]
	v_not_b32_e32 v5, v5
	v_ashrrev_i32_e32 v5, 31, v5
	v_and_b32_e32 v98, v98, v99
	;; [unrolled: 8-line block ×5, first 2 shown]
	v_xor_b32_e32 v99, vcc_hi, v5
	v_xor_b32_e32 v5, vcc_lo, v5
	v_and_b32_e32 v98, v98, v99
	v_and_b32_e32 v99, v97, v5
	v_lshlrev_b32_e32 v5, 24, v96
	v_cmp_gt_i64_e32 vcc, 0, v[4:5]
	v_not_b32_e32 v5, v5
	v_ashrrev_i32_e32 v5, 31, v5
	v_xor_b32_e32 v96, vcc_hi, v5
	v_xor_b32_e32 v5, vcc_lo, v5
	v_and_b32_e32 v97, v98, v96
	v_and_b32_e32 v96, v99, v5
	v_mbcnt_lo_u32_b32 v5, v96, 0
	v_mbcnt_hi_u32_b32 v220, v97, v5
	v_cmp_eq_u32_e32 vcc, 0, v220
	v_cmp_ne_u64_e64 s[36:37], 0, v[96:97]
	s_and_b64 s[38:39], s[36:37], vcc
	; wave barrier
	s_and_saveexec_b64 s[36:37], s[38:39]
	s_cbranch_execz .LBB707_160
; %bb.159:                              ;   in Loop: Header=BB707_98 Depth=2
	v_bcnt_u32_b32 v5, v96, 0
	v_bcnt_u32_b32 v5, v97, v5
	s_waitcnt lgkmcnt(0)
	v_add_u32_e32 v5, v218, v5
	ds_write_b32 v219, v5
.LBB707_160:                            ;   in Loop: Header=BB707_98 Depth=2
	s_or_b64 exec, exec, s[36:37]
	s_waitcnt vmcnt(1)
	v_xor_b32_e32 v73, 0x7fffffff, v73
	v_not_b32_e32 v72, v72
	v_lshrrev_b64 v[96:97], s33, v[72:73]
	v_and_b32_e32 v96, s69, v96
	v_mul_u32_u24_e32 v5, 5, v96
	v_add_lshl_u32 v5, v5, v181, 2
	; wave barrier
	v_add_u32_e32 v222, 0x410, v5
	ds_read_b32 v221, v5 offset:1040
	v_and_b32_e32 v5, 1, v96
	v_add_co_u32_e32 v97, vcc, -1, v5
	v_addc_co_u32_e64 v98, s[36:37], 0, -1, vcc
	v_cmp_ne_u32_e32 vcc, 0, v5
	v_xor_b32_e32 v5, vcc_hi, v98
	v_and_b32_e32 v98, exec_hi, v5
	v_lshlrev_b32_e32 v5, 30, v96
	v_xor_b32_e32 v97, vcc_lo, v97
	v_cmp_gt_i64_e32 vcc, 0, v[4:5]
	v_not_b32_e32 v5, v5
	v_ashrrev_i32_e32 v5, 31, v5
	v_and_b32_e32 v97, exec_lo, v97
	v_xor_b32_e32 v99, vcc_hi, v5
	v_xor_b32_e32 v5, vcc_lo, v5
	v_and_b32_e32 v97, v97, v5
	v_lshlrev_b32_e32 v5, 29, v96
	v_cmp_gt_i64_e32 vcc, 0, v[4:5]
	v_not_b32_e32 v5, v5
	v_ashrrev_i32_e32 v5, 31, v5
	v_and_b32_e32 v98, v98, v99
	v_xor_b32_e32 v99, vcc_hi, v5
	v_xor_b32_e32 v5, vcc_lo, v5
	v_and_b32_e32 v97, v97, v5
	v_lshlrev_b32_e32 v5, 28, v96
	v_cmp_gt_i64_e32 vcc, 0, v[4:5]
	v_not_b32_e32 v5, v5
	v_ashrrev_i32_e32 v5, 31, v5
	v_and_b32_e32 v98, v98, v99
	;; [unrolled: 8-line block ×5, first 2 shown]
	v_xor_b32_e32 v99, vcc_hi, v5
	v_xor_b32_e32 v5, vcc_lo, v5
	v_and_b32_e32 v98, v98, v99
	v_and_b32_e32 v99, v97, v5
	v_lshlrev_b32_e32 v5, 24, v96
	v_cmp_gt_i64_e32 vcc, 0, v[4:5]
	v_not_b32_e32 v5, v5
	v_ashrrev_i32_e32 v5, 31, v5
	v_xor_b32_e32 v96, vcc_hi, v5
	v_xor_b32_e32 v5, vcc_lo, v5
	v_and_b32_e32 v97, v98, v96
	v_and_b32_e32 v96, v99, v5
	v_mbcnt_lo_u32_b32 v5, v96, 0
	v_mbcnt_hi_u32_b32 v223, v97, v5
	v_cmp_eq_u32_e32 vcc, 0, v223
	v_cmp_ne_u64_e64 s[36:37], 0, v[96:97]
	s_and_b64 s[38:39], s[36:37], vcc
	; wave barrier
	s_and_saveexec_b64 s[36:37], s[38:39]
	s_cbranch_execz .LBB707_162
; %bb.161:                              ;   in Loop: Header=BB707_98 Depth=2
	v_bcnt_u32_b32 v5, v96, 0
	v_bcnt_u32_b32 v5, v97, v5
	s_waitcnt lgkmcnt(0)
	v_add_u32_e32 v5, v221, v5
	ds_write_b32 v222, v5
.LBB707_162:                            ;   in Loop: Header=BB707_98 Depth=2
	s_or_b64 exec, exec, s[36:37]
	s_waitcnt vmcnt(0)
	v_xor_b32_e32 v69, 0x7fffffff, v69
	v_not_b32_e32 v68, v68
	v_lshrrev_b64 v[96:97], s33, v[68:69]
	v_and_b32_e32 v96, s69, v96
	v_mul_u32_u24_e32 v5, 5, v96
	v_add_lshl_u32 v5, v5, v181, 2
	; wave barrier
	v_add_u32_e32 v225, 0x410, v5
	ds_read_b32 v224, v5 offset:1040
	v_and_b32_e32 v5, 1, v96
	v_add_co_u32_e32 v97, vcc, -1, v5
	v_addc_co_u32_e64 v98, s[36:37], 0, -1, vcc
	v_cmp_ne_u32_e32 vcc, 0, v5
	v_xor_b32_e32 v5, vcc_hi, v98
	v_and_b32_e32 v98, exec_hi, v5
	v_lshlrev_b32_e32 v5, 30, v96
	v_xor_b32_e32 v97, vcc_lo, v97
	v_cmp_gt_i64_e32 vcc, 0, v[4:5]
	v_not_b32_e32 v5, v5
	v_ashrrev_i32_e32 v5, 31, v5
	v_and_b32_e32 v97, exec_lo, v97
	v_xor_b32_e32 v99, vcc_hi, v5
	v_xor_b32_e32 v5, vcc_lo, v5
	v_and_b32_e32 v97, v97, v5
	v_lshlrev_b32_e32 v5, 29, v96
	v_cmp_gt_i64_e32 vcc, 0, v[4:5]
	v_not_b32_e32 v5, v5
	v_ashrrev_i32_e32 v5, 31, v5
	v_and_b32_e32 v98, v98, v99
	v_xor_b32_e32 v99, vcc_hi, v5
	v_xor_b32_e32 v5, vcc_lo, v5
	v_and_b32_e32 v97, v97, v5
	v_lshlrev_b32_e32 v5, 28, v96
	v_cmp_gt_i64_e32 vcc, 0, v[4:5]
	v_not_b32_e32 v5, v5
	v_ashrrev_i32_e32 v5, 31, v5
	v_and_b32_e32 v98, v98, v99
	;; [unrolled: 8-line block ×5, first 2 shown]
	v_xor_b32_e32 v99, vcc_hi, v5
	v_xor_b32_e32 v5, vcc_lo, v5
	v_and_b32_e32 v98, v98, v99
	v_and_b32_e32 v99, v97, v5
	v_lshlrev_b32_e32 v5, 24, v96
	v_cmp_gt_i64_e32 vcc, 0, v[4:5]
	v_not_b32_e32 v5, v5
	v_ashrrev_i32_e32 v5, 31, v5
	v_xor_b32_e32 v96, vcc_hi, v5
	v_xor_b32_e32 v5, vcc_lo, v5
	v_and_b32_e32 v97, v98, v96
	v_and_b32_e32 v96, v99, v5
	v_mbcnt_lo_u32_b32 v5, v96, 0
	v_mbcnt_hi_u32_b32 v226, v97, v5
	v_cmp_eq_u32_e32 vcc, 0, v226
	v_cmp_ne_u64_e64 s[36:37], 0, v[96:97]
	s_and_b64 s[38:39], s[36:37], vcc
	; wave barrier
	s_and_saveexec_b64 s[36:37], s[38:39]
	s_cbranch_execz .LBB707_164
; %bb.163:                              ;   in Loop: Header=BB707_98 Depth=2
	v_bcnt_u32_b32 v5, v96, 0
	v_bcnt_u32_b32 v5, v97, v5
	s_waitcnt lgkmcnt(0)
	v_add_u32_e32 v5, v224, v5
	ds_write_b32 v225, v5
.LBB707_164:                            ;   in Loop: Header=BB707_98 Depth=2
	s_or_b64 exec, exec, s[36:37]
	v_xor_b32_e32 v71, 0x7fffffff, v71
	v_not_b32_e32 v70, v70
	v_lshrrev_b64 v[96:97], s33, v[70:71]
	v_and_b32_e32 v96, s69, v96
	v_mul_u32_u24_e32 v5, 5, v96
	v_add_lshl_u32 v5, v5, v181, 2
	; wave barrier
	v_add_u32_e32 v228, 0x410, v5
	ds_read_b32 v227, v5 offset:1040
	v_and_b32_e32 v5, 1, v96
	v_add_co_u32_e32 v97, vcc, -1, v5
	v_addc_co_u32_e64 v98, s[36:37], 0, -1, vcc
	v_cmp_ne_u32_e32 vcc, 0, v5
	v_xor_b32_e32 v5, vcc_hi, v98
	v_and_b32_e32 v98, exec_hi, v5
	v_lshlrev_b32_e32 v5, 30, v96
	v_xor_b32_e32 v97, vcc_lo, v97
	v_cmp_gt_i64_e32 vcc, 0, v[4:5]
	v_not_b32_e32 v5, v5
	v_ashrrev_i32_e32 v5, 31, v5
	v_and_b32_e32 v97, exec_lo, v97
	v_xor_b32_e32 v99, vcc_hi, v5
	v_xor_b32_e32 v5, vcc_lo, v5
	v_and_b32_e32 v97, v97, v5
	v_lshlrev_b32_e32 v5, 29, v96
	v_cmp_gt_i64_e32 vcc, 0, v[4:5]
	v_not_b32_e32 v5, v5
	v_ashrrev_i32_e32 v5, 31, v5
	v_and_b32_e32 v98, v98, v99
	v_xor_b32_e32 v99, vcc_hi, v5
	v_xor_b32_e32 v5, vcc_lo, v5
	v_and_b32_e32 v97, v97, v5
	v_lshlrev_b32_e32 v5, 28, v96
	v_cmp_gt_i64_e32 vcc, 0, v[4:5]
	v_not_b32_e32 v5, v5
	v_ashrrev_i32_e32 v5, 31, v5
	v_and_b32_e32 v98, v98, v99
	;; [unrolled: 8-line block ×5, first 2 shown]
	v_xor_b32_e32 v99, vcc_hi, v5
	v_xor_b32_e32 v5, vcc_lo, v5
	v_and_b32_e32 v98, v98, v99
	v_and_b32_e32 v99, v97, v5
	v_lshlrev_b32_e32 v5, 24, v96
	v_cmp_gt_i64_e32 vcc, 0, v[4:5]
	v_not_b32_e32 v5, v5
	v_ashrrev_i32_e32 v5, 31, v5
	v_xor_b32_e32 v96, vcc_hi, v5
	v_xor_b32_e32 v5, vcc_lo, v5
	v_and_b32_e32 v97, v98, v96
	v_and_b32_e32 v96, v99, v5
	v_mbcnt_lo_u32_b32 v5, v96, 0
	v_mbcnt_hi_u32_b32 v229, v97, v5
	v_cmp_eq_u32_e32 vcc, 0, v229
	v_cmp_ne_u64_e64 s[36:37], 0, v[96:97]
	s_and_b64 s[38:39], s[36:37], vcc
	; wave barrier
	s_and_saveexec_b64 s[36:37], s[38:39]
	s_cbranch_execz .LBB707_166
; %bb.165:                              ;   in Loop: Header=BB707_98 Depth=2
	v_bcnt_u32_b32 v5, v96, 0
	v_bcnt_u32_b32 v5, v97, v5
	s_waitcnt lgkmcnt(0)
	v_add_u32_e32 v5, v227, v5
	ds_write_b32 v228, v5
.LBB707_166:                            ;   in Loop: Header=BB707_98 Depth=2
	s_or_b64 exec, exec, s[36:37]
	; wave barrier
	s_waitcnt lgkmcnt(0)
	s_barrier
	ds_read_b32 v5, v27 offset:1040
	ds_read2_b32 v[98:99], v31 offset0:1 offset1:2
	ds_read2_b32 v[96:97], v31 offset0:3 offset1:4
	s_waitcnt lgkmcnt(1)
	v_add3_u32 v230, v98, v5, v99
	s_waitcnt lgkmcnt(0)
	v_add3_u32 v97, v230, v96, v97
	s_nop 1
	v_mov_b32_dpp v230, v97 row_shr:1 row_mask:0xf bank_mask:0xf
	v_cndmask_b32_e64 v230, v230, 0, s[16:17]
	v_add_u32_e32 v97, v230, v97
	s_nop 1
	v_mov_b32_dpp v230, v97 row_shr:2 row_mask:0xf bank_mask:0xf
	v_cndmask_b32_e64 v230, 0, v230, s[18:19]
	v_add_u32_e32 v97, v97, v230
	;; [unrolled: 4-line block ×4, first 2 shown]
	s_nop 1
	v_mov_b32_dpp v230, v97 row_bcast:15 row_mask:0xf bank_mask:0xf
	v_cndmask_b32_e64 v230, v230, 0, s[24:25]
	v_add_u32_e32 v97, v97, v230
	s_nop 1
	v_mov_b32_dpp v230, v97 row_bcast:31 row_mask:0xf bank_mask:0xf
	v_cndmask_b32_e64 v230, 0, v230, s[26:27]
	v_add_u32_e32 v97, v97, v230
	s_and_saveexec_b64 s[36:37], s[6:7]
	s_cbranch_execz .LBB707_168
; %bb.167:                              ;   in Loop: Header=BB707_98 Depth=2
	ds_write_b32 v15, v97 offset:1024
.LBB707_168:                            ;   in Loop: Header=BB707_98 Depth=2
	s_or_b64 exec, exec, s[36:37]
	s_waitcnt lgkmcnt(0)
	s_barrier
	s_and_saveexec_b64 s[36:37], s[8:9]
	s_cbranch_execz .LBB707_170
; %bb.169:                              ;   in Loop: Header=BB707_98 Depth=2
	ds_read_b32 v230, v33 offset:1024
	s_waitcnt lgkmcnt(0)
	s_nop 0
	v_mov_b32_dpp v231, v230 row_shr:1 row_mask:0xf bank_mask:0xf
	v_cndmask_b32_e64 v231, v231, 0, s[30:31]
	v_add_u32_e32 v230, v231, v230
	s_nop 1
	v_mov_b32_dpp v231, v230 row_shr:2 row_mask:0xf bank_mask:0xf
	v_cndmask_b32_e64 v231, 0, v231, s[34:35]
	v_add_u32_e32 v230, v230, v231
	ds_write_b32 v33, v230 offset:1024
.LBB707_170:                            ;   in Loop: Header=BB707_98 Depth=2
	s_or_b64 exec, exec, s[36:37]
	v_mov_b32_e32 v230, 0
	s_waitcnt lgkmcnt(0)
	s_barrier
	s_and_saveexec_b64 s[36:37], s[10:11]
	s_cbranch_execz .LBB707_172
; %bb.171:                              ;   in Loop: Header=BB707_98 Depth=2
	ds_read_b32 v230, v15 offset:1020
.LBB707_172:                            ;   in Loop: Header=BB707_98 Depth=2
	s_or_b64 exec, exec, s[36:37]
	s_waitcnt lgkmcnt(0)
	v_add_u32_e32 v97, v230, v97
	ds_bpermute_b32 v97, v158, v97
	s_waitcnt lgkmcnt(0)
	v_cndmask_b32_e64 v97, v97, v230, s[28:29]
	v_cndmask_b32_e64 v97, v97, 0, s[12:13]
	v_add_u32_e32 v5, v97, v5
	ds_write_b32 v27, v97 offset:1040
	v_add_u32_e32 v97, v5, v98
	v_add_u32_e32 v98, v97, v99
	ds_write2_b32 v31, v5, v97 offset0:1 offset1:2
	v_add_u32_e32 v5, v98, v96
	ds_write2_b32 v31, v98, v5 offset0:3 offset1:4
	s_waitcnt lgkmcnt(0)
	s_barrier
	ds_read_b32 v97, v186
	ds_read_b32 v234, v189
	;; [unrolled: 1-line block ×16, first 2 shown]
	ds_read_b32 v183, v27 offset:1040
	v_mov_b32_e32 v5, 0x1000
	s_and_saveexec_b64 s[36:37], s[14:15]
	s_cbranch_execz .LBB707_174
; %bb.173:                              ;   in Loop: Header=BB707_98 Depth=2
	ds_read_b32 v5, v27 offset:1060
.LBB707_174:                            ;   in Loop: Header=BB707_98 Depth=2
	s_or_b64 exec, exec, s[36:37]
	s_waitcnt lgkmcnt(0)
	s_barrier
	s_and_saveexec_b64 s[36:37], s[4:5]
	s_cbranch_execz .LBB707_176
; %bb.175:                              ;   in Loop: Header=BB707_98 Depth=2
	ds_read_b32 v207, v3
	s_waitcnt lgkmcnt(0)
	v_sub_u32_e32 v183, v207, v183
	ds_write_b32 v3, v183
.LBB707_176:                            ;   in Loop: Header=BB707_98 Depth=2
	s_or_b64 exec, exec, s[36:37]
	v_add_u32_e32 v185, v187, v185
	v_add_u32_e32 v188, v190, v188
	v_add_lshl_u32 v96, v96, v184, 3
	v_add_lshl_u32 v97, v185, v97, 3
	v_add_u32_e32 v197, v199, v197
	v_add_u32_e32 v194, v196, v194
	;; [unrolled: 1-line block ×3, first 2 shown]
	ds_write_b64 v96, v[64:65] offset:1024
	ds_write_b64 v97, v[66:67] offset:1024
	v_add_lshl_u32 v66, v188, v234, 3
	v_add_u32_e32 v212, v214, v212
	v_add_u32_e32 v209, v211, v209
	;; [unrolled: 1-line block ×5, first 2 shown]
	ds_write_b64 v66, v[74:75] offset:1024
	v_add_lshl_u32 v67, v191, v233, 3
	v_add_lshl_u32 v74, v194, v232, 3
	;; [unrolled: 1-line block ×3, first 2 shown]
	v_add_u32_e32 v215, v217, v215
	ds_write_b64 v67, v[78:79] offset:1024
	ds_write_b64 v74, v[82:83] offset:1024
	;; [unrolled: 1-line block ×3, first 2 shown]
	v_add_lshl_u32 v78, v200, v230, 3
	v_add_lshl_u32 v79, v203, v204, 3
	;; [unrolled: 1-line block ×5, first 2 shown]
	v_add_u32_e32 v213, v220, v218
	ds_write_b64 v78, v[90:91] offset:1024
	ds_write_b64 v79, v[94:95] offset:1024
	;; [unrolled: 1-line block ×5, first 2 shown]
	v_add_lshl_u32 v84, v215, v192, 3
	v_add_u32_e32 v210, v223, v221
	ds_write_b64 v84, v[80:81] offset:1024
	v_add_lshl_u32 v80, v213, v189, 3
	v_add_u32_e32 v207, v226, v224
	ds_write_b64 v80, v[76:77] offset:1024
	;; [unrolled: 3-line block ×3, first 2 shown]
	v_add_lshl_u32 v72, v207, v99, 3
	ds_write_b64 v72, v[68:69] offset:1024
	v_add_lshl_u32 v68, v183, v98, 3
	v_cmp_lt_u32_e64 s[36:37], v2, v182
	ds_write_b64 v68, v[70:71] offset:1024
	s_waitcnt lgkmcnt(0)
	s_barrier
	s_and_saveexec_b64 s[38:39], s[36:37]
	s_cbranch_execz .LBB707_192
; %bb.177:                              ;   in Loop: Header=BB707_98 Depth=2
	v_add_u32_e32 v64, v33, v3
	ds_read_b64 v[64:65], v64 offset:1024
	v_mov_b32_e32 v73, s75
	s_waitcnt lgkmcnt(0)
	v_lshrrev_b64 v[70:71], s33, v[64:65]
	v_and_b32_e32 v69, s69, v70
	v_lshlrev_b32_e32 v69, 2, v69
	ds_read_b32 v69, v69
	v_mov_b32_e32 v71, v4
	v_xor_b32_e32 v65, 0x7fffffff, v65
	v_not_b32_e32 v64, v64
	s_waitcnt lgkmcnt(0)
	v_add_u32_e32 v70, v69, v2
	v_lshlrev_b64 v[70:71], 3, v[70:71]
	v_add_co_u32_e32 v70, vcc, s74, v70
	v_addc_co_u32_e32 v71, vcc, v73, v71, vcc
	global_store_dwordx2 v[70:71], v[64:65], off
	s_or_b64 exec, exec, s[38:39]
	v_cmp_lt_u32_e64 s[38:39], v7, v182
	s_and_saveexec_b64 s[40:41], s[38:39]
	s_cbranch_execnz .LBB707_193
.LBB707_178:                            ;   in Loop: Header=BB707_98 Depth=2
	s_or_b64 exec, exec, s[40:41]
	v_cmp_lt_u32_e64 s[40:41], v6, v182
	s_and_saveexec_b64 s[42:43], s[40:41]
	s_cbranch_execz .LBB707_194
.LBB707_179:                            ;   in Loop: Header=BB707_98 Depth=2
	ds_read_b64 v[64:65], v104 offset:4096
	v_mov_b32_e32 v73, s75
	s_waitcnt lgkmcnt(0)
	v_lshrrev_b64 v[70:71], s33, v[64:65]
	v_and_b32_e32 v69, s69, v70
	v_lshlrev_b32_e32 v69, 2, v69
	ds_read_b32 v69, v69
	v_mov_b32_e32 v71, v4
	v_xor_b32_e32 v65, 0x7fffffff, v65
	v_not_b32_e32 v64, v64
	s_waitcnt lgkmcnt(0)
	v_add_u32_e32 v70, v69, v6
	v_lshlrev_b64 v[70:71], 3, v[70:71]
	v_add_co_u32_e32 v70, vcc, s74, v70
	v_addc_co_u32_e32 v71, vcc, v73, v71, vcc
	global_store_dwordx2 v[70:71], v[64:65], off
	s_or_b64 exec, exec, s[42:43]
	v_cmp_lt_u32_e64 s[42:43], v8, v182
	s_and_saveexec_b64 s[44:45], s[42:43]
	s_cbranch_execnz .LBB707_195
.LBB707_180:                            ;   in Loop: Header=BB707_98 Depth=2
	s_or_b64 exec, exec, s[44:45]
	v_cmp_lt_u32_e64 s[44:45], v10, v182
	s_and_saveexec_b64 s[46:47], s[44:45]
	s_cbranch_execz .LBB707_196
.LBB707_181:                            ;   in Loop: Header=BB707_98 Depth=2
	ds_read_b64 v[64:65], v104 offset:8192
	v_mov_b32_e32 v73, s75
	s_waitcnt lgkmcnt(0)
	v_lshrrev_b64 v[70:71], s33, v[64:65]
	v_and_b32_e32 v69, s69, v70
	v_lshlrev_b32_e32 v69, 2, v69
	ds_read_b32 v69, v69
	v_mov_b32_e32 v71, v4
	v_xor_b32_e32 v65, 0x7fffffff, v65
	v_not_b32_e32 v64, v64
	s_waitcnt lgkmcnt(0)
	v_add_u32_e32 v70, v69, v10
	v_lshlrev_b64 v[70:71], 3, v[70:71]
	v_add_co_u32_e32 v70, vcc, s74, v70
	v_addc_co_u32_e32 v71, vcc, v73, v71, vcc
	global_store_dwordx2 v[70:71], v[64:65], off
	s_or_b64 exec, exec, s[46:47]
	v_cmp_lt_u32_e64 s[46:47], v12, v182
	s_and_saveexec_b64 s[48:49], s[46:47]
	s_cbranch_execnz .LBB707_197
.LBB707_182:                            ;   in Loop: Header=BB707_98 Depth=2
	s_or_b64 exec, exec, s[48:49]
	v_cmp_lt_u32_e64 s[48:49], v14, v182
	s_and_saveexec_b64 s[50:51], s[48:49]
	s_cbranch_execz .LBB707_198
.LBB707_183:                            ;   in Loop: Header=BB707_98 Depth=2
	ds_read_b64 v[64:65], v104 offset:12288
	v_mov_b32_e32 v73, s75
	s_waitcnt lgkmcnt(0)
	v_lshrrev_b64 v[70:71], s33, v[64:65]
	v_and_b32_e32 v69, s69, v70
	v_lshlrev_b32_e32 v69, 2, v69
	ds_read_b32 v69, v69
	v_mov_b32_e32 v71, v4
	v_xor_b32_e32 v65, 0x7fffffff, v65
	v_not_b32_e32 v64, v64
	s_waitcnt lgkmcnt(0)
	v_add_u32_e32 v70, v69, v14
	v_lshlrev_b64 v[70:71], 3, v[70:71]
	v_add_co_u32_e32 v70, vcc, s74, v70
	v_addc_co_u32_e32 v71, vcc, v73, v71, vcc
	global_store_dwordx2 v[70:71], v[64:65], off
	s_or_b64 exec, exec, s[50:51]
	v_cmp_lt_u32_e64 s[50:51], v16, v182
	s_and_saveexec_b64 s[52:53], s[50:51]
	s_cbranch_execnz .LBB707_199
.LBB707_184:                            ;   in Loop: Header=BB707_98 Depth=2
	s_or_b64 exec, exec, s[52:53]
	v_cmp_lt_u32_e64 s[52:53], v18, v182
	s_and_saveexec_b64 s[54:55], s[52:53]
	s_cbranch_execz .LBB707_200
.LBB707_185:                            ;   in Loop: Header=BB707_98 Depth=2
	ds_read_b64 v[64:65], v104 offset:16384
	v_mov_b32_e32 v73, s75
	s_waitcnt lgkmcnt(0)
	v_lshrrev_b64 v[70:71], s33, v[64:65]
	v_and_b32_e32 v69, s69, v70
	v_lshlrev_b32_e32 v69, 2, v69
	ds_read_b32 v69, v69
	v_mov_b32_e32 v71, v4
	v_xor_b32_e32 v65, 0x7fffffff, v65
	v_not_b32_e32 v64, v64
	s_waitcnt lgkmcnt(0)
	v_add_u32_e32 v70, v69, v18
	v_lshlrev_b64 v[70:71], 3, v[70:71]
	v_add_co_u32_e32 v70, vcc, s74, v70
	v_addc_co_u32_e32 v71, vcc, v73, v71, vcc
	global_store_dwordx2 v[70:71], v[64:65], off
	s_or_b64 exec, exec, s[54:55]
	v_cmp_lt_u32_e64 s[54:55], v20, v182
	s_and_saveexec_b64 s[56:57], s[54:55]
	s_cbranch_execnz .LBB707_201
.LBB707_186:                            ;   in Loop: Header=BB707_98 Depth=2
	s_or_b64 exec, exec, s[56:57]
	v_cmp_lt_u32_e64 s[56:57], v22, v182
	s_and_saveexec_b64 s[58:59], s[56:57]
	s_cbranch_execz .LBB707_202
.LBB707_187:                            ;   in Loop: Header=BB707_98 Depth=2
	ds_read_b64 v[64:65], v104 offset:20480
	v_mov_b32_e32 v73, s75
	s_waitcnt lgkmcnt(0)
	v_lshrrev_b64 v[70:71], s33, v[64:65]
	v_and_b32_e32 v69, s69, v70
	v_lshlrev_b32_e32 v69, 2, v69
	ds_read_b32 v69, v69
	v_mov_b32_e32 v71, v4
	v_xor_b32_e32 v65, 0x7fffffff, v65
	v_not_b32_e32 v64, v64
	s_waitcnt lgkmcnt(0)
	v_add_u32_e32 v70, v69, v22
	v_lshlrev_b64 v[70:71], 3, v[70:71]
	v_add_co_u32_e32 v70, vcc, s74, v70
	v_addc_co_u32_e32 v71, vcc, v73, v71, vcc
	global_store_dwordx2 v[70:71], v[64:65], off
	s_or_b64 exec, exec, s[58:59]
	v_cmp_lt_u32_e64 s[58:59], v24, v182
	s_and_saveexec_b64 s[60:61], s[58:59]
	s_cbranch_execnz .LBB707_203
.LBB707_188:                            ;   in Loop: Header=BB707_98 Depth=2
	s_or_b64 exec, exec, s[60:61]
	v_cmp_lt_u32_e64 s[60:61], v26, v182
	s_and_saveexec_b64 s[62:63], s[60:61]
	s_cbranch_execz .LBB707_204
.LBB707_189:                            ;   in Loop: Header=BB707_98 Depth=2
	ds_read_b64 v[64:65], v104 offset:24576
	v_mov_b32_e32 v73, s75
	s_waitcnt lgkmcnt(0)
	v_lshrrev_b64 v[70:71], s33, v[64:65]
	v_and_b32_e32 v69, s69, v70
	v_lshlrev_b32_e32 v69, 2, v69
	ds_read_b32 v69, v69
	v_mov_b32_e32 v71, v4
	v_xor_b32_e32 v65, 0x7fffffff, v65
	v_not_b32_e32 v64, v64
	s_waitcnt lgkmcnt(0)
	v_add_u32_e32 v70, v69, v26
	v_lshlrev_b64 v[70:71], 3, v[70:71]
	v_add_co_u32_e32 v70, vcc, s74, v70
	v_addc_co_u32_e32 v71, vcc, v73, v71, vcc
	global_store_dwordx2 v[70:71], v[64:65], off
	s_or_b64 exec, exec, s[62:63]
	v_cmp_lt_u32_e64 s[62:63], v28, v182
	s_and_saveexec_b64 s[64:65], s[62:63]
	s_cbranch_execnz .LBB707_205
.LBB707_190:                            ;   in Loop: Header=BB707_98 Depth=2
	s_or_b64 exec, exec, s[64:65]
	v_cmp_lt_u32_e64 s[64:65], v30, v182
	s_and_saveexec_b64 s[66:67], s[64:65]
	s_cbranch_execz .LBB707_206
.LBB707_191:                            ;   in Loop: Header=BB707_98 Depth=2
	ds_read_b64 v[64:65], v104 offset:28672
	v_mov_b32_e32 v73, s75
	s_waitcnt lgkmcnt(0)
	v_lshrrev_b64 v[70:71], s33, v[64:65]
	v_and_b32_e32 v69, s69, v70
	v_lshlrev_b32_e32 v69, 2, v69
	ds_read_b32 v69, v69
	v_mov_b32_e32 v71, v4
	v_xor_b32_e32 v65, 0x7fffffff, v65
	v_not_b32_e32 v64, v64
	s_waitcnt lgkmcnt(0)
	v_add_u32_e32 v70, v69, v30
	v_lshlrev_b64 v[70:71], 3, v[70:71]
	v_add_co_u32_e32 v70, vcc, s74, v70
	v_addc_co_u32_e32 v71, vcc, v73, v71, vcc
	global_store_dwordx2 v[70:71], v[64:65], off
	s_or_b64 exec, exec, s[66:67]
	v_cmp_lt_u32_e64 s[66:67], v32, v182
	s_and_saveexec_b64 s[92:93], s[66:67]
	s_cbranch_execnz .LBB707_207
	s_branch .LBB707_208
.LBB707_192:                            ;   in Loop: Header=BB707_98 Depth=2
	s_or_b64 exec, exec, s[38:39]
	v_cmp_lt_u32_e64 s[38:39], v7, v182
	s_and_saveexec_b64 s[40:41], s[38:39]
	s_cbranch_execz .LBB707_178
.LBB707_193:                            ;   in Loop: Header=BB707_98 Depth=2
	ds_read_b64 v[64:65], v104 offset:2048
	v_mov_b32_e32 v73, s75
	s_waitcnt lgkmcnt(0)
	v_lshrrev_b64 v[70:71], s33, v[64:65]
	v_and_b32_e32 v69, s69, v70
	v_lshlrev_b32_e32 v69, 2, v69
	ds_read_b32 v69, v69
	v_mov_b32_e32 v71, v4
	v_xor_b32_e32 v65, 0x7fffffff, v65
	v_not_b32_e32 v64, v64
	s_waitcnt lgkmcnt(0)
	v_add_u32_e32 v70, v69, v7
	v_lshlrev_b64 v[70:71], 3, v[70:71]
	v_add_co_u32_e32 v70, vcc, s74, v70
	v_addc_co_u32_e32 v71, vcc, v73, v71, vcc
	global_store_dwordx2 v[70:71], v[64:65], off
	s_or_b64 exec, exec, s[40:41]
	v_cmp_lt_u32_e64 s[40:41], v6, v182
	s_and_saveexec_b64 s[42:43], s[40:41]
	s_cbranch_execnz .LBB707_179
.LBB707_194:                            ;   in Loop: Header=BB707_98 Depth=2
	s_or_b64 exec, exec, s[42:43]
	v_cmp_lt_u32_e64 s[42:43], v8, v182
	s_and_saveexec_b64 s[44:45], s[42:43]
	s_cbranch_execz .LBB707_180
.LBB707_195:                            ;   in Loop: Header=BB707_98 Depth=2
	ds_read_b64 v[64:65], v104 offset:6144
	v_mov_b32_e32 v73, s75
	s_waitcnt lgkmcnt(0)
	v_lshrrev_b64 v[70:71], s33, v[64:65]
	v_and_b32_e32 v69, s69, v70
	v_lshlrev_b32_e32 v69, 2, v69
	ds_read_b32 v69, v69
	v_mov_b32_e32 v71, v4
	v_xor_b32_e32 v65, 0x7fffffff, v65
	v_not_b32_e32 v64, v64
	s_waitcnt lgkmcnt(0)
	v_add_u32_e32 v70, v69, v8
	v_lshlrev_b64 v[70:71], 3, v[70:71]
	v_add_co_u32_e32 v70, vcc, s74, v70
	v_addc_co_u32_e32 v71, vcc, v73, v71, vcc
	global_store_dwordx2 v[70:71], v[64:65], off
	s_or_b64 exec, exec, s[44:45]
	v_cmp_lt_u32_e64 s[44:45], v10, v182
	s_and_saveexec_b64 s[46:47], s[44:45]
	s_cbranch_execnz .LBB707_181
.LBB707_196:                            ;   in Loop: Header=BB707_98 Depth=2
	s_or_b64 exec, exec, s[46:47]
	v_cmp_lt_u32_e64 s[46:47], v12, v182
	s_and_saveexec_b64 s[48:49], s[46:47]
	s_cbranch_execz .LBB707_182
.LBB707_197:                            ;   in Loop: Header=BB707_98 Depth=2
	ds_read_b64 v[64:65], v104 offset:10240
	v_mov_b32_e32 v73, s75
	s_waitcnt lgkmcnt(0)
	v_lshrrev_b64 v[70:71], s33, v[64:65]
	v_and_b32_e32 v69, s69, v70
	v_lshlrev_b32_e32 v69, 2, v69
	ds_read_b32 v69, v69
	v_mov_b32_e32 v71, v4
	v_xor_b32_e32 v65, 0x7fffffff, v65
	v_not_b32_e32 v64, v64
	s_waitcnt lgkmcnt(0)
	v_add_u32_e32 v70, v69, v12
	v_lshlrev_b64 v[70:71], 3, v[70:71]
	v_add_co_u32_e32 v70, vcc, s74, v70
	v_addc_co_u32_e32 v71, vcc, v73, v71, vcc
	global_store_dwordx2 v[70:71], v[64:65], off
	s_or_b64 exec, exec, s[48:49]
	v_cmp_lt_u32_e64 s[48:49], v14, v182
	s_and_saveexec_b64 s[50:51], s[48:49]
	s_cbranch_execnz .LBB707_183
.LBB707_198:                            ;   in Loop: Header=BB707_98 Depth=2
	s_or_b64 exec, exec, s[50:51]
	v_cmp_lt_u32_e64 s[50:51], v16, v182
	s_and_saveexec_b64 s[52:53], s[50:51]
	s_cbranch_execz .LBB707_184
.LBB707_199:                            ;   in Loop: Header=BB707_98 Depth=2
	ds_read_b64 v[64:65], v104 offset:14336
	v_mov_b32_e32 v73, s75
	s_waitcnt lgkmcnt(0)
	v_lshrrev_b64 v[70:71], s33, v[64:65]
	v_and_b32_e32 v69, s69, v70
	v_lshlrev_b32_e32 v69, 2, v69
	ds_read_b32 v69, v69
	v_mov_b32_e32 v71, v4
	v_xor_b32_e32 v65, 0x7fffffff, v65
	v_not_b32_e32 v64, v64
	s_waitcnt lgkmcnt(0)
	v_add_u32_e32 v70, v69, v16
	v_lshlrev_b64 v[70:71], 3, v[70:71]
	v_add_co_u32_e32 v70, vcc, s74, v70
	v_addc_co_u32_e32 v71, vcc, v73, v71, vcc
	global_store_dwordx2 v[70:71], v[64:65], off
	s_or_b64 exec, exec, s[52:53]
	v_cmp_lt_u32_e64 s[52:53], v18, v182
	s_and_saveexec_b64 s[54:55], s[52:53]
	s_cbranch_execnz .LBB707_185
.LBB707_200:                            ;   in Loop: Header=BB707_98 Depth=2
	s_or_b64 exec, exec, s[54:55]
	v_cmp_lt_u32_e64 s[54:55], v20, v182
	s_and_saveexec_b64 s[56:57], s[54:55]
	s_cbranch_execz .LBB707_186
.LBB707_201:                            ;   in Loop: Header=BB707_98 Depth=2
	ds_read_b64 v[64:65], v104 offset:18432
	v_mov_b32_e32 v73, s75
	s_waitcnt lgkmcnt(0)
	v_lshrrev_b64 v[70:71], s33, v[64:65]
	v_and_b32_e32 v69, s69, v70
	v_lshlrev_b32_e32 v69, 2, v69
	ds_read_b32 v69, v69
	v_mov_b32_e32 v71, v4
	v_xor_b32_e32 v65, 0x7fffffff, v65
	v_not_b32_e32 v64, v64
	s_waitcnt lgkmcnt(0)
	v_add_u32_e32 v70, v69, v20
	v_lshlrev_b64 v[70:71], 3, v[70:71]
	v_add_co_u32_e32 v70, vcc, s74, v70
	v_addc_co_u32_e32 v71, vcc, v73, v71, vcc
	global_store_dwordx2 v[70:71], v[64:65], off
	s_or_b64 exec, exec, s[56:57]
	v_cmp_lt_u32_e64 s[56:57], v22, v182
	s_and_saveexec_b64 s[58:59], s[56:57]
	s_cbranch_execnz .LBB707_187
.LBB707_202:                            ;   in Loop: Header=BB707_98 Depth=2
	s_or_b64 exec, exec, s[58:59]
	v_cmp_lt_u32_e64 s[58:59], v24, v182
	s_and_saveexec_b64 s[60:61], s[58:59]
	s_cbranch_execz .LBB707_188
.LBB707_203:                            ;   in Loop: Header=BB707_98 Depth=2
	ds_read_b64 v[64:65], v104 offset:22528
	v_mov_b32_e32 v73, s75
	s_waitcnt lgkmcnt(0)
	v_lshrrev_b64 v[70:71], s33, v[64:65]
	v_and_b32_e32 v69, s69, v70
	v_lshlrev_b32_e32 v69, 2, v69
	ds_read_b32 v69, v69
	v_mov_b32_e32 v71, v4
	v_xor_b32_e32 v65, 0x7fffffff, v65
	v_not_b32_e32 v64, v64
	s_waitcnt lgkmcnt(0)
	v_add_u32_e32 v70, v69, v24
	v_lshlrev_b64 v[70:71], 3, v[70:71]
	v_add_co_u32_e32 v70, vcc, s74, v70
	v_addc_co_u32_e32 v71, vcc, v73, v71, vcc
	global_store_dwordx2 v[70:71], v[64:65], off
	s_or_b64 exec, exec, s[60:61]
	v_cmp_lt_u32_e64 s[60:61], v26, v182
	s_and_saveexec_b64 s[62:63], s[60:61]
	s_cbranch_execnz .LBB707_189
.LBB707_204:                            ;   in Loop: Header=BB707_98 Depth=2
	s_or_b64 exec, exec, s[62:63]
	v_cmp_lt_u32_e64 s[62:63], v28, v182
	s_and_saveexec_b64 s[64:65], s[62:63]
	s_cbranch_execz .LBB707_190
.LBB707_205:                            ;   in Loop: Header=BB707_98 Depth=2
	ds_read_b64 v[64:65], v104 offset:26624
	v_mov_b32_e32 v73, s75
	s_waitcnt lgkmcnt(0)
	v_lshrrev_b64 v[70:71], s33, v[64:65]
	v_and_b32_e32 v69, s69, v70
	v_lshlrev_b32_e32 v69, 2, v69
	ds_read_b32 v69, v69
	v_mov_b32_e32 v71, v4
	v_xor_b32_e32 v65, 0x7fffffff, v65
	v_not_b32_e32 v64, v64
	s_waitcnt lgkmcnt(0)
	v_add_u32_e32 v70, v69, v28
	v_lshlrev_b64 v[70:71], 3, v[70:71]
	v_add_co_u32_e32 v70, vcc, s74, v70
	v_addc_co_u32_e32 v71, vcc, v73, v71, vcc
	global_store_dwordx2 v[70:71], v[64:65], off
	s_or_b64 exec, exec, s[64:65]
	v_cmp_lt_u32_e64 s[64:65], v30, v182
	s_and_saveexec_b64 s[66:67], s[64:65]
	s_cbranch_execnz .LBB707_191
.LBB707_206:                            ;   in Loop: Header=BB707_98 Depth=2
	s_or_b64 exec, exec, s[66:67]
	v_cmp_lt_u32_e64 s[66:67], v32, v182
	s_and_saveexec_b64 s[92:93], s[66:67]
	s_cbranch_execz .LBB707_208
.LBB707_207:                            ;   in Loop: Header=BB707_98 Depth=2
	ds_read_b64 v[64:65], v104 offset:30720
	s_waitcnt lgkmcnt(0)
	v_lshrrev_b64 v[70:71], s33, v[64:65]
	v_and_b32_e32 v69, s69, v70
	v_lshlrev_b32_e32 v69, 2, v69
	ds_read_b32 v69, v69
	v_mov_b32_e32 v71, v4
	v_xor_b32_e32 v65, 0x7fffffff, v65
	v_not_b32_e32 v64, v64
	s_waitcnt lgkmcnt(0)
	v_add_u32_e32 v70, v69, v32
	v_lshlrev_b64 v[70:71], 3, v[70:71]
	v_add_co_u32_e32 v70, vcc, s74, v70
	v_mov_b32_e32 v69, s75
	v_addc_co_u32_e32 v71, vcc, v69, v71, vcc
	global_store_dwordx2 v[70:71], v[64:65], off
.LBB707_208:                            ;   in Loop: Header=BB707_98 Depth=2
	s_or_b64 exec, exec, s[92:93]
	s_mov_b32 s79, s88
	s_lshl_b64 s[78:79], s[78:79], 3
	v_mov_b32_e32 v65, s79
	v_add_co_u32_e32 v64, vcc, s78, v159
	v_addc_co_u32_e32 v65, vcc, v160, v65, vcc
	v_cmp_lt_u32_e32 vcc, v142, v182
	s_and_saveexec_b64 s[78:79], vcc
	s_xor_b64 s[78:79], exec, s[78:79]
	s_cbranch_execz .LBB707_240
; %bb.209:                              ;   in Loop: Header=BB707_98 Depth=2
	global_load_dwordx2 v[62:63], v[64:65], off
	s_or_b64 exec, exec, s[78:79]
	v_cmp_lt_u32_e32 vcc, v143, v182
	s_and_saveexec_b64 s[78:79], vcc
	s_cbranch_execnz .LBB707_241
.LBB707_210:                            ;   in Loop: Header=BB707_98 Depth=2
	s_or_b64 exec, exec, s[78:79]
	v_cmp_lt_u32_e32 vcc, v144, v182
	s_and_saveexec_b64 s[78:79], vcc
	s_cbranch_execz .LBB707_242
.LBB707_211:                            ;   in Loop: Header=BB707_98 Depth=2
	global_load_dwordx2 v[58:59], v[64:65], off offset:1024
	s_or_b64 exec, exec, s[78:79]
	v_cmp_lt_u32_e32 vcc, v145, v182
	s_and_saveexec_b64 s[78:79], vcc
	s_cbranch_execnz .LBB707_243
.LBB707_212:                            ;   in Loop: Header=BB707_98 Depth=2
	s_or_b64 exec, exec, s[78:79]
	v_cmp_lt_u32_e32 vcc, v146, v182
	s_and_saveexec_b64 s[78:79], vcc
	s_cbranch_execz .LBB707_244
.LBB707_213:                            ;   in Loop: Header=BB707_98 Depth=2
	global_load_dwordx2 v[50:51], v[64:65], off offset:2048
	s_or_b64 exec, exec, s[78:79]
	v_cmp_lt_u32_e32 vcc, v147, v182
	s_and_saveexec_b64 s[78:79], vcc
	s_cbranch_execnz .LBB707_245
.LBB707_214:                            ;   in Loop: Header=BB707_98 Depth=2
	s_or_b64 exec, exec, s[78:79]
	v_cmp_lt_u32_e32 vcc, v148, v182
	s_and_saveexec_b64 s[78:79], vcc
	s_cbranch_execz .LBB707_246
.LBB707_215:                            ;   in Loop: Header=BB707_98 Depth=2
	global_load_dwordx2 v[42:43], v[64:65], off offset:3072
	s_or_b64 exec, exec, s[78:79]
	v_cmp_lt_u32_e32 vcc, v149, v182
	s_and_saveexec_b64 s[78:79], vcc
	s_cbranch_execnz .LBB707_247
.LBB707_216:                            ;   in Loop: Header=BB707_98 Depth=2
	s_or_b64 exec, exec, s[78:79]
	v_cmp_lt_u32_e32 vcc, v150, v182
	s_and_saveexec_b64 s[78:79], vcc
	s_cbranch_execz .LBB707_248
.LBB707_217:                            ;   in Loop: Header=BB707_98 Depth=2
	v_add_co_u32_e32 v56, vcc, 0x1000, v64
	v_addc_co_u32_e32 v57, vcc, 0, v65, vcc
	global_load_dwordx2 v[56:57], v[56:57], off
	s_or_b64 exec, exec, s[78:79]
	v_cmp_lt_u32_e32 vcc, v151, v182
	s_and_saveexec_b64 s[78:79], vcc
	s_cbranch_execnz .LBB707_249
.LBB707_218:                            ;   in Loop: Header=BB707_98 Depth=2
	s_or_b64 exec, exec, s[78:79]
	v_cmp_lt_u32_e32 vcc, v152, v182
	s_and_saveexec_b64 s[78:79], vcc
	s_cbranch_execz .LBB707_250
.LBB707_219:                            ;   in Loop: Header=BB707_98 Depth=2
	v_add_co_u32_e32 v48, vcc, 0x1000, v64
	v_addc_co_u32_e32 v49, vcc, 0, v65, vcc
	global_load_dwordx2 v[48:49], v[48:49], off offset:1024
	s_or_b64 exec, exec, s[78:79]
	v_cmp_lt_u32_e32 vcc, v153, v182
	s_and_saveexec_b64 s[78:79], vcc
	s_cbranch_execnz .LBB707_251
.LBB707_220:                            ;   in Loop: Header=BB707_98 Depth=2
	s_or_b64 exec, exec, s[78:79]
	v_cmp_lt_u32_e32 vcc, v154, v182
	s_and_saveexec_b64 s[78:79], vcc
	s_cbranch_execz .LBB707_252
.LBB707_221:                            ;   in Loop: Header=BB707_98 Depth=2
	v_add_co_u32_e32 v40, vcc, 0x1000, v64
	v_addc_co_u32_e32 v41, vcc, 0, v65, vcc
	global_load_dwordx2 v[40:41], v[40:41], off offset:2048
	s_or_b64 exec, exec, s[78:79]
	v_cmp_lt_u32_e32 vcc, v155, v182
	s_and_saveexec_b64 s[78:79], vcc
	s_cbranch_execnz .LBB707_253
.LBB707_222:                            ;   in Loop: Header=BB707_98 Depth=2
	s_or_b64 exec, exec, s[78:79]
	v_cmp_lt_u32_e32 vcc, v156, v182
	s_and_saveexec_b64 s[78:79], vcc
	s_cbranch_execz .LBB707_254
.LBB707_223:                            ;   in Loop: Header=BB707_98 Depth=2
	v_add_co_u32_e32 v34, vcc, 0x1000, v64
	v_addc_co_u32_e32 v35, vcc, 0, v65, vcc
	global_load_dwordx2 v[34:35], v[34:35], off offset:3072
	s_or_b64 exec, exec, s[78:79]
	v_cmp_lt_u32_e32 vcc, v157, v182
	s_and_saveexec_b64 s[78:79], vcc
	s_cbranch_execnz .LBB707_255
.LBB707_224:                            ;   in Loop: Header=BB707_98 Depth=2
	s_or_b64 exec, exec, s[78:79]
	s_and_saveexec_b64 s[78:79], s[36:37]
	s_cbranch_execz .LBB707_256
.LBB707_225:                            ;   in Loop: Header=BB707_98 Depth=2
	v_add_u32_e32 v64, v33, v3
	ds_read_b64 v[64:65], v64 offset:1024
	s_waitcnt lgkmcnt(0)
	v_lshrrev_b64 v[64:65], s33, v[64:65]
	v_and_b32_e32 v180, s69, v64
	s_or_b64 exec, exec, s[78:79]
	s_and_saveexec_b64 s[78:79], s[38:39]
	s_cbranch_execnz .LBB707_257
.LBB707_226:                            ;   in Loop: Header=BB707_98 Depth=2
	s_or_b64 exec, exec, s[78:79]
	s_and_saveexec_b64 s[78:79], s[40:41]
	s_cbranch_execz .LBB707_258
.LBB707_227:                            ;   in Loop: Header=BB707_98 Depth=2
	ds_read_b64 v[64:65], v104 offset:4096
	s_waitcnt lgkmcnt(0)
	v_lshrrev_b64 v[64:65], s33, v[64:65]
	v_and_b32_e32 v177, s69, v64
	s_or_b64 exec, exec, s[78:79]
	s_and_saveexec_b64 s[78:79], s[42:43]
	s_cbranch_execnz .LBB707_259
.LBB707_228:                            ;   in Loop: Header=BB707_98 Depth=2
	s_or_b64 exec, exec, s[78:79]
	s_and_saveexec_b64 s[78:79], s[44:45]
	s_cbranch_execz .LBB707_260
.LBB707_229:                            ;   in Loop: Header=BB707_98 Depth=2
	ds_read_b64 v[64:65], v104 offset:8192
	s_waitcnt lgkmcnt(0)
	v_lshrrev_b64 v[64:65], s33, v[64:65]
	v_and_b32_e32 v174, s69, v64
	s_or_b64 exec, exec, s[78:79]
	s_and_saveexec_b64 s[78:79], s[46:47]
	s_cbranch_execnz .LBB707_261
.LBB707_230:                            ;   in Loop: Header=BB707_98 Depth=2
	s_or_b64 exec, exec, s[78:79]
	s_and_saveexec_b64 s[78:79], s[48:49]
	s_cbranch_execz .LBB707_262
.LBB707_231:                            ;   in Loop: Header=BB707_98 Depth=2
	ds_read_b64 v[64:65], v104 offset:12288
	s_waitcnt lgkmcnt(0)
	v_lshrrev_b64 v[64:65], s33, v[64:65]
	v_and_b32_e32 v172, s69, v64
	s_or_b64 exec, exec, s[78:79]
	s_and_saveexec_b64 s[78:79], s[50:51]
	s_cbranch_execnz .LBB707_263
.LBB707_232:                            ;   in Loop: Header=BB707_98 Depth=2
	s_or_b64 exec, exec, s[78:79]
	s_and_saveexec_b64 s[78:79], s[52:53]
	s_cbranch_execz .LBB707_264
.LBB707_233:                            ;   in Loop: Header=BB707_98 Depth=2
	ds_read_b64 v[64:65], v104 offset:16384
	s_waitcnt lgkmcnt(0)
	v_lshrrev_b64 v[64:65], s33, v[64:65]
	v_and_b32_e32 v170, s69, v64
	s_or_b64 exec, exec, s[78:79]
	s_and_saveexec_b64 s[78:79], s[54:55]
	s_cbranch_execnz .LBB707_265
.LBB707_234:                            ;   in Loop: Header=BB707_98 Depth=2
	s_or_b64 exec, exec, s[78:79]
	s_and_saveexec_b64 s[78:79], s[56:57]
	s_cbranch_execz .LBB707_266
.LBB707_235:                            ;   in Loop: Header=BB707_98 Depth=2
	ds_read_b64 v[64:65], v104 offset:20480
	s_waitcnt lgkmcnt(0)
	v_lshrrev_b64 v[64:65], s33, v[64:65]
	v_and_b32_e32 v168, s69, v64
	s_or_b64 exec, exec, s[78:79]
	s_and_saveexec_b64 s[78:79], s[58:59]
	s_cbranch_execnz .LBB707_267
.LBB707_236:                            ;   in Loop: Header=BB707_98 Depth=2
	s_or_b64 exec, exec, s[78:79]
	s_and_saveexec_b64 s[78:79], s[60:61]
	s_cbranch_execz .LBB707_268
.LBB707_237:                            ;   in Loop: Header=BB707_98 Depth=2
	ds_read_b64 v[64:65], v104 offset:24576
	s_waitcnt lgkmcnt(0)
	v_lshrrev_b64 v[64:65], s33, v[64:65]
	v_and_b32_e32 v166, s69, v64
	s_or_b64 exec, exec, s[78:79]
	s_and_saveexec_b64 s[78:79], s[62:63]
	s_cbranch_execnz .LBB707_269
.LBB707_238:                            ;   in Loop: Header=BB707_98 Depth=2
	s_or_b64 exec, exec, s[78:79]
	s_and_saveexec_b64 s[78:79], s[64:65]
	s_cbranch_execz .LBB707_270
.LBB707_239:                            ;   in Loop: Header=BB707_98 Depth=2
	ds_read_b64 v[64:65], v104 offset:28672
	s_waitcnt lgkmcnt(0)
	v_lshrrev_b64 v[64:65], s33, v[64:65]
	v_and_b32_e32 v164, s69, v64
	s_or_b64 exec, exec, s[78:79]
	s_and_saveexec_b64 s[78:79], s[66:67]
	s_cbranch_execnz .LBB707_271
	s_branch .LBB707_272
.LBB707_240:                            ;   in Loop: Header=BB707_98 Depth=2
	s_or_b64 exec, exec, s[78:79]
	v_cmp_lt_u32_e32 vcc, v143, v182
	s_and_saveexec_b64 s[78:79], vcc
	s_cbranch_execz .LBB707_210
.LBB707_241:                            ;   in Loop: Header=BB707_98 Depth=2
	global_load_dwordx2 v[60:61], v[64:65], off offset:512
	s_or_b64 exec, exec, s[78:79]
	v_cmp_lt_u32_e32 vcc, v144, v182
	s_and_saveexec_b64 s[78:79], vcc
	s_cbranch_execnz .LBB707_211
.LBB707_242:                            ;   in Loop: Header=BB707_98 Depth=2
	s_or_b64 exec, exec, s[78:79]
	v_cmp_lt_u32_e32 vcc, v145, v182
	s_and_saveexec_b64 s[78:79], vcc
	s_cbranch_execz .LBB707_212
.LBB707_243:                            ;   in Loop: Header=BB707_98 Depth=2
	global_load_dwordx2 v[54:55], v[64:65], off offset:1536
	s_or_b64 exec, exec, s[78:79]
	v_cmp_lt_u32_e32 vcc, v146, v182
	s_and_saveexec_b64 s[78:79], vcc
	s_cbranch_execnz .LBB707_213
.LBB707_244:                            ;   in Loop: Header=BB707_98 Depth=2
	s_or_b64 exec, exec, s[78:79]
	v_cmp_lt_u32_e32 vcc, v147, v182
	s_and_saveexec_b64 s[78:79], vcc
	s_cbranch_execz .LBB707_214
.LBB707_245:                            ;   in Loop: Header=BB707_98 Depth=2
	global_load_dwordx2 v[46:47], v[64:65], off offset:2560
	s_or_b64 exec, exec, s[78:79]
	v_cmp_lt_u32_e32 vcc, v148, v182
	s_and_saveexec_b64 s[78:79], vcc
	s_cbranch_execnz .LBB707_215
.LBB707_246:                            ;   in Loop: Header=BB707_98 Depth=2
	s_or_b64 exec, exec, s[78:79]
	v_cmp_lt_u32_e32 vcc, v149, v182
	s_and_saveexec_b64 s[78:79], vcc
	s_cbranch_execz .LBB707_216
.LBB707_247:                            ;   in Loop: Header=BB707_98 Depth=2
	global_load_dwordx2 v[38:39], v[64:65], off offset:3584
	s_or_b64 exec, exec, s[78:79]
	v_cmp_lt_u32_e32 vcc, v150, v182
	s_and_saveexec_b64 s[78:79], vcc
	s_cbranch_execnz .LBB707_217
.LBB707_248:                            ;   in Loop: Header=BB707_98 Depth=2
	s_or_b64 exec, exec, s[78:79]
	v_cmp_lt_u32_e32 vcc, v151, v182
	s_and_saveexec_b64 s[78:79], vcc
	s_cbranch_execz .LBB707_218
.LBB707_249:                            ;   in Loop: Header=BB707_98 Depth=2
	v_add_co_u32_e32 v52, vcc, 0x1000, v64
	v_addc_co_u32_e32 v53, vcc, 0, v65, vcc
	global_load_dwordx2 v[52:53], v[52:53], off offset:512
	s_or_b64 exec, exec, s[78:79]
	v_cmp_lt_u32_e32 vcc, v152, v182
	s_and_saveexec_b64 s[78:79], vcc
	s_cbranch_execnz .LBB707_219
.LBB707_250:                            ;   in Loop: Header=BB707_98 Depth=2
	s_or_b64 exec, exec, s[78:79]
	v_cmp_lt_u32_e32 vcc, v153, v182
	s_and_saveexec_b64 s[78:79], vcc
	s_cbranch_execz .LBB707_220
.LBB707_251:                            ;   in Loop: Header=BB707_98 Depth=2
	v_add_co_u32_e32 v44, vcc, 0x1000, v64
	v_addc_co_u32_e32 v45, vcc, 0, v65, vcc
	global_load_dwordx2 v[44:45], v[44:45], off offset:1536
	s_or_b64 exec, exec, s[78:79]
	v_cmp_lt_u32_e32 vcc, v154, v182
	s_and_saveexec_b64 s[78:79], vcc
	s_cbranch_execnz .LBB707_221
.LBB707_252:                            ;   in Loop: Header=BB707_98 Depth=2
	s_or_b64 exec, exec, s[78:79]
	v_cmp_lt_u32_e32 vcc, v155, v182
	s_and_saveexec_b64 s[78:79], vcc
	s_cbranch_execz .LBB707_222
.LBB707_253:                            ;   in Loop: Header=BB707_98 Depth=2
	v_add_co_u32_e32 v36, vcc, 0x1000, v64
	v_addc_co_u32_e32 v37, vcc, 0, v65, vcc
	global_load_dwordx2 v[36:37], v[36:37], off offset:2560
	s_or_b64 exec, exec, s[78:79]
	v_cmp_lt_u32_e32 vcc, v156, v182
	s_and_saveexec_b64 s[78:79], vcc
	s_cbranch_execnz .LBB707_223
.LBB707_254:                            ;   in Loop: Header=BB707_98 Depth=2
	s_or_b64 exec, exec, s[78:79]
	v_cmp_lt_u32_e32 vcc, v157, v182
	s_and_saveexec_b64 s[78:79], vcc
	s_cbranch_execz .LBB707_224
.LBB707_255:                            ;   in Loop: Header=BB707_98 Depth=2
	v_add_co_u32_e32 v0, vcc, 0x1000, v64
	v_addc_co_u32_e32 v1, vcc, 0, v65, vcc
	global_load_dwordx2 v[0:1], v[0:1], off offset:3584
	s_or_b64 exec, exec, s[78:79]
	s_and_saveexec_b64 s[78:79], s[36:37]
	s_cbranch_execnz .LBB707_225
.LBB707_256:                            ;   in Loop: Header=BB707_98 Depth=2
	s_or_b64 exec, exec, s[78:79]
	s_and_saveexec_b64 s[78:79], s[38:39]
	s_cbranch_execz .LBB707_226
.LBB707_257:                            ;   in Loop: Header=BB707_98 Depth=2
	ds_read_b64 v[64:65], v104 offset:2048
	s_waitcnt lgkmcnt(0)
	v_lshrrev_b64 v[64:65], s33, v[64:65]
	v_and_b32_e32 v178, s69, v64
	s_or_b64 exec, exec, s[78:79]
	s_and_saveexec_b64 s[78:79], s[40:41]
	s_cbranch_execnz .LBB707_227
.LBB707_258:                            ;   in Loop: Header=BB707_98 Depth=2
	s_or_b64 exec, exec, s[78:79]
	s_and_saveexec_b64 s[78:79], s[42:43]
	s_cbranch_execz .LBB707_228
.LBB707_259:                            ;   in Loop: Header=BB707_98 Depth=2
	ds_read_b64 v[64:65], v104 offset:6144
	s_waitcnt lgkmcnt(0)
	v_lshrrev_b64 v[64:65], s33, v[64:65]
	v_and_b32_e32 v175, s69, v64
	s_or_b64 exec, exec, s[78:79]
	s_and_saveexec_b64 s[78:79], s[44:45]
	s_cbranch_execnz .LBB707_229
.LBB707_260:                            ;   in Loop: Header=BB707_98 Depth=2
	s_or_b64 exec, exec, s[78:79]
	s_and_saveexec_b64 s[78:79], s[46:47]
	s_cbranch_execz .LBB707_230
.LBB707_261:                            ;   in Loop: Header=BB707_98 Depth=2
	ds_read_b64 v[64:65], v104 offset:10240
	s_waitcnt lgkmcnt(0)
	v_lshrrev_b64 v[64:65], s33, v[64:65]
	v_and_b32_e32 v173, s69, v64
	s_or_b64 exec, exec, s[78:79]
	s_and_saveexec_b64 s[78:79], s[48:49]
	s_cbranch_execnz .LBB707_231
.LBB707_262:                            ;   in Loop: Header=BB707_98 Depth=2
	s_or_b64 exec, exec, s[78:79]
	s_and_saveexec_b64 s[78:79], s[50:51]
	s_cbranch_execz .LBB707_232
.LBB707_263:                            ;   in Loop: Header=BB707_98 Depth=2
	ds_read_b64 v[64:65], v104 offset:14336
	s_waitcnt lgkmcnt(0)
	v_lshrrev_b64 v[64:65], s33, v[64:65]
	v_and_b32_e32 v171, s69, v64
	s_or_b64 exec, exec, s[78:79]
	s_and_saveexec_b64 s[78:79], s[52:53]
	s_cbranch_execnz .LBB707_233
.LBB707_264:                            ;   in Loop: Header=BB707_98 Depth=2
	s_or_b64 exec, exec, s[78:79]
	s_and_saveexec_b64 s[78:79], s[54:55]
	s_cbranch_execz .LBB707_234
.LBB707_265:                            ;   in Loop: Header=BB707_98 Depth=2
	ds_read_b64 v[64:65], v104 offset:18432
	s_waitcnt lgkmcnt(0)
	v_lshrrev_b64 v[64:65], s33, v[64:65]
	v_and_b32_e32 v169, s69, v64
	s_or_b64 exec, exec, s[78:79]
	s_and_saveexec_b64 s[78:79], s[56:57]
	s_cbranch_execnz .LBB707_235
.LBB707_266:                            ;   in Loop: Header=BB707_98 Depth=2
	s_or_b64 exec, exec, s[78:79]
	s_and_saveexec_b64 s[78:79], s[58:59]
	s_cbranch_execz .LBB707_236
.LBB707_267:                            ;   in Loop: Header=BB707_98 Depth=2
	ds_read_b64 v[64:65], v104 offset:22528
	s_waitcnt lgkmcnt(0)
	v_lshrrev_b64 v[64:65], s33, v[64:65]
	v_and_b32_e32 v167, s69, v64
	s_or_b64 exec, exec, s[78:79]
	s_and_saveexec_b64 s[78:79], s[60:61]
	s_cbranch_execnz .LBB707_237
.LBB707_268:                            ;   in Loop: Header=BB707_98 Depth=2
	s_or_b64 exec, exec, s[78:79]
	s_and_saveexec_b64 s[78:79], s[62:63]
	s_cbranch_execz .LBB707_238
.LBB707_269:                            ;   in Loop: Header=BB707_98 Depth=2
	ds_read_b64 v[64:65], v104 offset:26624
	s_waitcnt lgkmcnt(0)
	v_lshrrev_b64 v[64:65], s33, v[64:65]
	v_and_b32_e32 v165, s69, v64
	s_or_b64 exec, exec, s[78:79]
	s_and_saveexec_b64 s[78:79], s[64:65]
	s_cbranch_execnz .LBB707_239
.LBB707_270:                            ;   in Loop: Header=BB707_98 Depth=2
	s_or_b64 exec, exec, s[78:79]
	s_and_saveexec_b64 s[78:79], s[66:67]
	s_cbranch_execz .LBB707_272
.LBB707_271:                            ;   in Loop: Header=BB707_98 Depth=2
	ds_read_b64 v[64:65], v104 offset:30720
	s_waitcnt lgkmcnt(0)
	v_lshrrev_b64 v[64:65], s33, v[64:65]
	v_and_b32_e32 v163, s69, v64
.LBB707_272:                            ;   in Loop: Header=BB707_98 Depth=2
	s_or_b64 exec, exec, s[78:79]
	v_add_u32_e32 v64, 0x400, v96
	v_add_u32_e32 v65, 0x400, v97
	;; [unrolled: 1-line block ×16, first 2 shown]
	s_barrier
	s_waitcnt vmcnt(0)
	ds_write_b64 v64, v[62:63]
	ds_write_b64 v65, v[60:61]
	;; [unrolled: 1-line block ×16, first 2 shown]
	s_waitcnt lgkmcnt(0)
	s_barrier
	s_and_saveexec_b64 s[78:79], s[36:37]
	s_cbranch_execz .LBB707_288
; %bb.273:                              ;   in Loop: Header=BB707_98 Depth=2
	v_lshlrev_b32_e32 v64, 2, v180
	ds_read_b32 v66, v64
	v_add_u32_e32 v64, v33, v3
	ds_read_b64 v[64:65], v64 offset:1024
	v_mov_b32_e32 v67, v4
	v_mov_b32_e32 v68, s81
	s_waitcnt lgkmcnt(1)
	v_add_u32_e32 v66, v66, v2
	v_lshlrev_b64 v[66:67], 3, v[66:67]
	v_add_co_u32_e32 v66, vcc, s80, v66
	v_addc_co_u32_e32 v67, vcc, v68, v67, vcc
	s_waitcnt lgkmcnt(0)
	global_store_dwordx2 v[66:67], v[64:65], off
	s_or_b64 exec, exec, s[78:79]
	s_and_saveexec_b64 s[36:37], s[38:39]
	s_cbranch_execnz .LBB707_289
.LBB707_274:                            ;   in Loop: Header=BB707_98 Depth=2
	s_or_b64 exec, exec, s[36:37]
	s_and_saveexec_b64 s[36:37], s[40:41]
	s_cbranch_execz .LBB707_290
.LBB707_275:                            ;   in Loop: Header=BB707_98 Depth=2
	v_lshlrev_b32_e32 v64, 2, v177
	ds_read_b32 v66, v64
	ds_read_b64 v[64:65], v104 offset:4096
	v_mov_b32_e32 v67, v4
	v_mov_b32_e32 v68, s81
	s_waitcnt lgkmcnt(1)
	v_add_u32_e32 v66, v66, v6
	v_lshlrev_b64 v[66:67], 3, v[66:67]
	v_add_co_u32_e32 v66, vcc, s80, v66
	v_addc_co_u32_e32 v67, vcc, v68, v67, vcc
	s_waitcnt lgkmcnt(0)
	global_store_dwordx2 v[66:67], v[64:65], off
	s_or_b64 exec, exec, s[36:37]
	s_and_saveexec_b64 s[36:37], s[42:43]
	s_cbranch_execnz .LBB707_291
.LBB707_276:                            ;   in Loop: Header=BB707_98 Depth=2
	s_or_b64 exec, exec, s[36:37]
	s_and_saveexec_b64 s[36:37], s[44:45]
	s_cbranch_execz .LBB707_292
.LBB707_277:                            ;   in Loop: Header=BB707_98 Depth=2
	v_lshlrev_b32_e32 v64, 2, v174
	ds_read_b32 v66, v64
	ds_read_b64 v[64:65], v104 offset:8192
	v_mov_b32_e32 v67, v4
	v_mov_b32_e32 v68, s81
	s_waitcnt lgkmcnt(1)
	v_add_u32_e32 v66, v66, v10
	v_lshlrev_b64 v[66:67], 3, v[66:67]
	v_add_co_u32_e32 v66, vcc, s80, v66
	v_addc_co_u32_e32 v67, vcc, v68, v67, vcc
	s_waitcnt lgkmcnt(0)
	global_store_dwordx2 v[66:67], v[64:65], off
	s_or_b64 exec, exec, s[36:37]
	s_and_saveexec_b64 s[36:37], s[46:47]
	s_cbranch_execnz .LBB707_293
.LBB707_278:                            ;   in Loop: Header=BB707_98 Depth=2
	s_or_b64 exec, exec, s[36:37]
	s_and_saveexec_b64 s[36:37], s[48:49]
	s_cbranch_execz .LBB707_294
.LBB707_279:                            ;   in Loop: Header=BB707_98 Depth=2
	v_lshlrev_b32_e32 v64, 2, v172
	ds_read_b32 v66, v64
	ds_read_b64 v[64:65], v104 offset:12288
	v_mov_b32_e32 v67, v4
	v_mov_b32_e32 v68, s81
	s_waitcnt lgkmcnt(1)
	v_add_u32_e32 v66, v66, v14
	v_lshlrev_b64 v[66:67], 3, v[66:67]
	v_add_co_u32_e32 v66, vcc, s80, v66
	v_addc_co_u32_e32 v67, vcc, v68, v67, vcc
	s_waitcnt lgkmcnt(0)
	global_store_dwordx2 v[66:67], v[64:65], off
	s_or_b64 exec, exec, s[36:37]
	s_and_saveexec_b64 s[36:37], s[50:51]
	s_cbranch_execnz .LBB707_295
.LBB707_280:                            ;   in Loop: Header=BB707_98 Depth=2
	s_or_b64 exec, exec, s[36:37]
	s_and_saveexec_b64 s[36:37], s[52:53]
	s_cbranch_execz .LBB707_296
.LBB707_281:                            ;   in Loop: Header=BB707_98 Depth=2
	v_lshlrev_b32_e32 v64, 2, v170
	ds_read_b32 v66, v64
	ds_read_b64 v[64:65], v104 offset:16384
	v_mov_b32_e32 v67, v4
	v_mov_b32_e32 v68, s81
	s_waitcnt lgkmcnt(1)
	v_add_u32_e32 v66, v66, v18
	v_lshlrev_b64 v[66:67], 3, v[66:67]
	v_add_co_u32_e32 v66, vcc, s80, v66
	v_addc_co_u32_e32 v67, vcc, v68, v67, vcc
	s_waitcnt lgkmcnt(0)
	global_store_dwordx2 v[66:67], v[64:65], off
	s_or_b64 exec, exec, s[36:37]
	s_and_saveexec_b64 s[36:37], s[54:55]
	s_cbranch_execnz .LBB707_297
.LBB707_282:                            ;   in Loop: Header=BB707_98 Depth=2
	s_or_b64 exec, exec, s[36:37]
	s_and_saveexec_b64 s[36:37], s[56:57]
	s_cbranch_execz .LBB707_298
.LBB707_283:                            ;   in Loop: Header=BB707_98 Depth=2
	v_lshlrev_b32_e32 v64, 2, v168
	ds_read_b32 v66, v64
	ds_read_b64 v[64:65], v104 offset:20480
	v_mov_b32_e32 v67, v4
	v_mov_b32_e32 v68, s81
	s_waitcnt lgkmcnt(1)
	v_add_u32_e32 v66, v66, v22
	v_lshlrev_b64 v[66:67], 3, v[66:67]
	v_add_co_u32_e32 v66, vcc, s80, v66
	v_addc_co_u32_e32 v67, vcc, v68, v67, vcc
	s_waitcnt lgkmcnt(0)
	global_store_dwordx2 v[66:67], v[64:65], off
	s_or_b64 exec, exec, s[36:37]
	s_and_saveexec_b64 s[36:37], s[58:59]
	s_cbranch_execnz .LBB707_299
.LBB707_284:                            ;   in Loop: Header=BB707_98 Depth=2
	s_or_b64 exec, exec, s[36:37]
	s_and_saveexec_b64 s[36:37], s[60:61]
	s_cbranch_execz .LBB707_300
.LBB707_285:                            ;   in Loop: Header=BB707_98 Depth=2
	v_lshlrev_b32_e32 v64, 2, v166
	ds_read_b32 v66, v64
	ds_read_b64 v[64:65], v104 offset:24576
	v_mov_b32_e32 v67, v4
	v_mov_b32_e32 v68, s81
	s_waitcnt lgkmcnt(1)
	v_add_u32_e32 v66, v66, v26
	v_lshlrev_b64 v[66:67], 3, v[66:67]
	v_add_co_u32_e32 v66, vcc, s80, v66
	v_addc_co_u32_e32 v67, vcc, v68, v67, vcc
	s_waitcnt lgkmcnt(0)
	global_store_dwordx2 v[66:67], v[64:65], off
	s_or_b64 exec, exec, s[36:37]
	s_and_saveexec_b64 s[36:37], s[62:63]
	s_cbranch_execnz .LBB707_301
.LBB707_286:                            ;   in Loop: Header=BB707_98 Depth=2
	s_or_b64 exec, exec, s[36:37]
	s_and_saveexec_b64 s[36:37], s[64:65]
	s_cbranch_execz .LBB707_302
.LBB707_287:                            ;   in Loop: Header=BB707_98 Depth=2
	v_lshlrev_b32_e32 v64, 2, v164
	ds_read_b32 v66, v64
	ds_read_b64 v[64:65], v104 offset:28672
	v_mov_b32_e32 v67, v4
	v_mov_b32_e32 v68, s81
	s_waitcnt lgkmcnt(1)
	v_add_u32_e32 v66, v66, v30
	v_lshlrev_b64 v[66:67], 3, v[66:67]
	v_add_co_u32_e32 v66, vcc, s80, v66
	v_addc_co_u32_e32 v67, vcc, v68, v67, vcc
	s_waitcnt lgkmcnt(0)
	global_store_dwordx2 v[66:67], v[64:65], off
	s_or_b64 exec, exec, s[36:37]
	s_and_saveexec_b64 s[36:37], s[66:67]
	s_cbranch_execnz .LBB707_303
	s_branch .LBB707_304
.LBB707_288:                            ;   in Loop: Header=BB707_98 Depth=2
	s_or_b64 exec, exec, s[78:79]
	s_and_saveexec_b64 s[36:37], s[38:39]
	s_cbranch_execz .LBB707_274
.LBB707_289:                            ;   in Loop: Header=BB707_98 Depth=2
	v_lshlrev_b32_e32 v64, 2, v178
	ds_read_b32 v66, v64
	ds_read_b64 v[64:65], v104 offset:2048
	v_mov_b32_e32 v67, v4
	v_mov_b32_e32 v68, s81
	s_waitcnt lgkmcnt(1)
	v_add_u32_e32 v66, v66, v7
	v_lshlrev_b64 v[66:67], 3, v[66:67]
	v_add_co_u32_e32 v66, vcc, s80, v66
	v_addc_co_u32_e32 v67, vcc, v68, v67, vcc
	s_waitcnt lgkmcnt(0)
	global_store_dwordx2 v[66:67], v[64:65], off
	s_or_b64 exec, exec, s[36:37]
	s_and_saveexec_b64 s[36:37], s[40:41]
	s_cbranch_execnz .LBB707_275
.LBB707_290:                            ;   in Loop: Header=BB707_98 Depth=2
	s_or_b64 exec, exec, s[36:37]
	s_and_saveexec_b64 s[36:37], s[42:43]
	s_cbranch_execz .LBB707_276
.LBB707_291:                            ;   in Loop: Header=BB707_98 Depth=2
	v_lshlrev_b32_e32 v64, 2, v175
	ds_read_b32 v66, v64
	ds_read_b64 v[64:65], v104 offset:6144
	v_mov_b32_e32 v67, v4
	v_mov_b32_e32 v68, s81
	s_waitcnt lgkmcnt(1)
	v_add_u32_e32 v66, v66, v8
	v_lshlrev_b64 v[66:67], 3, v[66:67]
	v_add_co_u32_e32 v66, vcc, s80, v66
	v_addc_co_u32_e32 v67, vcc, v68, v67, vcc
	s_waitcnt lgkmcnt(0)
	global_store_dwordx2 v[66:67], v[64:65], off
	s_or_b64 exec, exec, s[36:37]
	s_and_saveexec_b64 s[36:37], s[44:45]
	s_cbranch_execnz .LBB707_277
.LBB707_292:                            ;   in Loop: Header=BB707_98 Depth=2
	s_or_b64 exec, exec, s[36:37]
	s_and_saveexec_b64 s[36:37], s[46:47]
	s_cbranch_execz .LBB707_278
.LBB707_293:                            ;   in Loop: Header=BB707_98 Depth=2
	v_lshlrev_b32_e32 v64, 2, v173
	ds_read_b32 v66, v64
	ds_read_b64 v[64:65], v104 offset:10240
	v_mov_b32_e32 v67, v4
	v_mov_b32_e32 v68, s81
	s_waitcnt lgkmcnt(1)
	v_add_u32_e32 v66, v66, v12
	v_lshlrev_b64 v[66:67], 3, v[66:67]
	v_add_co_u32_e32 v66, vcc, s80, v66
	v_addc_co_u32_e32 v67, vcc, v68, v67, vcc
	s_waitcnt lgkmcnt(0)
	global_store_dwordx2 v[66:67], v[64:65], off
	s_or_b64 exec, exec, s[36:37]
	s_and_saveexec_b64 s[36:37], s[48:49]
	s_cbranch_execnz .LBB707_279
.LBB707_294:                            ;   in Loop: Header=BB707_98 Depth=2
	s_or_b64 exec, exec, s[36:37]
	s_and_saveexec_b64 s[36:37], s[50:51]
	s_cbranch_execz .LBB707_280
.LBB707_295:                            ;   in Loop: Header=BB707_98 Depth=2
	v_lshlrev_b32_e32 v64, 2, v171
	ds_read_b32 v66, v64
	ds_read_b64 v[64:65], v104 offset:14336
	v_mov_b32_e32 v67, v4
	v_mov_b32_e32 v68, s81
	s_waitcnt lgkmcnt(1)
	v_add_u32_e32 v66, v66, v16
	v_lshlrev_b64 v[66:67], 3, v[66:67]
	v_add_co_u32_e32 v66, vcc, s80, v66
	v_addc_co_u32_e32 v67, vcc, v68, v67, vcc
	s_waitcnt lgkmcnt(0)
	global_store_dwordx2 v[66:67], v[64:65], off
	s_or_b64 exec, exec, s[36:37]
	s_and_saveexec_b64 s[36:37], s[52:53]
	s_cbranch_execnz .LBB707_281
.LBB707_296:                            ;   in Loop: Header=BB707_98 Depth=2
	s_or_b64 exec, exec, s[36:37]
	s_and_saveexec_b64 s[36:37], s[54:55]
	s_cbranch_execz .LBB707_282
.LBB707_297:                            ;   in Loop: Header=BB707_98 Depth=2
	v_lshlrev_b32_e32 v64, 2, v169
	ds_read_b32 v66, v64
	ds_read_b64 v[64:65], v104 offset:18432
	v_mov_b32_e32 v67, v4
	v_mov_b32_e32 v68, s81
	s_waitcnt lgkmcnt(1)
	v_add_u32_e32 v66, v66, v20
	v_lshlrev_b64 v[66:67], 3, v[66:67]
	v_add_co_u32_e32 v66, vcc, s80, v66
	v_addc_co_u32_e32 v67, vcc, v68, v67, vcc
	s_waitcnt lgkmcnt(0)
	global_store_dwordx2 v[66:67], v[64:65], off
	s_or_b64 exec, exec, s[36:37]
	s_and_saveexec_b64 s[36:37], s[56:57]
	s_cbranch_execnz .LBB707_283
.LBB707_298:                            ;   in Loop: Header=BB707_98 Depth=2
	s_or_b64 exec, exec, s[36:37]
	s_and_saveexec_b64 s[36:37], s[58:59]
	s_cbranch_execz .LBB707_284
.LBB707_299:                            ;   in Loop: Header=BB707_98 Depth=2
	v_lshlrev_b32_e32 v64, 2, v167
	ds_read_b32 v66, v64
	ds_read_b64 v[64:65], v104 offset:22528
	v_mov_b32_e32 v67, v4
	v_mov_b32_e32 v68, s81
	s_waitcnt lgkmcnt(1)
	v_add_u32_e32 v66, v66, v24
	v_lshlrev_b64 v[66:67], 3, v[66:67]
	v_add_co_u32_e32 v66, vcc, s80, v66
	v_addc_co_u32_e32 v67, vcc, v68, v67, vcc
	s_waitcnt lgkmcnt(0)
	global_store_dwordx2 v[66:67], v[64:65], off
	s_or_b64 exec, exec, s[36:37]
	s_and_saveexec_b64 s[36:37], s[60:61]
	s_cbranch_execnz .LBB707_285
.LBB707_300:                            ;   in Loop: Header=BB707_98 Depth=2
	s_or_b64 exec, exec, s[36:37]
	s_and_saveexec_b64 s[36:37], s[62:63]
	s_cbranch_execz .LBB707_286
.LBB707_301:                            ;   in Loop: Header=BB707_98 Depth=2
	v_lshlrev_b32_e32 v64, 2, v165
	ds_read_b32 v66, v64
	ds_read_b64 v[64:65], v104 offset:26624
	v_mov_b32_e32 v67, v4
	v_mov_b32_e32 v68, s81
	s_waitcnt lgkmcnt(1)
	v_add_u32_e32 v66, v66, v28
	v_lshlrev_b64 v[66:67], 3, v[66:67]
	v_add_co_u32_e32 v66, vcc, s80, v66
	v_addc_co_u32_e32 v67, vcc, v68, v67, vcc
	s_waitcnt lgkmcnt(0)
	global_store_dwordx2 v[66:67], v[64:65], off
	s_or_b64 exec, exec, s[36:37]
	s_and_saveexec_b64 s[36:37], s[64:65]
	s_cbranch_execnz .LBB707_287
.LBB707_302:                            ;   in Loop: Header=BB707_98 Depth=2
	s_or_b64 exec, exec, s[36:37]
	s_and_saveexec_b64 s[36:37], s[66:67]
	s_cbranch_execz .LBB707_304
.LBB707_303:                            ;   in Loop: Header=BB707_98 Depth=2
	v_lshlrev_b32_e32 v64, 2, v163
	ds_read_b32 v66, v64
	ds_read_b64 v[64:65], v104 offset:30720
	v_mov_b32_e32 v67, v4
	v_mov_b32_e32 v68, s81
	s_waitcnt lgkmcnt(1)
	v_add_u32_e32 v66, v66, v32
	v_lshlrev_b64 v[66:67], 3, v[66:67]
	v_add_co_u32_e32 v66, vcc, s80, v66
	v_addc_co_u32_e32 v67, vcc, v68, v67, vcc
	s_waitcnt lgkmcnt(0)
	global_store_dwordx2 v[66:67], v[64:65], off
.LBB707_304:                            ;   in Loop: Header=BB707_98 Depth=2
	s_or_b64 exec, exec, s[36:37]
	s_barrier
	s_and_saveexec_b64 s[36:37], s[4:5]
	s_cbranch_execz .LBB707_97
; %bb.305:                              ;   in Loop: Header=BB707_98 Depth=2
	ds_read_b32 v64, v3
	s_waitcnt lgkmcnt(0)
	v_add_u32_e32 v5, v64, v5
	ds_write_b32 v3, v5
	s_branch .LBB707_97
.LBB707_306:                            ;   in Loop: Header=BB707_12 Depth=1
	s_waitcnt lgkmcnt(0)
	s_barrier
	s_mov_b64 s[16:17], 0
	v_readlane_b32 s38, v235, 2
.LBB707_307:                            ;   in Loop: Header=BB707_12 Depth=1
	s_and_b64 vcc, exec, s[16:17]
	s_cbranch_vccz .LBB707_601
; %bb.308:                              ;   in Loop: Header=BB707_12 Depth=1
	s_mov_b32 s24, s85
	s_mov_b32 s18, s38
	s_barrier
	s_waitcnt lgkmcnt(0)
                                        ; implicit-def: $vgpr62_vgpr63
                                        ; implicit-def: $vgpr0_vgpr1
                                        ; implicit-def: $vgpr34_vgpr35
                                        ; implicit-def: $vgpr36_vgpr37
                                        ; implicit-def: $vgpr38_vgpr39
                                        ; implicit-def: $vgpr40_vgpr41
                                        ; implicit-def: $vgpr42_vgpr43
                                        ; implicit-def: $vgpr44_vgpr45
                                        ; implicit-def: $vgpr46_vgpr47
                                        ; implicit-def: $vgpr48_vgpr49
                                        ; implicit-def: $vgpr50_vgpr51
                                        ; implicit-def: $vgpr52_vgpr53
                                        ; implicit-def: $vgpr54_vgpr55
                                        ; implicit-def: $vgpr56_vgpr57
                                        ; implicit-def: $vgpr58_vgpr59
                                        ; implicit-def: $vgpr60_vgpr61
	s_branch .LBB707_310
.LBB707_309:                            ;   in Loop: Header=BB707_310 Depth=2
	s_or_b64 exec, exec, s[16:17]
	s_addk_i32 s24, 0xf000
	s_cmp_ge_u32 s25, s94
	s_mov_b32 s18, s25
	s_cbranch_scc1 .LBB707_380
.LBB707_310:                            ;   Parent Loop BB707_12 Depth=1
                                        ; =>  This Inner Loop Header: Depth=2
	s_add_i32 s25, s18, 0x1000
	s_cmp_gt_u32 s25, s94
	s_cbranch_scc1 .LBB707_313
; %bb.311:                              ;   in Loop: Header=BB707_310 Depth=2
	s_mov_b32 s19, s88
	s_lshl_b64 s[16:17], s[18:19], 3
	v_mov_b32_e32 v5, s17
	v_add_co_u32_e32 v64, vcc, s16, v105
	v_addc_co_u32_e32 v65, vcc, v106, v5, vcc
	s_waitcnt vmcnt(11)
	v_add_co_u32_e32 v72, vcc, 0x1000, v64
	v_addc_co_u32_e32 v73, vcc, 0, v65, vcc
	s_waitcnt vmcnt(5)
	;; [unrolled: 3-line block ×3, first 2 shown]
	v_add_co_u32_e32 v82, vcc, s96, v64
	v_addc_co_u32_e32 v83, vcc, 0, v65, vcc
	v_add_co_u32_e32 v86, vcc, s97, v64
	v_addc_co_u32_e32 v87, vcc, 0, v65, vcc
	;; [unrolled: 2-line block ×4, first 2 shown]
	global_load_dwordx2 v[66:67], v[64:65], off
	global_load_dwordx2 v[68:69], v[64:65], off offset:2048
	global_load_dwordx2 v[70:71], v[72:73], off
	s_nop 0
	global_load_dwordx2 v[72:73], v[72:73], off offset:2048
	s_nop 0
	global_load_dwordx2 v[74:75], v[82:83], off
	global_load_dwordx2 v[76:77], v[82:83], off offset:2048
	global_load_dwordx2 v[80:81], v[88:89], off offset:-4096
	global_load_dwordx2 v[84:85], v[88:89], off
	s_nop 0
	global_load_dwordx2 v[88:89], v[88:89], off offset:2048
	s_nop 0
	global_load_dwordx2 v[78:79], v[78:79], off offset:2048
	;; [unrolled: 2-line block ×3, first 2 shown]
	s_nop 0
	global_load_dwordx2 v[90:91], v[92:93], off
	s_nop 0
	global_load_dwordx2 v[92:93], v[92:93], off offset:2048
	s_waitcnt vmcnt(13)
	v_add_co_u32_e32 v94, vcc, 0x7000, v64
	v_addc_co_u32_e32 v95, vcc, 0, v65, vcc
	global_load_dwordx2 v[82:83], v[82:83], off offset:-4096
	s_nop 0
	global_load_dwordx2 v[94:95], v[94:95], off
	v_add_co_u32_e32 v64, vcc, 0x7800, v64
	s_movk_i32 s26, 0x1000
	v_addc_co_u32_e32 v65, vcc, 0, v65, vcc
	s_mov_b64 s[16:17], -1
	s_cbranch_execz .LBB707_314
; %bb.312:                              ;   in Loop: Header=BB707_310 Depth=2
                                        ; implicit-def: $vgpr60_vgpr61
                                        ; implicit-def: $vgpr58_vgpr59
                                        ; implicit-def: $vgpr56_vgpr57
                                        ; implicit-def: $vgpr54_vgpr55
                                        ; implicit-def: $vgpr52_vgpr53
                                        ; implicit-def: $vgpr50_vgpr51
                                        ; implicit-def: $vgpr48_vgpr49
                                        ; implicit-def: $vgpr46_vgpr47
                                        ; implicit-def: $vgpr44_vgpr45
                                        ; implicit-def: $vgpr42_vgpr43
                                        ; implicit-def: $vgpr40_vgpr41
                                        ; implicit-def: $vgpr38_vgpr39
                                        ; implicit-def: $vgpr36_vgpr37
                                        ; implicit-def: $vgpr34_vgpr35
                                        ; implicit-def: $vgpr0_vgpr1
                                        ; implicit-def: $vgpr62_vgpr63
	v_mov_b32_e32 v5, s24
	s_and_saveexec_b64 s[18:19], s[16:17]
	s_cbranch_execnz .LBB707_333
	s_branch .LBB707_334
.LBB707_313:                            ;   in Loop: Header=BB707_310 Depth=2
	s_mov_b64 s[16:17], 0
                                        ; implicit-def: $sgpr26
                                        ; implicit-def: $vgpr66_vgpr67
                                        ; implicit-def: $vgpr68_vgpr69
                                        ; implicit-def: $vgpr70_vgpr71
                                        ; implicit-def: $vgpr72_vgpr73
                                        ; implicit-def: $vgpr82_vgpr83
                                        ; implicit-def: $vgpr78_vgpr79
                                        ; implicit-def: $vgpr74_vgpr75
                                        ; implicit-def: $vgpr76_vgpr77
                                        ; implicit-def: $vgpr80_vgpr81
                                        ; implicit-def: $vgpr86_vgpr87
                                        ; implicit-def: $vgpr84_vgpr85
                                        ; implicit-def: $vgpr88_vgpr89
                                        ; implicit-def: $vgpr90_vgpr91
                                        ; implicit-def: $vgpr92_vgpr93
                                        ; implicit-def: $vgpr94_vgpr95
                                        ; implicit-def: $vgpr64_vgpr65
.LBB707_314:                            ;   in Loop: Header=BB707_310 Depth=2
	s_mov_b32 s19, s88
	s_lshl_b64 s[20:21], s[18:19], 3
	s_add_u32 s20, s74, s20
	s_addc_u32 s21, s75, s21
	v_cmp_gt_u32_e32 vcc, s24, v2
	s_and_saveexec_b64 s[22:23], vcc
	s_cbranch_execz .LBB707_366
; %bb.315:                              ;   in Loop: Header=BB707_310 Depth=2
	global_load_dwordx2 v[60:61], v118, s[20:21]
	s_or_b64 exec, exec, s[22:23]
	v_cmp_gt_u32_e32 vcc, s24, v7
	s_and_saveexec_b64 s[22:23], vcc
	s_cbranch_execnz .LBB707_367
.LBB707_316:                            ;   in Loop: Header=BB707_310 Depth=2
	s_or_b64 exec, exec, s[22:23]
	v_cmp_gt_u32_e32 vcc, s24, v6
	s_and_saveexec_b64 s[22:23], vcc
	s_cbranch_execz .LBB707_368
.LBB707_317:                            ;   in Loop: Header=BB707_310 Depth=2
	global_load_dwordx2 v[56:57], v119, s[20:21]
	s_or_b64 exec, exec, s[22:23]
	v_cmp_gt_u32_e32 vcc, s24, v8
	s_and_saveexec_b64 s[22:23], vcc
	s_cbranch_execnz .LBB707_369
.LBB707_318:                            ;   in Loop: Header=BB707_310 Depth=2
	s_or_b64 exec, exec, s[22:23]
	v_cmp_gt_u32_e32 vcc, s24, v10
	s_and_saveexec_b64 s[22:23], vcc
	s_cbranch_execz .LBB707_370
.LBB707_319:                            ;   in Loop: Header=BB707_310 Depth=2
	global_load_dwordx2 v[52:53], v121, s[20:21]
	s_or_b64 exec, exec, s[22:23]
	v_cmp_gt_u32_e32 vcc, s24, v12
	s_and_saveexec_b64 s[22:23], vcc
	s_cbranch_execnz .LBB707_371
.LBB707_320:                            ;   in Loop: Header=BB707_310 Depth=2
	s_or_b64 exec, exec, s[22:23]
	v_cmp_gt_u32_e32 vcc, s24, v14
	s_and_saveexec_b64 s[22:23], vcc
	s_cbranch_execz .LBB707_372
.LBB707_321:                            ;   in Loop: Header=BB707_310 Depth=2
	global_load_dwordx2 v[48:49], v123, s[20:21]
	s_or_b64 exec, exec, s[22:23]
	v_cmp_gt_u32_e32 vcc, s24, v16
	s_and_saveexec_b64 s[22:23], vcc
	s_cbranch_execnz .LBB707_373
.LBB707_322:                            ;   in Loop: Header=BB707_310 Depth=2
	s_or_b64 exec, exec, s[22:23]
	v_cmp_gt_u32_e32 vcc, s24, v18
	s_and_saveexec_b64 s[22:23], vcc
	s_cbranch_execz .LBB707_374
.LBB707_323:                            ;   in Loop: Header=BB707_310 Depth=2
	global_load_dwordx2 v[44:45], v125, s[20:21]
	s_or_b64 exec, exec, s[22:23]
	v_cmp_gt_u32_e32 vcc, s24, v20
	s_and_saveexec_b64 s[22:23], vcc
	s_cbranch_execnz .LBB707_375
.LBB707_324:                            ;   in Loop: Header=BB707_310 Depth=2
	s_or_b64 exec, exec, s[22:23]
	v_cmp_gt_u32_e32 vcc, s24, v22
	s_and_saveexec_b64 s[22:23], vcc
	s_cbranch_execz .LBB707_376
.LBB707_325:                            ;   in Loop: Header=BB707_310 Depth=2
	global_load_dwordx2 v[40:41], v127, s[20:21]
	s_or_b64 exec, exec, s[22:23]
	v_cmp_gt_u32_e32 vcc, s24, v24
	s_and_saveexec_b64 s[22:23], vcc
	s_cbranch_execnz .LBB707_377
.LBB707_326:                            ;   in Loop: Header=BB707_310 Depth=2
	s_or_b64 exec, exec, s[22:23]
	v_cmp_gt_u32_e32 vcc, s24, v26
	s_and_saveexec_b64 s[22:23], vcc
	s_cbranch_execz .LBB707_378
.LBB707_327:                            ;   in Loop: Header=BB707_310 Depth=2
	global_load_dwordx2 v[36:37], v129, s[20:21]
	s_or_b64 exec, exec, s[22:23]
	v_cmp_gt_u32_e32 vcc, s24, v28
	s_and_saveexec_b64 s[22:23], vcc
	s_cbranch_execnz .LBB707_379
.LBB707_328:                            ;   in Loop: Header=BB707_310 Depth=2
	s_or_b64 exec, exec, s[22:23]
	v_cmp_gt_u32_e32 vcc, s24, v30
	s_and_saveexec_b64 s[22:23], vcc
	s_cbranch_execz .LBB707_330
.LBB707_329:                            ;   in Loop: Header=BB707_310 Depth=2
	global_load_dwordx2 v[0:1], v131, s[20:21]
.LBB707_330:                            ;   in Loop: Header=BB707_310 Depth=2
	s_or_b64 exec, exec, s[22:23]
	v_cmp_gt_u32_e32 vcc, s24, v32
                                        ; implicit-def: $sgpr26
                                        ; implicit-def: $vgpr64_vgpr65
	s_and_saveexec_b64 s[22:23], vcc
; %bb.331:                              ;   in Loop: Header=BB707_310 Depth=2
	v_mov_b32_e32 v5, s21
	v_add_co_u32_e32 v64, vcc, s20, v132
	s_sub_i32 s26, s94, s18
	v_addc_co_u32_e32 v65, vcc, 0, v5, vcc
	s_or_b64 s[16:17], s[16:17], exec
                                        ; implicit-def: $vgpr62_vgpr63
; %bb.332:                              ;   in Loop: Header=BB707_310 Depth=2
	s_or_b64 exec, exec, s[22:23]
	s_waitcnt vmcnt(0)
	v_pk_mov_b32 v[66:67], v[60:61], v[60:61] op_sel:[0,1]
	v_pk_mov_b32 v[68:69], v[58:59], v[58:59] op_sel:[0,1]
	;; [unrolled: 1-line block ×15, first 2 shown]
	v_mov_b32_e32 v5, s24
	s_and_saveexec_b64 s[18:19], s[16:17]
	s_cbranch_execz .LBB707_334
.LBB707_333:                            ;   in Loop: Header=BB707_310 Depth=2
	global_load_dwordx2 v[62:63], v[64:65], off
	v_mov_b32_e32 v5, s26
	s_waitcnt vmcnt(1)
	v_pk_mov_b32 v[0:1], v[94:95], v[94:95] op_sel:[0,1]
	v_pk_mov_b32 v[34:35], v[92:93], v[92:93] op_sel:[0,1]
	;; [unrolled: 1-line block ×15, first 2 shown]
.LBB707_334:                            ;   in Loop: Header=BB707_310 Depth=2
	s_or_b64 exec, exec, s[18:19]
	v_cmp_lt_u32_e32 vcc, v2, v5
	s_and_saveexec_b64 s[16:17], vcc
	s_cbranch_execz .LBB707_350
; %bb.335:                              ;   in Loop: Header=BB707_310 Depth=2
	v_xor_b32_e32 v65, 0x7fffffff, v61
	v_not_b32_e32 v64, v60
	v_lshrrev_b64 v[64:65], s33, v[64:65]
	v_and_b32_e32 v64, s69, v64
	v_lshl_or_b32 v64, v64, 4, v133
	ds_add_u32 v64, v117
	s_or_b64 exec, exec, s[16:17]
	v_cmp_lt_u32_e32 vcc, v7, v5
	s_and_saveexec_b64 s[16:17], vcc
	s_cbranch_execnz .LBB707_351
.LBB707_336:                            ;   in Loop: Header=BB707_310 Depth=2
	s_or_b64 exec, exec, s[16:17]
	v_cmp_lt_u32_e32 vcc, v6, v5
	s_and_saveexec_b64 s[16:17], vcc
	s_cbranch_execz .LBB707_352
.LBB707_337:                            ;   in Loop: Header=BB707_310 Depth=2
	v_xor_b32_e32 v65, 0x7fffffff, v57
	v_not_b32_e32 v64, v56
	v_lshrrev_b64 v[64:65], s33, v[64:65]
	v_and_b32_e32 v64, s69, v64
	v_lshl_or_b32 v64, v64, 4, v133
	ds_add_u32 v64, v117
	s_or_b64 exec, exec, s[16:17]
	v_cmp_lt_u32_e32 vcc, v8, v5
	s_and_saveexec_b64 s[16:17], vcc
	s_cbranch_execnz .LBB707_353
.LBB707_338:                            ;   in Loop: Header=BB707_310 Depth=2
	s_or_b64 exec, exec, s[16:17]
	v_cmp_lt_u32_e32 vcc, v10, v5
	s_and_saveexec_b64 s[16:17], vcc
	s_cbranch_execz .LBB707_354
.LBB707_339:                            ;   in Loop: Header=BB707_310 Depth=2
	v_xor_b32_e32 v65, 0x7fffffff, v53
	v_not_b32_e32 v64, v52
	v_lshrrev_b64 v[64:65], s33, v[64:65]
	v_and_b32_e32 v64, s69, v64
	v_lshl_or_b32 v64, v64, 4, v133
	ds_add_u32 v64, v117
	s_or_b64 exec, exec, s[16:17]
	v_cmp_lt_u32_e32 vcc, v12, v5
	s_and_saveexec_b64 s[16:17], vcc
	s_cbranch_execnz .LBB707_355
.LBB707_340:                            ;   in Loop: Header=BB707_310 Depth=2
	s_or_b64 exec, exec, s[16:17]
	v_cmp_lt_u32_e32 vcc, v14, v5
	s_and_saveexec_b64 s[16:17], vcc
	s_cbranch_execz .LBB707_356
.LBB707_341:                            ;   in Loop: Header=BB707_310 Depth=2
	v_xor_b32_e32 v65, 0x7fffffff, v49
	v_not_b32_e32 v64, v48
	v_lshrrev_b64 v[64:65], s33, v[64:65]
	v_and_b32_e32 v64, s69, v64
	v_lshl_or_b32 v64, v64, 4, v133
	ds_add_u32 v64, v117
	s_or_b64 exec, exec, s[16:17]
	v_cmp_lt_u32_e32 vcc, v16, v5
	s_and_saveexec_b64 s[16:17], vcc
	s_cbranch_execnz .LBB707_357
.LBB707_342:                            ;   in Loop: Header=BB707_310 Depth=2
	s_or_b64 exec, exec, s[16:17]
	v_cmp_lt_u32_e32 vcc, v18, v5
	s_and_saveexec_b64 s[16:17], vcc
	s_cbranch_execz .LBB707_358
.LBB707_343:                            ;   in Loop: Header=BB707_310 Depth=2
	v_xor_b32_e32 v65, 0x7fffffff, v45
	v_not_b32_e32 v64, v44
	v_lshrrev_b64 v[64:65], s33, v[64:65]
	v_and_b32_e32 v64, s69, v64
	v_lshl_or_b32 v64, v64, 4, v133
	ds_add_u32 v64, v117
	s_or_b64 exec, exec, s[16:17]
	v_cmp_lt_u32_e32 vcc, v20, v5
	s_and_saveexec_b64 s[16:17], vcc
	s_cbranch_execnz .LBB707_359
.LBB707_344:                            ;   in Loop: Header=BB707_310 Depth=2
	s_or_b64 exec, exec, s[16:17]
	v_cmp_lt_u32_e32 vcc, v22, v5
	s_and_saveexec_b64 s[16:17], vcc
	s_cbranch_execz .LBB707_360
.LBB707_345:                            ;   in Loop: Header=BB707_310 Depth=2
	v_xor_b32_e32 v65, 0x7fffffff, v41
	v_not_b32_e32 v64, v40
	v_lshrrev_b64 v[64:65], s33, v[64:65]
	v_and_b32_e32 v64, s69, v64
	v_lshl_or_b32 v64, v64, 4, v133
	ds_add_u32 v64, v117
	s_or_b64 exec, exec, s[16:17]
	v_cmp_lt_u32_e32 vcc, v24, v5
	s_and_saveexec_b64 s[16:17], vcc
	s_cbranch_execnz .LBB707_361
.LBB707_346:                            ;   in Loop: Header=BB707_310 Depth=2
	s_or_b64 exec, exec, s[16:17]
	v_cmp_lt_u32_e32 vcc, v26, v5
	s_and_saveexec_b64 s[16:17], vcc
	s_cbranch_execz .LBB707_362
.LBB707_347:                            ;   in Loop: Header=BB707_310 Depth=2
	v_xor_b32_e32 v65, 0x7fffffff, v37
	v_not_b32_e32 v64, v36
	v_lshrrev_b64 v[64:65], s33, v[64:65]
	v_and_b32_e32 v64, s69, v64
	v_lshl_or_b32 v64, v64, 4, v133
	ds_add_u32 v64, v117
	s_or_b64 exec, exec, s[16:17]
	v_cmp_lt_u32_e32 vcc, v28, v5
	s_and_saveexec_b64 s[16:17], vcc
	s_cbranch_execnz .LBB707_363
.LBB707_348:                            ;   in Loop: Header=BB707_310 Depth=2
	s_or_b64 exec, exec, s[16:17]
	v_cmp_lt_u32_e32 vcc, v30, v5
	s_and_saveexec_b64 s[16:17], vcc
	s_cbranch_execz .LBB707_364
.LBB707_349:                            ;   in Loop: Header=BB707_310 Depth=2
	v_xor_b32_e32 v65, 0x7fffffff, v1
	v_not_b32_e32 v64, v0
	v_lshrrev_b64 v[64:65], s33, v[64:65]
	v_and_b32_e32 v64, s69, v64
	v_lshl_or_b32 v64, v64, 4, v133
	ds_add_u32 v64, v117
	s_or_b64 exec, exec, s[16:17]
	v_cmp_lt_u32_e32 vcc, v32, v5
	s_and_saveexec_b64 s[16:17], vcc
	s_cbranch_execz .LBB707_309
	s_branch .LBB707_365
.LBB707_350:                            ;   in Loop: Header=BB707_310 Depth=2
	s_or_b64 exec, exec, s[16:17]
	v_cmp_lt_u32_e32 vcc, v7, v5
	s_and_saveexec_b64 s[16:17], vcc
	s_cbranch_execz .LBB707_336
.LBB707_351:                            ;   in Loop: Header=BB707_310 Depth=2
	v_xor_b32_e32 v65, 0x7fffffff, v59
	v_not_b32_e32 v64, v58
	v_lshrrev_b64 v[64:65], s33, v[64:65]
	v_and_b32_e32 v64, s69, v64
	v_lshl_or_b32 v64, v64, 4, v133
	ds_add_u32 v64, v117
	s_or_b64 exec, exec, s[16:17]
	v_cmp_lt_u32_e32 vcc, v6, v5
	s_and_saveexec_b64 s[16:17], vcc
	s_cbranch_execnz .LBB707_337
.LBB707_352:                            ;   in Loop: Header=BB707_310 Depth=2
	s_or_b64 exec, exec, s[16:17]
	v_cmp_lt_u32_e32 vcc, v8, v5
	s_and_saveexec_b64 s[16:17], vcc
	s_cbranch_execz .LBB707_338
.LBB707_353:                            ;   in Loop: Header=BB707_310 Depth=2
	v_xor_b32_e32 v65, 0x7fffffff, v55
	v_not_b32_e32 v64, v54
	v_lshrrev_b64 v[64:65], s33, v[64:65]
	v_and_b32_e32 v64, s69, v64
	v_lshl_or_b32 v64, v64, 4, v133
	ds_add_u32 v64, v117
	s_or_b64 exec, exec, s[16:17]
	v_cmp_lt_u32_e32 vcc, v10, v5
	s_and_saveexec_b64 s[16:17], vcc
	s_cbranch_execnz .LBB707_339
.LBB707_354:                            ;   in Loop: Header=BB707_310 Depth=2
	s_or_b64 exec, exec, s[16:17]
	v_cmp_lt_u32_e32 vcc, v12, v5
	s_and_saveexec_b64 s[16:17], vcc
	s_cbranch_execz .LBB707_340
.LBB707_355:                            ;   in Loop: Header=BB707_310 Depth=2
	v_xor_b32_e32 v65, 0x7fffffff, v51
	v_not_b32_e32 v64, v50
	v_lshrrev_b64 v[64:65], s33, v[64:65]
	v_and_b32_e32 v64, s69, v64
	v_lshl_or_b32 v64, v64, 4, v133
	ds_add_u32 v64, v117
	s_or_b64 exec, exec, s[16:17]
	v_cmp_lt_u32_e32 vcc, v14, v5
	s_and_saveexec_b64 s[16:17], vcc
	s_cbranch_execnz .LBB707_341
.LBB707_356:                            ;   in Loop: Header=BB707_310 Depth=2
	s_or_b64 exec, exec, s[16:17]
	v_cmp_lt_u32_e32 vcc, v16, v5
	s_and_saveexec_b64 s[16:17], vcc
	s_cbranch_execz .LBB707_342
.LBB707_357:                            ;   in Loop: Header=BB707_310 Depth=2
	v_xor_b32_e32 v65, 0x7fffffff, v47
	v_not_b32_e32 v64, v46
	v_lshrrev_b64 v[64:65], s33, v[64:65]
	v_and_b32_e32 v64, s69, v64
	v_lshl_or_b32 v64, v64, 4, v133
	ds_add_u32 v64, v117
	s_or_b64 exec, exec, s[16:17]
	v_cmp_lt_u32_e32 vcc, v18, v5
	s_and_saveexec_b64 s[16:17], vcc
	s_cbranch_execnz .LBB707_343
.LBB707_358:                            ;   in Loop: Header=BB707_310 Depth=2
	s_or_b64 exec, exec, s[16:17]
	v_cmp_lt_u32_e32 vcc, v20, v5
	s_and_saveexec_b64 s[16:17], vcc
	s_cbranch_execz .LBB707_344
.LBB707_359:                            ;   in Loop: Header=BB707_310 Depth=2
	v_xor_b32_e32 v65, 0x7fffffff, v43
	v_not_b32_e32 v64, v42
	v_lshrrev_b64 v[64:65], s33, v[64:65]
	v_and_b32_e32 v64, s69, v64
	v_lshl_or_b32 v64, v64, 4, v133
	ds_add_u32 v64, v117
	s_or_b64 exec, exec, s[16:17]
	v_cmp_lt_u32_e32 vcc, v22, v5
	s_and_saveexec_b64 s[16:17], vcc
	s_cbranch_execnz .LBB707_345
.LBB707_360:                            ;   in Loop: Header=BB707_310 Depth=2
	s_or_b64 exec, exec, s[16:17]
	v_cmp_lt_u32_e32 vcc, v24, v5
	s_and_saveexec_b64 s[16:17], vcc
	s_cbranch_execz .LBB707_346
.LBB707_361:                            ;   in Loop: Header=BB707_310 Depth=2
	v_xor_b32_e32 v65, 0x7fffffff, v39
	v_not_b32_e32 v64, v38
	v_lshrrev_b64 v[64:65], s33, v[64:65]
	v_and_b32_e32 v64, s69, v64
	v_lshl_or_b32 v64, v64, 4, v133
	ds_add_u32 v64, v117
	s_or_b64 exec, exec, s[16:17]
	v_cmp_lt_u32_e32 vcc, v26, v5
	s_and_saveexec_b64 s[16:17], vcc
	s_cbranch_execnz .LBB707_347
.LBB707_362:                            ;   in Loop: Header=BB707_310 Depth=2
	s_or_b64 exec, exec, s[16:17]
	v_cmp_lt_u32_e32 vcc, v28, v5
	s_and_saveexec_b64 s[16:17], vcc
	s_cbranch_execz .LBB707_348
.LBB707_363:                            ;   in Loop: Header=BB707_310 Depth=2
	v_xor_b32_e32 v65, 0x7fffffff, v35
	v_not_b32_e32 v64, v34
	v_lshrrev_b64 v[64:65], s33, v[64:65]
	v_and_b32_e32 v64, s69, v64
	v_lshl_or_b32 v64, v64, 4, v133
	ds_add_u32 v64, v117
	s_or_b64 exec, exec, s[16:17]
	v_cmp_lt_u32_e32 vcc, v30, v5
	s_and_saveexec_b64 s[16:17], vcc
	s_cbranch_execnz .LBB707_349
.LBB707_364:                            ;   in Loop: Header=BB707_310 Depth=2
	s_or_b64 exec, exec, s[16:17]
	v_cmp_lt_u32_e32 vcc, v32, v5
	s_and_saveexec_b64 s[16:17], vcc
	s_cbranch_execz .LBB707_309
.LBB707_365:                            ;   in Loop: Header=BB707_310 Depth=2
	s_waitcnt vmcnt(0)
	v_xor_b32_e32 v65, 0x7fffffff, v63
	v_not_b32_e32 v64, v62
	v_lshrrev_b64 v[64:65], s33, v[64:65]
	v_and_b32_e32 v5, s69, v64
	v_lshl_or_b32 v5, v5, 4, v133
	ds_add_u32 v5, v117
	s_branch .LBB707_309
.LBB707_366:                            ;   in Loop: Header=BB707_310 Depth=2
	s_or_b64 exec, exec, s[22:23]
	v_cmp_gt_u32_e32 vcc, s24, v7
	s_and_saveexec_b64 s[22:23], vcc
	s_cbranch_execz .LBB707_316
.LBB707_367:                            ;   in Loop: Header=BB707_310 Depth=2
	global_load_dwordx2 v[58:59], v118, s[20:21] offset:2048
	s_or_b64 exec, exec, s[22:23]
	v_cmp_gt_u32_e32 vcc, s24, v6
	s_and_saveexec_b64 s[22:23], vcc
	s_cbranch_execnz .LBB707_317
.LBB707_368:                            ;   in Loop: Header=BB707_310 Depth=2
	s_or_b64 exec, exec, s[22:23]
	v_cmp_gt_u32_e32 vcc, s24, v8
	s_and_saveexec_b64 s[22:23], vcc
	s_cbranch_execz .LBB707_318
.LBB707_369:                            ;   in Loop: Header=BB707_310 Depth=2
	global_load_dwordx2 v[54:55], v120, s[20:21]
	s_or_b64 exec, exec, s[22:23]
	v_cmp_gt_u32_e32 vcc, s24, v10
	s_and_saveexec_b64 s[22:23], vcc
	s_cbranch_execnz .LBB707_319
.LBB707_370:                            ;   in Loop: Header=BB707_310 Depth=2
	s_or_b64 exec, exec, s[22:23]
	v_cmp_gt_u32_e32 vcc, s24, v12
	s_and_saveexec_b64 s[22:23], vcc
	s_cbranch_execz .LBB707_320
.LBB707_371:                            ;   in Loop: Header=BB707_310 Depth=2
	global_load_dwordx2 v[50:51], v122, s[20:21]
	s_or_b64 exec, exec, s[22:23]
	v_cmp_gt_u32_e32 vcc, s24, v14
	s_and_saveexec_b64 s[22:23], vcc
	s_cbranch_execnz .LBB707_321
.LBB707_372:                            ;   in Loop: Header=BB707_310 Depth=2
	s_or_b64 exec, exec, s[22:23]
	v_cmp_gt_u32_e32 vcc, s24, v16
	s_and_saveexec_b64 s[22:23], vcc
	s_cbranch_execz .LBB707_322
.LBB707_373:                            ;   in Loop: Header=BB707_310 Depth=2
	global_load_dwordx2 v[46:47], v124, s[20:21]
	s_or_b64 exec, exec, s[22:23]
	v_cmp_gt_u32_e32 vcc, s24, v18
	s_and_saveexec_b64 s[22:23], vcc
	s_cbranch_execnz .LBB707_323
.LBB707_374:                            ;   in Loop: Header=BB707_310 Depth=2
	s_or_b64 exec, exec, s[22:23]
	v_cmp_gt_u32_e32 vcc, s24, v20
	s_and_saveexec_b64 s[22:23], vcc
	s_cbranch_execz .LBB707_324
.LBB707_375:                            ;   in Loop: Header=BB707_310 Depth=2
	global_load_dwordx2 v[42:43], v126, s[20:21]
	s_or_b64 exec, exec, s[22:23]
	v_cmp_gt_u32_e32 vcc, s24, v22
	s_and_saveexec_b64 s[22:23], vcc
	s_cbranch_execnz .LBB707_325
.LBB707_376:                            ;   in Loop: Header=BB707_310 Depth=2
	s_or_b64 exec, exec, s[22:23]
	v_cmp_gt_u32_e32 vcc, s24, v24
	s_and_saveexec_b64 s[22:23], vcc
	s_cbranch_execz .LBB707_326
.LBB707_377:                            ;   in Loop: Header=BB707_310 Depth=2
	global_load_dwordx2 v[38:39], v128, s[20:21]
	s_or_b64 exec, exec, s[22:23]
	v_cmp_gt_u32_e32 vcc, s24, v26
	s_and_saveexec_b64 s[22:23], vcc
	s_cbranch_execnz .LBB707_327
.LBB707_378:                            ;   in Loop: Header=BB707_310 Depth=2
	s_or_b64 exec, exec, s[22:23]
	v_cmp_gt_u32_e32 vcc, s24, v28
	s_and_saveexec_b64 s[22:23], vcc
	s_cbranch_execz .LBB707_328
.LBB707_379:                            ;   in Loop: Header=BB707_310 Depth=2
	global_load_dwordx2 v[34:35], v130, s[20:21]
	s_or_b64 exec, exec, s[22:23]
	v_cmp_gt_u32_e32 vcc, s24, v30
	s_and_saveexec_b64 s[22:23], vcc
	s_cbranch_execz .LBB707_330
	s_branch .LBB707_329
.LBB707_380:                            ;   in Loop: Header=BB707_12 Depth=1
	v_mov_b32_e32 v0, 0
	s_waitcnt lgkmcnt(0)
	s_barrier
	s_and_saveexec_b64 s[16:17], s[4:5]
	s_cbranch_execz .LBB707_382
; %bb.381:                              ;   in Loop: Header=BB707_12 Depth=1
	ds_read2_b64 v[34:37], v13 offset1:1
	s_waitcnt lgkmcnt(0)
	v_add_u32_e32 v0, v35, v34
	v_add3_u32 v0, v0, v36, v37
.LBB707_382:                            ;   in Loop: Header=BB707_12 Depth=1
	s_or_b64 exec, exec, s[16:17]
	s_nop 0
	v_mov_b32_dpp v1, v0 row_shr:1 row_mask:0xf bank_mask:0xf
	v_cmp_eq_u32_e64 s[16:17], 0, v135
	v_cndmask_b32_e64 v1, v1, 0, s[16:17]
	v_add_u32_e32 v0, v1, v0
	v_cmp_lt_u32_e64 s[18:19], 1, v135
	v_cmp_lt_u32_e64 s[20:21], 3, v135
	v_mov_b32_dpp v1, v0 row_shr:2 row_mask:0xf bank_mask:0xf
	v_cndmask_b32_e64 v1, 0, v1, s[18:19]
	v_add_u32_e32 v0, v0, v1
	v_cmp_lt_u32_e64 s[22:23], 7, v135
	v_cmp_lt_u32_e64 s[26:27], 31, v134
	v_mov_b32_dpp v1, v0 row_shr:4 row_mask:0xf bank_mask:0xf
	v_cndmask_b32_e64 v1, 0, v1, s[20:21]
	v_add_u32_e32 v0, v0, v1
	v_cmp_eq_u32_e64 s[24:25], 0, v137
	s_nop 0
	v_mov_b32_dpp v1, v0 row_shr:8 row_mask:0xf bank_mask:0xf
	v_cndmask_b32_e64 v1, 0, v1, s[22:23]
	v_add_u32_e32 v0, v0, v1
	s_nop 1
	v_mov_b32_dpp v1, v0 row_bcast:15 row_mask:0xf bank_mask:0xf
	v_and_b32_e32 v1, v136, v1
	v_add_u32_e32 v0, v0, v1
	s_nop 1
	v_mov_b32_dpp v1, v0 row_bcast:31 row_mask:0xf bank_mask:0xf
	v_cndmask_b32_e64 v1, 0, v1, s[26:27]
	v_add_u32_e32 v0, v0, v1
	s_and_saveexec_b64 s[28:29], s[6:7]
	s_cbranch_execz .LBB707_384
; %bb.383:                              ;   in Loop: Header=BB707_12 Depth=1
	ds_write_b32 v17, v0
.LBB707_384:                            ;   in Loop: Header=BB707_12 Depth=1
	s_or_b64 exec, exec, s[28:29]
	s_waitcnt lgkmcnt(0)
	s_barrier
	s_and_saveexec_b64 s[28:29], s[8:9]
	s_cbranch_execz .LBB707_386
; %bb.385:                              ;   in Loop: Header=BB707_12 Depth=1
	ds_read_b32 v1, v19
	v_cmp_ne_u32_e32 vcc, 0, v138
	s_waitcnt lgkmcnt(0)
	v_mov_b32_dpp v5, v1 row_shr:1 row_mask:0xf bank_mask:0xf
	v_cndmask_b32_e32 v5, 0, v5, vcc
	v_add_u32_e32 v1, v5, v1
	v_cmp_lt_u32_e32 vcc, 1, v138
	s_nop 0
	v_mov_b32_dpp v5, v1 row_shr:2 row_mask:0xf bank_mask:0xf
	v_cndmask_b32_e32 v5, 0, v5, vcc
	v_add_u32_e32 v1, v1, v5
	ds_write_b32 v19, v1
.LBB707_386:                            ;   in Loop: Header=BB707_12 Depth=1
	s_or_b64 exec, exec, s[28:29]
	v_mov_b32_e32 v1, 0
	s_waitcnt lgkmcnt(0)
	s_barrier
	s_and_saveexec_b64 s[28:29], s[10:11]
	s_cbranch_execz .LBB707_388
; %bb.387:                              ;   in Loop: Header=BB707_12 Depth=1
	ds_read_b32 v1, v21
.LBB707_388:                            ;   in Loop: Header=BB707_12 Depth=1
	s_or_b64 exec, exec, s[28:29]
	v_cmp_lt_i32_e32 vcc, v139, v140
	v_cndmask_b32_e32 v5, v139, v134, vcc
	s_waitcnt lgkmcnt(0)
	v_add_u32_e32 v0, v1, v0
	v_lshlrev_b32_e32 v158, 2, v5
	ds_bpermute_b32 v0, v158, v0
	v_cmp_eq_u32_e64 s[28:29], 0, v134
	s_waitcnt lgkmcnt(0)
	s_barrier
	s_and_saveexec_b64 s[30:31], s[4:5]
	s_cbranch_execz .LBB707_390
; %bb.389:                              ;   in Loop: Header=BB707_12 Depth=1
	v_cndmask_b32_e64 v0, v0, v1, s[28:29]
	v_add_u32_e32 v0, s38, v0
	ds_write_b32 v3, v0
.LBB707_390:                            ;   in Loop: Header=BB707_12 Depth=1
	s_or_b64 exec, exec, s[30:31]
	s_load_dwordx2 s[30:31], s[90:91], 0x0
	v_readlane_b32 s34, v235, 1
	v_add_co_u32_e32 v159, vcc, v107, v141
	v_addc_co_u32_e32 v160, vcc, 0, v108, vcc
	s_waitcnt lgkmcnt(0)
	s_cmp_lt_u32 s34, s30
	v_readlane_b32 s30, v235, 0
	s_cselect_b32 s34, 12, 18
	s_cmp_lt_u32 s30, s31
	s_cselect_b32 s30, 14, 20
	s_add_u32 s30, s90, s30
	s_addc_u32 s31, s91, 0
	s_add_u32 s34, s90, s34
	global_load_ushort v5, v4, s[30:31]
	s_addc_u32 s35, s91, 0
	global_load_ushort v64, v4, s[34:35]
	v_add_co_u32_e32 v161, vcc, v109, v141
	v_addc_co_u32_e32 v162, vcc, 0, v110, vcc
	v_add_co_u32_e32 v176, vcc, 0x1e00, v161
	v_cmp_eq_u32_e64 s[30:31], 0, v138
	v_cmp_lt_u32_e64 s[34:35], 1, v138
	s_mov_b32 s86, s85
	v_addc_co_u32_e32 v179, vcc, 0, v162, vcc
	s_mov_b32 s78, s38
                                        ; implicit-def: $vgpr0_vgpr1
                                        ; implicit-def: $vgpr34_vgpr35
                                        ; implicit-def: $vgpr36_vgpr37
                                        ; implicit-def: $vgpr40_vgpr41
                                        ; implicit-def: $vgpr44_vgpr45
                                        ; implicit-def: $vgpr48_vgpr49
                                        ; implicit-def: $vgpr52_vgpr53
                                        ; implicit-def: $vgpr56_vgpr57
                                        ; implicit-def: $vgpr38_vgpr39
                                        ; implicit-def: $vgpr42_vgpr43
                                        ; implicit-def: $vgpr46_vgpr47
                                        ; implicit-def: $vgpr50_vgpr51
                                        ; implicit-def: $vgpr54_vgpr55
                                        ; implicit-def: $vgpr58_vgpr59
                                        ; implicit-def: $vgpr60_vgpr61
                                        ; implicit-def: $vgpr62_vgpr63
                                        ; implicit-def: $vgpr163
                                        ; implicit-def: $vgpr164
                                        ; implicit-def: $vgpr165
                                        ; implicit-def: $vgpr166
                                        ; implicit-def: $vgpr167
                                        ; implicit-def: $vgpr168
                                        ; implicit-def: $vgpr169
                                        ; implicit-def: $vgpr170
                                        ; implicit-def: $vgpr171
                                        ; implicit-def: $vgpr172
                                        ; implicit-def: $vgpr173
                                        ; implicit-def: $vgpr174
                                        ; implicit-def: $vgpr175
                                        ; implicit-def: $vgpr177
                                        ; implicit-def: $vgpr178
                                        ; implicit-def: $vgpr180
	s_waitcnt vmcnt(1)
	v_mad_u32_u24 v5, v23, v5, v25
	s_waitcnt vmcnt(0)
	v_mad_u64_u32 v[64:65], s[36:37], v5, v64, v[2:3]
	v_lshrrev_b32_e32 v181, 6, v64
	s_branch .LBB707_392
.LBB707_391:                            ;   in Loop: Header=BB707_392 Depth=2
	s_or_b64 exec, exec, s[36:37]
	s_addk_i32 s86, 0xf000
	s_cmp_lt_u32 s87, s94
	s_mov_b32 s78, s87
	s_cbranch_scc0 .LBB707_600
.LBB707_392:                            ;   Parent Loop BB707_12 Depth=1
                                        ; =>  This Inner Loop Header: Depth=2
	s_add_i32 s87, s78, 0x1000
	s_cmp_gt_u32 s87, s94
	s_cbranch_scc1 .LBB707_394
; %bb.393:                              ;   in Loop: Header=BB707_392 Depth=2
	s_mov_b32 s79, s88
	s_lshl_b64 s[36:37], s[78:79], 3
	v_mov_b32_e32 v5, s37
	v_add_co_u32_e32 v68, vcc, s36, v161
	v_addc_co_u32_e32 v69, vcc, v162, v5, vcc
	global_load_dwordx2 v[64:65], v[68:69], off
	global_load_dwordx2 v[66:67], v[68:69], off offset:512
	global_load_dwordx2 v[74:75], v[68:69], off offset:1024
	;; [unrolled: 1-line block ×7, first 2 shown]
	v_add_co_u32_e32 v68, vcc, 0x1000, v68
	v_addc_co_u32_e32 v69, vcc, 0, v69, vcc
	global_load_dwordx2 v[92:93], v[68:69], off
	global_load_dwordx2 v[88:89], v[68:69], off offset:512
	global_load_dwordx2 v[84:85], v[68:69], off offset:1024
	;; [unrolled: 1-line block ×5, first 2 shown]
	s_nop 0
	global_load_dwordx2 v[68:69], v[68:69], off offset:3072
	s_movk_i32 s40, 0x1000
	s_mov_b64 s[36:37], -1
	s_cbranch_execz .LBB707_395
	s_branch .LBB707_426
.LBB707_394:                            ;   in Loop: Header=BB707_392 Depth=2
	s_mov_b64 s[36:37], 0
                                        ; implicit-def: $sgpr40
                                        ; implicit-def: $vgpr64_vgpr65
                                        ; implicit-def: $vgpr66_vgpr67
                                        ; implicit-def: $vgpr74_vgpr75
                                        ; implicit-def: $vgpr78_vgpr79
                                        ; implicit-def: $vgpr82_vgpr83
                                        ; implicit-def: $vgpr86_vgpr87
                                        ; implicit-def: $vgpr90_vgpr91
                                        ; implicit-def: $vgpr94_vgpr95
                                        ; implicit-def: $vgpr92_vgpr93
                                        ; implicit-def: $vgpr88_vgpr89
                                        ; implicit-def: $vgpr84_vgpr85
                                        ; implicit-def: $vgpr80_vgpr81
                                        ; implicit-def: $vgpr76_vgpr77
                                        ; implicit-def: $vgpr72_vgpr73
                                        ; implicit-def: $vgpr68_vgpr69
.LBB707_395:                            ;   in Loop: Header=BB707_392 Depth=2
	s_mov_b32 s79, s88
	s_lshl_b64 s[36:37], s[78:79], 3
	v_mov_b32_e32 v5, s37
	v_add_co_u32_e32 v70, vcc, s36, v161
	v_addc_co_u32_e32 v71, vcc, v162, v5, vcc
	v_cmp_gt_u32_e32 vcc, s86, v142
	s_waitcnt vmcnt(14)
	v_pk_mov_b32 v[64:65], s[88:89], s[88:89] op_sel:[0,1]
	s_and_saveexec_b64 s[36:37], vcc
	s_cbranch_execz .LBB707_397
; %bb.396:                              ;   in Loop: Header=BB707_392 Depth=2
	global_load_dwordx2 v[64:65], v[70:71], off
.LBB707_397:                            ;   in Loop: Header=BB707_392 Depth=2
	s_or_b64 exec, exec, s[36:37]
	v_cmp_gt_u32_e32 vcc, s86, v143
	s_waitcnt vmcnt(13)
	v_pk_mov_b32 v[66:67], s[88:89], s[88:89] op_sel:[0,1]
	s_and_saveexec_b64 s[36:37], vcc
	s_cbranch_execz .LBB707_399
; %bb.398:                              ;   in Loop: Header=BB707_392 Depth=2
	global_load_dwordx2 v[66:67], v[70:71], off offset:512
.LBB707_399:                            ;   in Loop: Header=BB707_392 Depth=2
	s_or_b64 exec, exec, s[36:37]
	v_cmp_gt_u32_e32 vcc, s86, v144
	s_waitcnt vmcnt(12)
	v_pk_mov_b32 v[74:75], s[88:89], s[88:89] op_sel:[0,1]
	s_and_saveexec_b64 s[36:37], vcc
	s_cbranch_execz .LBB707_401
; %bb.400:                              ;   in Loop: Header=BB707_392 Depth=2
	global_load_dwordx2 v[74:75], v[70:71], off offset:1024
.LBB707_401:                            ;   in Loop: Header=BB707_392 Depth=2
	;; [unrolled: 9-line block ×7, first 2 shown]
	s_or_b64 exec, exec, s[36:37]
	v_cmp_gt_u32_e32 vcc, s86, v150
	s_waitcnt vmcnt(6)
	v_pk_mov_b32 v[92:93], s[88:89], s[88:89] op_sel:[0,1]
	s_and_saveexec_b64 s[36:37], vcc
	s_cbranch_execz .LBB707_413
; %bb.412:                              ;   in Loop: Header=BB707_392 Depth=2
	s_waitcnt vmcnt(0)
	v_add_co_u32_e32 v68, vcc, 0x1000, v70
	v_addc_co_u32_e32 v69, vcc, 0, v71, vcc
	global_load_dwordx2 v[92:93], v[68:69], off
.LBB707_413:                            ;   in Loop: Header=BB707_392 Depth=2
	s_or_b64 exec, exec, s[36:37]
	v_cmp_gt_u32_e32 vcc, s86, v151
	s_waitcnt vmcnt(5)
	v_pk_mov_b32 v[88:89], s[88:89], s[88:89] op_sel:[0,1]
	s_and_saveexec_b64 s[36:37], vcc
	s_cbranch_execz .LBB707_415
; %bb.414:                              ;   in Loop: Header=BB707_392 Depth=2
	s_waitcnt vmcnt(0)
	v_add_co_u32_e32 v68, vcc, 0x1000, v70
	v_addc_co_u32_e32 v69, vcc, 0, v71, vcc
	global_load_dwordx2 v[88:89], v[68:69], off offset:512
.LBB707_415:                            ;   in Loop: Header=BB707_392 Depth=2
	s_or_b64 exec, exec, s[36:37]
	v_cmp_gt_u32_e32 vcc, s86, v152
	s_waitcnt vmcnt(4)
	v_pk_mov_b32 v[84:85], s[88:89], s[88:89] op_sel:[0,1]
	s_and_saveexec_b64 s[36:37], vcc
	s_cbranch_execz .LBB707_417
; %bb.416:                              ;   in Loop: Header=BB707_392 Depth=2
	s_waitcnt vmcnt(0)
	v_add_co_u32_e32 v68, vcc, 0x1000, v70
	v_addc_co_u32_e32 v69, vcc, 0, v71, vcc
	global_load_dwordx2 v[84:85], v[68:69], off offset:1024
.LBB707_417:                            ;   in Loop: Header=BB707_392 Depth=2
	;; [unrolled: 12-line block ×5, first 2 shown]
	s_or_b64 exec, exec, s[36:37]
	v_cmp_gt_u32_e32 vcc, s86, v156
	s_waitcnt vmcnt(0)
	v_pk_mov_b32 v[68:69], s[88:89], s[88:89] op_sel:[0,1]
	s_and_saveexec_b64 s[36:37], vcc
	s_cbranch_execz .LBB707_425
; %bb.424:                              ;   in Loop: Header=BB707_392 Depth=2
	v_add_co_u32_e32 v68, vcc, 0x1000, v70
	v_addc_co_u32_e32 v69, vcc, 0, v71, vcc
	global_load_dwordx2 v[68:69], v[68:69], off offset:3072
.LBB707_425:                            ;   in Loop: Header=BB707_392 Depth=2
	s_or_b64 exec, exec, s[36:37]
	s_sub_i32 s40, s94, s78
	v_cmp_gt_u32_e64 s[36:37], s86, v157
.LBB707_426:                            ;   in Loop: Header=BB707_392 Depth=2
	v_pk_mov_b32 v[70:71], s[88:89], s[88:89] op_sel:[0,1]
	v_mov_b32_e32 v182, s86
	s_and_saveexec_b64 s[38:39], s[36:37]
	s_cbranch_execz .LBB707_428
; %bb.427:                              ;   in Loop: Header=BB707_392 Depth=2
	s_lshl_b64 s[36:37], s[78:79], 3
	v_mov_b32_e32 v5, s37
	v_add_co_u32_e32 v70, vcc, s36, v176
	v_addc_co_u32_e32 v71, vcc, v179, v5, vcc
	global_load_dwordx2 v[70:71], v[70:71], off
	v_mov_b32_e32 v182, s40
.LBB707_428:                            ;   in Loop: Header=BB707_392 Depth=2
	s_or_b64 exec, exec, s[38:39]
	s_waitcnt vmcnt(14)
	v_xor_b32_e32 v65, 0x7fffffff, v65
	v_not_b32_e32 v64, v64
	v_lshrrev_b64 v[96:97], s33, v[64:65]
	v_add_u32_e32 v5, 0x410, v27
	v_and_b32_e32 v96, s69, v96
	ds_write2_b32 v5, v4, v4 offset1:1
	ds_write2_b32 v31, v4, v4 offset0:2 offset1:3
	ds_write_b32 v31, v4 offset:16
	v_mad_u32_u24 v5, v96, 5, v181
	v_lshl_add_u32 v183, v5, 2, v29
	v_and_b32_e32 v5, 1, v96
	v_add_co_u32_e32 v97, vcc, -1, v5
	v_addc_co_u32_e64 v98, s[36:37], 0, -1, vcc
	v_cmp_ne_u32_e32 vcc, 0, v5
	v_xor_b32_e32 v5, vcc_hi, v98
	v_and_b32_e32 v98, exec_hi, v5
	v_lshlrev_b32_e32 v5, 30, v96
	v_xor_b32_e32 v97, vcc_lo, v97
	v_cmp_gt_i64_e32 vcc, 0, v[4:5]
	v_not_b32_e32 v5, v5
	v_ashrrev_i32_e32 v5, 31, v5
	v_and_b32_e32 v97, exec_lo, v97
	v_xor_b32_e32 v99, vcc_hi, v5
	v_xor_b32_e32 v5, vcc_lo, v5
	v_and_b32_e32 v97, v97, v5
	v_lshlrev_b32_e32 v5, 29, v96
	v_cmp_gt_i64_e32 vcc, 0, v[4:5]
	v_not_b32_e32 v5, v5
	v_ashrrev_i32_e32 v5, 31, v5
	v_and_b32_e32 v98, v98, v99
	v_xor_b32_e32 v99, vcc_hi, v5
	v_xor_b32_e32 v5, vcc_lo, v5
	v_and_b32_e32 v97, v97, v5
	v_lshlrev_b32_e32 v5, 28, v96
	v_cmp_gt_i64_e32 vcc, 0, v[4:5]
	v_not_b32_e32 v5, v5
	v_ashrrev_i32_e32 v5, 31, v5
	v_and_b32_e32 v98, v98, v99
	;; [unrolled: 8-line block ×5, first 2 shown]
	v_xor_b32_e32 v99, vcc_hi, v5
	v_xor_b32_e32 v5, vcc_lo, v5
	v_and_b32_e32 v98, v98, v99
	v_and_b32_e32 v99, v97, v5
	v_lshlrev_b32_e32 v5, 24, v96
	v_cmp_gt_i64_e32 vcc, 0, v[4:5]
	v_not_b32_e32 v5, v5
	v_ashrrev_i32_e32 v5, 31, v5
	v_xor_b32_e32 v96, vcc_hi, v5
	v_xor_b32_e32 v5, vcc_lo, v5
	v_and_b32_e32 v97, v98, v96
	v_and_b32_e32 v96, v99, v5
	v_mbcnt_lo_u32_b32 v5, v96, 0
	v_mbcnt_hi_u32_b32 v184, v97, v5
	v_cmp_eq_u32_e32 vcc, 0, v184
	v_cmp_ne_u64_e64 s[36:37], 0, v[96:97]
	s_and_b64 s[38:39], s[36:37], vcc
	s_waitcnt lgkmcnt(0)
	s_barrier
	s_waitcnt lgkmcnt(0)
	; wave barrier
	s_and_saveexec_b64 s[36:37], s[38:39]
	s_cbranch_execz .LBB707_430
; %bb.429:                              ;   in Loop: Header=BB707_392 Depth=2
	v_bcnt_u32_b32 v5, v96, 0
	v_bcnt_u32_b32 v5, v97, v5
	ds_write_b32 v183, v5
.LBB707_430:                            ;   in Loop: Header=BB707_392 Depth=2
	s_or_b64 exec, exec, s[36:37]
	s_waitcnt vmcnt(13)
	v_xor_b32_e32 v67, 0x7fffffff, v67
	v_not_b32_e32 v66, v66
	v_lshrrev_b64 v[96:97], s33, v[66:67]
	v_and_b32_e32 v96, s69, v96
	v_mul_u32_u24_e32 v5, 5, v96
	v_add_lshl_u32 v5, v5, v181, 2
	; wave barrier
	v_add_u32_e32 v186, 0x410, v5
	ds_read_b32 v185, v5 offset:1040
	v_and_b32_e32 v5, 1, v96
	v_add_co_u32_e32 v97, vcc, -1, v5
	v_addc_co_u32_e64 v98, s[36:37], 0, -1, vcc
	v_cmp_ne_u32_e32 vcc, 0, v5
	v_xor_b32_e32 v5, vcc_hi, v98
	v_and_b32_e32 v98, exec_hi, v5
	v_lshlrev_b32_e32 v5, 30, v96
	v_xor_b32_e32 v97, vcc_lo, v97
	v_cmp_gt_i64_e32 vcc, 0, v[4:5]
	v_not_b32_e32 v5, v5
	v_ashrrev_i32_e32 v5, 31, v5
	v_and_b32_e32 v97, exec_lo, v97
	v_xor_b32_e32 v99, vcc_hi, v5
	v_xor_b32_e32 v5, vcc_lo, v5
	v_and_b32_e32 v97, v97, v5
	v_lshlrev_b32_e32 v5, 29, v96
	v_cmp_gt_i64_e32 vcc, 0, v[4:5]
	v_not_b32_e32 v5, v5
	v_ashrrev_i32_e32 v5, 31, v5
	v_and_b32_e32 v98, v98, v99
	v_xor_b32_e32 v99, vcc_hi, v5
	v_xor_b32_e32 v5, vcc_lo, v5
	v_and_b32_e32 v97, v97, v5
	v_lshlrev_b32_e32 v5, 28, v96
	v_cmp_gt_i64_e32 vcc, 0, v[4:5]
	v_not_b32_e32 v5, v5
	v_ashrrev_i32_e32 v5, 31, v5
	v_and_b32_e32 v98, v98, v99
	;; [unrolled: 8-line block ×5, first 2 shown]
	v_xor_b32_e32 v99, vcc_hi, v5
	v_xor_b32_e32 v5, vcc_lo, v5
	v_and_b32_e32 v98, v98, v99
	v_and_b32_e32 v99, v97, v5
	v_lshlrev_b32_e32 v5, 24, v96
	v_cmp_gt_i64_e32 vcc, 0, v[4:5]
	v_not_b32_e32 v5, v5
	v_ashrrev_i32_e32 v5, 31, v5
	v_xor_b32_e32 v96, vcc_hi, v5
	v_xor_b32_e32 v5, vcc_lo, v5
	v_and_b32_e32 v97, v98, v96
	v_and_b32_e32 v96, v99, v5
	v_mbcnt_lo_u32_b32 v5, v96, 0
	v_mbcnt_hi_u32_b32 v187, v97, v5
	v_cmp_eq_u32_e32 vcc, 0, v187
	v_cmp_ne_u64_e64 s[36:37], 0, v[96:97]
	s_and_b64 s[38:39], s[36:37], vcc
	; wave barrier
	s_and_saveexec_b64 s[36:37], s[38:39]
	s_cbranch_execz .LBB707_432
; %bb.431:                              ;   in Loop: Header=BB707_392 Depth=2
	v_bcnt_u32_b32 v5, v96, 0
	v_bcnt_u32_b32 v5, v97, v5
	s_waitcnt lgkmcnt(0)
	v_add_u32_e32 v5, v185, v5
	ds_write_b32 v186, v5
.LBB707_432:                            ;   in Loop: Header=BB707_392 Depth=2
	s_or_b64 exec, exec, s[36:37]
	s_waitcnt vmcnt(12)
	v_xor_b32_e32 v75, 0x7fffffff, v75
	v_not_b32_e32 v74, v74
	v_lshrrev_b64 v[96:97], s33, v[74:75]
	v_and_b32_e32 v96, s69, v96
	v_mul_u32_u24_e32 v5, 5, v96
	v_add_lshl_u32 v5, v5, v181, 2
	; wave barrier
	v_add_u32_e32 v189, 0x410, v5
	ds_read_b32 v188, v5 offset:1040
	v_and_b32_e32 v5, 1, v96
	v_add_co_u32_e32 v97, vcc, -1, v5
	v_addc_co_u32_e64 v98, s[36:37], 0, -1, vcc
	v_cmp_ne_u32_e32 vcc, 0, v5
	v_xor_b32_e32 v5, vcc_hi, v98
	v_and_b32_e32 v98, exec_hi, v5
	v_lshlrev_b32_e32 v5, 30, v96
	v_xor_b32_e32 v97, vcc_lo, v97
	v_cmp_gt_i64_e32 vcc, 0, v[4:5]
	v_not_b32_e32 v5, v5
	v_ashrrev_i32_e32 v5, 31, v5
	v_and_b32_e32 v97, exec_lo, v97
	v_xor_b32_e32 v99, vcc_hi, v5
	v_xor_b32_e32 v5, vcc_lo, v5
	v_and_b32_e32 v97, v97, v5
	v_lshlrev_b32_e32 v5, 29, v96
	v_cmp_gt_i64_e32 vcc, 0, v[4:5]
	v_not_b32_e32 v5, v5
	v_ashrrev_i32_e32 v5, 31, v5
	v_and_b32_e32 v98, v98, v99
	v_xor_b32_e32 v99, vcc_hi, v5
	v_xor_b32_e32 v5, vcc_lo, v5
	v_and_b32_e32 v97, v97, v5
	v_lshlrev_b32_e32 v5, 28, v96
	v_cmp_gt_i64_e32 vcc, 0, v[4:5]
	v_not_b32_e32 v5, v5
	v_ashrrev_i32_e32 v5, 31, v5
	v_and_b32_e32 v98, v98, v99
	;; [unrolled: 8-line block ×5, first 2 shown]
	v_xor_b32_e32 v99, vcc_hi, v5
	v_xor_b32_e32 v5, vcc_lo, v5
	v_and_b32_e32 v98, v98, v99
	v_and_b32_e32 v99, v97, v5
	v_lshlrev_b32_e32 v5, 24, v96
	v_cmp_gt_i64_e32 vcc, 0, v[4:5]
	v_not_b32_e32 v5, v5
	v_ashrrev_i32_e32 v5, 31, v5
	v_xor_b32_e32 v96, vcc_hi, v5
	v_xor_b32_e32 v5, vcc_lo, v5
	v_and_b32_e32 v97, v98, v96
	v_and_b32_e32 v96, v99, v5
	v_mbcnt_lo_u32_b32 v5, v96, 0
	v_mbcnt_hi_u32_b32 v190, v97, v5
	v_cmp_eq_u32_e32 vcc, 0, v190
	v_cmp_ne_u64_e64 s[36:37], 0, v[96:97]
	s_and_b64 s[38:39], s[36:37], vcc
	; wave barrier
	s_and_saveexec_b64 s[36:37], s[38:39]
	s_cbranch_execz .LBB707_434
; %bb.433:                              ;   in Loop: Header=BB707_392 Depth=2
	v_bcnt_u32_b32 v5, v96, 0
	v_bcnt_u32_b32 v5, v97, v5
	s_waitcnt lgkmcnt(0)
	v_add_u32_e32 v5, v188, v5
	ds_write_b32 v189, v5
.LBB707_434:                            ;   in Loop: Header=BB707_392 Depth=2
	s_or_b64 exec, exec, s[36:37]
	s_waitcnt vmcnt(11)
	v_xor_b32_e32 v79, 0x7fffffff, v79
	v_not_b32_e32 v78, v78
	v_lshrrev_b64 v[96:97], s33, v[78:79]
	v_and_b32_e32 v96, s69, v96
	v_mul_u32_u24_e32 v5, 5, v96
	v_add_lshl_u32 v5, v5, v181, 2
	; wave barrier
	v_add_u32_e32 v192, 0x410, v5
	ds_read_b32 v191, v5 offset:1040
	v_and_b32_e32 v5, 1, v96
	v_add_co_u32_e32 v97, vcc, -1, v5
	v_addc_co_u32_e64 v98, s[36:37], 0, -1, vcc
	v_cmp_ne_u32_e32 vcc, 0, v5
	v_xor_b32_e32 v5, vcc_hi, v98
	v_and_b32_e32 v98, exec_hi, v5
	v_lshlrev_b32_e32 v5, 30, v96
	v_xor_b32_e32 v97, vcc_lo, v97
	v_cmp_gt_i64_e32 vcc, 0, v[4:5]
	v_not_b32_e32 v5, v5
	v_ashrrev_i32_e32 v5, 31, v5
	v_and_b32_e32 v97, exec_lo, v97
	v_xor_b32_e32 v99, vcc_hi, v5
	v_xor_b32_e32 v5, vcc_lo, v5
	v_and_b32_e32 v97, v97, v5
	v_lshlrev_b32_e32 v5, 29, v96
	v_cmp_gt_i64_e32 vcc, 0, v[4:5]
	v_not_b32_e32 v5, v5
	v_ashrrev_i32_e32 v5, 31, v5
	v_and_b32_e32 v98, v98, v99
	v_xor_b32_e32 v99, vcc_hi, v5
	v_xor_b32_e32 v5, vcc_lo, v5
	v_and_b32_e32 v97, v97, v5
	v_lshlrev_b32_e32 v5, 28, v96
	v_cmp_gt_i64_e32 vcc, 0, v[4:5]
	v_not_b32_e32 v5, v5
	v_ashrrev_i32_e32 v5, 31, v5
	v_and_b32_e32 v98, v98, v99
	;; [unrolled: 8-line block ×5, first 2 shown]
	v_xor_b32_e32 v99, vcc_hi, v5
	v_xor_b32_e32 v5, vcc_lo, v5
	v_and_b32_e32 v98, v98, v99
	v_and_b32_e32 v99, v97, v5
	v_lshlrev_b32_e32 v5, 24, v96
	v_cmp_gt_i64_e32 vcc, 0, v[4:5]
	v_not_b32_e32 v5, v5
	v_ashrrev_i32_e32 v5, 31, v5
	v_xor_b32_e32 v96, vcc_hi, v5
	v_xor_b32_e32 v5, vcc_lo, v5
	v_and_b32_e32 v97, v98, v96
	v_and_b32_e32 v96, v99, v5
	v_mbcnt_lo_u32_b32 v5, v96, 0
	v_mbcnt_hi_u32_b32 v193, v97, v5
	v_cmp_eq_u32_e32 vcc, 0, v193
	v_cmp_ne_u64_e64 s[36:37], 0, v[96:97]
	s_and_b64 s[38:39], s[36:37], vcc
	; wave barrier
	s_and_saveexec_b64 s[36:37], s[38:39]
	s_cbranch_execz .LBB707_436
; %bb.435:                              ;   in Loop: Header=BB707_392 Depth=2
	v_bcnt_u32_b32 v5, v96, 0
	v_bcnt_u32_b32 v5, v97, v5
	s_waitcnt lgkmcnt(0)
	v_add_u32_e32 v5, v191, v5
	ds_write_b32 v192, v5
.LBB707_436:                            ;   in Loop: Header=BB707_392 Depth=2
	s_or_b64 exec, exec, s[36:37]
	s_waitcnt vmcnt(10)
	v_xor_b32_e32 v83, 0x7fffffff, v83
	v_not_b32_e32 v82, v82
	v_lshrrev_b64 v[96:97], s33, v[82:83]
	v_and_b32_e32 v96, s69, v96
	v_mul_u32_u24_e32 v5, 5, v96
	v_add_lshl_u32 v5, v5, v181, 2
	; wave barrier
	v_add_u32_e32 v195, 0x410, v5
	ds_read_b32 v194, v5 offset:1040
	v_and_b32_e32 v5, 1, v96
	v_add_co_u32_e32 v97, vcc, -1, v5
	v_addc_co_u32_e64 v98, s[36:37], 0, -1, vcc
	v_cmp_ne_u32_e32 vcc, 0, v5
	v_xor_b32_e32 v5, vcc_hi, v98
	v_and_b32_e32 v98, exec_hi, v5
	v_lshlrev_b32_e32 v5, 30, v96
	v_xor_b32_e32 v97, vcc_lo, v97
	v_cmp_gt_i64_e32 vcc, 0, v[4:5]
	v_not_b32_e32 v5, v5
	v_ashrrev_i32_e32 v5, 31, v5
	v_and_b32_e32 v97, exec_lo, v97
	v_xor_b32_e32 v99, vcc_hi, v5
	v_xor_b32_e32 v5, vcc_lo, v5
	v_and_b32_e32 v97, v97, v5
	v_lshlrev_b32_e32 v5, 29, v96
	v_cmp_gt_i64_e32 vcc, 0, v[4:5]
	v_not_b32_e32 v5, v5
	v_ashrrev_i32_e32 v5, 31, v5
	v_and_b32_e32 v98, v98, v99
	v_xor_b32_e32 v99, vcc_hi, v5
	v_xor_b32_e32 v5, vcc_lo, v5
	v_and_b32_e32 v97, v97, v5
	v_lshlrev_b32_e32 v5, 28, v96
	v_cmp_gt_i64_e32 vcc, 0, v[4:5]
	v_not_b32_e32 v5, v5
	v_ashrrev_i32_e32 v5, 31, v5
	v_and_b32_e32 v98, v98, v99
	;; [unrolled: 8-line block ×5, first 2 shown]
	v_xor_b32_e32 v99, vcc_hi, v5
	v_xor_b32_e32 v5, vcc_lo, v5
	v_and_b32_e32 v98, v98, v99
	v_and_b32_e32 v99, v97, v5
	v_lshlrev_b32_e32 v5, 24, v96
	v_cmp_gt_i64_e32 vcc, 0, v[4:5]
	v_not_b32_e32 v5, v5
	v_ashrrev_i32_e32 v5, 31, v5
	v_xor_b32_e32 v96, vcc_hi, v5
	v_xor_b32_e32 v5, vcc_lo, v5
	v_and_b32_e32 v97, v98, v96
	v_and_b32_e32 v96, v99, v5
	v_mbcnt_lo_u32_b32 v5, v96, 0
	v_mbcnt_hi_u32_b32 v196, v97, v5
	v_cmp_eq_u32_e32 vcc, 0, v196
	v_cmp_ne_u64_e64 s[36:37], 0, v[96:97]
	s_and_b64 s[38:39], s[36:37], vcc
	; wave barrier
	s_and_saveexec_b64 s[36:37], s[38:39]
	s_cbranch_execz .LBB707_438
; %bb.437:                              ;   in Loop: Header=BB707_392 Depth=2
	v_bcnt_u32_b32 v5, v96, 0
	v_bcnt_u32_b32 v5, v97, v5
	s_waitcnt lgkmcnt(0)
	v_add_u32_e32 v5, v194, v5
	ds_write_b32 v195, v5
.LBB707_438:                            ;   in Loop: Header=BB707_392 Depth=2
	s_or_b64 exec, exec, s[36:37]
	s_waitcnt vmcnt(9)
	v_xor_b32_e32 v87, 0x7fffffff, v87
	v_not_b32_e32 v86, v86
	v_lshrrev_b64 v[96:97], s33, v[86:87]
	v_and_b32_e32 v96, s69, v96
	v_mul_u32_u24_e32 v5, 5, v96
	v_add_lshl_u32 v5, v5, v181, 2
	; wave barrier
	v_add_u32_e32 v198, 0x410, v5
	ds_read_b32 v197, v5 offset:1040
	v_and_b32_e32 v5, 1, v96
	v_add_co_u32_e32 v97, vcc, -1, v5
	v_addc_co_u32_e64 v98, s[36:37], 0, -1, vcc
	v_cmp_ne_u32_e32 vcc, 0, v5
	v_xor_b32_e32 v5, vcc_hi, v98
	v_and_b32_e32 v98, exec_hi, v5
	v_lshlrev_b32_e32 v5, 30, v96
	v_xor_b32_e32 v97, vcc_lo, v97
	v_cmp_gt_i64_e32 vcc, 0, v[4:5]
	v_not_b32_e32 v5, v5
	v_ashrrev_i32_e32 v5, 31, v5
	v_and_b32_e32 v97, exec_lo, v97
	v_xor_b32_e32 v99, vcc_hi, v5
	v_xor_b32_e32 v5, vcc_lo, v5
	v_and_b32_e32 v97, v97, v5
	v_lshlrev_b32_e32 v5, 29, v96
	v_cmp_gt_i64_e32 vcc, 0, v[4:5]
	v_not_b32_e32 v5, v5
	v_ashrrev_i32_e32 v5, 31, v5
	v_and_b32_e32 v98, v98, v99
	v_xor_b32_e32 v99, vcc_hi, v5
	v_xor_b32_e32 v5, vcc_lo, v5
	v_and_b32_e32 v97, v97, v5
	v_lshlrev_b32_e32 v5, 28, v96
	v_cmp_gt_i64_e32 vcc, 0, v[4:5]
	v_not_b32_e32 v5, v5
	v_ashrrev_i32_e32 v5, 31, v5
	v_and_b32_e32 v98, v98, v99
	;; [unrolled: 8-line block ×5, first 2 shown]
	v_xor_b32_e32 v99, vcc_hi, v5
	v_xor_b32_e32 v5, vcc_lo, v5
	v_and_b32_e32 v98, v98, v99
	v_and_b32_e32 v99, v97, v5
	v_lshlrev_b32_e32 v5, 24, v96
	v_cmp_gt_i64_e32 vcc, 0, v[4:5]
	v_not_b32_e32 v5, v5
	v_ashrrev_i32_e32 v5, 31, v5
	v_xor_b32_e32 v96, vcc_hi, v5
	v_xor_b32_e32 v5, vcc_lo, v5
	v_and_b32_e32 v97, v98, v96
	v_and_b32_e32 v96, v99, v5
	v_mbcnt_lo_u32_b32 v5, v96, 0
	v_mbcnt_hi_u32_b32 v199, v97, v5
	v_cmp_eq_u32_e32 vcc, 0, v199
	v_cmp_ne_u64_e64 s[36:37], 0, v[96:97]
	s_and_b64 s[38:39], s[36:37], vcc
	; wave barrier
	s_and_saveexec_b64 s[36:37], s[38:39]
	s_cbranch_execz .LBB707_440
; %bb.439:                              ;   in Loop: Header=BB707_392 Depth=2
	v_bcnt_u32_b32 v5, v96, 0
	v_bcnt_u32_b32 v5, v97, v5
	s_waitcnt lgkmcnt(0)
	v_add_u32_e32 v5, v197, v5
	ds_write_b32 v198, v5
.LBB707_440:                            ;   in Loop: Header=BB707_392 Depth=2
	s_or_b64 exec, exec, s[36:37]
	s_waitcnt vmcnt(8)
	v_xor_b32_e32 v91, 0x7fffffff, v91
	v_not_b32_e32 v90, v90
	v_lshrrev_b64 v[96:97], s33, v[90:91]
	v_and_b32_e32 v96, s69, v96
	v_mul_u32_u24_e32 v5, 5, v96
	v_add_lshl_u32 v5, v5, v181, 2
	; wave barrier
	v_add_u32_e32 v201, 0x410, v5
	ds_read_b32 v200, v5 offset:1040
	v_and_b32_e32 v5, 1, v96
	v_add_co_u32_e32 v97, vcc, -1, v5
	v_addc_co_u32_e64 v98, s[36:37], 0, -1, vcc
	v_cmp_ne_u32_e32 vcc, 0, v5
	v_xor_b32_e32 v5, vcc_hi, v98
	v_and_b32_e32 v98, exec_hi, v5
	v_lshlrev_b32_e32 v5, 30, v96
	v_xor_b32_e32 v97, vcc_lo, v97
	v_cmp_gt_i64_e32 vcc, 0, v[4:5]
	v_not_b32_e32 v5, v5
	v_ashrrev_i32_e32 v5, 31, v5
	v_and_b32_e32 v97, exec_lo, v97
	v_xor_b32_e32 v99, vcc_hi, v5
	v_xor_b32_e32 v5, vcc_lo, v5
	v_and_b32_e32 v97, v97, v5
	v_lshlrev_b32_e32 v5, 29, v96
	v_cmp_gt_i64_e32 vcc, 0, v[4:5]
	v_not_b32_e32 v5, v5
	v_ashrrev_i32_e32 v5, 31, v5
	v_and_b32_e32 v98, v98, v99
	v_xor_b32_e32 v99, vcc_hi, v5
	v_xor_b32_e32 v5, vcc_lo, v5
	v_and_b32_e32 v97, v97, v5
	v_lshlrev_b32_e32 v5, 28, v96
	v_cmp_gt_i64_e32 vcc, 0, v[4:5]
	v_not_b32_e32 v5, v5
	v_ashrrev_i32_e32 v5, 31, v5
	v_and_b32_e32 v98, v98, v99
	;; [unrolled: 8-line block ×5, first 2 shown]
	v_xor_b32_e32 v99, vcc_hi, v5
	v_xor_b32_e32 v5, vcc_lo, v5
	v_and_b32_e32 v98, v98, v99
	v_and_b32_e32 v99, v97, v5
	v_lshlrev_b32_e32 v5, 24, v96
	v_cmp_gt_i64_e32 vcc, 0, v[4:5]
	v_not_b32_e32 v5, v5
	v_ashrrev_i32_e32 v5, 31, v5
	v_xor_b32_e32 v96, vcc_hi, v5
	v_xor_b32_e32 v5, vcc_lo, v5
	v_and_b32_e32 v97, v98, v96
	v_and_b32_e32 v96, v99, v5
	v_mbcnt_lo_u32_b32 v5, v96, 0
	v_mbcnt_hi_u32_b32 v202, v97, v5
	v_cmp_eq_u32_e32 vcc, 0, v202
	v_cmp_ne_u64_e64 s[36:37], 0, v[96:97]
	s_and_b64 s[38:39], s[36:37], vcc
	; wave barrier
	s_and_saveexec_b64 s[36:37], s[38:39]
	s_cbranch_execz .LBB707_442
; %bb.441:                              ;   in Loop: Header=BB707_392 Depth=2
	v_bcnt_u32_b32 v5, v96, 0
	v_bcnt_u32_b32 v5, v97, v5
	s_waitcnt lgkmcnt(0)
	v_add_u32_e32 v5, v200, v5
	ds_write_b32 v201, v5
.LBB707_442:                            ;   in Loop: Header=BB707_392 Depth=2
	s_or_b64 exec, exec, s[36:37]
	s_waitcnt vmcnt(7)
	v_xor_b32_e32 v95, 0x7fffffff, v95
	v_not_b32_e32 v94, v94
	v_lshrrev_b64 v[96:97], s33, v[94:95]
	v_and_b32_e32 v96, s69, v96
	v_mul_u32_u24_e32 v5, 5, v96
	v_add_lshl_u32 v5, v5, v181, 2
	; wave barrier
	v_add_u32_e32 v204, 0x410, v5
	ds_read_b32 v203, v5 offset:1040
	v_and_b32_e32 v5, 1, v96
	v_add_co_u32_e32 v97, vcc, -1, v5
	v_addc_co_u32_e64 v98, s[36:37], 0, -1, vcc
	v_cmp_ne_u32_e32 vcc, 0, v5
	v_xor_b32_e32 v5, vcc_hi, v98
	v_and_b32_e32 v98, exec_hi, v5
	v_lshlrev_b32_e32 v5, 30, v96
	v_xor_b32_e32 v97, vcc_lo, v97
	v_cmp_gt_i64_e32 vcc, 0, v[4:5]
	v_not_b32_e32 v5, v5
	v_ashrrev_i32_e32 v5, 31, v5
	v_and_b32_e32 v97, exec_lo, v97
	v_xor_b32_e32 v99, vcc_hi, v5
	v_xor_b32_e32 v5, vcc_lo, v5
	v_and_b32_e32 v97, v97, v5
	v_lshlrev_b32_e32 v5, 29, v96
	v_cmp_gt_i64_e32 vcc, 0, v[4:5]
	v_not_b32_e32 v5, v5
	v_ashrrev_i32_e32 v5, 31, v5
	v_and_b32_e32 v98, v98, v99
	v_xor_b32_e32 v99, vcc_hi, v5
	v_xor_b32_e32 v5, vcc_lo, v5
	v_and_b32_e32 v97, v97, v5
	v_lshlrev_b32_e32 v5, 28, v96
	v_cmp_gt_i64_e32 vcc, 0, v[4:5]
	v_not_b32_e32 v5, v5
	v_ashrrev_i32_e32 v5, 31, v5
	v_and_b32_e32 v98, v98, v99
	;; [unrolled: 8-line block ×5, first 2 shown]
	v_xor_b32_e32 v99, vcc_hi, v5
	v_xor_b32_e32 v5, vcc_lo, v5
	v_and_b32_e32 v98, v98, v99
	v_and_b32_e32 v99, v97, v5
	v_lshlrev_b32_e32 v5, 24, v96
	v_cmp_gt_i64_e32 vcc, 0, v[4:5]
	v_not_b32_e32 v5, v5
	v_ashrrev_i32_e32 v5, 31, v5
	v_xor_b32_e32 v96, vcc_hi, v5
	v_xor_b32_e32 v5, vcc_lo, v5
	v_and_b32_e32 v97, v98, v96
	v_and_b32_e32 v96, v99, v5
	v_mbcnt_lo_u32_b32 v5, v96, 0
	v_mbcnt_hi_u32_b32 v205, v97, v5
	v_cmp_eq_u32_e32 vcc, 0, v205
	v_cmp_ne_u64_e64 s[36:37], 0, v[96:97]
	s_and_b64 s[38:39], s[36:37], vcc
	; wave barrier
	s_and_saveexec_b64 s[36:37], s[38:39]
	s_cbranch_execz .LBB707_444
; %bb.443:                              ;   in Loop: Header=BB707_392 Depth=2
	v_bcnt_u32_b32 v5, v96, 0
	v_bcnt_u32_b32 v5, v97, v5
	s_waitcnt lgkmcnt(0)
	v_add_u32_e32 v5, v203, v5
	ds_write_b32 v204, v5
.LBB707_444:                            ;   in Loop: Header=BB707_392 Depth=2
	s_or_b64 exec, exec, s[36:37]
	s_waitcnt vmcnt(6)
	v_xor_b32_e32 v93, 0x7fffffff, v93
	v_not_b32_e32 v92, v92
	v_lshrrev_b64 v[96:97], s33, v[92:93]
	v_and_b32_e32 v96, s69, v96
	v_mul_u32_u24_e32 v5, 5, v96
	v_add_lshl_u32 v5, v5, v181, 2
	; wave barrier
	v_add_u32_e32 v207, 0x410, v5
	ds_read_b32 v206, v5 offset:1040
	v_and_b32_e32 v5, 1, v96
	v_add_co_u32_e32 v97, vcc, -1, v5
	v_addc_co_u32_e64 v98, s[36:37], 0, -1, vcc
	v_cmp_ne_u32_e32 vcc, 0, v5
	v_xor_b32_e32 v5, vcc_hi, v98
	v_and_b32_e32 v98, exec_hi, v5
	v_lshlrev_b32_e32 v5, 30, v96
	v_xor_b32_e32 v97, vcc_lo, v97
	v_cmp_gt_i64_e32 vcc, 0, v[4:5]
	v_not_b32_e32 v5, v5
	v_ashrrev_i32_e32 v5, 31, v5
	v_and_b32_e32 v97, exec_lo, v97
	v_xor_b32_e32 v99, vcc_hi, v5
	v_xor_b32_e32 v5, vcc_lo, v5
	v_and_b32_e32 v97, v97, v5
	v_lshlrev_b32_e32 v5, 29, v96
	v_cmp_gt_i64_e32 vcc, 0, v[4:5]
	v_not_b32_e32 v5, v5
	v_ashrrev_i32_e32 v5, 31, v5
	v_and_b32_e32 v98, v98, v99
	v_xor_b32_e32 v99, vcc_hi, v5
	v_xor_b32_e32 v5, vcc_lo, v5
	v_and_b32_e32 v97, v97, v5
	v_lshlrev_b32_e32 v5, 28, v96
	v_cmp_gt_i64_e32 vcc, 0, v[4:5]
	v_not_b32_e32 v5, v5
	v_ashrrev_i32_e32 v5, 31, v5
	v_and_b32_e32 v98, v98, v99
	;; [unrolled: 8-line block ×5, first 2 shown]
	v_xor_b32_e32 v99, vcc_hi, v5
	v_xor_b32_e32 v5, vcc_lo, v5
	v_and_b32_e32 v98, v98, v99
	v_and_b32_e32 v99, v97, v5
	v_lshlrev_b32_e32 v5, 24, v96
	v_cmp_gt_i64_e32 vcc, 0, v[4:5]
	v_not_b32_e32 v5, v5
	v_ashrrev_i32_e32 v5, 31, v5
	v_xor_b32_e32 v96, vcc_hi, v5
	v_xor_b32_e32 v5, vcc_lo, v5
	v_and_b32_e32 v97, v98, v96
	v_and_b32_e32 v96, v99, v5
	v_mbcnt_lo_u32_b32 v5, v96, 0
	v_mbcnt_hi_u32_b32 v208, v97, v5
	v_cmp_eq_u32_e32 vcc, 0, v208
	v_cmp_ne_u64_e64 s[36:37], 0, v[96:97]
	s_and_b64 s[38:39], s[36:37], vcc
	; wave barrier
	s_and_saveexec_b64 s[36:37], s[38:39]
	s_cbranch_execz .LBB707_446
; %bb.445:                              ;   in Loop: Header=BB707_392 Depth=2
	v_bcnt_u32_b32 v5, v96, 0
	v_bcnt_u32_b32 v5, v97, v5
	s_waitcnt lgkmcnt(0)
	v_add_u32_e32 v5, v206, v5
	ds_write_b32 v207, v5
.LBB707_446:                            ;   in Loop: Header=BB707_392 Depth=2
	s_or_b64 exec, exec, s[36:37]
	s_waitcnt vmcnt(5)
	v_xor_b32_e32 v89, 0x7fffffff, v89
	v_not_b32_e32 v88, v88
	v_lshrrev_b64 v[96:97], s33, v[88:89]
	v_and_b32_e32 v96, s69, v96
	v_mul_u32_u24_e32 v5, 5, v96
	v_add_lshl_u32 v5, v5, v181, 2
	; wave barrier
	v_add_u32_e32 v210, 0x410, v5
	ds_read_b32 v209, v5 offset:1040
	v_and_b32_e32 v5, 1, v96
	v_add_co_u32_e32 v97, vcc, -1, v5
	v_addc_co_u32_e64 v98, s[36:37], 0, -1, vcc
	v_cmp_ne_u32_e32 vcc, 0, v5
	v_xor_b32_e32 v5, vcc_hi, v98
	v_and_b32_e32 v98, exec_hi, v5
	v_lshlrev_b32_e32 v5, 30, v96
	v_xor_b32_e32 v97, vcc_lo, v97
	v_cmp_gt_i64_e32 vcc, 0, v[4:5]
	v_not_b32_e32 v5, v5
	v_ashrrev_i32_e32 v5, 31, v5
	v_and_b32_e32 v97, exec_lo, v97
	v_xor_b32_e32 v99, vcc_hi, v5
	v_xor_b32_e32 v5, vcc_lo, v5
	v_and_b32_e32 v97, v97, v5
	v_lshlrev_b32_e32 v5, 29, v96
	v_cmp_gt_i64_e32 vcc, 0, v[4:5]
	v_not_b32_e32 v5, v5
	v_ashrrev_i32_e32 v5, 31, v5
	v_and_b32_e32 v98, v98, v99
	v_xor_b32_e32 v99, vcc_hi, v5
	v_xor_b32_e32 v5, vcc_lo, v5
	v_and_b32_e32 v97, v97, v5
	v_lshlrev_b32_e32 v5, 28, v96
	v_cmp_gt_i64_e32 vcc, 0, v[4:5]
	v_not_b32_e32 v5, v5
	v_ashrrev_i32_e32 v5, 31, v5
	v_and_b32_e32 v98, v98, v99
	;; [unrolled: 8-line block ×5, first 2 shown]
	v_xor_b32_e32 v99, vcc_hi, v5
	v_xor_b32_e32 v5, vcc_lo, v5
	v_and_b32_e32 v98, v98, v99
	v_and_b32_e32 v99, v97, v5
	v_lshlrev_b32_e32 v5, 24, v96
	v_cmp_gt_i64_e32 vcc, 0, v[4:5]
	v_not_b32_e32 v5, v5
	v_ashrrev_i32_e32 v5, 31, v5
	v_xor_b32_e32 v96, vcc_hi, v5
	v_xor_b32_e32 v5, vcc_lo, v5
	v_and_b32_e32 v97, v98, v96
	v_and_b32_e32 v96, v99, v5
	v_mbcnt_lo_u32_b32 v5, v96, 0
	v_mbcnt_hi_u32_b32 v211, v97, v5
	v_cmp_eq_u32_e32 vcc, 0, v211
	v_cmp_ne_u64_e64 s[36:37], 0, v[96:97]
	s_and_b64 s[38:39], s[36:37], vcc
	; wave barrier
	s_and_saveexec_b64 s[36:37], s[38:39]
	s_cbranch_execz .LBB707_448
; %bb.447:                              ;   in Loop: Header=BB707_392 Depth=2
	v_bcnt_u32_b32 v5, v96, 0
	v_bcnt_u32_b32 v5, v97, v5
	s_waitcnt lgkmcnt(0)
	v_add_u32_e32 v5, v209, v5
	ds_write_b32 v210, v5
.LBB707_448:                            ;   in Loop: Header=BB707_392 Depth=2
	s_or_b64 exec, exec, s[36:37]
	s_waitcnt vmcnt(4)
	v_xor_b32_e32 v85, 0x7fffffff, v85
	v_not_b32_e32 v84, v84
	v_lshrrev_b64 v[96:97], s33, v[84:85]
	v_and_b32_e32 v96, s69, v96
	v_mul_u32_u24_e32 v5, 5, v96
	v_add_lshl_u32 v5, v5, v181, 2
	; wave barrier
	v_add_u32_e32 v213, 0x410, v5
	ds_read_b32 v212, v5 offset:1040
	v_and_b32_e32 v5, 1, v96
	v_add_co_u32_e32 v97, vcc, -1, v5
	v_addc_co_u32_e64 v98, s[36:37], 0, -1, vcc
	v_cmp_ne_u32_e32 vcc, 0, v5
	v_xor_b32_e32 v5, vcc_hi, v98
	v_and_b32_e32 v98, exec_hi, v5
	v_lshlrev_b32_e32 v5, 30, v96
	v_xor_b32_e32 v97, vcc_lo, v97
	v_cmp_gt_i64_e32 vcc, 0, v[4:5]
	v_not_b32_e32 v5, v5
	v_ashrrev_i32_e32 v5, 31, v5
	v_and_b32_e32 v97, exec_lo, v97
	v_xor_b32_e32 v99, vcc_hi, v5
	v_xor_b32_e32 v5, vcc_lo, v5
	v_and_b32_e32 v97, v97, v5
	v_lshlrev_b32_e32 v5, 29, v96
	v_cmp_gt_i64_e32 vcc, 0, v[4:5]
	v_not_b32_e32 v5, v5
	v_ashrrev_i32_e32 v5, 31, v5
	v_and_b32_e32 v98, v98, v99
	v_xor_b32_e32 v99, vcc_hi, v5
	v_xor_b32_e32 v5, vcc_lo, v5
	v_and_b32_e32 v97, v97, v5
	v_lshlrev_b32_e32 v5, 28, v96
	v_cmp_gt_i64_e32 vcc, 0, v[4:5]
	v_not_b32_e32 v5, v5
	v_ashrrev_i32_e32 v5, 31, v5
	v_and_b32_e32 v98, v98, v99
	;; [unrolled: 8-line block ×5, first 2 shown]
	v_xor_b32_e32 v99, vcc_hi, v5
	v_xor_b32_e32 v5, vcc_lo, v5
	v_and_b32_e32 v98, v98, v99
	v_and_b32_e32 v99, v97, v5
	v_lshlrev_b32_e32 v5, 24, v96
	v_cmp_gt_i64_e32 vcc, 0, v[4:5]
	v_not_b32_e32 v5, v5
	v_ashrrev_i32_e32 v5, 31, v5
	v_xor_b32_e32 v96, vcc_hi, v5
	v_xor_b32_e32 v5, vcc_lo, v5
	v_and_b32_e32 v97, v98, v96
	v_and_b32_e32 v96, v99, v5
	v_mbcnt_lo_u32_b32 v5, v96, 0
	v_mbcnt_hi_u32_b32 v214, v97, v5
	v_cmp_eq_u32_e32 vcc, 0, v214
	v_cmp_ne_u64_e64 s[36:37], 0, v[96:97]
	s_and_b64 s[38:39], s[36:37], vcc
	; wave barrier
	s_and_saveexec_b64 s[36:37], s[38:39]
	s_cbranch_execz .LBB707_450
; %bb.449:                              ;   in Loop: Header=BB707_392 Depth=2
	v_bcnt_u32_b32 v5, v96, 0
	v_bcnt_u32_b32 v5, v97, v5
	s_waitcnt lgkmcnt(0)
	v_add_u32_e32 v5, v212, v5
	ds_write_b32 v213, v5
.LBB707_450:                            ;   in Loop: Header=BB707_392 Depth=2
	s_or_b64 exec, exec, s[36:37]
	s_waitcnt vmcnt(3)
	v_xor_b32_e32 v81, 0x7fffffff, v81
	v_not_b32_e32 v80, v80
	v_lshrrev_b64 v[96:97], s33, v[80:81]
	v_and_b32_e32 v96, s69, v96
	v_mul_u32_u24_e32 v5, 5, v96
	v_add_lshl_u32 v5, v5, v181, 2
	; wave barrier
	v_add_u32_e32 v216, 0x410, v5
	ds_read_b32 v215, v5 offset:1040
	v_and_b32_e32 v5, 1, v96
	v_add_co_u32_e32 v97, vcc, -1, v5
	v_addc_co_u32_e64 v98, s[36:37], 0, -1, vcc
	v_cmp_ne_u32_e32 vcc, 0, v5
	v_xor_b32_e32 v5, vcc_hi, v98
	v_and_b32_e32 v98, exec_hi, v5
	v_lshlrev_b32_e32 v5, 30, v96
	v_xor_b32_e32 v97, vcc_lo, v97
	v_cmp_gt_i64_e32 vcc, 0, v[4:5]
	v_not_b32_e32 v5, v5
	v_ashrrev_i32_e32 v5, 31, v5
	v_and_b32_e32 v97, exec_lo, v97
	v_xor_b32_e32 v99, vcc_hi, v5
	v_xor_b32_e32 v5, vcc_lo, v5
	v_and_b32_e32 v97, v97, v5
	v_lshlrev_b32_e32 v5, 29, v96
	v_cmp_gt_i64_e32 vcc, 0, v[4:5]
	v_not_b32_e32 v5, v5
	v_ashrrev_i32_e32 v5, 31, v5
	v_and_b32_e32 v98, v98, v99
	v_xor_b32_e32 v99, vcc_hi, v5
	v_xor_b32_e32 v5, vcc_lo, v5
	v_and_b32_e32 v97, v97, v5
	v_lshlrev_b32_e32 v5, 28, v96
	v_cmp_gt_i64_e32 vcc, 0, v[4:5]
	v_not_b32_e32 v5, v5
	v_ashrrev_i32_e32 v5, 31, v5
	v_and_b32_e32 v98, v98, v99
	;; [unrolled: 8-line block ×5, first 2 shown]
	v_xor_b32_e32 v99, vcc_hi, v5
	v_xor_b32_e32 v5, vcc_lo, v5
	v_and_b32_e32 v98, v98, v99
	v_and_b32_e32 v99, v97, v5
	v_lshlrev_b32_e32 v5, 24, v96
	v_cmp_gt_i64_e32 vcc, 0, v[4:5]
	v_not_b32_e32 v5, v5
	v_ashrrev_i32_e32 v5, 31, v5
	v_xor_b32_e32 v96, vcc_hi, v5
	v_xor_b32_e32 v5, vcc_lo, v5
	v_and_b32_e32 v97, v98, v96
	v_and_b32_e32 v96, v99, v5
	v_mbcnt_lo_u32_b32 v5, v96, 0
	v_mbcnt_hi_u32_b32 v217, v97, v5
	v_cmp_eq_u32_e32 vcc, 0, v217
	v_cmp_ne_u64_e64 s[36:37], 0, v[96:97]
	s_and_b64 s[38:39], s[36:37], vcc
	; wave barrier
	s_and_saveexec_b64 s[36:37], s[38:39]
	s_cbranch_execz .LBB707_452
; %bb.451:                              ;   in Loop: Header=BB707_392 Depth=2
	v_bcnt_u32_b32 v5, v96, 0
	v_bcnt_u32_b32 v5, v97, v5
	s_waitcnt lgkmcnt(0)
	v_add_u32_e32 v5, v215, v5
	ds_write_b32 v216, v5
.LBB707_452:                            ;   in Loop: Header=BB707_392 Depth=2
	s_or_b64 exec, exec, s[36:37]
	s_waitcnt vmcnt(2)
	v_xor_b32_e32 v77, 0x7fffffff, v77
	v_not_b32_e32 v76, v76
	v_lshrrev_b64 v[96:97], s33, v[76:77]
	v_and_b32_e32 v96, s69, v96
	v_mul_u32_u24_e32 v5, 5, v96
	v_add_lshl_u32 v5, v5, v181, 2
	; wave barrier
	v_add_u32_e32 v219, 0x410, v5
	ds_read_b32 v218, v5 offset:1040
	v_and_b32_e32 v5, 1, v96
	v_add_co_u32_e32 v97, vcc, -1, v5
	v_addc_co_u32_e64 v98, s[36:37], 0, -1, vcc
	v_cmp_ne_u32_e32 vcc, 0, v5
	v_xor_b32_e32 v5, vcc_hi, v98
	v_and_b32_e32 v98, exec_hi, v5
	v_lshlrev_b32_e32 v5, 30, v96
	v_xor_b32_e32 v97, vcc_lo, v97
	v_cmp_gt_i64_e32 vcc, 0, v[4:5]
	v_not_b32_e32 v5, v5
	v_ashrrev_i32_e32 v5, 31, v5
	v_and_b32_e32 v97, exec_lo, v97
	v_xor_b32_e32 v99, vcc_hi, v5
	v_xor_b32_e32 v5, vcc_lo, v5
	v_and_b32_e32 v97, v97, v5
	v_lshlrev_b32_e32 v5, 29, v96
	v_cmp_gt_i64_e32 vcc, 0, v[4:5]
	v_not_b32_e32 v5, v5
	v_ashrrev_i32_e32 v5, 31, v5
	v_and_b32_e32 v98, v98, v99
	v_xor_b32_e32 v99, vcc_hi, v5
	v_xor_b32_e32 v5, vcc_lo, v5
	v_and_b32_e32 v97, v97, v5
	v_lshlrev_b32_e32 v5, 28, v96
	v_cmp_gt_i64_e32 vcc, 0, v[4:5]
	v_not_b32_e32 v5, v5
	v_ashrrev_i32_e32 v5, 31, v5
	v_and_b32_e32 v98, v98, v99
	;; [unrolled: 8-line block ×5, first 2 shown]
	v_xor_b32_e32 v99, vcc_hi, v5
	v_xor_b32_e32 v5, vcc_lo, v5
	v_and_b32_e32 v98, v98, v99
	v_and_b32_e32 v99, v97, v5
	v_lshlrev_b32_e32 v5, 24, v96
	v_cmp_gt_i64_e32 vcc, 0, v[4:5]
	v_not_b32_e32 v5, v5
	v_ashrrev_i32_e32 v5, 31, v5
	v_xor_b32_e32 v96, vcc_hi, v5
	v_xor_b32_e32 v5, vcc_lo, v5
	v_and_b32_e32 v97, v98, v96
	v_and_b32_e32 v96, v99, v5
	v_mbcnt_lo_u32_b32 v5, v96, 0
	v_mbcnt_hi_u32_b32 v220, v97, v5
	v_cmp_eq_u32_e32 vcc, 0, v220
	v_cmp_ne_u64_e64 s[36:37], 0, v[96:97]
	s_and_b64 s[38:39], s[36:37], vcc
	; wave barrier
	s_and_saveexec_b64 s[36:37], s[38:39]
	s_cbranch_execz .LBB707_454
; %bb.453:                              ;   in Loop: Header=BB707_392 Depth=2
	v_bcnt_u32_b32 v5, v96, 0
	v_bcnt_u32_b32 v5, v97, v5
	s_waitcnt lgkmcnt(0)
	v_add_u32_e32 v5, v218, v5
	ds_write_b32 v219, v5
.LBB707_454:                            ;   in Loop: Header=BB707_392 Depth=2
	s_or_b64 exec, exec, s[36:37]
	s_waitcnt vmcnt(1)
	v_xor_b32_e32 v73, 0x7fffffff, v73
	v_not_b32_e32 v72, v72
	v_lshrrev_b64 v[96:97], s33, v[72:73]
	v_and_b32_e32 v96, s69, v96
	v_mul_u32_u24_e32 v5, 5, v96
	v_add_lshl_u32 v5, v5, v181, 2
	; wave barrier
	v_add_u32_e32 v222, 0x410, v5
	ds_read_b32 v221, v5 offset:1040
	v_and_b32_e32 v5, 1, v96
	v_add_co_u32_e32 v97, vcc, -1, v5
	v_addc_co_u32_e64 v98, s[36:37], 0, -1, vcc
	v_cmp_ne_u32_e32 vcc, 0, v5
	v_xor_b32_e32 v5, vcc_hi, v98
	v_and_b32_e32 v98, exec_hi, v5
	v_lshlrev_b32_e32 v5, 30, v96
	v_xor_b32_e32 v97, vcc_lo, v97
	v_cmp_gt_i64_e32 vcc, 0, v[4:5]
	v_not_b32_e32 v5, v5
	v_ashrrev_i32_e32 v5, 31, v5
	v_and_b32_e32 v97, exec_lo, v97
	v_xor_b32_e32 v99, vcc_hi, v5
	v_xor_b32_e32 v5, vcc_lo, v5
	v_and_b32_e32 v97, v97, v5
	v_lshlrev_b32_e32 v5, 29, v96
	v_cmp_gt_i64_e32 vcc, 0, v[4:5]
	v_not_b32_e32 v5, v5
	v_ashrrev_i32_e32 v5, 31, v5
	v_and_b32_e32 v98, v98, v99
	v_xor_b32_e32 v99, vcc_hi, v5
	v_xor_b32_e32 v5, vcc_lo, v5
	v_and_b32_e32 v97, v97, v5
	v_lshlrev_b32_e32 v5, 28, v96
	v_cmp_gt_i64_e32 vcc, 0, v[4:5]
	v_not_b32_e32 v5, v5
	v_ashrrev_i32_e32 v5, 31, v5
	v_and_b32_e32 v98, v98, v99
	;; [unrolled: 8-line block ×5, first 2 shown]
	v_xor_b32_e32 v99, vcc_hi, v5
	v_xor_b32_e32 v5, vcc_lo, v5
	v_and_b32_e32 v98, v98, v99
	v_and_b32_e32 v99, v97, v5
	v_lshlrev_b32_e32 v5, 24, v96
	v_cmp_gt_i64_e32 vcc, 0, v[4:5]
	v_not_b32_e32 v5, v5
	v_ashrrev_i32_e32 v5, 31, v5
	v_xor_b32_e32 v96, vcc_hi, v5
	v_xor_b32_e32 v5, vcc_lo, v5
	v_and_b32_e32 v97, v98, v96
	v_and_b32_e32 v96, v99, v5
	v_mbcnt_lo_u32_b32 v5, v96, 0
	v_mbcnt_hi_u32_b32 v223, v97, v5
	v_cmp_eq_u32_e32 vcc, 0, v223
	v_cmp_ne_u64_e64 s[36:37], 0, v[96:97]
	s_and_b64 s[38:39], s[36:37], vcc
	; wave barrier
	s_and_saveexec_b64 s[36:37], s[38:39]
	s_cbranch_execz .LBB707_456
; %bb.455:                              ;   in Loop: Header=BB707_392 Depth=2
	v_bcnt_u32_b32 v5, v96, 0
	v_bcnt_u32_b32 v5, v97, v5
	s_waitcnt lgkmcnt(0)
	v_add_u32_e32 v5, v221, v5
	ds_write_b32 v222, v5
.LBB707_456:                            ;   in Loop: Header=BB707_392 Depth=2
	s_or_b64 exec, exec, s[36:37]
	s_waitcnt vmcnt(0)
	v_xor_b32_e32 v69, 0x7fffffff, v69
	v_not_b32_e32 v68, v68
	v_lshrrev_b64 v[96:97], s33, v[68:69]
	v_and_b32_e32 v96, s69, v96
	v_mul_u32_u24_e32 v5, 5, v96
	v_add_lshl_u32 v5, v5, v181, 2
	; wave barrier
	v_add_u32_e32 v225, 0x410, v5
	ds_read_b32 v224, v5 offset:1040
	v_and_b32_e32 v5, 1, v96
	v_add_co_u32_e32 v97, vcc, -1, v5
	v_addc_co_u32_e64 v98, s[36:37], 0, -1, vcc
	v_cmp_ne_u32_e32 vcc, 0, v5
	v_xor_b32_e32 v5, vcc_hi, v98
	v_and_b32_e32 v98, exec_hi, v5
	v_lshlrev_b32_e32 v5, 30, v96
	v_xor_b32_e32 v97, vcc_lo, v97
	v_cmp_gt_i64_e32 vcc, 0, v[4:5]
	v_not_b32_e32 v5, v5
	v_ashrrev_i32_e32 v5, 31, v5
	v_and_b32_e32 v97, exec_lo, v97
	v_xor_b32_e32 v99, vcc_hi, v5
	v_xor_b32_e32 v5, vcc_lo, v5
	v_and_b32_e32 v97, v97, v5
	v_lshlrev_b32_e32 v5, 29, v96
	v_cmp_gt_i64_e32 vcc, 0, v[4:5]
	v_not_b32_e32 v5, v5
	v_ashrrev_i32_e32 v5, 31, v5
	v_and_b32_e32 v98, v98, v99
	v_xor_b32_e32 v99, vcc_hi, v5
	v_xor_b32_e32 v5, vcc_lo, v5
	v_and_b32_e32 v97, v97, v5
	v_lshlrev_b32_e32 v5, 28, v96
	v_cmp_gt_i64_e32 vcc, 0, v[4:5]
	v_not_b32_e32 v5, v5
	v_ashrrev_i32_e32 v5, 31, v5
	v_and_b32_e32 v98, v98, v99
	;; [unrolled: 8-line block ×5, first 2 shown]
	v_xor_b32_e32 v99, vcc_hi, v5
	v_xor_b32_e32 v5, vcc_lo, v5
	v_and_b32_e32 v98, v98, v99
	v_and_b32_e32 v99, v97, v5
	v_lshlrev_b32_e32 v5, 24, v96
	v_cmp_gt_i64_e32 vcc, 0, v[4:5]
	v_not_b32_e32 v5, v5
	v_ashrrev_i32_e32 v5, 31, v5
	v_xor_b32_e32 v96, vcc_hi, v5
	v_xor_b32_e32 v5, vcc_lo, v5
	v_and_b32_e32 v97, v98, v96
	v_and_b32_e32 v96, v99, v5
	v_mbcnt_lo_u32_b32 v5, v96, 0
	v_mbcnt_hi_u32_b32 v226, v97, v5
	v_cmp_eq_u32_e32 vcc, 0, v226
	v_cmp_ne_u64_e64 s[36:37], 0, v[96:97]
	s_and_b64 s[38:39], s[36:37], vcc
	; wave barrier
	s_and_saveexec_b64 s[36:37], s[38:39]
	s_cbranch_execz .LBB707_458
; %bb.457:                              ;   in Loop: Header=BB707_392 Depth=2
	v_bcnt_u32_b32 v5, v96, 0
	v_bcnt_u32_b32 v5, v97, v5
	s_waitcnt lgkmcnt(0)
	v_add_u32_e32 v5, v224, v5
	ds_write_b32 v225, v5
.LBB707_458:                            ;   in Loop: Header=BB707_392 Depth=2
	s_or_b64 exec, exec, s[36:37]
	v_xor_b32_e32 v71, 0x7fffffff, v71
	v_not_b32_e32 v70, v70
	v_lshrrev_b64 v[96:97], s33, v[70:71]
	v_and_b32_e32 v96, s69, v96
	v_mul_u32_u24_e32 v5, 5, v96
	v_add_lshl_u32 v5, v5, v181, 2
	; wave barrier
	v_add_u32_e32 v228, 0x410, v5
	ds_read_b32 v227, v5 offset:1040
	v_and_b32_e32 v5, 1, v96
	v_add_co_u32_e32 v97, vcc, -1, v5
	v_addc_co_u32_e64 v98, s[36:37], 0, -1, vcc
	v_cmp_ne_u32_e32 vcc, 0, v5
	v_xor_b32_e32 v5, vcc_hi, v98
	v_and_b32_e32 v98, exec_hi, v5
	v_lshlrev_b32_e32 v5, 30, v96
	v_xor_b32_e32 v97, vcc_lo, v97
	v_cmp_gt_i64_e32 vcc, 0, v[4:5]
	v_not_b32_e32 v5, v5
	v_ashrrev_i32_e32 v5, 31, v5
	v_and_b32_e32 v97, exec_lo, v97
	v_xor_b32_e32 v99, vcc_hi, v5
	v_xor_b32_e32 v5, vcc_lo, v5
	v_and_b32_e32 v97, v97, v5
	v_lshlrev_b32_e32 v5, 29, v96
	v_cmp_gt_i64_e32 vcc, 0, v[4:5]
	v_not_b32_e32 v5, v5
	v_ashrrev_i32_e32 v5, 31, v5
	v_and_b32_e32 v98, v98, v99
	v_xor_b32_e32 v99, vcc_hi, v5
	v_xor_b32_e32 v5, vcc_lo, v5
	v_and_b32_e32 v97, v97, v5
	v_lshlrev_b32_e32 v5, 28, v96
	v_cmp_gt_i64_e32 vcc, 0, v[4:5]
	v_not_b32_e32 v5, v5
	v_ashrrev_i32_e32 v5, 31, v5
	v_and_b32_e32 v98, v98, v99
	;; [unrolled: 8-line block ×5, first 2 shown]
	v_xor_b32_e32 v99, vcc_hi, v5
	v_xor_b32_e32 v5, vcc_lo, v5
	v_and_b32_e32 v98, v98, v99
	v_and_b32_e32 v99, v97, v5
	v_lshlrev_b32_e32 v5, 24, v96
	v_cmp_gt_i64_e32 vcc, 0, v[4:5]
	v_not_b32_e32 v5, v5
	v_ashrrev_i32_e32 v5, 31, v5
	v_xor_b32_e32 v96, vcc_hi, v5
	v_xor_b32_e32 v5, vcc_lo, v5
	v_and_b32_e32 v97, v98, v96
	v_and_b32_e32 v96, v99, v5
	v_mbcnt_lo_u32_b32 v5, v96, 0
	v_mbcnt_hi_u32_b32 v229, v97, v5
	v_cmp_eq_u32_e32 vcc, 0, v229
	v_cmp_ne_u64_e64 s[36:37], 0, v[96:97]
	s_and_b64 s[38:39], s[36:37], vcc
	; wave barrier
	s_and_saveexec_b64 s[36:37], s[38:39]
	s_cbranch_execz .LBB707_460
; %bb.459:                              ;   in Loop: Header=BB707_392 Depth=2
	v_bcnt_u32_b32 v5, v96, 0
	v_bcnt_u32_b32 v5, v97, v5
	s_waitcnt lgkmcnt(0)
	v_add_u32_e32 v5, v227, v5
	ds_write_b32 v228, v5
.LBB707_460:                            ;   in Loop: Header=BB707_392 Depth=2
	s_or_b64 exec, exec, s[36:37]
	; wave barrier
	s_waitcnt lgkmcnt(0)
	s_barrier
	ds_read_b32 v5, v27 offset:1040
	ds_read2_b32 v[98:99], v31 offset0:1 offset1:2
	ds_read2_b32 v[96:97], v31 offset0:3 offset1:4
	s_waitcnt lgkmcnt(1)
	v_add3_u32 v230, v98, v5, v99
	s_waitcnt lgkmcnt(0)
	v_add3_u32 v97, v230, v96, v97
	s_nop 1
	v_mov_b32_dpp v230, v97 row_shr:1 row_mask:0xf bank_mask:0xf
	v_cndmask_b32_e64 v230, v230, 0, s[16:17]
	v_add_u32_e32 v97, v230, v97
	s_nop 1
	v_mov_b32_dpp v230, v97 row_shr:2 row_mask:0xf bank_mask:0xf
	v_cndmask_b32_e64 v230, 0, v230, s[18:19]
	v_add_u32_e32 v97, v97, v230
	;; [unrolled: 4-line block ×4, first 2 shown]
	s_nop 1
	v_mov_b32_dpp v230, v97 row_bcast:15 row_mask:0xf bank_mask:0xf
	v_cndmask_b32_e64 v230, v230, 0, s[24:25]
	v_add_u32_e32 v97, v97, v230
	s_nop 1
	v_mov_b32_dpp v230, v97 row_bcast:31 row_mask:0xf bank_mask:0xf
	v_cndmask_b32_e64 v230, 0, v230, s[26:27]
	v_add_u32_e32 v97, v97, v230
	s_and_saveexec_b64 s[36:37], s[6:7]
	s_cbranch_execz .LBB707_462
; %bb.461:                              ;   in Loop: Header=BB707_392 Depth=2
	ds_write_b32 v15, v97 offset:1024
.LBB707_462:                            ;   in Loop: Header=BB707_392 Depth=2
	s_or_b64 exec, exec, s[36:37]
	s_waitcnt lgkmcnt(0)
	s_barrier
	s_and_saveexec_b64 s[36:37], s[8:9]
	s_cbranch_execz .LBB707_464
; %bb.463:                              ;   in Loop: Header=BB707_392 Depth=2
	ds_read_b32 v230, v33 offset:1024
	s_waitcnt lgkmcnt(0)
	s_nop 0
	v_mov_b32_dpp v231, v230 row_shr:1 row_mask:0xf bank_mask:0xf
	v_cndmask_b32_e64 v231, v231, 0, s[30:31]
	v_add_u32_e32 v230, v231, v230
	s_nop 1
	v_mov_b32_dpp v231, v230 row_shr:2 row_mask:0xf bank_mask:0xf
	v_cndmask_b32_e64 v231, 0, v231, s[34:35]
	v_add_u32_e32 v230, v230, v231
	ds_write_b32 v33, v230 offset:1024
.LBB707_464:                            ;   in Loop: Header=BB707_392 Depth=2
	s_or_b64 exec, exec, s[36:37]
	v_mov_b32_e32 v230, 0
	s_waitcnt lgkmcnt(0)
	s_barrier
	s_and_saveexec_b64 s[36:37], s[10:11]
	s_cbranch_execz .LBB707_466
; %bb.465:                              ;   in Loop: Header=BB707_392 Depth=2
	ds_read_b32 v230, v15 offset:1020
.LBB707_466:                            ;   in Loop: Header=BB707_392 Depth=2
	s_or_b64 exec, exec, s[36:37]
	s_waitcnt lgkmcnt(0)
	v_add_u32_e32 v97, v230, v97
	ds_bpermute_b32 v97, v158, v97
	s_waitcnt lgkmcnt(0)
	v_cndmask_b32_e64 v97, v97, v230, s[28:29]
	v_cndmask_b32_e64 v97, v97, 0, s[12:13]
	v_add_u32_e32 v5, v97, v5
	ds_write_b32 v27, v97 offset:1040
	v_add_u32_e32 v97, v5, v98
	v_add_u32_e32 v98, v97, v99
	ds_write2_b32 v31, v5, v97 offset0:1 offset1:2
	v_add_u32_e32 v5, v98, v96
	ds_write2_b32 v31, v98, v5 offset0:3 offset1:4
	s_waitcnt lgkmcnt(0)
	s_barrier
	ds_read_b32 v97, v186
	ds_read_b32 v234, v189
	;; [unrolled: 1-line block ×16, first 2 shown]
	ds_read_b32 v183, v27 offset:1040
	v_mov_b32_e32 v5, 0x1000
	s_and_saveexec_b64 s[36:37], s[14:15]
	s_cbranch_execz .LBB707_468
; %bb.467:                              ;   in Loop: Header=BB707_392 Depth=2
	ds_read_b32 v5, v27 offset:1060
.LBB707_468:                            ;   in Loop: Header=BB707_392 Depth=2
	s_or_b64 exec, exec, s[36:37]
	s_waitcnt lgkmcnt(0)
	s_barrier
	s_and_saveexec_b64 s[36:37], s[4:5]
	s_cbranch_execz .LBB707_470
; %bb.469:                              ;   in Loop: Header=BB707_392 Depth=2
	ds_read_b32 v207, v3
	s_waitcnt lgkmcnt(0)
	v_sub_u32_e32 v183, v207, v183
	ds_write_b32 v3, v183
.LBB707_470:                            ;   in Loop: Header=BB707_392 Depth=2
	s_or_b64 exec, exec, s[36:37]
	v_add_u32_e32 v185, v187, v185
	v_add_u32_e32 v188, v190, v188
	v_add_lshl_u32 v96, v96, v184, 3
	v_add_lshl_u32 v97, v185, v97, 3
	v_add_u32_e32 v197, v199, v197
	v_add_u32_e32 v194, v196, v194
	;; [unrolled: 1-line block ×3, first 2 shown]
	ds_write_b64 v96, v[64:65] offset:1024
	ds_write_b64 v97, v[66:67] offset:1024
	v_add_lshl_u32 v66, v188, v234, 3
	v_add_u32_e32 v212, v214, v212
	v_add_u32_e32 v209, v211, v209
	;; [unrolled: 1-line block ×5, first 2 shown]
	ds_write_b64 v66, v[74:75] offset:1024
	v_add_lshl_u32 v67, v191, v233, 3
	v_add_lshl_u32 v74, v194, v232, 3
	;; [unrolled: 1-line block ×3, first 2 shown]
	v_add_u32_e32 v215, v217, v215
	ds_write_b64 v67, v[78:79] offset:1024
	ds_write_b64 v74, v[82:83] offset:1024
	;; [unrolled: 1-line block ×3, first 2 shown]
	v_add_lshl_u32 v78, v200, v230, 3
	v_add_lshl_u32 v79, v203, v204, 3
	;; [unrolled: 1-line block ×5, first 2 shown]
	v_add_u32_e32 v213, v220, v218
	ds_write_b64 v78, v[90:91] offset:1024
	ds_write_b64 v79, v[94:95] offset:1024
	;; [unrolled: 1-line block ×5, first 2 shown]
	v_add_lshl_u32 v84, v215, v192, 3
	v_add_u32_e32 v210, v223, v221
	ds_write_b64 v84, v[80:81] offset:1024
	v_add_lshl_u32 v80, v213, v189, 3
	v_add_u32_e32 v207, v226, v224
	ds_write_b64 v80, v[76:77] offset:1024
	;; [unrolled: 3-line block ×3, first 2 shown]
	v_add_lshl_u32 v72, v207, v99, 3
	ds_write_b64 v72, v[68:69] offset:1024
	v_add_lshl_u32 v68, v183, v98, 3
	v_cmp_lt_u32_e64 s[36:37], v2, v182
	ds_write_b64 v68, v[70:71] offset:1024
	s_waitcnt lgkmcnt(0)
	s_barrier
	s_and_saveexec_b64 s[38:39], s[36:37]
	s_cbranch_execz .LBB707_486
; %bb.471:                              ;   in Loop: Header=BB707_392 Depth=2
	v_add_u32_e32 v64, v33, v3
	ds_read_b64 v[64:65], v64 offset:1024
	v_mov_b32_e32 v73, s77
	s_waitcnt lgkmcnt(0)
	v_lshrrev_b64 v[70:71], s33, v[64:65]
	v_and_b32_e32 v69, s69, v70
	v_lshlrev_b32_e32 v69, 2, v69
	ds_read_b32 v69, v69
	v_mov_b32_e32 v71, v4
	v_xor_b32_e32 v65, 0x7fffffff, v65
	v_not_b32_e32 v64, v64
	s_waitcnt lgkmcnt(0)
	v_add_u32_e32 v70, v69, v2
	v_lshlrev_b64 v[70:71], 3, v[70:71]
	v_add_co_u32_e32 v70, vcc, s76, v70
	v_addc_co_u32_e32 v71, vcc, v73, v71, vcc
	global_store_dwordx2 v[70:71], v[64:65], off
	s_or_b64 exec, exec, s[38:39]
	v_cmp_lt_u32_e64 s[38:39], v7, v182
	s_and_saveexec_b64 s[40:41], s[38:39]
	s_cbranch_execnz .LBB707_487
.LBB707_472:                            ;   in Loop: Header=BB707_392 Depth=2
	s_or_b64 exec, exec, s[40:41]
	v_cmp_lt_u32_e64 s[40:41], v6, v182
	s_and_saveexec_b64 s[42:43], s[40:41]
	s_cbranch_execz .LBB707_488
.LBB707_473:                            ;   in Loop: Header=BB707_392 Depth=2
	ds_read_b64 v[64:65], v104 offset:4096
	v_mov_b32_e32 v73, s77
	s_waitcnt lgkmcnt(0)
	v_lshrrev_b64 v[70:71], s33, v[64:65]
	v_and_b32_e32 v69, s69, v70
	v_lshlrev_b32_e32 v69, 2, v69
	ds_read_b32 v69, v69
	v_mov_b32_e32 v71, v4
	v_xor_b32_e32 v65, 0x7fffffff, v65
	v_not_b32_e32 v64, v64
	s_waitcnt lgkmcnt(0)
	v_add_u32_e32 v70, v69, v6
	v_lshlrev_b64 v[70:71], 3, v[70:71]
	v_add_co_u32_e32 v70, vcc, s76, v70
	v_addc_co_u32_e32 v71, vcc, v73, v71, vcc
	global_store_dwordx2 v[70:71], v[64:65], off
	s_or_b64 exec, exec, s[42:43]
	v_cmp_lt_u32_e64 s[42:43], v8, v182
	s_and_saveexec_b64 s[44:45], s[42:43]
	s_cbranch_execnz .LBB707_489
.LBB707_474:                            ;   in Loop: Header=BB707_392 Depth=2
	s_or_b64 exec, exec, s[44:45]
	v_cmp_lt_u32_e64 s[44:45], v10, v182
	s_and_saveexec_b64 s[46:47], s[44:45]
	s_cbranch_execz .LBB707_490
.LBB707_475:                            ;   in Loop: Header=BB707_392 Depth=2
	ds_read_b64 v[64:65], v104 offset:8192
	v_mov_b32_e32 v73, s77
	s_waitcnt lgkmcnt(0)
	v_lshrrev_b64 v[70:71], s33, v[64:65]
	v_and_b32_e32 v69, s69, v70
	v_lshlrev_b32_e32 v69, 2, v69
	ds_read_b32 v69, v69
	v_mov_b32_e32 v71, v4
	v_xor_b32_e32 v65, 0x7fffffff, v65
	v_not_b32_e32 v64, v64
	s_waitcnt lgkmcnt(0)
	v_add_u32_e32 v70, v69, v10
	v_lshlrev_b64 v[70:71], 3, v[70:71]
	v_add_co_u32_e32 v70, vcc, s76, v70
	v_addc_co_u32_e32 v71, vcc, v73, v71, vcc
	global_store_dwordx2 v[70:71], v[64:65], off
	s_or_b64 exec, exec, s[46:47]
	v_cmp_lt_u32_e64 s[46:47], v12, v182
	s_and_saveexec_b64 s[48:49], s[46:47]
	s_cbranch_execnz .LBB707_491
.LBB707_476:                            ;   in Loop: Header=BB707_392 Depth=2
	s_or_b64 exec, exec, s[48:49]
	v_cmp_lt_u32_e64 s[48:49], v14, v182
	s_and_saveexec_b64 s[50:51], s[48:49]
	s_cbranch_execz .LBB707_492
.LBB707_477:                            ;   in Loop: Header=BB707_392 Depth=2
	ds_read_b64 v[64:65], v104 offset:12288
	v_mov_b32_e32 v73, s77
	s_waitcnt lgkmcnt(0)
	v_lshrrev_b64 v[70:71], s33, v[64:65]
	v_and_b32_e32 v69, s69, v70
	v_lshlrev_b32_e32 v69, 2, v69
	ds_read_b32 v69, v69
	v_mov_b32_e32 v71, v4
	v_xor_b32_e32 v65, 0x7fffffff, v65
	v_not_b32_e32 v64, v64
	s_waitcnt lgkmcnt(0)
	v_add_u32_e32 v70, v69, v14
	v_lshlrev_b64 v[70:71], 3, v[70:71]
	v_add_co_u32_e32 v70, vcc, s76, v70
	v_addc_co_u32_e32 v71, vcc, v73, v71, vcc
	global_store_dwordx2 v[70:71], v[64:65], off
	s_or_b64 exec, exec, s[50:51]
	v_cmp_lt_u32_e64 s[50:51], v16, v182
	s_and_saveexec_b64 s[52:53], s[50:51]
	s_cbranch_execnz .LBB707_493
.LBB707_478:                            ;   in Loop: Header=BB707_392 Depth=2
	s_or_b64 exec, exec, s[52:53]
	v_cmp_lt_u32_e64 s[52:53], v18, v182
	s_and_saveexec_b64 s[54:55], s[52:53]
	s_cbranch_execz .LBB707_494
.LBB707_479:                            ;   in Loop: Header=BB707_392 Depth=2
	ds_read_b64 v[64:65], v104 offset:16384
	v_mov_b32_e32 v73, s77
	s_waitcnt lgkmcnt(0)
	v_lshrrev_b64 v[70:71], s33, v[64:65]
	v_and_b32_e32 v69, s69, v70
	v_lshlrev_b32_e32 v69, 2, v69
	ds_read_b32 v69, v69
	v_mov_b32_e32 v71, v4
	v_xor_b32_e32 v65, 0x7fffffff, v65
	v_not_b32_e32 v64, v64
	s_waitcnt lgkmcnt(0)
	v_add_u32_e32 v70, v69, v18
	v_lshlrev_b64 v[70:71], 3, v[70:71]
	v_add_co_u32_e32 v70, vcc, s76, v70
	v_addc_co_u32_e32 v71, vcc, v73, v71, vcc
	global_store_dwordx2 v[70:71], v[64:65], off
	s_or_b64 exec, exec, s[54:55]
	v_cmp_lt_u32_e64 s[54:55], v20, v182
	s_and_saveexec_b64 s[56:57], s[54:55]
	s_cbranch_execnz .LBB707_495
.LBB707_480:                            ;   in Loop: Header=BB707_392 Depth=2
	s_or_b64 exec, exec, s[56:57]
	v_cmp_lt_u32_e64 s[56:57], v22, v182
	s_and_saveexec_b64 s[58:59], s[56:57]
	s_cbranch_execz .LBB707_496
.LBB707_481:                            ;   in Loop: Header=BB707_392 Depth=2
	ds_read_b64 v[64:65], v104 offset:20480
	v_mov_b32_e32 v73, s77
	s_waitcnt lgkmcnt(0)
	v_lshrrev_b64 v[70:71], s33, v[64:65]
	v_and_b32_e32 v69, s69, v70
	v_lshlrev_b32_e32 v69, 2, v69
	ds_read_b32 v69, v69
	v_mov_b32_e32 v71, v4
	v_xor_b32_e32 v65, 0x7fffffff, v65
	v_not_b32_e32 v64, v64
	s_waitcnt lgkmcnt(0)
	v_add_u32_e32 v70, v69, v22
	v_lshlrev_b64 v[70:71], 3, v[70:71]
	v_add_co_u32_e32 v70, vcc, s76, v70
	v_addc_co_u32_e32 v71, vcc, v73, v71, vcc
	global_store_dwordx2 v[70:71], v[64:65], off
	s_or_b64 exec, exec, s[58:59]
	v_cmp_lt_u32_e64 s[58:59], v24, v182
	s_and_saveexec_b64 s[60:61], s[58:59]
	s_cbranch_execnz .LBB707_497
.LBB707_482:                            ;   in Loop: Header=BB707_392 Depth=2
	s_or_b64 exec, exec, s[60:61]
	v_cmp_lt_u32_e64 s[60:61], v26, v182
	s_and_saveexec_b64 s[62:63], s[60:61]
	s_cbranch_execz .LBB707_498
.LBB707_483:                            ;   in Loop: Header=BB707_392 Depth=2
	ds_read_b64 v[64:65], v104 offset:24576
	v_mov_b32_e32 v73, s77
	s_waitcnt lgkmcnt(0)
	v_lshrrev_b64 v[70:71], s33, v[64:65]
	v_and_b32_e32 v69, s69, v70
	v_lshlrev_b32_e32 v69, 2, v69
	ds_read_b32 v69, v69
	v_mov_b32_e32 v71, v4
	v_xor_b32_e32 v65, 0x7fffffff, v65
	v_not_b32_e32 v64, v64
	s_waitcnt lgkmcnt(0)
	v_add_u32_e32 v70, v69, v26
	v_lshlrev_b64 v[70:71], 3, v[70:71]
	v_add_co_u32_e32 v70, vcc, s76, v70
	v_addc_co_u32_e32 v71, vcc, v73, v71, vcc
	global_store_dwordx2 v[70:71], v[64:65], off
	s_or_b64 exec, exec, s[62:63]
	v_cmp_lt_u32_e64 s[62:63], v28, v182
	s_and_saveexec_b64 s[64:65], s[62:63]
	s_cbranch_execnz .LBB707_499
.LBB707_484:                            ;   in Loop: Header=BB707_392 Depth=2
	s_or_b64 exec, exec, s[64:65]
	v_cmp_lt_u32_e64 s[64:65], v30, v182
	s_and_saveexec_b64 s[66:67], s[64:65]
	s_cbranch_execz .LBB707_500
.LBB707_485:                            ;   in Loop: Header=BB707_392 Depth=2
	ds_read_b64 v[64:65], v104 offset:28672
	v_mov_b32_e32 v73, s77
	s_waitcnt lgkmcnt(0)
	v_lshrrev_b64 v[70:71], s33, v[64:65]
	v_and_b32_e32 v69, s69, v70
	v_lshlrev_b32_e32 v69, 2, v69
	ds_read_b32 v69, v69
	v_mov_b32_e32 v71, v4
	v_xor_b32_e32 v65, 0x7fffffff, v65
	v_not_b32_e32 v64, v64
	s_waitcnt lgkmcnt(0)
	v_add_u32_e32 v70, v69, v30
	v_lshlrev_b64 v[70:71], 3, v[70:71]
	v_add_co_u32_e32 v70, vcc, s76, v70
	v_addc_co_u32_e32 v71, vcc, v73, v71, vcc
	global_store_dwordx2 v[70:71], v[64:65], off
	s_or_b64 exec, exec, s[66:67]
	v_cmp_lt_u32_e64 s[66:67], v32, v182
	s_and_saveexec_b64 s[92:93], s[66:67]
	s_cbranch_execnz .LBB707_501
	s_branch .LBB707_502
.LBB707_486:                            ;   in Loop: Header=BB707_392 Depth=2
	s_or_b64 exec, exec, s[38:39]
	v_cmp_lt_u32_e64 s[38:39], v7, v182
	s_and_saveexec_b64 s[40:41], s[38:39]
	s_cbranch_execz .LBB707_472
.LBB707_487:                            ;   in Loop: Header=BB707_392 Depth=2
	ds_read_b64 v[64:65], v104 offset:2048
	v_mov_b32_e32 v73, s77
	s_waitcnt lgkmcnt(0)
	v_lshrrev_b64 v[70:71], s33, v[64:65]
	v_and_b32_e32 v69, s69, v70
	v_lshlrev_b32_e32 v69, 2, v69
	ds_read_b32 v69, v69
	v_mov_b32_e32 v71, v4
	v_xor_b32_e32 v65, 0x7fffffff, v65
	v_not_b32_e32 v64, v64
	s_waitcnt lgkmcnt(0)
	v_add_u32_e32 v70, v69, v7
	v_lshlrev_b64 v[70:71], 3, v[70:71]
	v_add_co_u32_e32 v70, vcc, s76, v70
	v_addc_co_u32_e32 v71, vcc, v73, v71, vcc
	global_store_dwordx2 v[70:71], v[64:65], off
	s_or_b64 exec, exec, s[40:41]
	v_cmp_lt_u32_e64 s[40:41], v6, v182
	s_and_saveexec_b64 s[42:43], s[40:41]
	s_cbranch_execnz .LBB707_473
.LBB707_488:                            ;   in Loop: Header=BB707_392 Depth=2
	s_or_b64 exec, exec, s[42:43]
	v_cmp_lt_u32_e64 s[42:43], v8, v182
	s_and_saveexec_b64 s[44:45], s[42:43]
	s_cbranch_execz .LBB707_474
.LBB707_489:                            ;   in Loop: Header=BB707_392 Depth=2
	ds_read_b64 v[64:65], v104 offset:6144
	v_mov_b32_e32 v73, s77
	s_waitcnt lgkmcnt(0)
	v_lshrrev_b64 v[70:71], s33, v[64:65]
	v_and_b32_e32 v69, s69, v70
	v_lshlrev_b32_e32 v69, 2, v69
	ds_read_b32 v69, v69
	v_mov_b32_e32 v71, v4
	v_xor_b32_e32 v65, 0x7fffffff, v65
	v_not_b32_e32 v64, v64
	s_waitcnt lgkmcnt(0)
	v_add_u32_e32 v70, v69, v8
	v_lshlrev_b64 v[70:71], 3, v[70:71]
	v_add_co_u32_e32 v70, vcc, s76, v70
	v_addc_co_u32_e32 v71, vcc, v73, v71, vcc
	global_store_dwordx2 v[70:71], v[64:65], off
	s_or_b64 exec, exec, s[44:45]
	v_cmp_lt_u32_e64 s[44:45], v10, v182
	s_and_saveexec_b64 s[46:47], s[44:45]
	s_cbranch_execnz .LBB707_475
.LBB707_490:                            ;   in Loop: Header=BB707_392 Depth=2
	s_or_b64 exec, exec, s[46:47]
	v_cmp_lt_u32_e64 s[46:47], v12, v182
	s_and_saveexec_b64 s[48:49], s[46:47]
	s_cbranch_execz .LBB707_476
.LBB707_491:                            ;   in Loop: Header=BB707_392 Depth=2
	ds_read_b64 v[64:65], v104 offset:10240
	v_mov_b32_e32 v73, s77
	s_waitcnt lgkmcnt(0)
	v_lshrrev_b64 v[70:71], s33, v[64:65]
	v_and_b32_e32 v69, s69, v70
	v_lshlrev_b32_e32 v69, 2, v69
	ds_read_b32 v69, v69
	v_mov_b32_e32 v71, v4
	v_xor_b32_e32 v65, 0x7fffffff, v65
	v_not_b32_e32 v64, v64
	s_waitcnt lgkmcnt(0)
	v_add_u32_e32 v70, v69, v12
	v_lshlrev_b64 v[70:71], 3, v[70:71]
	v_add_co_u32_e32 v70, vcc, s76, v70
	v_addc_co_u32_e32 v71, vcc, v73, v71, vcc
	global_store_dwordx2 v[70:71], v[64:65], off
	s_or_b64 exec, exec, s[48:49]
	v_cmp_lt_u32_e64 s[48:49], v14, v182
	s_and_saveexec_b64 s[50:51], s[48:49]
	s_cbranch_execnz .LBB707_477
.LBB707_492:                            ;   in Loop: Header=BB707_392 Depth=2
	s_or_b64 exec, exec, s[50:51]
	v_cmp_lt_u32_e64 s[50:51], v16, v182
	s_and_saveexec_b64 s[52:53], s[50:51]
	s_cbranch_execz .LBB707_478
.LBB707_493:                            ;   in Loop: Header=BB707_392 Depth=2
	ds_read_b64 v[64:65], v104 offset:14336
	v_mov_b32_e32 v73, s77
	s_waitcnt lgkmcnt(0)
	v_lshrrev_b64 v[70:71], s33, v[64:65]
	v_and_b32_e32 v69, s69, v70
	v_lshlrev_b32_e32 v69, 2, v69
	ds_read_b32 v69, v69
	v_mov_b32_e32 v71, v4
	v_xor_b32_e32 v65, 0x7fffffff, v65
	v_not_b32_e32 v64, v64
	s_waitcnt lgkmcnt(0)
	v_add_u32_e32 v70, v69, v16
	v_lshlrev_b64 v[70:71], 3, v[70:71]
	v_add_co_u32_e32 v70, vcc, s76, v70
	v_addc_co_u32_e32 v71, vcc, v73, v71, vcc
	global_store_dwordx2 v[70:71], v[64:65], off
	s_or_b64 exec, exec, s[52:53]
	v_cmp_lt_u32_e64 s[52:53], v18, v182
	s_and_saveexec_b64 s[54:55], s[52:53]
	s_cbranch_execnz .LBB707_479
.LBB707_494:                            ;   in Loop: Header=BB707_392 Depth=2
	s_or_b64 exec, exec, s[54:55]
	v_cmp_lt_u32_e64 s[54:55], v20, v182
	s_and_saveexec_b64 s[56:57], s[54:55]
	s_cbranch_execz .LBB707_480
.LBB707_495:                            ;   in Loop: Header=BB707_392 Depth=2
	ds_read_b64 v[64:65], v104 offset:18432
	v_mov_b32_e32 v73, s77
	s_waitcnt lgkmcnt(0)
	v_lshrrev_b64 v[70:71], s33, v[64:65]
	v_and_b32_e32 v69, s69, v70
	v_lshlrev_b32_e32 v69, 2, v69
	ds_read_b32 v69, v69
	v_mov_b32_e32 v71, v4
	v_xor_b32_e32 v65, 0x7fffffff, v65
	v_not_b32_e32 v64, v64
	s_waitcnt lgkmcnt(0)
	v_add_u32_e32 v70, v69, v20
	v_lshlrev_b64 v[70:71], 3, v[70:71]
	v_add_co_u32_e32 v70, vcc, s76, v70
	v_addc_co_u32_e32 v71, vcc, v73, v71, vcc
	global_store_dwordx2 v[70:71], v[64:65], off
	s_or_b64 exec, exec, s[56:57]
	v_cmp_lt_u32_e64 s[56:57], v22, v182
	s_and_saveexec_b64 s[58:59], s[56:57]
	s_cbranch_execnz .LBB707_481
.LBB707_496:                            ;   in Loop: Header=BB707_392 Depth=2
	s_or_b64 exec, exec, s[58:59]
	v_cmp_lt_u32_e64 s[58:59], v24, v182
	s_and_saveexec_b64 s[60:61], s[58:59]
	s_cbranch_execz .LBB707_482
.LBB707_497:                            ;   in Loop: Header=BB707_392 Depth=2
	ds_read_b64 v[64:65], v104 offset:22528
	v_mov_b32_e32 v73, s77
	s_waitcnt lgkmcnt(0)
	v_lshrrev_b64 v[70:71], s33, v[64:65]
	v_and_b32_e32 v69, s69, v70
	v_lshlrev_b32_e32 v69, 2, v69
	ds_read_b32 v69, v69
	v_mov_b32_e32 v71, v4
	v_xor_b32_e32 v65, 0x7fffffff, v65
	v_not_b32_e32 v64, v64
	s_waitcnt lgkmcnt(0)
	v_add_u32_e32 v70, v69, v24
	v_lshlrev_b64 v[70:71], 3, v[70:71]
	v_add_co_u32_e32 v70, vcc, s76, v70
	v_addc_co_u32_e32 v71, vcc, v73, v71, vcc
	global_store_dwordx2 v[70:71], v[64:65], off
	s_or_b64 exec, exec, s[60:61]
	v_cmp_lt_u32_e64 s[60:61], v26, v182
	s_and_saveexec_b64 s[62:63], s[60:61]
	s_cbranch_execnz .LBB707_483
.LBB707_498:                            ;   in Loop: Header=BB707_392 Depth=2
	s_or_b64 exec, exec, s[62:63]
	v_cmp_lt_u32_e64 s[62:63], v28, v182
	s_and_saveexec_b64 s[64:65], s[62:63]
	s_cbranch_execz .LBB707_484
.LBB707_499:                            ;   in Loop: Header=BB707_392 Depth=2
	ds_read_b64 v[64:65], v104 offset:26624
	v_mov_b32_e32 v73, s77
	s_waitcnt lgkmcnt(0)
	v_lshrrev_b64 v[70:71], s33, v[64:65]
	v_and_b32_e32 v69, s69, v70
	v_lshlrev_b32_e32 v69, 2, v69
	ds_read_b32 v69, v69
	v_mov_b32_e32 v71, v4
	v_xor_b32_e32 v65, 0x7fffffff, v65
	v_not_b32_e32 v64, v64
	s_waitcnt lgkmcnt(0)
	v_add_u32_e32 v70, v69, v28
	v_lshlrev_b64 v[70:71], 3, v[70:71]
	v_add_co_u32_e32 v70, vcc, s76, v70
	v_addc_co_u32_e32 v71, vcc, v73, v71, vcc
	global_store_dwordx2 v[70:71], v[64:65], off
	s_or_b64 exec, exec, s[64:65]
	v_cmp_lt_u32_e64 s[64:65], v30, v182
	s_and_saveexec_b64 s[66:67], s[64:65]
	s_cbranch_execnz .LBB707_485
.LBB707_500:                            ;   in Loop: Header=BB707_392 Depth=2
	s_or_b64 exec, exec, s[66:67]
	v_cmp_lt_u32_e64 s[66:67], v32, v182
	s_and_saveexec_b64 s[92:93], s[66:67]
	s_cbranch_execz .LBB707_502
.LBB707_501:                            ;   in Loop: Header=BB707_392 Depth=2
	ds_read_b64 v[64:65], v104 offset:30720
	s_waitcnt lgkmcnt(0)
	v_lshrrev_b64 v[70:71], s33, v[64:65]
	v_and_b32_e32 v69, s69, v70
	v_lshlrev_b32_e32 v69, 2, v69
	ds_read_b32 v69, v69
	v_mov_b32_e32 v71, v4
	v_xor_b32_e32 v65, 0x7fffffff, v65
	v_not_b32_e32 v64, v64
	s_waitcnt lgkmcnt(0)
	v_add_u32_e32 v70, v69, v32
	v_lshlrev_b64 v[70:71], 3, v[70:71]
	v_add_co_u32_e32 v70, vcc, s76, v70
	v_mov_b32_e32 v69, s77
	v_addc_co_u32_e32 v71, vcc, v69, v71, vcc
	global_store_dwordx2 v[70:71], v[64:65], off
.LBB707_502:                            ;   in Loop: Header=BB707_392 Depth=2
	s_or_b64 exec, exec, s[92:93]
	s_mov_b32 s79, s88
	s_lshl_b64 s[78:79], s[78:79], 3
	v_mov_b32_e32 v65, s79
	v_add_co_u32_e32 v64, vcc, s78, v159
	v_addc_co_u32_e32 v65, vcc, v160, v65, vcc
	v_cmp_lt_u32_e32 vcc, v142, v182
	s_and_saveexec_b64 s[78:79], vcc
	s_xor_b64 s[78:79], exec, s[78:79]
	s_cbranch_execz .LBB707_534
; %bb.503:                              ;   in Loop: Header=BB707_392 Depth=2
	global_load_dwordx2 v[62:63], v[64:65], off
	s_or_b64 exec, exec, s[78:79]
	v_cmp_lt_u32_e32 vcc, v143, v182
	s_and_saveexec_b64 s[78:79], vcc
	s_cbranch_execnz .LBB707_535
.LBB707_504:                            ;   in Loop: Header=BB707_392 Depth=2
	s_or_b64 exec, exec, s[78:79]
	v_cmp_lt_u32_e32 vcc, v144, v182
	s_and_saveexec_b64 s[78:79], vcc
	s_cbranch_execz .LBB707_536
.LBB707_505:                            ;   in Loop: Header=BB707_392 Depth=2
	global_load_dwordx2 v[58:59], v[64:65], off offset:1024
	s_or_b64 exec, exec, s[78:79]
	v_cmp_lt_u32_e32 vcc, v145, v182
	s_and_saveexec_b64 s[78:79], vcc
	s_cbranch_execnz .LBB707_537
.LBB707_506:                            ;   in Loop: Header=BB707_392 Depth=2
	s_or_b64 exec, exec, s[78:79]
	v_cmp_lt_u32_e32 vcc, v146, v182
	s_and_saveexec_b64 s[78:79], vcc
	s_cbranch_execz .LBB707_538
.LBB707_507:                            ;   in Loop: Header=BB707_392 Depth=2
	global_load_dwordx2 v[50:51], v[64:65], off offset:2048
	s_or_b64 exec, exec, s[78:79]
	v_cmp_lt_u32_e32 vcc, v147, v182
	s_and_saveexec_b64 s[78:79], vcc
	s_cbranch_execnz .LBB707_539
.LBB707_508:                            ;   in Loop: Header=BB707_392 Depth=2
	s_or_b64 exec, exec, s[78:79]
	v_cmp_lt_u32_e32 vcc, v148, v182
	s_and_saveexec_b64 s[78:79], vcc
	s_cbranch_execz .LBB707_540
.LBB707_509:                            ;   in Loop: Header=BB707_392 Depth=2
	global_load_dwordx2 v[42:43], v[64:65], off offset:3072
	s_or_b64 exec, exec, s[78:79]
	v_cmp_lt_u32_e32 vcc, v149, v182
	s_and_saveexec_b64 s[78:79], vcc
	s_cbranch_execnz .LBB707_541
.LBB707_510:                            ;   in Loop: Header=BB707_392 Depth=2
	s_or_b64 exec, exec, s[78:79]
	v_cmp_lt_u32_e32 vcc, v150, v182
	s_and_saveexec_b64 s[78:79], vcc
	s_cbranch_execz .LBB707_542
.LBB707_511:                            ;   in Loop: Header=BB707_392 Depth=2
	v_add_co_u32_e32 v56, vcc, 0x1000, v64
	v_addc_co_u32_e32 v57, vcc, 0, v65, vcc
	global_load_dwordx2 v[56:57], v[56:57], off
	s_or_b64 exec, exec, s[78:79]
	v_cmp_lt_u32_e32 vcc, v151, v182
	s_and_saveexec_b64 s[78:79], vcc
	s_cbranch_execnz .LBB707_543
.LBB707_512:                            ;   in Loop: Header=BB707_392 Depth=2
	s_or_b64 exec, exec, s[78:79]
	v_cmp_lt_u32_e32 vcc, v152, v182
	s_and_saveexec_b64 s[78:79], vcc
	s_cbranch_execz .LBB707_544
.LBB707_513:                            ;   in Loop: Header=BB707_392 Depth=2
	v_add_co_u32_e32 v48, vcc, 0x1000, v64
	v_addc_co_u32_e32 v49, vcc, 0, v65, vcc
	global_load_dwordx2 v[48:49], v[48:49], off offset:1024
	s_or_b64 exec, exec, s[78:79]
	v_cmp_lt_u32_e32 vcc, v153, v182
	s_and_saveexec_b64 s[78:79], vcc
	s_cbranch_execnz .LBB707_545
.LBB707_514:                            ;   in Loop: Header=BB707_392 Depth=2
	s_or_b64 exec, exec, s[78:79]
	v_cmp_lt_u32_e32 vcc, v154, v182
	s_and_saveexec_b64 s[78:79], vcc
	s_cbranch_execz .LBB707_546
.LBB707_515:                            ;   in Loop: Header=BB707_392 Depth=2
	v_add_co_u32_e32 v40, vcc, 0x1000, v64
	v_addc_co_u32_e32 v41, vcc, 0, v65, vcc
	global_load_dwordx2 v[40:41], v[40:41], off offset:2048
	s_or_b64 exec, exec, s[78:79]
	v_cmp_lt_u32_e32 vcc, v155, v182
	s_and_saveexec_b64 s[78:79], vcc
	s_cbranch_execnz .LBB707_547
.LBB707_516:                            ;   in Loop: Header=BB707_392 Depth=2
	s_or_b64 exec, exec, s[78:79]
	v_cmp_lt_u32_e32 vcc, v156, v182
	s_and_saveexec_b64 s[78:79], vcc
	s_cbranch_execz .LBB707_548
.LBB707_517:                            ;   in Loop: Header=BB707_392 Depth=2
	v_add_co_u32_e32 v34, vcc, 0x1000, v64
	v_addc_co_u32_e32 v35, vcc, 0, v65, vcc
	global_load_dwordx2 v[34:35], v[34:35], off offset:3072
	s_or_b64 exec, exec, s[78:79]
	v_cmp_lt_u32_e32 vcc, v157, v182
	s_and_saveexec_b64 s[78:79], vcc
	s_cbranch_execnz .LBB707_549
.LBB707_518:                            ;   in Loop: Header=BB707_392 Depth=2
	s_or_b64 exec, exec, s[78:79]
	s_and_saveexec_b64 s[78:79], s[36:37]
	s_cbranch_execz .LBB707_550
.LBB707_519:                            ;   in Loop: Header=BB707_392 Depth=2
	v_add_u32_e32 v64, v33, v3
	ds_read_b64 v[64:65], v64 offset:1024
	s_waitcnt lgkmcnt(0)
	v_lshrrev_b64 v[64:65], s33, v[64:65]
	v_and_b32_e32 v180, s69, v64
	s_or_b64 exec, exec, s[78:79]
	s_and_saveexec_b64 s[78:79], s[38:39]
	s_cbranch_execnz .LBB707_551
.LBB707_520:                            ;   in Loop: Header=BB707_392 Depth=2
	s_or_b64 exec, exec, s[78:79]
	s_and_saveexec_b64 s[78:79], s[40:41]
	s_cbranch_execz .LBB707_552
.LBB707_521:                            ;   in Loop: Header=BB707_392 Depth=2
	ds_read_b64 v[64:65], v104 offset:4096
	s_waitcnt lgkmcnt(0)
	v_lshrrev_b64 v[64:65], s33, v[64:65]
	v_and_b32_e32 v177, s69, v64
	s_or_b64 exec, exec, s[78:79]
	s_and_saveexec_b64 s[78:79], s[42:43]
	s_cbranch_execnz .LBB707_553
.LBB707_522:                            ;   in Loop: Header=BB707_392 Depth=2
	s_or_b64 exec, exec, s[78:79]
	s_and_saveexec_b64 s[78:79], s[44:45]
	s_cbranch_execz .LBB707_554
.LBB707_523:                            ;   in Loop: Header=BB707_392 Depth=2
	ds_read_b64 v[64:65], v104 offset:8192
	s_waitcnt lgkmcnt(0)
	v_lshrrev_b64 v[64:65], s33, v[64:65]
	v_and_b32_e32 v174, s69, v64
	s_or_b64 exec, exec, s[78:79]
	s_and_saveexec_b64 s[78:79], s[46:47]
	s_cbranch_execnz .LBB707_555
.LBB707_524:                            ;   in Loop: Header=BB707_392 Depth=2
	s_or_b64 exec, exec, s[78:79]
	s_and_saveexec_b64 s[78:79], s[48:49]
	s_cbranch_execz .LBB707_556
.LBB707_525:                            ;   in Loop: Header=BB707_392 Depth=2
	ds_read_b64 v[64:65], v104 offset:12288
	s_waitcnt lgkmcnt(0)
	v_lshrrev_b64 v[64:65], s33, v[64:65]
	v_and_b32_e32 v172, s69, v64
	s_or_b64 exec, exec, s[78:79]
	s_and_saveexec_b64 s[78:79], s[50:51]
	s_cbranch_execnz .LBB707_557
.LBB707_526:                            ;   in Loop: Header=BB707_392 Depth=2
	s_or_b64 exec, exec, s[78:79]
	s_and_saveexec_b64 s[78:79], s[52:53]
	s_cbranch_execz .LBB707_558
.LBB707_527:                            ;   in Loop: Header=BB707_392 Depth=2
	ds_read_b64 v[64:65], v104 offset:16384
	s_waitcnt lgkmcnt(0)
	v_lshrrev_b64 v[64:65], s33, v[64:65]
	v_and_b32_e32 v170, s69, v64
	s_or_b64 exec, exec, s[78:79]
	s_and_saveexec_b64 s[78:79], s[54:55]
	s_cbranch_execnz .LBB707_559
.LBB707_528:                            ;   in Loop: Header=BB707_392 Depth=2
	s_or_b64 exec, exec, s[78:79]
	s_and_saveexec_b64 s[78:79], s[56:57]
	s_cbranch_execz .LBB707_560
.LBB707_529:                            ;   in Loop: Header=BB707_392 Depth=2
	ds_read_b64 v[64:65], v104 offset:20480
	s_waitcnt lgkmcnt(0)
	v_lshrrev_b64 v[64:65], s33, v[64:65]
	v_and_b32_e32 v168, s69, v64
	s_or_b64 exec, exec, s[78:79]
	s_and_saveexec_b64 s[78:79], s[58:59]
	s_cbranch_execnz .LBB707_561
.LBB707_530:                            ;   in Loop: Header=BB707_392 Depth=2
	s_or_b64 exec, exec, s[78:79]
	s_and_saveexec_b64 s[78:79], s[60:61]
	s_cbranch_execz .LBB707_562
.LBB707_531:                            ;   in Loop: Header=BB707_392 Depth=2
	ds_read_b64 v[64:65], v104 offset:24576
	s_waitcnt lgkmcnt(0)
	v_lshrrev_b64 v[64:65], s33, v[64:65]
	v_and_b32_e32 v166, s69, v64
	s_or_b64 exec, exec, s[78:79]
	s_and_saveexec_b64 s[78:79], s[62:63]
	s_cbranch_execnz .LBB707_563
.LBB707_532:                            ;   in Loop: Header=BB707_392 Depth=2
	s_or_b64 exec, exec, s[78:79]
	s_and_saveexec_b64 s[78:79], s[64:65]
	s_cbranch_execz .LBB707_564
.LBB707_533:                            ;   in Loop: Header=BB707_392 Depth=2
	ds_read_b64 v[64:65], v104 offset:28672
	s_waitcnt lgkmcnt(0)
	v_lshrrev_b64 v[64:65], s33, v[64:65]
	v_and_b32_e32 v164, s69, v64
	s_or_b64 exec, exec, s[78:79]
	s_and_saveexec_b64 s[78:79], s[66:67]
	s_cbranch_execnz .LBB707_565
	s_branch .LBB707_566
.LBB707_534:                            ;   in Loop: Header=BB707_392 Depth=2
	s_or_b64 exec, exec, s[78:79]
	v_cmp_lt_u32_e32 vcc, v143, v182
	s_and_saveexec_b64 s[78:79], vcc
	s_cbranch_execz .LBB707_504
.LBB707_535:                            ;   in Loop: Header=BB707_392 Depth=2
	global_load_dwordx2 v[60:61], v[64:65], off offset:512
	s_or_b64 exec, exec, s[78:79]
	v_cmp_lt_u32_e32 vcc, v144, v182
	s_and_saveexec_b64 s[78:79], vcc
	s_cbranch_execnz .LBB707_505
.LBB707_536:                            ;   in Loop: Header=BB707_392 Depth=2
	s_or_b64 exec, exec, s[78:79]
	v_cmp_lt_u32_e32 vcc, v145, v182
	s_and_saveexec_b64 s[78:79], vcc
	s_cbranch_execz .LBB707_506
.LBB707_537:                            ;   in Loop: Header=BB707_392 Depth=2
	global_load_dwordx2 v[54:55], v[64:65], off offset:1536
	s_or_b64 exec, exec, s[78:79]
	v_cmp_lt_u32_e32 vcc, v146, v182
	s_and_saveexec_b64 s[78:79], vcc
	s_cbranch_execnz .LBB707_507
.LBB707_538:                            ;   in Loop: Header=BB707_392 Depth=2
	s_or_b64 exec, exec, s[78:79]
	v_cmp_lt_u32_e32 vcc, v147, v182
	s_and_saveexec_b64 s[78:79], vcc
	s_cbranch_execz .LBB707_508
.LBB707_539:                            ;   in Loop: Header=BB707_392 Depth=2
	global_load_dwordx2 v[46:47], v[64:65], off offset:2560
	s_or_b64 exec, exec, s[78:79]
	v_cmp_lt_u32_e32 vcc, v148, v182
	s_and_saveexec_b64 s[78:79], vcc
	s_cbranch_execnz .LBB707_509
.LBB707_540:                            ;   in Loop: Header=BB707_392 Depth=2
	s_or_b64 exec, exec, s[78:79]
	v_cmp_lt_u32_e32 vcc, v149, v182
	s_and_saveexec_b64 s[78:79], vcc
	s_cbranch_execz .LBB707_510
.LBB707_541:                            ;   in Loop: Header=BB707_392 Depth=2
	global_load_dwordx2 v[38:39], v[64:65], off offset:3584
	s_or_b64 exec, exec, s[78:79]
	v_cmp_lt_u32_e32 vcc, v150, v182
	s_and_saveexec_b64 s[78:79], vcc
	s_cbranch_execnz .LBB707_511
.LBB707_542:                            ;   in Loop: Header=BB707_392 Depth=2
	s_or_b64 exec, exec, s[78:79]
	v_cmp_lt_u32_e32 vcc, v151, v182
	s_and_saveexec_b64 s[78:79], vcc
	s_cbranch_execz .LBB707_512
.LBB707_543:                            ;   in Loop: Header=BB707_392 Depth=2
	v_add_co_u32_e32 v52, vcc, 0x1000, v64
	v_addc_co_u32_e32 v53, vcc, 0, v65, vcc
	global_load_dwordx2 v[52:53], v[52:53], off offset:512
	s_or_b64 exec, exec, s[78:79]
	v_cmp_lt_u32_e32 vcc, v152, v182
	s_and_saveexec_b64 s[78:79], vcc
	s_cbranch_execnz .LBB707_513
.LBB707_544:                            ;   in Loop: Header=BB707_392 Depth=2
	s_or_b64 exec, exec, s[78:79]
	v_cmp_lt_u32_e32 vcc, v153, v182
	s_and_saveexec_b64 s[78:79], vcc
	s_cbranch_execz .LBB707_514
.LBB707_545:                            ;   in Loop: Header=BB707_392 Depth=2
	v_add_co_u32_e32 v44, vcc, 0x1000, v64
	v_addc_co_u32_e32 v45, vcc, 0, v65, vcc
	global_load_dwordx2 v[44:45], v[44:45], off offset:1536
	s_or_b64 exec, exec, s[78:79]
	v_cmp_lt_u32_e32 vcc, v154, v182
	s_and_saveexec_b64 s[78:79], vcc
	s_cbranch_execnz .LBB707_515
.LBB707_546:                            ;   in Loop: Header=BB707_392 Depth=2
	s_or_b64 exec, exec, s[78:79]
	v_cmp_lt_u32_e32 vcc, v155, v182
	s_and_saveexec_b64 s[78:79], vcc
	s_cbranch_execz .LBB707_516
.LBB707_547:                            ;   in Loop: Header=BB707_392 Depth=2
	v_add_co_u32_e32 v36, vcc, 0x1000, v64
	v_addc_co_u32_e32 v37, vcc, 0, v65, vcc
	global_load_dwordx2 v[36:37], v[36:37], off offset:2560
	s_or_b64 exec, exec, s[78:79]
	v_cmp_lt_u32_e32 vcc, v156, v182
	s_and_saveexec_b64 s[78:79], vcc
	s_cbranch_execnz .LBB707_517
.LBB707_548:                            ;   in Loop: Header=BB707_392 Depth=2
	s_or_b64 exec, exec, s[78:79]
	v_cmp_lt_u32_e32 vcc, v157, v182
	s_and_saveexec_b64 s[78:79], vcc
	s_cbranch_execz .LBB707_518
.LBB707_549:                            ;   in Loop: Header=BB707_392 Depth=2
	v_add_co_u32_e32 v0, vcc, 0x1000, v64
	v_addc_co_u32_e32 v1, vcc, 0, v65, vcc
	global_load_dwordx2 v[0:1], v[0:1], off offset:3584
	s_or_b64 exec, exec, s[78:79]
	s_and_saveexec_b64 s[78:79], s[36:37]
	s_cbranch_execnz .LBB707_519
.LBB707_550:                            ;   in Loop: Header=BB707_392 Depth=2
	s_or_b64 exec, exec, s[78:79]
	s_and_saveexec_b64 s[78:79], s[38:39]
	s_cbranch_execz .LBB707_520
.LBB707_551:                            ;   in Loop: Header=BB707_392 Depth=2
	ds_read_b64 v[64:65], v104 offset:2048
	s_waitcnt lgkmcnt(0)
	v_lshrrev_b64 v[64:65], s33, v[64:65]
	v_and_b32_e32 v178, s69, v64
	s_or_b64 exec, exec, s[78:79]
	s_and_saveexec_b64 s[78:79], s[40:41]
	s_cbranch_execnz .LBB707_521
.LBB707_552:                            ;   in Loop: Header=BB707_392 Depth=2
	s_or_b64 exec, exec, s[78:79]
	s_and_saveexec_b64 s[78:79], s[42:43]
	s_cbranch_execz .LBB707_522
.LBB707_553:                            ;   in Loop: Header=BB707_392 Depth=2
	ds_read_b64 v[64:65], v104 offset:6144
	s_waitcnt lgkmcnt(0)
	v_lshrrev_b64 v[64:65], s33, v[64:65]
	v_and_b32_e32 v175, s69, v64
	s_or_b64 exec, exec, s[78:79]
	s_and_saveexec_b64 s[78:79], s[44:45]
	s_cbranch_execnz .LBB707_523
.LBB707_554:                            ;   in Loop: Header=BB707_392 Depth=2
	s_or_b64 exec, exec, s[78:79]
	s_and_saveexec_b64 s[78:79], s[46:47]
	s_cbranch_execz .LBB707_524
.LBB707_555:                            ;   in Loop: Header=BB707_392 Depth=2
	ds_read_b64 v[64:65], v104 offset:10240
	s_waitcnt lgkmcnt(0)
	v_lshrrev_b64 v[64:65], s33, v[64:65]
	v_and_b32_e32 v173, s69, v64
	s_or_b64 exec, exec, s[78:79]
	s_and_saveexec_b64 s[78:79], s[48:49]
	s_cbranch_execnz .LBB707_525
.LBB707_556:                            ;   in Loop: Header=BB707_392 Depth=2
	s_or_b64 exec, exec, s[78:79]
	s_and_saveexec_b64 s[78:79], s[50:51]
	s_cbranch_execz .LBB707_526
.LBB707_557:                            ;   in Loop: Header=BB707_392 Depth=2
	ds_read_b64 v[64:65], v104 offset:14336
	s_waitcnt lgkmcnt(0)
	v_lshrrev_b64 v[64:65], s33, v[64:65]
	v_and_b32_e32 v171, s69, v64
	s_or_b64 exec, exec, s[78:79]
	s_and_saveexec_b64 s[78:79], s[52:53]
	s_cbranch_execnz .LBB707_527
.LBB707_558:                            ;   in Loop: Header=BB707_392 Depth=2
	s_or_b64 exec, exec, s[78:79]
	s_and_saveexec_b64 s[78:79], s[54:55]
	s_cbranch_execz .LBB707_528
.LBB707_559:                            ;   in Loop: Header=BB707_392 Depth=2
	ds_read_b64 v[64:65], v104 offset:18432
	s_waitcnt lgkmcnt(0)
	v_lshrrev_b64 v[64:65], s33, v[64:65]
	v_and_b32_e32 v169, s69, v64
	s_or_b64 exec, exec, s[78:79]
	s_and_saveexec_b64 s[78:79], s[56:57]
	s_cbranch_execnz .LBB707_529
.LBB707_560:                            ;   in Loop: Header=BB707_392 Depth=2
	s_or_b64 exec, exec, s[78:79]
	s_and_saveexec_b64 s[78:79], s[58:59]
	s_cbranch_execz .LBB707_530
.LBB707_561:                            ;   in Loop: Header=BB707_392 Depth=2
	ds_read_b64 v[64:65], v104 offset:22528
	s_waitcnt lgkmcnt(0)
	v_lshrrev_b64 v[64:65], s33, v[64:65]
	v_and_b32_e32 v167, s69, v64
	s_or_b64 exec, exec, s[78:79]
	s_and_saveexec_b64 s[78:79], s[60:61]
	s_cbranch_execnz .LBB707_531
.LBB707_562:                            ;   in Loop: Header=BB707_392 Depth=2
	s_or_b64 exec, exec, s[78:79]
	s_and_saveexec_b64 s[78:79], s[62:63]
	s_cbranch_execz .LBB707_532
.LBB707_563:                            ;   in Loop: Header=BB707_392 Depth=2
	ds_read_b64 v[64:65], v104 offset:26624
	s_waitcnt lgkmcnt(0)
	v_lshrrev_b64 v[64:65], s33, v[64:65]
	v_and_b32_e32 v165, s69, v64
	s_or_b64 exec, exec, s[78:79]
	s_and_saveexec_b64 s[78:79], s[64:65]
	s_cbranch_execnz .LBB707_533
.LBB707_564:                            ;   in Loop: Header=BB707_392 Depth=2
	s_or_b64 exec, exec, s[78:79]
	s_and_saveexec_b64 s[78:79], s[66:67]
	s_cbranch_execz .LBB707_566
.LBB707_565:                            ;   in Loop: Header=BB707_392 Depth=2
	ds_read_b64 v[64:65], v104 offset:30720
	s_waitcnt lgkmcnt(0)
	v_lshrrev_b64 v[64:65], s33, v[64:65]
	v_and_b32_e32 v163, s69, v64
.LBB707_566:                            ;   in Loop: Header=BB707_392 Depth=2
	s_or_b64 exec, exec, s[78:79]
	v_add_u32_e32 v64, 0x400, v96
	v_add_u32_e32 v65, 0x400, v97
	;; [unrolled: 1-line block ×16, first 2 shown]
	s_barrier
	s_waitcnt vmcnt(0)
	ds_write_b64 v64, v[62:63]
	ds_write_b64 v65, v[60:61]
	;; [unrolled: 1-line block ×16, first 2 shown]
	s_waitcnt lgkmcnt(0)
	s_barrier
	s_and_saveexec_b64 s[78:79], s[36:37]
	s_cbranch_execz .LBB707_582
; %bb.567:                              ;   in Loop: Header=BB707_392 Depth=2
	v_lshlrev_b32_e32 v64, 2, v180
	ds_read_b32 v66, v64
	v_add_u32_e32 v64, v33, v3
	ds_read_b64 v[64:65], v64 offset:1024
	v_mov_b32_e32 v67, v4
	v_mov_b32_e32 v68, s83
	s_waitcnt lgkmcnt(1)
	v_add_u32_e32 v66, v66, v2
	v_lshlrev_b64 v[66:67], 3, v[66:67]
	v_add_co_u32_e32 v66, vcc, s82, v66
	v_addc_co_u32_e32 v67, vcc, v68, v67, vcc
	s_waitcnt lgkmcnt(0)
	global_store_dwordx2 v[66:67], v[64:65], off
	s_or_b64 exec, exec, s[78:79]
	s_and_saveexec_b64 s[36:37], s[38:39]
	s_cbranch_execnz .LBB707_583
.LBB707_568:                            ;   in Loop: Header=BB707_392 Depth=2
	s_or_b64 exec, exec, s[36:37]
	s_and_saveexec_b64 s[36:37], s[40:41]
	s_cbranch_execz .LBB707_584
.LBB707_569:                            ;   in Loop: Header=BB707_392 Depth=2
	v_lshlrev_b32_e32 v64, 2, v177
	ds_read_b32 v66, v64
	ds_read_b64 v[64:65], v104 offset:4096
	v_mov_b32_e32 v67, v4
	v_mov_b32_e32 v68, s83
	s_waitcnt lgkmcnt(1)
	v_add_u32_e32 v66, v66, v6
	v_lshlrev_b64 v[66:67], 3, v[66:67]
	v_add_co_u32_e32 v66, vcc, s82, v66
	v_addc_co_u32_e32 v67, vcc, v68, v67, vcc
	s_waitcnt lgkmcnt(0)
	global_store_dwordx2 v[66:67], v[64:65], off
	s_or_b64 exec, exec, s[36:37]
	s_and_saveexec_b64 s[36:37], s[42:43]
	s_cbranch_execnz .LBB707_585
.LBB707_570:                            ;   in Loop: Header=BB707_392 Depth=2
	s_or_b64 exec, exec, s[36:37]
	s_and_saveexec_b64 s[36:37], s[44:45]
	s_cbranch_execz .LBB707_586
.LBB707_571:                            ;   in Loop: Header=BB707_392 Depth=2
	v_lshlrev_b32_e32 v64, 2, v174
	ds_read_b32 v66, v64
	ds_read_b64 v[64:65], v104 offset:8192
	v_mov_b32_e32 v67, v4
	v_mov_b32_e32 v68, s83
	s_waitcnt lgkmcnt(1)
	v_add_u32_e32 v66, v66, v10
	v_lshlrev_b64 v[66:67], 3, v[66:67]
	v_add_co_u32_e32 v66, vcc, s82, v66
	v_addc_co_u32_e32 v67, vcc, v68, v67, vcc
	s_waitcnt lgkmcnt(0)
	global_store_dwordx2 v[66:67], v[64:65], off
	s_or_b64 exec, exec, s[36:37]
	s_and_saveexec_b64 s[36:37], s[46:47]
	s_cbranch_execnz .LBB707_587
.LBB707_572:                            ;   in Loop: Header=BB707_392 Depth=2
	s_or_b64 exec, exec, s[36:37]
	s_and_saveexec_b64 s[36:37], s[48:49]
	s_cbranch_execz .LBB707_588
.LBB707_573:                            ;   in Loop: Header=BB707_392 Depth=2
	v_lshlrev_b32_e32 v64, 2, v172
	ds_read_b32 v66, v64
	ds_read_b64 v[64:65], v104 offset:12288
	v_mov_b32_e32 v67, v4
	v_mov_b32_e32 v68, s83
	s_waitcnt lgkmcnt(1)
	v_add_u32_e32 v66, v66, v14
	v_lshlrev_b64 v[66:67], 3, v[66:67]
	v_add_co_u32_e32 v66, vcc, s82, v66
	v_addc_co_u32_e32 v67, vcc, v68, v67, vcc
	s_waitcnt lgkmcnt(0)
	global_store_dwordx2 v[66:67], v[64:65], off
	s_or_b64 exec, exec, s[36:37]
	s_and_saveexec_b64 s[36:37], s[50:51]
	s_cbranch_execnz .LBB707_589
.LBB707_574:                            ;   in Loop: Header=BB707_392 Depth=2
	s_or_b64 exec, exec, s[36:37]
	s_and_saveexec_b64 s[36:37], s[52:53]
	s_cbranch_execz .LBB707_590
.LBB707_575:                            ;   in Loop: Header=BB707_392 Depth=2
	v_lshlrev_b32_e32 v64, 2, v170
	ds_read_b32 v66, v64
	ds_read_b64 v[64:65], v104 offset:16384
	v_mov_b32_e32 v67, v4
	v_mov_b32_e32 v68, s83
	s_waitcnt lgkmcnt(1)
	v_add_u32_e32 v66, v66, v18
	v_lshlrev_b64 v[66:67], 3, v[66:67]
	v_add_co_u32_e32 v66, vcc, s82, v66
	v_addc_co_u32_e32 v67, vcc, v68, v67, vcc
	s_waitcnt lgkmcnt(0)
	global_store_dwordx2 v[66:67], v[64:65], off
	s_or_b64 exec, exec, s[36:37]
	s_and_saveexec_b64 s[36:37], s[54:55]
	s_cbranch_execnz .LBB707_591
.LBB707_576:                            ;   in Loop: Header=BB707_392 Depth=2
	s_or_b64 exec, exec, s[36:37]
	s_and_saveexec_b64 s[36:37], s[56:57]
	s_cbranch_execz .LBB707_592
.LBB707_577:                            ;   in Loop: Header=BB707_392 Depth=2
	v_lshlrev_b32_e32 v64, 2, v168
	ds_read_b32 v66, v64
	ds_read_b64 v[64:65], v104 offset:20480
	v_mov_b32_e32 v67, v4
	v_mov_b32_e32 v68, s83
	s_waitcnt lgkmcnt(1)
	v_add_u32_e32 v66, v66, v22
	v_lshlrev_b64 v[66:67], 3, v[66:67]
	v_add_co_u32_e32 v66, vcc, s82, v66
	v_addc_co_u32_e32 v67, vcc, v68, v67, vcc
	s_waitcnt lgkmcnt(0)
	global_store_dwordx2 v[66:67], v[64:65], off
	s_or_b64 exec, exec, s[36:37]
	s_and_saveexec_b64 s[36:37], s[58:59]
	s_cbranch_execnz .LBB707_593
.LBB707_578:                            ;   in Loop: Header=BB707_392 Depth=2
	s_or_b64 exec, exec, s[36:37]
	s_and_saveexec_b64 s[36:37], s[60:61]
	s_cbranch_execz .LBB707_594
.LBB707_579:                            ;   in Loop: Header=BB707_392 Depth=2
	v_lshlrev_b32_e32 v64, 2, v166
	ds_read_b32 v66, v64
	ds_read_b64 v[64:65], v104 offset:24576
	v_mov_b32_e32 v67, v4
	v_mov_b32_e32 v68, s83
	s_waitcnt lgkmcnt(1)
	v_add_u32_e32 v66, v66, v26
	v_lshlrev_b64 v[66:67], 3, v[66:67]
	v_add_co_u32_e32 v66, vcc, s82, v66
	v_addc_co_u32_e32 v67, vcc, v68, v67, vcc
	s_waitcnt lgkmcnt(0)
	global_store_dwordx2 v[66:67], v[64:65], off
	s_or_b64 exec, exec, s[36:37]
	s_and_saveexec_b64 s[36:37], s[62:63]
	s_cbranch_execnz .LBB707_595
.LBB707_580:                            ;   in Loop: Header=BB707_392 Depth=2
	s_or_b64 exec, exec, s[36:37]
	s_and_saveexec_b64 s[36:37], s[64:65]
	s_cbranch_execz .LBB707_596
.LBB707_581:                            ;   in Loop: Header=BB707_392 Depth=2
	v_lshlrev_b32_e32 v64, 2, v164
	ds_read_b32 v66, v64
	ds_read_b64 v[64:65], v104 offset:28672
	v_mov_b32_e32 v67, v4
	v_mov_b32_e32 v68, s83
	s_waitcnt lgkmcnt(1)
	v_add_u32_e32 v66, v66, v30
	v_lshlrev_b64 v[66:67], 3, v[66:67]
	v_add_co_u32_e32 v66, vcc, s82, v66
	v_addc_co_u32_e32 v67, vcc, v68, v67, vcc
	s_waitcnt lgkmcnt(0)
	global_store_dwordx2 v[66:67], v[64:65], off
	s_or_b64 exec, exec, s[36:37]
	s_and_saveexec_b64 s[36:37], s[66:67]
	s_cbranch_execnz .LBB707_597
	s_branch .LBB707_598
.LBB707_582:                            ;   in Loop: Header=BB707_392 Depth=2
	s_or_b64 exec, exec, s[78:79]
	s_and_saveexec_b64 s[36:37], s[38:39]
	s_cbranch_execz .LBB707_568
.LBB707_583:                            ;   in Loop: Header=BB707_392 Depth=2
	v_lshlrev_b32_e32 v64, 2, v178
	ds_read_b32 v66, v64
	ds_read_b64 v[64:65], v104 offset:2048
	v_mov_b32_e32 v67, v4
	v_mov_b32_e32 v68, s83
	s_waitcnt lgkmcnt(1)
	v_add_u32_e32 v66, v66, v7
	v_lshlrev_b64 v[66:67], 3, v[66:67]
	v_add_co_u32_e32 v66, vcc, s82, v66
	v_addc_co_u32_e32 v67, vcc, v68, v67, vcc
	s_waitcnt lgkmcnt(0)
	global_store_dwordx2 v[66:67], v[64:65], off
	s_or_b64 exec, exec, s[36:37]
	s_and_saveexec_b64 s[36:37], s[40:41]
	s_cbranch_execnz .LBB707_569
.LBB707_584:                            ;   in Loop: Header=BB707_392 Depth=2
	s_or_b64 exec, exec, s[36:37]
	s_and_saveexec_b64 s[36:37], s[42:43]
	s_cbranch_execz .LBB707_570
.LBB707_585:                            ;   in Loop: Header=BB707_392 Depth=2
	v_lshlrev_b32_e32 v64, 2, v175
	ds_read_b32 v66, v64
	ds_read_b64 v[64:65], v104 offset:6144
	v_mov_b32_e32 v67, v4
	v_mov_b32_e32 v68, s83
	s_waitcnt lgkmcnt(1)
	v_add_u32_e32 v66, v66, v8
	v_lshlrev_b64 v[66:67], 3, v[66:67]
	v_add_co_u32_e32 v66, vcc, s82, v66
	v_addc_co_u32_e32 v67, vcc, v68, v67, vcc
	s_waitcnt lgkmcnt(0)
	global_store_dwordx2 v[66:67], v[64:65], off
	s_or_b64 exec, exec, s[36:37]
	s_and_saveexec_b64 s[36:37], s[44:45]
	s_cbranch_execnz .LBB707_571
.LBB707_586:                            ;   in Loop: Header=BB707_392 Depth=2
	s_or_b64 exec, exec, s[36:37]
	s_and_saveexec_b64 s[36:37], s[46:47]
	s_cbranch_execz .LBB707_572
.LBB707_587:                            ;   in Loop: Header=BB707_392 Depth=2
	v_lshlrev_b32_e32 v64, 2, v173
	ds_read_b32 v66, v64
	ds_read_b64 v[64:65], v104 offset:10240
	v_mov_b32_e32 v67, v4
	v_mov_b32_e32 v68, s83
	s_waitcnt lgkmcnt(1)
	v_add_u32_e32 v66, v66, v12
	v_lshlrev_b64 v[66:67], 3, v[66:67]
	v_add_co_u32_e32 v66, vcc, s82, v66
	v_addc_co_u32_e32 v67, vcc, v68, v67, vcc
	s_waitcnt lgkmcnt(0)
	global_store_dwordx2 v[66:67], v[64:65], off
	s_or_b64 exec, exec, s[36:37]
	s_and_saveexec_b64 s[36:37], s[48:49]
	s_cbranch_execnz .LBB707_573
.LBB707_588:                            ;   in Loop: Header=BB707_392 Depth=2
	s_or_b64 exec, exec, s[36:37]
	s_and_saveexec_b64 s[36:37], s[50:51]
	s_cbranch_execz .LBB707_574
.LBB707_589:                            ;   in Loop: Header=BB707_392 Depth=2
	v_lshlrev_b32_e32 v64, 2, v171
	ds_read_b32 v66, v64
	ds_read_b64 v[64:65], v104 offset:14336
	v_mov_b32_e32 v67, v4
	v_mov_b32_e32 v68, s83
	s_waitcnt lgkmcnt(1)
	v_add_u32_e32 v66, v66, v16
	v_lshlrev_b64 v[66:67], 3, v[66:67]
	v_add_co_u32_e32 v66, vcc, s82, v66
	v_addc_co_u32_e32 v67, vcc, v68, v67, vcc
	s_waitcnt lgkmcnt(0)
	global_store_dwordx2 v[66:67], v[64:65], off
	s_or_b64 exec, exec, s[36:37]
	s_and_saveexec_b64 s[36:37], s[52:53]
	s_cbranch_execnz .LBB707_575
.LBB707_590:                            ;   in Loop: Header=BB707_392 Depth=2
	s_or_b64 exec, exec, s[36:37]
	s_and_saveexec_b64 s[36:37], s[54:55]
	s_cbranch_execz .LBB707_576
.LBB707_591:                            ;   in Loop: Header=BB707_392 Depth=2
	v_lshlrev_b32_e32 v64, 2, v169
	ds_read_b32 v66, v64
	ds_read_b64 v[64:65], v104 offset:18432
	v_mov_b32_e32 v67, v4
	v_mov_b32_e32 v68, s83
	s_waitcnt lgkmcnt(1)
	v_add_u32_e32 v66, v66, v20
	v_lshlrev_b64 v[66:67], 3, v[66:67]
	v_add_co_u32_e32 v66, vcc, s82, v66
	v_addc_co_u32_e32 v67, vcc, v68, v67, vcc
	s_waitcnt lgkmcnt(0)
	global_store_dwordx2 v[66:67], v[64:65], off
	s_or_b64 exec, exec, s[36:37]
	s_and_saveexec_b64 s[36:37], s[56:57]
	s_cbranch_execnz .LBB707_577
.LBB707_592:                            ;   in Loop: Header=BB707_392 Depth=2
	s_or_b64 exec, exec, s[36:37]
	s_and_saveexec_b64 s[36:37], s[58:59]
	s_cbranch_execz .LBB707_578
.LBB707_593:                            ;   in Loop: Header=BB707_392 Depth=2
	v_lshlrev_b32_e32 v64, 2, v167
	ds_read_b32 v66, v64
	ds_read_b64 v[64:65], v104 offset:22528
	v_mov_b32_e32 v67, v4
	v_mov_b32_e32 v68, s83
	s_waitcnt lgkmcnt(1)
	v_add_u32_e32 v66, v66, v24
	v_lshlrev_b64 v[66:67], 3, v[66:67]
	v_add_co_u32_e32 v66, vcc, s82, v66
	v_addc_co_u32_e32 v67, vcc, v68, v67, vcc
	s_waitcnt lgkmcnt(0)
	global_store_dwordx2 v[66:67], v[64:65], off
	s_or_b64 exec, exec, s[36:37]
	s_and_saveexec_b64 s[36:37], s[60:61]
	s_cbranch_execnz .LBB707_579
.LBB707_594:                            ;   in Loop: Header=BB707_392 Depth=2
	s_or_b64 exec, exec, s[36:37]
	s_and_saveexec_b64 s[36:37], s[62:63]
	s_cbranch_execz .LBB707_580
.LBB707_595:                            ;   in Loop: Header=BB707_392 Depth=2
	v_lshlrev_b32_e32 v64, 2, v165
	ds_read_b32 v66, v64
	ds_read_b64 v[64:65], v104 offset:26624
	v_mov_b32_e32 v67, v4
	v_mov_b32_e32 v68, s83
	s_waitcnt lgkmcnt(1)
	v_add_u32_e32 v66, v66, v28
	v_lshlrev_b64 v[66:67], 3, v[66:67]
	v_add_co_u32_e32 v66, vcc, s82, v66
	v_addc_co_u32_e32 v67, vcc, v68, v67, vcc
	s_waitcnt lgkmcnt(0)
	global_store_dwordx2 v[66:67], v[64:65], off
	s_or_b64 exec, exec, s[36:37]
	s_and_saveexec_b64 s[36:37], s[64:65]
	s_cbranch_execnz .LBB707_581
.LBB707_596:                            ;   in Loop: Header=BB707_392 Depth=2
	s_or_b64 exec, exec, s[36:37]
	s_and_saveexec_b64 s[36:37], s[66:67]
	s_cbranch_execz .LBB707_598
.LBB707_597:                            ;   in Loop: Header=BB707_392 Depth=2
	v_lshlrev_b32_e32 v64, 2, v163
	ds_read_b32 v66, v64
	ds_read_b64 v[64:65], v104 offset:30720
	v_mov_b32_e32 v67, v4
	v_mov_b32_e32 v68, s83
	s_waitcnt lgkmcnt(1)
	v_add_u32_e32 v66, v66, v32
	v_lshlrev_b64 v[66:67], 3, v[66:67]
	v_add_co_u32_e32 v66, vcc, s82, v66
	v_addc_co_u32_e32 v67, vcc, v68, v67, vcc
	s_waitcnt lgkmcnt(0)
	global_store_dwordx2 v[66:67], v[64:65], off
.LBB707_598:                            ;   in Loop: Header=BB707_392 Depth=2
	s_or_b64 exec, exec, s[36:37]
	s_barrier
	s_and_saveexec_b64 s[36:37], s[4:5]
	s_cbranch_execz .LBB707_391
; %bb.599:                              ;   in Loop: Header=BB707_392 Depth=2
	ds_read_b32 v64, v3
	s_waitcnt lgkmcnt(0)
	v_add_u32_e32 v5, v64, v5
	ds_write_b32 v3, v5
	s_branch .LBB707_391
.LBB707_600:                            ;   in Loop: Header=BB707_12 Depth=1
	v_readlane_b32 s38, v235, 2
	s_waitcnt lgkmcnt(0)
	s_barrier
.LBB707_601:                            ;   in Loop: Header=BB707_12 Depth=1
	s_mov_b64 s[16:17], 0
.LBB707_602:                            ;   in Loop: Header=BB707_12 Depth=1
	s_andn2_b64 vcc, exec, s[16:17]
	s_cbranch_vccnz .LBB707_11
; %bb.603:                              ;   in Loop: Header=BB707_12 Depth=1
	s_lshl_b32 s16, -1, s68
	s_not_b32 s68, s16
	s_mov_b64 s[16:17], -1
	s_and_b64 vcc, exec, s[70:71]
	s_cbranch_vccz .LBB707_897
; %bb.604:                              ;   in Loop: Header=BB707_12 Depth=1
	s_mov_b32 s24, s85
	s_mov_b32 s18, s38
	s_barrier
	s_waitcnt lgkmcnt(0)
                                        ; implicit-def: $vgpr62_vgpr63
                                        ; implicit-def: $vgpr0_vgpr1
                                        ; implicit-def: $vgpr34_vgpr35
                                        ; implicit-def: $vgpr36_vgpr37
                                        ; implicit-def: $vgpr38_vgpr39
                                        ; implicit-def: $vgpr40_vgpr41
                                        ; implicit-def: $vgpr42_vgpr43
                                        ; implicit-def: $vgpr44_vgpr45
                                        ; implicit-def: $vgpr46_vgpr47
                                        ; implicit-def: $vgpr48_vgpr49
                                        ; implicit-def: $vgpr50_vgpr51
                                        ; implicit-def: $vgpr52_vgpr53
                                        ; implicit-def: $vgpr54_vgpr55
                                        ; implicit-def: $vgpr56_vgpr57
                                        ; implicit-def: $vgpr58_vgpr59
                                        ; implicit-def: $vgpr60_vgpr61
	s_branch .LBB707_606
.LBB707_605:                            ;   in Loop: Header=BB707_606 Depth=2
	s_or_b64 exec, exec, s[16:17]
	s_addk_i32 s24, 0xf000
	s_cmp_ge_u32 s25, s94
	s_mov_b32 s18, s25
	s_cbranch_scc1 .LBB707_676
.LBB707_606:                            ;   Parent Loop BB707_12 Depth=1
                                        ; =>  This Inner Loop Header: Depth=2
	s_add_i32 s25, s18, 0x1000
	s_cmp_gt_u32 s25, s94
	s_cbranch_scc1 .LBB707_609
; %bb.607:                              ;   in Loop: Header=BB707_606 Depth=2
	s_mov_b32 s19, s88
	s_lshl_b64 s[16:17], s[18:19], 3
	v_mov_b32_e32 v5, s17
	v_add_co_u32_e32 v64, vcc, s16, v111
	v_addc_co_u32_e32 v65, vcc, v112, v5, vcc
	s_waitcnt vmcnt(11)
	v_add_co_u32_e32 v72, vcc, 0x1000, v64
	v_addc_co_u32_e32 v73, vcc, 0, v65, vcc
	s_waitcnt vmcnt(5)
	;; [unrolled: 3-line block ×3, first 2 shown]
	v_add_co_u32_e32 v82, vcc, s96, v64
	v_addc_co_u32_e32 v83, vcc, 0, v65, vcc
	v_add_co_u32_e32 v86, vcc, s97, v64
	v_addc_co_u32_e32 v87, vcc, 0, v65, vcc
	;; [unrolled: 2-line block ×4, first 2 shown]
	global_load_dwordx2 v[66:67], v[64:65], off
	global_load_dwordx2 v[68:69], v[64:65], off offset:2048
	global_load_dwordx2 v[70:71], v[72:73], off
	s_nop 0
	global_load_dwordx2 v[72:73], v[72:73], off offset:2048
	s_nop 0
	global_load_dwordx2 v[74:75], v[82:83], off
	global_load_dwordx2 v[76:77], v[82:83], off offset:2048
	global_load_dwordx2 v[80:81], v[88:89], off offset:-4096
	global_load_dwordx2 v[84:85], v[88:89], off
	s_nop 0
	global_load_dwordx2 v[88:89], v[88:89], off offset:2048
	s_nop 0
	global_load_dwordx2 v[78:79], v[78:79], off offset:2048
	;; [unrolled: 2-line block ×3, first 2 shown]
	s_nop 0
	global_load_dwordx2 v[90:91], v[92:93], off
	s_nop 0
	global_load_dwordx2 v[92:93], v[92:93], off offset:2048
	s_waitcnt vmcnt(13)
	v_add_co_u32_e32 v94, vcc, 0x7000, v64
	v_addc_co_u32_e32 v95, vcc, 0, v65, vcc
	global_load_dwordx2 v[82:83], v[82:83], off offset:-4096
	s_nop 0
	global_load_dwordx2 v[94:95], v[94:95], off
	v_add_co_u32_e32 v64, vcc, 0x7800, v64
	s_movk_i32 s26, 0x1000
	v_addc_co_u32_e32 v65, vcc, 0, v65, vcc
	s_mov_b64 s[16:17], -1
	s_cbranch_execz .LBB707_610
; %bb.608:                              ;   in Loop: Header=BB707_606 Depth=2
                                        ; implicit-def: $vgpr60_vgpr61
                                        ; implicit-def: $vgpr58_vgpr59
                                        ; implicit-def: $vgpr56_vgpr57
                                        ; implicit-def: $vgpr54_vgpr55
                                        ; implicit-def: $vgpr52_vgpr53
                                        ; implicit-def: $vgpr50_vgpr51
                                        ; implicit-def: $vgpr48_vgpr49
                                        ; implicit-def: $vgpr46_vgpr47
                                        ; implicit-def: $vgpr44_vgpr45
                                        ; implicit-def: $vgpr42_vgpr43
                                        ; implicit-def: $vgpr40_vgpr41
                                        ; implicit-def: $vgpr38_vgpr39
                                        ; implicit-def: $vgpr36_vgpr37
                                        ; implicit-def: $vgpr34_vgpr35
                                        ; implicit-def: $vgpr0_vgpr1
                                        ; implicit-def: $vgpr62_vgpr63
	v_mov_b32_e32 v5, s24
	s_and_saveexec_b64 s[18:19], s[16:17]
	s_cbranch_execnz .LBB707_629
	s_branch .LBB707_630
.LBB707_609:                            ;   in Loop: Header=BB707_606 Depth=2
	s_mov_b64 s[16:17], 0
                                        ; implicit-def: $sgpr26
                                        ; implicit-def: $vgpr66_vgpr67
                                        ; implicit-def: $vgpr68_vgpr69
                                        ; implicit-def: $vgpr70_vgpr71
                                        ; implicit-def: $vgpr72_vgpr73
                                        ; implicit-def: $vgpr82_vgpr83
                                        ; implicit-def: $vgpr78_vgpr79
                                        ; implicit-def: $vgpr74_vgpr75
                                        ; implicit-def: $vgpr76_vgpr77
                                        ; implicit-def: $vgpr80_vgpr81
                                        ; implicit-def: $vgpr86_vgpr87
                                        ; implicit-def: $vgpr84_vgpr85
                                        ; implicit-def: $vgpr88_vgpr89
                                        ; implicit-def: $vgpr90_vgpr91
                                        ; implicit-def: $vgpr92_vgpr93
                                        ; implicit-def: $vgpr94_vgpr95
                                        ; implicit-def: $vgpr64_vgpr65
.LBB707_610:                            ;   in Loop: Header=BB707_606 Depth=2
	s_mov_b32 s19, s88
	s_lshl_b64 s[20:21], s[18:19], 3
	s_add_u32 s20, s72, s20
	s_addc_u32 s21, s73, s21
	v_cmp_gt_u32_e32 vcc, s24, v2
	s_and_saveexec_b64 s[22:23], vcc
	s_cbranch_execz .LBB707_662
; %bb.611:                              ;   in Loop: Header=BB707_606 Depth=2
	global_load_dwordx2 v[60:61], v118, s[20:21]
	s_or_b64 exec, exec, s[22:23]
	v_cmp_gt_u32_e32 vcc, s24, v7
	s_and_saveexec_b64 s[22:23], vcc
	s_cbranch_execnz .LBB707_663
.LBB707_612:                            ;   in Loop: Header=BB707_606 Depth=2
	s_or_b64 exec, exec, s[22:23]
	v_cmp_gt_u32_e32 vcc, s24, v6
	s_and_saveexec_b64 s[22:23], vcc
	s_cbranch_execz .LBB707_664
.LBB707_613:                            ;   in Loop: Header=BB707_606 Depth=2
	global_load_dwordx2 v[56:57], v119, s[20:21]
	s_or_b64 exec, exec, s[22:23]
	v_cmp_gt_u32_e32 vcc, s24, v8
	s_and_saveexec_b64 s[22:23], vcc
	s_cbranch_execnz .LBB707_665
.LBB707_614:                            ;   in Loop: Header=BB707_606 Depth=2
	s_or_b64 exec, exec, s[22:23]
	v_cmp_gt_u32_e32 vcc, s24, v10
	s_and_saveexec_b64 s[22:23], vcc
	s_cbranch_execz .LBB707_666
.LBB707_615:                            ;   in Loop: Header=BB707_606 Depth=2
	global_load_dwordx2 v[52:53], v121, s[20:21]
	s_or_b64 exec, exec, s[22:23]
	v_cmp_gt_u32_e32 vcc, s24, v12
	s_and_saveexec_b64 s[22:23], vcc
	s_cbranch_execnz .LBB707_667
.LBB707_616:                            ;   in Loop: Header=BB707_606 Depth=2
	s_or_b64 exec, exec, s[22:23]
	v_cmp_gt_u32_e32 vcc, s24, v14
	s_and_saveexec_b64 s[22:23], vcc
	s_cbranch_execz .LBB707_668
.LBB707_617:                            ;   in Loop: Header=BB707_606 Depth=2
	global_load_dwordx2 v[48:49], v123, s[20:21]
	s_or_b64 exec, exec, s[22:23]
	v_cmp_gt_u32_e32 vcc, s24, v16
	s_and_saveexec_b64 s[22:23], vcc
	s_cbranch_execnz .LBB707_669
.LBB707_618:                            ;   in Loop: Header=BB707_606 Depth=2
	s_or_b64 exec, exec, s[22:23]
	v_cmp_gt_u32_e32 vcc, s24, v18
	s_and_saveexec_b64 s[22:23], vcc
	s_cbranch_execz .LBB707_670
.LBB707_619:                            ;   in Loop: Header=BB707_606 Depth=2
	global_load_dwordx2 v[44:45], v125, s[20:21]
	s_or_b64 exec, exec, s[22:23]
	v_cmp_gt_u32_e32 vcc, s24, v20
	s_and_saveexec_b64 s[22:23], vcc
	s_cbranch_execnz .LBB707_671
.LBB707_620:                            ;   in Loop: Header=BB707_606 Depth=2
	s_or_b64 exec, exec, s[22:23]
	v_cmp_gt_u32_e32 vcc, s24, v22
	s_and_saveexec_b64 s[22:23], vcc
	s_cbranch_execz .LBB707_672
.LBB707_621:                            ;   in Loop: Header=BB707_606 Depth=2
	global_load_dwordx2 v[40:41], v127, s[20:21]
	s_or_b64 exec, exec, s[22:23]
	v_cmp_gt_u32_e32 vcc, s24, v24
	s_and_saveexec_b64 s[22:23], vcc
	s_cbranch_execnz .LBB707_673
.LBB707_622:                            ;   in Loop: Header=BB707_606 Depth=2
	s_or_b64 exec, exec, s[22:23]
	v_cmp_gt_u32_e32 vcc, s24, v26
	s_and_saveexec_b64 s[22:23], vcc
	s_cbranch_execz .LBB707_674
.LBB707_623:                            ;   in Loop: Header=BB707_606 Depth=2
	global_load_dwordx2 v[36:37], v129, s[20:21]
	s_or_b64 exec, exec, s[22:23]
	v_cmp_gt_u32_e32 vcc, s24, v28
	s_and_saveexec_b64 s[22:23], vcc
	s_cbranch_execnz .LBB707_675
.LBB707_624:                            ;   in Loop: Header=BB707_606 Depth=2
	s_or_b64 exec, exec, s[22:23]
	v_cmp_gt_u32_e32 vcc, s24, v30
	s_and_saveexec_b64 s[22:23], vcc
	s_cbranch_execz .LBB707_626
.LBB707_625:                            ;   in Loop: Header=BB707_606 Depth=2
	global_load_dwordx2 v[0:1], v131, s[20:21]
.LBB707_626:                            ;   in Loop: Header=BB707_606 Depth=2
	s_or_b64 exec, exec, s[22:23]
	v_cmp_gt_u32_e32 vcc, s24, v32
                                        ; implicit-def: $sgpr26
                                        ; implicit-def: $vgpr64_vgpr65
	s_and_saveexec_b64 s[22:23], vcc
; %bb.627:                              ;   in Loop: Header=BB707_606 Depth=2
	v_mov_b32_e32 v5, s21
	v_add_co_u32_e32 v64, vcc, s20, v132
	s_sub_i32 s26, s94, s18
	v_addc_co_u32_e32 v65, vcc, 0, v5, vcc
	s_or_b64 s[16:17], s[16:17], exec
                                        ; implicit-def: $vgpr62_vgpr63
; %bb.628:                              ;   in Loop: Header=BB707_606 Depth=2
	s_or_b64 exec, exec, s[22:23]
	s_waitcnt vmcnt(0)
	v_pk_mov_b32 v[66:67], v[60:61], v[60:61] op_sel:[0,1]
	v_pk_mov_b32 v[68:69], v[58:59], v[58:59] op_sel:[0,1]
	;; [unrolled: 1-line block ×15, first 2 shown]
	v_mov_b32_e32 v5, s24
	s_and_saveexec_b64 s[18:19], s[16:17]
	s_cbranch_execz .LBB707_630
.LBB707_629:                            ;   in Loop: Header=BB707_606 Depth=2
	global_load_dwordx2 v[62:63], v[64:65], off
	v_mov_b32_e32 v5, s26
	s_waitcnt vmcnt(1)
	v_pk_mov_b32 v[0:1], v[94:95], v[94:95] op_sel:[0,1]
	v_pk_mov_b32 v[34:35], v[92:93], v[92:93] op_sel:[0,1]
	;; [unrolled: 1-line block ×15, first 2 shown]
.LBB707_630:                            ;   in Loop: Header=BB707_606 Depth=2
	s_or_b64 exec, exec, s[18:19]
	v_cmp_lt_u32_e32 vcc, v2, v5
	s_and_saveexec_b64 s[16:17], vcc
	s_cbranch_execz .LBB707_646
; %bb.631:                              ;   in Loop: Header=BB707_606 Depth=2
	v_xor_b32_e32 v65, 0x7fffffff, v61
	v_not_b32_e32 v64, v60
	v_lshrrev_b64 v[64:65], s84, v[64:65]
	v_and_b32_e32 v64, s68, v64
	v_lshl_or_b32 v64, v64, 4, v133
	ds_add_u32 v64, v117
	s_or_b64 exec, exec, s[16:17]
	v_cmp_lt_u32_e32 vcc, v7, v5
	s_and_saveexec_b64 s[16:17], vcc
	s_cbranch_execnz .LBB707_647
.LBB707_632:                            ;   in Loop: Header=BB707_606 Depth=2
	s_or_b64 exec, exec, s[16:17]
	v_cmp_lt_u32_e32 vcc, v6, v5
	s_and_saveexec_b64 s[16:17], vcc
	s_cbranch_execz .LBB707_648
.LBB707_633:                            ;   in Loop: Header=BB707_606 Depth=2
	v_xor_b32_e32 v65, 0x7fffffff, v57
	v_not_b32_e32 v64, v56
	v_lshrrev_b64 v[64:65], s84, v[64:65]
	v_and_b32_e32 v64, s68, v64
	v_lshl_or_b32 v64, v64, 4, v133
	ds_add_u32 v64, v117
	s_or_b64 exec, exec, s[16:17]
	v_cmp_lt_u32_e32 vcc, v8, v5
	s_and_saveexec_b64 s[16:17], vcc
	s_cbranch_execnz .LBB707_649
.LBB707_634:                            ;   in Loop: Header=BB707_606 Depth=2
	s_or_b64 exec, exec, s[16:17]
	v_cmp_lt_u32_e32 vcc, v10, v5
	s_and_saveexec_b64 s[16:17], vcc
	s_cbranch_execz .LBB707_650
.LBB707_635:                            ;   in Loop: Header=BB707_606 Depth=2
	v_xor_b32_e32 v65, 0x7fffffff, v53
	v_not_b32_e32 v64, v52
	v_lshrrev_b64 v[64:65], s84, v[64:65]
	v_and_b32_e32 v64, s68, v64
	v_lshl_or_b32 v64, v64, 4, v133
	ds_add_u32 v64, v117
	s_or_b64 exec, exec, s[16:17]
	v_cmp_lt_u32_e32 vcc, v12, v5
	s_and_saveexec_b64 s[16:17], vcc
	s_cbranch_execnz .LBB707_651
.LBB707_636:                            ;   in Loop: Header=BB707_606 Depth=2
	s_or_b64 exec, exec, s[16:17]
	v_cmp_lt_u32_e32 vcc, v14, v5
	s_and_saveexec_b64 s[16:17], vcc
	s_cbranch_execz .LBB707_652
.LBB707_637:                            ;   in Loop: Header=BB707_606 Depth=2
	v_xor_b32_e32 v65, 0x7fffffff, v49
	v_not_b32_e32 v64, v48
	v_lshrrev_b64 v[64:65], s84, v[64:65]
	v_and_b32_e32 v64, s68, v64
	v_lshl_or_b32 v64, v64, 4, v133
	ds_add_u32 v64, v117
	s_or_b64 exec, exec, s[16:17]
	v_cmp_lt_u32_e32 vcc, v16, v5
	s_and_saveexec_b64 s[16:17], vcc
	s_cbranch_execnz .LBB707_653
.LBB707_638:                            ;   in Loop: Header=BB707_606 Depth=2
	s_or_b64 exec, exec, s[16:17]
	v_cmp_lt_u32_e32 vcc, v18, v5
	s_and_saveexec_b64 s[16:17], vcc
	s_cbranch_execz .LBB707_654
.LBB707_639:                            ;   in Loop: Header=BB707_606 Depth=2
	v_xor_b32_e32 v65, 0x7fffffff, v45
	v_not_b32_e32 v64, v44
	v_lshrrev_b64 v[64:65], s84, v[64:65]
	v_and_b32_e32 v64, s68, v64
	v_lshl_or_b32 v64, v64, 4, v133
	ds_add_u32 v64, v117
	s_or_b64 exec, exec, s[16:17]
	v_cmp_lt_u32_e32 vcc, v20, v5
	s_and_saveexec_b64 s[16:17], vcc
	s_cbranch_execnz .LBB707_655
.LBB707_640:                            ;   in Loop: Header=BB707_606 Depth=2
	s_or_b64 exec, exec, s[16:17]
	v_cmp_lt_u32_e32 vcc, v22, v5
	s_and_saveexec_b64 s[16:17], vcc
	s_cbranch_execz .LBB707_656
.LBB707_641:                            ;   in Loop: Header=BB707_606 Depth=2
	v_xor_b32_e32 v65, 0x7fffffff, v41
	v_not_b32_e32 v64, v40
	v_lshrrev_b64 v[64:65], s84, v[64:65]
	v_and_b32_e32 v64, s68, v64
	v_lshl_or_b32 v64, v64, 4, v133
	ds_add_u32 v64, v117
	s_or_b64 exec, exec, s[16:17]
	v_cmp_lt_u32_e32 vcc, v24, v5
	s_and_saveexec_b64 s[16:17], vcc
	s_cbranch_execnz .LBB707_657
.LBB707_642:                            ;   in Loop: Header=BB707_606 Depth=2
	s_or_b64 exec, exec, s[16:17]
	v_cmp_lt_u32_e32 vcc, v26, v5
	s_and_saveexec_b64 s[16:17], vcc
	s_cbranch_execz .LBB707_658
.LBB707_643:                            ;   in Loop: Header=BB707_606 Depth=2
	v_xor_b32_e32 v65, 0x7fffffff, v37
	v_not_b32_e32 v64, v36
	v_lshrrev_b64 v[64:65], s84, v[64:65]
	v_and_b32_e32 v64, s68, v64
	v_lshl_or_b32 v64, v64, 4, v133
	ds_add_u32 v64, v117
	s_or_b64 exec, exec, s[16:17]
	v_cmp_lt_u32_e32 vcc, v28, v5
	s_and_saveexec_b64 s[16:17], vcc
	s_cbranch_execnz .LBB707_659
.LBB707_644:                            ;   in Loop: Header=BB707_606 Depth=2
	s_or_b64 exec, exec, s[16:17]
	v_cmp_lt_u32_e32 vcc, v30, v5
	s_and_saveexec_b64 s[16:17], vcc
	s_cbranch_execz .LBB707_660
.LBB707_645:                            ;   in Loop: Header=BB707_606 Depth=2
	v_xor_b32_e32 v65, 0x7fffffff, v1
	v_not_b32_e32 v64, v0
	v_lshrrev_b64 v[64:65], s84, v[64:65]
	v_and_b32_e32 v64, s68, v64
	v_lshl_or_b32 v64, v64, 4, v133
	ds_add_u32 v64, v117
	s_or_b64 exec, exec, s[16:17]
	v_cmp_lt_u32_e32 vcc, v32, v5
	s_and_saveexec_b64 s[16:17], vcc
	s_cbranch_execz .LBB707_605
	s_branch .LBB707_661
.LBB707_646:                            ;   in Loop: Header=BB707_606 Depth=2
	s_or_b64 exec, exec, s[16:17]
	v_cmp_lt_u32_e32 vcc, v7, v5
	s_and_saveexec_b64 s[16:17], vcc
	s_cbranch_execz .LBB707_632
.LBB707_647:                            ;   in Loop: Header=BB707_606 Depth=2
	v_xor_b32_e32 v65, 0x7fffffff, v59
	v_not_b32_e32 v64, v58
	v_lshrrev_b64 v[64:65], s84, v[64:65]
	v_and_b32_e32 v64, s68, v64
	v_lshl_or_b32 v64, v64, 4, v133
	ds_add_u32 v64, v117
	s_or_b64 exec, exec, s[16:17]
	v_cmp_lt_u32_e32 vcc, v6, v5
	s_and_saveexec_b64 s[16:17], vcc
	s_cbranch_execnz .LBB707_633
.LBB707_648:                            ;   in Loop: Header=BB707_606 Depth=2
	s_or_b64 exec, exec, s[16:17]
	v_cmp_lt_u32_e32 vcc, v8, v5
	s_and_saveexec_b64 s[16:17], vcc
	s_cbranch_execz .LBB707_634
.LBB707_649:                            ;   in Loop: Header=BB707_606 Depth=2
	v_xor_b32_e32 v65, 0x7fffffff, v55
	v_not_b32_e32 v64, v54
	v_lshrrev_b64 v[64:65], s84, v[64:65]
	v_and_b32_e32 v64, s68, v64
	v_lshl_or_b32 v64, v64, 4, v133
	ds_add_u32 v64, v117
	s_or_b64 exec, exec, s[16:17]
	v_cmp_lt_u32_e32 vcc, v10, v5
	s_and_saveexec_b64 s[16:17], vcc
	s_cbranch_execnz .LBB707_635
.LBB707_650:                            ;   in Loop: Header=BB707_606 Depth=2
	s_or_b64 exec, exec, s[16:17]
	v_cmp_lt_u32_e32 vcc, v12, v5
	s_and_saveexec_b64 s[16:17], vcc
	s_cbranch_execz .LBB707_636
.LBB707_651:                            ;   in Loop: Header=BB707_606 Depth=2
	v_xor_b32_e32 v65, 0x7fffffff, v51
	v_not_b32_e32 v64, v50
	v_lshrrev_b64 v[64:65], s84, v[64:65]
	v_and_b32_e32 v64, s68, v64
	v_lshl_or_b32 v64, v64, 4, v133
	ds_add_u32 v64, v117
	s_or_b64 exec, exec, s[16:17]
	v_cmp_lt_u32_e32 vcc, v14, v5
	s_and_saveexec_b64 s[16:17], vcc
	s_cbranch_execnz .LBB707_637
.LBB707_652:                            ;   in Loop: Header=BB707_606 Depth=2
	s_or_b64 exec, exec, s[16:17]
	v_cmp_lt_u32_e32 vcc, v16, v5
	s_and_saveexec_b64 s[16:17], vcc
	s_cbranch_execz .LBB707_638
.LBB707_653:                            ;   in Loop: Header=BB707_606 Depth=2
	v_xor_b32_e32 v65, 0x7fffffff, v47
	v_not_b32_e32 v64, v46
	v_lshrrev_b64 v[64:65], s84, v[64:65]
	v_and_b32_e32 v64, s68, v64
	v_lshl_or_b32 v64, v64, 4, v133
	ds_add_u32 v64, v117
	s_or_b64 exec, exec, s[16:17]
	v_cmp_lt_u32_e32 vcc, v18, v5
	s_and_saveexec_b64 s[16:17], vcc
	s_cbranch_execnz .LBB707_639
.LBB707_654:                            ;   in Loop: Header=BB707_606 Depth=2
	s_or_b64 exec, exec, s[16:17]
	v_cmp_lt_u32_e32 vcc, v20, v5
	s_and_saveexec_b64 s[16:17], vcc
	s_cbranch_execz .LBB707_640
.LBB707_655:                            ;   in Loop: Header=BB707_606 Depth=2
	v_xor_b32_e32 v65, 0x7fffffff, v43
	v_not_b32_e32 v64, v42
	v_lshrrev_b64 v[64:65], s84, v[64:65]
	v_and_b32_e32 v64, s68, v64
	v_lshl_or_b32 v64, v64, 4, v133
	ds_add_u32 v64, v117
	s_or_b64 exec, exec, s[16:17]
	v_cmp_lt_u32_e32 vcc, v22, v5
	s_and_saveexec_b64 s[16:17], vcc
	s_cbranch_execnz .LBB707_641
.LBB707_656:                            ;   in Loop: Header=BB707_606 Depth=2
	s_or_b64 exec, exec, s[16:17]
	v_cmp_lt_u32_e32 vcc, v24, v5
	s_and_saveexec_b64 s[16:17], vcc
	s_cbranch_execz .LBB707_642
.LBB707_657:                            ;   in Loop: Header=BB707_606 Depth=2
	v_xor_b32_e32 v65, 0x7fffffff, v39
	v_not_b32_e32 v64, v38
	v_lshrrev_b64 v[64:65], s84, v[64:65]
	v_and_b32_e32 v64, s68, v64
	v_lshl_or_b32 v64, v64, 4, v133
	ds_add_u32 v64, v117
	s_or_b64 exec, exec, s[16:17]
	v_cmp_lt_u32_e32 vcc, v26, v5
	s_and_saveexec_b64 s[16:17], vcc
	s_cbranch_execnz .LBB707_643
.LBB707_658:                            ;   in Loop: Header=BB707_606 Depth=2
	s_or_b64 exec, exec, s[16:17]
	v_cmp_lt_u32_e32 vcc, v28, v5
	s_and_saveexec_b64 s[16:17], vcc
	s_cbranch_execz .LBB707_644
.LBB707_659:                            ;   in Loop: Header=BB707_606 Depth=2
	v_xor_b32_e32 v65, 0x7fffffff, v35
	v_not_b32_e32 v64, v34
	v_lshrrev_b64 v[64:65], s84, v[64:65]
	v_and_b32_e32 v64, s68, v64
	v_lshl_or_b32 v64, v64, 4, v133
	ds_add_u32 v64, v117
	s_or_b64 exec, exec, s[16:17]
	v_cmp_lt_u32_e32 vcc, v30, v5
	s_and_saveexec_b64 s[16:17], vcc
	s_cbranch_execnz .LBB707_645
.LBB707_660:                            ;   in Loop: Header=BB707_606 Depth=2
	s_or_b64 exec, exec, s[16:17]
	v_cmp_lt_u32_e32 vcc, v32, v5
	s_and_saveexec_b64 s[16:17], vcc
	s_cbranch_execz .LBB707_605
.LBB707_661:                            ;   in Loop: Header=BB707_606 Depth=2
	s_waitcnt vmcnt(0)
	v_xor_b32_e32 v65, 0x7fffffff, v63
	v_not_b32_e32 v64, v62
	v_lshrrev_b64 v[64:65], s84, v[64:65]
	v_and_b32_e32 v5, s68, v64
	v_lshl_or_b32 v5, v5, 4, v133
	ds_add_u32 v5, v117
	s_branch .LBB707_605
.LBB707_662:                            ;   in Loop: Header=BB707_606 Depth=2
	s_or_b64 exec, exec, s[22:23]
	v_cmp_gt_u32_e32 vcc, s24, v7
	s_and_saveexec_b64 s[22:23], vcc
	s_cbranch_execz .LBB707_612
.LBB707_663:                            ;   in Loop: Header=BB707_606 Depth=2
	global_load_dwordx2 v[58:59], v118, s[20:21] offset:2048
	s_or_b64 exec, exec, s[22:23]
	v_cmp_gt_u32_e32 vcc, s24, v6
	s_and_saveexec_b64 s[22:23], vcc
	s_cbranch_execnz .LBB707_613
.LBB707_664:                            ;   in Loop: Header=BB707_606 Depth=2
	s_or_b64 exec, exec, s[22:23]
	v_cmp_gt_u32_e32 vcc, s24, v8
	s_and_saveexec_b64 s[22:23], vcc
	s_cbranch_execz .LBB707_614
.LBB707_665:                            ;   in Loop: Header=BB707_606 Depth=2
	global_load_dwordx2 v[54:55], v120, s[20:21]
	s_or_b64 exec, exec, s[22:23]
	v_cmp_gt_u32_e32 vcc, s24, v10
	s_and_saveexec_b64 s[22:23], vcc
	s_cbranch_execnz .LBB707_615
.LBB707_666:                            ;   in Loop: Header=BB707_606 Depth=2
	s_or_b64 exec, exec, s[22:23]
	v_cmp_gt_u32_e32 vcc, s24, v12
	s_and_saveexec_b64 s[22:23], vcc
	s_cbranch_execz .LBB707_616
.LBB707_667:                            ;   in Loop: Header=BB707_606 Depth=2
	global_load_dwordx2 v[50:51], v122, s[20:21]
	s_or_b64 exec, exec, s[22:23]
	v_cmp_gt_u32_e32 vcc, s24, v14
	s_and_saveexec_b64 s[22:23], vcc
	s_cbranch_execnz .LBB707_617
.LBB707_668:                            ;   in Loop: Header=BB707_606 Depth=2
	s_or_b64 exec, exec, s[22:23]
	v_cmp_gt_u32_e32 vcc, s24, v16
	s_and_saveexec_b64 s[22:23], vcc
	s_cbranch_execz .LBB707_618
.LBB707_669:                            ;   in Loop: Header=BB707_606 Depth=2
	global_load_dwordx2 v[46:47], v124, s[20:21]
	s_or_b64 exec, exec, s[22:23]
	v_cmp_gt_u32_e32 vcc, s24, v18
	s_and_saveexec_b64 s[22:23], vcc
	s_cbranch_execnz .LBB707_619
.LBB707_670:                            ;   in Loop: Header=BB707_606 Depth=2
	s_or_b64 exec, exec, s[22:23]
	v_cmp_gt_u32_e32 vcc, s24, v20
	s_and_saveexec_b64 s[22:23], vcc
	s_cbranch_execz .LBB707_620
.LBB707_671:                            ;   in Loop: Header=BB707_606 Depth=2
	global_load_dwordx2 v[42:43], v126, s[20:21]
	s_or_b64 exec, exec, s[22:23]
	v_cmp_gt_u32_e32 vcc, s24, v22
	s_and_saveexec_b64 s[22:23], vcc
	s_cbranch_execnz .LBB707_621
.LBB707_672:                            ;   in Loop: Header=BB707_606 Depth=2
	s_or_b64 exec, exec, s[22:23]
	v_cmp_gt_u32_e32 vcc, s24, v24
	s_and_saveexec_b64 s[22:23], vcc
	s_cbranch_execz .LBB707_622
.LBB707_673:                            ;   in Loop: Header=BB707_606 Depth=2
	global_load_dwordx2 v[38:39], v128, s[20:21]
	s_or_b64 exec, exec, s[22:23]
	v_cmp_gt_u32_e32 vcc, s24, v26
	s_and_saveexec_b64 s[22:23], vcc
	s_cbranch_execnz .LBB707_623
.LBB707_674:                            ;   in Loop: Header=BB707_606 Depth=2
	s_or_b64 exec, exec, s[22:23]
	v_cmp_gt_u32_e32 vcc, s24, v28
	s_and_saveexec_b64 s[22:23], vcc
	s_cbranch_execz .LBB707_624
.LBB707_675:                            ;   in Loop: Header=BB707_606 Depth=2
	global_load_dwordx2 v[34:35], v130, s[20:21]
	s_or_b64 exec, exec, s[22:23]
	v_cmp_gt_u32_e32 vcc, s24, v30
	s_and_saveexec_b64 s[22:23], vcc
	s_cbranch_execz .LBB707_626
	s_branch .LBB707_625
.LBB707_676:                            ;   in Loop: Header=BB707_12 Depth=1
	v_mov_b32_e32 v0, 0
	s_waitcnt lgkmcnt(0)
	s_barrier
	s_and_saveexec_b64 s[16:17], s[4:5]
	s_cbranch_execz .LBB707_678
; %bb.677:                              ;   in Loop: Header=BB707_12 Depth=1
	ds_read2_b64 v[34:37], v13 offset1:1
	s_waitcnt lgkmcnt(0)
	v_add_u32_e32 v0, v35, v34
	v_add3_u32 v0, v0, v36, v37
.LBB707_678:                            ;   in Loop: Header=BB707_12 Depth=1
	s_or_b64 exec, exec, s[16:17]
	s_nop 0
	v_mov_b32_dpp v1, v0 row_shr:1 row_mask:0xf bank_mask:0xf
	v_cmp_eq_u32_e64 s[16:17], 0, v135
	v_cndmask_b32_e64 v1, v1, 0, s[16:17]
	v_add_u32_e32 v0, v1, v0
	v_cmp_lt_u32_e64 s[18:19], 1, v135
	v_cmp_lt_u32_e64 s[20:21], 3, v135
	v_mov_b32_dpp v1, v0 row_shr:2 row_mask:0xf bank_mask:0xf
	v_cndmask_b32_e64 v1, 0, v1, s[18:19]
	v_add_u32_e32 v0, v0, v1
	v_cmp_lt_u32_e64 s[22:23], 7, v135
	v_cmp_lt_u32_e64 s[26:27], 31, v134
	v_mov_b32_dpp v1, v0 row_shr:4 row_mask:0xf bank_mask:0xf
	v_cndmask_b32_e64 v1, 0, v1, s[20:21]
	v_add_u32_e32 v0, v0, v1
	v_cmp_eq_u32_e64 s[24:25], 0, v137
	s_nop 0
	v_mov_b32_dpp v1, v0 row_shr:8 row_mask:0xf bank_mask:0xf
	v_cndmask_b32_e64 v1, 0, v1, s[22:23]
	v_add_u32_e32 v0, v0, v1
	s_nop 1
	v_mov_b32_dpp v1, v0 row_bcast:15 row_mask:0xf bank_mask:0xf
	v_and_b32_e32 v1, v136, v1
	v_add_u32_e32 v0, v0, v1
	s_nop 1
	v_mov_b32_dpp v1, v0 row_bcast:31 row_mask:0xf bank_mask:0xf
	v_cndmask_b32_e64 v1, 0, v1, s[26:27]
	v_add_u32_e32 v0, v0, v1
	s_and_saveexec_b64 s[28:29], s[6:7]
	s_cbranch_execz .LBB707_680
; %bb.679:                              ;   in Loop: Header=BB707_12 Depth=1
	ds_write_b32 v17, v0
.LBB707_680:                            ;   in Loop: Header=BB707_12 Depth=1
	s_or_b64 exec, exec, s[28:29]
	s_waitcnt lgkmcnt(0)
	s_barrier
	s_and_saveexec_b64 s[28:29], s[8:9]
	s_cbranch_execz .LBB707_682
; %bb.681:                              ;   in Loop: Header=BB707_12 Depth=1
	ds_read_b32 v1, v19
	v_cmp_ne_u32_e32 vcc, 0, v138
	s_waitcnt lgkmcnt(0)
	v_mov_b32_dpp v5, v1 row_shr:1 row_mask:0xf bank_mask:0xf
	v_cndmask_b32_e32 v5, 0, v5, vcc
	v_add_u32_e32 v1, v5, v1
	v_cmp_lt_u32_e32 vcc, 1, v138
	s_nop 0
	v_mov_b32_dpp v5, v1 row_shr:2 row_mask:0xf bank_mask:0xf
	v_cndmask_b32_e32 v5, 0, v5, vcc
	v_add_u32_e32 v1, v1, v5
	ds_write_b32 v19, v1
.LBB707_682:                            ;   in Loop: Header=BB707_12 Depth=1
	s_or_b64 exec, exec, s[28:29]
	v_mov_b32_e32 v1, 0
	s_waitcnt lgkmcnt(0)
	s_barrier
	s_and_saveexec_b64 s[28:29], s[10:11]
	s_cbranch_execz .LBB707_684
; %bb.683:                              ;   in Loop: Header=BB707_12 Depth=1
	ds_read_b32 v1, v21
.LBB707_684:                            ;   in Loop: Header=BB707_12 Depth=1
	s_or_b64 exec, exec, s[28:29]
	v_cmp_lt_i32_e32 vcc, v139, v140
	v_cndmask_b32_e32 v5, v139, v134, vcc
	s_waitcnt lgkmcnt(0)
	v_add_u32_e32 v0, v1, v0
	v_lshlrev_b32_e32 v158, 2, v5
	ds_bpermute_b32 v0, v158, v0
	v_cmp_eq_u32_e64 s[28:29], 0, v134
	s_waitcnt lgkmcnt(0)
	s_barrier
	s_and_saveexec_b64 s[30:31], s[4:5]
	s_cbranch_execz .LBB707_686
; %bb.685:                              ;   in Loop: Header=BB707_12 Depth=1
	v_cndmask_b32_e64 v0, v0, v1, s[28:29]
	v_add_u32_e32 v0, s38, v0
	ds_write_b32 v3, v0
.LBB707_686:                            ;   in Loop: Header=BB707_12 Depth=1
	s_or_b64 exec, exec, s[30:31]
	s_load_dwordx2 s[30:31], s[90:91], 0x0
	v_readlane_b32 s34, v235, 1
	v_add_co_u32_e32 v159, vcc, v113, v141
	v_addc_co_u32_e32 v160, vcc, 0, v114, vcc
	s_waitcnt lgkmcnt(0)
	s_cmp_lt_u32 s34, s30
	v_readlane_b32 s30, v235, 0
	s_cselect_b32 s34, 12, 18
	s_cmp_lt_u32 s30, s31
	s_cselect_b32 s30, 14, 20
	s_add_u32 s30, s90, s30
	s_addc_u32 s31, s91, 0
	s_add_u32 s34, s90, s34
	global_load_ushort v5, v4, s[30:31]
	s_addc_u32 s35, s91, 0
	global_load_ushort v64, v4, s[34:35]
	v_add_co_u32_e32 v161, vcc, v115, v141
	v_addc_co_u32_e32 v162, vcc, 0, v116, vcc
	v_add_co_u32_e32 v176, vcc, 0x1e00, v161
	v_cmp_eq_u32_e64 s[30:31], 0, v138
	v_cmp_lt_u32_e64 s[34:35], 1, v138
	s_mov_b32 s69, s85
	v_addc_co_u32_e32 v179, vcc, 0, v162, vcc
	s_mov_b32 s78, s38
                                        ; implicit-def: $vgpr0_vgpr1
                                        ; implicit-def: $vgpr34_vgpr35
                                        ; implicit-def: $vgpr36_vgpr37
                                        ; implicit-def: $vgpr40_vgpr41
                                        ; implicit-def: $vgpr44_vgpr45
                                        ; implicit-def: $vgpr48_vgpr49
                                        ; implicit-def: $vgpr52_vgpr53
                                        ; implicit-def: $vgpr56_vgpr57
                                        ; implicit-def: $vgpr38_vgpr39
                                        ; implicit-def: $vgpr42_vgpr43
                                        ; implicit-def: $vgpr46_vgpr47
                                        ; implicit-def: $vgpr50_vgpr51
                                        ; implicit-def: $vgpr54_vgpr55
                                        ; implicit-def: $vgpr58_vgpr59
                                        ; implicit-def: $vgpr60_vgpr61
                                        ; implicit-def: $vgpr62_vgpr63
                                        ; implicit-def: $vgpr163
                                        ; implicit-def: $vgpr164
                                        ; implicit-def: $vgpr165
                                        ; implicit-def: $vgpr166
                                        ; implicit-def: $vgpr167
                                        ; implicit-def: $vgpr168
                                        ; implicit-def: $vgpr169
                                        ; implicit-def: $vgpr170
                                        ; implicit-def: $vgpr171
                                        ; implicit-def: $vgpr172
                                        ; implicit-def: $vgpr173
                                        ; implicit-def: $vgpr174
                                        ; implicit-def: $vgpr175
                                        ; implicit-def: $vgpr177
                                        ; implicit-def: $vgpr178
                                        ; implicit-def: $vgpr180
	s_waitcnt vmcnt(1)
	v_mad_u32_u24 v5, v23, v5, v25
	s_waitcnt vmcnt(0)
	v_mad_u64_u32 v[64:65], s[36:37], v5, v64, v[2:3]
	v_lshrrev_b32_e32 v181, 6, v64
	s_branch .LBB707_688
.LBB707_687:                            ;   in Loop: Header=BB707_688 Depth=2
	s_or_b64 exec, exec, s[36:37]
	s_addk_i32 s69, 0xf000
	s_cmp_lt_u32 s86, s94
	s_mov_b32 s78, s86
	s_cbranch_scc0 .LBB707_896
.LBB707_688:                            ;   Parent Loop BB707_12 Depth=1
                                        ; =>  This Inner Loop Header: Depth=2
	s_add_i32 s86, s78, 0x1000
	s_cmp_gt_u32 s86, s94
	s_cbranch_scc1 .LBB707_690
; %bb.689:                              ;   in Loop: Header=BB707_688 Depth=2
	s_mov_b32 s79, s88
	s_lshl_b64 s[36:37], s[78:79], 3
	v_mov_b32_e32 v5, s37
	v_add_co_u32_e32 v68, vcc, s36, v161
	v_addc_co_u32_e32 v69, vcc, v162, v5, vcc
	global_load_dwordx2 v[64:65], v[68:69], off
	global_load_dwordx2 v[66:67], v[68:69], off offset:512
	global_load_dwordx2 v[74:75], v[68:69], off offset:1024
	;; [unrolled: 1-line block ×7, first 2 shown]
	v_add_co_u32_e32 v68, vcc, 0x1000, v68
	v_addc_co_u32_e32 v69, vcc, 0, v69, vcc
	global_load_dwordx2 v[92:93], v[68:69], off
	global_load_dwordx2 v[88:89], v[68:69], off offset:512
	global_load_dwordx2 v[84:85], v[68:69], off offset:1024
	;; [unrolled: 1-line block ×5, first 2 shown]
	s_nop 0
	global_load_dwordx2 v[68:69], v[68:69], off offset:3072
	s_movk_i32 s40, 0x1000
	s_mov_b64 s[36:37], -1
	s_cbranch_execz .LBB707_691
	s_branch .LBB707_722
.LBB707_690:                            ;   in Loop: Header=BB707_688 Depth=2
	s_mov_b64 s[36:37], 0
                                        ; implicit-def: $sgpr40
                                        ; implicit-def: $vgpr64_vgpr65
                                        ; implicit-def: $vgpr66_vgpr67
                                        ; implicit-def: $vgpr74_vgpr75
                                        ; implicit-def: $vgpr78_vgpr79
                                        ; implicit-def: $vgpr82_vgpr83
                                        ; implicit-def: $vgpr86_vgpr87
                                        ; implicit-def: $vgpr90_vgpr91
                                        ; implicit-def: $vgpr94_vgpr95
                                        ; implicit-def: $vgpr92_vgpr93
                                        ; implicit-def: $vgpr88_vgpr89
                                        ; implicit-def: $vgpr84_vgpr85
                                        ; implicit-def: $vgpr80_vgpr81
                                        ; implicit-def: $vgpr76_vgpr77
                                        ; implicit-def: $vgpr72_vgpr73
                                        ; implicit-def: $vgpr68_vgpr69
.LBB707_691:                            ;   in Loop: Header=BB707_688 Depth=2
	s_mov_b32 s79, s88
	s_lshl_b64 s[36:37], s[78:79], 3
	v_mov_b32_e32 v5, s37
	v_add_co_u32_e32 v70, vcc, s36, v161
	v_addc_co_u32_e32 v71, vcc, v162, v5, vcc
	v_cmp_gt_u32_e32 vcc, s69, v142
	s_waitcnt vmcnt(14)
	v_pk_mov_b32 v[64:65], s[88:89], s[88:89] op_sel:[0,1]
	s_and_saveexec_b64 s[36:37], vcc
	s_cbranch_execz .LBB707_693
; %bb.692:                              ;   in Loop: Header=BB707_688 Depth=2
	global_load_dwordx2 v[64:65], v[70:71], off
.LBB707_693:                            ;   in Loop: Header=BB707_688 Depth=2
	s_or_b64 exec, exec, s[36:37]
	v_cmp_gt_u32_e32 vcc, s69, v143
	s_waitcnt vmcnt(13)
	v_pk_mov_b32 v[66:67], s[88:89], s[88:89] op_sel:[0,1]
	s_and_saveexec_b64 s[36:37], vcc
	s_cbranch_execz .LBB707_695
; %bb.694:                              ;   in Loop: Header=BB707_688 Depth=2
	global_load_dwordx2 v[66:67], v[70:71], off offset:512
.LBB707_695:                            ;   in Loop: Header=BB707_688 Depth=2
	s_or_b64 exec, exec, s[36:37]
	v_cmp_gt_u32_e32 vcc, s69, v144
	s_waitcnt vmcnt(12)
	v_pk_mov_b32 v[74:75], s[88:89], s[88:89] op_sel:[0,1]
	s_and_saveexec_b64 s[36:37], vcc
	s_cbranch_execz .LBB707_697
; %bb.696:                              ;   in Loop: Header=BB707_688 Depth=2
	global_load_dwordx2 v[74:75], v[70:71], off offset:1024
.LBB707_697:                            ;   in Loop: Header=BB707_688 Depth=2
	;; [unrolled: 9-line block ×7, first 2 shown]
	s_or_b64 exec, exec, s[36:37]
	v_cmp_gt_u32_e32 vcc, s69, v150
	s_waitcnt vmcnt(6)
	v_pk_mov_b32 v[92:93], s[88:89], s[88:89] op_sel:[0,1]
	s_and_saveexec_b64 s[36:37], vcc
	s_cbranch_execz .LBB707_709
; %bb.708:                              ;   in Loop: Header=BB707_688 Depth=2
	s_waitcnt vmcnt(0)
	v_add_co_u32_e32 v68, vcc, 0x1000, v70
	v_addc_co_u32_e32 v69, vcc, 0, v71, vcc
	global_load_dwordx2 v[92:93], v[68:69], off
.LBB707_709:                            ;   in Loop: Header=BB707_688 Depth=2
	s_or_b64 exec, exec, s[36:37]
	v_cmp_gt_u32_e32 vcc, s69, v151
	s_waitcnt vmcnt(5)
	v_pk_mov_b32 v[88:89], s[88:89], s[88:89] op_sel:[0,1]
	s_and_saveexec_b64 s[36:37], vcc
	s_cbranch_execz .LBB707_711
; %bb.710:                              ;   in Loop: Header=BB707_688 Depth=2
	s_waitcnt vmcnt(0)
	v_add_co_u32_e32 v68, vcc, 0x1000, v70
	v_addc_co_u32_e32 v69, vcc, 0, v71, vcc
	global_load_dwordx2 v[88:89], v[68:69], off offset:512
.LBB707_711:                            ;   in Loop: Header=BB707_688 Depth=2
	s_or_b64 exec, exec, s[36:37]
	v_cmp_gt_u32_e32 vcc, s69, v152
	s_waitcnt vmcnt(4)
	v_pk_mov_b32 v[84:85], s[88:89], s[88:89] op_sel:[0,1]
	s_and_saveexec_b64 s[36:37], vcc
	s_cbranch_execz .LBB707_713
; %bb.712:                              ;   in Loop: Header=BB707_688 Depth=2
	s_waitcnt vmcnt(0)
	v_add_co_u32_e32 v68, vcc, 0x1000, v70
	v_addc_co_u32_e32 v69, vcc, 0, v71, vcc
	global_load_dwordx2 v[84:85], v[68:69], off offset:1024
.LBB707_713:                            ;   in Loop: Header=BB707_688 Depth=2
	;; [unrolled: 12-line block ×5, first 2 shown]
	s_or_b64 exec, exec, s[36:37]
	v_cmp_gt_u32_e32 vcc, s69, v156
	s_waitcnt vmcnt(0)
	v_pk_mov_b32 v[68:69], s[88:89], s[88:89] op_sel:[0,1]
	s_and_saveexec_b64 s[36:37], vcc
	s_cbranch_execz .LBB707_721
; %bb.720:                              ;   in Loop: Header=BB707_688 Depth=2
	v_add_co_u32_e32 v68, vcc, 0x1000, v70
	v_addc_co_u32_e32 v69, vcc, 0, v71, vcc
	global_load_dwordx2 v[68:69], v[68:69], off offset:3072
.LBB707_721:                            ;   in Loop: Header=BB707_688 Depth=2
	s_or_b64 exec, exec, s[36:37]
	s_sub_i32 s40, s94, s78
	v_cmp_gt_u32_e64 s[36:37], s69, v157
.LBB707_722:                            ;   in Loop: Header=BB707_688 Depth=2
	v_pk_mov_b32 v[70:71], s[88:89], s[88:89] op_sel:[0,1]
	v_mov_b32_e32 v182, s69
	s_and_saveexec_b64 s[38:39], s[36:37]
	s_cbranch_execz .LBB707_724
; %bb.723:                              ;   in Loop: Header=BB707_688 Depth=2
	s_lshl_b64 s[36:37], s[78:79], 3
	v_mov_b32_e32 v5, s37
	v_add_co_u32_e32 v70, vcc, s36, v176
	v_addc_co_u32_e32 v71, vcc, v179, v5, vcc
	global_load_dwordx2 v[70:71], v[70:71], off
	v_mov_b32_e32 v182, s40
.LBB707_724:                            ;   in Loop: Header=BB707_688 Depth=2
	s_or_b64 exec, exec, s[38:39]
	s_waitcnt vmcnt(14)
	v_xor_b32_e32 v65, 0x7fffffff, v65
	v_not_b32_e32 v64, v64
	v_lshrrev_b64 v[96:97], s84, v[64:65]
	v_add_u32_e32 v5, 0x410, v27
	v_and_b32_e32 v96, s68, v96
	ds_write2_b32 v5, v4, v4 offset1:1
	ds_write2_b32 v31, v4, v4 offset0:2 offset1:3
	ds_write_b32 v31, v4 offset:16
	v_mad_u32_u24 v5, v96, 5, v181
	v_lshl_add_u32 v183, v5, 2, v29
	v_and_b32_e32 v5, 1, v96
	v_add_co_u32_e32 v97, vcc, -1, v5
	v_addc_co_u32_e64 v98, s[36:37], 0, -1, vcc
	v_cmp_ne_u32_e32 vcc, 0, v5
	v_xor_b32_e32 v5, vcc_hi, v98
	v_and_b32_e32 v98, exec_hi, v5
	v_lshlrev_b32_e32 v5, 30, v96
	v_xor_b32_e32 v97, vcc_lo, v97
	v_cmp_gt_i64_e32 vcc, 0, v[4:5]
	v_not_b32_e32 v5, v5
	v_ashrrev_i32_e32 v5, 31, v5
	v_and_b32_e32 v97, exec_lo, v97
	v_xor_b32_e32 v99, vcc_hi, v5
	v_xor_b32_e32 v5, vcc_lo, v5
	v_and_b32_e32 v97, v97, v5
	v_lshlrev_b32_e32 v5, 29, v96
	v_cmp_gt_i64_e32 vcc, 0, v[4:5]
	v_not_b32_e32 v5, v5
	v_ashrrev_i32_e32 v5, 31, v5
	v_and_b32_e32 v98, v98, v99
	v_xor_b32_e32 v99, vcc_hi, v5
	v_xor_b32_e32 v5, vcc_lo, v5
	v_and_b32_e32 v97, v97, v5
	v_lshlrev_b32_e32 v5, 28, v96
	v_cmp_gt_i64_e32 vcc, 0, v[4:5]
	v_not_b32_e32 v5, v5
	v_ashrrev_i32_e32 v5, 31, v5
	v_and_b32_e32 v98, v98, v99
	;; [unrolled: 8-line block ×5, first 2 shown]
	v_xor_b32_e32 v99, vcc_hi, v5
	v_xor_b32_e32 v5, vcc_lo, v5
	v_and_b32_e32 v98, v98, v99
	v_and_b32_e32 v99, v97, v5
	v_lshlrev_b32_e32 v5, 24, v96
	v_cmp_gt_i64_e32 vcc, 0, v[4:5]
	v_not_b32_e32 v5, v5
	v_ashrrev_i32_e32 v5, 31, v5
	v_xor_b32_e32 v96, vcc_hi, v5
	v_xor_b32_e32 v5, vcc_lo, v5
	v_and_b32_e32 v97, v98, v96
	v_and_b32_e32 v96, v99, v5
	v_mbcnt_lo_u32_b32 v5, v96, 0
	v_mbcnt_hi_u32_b32 v184, v97, v5
	v_cmp_eq_u32_e32 vcc, 0, v184
	v_cmp_ne_u64_e64 s[36:37], 0, v[96:97]
	s_and_b64 s[38:39], s[36:37], vcc
	s_waitcnt lgkmcnt(0)
	s_barrier
	s_waitcnt lgkmcnt(0)
	; wave barrier
	s_and_saveexec_b64 s[36:37], s[38:39]
	s_cbranch_execz .LBB707_726
; %bb.725:                              ;   in Loop: Header=BB707_688 Depth=2
	v_bcnt_u32_b32 v5, v96, 0
	v_bcnt_u32_b32 v5, v97, v5
	ds_write_b32 v183, v5
.LBB707_726:                            ;   in Loop: Header=BB707_688 Depth=2
	s_or_b64 exec, exec, s[36:37]
	s_waitcnt vmcnt(13)
	v_xor_b32_e32 v67, 0x7fffffff, v67
	v_not_b32_e32 v66, v66
	v_lshrrev_b64 v[96:97], s84, v[66:67]
	v_and_b32_e32 v96, s68, v96
	v_mul_u32_u24_e32 v5, 5, v96
	v_add_lshl_u32 v5, v5, v181, 2
	; wave barrier
	v_add_u32_e32 v186, 0x410, v5
	ds_read_b32 v185, v5 offset:1040
	v_and_b32_e32 v5, 1, v96
	v_add_co_u32_e32 v97, vcc, -1, v5
	v_addc_co_u32_e64 v98, s[36:37], 0, -1, vcc
	v_cmp_ne_u32_e32 vcc, 0, v5
	v_xor_b32_e32 v5, vcc_hi, v98
	v_and_b32_e32 v98, exec_hi, v5
	v_lshlrev_b32_e32 v5, 30, v96
	v_xor_b32_e32 v97, vcc_lo, v97
	v_cmp_gt_i64_e32 vcc, 0, v[4:5]
	v_not_b32_e32 v5, v5
	v_ashrrev_i32_e32 v5, 31, v5
	v_and_b32_e32 v97, exec_lo, v97
	v_xor_b32_e32 v99, vcc_hi, v5
	v_xor_b32_e32 v5, vcc_lo, v5
	v_and_b32_e32 v97, v97, v5
	v_lshlrev_b32_e32 v5, 29, v96
	v_cmp_gt_i64_e32 vcc, 0, v[4:5]
	v_not_b32_e32 v5, v5
	v_ashrrev_i32_e32 v5, 31, v5
	v_and_b32_e32 v98, v98, v99
	v_xor_b32_e32 v99, vcc_hi, v5
	v_xor_b32_e32 v5, vcc_lo, v5
	v_and_b32_e32 v97, v97, v5
	v_lshlrev_b32_e32 v5, 28, v96
	v_cmp_gt_i64_e32 vcc, 0, v[4:5]
	v_not_b32_e32 v5, v5
	v_ashrrev_i32_e32 v5, 31, v5
	v_and_b32_e32 v98, v98, v99
	;; [unrolled: 8-line block ×5, first 2 shown]
	v_xor_b32_e32 v99, vcc_hi, v5
	v_xor_b32_e32 v5, vcc_lo, v5
	v_and_b32_e32 v98, v98, v99
	v_and_b32_e32 v99, v97, v5
	v_lshlrev_b32_e32 v5, 24, v96
	v_cmp_gt_i64_e32 vcc, 0, v[4:5]
	v_not_b32_e32 v5, v5
	v_ashrrev_i32_e32 v5, 31, v5
	v_xor_b32_e32 v96, vcc_hi, v5
	v_xor_b32_e32 v5, vcc_lo, v5
	v_and_b32_e32 v97, v98, v96
	v_and_b32_e32 v96, v99, v5
	v_mbcnt_lo_u32_b32 v5, v96, 0
	v_mbcnt_hi_u32_b32 v187, v97, v5
	v_cmp_eq_u32_e32 vcc, 0, v187
	v_cmp_ne_u64_e64 s[36:37], 0, v[96:97]
	s_and_b64 s[38:39], s[36:37], vcc
	; wave barrier
	s_and_saveexec_b64 s[36:37], s[38:39]
	s_cbranch_execz .LBB707_728
; %bb.727:                              ;   in Loop: Header=BB707_688 Depth=2
	v_bcnt_u32_b32 v5, v96, 0
	v_bcnt_u32_b32 v5, v97, v5
	s_waitcnt lgkmcnt(0)
	v_add_u32_e32 v5, v185, v5
	ds_write_b32 v186, v5
.LBB707_728:                            ;   in Loop: Header=BB707_688 Depth=2
	s_or_b64 exec, exec, s[36:37]
	s_waitcnt vmcnt(12)
	v_xor_b32_e32 v75, 0x7fffffff, v75
	v_not_b32_e32 v74, v74
	v_lshrrev_b64 v[96:97], s84, v[74:75]
	v_and_b32_e32 v96, s68, v96
	v_mul_u32_u24_e32 v5, 5, v96
	v_add_lshl_u32 v5, v5, v181, 2
	; wave barrier
	v_add_u32_e32 v189, 0x410, v5
	ds_read_b32 v188, v5 offset:1040
	v_and_b32_e32 v5, 1, v96
	v_add_co_u32_e32 v97, vcc, -1, v5
	v_addc_co_u32_e64 v98, s[36:37], 0, -1, vcc
	v_cmp_ne_u32_e32 vcc, 0, v5
	v_xor_b32_e32 v5, vcc_hi, v98
	v_and_b32_e32 v98, exec_hi, v5
	v_lshlrev_b32_e32 v5, 30, v96
	v_xor_b32_e32 v97, vcc_lo, v97
	v_cmp_gt_i64_e32 vcc, 0, v[4:5]
	v_not_b32_e32 v5, v5
	v_ashrrev_i32_e32 v5, 31, v5
	v_and_b32_e32 v97, exec_lo, v97
	v_xor_b32_e32 v99, vcc_hi, v5
	v_xor_b32_e32 v5, vcc_lo, v5
	v_and_b32_e32 v97, v97, v5
	v_lshlrev_b32_e32 v5, 29, v96
	v_cmp_gt_i64_e32 vcc, 0, v[4:5]
	v_not_b32_e32 v5, v5
	v_ashrrev_i32_e32 v5, 31, v5
	v_and_b32_e32 v98, v98, v99
	v_xor_b32_e32 v99, vcc_hi, v5
	v_xor_b32_e32 v5, vcc_lo, v5
	v_and_b32_e32 v97, v97, v5
	v_lshlrev_b32_e32 v5, 28, v96
	v_cmp_gt_i64_e32 vcc, 0, v[4:5]
	v_not_b32_e32 v5, v5
	v_ashrrev_i32_e32 v5, 31, v5
	v_and_b32_e32 v98, v98, v99
	;; [unrolled: 8-line block ×5, first 2 shown]
	v_xor_b32_e32 v99, vcc_hi, v5
	v_xor_b32_e32 v5, vcc_lo, v5
	v_and_b32_e32 v98, v98, v99
	v_and_b32_e32 v99, v97, v5
	v_lshlrev_b32_e32 v5, 24, v96
	v_cmp_gt_i64_e32 vcc, 0, v[4:5]
	v_not_b32_e32 v5, v5
	v_ashrrev_i32_e32 v5, 31, v5
	v_xor_b32_e32 v96, vcc_hi, v5
	v_xor_b32_e32 v5, vcc_lo, v5
	v_and_b32_e32 v97, v98, v96
	v_and_b32_e32 v96, v99, v5
	v_mbcnt_lo_u32_b32 v5, v96, 0
	v_mbcnt_hi_u32_b32 v190, v97, v5
	v_cmp_eq_u32_e32 vcc, 0, v190
	v_cmp_ne_u64_e64 s[36:37], 0, v[96:97]
	s_and_b64 s[38:39], s[36:37], vcc
	; wave barrier
	s_and_saveexec_b64 s[36:37], s[38:39]
	s_cbranch_execz .LBB707_730
; %bb.729:                              ;   in Loop: Header=BB707_688 Depth=2
	v_bcnt_u32_b32 v5, v96, 0
	v_bcnt_u32_b32 v5, v97, v5
	s_waitcnt lgkmcnt(0)
	v_add_u32_e32 v5, v188, v5
	ds_write_b32 v189, v5
.LBB707_730:                            ;   in Loop: Header=BB707_688 Depth=2
	s_or_b64 exec, exec, s[36:37]
	s_waitcnt vmcnt(11)
	v_xor_b32_e32 v79, 0x7fffffff, v79
	v_not_b32_e32 v78, v78
	v_lshrrev_b64 v[96:97], s84, v[78:79]
	v_and_b32_e32 v96, s68, v96
	v_mul_u32_u24_e32 v5, 5, v96
	v_add_lshl_u32 v5, v5, v181, 2
	; wave barrier
	v_add_u32_e32 v192, 0x410, v5
	ds_read_b32 v191, v5 offset:1040
	v_and_b32_e32 v5, 1, v96
	v_add_co_u32_e32 v97, vcc, -1, v5
	v_addc_co_u32_e64 v98, s[36:37], 0, -1, vcc
	v_cmp_ne_u32_e32 vcc, 0, v5
	v_xor_b32_e32 v5, vcc_hi, v98
	v_and_b32_e32 v98, exec_hi, v5
	v_lshlrev_b32_e32 v5, 30, v96
	v_xor_b32_e32 v97, vcc_lo, v97
	v_cmp_gt_i64_e32 vcc, 0, v[4:5]
	v_not_b32_e32 v5, v5
	v_ashrrev_i32_e32 v5, 31, v5
	v_and_b32_e32 v97, exec_lo, v97
	v_xor_b32_e32 v99, vcc_hi, v5
	v_xor_b32_e32 v5, vcc_lo, v5
	v_and_b32_e32 v97, v97, v5
	v_lshlrev_b32_e32 v5, 29, v96
	v_cmp_gt_i64_e32 vcc, 0, v[4:5]
	v_not_b32_e32 v5, v5
	v_ashrrev_i32_e32 v5, 31, v5
	v_and_b32_e32 v98, v98, v99
	v_xor_b32_e32 v99, vcc_hi, v5
	v_xor_b32_e32 v5, vcc_lo, v5
	v_and_b32_e32 v97, v97, v5
	v_lshlrev_b32_e32 v5, 28, v96
	v_cmp_gt_i64_e32 vcc, 0, v[4:5]
	v_not_b32_e32 v5, v5
	v_ashrrev_i32_e32 v5, 31, v5
	v_and_b32_e32 v98, v98, v99
	;; [unrolled: 8-line block ×5, first 2 shown]
	v_xor_b32_e32 v99, vcc_hi, v5
	v_xor_b32_e32 v5, vcc_lo, v5
	v_and_b32_e32 v98, v98, v99
	v_and_b32_e32 v99, v97, v5
	v_lshlrev_b32_e32 v5, 24, v96
	v_cmp_gt_i64_e32 vcc, 0, v[4:5]
	v_not_b32_e32 v5, v5
	v_ashrrev_i32_e32 v5, 31, v5
	v_xor_b32_e32 v96, vcc_hi, v5
	v_xor_b32_e32 v5, vcc_lo, v5
	v_and_b32_e32 v97, v98, v96
	v_and_b32_e32 v96, v99, v5
	v_mbcnt_lo_u32_b32 v5, v96, 0
	v_mbcnt_hi_u32_b32 v193, v97, v5
	v_cmp_eq_u32_e32 vcc, 0, v193
	v_cmp_ne_u64_e64 s[36:37], 0, v[96:97]
	s_and_b64 s[38:39], s[36:37], vcc
	; wave barrier
	s_and_saveexec_b64 s[36:37], s[38:39]
	s_cbranch_execz .LBB707_732
; %bb.731:                              ;   in Loop: Header=BB707_688 Depth=2
	v_bcnt_u32_b32 v5, v96, 0
	v_bcnt_u32_b32 v5, v97, v5
	s_waitcnt lgkmcnt(0)
	v_add_u32_e32 v5, v191, v5
	ds_write_b32 v192, v5
.LBB707_732:                            ;   in Loop: Header=BB707_688 Depth=2
	s_or_b64 exec, exec, s[36:37]
	s_waitcnt vmcnt(10)
	v_xor_b32_e32 v83, 0x7fffffff, v83
	v_not_b32_e32 v82, v82
	v_lshrrev_b64 v[96:97], s84, v[82:83]
	v_and_b32_e32 v96, s68, v96
	v_mul_u32_u24_e32 v5, 5, v96
	v_add_lshl_u32 v5, v5, v181, 2
	; wave barrier
	v_add_u32_e32 v195, 0x410, v5
	ds_read_b32 v194, v5 offset:1040
	v_and_b32_e32 v5, 1, v96
	v_add_co_u32_e32 v97, vcc, -1, v5
	v_addc_co_u32_e64 v98, s[36:37], 0, -1, vcc
	v_cmp_ne_u32_e32 vcc, 0, v5
	v_xor_b32_e32 v5, vcc_hi, v98
	v_and_b32_e32 v98, exec_hi, v5
	v_lshlrev_b32_e32 v5, 30, v96
	v_xor_b32_e32 v97, vcc_lo, v97
	v_cmp_gt_i64_e32 vcc, 0, v[4:5]
	v_not_b32_e32 v5, v5
	v_ashrrev_i32_e32 v5, 31, v5
	v_and_b32_e32 v97, exec_lo, v97
	v_xor_b32_e32 v99, vcc_hi, v5
	v_xor_b32_e32 v5, vcc_lo, v5
	v_and_b32_e32 v97, v97, v5
	v_lshlrev_b32_e32 v5, 29, v96
	v_cmp_gt_i64_e32 vcc, 0, v[4:5]
	v_not_b32_e32 v5, v5
	v_ashrrev_i32_e32 v5, 31, v5
	v_and_b32_e32 v98, v98, v99
	v_xor_b32_e32 v99, vcc_hi, v5
	v_xor_b32_e32 v5, vcc_lo, v5
	v_and_b32_e32 v97, v97, v5
	v_lshlrev_b32_e32 v5, 28, v96
	v_cmp_gt_i64_e32 vcc, 0, v[4:5]
	v_not_b32_e32 v5, v5
	v_ashrrev_i32_e32 v5, 31, v5
	v_and_b32_e32 v98, v98, v99
	;; [unrolled: 8-line block ×5, first 2 shown]
	v_xor_b32_e32 v99, vcc_hi, v5
	v_xor_b32_e32 v5, vcc_lo, v5
	v_and_b32_e32 v98, v98, v99
	v_and_b32_e32 v99, v97, v5
	v_lshlrev_b32_e32 v5, 24, v96
	v_cmp_gt_i64_e32 vcc, 0, v[4:5]
	v_not_b32_e32 v5, v5
	v_ashrrev_i32_e32 v5, 31, v5
	v_xor_b32_e32 v96, vcc_hi, v5
	v_xor_b32_e32 v5, vcc_lo, v5
	v_and_b32_e32 v97, v98, v96
	v_and_b32_e32 v96, v99, v5
	v_mbcnt_lo_u32_b32 v5, v96, 0
	v_mbcnt_hi_u32_b32 v196, v97, v5
	v_cmp_eq_u32_e32 vcc, 0, v196
	v_cmp_ne_u64_e64 s[36:37], 0, v[96:97]
	s_and_b64 s[38:39], s[36:37], vcc
	; wave barrier
	s_and_saveexec_b64 s[36:37], s[38:39]
	s_cbranch_execz .LBB707_734
; %bb.733:                              ;   in Loop: Header=BB707_688 Depth=2
	v_bcnt_u32_b32 v5, v96, 0
	v_bcnt_u32_b32 v5, v97, v5
	s_waitcnt lgkmcnt(0)
	v_add_u32_e32 v5, v194, v5
	ds_write_b32 v195, v5
.LBB707_734:                            ;   in Loop: Header=BB707_688 Depth=2
	s_or_b64 exec, exec, s[36:37]
	s_waitcnt vmcnt(9)
	v_xor_b32_e32 v87, 0x7fffffff, v87
	v_not_b32_e32 v86, v86
	v_lshrrev_b64 v[96:97], s84, v[86:87]
	v_and_b32_e32 v96, s68, v96
	v_mul_u32_u24_e32 v5, 5, v96
	v_add_lshl_u32 v5, v5, v181, 2
	; wave barrier
	v_add_u32_e32 v198, 0x410, v5
	ds_read_b32 v197, v5 offset:1040
	v_and_b32_e32 v5, 1, v96
	v_add_co_u32_e32 v97, vcc, -1, v5
	v_addc_co_u32_e64 v98, s[36:37], 0, -1, vcc
	v_cmp_ne_u32_e32 vcc, 0, v5
	v_xor_b32_e32 v5, vcc_hi, v98
	v_and_b32_e32 v98, exec_hi, v5
	v_lshlrev_b32_e32 v5, 30, v96
	v_xor_b32_e32 v97, vcc_lo, v97
	v_cmp_gt_i64_e32 vcc, 0, v[4:5]
	v_not_b32_e32 v5, v5
	v_ashrrev_i32_e32 v5, 31, v5
	v_and_b32_e32 v97, exec_lo, v97
	v_xor_b32_e32 v99, vcc_hi, v5
	v_xor_b32_e32 v5, vcc_lo, v5
	v_and_b32_e32 v97, v97, v5
	v_lshlrev_b32_e32 v5, 29, v96
	v_cmp_gt_i64_e32 vcc, 0, v[4:5]
	v_not_b32_e32 v5, v5
	v_ashrrev_i32_e32 v5, 31, v5
	v_and_b32_e32 v98, v98, v99
	v_xor_b32_e32 v99, vcc_hi, v5
	v_xor_b32_e32 v5, vcc_lo, v5
	v_and_b32_e32 v97, v97, v5
	v_lshlrev_b32_e32 v5, 28, v96
	v_cmp_gt_i64_e32 vcc, 0, v[4:5]
	v_not_b32_e32 v5, v5
	v_ashrrev_i32_e32 v5, 31, v5
	v_and_b32_e32 v98, v98, v99
	;; [unrolled: 8-line block ×5, first 2 shown]
	v_xor_b32_e32 v99, vcc_hi, v5
	v_xor_b32_e32 v5, vcc_lo, v5
	v_and_b32_e32 v98, v98, v99
	v_and_b32_e32 v99, v97, v5
	v_lshlrev_b32_e32 v5, 24, v96
	v_cmp_gt_i64_e32 vcc, 0, v[4:5]
	v_not_b32_e32 v5, v5
	v_ashrrev_i32_e32 v5, 31, v5
	v_xor_b32_e32 v96, vcc_hi, v5
	v_xor_b32_e32 v5, vcc_lo, v5
	v_and_b32_e32 v97, v98, v96
	v_and_b32_e32 v96, v99, v5
	v_mbcnt_lo_u32_b32 v5, v96, 0
	v_mbcnt_hi_u32_b32 v199, v97, v5
	v_cmp_eq_u32_e32 vcc, 0, v199
	v_cmp_ne_u64_e64 s[36:37], 0, v[96:97]
	s_and_b64 s[38:39], s[36:37], vcc
	; wave barrier
	s_and_saveexec_b64 s[36:37], s[38:39]
	s_cbranch_execz .LBB707_736
; %bb.735:                              ;   in Loop: Header=BB707_688 Depth=2
	v_bcnt_u32_b32 v5, v96, 0
	v_bcnt_u32_b32 v5, v97, v5
	s_waitcnt lgkmcnt(0)
	v_add_u32_e32 v5, v197, v5
	ds_write_b32 v198, v5
.LBB707_736:                            ;   in Loop: Header=BB707_688 Depth=2
	s_or_b64 exec, exec, s[36:37]
	s_waitcnt vmcnt(8)
	v_xor_b32_e32 v91, 0x7fffffff, v91
	v_not_b32_e32 v90, v90
	v_lshrrev_b64 v[96:97], s84, v[90:91]
	v_and_b32_e32 v96, s68, v96
	v_mul_u32_u24_e32 v5, 5, v96
	v_add_lshl_u32 v5, v5, v181, 2
	; wave barrier
	v_add_u32_e32 v201, 0x410, v5
	ds_read_b32 v200, v5 offset:1040
	v_and_b32_e32 v5, 1, v96
	v_add_co_u32_e32 v97, vcc, -1, v5
	v_addc_co_u32_e64 v98, s[36:37], 0, -1, vcc
	v_cmp_ne_u32_e32 vcc, 0, v5
	v_xor_b32_e32 v5, vcc_hi, v98
	v_and_b32_e32 v98, exec_hi, v5
	v_lshlrev_b32_e32 v5, 30, v96
	v_xor_b32_e32 v97, vcc_lo, v97
	v_cmp_gt_i64_e32 vcc, 0, v[4:5]
	v_not_b32_e32 v5, v5
	v_ashrrev_i32_e32 v5, 31, v5
	v_and_b32_e32 v97, exec_lo, v97
	v_xor_b32_e32 v99, vcc_hi, v5
	v_xor_b32_e32 v5, vcc_lo, v5
	v_and_b32_e32 v97, v97, v5
	v_lshlrev_b32_e32 v5, 29, v96
	v_cmp_gt_i64_e32 vcc, 0, v[4:5]
	v_not_b32_e32 v5, v5
	v_ashrrev_i32_e32 v5, 31, v5
	v_and_b32_e32 v98, v98, v99
	v_xor_b32_e32 v99, vcc_hi, v5
	v_xor_b32_e32 v5, vcc_lo, v5
	v_and_b32_e32 v97, v97, v5
	v_lshlrev_b32_e32 v5, 28, v96
	v_cmp_gt_i64_e32 vcc, 0, v[4:5]
	v_not_b32_e32 v5, v5
	v_ashrrev_i32_e32 v5, 31, v5
	v_and_b32_e32 v98, v98, v99
	;; [unrolled: 8-line block ×5, first 2 shown]
	v_xor_b32_e32 v99, vcc_hi, v5
	v_xor_b32_e32 v5, vcc_lo, v5
	v_and_b32_e32 v98, v98, v99
	v_and_b32_e32 v99, v97, v5
	v_lshlrev_b32_e32 v5, 24, v96
	v_cmp_gt_i64_e32 vcc, 0, v[4:5]
	v_not_b32_e32 v5, v5
	v_ashrrev_i32_e32 v5, 31, v5
	v_xor_b32_e32 v96, vcc_hi, v5
	v_xor_b32_e32 v5, vcc_lo, v5
	v_and_b32_e32 v97, v98, v96
	v_and_b32_e32 v96, v99, v5
	v_mbcnt_lo_u32_b32 v5, v96, 0
	v_mbcnt_hi_u32_b32 v202, v97, v5
	v_cmp_eq_u32_e32 vcc, 0, v202
	v_cmp_ne_u64_e64 s[36:37], 0, v[96:97]
	s_and_b64 s[38:39], s[36:37], vcc
	; wave barrier
	s_and_saveexec_b64 s[36:37], s[38:39]
	s_cbranch_execz .LBB707_738
; %bb.737:                              ;   in Loop: Header=BB707_688 Depth=2
	v_bcnt_u32_b32 v5, v96, 0
	v_bcnt_u32_b32 v5, v97, v5
	s_waitcnt lgkmcnt(0)
	v_add_u32_e32 v5, v200, v5
	ds_write_b32 v201, v5
.LBB707_738:                            ;   in Loop: Header=BB707_688 Depth=2
	s_or_b64 exec, exec, s[36:37]
	s_waitcnt vmcnt(7)
	v_xor_b32_e32 v95, 0x7fffffff, v95
	v_not_b32_e32 v94, v94
	v_lshrrev_b64 v[96:97], s84, v[94:95]
	v_and_b32_e32 v96, s68, v96
	v_mul_u32_u24_e32 v5, 5, v96
	v_add_lshl_u32 v5, v5, v181, 2
	; wave barrier
	v_add_u32_e32 v204, 0x410, v5
	ds_read_b32 v203, v5 offset:1040
	v_and_b32_e32 v5, 1, v96
	v_add_co_u32_e32 v97, vcc, -1, v5
	v_addc_co_u32_e64 v98, s[36:37], 0, -1, vcc
	v_cmp_ne_u32_e32 vcc, 0, v5
	v_xor_b32_e32 v5, vcc_hi, v98
	v_and_b32_e32 v98, exec_hi, v5
	v_lshlrev_b32_e32 v5, 30, v96
	v_xor_b32_e32 v97, vcc_lo, v97
	v_cmp_gt_i64_e32 vcc, 0, v[4:5]
	v_not_b32_e32 v5, v5
	v_ashrrev_i32_e32 v5, 31, v5
	v_and_b32_e32 v97, exec_lo, v97
	v_xor_b32_e32 v99, vcc_hi, v5
	v_xor_b32_e32 v5, vcc_lo, v5
	v_and_b32_e32 v97, v97, v5
	v_lshlrev_b32_e32 v5, 29, v96
	v_cmp_gt_i64_e32 vcc, 0, v[4:5]
	v_not_b32_e32 v5, v5
	v_ashrrev_i32_e32 v5, 31, v5
	v_and_b32_e32 v98, v98, v99
	v_xor_b32_e32 v99, vcc_hi, v5
	v_xor_b32_e32 v5, vcc_lo, v5
	v_and_b32_e32 v97, v97, v5
	v_lshlrev_b32_e32 v5, 28, v96
	v_cmp_gt_i64_e32 vcc, 0, v[4:5]
	v_not_b32_e32 v5, v5
	v_ashrrev_i32_e32 v5, 31, v5
	v_and_b32_e32 v98, v98, v99
	;; [unrolled: 8-line block ×5, first 2 shown]
	v_xor_b32_e32 v99, vcc_hi, v5
	v_xor_b32_e32 v5, vcc_lo, v5
	v_and_b32_e32 v98, v98, v99
	v_and_b32_e32 v99, v97, v5
	v_lshlrev_b32_e32 v5, 24, v96
	v_cmp_gt_i64_e32 vcc, 0, v[4:5]
	v_not_b32_e32 v5, v5
	v_ashrrev_i32_e32 v5, 31, v5
	v_xor_b32_e32 v96, vcc_hi, v5
	v_xor_b32_e32 v5, vcc_lo, v5
	v_and_b32_e32 v97, v98, v96
	v_and_b32_e32 v96, v99, v5
	v_mbcnt_lo_u32_b32 v5, v96, 0
	v_mbcnt_hi_u32_b32 v205, v97, v5
	v_cmp_eq_u32_e32 vcc, 0, v205
	v_cmp_ne_u64_e64 s[36:37], 0, v[96:97]
	s_and_b64 s[38:39], s[36:37], vcc
	; wave barrier
	s_and_saveexec_b64 s[36:37], s[38:39]
	s_cbranch_execz .LBB707_740
; %bb.739:                              ;   in Loop: Header=BB707_688 Depth=2
	v_bcnt_u32_b32 v5, v96, 0
	v_bcnt_u32_b32 v5, v97, v5
	s_waitcnt lgkmcnt(0)
	v_add_u32_e32 v5, v203, v5
	ds_write_b32 v204, v5
.LBB707_740:                            ;   in Loop: Header=BB707_688 Depth=2
	s_or_b64 exec, exec, s[36:37]
	s_waitcnt vmcnt(6)
	v_xor_b32_e32 v93, 0x7fffffff, v93
	v_not_b32_e32 v92, v92
	v_lshrrev_b64 v[96:97], s84, v[92:93]
	v_and_b32_e32 v96, s68, v96
	v_mul_u32_u24_e32 v5, 5, v96
	v_add_lshl_u32 v5, v5, v181, 2
	; wave barrier
	v_add_u32_e32 v207, 0x410, v5
	ds_read_b32 v206, v5 offset:1040
	v_and_b32_e32 v5, 1, v96
	v_add_co_u32_e32 v97, vcc, -1, v5
	v_addc_co_u32_e64 v98, s[36:37], 0, -1, vcc
	v_cmp_ne_u32_e32 vcc, 0, v5
	v_xor_b32_e32 v5, vcc_hi, v98
	v_and_b32_e32 v98, exec_hi, v5
	v_lshlrev_b32_e32 v5, 30, v96
	v_xor_b32_e32 v97, vcc_lo, v97
	v_cmp_gt_i64_e32 vcc, 0, v[4:5]
	v_not_b32_e32 v5, v5
	v_ashrrev_i32_e32 v5, 31, v5
	v_and_b32_e32 v97, exec_lo, v97
	v_xor_b32_e32 v99, vcc_hi, v5
	v_xor_b32_e32 v5, vcc_lo, v5
	v_and_b32_e32 v97, v97, v5
	v_lshlrev_b32_e32 v5, 29, v96
	v_cmp_gt_i64_e32 vcc, 0, v[4:5]
	v_not_b32_e32 v5, v5
	v_ashrrev_i32_e32 v5, 31, v5
	v_and_b32_e32 v98, v98, v99
	v_xor_b32_e32 v99, vcc_hi, v5
	v_xor_b32_e32 v5, vcc_lo, v5
	v_and_b32_e32 v97, v97, v5
	v_lshlrev_b32_e32 v5, 28, v96
	v_cmp_gt_i64_e32 vcc, 0, v[4:5]
	v_not_b32_e32 v5, v5
	v_ashrrev_i32_e32 v5, 31, v5
	v_and_b32_e32 v98, v98, v99
	;; [unrolled: 8-line block ×5, first 2 shown]
	v_xor_b32_e32 v99, vcc_hi, v5
	v_xor_b32_e32 v5, vcc_lo, v5
	v_and_b32_e32 v98, v98, v99
	v_and_b32_e32 v99, v97, v5
	v_lshlrev_b32_e32 v5, 24, v96
	v_cmp_gt_i64_e32 vcc, 0, v[4:5]
	v_not_b32_e32 v5, v5
	v_ashrrev_i32_e32 v5, 31, v5
	v_xor_b32_e32 v96, vcc_hi, v5
	v_xor_b32_e32 v5, vcc_lo, v5
	v_and_b32_e32 v97, v98, v96
	v_and_b32_e32 v96, v99, v5
	v_mbcnt_lo_u32_b32 v5, v96, 0
	v_mbcnt_hi_u32_b32 v208, v97, v5
	v_cmp_eq_u32_e32 vcc, 0, v208
	v_cmp_ne_u64_e64 s[36:37], 0, v[96:97]
	s_and_b64 s[38:39], s[36:37], vcc
	; wave barrier
	s_and_saveexec_b64 s[36:37], s[38:39]
	s_cbranch_execz .LBB707_742
; %bb.741:                              ;   in Loop: Header=BB707_688 Depth=2
	v_bcnt_u32_b32 v5, v96, 0
	v_bcnt_u32_b32 v5, v97, v5
	s_waitcnt lgkmcnt(0)
	v_add_u32_e32 v5, v206, v5
	ds_write_b32 v207, v5
.LBB707_742:                            ;   in Loop: Header=BB707_688 Depth=2
	s_or_b64 exec, exec, s[36:37]
	s_waitcnt vmcnt(5)
	v_xor_b32_e32 v89, 0x7fffffff, v89
	v_not_b32_e32 v88, v88
	v_lshrrev_b64 v[96:97], s84, v[88:89]
	v_and_b32_e32 v96, s68, v96
	v_mul_u32_u24_e32 v5, 5, v96
	v_add_lshl_u32 v5, v5, v181, 2
	; wave barrier
	v_add_u32_e32 v210, 0x410, v5
	ds_read_b32 v209, v5 offset:1040
	v_and_b32_e32 v5, 1, v96
	v_add_co_u32_e32 v97, vcc, -1, v5
	v_addc_co_u32_e64 v98, s[36:37], 0, -1, vcc
	v_cmp_ne_u32_e32 vcc, 0, v5
	v_xor_b32_e32 v5, vcc_hi, v98
	v_and_b32_e32 v98, exec_hi, v5
	v_lshlrev_b32_e32 v5, 30, v96
	v_xor_b32_e32 v97, vcc_lo, v97
	v_cmp_gt_i64_e32 vcc, 0, v[4:5]
	v_not_b32_e32 v5, v5
	v_ashrrev_i32_e32 v5, 31, v5
	v_and_b32_e32 v97, exec_lo, v97
	v_xor_b32_e32 v99, vcc_hi, v5
	v_xor_b32_e32 v5, vcc_lo, v5
	v_and_b32_e32 v97, v97, v5
	v_lshlrev_b32_e32 v5, 29, v96
	v_cmp_gt_i64_e32 vcc, 0, v[4:5]
	v_not_b32_e32 v5, v5
	v_ashrrev_i32_e32 v5, 31, v5
	v_and_b32_e32 v98, v98, v99
	v_xor_b32_e32 v99, vcc_hi, v5
	v_xor_b32_e32 v5, vcc_lo, v5
	v_and_b32_e32 v97, v97, v5
	v_lshlrev_b32_e32 v5, 28, v96
	v_cmp_gt_i64_e32 vcc, 0, v[4:5]
	v_not_b32_e32 v5, v5
	v_ashrrev_i32_e32 v5, 31, v5
	v_and_b32_e32 v98, v98, v99
	;; [unrolled: 8-line block ×5, first 2 shown]
	v_xor_b32_e32 v99, vcc_hi, v5
	v_xor_b32_e32 v5, vcc_lo, v5
	v_and_b32_e32 v98, v98, v99
	v_and_b32_e32 v99, v97, v5
	v_lshlrev_b32_e32 v5, 24, v96
	v_cmp_gt_i64_e32 vcc, 0, v[4:5]
	v_not_b32_e32 v5, v5
	v_ashrrev_i32_e32 v5, 31, v5
	v_xor_b32_e32 v96, vcc_hi, v5
	v_xor_b32_e32 v5, vcc_lo, v5
	v_and_b32_e32 v97, v98, v96
	v_and_b32_e32 v96, v99, v5
	v_mbcnt_lo_u32_b32 v5, v96, 0
	v_mbcnt_hi_u32_b32 v211, v97, v5
	v_cmp_eq_u32_e32 vcc, 0, v211
	v_cmp_ne_u64_e64 s[36:37], 0, v[96:97]
	s_and_b64 s[38:39], s[36:37], vcc
	; wave barrier
	s_and_saveexec_b64 s[36:37], s[38:39]
	s_cbranch_execz .LBB707_744
; %bb.743:                              ;   in Loop: Header=BB707_688 Depth=2
	v_bcnt_u32_b32 v5, v96, 0
	v_bcnt_u32_b32 v5, v97, v5
	s_waitcnt lgkmcnt(0)
	v_add_u32_e32 v5, v209, v5
	ds_write_b32 v210, v5
.LBB707_744:                            ;   in Loop: Header=BB707_688 Depth=2
	s_or_b64 exec, exec, s[36:37]
	s_waitcnt vmcnt(4)
	v_xor_b32_e32 v85, 0x7fffffff, v85
	v_not_b32_e32 v84, v84
	v_lshrrev_b64 v[96:97], s84, v[84:85]
	v_and_b32_e32 v96, s68, v96
	v_mul_u32_u24_e32 v5, 5, v96
	v_add_lshl_u32 v5, v5, v181, 2
	; wave barrier
	v_add_u32_e32 v213, 0x410, v5
	ds_read_b32 v212, v5 offset:1040
	v_and_b32_e32 v5, 1, v96
	v_add_co_u32_e32 v97, vcc, -1, v5
	v_addc_co_u32_e64 v98, s[36:37], 0, -1, vcc
	v_cmp_ne_u32_e32 vcc, 0, v5
	v_xor_b32_e32 v5, vcc_hi, v98
	v_and_b32_e32 v98, exec_hi, v5
	v_lshlrev_b32_e32 v5, 30, v96
	v_xor_b32_e32 v97, vcc_lo, v97
	v_cmp_gt_i64_e32 vcc, 0, v[4:5]
	v_not_b32_e32 v5, v5
	v_ashrrev_i32_e32 v5, 31, v5
	v_and_b32_e32 v97, exec_lo, v97
	v_xor_b32_e32 v99, vcc_hi, v5
	v_xor_b32_e32 v5, vcc_lo, v5
	v_and_b32_e32 v97, v97, v5
	v_lshlrev_b32_e32 v5, 29, v96
	v_cmp_gt_i64_e32 vcc, 0, v[4:5]
	v_not_b32_e32 v5, v5
	v_ashrrev_i32_e32 v5, 31, v5
	v_and_b32_e32 v98, v98, v99
	v_xor_b32_e32 v99, vcc_hi, v5
	v_xor_b32_e32 v5, vcc_lo, v5
	v_and_b32_e32 v97, v97, v5
	v_lshlrev_b32_e32 v5, 28, v96
	v_cmp_gt_i64_e32 vcc, 0, v[4:5]
	v_not_b32_e32 v5, v5
	v_ashrrev_i32_e32 v5, 31, v5
	v_and_b32_e32 v98, v98, v99
	;; [unrolled: 8-line block ×5, first 2 shown]
	v_xor_b32_e32 v99, vcc_hi, v5
	v_xor_b32_e32 v5, vcc_lo, v5
	v_and_b32_e32 v98, v98, v99
	v_and_b32_e32 v99, v97, v5
	v_lshlrev_b32_e32 v5, 24, v96
	v_cmp_gt_i64_e32 vcc, 0, v[4:5]
	v_not_b32_e32 v5, v5
	v_ashrrev_i32_e32 v5, 31, v5
	v_xor_b32_e32 v96, vcc_hi, v5
	v_xor_b32_e32 v5, vcc_lo, v5
	v_and_b32_e32 v97, v98, v96
	v_and_b32_e32 v96, v99, v5
	v_mbcnt_lo_u32_b32 v5, v96, 0
	v_mbcnt_hi_u32_b32 v214, v97, v5
	v_cmp_eq_u32_e32 vcc, 0, v214
	v_cmp_ne_u64_e64 s[36:37], 0, v[96:97]
	s_and_b64 s[38:39], s[36:37], vcc
	; wave barrier
	s_and_saveexec_b64 s[36:37], s[38:39]
	s_cbranch_execz .LBB707_746
; %bb.745:                              ;   in Loop: Header=BB707_688 Depth=2
	v_bcnt_u32_b32 v5, v96, 0
	v_bcnt_u32_b32 v5, v97, v5
	s_waitcnt lgkmcnt(0)
	v_add_u32_e32 v5, v212, v5
	ds_write_b32 v213, v5
.LBB707_746:                            ;   in Loop: Header=BB707_688 Depth=2
	s_or_b64 exec, exec, s[36:37]
	s_waitcnt vmcnt(3)
	v_xor_b32_e32 v81, 0x7fffffff, v81
	v_not_b32_e32 v80, v80
	v_lshrrev_b64 v[96:97], s84, v[80:81]
	v_and_b32_e32 v96, s68, v96
	v_mul_u32_u24_e32 v5, 5, v96
	v_add_lshl_u32 v5, v5, v181, 2
	; wave barrier
	v_add_u32_e32 v216, 0x410, v5
	ds_read_b32 v215, v5 offset:1040
	v_and_b32_e32 v5, 1, v96
	v_add_co_u32_e32 v97, vcc, -1, v5
	v_addc_co_u32_e64 v98, s[36:37], 0, -1, vcc
	v_cmp_ne_u32_e32 vcc, 0, v5
	v_xor_b32_e32 v5, vcc_hi, v98
	v_and_b32_e32 v98, exec_hi, v5
	v_lshlrev_b32_e32 v5, 30, v96
	v_xor_b32_e32 v97, vcc_lo, v97
	v_cmp_gt_i64_e32 vcc, 0, v[4:5]
	v_not_b32_e32 v5, v5
	v_ashrrev_i32_e32 v5, 31, v5
	v_and_b32_e32 v97, exec_lo, v97
	v_xor_b32_e32 v99, vcc_hi, v5
	v_xor_b32_e32 v5, vcc_lo, v5
	v_and_b32_e32 v97, v97, v5
	v_lshlrev_b32_e32 v5, 29, v96
	v_cmp_gt_i64_e32 vcc, 0, v[4:5]
	v_not_b32_e32 v5, v5
	v_ashrrev_i32_e32 v5, 31, v5
	v_and_b32_e32 v98, v98, v99
	v_xor_b32_e32 v99, vcc_hi, v5
	v_xor_b32_e32 v5, vcc_lo, v5
	v_and_b32_e32 v97, v97, v5
	v_lshlrev_b32_e32 v5, 28, v96
	v_cmp_gt_i64_e32 vcc, 0, v[4:5]
	v_not_b32_e32 v5, v5
	v_ashrrev_i32_e32 v5, 31, v5
	v_and_b32_e32 v98, v98, v99
	;; [unrolled: 8-line block ×5, first 2 shown]
	v_xor_b32_e32 v99, vcc_hi, v5
	v_xor_b32_e32 v5, vcc_lo, v5
	v_and_b32_e32 v98, v98, v99
	v_and_b32_e32 v99, v97, v5
	v_lshlrev_b32_e32 v5, 24, v96
	v_cmp_gt_i64_e32 vcc, 0, v[4:5]
	v_not_b32_e32 v5, v5
	v_ashrrev_i32_e32 v5, 31, v5
	v_xor_b32_e32 v96, vcc_hi, v5
	v_xor_b32_e32 v5, vcc_lo, v5
	v_and_b32_e32 v97, v98, v96
	v_and_b32_e32 v96, v99, v5
	v_mbcnt_lo_u32_b32 v5, v96, 0
	v_mbcnt_hi_u32_b32 v217, v97, v5
	v_cmp_eq_u32_e32 vcc, 0, v217
	v_cmp_ne_u64_e64 s[36:37], 0, v[96:97]
	s_and_b64 s[38:39], s[36:37], vcc
	; wave barrier
	s_and_saveexec_b64 s[36:37], s[38:39]
	s_cbranch_execz .LBB707_748
; %bb.747:                              ;   in Loop: Header=BB707_688 Depth=2
	v_bcnt_u32_b32 v5, v96, 0
	v_bcnt_u32_b32 v5, v97, v5
	s_waitcnt lgkmcnt(0)
	v_add_u32_e32 v5, v215, v5
	ds_write_b32 v216, v5
.LBB707_748:                            ;   in Loop: Header=BB707_688 Depth=2
	s_or_b64 exec, exec, s[36:37]
	s_waitcnt vmcnt(2)
	v_xor_b32_e32 v77, 0x7fffffff, v77
	v_not_b32_e32 v76, v76
	v_lshrrev_b64 v[96:97], s84, v[76:77]
	v_and_b32_e32 v96, s68, v96
	v_mul_u32_u24_e32 v5, 5, v96
	v_add_lshl_u32 v5, v5, v181, 2
	; wave barrier
	v_add_u32_e32 v219, 0x410, v5
	ds_read_b32 v218, v5 offset:1040
	v_and_b32_e32 v5, 1, v96
	v_add_co_u32_e32 v97, vcc, -1, v5
	v_addc_co_u32_e64 v98, s[36:37], 0, -1, vcc
	v_cmp_ne_u32_e32 vcc, 0, v5
	v_xor_b32_e32 v5, vcc_hi, v98
	v_and_b32_e32 v98, exec_hi, v5
	v_lshlrev_b32_e32 v5, 30, v96
	v_xor_b32_e32 v97, vcc_lo, v97
	v_cmp_gt_i64_e32 vcc, 0, v[4:5]
	v_not_b32_e32 v5, v5
	v_ashrrev_i32_e32 v5, 31, v5
	v_and_b32_e32 v97, exec_lo, v97
	v_xor_b32_e32 v99, vcc_hi, v5
	v_xor_b32_e32 v5, vcc_lo, v5
	v_and_b32_e32 v97, v97, v5
	v_lshlrev_b32_e32 v5, 29, v96
	v_cmp_gt_i64_e32 vcc, 0, v[4:5]
	v_not_b32_e32 v5, v5
	v_ashrrev_i32_e32 v5, 31, v5
	v_and_b32_e32 v98, v98, v99
	v_xor_b32_e32 v99, vcc_hi, v5
	v_xor_b32_e32 v5, vcc_lo, v5
	v_and_b32_e32 v97, v97, v5
	v_lshlrev_b32_e32 v5, 28, v96
	v_cmp_gt_i64_e32 vcc, 0, v[4:5]
	v_not_b32_e32 v5, v5
	v_ashrrev_i32_e32 v5, 31, v5
	v_and_b32_e32 v98, v98, v99
	;; [unrolled: 8-line block ×5, first 2 shown]
	v_xor_b32_e32 v99, vcc_hi, v5
	v_xor_b32_e32 v5, vcc_lo, v5
	v_and_b32_e32 v98, v98, v99
	v_and_b32_e32 v99, v97, v5
	v_lshlrev_b32_e32 v5, 24, v96
	v_cmp_gt_i64_e32 vcc, 0, v[4:5]
	v_not_b32_e32 v5, v5
	v_ashrrev_i32_e32 v5, 31, v5
	v_xor_b32_e32 v96, vcc_hi, v5
	v_xor_b32_e32 v5, vcc_lo, v5
	v_and_b32_e32 v97, v98, v96
	v_and_b32_e32 v96, v99, v5
	v_mbcnt_lo_u32_b32 v5, v96, 0
	v_mbcnt_hi_u32_b32 v220, v97, v5
	v_cmp_eq_u32_e32 vcc, 0, v220
	v_cmp_ne_u64_e64 s[36:37], 0, v[96:97]
	s_and_b64 s[38:39], s[36:37], vcc
	; wave barrier
	s_and_saveexec_b64 s[36:37], s[38:39]
	s_cbranch_execz .LBB707_750
; %bb.749:                              ;   in Loop: Header=BB707_688 Depth=2
	v_bcnt_u32_b32 v5, v96, 0
	v_bcnt_u32_b32 v5, v97, v5
	s_waitcnt lgkmcnt(0)
	v_add_u32_e32 v5, v218, v5
	ds_write_b32 v219, v5
.LBB707_750:                            ;   in Loop: Header=BB707_688 Depth=2
	s_or_b64 exec, exec, s[36:37]
	s_waitcnt vmcnt(1)
	v_xor_b32_e32 v73, 0x7fffffff, v73
	v_not_b32_e32 v72, v72
	v_lshrrev_b64 v[96:97], s84, v[72:73]
	v_and_b32_e32 v96, s68, v96
	v_mul_u32_u24_e32 v5, 5, v96
	v_add_lshl_u32 v5, v5, v181, 2
	; wave barrier
	v_add_u32_e32 v222, 0x410, v5
	ds_read_b32 v221, v5 offset:1040
	v_and_b32_e32 v5, 1, v96
	v_add_co_u32_e32 v97, vcc, -1, v5
	v_addc_co_u32_e64 v98, s[36:37], 0, -1, vcc
	v_cmp_ne_u32_e32 vcc, 0, v5
	v_xor_b32_e32 v5, vcc_hi, v98
	v_and_b32_e32 v98, exec_hi, v5
	v_lshlrev_b32_e32 v5, 30, v96
	v_xor_b32_e32 v97, vcc_lo, v97
	v_cmp_gt_i64_e32 vcc, 0, v[4:5]
	v_not_b32_e32 v5, v5
	v_ashrrev_i32_e32 v5, 31, v5
	v_and_b32_e32 v97, exec_lo, v97
	v_xor_b32_e32 v99, vcc_hi, v5
	v_xor_b32_e32 v5, vcc_lo, v5
	v_and_b32_e32 v97, v97, v5
	v_lshlrev_b32_e32 v5, 29, v96
	v_cmp_gt_i64_e32 vcc, 0, v[4:5]
	v_not_b32_e32 v5, v5
	v_ashrrev_i32_e32 v5, 31, v5
	v_and_b32_e32 v98, v98, v99
	v_xor_b32_e32 v99, vcc_hi, v5
	v_xor_b32_e32 v5, vcc_lo, v5
	v_and_b32_e32 v97, v97, v5
	v_lshlrev_b32_e32 v5, 28, v96
	v_cmp_gt_i64_e32 vcc, 0, v[4:5]
	v_not_b32_e32 v5, v5
	v_ashrrev_i32_e32 v5, 31, v5
	v_and_b32_e32 v98, v98, v99
	;; [unrolled: 8-line block ×5, first 2 shown]
	v_xor_b32_e32 v99, vcc_hi, v5
	v_xor_b32_e32 v5, vcc_lo, v5
	v_and_b32_e32 v98, v98, v99
	v_and_b32_e32 v99, v97, v5
	v_lshlrev_b32_e32 v5, 24, v96
	v_cmp_gt_i64_e32 vcc, 0, v[4:5]
	v_not_b32_e32 v5, v5
	v_ashrrev_i32_e32 v5, 31, v5
	v_xor_b32_e32 v96, vcc_hi, v5
	v_xor_b32_e32 v5, vcc_lo, v5
	v_and_b32_e32 v97, v98, v96
	v_and_b32_e32 v96, v99, v5
	v_mbcnt_lo_u32_b32 v5, v96, 0
	v_mbcnt_hi_u32_b32 v223, v97, v5
	v_cmp_eq_u32_e32 vcc, 0, v223
	v_cmp_ne_u64_e64 s[36:37], 0, v[96:97]
	s_and_b64 s[38:39], s[36:37], vcc
	; wave barrier
	s_and_saveexec_b64 s[36:37], s[38:39]
	s_cbranch_execz .LBB707_752
; %bb.751:                              ;   in Loop: Header=BB707_688 Depth=2
	v_bcnt_u32_b32 v5, v96, 0
	v_bcnt_u32_b32 v5, v97, v5
	s_waitcnt lgkmcnt(0)
	v_add_u32_e32 v5, v221, v5
	ds_write_b32 v222, v5
.LBB707_752:                            ;   in Loop: Header=BB707_688 Depth=2
	s_or_b64 exec, exec, s[36:37]
	s_waitcnt vmcnt(0)
	v_xor_b32_e32 v69, 0x7fffffff, v69
	v_not_b32_e32 v68, v68
	v_lshrrev_b64 v[96:97], s84, v[68:69]
	v_and_b32_e32 v96, s68, v96
	v_mul_u32_u24_e32 v5, 5, v96
	v_add_lshl_u32 v5, v5, v181, 2
	; wave barrier
	v_add_u32_e32 v225, 0x410, v5
	ds_read_b32 v224, v5 offset:1040
	v_and_b32_e32 v5, 1, v96
	v_add_co_u32_e32 v97, vcc, -1, v5
	v_addc_co_u32_e64 v98, s[36:37], 0, -1, vcc
	v_cmp_ne_u32_e32 vcc, 0, v5
	v_xor_b32_e32 v5, vcc_hi, v98
	v_and_b32_e32 v98, exec_hi, v5
	v_lshlrev_b32_e32 v5, 30, v96
	v_xor_b32_e32 v97, vcc_lo, v97
	v_cmp_gt_i64_e32 vcc, 0, v[4:5]
	v_not_b32_e32 v5, v5
	v_ashrrev_i32_e32 v5, 31, v5
	v_and_b32_e32 v97, exec_lo, v97
	v_xor_b32_e32 v99, vcc_hi, v5
	v_xor_b32_e32 v5, vcc_lo, v5
	v_and_b32_e32 v97, v97, v5
	v_lshlrev_b32_e32 v5, 29, v96
	v_cmp_gt_i64_e32 vcc, 0, v[4:5]
	v_not_b32_e32 v5, v5
	v_ashrrev_i32_e32 v5, 31, v5
	v_and_b32_e32 v98, v98, v99
	v_xor_b32_e32 v99, vcc_hi, v5
	v_xor_b32_e32 v5, vcc_lo, v5
	v_and_b32_e32 v97, v97, v5
	v_lshlrev_b32_e32 v5, 28, v96
	v_cmp_gt_i64_e32 vcc, 0, v[4:5]
	v_not_b32_e32 v5, v5
	v_ashrrev_i32_e32 v5, 31, v5
	v_and_b32_e32 v98, v98, v99
	;; [unrolled: 8-line block ×5, first 2 shown]
	v_xor_b32_e32 v99, vcc_hi, v5
	v_xor_b32_e32 v5, vcc_lo, v5
	v_and_b32_e32 v98, v98, v99
	v_and_b32_e32 v99, v97, v5
	v_lshlrev_b32_e32 v5, 24, v96
	v_cmp_gt_i64_e32 vcc, 0, v[4:5]
	v_not_b32_e32 v5, v5
	v_ashrrev_i32_e32 v5, 31, v5
	v_xor_b32_e32 v96, vcc_hi, v5
	v_xor_b32_e32 v5, vcc_lo, v5
	v_and_b32_e32 v97, v98, v96
	v_and_b32_e32 v96, v99, v5
	v_mbcnt_lo_u32_b32 v5, v96, 0
	v_mbcnt_hi_u32_b32 v226, v97, v5
	v_cmp_eq_u32_e32 vcc, 0, v226
	v_cmp_ne_u64_e64 s[36:37], 0, v[96:97]
	s_and_b64 s[38:39], s[36:37], vcc
	; wave barrier
	s_and_saveexec_b64 s[36:37], s[38:39]
	s_cbranch_execz .LBB707_754
; %bb.753:                              ;   in Loop: Header=BB707_688 Depth=2
	v_bcnt_u32_b32 v5, v96, 0
	v_bcnt_u32_b32 v5, v97, v5
	s_waitcnt lgkmcnt(0)
	v_add_u32_e32 v5, v224, v5
	ds_write_b32 v225, v5
.LBB707_754:                            ;   in Loop: Header=BB707_688 Depth=2
	s_or_b64 exec, exec, s[36:37]
	v_xor_b32_e32 v71, 0x7fffffff, v71
	v_not_b32_e32 v70, v70
	v_lshrrev_b64 v[96:97], s84, v[70:71]
	v_and_b32_e32 v96, s68, v96
	v_mul_u32_u24_e32 v5, 5, v96
	v_add_lshl_u32 v5, v5, v181, 2
	; wave barrier
	v_add_u32_e32 v228, 0x410, v5
	ds_read_b32 v227, v5 offset:1040
	v_and_b32_e32 v5, 1, v96
	v_add_co_u32_e32 v97, vcc, -1, v5
	v_addc_co_u32_e64 v98, s[36:37], 0, -1, vcc
	v_cmp_ne_u32_e32 vcc, 0, v5
	v_xor_b32_e32 v5, vcc_hi, v98
	v_and_b32_e32 v98, exec_hi, v5
	v_lshlrev_b32_e32 v5, 30, v96
	v_xor_b32_e32 v97, vcc_lo, v97
	v_cmp_gt_i64_e32 vcc, 0, v[4:5]
	v_not_b32_e32 v5, v5
	v_ashrrev_i32_e32 v5, 31, v5
	v_and_b32_e32 v97, exec_lo, v97
	v_xor_b32_e32 v99, vcc_hi, v5
	v_xor_b32_e32 v5, vcc_lo, v5
	v_and_b32_e32 v97, v97, v5
	v_lshlrev_b32_e32 v5, 29, v96
	v_cmp_gt_i64_e32 vcc, 0, v[4:5]
	v_not_b32_e32 v5, v5
	v_ashrrev_i32_e32 v5, 31, v5
	v_and_b32_e32 v98, v98, v99
	v_xor_b32_e32 v99, vcc_hi, v5
	v_xor_b32_e32 v5, vcc_lo, v5
	v_and_b32_e32 v97, v97, v5
	v_lshlrev_b32_e32 v5, 28, v96
	v_cmp_gt_i64_e32 vcc, 0, v[4:5]
	v_not_b32_e32 v5, v5
	v_ashrrev_i32_e32 v5, 31, v5
	v_and_b32_e32 v98, v98, v99
	;; [unrolled: 8-line block ×5, first 2 shown]
	v_xor_b32_e32 v99, vcc_hi, v5
	v_xor_b32_e32 v5, vcc_lo, v5
	v_and_b32_e32 v98, v98, v99
	v_and_b32_e32 v99, v97, v5
	v_lshlrev_b32_e32 v5, 24, v96
	v_cmp_gt_i64_e32 vcc, 0, v[4:5]
	v_not_b32_e32 v5, v5
	v_ashrrev_i32_e32 v5, 31, v5
	v_xor_b32_e32 v96, vcc_hi, v5
	v_xor_b32_e32 v5, vcc_lo, v5
	v_and_b32_e32 v97, v98, v96
	v_and_b32_e32 v96, v99, v5
	v_mbcnt_lo_u32_b32 v5, v96, 0
	v_mbcnt_hi_u32_b32 v229, v97, v5
	v_cmp_eq_u32_e32 vcc, 0, v229
	v_cmp_ne_u64_e64 s[36:37], 0, v[96:97]
	s_and_b64 s[38:39], s[36:37], vcc
	; wave barrier
	s_and_saveexec_b64 s[36:37], s[38:39]
	s_cbranch_execz .LBB707_756
; %bb.755:                              ;   in Loop: Header=BB707_688 Depth=2
	v_bcnt_u32_b32 v5, v96, 0
	v_bcnt_u32_b32 v5, v97, v5
	s_waitcnt lgkmcnt(0)
	v_add_u32_e32 v5, v227, v5
	ds_write_b32 v228, v5
.LBB707_756:                            ;   in Loop: Header=BB707_688 Depth=2
	s_or_b64 exec, exec, s[36:37]
	; wave barrier
	s_waitcnt lgkmcnt(0)
	s_barrier
	ds_read_b32 v5, v27 offset:1040
	ds_read2_b32 v[98:99], v31 offset0:1 offset1:2
	ds_read2_b32 v[96:97], v31 offset0:3 offset1:4
	s_waitcnt lgkmcnt(1)
	v_add3_u32 v230, v98, v5, v99
	s_waitcnt lgkmcnt(0)
	v_add3_u32 v97, v230, v96, v97
	s_nop 1
	v_mov_b32_dpp v230, v97 row_shr:1 row_mask:0xf bank_mask:0xf
	v_cndmask_b32_e64 v230, v230, 0, s[16:17]
	v_add_u32_e32 v97, v230, v97
	s_nop 1
	v_mov_b32_dpp v230, v97 row_shr:2 row_mask:0xf bank_mask:0xf
	v_cndmask_b32_e64 v230, 0, v230, s[18:19]
	v_add_u32_e32 v97, v97, v230
	;; [unrolled: 4-line block ×4, first 2 shown]
	s_nop 1
	v_mov_b32_dpp v230, v97 row_bcast:15 row_mask:0xf bank_mask:0xf
	v_cndmask_b32_e64 v230, v230, 0, s[24:25]
	v_add_u32_e32 v97, v97, v230
	s_nop 1
	v_mov_b32_dpp v230, v97 row_bcast:31 row_mask:0xf bank_mask:0xf
	v_cndmask_b32_e64 v230, 0, v230, s[26:27]
	v_add_u32_e32 v97, v97, v230
	s_and_saveexec_b64 s[36:37], s[6:7]
	s_cbranch_execz .LBB707_758
; %bb.757:                              ;   in Loop: Header=BB707_688 Depth=2
	ds_write_b32 v15, v97 offset:1024
.LBB707_758:                            ;   in Loop: Header=BB707_688 Depth=2
	s_or_b64 exec, exec, s[36:37]
	s_waitcnt lgkmcnt(0)
	s_barrier
	s_and_saveexec_b64 s[36:37], s[8:9]
	s_cbranch_execz .LBB707_760
; %bb.759:                              ;   in Loop: Header=BB707_688 Depth=2
	ds_read_b32 v230, v33 offset:1024
	s_waitcnt lgkmcnt(0)
	s_nop 0
	v_mov_b32_dpp v231, v230 row_shr:1 row_mask:0xf bank_mask:0xf
	v_cndmask_b32_e64 v231, v231, 0, s[30:31]
	v_add_u32_e32 v230, v231, v230
	s_nop 1
	v_mov_b32_dpp v231, v230 row_shr:2 row_mask:0xf bank_mask:0xf
	v_cndmask_b32_e64 v231, 0, v231, s[34:35]
	v_add_u32_e32 v230, v230, v231
	ds_write_b32 v33, v230 offset:1024
.LBB707_760:                            ;   in Loop: Header=BB707_688 Depth=2
	s_or_b64 exec, exec, s[36:37]
	v_mov_b32_e32 v230, 0
	s_waitcnt lgkmcnt(0)
	s_barrier
	s_and_saveexec_b64 s[36:37], s[10:11]
	s_cbranch_execz .LBB707_762
; %bb.761:                              ;   in Loop: Header=BB707_688 Depth=2
	ds_read_b32 v230, v15 offset:1020
.LBB707_762:                            ;   in Loop: Header=BB707_688 Depth=2
	s_or_b64 exec, exec, s[36:37]
	s_waitcnt lgkmcnt(0)
	v_add_u32_e32 v97, v230, v97
	ds_bpermute_b32 v97, v158, v97
	s_waitcnt lgkmcnt(0)
	v_cndmask_b32_e64 v97, v97, v230, s[28:29]
	v_cndmask_b32_e64 v97, v97, 0, s[12:13]
	v_add_u32_e32 v5, v97, v5
	ds_write_b32 v27, v97 offset:1040
	v_add_u32_e32 v97, v5, v98
	v_add_u32_e32 v98, v97, v99
	ds_write2_b32 v31, v5, v97 offset0:1 offset1:2
	v_add_u32_e32 v5, v98, v96
	ds_write2_b32 v31, v98, v5 offset0:3 offset1:4
	s_waitcnt lgkmcnt(0)
	s_barrier
	ds_read_b32 v97, v186
	ds_read_b32 v234, v189
	;; [unrolled: 1-line block ×16, first 2 shown]
	ds_read_b32 v183, v27 offset:1040
	v_mov_b32_e32 v5, 0x1000
	s_and_saveexec_b64 s[36:37], s[14:15]
	s_cbranch_execz .LBB707_764
; %bb.763:                              ;   in Loop: Header=BB707_688 Depth=2
	ds_read_b32 v5, v27 offset:1060
.LBB707_764:                            ;   in Loop: Header=BB707_688 Depth=2
	s_or_b64 exec, exec, s[36:37]
	s_waitcnt lgkmcnt(0)
	s_barrier
	s_and_saveexec_b64 s[36:37], s[4:5]
	s_cbranch_execz .LBB707_766
; %bb.765:                              ;   in Loop: Header=BB707_688 Depth=2
	ds_read_b32 v207, v3
	s_waitcnt lgkmcnt(0)
	v_sub_u32_e32 v183, v207, v183
	ds_write_b32 v3, v183
.LBB707_766:                            ;   in Loop: Header=BB707_688 Depth=2
	s_or_b64 exec, exec, s[36:37]
	v_add_u32_e32 v185, v187, v185
	v_add_u32_e32 v188, v190, v188
	v_add_lshl_u32 v96, v96, v184, 3
	v_add_lshl_u32 v97, v185, v97, 3
	v_add_u32_e32 v197, v199, v197
	v_add_u32_e32 v194, v196, v194
	;; [unrolled: 1-line block ×3, first 2 shown]
	ds_write_b64 v96, v[64:65] offset:1024
	ds_write_b64 v97, v[66:67] offset:1024
	v_add_lshl_u32 v66, v188, v234, 3
	v_add_u32_e32 v212, v214, v212
	v_add_u32_e32 v209, v211, v209
	;; [unrolled: 1-line block ×5, first 2 shown]
	ds_write_b64 v66, v[74:75] offset:1024
	v_add_lshl_u32 v67, v191, v233, 3
	v_add_lshl_u32 v74, v194, v232, 3
	;; [unrolled: 1-line block ×3, first 2 shown]
	v_add_u32_e32 v215, v217, v215
	ds_write_b64 v67, v[78:79] offset:1024
	ds_write_b64 v74, v[82:83] offset:1024
	;; [unrolled: 1-line block ×3, first 2 shown]
	v_add_lshl_u32 v78, v200, v230, 3
	v_add_lshl_u32 v79, v203, v204, 3
	;; [unrolled: 1-line block ×5, first 2 shown]
	v_add_u32_e32 v213, v220, v218
	ds_write_b64 v78, v[90:91] offset:1024
	ds_write_b64 v79, v[94:95] offset:1024
	;; [unrolled: 1-line block ×5, first 2 shown]
	v_add_lshl_u32 v84, v215, v192, 3
	v_add_u32_e32 v210, v223, v221
	ds_write_b64 v84, v[80:81] offset:1024
	v_add_lshl_u32 v80, v213, v189, 3
	v_add_u32_e32 v207, v226, v224
	ds_write_b64 v80, v[76:77] offset:1024
	;; [unrolled: 3-line block ×3, first 2 shown]
	v_add_lshl_u32 v72, v207, v99, 3
	ds_write_b64 v72, v[68:69] offset:1024
	v_add_lshl_u32 v68, v183, v98, 3
	v_cmp_lt_u32_e64 s[36:37], v2, v182
	ds_write_b64 v68, v[70:71] offset:1024
	s_waitcnt lgkmcnt(0)
	s_barrier
	s_and_saveexec_b64 s[38:39], s[36:37]
	s_cbranch_execz .LBB707_782
; %bb.767:                              ;   in Loop: Header=BB707_688 Depth=2
	v_add_u32_e32 v64, v33, v3
	ds_read_b64 v[64:65], v64 offset:1024
	v_mov_b32_e32 v73, s75
	s_waitcnt lgkmcnt(0)
	v_lshrrev_b64 v[70:71], s84, v[64:65]
	v_and_b32_e32 v69, s68, v70
	v_lshlrev_b32_e32 v69, 2, v69
	ds_read_b32 v69, v69
	v_mov_b32_e32 v71, v4
	v_xor_b32_e32 v65, 0x7fffffff, v65
	v_not_b32_e32 v64, v64
	s_waitcnt lgkmcnt(0)
	v_add_u32_e32 v70, v69, v2
	v_lshlrev_b64 v[70:71], 3, v[70:71]
	v_add_co_u32_e32 v70, vcc, s74, v70
	v_addc_co_u32_e32 v71, vcc, v73, v71, vcc
	global_store_dwordx2 v[70:71], v[64:65], off
	s_or_b64 exec, exec, s[38:39]
	v_cmp_lt_u32_e64 s[38:39], v7, v182
	s_and_saveexec_b64 s[40:41], s[38:39]
	s_cbranch_execnz .LBB707_783
.LBB707_768:                            ;   in Loop: Header=BB707_688 Depth=2
	s_or_b64 exec, exec, s[40:41]
	v_cmp_lt_u32_e64 s[40:41], v6, v182
	s_and_saveexec_b64 s[42:43], s[40:41]
	s_cbranch_execz .LBB707_784
.LBB707_769:                            ;   in Loop: Header=BB707_688 Depth=2
	ds_read_b64 v[64:65], v104 offset:4096
	v_mov_b32_e32 v73, s75
	s_waitcnt lgkmcnt(0)
	v_lshrrev_b64 v[70:71], s84, v[64:65]
	v_and_b32_e32 v69, s68, v70
	v_lshlrev_b32_e32 v69, 2, v69
	ds_read_b32 v69, v69
	v_mov_b32_e32 v71, v4
	v_xor_b32_e32 v65, 0x7fffffff, v65
	v_not_b32_e32 v64, v64
	s_waitcnt lgkmcnt(0)
	v_add_u32_e32 v70, v69, v6
	v_lshlrev_b64 v[70:71], 3, v[70:71]
	v_add_co_u32_e32 v70, vcc, s74, v70
	v_addc_co_u32_e32 v71, vcc, v73, v71, vcc
	global_store_dwordx2 v[70:71], v[64:65], off
	s_or_b64 exec, exec, s[42:43]
	v_cmp_lt_u32_e64 s[42:43], v8, v182
	s_and_saveexec_b64 s[44:45], s[42:43]
	s_cbranch_execnz .LBB707_785
.LBB707_770:                            ;   in Loop: Header=BB707_688 Depth=2
	s_or_b64 exec, exec, s[44:45]
	v_cmp_lt_u32_e64 s[44:45], v10, v182
	s_and_saveexec_b64 s[46:47], s[44:45]
	s_cbranch_execz .LBB707_786
.LBB707_771:                            ;   in Loop: Header=BB707_688 Depth=2
	ds_read_b64 v[64:65], v104 offset:8192
	v_mov_b32_e32 v73, s75
	s_waitcnt lgkmcnt(0)
	v_lshrrev_b64 v[70:71], s84, v[64:65]
	v_and_b32_e32 v69, s68, v70
	v_lshlrev_b32_e32 v69, 2, v69
	ds_read_b32 v69, v69
	v_mov_b32_e32 v71, v4
	v_xor_b32_e32 v65, 0x7fffffff, v65
	v_not_b32_e32 v64, v64
	s_waitcnt lgkmcnt(0)
	v_add_u32_e32 v70, v69, v10
	v_lshlrev_b64 v[70:71], 3, v[70:71]
	v_add_co_u32_e32 v70, vcc, s74, v70
	v_addc_co_u32_e32 v71, vcc, v73, v71, vcc
	global_store_dwordx2 v[70:71], v[64:65], off
	s_or_b64 exec, exec, s[46:47]
	v_cmp_lt_u32_e64 s[46:47], v12, v182
	s_and_saveexec_b64 s[48:49], s[46:47]
	s_cbranch_execnz .LBB707_787
.LBB707_772:                            ;   in Loop: Header=BB707_688 Depth=2
	s_or_b64 exec, exec, s[48:49]
	v_cmp_lt_u32_e64 s[48:49], v14, v182
	s_and_saveexec_b64 s[50:51], s[48:49]
	s_cbranch_execz .LBB707_788
.LBB707_773:                            ;   in Loop: Header=BB707_688 Depth=2
	ds_read_b64 v[64:65], v104 offset:12288
	v_mov_b32_e32 v73, s75
	s_waitcnt lgkmcnt(0)
	v_lshrrev_b64 v[70:71], s84, v[64:65]
	v_and_b32_e32 v69, s68, v70
	v_lshlrev_b32_e32 v69, 2, v69
	ds_read_b32 v69, v69
	v_mov_b32_e32 v71, v4
	v_xor_b32_e32 v65, 0x7fffffff, v65
	v_not_b32_e32 v64, v64
	s_waitcnt lgkmcnt(0)
	v_add_u32_e32 v70, v69, v14
	v_lshlrev_b64 v[70:71], 3, v[70:71]
	v_add_co_u32_e32 v70, vcc, s74, v70
	v_addc_co_u32_e32 v71, vcc, v73, v71, vcc
	global_store_dwordx2 v[70:71], v[64:65], off
	s_or_b64 exec, exec, s[50:51]
	v_cmp_lt_u32_e64 s[50:51], v16, v182
	s_and_saveexec_b64 s[52:53], s[50:51]
	s_cbranch_execnz .LBB707_789
.LBB707_774:                            ;   in Loop: Header=BB707_688 Depth=2
	s_or_b64 exec, exec, s[52:53]
	v_cmp_lt_u32_e64 s[52:53], v18, v182
	s_and_saveexec_b64 s[54:55], s[52:53]
	s_cbranch_execz .LBB707_790
.LBB707_775:                            ;   in Loop: Header=BB707_688 Depth=2
	ds_read_b64 v[64:65], v104 offset:16384
	v_mov_b32_e32 v73, s75
	s_waitcnt lgkmcnt(0)
	v_lshrrev_b64 v[70:71], s84, v[64:65]
	v_and_b32_e32 v69, s68, v70
	v_lshlrev_b32_e32 v69, 2, v69
	ds_read_b32 v69, v69
	v_mov_b32_e32 v71, v4
	v_xor_b32_e32 v65, 0x7fffffff, v65
	v_not_b32_e32 v64, v64
	s_waitcnt lgkmcnt(0)
	v_add_u32_e32 v70, v69, v18
	v_lshlrev_b64 v[70:71], 3, v[70:71]
	v_add_co_u32_e32 v70, vcc, s74, v70
	v_addc_co_u32_e32 v71, vcc, v73, v71, vcc
	global_store_dwordx2 v[70:71], v[64:65], off
	s_or_b64 exec, exec, s[54:55]
	v_cmp_lt_u32_e64 s[54:55], v20, v182
	s_and_saveexec_b64 s[56:57], s[54:55]
	s_cbranch_execnz .LBB707_791
.LBB707_776:                            ;   in Loop: Header=BB707_688 Depth=2
	s_or_b64 exec, exec, s[56:57]
	v_cmp_lt_u32_e64 s[56:57], v22, v182
	s_and_saveexec_b64 s[58:59], s[56:57]
	s_cbranch_execz .LBB707_792
.LBB707_777:                            ;   in Loop: Header=BB707_688 Depth=2
	ds_read_b64 v[64:65], v104 offset:20480
	v_mov_b32_e32 v73, s75
	s_waitcnt lgkmcnt(0)
	v_lshrrev_b64 v[70:71], s84, v[64:65]
	v_and_b32_e32 v69, s68, v70
	v_lshlrev_b32_e32 v69, 2, v69
	ds_read_b32 v69, v69
	v_mov_b32_e32 v71, v4
	v_xor_b32_e32 v65, 0x7fffffff, v65
	v_not_b32_e32 v64, v64
	s_waitcnt lgkmcnt(0)
	v_add_u32_e32 v70, v69, v22
	v_lshlrev_b64 v[70:71], 3, v[70:71]
	v_add_co_u32_e32 v70, vcc, s74, v70
	v_addc_co_u32_e32 v71, vcc, v73, v71, vcc
	global_store_dwordx2 v[70:71], v[64:65], off
	s_or_b64 exec, exec, s[58:59]
	v_cmp_lt_u32_e64 s[58:59], v24, v182
	s_and_saveexec_b64 s[60:61], s[58:59]
	s_cbranch_execnz .LBB707_793
.LBB707_778:                            ;   in Loop: Header=BB707_688 Depth=2
	s_or_b64 exec, exec, s[60:61]
	v_cmp_lt_u32_e64 s[60:61], v26, v182
	s_and_saveexec_b64 s[62:63], s[60:61]
	s_cbranch_execz .LBB707_794
.LBB707_779:                            ;   in Loop: Header=BB707_688 Depth=2
	ds_read_b64 v[64:65], v104 offset:24576
	v_mov_b32_e32 v73, s75
	s_waitcnt lgkmcnt(0)
	v_lshrrev_b64 v[70:71], s84, v[64:65]
	v_and_b32_e32 v69, s68, v70
	v_lshlrev_b32_e32 v69, 2, v69
	ds_read_b32 v69, v69
	v_mov_b32_e32 v71, v4
	v_xor_b32_e32 v65, 0x7fffffff, v65
	v_not_b32_e32 v64, v64
	s_waitcnt lgkmcnt(0)
	v_add_u32_e32 v70, v69, v26
	v_lshlrev_b64 v[70:71], 3, v[70:71]
	v_add_co_u32_e32 v70, vcc, s74, v70
	v_addc_co_u32_e32 v71, vcc, v73, v71, vcc
	global_store_dwordx2 v[70:71], v[64:65], off
	s_or_b64 exec, exec, s[62:63]
	v_cmp_lt_u32_e64 s[62:63], v28, v182
	s_and_saveexec_b64 s[64:65], s[62:63]
	s_cbranch_execnz .LBB707_795
.LBB707_780:                            ;   in Loop: Header=BB707_688 Depth=2
	s_or_b64 exec, exec, s[64:65]
	v_cmp_lt_u32_e64 s[64:65], v30, v182
	s_and_saveexec_b64 s[66:67], s[64:65]
	s_cbranch_execz .LBB707_796
.LBB707_781:                            ;   in Loop: Header=BB707_688 Depth=2
	ds_read_b64 v[64:65], v104 offset:28672
	v_mov_b32_e32 v73, s75
	s_waitcnt lgkmcnt(0)
	v_lshrrev_b64 v[70:71], s84, v[64:65]
	v_and_b32_e32 v69, s68, v70
	v_lshlrev_b32_e32 v69, 2, v69
	ds_read_b32 v69, v69
	v_mov_b32_e32 v71, v4
	v_xor_b32_e32 v65, 0x7fffffff, v65
	v_not_b32_e32 v64, v64
	s_waitcnt lgkmcnt(0)
	v_add_u32_e32 v70, v69, v30
	v_lshlrev_b64 v[70:71], 3, v[70:71]
	v_add_co_u32_e32 v70, vcc, s74, v70
	v_addc_co_u32_e32 v71, vcc, v73, v71, vcc
	global_store_dwordx2 v[70:71], v[64:65], off
	s_or_b64 exec, exec, s[66:67]
	v_cmp_lt_u32_e64 s[66:67], v32, v182
	s_and_saveexec_b64 s[92:93], s[66:67]
	s_cbranch_execnz .LBB707_797
	s_branch .LBB707_798
.LBB707_782:                            ;   in Loop: Header=BB707_688 Depth=2
	s_or_b64 exec, exec, s[38:39]
	v_cmp_lt_u32_e64 s[38:39], v7, v182
	s_and_saveexec_b64 s[40:41], s[38:39]
	s_cbranch_execz .LBB707_768
.LBB707_783:                            ;   in Loop: Header=BB707_688 Depth=2
	ds_read_b64 v[64:65], v104 offset:2048
	v_mov_b32_e32 v73, s75
	s_waitcnt lgkmcnt(0)
	v_lshrrev_b64 v[70:71], s84, v[64:65]
	v_and_b32_e32 v69, s68, v70
	v_lshlrev_b32_e32 v69, 2, v69
	ds_read_b32 v69, v69
	v_mov_b32_e32 v71, v4
	v_xor_b32_e32 v65, 0x7fffffff, v65
	v_not_b32_e32 v64, v64
	s_waitcnt lgkmcnt(0)
	v_add_u32_e32 v70, v69, v7
	v_lshlrev_b64 v[70:71], 3, v[70:71]
	v_add_co_u32_e32 v70, vcc, s74, v70
	v_addc_co_u32_e32 v71, vcc, v73, v71, vcc
	global_store_dwordx2 v[70:71], v[64:65], off
	s_or_b64 exec, exec, s[40:41]
	v_cmp_lt_u32_e64 s[40:41], v6, v182
	s_and_saveexec_b64 s[42:43], s[40:41]
	s_cbranch_execnz .LBB707_769
.LBB707_784:                            ;   in Loop: Header=BB707_688 Depth=2
	s_or_b64 exec, exec, s[42:43]
	v_cmp_lt_u32_e64 s[42:43], v8, v182
	s_and_saveexec_b64 s[44:45], s[42:43]
	s_cbranch_execz .LBB707_770
.LBB707_785:                            ;   in Loop: Header=BB707_688 Depth=2
	ds_read_b64 v[64:65], v104 offset:6144
	v_mov_b32_e32 v73, s75
	s_waitcnt lgkmcnt(0)
	v_lshrrev_b64 v[70:71], s84, v[64:65]
	v_and_b32_e32 v69, s68, v70
	v_lshlrev_b32_e32 v69, 2, v69
	ds_read_b32 v69, v69
	v_mov_b32_e32 v71, v4
	v_xor_b32_e32 v65, 0x7fffffff, v65
	v_not_b32_e32 v64, v64
	s_waitcnt lgkmcnt(0)
	v_add_u32_e32 v70, v69, v8
	v_lshlrev_b64 v[70:71], 3, v[70:71]
	v_add_co_u32_e32 v70, vcc, s74, v70
	v_addc_co_u32_e32 v71, vcc, v73, v71, vcc
	global_store_dwordx2 v[70:71], v[64:65], off
	s_or_b64 exec, exec, s[44:45]
	v_cmp_lt_u32_e64 s[44:45], v10, v182
	s_and_saveexec_b64 s[46:47], s[44:45]
	s_cbranch_execnz .LBB707_771
.LBB707_786:                            ;   in Loop: Header=BB707_688 Depth=2
	s_or_b64 exec, exec, s[46:47]
	v_cmp_lt_u32_e64 s[46:47], v12, v182
	s_and_saveexec_b64 s[48:49], s[46:47]
	s_cbranch_execz .LBB707_772
.LBB707_787:                            ;   in Loop: Header=BB707_688 Depth=2
	ds_read_b64 v[64:65], v104 offset:10240
	v_mov_b32_e32 v73, s75
	s_waitcnt lgkmcnt(0)
	v_lshrrev_b64 v[70:71], s84, v[64:65]
	v_and_b32_e32 v69, s68, v70
	v_lshlrev_b32_e32 v69, 2, v69
	ds_read_b32 v69, v69
	v_mov_b32_e32 v71, v4
	v_xor_b32_e32 v65, 0x7fffffff, v65
	v_not_b32_e32 v64, v64
	s_waitcnt lgkmcnt(0)
	v_add_u32_e32 v70, v69, v12
	v_lshlrev_b64 v[70:71], 3, v[70:71]
	v_add_co_u32_e32 v70, vcc, s74, v70
	v_addc_co_u32_e32 v71, vcc, v73, v71, vcc
	global_store_dwordx2 v[70:71], v[64:65], off
	s_or_b64 exec, exec, s[48:49]
	v_cmp_lt_u32_e64 s[48:49], v14, v182
	s_and_saveexec_b64 s[50:51], s[48:49]
	s_cbranch_execnz .LBB707_773
.LBB707_788:                            ;   in Loop: Header=BB707_688 Depth=2
	s_or_b64 exec, exec, s[50:51]
	v_cmp_lt_u32_e64 s[50:51], v16, v182
	s_and_saveexec_b64 s[52:53], s[50:51]
	s_cbranch_execz .LBB707_774
.LBB707_789:                            ;   in Loop: Header=BB707_688 Depth=2
	ds_read_b64 v[64:65], v104 offset:14336
	v_mov_b32_e32 v73, s75
	s_waitcnt lgkmcnt(0)
	v_lshrrev_b64 v[70:71], s84, v[64:65]
	v_and_b32_e32 v69, s68, v70
	v_lshlrev_b32_e32 v69, 2, v69
	ds_read_b32 v69, v69
	v_mov_b32_e32 v71, v4
	v_xor_b32_e32 v65, 0x7fffffff, v65
	v_not_b32_e32 v64, v64
	s_waitcnt lgkmcnt(0)
	v_add_u32_e32 v70, v69, v16
	v_lshlrev_b64 v[70:71], 3, v[70:71]
	v_add_co_u32_e32 v70, vcc, s74, v70
	v_addc_co_u32_e32 v71, vcc, v73, v71, vcc
	global_store_dwordx2 v[70:71], v[64:65], off
	s_or_b64 exec, exec, s[52:53]
	v_cmp_lt_u32_e64 s[52:53], v18, v182
	s_and_saveexec_b64 s[54:55], s[52:53]
	s_cbranch_execnz .LBB707_775
.LBB707_790:                            ;   in Loop: Header=BB707_688 Depth=2
	s_or_b64 exec, exec, s[54:55]
	v_cmp_lt_u32_e64 s[54:55], v20, v182
	s_and_saveexec_b64 s[56:57], s[54:55]
	s_cbranch_execz .LBB707_776
.LBB707_791:                            ;   in Loop: Header=BB707_688 Depth=2
	ds_read_b64 v[64:65], v104 offset:18432
	v_mov_b32_e32 v73, s75
	s_waitcnt lgkmcnt(0)
	v_lshrrev_b64 v[70:71], s84, v[64:65]
	v_and_b32_e32 v69, s68, v70
	v_lshlrev_b32_e32 v69, 2, v69
	ds_read_b32 v69, v69
	v_mov_b32_e32 v71, v4
	v_xor_b32_e32 v65, 0x7fffffff, v65
	v_not_b32_e32 v64, v64
	s_waitcnt lgkmcnt(0)
	v_add_u32_e32 v70, v69, v20
	v_lshlrev_b64 v[70:71], 3, v[70:71]
	v_add_co_u32_e32 v70, vcc, s74, v70
	v_addc_co_u32_e32 v71, vcc, v73, v71, vcc
	global_store_dwordx2 v[70:71], v[64:65], off
	s_or_b64 exec, exec, s[56:57]
	v_cmp_lt_u32_e64 s[56:57], v22, v182
	s_and_saveexec_b64 s[58:59], s[56:57]
	s_cbranch_execnz .LBB707_777
.LBB707_792:                            ;   in Loop: Header=BB707_688 Depth=2
	s_or_b64 exec, exec, s[58:59]
	v_cmp_lt_u32_e64 s[58:59], v24, v182
	s_and_saveexec_b64 s[60:61], s[58:59]
	s_cbranch_execz .LBB707_778
.LBB707_793:                            ;   in Loop: Header=BB707_688 Depth=2
	ds_read_b64 v[64:65], v104 offset:22528
	v_mov_b32_e32 v73, s75
	s_waitcnt lgkmcnt(0)
	v_lshrrev_b64 v[70:71], s84, v[64:65]
	v_and_b32_e32 v69, s68, v70
	v_lshlrev_b32_e32 v69, 2, v69
	ds_read_b32 v69, v69
	v_mov_b32_e32 v71, v4
	v_xor_b32_e32 v65, 0x7fffffff, v65
	v_not_b32_e32 v64, v64
	s_waitcnt lgkmcnt(0)
	v_add_u32_e32 v70, v69, v24
	v_lshlrev_b64 v[70:71], 3, v[70:71]
	v_add_co_u32_e32 v70, vcc, s74, v70
	v_addc_co_u32_e32 v71, vcc, v73, v71, vcc
	global_store_dwordx2 v[70:71], v[64:65], off
	s_or_b64 exec, exec, s[60:61]
	v_cmp_lt_u32_e64 s[60:61], v26, v182
	s_and_saveexec_b64 s[62:63], s[60:61]
	s_cbranch_execnz .LBB707_779
.LBB707_794:                            ;   in Loop: Header=BB707_688 Depth=2
	s_or_b64 exec, exec, s[62:63]
	v_cmp_lt_u32_e64 s[62:63], v28, v182
	s_and_saveexec_b64 s[64:65], s[62:63]
	s_cbranch_execz .LBB707_780
.LBB707_795:                            ;   in Loop: Header=BB707_688 Depth=2
	ds_read_b64 v[64:65], v104 offset:26624
	v_mov_b32_e32 v73, s75
	s_waitcnt lgkmcnt(0)
	v_lshrrev_b64 v[70:71], s84, v[64:65]
	v_and_b32_e32 v69, s68, v70
	v_lshlrev_b32_e32 v69, 2, v69
	ds_read_b32 v69, v69
	v_mov_b32_e32 v71, v4
	v_xor_b32_e32 v65, 0x7fffffff, v65
	v_not_b32_e32 v64, v64
	s_waitcnt lgkmcnt(0)
	v_add_u32_e32 v70, v69, v28
	v_lshlrev_b64 v[70:71], 3, v[70:71]
	v_add_co_u32_e32 v70, vcc, s74, v70
	v_addc_co_u32_e32 v71, vcc, v73, v71, vcc
	global_store_dwordx2 v[70:71], v[64:65], off
	s_or_b64 exec, exec, s[64:65]
	v_cmp_lt_u32_e64 s[64:65], v30, v182
	s_and_saveexec_b64 s[66:67], s[64:65]
	s_cbranch_execnz .LBB707_781
.LBB707_796:                            ;   in Loop: Header=BB707_688 Depth=2
	s_or_b64 exec, exec, s[66:67]
	v_cmp_lt_u32_e64 s[66:67], v32, v182
	s_and_saveexec_b64 s[92:93], s[66:67]
	s_cbranch_execz .LBB707_798
.LBB707_797:                            ;   in Loop: Header=BB707_688 Depth=2
	ds_read_b64 v[64:65], v104 offset:30720
	v_mov_b32_e32 v73, s75
	s_waitcnt lgkmcnt(0)
	v_lshrrev_b64 v[70:71], s84, v[64:65]
	v_and_b32_e32 v69, s68, v70
	v_lshlrev_b32_e32 v69, 2, v69
	ds_read_b32 v69, v69
	v_mov_b32_e32 v71, v4
	v_xor_b32_e32 v65, 0x7fffffff, v65
	v_not_b32_e32 v64, v64
	s_waitcnt lgkmcnt(0)
	v_add_u32_e32 v70, v69, v32
	v_lshlrev_b64 v[70:71], 3, v[70:71]
	v_add_co_u32_e32 v70, vcc, s74, v70
	v_addc_co_u32_e32 v71, vcc, v73, v71, vcc
	global_store_dwordx2 v[70:71], v[64:65], off
.LBB707_798:                            ;   in Loop: Header=BB707_688 Depth=2
	s_or_b64 exec, exec, s[92:93]
	s_mov_b32 s79, s88
	s_lshl_b64 s[78:79], s[78:79], 3
	v_mov_b32_e32 v65, s79
	v_add_co_u32_e32 v64, vcc, s78, v159
	v_addc_co_u32_e32 v65, vcc, v160, v65, vcc
	v_cmp_lt_u32_e32 vcc, v142, v182
	s_and_saveexec_b64 s[78:79], vcc
	s_xor_b64 s[78:79], exec, s[78:79]
	s_cbranch_execz .LBB707_830
; %bb.799:                              ;   in Loop: Header=BB707_688 Depth=2
	global_load_dwordx2 v[62:63], v[64:65], off
	s_or_b64 exec, exec, s[78:79]
	v_cmp_lt_u32_e32 vcc, v143, v182
	s_and_saveexec_b64 s[78:79], vcc
	s_cbranch_execnz .LBB707_831
.LBB707_800:                            ;   in Loop: Header=BB707_688 Depth=2
	s_or_b64 exec, exec, s[78:79]
	v_cmp_lt_u32_e32 vcc, v144, v182
	s_and_saveexec_b64 s[78:79], vcc
	s_cbranch_execz .LBB707_832
.LBB707_801:                            ;   in Loop: Header=BB707_688 Depth=2
	global_load_dwordx2 v[58:59], v[64:65], off offset:1024
	s_or_b64 exec, exec, s[78:79]
	v_cmp_lt_u32_e32 vcc, v145, v182
	s_and_saveexec_b64 s[78:79], vcc
	s_cbranch_execnz .LBB707_833
.LBB707_802:                            ;   in Loop: Header=BB707_688 Depth=2
	s_or_b64 exec, exec, s[78:79]
	v_cmp_lt_u32_e32 vcc, v146, v182
	s_and_saveexec_b64 s[78:79], vcc
	s_cbranch_execz .LBB707_834
.LBB707_803:                            ;   in Loop: Header=BB707_688 Depth=2
	global_load_dwordx2 v[50:51], v[64:65], off offset:2048
	s_or_b64 exec, exec, s[78:79]
	v_cmp_lt_u32_e32 vcc, v147, v182
	s_and_saveexec_b64 s[78:79], vcc
	s_cbranch_execnz .LBB707_835
.LBB707_804:                            ;   in Loop: Header=BB707_688 Depth=2
	s_or_b64 exec, exec, s[78:79]
	v_cmp_lt_u32_e32 vcc, v148, v182
	s_and_saveexec_b64 s[78:79], vcc
	s_cbranch_execz .LBB707_836
.LBB707_805:                            ;   in Loop: Header=BB707_688 Depth=2
	global_load_dwordx2 v[42:43], v[64:65], off offset:3072
	s_or_b64 exec, exec, s[78:79]
	v_cmp_lt_u32_e32 vcc, v149, v182
	s_and_saveexec_b64 s[78:79], vcc
	s_cbranch_execnz .LBB707_837
.LBB707_806:                            ;   in Loop: Header=BB707_688 Depth=2
	s_or_b64 exec, exec, s[78:79]
	v_cmp_lt_u32_e32 vcc, v150, v182
	s_and_saveexec_b64 s[78:79], vcc
	s_cbranch_execz .LBB707_838
.LBB707_807:                            ;   in Loop: Header=BB707_688 Depth=2
	v_add_co_u32_e32 v56, vcc, 0x1000, v64
	v_addc_co_u32_e32 v57, vcc, 0, v65, vcc
	global_load_dwordx2 v[56:57], v[56:57], off
	s_or_b64 exec, exec, s[78:79]
	v_cmp_lt_u32_e32 vcc, v151, v182
	s_and_saveexec_b64 s[78:79], vcc
	s_cbranch_execnz .LBB707_839
.LBB707_808:                            ;   in Loop: Header=BB707_688 Depth=2
	s_or_b64 exec, exec, s[78:79]
	v_cmp_lt_u32_e32 vcc, v152, v182
	s_and_saveexec_b64 s[78:79], vcc
	s_cbranch_execz .LBB707_840
.LBB707_809:                            ;   in Loop: Header=BB707_688 Depth=2
	v_add_co_u32_e32 v48, vcc, 0x1000, v64
	v_addc_co_u32_e32 v49, vcc, 0, v65, vcc
	global_load_dwordx2 v[48:49], v[48:49], off offset:1024
	s_or_b64 exec, exec, s[78:79]
	v_cmp_lt_u32_e32 vcc, v153, v182
	s_and_saveexec_b64 s[78:79], vcc
	s_cbranch_execnz .LBB707_841
.LBB707_810:                            ;   in Loop: Header=BB707_688 Depth=2
	s_or_b64 exec, exec, s[78:79]
	v_cmp_lt_u32_e32 vcc, v154, v182
	s_and_saveexec_b64 s[78:79], vcc
	s_cbranch_execz .LBB707_842
.LBB707_811:                            ;   in Loop: Header=BB707_688 Depth=2
	v_add_co_u32_e32 v40, vcc, 0x1000, v64
	v_addc_co_u32_e32 v41, vcc, 0, v65, vcc
	global_load_dwordx2 v[40:41], v[40:41], off offset:2048
	s_or_b64 exec, exec, s[78:79]
	v_cmp_lt_u32_e32 vcc, v155, v182
	s_and_saveexec_b64 s[78:79], vcc
	s_cbranch_execnz .LBB707_843
.LBB707_812:                            ;   in Loop: Header=BB707_688 Depth=2
	s_or_b64 exec, exec, s[78:79]
	v_cmp_lt_u32_e32 vcc, v156, v182
	s_and_saveexec_b64 s[78:79], vcc
	s_cbranch_execz .LBB707_844
.LBB707_813:                            ;   in Loop: Header=BB707_688 Depth=2
	v_add_co_u32_e32 v34, vcc, 0x1000, v64
	v_addc_co_u32_e32 v35, vcc, 0, v65, vcc
	global_load_dwordx2 v[34:35], v[34:35], off offset:3072
	s_or_b64 exec, exec, s[78:79]
	v_cmp_lt_u32_e32 vcc, v157, v182
	s_and_saveexec_b64 s[78:79], vcc
	s_cbranch_execnz .LBB707_845
.LBB707_814:                            ;   in Loop: Header=BB707_688 Depth=2
	s_or_b64 exec, exec, s[78:79]
	s_and_saveexec_b64 s[78:79], s[36:37]
	s_cbranch_execz .LBB707_846
.LBB707_815:                            ;   in Loop: Header=BB707_688 Depth=2
	v_add_u32_e32 v64, v33, v3
	ds_read_b64 v[64:65], v64 offset:1024
	s_waitcnt lgkmcnt(0)
	v_lshrrev_b64 v[64:65], s84, v[64:65]
	v_and_b32_e32 v180, s68, v64
	s_or_b64 exec, exec, s[78:79]
	s_and_saveexec_b64 s[78:79], s[38:39]
	s_cbranch_execnz .LBB707_847
.LBB707_816:                            ;   in Loop: Header=BB707_688 Depth=2
	s_or_b64 exec, exec, s[78:79]
	s_and_saveexec_b64 s[78:79], s[40:41]
	s_cbranch_execz .LBB707_848
.LBB707_817:                            ;   in Loop: Header=BB707_688 Depth=2
	ds_read_b64 v[64:65], v104 offset:4096
	s_waitcnt lgkmcnt(0)
	v_lshrrev_b64 v[64:65], s84, v[64:65]
	v_and_b32_e32 v177, s68, v64
	s_or_b64 exec, exec, s[78:79]
	s_and_saveexec_b64 s[78:79], s[42:43]
	s_cbranch_execnz .LBB707_849
.LBB707_818:                            ;   in Loop: Header=BB707_688 Depth=2
	s_or_b64 exec, exec, s[78:79]
	s_and_saveexec_b64 s[78:79], s[44:45]
	s_cbranch_execz .LBB707_850
.LBB707_819:                            ;   in Loop: Header=BB707_688 Depth=2
	ds_read_b64 v[64:65], v104 offset:8192
	s_waitcnt lgkmcnt(0)
	v_lshrrev_b64 v[64:65], s84, v[64:65]
	v_and_b32_e32 v174, s68, v64
	s_or_b64 exec, exec, s[78:79]
	s_and_saveexec_b64 s[78:79], s[46:47]
	s_cbranch_execnz .LBB707_851
.LBB707_820:                            ;   in Loop: Header=BB707_688 Depth=2
	s_or_b64 exec, exec, s[78:79]
	s_and_saveexec_b64 s[78:79], s[48:49]
	s_cbranch_execz .LBB707_852
.LBB707_821:                            ;   in Loop: Header=BB707_688 Depth=2
	ds_read_b64 v[64:65], v104 offset:12288
	s_waitcnt lgkmcnt(0)
	v_lshrrev_b64 v[64:65], s84, v[64:65]
	v_and_b32_e32 v172, s68, v64
	s_or_b64 exec, exec, s[78:79]
	s_and_saveexec_b64 s[78:79], s[50:51]
	s_cbranch_execnz .LBB707_853
.LBB707_822:                            ;   in Loop: Header=BB707_688 Depth=2
	s_or_b64 exec, exec, s[78:79]
	s_and_saveexec_b64 s[78:79], s[52:53]
	s_cbranch_execz .LBB707_854
.LBB707_823:                            ;   in Loop: Header=BB707_688 Depth=2
	ds_read_b64 v[64:65], v104 offset:16384
	s_waitcnt lgkmcnt(0)
	v_lshrrev_b64 v[64:65], s84, v[64:65]
	v_and_b32_e32 v170, s68, v64
	s_or_b64 exec, exec, s[78:79]
	s_and_saveexec_b64 s[78:79], s[54:55]
	s_cbranch_execnz .LBB707_855
.LBB707_824:                            ;   in Loop: Header=BB707_688 Depth=2
	s_or_b64 exec, exec, s[78:79]
	s_and_saveexec_b64 s[78:79], s[56:57]
	s_cbranch_execz .LBB707_856
.LBB707_825:                            ;   in Loop: Header=BB707_688 Depth=2
	ds_read_b64 v[64:65], v104 offset:20480
	s_waitcnt lgkmcnt(0)
	v_lshrrev_b64 v[64:65], s84, v[64:65]
	v_and_b32_e32 v168, s68, v64
	s_or_b64 exec, exec, s[78:79]
	s_and_saveexec_b64 s[78:79], s[58:59]
	s_cbranch_execnz .LBB707_857
.LBB707_826:                            ;   in Loop: Header=BB707_688 Depth=2
	s_or_b64 exec, exec, s[78:79]
	s_and_saveexec_b64 s[78:79], s[60:61]
	s_cbranch_execz .LBB707_858
.LBB707_827:                            ;   in Loop: Header=BB707_688 Depth=2
	ds_read_b64 v[64:65], v104 offset:24576
	s_waitcnt lgkmcnt(0)
	v_lshrrev_b64 v[64:65], s84, v[64:65]
	v_and_b32_e32 v166, s68, v64
	s_or_b64 exec, exec, s[78:79]
	s_and_saveexec_b64 s[78:79], s[62:63]
	s_cbranch_execnz .LBB707_859
.LBB707_828:                            ;   in Loop: Header=BB707_688 Depth=2
	s_or_b64 exec, exec, s[78:79]
	s_and_saveexec_b64 s[78:79], s[64:65]
	s_cbranch_execz .LBB707_860
.LBB707_829:                            ;   in Loop: Header=BB707_688 Depth=2
	ds_read_b64 v[64:65], v104 offset:28672
	s_waitcnt lgkmcnt(0)
	v_lshrrev_b64 v[64:65], s84, v[64:65]
	v_and_b32_e32 v164, s68, v64
	s_or_b64 exec, exec, s[78:79]
	s_and_saveexec_b64 s[78:79], s[66:67]
	s_cbranch_execnz .LBB707_861
	s_branch .LBB707_862
.LBB707_830:                            ;   in Loop: Header=BB707_688 Depth=2
	s_or_b64 exec, exec, s[78:79]
	v_cmp_lt_u32_e32 vcc, v143, v182
	s_and_saveexec_b64 s[78:79], vcc
	s_cbranch_execz .LBB707_800
.LBB707_831:                            ;   in Loop: Header=BB707_688 Depth=2
	global_load_dwordx2 v[60:61], v[64:65], off offset:512
	s_or_b64 exec, exec, s[78:79]
	v_cmp_lt_u32_e32 vcc, v144, v182
	s_and_saveexec_b64 s[78:79], vcc
	s_cbranch_execnz .LBB707_801
.LBB707_832:                            ;   in Loop: Header=BB707_688 Depth=2
	s_or_b64 exec, exec, s[78:79]
	v_cmp_lt_u32_e32 vcc, v145, v182
	s_and_saveexec_b64 s[78:79], vcc
	s_cbranch_execz .LBB707_802
.LBB707_833:                            ;   in Loop: Header=BB707_688 Depth=2
	global_load_dwordx2 v[54:55], v[64:65], off offset:1536
	s_or_b64 exec, exec, s[78:79]
	v_cmp_lt_u32_e32 vcc, v146, v182
	s_and_saveexec_b64 s[78:79], vcc
	s_cbranch_execnz .LBB707_803
.LBB707_834:                            ;   in Loop: Header=BB707_688 Depth=2
	s_or_b64 exec, exec, s[78:79]
	v_cmp_lt_u32_e32 vcc, v147, v182
	s_and_saveexec_b64 s[78:79], vcc
	s_cbranch_execz .LBB707_804
.LBB707_835:                            ;   in Loop: Header=BB707_688 Depth=2
	global_load_dwordx2 v[46:47], v[64:65], off offset:2560
	s_or_b64 exec, exec, s[78:79]
	v_cmp_lt_u32_e32 vcc, v148, v182
	s_and_saveexec_b64 s[78:79], vcc
	s_cbranch_execnz .LBB707_805
.LBB707_836:                            ;   in Loop: Header=BB707_688 Depth=2
	s_or_b64 exec, exec, s[78:79]
	v_cmp_lt_u32_e32 vcc, v149, v182
	s_and_saveexec_b64 s[78:79], vcc
	s_cbranch_execz .LBB707_806
.LBB707_837:                            ;   in Loop: Header=BB707_688 Depth=2
	global_load_dwordx2 v[38:39], v[64:65], off offset:3584
	s_or_b64 exec, exec, s[78:79]
	v_cmp_lt_u32_e32 vcc, v150, v182
	s_and_saveexec_b64 s[78:79], vcc
	s_cbranch_execnz .LBB707_807
.LBB707_838:                            ;   in Loop: Header=BB707_688 Depth=2
	s_or_b64 exec, exec, s[78:79]
	v_cmp_lt_u32_e32 vcc, v151, v182
	s_and_saveexec_b64 s[78:79], vcc
	s_cbranch_execz .LBB707_808
.LBB707_839:                            ;   in Loop: Header=BB707_688 Depth=2
	v_add_co_u32_e32 v52, vcc, 0x1000, v64
	v_addc_co_u32_e32 v53, vcc, 0, v65, vcc
	global_load_dwordx2 v[52:53], v[52:53], off offset:512
	s_or_b64 exec, exec, s[78:79]
	v_cmp_lt_u32_e32 vcc, v152, v182
	s_and_saveexec_b64 s[78:79], vcc
	s_cbranch_execnz .LBB707_809
.LBB707_840:                            ;   in Loop: Header=BB707_688 Depth=2
	s_or_b64 exec, exec, s[78:79]
	v_cmp_lt_u32_e32 vcc, v153, v182
	s_and_saveexec_b64 s[78:79], vcc
	s_cbranch_execz .LBB707_810
.LBB707_841:                            ;   in Loop: Header=BB707_688 Depth=2
	v_add_co_u32_e32 v44, vcc, 0x1000, v64
	v_addc_co_u32_e32 v45, vcc, 0, v65, vcc
	global_load_dwordx2 v[44:45], v[44:45], off offset:1536
	s_or_b64 exec, exec, s[78:79]
	v_cmp_lt_u32_e32 vcc, v154, v182
	s_and_saveexec_b64 s[78:79], vcc
	s_cbranch_execnz .LBB707_811
.LBB707_842:                            ;   in Loop: Header=BB707_688 Depth=2
	s_or_b64 exec, exec, s[78:79]
	v_cmp_lt_u32_e32 vcc, v155, v182
	s_and_saveexec_b64 s[78:79], vcc
	s_cbranch_execz .LBB707_812
.LBB707_843:                            ;   in Loop: Header=BB707_688 Depth=2
	v_add_co_u32_e32 v36, vcc, 0x1000, v64
	v_addc_co_u32_e32 v37, vcc, 0, v65, vcc
	global_load_dwordx2 v[36:37], v[36:37], off offset:2560
	s_or_b64 exec, exec, s[78:79]
	v_cmp_lt_u32_e32 vcc, v156, v182
	s_and_saveexec_b64 s[78:79], vcc
	s_cbranch_execnz .LBB707_813
.LBB707_844:                            ;   in Loop: Header=BB707_688 Depth=2
	s_or_b64 exec, exec, s[78:79]
	v_cmp_lt_u32_e32 vcc, v157, v182
	s_and_saveexec_b64 s[78:79], vcc
	s_cbranch_execz .LBB707_814
.LBB707_845:                            ;   in Loop: Header=BB707_688 Depth=2
	v_add_co_u32_e32 v0, vcc, 0x1000, v64
	v_addc_co_u32_e32 v1, vcc, 0, v65, vcc
	global_load_dwordx2 v[0:1], v[0:1], off offset:3584
	s_or_b64 exec, exec, s[78:79]
	s_and_saveexec_b64 s[78:79], s[36:37]
	s_cbranch_execnz .LBB707_815
.LBB707_846:                            ;   in Loop: Header=BB707_688 Depth=2
	s_or_b64 exec, exec, s[78:79]
	s_and_saveexec_b64 s[78:79], s[38:39]
	s_cbranch_execz .LBB707_816
.LBB707_847:                            ;   in Loop: Header=BB707_688 Depth=2
	ds_read_b64 v[64:65], v104 offset:2048
	s_waitcnt lgkmcnt(0)
	v_lshrrev_b64 v[64:65], s84, v[64:65]
	v_and_b32_e32 v178, s68, v64
	s_or_b64 exec, exec, s[78:79]
	s_and_saveexec_b64 s[78:79], s[40:41]
	s_cbranch_execnz .LBB707_817
.LBB707_848:                            ;   in Loop: Header=BB707_688 Depth=2
	s_or_b64 exec, exec, s[78:79]
	s_and_saveexec_b64 s[78:79], s[42:43]
	s_cbranch_execz .LBB707_818
.LBB707_849:                            ;   in Loop: Header=BB707_688 Depth=2
	ds_read_b64 v[64:65], v104 offset:6144
	s_waitcnt lgkmcnt(0)
	v_lshrrev_b64 v[64:65], s84, v[64:65]
	v_and_b32_e32 v175, s68, v64
	s_or_b64 exec, exec, s[78:79]
	s_and_saveexec_b64 s[78:79], s[44:45]
	s_cbranch_execnz .LBB707_819
.LBB707_850:                            ;   in Loop: Header=BB707_688 Depth=2
	s_or_b64 exec, exec, s[78:79]
	s_and_saveexec_b64 s[78:79], s[46:47]
	s_cbranch_execz .LBB707_820
.LBB707_851:                            ;   in Loop: Header=BB707_688 Depth=2
	ds_read_b64 v[64:65], v104 offset:10240
	s_waitcnt lgkmcnt(0)
	v_lshrrev_b64 v[64:65], s84, v[64:65]
	v_and_b32_e32 v173, s68, v64
	s_or_b64 exec, exec, s[78:79]
	s_and_saveexec_b64 s[78:79], s[48:49]
	s_cbranch_execnz .LBB707_821
.LBB707_852:                            ;   in Loop: Header=BB707_688 Depth=2
	s_or_b64 exec, exec, s[78:79]
	s_and_saveexec_b64 s[78:79], s[50:51]
	s_cbranch_execz .LBB707_822
.LBB707_853:                            ;   in Loop: Header=BB707_688 Depth=2
	ds_read_b64 v[64:65], v104 offset:14336
	s_waitcnt lgkmcnt(0)
	v_lshrrev_b64 v[64:65], s84, v[64:65]
	v_and_b32_e32 v171, s68, v64
	s_or_b64 exec, exec, s[78:79]
	s_and_saveexec_b64 s[78:79], s[52:53]
	s_cbranch_execnz .LBB707_823
.LBB707_854:                            ;   in Loop: Header=BB707_688 Depth=2
	s_or_b64 exec, exec, s[78:79]
	s_and_saveexec_b64 s[78:79], s[54:55]
	s_cbranch_execz .LBB707_824
.LBB707_855:                            ;   in Loop: Header=BB707_688 Depth=2
	ds_read_b64 v[64:65], v104 offset:18432
	s_waitcnt lgkmcnt(0)
	v_lshrrev_b64 v[64:65], s84, v[64:65]
	v_and_b32_e32 v169, s68, v64
	s_or_b64 exec, exec, s[78:79]
	s_and_saveexec_b64 s[78:79], s[56:57]
	s_cbranch_execnz .LBB707_825
.LBB707_856:                            ;   in Loop: Header=BB707_688 Depth=2
	s_or_b64 exec, exec, s[78:79]
	s_and_saveexec_b64 s[78:79], s[58:59]
	s_cbranch_execz .LBB707_826
.LBB707_857:                            ;   in Loop: Header=BB707_688 Depth=2
	ds_read_b64 v[64:65], v104 offset:22528
	s_waitcnt lgkmcnt(0)
	v_lshrrev_b64 v[64:65], s84, v[64:65]
	v_and_b32_e32 v167, s68, v64
	s_or_b64 exec, exec, s[78:79]
	s_and_saveexec_b64 s[78:79], s[60:61]
	s_cbranch_execnz .LBB707_827
.LBB707_858:                            ;   in Loop: Header=BB707_688 Depth=2
	s_or_b64 exec, exec, s[78:79]
	s_and_saveexec_b64 s[78:79], s[62:63]
	s_cbranch_execz .LBB707_828
.LBB707_859:                            ;   in Loop: Header=BB707_688 Depth=2
	ds_read_b64 v[64:65], v104 offset:26624
	s_waitcnt lgkmcnt(0)
	v_lshrrev_b64 v[64:65], s84, v[64:65]
	v_and_b32_e32 v165, s68, v64
	s_or_b64 exec, exec, s[78:79]
	s_and_saveexec_b64 s[78:79], s[64:65]
	s_cbranch_execnz .LBB707_829
.LBB707_860:                            ;   in Loop: Header=BB707_688 Depth=2
	s_or_b64 exec, exec, s[78:79]
	s_and_saveexec_b64 s[78:79], s[66:67]
	s_cbranch_execz .LBB707_862
.LBB707_861:                            ;   in Loop: Header=BB707_688 Depth=2
	ds_read_b64 v[64:65], v104 offset:30720
	s_waitcnt lgkmcnt(0)
	v_lshrrev_b64 v[64:65], s84, v[64:65]
	v_and_b32_e32 v163, s68, v64
.LBB707_862:                            ;   in Loop: Header=BB707_688 Depth=2
	s_or_b64 exec, exec, s[78:79]
	v_add_u32_e32 v64, 0x400, v96
	v_add_u32_e32 v65, 0x400, v97
	;; [unrolled: 1-line block ×16, first 2 shown]
	s_barrier
	s_waitcnt vmcnt(0)
	ds_write_b64 v64, v[62:63]
	ds_write_b64 v65, v[60:61]
	;; [unrolled: 1-line block ×16, first 2 shown]
	s_waitcnt lgkmcnt(0)
	s_barrier
	s_and_saveexec_b64 s[78:79], s[36:37]
	s_cbranch_execz .LBB707_878
; %bb.863:                              ;   in Loop: Header=BB707_688 Depth=2
	v_lshlrev_b32_e32 v64, 2, v180
	ds_read_b32 v66, v64
	v_add_u32_e32 v64, v33, v3
	ds_read_b64 v[64:65], v64 offset:1024
	v_mov_b32_e32 v67, v4
	v_mov_b32_e32 v68, s81
	s_waitcnt lgkmcnt(1)
	v_add_u32_e32 v66, v66, v2
	v_lshlrev_b64 v[66:67], 3, v[66:67]
	v_add_co_u32_e32 v66, vcc, s80, v66
	v_addc_co_u32_e32 v67, vcc, v68, v67, vcc
	s_waitcnt lgkmcnt(0)
	global_store_dwordx2 v[66:67], v[64:65], off
	s_or_b64 exec, exec, s[78:79]
	s_and_saveexec_b64 s[36:37], s[38:39]
	s_cbranch_execnz .LBB707_879
.LBB707_864:                            ;   in Loop: Header=BB707_688 Depth=2
	s_or_b64 exec, exec, s[36:37]
	s_and_saveexec_b64 s[36:37], s[40:41]
	s_cbranch_execz .LBB707_880
.LBB707_865:                            ;   in Loop: Header=BB707_688 Depth=2
	v_lshlrev_b32_e32 v64, 2, v177
	ds_read_b32 v66, v64
	ds_read_b64 v[64:65], v104 offset:4096
	v_mov_b32_e32 v67, v4
	v_mov_b32_e32 v68, s81
	s_waitcnt lgkmcnt(1)
	v_add_u32_e32 v66, v66, v6
	v_lshlrev_b64 v[66:67], 3, v[66:67]
	v_add_co_u32_e32 v66, vcc, s80, v66
	v_addc_co_u32_e32 v67, vcc, v68, v67, vcc
	s_waitcnt lgkmcnt(0)
	global_store_dwordx2 v[66:67], v[64:65], off
	s_or_b64 exec, exec, s[36:37]
	s_and_saveexec_b64 s[36:37], s[42:43]
	s_cbranch_execnz .LBB707_881
.LBB707_866:                            ;   in Loop: Header=BB707_688 Depth=2
	s_or_b64 exec, exec, s[36:37]
	s_and_saveexec_b64 s[36:37], s[44:45]
	s_cbranch_execz .LBB707_882
.LBB707_867:                            ;   in Loop: Header=BB707_688 Depth=2
	v_lshlrev_b32_e32 v64, 2, v174
	ds_read_b32 v66, v64
	ds_read_b64 v[64:65], v104 offset:8192
	v_mov_b32_e32 v67, v4
	v_mov_b32_e32 v68, s81
	s_waitcnt lgkmcnt(1)
	v_add_u32_e32 v66, v66, v10
	v_lshlrev_b64 v[66:67], 3, v[66:67]
	v_add_co_u32_e32 v66, vcc, s80, v66
	v_addc_co_u32_e32 v67, vcc, v68, v67, vcc
	s_waitcnt lgkmcnt(0)
	global_store_dwordx2 v[66:67], v[64:65], off
	s_or_b64 exec, exec, s[36:37]
	s_and_saveexec_b64 s[36:37], s[46:47]
	s_cbranch_execnz .LBB707_883
.LBB707_868:                            ;   in Loop: Header=BB707_688 Depth=2
	s_or_b64 exec, exec, s[36:37]
	s_and_saveexec_b64 s[36:37], s[48:49]
	s_cbranch_execz .LBB707_884
.LBB707_869:                            ;   in Loop: Header=BB707_688 Depth=2
	v_lshlrev_b32_e32 v64, 2, v172
	ds_read_b32 v66, v64
	ds_read_b64 v[64:65], v104 offset:12288
	v_mov_b32_e32 v67, v4
	v_mov_b32_e32 v68, s81
	s_waitcnt lgkmcnt(1)
	v_add_u32_e32 v66, v66, v14
	v_lshlrev_b64 v[66:67], 3, v[66:67]
	v_add_co_u32_e32 v66, vcc, s80, v66
	v_addc_co_u32_e32 v67, vcc, v68, v67, vcc
	s_waitcnt lgkmcnt(0)
	global_store_dwordx2 v[66:67], v[64:65], off
	s_or_b64 exec, exec, s[36:37]
	s_and_saveexec_b64 s[36:37], s[50:51]
	s_cbranch_execnz .LBB707_885
.LBB707_870:                            ;   in Loop: Header=BB707_688 Depth=2
	s_or_b64 exec, exec, s[36:37]
	s_and_saveexec_b64 s[36:37], s[52:53]
	s_cbranch_execz .LBB707_886
.LBB707_871:                            ;   in Loop: Header=BB707_688 Depth=2
	v_lshlrev_b32_e32 v64, 2, v170
	ds_read_b32 v66, v64
	ds_read_b64 v[64:65], v104 offset:16384
	v_mov_b32_e32 v67, v4
	v_mov_b32_e32 v68, s81
	s_waitcnt lgkmcnt(1)
	v_add_u32_e32 v66, v66, v18
	v_lshlrev_b64 v[66:67], 3, v[66:67]
	v_add_co_u32_e32 v66, vcc, s80, v66
	v_addc_co_u32_e32 v67, vcc, v68, v67, vcc
	s_waitcnt lgkmcnt(0)
	global_store_dwordx2 v[66:67], v[64:65], off
	s_or_b64 exec, exec, s[36:37]
	s_and_saveexec_b64 s[36:37], s[54:55]
	s_cbranch_execnz .LBB707_887
.LBB707_872:                            ;   in Loop: Header=BB707_688 Depth=2
	s_or_b64 exec, exec, s[36:37]
	s_and_saveexec_b64 s[36:37], s[56:57]
	s_cbranch_execz .LBB707_888
.LBB707_873:                            ;   in Loop: Header=BB707_688 Depth=2
	v_lshlrev_b32_e32 v64, 2, v168
	ds_read_b32 v66, v64
	ds_read_b64 v[64:65], v104 offset:20480
	v_mov_b32_e32 v67, v4
	v_mov_b32_e32 v68, s81
	s_waitcnt lgkmcnt(1)
	v_add_u32_e32 v66, v66, v22
	v_lshlrev_b64 v[66:67], 3, v[66:67]
	v_add_co_u32_e32 v66, vcc, s80, v66
	v_addc_co_u32_e32 v67, vcc, v68, v67, vcc
	s_waitcnt lgkmcnt(0)
	global_store_dwordx2 v[66:67], v[64:65], off
	s_or_b64 exec, exec, s[36:37]
	s_and_saveexec_b64 s[36:37], s[58:59]
	s_cbranch_execnz .LBB707_889
.LBB707_874:                            ;   in Loop: Header=BB707_688 Depth=2
	s_or_b64 exec, exec, s[36:37]
	s_and_saveexec_b64 s[36:37], s[60:61]
	s_cbranch_execz .LBB707_890
.LBB707_875:                            ;   in Loop: Header=BB707_688 Depth=2
	v_lshlrev_b32_e32 v64, 2, v166
	ds_read_b32 v66, v64
	ds_read_b64 v[64:65], v104 offset:24576
	v_mov_b32_e32 v67, v4
	v_mov_b32_e32 v68, s81
	s_waitcnt lgkmcnt(1)
	v_add_u32_e32 v66, v66, v26
	v_lshlrev_b64 v[66:67], 3, v[66:67]
	v_add_co_u32_e32 v66, vcc, s80, v66
	v_addc_co_u32_e32 v67, vcc, v68, v67, vcc
	s_waitcnt lgkmcnt(0)
	global_store_dwordx2 v[66:67], v[64:65], off
	s_or_b64 exec, exec, s[36:37]
	s_and_saveexec_b64 s[36:37], s[62:63]
	s_cbranch_execnz .LBB707_891
.LBB707_876:                            ;   in Loop: Header=BB707_688 Depth=2
	s_or_b64 exec, exec, s[36:37]
	s_and_saveexec_b64 s[36:37], s[64:65]
	s_cbranch_execz .LBB707_892
.LBB707_877:                            ;   in Loop: Header=BB707_688 Depth=2
	v_lshlrev_b32_e32 v64, 2, v164
	ds_read_b32 v66, v64
	ds_read_b64 v[64:65], v104 offset:28672
	v_mov_b32_e32 v67, v4
	v_mov_b32_e32 v68, s81
	s_waitcnt lgkmcnt(1)
	v_add_u32_e32 v66, v66, v30
	v_lshlrev_b64 v[66:67], 3, v[66:67]
	v_add_co_u32_e32 v66, vcc, s80, v66
	v_addc_co_u32_e32 v67, vcc, v68, v67, vcc
	s_waitcnt lgkmcnt(0)
	global_store_dwordx2 v[66:67], v[64:65], off
	s_or_b64 exec, exec, s[36:37]
	s_and_saveexec_b64 s[36:37], s[66:67]
	s_cbranch_execnz .LBB707_893
	s_branch .LBB707_894
.LBB707_878:                            ;   in Loop: Header=BB707_688 Depth=2
	s_or_b64 exec, exec, s[78:79]
	s_and_saveexec_b64 s[36:37], s[38:39]
	s_cbranch_execz .LBB707_864
.LBB707_879:                            ;   in Loop: Header=BB707_688 Depth=2
	v_lshlrev_b32_e32 v64, 2, v178
	ds_read_b32 v66, v64
	ds_read_b64 v[64:65], v104 offset:2048
	v_mov_b32_e32 v67, v4
	v_mov_b32_e32 v68, s81
	s_waitcnt lgkmcnt(1)
	v_add_u32_e32 v66, v66, v7
	v_lshlrev_b64 v[66:67], 3, v[66:67]
	v_add_co_u32_e32 v66, vcc, s80, v66
	v_addc_co_u32_e32 v67, vcc, v68, v67, vcc
	s_waitcnt lgkmcnt(0)
	global_store_dwordx2 v[66:67], v[64:65], off
	s_or_b64 exec, exec, s[36:37]
	s_and_saveexec_b64 s[36:37], s[40:41]
	s_cbranch_execnz .LBB707_865
.LBB707_880:                            ;   in Loop: Header=BB707_688 Depth=2
	s_or_b64 exec, exec, s[36:37]
	s_and_saveexec_b64 s[36:37], s[42:43]
	s_cbranch_execz .LBB707_866
.LBB707_881:                            ;   in Loop: Header=BB707_688 Depth=2
	v_lshlrev_b32_e32 v64, 2, v175
	ds_read_b32 v66, v64
	ds_read_b64 v[64:65], v104 offset:6144
	v_mov_b32_e32 v67, v4
	v_mov_b32_e32 v68, s81
	s_waitcnt lgkmcnt(1)
	v_add_u32_e32 v66, v66, v8
	v_lshlrev_b64 v[66:67], 3, v[66:67]
	v_add_co_u32_e32 v66, vcc, s80, v66
	v_addc_co_u32_e32 v67, vcc, v68, v67, vcc
	s_waitcnt lgkmcnt(0)
	global_store_dwordx2 v[66:67], v[64:65], off
	s_or_b64 exec, exec, s[36:37]
	s_and_saveexec_b64 s[36:37], s[44:45]
	s_cbranch_execnz .LBB707_867
.LBB707_882:                            ;   in Loop: Header=BB707_688 Depth=2
	s_or_b64 exec, exec, s[36:37]
	s_and_saveexec_b64 s[36:37], s[46:47]
	s_cbranch_execz .LBB707_868
.LBB707_883:                            ;   in Loop: Header=BB707_688 Depth=2
	v_lshlrev_b32_e32 v64, 2, v173
	ds_read_b32 v66, v64
	ds_read_b64 v[64:65], v104 offset:10240
	v_mov_b32_e32 v67, v4
	v_mov_b32_e32 v68, s81
	s_waitcnt lgkmcnt(1)
	v_add_u32_e32 v66, v66, v12
	v_lshlrev_b64 v[66:67], 3, v[66:67]
	v_add_co_u32_e32 v66, vcc, s80, v66
	v_addc_co_u32_e32 v67, vcc, v68, v67, vcc
	s_waitcnt lgkmcnt(0)
	global_store_dwordx2 v[66:67], v[64:65], off
	s_or_b64 exec, exec, s[36:37]
	s_and_saveexec_b64 s[36:37], s[48:49]
	s_cbranch_execnz .LBB707_869
.LBB707_884:                            ;   in Loop: Header=BB707_688 Depth=2
	s_or_b64 exec, exec, s[36:37]
	s_and_saveexec_b64 s[36:37], s[50:51]
	s_cbranch_execz .LBB707_870
.LBB707_885:                            ;   in Loop: Header=BB707_688 Depth=2
	v_lshlrev_b32_e32 v64, 2, v171
	ds_read_b32 v66, v64
	ds_read_b64 v[64:65], v104 offset:14336
	v_mov_b32_e32 v67, v4
	v_mov_b32_e32 v68, s81
	s_waitcnt lgkmcnt(1)
	v_add_u32_e32 v66, v66, v16
	v_lshlrev_b64 v[66:67], 3, v[66:67]
	v_add_co_u32_e32 v66, vcc, s80, v66
	v_addc_co_u32_e32 v67, vcc, v68, v67, vcc
	s_waitcnt lgkmcnt(0)
	global_store_dwordx2 v[66:67], v[64:65], off
	s_or_b64 exec, exec, s[36:37]
	s_and_saveexec_b64 s[36:37], s[52:53]
	s_cbranch_execnz .LBB707_871
.LBB707_886:                            ;   in Loop: Header=BB707_688 Depth=2
	s_or_b64 exec, exec, s[36:37]
	s_and_saveexec_b64 s[36:37], s[54:55]
	s_cbranch_execz .LBB707_872
.LBB707_887:                            ;   in Loop: Header=BB707_688 Depth=2
	v_lshlrev_b32_e32 v64, 2, v169
	ds_read_b32 v66, v64
	ds_read_b64 v[64:65], v104 offset:18432
	v_mov_b32_e32 v67, v4
	v_mov_b32_e32 v68, s81
	s_waitcnt lgkmcnt(1)
	v_add_u32_e32 v66, v66, v20
	v_lshlrev_b64 v[66:67], 3, v[66:67]
	v_add_co_u32_e32 v66, vcc, s80, v66
	v_addc_co_u32_e32 v67, vcc, v68, v67, vcc
	s_waitcnt lgkmcnt(0)
	global_store_dwordx2 v[66:67], v[64:65], off
	s_or_b64 exec, exec, s[36:37]
	s_and_saveexec_b64 s[36:37], s[56:57]
	s_cbranch_execnz .LBB707_873
.LBB707_888:                            ;   in Loop: Header=BB707_688 Depth=2
	s_or_b64 exec, exec, s[36:37]
	s_and_saveexec_b64 s[36:37], s[58:59]
	s_cbranch_execz .LBB707_874
.LBB707_889:                            ;   in Loop: Header=BB707_688 Depth=2
	v_lshlrev_b32_e32 v64, 2, v167
	ds_read_b32 v66, v64
	ds_read_b64 v[64:65], v104 offset:22528
	v_mov_b32_e32 v67, v4
	v_mov_b32_e32 v68, s81
	s_waitcnt lgkmcnt(1)
	v_add_u32_e32 v66, v66, v24
	v_lshlrev_b64 v[66:67], 3, v[66:67]
	v_add_co_u32_e32 v66, vcc, s80, v66
	v_addc_co_u32_e32 v67, vcc, v68, v67, vcc
	s_waitcnt lgkmcnt(0)
	global_store_dwordx2 v[66:67], v[64:65], off
	s_or_b64 exec, exec, s[36:37]
	s_and_saveexec_b64 s[36:37], s[60:61]
	s_cbranch_execnz .LBB707_875
.LBB707_890:                            ;   in Loop: Header=BB707_688 Depth=2
	s_or_b64 exec, exec, s[36:37]
	s_and_saveexec_b64 s[36:37], s[62:63]
	s_cbranch_execz .LBB707_876
.LBB707_891:                            ;   in Loop: Header=BB707_688 Depth=2
	v_lshlrev_b32_e32 v64, 2, v165
	ds_read_b32 v66, v64
	ds_read_b64 v[64:65], v104 offset:26624
	v_mov_b32_e32 v67, v4
	v_mov_b32_e32 v68, s81
	s_waitcnt lgkmcnt(1)
	v_add_u32_e32 v66, v66, v28
	v_lshlrev_b64 v[66:67], 3, v[66:67]
	v_add_co_u32_e32 v66, vcc, s80, v66
	v_addc_co_u32_e32 v67, vcc, v68, v67, vcc
	s_waitcnt lgkmcnt(0)
	global_store_dwordx2 v[66:67], v[64:65], off
	s_or_b64 exec, exec, s[36:37]
	s_and_saveexec_b64 s[36:37], s[64:65]
	s_cbranch_execnz .LBB707_877
.LBB707_892:                            ;   in Loop: Header=BB707_688 Depth=2
	s_or_b64 exec, exec, s[36:37]
	s_and_saveexec_b64 s[36:37], s[66:67]
	s_cbranch_execz .LBB707_894
.LBB707_893:                            ;   in Loop: Header=BB707_688 Depth=2
	v_lshlrev_b32_e32 v64, 2, v163
	ds_read_b32 v66, v64
	ds_read_b64 v[64:65], v104 offset:30720
	v_mov_b32_e32 v67, v4
	v_mov_b32_e32 v68, s81
	s_waitcnt lgkmcnt(1)
	v_add_u32_e32 v66, v66, v32
	v_lshlrev_b64 v[66:67], 3, v[66:67]
	v_add_co_u32_e32 v66, vcc, s80, v66
	v_addc_co_u32_e32 v67, vcc, v68, v67, vcc
	s_waitcnt lgkmcnt(0)
	global_store_dwordx2 v[66:67], v[64:65], off
.LBB707_894:                            ;   in Loop: Header=BB707_688 Depth=2
	s_or_b64 exec, exec, s[36:37]
	s_barrier
	s_and_saveexec_b64 s[36:37], s[4:5]
	s_cbranch_execz .LBB707_687
; %bb.895:                              ;   in Loop: Header=BB707_688 Depth=2
	ds_read_b32 v64, v3
	s_waitcnt lgkmcnt(0)
	v_add_u32_e32 v5, v64, v5
	ds_write_b32 v3, v5
	s_branch .LBB707_687
.LBB707_896:                            ;   in Loop: Header=BB707_12 Depth=1
	s_waitcnt lgkmcnt(0)
	s_barrier
	s_mov_b64 s[16:17], 0
	v_readlane_b32 s38, v235, 2
.LBB707_897:                            ;   in Loop: Header=BB707_12 Depth=1
	s_and_b64 vcc, exec, s[16:17]
	s_cbranch_vccz .LBB707_11
; %bb.898:                              ;   in Loop: Header=BB707_12 Depth=1
	s_mov_b32 s24, s85
	s_mov_b32 s18, s38
	s_barrier
	s_waitcnt lgkmcnt(0)
                                        ; implicit-def: $vgpr62_vgpr63
                                        ; implicit-def: $vgpr0_vgpr1
                                        ; implicit-def: $vgpr34_vgpr35
                                        ; implicit-def: $vgpr36_vgpr37
                                        ; implicit-def: $vgpr38_vgpr39
                                        ; implicit-def: $vgpr40_vgpr41
                                        ; implicit-def: $vgpr42_vgpr43
                                        ; implicit-def: $vgpr44_vgpr45
                                        ; implicit-def: $vgpr46_vgpr47
                                        ; implicit-def: $vgpr48_vgpr49
                                        ; implicit-def: $vgpr50_vgpr51
                                        ; implicit-def: $vgpr52_vgpr53
                                        ; implicit-def: $vgpr54_vgpr55
                                        ; implicit-def: $vgpr56_vgpr57
                                        ; implicit-def: $vgpr58_vgpr59
                                        ; implicit-def: $vgpr60_vgpr61
	s_branch .LBB707_900
.LBB707_899:                            ;   in Loop: Header=BB707_900 Depth=2
	s_or_b64 exec, exec, s[16:17]
	s_addk_i32 s24, 0xf000
	s_cmp_ge_u32 s25, s94
	s_mov_b32 s18, s25
	s_cbranch_scc1 .LBB707_970
.LBB707_900:                            ;   Parent Loop BB707_12 Depth=1
                                        ; =>  This Inner Loop Header: Depth=2
	s_add_i32 s25, s18, 0x1000
	s_cmp_gt_u32 s25, s94
	s_cbranch_scc1 .LBB707_903
; %bb.901:                              ;   in Loop: Header=BB707_900 Depth=2
	s_mov_b32 s19, s88
	s_lshl_b64 s[16:17], s[18:19], 3
	v_mov_b32_e32 v5, s17
	v_add_co_u32_e32 v64, vcc, s16, v111
	v_addc_co_u32_e32 v65, vcc, v112, v5, vcc
	s_waitcnt vmcnt(11)
	v_add_co_u32_e32 v72, vcc, 0x1000, v64
	v_addc_co_u32_e32 v73, vcc, 0, v65, vcc
	s_waitcnt vmcnt(5)
	v_add_co_u32_e32 v78, vcc, s95, v64
	v_addc_co_u32_e32 v79, vcc, 0, v65, vcc
	s_waitcnt vmcnt(1)
	v_add_co_u32_e32 v82, vcc, s96, v64
	v_addc_co_u32_e32 v83, vcc, 0, v65, vcc
	v_add_co_u32_e32 v86, vcc, s97, v64
	v_addc_co_u32_e32 v87, vcc, 0, v65, vcc
	;; [unrolled: 2-line block ×4, first 2 shown]
	global_load_dwordx2 v[66:67], v[64:65], off
	global_load_dwordx2 v[68:69], v[64:65], off offset:2048
	global_load_dwordx2 v[70:71], v[72:73], off
	s_nop 0
	global_load_dwordx2 v[72:73], v[72:73], off offset:2048
	s_nop 0
	global_load_dwordx2 v[74:75], v[82:83], off
	global_load_dwordx2 v[76:77], v[82:83], off offset:2048
	global_load_dwordx2 v[80:81], v[88:89], off offset:-4096
	global_load_dwordx2 v[84:85], v[88:89], off
	s_nop 0
	global_load_dwordx2 v[88:89], v[88:89], off offset:2048
	s_nop 0
	global_load_dwordx2 v[78:79], v[78:79], off offset:2048
	;; [unrolled: 2-line block ×3, first 2 shown]
	s_nop 0
	global_load_dwordx2 v[90:91], v[92:93], off
	s_nop 0
	global_load_dwordx2 v[92:93], v[92:93], off offset:2048
	s_waitcnt vmcnt(13)
	v_add_co_u32_e32 v94, vcc, 0x7000, v64
	v_addc_co_u32_e32 v95, vcc, 0, v65, vcc
	global_load_dwordx2 v[82:83], v[82:83], off offset:-4096
	s_nop 0
	global_load_dwordx2 v[94:95], v[94:95], off
	v_add_co_u32_e32 v64, vcc, 0x7800, v64
	s_movk_i32 s26, 0x1000
	v_addc_co_u32_e32 v65, vcc, 0, v65, vcc
	s_mov_b64 s[16:17], -1
	s_cbranch_execz .LBB707_904
; %bb.902:                              ;   in Loop: Header=BB707_900 Depth=2
                                        ; implicit-def: $vgpr60_vgpr61
                                        ; implicit-def: $vgpr58_vgpr59
                                        ; implicit-def: $vgpr56_vgpr57
                                        ; implicit-def: $vgpr54_vgpr55
                                        ; implicit-def: $vgpr52_vgpr53
                                        ; implicit-def: $vgpr50_vgpr51
                                        ; implicit-def: $vgpr48_vgpr49
                                        ; implicit-def: $vgpr46_vgpr47
                                        ; implicit-def: $vgpr44_vgpr45
                                        ; implicit-def: $vgpr42_vgpr43
                                        ; implicit-def: $vgpr40_vgpr41
                                        ; implicit-def: $vgpr38_vgpr39
                                        ; implicit-def: $vgpr36_vgpr37
                                        ; implicit-def: $vgpr34_vgpr35
                                        ; implicit-def: $vgpr0_vgpr1
                                        ; implicit-def: $vgpr62_vgpr63
	v_mov_b32_e32 v5, s24
	s_and_saveexec_b64 s[18:19], s[16:17]
	s_cbranch_execnz .LBB707_923
	s_branch .LBB707_924
.LBB707_903:                            ;   in Loop: Header=BB707_900 Depth=2
	s_mov_b64 s[16:17], 0
                                        ; implicit-def: $sgpr26
                                        ; implicit-def: $vgpr66_vgpr67
                                        ; implicit-def: $vgpr68_vgpr69
                                        ; implicit-def: $vgpr70_vgpr71
                                        ; implicit-def: $vgpr72_vgpr73
                                        ; implicit-def: $vgpr82_vgpr83
                                        ; implicit-def: $vgpr78_vgpr79
                                        ; implicit-def: $vgpr74_vgpr75
                                        ; implicit-def: $vgpr76_vgpr77
                                        ; implicit-def: $vgpr80_vgpr81
                                        ; implicit-def: $vgpr86_vgpr87
                                        ; implicit-def: $vgpr84_vgpr85
                                        ; implicit-def: $vgpr88_vgpr89
                                        ; implicit-def: $vgpr90_vgpr91
                                        ; implicit-def: $vgpr92_vgpr93
                                        ; implicit-def: $vgpr94_vgpr95
                                        ; implicit-def: $vgpr64_vgpr65
.LBB707_904:                            ;   in Loop: Header=BB707_900 Depth=2
	s_mov_b32 s19, s88
	s_lshl_b64 s[20:21], s[18:19], 3
	s_add_u32 s20, s72, s20
	s_addc_u32 s21, s73, s21
	v_cmp_gt_u32_e32 vcc, s24, v2
	s_and_saveexec_b64 s[22:23], vcc
	s_cbranch_execz .LBB707_956
; %bb.905:                              ;   in Loop: Header=BB707_900 Depth=2
	global_load_dwordx2 v[60:61], v118, s[20:21]
	s_or_b64 exec, exec, s[22:23]
	v_cmp_gt_u32_e32 vcc, s24, v7
	s_and_saveexec_b64 s[22:23], vcc
	s_cbranch_execnz .LBB707_957
.LBB707_906:                            ;   in Loop: Header=BB707_900 Depth=2
	s_or_b64 exec, exec, s[22:23]
	v_cmp_gt_u32_e32 vcc, s24, v6
	s_and_saveexec_b64 s[22:23], vcc
	s_cbranch_execz .LBB707_958
.LBB707_907:                            ;   in Loop: Header=BB707_900 Depth=2
	global_load_dwordx2 v[56:57], v119, s[20:21]
	s_or_b64 exec, exec, s[22:23]
	v_cmp_gt_u32_e32 vcc, s24, v8
	s_and_saveexec_b64 s[22:23], vcc
	s_cbranch_execnz .LBB707_959
.LBB707_908:                            ;   in Loop: Header=BB707_900 Depth=2
	s_or_b64 exec, exec, s[22:23]
	v_cmp_gt_u32_e32 vcc, s24, v10
	s_and_saveexec_b64 s[22:23], vcc
	s_cbranch_execz .LBB707_960
.LBB707_909:                            ;   in Loop: Header=BB707_900 Depth=2
	global_load_dwordx2 v[52:53], v121, s[20:21]
	s_or_b64 exec, exec, s[22:23]
	v_cmp_gt_u32_e32 vcc, s24, v12
	s_and_saveexec_b64 s[22:23], vcc
	s_cbranch_execnz .LBB707_961
.LBB707_910:                            ;   in Loop: Header=BB707_900 Depth=2
	s_or_b64 exec, exec, s[22:23]
	v_cmp_gt_u32_e32 vcc, s24, v14
	s_and_saveexec_b64 s[22:23], vcc
	s_cbranch_execz .LBB707_962
.LBB707_911:                            ;   in Loop: Header=BB707_900 Depth=2
	global_load_dwordx2 v[48:49], v123, s[20:21]
	s_or_b64 exec, exec, s[22:23]
	v_cmp_gt_u32_e32 vcc, s24, v16
	s_and_saveexec_b64 s[22:23], vcc
	s_cbranch_execnz .LBB707_963
.LBB707_912:                            ;   in Loop: Header=BB707_900 Depth=2
	s_or_b64 exec, exec, s[22:23]
	v_cmp_gt_u32_e32 vcc, s24, v18
	s_and_saveexec_b64 s[22:23], vcc
	s_cbranch_execz .LBB707_964
.LBB707_913:                            ;   in Loop: Header=BB707_900 Depth=2
	global_load_dwordx2 v[44:45], v125, s[20:21]
	s_or_b64 exec, exec, s[22:23]
	v_cmp_gt_u32_e32 vcc, s24, v20
	s_and_saveexec_b64 s[22:23], vcc
	s_cbranch_execnz .LBB707_965
.LBB707_914:                            ;   in Loop: Header=BB707_900 Depth=2
	s_or_b64 exec, exec, s[22:23]
	v_cmp_gt_u32_e32 vcc, s24, v22
	s_and_saveexec_b64 s[22:23], vcc
	s_cbranch_execz .LBB707_966
.LBB707_915:                            ;   in Loop: Header=BB707_900 Depth=2
	global_load_dwordx2 v[40:41], v127, s[20:21]
	s_or_b64 exec, exec, s[22:23]
	v_cmp_gt_u32_e32 vcc, s24, v24
	s_and_saveexec_b64 s[22:23], vcc
	s_cbranch_execnz .LBB707_967
.LBB707_916:                            ;   in Loop: Header=BB707_900 Depth=2
	s_or_b64 exec, exec, s[22:23]
	v_cmp_gt_u32_e32 vcc, s24, v26
	s_and_saveexec_b64 s[22:23], vcc
	s_cbranch_execz .LBB707_968
.LBB707_917:                            ;   in Loop: Header=BB707_900 Depth=2
	global_load_dwordx2 v[36:37], v129, s[20:21]
	s_or_b64 exec, exec, s[22:23]
	v_cmp_gt_u32_e32 vcc, s24, v28
	s_and_saveexec_b64 s[22:23], vcc
	s_cbranch_execnz .LBB707_969
.LBB707_918:                            ;   in Loop: Header=BB707_900 Depth=2
	s_or_b64 exec, exec, s[22:23]
	v_cmp_gt_u32_e32 vcc, s24, v30
	s_and_saveexec_b64 s[22:23], vcc
	s_cbranch_execz .LBB707_920
.LBB707_919:                            ;   in Loop: Header=BB707_900 Depth=2
	global_load_dwordx2 v[0:1], v131, s[20:21]
.LBB707_920:                            ;   in Loop: Header=BB707_900 Depth=2
	s_or_b64 exec, exec, s[22:23]
	v_cmp_gt_u32_e32 vcc, s24, v32
                                        ; implicit-def: $sgpr26
                                        ; implicit-def: $vgpr64_vgpr65
	s_and_saveexec_b64 s[22:23], vcc
; %bb.921:                              ;   in Loop: Header=BB707_900 Depth=2
	v_mov_b32_e32 v5, s21
	v_add_co_u32_e32 v64, vcc, s20, v132
	s_sub_i32 s26, s94, s18
	v_addc_co_u32_e32 v65, vcc, 0, v5, vcc
	s_or_b64 s[16:17], s[16:17], exec
                                        ; implicit-def: $vgpr62_vgpr63
; %bb.922:                              ;   in Loop: Header=BB707_900 Depth=2
	s_or_b64 exec, exec, s[22:23]
	s_waitcnt vmcnt(0)
	v_pk_mov_b32 v[66:67], v[60:61], v[60:61] op_sel:[0,1]
	v_pk_mov_b32 v[68:69], v[58:59], v[58:59] op_sel:[0,1]
	;; [unrolled: 1-line block ×15, first 2 shown]
	v_mov_b32_e32 v5, s24
	s_and_saveexec_b64 s[18:19], s[16:17]
	s_cbranch_execz .LBB707_924
.LBB707_923:                            ;   in Loop: Header=BB707_900 Depth=2
	global_load_dwordx2 v[62:63], v[64:65], off
	v_mov_b32_e32 v5, s26
	s_waitcnt vmcnt(1)
	v_pk_mov_b32 v[0:1], v[94:95], v[94:95] op_sel:[0,1]
	v_pk_mov_b32 v[34:35], v[92:93], v[92:93] op_sel:[0,1]
	;; [unrolled: 1-line block ×15, first 2 shown]
.LBB707_924:                            ;   in Loop: Header=BB707_900 Depth=2
	s_or_b64 exec, exec, s[18:19]
	v_cmp_lt_u32_e32 vcc, v2, v5
	s_and_saveexec_b64 s[16:17], vcc
	s_cbranch_execz .LBB707_940
; %bb.925:                              ;   in Loop: Header=BB707_900 Depth=2
	v_xor_b32_e32 v65, 0x7fffffff, v61
	v_not_b32_e32 v64, v60
	v_lshrrev_b64 v[64:65], s84, v[64:65]
	v_and_b32_e32 v64, s68, v64
	v_lshl_or_b32 v64, v64, 4, v133
	ds_add_u32 v64, v117
	s_or_b64 exec, exec, s[16:17]
	v_cmp_lt_u32_e32 vcc, v7, v5
	s_and_saveexec_b64 s[16:17], vcc
	s_cbranch_execnz .LBB707_941
.LBB707_926:                            ;   in Loop: Header=BB707_900 Depth=2
	s_or_b64 exec, exec, s[16:17]
	v_cmp_lt_u32_e32 vcc, v6, v5
	s_and_saveexec_b64 s[16:17], vcc
	s_cbranch_execz .LBB707_942
.LBB707_927:                            ;   in Loop: Header=BB707_900 Depth=2
	v_xor_b32_e32 v65, 0x7fffffff, v57
	v_not_b32_e32 v64, v56
	v_lshrrev_b64 v[64:65], s84, v[64:65]
	v_and_b32_e32 v64, s68, v64
	v_lshl_or_b32 v64, v64, 4, v133
	ds_add_u32 v64, v117
	s_or_b64 exec, exec, s[16:17]
	v_cmp_lt_u32_e32 vcc, v8, v5
	s_and_saveexec_b64 s[16:17], vcc
	s_cbranch_execnz .LBB707_943
.LBB707_928:                            ;   in Loop: Header=BB707_900 Depth=2
	s_or_b64 exec, exec, s[16:17]
	v_cmp_lt_u32_e32 vcc, v10, v5
	s_and_saveexec_b64 s[16:17], vcc
	s_cbranch_execz .LBB707_944
.LBB707_929:                            ;   in Loop: Header=BB707_900 Depth=2
	v_xor_b32_e32 v65, 0x7fffffff, v53
	v_not_b32_e32 v64, v52
	v_lshrrev_b64 v[64:65], s84, v[64:65]
	v_and_b32_e32 v64, s68, v64
	v_lshl_or_b32 v64, v64, 4, v133
	ds_add_u32 v64, v117
	s_or_b64 exec, exec, s[16:17]
	v_cmp_lt_u32_e32 vcc, v12, v5
	s_and_saveexec_b64 s[16:17], vcc
	s_cbranch_execnz .LBB707_945
.LBB707_930:                            ;   in Loop: Header=BB707_900 Depth=2
	s_or_b64 exec, exec, s[16:17]
	v_cmp_lt_u32_e32 vcc, v14, v5
	s_and_saveexec_b64 s[16:17], vcc
	s_cbranch_execz .LBB707_946
.LBB707_931:                            ;   in Loop: Header=BB707_900 Depth=2
	v_xor_b32_e32 v65, 0x7fffffff, v49
	v_not_b32_e32 v64, v48
	v_lshrrev_b64 v[64:65], s84, v[64:65]
	v_and_b32_e32 v64, s68, v64
	v_lshl_or_b32 v64, v64, 4, v133
	ds_add_u32 v64, v117
	s_or_b64 exec, exec, s[16:17]
	v_cmp_lt_u32_e32 vcc, v16, v5
	s_and_saveexec_b64 s[16:17], vcc
	s_cbranch_execnz .LBB707_947
.LBB707_932:                            ;   in Loop: Header=BB707_900 Depth=2
	s_or_b64 exec, exec, s[16:17]
	v_cmp_lt_u32_e32 vcc, v18, v5
	s_and_saveexec_b64 s[16:17], vcc
	s_cbranch_execz .LBB707_948
.LBB707_933:                            ;   in Loop: Header=BB707_900 Depth=2
	v_xor_b32_e32 v65, 0x7fffffff, v45
	v_not_b32_e32 v64, v44
	v_lshrrev_b64 v[64:65], s84, v[64:65]
	v_and_b32_e32 v64, s68, v64
	v_lshl_or_b32 v64, v64, 4, v133
	ds_add_u32 v64, v117
	s_or_b64 exec, exec, s[16:17]
	v_cmp_lt_u32_e32 vcc, v20, v5
	s_and_saveexec_b64 s[16:17], vcc
	s_cbranch_execnz .LBB707_949
.LBB707_934:                            ;   in Loop: Header=BB707_900 Depth=2
	s_or_b64 exec, exec, s[16:17]
	v_cmp_lt_u32_e32 vcc, v22, v5
	s_and_saveexec_b64 s[16:17], vcc
	s_cbranch_execz .LBB707_950
.LBB707_935:                            ;   in Loop: Header=BB707_900 Depth=2
	v_xor_b32_e32 v65, 0x7fffffff, v41
	v_not_b32_e32 v64, v40
	v_lshrrev_b64 v[64:65], s84, v[64:65]
	v_and_b32_e32 v64, s68, v64
	v_lshl_or_b32 v64, v64, 4, v133
	ds_add_u32 v64, v117
	s_or_b64 exec, exec, s[16:17]
	v_cmp_lt_u32_e32 vcc, v24, v5
	s_and_saveexec_b64 s[16:17], vcc
	s_cbranch_execnz .LBB707_951
.LBB707_936:                            ;   in Loop: Header=BB707_900 Depth=2
	s_or_b64 exec, exec, s[16:17]
	v_cmp_lt_u32_e32 vcc, v26, v5
	s_and_saveexec_b64 s[16:17], vcc
	s_cbranch_execz .LBB707_952
.LBB707_937:                            ;   in Loop: Header=BB707_900 Depth=2
	v_xor_b32_e32 v65, 0x7fffffff, v37
	v_not_b32_e32 v64, v36
	v_lshrrev_b64 v[64:65], s84, v[64:65]
	v_and_b32_e32 v64, s68, v64
	v_lshl_or_b32 v64, v64, 4, v133
	ds_add_u32 v64, v117
	s_or_b64 exec, exec, s[16:17]
	v_cmp_lt_u32_e32 vcc, v28, v5
	s_and_saveexec_b64 s[16:17], vcc
	s_cbranch_execnz .LBB707_953
.LBB707_938:                            ;   in Loop: Header=BB707_900 Depth=2
	s_or_b64 exec, exec, s[16:17]
	v_cmp_lt_u32_e32 vcc, v30, v5
	s_and_saveexec_b64 s[16:17], vcc
	s_cbranch_execz .LBB707_954
.LBB707_939:                            ;   in Loop: Header=BB707_900 Depth=2
	v_xor_b32_e32 v65, 0x7fffffff, v1
	v_not_b32_e32 v64, v0
	v_lshrrev_b64 v[64:65], s84, v[64:65]
	v_and_b32_e32 v64, s68, v64
	v_lshl_or_b32 v64, v64, 4, v133
	ds_add_u32 v64, v117
	s_or_b64 exec, exec, s[16:17]
	v_cmp_lt_u32_e32 vcc, v32, v5
	s_and_saveexec_b64 s[16:17], vcc
	s_cbranch_execz .LBB707_899
	s_branch .LBB707_955
.LBB707_940:                            ;   in Loop: Header=BB707_900 Depth=2
	s_or_b64 exec, exec, s[16:17]
	v_cmp_lt_u32_e32 vcc, v7, v5
	s_and_saveexec_b64 s[16:17], vcc
	s_cbranch_execz .LBB707_926
.LBB707_941:                            ;   in Loop: Header=BB707_900 Depth=2
	v_xor_b32_e32 v65, 0x7fffffff, v59
	v_not_b32_e32 v64, v58
	v_lshrrev_b64 v[64:65], s84, v[64:65]
	v_and_b32_e32 v64, s68, v64
	v_lshl_or_b32 v64, v64, 4, v133
	ds_add_u32 v64, v117
	s_or_b64 exec, exec, s[16:17]
	v_cmp_lt_u32_e32 vcc, v6, v5
	s_and_saveexec_b64 s[16:17], vcc
	s_cbranch_execnz .LBB707_927
.LBB707_942:                            ;   in Loop: Header=BB707_900 Depth=2
	s_or_b64 exec, exec, s[16:17]
	v_cmp_lt_u32_e32 vcc, v8, v5
	s_and_saveexec_b64 s[16:17], vcc
	s_cbranch_execz .LBB707_928
.LBB707_943:                            ;   in Loop: Header=BB707_900 Depth=2
	v_xor_b32_e32 v65, 0x7fffffff, v55
	v_not_b32_e32 v64, v54
	v_lshrrev_b64 v[64:65], s84, v[64:65]
	v_and_b32_e32 v64, s68, v64
	v_lshl_or_b32 v64, v64, 4, v133
	ds_add_u32 v64, v117
	s_or_b64 exec, exec, s[16:17]
	v_cmp_lt_u32_e32 vcc, v10, v5
	s_and_saveexec_b64 s[16:17], vcc
	s_cbranch_execnz .LBB707_929
.LBB707_944:                            ;   in Loop: Header=BB707_900 Depth=2
	s_or_b64 exec, exec, s[16:17]
	v_cmp_lt_u32_e32 vcc, v12, v5
	s_and_saveexec_b64 s[16:17], vcc
	s_cbranch_execz .LBB707_930
.LBB707_945:                            ;   in Loop: Header=BB707_900 Depth=2
	v_xor_b32_e32 v65, 0x7fffffff, v51
	v_not_b32_e32 v64, v50
	v_lshrrev_b64 v[64:65], s84, v[64:65]
	v_and_b32_e32 v64, s68, v64
	v_lshl_or_b32 v64, v64, 4, v133
	ds_add_u32 v64, v117
	s_or_b64 exec, exec, s[16:17]
	v_cmp_lt_u32_e32 vcc, v14, v5
	s_and_saveexec_b64 s[16:17], vcc
	s_cbranch_execnz .LBB707_931
.LBB707_946:                            ;   in Loop: Header=BB707_900 Depth=2
	s_or_b64 exec, exec, s[16:17]
	v_cmp_lt_u32_e32 vcc, v16, v5
	s_and_saveexec_b64 s[16:17], vcc
	s_cbranch_execz .LBB707_932
.LBB707_947:                            ;   in Loop: Header=BB707_900 Depth=2
	v_xor_b32_e32 v65, 0x7fffffff, v47
	v_not_b32_e32 v64, v46
	v_lshrrev_b64 v[64:65], s84, v[64:65]
	v_and_b32_e32 v64, s68, v64
	v_lshl_or_b32 v64, v64, 4, v133
	ds_add_u32 v64, v117
	s_or_b64 exec, exec, s[16:17]
	v_cmp_lt_u32_e32 vcc, v18, v5
	s_and_saveexec_b64 s[16:17], vcc
	s_cbranch_execnz .LBB707_933
.LBB707_948:                            ;   in Loop: Header=BB707_900 Depth=2
	s_or_b64 exec, exec, s[16:17]
	v_cmp_lt_u32_e32 vcc, v20, v5
	s_and_saveexec_b64 s[16:17], vcc
	s_cbranch_execz .LBB707_934
.LBB707_949:                            ;   in Loop: Header=BB707_900 Depth=2
	v_xor_b32_e32 v65, 0x7fffffff, v43
	v_not_b32_e32 v64, v42
	v_lshrrev_b64 v[64:65], s84, v[64:65]
	v_and_b32_e32 v64, s68, v64
	v_lshl_or_b32 v64, v64, 4, v133
	ds_add_u32 v64, v117
	s_or_b64 exec, exec, s[16:17]
	v_cmp_lt_u32_e32 vcc, v22, v5
	s_and_saveexec_b64 s[16:17], vcc
	s_cbranch_execnz .LBB707_935
.LBB707_950:                            ;   in Loop: Header=BB707_900 Depth=2
	s_or_b64 exec, exec, s[16:17]
	v_cmp_lt_u32_e32 vcc, v24, v5
	s_and_saveexec_b64 s[16:17], vcc
	s_cbranch_execz .LBB707_936
.LBB707_951:                            ;   in Loop: Header=BB707_900 Depth=2
	v_xor_b32_e32 v65, 0x7fffffff, v39
	v_not_b32_e32 v64, v38
	v_lshrrev_b64 v[64:65], s84, v[64:65]
	v_and_b32_e32 v64, s68, v64
	v_lshl_or_b32 v64, v64, 4, v133
	ds_add_u32 v64, v117
	s_or_b64 exec, exec, s[16:17]
	v_cmp_lt_u32_e32 vcc, v26, v5
	s_and_saveexec_b64 s[16:17], vcc
	s_cbranch_execnz .LBB707_937
.LBB707_952:                            ;   in Loop: Header=BB707_900 Depth=2
	s_or_b64 exec, exec, s[16:17]
	v_cmp_lt_u32_e32 vcc, v28, v5
	s_and_saveexec_b64 s[16:17], vcc
	s_cbranch_execz .LBB707_938
.LBB707_953:                            ;   in Loop: Header=BB707_900 Depth=2
	v_xor_b32_e32 v65, 0x7fffffff, v35
	v_not_b32_e32 v64, v34
	v_lshrrev_b64 v[64:65], s84, v[64:65]
	v_and_b32_e32 v64, s68, v64
	v_lshl_or_b32 v64, v64, 4, v133
	ds_add_u32 v64, v117
	s_or_b64 exec, exec, s[16:17]
	v_cmp_lt_u32_e32 vcc, v30, v5
	s_and_saveexec_b64 s[16:17], vcc
	s_cbranch_execnz .LBB707_939
.LBB707_954:                            ;   in Loop: Header=BB707_900 Depth=2
	s_or_b64 exec, exec, s[16:17]
	v_cmp_lt_u32_e32 vcc, v32, v5
	s_and_saveexec_b64 s[16:17], vcc
	s_cbranch_execz .LBB707_899
.LBB707_955:                            ;   in Loop: Header=BB707_900 Depth=2
	s_waitcnt vmcnt(0)
	v_xor_b32_e32 v65, 0x7fffffff, v63
	v_not_b32_e32 v64, v62
	v_lshrrev_b64 v[64:65], s84, v[64:65]
	v_and_b32_e32 v5, s68, v64
	v_lshl_or_b32 v5, v5, 4, v133
	ds_add_u32 v5, v117
	s_branch .LBB707_899
.LBB707_956:                            ;   in Loop: Header=BB707_900 Depth=2
	s_or_b64 exec, exec, s[22:23]
	v_cmp_gt_u32_e32 vcc, s24, v7
	s_and_saveexec_b64 s[22:23], vcc
	s_cbranch_execz .LBB707_906
.LBB707_957:                            ;   in Loop: Header=BB707_900 Depth=2
	global_load_dwordx2 v[58:59], v118, s[20:21] offset:2048
	s_or_b64 exec, exec, s[22:23]
	v_cmp_gt_u32_e32 vcc, s24, v6
	s_and_saveexec_b64 s[22:23], vcc
	s_cbranch_execnz .LBB707_907
.LBB707_958:                            ;   in Loop: Header=BB707_900 Depth=2
	s_or_b64 exec, exec, s[22:23]
	v_cmp_gt_u32_e32 vcc, s24, v8
	s_and_saveexec_b64 s[22:23], vcc
	s_cbranch_execz .LBB707_908
.LBB707_959:                            ;   in Loop: Header=BB707_900 Depth=2
	global_load_dwordx2 v[54:55], v120, s[20:21]
	s_or_b64 exec, exec, s[22:23]
	v_cmp_gt_u32_e32 vcc, s24, v10
	s_and_saveexec_b64 s[22:23], vcc
	s_cbranch_execnz .LBB707_909
.LBB707_960:                            ;   in Loop: Header=BB707_900 Depth=2
	s_or_b64 exec, exec, s[22:23]
	v_cmp_gt_u32_e32 vcc, s24, v12
	s_and_saveexec_b64 s[22:23], vcc
	s_cbranch_execz .LBB707_910
.LBB707_961:                            ;   in Loop: Header=BB707_900 Depth=2
	global_load_dwordx2 v[50:51], v122, s[20:21]
	s_or_b64 exec, exec, s[22:23]
	v_cmp_gt_u32_e32 vcc, s24, v14
	s_and_saveexec_b64 s[22:23], vcc
	s_cbranch_execnz .LBB707_911
.LBB707_962:                            ;   in Loop: Header=BB707_900 Depth=2
	s_or_b64 exec, exec, s[22:23]
	v_cmp_gt_u32_e32 vcc, s24, v16
	s_and_saveexec_b64 s[22:23], vcc
	s_cbranch_execz .LBB707_912
.LBB707_963:                            ;   in Loop: Header=BB707_900 Depth=2
	global_load_dwordx2 v[46:47], v124, s[20:21]
	s_or_b64 exec, exec, s[22:23]
	v_cmp_gt_u32_e32 vcc, s24, v18
	s_and_saveexec_b64 s[22:23], vcc
	s_cbranch_execnz .LBB707_913
.LBB707_964:                            ;   in Loop: Header=BB707_900 Depth=2
	s_or_b64 exec, exec, s[22:23]
	v_cmp_gt_u32_e32 vcc, s24, v20
	s_and_saveexec_b64 s[22:23], vcc
	s_cbranch_execz .LBB707_914
.LBB707_965:                            ;   in Loop: Header=BB707_900 Depth=2
	global_load_dwordx2 v[42:43], v126, s[20:21]
	s_or_b64 exec, exec, s[22:23]
	v_cmp_gt_u32_e32 vcc, s24, v22
	s_and_saveexec_b64 s[22:23], vcc
	s_cbranch_execnz .LBB707_915
.LBB707_966:                            ;   in Loop: Header=BB707_900 Depth=2
	s_or_b64 exec, exec, s[22:23]
	v_cmp_gt_u32_e32 vcc, s24, v24
	s_and_saveexec_b64 s[22:23], vcc
	s_cbranch_execz .LBB707_916
.LBB707_967:                            ;   in Loop: Header=BB707_900 Depth=2
	global_load_dwordx2 v[38:39], v128, s[20:21]
	s_or_b64 exec, exec, s[22:23]
	v_cmp_gt_u32_e32 vcc, s24, v26
	s_and_saveexec_b64 s[22:23], vcc
	s_cbranch_execnz .LBB707_917
.LBB707_968:                            ;   in Loop: Header=BB707_900 Depth=2
	s_or_b64 exec, exec, s[22:23]
	v_cmp_gt_u32_e32 vcc, s24, v28
	s_and_saveexec_b64 s[22:23], vcc
	s_cbranch_execz .LBB707_918
.LBB707_969:                            ;   in Loop: Header=BB707_900 Depth=2
	global_load_dwordx2 v[34:35], v130, s[20:21]
	s_or_b64 exec, exec, s[22:23]
	v_cmp_gt_u32_e32 vcc, s24, v30
	s_and_saveexec_b64 s[22:23], vcc
	s_cbranch_execz .LBB707_920
	s_branch .LBB707_919
.LBB707_970:                            ;   in Loop: Header=BB707_12 Depth=1
	v_mov_b32_e32 v0, 0
	s_waitcnt lgkmcnt(0)
	s_barrier
	s_and_saveexec_b64 s[16:17], s[4:5]
	s_cbranch_execz .LBB707_972
; %bb.971:                              ;   in Loop: Header=BB707_12 Depth=1
	ds_read2_b64 v[34:37], v13 offset1:1
	s_waitcnt lgkmcnt(0)
	v_add_u32_e32 v0, v35, v34
	v_add3_u32 v0, v0, v36, v37
.LBB707_972:                            ;   in Loop: Header=BB707_12 Depth=1
	s_or_b64 exec, exec, s[16:17]
	s_nop 0
	v_mov_b32_dpp v1, v0 row_shr:1 row_mask:0xf bank_mask:0xf
	v_cmp_eq_u32_e64 s[16:17], 0, v135
	v_cndmask_b32_e64 v1, v1, 0, s[16:17]
	v_add_u32_e32 v0, v1, v0
	v_cmp_lt_u32_e64 s[18:19], 1, v135
	v_cmp_lt_u32_e64 s[20:21], 3, v135
	v_mov_b32_dpp v1, v0 row_shr:2 row_mask:0xf bank_mask:0xf
	v_cndmask_b32_e64 v1, 0, v1, s[18:19]
	v_add_u32_e32 v0, v0, v1
	v_cmp_lt_u32_e64 s[22:23], 7, v135
	v_cmp_lt_u32_e64 s[26:27], 31, v134
	v_mov_b32_dpp v1, v0 row_shr:4 row_mask:0xf bank_mask:0xf
	v_cndmask_b32_e64 v1, 0, v1, s[20:21]
	v_add_u32_e32 v0, v0, v1
	v_cmp_eq_u32_e64 s[24:25], 0, v137
	s_nop 0
	v_mov_b32_dpp v1, v0 row_shr:8 row_mask:0xf bank_mask:0xf
	v_cndmask_b32_e64 v1, 0, v1, s[22:23]
	v_add_u32_e32 v0, v0, v1
	s_nop 1
	v_mov_b32_dpp v1, v0 row_bcast:15 row_mask:0xf bank_mask:0xf
	v_and_b32_e32 v1, v136, v1
	v_add_u32_e32 v0, v0, v1
	s_nop 1
	v_mov_b32_dpp v1, v0 row_bcast:31 row_mask:0xf bank_mask:0xf
	v_cndmask_b32_e64 v1, 0, v1, s[26:27]
	v_add_u32_e32 v0, v0, v1
	s_and_saveexec_b64 s[28:29], s[6:7]
	s_cbranch_execz .LBB707_974
; %bb.973:                              ;   in Loop: Header=BB707_12 Depth=1
	ds_write_b32 v17, v0
.LBB707_974:                            ;   in Loop: Header=BB707_12 Depth=1
	s_or_b64 exec, exec, s[28:29]
	s_waitcnt lgkmcnt(0)
	s_barrier
	s_and_saveexec_b64 s[28:29], s[8:9]
	s_cbranch_execz .LBB707_976
; %bb.975:                              ;   in Loop: Header=BB707_12 Depth=1
	ds_read_b32 v1, v19
	v_cmp_ne_u32_e32 vcc, 0, v138
	s_waitcnt lgkmcnt(0)
	v_mov_b32_dpp v5, v1 row_shr:1 row_mask:0xf bank_mask:0xf
	v_cndmask_b32_e32 v5, 0, v5, vcc
	v_add_u32_e32 v1, v5, v1
	v_cmp_lt_u32_e32 vcc, 1, v138
	s_nop 0
	v_mov_b32_dpp v5, v1 row_shr:2 row_mask:0xf bank_mask:0xf
	v_cndmask_b32_e32 v5, 0, v5, vcc
	v_add_u32_e32 v1, v1, v5
	ds_write_b32 v19, v1
.LBB707_976:                            ;   in Loop: Header=BB707_12 Depth=1
	s_or_b64 exec, exec, s[28:29]
	v_mov_b32_e32 v1, 0
	s_waitcnt lgkmcnt(0)
	s_barrier
	s_and_saveexec_b64 s[28:29], s[10:11]
	s_cbranch_execz .LBB707_978
; %bb.977:                              ;   in Loop: Header=BB707_12 Depth=1
	ds_read_b32 v1, v21
.LBB707_978:                            ;   in Loop: Header=BB707_12 Depth=1
	s_or_b64 exec, exec, s[28:29]
	v_cmp_lt_i32_e32 vcc, v139, v140
	v_cndmask_b32_e32 v5, v139, v134, vcc
	s_waitcnt lgkmcnt(0)
	v_add_u32_e32 v0, v1, v0
	v_lshlrev_b32_e32 v158, 2, v5
	ds_bpermute_b32 v0, v158, v0
	v_cmp_eq_u32_e64 s[28:29], 0, v134
	s_waitcnt lgkmcnt(0)
	s_barrier
	s_and_saveexec_b64 s[30:31], s[4:5]
	s_cbranch_execz .LBB707_980
; %bb.979:                              ;   in Loop: Header=BB707_12 Depth=1
	v_cndmask_b32_e64 v0, v0, v1, s[28:29]
	v_add_u32_e32 v0, s38, v0
	ds_write_b32 v3, v0
.LBB707_980:                            ;   in Loop: Header=BB707_12 Depth=1
	s_or_b64 exec, exec, s[30:31]
	s_load_dwordx2 s[30:31], s[90:91], 0x0
	v_readlane_b32 s34, v235, 1
	v_add_co_u32_e32 v159, vcc, v113, v141
	v_addc_co_u32_e32 v160, vcc, 0, v114, vcc
	s_waitcnt lgkmcnt(0)
	s_cmp_lt_u32 s34, s30
	v_readlane_b32 s30, v235, 0
	s_cselect_b32 s34, 12, 18
	s_cmp_lt_u32 s30, s31
	s_cselect_b32 s30, 14, 20
	s_add_u32 s30, s90, s30
	s_addc_u32 s31, s91, 0
	s_add_u32 s34, s90, s34
	global_load_ushort v5, v4, s[30:31]
	s_addc_u32 s35, s91, 0
	global_load_ushort v64, v4, s[34:35]
	v_add_co_u32_e32 v161, vcc, v115, v141
	v_addc_co_u32_e32 v162, vcc, 0, v116, vcc
	v_add_co_u32_e32 v176, vcc, 0x1e00, v161
	v_cmp_eq_u32_e64 s[30:31], 0, v138
	v_cmp_lt_u32_e64 s[34:35], 1, v138
	s_mov_b32 s69, s85
	v_addc_co_u32_e32 v179, vcc, 0, v162, vcc
	s_mov_b32 s78, s38
                                        ; implicit-def: $vgpr0_vgpr1
                                        ; implicit-def: $vgpr34_vgpr35
                                        ; implicit-def: $vgpr36_vgpr37
                                        ; implicit-def: $vgpr40_vgpr41
                                        ; implicit-def: $vgpr44_vgpr45
                                        ; implicit-def: $vgpr48_vgpr49
                                        ; implicit-def: $vgpr52_vgpr53
                                        ; implicit-def: $vgpr56_vgpr57
                                        ; implicit-def: $vgpr38_vgpr39
                                        ; implicit-def: $vgpr42_vgpr43
                                        ; implicit-def: $vgpr46_vgpr47
                                        ; implicit-def: $vgpr50_vgpr51
                                        ; implicit-def: $vgpr54_vgpr55
                                        ; implicit-def: $vgpr58_vgpr59
                                        ; implicit-def: $vgpr60_vgpr61
                                        ; implicit-def: $vgpr62_vgpr63
                                        ; implicit-def: $vgpr163
                                        ; implicit-def: $vgpr164
                                        ; implicit-def: $vgpr165
                                        ; implicit-def: $vgpr166
                                        ; implicit-def: $vgpr167
                                        ; implicit-def: $vgpr168
                                        ; implicit-def: $vgpr169
                                        ; implicit-def: $vgpr170
                                        ; implicit-def: $vgpr171
                                        ; implicit-def: $vgpr172
                                        ; implicit-def: $vgpr173
                                        ; implicit-def: $vgpr174
                                        ; implicit-def: $vgpr175
                                        ; implicit-def: $vgpr177
                                        ; implicit-def: $vgpr178
                                        ; implicit-def: $vgpr180
	s_waitcnt vmcnt(1)
	v_mad_u32_u24 v5, v23, v5, v25
	s_waitcnt vmcnt(0)
	v_mad_u64_u32 v[64:65], s[36:37], v5, v64, v[2:3]
	v_lshrrev_b32_e32 v181, 6, v64
	s_branch .LBB707_982
.LBB707_981:                            ;   in Loop: Header=BB707_982 Depth=2
	s_or_b64 exec, exec, s[36:37]
	s_addk_i32 s69, 0xf000
	s_cmp_lt_u32 s86, s94
	s_mov_b32 s78, s86
	s_cbranch_scc0 .LBB707_10
.LBB707_982:                            ;   Parent Loop BB707_12 Depth=1
                                        ; =>  This Inner Loop Header: Depth=2
	s_add_i32 s86, s78, 0x1000
	s_cmp_gt_u32 s86, s94
	s_cbranch_scc1 .LBB707_984
; %bb.983:                              ;   in Loop: Header=BB707_982 Depth=2
	s_mov_b32 s79, s88
	s_lshl_b64 s[36:37], s[78:79], 3
	v_mov_b32_e32 v5, s37
	v_add_co_u32_e32 v68, vcc, s36, v161
	v_addc_co_u32_e32 v69, vcc, v162, v5, vcc
	global_load_dwordx2 v[64:65], v[68:69], off
	global_load_dwordx2 v[66:67], v[68:69], off offset:512
	global_load_dwordx2 v[74:75], v[68:69], off offset:1024
	;; [unrolled: 1-line block ×7, first 2 shown]
	v_add_co_u32_e32 v68, vcc, 0x1000, v68
	v_addc_co_u32_e32 v69, vcc, 0, v69, vcc
	global_load_dwordx2 v[92:93], v[68:69], off
	global_load_dwordx2 v[88:89], v[68:69], off offset:512
	global_load_dwordx2 v[84:85], v[68:69], off offset:1024
	;; [unrolled: 1-line block ×5, first 2 shown]
	s_nop 0
	global_load_dwordx2 v[68:69], v[68:69], off offset:3072
	s_movk_i32 s40, 0x1000
	s_mov_b64 s[36:37], -1
	s_cbranch_execz .LBB707_985
	s_branch .LBB707_1016
.LBB707_984:                            ;   in Loop: Header=BB707_982 Depth=2
	s_mov_b64 s[36:37], 0
                                        ; implicit-def: $sgpr40
                                        ; implicit-def: $vgpr64_vgpr65
                                        ; implicit-def: $vgpr66_vgpr67
                                        ; implicit-def: $vgpr74_vgpr75
                                        ; implicit-def: $vgpr78_vgpr79
                                        ; implicit-def: $vgpr82_vgpr83
                                        ; implicit-def: $vgpr86_vgpr87
                                        ; implicit-def: $vgpr90_vgpr91
                                        ; implicit-def: $vgpr94_vgpr95
                                        ; implicit-def: $vgpr92_vgpr93
                                        ; implicit-def: $vgpr88_vgpr89
                                        ; implicit-def: $vgpr84_vgpr85
                                        ; implicit-def: $vgpr80_vgpr81
                                        ; implicit-def: $vgpr76_vgpr77
                                        ; implicit-def: $vgpr72_vgpr73
                                        ; implicit-def: $vgpr68_vgpr69
.LBB707_985:                            ;   in Loop: Header=BB707_982 Depth=2
	s_mov_b32 s79, s88
	s_lshl_b64 s[36:37], s[78:79], 3
	v_mov_b32_e32 v5, s37
	v_add_co_u32_e32 v70, vcc, s36, v161
	v_addc_co_u32_e32 v71, vcc, v162, v5, vcc
	v_cmp_gt_u32_e32 vcc, s69, v142
	s_waitcnt vmcnt(14)
	v_pk_mov_b32 v[64:65], s[88:89], s[88:89] op_sel:[0,1]
	s_and_saveexec_b64 s[36:37], vcc
	s_cbranch_execz .LBB707_987
; %bb.986:                              ;   in Loop: Header=BB707_982 Depth=2
	global_load_dwordx2 v[64:65], v[70:71], off
.LBB707_987:                            ;   in Loop: Header=BB707_982 Depth=2
	s_or_b64 exec, exec, s[36:37]
	v_cmp_gt_u32_e32 vcc, s69, v143
	s_waitcnt vmcnt(13)
	v_pk_mov_b32 v[66:67], s[88:89], s[88:89] op_sel:[0,1]
	s_and_saveexec_b64 s[36:37], vcc
	s_cbranch_execz .LBB707_989
; %bb.988:                              ;   in Loop: Header=BB707_982 Depth=2
	global_load_dwordx2 v[66:67], v[70:71], off offset:512
.LBB707_989:                            ;   in Loop: Header=BB707_982 Depth=2
	s_or_b64 exec, exec, s[36:37]
	v_cmp_gt_u32_e32 vcc, s69, v144
	s_waitcnt vmcnt(12)
	v_pk_mov_b32 v[74:75], s[88:89], s[88:89] op_sel:[0,1]
	s_and_saveexec_b64 s[36:37], vcc
	s_cbranch_execz .LBB707_991
; %bb.990:                              ;   in Loop: Header=BB707_982 Depth=2
	global_load_dwordx2 v[74:75], v[70:71], off offset:1024
.LBB707_991:                            ;   in Loop: Header=BB707_982 Depth=2
	;; [unrolled: 9-line block ×6, first 2 shown]
	s_or_b64 exec, exec, s[36:37]
	v_cmp_gt_u32_e32 vcc, s69, v149
	s_waitcnt vmcnt(7)
	v_pk_mov_b32 v[94:95], s[88:89], s[88:89] op_sel:[0,1]
	s_and_saveexec_b64 s[36:37], vcc
	s_cbranch_execz .LBB707_1001
; %bb.1000:                             ;   in Loop: Header=BB707_982 Depth=2
	global_load_dwordx2 v[94:95], v[70:71], off offset:3584
.LBB707_1001:                           ;   in Loop: Header=BB707_982 Depth=2
	s_or_b64 exec, exec, s[36:37]
	v_cmp_gt_u32_e32 vcc, s69, v150
	s_waitcnt vmcnt(6)
	v_pk_mov_b32 v[92:93], s[88:89], s[88:89] op_sel:[0,1]
	s_and_saveexec_b64 s[36:37], vcc
	s_cbranch_execz .LBB707_1003
; %bb.1002:                             ;   in Loop: Header=BB707_982 Depth=2
	s_waitcnt vmcnt(0)
	v_add_co_u32_e32 v68, vcc, 0x1000, v70
	v_addc_co_u32_e32 v69, vcc, 0, v71, vcc
	global_load_dwordx2 v[92:93], v[68:69], off
.LBB707_1003:                           ;   in Loop: Header=BB707_982 Depth=2
	s_or_b64 exec, exec, s[36:37]
	v_cmp_gt_u32_e32 vcc, s69, v151
	s_waitcnt vmcnt(5)
	v_pk_mov_b32 v[88:89], s[88:89], s[88:89] op_sel:[0,1]
	s_and_saveexec_b64 s[36:37], vcc
	s_cbranch_execz .LBB707_1005
; %bb.1004:                             ;   in Loop: Header=BB707_982 Depth=2
	s_waitcnt vmcnt(0)
	v_add_co_u32_e32 v68, vcc, 0x1000, v70
	v_addc_co_u32_e32 v69, vcc, 0, v71, vcc
	global_load_dwordx2 v[88:89], v[68:69], off offset:512
.LBB707_1005:                           ;   in Loop: Header=BB707_982 Depth=2
	s_or_b64 exec, exec, s[36:37]
	v_cmp_gt_u32_e32 vcc, s69, v152
	s_waitcnt vmcnt(4)
	v_pk_mov_b32 v[84:85], s[88:89], s[88:89] op_sel:[0,1]
	s_and_saveexec_b64 s[36:37], vcc
	s_cbranch_execz .LBB707_1007
; %bb.1006:                             ;   in Loop: Header=BB707_982 Depth=2
	s_waitcnt vmcnt(0)
	v_add_co_u32_e32 v68, vcc, 0x1000, v70
	v_addc_co_u32_e32 v69, vcc, 0, v71, vcc
	global_load_dwordx2 v[84:85], v[68:69], off offset:1024
.LBB707_1007:                           ;   in Loop: Header=BB707_982 Depth=2
	;; [unrolled: 12-line block ×5, first 2 shown]
	s_or_b64 exec, exec, s[36:37]
	v_cmp_gt_u32_e32 vcc, s69, v156
	s_waitcnt vmcnt(0)
	v_pk_mov_b32 v[68:69], s[88:89], s[88:89] op_sel:[0,1]
	s_and_saveexec_b64 s[36:37], vcc
	s_cbranch_execz .LBB707_1015
; %bb.1014:                             ;   in Loop: Header=BB707_982 Depth=2
	v_add_co_u32_e32 v68, vcc, 0x1000, v70
	v_addc_co_u32_e32 v69, vcc, 0, v71, vcc
	global_load_dwordx2 v[68:69], v[68:69], off offset:3072
.LBB707_1015:                           ;   in Loop: Header=BB707_982 Depth=2
	s_or_b64 exec, exec, s[36:37]
	s_sub_i32 s40, s94, s78
	v_cmp_gt_u32_e64 s[36:37], s69, v157
.LBB707_1016:                           ;   in Loop: Header=BB707_982 Depth=2
	v_pk_mov_b32 v[70:71], s[88:89], s[88:89] op_sel:[0,1]
	v_mov_b32_e32 v182, s69
	s_and_saveexec_b64 s[38:39], s[36:37]
	s_cbranch_execz .LBB707_1018
; %bb.1017:                             ;   in Loop: Header=BB707_982 Depth=2
	s_lshl_b64 s[36:37], s[78:79], 3
	v_mov_b32_e32 v5, s37
	v_add_co_u32_e32 v70, vcc, s36, v176
	v_addc_co_u32_e32 v71, vcc, v179, v5, vcc
	global_load_dwordx2 v[70:71], v[70:71], off
	v_mov_b32_e32 v182, s40
.LBB707_1018:                           ;   in Loop: Header=BB707_982 Depth=2
	s_or_b64 exec, exec, s[38:39]
	s_waitcnt vmcnt(14)
	v_xor_b32_e32 v65, 0x7fffffff, v65
	v_not_b32_e32 v64, v64
	v_lshrrev_b64 v[96:97], s84, v[64:65]
	v_add_u32_e32 v5, 0x410, v27
	v_and_b32_e32 v96, s68, v96
	ds_write2_b32 v5, v4, v4 offset1:1
	ds_write2_b32 v31, v4, v4 offset0:2 offset1:3
	ds_write_b32 v31, v4 offset:16
	v_mad_u32_u24 v5, v96, 5, v181
	v_lshl_add_u32 v183, v5, 2, v29
	v_and_b32_e32 v5, 1, v96
	v_add_co_u32_e32 v97, vcc, -1, v5
	v_addc_co_u32_e64 v98, s[36:37], 0, -1, vcc
	v_cmp_ne_u32_e32 vcc, 0, v5
	v_xor_b32_e32 v5, vcc_hi, v98
	v_and_b32_e32 v98, exec_hi, v5
	v_lshlrev_b32_e32 v5, 30, v96
	v_xor_b32_e32 v97, vcc_lo, v97
	v_cmp_gt_i64_e32 vcc, 0, v[4:5]
	v_not_b32_e32 v5, v5
	v_ashrrev_i32_e32 v5, 31, v5
	v_and_b32_e32 v97, exec_lo, v97
	v_xor_b32_e32 v99, vcc_hi, v5
	v_xor_b32_e32 v5, vcc_lo, v5
	v_and_b32_e32 v97, v97, v5
	v_lshlrev_b32_e32 v5, 29, v96
	v_cmp_gt_i64_e32 vcc, 0, v[4:5]
	v_not_b32_e32 v5, v5
	v_ashrrev_i32_e32 v5, 31, v5
	v_and_b32_e32 v98, v98, v99
	v_xor_b32_e32 v99, vcc_hi, v5
	v_xor_b32_e32 v5, vcc_lo, v5
	v_and_b32_e32 v97, v97, v5
	v_lshlrev_b32_e32 v5, 28, v96
	v_cmp_gt_i64_e32 vcc, 0, v[4:5]
	v_not_b32_e32 v5, v5
	v_ashrrev_i32_e32 v5, 31, v5
	v_and_b32_e32 v98, v98, v99
	;; [unrolled: 8-line block ×5, first 2 shown]
	v_xor_b32_e32 v99, vcc_hi, v5
	v_xor_b32_e32 v5, vcc_lo, v5
	v_and_b32_e32 v98, v98, v99
	v_and_b32_e32 v99, v97, v5
	v_lshlrev_b32_e32 v5, 24, v96
	v_cmp_gt_i64_e32 vcc, 0, v[4:5]
	v_not_b32_e32 v5, v5
	v_ashrrev_i32_e32 v5, 31, v5
	v_xor_b32_e32 v96, vcc_hi, v5
	v_xor_b32_e32 v5, vcc_lo, v5
	v_and_b32_e32 v97, v98, v96
	v_and_b32_e32 v96, v99, v5
	v_mbcnt_lo_u32_b32 v5, v96, 0
	v_mbcnt_hi_u32_b32 v184, v97, v5
	v_cmp_eq_u32_e32 vcc, 0, v184
	v_cmp_ne_u64_e64 s[36:37], 0, v[96:97]
	s_and_b64 s[38:39], s[36:37], vcc
	s_waitcnt lgkmcnt(0)
	s_barrier
	s_waitcnt lgkmcnt(0)
	; wave barrier
	s_and_saveexec_b64 s[36:37], s[38:39]
	s_cbranch_execz .LBB707_1020
; %bb.1019:                             ;   in Loop: Header=BB707_982 Depth=2
	v_bcnt_u32_b32 v5, v96, 0
	v_bcnt_u32_b32 v5, v97, v5
	ds_write_b32 v183, v5
.LBB707_1020:                           ;   in Loop: Header=BB707_982 Depth=2
	s_or_b64 exec, exec, s[36:37]
	s_waitcnt vmcnt(13)
	v_xor_b32_e32 v67, 0x7fffffff, v67
	v_not_b32_e32 v66, v66
	v_lshrrev_b64 v[96:97], s84, v[66:67]
	v_and_b32_e32 v96, s68, v96
	v_mul_u32_u24_e32 v5, 5, v96
	v_add_lshl_u32 v5, v5, v181, 2
	; wave barrier
	v_add_u32_e32 v186, 0x410, v5
	ds_read_b32 v185, v5 offset:1040
	v_and_b32_e32 v5, 1, v96
	v_add_co_u32_e32 v97, vcc, -1, v5
	v_addc_co_u32_e64 v98, s[36:37], 0, -1, vcc
	v_cmp_ne_u32_e32 vcc, 0, v5
	v_xor_b32_e32 v5, vcc_hi, v98
	v_and_b32_e32 v98, exec_hi, v5
	v_lshlrev_b32_e32 v5, 30, v96
	v_xor_b32_e32 v97, vcc_lo, v97
	v_cmp_gt_i64_e32 vcc, 0, v[4:5]
	v_not_b32_e32 v5, v5
	v_ashrrev_i32_e32 v5, 31, v5
	v_and_b32_e32 v97, exec_lo, v97
	v_xor_b32_e32 v99, vcc_hi, v5
	v_xor_b32_e32 v5, vcc_lo, v5
	v_and_b32_e32 v97, v97, v5
	v_lshlrev_b32_e32 v5, 29, v96
	v_cmp_gt_i64_e32 vcc, 0, v[4:5]
	v_not_b32_e32 v5, v5
	v_ashrrev_i32_e32 v5, 31, v5
	v_and_b32_e32 v98, v98, v99
	v_xor_b32_e32 v99, vcc_hi, v5
	v_xor_b32_e32 v5, vcc_lo, v5
	v_and_b32_e32 v97, v97, v5
	v_lshlrev_b32_e32 v5, 28, v96
	v_cmp_gt_i64_e32 vcc, 0, v[4:5]
	v_not_b32_e32 v5, v5
	v_ashrrev_i32_e32 v5, 31, v5
	v_and_b32_e32 v98, v98, v99
	;; [unrolled: 8-line block ×5, first 2 shown]
	v_xor_b32_e32 v99, vcc_hi, v5
	v_xor_b32_e32 v5, vcc_lo, v5
	v_and_b32_e32 v98, v98, v99
	v_and_b32_e32 v99, v97, v5
	v_lshlrev_b32_e32 v5, 24, v96
	v_cmp_gt_i64_e32 vcc, 0, v[4:5]
	v_not_b32_e32 v5, v5
	v_ashrrev_i32_e32 v5, 31, v5
	v_xor_b32_e32 v96, vcc_hi, v5
	v_xor_b32_e32 v5, vcc_lo, v5
	v_and_b32_e32 v97, v98, v96
	v_and_b32_e32 v96, v99, v5
	v_mbcnt_lo_u32_b32 v5, v96, 0
	v_mbcnt_hi_u32_b32 v187, v97, v5
	v_cmp_eq_u32_e32 vcc, 0, v187
	v_cmp_ne_u64_e64 s[36:37], 0, v[96:97]
	s_and_b64 s[38:39], s[36:37], vcc
	; wave barrier
	s_and_saveexec_b64 s[36:37], s[38:39]
	s_cbranch_execz .LBB707_1022
; %bb.1021:                             ;   in Loop: Header=BB707_982 Depth=2
	v_bcnt_u32_b32 v5, v96, 0
	v_bcnt_u32_b32 v5, v97, v5
	s_waitcnt lgkmcnt(0)
	v_add_u32_e32 v5, v185, v5
	ds_write_b32 v186, v5
.LBB707_1022:                           ;   in Loop: Header=BB707_982 Depth=2
	s_or_b64 exec, exec, s[36:37]
	s_waitcnt vmcnt(12)
	v_xor_b32_e32 v75, 0x7fffffff, v75
	v_not_b32_e32 v74, v74
	v_lshrrev_b64 v[96:97], s84, v[74:75]
	v_and_b32_e32 v96, s68, v96
	v_mul_u32_u24_e32 v5, 5, v96
	v_add_lshl_u32 v5, v5, v181, 2
	; wave barrier
	v_add_u32_e32 v189, 0x410, v5
	ds_read_b32 v188, v5 offset:1040
	v_and_b32_e32 v5, 1, v96
	v_add_co_u32_e32 v97, vcc, -1, v5
	v_addc_co_u32_e64 v98, s[36:37], 0, -1, vcc
	v_cmp_ne_u32_e32 vcc, 0, v5
	v_xor_b32_e32 v5, vcc_hi, v98
	v_and_b32_e32 v98, exec_hi, v5
	v_lshlrev_b32_e32 v5, 30, v96
	v_xor_b32_e32 v97, vcc_lo, v97
	v_cmp_gt_i64_e32 vcc, 0, v[4:5]
	v_not_b32_e32 v5, v5
	v_ashrrev_i32_e32 v5, 31, v5
	v_and_b32_e32 v97, exec_lo, v97
	v_xor_b32_e32 v99, vcc_hi, v5
	v_xor_b32_e32 v5, vcc_lo, v5
	v_and_b32_e32 v97, v97, v5
	v_lshlrev_b32_e32 v5, 29, v96
	v_cmp_gt_i64_e32 vcc, 0, v[4:5]
	v_not_b32_e32 v5, v5
	v_ashrrev_i32_e32 v5, 31, v5
	v_and_b32_e32 v98, v98, v99
	v_xor_b32_e32 v99, vcc_hi, v5
	v_xor_b32_e32 v5, vcc_lo, v5
	v_and_b32_e32 v97, v97, v5
	v_lshlrev_b32_e32 v5, 28, v96
	v_cmp_gt_i64_e32 vcc, 0, v[4:5]
	v_not_b32_e32 v5, v5
	v_ashrrev_i32_e32 v5, 31, v5
	v_and_b32_e32 v98, v98, v99
	;; [unrolled: 8-line block ×5, first 2 shown]
	v_xor_b32_e32 v99, vcc_hi, v5
	v_xor_b32_e32 v5, vcc_lo, v5
	v_and_b32_e32 v98, v98, v99
	v_and_b32_e32 v99, v97, v5
	v_lshlrev_b32_e32 v5, 24, v96
	v_cmp_gt_i64_e32 vcc, 0, v[4:5]
	v_not_b32_e32 v5, v5
	v_ashrrev_i32_e32 v5, 31, v5
	v_xor_b32_e32 v96, vcc_hi, v5
	v_xor_b32_e32 v5, vcc_lo, v5
	v_and_b32_e32 v97, v98, v96
	v_and_b32_e32 v96, v99, v5
	v_mbcnt_lo_u32_b32 v5, v96, 0
	v_mbcnt_hi_u32_b32 v190, v97, v5
	v_cmp_eq_u32_e32 vcc, 0, v190
	v_cmp_ne_u64_e64 s[36:37], 0, v[96:97]
	s_and_b64 s[38:39], s[36:37], vcc
	; wave barrier
	s_and_saveexec_b64 s[36:37], s[38:39]
	s_cbranch_execz .LBB707_1024
; %bb.1023:                             ;   in Loop: Header=BB707_982 Depth=2
	v_bcnt_u32_b32 v5, v96, 0
	v_bcnt_u32_b32 v5, v97, v5
	s_waitcnt lgkmcnt(0)
	v_add_u32_e32 v5, v188, v5
	ds_write_b32 v189, v5
.LBB707_1024:                           ;   in Loop: Header=BB707_982 Depth=2
	s_or_b64 exec, exec, s[36:37]
	s_waitcnt vmcnt(11)
	v_xor_b32_e32 v79, 0x7fffffff, v79
	v_not_b32_e32 v78, v78
	v_lshrrev_b64 v[96:97], s84, v[78:79]
	v_and_b32_e32 v96, s68, v96
	v_mul_u32_u24_e32 v5, 5, v96
	v_add_lshl_u32 v5, v5, v181, 2
	; wave barrier
	v_add_u32_e32 v192, 0x410, v5
	ds_read_b32 v191, v5 offset:1040
	v_and_b32_e32 v5, 1, v96
	v_add_co_u32_e32 v97, vcc, -1, v5
	v_addc_co_u32_e64 v98, s[36:37], 0, -1, vcc
	v_cmp_ne_u32_e32 vcc, 0, v5
	v_xor_b32_e32 v5, vcc_hi, v98
	v_and_b32_e32 v98, exec_hi, v5
	v_lshlrev_b32_e32 v5, 30, v96
	v_xor_b32_e32 v97, vcc_lo, v97
	v_cmp_gt_i64_e32 vcc, 0, v[4:5]
	v_not_b32_e32 v5, v5
	v_ashrrev_i32_e32 v5, 31, v5
	v_and_b32_e32 v97, exec_lo, v97
	v_xor_b32_e32 v99, vcc_hi, v5
	v_xor_b32_e32 v5, vcc_lo, v5
	v_and_b32_e32 v97, v97, v5
	v_lshlrev_b32_e32 v5, 29, v96
	v_cmp_gt_i64_e32 vcc, 0, v[4:5]
	v_not_b32_e32 v5, v5
	v_ashrrev_i32_e32 v5, 31, v5
	v_and_b32_e32 v98, v98, v99
	v_xor_b32_e32 v99, vcc_hi, v5
	v_xor_b32_e32 v5, vcc_lo, v5
	v_and_b32_e32 v97, v97, v5
	v_lshlrev_b32_e32 v5, 28, v96
	v_cmp_gt_i64_e32 vcc, 0, v[4:5]
	v_not_b32_e32 v5, v5
	v_ashrrev_i32_e32 v5, 31, v5
	v_and_b32_e32 v98, v98, v99
	;; [unrolled: 8-line block ×5, first 2 shown]
	v_xor_b32_e32 v99, vcc_hi, v5
	v_xor_b32_e32 v5, vcc_lo, v5
	v_and_b32_e32 v98, v98, v99
	v_and_b32_e32 v99, v97, v5
	v_lshlrev_b32_e32 v5, 24, v96
	v_cmp_gt_i64_e32 vcc, 0, v[4:5]
	v_not_b32_e32 v5, v5
	v_ashrrev_i32_e32 v5, 31, v5
	v_xor_b32_e32 v96, vcc_hi, v5
	v_xor_b32_e32 v5, vcc_lo, v5
	v_and_b32_e32 v97, v98, v96
	v_and_b32_e32 v96, v99, v5
	v_mbcnt_lo_u32_b32 v5, v96, 0
	v_mbcnt_hi_u32_b32 v193, v97, v5
	v_cmp_eq_u32_e32 vcc, 0, v193
	v_cmp_ne_u64_e64 s[36:37], 0, v[96:97]
	s_and_b64 s[38:39], s[36:37], vcc
	; wave barrier
	s_and_saveexec_b64 s[36:37], s[38:39]
	s_cbranch_execz .LBB707_1026
; %bb.1025:                             ;   in Loop: Header=BB707_982 Depth=2
	v_bcnt_u32_b32 v5, v96, 0
	v_bcnt_u32_b32 v5, v97, v5
	s_waitcnt lgkmcnt(0)
	v_add_u32_e32 v5, v191, v5
	ds_write_b32 v192, v5
.LBB707_1026:                           ;   in Loop: Header=BB707_982 Depth=2
	s_or_b64 exec, exec, s[36:37]
	s_waitcnt vmcnt(10)
	v_xor_b32_e32 v83, 0x7fffffff, v83
	v_not_b32_e32 v82, v82
	v_lshrrev_b64 v[96:97], s84, v[82:83]
	v_and_b32_e32 v96, s68, v96
	v_mul_u32_u24_e32 v5, 5, v96
	v_add_lshl_u32 v5, v5, v181, 2
	; wave barrier
	v_add_u32_e32 v195, 0x410, v5
	ds_read_b32 v194, v5 offset:1040
	v_and_b32_e32 v5, 1, v96
	v_add_co_u32_e32 v97, vcc, -1, v5
	v_addc_co_u32_e64 v98, s[36:37], 0, -1, vcc
	v_cmp_ne_u32_e32 vcc, 0, v5
	v_xor_b32_e32 v5, vcc_hi, v98
	v_and_b32_e32 v98, exec_hi, v5
	v_lshlrev_b32_e32 v5, 30, v96
	v_xor_b32_e32 v97, vcc_lo, v97
	v_cmp_gt_i64_e32 vcc, 0, v[4:5]
	v_not_b32_e32 v5, v5
	v_ashrrev_i32_e32 v5, 31, v5
	v_and_b32_e32 v97, exec_lo, v97
	v_xor_b32_e32 v99, vcc_hi, v5
	v_xor_b32_e32 v5, vcc_lo, v5
	v_and_b32_e32 v97, v97, v5
	v_lshlrev_b32_e32 v5, 29, v96
	v_cmp_gt_i64_e32 vcc, 0, v[4:5]
	v_not_b32_e32 v5, v5
	v_ashrrev_i32_e32 v5, 31, v5
	v_and_b32_e32 v98, v98, v99
	v_xor_b32_e32 v99, vcc_hi, v5
	v_xor_b32_e32 v5, vcc_lo, v5
	v_and_b32_e32 v97, v97, v5
	v_lshlrev_b32_e32 v5, 28, v96
	v_cmp_gt_i64_e32 vcc, 0, v[4:5]
	v_not_b32_e32 v5, v5
	v_ashrrev_i32_e32 v5, 31, v5
	v_and_b32_e32 v98, v98, v99
	;; [unrolled: 8-line block ×5, first 2 shown]
	v_xor_b32_e32 v99, vcc_hi, v5
	v_xor_b32_e32 v5, vcc_lo, v5
	v_and_b32_e32 v98, v98, v99
	v_and_b32_e32 v99, v97, v5
	v_lshlrev_b32_e32 v5, 24, v96
	v_cmp_gt_i64_e32 vcc, 0, v[4:5]
	v_not_b32_e32 v5, v5
	v_ashrrev_i32_e32 v5, 31, v5
	v_xor_b32_e32 v96, vcc_hi, v5
	v_xor_b32_e32 v5, vcc_lo, v5
	v_and_b32_e32 v97, v98, v96
	v_and_b32_e32 v96, v99, v5
	v_mbcnt_lo_u32_b32 v5, v96, 0
	v_mbcnt_hi_u32_b32 v196, v97, v5
	v_cmp_eq_u32_e32 vcc, 0, v196
	v_cmp_ne_u64_e64 s[36:37], 0, v[96:97]
	s_and_b64 s[38:39], s[36:37], vcc
	; wave barrier
	s_and_saveexec_b64 s[36:37], s[38:39]
	s_cbranch_execz .LBB707_1028
; %bb.1027:                             ;   in Loop: Header=BB707_982 Depth=2
	v_bcnt_u32_b32 v5, v96, 0
	v_bcnt_u32_b32 v5, v97, v5
	s_waitcnt lgkmcnt(0)
	v_add_u32_e32 v5, v194, v5
	ds_write_b32 v195, v5
.LBB707_1028:                           ;   in Loop: Header=BB707_982 Depth=2
	s_or_b64 exec, exec, s[36:37]
	s_waitcnt vmcnt(9)
	v_xor_b32_e32 v87, 0x7fffffff, v87
	v_not_b32_e32 v86, v86
	v_lshrrev_b64 v[96:97], s84, v[86:87]
	v_and_b32_e32 v96, s68, v96
	v_mul_u32_u24_e32 v5, 5, v96
	v_add_lshl_u32 v5, v5, v181, 2
	; wave barrier
	v_add_u32_e32 v198, 0x410, v5
	ds_read_b32 v197, v5 offset:1040
	v_and_b32_e32 v5, 1, v96
	v_add_co_u32_e32 v97, vcc, -1, v5
	v_addc_co_u32_e64 v98, s[36:37], 0, -1, vcc
	v_cmp_ne_u32_e32 vcc, 0, v5
	v_xor_b32_e32 v5, vcc_hi, v98
	v_and_b32_e32 v98, exec_hi, v5
	v_lshlrev_b32_e32 v5, 30, v96
	v_xor_b32_e32 v97, vcc_lo, v97
	v_cmp_gt_i64_e32 vcc, 0, v[4:5]
	v_not_b32_e32 v5, v5
	v_ashrrev_i32_e32 v5, 31, v5
	v_and_b32_e32 v97, exec_lo, v97
	v_xor_b32_e32 v99, vcc_hi, v5
	v_xor_b32_e32 v5, vcc_lo, v5
	v_and_b32_e32 v97, v97, v5
	v_lshlrev_b32_e32 v5, 29, v96
	v_cmp_gt_i64_e32 vcc, 0, v[4:5]
	v_not_b32_e32 v5, v5
	v_ashrrev_i32_e32 v5, 31, v5
	v_and_b32_e32 v98, v98, v99
	v_xor_b32_e32 v99, vcc_hi, v5
	v_xor_b32_e32 v5, vcc_lo, v5
	v_and_b32_e32 v97, v97, v5
	v_lshlrev_b32_e32 v5, 28, v96
	v_cmp_gt_i64_e32 vcc, 0, v[4:5]
	v_not_b32_e32 v5, v5
	v_ashrrev_i32_e32 v5, 31, v5
	v_and_b32_e32 v98, v98, v99
	;; [unrolled: 8-line block ×5, first 2 shown]
	v_xor_b32_e32 v99, vcc_hi, v5
	v_xor_b32_e32 v5, vcc_lo, v5
	v_and_b32_e32 v98, v98, v99
	v_and_b32_e32 v99, v97, v5
	v_lshlrev_b32_e32 v5, 24, v96
	v_cmp_gt_i64_e32 vcc, 0, v[4:5]
	v_not_b32_e32 v5, v5
	v_ashrrev_i32_e32 v5, 31, v5
	v_xor_b32_e32 v96, vcc_hi, v5
	v_xor_b32_e32 v5, vcc_lo, v5
	v_and_b32_e32 v97, v98, v96
	v_and_b32_e32 v96, v99, v5
	v_mbcnt_lo_u32_b32 v5, v96, 0
	v_mbcnt_hi_u32_b32 v199, v97, v5
	v_cmp_eq_u32_e32 vcc, 0, v199
	v_cmp_ne_u64_e64 s[36:37], 0, v[96:97]
	s_and_b64 s[38:39], s[36:37], vcc
	; wave barrier
	s_and_saveexec_b64 s[36:37], s[38:39]
	s_cbranch_execz .LBB707_1030
; %bb.1029:                             ;   in Loop: Header=BB707_982 Depth=2
	v_bcnt_u32_b32 v5, v96, 0
	v_bcnt_u32_b32 v5, v97, v5
	s_waitcnt lgkmcnt(0)
	v_add_u32_e32 v5, v197, v5
	ds_write_b32 v198, v5
.LBB707_1030:                           ;   in Loop: Header=BB707_982 Depth=2
	s_or_b64 exec, exec, s[36:37]
	s_waitcnt vmcnt(8)
	v_xor_b32_e32 v91, 0x7fffffff, v91
	v_not_b32_e32 v90, v90
	v_lshrrev_b64 v[96:97], s84, v[90:91]
	v_and_b32_e32 v96, s68, v96
	v_mul_u32_u24_e32 v5, 5, v96
	v_add_lshl_u32 v5, v5, v181, 2
	; wave barrier
	v_add_u32_e32 v201, 0x410, v5
	ds_read_b32 v200, v5 offset:1040
	v_and_b32_e32 v5, 1, v96
	v_add_co_u32_e32 v97, vcc, -1, v5
	v_addc_co_u32_e64 v98, s[36:37], 0, -1, vcc
	v_cmp_ne_u32_e32 vcc, 0, v5
	v_xor_b32_e32 v5, vcc_hi, v98
	v_and_b32_e32 v98, exec_hi, v5
	v_lshlrev_b32_e32 v5, 30, v96
	v_xor_b32_e32 v97, vcc_lo, v97
	v_cmp_gt_i64_e32 vcc, 0, v[4:5]
	v_not_b32_e32 v5, v5
	v_ashrrev_i32_e32 v5, 31, v5
	v_and_b32_e32 v97, exec_lo, v97
	v_xor_b32_e32 v99, vcc_hi, v5
	v_xor_b32_e32 v5, vcc_lo, v5
	v_and_b32_e32 v97, v97, v5
	v_lshlrev_b32_e32 v5, 29, v96
	v_cmp_gt_i64_e32 vcc, 0, v[4:5]
	v_not_b32_e32 v5, v5
	v_ashrrev_i32_e32 v5, 31, v5
	v_and_b32_e32 v98, v98, v99
	v_xor_b32_e32 v99, vcc_hi, v5
	v_xor_b32_e32 v5, vcc_lo, v5
	v_and_b32_e32 v97, v97, v5
	v_lshlrev_b32_e32 v5, 28, v96
	v_cmp_gt_i64_e32 vcc, 0, v[4:5]
	v_not_b32_e32 v5, v5
	v_ashrrev_i32_e32 v5, 31, v5
	v_and_b32_e32 v98, v98, v99
	;; [unrolled: 8-line block ×5, first 2 shown]
	v_xor_b32_e32 v99, vcc_hi, v5
	v_xor_b32_e32 v5, vcc_lo, v5
	v_and_b32_e32 v98, v98, v99
	v_and_b32_e32 v99, v97, v5
	v_lshlrev_b32_e32 v5, 24, v96
	v_cmp_gt_i64_e32 vcc, 0, v[4:5]
	v_not_b32_e32 v5, v5
	v_ashrrev_i32_e32 v5, 31, v5
	v_xor_b32_e32 v96, vcc_hi, v5
	v_xor_b32_e32 v5, vcc_lo, v5
	v_and_b32_e32 v97, v98, v96
	v_and_b32_e32 v96, v99, v5
	v_mbcnt_lo_u32_b32 v5, v96, 0
	v_mbcnt_hi_u32_b32 v202, v97, v5
	v_cmp_eq_u32_e32 vcc, 0, v202
	v_cmp_ne_u64_e64 s[36:37], 0, v[96:97]
	s_and_b64 s[38:39], s[36:37], vcc
	; wave barrier
	s_and_saveexec_b64 s[36:37], s[38:39]
	s_cbranch_execz .LBB707_1032
; %bb.1031:                             ;   in Loop: Header=BB707_982 Depth=2
	v_bcnt_u32_b32 v5, v96, 0
	v_bcnt_u32_b32 v5, v97, v5
	s_waitcnt lgkmcnt(0)
	v_add_u32_e32 v5, v200, v5
	ds_write_b32 v201, v5
.LBB707_1032:                           ;   in Loop: Header=BB707_982 Depth=2
	s_or_b64 exec, exec, s[36:37]
	s_waitcnt vmcnt(7)
	v_xor_b32_e32 v95, 0x7fffffff, v95
	v_not_b32_e32 v94, v94
	v_lshrrev_b64 v[96:97], s84, v[94:95]
	v_and_b32_e32 v96, s68, v96
	v_mul_u32_u24_e32 v5, 5, v96
	v_add_lshl_u32 v5, v5, v181, 2
	; wave barrier
	v_add_u32_e32 v204, 0x410, v5
	ds_read_b32 v203, v5 offset:1040
	v_and_b32_e32 v5, 1, v96
	v_add_co_u32_e32 v97, vcc, -1, v5
	v_addc_co_u32_e64 v98, s[36:37], 0, -1, vcc
	v_cmp_ne_u32_e32 vcc, 0, v5
	v_xor_b32_e32 v5, vcc_hi, v98
	v_and_b32_e32 v98, exec_hi, v5
	v_lshlrev_b32_e32 v5, 30, v96
	v_xor_b32_e32 v97, vcc_lo, v97
	v_cmp_gt_i64_e32 vcc, 0, v[4:5]
	v_not_b32_e32 v5, v5
	v_ashrrev_i32_e32 v5, 31, v5
	v_and_b32_e32 v97, exec_lo, v97
	v_xor_b32_e32 v99, vcc_hi, v5
	v_xor_b32_e32 v5, vcc_lo, v5
	v_and_b32_e32 v97, v97, v5
	v_lshlrev_b32_e32 v5, 29, v96
	v_cmp_gt_i64_e32 vcc, 0, v[4:5]
	v_not_b32_e32 v5, v5
	v_ashrrev_i32_e32 v5, 31, v5
	v_and_b32_e32 v98, v98, v99
	v_xor_b32_e32 v99, vcc_hi, v5
	v_xor_b32_e32 v5, vcc_lo, v5
	v_and_b32_e32 v97, v97, v5
	v_lshlrev_b32_e32 v5, 28, v96
	v_cmp_gt_i64_e32 vcc, 0, v[4:5]
	v_not_b32_e32 v5, v5
	v_ashrrev_i32_e32 v5, 31, v5
	v_and_b32_e32 v98, v98, v99
	;; [unrolled: 8-line block ×5, first 2 shown]
	v_xor_b32_e32 v99, vcc_hi, v5
	v_xor_b32_e32 v5, vcc_lo, v5
	v_and_b32_e32 v98, v98, v99
	v_and_b32_e32 v99, v97, v5
	v_lshlrev_b32_e32 v5, 24, v96
	v_cmp_gt_i64_e32 vcc, 0, v[4:5]
	v_not_b32_e32 v5, v5
	v_ashrrev_i32_e32 v5, 31, v5
	v_xor_b32_e32 v96, vcc_hi, v5
	v_xor_b32_e32 v5, vcc_lo, v5
	v_and_b32_e32 v97, v98, v96
	v_and_b32_e32 v96, v99, v5
	v_mbcnt_lo_u32_b32 v5, v96, 0
	v_mbcnt_hi_u32_b32 v205, v97, v5
	v_cmp_eq_u32_e32 vcc, 0, v205
	v_cmp_ne_u64_e64 s[36:37], 0, v[96:97]
	s_and_b64 s[38:39], s[36:37], vcc
	; wave barrier
	s_and_saveexec_b64 s[36:37], s[38:39]
	s_cbranch_execz .LBB707_1034
; %bb.1033:                             ;   in Loop: Header=BB707_982 Depth=2
	v_bcnt_u32_b32 v5, v96, 0
	v_bcnt_u32_b32 v5, v97, v5
	s_waitcnt lgkmcnt(0)
	v_add_u32_e32 v5, v203, v5
	ds_write_b32 v204, v5
.LBB707_1034:                           ;   in Loop: Header=BB707_982 Depth=2
	s_or_b64 exec, exec, s[36:37]
	s_waitcnt vmcnt(6)
	v_xor_b32_e32 v93, 0x7fffffff, v93
	v_not_b32_e32 v92, v92
	v_lshrrev_b64 v[96:97], s84, v[92:93]
	v_and_b32_e32 v96, s68, v96
	v_mul_u32_u24_e32 v5, 5, v96
	v_add_lshl_u32 v5, v5, v181, 2
	; wave barrier
	v_add_u32_e32 v207, 0x410, v5
	ds_read_b32 v206, v5 offset:1040
	v_and_b32_e32 v5, 1, v96
	v_add_co_u32_e32 v97, vcc, -1, v5
	v_addc_co_u32_e64 v98, s[36:37], 0, -1, vcc
	v_cmp_ne_u32_e32 vcc, 0, v5
	v_xor_b32_e32 v5, vcc_hi, v98
	v_and_b32_e32 v98, exec_hi, v5
	v_lshlrev_b32_e32 v5, 30, v96
	v_xor_b32_e32 v97, vcc_lo, v97
	v_cmp_gt_i64_e32 vcc, 0, v[4:5]
	v_not_b32_e32 v5, v5
	v_ashrrev_i32_e32 v5, 31, v5
	v_and_b32_e32 v97, exec_lo, v97
	v_xor_b32_e32 v99, vcc_hi, v5
	v_xor_b32_e32 v5, vcc_lo, v5
	v_and_b32_e32 v97, v97, v5
	v_lshlrev_b32_e32 v5, 29, v96
	v_cmp_gt_i64_e32 vcc, 0, v[4:5]
	v_not_b32_e32 v5, v5
	v_ashrrev_i32_e32 v5, 31, v5
	v_and_b32_e32 v98, v98, v99
	v_xor_b32_e32 v99, vcc_hi, v5
	v_xor_b32_e32 v5, vcc_lo, v5
	v_and_b32_e32 v97, v97, v5
	v_lshlrev_b32_e32 v5, 28, v96
	v_cmp_gt_i64_e32 vcc, 0, v[4:5]
	v_not_b32_e32 v5, v5
	v_ashrrev_i32_e32 v5, 31, v5
	v_and_b32_e32 v98, v98, v99
	;; [unrolled: 8-line block ×5, first 2 shown]
	v_xor_b32_e32 v99, vcc_hi, v5
	v_xor_b32_e32 v5, vcc_lo, v5
	v_and_b32_e32 v98, v98, v99
	v_and_b32_e32 v99, v97, v5
	v_lshlrev_b32_e32 v5, 24, v96
	v_cmp_gt_i64_e32 vcc, 0, v[4:5]
	v_not_b32_e32 v5, v5
	v_ashrrev_i32_e32 v5, 31, v5
	v_xor_b32_e32 v96, vcc_hi, v5
	v_xor_b32_e32 v5, vcc_lo, v5
	v_and_b32_e32 v97, v98, v96
	v_and_b32_e32 v96, v99, v5
	v_mbcnt_lo_u32_b32 v5, v96, 0
	v_mbcnt_hi_u32_b32 v208, v97, v5
	v_cmp_eq_u32_e32 vcc, 0, v208
	v_cmp_ne_u64_e64 s[36:37], 0, v[96:97]
	s_and_b64 s[38:39], s[36:37], vcc
	; wave barrier
	s_and_saveexec_b64 s[36:37], s[38:39]
	s_cbranch_execz .LBB707_1036
; %bb.1035:                             ;   in Loop: Header=BB707_982 Depth=2
	v_bcnt_u32_b32 v5, v96, 0
	v_bcnt_u32_b32 v5, v97, v5
	s_waitcnt lgkmcnt(0)
	v_add_u32_e32 v5, v206, v5
	ds_write_b32 v207, v5
.LBB707_1036:                           ;   in Loop: Header=BB707_982 Depth=2
	s_or_b64 exec, exec, s[36:37]
	s_waitcnt vmcnt(5)
	v_xor_b32_e32 v89, 0x7fffffff, v89
	v_not_b32_e32 v88, v88
	v_lshrrev_b64 v[96:97], s84, v[88:89]
	v_and_b32_e32 v96, s68, v96
	v_mul_u32_u24_e32 v5, 5, v96
	v_add_lshl_u32 v5, v5, v181, 2
	; wave barrier
	v_add_u32_e32 v210, 0x410, v5
	ds_read_b32 v209, v5 offset:1040
	v_and_b32_e32 v5, 1, v96
	v_add_co_u32_e32 v97, vcc, -1, v5
	v_addc_co_u32_e64 v98, s[36:37], 0, -1, vcc
	v_cmp_ne_u32_e32 vcc, 0, v5
	v_xor_b32_e32 v5, vcc_hi, v98
	v_and_b32_e32 v98, exec_hi, v5
	v_lshlrev_b32_e32 v5, 30, v96
	v_xor_b32_e32 v97, vcc_lo, v97
	v_cmp_gt_i64_e32 vcc, 0, v[4:5]
	v_not_b32_e32 v5, v5
	v_ashrrev_i32_e32 v5, 31, v5
	v_and_b32_e32 v97, exec_lo, v97
	v_xor_b32_e32 v99, vcc_hi, v5
	v_xor_b32_e32 v5, vcc_lo, v5
	v_and_b32_e32 v97, v97, v5
	v_lshlrev_b32_e32 v5, 29, v96
	v_cmp_gt_i64_e32 vcc, 0, v[4:5]
	v_not_b32_e32 v5, v5
	v_ashrrev_i32_e32 v5, 31, v5
	v_and_b32_e32 v98, v98, v99
	v_xor_b32_e32 v99, vcc_hi, v5
	v_xor_b32_e32 v5, vcc_lo, v5
	v_and_b32_e32 v97, v97, v5
	v_lshlrev_b32_e32 v5, 28, v96
	v_cmp_gt_i64_e32 vcc, 0, v[4:5]
	v_not_b32_e32 v5, v5
	v_ashrrev_i32_e32 v5, 31, v5
	v_and_b32_e32 v98, v98, v99
	;; [unrolled: 8-line block ×5, first 2 shown]
	v_xor_b32_e32 v99, vcc_hi, v5
	v_xor_b32_e32 v5, vcc_lo, v5
	v_and_b32_e32 v98, v98, v99
	v_and_b32_e32 v99, v97, v5
	v_lshlrev_b32_e32 v5, 24, v96
	v_cmp_gt_i64_e32 vcc, 0, v[4:5]
	v_not_b32_e32 v5, v5
	v_ashrrev_i32_e32 v5, 31, v5
	v_xor_b32_e32 v96, vcc_hi, v5
	v_xor_b32_e32 v5, vcc_lo, v5
	v_and_b32_e32 v97, v98, v96
	v_and_b32_e32 v96, v99, v5
	v_mbcnt_lo_u32_b32 v5, v96, 0
	v_mbcnt_hi_u32_b32 v211, v97, v5
	v_cmp_eq_u32_e32 vcc, 0, v211
	v_cmp_ne_u64_e64 s[36:37], 0, v[96:97]
	s_and_b64 s[38:39], s[36:37], vcc
	; wave barrier
	s_and_saveexec_b64 s[36:37], s[38:39]
	s_cbranch_execz .LBB707_1038
; %bb.1037:                             ;   in Loop: Header=BB707_982 Depth=2
	v_bcnt_u32_b32 v5, v96, 0
	v_bcnt_u32_b32 v5, v97, v5
	s_waitcnt lgkmcnt(0)
	v_add_u32_e32 v5, v209, v5
	ds_write_b32 v210, v5
.LBB707_1038:                           ;   in Loop: Header=BB707_982 Depth=2
	s_or_b64 exec, exec, s[36:37]
	s_waitcnt vmcnt(4)
	v_xor_b32_e32 v85, 0x7fffffff, v85
	v_not_b32_e32 v84, v84
	v_lshrrev_b64 v[96:97], s84, v[84:85]
	v_and_b32_e32 v96, s68, v96
	v_mul_u32_u24_e32 v5, 5, v96
	v_add_lshl_u32 v5, v5, v181, 2
	; wave barrier
	v_add_u32_e32 v213, 0x410, v5
	ds_read_b32 v212, v5 offset:1040
	v_and_b32_e32 v5, 1, v96
	v_add_co_u32_e32 v97, vcc, -1, v5
	v_addc_co_u32_e64 v98, s[36:37], 0, -1, vcc
	v_cmp_ne_u32_e32 vcc, 0, v5
	v_xor_b32_e32 v5, vcc_hi, v98
	v_and_b32_e32 v98, exec_hi, v5
	v_lshlrev_b32_e32 v5, 30, v96
	v_xor_b32_e32 v97, vcc_lo, v97
	v_cmp_gt_i64_e32 vcc, 0, v[4:5]
	v_not_b32_e32 v5, v5
	v_ashrrev_i32_e32 v5, 31, v5
	v_and_b32_e32 v97, exec_lo, v97
	v_xor_b32_e32 v99, vcc_hi, v5
	v_xor_b32_e32 v5, vcc_lo, v5
	v_and_b32_e32 v97, v97, v5
	v_lshlrev_b32_e32 v5, 29, v96
	v_cmp_gt_i64_e32 vcc, 0, v[4:5]
	v_not_b32_e32 v5, v5
	v_ashrrev_i32_e32 v5, 31, v5
	v_and_b32_e32 v98, v98, v99
	v_xor_b32_e32 v99, vcc_hi, v5
	v_xor_b32_e32 v5, vcc_lo, v5
	v_and_b32_e32 v97, v97, v5
	v_lshlrev_b32_e32 v5, 28, v96
	v_cmp_gt_i64_e32 vcc, 0, v[4:5]
	v_not_b32_e32 v5, v5
	v_ashrrev_i32_e32 v5, 31, v5
	v_and_b32_e32 v98, v98, v99
	;; [unrolled: 8-line block ×5, first 2 shown]
	v_xor_b32_e32 v99, vcc_hi, v5
	v_xor_b32_e32 v5, vcc_lo, v5
	v_and_b32_e32 v98, v98, v99
	v_and_b32_e32 v99, v97, v5
	v_lshlrev_b32_e32 v5, 24, v96
	v_cmp_gt_i64_e32 vcc, 0, v[4:5]
	v_not_b32_e32 v5, v5
	v_ashrrev_i32_e32 v5, 31, v5
	v_xor_b32_e32 v96, vcc_hi, v5
	v_xor_b32_e32 v5, vcc_lo, v5
	v_and_b32_e32 v97, v98, v96
	v_and_b32_e32 v96, v99, v5
	v_mbcnt_lo_u32_b32 v5, v96, 0
	v_mbcnt_hi_u32_b32 v214, v97, v5
	v_cmp_eq_u32_e32 vcc, 0, v214
	v_cmp_ne_u64_e64 s[36:37], 0, v[96:97]
	s_and_b64 s[38:39], s[36:37], vcc
	; wave barrier
	s_and_saveexec_b64 s[36:37], s[38:39]
	s_cbranch_execz .LBB707_1040
; %bb.1039:                             ;   in Loop: Header=BB707_982 Depth=2
	v_bcnt_u32_b32 v5, v96, 0
	v_bcnt_u32_b32 v5, v97, v5
	s_waitcnt lgkmcnt(0)
	v_add_u32_e32 v5, v212, v5
	ds_write_b32 v213, v5
.LBB707_1040:                           ;   in Loop: Header=BB707_982 Depth=2
	s_or_b64 exec, exec, s[36:37]
	s_waitcnt vmcnt(3)
	v_xor_b32_e32 v81, 0x7fffffff, v81
	v_not_b32_e32 v80, v80
	v_lshrrev_b64 v[96:97], s84, v[80:81]
	v_and_b32_e32 v96, s68, v96
	v_mul_u32_u24_e32 v5, 5, v96
	v_add_lshl_u32 v5, v5, v181, 2
	; wave barrier
	v_add_u32_e32 v216, 0x410, v5
	ds_read_b32 v215, v5 offset:1040
	v_and_b32_e32 v5, 1, v96
	v_add_co_u32_e32 v97, vcc, -1, v5
	v_addc_co_u32_e64 v98, s[36:37], 0, -1, vcc
	v_cmp_ne_u32_e32 vcc, 0, v5
	v_xor_b32_e32 v5, vcc_hi, v98
	v_and_b32_e32 v98, exec_hi, v5
	v_lshlrev_b32_e32 v5, 30, v96
	v_xor_b32_e32 v97, vcc_lo, v97
	v_cmp_gt_i64_e32 vcc, 0, v[4:5]
	v_not_b32_e32 v5, v5
	v_ashrrev_i32_e32 v5, 31, v5
	v_and_b32_e32 v97, exec_lo, v97
	v_xor_b32_e32 v99, vcc_hi, v5
	v_xor_b32_e32 v5, vcc_lo, v5
	v_and_b32_e32 v97, v97, v5
	v_lshlrev_b32_e32 v5, 29, v96
	v_cmp_gt_i64_e32 vcc, 0, v[4:5]
	v_not_b32_e32 v5, v5
	v_ashrrev_i32_e32 v5, 31, v5
	v_and_b32_e32 v98, v98, v99
	v_xor_b32_e32 v99, vcc_hi, v5
	v_xor_b32_e32 v5, vcc_lo, v5
	v_and_b32_e32 v97, v97, v5
	v_lshlrev_b32_e32 v5, 28, v96
	v_cmp_gt_i64_e32 vcc, 0, v[4:5]
	v_not_b32_e32 v5, v5
	v_ashrrev_i32_e32 v5, 31, v5
	v_and_b32_e32 v98, v98, v99
	;; [unrolled: 8-line block ×5, first 2 shown]
	v_xor_b32_e32 v99, vcc_hi, v5
	v_xor_b32_e32 v5, vcc_lo, v5
	v_and_b32_e32 v98, v98, v99
	v_and_b32_e32 v99, v97, v5
	v_lshlrev_b32_e32 v5, 24, v96
	v_cmp_gt_i64_e32 vcc, 0, v[4:5]
	v_not_b32_e32 v5, v5
	v_ashrrev_i32_e32 v5, 31, v5
	v_xor_b32_e32 v96, vcc_hi, v5
	v_xor_b32_e32 v5, vcc_lo, v5
	v_and_b32_e32 v97, v98, v96
	v_and_b32_e32 v96, v99, v5
	v_mbcnt_lo_u32_b32 v5, v96, 0
	v_mbcnt_hi_u32_b32 v217, v97, v5
	v_cmp_eq_u32_e32 vcc, 0, v217
	v_cmp_ne_u64_e64 s[36:37], 0, v[96:97]
	s_and_b64 s[38:39], s[36:37], vcc
	; wave barrier
	s_and_saveexec_b64 s[36:37], s[38:39]
	s_cbranch_execz .LBB707_1042
; %bb.1041:                             ;   in Loop: Header=BB707_982 Depth=2
	v_bcnt_u32_b32 v5, v96, 0
	v_bcnt_u32_b32 v5, v97, v5
	s_waitcnt lgkmcnt(0)
	v_add_u32_e32 v5, v215, v5
	ds_write_b32 v216, v5
.LBB707_1042:                           ;   in Loop: Header=BB707_982 Depth=2
	s_or_b64 exec, exec, s[36:37]
	s_waitcnt vmcnt(2)
	v_xor_b32_e32 v77, 0x7fffffff, v77
	v_not_b32_e32 v76, v76
	v_lshrrev_b64 v[96:97], s84, v[76:77]
	v_and_b32_e32 v96, s68, v96
	v_mul_u32_u24_e32 v5, 5, v96
	v_add_lshl_u32 v5, v5, v181, 2
	; wave barrier
	v_add_u32_e32 v219, 0x410, v5
	ds_read_b32 v218, v5 offset:1040
	v_and_b32_e32 v5, 1, v96
	v_add_co_u32_e32 v97, vcc, -1, v5
	v_addc_co_u32_e64 v98, s[36:37], 0, -1, vcc
	v_cmp_ne_u32_e32 vcc, 0, v5
	v_xor_b32_e32 v5, vcc_hi, v98
	v_and_b32_e32 v98, exec_hi, v5
	v_lshlrev_b32_e32 v5, 30, v96
	v_xor_b32_e32 v97, vcc_lo, v97
	v_cmp_gt_i64_e32 vcc, 0, v[4:5]
	v_not_b32_e32 v5, v5
	v_ashrrev_i32_e32 v5, 31, v5
	v_and_b32_e32 v97, exec_lo, v97
	v_xor_b32_e32 v99, vcc_hi, v5
	v_xor_b32_e32 v5, vcc_lo, v5
	v_and_b32_e32 v97, v97, v5
	v_lshlrev_b32_e32 v5, 29, v96
	v_cmp_gt_i64_e32 vcc, 0, v[4:5]
	v_not_b32_e32 v5, v5
	v_ashrrev_i32_e32 v5, 31, v5
	v_and_b32_e32 v98, v98, v99
	v_xor_b32_e32 v99, vcc_hi, v5
	v_xor_b32_e32 v5, vcc_lo, v5
	v_and_b32_e32 v97, v97, v5
	v_lshlrev_b32_e32 v5, 28, v96
	v_cmp_gt_i64_e32 vcc, 0, v[4:5]
	v_not_b32_e32 v5, v5
	v_ashrrev_i32_e32 v5, 31, v5
	v_and_b32_e32 v98, v98, v99
	;; [unrolled: 8-line block ×5, first 2 shown]
	v_xor_b32_e32 v99, vcc_hi, v5
	v_xor_b32_e32 v5, vcc_lo, v5
	v_and_b32_e32 v98, v98, v99
	v_and_b32_e32 v99, v97, v5
	v_lshlrev_b32_e32 v5, 24, v96
	v_cmp_gt_i64_e32 vcc, 0, v[4:5]
	v_not_b32_e32 v5, v5
	v_ashrrev_i32_e32 v5, 31, v5
	v_xor_b32_e32 v96, vcc_hi, v5
	v_xor_b32_e32 v5, vcc_lo, v5
	v_and_b32_e32 v97, v98, v96
	v_and_b32_e32 v96, v99, v5
	v_mbcnt_lo_u32_b32 v5, v96, 0
	v_mbcnt_hi_u32_b32 v220, v97, v5
	v_cmp_eq_u32_e32 vcc, 0, v220
	v_cmp_ne_u64_e64 s[36:37], 0, v[96:97]
	s_and_b64 s[38:39], s[36:37], vcc
	; wave barrier
	s_and_saveexec_b64 s[36:37], s[38:39]
	s_cbranch_execz .LBB707_1044
; %bb.1043:                             ;   in Loop: Header=BB707_982 Depth=2
	v_bcnt_u32_b32 v5, v96, 0
	v_bcnt_u32_b32 v5, v97, v5
	s_waitcnt lgkmcnt(0)
	v_add_u32_e32 v5, v218, v5
	ds_write_b32 v219, v5
.LBB707_1044:                           ;   in Loop: Header=BB707_982 Depth=2
	s_or_b64 exec, exec, s[36:37]
	s_waitcnt vmcnt(1)
	v_xor_b32_e32 v73, 0x7fffffff, v73
	v_not_b32_e32 v72, v72
	v_lshrrev_b64 v[96:97], s84, v[72:73]
	v_and_b32_e32 v96, s68, v96
	v_mul_u32_u24_e32 v5, 5, v96
	v_add_lshl_u32 v5, v5, v181, 2
	; wave barrier
	v_add_u32_e32 v222, 0x410, v5
	ds_read_b32 v221, v5 offset:1040
	v_and_b32_e32 v5, 1, v96
	v_add_co_u32_e32 v97, vcc, -1, v5
	v_addc_co_u32_e64 v98, s[36:37], 0, -1, vcc
	v_cmp_ne_u32_e32 vcc, 0, v5
	v_xor_b32_e32 v5, vcc_hi, v98
	v_and_b32_e32 v98, exec_hi, v5
	v_lshlrev_b32_e32 v5, 30, v96
	v_xor_b32_e32 v97, vcc_lo, v97
	v_cmp_gt_i64_e32 vcc, 0, v[4:5]
	v_not_b32_e32 v5, v5
	v_ashrrev_i32_e32 v5, 31, v5
	v_and_b32_e32 v97, exec_lo, v97
	v_xor_b32_e32 v99, vcc_hi, v5
	v_xor_b32_e32 v5, vcc_lo, v5
	v_and_b32_e32 v97, v97, v5
	v_lshlrev_b32_e32 v5, 29, v96
	v_cmp_gt_i64_e32 vcc, 0, v[4:5]
	v_not_b32_e32 v5, v5
	v_ashrrev_i32_e32 v5, 31, v5
	v_and_b32_e32 v98, v98, v99
	v_xor_b32_e32 v99, vcc_hi, v5
	v_xor_b32_e32 v5, vcc_lo, v5
	v_and_b32_e32 v97, v97, v5
	v_lshlrev_b32_e32 v5, 28, v96
	v_cmp_gt_i64_e32 vcc, 0, v[4:5]
	v_not_b32_e32 v5, v5
	v_ashrrev_i32_e32 v5, 31, v5
	v_and_b32_e32 v98, v98, v99
	;; [unrolled: 8-line block ×5, first 2 shown]
	v_xor_b32_e32 v99, vcc_hi, v5
	v_xor_b32_e32 v5, vcc_lo, v5
	v_and_b32_e32 v98, v98, v99
	v_and_b32_e32 v99, v97, v5
	v_lshlrev_b32_e32 v5, 24, v96
	v_cmp_gt_i64_e32 vcc, 0, v[4:5]
	v_not_b32_e32 v5, v5
	v_ashrrev_i32_e32 v5, 31, v5
	v_xor_b32_e32 v96, vcc_hi, v5
	v_xor_b32_e32 v5, vcc_lo, v5
	v_and_b32_e32 v97, v98, v96
	v_and_b32_e32 v96, v99, v5
	v_mbcnt_lo_u32_b32 v5, v96, 0
	v_mbcnt_hi_u32_b32 v223, v97, v5
	v_cmp_eq_u32_e32 vcc, 0, v223
	v_cmp_ne_u64_e64 s[36:37], 0, v[96:97]
	s_and_b64 s[38:39], s[36:37], vcc
	; wave barrier
	s_and_saveexec_b64 s[36:37], s[38:39]
	s_cbranch_execz .LBB707_1046
; %bb.1045:                             ;   in Loop: Header=BB707_982 Depth=2
	v_bcnt_u32_b32 v5, v96, 0
	v_bcnt_u32_b32 v5, v97, v5
	s_waitcnt lgkmcnt(0)
	v_add_u32_e32 v5, v221, v5
	ds_write_b32 v222, v5
.LBB707_1046:                           ;   in Loop: Header=BB707_982 Depth=2
	s_or_b64 exec, exec, s[36:37]
	s_waitcnt vmcnt(0)
	v_xor_b32_e32 v69, 0x7fffffff, v69
	v_not_b32_e32 v68, v68
	v_lshrrev_b64 v[96:97], s84, v[68:69]
	v_and_b32_e32 v96, s68, v96
	v_mul_u32_u24_e32 v5, 5, v96
	v_add_lshl_u32 v5, v5, v181, 2
	; wave barrier
	v_add_u32_e32 v225, 0x410, v5
	ds_read_b32 v224, v5 offset:1040
	v_and_b32_e32 v5, 1, v96
	v_add_co_u32_e32 v97, vcc, -1, v5
	v_addc_co_u32_e64 v98, s[36:37], 0, -1, vcc
	v_cmp_ne_u32_e32 vcc, 0, v5
	v_xor_b32_e32 v5, vcc_hi, v98
	v_and_b32_e32 v98, exec_hi, v5
	v_lshlrev_b32_e32 v5, 30, v96
	v_xor_b32_e32 v97, vcc_lo, v97
	v_cmp_gt_i64_e32 vcc, 0, v[4:5]
	v_not_b32_e32 v5, v5
	v_ashrrev_i32_e32 v5, 31, v5
	v_and_b32_e32 v97, exec_lo, v97
	v_xor_b32_e32 v99, vcc_hi, v5
	v_xor_b32_e32 v5, vcc_lo, v5
	v_and_b32_e32 v97, v97, v5
	v_lshlrev_b32_e32 v5, 29, v96
	v_cmp_gt_i64_e32 vcc, 0, v[4:5]
	v_not_b32_e32 v5, v5
	v_ashrrev_i32_e32 v5, 31, v5
	v_and_b32_e32 v98, v98, v99
	v_xor_b32_e32 v99, vcc_hi, v5
	v_xor_b32_e32 v5, vcc_lo, v5
	v_and_b32_e32 v97, v97, v5
	v_lshlrev_b32_e32 v5, 28, v96
	v_cmp_gt_i64_e32 vcc, 0, v[4:5]
	v_not_b32_e32 v5, v5
	v_ashrrev_i32_e32 v5, 31, v5
	v_and_b32_e32 v98, v98, v99
	;; [unrolled: 8-line block ×5, first 2 shown]
	v_xor_b32_e32 v99, vcc_hi, v5
	v_xor_b32_e32 v5, vcc_lo, v5
	v_and_b32_e32 v98, v98, v99
	v_and_b32_e32 v99, v97, v5
	v_lshlrev_b32_e32 v5, 24, v96
	v_cmp_gt_i64_e32 vcc, 0, v[4:5]
	v_not_b32_e32 v5, v5
	v_ashrrev_i32_e32 v5, 31, v5
	v_xor_b32_e32 v96, vcc_hi, v5
	v_xor_b32_e32 v5, vcc_lo, v5
	v_and_b32_e32 v97, v98, v96
	v_and_b32_e32 v96, v99, v5
	v_mbcnt_lo_u32_b32 v5, v96, 0
	v_mbcnt_hi_u32_b32 v226, v97, v5
	v_cmp_eq_u32_e32 vcc, 0, v226
	v_cmp_ne_u64_e64 s[36:37], 0, v[96:97]
	s_and_b64 s[38:39], s[36:37], vcc
	; wave barrier
	s_and_saveexec_b64 s[36:37], s[38:39]
	s_cbranch_execz .LBB707_1048
; %bb.1047:                             ;   in Loop: Header=BB707_982 Depth=2
	v_bcnt_u32_b32 v5, v96, 0
	v_bcnt_u32_b32 v5, v97, v5
	s_waitcnt lgkmcnt(0)
	v_add_u32_e32 v5, v224, v5
	ds_write_b32 v225, v5
.LBB707_1048:                           ;   in Loop: Header=BB707_982 Depth=2
	s_or_b64 exec, exec, s[36:37]
	v_xor_b32_e32 v71, 0x7fffffff, v71
	v_not_b32_e32 v70, v70
	v_lshrrev_b64 v[96:97], s84, v[70:71]
	v_and_b32_e32 v96, s68, v96
	v_mul_u32_u24_e32 v5, 5, v96
	v_add_lshl_u32 v5, v5, v181, 2
	; wave barrier
	v_add_u32_e32 v228, 0x410, v5
	ds_read_b32 v227, v5 offset:1040
	v_and_b32_e32 v5, 1, v96
	v_add_co_u32_e32 v97, vcc, -1, v5
	v_addc_co_u32_e64 v98, s[36:37], 0, -1, vcc
	v_cmp_ne_u32_e32 vcc, 0, v5
	v_xor_b32_e32 v5, vcc_hi, v98
	v_and_b32_e32 v98, exec_hi, v5
	v_lshlrev_b32_e32 v5, 30, v96
	v_xor_b32_e32 v97, vcc_lo, v97
	v_cmp_gt_i64_e32 vcc, 0, v[4:5]
	v_not_b32_e32 v5, v5
	v_ashrrev_i32_e32 v5, 31, v5
	v_and_b32_e32 v97, exec_lo, v97
	v_xor_b32_e32 v99, vcc_hi, v5
	v_xor_b32_e32 v5, vcc_lo, v5
	v_and_b32_e32 v97, v97, v5
	v_lshlrev_b32_e32 v5, 29, v96
	v_cmp_gt_i64_e32 vcc, 0, v[4:5]
	v_not_b32_e32 v5, v5
	v_ashrrev_i32_e32 v5, 31, v5
	v_and_b32_e32 v98, v98, v99
	v_xor_b32_e32 v99, vcc_hi, v5
	v_xor_b32_e32 v5, vcc_lo, v5
	v_and_b32_e32 v97, v97, v5
	v_lshlrev_b32_e32 v5, 28, v96
	v_cmp_gt_i64_e32 vcc, 0, v[4:5]
	v_not_b32_e32 v5, v5
	v_ashrrev_i32_e32 v5, 31, v5
	v_and_b32_e32 v98, v98, v99
	;; [unrolled: 8-line block ×5, first 2 shown]
	v_xor_b32_e32 v99, vcc_hi, v5
	v_xor_b32_e32 v5, vcc_lo, v5
	v_and_b32_e32 v98, v98, v99
	v_and_b32_e32 v99, v97, v5
	v_lshlrev_b32_e32 v5, 24, v96
	v_cmp_gt_i64_e32 vcc, 0, v[4:5]
	v_not_b32_e32 v5, v5
	v_ashrrev_i32_e32 v5, 31, v5
	v_xor_b32_e32 v96, vcc_hi, v5
	v_xor_b32_e32 v5, vcc_lo, v5
	v_and_b32_e32 v97, v98, v96
	v_and_b32_e32 v96, v99, v5
	v_mbcnt_lo_u32_b32 v5, v96, 0
	v_mbcnt_hi_u32_b32 v229, v97, v5
	v_cmp_eq_u32_e32 vcc, 0, v229
	v_cmp_ne_u64_e64 s[36:37], 0, v[96:97]
	s_and_b64 s[38:39], s[36:37], vcc
	; wave barrier
	s_and_saveexec_b64 s[36:37], s[38:39]
	s_cbranch_execz .LBB707_1050
; %bb.1049:                             ;   in Loop: Header=BB707_982 Depth=2
	v_bcnt_u32_b32 v5, v96, 0
	v_bcnt_u32_b32 v5, v97, v5
	s_waitcnt lgkmcnt(0)
	v_add_u32_e32 v5, v227, v5
	ds_write_b32 v228, v5
.LBB707_1050:                           ;   in Loop: Header=BB707_982 Depth=2
	s_or_b64 exec, exec, s[36:37]
	; wave barrier
	s_waitcnt lgkmcnt(0)
	s_barrier
	ds_read_b32 v5, v27 offset:1040
	ds_read2_b32 v[98:99], v31 offset0:1 offset1:2
	ds_read2_b32 v[96:97], v31 offset0:3 offset1:4
	s_waitcnt lgkmcnt(1)
	v_add3_u32 v230, v98, v5, v99
	s_waitcnt lgkmcnt(0)
	v_add3_u32 v97, v230, v96, v97
	s_nop 1
	v_mov_b32_dpp v230, v97 row_shr:1 row_mask:0xf bank_mask:0xf
	v_cndmask_b32_e64 v230, v230, 0, s[16:17]
	v_add_u32_e32 v97, v230, v97
	s_nop 1
	v_mov_b32_dpp v230, v97 row_shr:2 row_mask:0xf bank_mask:0xf
	v_cndmask_b32_e64 v230, 0, v230, s[18:19]
	v_add_u32_e32 v97, v97, v230
	;; [unrolled: 4-line block ×4, first 2 shown]
	s_nop 1
	v_mov_b32_dpp v230, v97 row_bcast:15 row_mask:0xf bank_mask:0xf
	v_cndmask_b32_e64 v230, v230, 0, s[24:25]
	v_add_u32_e32 v97, v97, v230
	s_nop 1
	v_mov_b32_dpp v230, v97 row_bcast:31 row_mask:0xf bank_mask:0xf
	v_cndmask_b32_e64 v230, 0, v230, s[26:27]
	v_add_u32_e32 v97, v97, v230
	s_and_saveexec_b64 s[36:37], s[6:7]
	s_cbranch_execz .LBB707_1052
; %bb.1051:                             ;   in Loop: Header=BB707_982 Depth=2
	ds_write_b32 v15, v97 offset:1024
.LBB707_1052:                           ;   in Loop: Header=BB707_982 Depth=2
	s_or_b64 exec, exec, s[36:37]
	s_waitcnt lgkmcnt(0)
	s_barrier
	s_and_saveexec_b64 s[36:37], s[8:9]
	s_cbranch_execz .LBB707_1054
; %bb.1053:                             ;   in Loop: Header=BB707_982 Depth=2
	ds_read_b32 v230, v33 offset:1024
	s_waitcnt lgkmcnt(0)
	s_nop 0
	v_mov_b32_dpp v231, v230 row_shr:1 row_mask:0xf bank_mask:0xf
	v_cndmask_b32_e64 v231, v231, 0, s[30:31]
	v_add_u32_e32 v230, v231, v230
	s_nop 1
	v_mov_b32_dpp v231, v230 row_shr:2 row_mask:0xf bank_mask:0xf
	v_cndmask_b32_e64 v231, 0, v231, s[34:35]
	v_add_u32_e32 v230, v230, v231
	ds_write_b32 v33, v230 offset:1024
.LBB707_1054:                           ;   in Loop: Header=BB707_982 Depth=2
	s_or_b64 exec, exec, s[36:37]
	v_mov_b32_e32 v230, 0
	s_waitcnt lgkmcnt(0)
	s_barrier
	s_and_saveexec_b64 s[36:37], s[10:11]
	s_cbranch_execz .LBB707_1056
; %bb.1055:                             ;   in Loop: Header=BB707_982 Depth=2
	ds_read_b32 v230, v15 offset:1020
.LBB707_1056:                           ;   in Loop: Header=BB707_982 Depth=2
	s_or_b64 exec, exec, s[36:37]
	s_waitcnt lgkmcnt(0)
	v_add_u32_e32 v97, v230, v97
	ds_bpermute_b32 v97, v158, v97
	s_waitcnt lgkmcnt(0)
	v_cndmask_b32_e64 v97, v97, v230, s[28:29]
	v_cndmask_b32_e64 v97, v97, 0, s[12:13]
	v_add_u32_e32 v5, v97, v5
	ds_write_b32 v27, v97 offset:1040
	v_add_u32_e32 v97, v5, v98
	v_add_u32_e32 v98, v97, v99
	ds_write2_b32 v31, v5, v97 offset0:1 offset1:2
	v_add_u32_e32 v5, v98, v96
	ds_write2_b32 v31, v98, v5 offset0:3 offset1:4
	s_waitcnt lgkmcnt(0)
	s_barrier
	ds_read_b32 v97, v186
	ds_read_b32 v234, v189
	;; [unrolled: 1-line block ×16, first 2 shown]
	ds_read_b32 v183, v27 offset:1040
	v_mov_b32_e32 v5, 0x1000
	s_and_saveexec_b64 s[36:37], s[14:15]
	s_cbranch_execz .LBB707_1058
; %bb.1057:                             ;   in Loop: Header=BB707_982 Depth=2
	ds_read_b32 v5, v27 offset:1060
.LBB707_1058:                           ;   in Loop: Header=BB707_982 Depth=2
	s_or_b64 exec, exec, s[36:37]
	s_waitcnt lgkmcnt(0)
	s_barrier
	s_and_saveexec_b64 s[36:37], s[4:5]
	s_cbranch_execz .LBB707_1060
; %bb.1059:                             ;   in Loop: Header=BB707_982 Depth=2
	ds_read_b32 v207, v3
	s_waitcnt lgkmcnt(0)
	v_sub_u32_e32 v183, v207, v183
	ds_write_b32 v3, v183
.LBB707_1060:                           ;   in Loop: Header=BB707_982 Depth=2
	s_or_b64 exec, exec, s[36:37]
	v_add_u32_e32 v185, v187, v185
	v_add_u32_e32 v188, v190, v188
	v_add_lshl_u32 v96, v96, v184, 3
	v_add_lshl_u32 v97, v185, v97, 3
	v_add_u32_e32 v191, v193, v191
	ds_write_b64 v96, v[64:65] offset:1024
	ds_write_b64 v97, v[66:67] offset:1024
	v_add_lshl_u32 v67, v188, v234, 3
	v_add_u32_e32 v197, v199, v197
	v_add_u32_e32 v194, v196, v194
	ds_write_b64 v67, v[74:75] offset:1024
	v_add_lshl_u32 v74, v191, v233, 3
	v_add_u32_e32 v212, v214, v212
	v_add_u32_e32 v209, v211, v209
	;; [unrolled: 1-line block ×5, first 2 shown]
	ds_write_b64 v74, v[78:79] offset:1024
	v_add_lshl_u32 v75, v194, v232, 3
	v_add_lshl_u32 v78, v197, v231, 3
	v_add_u32_e32 v215, v217, v215
	ds_write_b64 v75, v[82:83] offset:1024
	ds_write_b64 v78, v[86:87] offset:1024
	v_add_lshl_u32 v79, v200, v230, 3
	v_add_lshl_u32 v82, v203, v204, 3
	;; [unrolled: 1-line block ×5, first 2 shown]
	v_add_u32_e32 v213, v220, v218
	ds_write_b64 v79, v[90:91] offset:1024
	ds_write_b64 v82, v[94:95] offset:1024
	;; [unrolled: 1-line block ×5, first 2 shown]
	v_add_lshl_u32 v84, v215, v192, 3
	v_add_u32_e32 v210, v223, v221
	ds_write_b64 v84, v[80:81] offset:1024
	v_add_lshl_u32 v80, v213, v189, 3
	v_add_u32_e32 v207, v226, v224
	ds_write_b64 v80, v[76:77] offset:1024
	;; [unrolled: 3-line block ×3, first 2 shown]
	v_add_lshl_u32 v72, v207, v99, 3
	ds_write_b64 v72, v[68:69] offset:1024
	v_add_lshl_u32 v68, v183, v98, 3
	v_cmp_lt_u32_e64 s[36:37], v2, v182
	v_add_u32_e32 v66, v33, v3
	ds_write_b64 v68, v[70:71] offset:1024
	s_waitcnt lgkmcnt(0)
	s_barrier
	s_and_saveexec_b64 s[38:39], s[36:37]
	s_cbranch_execz .LBB707_1076
; %bb.1061:                             ;   in Loop: Header=BB707_982 Depth=2
	ds_read_b64 v[64:65], v66 offset:1024
	v_mov_b32_e32 v73, s77
	s_waitcnt lgkmcnt(0)
	v_lshrrev_b64 v[70:71], s84, v[64:65]
	v_and_b32_e32 v69, s68, v70
	v_lshlrev_b32_e32 v69, 2, v69
	ds_read_b32 v69, v69
	v_mov_b32_e32 v71, v4
	v_xor_b32_e32 v65, 0x7fffffff, v65
	v_not_b32_e32 v64, v64
	s_waitcnt lgkmcnt(0)
	v_add_u32_e32 v70, v69, v2
	v_lshlrev_b64 v[70:71], 3, v[70:71]
	v_add_co_u32_e32 v70, vcc, s76, v70
	v_addc_co_u32_e32 v71, vcc, v73, v71, vcc
	global_store_dwordx2 v[70:71], v[64:65], off
	s_or_b64 exec, exec, s[38:39]
	v_cmp_lt_u32_e64 s[38:39], v7, v182
	s_and_saveexec_b64 s[40:41], s[38:39]
	s_cbranch_execnz .LBB707_1077
.LBB707_1062:                           ;   in Loop: Header=BB707_982 Depth=2
	s_or_b64 exec, exec, s[40:41]
	v_cmp_lt_u32_e64 s[40:41], v6, v182
	s_and_saveexec_b64 s[42:43], s[40:41]
	s_cbranch_execz .LBB707_1078
.LBB707_1063:                           ;   in Loop: Header=BB707_982 Depth=2
	ds_read_b64 v[64:65], v104 offset:4096
	v_mov_b32_e32 v73, s77
	s_waitcnt lgkmcnt(0)
	v_lshrrev_b64 v[70:71], s84, v[64:65]
	v_and_b32_e32 v69, s68, v70
	v_lshlrev_b32_e32 v69, 2, v69
	ds_read_b32 v69, v69
	v_mov_b32_e32 v71, v4
	v_xor_b32_e32 v65, 0x7fffffff, v65
	v_not_b32_e32 v64, v64
	s_waitcnt lgkmcnt(0)
	v_add_u32_e32 v70, v69, v6
	v_lshlrev_b64 v[70:71], 3, v[70:71]
	v_add_co_u32_e32 v70, vcc, s76, v70
	v_addc_co_u32_e32 v71, vcc, v73, v71, vcc
	global_store_dwordx2 v[70:71], v[64:65], off
	s_or_b64 exec, exec, s[42:43]
	v_cmp_lt_u32_e64 s[42:43], v8, v182
	s_and_saveexec_b64 s[44:45], s[42:43]
	s_cbranch_execnz .LBB707_1079
.LBB707_1064:                           ;   in Loop: Header=BB707_982 Depth=2
	s_or_b64 exec, exec, s[44:45]
	v_cmp_lt_u32_e64 s[44:45], v10, v182
	s_and_saveexec_b64 s[46:47], s[44:45]
	s_cbranch_execz .LBB707_1080
.LBB707_1065:                           ;   in Loop: Header=BB707_982 Depth=2
	ds_read_b64 v[64:65], v104 offset:8192
	v_mov_b32_e32 v73, s77
	s_waitcnt lgkmcnt(0)
	v_lshrrev_b64 v[70:71], s84, v[64:65]
	v_and_b32_e32 v69, s68, v70
	v_lshlrev_b32_e32 v69, 2, v69
	ds_read_b32 v69, v69
	v_mov_b32_e32 v71, v4
	v_xor_b32_e32 v65, 0x7fffffff, v65
	v_not_b32_e32 v64, v64
	s_waitcnt lgkmcnt(0)
	v_add_u32_e32 v70, v69, v10
	v_lshlrev_b64 v[70:71], 3, v[70:71]
	v_add_co_u32_e32 v70, vcc, s76, v70
	v_addc_co_u32_e32 v71, vcc, v73, v71, vcc
	global_store_dwordx2 v[70:71], v[64:65], off
	s_or_b64 exec, exec, s[46:47]
	v_cmp_lt_u32_e64 s[46:47], v12, v182
	s_and_saveexec_b64 s[48:49], s[46:47]
	s_cbranch_execnz .LBB707_1081
.LBB707_1066:                           ;   in Loop: Header=BB707_982 Depth=2
	s_or_b64 exec, exec, s[48:49]
	v_cmp_lt_u32_e64 s[48:49], v14, v182
	s_and_saveexec_b64 s[50:51], s[48:49]
	s_cbranch_execz .LBB707_1082
.LBB707_1067:                           ;   in Loop: Header=BB707_982 Depth=2
	ds_read_b64 v[64:65], v104 offset:12288
	v_mov_b32_e32 v73, s77
	s_waitcnt lgkmcnt(0)
	v_lshrrev_b64 v[70:71], s84, v[64:65]
	v_and_b32_e32 v69, s68, v70
	v_lshlrev_b32_e32 v69, 2, v69
	ds_read_b32 v69, v69
	v_mov_b32_e32 v71, v4
	v_xor_b32_e32 v65, 0x7fffffff, v65
	v_not_b32_e32 v64, v64
	s_waitcnt lgkmcnt(0)
	v_add_u32_e32 v70, v69, v14
	v_lshlrev_b64 v[70:71], 3, v[70:71]
	v_add_co_u32_e32 v70, vcc, s76, v70
	v_addc_co_u32_e32 v71, vcc, v73, v71, vcc
	global_store_dwordx2 v[70:71], v[64:65], off
	s_or_b64 exec, exec, s[50:51]
	v_cmp_lt_u32_e64 s[50:51], v16, v182
	s_and_saveexec_b64 s[52:53], s[50:51]
	s_cbranch_execnz .LBB707_1083
.LBB707_1068:                           ;   in Loop: Header=BB707_982 Depth=2
	s_or_b64 exec, exec, s[52:53]
	v_cmp_lt_u32_e64 s[52:53], v18, v182
	s_and_saveexec_b64 s[54:55], s[52:53]
	s_cbranch_execz .LBB707_1084
.LBB707_1069:                           ;   in Loop: Header=BB707_982 Depth=2
	ds_read_b64 v[64:65], v104 offset:16384
	v_mov_b32_e32 v73, s77
	s_waitcnt lgkmcnt(0)
	v_lshrrev_b64 v[70:71], s84, v[64:65]
	v_and_b32_e32 v69, s68, v70
	v_lshlrev_b32_e32 v69, 2, v69
	ds_read_b32 v69, v69
	v_mov_b32_e32 v71, v4
	v_xor_b32_e32 v65, 0x7fffffff, v65
	v_not_b32_e32 v64, v64
	s_waitcnt lgkmcnt(0)
	v_add_u32_e32 v70, v69, v18
	v_lshlrev_b64 v[70:71], 3, v[70:71]
	v_add_co_u32_e32 v70, vcc, s76, v70
	v_addc_co_u32_e32 v71, vcc, v73, v71, vcc
	global_store_dwordx2 v[70:71], v[64:65], off
	s_or_b64 exec, exec, s[54:55]
	v_cmp_lt_u32_e64 s[54:55], v20, v182
	s_and_saveexec_b64 s[56:57], s[54:55]
	s_cbranch_execnz .LBB707_1085
.LBB707_1070:                           ;   in Loop: Header=BB707_982 Depth=2
	s_or_b64 exec, exec, s[56:57]
	v_cmp_lt_u32_e64 s[56:57], v22, v182
	s_and_saveexec_b64 s[58:59], s[56:57]
	s_cbranch_execz .LBB707_1086
.LBB707_1071:                           ;   in Loop: Header=BB707_982 Depth=2
	ds_read_b64 v[64:65], v104 offset:20480
	v_mov_b32_e32 v73, s77
	s_waitcnt lgkmcnt(0)
	v_lshrrev_b64 v[70:71], s84, v[64:65]
	v_and_b32_e32 v69, s68, v70
	v_lshlrev_b32_e32 v69, 2, v69
	ds_read_b32 v69, v69
	v_mov_b32_e32 v71, v4
	v_xor_b32_e32 v65, 0x7fffffff, v65
	v_not_b32_e32 v64, v64
	s_waitcnt lgkmcnt(0)
	v_add_u32_e32 v70, v69, v22
	v_lshlrev_b64 v[70:71], 3, v[70:71]
	v_add_co_u32_e32 v70, vcc, s76, v70
	v_addc_co_u32_e32 v71, vcc, v73, v71, vcc
	global_store_dwordx2 v[70:71], v[64:65], off
	s_or_b64 exec, exec, s[58:59]
	v_cmp_lt_u32_e64 s[58:59], v24, v182
	s_and_saveexec_b64 s[60:61], s[58:59]
	s_cbranch_execnz .LBB707_1087
.LBB707_1072:                           ;   in Loop: Header=BB707_982 Depth=2
	s_or_b64 exec, exec, s[60:61]
	v_cmp_lt_u32_e64 s[60:61], v26, v182
	s_and_saveexec_b64 s[62:63], s[60:61]
	s_cbranch_execz .LBB707_1088
.LBB707_1073:                           ;   in Loop: Header=BB707_982 Depth=2
	ds_read_b64 v[64:65], v104 offset:24576
	v_mov_b32_e32 v73, s77
	s_waitcnt lgkmcnt(0)
	v_lshrrev_b64 v[70:71], s84, v[64:65]
	v_and_b32_e32 v69, s68, v70
	v_lshlrev_b32_e32 v69, 2, v69
	ds_read_b32 v69, v69
	v_mov_b32_e32 v71, v4
	v_xor_b32_e32 v65, 0x7fffffff, v65
	v_not_b32_e32 v64, v64
	s_waitcnt lgkmcnt(0)
	v_add_u32_e32 v70, v69, v26
	v_lshlrev_b64 v[70:71], 3, v[70:71]
	v_add_co_u32_e32 v70, vcc, s76, v70
	v_addc_co_u32_e32 v71, vcc, v73, v71, vcc
	global_store_dwordx2 v[70:71], v[64:65], off
	s_or_b64 exec, exec, s[62:63]
	v_cmp_lt_u32_e64 s[62:63], v28, v182
	s_and_saveexec_b64 s[64:65], s[62:63]
	s_cbranch_execnz .LBB707_1089
.LBB707_1074:                           ;   in Loop: Header=BB707_982 Depth=2
	s_or_b64 exec, exec, s[64:65]
	v_cmp_lt_u32_e64 s[64:65], v30, v182
	s_and_saveexec_b64 s[66:67], s[64:65]
	s_cbranch_execz .LBB707_1090
.LBB707_1075:                           ;   in Loop: Header=BB707_982 Depth=2
	ds_read_b64 v[64:65], v104 offset:28672
	v_mov_b32_e32 v73, s77
	s_waitcnt lgkmcnt(0)
	v_lshrrev_b64 v[70:71], s84, v[64:65]
	v_and_b32_e32 v69, s68, v70
	v_lshlrev_b32_e32 v69, 2, v69
	ds_read_b32 v69, v69
	v_mov_b32_e32 v71, v4
	v_xor_b32_e32 v65, 0x7fffffff, v65
	v_not_b32_e32 v64, v64
	s_waitcnt lgkmcnt(0)
	v_add_u32_e32 v70, v69, v30
	v_lshlrev_b64 v[70:71], 3, v[70:71]
	v_add_co_u32_e32 v70, vcc, s76, v70
	v_addc_co_u32_e32 v71, vcc, v73, v71, vcc
	global_store_dwordx2 v[70:71], v[64:65], off
	s_or_b64 exec, exec, s[66:67]
	v_cmp_lt_u32_e64 s[66:67], v32, v182
	s_and_saveexec_b64 s[92:93], s[66:67]
	s_cbranch_execnz .LBB707_1091
	s_branch .LBB707_1092
.LBB707_1076:                           ;   in Loop: Header=BB707_982 Depth=2
	s_or_b64 exec, exec, s[38:39]
	v_cmp_lt_u32_e64 s[38:39], v7, v182
	s_and_saveexec_b64 s[40:41], s[38:39]
	s_cbranch_execz .LBB707_1062
.LBB707_1077:                           ;   in Loop: Header=BB707_982 Depth=2
	ds_read_b64 v[64:65], v104 offset:2048
	v_mov_b32_e32 v73, s77
	s_waitcnt lgkmcnt(0)
	v_lshrrev_b64 v[70:71], s84, v[64:65]
	v_and_b32_e32 v69, s68, v70
	v_lshlrev_b32_e32 v69, 2, v69
	ds_read_b32 v69, v69
	v_mov_b32_e32 v71, v4
	v_xor_b32_e32 v65, 0x7fffffff, v65
	v_not_b32_e32 v64, v64
	s_waitcnt lgkmcnt(0)
	v_add_u32_e32 v70, v69, v7
	v_lshlrev_b64 v[70:71], 3, v[70:71]
	v_add_co_u32_e32 v70, vcc, s76, v70
	v_addc_co_u32_e32 v71, vcc, v73, v71, vcc
	global_store_dwordx2 v[70:71], v[64:65], off
	s_or_b64 exec, exec, s[40:41]
	v_cmp_lt_u32_e64 s[40:41], v6, v182
	s_and_saveexec_b64 s[42:43], s[40:41]
	s_cbranch_execnz .LBB707_1063
.LBB707_1078:                           ;   in Loop: Header=BB707_982 Depth=2
	s_or_b64 exec, exec, s[42:43]
	v_cmp_lt_u32_e64 s[42:43], v8, v182
	s_and_saveexec_b64 s[44:45], s[42:43]
	s_cbranch_execz .LBB707_1064
.LBB707_1079:                           ;   in Loop: Header=BB707_982 Depth=2
	ds_read_b64 v[64:65], v104 offset:6144
	v_mov_b32_e32 v73, s77
	s_waitcnt lgkmcnt(0)
	v_lshrrev_b64 v[70:71], s84, v[64:65]
	v_and_b32_e32 v69, s68, v70
	v_lshlrev_b32_e32 v69, 2, v69
	ds_read_b32 v69, v69
	v_mov_b32_e32 v71, v4
	v_xor_b32_e32 v65, 0x7fffffff, v65
	v_not_b32_e32 v64, v64
	s_waitcnt lgkmcnt(0)
	v_add_u32_e32 v70, v69, v8
	v_lshlrev_b64 v[70:71], 3, v[70:71]
	v_add_co_u32_e32 v70, vcc, s76, v70
	v_addc_co_u32_e32 v71, vcc, v73, v71, vcc
	global_store_dwordx2 v[70:71], v[64:65], off
	s_or_b64 exec, exec, s[44:45]
	v_cmp_lt_u32_e64 s[44:45], v10, v182
	s_and_saveexec_b64 s[46:47], s[44:45]
	s_cbranch_execnz .LBB707_1065
.LBB707_1080:                           ;   in Loop: Header=BB707_982 Depth=2
	s_or_b64 exec, exec, s[46:47]
	v_cmp_lt_u32_e64 s[46:47], v12, v182
	s_and_saveexec_b64 s[48:49], s[46:47]
	s_cbranch_execz .LBB707_1066
.LBB707_1081:                           ;   in Loop: Header=BB707_982 Depth=2
	ds_read_b64 v[64:65], v104 offset:10240
	v_mov_b32_e32 v73, s77
	s_waitcnt lgkmcnt(0)
	v_lshrrev_b64 v[70:71], s84, v[64:65]
	v_and_b32_e32 v69, s68, v70
	v_lshlrev_b32_e32 v69, 2, v69
	ds_read_b32 v69, v69
	v_mov_b32_e32 v71, v4
	v_xor_b32_e32 v65, 0x7fffffff, v65
	v_not_b32_e32 v64, v64
	s_waitcnt lgkmcnt(0)
	v_add_u32_e32 v70, v69, v12
	v_lshlrev_b64 v[70:71], 3, v[70:71]
	v_add_co_u32_e32 v70, vcc, s76, v70
	v_addc_co_u32_e32 v71, vcc, v73, v71, vcc
	global_store_dwordx2 v[70:71], v[64:65], off
	s_or_b64 exec, exec, s[48:49]
	v_cmp_lt_u32_e64 s[48:49], v14, v182
	s_and_saveexec_b64 s[50:51], s[48:49]
	s_cbranch_execnz .LBB707_1067
.LBB707_1082:                           ;   in Loop: Header=BB707_982 Depth=2
	s_or_b64 exec, exec, s[50:51]
	v_cmp_lt_u32_e64 s[50:51], v16, v182
	s_and_saveexec_b64 s[52:53], s[50:51]
	s_cbranch_execz .LBB707_1068
.LBB707_1083:                           ;   in Loop: Header=BB707_982 Depth=2
	ds_read_b64 v[64:65], v104 offset:14336
	v_mov_b32_e32 v73, s77
	s_waitcnt lgkmcnt(0)
	v_lshrrev_b64 v[70:71], s84, v[64:65]
	v_and_b32_e32 v69, s68, v70
	v_lshlrev_b32_e32 v69, 2, v69
	ds_read_b32 v69, v69
	v_mov_b32_e32 v71, v4
	v_xor_b32_e32 v65, 0x7fffffff, v65
	v_not_b32_e32 v64, v64
	s_waitcnt lgkmcnt(0)
	v_add_u32_e32 v70, v69, v16
	v_lshlrev_b64 v[70:71], 3, v[70:71]
	v_add_co_u32_e32 v70, vcc, s76, v70
	v_addc_co_u32_e32 v71, vcc, v73, v71, vcc
	global_store_dwordx2 v[70:71], v[64:65], off
	s_or_b64 exec, exec, s[52:53]
	v_cmp_lt_u32_e64 s[52:53], v18, v182
	s_and_saveexec_b64 s[54:55], s[52:53]
	s_cbranch_execnz .LBB707_1069
.LBB707_1084:                           ;   in Loop: Header=BB707_982 Depth=2
	s_or_b64 exec, exec, s[54:55]
	v_cmp_lt_u32_e64 s[54:55], v20, v182
	s_and_saveexec_b64 s[56:57], s[54:55]
	s_cbranch_execz .LBB707_1070
.LBB707_1085:                           ;   in Loop: Header=BB707_982 Depth=2
	ds_read_b64 v[64:65], v104 offset:18432
	v_mov_b32_e32 v73, s77
	s_waitcnt lgkmcnt(0)
	v_lshrrev_b64 v[70:71], s84, v[64:65]
	v_and_b32_e32 v69, s68, v70
	v_lshlrev_b32_e32 v69, 2, v69
	ds_read_b32 v69, v69
	v_mov_b32_e32 v71, v4
	v_xor_b32_e32 v65, 0x7fffffff, v65
	v_not_b32_e32 v64, v64
	s_waitcnt lgkmcnt(0)
	v_add_u32_e32 v70, v69, v20
	v_lshlrev_b64 v[70:71], 3, v[70:71]
	v_add_co_u32_e32 v70, vcc, s76, v70
	v_addc_co_u32_e32 v71, vcc, v73, v71, vcc
	global_store_dwordx2 v[70:71], v[64:65], off
	s_or_b64 exec, exec, s[56:57]
	v_cmp_lt_u32_e64 s[56:57], v22, v182
	s_and_saveexec_b64 s[58:59], s[56:57]
	s_cbranch_execnz .LBB707_1071
.LBB707_1086:                           ;   in Loop: Header=BB707_982 Depth=2
	s_or_b64 exec, exec, s[58:59]
	v_cmp_lt_u32_e64 s[58:59], v24, v182
	s_and_saveexec_b64 s[60:61], s[58:59]
	s_cbranch_execz .LBB707_1072
.LBB707_1087:                           ;   in Loop: Header=BB707_982 Depth=2
	ds_read_b64 v[64:65], v104 offset:22528
	v_mov_b32_e32 v73, s77
	s_waitcnt lgkmcnt(0)
	v_lshrrev_b64 v[70:71], s84, v[64:65]
	v_and_b32_e32 v69, s68, v70
	v_lshlrev_b32_e32 v69, 2, v69
	ds_read_b32 v69, v69
	v_mov_b32_e32 v71, v4
	v_xor_b32_e32 v65, 0x7fffffff, v65
	v_not_b32_e32 v64, v64
	s_waitcnt lgkmcnt(0)
	v_add_u32_e32 v70, v69, v24
	v_lshlrev_b64 v[70:71], 3, v[70:71]
	v_add_co_u32_e32 v70, vcc, s76, v70
	v_addc_co_u32_e32 v71, vcc, v73, v71, vcc
	global_store_dwordx2 v[70:71], v[64:65], off
	s_or_b64 exec, exec, s[60:61]
	v_cmp_lt_u32_e64 s[60:61], v26, v182
	s_and_saveexec_b64 s[62:63], s[60:61]
	s_cbranch_execnz .LBB707_1073
.LBB707_1088:                           ;   in Loop: Header=BB707_982 Depth=2
	s_or_b64 exec, exec, s[62:63]
	v_cmp_lt_u32_e64 s[62:63], v28, v182
	s_and_saveexec_b64 s[64:65], s[62:63]
	s_cbranch_execz .LBB707_1074
.LBB707_1089:                           ;   in Loop: Header=BB707_982 Depth=2
	ds_read_b64 v[64:65], v104 offset:26624
	v_mov_b32_e32 v73, s77
	s_waitcnt lgkmcnt(0)
	v_lshrrev_b64 v[70:71], s84, v[64:65]
	v_and_b32_e32 v69, s68, v70
	v_lshlrev_b32_e32 v69, 2, v69
	ds_read_b32 v69, v69
	v_mov_b32_e32 v71, v4
	v_xor_b32_e32 v65, 0x7fffffff, v65
	v_not_b32_e32 v64, v64
	s_waitcnt lgkmcnt(0)
	v_add_u32_e32 v70, v69, v28
	v_lshlrev_b64 v[70:71], 3, v[70:71]
	v_add_co_u32_e32 v70, vcc, s76, v70
	v_addc_co_u32_e32 v71, vcc, v73, v71, vcc
	global_store_dwordx2 v[70:71], v[64:65], off
	s_or_b64 exec, exec, s[64:65]
	v_cmp_lt_u32_e64 s[64:65], v30, v182
	s_and_saveexec_b64 s[66:67], s[64:65]
	s_cbranch_execnz .LBB707_1075
.LBB707_1090:                           ;   in Loop: Header=BB707_982 Depth=2
	s_or_b64 exec, exec, s[66:67]
	v_cmp_lt_u32_e64 s[66:67], v32, v182
	s_and_saveexec_b64 s[92:93], s[66:67]
	s_cbranch_execz .LBB707_1092
.LBB707_1091:                           ;   in Loop: Header=BB707_982 Depth=2
	ds_read_b64 v[64:65], v104 offset:30720
	v_mov_b32_e32 v73, s77
	s_waitcnt lgkmcnt(0)
	v_lshrrev_b64 v[70:71], s84, v[64:65]
	v_and_b32_e32 v69, s68, v70
	v_lshlrev_b32_e32 v69, 2, v69
	ds_read_b32 v69, v69
	v_mov_b32_e32 v71, v4
	v_xor_b32_e32 v65, 0x7fffffff, v65
	v_not_b32_e32 v64, v64
	s_waitcnt lgkmcnt(0)
	v_add_u32_e32 v70, v69, v32
	v_lshlrev_b64 v[70:71], 3, v[70:71]
	v_add_co_u32_e32 v70, vcc, s76, v70
	v_addc_co_u32_e32 v71, vcc, v73, v71, vcc
	global_store_dwordx2 v[70:71], v[64:65], off
.LBB707_1092:                           ;   in Loop: Header=BB707_982 Depth=2
	s_or_b64 exec, exec, s[92:93]
	s_mov_b32 s79, s88
	s_lshl_b64 s[78:79], s[78:79], 3
	v_mov_b32_e32 v65, s79
	v_add_co_u32_e32 v64, vcc, s78, v159
	v_addc_co_u32_e32 v65, vcc, v160, v65, vcc
	v_cmp_lt_u32_e32 vcc, v142, v182
	s_and_saveexec_b64 s[78:79], vcc
	s_xor_b64 s[78:79], exec, s[78:79]
	s_cbranch_execz .LBB707_1124
; %bb.1093:                             ;   in Loop: Header=BB707_982 Depth=2
	global_load_dwordx2 v[62:63], v[64:65], off
	s_or_b64 exec, exec, s[78:79]
	v_cmp_lt_u32_e32 vcc, v143, v182
	s_and_saveexec_b64 s[78:79], vcc
	s_cbranch_execnz .LBB707_1125
.LBB707_1094:                           ;   in Loop: Header=BB707_982 Depth=2
	s_or_b64 exec, exec, s[78:79]
	v_cmp_lt_u32_e32 vcc, v144, v182
	s_and_saveexec_b64 s[78:79], vcc
	s_cbranch_execz .LBB707_1126
.LBB707_1095:                           ;   in Loop: Header=BB707_982 Depth=2
	global_load_dwordx2 v[58:59], v[64:65], off offset:1024
	s_or_b64 exec, exec, s[78:79]
	v_cmp_lt_u32_e32 vcc, v145, v182
	s_and_saveexec_b64 s[78:79], vcc
	s_cbranch_execnz .LBB707_1127
.LBB707_1096:                           ;   in Loop: Header=BB707_982 Depth=2
	s_or_b64 exec, exec, s[78:79]
	v_cmp_lt_u32_e32 vcc, v146, v182
	s_and_saveexec_b64 s[78:79], vcc
	s_cbranch_execz .LBB707_1128
.LBB707_1097:                           ;   in Loop: Header=BB707_982 Depth=2
	global_load_dwordx2 v[50:51], v[64:65], off offset:2048
	s_or_b64 exec, exec, s[78:79]
	v_cmp_lt_u32_e32 vcc, v147, v182
	s_and_saveexec_b64 s[78:79], vcc
	s_cbranch_execnz .LBB707_1129
.LBB707_1098:                           ;   in Loop: Header=BB707_982 Depth=2
	s_or_b64 exec, exec, s[78:79]
	v_cmp_lt_u32_e32 vcc, v148, v182
	s_and_saveexec_b64 s[78:79], vcc
	s_cbranch_execz .LBB707_1130
.LBB707_1099:                           ;   in Loop: Header=BB707_982 Depth=2
	global_load_dwordx2 v[42:43], v[64:65], off offset:3072
	s_or_b64 exec, exec, s[78:79]
	v_cmp_lt_u32_e32 vcc, v149, v182
	s_and_saveexec_b64 s[78:79], vcc
	s_cbranch_execnz .LBB707_1131
.LBB707_1100:                           ;   in Loop: Header=BB707_982 Depth=2
	s_or_b64 exec, exec, s[78:79]
	v_cmp_lt_u32_e32 vcc, v150, v182
	s_and_saveexec_b64 s[78:79], vcc
	s_cbranch_execz .LBB707_1132
.LBB707_1101:                           ;   in Loop: Header=BB707_982 Depth=2
	v_add_co_u32_e32 v56, vcc, 0x1000, v64
	v_addc_co_u32_e32 v57, vcc, 0, v65, vcc
	global_load_dwordx2 v[56:57], v[56:57], off
	s_or_b64 exec, exec, s[78:79]
	v_cmp_lt_u32_e32 vcc, v151, v182
	s_and_saveexec_b64 s[78:79], vcc
	s_cbranch_execnz .LBB707_1133
.LBB707_1102:                           ;   in Loop: Header=BB707_982 Depth=2
	s_or_b64 exec, exec, s[78:79]
	v_cmp_lt_u32_e32 vcc, v152, v182
	s_and_saveexec_b64 s[78:79], vcc
	s_cbranch_execz .LBB707_1134
.LBB707_1103:                           ;   in Loop: Header=BB707_982 Depth=2
	v_add_co_u32_e32 v48, vcc, 0x1000, v64
	v_addc_co_u32_e32 v49, vcc, 0, v65, vcc
	global_load_dwordx2 v[48:49], v[48:49], off offset:1024
	s_or_b64 exec, exec, s[78:79]
	v_cmp_lt_u32_e32 vcc, v153, v182
	s_and_saveexec_b64 s[78:79], vcc
	s_cbranch_execnz .LBB707_1135
.LBB707_1104:                           ;   in Loop: Header=BB707_982 Depth=2
	s_or_b64 exec, exec, s[78:79]
	v_cmp_lt_u32_e32 vcc, v154, v182
	s_and_saveexec_b64 s[78:79], vcc
	s_cbranch_execz .LBB707_1136
.LBB707_1105:                           ;   in Loop: Header=BB707_982 Depth=2
	v_add_co_u32_e32 v40, vcc, 0x1000, v64
	v_addc_co_u32_e32 v41, vcc, 0, v65, vcc
	global_load_dwordx2 v[40:41], v[40:41], off offset:2048
	s_or_b64 exec, exec, s[78:79]
	v_cmp_lt_u32_e32 vcc, v155, v182
	s_and_saveexec_b64 s[78:79], vcc
	s_cbranch_execnz .LBB707_1137
.LBB707_1106:                           ;   in Loop: Header=BB707_982 Depth=2
	s_or_b64 exec, exec, s[78:79]
	v_cmp_lt_u32_e32 vcc, v156, v182
	s_and_saveexec_b64 s[78:79], vcc
	s_cbranch_execz .LBB707_1138
.LBB707_1107:                           ;   in Loop: Header=BB707_982 Depth=2
	v_add_co_u32_e32 v34, vcc, 0x1000, v64
	v_addc_co_u32_e32 v35, vcc, 0, v65, vcc
	global_load_dwordx2 v[34:35], v[34:35], off offset:3072
	s_or_b64 exec, exec, s[78:79]
	v_cmp_lt_u32_e32 vcc, v157, v182
	s_and_saveexec_b64 s[78:79], vcc
	s_cbranch_execnz .LBB707_1139
.LBB707_1108:                           ;   in Loop: Header=BB707_982 Depth=2
	s_or_b64 exec, exec, s[78:79]
	s_and_saveexec_b64 s[78:79], s[36:37]
	s_cbranch_execz .LBB707_1140
.LBB707_1109:                           ;   in Loop: Header=BB707_982 Depth=2
	ds_read_b64 v[64:65], v66 offset:1024
	s_waitcnt lgkmcnt(0)
	v_lshrrev_b64 v[64:65], s84, v[64:65]
	v_and_b32_e32 v180, s68, v64
	s_or_b64 exec, exec, s[78:79]
	s_and_saveexec_b64 s[78:79], s[38:39]
	s_cbranch_execnz .LBB707_1141
.LBB707_1110:                           ;   in Loop: Header=BB707_982 Depth=2
	s_or_b64 exec, exec, s[78:79]
	s_and_saveexec_b64 s[78:79], s[40:41]
	s_cbranch_execz .LBB707_1142
.LBB707_1111:                           ;   in Loop: Header=BB707_982 Depth=2
	ds_read_b64 v[64:65], v104 offset:4096
	s_waitcnt lgkmcnt(0)
	v_lshrrev_b64 v[64:65], s84, v[64:65]
	v_and_b32_e32 v177, s68, v64
	s_or_b64 exec, exec, s[78:79]
	s_and_saveexec_b64 s[78:79], s[42:43]
	s_cbranch_execnz .LBB707_1143
.LBB707_1112:                           ;   in Loop: Header=BB707_982 Depth=2
	s_or_b64 exec, exec, s[78:79]
	s_and_saveexec_b64 s[78:79], s[44:45]
	s_cbranch_execz .LBB707_1144
.LBB707_1113:                           ;   in Loop: Header=BB707_982 Depth=2
	ds_read_b64 v[64:65], v104 offset:8192
	s_waitcnt lgkmcnt(0)
	v_lshrrev_b64 v[64:65], s84, v[64:65]
	v_and_b32_e32 v174, s68, v64
	s_or_b64 exec, exec, s[78:79]
	s_and_saveexec_b64 s[78:79], s[46:47]
	s_cbranch_execnz .LBB707_1145
.LBB707_1114:                           ;   in Loop: Header=BB707_982 Depth=2
	s_or_b64 exec, exec, s[78:79]
	s_and_saveexec_b64 s[78:79], s[48:49]
	s_cbranch_execz .LBB707_1146
.LBB707_1115:                           ;   in Loop: Header=BB707_982 Depth=2
	ds_read_b64 v[64:65], v104 offset:12288
	s_waitcnt lgkmcnt(0)
	v_lshrrev_b64 v[64:65], s84, v[64:65]
	v_and_b32_e32 v172, s68, v64
	s_or_b64 exec, exec, s[78:79]
	s_and_saveexec_b64 s[78:79], s[50:51]
	s_cbranch_execnz .LBB707_1147
.LBB707_1116:                           ;   in Loop: Header=BB707_982 Depth=2
	s_or_b64 exec, exec, s[78:79]
	s_and_saveexec_b64 s[78:79], s[52:53]
	s_cbranch_execz .LBB707_1148
.LBB707_1117:                           ;   in Loop: Header=BB707_982 Depth=2
	ds_read_b64 v[64:65], v104 offset:16384
	s_waitcnt lgkmcnt(0)
	v_lshrrev_b64 v[64:65], s84, v[64:65]
	v_and_b32_e32 v170, s68, v64
	s_or_b64 exec, exec, s[78:79]
	s_and_saveexec_b64 s[78:79], s[54:55]
	s_cbranch_execnz .LBB707_1149
.LBB707_1118:                           ;   in Loop: Header=BB707_982 Depth=2
	s_or_b64 exec, exec, s[78:79]
	s_and_saveexec_b64 s[78:79], s[56:57]
	s_cbranch_execz .LBB707_1150
.LBB707_1119:                           ;   in Loop: Header=BB707_982 Depth=2
	ds_read_b64 v[64:65], v104 offset:20480
	s_waitcnt lgkmcnt(0)
	v_lshrrev_b64 v[64:65], s84, v[64:65]
	v_and_b32_e32 v168, s68, v64
	s_or_b64 exec, exec, s[78:79]
	s_and_saveexec_b64 s[78:79], s[58:59]
	s_cbranch_execnz .LBB707_1151
.LBB707_1120:                           ;   in Loop: Header=BB707_982 Depth=2
	s_or_b64 exec, exec, s[78:79]
	s_and_saveexec_b64 s[78:79], s[60:61]
	s_cbranch_execz .LBB707_1152
.LBB707_1121:                           ;   in Loop: Header=BB707_982 Depth=2
	ds_read_b64 v[64:65], v104 offset:24576
	s_waitcnt lgkmcnt(0)
	v_lshrrev_b64 v[64:65], s84, v[64:65]
	v_and_b32_e32 v166, s68, v64
	s_or_b64 exec, exec, s[78:79]
	s_and_saveexec_b64 s[78:79], s[62:63]
	s_cbranch_execnz .LBB707_1153
.LBB707_1122:                           ;   in Loop: Header=BB707_982 Depth=2
	s_or_b64 exec, exec, s[78:79]
	s_and_saveexec_b64 s[78:79], s[64:65]
	s_cbranch_execz .LBB707_1154
.LBB707_1123:                           ;   in Loop: Header=BB707_982 Depth=2
	ds_read_b64 v[64:65], v104 offset:28672
	s_waitcnt lgkmcnt(0)
	v_lshrrev_b64 v[64:65], s84, v[64:65]
	v_and_b32_e32 v164, s68, v64
	s_or_b64 exec, exec, s[78:79]
	s_and_saveexec_b64 s[78:79], s[66:67]
	s_cbranch_execnz .LBB707_1155
	s_branch .LBB707_1156
.LBB707_1124:                           ;   in Loop: Header=BB707_982 Depth=2
	s_or_b64 exec, exec, s[78:79]
	v_cmp_lt_u32_e32 vcc, v143, v182
	s_and_saveexec_b64 s[78:79], vcc
	s_cbranch_execz .LBB707_1094
.LBB707_1125:                           ;   in Loop: Header=BB707_982 Depth=2
	global_load_dwordx2 v[60:61], v[64:65], off offset:512
	s_or_b64 exec, exec, s[78:79]
	v_cmp_lt_u32_e32 vcc, v144, v182
	s_and_saveexec_b64 s[78:79], vcc
	s_cbranch_execnz .LBB707_1095
.LBB707_1126:                           ;   in Loop: Header=BB707_982 Depth=2
	s_or_b64 exec, exec, s[78:79]
	v_cmp_lt_u32_e32 vcc, v145, v182
	s_and_saveexec_b64 s[78:79], vcc
	s_cbranch_execz .LBB707_1096
.LBB707_1127:                           ;   in Loop: Header=BB707_982 Depth=2
	global_load_dwordx2 v[54:55], v[64:65], off offset:1536
	s_or_b64 exec, exec, s[78:79]
	v_cmp_lt_u32_e32 vcc, v146, v182
	s_and_saveexec_b64 s[78:79], vcc
	s_cbranch_execnz .LBB707_1097
.LBB707_1128:                           ;   in Loop: Header=BB707_982 Depth=2
	s_or_b64 exec, exec, s[78:79]
	v_cmp_lt_u32_e32 vcc, v147, v182
	s_and_saveexec_b64 s[78:79], vcc
	s_cbranch_execz .LBB707_1098
.LBB707_1129:                           ;   in Loop: Header=BB707_982 Depth=2
	global_load_dwordx2 v[46:47], v[64:65], off offset:2560
	s_or_b64 exec, exec, s[78:79]
	v_cmp_lt_u32_e32 vcc, v148, v182
	s_and_saveexec_b64 s[78:79], vcc
	s_cbranch_execnz .LBB707_1099
.LBB707_1130:                           ;   in Loop: Header=BB707_982 Depth=2
	s_or_b64 exec, exec, s[78:79]
	v_cmp_lt_u32_e32 vcc, v149, v182
	s_and_saveexec_b64 s[78:79], vcc
	s_cbranch_execz .LBB707_1100
.LBB707_1131:                           ;   in Loop: Header=BB707_982 Depth=2
	global_load_dwordx2 v[38:39], v[64:65], off offset:3584
	s_or_b64 exec, exec, s[78:79]
	v_cmp_lt_u32_e32 vcc, v150, v182
	s_and_saveexec_b64 s[78:79], vcc
	s_cbranch_execnz .LBB707_1101
.LBB707_1132:                           ;   in Loop: Header=BB707_982 Depth=2
	s_or_b64 exec, exec, s[78:79]
	v_cmp_lt_u32_e32 vcc, v151, v182
	s_and_saveexec_b64 s[78:79], vcc
	s_cbranch_execz .LBB707_1102
.LBB707_1133:                           ;   in Loop: Header=BB707_982 Depth=2
	v_add_co_u32_e32 v52, vcc, 0x1000, v64
	v_addc_co_u32_e32 v53, vcc, 0, v65, vcc
	global_load_dwordx2 v[52:53], v[52:53], off offset:512
	s_or_b64 exec, exec, s[78:79]
	v_cmp_lt_u32_e32 vcc, v152, v182
	s_and_saveexec_b64 s[78:79], vcc
	s_cbranch_execnz .LBB707_1103
.LBB707_1134:                           ;   in Loop: Header=BB707_982 Depth=2
	s_or_b64 exec, exec, s[78:79]
	v_cmp_lt_u32_e32 vcc, v153, v182
	s_and_saveexec_b64 s[78:79], vcc
	s_cbranch_execz .LBB707_1104
.LBB707_1135:                           ;   in Loop: Header=BB707_982 Depth=2
	v_add_co_u32_e32 v44, vcc, 0x1000, v64
	v_addc_co_u32_e32 v45, vcc, 0, v65, vcc
	global_load_dwordx2 v[44:45], v[44:45], off offset:1536
	s_or_b64 exec, exec, s[78:79]
	v_cmp_lt_u32_e32 vcc, v154, v182
	s_and_saveexec_b64 s[78:79], vcc
	s_cbranch_execnz .LBB707_1105
.LBB707_1136:                           ;   in Loop: Header=BB707_982 Depth=2
	s_or_b64 exec, exec, s[78:79]
	v_cmp_lt_u32_e32 vcc, v155, v182
	s_and_saveexec_b64 s[78:79], vcc
	s_cbranch_execz .LBB707_1106
.LBB707_1137:                           ;   in Loop: Header=BB707_982 Depth=2
	v_add_co_u32_e32 v36, vcc, 0x1000, v64
	v_addc_co_u32_e32 v37, vcc, 0, v65, vcc
	global_load_dwordx2 v[36:37], v[36:37], off offset:2560
	s_or_b64 exec, exec, s[78:79]
	v_cmp_lt_u32_e32 vcc, v156, v182
	s_and_saveexec_b64 s[78:79], vcc
	s_cbranch_execnz .LBB707_1107
.LBB707_1138:                           ;   in Loop: Header=BB707_982 Depth=2
	s_or_b64 exec, exec, s[78:79]
	v_cmp_lt_u32_e32 vcc, v157, v182
	s_and_saveexec_b64 s[78:79], vcc
	s_cbranch_execz .LBB707_1108
.LBB707_1139:                           ;   in Loop: Header=BB707_982 Depth=2
	v_add_co_u32_e32 v0, vcc, 0x1000, v64
	v_addc_co_u32_e32 v1, vcc, 0, v65, vcc
	global_load_dwordx2 v[0:1], v[0:1], off offset:3584
	s_or_b64 exec, exec, s[78:79]
	s_and_saveexec_b64 s[78:79], s[36:37]
	s_cbranch_execnz .LBB707_1109
.LBB707_1140:                           ;   in Loop: Header=BB707_982 Depth=2
	s_or_b64 exec, exec, s[78:79]
	s_and_saveexec_b64 s[78:79], s[38:39]
	s_cbranch_execz .LBB707_1110
.LBB707_1141:                           ;   in Loop: Header=BB707_982 Depth=2
	ds_read_b64 v[64:65], v104 offset:2048
	s_waitcnt lgkmcnt(0)
	v_lshrrev_b64 v[64:65], s84, v[64:65]
	v_and_b32_e32 v178, s68, v64
	s_or_b64 exec, exec, s[78:79]
	s_and_saveexec_b64 s[78:79], s[40:41]
	s_cbranch_execnz .LBB707_1111
.LBB707_1142:                           ;   in Loop: Header=BB707_982 Depth=2
	s_or_b64 exec, exec, s[78:79]
	s_and_saveexec_b64 s[78:79], s[42:43]
	s_cbranch_execz .LBB707_1112
.LBB707_1143:                           ;   in Loop: Header=BB707_982 Depth=2
	ds_read_b64 v[64:65], v104 offset:6144
	s_waitcnt lgkmcnt(0)
	v_lshrrev_b64 v[64:65], s84, v[64:65]
	v_and_b32_e32 v175, s68, v64
	s_or_b64 exec, exec, s[78:79]
	s_and_saveexec_b64 s[78:79], s[44:45]
	s_cbranch_execnz .LBB707_1113
.LBB707_1144:                           ;   in Loop: Header=BB707_982 Depth=2
	s_or_b64 exec, exec, s[78:79]
	s_and_saveexec_b64 s[78:79], s[46:47]
	s_cbranch_execz .LBB707_1114
.LBB707_1145:                           ;   in Loop: Header=BB707_982 Depth=2
	ds_read_b64 v[64:65], v104 offset:10240
	s_waitcnt lgkmcnt(0)
	v_lshrrev_b64 v[64:65], s84, v[64:65]
	v_and_b32_e32 v173, s68, v64
	s_or_b64 exec, exec, s[78:79]
	s_and_saveexec_b64 s[78:79], s[48:49]
	s_cbranch_execnz .LBB707_1115
.LBB707_1146:                           ;   in Loop: Header=BB707_982 Depth=2
	s_or_b64 exec, exec, s[78:79]
	s_and_saveexec_b64 s[78:79], s[50:51]
	s_cbranch_execz .LBB707_1116
.LBB707_1147:                           ;   in Loop: Header=BB707_982 Depth=2
	ds_read_b64 v[64:65], v104 offset:14336
	s_waitcnt lgkmcnt(0)
	v_lshrrev_b64 v[64:65], s84, v[64:65]
	v_and_b32_e32 v171, s68, v64
	s_or_b64 exec, exec, s[78:79]
	s_and_saveexec_b64 s[78:79], s[52:53]
	s_cbranch_execnz .LBB707_1117
.LBB707_1148:                           ;   in Loop: Header=BB707_982 Depth=2
	s_or_b64 exec, exec, s[78:79]
	s_and_saveexec_b64 s[78:79], s[54:55]
	s_cbranch_execz .LBB707_1118
.LBB707_1149:                           ;   in Loop: Header=BB707_982 Depth=2
	ds_read_b64 v[64:65], v104 offset:18432
	s_waitcnt lgkmcnt(0)
	v_lshrrev_b64 v[64:65], s84, v[64:65]
	v_and_b32_e32 v169, s68, v64
	s_or_b64 exec, exec, s[78:79]
	s_and_saveexec_b64 s[78:79], s[56:57]
	s_cbranch_execnz .LBB707_1119
.LBB707_1150:                           ;   in Loop: Header=BB707_982 Depth=2
	s_or_b64 exec, exec, s[78:79]
	s_and_saveexec_b64 s[78:79], s[58:59]
	s_cbranch_execz .LBB707_1120
.LBB707_1151:                           ;   in Loop: Header=BB707_982 Depth=2
	ds_read_b64 v[64:65], v104 offset:22528
	s_waitcnt lgkmcnt(0)
	v_lshrrev_b64 v[64:65], s84, v[64:65]
	v_and_b32_e32 v167, s68, v64
	s_or_b64 exec, exec, s[78:79]
	s_and_saveexec_b64 s[78:79], s[60:61]
	s_cbranch_execnz .LBB707_1121
.LBB707_1152:                           ;   in Loop: Header=BB707_982 Depth=2
	s_or_b64 exec, exec, s[78:79]
	s_and_saveexec_b64 s[78:79], s[62:63]
	s_cbranch_execz .LBB707_1122
.LBB707_1153:                           ;   in Loop: Header=BB707_982 Depth=2
	ds_read_b64 v[64:65], v104 offset:26624
	s_waitcnt lgkmcnt(0)
	v_lshrrev_b64 v[64:65], s84, v[64:65]
	v_and_b32_e32 v165, s68, v64
	s_or_b64 exec, exec, s[78:79]
	s_and_saveexec_b64 s[78:79], s[64:65]
	s_cbranch_execnz .LBB707_1123
.LBB707_1154:                           ;   in Loop: Header=BB707_982 Depth=2
	s_or_b64 exec, exec, s[78:79]
	s_and_saveexec_b64 s[78:79], s[66:67]
	s_cbranch_execz .LBB707_1156
.LBB707_1155:                           ;   in Loop: Header=BB707_982 Depth=2
	ds_read_b64 v[64:65], v104 offset:30720
	s_waitcnt lgkmcnt(0)
	v_lshrrev_b64 v[64:65], s84, v[64:65]
	v_and_b32_e32 v163, s68, v64
.LBB707_1156:                           ;   in Loop: Header=BB707_982 Depth=2
	s_or_b64 exec, exec, s[78:79]
	v_add_u32_e32 v64, 0x400, v96
	v_add_u32_e32 v65, 0x400, v97
	;; [unrolled: 1-line block ×16, first 2 shown]
	s_barrier
	s_waitcnt vmcnt(0)
	ds_write_b64 v64, v[62:63]
	ds_write_b64 v65, v[60:61]
	ds_write_b64 v67, v[58:59]
	ds_write_b64 v69, v[54:55]
	ds_write_b64 v70, v[50:51]
	ds_write_b64 v71, v[46:47]
	ds_write_b64 v73, v[42:43]
	ds_write_b64 v74, v[38:39]
	ds_write_b64 v75, v[56:57]
	ds_write_b64 v77, v[52:53]
	ds_write_b64 v78, v[48:49]
	ds_write_b64 v79, v[44:45]
	ds_write_b64 v80, v[40:41]
	ds_write_b64 v76, v[36:37]
	ds_write_b64 v72, v[34:35]
	ds_write_b64 v68, v[0:1]
	s_waitcnt lgkmcnt(0)
	s_barrier
	s_and_saveexec_b64 s[78:79], s[36:37]
	s_cbranch_execz .LBB707_1172
; %bb.1157:                             ;   in Loop: Header=BB707_982 Depth=2
	v_lshlrev_b32_e32 v64, 2, v180
	ds_read_b32 v68, v64
	ds_read_b64 v[64:65], v66 offset:1024
	v_mov_b32_e32 v67, v4
	v_mov_b32_e32 v69, s83
	s_waitcnt lgkmcnt(1)
	v_add_u32_e32 v66, v68, v2
	v_lshlrev_b64 v[66:67], 3, v[66:67]
	v_add_co_u32_e32 v66, vcc, s82, v66
	v_addc_co_u32_e32 v67, vcc, v69, v67, vcc
	s_waitcnt lgkmcnt(0)
	global_store_dwordx2 v[66:67], v[64:65], off
	s_or_b64 exec, exec, s[78:79]
	s_and_saveexec_b64 s[36:37], s[38:39]
	s_cbranch_execnz .LBB707_1173
.LBB707_1158:                           ;   in Loop: Header=BB707_982 Depth=2
	s_or_b64 exec, exec, s[36:37]
	s_and_saveexec_b64 s[36:37], s[40:41]
	s_cbranch_execz .LBB707_1174
.LBB707_1159:                           ;   in Loop: Header=BB707_982 Depth=2
	v_lshlrev_b32_e32 v64, 2, v177
	ds_read_b32 v66, v64
	ds_read_b64 v[64:65], v104 offset:4096
	v_mov_b32_e32 v67, v4
	v_mov_b32_e32 v68, s83
	s_waitcnt lgkmcnt(1)
	v_add_u32_e32 v66, v66, v6
	v_lshlrev_b64 v[66:67], 3, v[66:67]
	v_add_co_u32_e32 v66, vcc, s82, v66
	v_addc_co_u32_e32 v67, vcc, v68, v67, vcc
	s_waitcnt lgkmcnt(0)
	global_store_dwordx2 v[66:67], v[64:65], off
	s_or_b64 exec, exec, s[36:37]
	s_and_saveexec_b64 s[36:37], s[42:43]
	s_cbranch_execnz .LBB707_1175
.LBB707_1160:                           ;   in Loop: Header=BB707_982 Depth=2
	s_or_b64 exec, exec, s[36:37]
	s_and_saveexec_b64 s[36:37], s[44:45]
	s_cbranch_execz .LBB707_1176
.LBB707_1161:                           ;   in Loop: Header=BB707_982 Depth=2
	v_lshlrev_b32_e32 v64, 2, v174
	ds_read_b32 v66, v64
	ds_read_b64 v[64:65], v104 offset:8192
	v_mov_b32_e32 v67, v4
	v_mov_b32_e32 v68, s83
	s_waitcnt lgkmcnt(1)
	v_add_u32_e32 v66, v66, v10
	v_lshlrev_b64 v[66:67], 3, v[66:67]
	v_add_co_u32_e32 v66, vcc, s82, v66
	v_addc_co_u32_e32 v67, vcc, v68, v67, vcc
	s_waitcnt lgkmcnt(0)
	global_store_dwordx2 v[66:67], v[64:65], off
	s_or_b64 exec, exec, s[36:37]
	s_and_saveexec_b64 s[36:37], s[46:47]
	s_cbranch_execnz .LBB707_1177
.LBB707_1162:                           ;   in Loop: Header=BB707_982 Depth=2
	s_or_b64 exec, exec, s[36:37]
	s_and_saveexec_b64 s[36:37], s[48:49]
	s_cbranch_execz .LBB707_1178
.LBB707_1163:                           ;   in Loop: Header=BB707_982 Depth=2
	v_lshlrev_b32_e32 v64, 2, v172
	ds_read_b32 v66, v64
	ds_read_b64 v[64:65], v104 offset:12288
	v_mov_b32_e32 v67, v4
	v_mov_b32_e32 v68, s83
	s_waitcnt lgkmcnt(1)
	v_add_u32_e32 v66, v66, v14
	v_lshlrev_b64 v[66:67], 3, v[66:67]
	v_add_co_u32_e32 v66, vcc, s82, v66
	v_addc_co_u32_e32 v67, vcc, v68, v67, vcc
	s_waitcnt lgkmcnt(0)
	global_store_dwordx2 v[66:67], v[64:65], off
	s_or_b64 exec, exec, s[36:37]
	s_and_saveexec_b64 s[36:37], s[50:51]
	s_cbranch_execnz .LBB707_1179
.LBB707_1164:                           ;   in Loop: Header=BB707_982 Depth=2
	s_or_b64 exec, exec, s[36:37]
	s_and_saveexec_b64 s[36:37], s[52:53]
	s_cbranch_execz .LBB707_1180
.LBB707_1165:                           ;   in Loop: Header=BB707_982 Depth=2
	v_lshlrev_b32_e32 v64, 2, v170
	ds_read_b32 v66, v64
	ds_read_b64 v[64:65], v104 offset:16384
	v_mov_b32_e32 v67, v4
	v_mov_b32_e32 v68, s83
	s_waitcnt lgkmcnt(1)
	v_add_u32_e32 v66, v66, v18
	v_lshlrev_b64 v[66:67], 3, v[66:67]
	v_add_co_u32_e32 v66, vcc, s82, v66
	v_addc_co_u32_e32 v67, vcc, v68, v67, vcc
	s_waitcnt lgkmcnt(0)
	global_store_dwordx2 v[66:67], v[64:65], off
	s_or_b64 exec, exec, s[36:37]
	s_and_saveexec_b64 s[36:37], s[54:55]
	s_cbranch_execnz .LBB707_1181
.LBB707_1166:                           ;   in Loop: Header=BB707_982 Depth=2
	s_or_b64 exec, exec, s[36:37]
	s_and_saveexec_b64 s[36:37], s[56:57]
	s_cbranch_execz .LBB707_1182
.LBB707_1167:                           ;   in Loop: Header=BB707_982 Depth=2
	v_lshlrev_b32_e32 v64, 2, v168
	ds_read_b32 v66, v64
	ds_read_b64 v[64:65], v104 offset:20480
	v_mov_b32_e32 v67, v4
	v_mov_b32_e32 v68, s83
	s_waitcnt lgkmcnt(1)
	v_add_u32_e32 v66, v66, v22
	v_lshlrev_b64 v[66:67], 3, v[66:67]
	v_add_co_u32_e32 v66, vcc, s82, v66
	v_addc_co_u32_e32 v67, vcc, v68, v67, vcc
	s_waitcnt lgkmcnt(0)
	global_store_dwordx2 v[66:67], v[64:65], off
	s_or_b64 exec, exec, s[36:37]
	s_and_saveexec_b64 s[36:37], s[58:59]
	s_cbranch_execnz .LBB707_1183
.LBB707_1168:                           ;   in Loop: Header=BB707_982 Depth=2
	s_or_b64 exec, exec, s[36:37]
	s_and_saveexec_b64 s[36:37], s[60:61]
	s_cbranch_execz .LBB707_1184
.LBB707_1169:                           ;   in Loop: Header=BB707_982 Depth=2
	v_lshlrev_b32_e32 v64, 2, v166
	ds_read_b32 v66, v64
	ds_read_b64 v[64:65], v104 offset:24576
	v_mov_b32_e32 v67, v4
	v_mov_b32_e32 v68, s83
	s_waitcnt lgkmcnt(1)
	v_add_u32_e32 v66, v66, v26
	v_lshlrev_b64 v[66:67], 3, v[66:67]
	v_add_co_u32_e32 v66, vcc, s82, v66
	v_addc_co_u32_e32 v67, vcc, v68, v67, vcc
	s_waitcnt lgkmcnt(0)
	global_store_dwordx2 v[66:67], v[64:65], off
	s_or_b64 exec, exec, s[36:37]
	s_and_saveexec_b64 s[36:37], s[62:63]
	s_cbranch_execnz .LBB707_1185
.LBB707_1170:                           ;   in Loop: Header=BB707_982 Depth=2
	s_or_b64 exec, exec, s[36:37]
	s_and_saveexec_b64 s[36:37], s[64:65]
	s_cbranch_execz .LBB707_1186
.LBB707_1171:                           ;   in Loop: Header=BB707_982 Depth=2
	v_lshlrev_b32_e32 v64, 2, v164
	ds_read_b32 v66, v64
	ds_read_b64 v[64:65], v104 offset:28672
	v_mov_b32_e32 v67, v4
	v_mov_b32_e32 v68, s83
	s_waitcnt lgkmcnt(1)
	v_add_u32_e32 v66, v66, v30
	v_lshlrev_b64 v[66:67], 3, v[66:67]
	v_add_co_u32_e32 v66, vcc, s82, v66
	v_addc_co_u32_e32 v67, vcc, v68, v67, vcc
	s_waitcnt lgkmcnt(0)
	global_store_dwordx2 v[66:67], v[64:65], off
	s_or_b64 exec, exec, s[36:37]
	s_and_saveexec_b64 s[36:37], s[66:67]
	s_cbranch_execnz .LBB707_1187
	s_branch .LBB707_1188
.LBB707_1172:                           ;   in Loop: Header=BB707_982 Depth=2
	s_or_b64 exec, exec, s[78:79]
	s_and_saveexec_b64 s[36:37], s[38:39]
	s_cbranch_execz .LBB707_1158
.LBB707_1173:                           ;   in Loop: Header=BB707_982 Depth=2
	v_lshlrev_b32_e32 v64, 2, v178
	ds_read_b32 v66, v64
	ds_read_b64 v[64:65], v104 offset:2048
	v_mov_b32_e32 v67, v4
	v_mov_b32_e32 v68, s83
	s_waitcnt lgkmcnt(1)
	v_add_u32_e32 v66, v66, v7
	v_lshlrev_b64 v[66:67], 3, v[66:67]
	v_add_co_u32_e32 v66, vcc, s82, v66
	v_addc_co_u32_e32 v67, vcc, v68, v67, vcc
	s_waitcnt lgkmcnt(0)
	global_store_dwordx2 v[66:67], v[64:65], off
	s_or_b64 exec, exec, s[36:37]
	s_and_saveexec_b64 s[36:37], s[40:41]
	s_cbranch_execnz .LBB707_1159
.LBB707_1174:                           ;   in Loop: Header=BB707_982 Depth=2
	s_or_b64 exec, exec, s[36:37]
	s_and_saveexec_b64 s[36:37], s[42:43]
	s_cbranch_execz .LBB707_1160
.LBB707_1175:                           ;   in Loop: Header=BB707_982 Depth=2
	v_lshlrev_b32_e32 v64, 2, v175
	ds_read_b32 v66, v64
	ds_read_b64 v[64:65], v104 offset:6144
	v_mov_b32_e32 v67, v4
	v_mov_b32_e32 v68, s83
	s_waitcnt lgkmcnt(1)
	v_add_u32_e32 v66, v66, v8
	v_lshlrev_b64 v[66:67], 3, v[66:67]
	v_add_co_u32_e32 v66, vcc, s82, v66
	v_addc_co_u32_e32 v67, vcc, v68, v67, vcc
	s_waitcnt lgkmcnt(0)
	global_store_dwordx2 v[66:67], v[64:65], off
	s_or_b64 exec, exec, s[36:37]
	s_and_saveexec_b64 s[36:37], s[44:45]
	s_cbranch_execnz .LBB707_1161
.LBB707_1176:                           ;   in Loop: Header=BB707_982 Depth=2
	s_or_b64 exec, exec, s[36:37]
	s_and_saveexec_b64 s[36:37], s[46:47]
	s_cbranch_execz .LBB707_1162
.LBB707_1177:                           ;   in Loop: Header=BB707_982 Depth=2
	v_lshlrev_b32_e32 v64, 2, v173
	ds_read_b32 v66, v64
	ds_read_b64 v[64:65], v104 offset:10240
	v_mov_b32_e32 v67, v4
	v_mov_b32_e32 v68, s83
	s_waitcnt lgkmcnt(1)
	v_add_u32_e32 v66, v66, v12
	v_lshlrev_b64 v[66:67], 3, v[66:67]
	v_add_co_u32_e32 v66, vcc, s82, v66
	v_addc_co_u32_e32 v67, vcc, v68, v67, vcc
	s_waitcnt lgkmcnt(0)
	global_store_dwordx2 v[66:67], v[64:65], off
	s_or_b64 exec, exec, s[36:37]
	s_and_saveexec_b64 s[36:37], s[48:49]
	s_cbranch_execnz .LBB707_1163
.LBB707_1178:                           ;   in Loop: Header=BB707_982 Depth=2
	s_or_b64 exec, exec, s[36:37]
	s_and_saveexec_b64 s[36:37], s[50:51]
	s_cbranch_execz .LBB707_1164
.LBB707_1179:                           ;   in Loop: Header=BB707_982 Depth=2
	v_lshlrev_b32_e32 v64, 2, v171
	ds_read_b32 v66, v64
	ds_read_b64 v[64:65], v104 offset:14336
	v_mov_b32_e32 v67, v4
	v_mov_b32_e32 v68, s83
	s_waitcnt lgkmcnt(1)
	v_add_u32_e32 v66, v66, v16
	v_lshlrev_b64 v[66:67], 3, v[66:67]
	v_add_co_u32_e32 v66, vcc, s82, v66
	v_addc_co_u32_e32 v67, vcc, v68, v67, vcc
	s_waitcnt lgkmcnt(0)
	global_store_dwordx2 v[66:67], v[64:65], off
	s_or_b64 exec, exec, s[36:37]
	s_and_saveexec_b64 s[36:37], s[52:53]
	s_cbranch_execnz .LBB707_1165
.LBB707_1180:                           ;   in Loop: Header=BB707_982 Depth=2
	s_or_b64 exec, exec, s[36:37]
	s_and_saveexec_b64 s[36:37], s[54:55]
	s_cbranch_execz .LBB707_1166
.LBB707_1181:                           ;   in Loop: Header=BB707_982 Depth=2
	v_lshlrev_b32_e32 v64, 2, v169
	ds_read_b32 v66, v64
	ds_read_b64 v[64:65], v104 offset:18432
	v_mov_b32_e32 v67, v4
	v_mov_b32_e32 v68, s83
	s_waitcnt lgkmcnt(1)
	v_add_u32_e32 v66, v66, v20
	v_lshlrev_b64 v[66:67], 3, v[66:67]
	v_add_co_u32_e32 v66, vcc, s82, v66
	v_addc_co_u32_e32 v67, vcc, v68, v67, vcc
	s_waitcnt lgkmcnt(0)
	global_store_dwordx2 v[66:67], v[64:65], off
	s_or_b64 exec, exec, s[36:37]
	s_and_saveexec_b64 s[36:37], s[56:57]
	s_cbranch_execnz .LBB707_1167
.LBB707_1182:                           ;   in Loop: Header=BB707_982 Depth=2
	s_or_b64 exec, exec, s[36:37]
	s_and_saveexec_b64 s[36:37], s[58:59]
	s_cbranch_execz .LBB707_1168
.LBB707_1183:                           ;   in Loop: Header=BB707_982 Depth=2
	v_lshlrev_b32_e32 v64, 2, v167
	ds_read_b32 v66, v64
	ds_read_b64 v[64:65], v104 offset:22528
	v_mov_b32_e32 v67, v4
	v_mov_b32_e32 v68, s83
	s_waitcnt lgkmcnt(1)
	v_add_u32_e32 v66, v66, v24
	v_lshlrev_b64 v[66:67], 3, v[66:67]
	v_add_co_u32_e32 v66, vcc, s82, v66
	v_addc_co_u32_e32 v67, vcc, v68, v67, vcc
	s_waitcnt lgkmcnt(0)
	global_store_dwordx2 v[66:67], v[64:65], off
	s_or_b64 exec, exec, s[36:37]
	s_and_saveexec_b64 s[36:37], s[60:61]
	s_cbranch_execnz .LBB707_1169
.LBB707_1184:                           ;   in Loop: Header=BB707_982 Depth=2
	s_or_b64 exec, exec, s[36:37]
	s_and_saveexec_b64 s[36:37], s[62:63]
	s_cbranch_execz .LBB707_1170
.LBB707_1185:                           ;   in Loop: Header=BB707_982 Depth=2
	v_lshlrev_b32_e32 v64, 2, v165
	ds_read_b32 v66, v64
	ds_read_b64 v[64:65], v104 offset:26624
	v_mov_b32_e32 v67, v4
	v_mov_b32_e32 v68, s83
	s_waitcnt lgkmcnt(1)
	v_add_u32_e32 v66, v66, v28
	v_lshlrev_b64 v[66:67], 3, v[66:67]
	v_add_co_u32_e32 v66, vcc, s82, v66
	v_addc_co_u32_e32 v67, vcc, v68, v67, vcc
	s_waitcnt lgkmcnt(0)
	global_store_dwordx2 v[66:67], v[64:65], off
	s_or_b64 exec, exec, s[36:37]
	s_and_saveexec_b64 s[36:37], s[64:65]
	s_cbranch_execnz .LBB707_1171
.LBB707_1186:                           ;   in Loop: Header=BB707_982 Depth=2
	s_or_b64 exec, exec, s[36:37]
	s_and_saveexec_b64 s[36:37], s[66:67]
	s_cbranch_execz .LBB707_1188
.LBB707_1187:                           ;   in Loop: Header=BB707_982 Depth=2
	v_lshlrev_b32_e32 v64, 2, v163
	ds_read_b32 v66, v64
	ds_read_b64 v[64:65], v104 offset:30720
	v_mov_b32_e32 v67, v4
	v_mov_b32_e32 v68, s83
	s_waitcnt lgkmcnt(1)
	v_add_u32_e32 v66, v66, v32
	v_lshlrev_b64 v[66:67], 3, v[66:67]
	v_add_co_u32_e32 v66, vcc, s82, v66
	v_addc_co_u32_e32 v67, vcc, v68, v67, vcc
	s_waitcnt lgkmcnt(0)
	global_store_dwordx2 v[66:67], v[64:65], off
.LBB707_1188:                           ;   in Loop: Header=BB707_982 Depth=2
	s_or_b64 exec, exec, s[36:37]
	s_barrier
	s_and_saveexec_b64 s[36:37], s[4:5]
	s_cbranch_execz .LBB707_981
; %bb.1189:                             ;   in Loop: Header=BB707_982 Depth=2
	ds_read_b32 v64, v3
	s_waitcnt lgkmcnt(0)
	v_add_u32_e32 v5, v64, v5
	ds_write_b32 v3, v5
	s_branch .LBB707_981
.LBB707_1190:
	s_endpgm
	.section	.rodata,"a",@progbits
	.p2align	6, 0x0
	.amdhsa_kernel _ZN7rocprim17ROCPRIM_400000_NS6detail17trampoline_kernelINS0_14default_configENS1_36segmented_radix_sort_config_selectorIllEEZNS1_25segmented_radix_sort_implIS3_Lb1EPKlPlS8_S9_N2at6native12_GLOBAL__N_18offset_tEEE10hipError_tPvRmT1_PNSt15iterator_traitsISH_E10value_typeET2_T3_PNSI_ISN_E10value_typeET4_jRbjT5_ST_jjP12ihipStream_tbEUlT_E_NS1_11comp_targetILNS1_3genE4ELNS1_11target_archE910ELNS1_3gpuE8ELNS1_3repE0EEENS1_30default_config_static_selectorELNS0_4arch9wavefront6targetE1EEEvSH_
		.amdhsa_group_segment_fixed_size 33808
		.amdhsa_private_segment_fixed_size 128
		.amdhsa_kernarg_size 352
		.amdhsa_user_sgpr_count 8
		.amdhsa_user_sgpr_private_segment_buffer 1
		.amdhsa_user_sgpr_dispatch_ptr 0
		.amdhsa_user_sgpr_queue_ptr 0
		.amdhsa_user_sgpr_kernarg_segment_ptr 1
		.amdhsa_user_sgpr_dispatch_id 0
		.amdhsa_user_sgpr_flat_scratch_init 1
		.amdhsa_user_sgpr_kernarg_preload_length 0
		.amdhsa_user_sgpr_kernarg_preload_offset 0
		.amdhsa_user_sgpr_private_segment_size 0
		.amdhsa_uses_dynamic_stack 0
		.amdhsa_system_sgpr_private_segment_wavefront_offset 1
		.amdhsa_system_sgpr_workgroup_id_x 1
		.amdhsa_system_sgpr_workgroup_id_y 1
		.amdhsa_system_sgpr_workgroup_id_z 0
		.amdhsa_system_sgpr_workgroup_info 0
		.amdhsa_system_vgpr_workitem_id 2
		.amdhsa_next_free_vgpr 280
		.amdhsa_next_free_sgpr 100
		.amdhsa_accum_offset 248
		.amdhsa_reserve_vcc 1
		.amdhsa_reserve_flat_scratch 1
		.amdhsa_float_round_mode_32 0
		.amdhsa_float_round_mode_16_64 0
		.amdhsa_float_denorm_mode_32 3
		.amdhsa_float_denorm_mode_16_64 3
		.amdhsa_dx10_clamp 1
		.amdhsa_ieee_mode 1
		.amdhsa_fp16_overflow 0
		.amdhsa_tg_split 0
		.amdhsa_exception_fp_ieee_invalid_op 0
		.amdhsa_exception_fp_denorm_src 0
		.amdhsa_exception_fp_ieee_div_zero 0
		.amdhsa_exception_fp_ieee_overflow 0
		.amdhsa_exception_fp_ieee_underflow 0
		.amdhsa_exception_fp_ieee_inexact 0
		.amdhsa_exception_int_div_zero 0
	.end_amdhsa_kernel
	.section	.text._ZN7rocprim17ROCPRIM_400000_NS6detail17trampoline_kernelINS0_14default_configENS1_36segmented_radix_sort_config_selectorIllEEZNS1_25segmented_radix_sort_implIS3_Lb1EPKlPlS8_S9_N2at6native12_GLOBAL__N_18offset_tEEE10hipError_tPvRmT1_PNSt15iterator_traitsISH_E10value_typeET2_T3_PNSI_ISN_E10value_typeET4_jRbjT5_ST_jjP12ihipStream_tbEUlT_E_NS1_11comp_targetILNS1_3genE4ELNS1_11target_archE910ELNS1_3gpuE8ELNS1_3repE0EEENS1_30default_config_static_selectorELNS0_4arch9wavefront6targetE1EEEvSH_,"axG",@progbits,_ZN7rocprim17ROCPRIM_400000_NS6detail17trampoline_kernelINS0_14default_configENS1_36segmented_radix_sort_config_selectorIllEEZNS1_25segmented_radix_sort_implIS3_Lb1EPKlPlS8_S9_N2at6native12_GLOBAL__N_18offset_tEEE10hipError_tPvRmT1_PNSt15iterator_traitsISH_E10value_typeET2_T3_PNSI_ISN_E10value_typeET4_jRbjT5_ST_jjP12ihipStream_tbEUlT_E_NS1_11comp_targetILNS1_3genE4ELNS1_11target_archE910ELNS1_3gpuE8ELNS1_3repE0EEENS1_30default_config_static_selectorELNS0_4arch9wavefront6targetE1EEEvSH_,comdat
.Lfunc_end707:
	.size	_ZN7rocprim17ROCPRIM_400000_NS6detail17trampoline_kernelINS0_14default_configENS1_36segmented_radix_sort_config_selectorIllEEZNS1_25segmented_radix_sort_implIS3_Lb1EPKlPlS8_S9_N2at6native12_GLOBAL__N_18offset_tEEE10hipError_tPvRmT1_PNSt15iterator_traitsISH_E10value_typeET2_T3_PNSI_ISN_E10value_typeET4_jRbjT5_ST_jjP12ihipStream_tbEUlT_E_NS1_11comp_targetILNS1_3genE4ELNS1_11target_archE910ELNS1_3gpuE8ELNS1_3repE0EEENS1_30default_config_static_selectorELNS0_4arch9wavefront6targetE1EEEvSH_, .Lfunc_end707-_ZN7rocprim17ROCPRIM_400000_NS6detail17trampoline_kernelINS0_14default_configENS1_36segmented_radix_sort_config_selectorIllEEZNS1_25segmented_radix_sort_implIS3_Lb1EPKlPlS8_S9_N2at6native12_GLOBAL__N_18offset_tEEE10hipError_tPvRmT1_PNSt15iterator_traitsISH_E10value_typeET2_T3_PNSI_ISN_E10value_typeET4_jRbjT5_ST_jjP12ihipStream_tbEUlT_E_NS1_11comp_targetILNS1_3genE4ELNS1_11target_archE910ELNS1_3gpuE8ELNS1_3repE0EEENS1_30default_config_static_selectorELNS0_4arch9wavefront6targetE1EEEvSH_
                                        ; -- End function
	.section	.AMDGPU.csdata,"",@progbits
; Kernel info:
; codeLenInByte = 67352
; NumSgprs: 106
; NumVgprs: 248
; NumAgprs: 32
; TotalNumVgprs: 280
; ScratchSize: 128
; MemoryBound: 0
; FloatMode: 240
; IeeeMode: 1
; LDSByteSize: 33808 bytes/workgroup (compile time only)
; SGPRBlocks: 13
; VGPRBlocks: 34
; NumSGPRsForWavesPerEU: 106
; NumVGPRsForWavesPerEU: 280
; AccumOffset: 248
; Occupancy: 1
; WaveLimiterHint : 1
; COMPUTE_PGM_RSRC2:SCRATCH_EN: 1
; COMPUTE_PGM_RSRC2:USER_SGPR: 8
; COMPUTE_PGM_RSRC2:TRAP_HANDLER: 0
; COMPUTE_PGM_RSRC2:TGID_X_EN: 1
; COMPUTE_PGM_RSRC2:TGID_Y_EN: 1
; COMPUTE_PGM_RSRC2:TGID_Z_EN: 0
; COMPUTE_PGM_RSRC2:TIDIG_COMP_CNT: 2
; COMPUTE_PGM_RSRC3_GFX90A:ACCUM_OFFSET: 61
; COMPUTE_PGM_RSRC3_GFX90A:TG_SPLIT: 0
	.section	.text._ZN7rocprim17ROCPRIM_400000_NS6detail17trampoline_kernelINS0_14default_configENS1_36segmented_radix_sort_config_selectorIllEEZNS1_25segmented_radix_sort_implIS3_Lb1EPKlPlS8_S9_N2at6native12_GLOBAL__N_18offset_tEEE10hipError_tPvRmT1_PNSt15iterator_traitsISH_E10value_typeET2_T3_PNSI_ISN_E10value_typeET4_jRbjT5_ST_jjP12ihipStream_tbEUlT_E_NS1_11comp_targetILNS1_3genE3ELNS1_11target_archE908ELNS1_3gpuE7ELNS1_3repE0EEENS1_30default_config_static_selectorELNS0_4arch9wavefront6targetE1EEEvSH_,"axG",@progbits,_ZN7rocprim17ROCPRIM_400000_NS6detail17trampoline_kernelINS0_14default_configENS1_36segmented_radix_sort_config_selectorIllEEZNS1_25segmented_radix_sort_implIS3_Lb1EPKlPlS8_S9_N2at6native12_GLOBAL__N_18offset_tEEE10hipError_tPvRmT1_PNSt15iterator_traitsISH_E10value_typeET2_T3_PNSI_ISN_E10value_typeET4_jRbjT5_ST_jjP12ihipStream_tbEUlT_E_NS1_11comp_targetILNS1_3genE3ELNS1_11target_archE908ELNS1_3gpuE7ELNS1_3repE0EEENS1_30default_config_static_selectorELNS0_4arch9wavefront6targetE1EEEvSH_,comdat
	.globl	_ZN7rocprim17ROCPRIM_400000_NS6detail17trampoline_kernelINS0_14default_configENS1_36segmented_radix_sort_config_selectorIllEEZNS1_25segmented_radix_sort_implIS3_Lb1EPKlPlS8_S9_N2at6native12_GLOBAL__N_18offset_tEEE10hipError_tPvRmT1_PNSt15iterator_traitsISH_E10value_typeET2_T3_PNSI_ISN_E10value_typeET4_jRbjT5_ST_jjP12ihipStream_tbEUlT_E_NS1_11comp_targetILNS1_3genE3ELNS1_11target_archE908ELNS1_3gpuE7ELNS1_3repE0EEENS1_30default_config_static_selectorELNS0_4arch9wavefront6targetE1EEEvSH_ ; -- Begin function _ZN7rocprim17ROCPRIM_400000_NS6detail17trampoline_kernelINS0_14default_configENS1_36segmented_radix_sort_config_selectorIllEEZNS1_25segmented_radix_sort_implIS3_Lb1EPKlPlS8_S9_N2at6native12_GLOBAL__N_18offset_tEEE10hipError_tPvRmT1_PNSt15iterator_traitsISH_E10value_typeET2_T3_PNSI_ISN_E10value_typeET4_jRbjT5_ST_jjP12ihipStream_tbEUlT_E_NS1_11comp_targetILNS1_3genE3ELNS1_11target_archE908ELNS1_3gpuE7ELNS1_3repE0EEENS1_30default_config_static_selectorELNS0_4arch9wavefront6targetE1EEEvSH_
	.p2align	8
	.type	_ZN7rocprim17ROCPRIM_400000_NS6detail17trampoline_kernelINS0_14default_configENS1_36segmented_radix_sort_config_selectorIllEEZNS1_25segmented_radix_sort_implIS3_Lb1EPKlPlS8_S9_N2at6native12_GLOBAL__N_18offset_tEEE10hipError_tPvRmT1_PNSt15iterator_traitsISH_E10value_typeET2_T3_PNSI_ISN_E10value_typeET4_jRbjT5_ST_jjP12ihipStream_tbEUlT_E_NS1_11comp_targetILNS1_3genE3ELNS1_11target_archE908ELNS1_3gpuE7ELNS1_3repE0EEENS1_30default_config_static_selectorELNS0_4arch9wavefront6targetE1EEEvSH_,@function
_ZN7rocprim17ROCPRIM_400000_NS6detail17trampoline_kernelINS0_14default_configENS1_36segmented_radix_sort_config_selectorIllEEZNS1_25segmented_radix_sort_implIS3_Lb1EPKlPlS8_S9_N2at6native12_GLOBAL__N_18offset_tEEE10hipError_tPvRmT1_PNSt15iterator_traitsISH_E10value_typeET2_T3_PNSI_ISN_E10value_typeET4_jRbjT5_ST_jjP12ihipStream_tbEUlT_E_NS1_11comp_targetILNS1_3genE3ELNS1_11target_archE908ELNS1_3gpuE7ELNS1_3repE0EEENS1_30default_config_static_selectorELNS0_4arch9wavefront6targetE1EEEvSH_: ; @_ZN7rocprim17ROCPRIM_400000_NS6detail17trampoline_kernelINS0_14default_configENS1_36segmented_radix_sort_config_selectorIllEEZNS1_25segmented_radix_sort_implIS3_Lb1EPKlPlS8_S9_N2at6native12_GLOBAL__N_18offset_tEEE10hipError_tPvRmT1_PNSt15iterator_traitsISH_E10value_typeET2_T3_PNSI_ISN_E10value_typeET4_jRbjT5_ST_jjP12ihipStream_tbEUlT_E_NS1_11comp_targetILNS1_3genE3ELNS1_11target_archE908ELNS1_3gpuE7ELNS1_3repE0EEENS1_30default_config_static_selectorELNS0_4arch9wavefront6targetE1EEEvSH_
; %bb.0:
	.section	.rodata,"a",@progbits
	.p2align	6, 0x0
	.amdhsa_kernel _ZN7rocprim17ROCPRIM_400000_NS6detail17trampoline_kernelINS0_14default_configENS1_36segmented_radix_sort_config_selectorIllEEZNS1_25segmented_radix_sort_implIS3_Lb1EPKlPlS8_S9_N2at6native12_GLOBAL__N_18offset_tEEE10hipError_tPvRmT1_PNSt15iterator_traitsISH_E10value_typeET2_T3_PNSI_ISN_E10value_typeET4_jRbjT5_ST_jjP12ihipStream_tbEUlT_E_NS1_11comp_targetILNS1_3genE3ELNS1_11target_archE908ELNS1_3gpuE7ELNS1_3repE0EEENS1_30default_config_static_selectorELNS0_4arch9wavefront6targetE1EEEvSH_
		.amdhsa_group_segment_fixed_size 0
		.amdhsa_private_segment_fixed_size 0
		.amdhsa_kernarg_size 96
		.amdhsa_user_sgpr_count 6
		.amdhsa_user_sgpr_private_segment_buffer 1
		.amdhsa_user_sgpr_dispatch_ptr 0
		.amdhsa_user_sgpr_queue_ptr 0
		.amdhsa_user_sgpr_kernarg_segment_ptr 1
		.amdhsa_user_sgpr_dispatch_id 0
		.amdhsa_user_sgpr_flat_scratch_init 0
		.amdhsa_user_sgpr_kernarg_preload_length 0
		.amdhsa_user_sgpr_kernarg_preload_offset 0
		.amdhsa_user_sgpr_private_segment_size 0
		.amdhsa_uses_dynamic_stack 0
		.amdhsa_system_sgpr_private_segment_wavefront_offset 0
		.amdhsa_system_sgpr_workgroup_id_x 1
		.amdhsa_system_sgpr_workgroup_id_y 0
		.amdhsa_system_sgpr_workgroup_id_z 0
		.amdhsa_system_sgpr_workgroup_info 0
		.amdhsa_system_vgpr_workitem_id 0
		.amdhsa_next_free_vgpr 1
		.amdhsa_next_free_sgpr 0
		.amdhsa_accum_offset 4
		.amdhsa_reserve_vcc 0
		.amdhsa_reserve_flat_scratch 0
		.amdhsa_float_round_mode_32 0
		.amdhsa_float_round_mode_16_64 0
		.amdhsa_float_denorm_mode_32 3
		.amdhsa_float_denorm_mode_16_64 3
		.amdhsa_dx10_clamp 1
		.amdhsa_ieee_mode 1
		.amdhsa_fp16_overflow 0
		.amdhsa_tg_split 0
		.amdhsa_exception_fp_ieee_invalid_op 0
		.amdhsa_exception_fp_denorm_src 0
		.amdhsa_exception_fp_ieee_div_zero 0
		.amdhsa_exception_fp_ieee_overflow 0
		.amdhsa_exception_fp_ieee_underflow 0
		.amdhsa_exception_fp_ieee_inexact 0
		.amdhsa_exception_int_div_zero 0
	.end_amdhsa_kernel
	.section	.text._ZN7rocprim17ROCPRIM_400000_NS6detail17trampoline_kernelINS0_14default_configENS1_36segmented_radix_sort_config_selectorIllEEZNS1_25segmented_radix_sort_implIS3_Lb1EPKlPlS8_S9_N2at6native12_GLOBAL__N_18offset_tEEE10hipError_tPvRmT1_PNSt15iterator_traitsISH_E10value_typeET2_T3_PNSI_ISN_E10value_typeET4_jRbjT5_ST_jjP12ihipStream_tbEUlT_E_NS1_11comp_targetILNS1_3genE3ELNS1_11target_archE908ELNS1_3gpuE7ELNS1_3repE0EEENS1_30default_config_static_selectorELNS0_4arch9wavefront6targetE1EEEvSH_,"axG",@progbits,_ZN7rocprim17ROCPRIM_400000_NS6detail17trampoline_kernelINS0_14default_configENS1_36segmented_radix_sort_config_selectorIllEEZNS1_25segmented_radix_sort_implIS3_Lb1EPKlPlS8_S9_N2at6native12_GLOBAL__N_18offset_tEEE10hipError_tPvRmT1_PNSt15iterator_traitsISH_E10value_typeET2_T3_PNSI_ISN_E10value_typeET4_jRbjT5_ST_jjP12ihipStream_tbEUlT_E_NS1_11comp_targetILNS1_3genE3ELNS1_11target_archE908ELNS1_3gpuE7ELNS1_3repE0EEENS1_30default_config_static_selectorELNS0_4arch9wavefront6targetE1EEEvSH_,comdat
.Lfunc_end708:
	.size	_ZN7rocprim17ROCPRIM_400000_NS6detail17trampoline_kernelINS0_14default_configENS1_36segmented_radix_sort_config_selectorIllEEZNS1_25segmented_radix_sort_implIS3_Lb1EPKlPlS8_S9_N2at6native12_GLOBAL__N_18offset_tEEE10hipError_tPvRmT1_PNSt15iterator_traitsISH_E10value_typeET2_T3_PNSI_ISN_E10value_typeET4_jRbjT5_ST_jjP12ihipStream_tbEUlT_E_NS1_11comp_targetILNS1_3genE3ELNS1_11target_archE908ELNS1_3gpuE7ELNS1_3repE0EEENS1_30default_config_static_selectorELNS0_4arch9wavefront6targetE1EEEvSH_, .Lfunc_end708-_ZN7rocprim17ROCPRIM_400000_NS6detail17trampoline_kernelINS0_14default_configENS1_36segmented_radix_sort_config_selectorIllEEZNS1_25segmented_radix_sort_implIS3_Lb1EPKlPlS8_S9_N2at6native12_GLOBAL__N_18offset_tEEE10hipError_tPvRmT1_PNSt15iterator_traitsISH_E10value_typeET2_T3_PNSI_ISN_E10value_typeET4_jRbjT5_ST_jjP12ihipStream_tbEUlT_E_NS1_11comp_targetILNS1_3genE3ELNS1_11target_archE908ELNS1_3gpuE7ELNS1_3repE0EEENS1_30default_config_static_selectorELNS0_4arch9wavefront6targetE1EEEvSH_
                                        ; -- End function
	.section	.AMDGPU.csdata,"",@progbits
; Kernel info:
; codeLenInByte = 0
; NumSgprs: 4
; NumVgprs: 0
; NumAgprs: 0
; TotalNumVgprs: 0
; ScratchSize: 0
; MemoryBound: 0
; FloatMode: 240
; IeeeMode: 1
; LDSByteSize: 0 bytes/workgroup (compile time only)
; SGPRBlocks: 0
; VGPRBlocks: 0
; NumSGPRsForWavesPerEU: 4
; NumVGPRsForWavesPerEU: 1
; AccumOffset: 4
; Occupancy: 8
; WaveLimiterHint : 0
; COMPUTE_PGM_RSRC2:SCRATCH_EN: 0
; COMPUTE_PGM_RSRC2:USER_SGPR: 6
; COMPUTE_PGM_RSRC2:TRAP_HANDLER: 0
; COMPUTE_PGM_RSRC2:TGID_X_EN: 1
; COMPUTE_PGM_RSRC2:TGID_Y_EN: 0
; COMPUTE_PGM_RSRC2:TGID_Z_EN: 0
; COMPUTE_PGM_RSRC2:TIDIG_COMP_CNT: 0
; COMPUTE_PGM_RSRC3_GFX90A:ACCUM_OFFSET: 0
; COMPUTE_PGM_RSRC3_GFX90A:TG_SPLIT: 0
	.section	.text._ZN7rocprim17ROCPRIM_400000_NS6detail17trampoline_kernelINS0_14default_configENS1_36segmented_radix_sort_config_selectorIllEEZNS1_25segmented_radix_sort_implIS3_Lb1EPKlPlS8_S9_N2at6native12_GLOBAL__N_18offset_tEEE10hipError_tPvRmT1_PNSt15iterator_traitsISH_E10value_typeET2_T3_PNSI_ISN_E10value_typeET4_jRbjT5_ST_jjP12ihipStream_tbEUlT_E_NS1_11comp_targetILNS1_3genE2ELNS1_11target_archE906ELNS1_3gpuE6ELNS1_3repE0EEENS1_30default_config_static_selectorELNS0_4arch9wavefront6targetE1EEEvSH_,"axG",@progbits,_ZN7rocprim17ROCPRIM_400000_NS6detail17trampoline_kernelINS0_14default_configENS1_36segmented_radix_sort_config_selectorIllEEZNS1_25segmented_radix_sort_implIS3_Lb1EPKlPlS8_S9_N2at6native12_GLOBAL__N_18offset_tEEE10hipError_tPvRmT1_PNSt15iterator_traitsISH_E10value_typeET2_T3_PNSI_ISN_E10value_typeET4_jRbjT5_ST_jjP12ihipStream_tbEUlT_E_NS1_11comp_targetILNS1_3genE2ELNS1_11target_archE906ELNS1_3gpuE6ELNS1_3repE0EEENS1_30default_config_static_selectorELNS0_4arch9wavefront6targetE1EEEvSH_,comdat
	.globl	_ZN7rocprim17ROCPRIM_400000_NS6detail17trampoline_kernelINS0_14default_configENS1_36segmented_radix_sort_config_selectorIllEEZNS1_25segmented_radix_sort_implIS3_Lb1EPKlPlS8_S9_N2at6native12_GLOBAL__N_18offset_tEEE10hipError_tPvRmT1_PNSt15iterator_traitsISH_E10value_typeET2_T3_PNSI_ISN_E10value_typeET4_jRbjT5_ST_jjP12ihipStream_tbEUlT_E_NS1_11comp_targetILNS1_3genE2ELNS1_11target_archE906ELNS1_3gpuE6ELNS1_3repE0EEENS1_30default_config_static_selectorELNS0_4arch9wavefront6targetE1EEEvSH_ ; -- Begin function _ZN7rocprim17ROCPRIM_400000_NS6detail17trampoline_kernelINS0_14default_configENS1_36segmented_radix_sort_config_selectorIllEEZNS1_25segmented_radix_sort_implIS3_Lb1EPKlPlS8_S9_N2at6native12_GLOBAL__N_18offset_tEEE10hipError_tPvRmT1_PNSt15iterator_traitsISH_E10value_typeET2_T3_PNSI_ISN_E10value_typeET4_jRbjT5_ST_jjP12ihipStream_tbEUlT_E_NS1_11comp_targetILNS1_3genE2ELNS1_11target_archE906ELNS1_3gpuE6ELNS1_3repE0EEENS1_30default_config_static_selectorELNS0_4arch9wavefront6targetE1EEEvSH_
	.p2align	8
	.type	_ZN7rocprim17ROCPRIM_400000_NS6detail17trampoline_kernelINS0_14default_configENS1_36segmented_radix_sort_config_selectorIllEEZNS1_25segmented_radix_sort_implIS3_Lb1EPKlPlS8_S9_N2at6native12_GLOBAL__N_18offset_tEEE10hipError_tPvRmT1_PNSt15iterator_traitsISH_E10value_typeET2_T3_PNSI_ISN_E10value_typeET4_jRbjT5_ST_jjP12ihipStream_tbEUlT_E_NS1_11comp_targetILNS1_3genE2ELNS1_11target_archE906ELNS1_3gpuE6ELNS1_3repE0EEENS1_30default_config_static_selectorELNS0_4arch9wavefront6targetE1EEEvSH_,@function
_ZN7rocprim17ROCPRIM_400000_NS6detail17trampoline_kernelINS0_14default_configENS1_36segmented_radix_sort_config_selectorIllEEZNS1_25segmented_radix_sort_implIS3_Lb1EPKlPlS8_S9_N2at6native12_GLOBAL__N_18offset_tEEE10hipError_tPvRmT1_PNSt15iterator_traitsISH_E10value_typeET2_T3_PNSI_ISN_E10value_typeET4_jRbjT5_ST_jjP12ihipStream_tbEUlT_E_NS1_11comp_targetILNS1_3genE2ELNS1_11target_archE906ELNS1_3gpuE6ELNS1_3repE0EEENS1_30default_config_static_selectorELNS0_4arch9wavefront6targetE1EEEvSH_: ; @_ZN7rocprim17ROCPRIM_400000_NS6detail17trampoline_kernelINS0_14default_configENS1_36segmented_radix_sort_config_selectorIllEEZNS1_25segmented_radix_sort_implIS3_Lb1EPKlPlS8_S9_N2at6native12_GLOBAL__N_18offset_tEEE10hipError_tPvRmT1_PNSt15iterator_traitsISH_E10value_typeET2_T3_PNSI_ISN_E10value_typeET4_jRbjT5_ST_jjP12ihipStream_tbEUlT_E_NS1_11comp_targetILNS1_3genE2ELNS1_11target_archE906ELNS1_3gpuE6ELNS1_3repE0EEENS1_30default_config_static_selectorELNS0_4arch9wavefront6targetE1EEEvSH_
; %bb.0:
	.section	.rodata,"a",@progbits
	.p2align	6, 0x0
	.amdhsa_kernel _ZN7rocprim17ROCPRIM_400000_NS6detail17trampoline_kernelINS0_14default_configENS1_36segmented_radix_sort_config_selectorIllEEZNS1_25segmented_radix_sort_implIS3_Lb1EPKlPlS8_S9_N2at6native12_GLOBAL__N_18offset_tEEE10hipError_tPvRmT1_PNSt15iterator_traitsISH_E10value_typeET2_T3_PNSI_ISN_E10value_typeET4_jRbjT5_ST_jjP12ihipStream_tbEUlT_E_NS1_11comp_targetILNS1_3genE2ELNS1_11target_archE906ELNS1_3gpuE6ELNS1_3repE0EEENS1_30default_config_static_selectorELNS0_4arch9wavefront6targetE1EEEvSH_
		.amdhsa_group_segment_fixed_size 0
		.amdhsa_private_segment_fixed_size 0
		.amdhsa_kernarg_size 96
		.amdhsa_user_sgpr_count 6
		.amdhsa_user_sgpr_private_segment_buffer 1
		.amdhsa_user_sgpr_dispatch_ptr 0
		.amdhsa_user_sgpr_queue_ptr 0
		.amdhsa_user_sgpr_kernarg_segment_ptr 1
		.amdhsa_user_sgpr_dispatch_id 0
		.amdhsa_user_sgpr_flat_scratch_init 0
		.amdhsa_user_sgpr_kernarg_preload_length 0
		.amdhsa_user_sgpr_kernarg_preload_offset 0
		.amdhsa_user_sgpr_private_segment_size 0
		.amdhsa_uses_dynamic_stack 0
		.amdhsa_system_sgpr_private_segment_wavefront_offset 0
		.amdhsa_system_sgpr_workgroup_id_x 1
		.amdhsa_system_sgpr_workgroup_id_y 0
		.amdhsa_system_sgpr_workgroup_id_z 0
		.amdhsa_system_sgpr_workgroup_info 0
		.amdhsa_system_vgpr_workitem_id 0
		.amdhsa_next_free_vgpr 1
		.amdhsa_next_free_sgpr 0
		.amdhsa_accum_offset 4
		.amdhsa_reserve_vcc 0
		.amdhsa_reserve_flat_scratch 0
		.amdhsa_float_round_mode_32 0
		.amdhsa_float_round_mode_16_64 0
		.amdhsa_float_denorm_mode_32 3
		.amdhsa_float_denorm_mode_16_64 3
		.amdhsa_dx10_clamp 1
		.amdhsa_ieee_mode 1
		.amdhsa_fp16_overflow 0
		.amdhsa_tg_split 0
		.amdhsa_exception_fp_ieee_invalid_op 0
		.amdhsa_exception_fp_denorm_src 0
		.amdhsa_exception_fp_ieee_div_zero 0
		.amdhsa_exception_fp_ieee_overflow 0
		.amdhsa_exception_fp_ieee_underflow 0
		.amdhsa_exception_fp_ieee_inexact 0
		.amdhsa_exception_int_div_zero 0
	.end_amdhsa_kernel
	.section	.text._ZN7rocprim17ROCPRIM_400000_NS6detail17trampoline_kernelINS0_14default_configENS1_36segmented_radix_sort_config_selectorIllEEZNS1_25segmented_radix_sort_implIS3_Lb1EPKlPlS8_S9_N2at6native12_GLOBAL__N_18offset_tEEE10hipError_tPvRmT1_PNSt15iterator_traitsISH_E10value_typeET2_T3_PNSI_ISN_E10value_typeET4_jRbjT5_ST_jjP12ihipStream_tbEUlT_E_NS1_11comp_targetILNS1_3genE2ELNS1_11target_archE906ELNS1_3gpuE6ELNS1_3repE0EEENS1_30default_config_static_selectorELNS0_4arch9wavefront6targetE1EEEvSH_,"axG",@progbits,_ZN7rocprim17ROCPRIM_400000_NS6detail17trampoline_kernelINS0_14default_configENS1_36segmented_radix_sort_config_selectorIllEEZNS1_25segmented_radix_sort_implIS3_Lb1EPKlPlS8_S9_N2at6native12_GLOBAL__N_18offset_tEEE10hipError_tPvRmT1_PNSt15iterator_traitsISH_E10value_typeET2_T3_PNSI_ISN_E10value_typeET4_jRbjT5_ST_jjP12ihipStream_tbEUlT_E_NS1_11comp_targetILNS1_3genE2ELNS1_11target_archE906ELNS1_3gpuE6ELNS1_3repE0EEENS1_30default_config_static_selectorELNS0_4arch9wavefront6targetE1EEEvSH_,comdat
.Lfunc_end709:
	.size	_ZN7rocprim17ROCPRIM_400000_NS6detail17trampoline_kernelINS0_14default_configENS1_36segmented_radix_sort_config_selectorIllEEZNS1_25segmented_radix_sort_implIS3_Lb1EPKlPlS8_S9_N2at6native12_GLOBAL__N_18offset_tEEE10hipError_tPvRmT1_PNSt15iterator_traitsISH_E10value_typeET2_T3_PNSI_ISN_E10value_typeET4_jRbjT5_ST_jjP12ihipStream_tbEUlT_E_NS1_11comp_targetILNS1_3genE2ELNS1_11target_archE906ELNS1_3gpuE6ELNS1_3repE0EEENS1_30default_config_static_selectorELNS0_4arch9wavefront6targetE1EEEvSH_, .Lfunc_end709-_ZN7rocprim17ROCPRIM_400000_NS6detail17trampoline_kernelINS0_14default_configENS1_36segmented_radix_sort_config_selectorIllEEZNS1_25segmented_radix_sort_implIS3_Lb1EPKlPlS8_S9_N2at6native12_GLOBAL__N_18offset_tEEE10hipError_tPvRmT1_PNSt15iterator_traitsISH_E10value_typeET2_T3_PNSI_ISN_E10value_typeET4_jRbjT5_ST_jjP12ihipStream_tbEUlT_E_NS1_11comp_targetILNS1_3genE2ELNS1_11target_archE906ELNS1_3gpuE6ELNS1_3repE0EEENS1_30default_config_static_selectorELNS0_4arch9wavefront6targetE1EEEvSH_
                                        ; -- End function
	.section	.AMDGPU.csdata,"",@progbits
; Kernel info:
; codeLenInByte = 0
; NumSgprs: 4
; NumVgprs: 0
; NumAgprs: 0
; TotalNumVgprs: 0
; ScratchSize: 0
; MemoryBound: 0
; FloatMode: 240
; IeeeMode: 1
; LDSByteSize: 0 bytes/workgroup (compile time only)
; SGPRBlocks: 0
; VGPRBlocks: 0
; NumSGPRsForWavesPerEU: 4
; NumVGPRsForWavesPerEU: 1
; AccumOffset: 4
; Occupancy: 8
; WaveLimiterHint : 0
; COMPUTE_PGM_RSRC2:SCRATCH_EN: 0
; COMPUTE_PGM_RSRC2:USER_SGPR: 6
; COMPUTE_PGM_RSRC2:TRAP_HANDLER: 0
; COMPUTE_PGM_RSRC2:TGID_X_EN: 1
; COMPUTE_PGM_RSRC2:TGID_Y_EN: 0
; COMPUTE_PGM_RSRC2:TGID_Z_EN: 0
; COMPUTE_PGM_RSRC2:TIDIG_COMP_CNT: 0
; COMPUTE_PGM_RSRC3_GFX90A:ACCUM_OFFSET: 0
; COMPUTE_PGM_RSRC3_GFX90A:TG_SPLIT: 0
	.section	.text._ZN7rocprim17ROCPRIM_400000_NS6detail17trampoline_kernelINS0_14default_configENS1_36segmented_radix_sort_config_selectorIllEEZNS1_25segmented_radix_sort_implIS3_Lb1EPKlPlS8_S9_N2at6native12_GLOBAL__N_18offset_tEEE10hipError_tPvRmT1_PNSt15iterator_traitsISH_E10value_typeET2_T3_PNSI_ISN_E10value_typeET4_jRbjT5_ST_jjP12ihipStream_tbEUlT_E_NS1_11comp_targetILNS1_3genE10ELNS1_11target_archE1201ELNS1_3gpuE5ELNS1_3repE0EEENS1_30default_config_static_selectorELNS0_4arch9wavefront6targetE1EEEvSH_,"axG",@progbits,_ZN7rocprim17ROCPRIM_400000_NS6detail17trampoline_kernelINS0_14default_configENS1_36segmented_radix_sort_config_selectorIllEEZNS1_25segmented_radix_sort_implIS3_Lb1EPKlPlS8_S9_N2at6native12_GLOBAL__N_18offset_tEEE10hipError_tPvRmT1_PNSt15iterator_traitsISH_E10value_typeET2_T3_PNSI_ISN_E10value_typeET4_jRbjT5_ST_jjP12ihipStream_tbEUlT_E_NS1_11comp_targetILNS1_3genE10ELNS1_11target_archE1201ELNS1_3gpuE5ELNS1_3repE0EEENS1_30default_config_static_selectorELNS0_4arch9wavefront6targetE1EEEvSH_,comdat
	.globl	_ZN7rocprim17ROCPRIM_400000_NS6detail17trampoline_kernelINS0_14default_configENS1_36segmented_radix_sort_config_selectorIllEEZNS1_25segmented_radix_sort_implIS3_Lb1EPKlPlS8_S9_N2at6native12_GLOBAL__N_18offset_tEEE10hipError_tPvRmT1_PNSt15iterator_traitsISH_E10value_typeET2_T3_PNSI_ISN_E10value_typeET4_jRbjT5_ST_jjP12ihipStream_tbEUlT_E_NS1_11comp_targetILNS1_3genE10ELNS1_11target_archE1201ELNS1_3gpuE5ELNS1_3repE0EEENS1_30default_config_static_selectorELNS0_4arch9wavefront6targetE1EEEvSH_ ; -- Begin function _ZN7rocprim17ROCPRIM_400000_NS6detail17trampoline_kernelINS0_14default_configENS1_36segmented_radix_sort_config_selectorIllEEZNS1_25segmented_radix_sort_implIS3_Lb1EPKlPlS8_S9_N2at6native12_GLOBAL__N_18offset_tEEE10hipError_tPvRmT1_PNSt15iterator_traitsISH_E10value_typeET2_T3_PNSI_ISN_E10value_typeET4_jRbjT5_ST_jjP12ihipStream_tbEUlT_E_NS1_11comp_targetILNS1_3genE10ELNS1_11target_archE1201ELNS1_3gpuE5ELNS1_3repE0EEENS1_30default_config_static_selectorELNS0_4arch9wavefront6targetE1EEEvSH_
	.p2align	8
	.type	_ZN7rocprim17ROCPRIM_400000_NS6detail17trampoline_kernelINS0_14default_configENS1_36segmented_radix_sort_config_selectorIllEEZNS1_25segmented_radix_sort_implIS3_Lb1EPKlPlS8_S9_N2at6native12_GLOBAL__N_18offset_tEEE10hipError_tPvRmT1_PNSt15iterator_traitsISH_E10value_typeET2_T3_PNSI_ISN_E10value_typeET4_jRbjT5_ST_jjP12ihipStream_tbEUlT_E_NS1_11comp_targetILNS1_3genE10ELNS1_11target_archE1201ELNS1_3gpuE5ELNS1_3repE0EEENS1_30default_config_static_selectorELNS0_4arch9wavefront6targetE1EEEvSH_,@function
_ZN7rocprim17ROCPRIM_400000_NS6detail17trampoline_kernelINS0_14default_configENS1_36segmented_radix_sort_config_selectorIllEEZNS1_25segmented_radix_sort_implIS3_Lb1EPKlPlS8_S9_N2at6native12_GLOBAL__N_18offset_tEEE10hipError_tPvRmT1_PNSt15iterator_traitsISH_E10value_typeET2_T3_PNSI_ISN_E10value_typeET4_jRbjT5_ST_jjP12ihipStream_tbEUlT_E_NS1_11comp_targetILNS1_3genE10ELNS1_11target_archE1201ELNS1_3gpuE5ELNS1_3repE0EEENS1_30default_config_static_selectorELNS0_4arch9wavefront6targetE1EEEvSH_: ; @_ZN7rocprim17ROCPRIM_400000_NS6detail17trampoline_kernelINS0_14default_configENS1_36segmented_radix_sort_config_selectorIllEEZNS1_25segmented_radix_sort_implIS3_Lb1EPKlPlS8_S9_N2at6native12_GLOBAL__N_18offset_tEEE10hipError_tPvRmT1_PNSt15iterator_traitsISH_E10value_typeET2_T3_PNSI_ISN_E10value_typeET4_jRbjT5_ST_jjP12ihipStream_tbEUlT_E_NS1_11comp_targetILNS1_3genE10ELNS1_11target_archE1201ELNS1_3gpuE5ELNS1_3repE0EEENS1_30default_config_static_selectorELNS0_4arch9wavefront6targetE1EEEvSH_
; %bb.0:
	.section	.rodata,"a",@progbits
	.p2align	6, 0x0
	.amdhsa_kernel _ZN7rocprim17ROCPRIM_400000_NS6detail17trampoline_kernelINS0_14default_configENS1_36segmented_radix_sort_config_selectorIllEEZNS1_25segmented_radix_sort_implIS3_Lb1EPKlPlS8_S9_N2at6native12_GLOBAL__N_18offset_tEEE10hipError_tPvRmT1_PNSt15iterator_traitsISH_E10value_typeET2_T3_PNSI_ISN_E10value_typeET4_jRbjT5_ST_jjP12ihipStream_tbEUlT_E_NS1_11comp_targetILNS1_3genE10ELNS1_11target_archE1201ELNS1_3gpuE5ELNS1_3repE0EEENS1_30default_config_static_selectorELNS0_4arch9wavefront6targetE1EEEvSH_
		.amdhsa_group_segment_fixed_size 0
		.amdhsa_private_segment_fixed_size 0
		.amdhsa_kernarg_size 96
		.amdhsa_user_sgpr_count 6
		.amdhsa_user_sgpr_private_segment_buffer 1
		.amdhsa_user_sgpr_dispatch_ptr 0
		.amdhsa_user_sgpr_queue_ptr 0
		.amdhsa_user_sgpr_kernarg_segment_ptr 1
		.amdhsa_user_sgpr_dispatch_id 0
		.amdhsa_user_sgpr_flat_scratch_init 0
		.amdhsa_user_sgpr_kernarg_preload_length 0
		.amdhsa_user_sgpr_kernarg_preload_offset 0
		.amdhsa_user_sgpr_private_segment_size 0
		.amdhsa_uses_dynamic_stack 0
		.amdhsa_system_sgpr_private_segment_wavefront_offset 0
		.amdhsa_system_sgpr_workgroup_id_x 1
		.amdhsa_system_sgpr_workgroup_id_y 0
		.amdhsa_system_sgpr_workgroup_id_z 0
		.amdhsa_system_sgpr_workgroup_info 0
		.amdhsa_system_vgpr_workitem_id 0
		.amdhsa_next_free_vgpr 1
		.amdhsa_next_free_sgpr 0
		.amdhsa_accum_offset 4
		.amdhsa_reserve_vcc 0
		.amdhsa_reserve_flat_scratch 0
		.amdhsa_float_round_mode_32 0
		.amdhsa_float_round_mode_16_64 0
		.amdhsa_float_denorm_mode_32 3
		.amdhsa_float_denorm_mode_16_64 3
		.amdhsa_dx10_clamp 1
		.amdhsa_ieee_mode 1
		.amdhsa_fp16_overflow 0
		.amdhsa_tg_split 0
		.amdhsa_exception_fp_ieee_invalid_op 0
		.amdhsa_exception_fp_denorm_src 0
		.amdhsa_exception_fp_ieee_div_zero 0
		.amdhsa_exception_fp_ieee_overflow 0
		.amdhsa_exception_fp_ieee_underflow 0
		.amdhsa_exception_fp_ieee_inexact 0
		.amdhsa_exception_int_div_zero 0
	.end_amdhsa_kernel
	.section	.text._ZN7rocprim17ROCPRIM_400000_NS6detail17trampoline_kernelINS0_14default_configENS1_36segmented_radix_sort_config_selectorIllEEZNS1_25segmented_radix_sort_implIS3_Lb1EPKlPlS8_S9_N2at6native12_GLOBAL__N_18offset_tEEE10hipError_tPvRmT1_PNSt15iterator_traitsISH_E10value_typeET2_T3_PNSI_ISN_E10value_typeET4_jRbjT5_ST_jjP12ihipStream_tbEUlT_E_NS1_11comp_targetILNS1_3genE10ELNS1_11target_archE1201ELNS1_3gpuE5ELNS1_3repE0EEENS1_30default_config_static_selectorELNS0_4arch9wavefront6targetE1EEEvSH_,"axG",@progbits,_ZN7rocprim17ROCPRIM_400000_NS6detail17trampoline_kernelINS0_14default_configENS1_36segmented_radix_sort_config_selectorIllEEZNS1_25segmented_radix_sort_implIS3_Lb1EPKlPlS8_S9_N2at6native12_GLOBAL__N_18offset_tEEE10hipError_tPvRmT1_PNSt15iterator_traitsISH_E10value_typeET2_T3_PNSI_ISN_E10value_typeET4_jRbjT5_ST_jjP12ihipStream_tbEUlT_E_NS1_11comp_targetILNS1_3genE10ELNS1_11target_archE1201ELNS1_3gpuE5ELNS1_3repE0EEENS1_30default_config_static_selectorELNS0_4arch9wavefront6targetE1EEEvSH_,comdat
.Lfunc_end710:
	.size	_ZN7rocprim17ROCPRIM_400000_NS6detail17trampoline_kernelINS0_14default_configENS1_36segmented_radix_sort_config_selectorIllEEZNS1_25segmented_radix_sort_implIS3_Lb1EPKlPlS8_S9_N2at6native12_GLOBAL__N_18offset_tEEE10hipError_tPvRmT1_PNSt15iterator_traitsISH_E10value_typeET2_T3_PNSI_ISN_E10value_typeET4_jRbjT5_ST_jjP12ihipStream_tbEUlT_E_NS1_11comp_targetILNS1_3genE10ELNS1_11target_archE1201ELNS1_3gpuE5ELNS1_3repE0EEENS1_30default_config_static_selectorELNS0_4arch9wavefront6targetE1EEEvSH_, .Lfunc_end710-_ZN7rocprim17ROCPRIM_400000_NS6detail17trampoline_kernelINS0_14default_configENS1_36segmented_radix_sort_config_selectorIllEEZNS1_25segmented_radix_sort_implIS3_Lb1EPKlPlS8_S9_N2at6native12_GLOBAL__N_18offset_tEEE10hipError_tPvRmT1_PNSt15iterator_traitsISH_E10value_typeET2_T3_PNSI_ISN_E10value_typeET4_jRbjT5_ST_jjP12ihipStream_tbEUlT_E_NS1_11comp_targetILNS1_3genE10ELNS1_11target_archE1201ELNS1_3gpuE5ELNS1_3repE0EEENS1_30default_config_static_selectorELNS0_4arch9wavefront6targetE1EEEvSH_
                                        ; -- End function
	.section	.AMDGPU.csdata,"",@progbits
; Kernel info:
; codeLenInByte = 0
; NumSgprs: 4
; NumVgprs: 0
; NumAgprs: 0
; TotalNumVgprs: 0
; ScratchSize: 0
; MemoryBound: 0
; FloatMode: 240
; IeeeMode: 1
; LDSByteSize: 0 bytes/workgroup (compile time only)
; SGPRBlocks: 0
; VGPRBlocks: 0
; NumSGPRsForWavesPerEU: 4
; NumVGPRsForWavesPerEU: 1
; AccumOffset: 4
; Occupancy: 8
; WaveLimiterHint : 0
; COMPUTE_PGM_RSRC2:SCRATCH_EN: 0
; COMPUTE_PGM_RSRC2:USER_SGPR: 6
; COMPUTE_PGM_RSRC2:TRAP_HANDLER: 0
; COMPUTE_PGM_RSRC2:TGID_X_EN: 1
; COMPUTE_PGM_RSRC2:TGID_Y_EN: 0
; COMPUTE_PGM_RSRC2:TGID_Z_EN: 0
; COMPUTE_PGM_RSRC2:TIDIG_COMP_CNT: 0
; COMPUTE_PGM_RSRC3_GFX90A:ACCUM_OFFSET: 0
; COMPUTE_PGM_RSRC3_GFX90A:TG_SPLIT: 0
	.section	.text._ZN7rocprim17ROCPRIM_400000_NS6detail17trampoline_kernelINS0_14default_configENS1_36segmented_radix_sort_config_selectorIllEEZNS1_25segmented_radix_sort_implIS3_Lb1EPKlPlS8_S9_N2at6native12_GLOBAL__N_18offset_tEEE10hipError_tPvRmT1_PNSt15iterator_traitsISH_E10value_typeET2_T3_PNSI_ISN_E10value_typeET4_jRbjT5_ST_jjP12ihipStream_tbEUlT_E_NS1_11comp_targetILNS1_3genE10ELNS1_11target_archE1200ELNS1_3gpuE4ELNS1_3repE0EEENS1_30default_config_static_selectorELNS0_4arch9wavefront6targetE1EEEvSH_,"axG",@progbits,_ZN7rocprim17ROCPRIM_400000_NS6detail17trampoline_kernelINS0_14default_configENS1_36segmented_radix_sort_config_selectorIllEEZNS1_25segmented_radix_sort_implIS3_Lb1EPKlPlS8_S9_N2at6native12_GLOBAL__N_18offset_tEEE10hipError_tPvRmT1_PNSt15iterator_traitsISH_E10value_typeET2_T3_PNSI_ISN_E10value_typeET4_jRbjT5_ST_jjP12ihipStream_tbEUlT_E_NS1_11comp_targetILNS1_3genE10ELNS1_11target_archE1200ELNS1_3gpuE4ELNS1_3repE0EEENS1_30default_config_static_selectorELNS0_4arch9wavefront6targetE1EEEvSH_,comdat
	.globl	_ZN7rocprim17ROCPRIM_400000_NS6detail17trampoline_kernelINS0_14default_configENS1_36segmented_radix_sort_config_selectorIllEEZNS1_25segmented_radix_sort_implIS3_Lb1EPKlPlS8_S9_N2at6native12_GLOBAL__N_18offset_tEEE10hipError_tPvRmT1_PNSt15iterator_traitsISH_E10value_typeET2_T3_PNSI_ISN_E10value_typeET4_jRbjT5_ST_jjP12ihipStream_tbEUlT_E_NS1_11comp_targetILNS1_3genE10ELNS1_11target_archE1200ELNS1_3gpuE4ELNS1_3repE0EEENS1_30default_config_static_selectorELNS0_4arch9wavefront6targetE1EEEvSH_ ; -- Begin function _ZN7rocprim17ROCPRIM_400000_NS6detail17trampoline_kernelINS0_14default_configENS1_36segmented_radix_sort_config_selectorIllEEZNS1_25segmented_radix_sort_implIS3_Lb1EPKlPlS8_S9_N2at6native12_GLOBAL__N_18offset_tEEE10hipError_tPvRmT1_PNSt15iterator_traitsISH_E10value_typeET2_T3_PNSI_ISN_E10value_typeET4_jRbjT5_ST_jjP12ihipStream_tbEUlT_E_NS1_11comp_targetILNS1_3genE10ELNS1_11target_archE1200ELNS1_3gpuE4ELNS1_3repE0EEENS1_30default_config_static_selectorELNS0_4arch9wavefront6targetE1EEEvSH_
	.p2align	8
	.type	_ZN7rocprim17ROCPRIM_400000_NS6detail17trampoline_kernelINS0_14default_configENS1_36segmented_radix_sort_config_selectorIllEEZNS1_25segmented_radix_sort_implIS3_Lb1EPKlPlS8_S9_N2at6native12_GLOBAL__N_18offset_tEEE10hipError_tPvRmT1_PNSt15iterator_traitsISH_E10value_typeET2_T3_PNSI_ISN_E10value_typeET4_jRbjT5_ST_jjP12ihipStream_tbEUlT_E_NS1_11comp_targetILNS1_3genE10ELNS1_11target_archE1200ELNS1_3gpuE4ELNS1_3repE0EEENS1_30default_config_static_selectorELNS0_4arch9wavefront6targetE1EEEvSH_,@function
_ZN7rocprim17ROCPRIM_400000_NS6detail17trampoline_kernelINS0_14default_configENS1_36segmented_radix_sort_config_selectorIllEEZNS1_25segmented_radix_sort_implIS3_Lb1EPKlPlS8_S9_N2at6native12_GLOBAL__N_18offset_tEEE10hipError_tPvRmT1_PNSt15iterator_traitsISH_E10value_typeET2_T3_PNSI_ISN_E10value_typeET4_jRbjT5_ST_jjP12ihipStream_tbEUlT_E_NS1_11comp_targetILNS1_3genE10ELNS1_11target_archE1200ELNS1_3gpuE4ELNS1_3repE0EEENS1_30default_config_static_selectorELNS0_4arch9wavefront6targetE1EEEvSH_: ; @_ZN7rocprim17ROCPRIM_400000_NS6detail17trampoline_kernelINS0_14default_configENS1_36segmented_radix_sort_config_selectorIllEEZNS1_25segmented_radix_sort_implIS3_Lb1EPKlPlS8_S9_N2at6native12_GLOBAL__N_18offset_tEEE10hipError_tPvRmT1_PNSt15iterator_traitsISH_E10value_typeET2_T3_PNSI_ISN_E10value_typeET4_jRbjT5_ST_jjP12ihipStream_tbEUlT_E_NS1_11comp_targetILNS1_3genE10ELNS1_11target_archE1200ELNS1_3gpuE4ELNS1_3repE0EEENS1_30default_config_static_selectorELNS0_4arch9wavefront6targetE1EEEvSH_
; %bb.0:
	.section	.rodata,"a",@progbits
	.p2align	6, 0x0
	.amdhsa_kernel _ZN7rocprim17ROCPRIM_400000_NS6detail17trampoline_kernelINS0_14default_configENS1_36segmented_radix_sort_config_selectorIllEEZNS1_25segmented_radix_sort_implIS3_Lb1EPKlPlS8_S9_N2at6native12_GLOBAL__N_18offset_tEEE10hipError_tPvRmT1_PNSt15iterator_traitsISH_E10value_typeET2_T3_PNSI_ISN_E10value_typeET4_jRbjT5_ST_jjP12ihipStream_tbEUlT_E_NS1_11comp_targetILNS1_3genE10ELNS1_11target_archE1200ELNS1_3gpuE4ELNS1_3repE0EEENS1_30default_config_static_selectorELNS0_4arch9wavefront6targetE1EEEvSH_
		.amdhsa_group_segment_fixed_size 0
		.amdhsa_private_segment_fixed_size 0
		.amdhsa_kernarg_size 96
		.amdhsa_user_sgpr_count 6
		.amdhsa_user_sgpr_private_segment_buffer 1
		.amdhsa_user_sgpr_dispatch_ptr 0
		.amdhsa_user_sgpr_queue_ptr 0
		.amdhsa_user_sgpr_kernarg_segment_ptr 1
		.amdhsa_user_sgpr_dispatch_id 0
		.amdhsa_user_sgpr_flat_scratch_init 0
		.amdhsa_user_sgpr_kernarg_preload_length 0
		.amdhsa_user_sgpr_kernarg_preload_offset 0
		.amdhsa_user_sgpr_private_segment_size 0
		.amdhsa_uses_dynamic_stack 0
		.amdhsa_system_sgpr_private_segment_wavefront_offset 0
		.amdhsa_system_sgpr_workgroup_id_x 1
		.amdhsa_system_sgpr_workgroup_id_y 0
		.amdhsa_system_sgpr_workgroup_id_z 0
		.amdhsa_system_sgpr_workgroup_info 0
		.amdhsa_system_vgpr_workitem_id 0
		.amdhsa_next_free_vgpr 1
		.amdhsa_next_free_sgpr 0
		.amdhsa_accum_offset 4
		.amdhsa_reserve_vcc 0
		.amdhsa_reserve_flat_scratch 0
		.amdhsa_float_round_mode_32 0
		.amdhsa_float_round_mode_16_64 0
		.amdhsa_float_denorm_mode_32 3
		.amdhsa_float_denorm_mode_16_64 3
		.amdhsa_dx10_clamp 1
		.amdhsa_ieee_mode 1
		.amdhsa_fp16_overflow 0
		.amdhsa_tg_split 0
		.amdhsa_exception_fp_ieee_invalid_op 0
		.amdhsa_exception_fp_denorm_src 0
		.amdhsa_exception_fp_ieee_div_zero 0
		.amdhsa_exception_fp_ieee_overflow 0
		.amdhsa_exception_fp_ieee_underflow 0
		.amdhsa_exception_fp_ieee_inexact 0
		.amdhsa_exception_int_div_zero 0
	.end_amdhsa_kernel
	.section	.text._ZN7rocprim17ROCPRIM_400000_NS6detail17trampoline_kernelINS0_14default_configENS1_36segmented_radix_sort_config_selectorIllEEZNS1_25segmented_radix_sort_implIS3_Lb1EPKlPlS8_S9_N2at6native12_GLOBAL__N_18offset_tEEE10hipError_tPvRmT1_PNSt15iterator_traitsISH_E10value_typeET2_T3_PNSI_ISN_E10value_typeET4_jRbjT5_ST_jjP12ihipStream_tbEUlT_E_NS1_11comp_targetILNS1_3genE10ELNS1_11target_archE1200ELNS1_3gpuE4ELNS1_3repE0EEENS1_30default_config_static_selectorELNS0_4arch9wavefront6targetE1EEEvSH_,"axG",@progbits,_ZN7rocprim17ROCPRIM_400000_NS6detail17trampoline_kernelINS0_14default_configENS1_36segmented_radix_sort_config_selectorIllEEZNS1_25segmented_radix_sort_implIS3_Lb1EPKlPlS8_S9_N2at6native12_GLOBAL__N_18offset_tEEE10hipError_tPvRmT1_PNSt15iterator_traitsISH_E10value_typeET2_T3_PNSI_ISN_E10value_typeET4_jRbjT5_ST_jjP12ihipStream_tbEUlT_E_NS1_11comp_targetILNS1_3genE10ELNS1_11target_archE1200ELNS1_3gpuE4ELNS1_3repE0EEENS1_30default_config_static_selectorELNS0_4arch9wavefront6targetE1EEEvSH_,comdat
.Lfunc_end711:
	.size	_ZN7rocprim17ROCPRIM_400000_NS6detail17trampoline_kernelINS0_14default_configENS1_36segmented_radix_sort_config_selectorIllEEZNS1_25segmented_radix_sort_implIS3_Lb1EPKlPlS8_S9_N2at6native12_GLOBAL__N_18offset_tEEE10hipError_tPvRmT1_PNSt15iterator_traitsISH_E10value_typeET2_T3_PNSI_ISN_E10value_typeET4_jRbjT5_ST_jjP12ihipStream_tbEUlT_E_NS1_11comp_targetILNS1_3genE10ELNS1_11target_archE1200ELNS1_3gpuE4ELNS1_3repE0EEENS1_30default_config_static_selectorELNS0_4arch9wavefront6targetE1EEEvSH_, .Lfunc_end711-_ZN7rocprim17ROCPRIM_400000_NS6detail17trampoline_kernelINS0_14default_configENS1_36segmented_radix_sort_config_selectorIllEEZNS1_25segmented_radix_sort_implIS3_Lb1EPKlPlS8_S9_N2at6native12_GLOBAL__N_18offset_tEEE10hipError_tPvRmT1_PNSt15iterator_traitsISH_E10value_typeET2_T3_PNSI_ISN_E10value_typeET4_jRbjT5_ST_jjP12ihipStream_tbEUlT_E_NS1_11comp_targetILNS1_3genE10ELNS1_11target_archE1200ELNS1_3gpuE4ELNS1_3repE0EEENS1_30default_config_static_selectorELNS0_4arch9wavefront6targetE1EEEvSH_
                                        ; -- End function
	.section	.AMDGPU.csdata,"",@progbits
; Kernel info:
; codeLenInByte = 0
; NumSgprs: 4
; NumVgprs: 0
; NumAgprs: 0
; TotalNumVgprs: 0
; ScratchSize: 0
; MemoryBound: 0
; FloatMode: 240
; IeeeMode: 1
; LDSByteSize: 0 bytes/workgroup (compile time only)
; SGPRBlocks: 0
; VGPRBlocks: 0
; NumSGPRsForWavesPerEU: 4
; NumVGPRsForWavesPerEU: 1
; AccumOffset: 4
; Occupancy: 8
; WaveLimiterHint : 0
; COMPUTE_PGM_RSRC2:SCRATCH_EN: 0
; COMPUTE_PGM_RSRC2:USER_SGPR: 6
; COMPUTE_PGM_RSRC2:TRAP_HANDLER: 0
; COMPUTE_PGM_RSRC2:TGID_X_EN: 1
; COMPUTE_PGM_RSRC2:TGID_Y_EN: 0
; COMPUTE_PGM_RSRC2:TGID_Z_EN: 0
; COMPUTE_PGM_RSRC2:TIDIG_COMP_CNT: 0
; COMPUTE_PGM_RSRC3_GFX90A:ACCUM_OFFSET: 0
; COMPUTE_PGM_RSRC3_GFX90A:TG_SPLIT: 0
	.section	.text._ZN7rocprim17ROCPRIM_400000_NS6detail17trampoline_kernelINS0_14default_configENS1_36segmented_radix_sort_config_selectorIllEEZNS1_25segmented_radix_sort_implIS3_Lb1EPKlPlS8_S9_N2at6native12_GLOBAL__N_18offset_tEEE10hipError_tPvRmT1_PNSt15iterator_traitsISH_E10value_typeET2_T3_PNSI_ISN_E10value_typeET4_jRbjT5_ST_jjP12ihipStream_tbEUlT_E_NS1_11comp_targetILNS1_3genE9ELNS1_11target_archE1100ELNS1_3gpuE3ELNS1_3repE0EEENS1_30default_config_static_selectorELNS0_4arch9wavefront6targetE1EEEvSH_,"axG",@progbits,_ZN7rocprim17ROCPRIM_400000_NS6detail17trampoline_kernelINS0_14default_configENS1_36segmented_radix_sort_config_selectorIllEEZNS1_25segmented_radix_sort_implIS3_Lb1EPKlPlS8_S9_N2at6native12_GLOBAL__N_18offset_tEEE10hipError_tPvRmT1_PNSt15iterator_traitsISH_E10value_typeET2_T3_PNSI_ISN_E10value_typeET4_jRbjT5_ST_jjP12ihipStream_tbEUlT_E_NS1_11comp_targetILNS1_3genE9ELNS1_11target_archE1100ELNS1_3gpuE3ELNS1_3repE0EEENS1_30default_config_static_selectorELNS0_4arch9wavefront6targetE1EEEvSH_,comdat
	.globl	_ZN7rocprim17ROCPRIM_400000_NS6detail17trampoline_kernelINS0_14default_configENS1_36segmented_radix_sort_config_selectorIllEEZNS1_25segmented_radix_sort_implIS3_Lb1EPKlPlS8_S9_N2at6native12_GLOBAL__N_18offset_tEEE10hipError_tPvRmT1_PNSt15iterator_traitsISH_E10value_typeET2_T3_PNSI_ISN_E10value_typeET4_jRbjT5_ST_jjP12ihipStream_tbEUlT_E_NS1_11comp_targetILNS1_3genE9ELNS1_11target_archE1100ELNS1_3gpuE3ELNS1_3repE0EEENS1_30default_config_static_selectorELNS0_4arch9wavefront6targetE1EEEvSH_ ; -- Begin function _ZN7rocprim17ROCPRIM_400000_NS6detail17trampoline_kernelINS0_14default_configENS1_36segmented_radix_sort_config_selectorIllEEZNS1_25segmented_radix_sort_implIS3_Lb1EPKlPlS8_S9_N2at6native12_GLOBAL__N_18offset_tEEE10hipError_tPvRmT1_PNSt15iterator_traitsISH_E10value_typeET2_T3_PNSI_ISN_E10value_typeET4_jRbjT5_ST_jjP12ihipStream_tbEUlT_E_NS1_11comp_targetILNS1_3genE9ELNS1_11target_archE1100ELNS1_3gpuE3ELNS1_3repE0EEENS1_30default_config_static_selectorELNS0_4arch9wavefront6targetE1EEEvSH_
	.p2align	8
	.type	_ZN7rocprim17ROCPRIM_400000_NS6detail17trampoline_kernelINS0_14default_configENS1_36segmented_radix_sort_config_selectorIllEEZNS1_25segmented_radix_sort_implIS3_Lb1EPKlPlS8_S9_N2at6native12_GLOBAL__N_18offset_tEEE10hipError_tPvRmT1_PNSt15iterator_traitsISH_E10value_typeET2_T3_PNSI_ISN_E10value_typeET4_jRbjT5_ST_jjP12ihipStream_tbEUlT_E_NS1_11comp_targetILNS1_3genE9ELNS1_11target_archE1100ELNS1_3gpuE3ELNS1_3repE0EEENS1_30default_config_static_selectorELNS0_4arch9wavefront6targetE1EEEvSH_,@function
_ZN7rocprim17ROCPRIM_400000_NS6detail17trampoline_kernelINS0_14default_configENS1_36segmented_radix_sort_config_selectorIllEEZNS1_25segmented_radix_sort_implIS3_Lb1EPKlPlS8_S9_N2at6native12_GLOBAL__N_18offset_tEEE10hipError_tPvRmT1_PNSt15iterator_traitsISH_E10value_typeET2_T3_PNSI_ISN_E10value_typeET4_jRbjT5_ST_jjP12ihipStream_tbEUlT_E_NS1_11comp_targetILNS1_3genE9ELNS1_11target_archE1100ELNS1_3gpuE3ELNS1_3repE0EEENS1_30default_config_static_selectorELNS0_4arch9wavefront6targetE1EEEvSH_: ; @_ZN7rocprim17ROCPRIM_400000_NS6detail17trampoline_kernelINS0_14default_configENS1_36segmented_radix_sort_config_selectorIllEEZNS1_25segmented_radix_sort_implIS3_Lb1EPKlPlS8_S9_N2at6native12_GLOBAL__N_18offset_tEEE10hipError_tPvRmT1_PNSt15iterator_traitsISH_E10value_typeET2_T3_PNSI_ISN_E10value_typeET4_jRbjT5_ST_jjP12ihipStream_tbEUlT_E_NS1_11comp_targetILNS1_3genE9ELNS1_11target_archE1100ELNS1_3gpuE3ELNS1_3repE0EEENS1_30default_config_static_selectorELNS0_4arch9wavefront6targetE1EEEvSH_
; %bb.0:
	.section	.rodata,"a",@progbits
	.p2align	6, 0x0
	.amdhsa_kernel _ZN7rocprim17ROCPRIM_400000_NS6detail17trampoline_kernelINS0_14default_configENS1_36segmented_radix_sort_config_selectorIllEEZNS1_25segmented_radix_sort_implIS3_Lb1EPKlPlS8_S9_N2at6native12_GLOBAL__N_18offset_tEEE10hipError_tPvRmT1_PNSt15iterator_traitsISH_E10value_typeET2_T3_PNSI_ISN_E10value_typeET4_jRbjT5_ST_jjP12ihipStream_tbEUlT_E_NS1_11comp_targetILNS1_3genE9ELNS1_11target_archE1100ELNS1_3gpuE3ELNS1_3repE0EEENS1_30default_config_static_selectorELNS0_4arch9wavefront6targetE1EEEvSH_
		.amdhsa_group_segment_fixed_size 0
		.amdhsa_private_segment_fixed_size 0
		.amdhsa_kernarg_size 96
		.amdhsa_user_sgpr_count 6
		.amdhsa_user_sgpr_private_segment_buffer 1
		.amdhsa_user_sgpr_dispatch_ptr 0
		.amdhsa_user_sgpr_queue_ptr 0
		.amdhsa_user_sgpr_kernarg_segment_ptr 1
		.amdhsa_user_sgpr_dispatch_id 0
		.amdhsa_user_sgpr_flat_scratch_init 0
		.amdhsa_user_sgpr_kernarg_preload_length 0
		.amdhsa_user_sgpr_kernarg_preload_offset 0
		.amdhsa_user_sgpr_private_segment_size 0
		.amdhsa_uses_dynamic_stack 0
		.amdhsa_system_sgpr_private_segment_wavefront_offset 0
		.amdhsa_system_sgpr_workgroup_id_x 1
		.amdhsa_system_sgpr_workgroup_id_y 0
		.amdhsa_system_sgpr_workgroup_id_z 0
		.amdhsa_system_sgpr_workgroup_info 0
		.amdhsa_system_vgpr_workitem_id 0
		.amdhsa_next_free_vgpr 1
		.amdhsa_next_free_sgpr 0
		.amdhsa_accum_offset 4
		.amdhsa_reserve_vcc 0
		.amdhsa_reserve_flat_scratch 0
		.amdhsa_float_round_mode_32 0
		.amdhsa_float_round_mode_16_64 0
		.amdhsa_float_denorm_mode_32 3
		.amdhsa_float_denorm_mode_16_64 3
		.amdhsa_dx10_clamp 1
		.amdhsa_ieee_mode 1
		.amdhsa_fp16_overflow 0
		.amdhsa_tg_split 0
		.amdhsa_exception_fp_ieee_invalid_op 0
		.amdhsa_exception_fp_denorm_src 0
		.amdhsa_exception_fp_ieee_div_zero 0
		.amdhsa_exception_fp_ieee_overflow 0
		.amdhsa_exception_fp_ieee_underflow 0
		.amdhsa_exception_fp_ieee_inexact 0
		.amdhsa_exception_int_div_zero 0
	.end_amdhsa_kernel
	.section	.text._ZN7rocprim17ROCPRIM_400000_NS6detail17trampoline_kernelINS0_14default_configENS1_36segmented_radix_sort_config_selectorIllEEZNS1_25segmented_radix_sort_implIS3_Lb1EPKlPlS8_S9_N2at6native12_GLOBAL__N_18offset_tEEE10hipError_tPvRmT1_PNSt15iterator_traitsISH_E10value_typeET2_T3_PNSI_ISN_E10value_typeET4_jRbjT5_ST_jjP12ihipStream_tbEUlT_E_NS1_11comp_targetILNS1_3genE9ELNS1_11target_archE1100ELNS1_3gpuE3ELNS1_3repE0EEENS1_30default_config_static_selectorELNS0_4arch9wavefront6targetE1EEEvSH_,"axG",@progbits,_ZN7rocprim17ROCPRIM_400000_NS6detail17trampoline_kernelINS0_14default_configENS1_36segmented_radix_sort_config_selectorIllEEZNS1_25segmented_radix_sort_implIS3_Lb1EPKlPlS8_S9_N2at6native12_GLOBAL__N_18offset_tEEE10hipError_tPvRmT1_PNSt15iterator_traitsISH_E10value_typeET2_T3_PNSI_ISN_E10value_typeET4_jRbjT5_ST_jjP12ihipStream_tbEUlT_E_NS1_11comp_targetILNS1_3genE9ELNS1_11target_archE1100ELNS1_3gpuE3ELNS1_3repE0EEENS1_30default_config_static_selectorELNS0_4arch9wavefront6targetE1EEEvSH_,comdat
.Lfunc_end712:
	.size	_ZN7rocprim17ROCPRIM_400000_NS6detail17trampoline_kernelINS0_14default_configENS1_36segmented_radix_sort_config_selectorIllEEZNS1_25segmented_radix_sort_implIS3_Lb1EPKlPlS8_S9_N2at6native12_GLOBAL__N_18offset_tEEE10hipError_tPvRmT1_PNSt15iterator_traitsISH_E10value_typeET2_T3_PNSI_ISN_E10value_typeET4_jRbjT5_ST_jjP12ihipStream_tbEUlT_E_NS1_11comp_targetILNS1_3genE9ELNS1_11target_archE1100ELNS1_3gpuE3ELNS1_3repE0EEENS1_30default_config_static_selectorELNS0_4arch9wavefront6targetE1EEEvSH_, .Lfunc_end712-_ZN7rocprim17ROCPRIM_400000_NS6detail17trampoline_kernelINS0_14default_configENS1_36segmented_radix_sort_config_selectorIllEEZNS1_25segmented_radix_sort_implIS3_Lb1EPKlPlS8_S9_N2at6native12_GLOBAL__N_18offset_tEEE10hipError_tPvRmT1_PNSt15iterator_traitsISH_E10value_typeET2_T3_PNSI_ISN_E10value_typeET4_jRbjT5_ST_jjP12ihipStream_tbEUlT_E_NS1_11comp_targetILNS1_3genE9ELNS1_11target_archE1100ELNS1_3gpuE3ELNS1_3repE0EEENS1_30default_config_static_selectorELNS0_4arch9wavefront6targetE1EEEvSH_
                                        ; -- End function
	.section	.AMDGPU.csdata,"",@progbits
; Kernel info:
; codeLenInByte = 0
; NumSgprs: 4
; NumVgprs: 0
; NumAgprs: 0
; TotalNumVgprs: 0
; ScratchSize: 0
; MemoryBound: 0
; FloatMode: 240
; IeeeMode: 1
; LDSByteSize: 0 bytes/workgroup (compile time only)
; SGPRBlocks: 0
; VGPRBlocks: 0
; NumSGPRsForWavesPerEU: 4
; NumVGPRsForWavesPerEU: 1
; AccumOffset: 4
; Occupancy: 8
; WaveLimiterHint : 0
; COMPUTE_PGM_RSRC2:SCRATCH_EN: 0
; COMPUTE_PGM_RSRC2:USER_SGPR: 6
; COMPUTE_PGM_RSRC2:TRAP_HANDLER: 0
; COMPUTE_PGM_RSRC2:TGID_X_EN: 1
; COMPUTE_PGM_RSRC2:TGID_Y_EN: 0
; COMPUTE_PGM_RSRC2:TGID_Z_EN: 0
; COMPUTE_PGM_RSRC2:TIDIG_COMP_CNT: 0
; COMPUTE_PGM_RSRC3_GFX90A:ACCUM_OFFSET: 0
; COMPUTE_PGM_RSRC3_GFX90A:TG_SPLIT: 0
	.section	.text._ZN7rocprim17ROCPRIM_400000_NS6detail17trampoline_kernelINS0_14default_configENS1_36segmented_radix_sort_config_selectorIllEEZNS1_25segmented_radix_sort_implIS3_Lb1EPKlPlS8_S9_N2at6native12_GLOBAL__N_18offset_tEEE10hipError_tPvRmT1_PNSt15iterator_traitsISH_E10value_typeET2_T3_PNSI_ISN_E10value_typeET4_jRbjT5_ST_jjP12ihipStream_tbEUlT_E_NS1_11comp_targetILNS1_3genE8ELNS1_11target_archE1030ELNS1_3gpuE2ELNS1_3repE0EEENS1_30default_config_static_selectorELNS0_4arch9wavefront6targetE1EEEvSH_,"axG",@progbits,_ZN7rocprim17ROCPRIM_400000_NS6detail17trampoline_kernelINS0_14default_configENS1_36segmented_radix_sort_config_selectorIllEEZNS1_25segmented_radix_sort_implIS3_Lb1EPKlPlS8_S9_N2at6native12_GLOBAL__N_18offset_tEEE10hipError_tPvRmT1_PNSt15iterator_traitsISH_E10value_typeET2_T3_PNSI_ISN_E10value_typeET4_jRbjT5_ST_jjP12ihipStream_tbEUlT_E_NS1_11comp_targetILNS1_3genE8ELNS1_11target_archE1030ELNS1_3gpuE2ELNS1_3repE0EEENS1_30default_config_static_selectorELNS0_4arch9wavefront6targetE1EEEvSH_,comdat
	.globl	_ZN7rocprim17ROCPRIM_400000_NS6detail17trampoline_kernelINS0_14default_configENS1_36segmented_radix_sort_config_selectorIllEEZNS1_25segmented_radix_sort_implIS3_Lb1EPKlPlS8_S9_N2at6native12_GLOBAL__N_18offset_tEEE10hipError_tPvRmT1_PNSt15iterator_traitsISH_E10value_typeET2_T3_PNSI_ISN_E10value_typeET4_jRbjT5_ST_jjP12ihipStream_tbEUlT_E_NS1_11comp_targetILNS1_3genE8ELNS1_11target_archE1030ELNS1_3gpuE2ELNS1_3repE0EEENS1_30default_config_static_selectorELNS0_4arch9wavefront6targetE1EEEvSH_ ; -- Begin function _ZN7rocprim17ROCPRIM_400000_NS6detail17trampoline_kernelINS0_14default_configENS1_36segmented_radix_sort_config_selectorIllEEZNS1_25segmented_radix_sort_implIS3_Lb1EPKlPlS8_S9_N2at6native12_GLOBAL__N_18offset_tEEE10hipError_tPvRmT1_PNSt15iterator_traitsISH_E10value_typeET2_T3_PNSI_ISN_E10value_typeET4_jRbjT5_ST_jjP12ihipStream_tbEUlT_E_NS1_11comp_targetILNS1_3genE8ELNS1_11target_archE1030ELNS1_3gpuE2ELNS1_3repE0EEENS1_30default_config_static_selectorELNS0_4arch9wavefront6targetE1EEEvSH_
	.p2align	8
	.type	_ZN7rocprim17ROCPRIM_400000_NS6detail17trampoline_kernelINS0_14default_configENS1_36segmented_radix_sort_config_selectorIllEEZNS1_25segmented_radix_sort_implIS3_Lb1EPKlPlS8_S9_N2at6native12_GLOBAL__N_18offset_tEEE10hipError_tPvRmT1_PNSt15iterator_traitsISH_E10value_typeET2_T3_PNSI_ISN_E10value_typeET4_jRbjT5_ST_jjP12ihipStream_tbEUlT_E_NS1_11comp_targetILNS1_3genE8ELNS1_11target_archE1030ELNS1_3gpuE2ELNS1_3repE0EEENS1_30default_config_static_selectorELNS0_4arch9wavefront6targetE1EEEvSH_,@function
_ZN7rocprim17ROCPRIM_400000_NS6detail17trampoline_kernelINS0_14default_configENS1_36segmented_radix_sort_config_selectorIllEEZNS1_25segmented_radix_sort_implIS3_Lb1EPKlPlS8_S9_N2at6native12_GLOBAL__N_18offset_tEEE10hipError_tPvRmT1_PNSt15iterator_traitsISH_E10value_typeET2_T3_PNSI_ISN_E10value_typeET4_jRbjT5_ST_jjP12ihipStream_tbEUlT_E_NS1_11comp_targetILNS1_3genE8ELNS1_11target_archE1030ELNS1_3gpuE2ELNS1_3repE0EEENS1_30default_config_static_selectorELNS0_4arch9wavefront6targetE1EEEvSH_: ; @_ZN7rocprim17ROCPRIM_400000_NS6detail17trampoline_kernelINS0_14default_configENS1_36segmented_radix_sort_config_selectorIllEEZNS1_25segmented_radix_sort_implIS3_Lb1EPKlPlS8_S9_N2at6native12_GLOBAL__N_18offset_tEEE10hipError_tPvRmT1_PNSt15iterator_traitsISH_E10value_typeET2_T3_PNSI_ISN_E10value_typeET4_jRbjT5_ST_jjP12ihipStream_tbEUlT_E_NS1_11comp_targetILNS1_3genE8ELNS1_11target_archE1030ELNS1_3gpuE2ELNS1_3repE0EEENS1_30default_config_static_selectorELNS0_4arch9wavefront6targetE1EEEvSH_
; %bb.0:
	.section	.rodata,"a",@progbits
	.p2align	6, 0x0
	.amdhsa_kernel _ZN7rocprim17ROCPRIM_400000_NS6detail17trampoline_kernelINS0_14default_configENS1_36segmented_radix_sort_config_selectorIllEEZNS1_25segmented_radix_sort_implIS3_Lb1EPKlPlS8_S9_N2at6native12_GLOBAL__N_18offset_tEEE10hipError_tPvRmT1_PNSt15iterator_traitsISH_E10value_typeET2_T3_PNSI_ISN_E10value_typeET4_jRbjT5_ST_jjP12ihipStream_tbEUlT_E_NS1_11comp_targetILNS1_3genE8ELNS1_11target_archE1030ELNS1_3gpuE2ELNS1_3repE0EEENS1_30default_config_static_selectorELNS0_4arch9wavefront6targetE1EEEvSH_
		.amdhsa_group_segment_fixed_size 0
		.amdhsa_private_segment_fixed_size 0
		.amdhsa_kernarg_size 96
		.amdhsa_user_sgpr_count 6
		.amdhsa_user_sgpr_private_segment_buffer 1
		.amdhsa_user_sgpr_dispatch_ptr 0
		.amdhsa_user_sgpr_queue_ptr 0
		.amdhsa_user_sgpr_kernarg_segment_ptr 1
		.amdhsa_user_sgpr_dispatch_id 0
		.amdhsa_user_sgpr_flat_scratch_init 0
		.amdhsa_user_sgpr_kernarg_preload_length 0
		.amdhsa_user_sgpr_kernarg_preload_offset 0
		.amdhsa_user_sgpr_private_segment_size 0
		.amdhsa_uses_dynamic_stack 0
		.amdhsa_system_sgpr_private_segment_wavefront_offset 0
		.amdhsa_system_sgpr_workgroup_id_x 1
		.amdhsa_system_sgpr_workgroup_id_y 0
		.amdhsa_system_sgpr_workgroup_id_z 0
		.amdhsa_system_sgpr_workgroup_info 0
		.amdhsa_system_vgpr_workitem_id 0
		.amdhsa_next_free_vgpr 1
		.amdhsa_next_free_sgpr 0
		.amdhsa_accum_offset 4
		.amdhsa_reserve_vcc 0
		.amdhsa_reserve_flat_scratch 0
		.amdhsa_float_round_mode_32 0
		.amdhsa_float_round_mode_16_64 0
		.amdhsa_float_denorm_mode_32 3
		.amdhsa_float_denorm_mode_16_64 3
		.amdhsa_dx10_clamp 1
		.amdhsa_ieee_mode 1
		.amdhsa_fp16_overflow 0
		.amdhsa_tg_split 0
		.amdhsa_exception_fp_ieee_invalid_op 0
		.amdhsa_exception_fp_denorm_src 0
		.amdhsa_exception_fp_ieee_div_zero 0
		.amdhsa_exception_fp_ieee_overflow 0
		.amdhsa_exception_fp_ieee_underflow 0
		.amdhsa_exception_fp_ieee_inexact 0
		.amdhsa_exception_int_div_zero 0
	.end_amdhsa_kernel
	.section	.text._ZN7rocprim17ROCPRIM_400000_NS6detail17trampoline_kernelINS0_14default_configENS1_36segmented_radix_sort_config_selectorIllEEZNS1_25segmented_radix_sort_implIS3_Lb1EPKlPlS8_S9_N2at6native12_GLOBAL__N_18offset_tEEE10hipError_tPvRmT1_PNSt15iterator_traitsISH_E10value_typeET2_T3_PNSI_ISN_E10value_typeET4_jRbjT5_ST_jjP12ihipStream_tbEUlT_E_NS1_11comp_targetILNS1_3genE8ELNS1_11target_archE1030ELNS1_3gpuE2ELNS1_3repE0EEENS1_30default_config_static_selectorELNS0_4arch9wavefront6targetE1EEEvSH_,"axG",@progbits,_ZN7rocprim17ROCPRIM_400000_NS6detail17trampoline_kernelINS0_14default_configENS1_36segmented_radix_sort_config_selectorIllEEZNS1_25segmented_radix_sort_implIS3_Lb1EPKlPlS8_S9_N2at6native12_GLOBAL__N_18offset_tEEE10hipError_tPvRmT1_PNSt15iterator_traitsISH_E10value_typeET2_T3_PNSI_ISN_E10value_typeET4_jRbjT5_ST_jjP12ihipStream_tbEUlT_E_NS1_11comp_targetILNS1_3genE8ELNS1_11target_archE1030ELNS1_3gpuE2ELNS1_3repE0EEENS1_30default_config_static_selectorELNS0_4arch9wavefront6targetE1EEEvSH_,comdat
.Lfunc_end713:
	.size	_ZN7rocprim17ROCPRIM_400000_NS6detail17trampoline_kernelINS0_14default_configENS1_36segmented_radix_sort_config_selectorIllEEZNS1_25segmented_radix_sort_implIS3_Lb1EPKlPlS8_S9_N2at6native12_GLOBAL__N_18offset_tEEE10hipError_tPvRmT1_PNSt15iterator_traitsISH_E10value_typeET2_T3_PNSI_ISN_E10value_typeET4_jRbjT5_ST_jjP12ihipStream_tbEUlT_E_NS1_11comp_targetILNS1_3genE8ELNS1_11target_archE1030ELNS1_3gpuE2ELNS1_3repE0EEENS1_30default_config_static_selectorELNS0_4arch9wavefront6targetE1EEEvSH_, .Lfunc_end713-_ZN7rocprim17ROCPRIM_400000_NS6detail17trampoline_kernelINS0_14default_configENS1_36segmented_radix_sort_config_selectorIllEEZNS1_25segmented_radix_sort_implIS3_Lb1EPKlPlS8_S9_N2at6native12_GLOBAL__N_18offset_tEEE10hipError_tPvRmT1_PNSt15iterator_traitsISH_E10value_typeET2_T3_PNSI_ISN_E10value_typeET4_jRbjT5_ST_jjP12ihipStream_tbEUlT_E_NS1_11comp_targetILNS1_3genE8ELNS1_11target_archE1030ELNS1_3gpuE2ELNS1_3repE0EEENS1_30default_config_static_selectorELNS0_4arch9wavefront6targetE1EEEvSH_
                                        ; -- End function
	.section	.AMDGPU.csdata,"",@progbits
; Kernel info:
; codeLenInByte = 0
; NumSgprs: 4
; NumVgprs: 0
; NumAgprs: 0
; TotalNumVgprs: 0
; ScratchSize: 0
; MemoryBound: 0
; FloatMode: 240
; IeeeMode: 1
; LDSByteSize: 0 bytes/workgroup (compile time only)
; SGPRBlocks: 0
; VGPRBlocks: 0
; NumSGPRsForWavesPerEU: 4
; NumVGPRsForWavesPerEU: 1
; AccumOffset: 4
; Occupancy: 8
; WaveLimiterHint : 0
; COMPUTE_PGM_RSRC2:SCRATCH_EN: 0
; COMPUTE_PGM_RSRC2:USER_SGPR: 6
; COMPUTE_PGM_RSRC2:TRAP_HANDLER: 0
; COMPUTE_PGM_RSRC2:TGID_X_EN: 1
; COMPUTE_PGM_RSRC2:TGID_Y_EN: 0
; COMPUTE_PGM_RSRC2:TGID_Z_EN: 0
; COMPUTE_PGM_RSRC2:TIDIG_COMP_CNT: 0
; COMPUTE_PGM_RSRC3_GFX90A:ACCUM_OFFSET: 0
; COMPUTE_PGM_RSRC3_GFX90A:TG_SPLIT: 0
	.section	.text._ZN7rocprim17ROCPRIM_400000_NS6detail17trampoline_kernelINS0_14default_configENS1_36segmented_radix_sort_config_selectorIllEEZNS1_25segmented_radix_sort_implIS3_Lb1EPKlPlS8_S9_N2at6native12_GLOBAL__N_18offset_tEEE10hipError_tPvRmT1_PNSt15iterator_traitsISH_E10value_typeET2_T3_PNSI_ISN_E10value_typeET4_jRbjT5_ST_jjP12ihipStream_tbEUlT_E0_NS1_11comp_targetILNS1_3genE0ELNS1_11target_archE4294967295ELNS1_3gpuE0ELNS1_3repE0EEENS1_60segmented_radix_sort_warp_sort_medium_config_static_selectorELNS0_4arch9wavefront6targetE1EEEvSH_,"axG",@progbits,_ZN7rocprim17ROCPRIM_400000_NS6detail17trampoline_kernelINS0_14default_configENS1_36segmented_radix_sort_config_selectorIllEEZNS1_25segmented_radix_sort_implIS3_Lb1EPKlPlS8_S9_N2at6native12_GLOBAL__N_18offset_tEEE10hipError_tPvRmT1_PNSt15iterator_traitsISH_E10value_typeET2_T3_PNSI_ISN_E10value_typeET4_jRbjT5_ST_jjP12ihipStream_tbEUlT_E0_NS1_11comp_targetILNS1_3genE0ELNS1_11target_archE4294967295ELNS1_3gpuE0ELNS1_3repE0EEENS1_60segmented_radix_sort_warp_sort_medium_config_static_selectorELNS0_4arch9wavefront6targetE1EEEvSH_,comdat
	.globl	_ZN7rocprim17ROCPRIM_400000_NS6detail17trampoline_kernelINS0_14default_configENS1_36segmented_radix_sort_config_selectorIllEEZNS1_25segmented_radix_sort_implIS3_Lb1EPKlPlS8_S9_N2at6native12_GLOBAL__N_18offset_tEEE10hipError_tPvRmT1_PNSt15iterator_traitsISH_E10value_typeET2_T3_PNSI_ISN_E10value_typeET4_jRbjT5_ST_jjP12ihipStream_tbEUlT_E0_NS1_11comp_targetILNS1_3genE0ELNS1_11target_archE4294967295ELNS1_3gpuE0ELNS1_3repE0EEENS1_60segmented_radix_sort_warp_sort_medium_config_static_selectorELNS0_4arch9wavefront6targetE1EEEvSH_ ; -- Begin function _ZN7rocprim17ROCPRIM_400000_NS6detail17trampoline_kernelINS0_14default_configENS1_36segmented_radix_sort_config_selectorIllEEZNS1_25segmented_radix_sort_implIS3_Lb1EPKlPlS8_S9_N2at6native12_GLOBAL__N_18offset_tEEE10hipError_tPvRmT1_PNSt15iterator_traitsISH_E10value_typeET2_T3_PNSI_ISN_E10value_typeET4_jRbjT5_ST_jjP12ihipStream_tbEUlT_E0_NS1_11comp_targetILNS1_3genE0ELNS1_11target_archE4294967295ELNS1_3gpuE0ELNS1_3repE0EEENS1_60segmented_radix_sort_warp_sort_medium_config_static_selectorELNS0_4arch9wavefront6targetE1EEEvSH_
	.p2align	8
	.type	_ZN7rocprim17ROCPRIM_400000_NS6detail17trampoline_kernelINS0_14default_configENS1_36segmented_radix_sort_config_selectorIllEEZNS1_25segmented_radix_sort_implIS3_Lb1EPKlPlS8_S9_N2at6native12_GLOBAL__N_18offset_tEEE10hipError_tPvRmT1_PNSt15iterator_traitsISH_E10value_typeET2_T3_PNSI_ISN_E10value_typeET4_jRbjT5_ST_jjP12ihipStream_tbEUlT_E0_NS1_11comp_targetILNS1_3genE0ELNS1_11target_archE4294967295ELNS1_3gpuE0ELNS1_3repE0EEENS1_60segmented_radix_sort_warp_sort_medium_config_static_selectorELNS0_4arch9wavefront6targetE1EEEvSH_,@function
_ZN7rocprim17ROCPRIM_400000_NS6detail17trampoline_kernelINS0_14default_configENS1_36segmented_radix_sort_config_selectorIllEEZNS1_25segmented_radix_sort_implIS3_Lb1EPKlPlS8_S9_N2at6native12_GLOBAL__N_18offset_tEEE10hipError_tPvRmT1_PNSt15iterator_traitsISH_E10value_typeET2_T3_PNSI_ISN_E10value_typeET4_jRbjT5_ST_jjP12ihipStream_tbEUlT_E0_NS1_11comp_targetILNS1_3genE0ELNS1_11target_archE4294967295ELNS1_3gpuE0ELNS1_3repE0EEENS1_60segmented_radix_sort_warp_sort_medium_config_static_selectorELNS0_4arch9wavefront6targetE1EEEvSH_: ; @_ZN7rocprim17ROCPRIM_400000_NS6detail17trampoline_kernelINS0_14default_configENS1_36segmented_radix_sort_config_selectorIllEEZNS1_25segmented_radix_sort_implIS3_Lb1EPKlPlS8_S9_N2at6native12_GLOBAL__N_18offset_tEEE10hipError_tPvRmT1_PNSt15iterator_traitsISH_E10value_typeET2_T3_PNSI_ISN_E10value_typeET4_jRbjT5_ST_jjP12ihipStream_tbEUlT_E0_NS1_11comp_targetILNS1_3genE0ELNS1_11target_archE4294967295ELNS1_3gpuE0ELNS1_3repE0EEENS1_60segmented_radix_sort_warp_sort_medium_config_static_selectorELNS0_4arch9wavefront6targetE1EEEvSH_
; %bb.0:
	.section	.rodata,"a",@progbits
	.p2align	6, 0x0
	.amdhsa_kernel _ZN7rocprim17ROCPRIM_400000_NS6detail17trampoline_kernelINS0_14default_configENS1_36segmented_radix_sort_config_selectorIllEEZNS1_25segmented_radix_sort_implIS3_Lb1EPKlPlS8_S9_N2at6native12_GLOBAL__N_18offset_tEEE10hipError_tPvRmT1_PNSt15iterator_traitsISH_E10value_typeET2_T3_PNSI_ISN_E10value_typeET4_jRbjT5_ST_jjP12ihipStream_tbEUlT_E0_NS1_11comp_targetILNS1_3genE0ELNS1_11target_archE4294967295ELNS1_3gpuE0ELNS1_3repE0EEENS1_60segmented_radix_sort_warp_sort_medium_config_static_selectorELNS0_4arch9wavefront6targetE1EEEvSH_
		.amdhsa_group_segment_fixed_size 0
		.amdhsa_private_segment_fixed_size 0
		.amdhsa_kernarg_size 88
		.amdhsa_user_sgpr_count 6
		.amdhsa_user_sgpr_private_segment_buffer 1
		.amdhsa_user_sgpr_dispatch_ptr 0
		.amdhsa_user_sgpr_queue_ptr 0
		.amdhsa_user_sgpr_kernarg_segment_ptr 1
		.amdhsa_user_sgpr_dispatch_id 0
		.amdhsa_user_sgpr_flat_scratch_init 0
		.amdhsa_user_sgpr_kernarg_preload_length 0
		.amdhsa_user_sgpr_kernarg_preload_offset 0
		.amdhsa_user_sgpr_private_segment_size 0
		.amdhsa_uses_dynamic_stack 0
		.amdhsa_system_sgpr_private_segment_wavefront_offset 0
		.amdhsa_system_sgpr_workgroup_id_x 1
		.amdhsa_system_sgpr_workgroup_id_y 0
		.amdhsa_system_sgpr_workgroup_id_z 0
		.amdhsa_system_sgpr_workgroup_info 0
		.amdhsa_system_vgpr_workitem_id 0
		.amdhsa_next_free_vgpr 1
		.amdhsa_next_free_sgpr 0
		.amdhsa_accum_offset 4
		.amdhsa_reserve_vcc 0
		.amdhsa_reserve_flat_scratch 0
		.amdhsa_float_round_mode_32 0
		.amdhsa_float_round_mode_16_64 0
		.amdhsa_float_denorm_mode_32 3
		.amdhsa_float_denorm_mode_16_64 3
		.amdhsa_dx10_clamp 1
		.amdhsa_ieee_mode 1
		.amdhsa_fp16_overflow 0
		.amdhsa_tg_split 0
		.amdhsa_exception_fp_ieee_invalid_op 0
		.amdhsa_exception_fp_denorm_src 0
		.amdhsa_exception_fp_ieee_div_zero 0
		.amdhsa_exception_fp_ieee_overflow 0
		.amdhsa_exception_fp_ieee_underflow 0
		.amdhsa_exception_fp_ieee_inexact 0
		.amdhsa_exception_int_div_zero 0
	.end_amdhsa_kernel
	.section	.text._ZN7rocprim17ROCPRIM_400000_NS6detail17trampoline_kernelINS0_14default_configENS1_36segmented_radix_sort_config_selectorIllEEZNS1_25segmented_radix_sort_implIS3_Lb1EPKlPlS8_S9_N2at6native12_GLOBAL__N_18offset_tEEE10hipError_tPvRmT1_PNSt15iterator_traitsISH_E10value_typeET2_T3_PNSI_ISN_E10value_typeET4_jRbjT5_ST_jjP12ihipStream_tbEUlT_E0_NS1_11comp_targetILNS1_3genE0ELNS1_11target_archE4294967295ELNS1_3gpuE0ELNS1_3repE0EEENS1_60segmented_radix_sort_warp_sort_medium_config_static_selectorELNS0_4arch9wavefront6targetE1EEEvSH_,"axG",@progbits,_ZN7rocprim17ROCPRIM_400000_NS6detail17trampoline_kernelINS0_14default_configENS1_36segmented_radix_sort_config_selectorIllEEZNS1_25segmented_radix_sort_implIS3_Lb1EPKlPlS8_S9_N2at6native12_GLOBAL__N_18offset_tEEE10hipError_tPvRmT1_PNSt15iterator_traitsISH_E10value_typeET2_T3_PNSI_ISN_E10value_typeET4_jRbjT5_ST_jjP12ihipStream_tbEUlT_E0_NS1_11comp_targetILNS1_3genE0ELNS1_11target_archE4294967295ELNS1_3gpuE0ELNS1_3repE0EEENS1_60segmented_radix_sort_warp_sort_medium_config_static_selectorELNS0_4arch9wavefront6targetE1EEEvSH_,comdat
.Lfunc_end714:
	.size	_ZN7rocprim17ROCPRIM_400000_NS6detail17trampoline_kernelINS0_14default_configENS1_36segmented_radix_sort_config_selectorIllEEZNS1_25segmented_radix_sort_implIS3_Lb1EPKlPlS8_S9_N2at6native12_GLOBAL__N_18offset_tEEE10hipError_tPvRmT1_PNSt15iterator_traitsISH_E10value_typeET2_T3_PNSI_ISN_E10value_typeET4_jRbjT5_ST_jjP12ihipStream_tbEUlT_E0_NS1_11comp_targetILNS1_3genE0ELNS1_11target_archE4294967295ELNS1_3gpuE0ELNS1_3repE0EEENS1_60segmented_radix_sort_warp_sort_medium_config_static_selectorELNS0_4arch9wavefront6targetE1EEEvSH_, .Lfunc_end714-_ZN7rocprim17ROCPRIM_400000_NS6detail17trampoline_kernelINS0_14default_configENS1_36segmented_radix_sort_config_selectorIllEEZNS1_25segmented_radix_sort_implIS3_Lb1EPKlPlS8_S9_N2at6native12_GLOBAL__N_18offset_tEEE10hipError_tPvRmT1_PNSt15iterator_traitsISH_E10value_typeET2_T3_PNSI_ISN_E10value_typeET4_jRbjT5_ST_jjP12ihipStream_tbEUlT_E0_NS1_11comp_targetILNS1_3genE0ELNS1_11target_archE4294967295ELNS1_3gpuE0ELNS1_3repE0EEENS1_60segmented_radix_sort_warp_sort_medium_config_static_selectorELNS0_4arch9wavefront6targetE1EEEvSH_
                                        ; -- End function
	.section	.AMDGPU.csdata,"",@progbits
; Kernel info:
; codeLenInByte = 0
; NumSgprs: 4
; NumVgprs: 0
; NumAgprs: 0
; TotalNumVgprs: 0
; ScratchSize: 0
; MemoryBound: 0
; FloatMode: 240
; IeeeMode: 1
; LDSByteSize: 0 bytes/workgroup (compile time only)
; SGPRBlocks: 0
; VGPRBlocks: 0
; NumSGPRsForWavesPerEU: 4
; NumVGPRsForWavesPerEU: 1
; AccumOffset: 4
; Occupancy: 8
; WaveLimiterHint : 0
; COMPUTE_PGM_RSRC2:SCRATCH_EN: 0
; COMPUTE_PGM_RSRC2:USER_SGPR: 6
; COMPUTE_PGM_RSRC2:TRAP_HANDLER: 0
; COMPUTE_PGM_RSRC2:TGID_X_EN: 1
; COMPUTE_PGM_RSRC2:TGID_Y_EN: 0
; COMPUTE_PGM_RSRC2:TGID_Z_EN: 0
; COMPUTE_PGM_RSRC2:TIDIG_COMP_CNT: 0
; COMPUTE_PGM_RSRC3_GFX90A:ACCUM_OFFSET: 0
; COMPUTE_PGM_RSRC3_GFX90A:TG_SPLIT: 0
	.section	.text._ZN7rocprim17ROCPRIM_400000_NS6detail17trampoline_kernelINS0_14default_configENS1_36segmented_radix_sort_config_selectorIllEEZNS1_25segmented_radix_sort_implIS3_Lb1EPKlPlS8_S9_N2at6native12_GLOBAL__N_18offset_tEEE10hipError_tPvRmT1_PNSt15iterator_traitsISH_E10value_typeET2_T3_PNSI_ISN_E10value_typeET4_jRbjT5_ST_jjP12ihipStream_tbEUlT_E0_NS1_11comp_targetILNS1_3genE5ELNS1_11target_archE942ELNS1_3gpuE9ELNS1_3repE0EEENS1_60segmented_radix_sort_warp_sort_medium_config_static_selectorELNS0_4arch9wavefront6targetE1EEEvSH_,"axG",@progbits,_ZN7rocprim17ROCPRIM_400000_NS6detail17trampoline_kernelINS0_14default_configENS1_36segmented_radix_sort_config_selectorIllEEZNS1_25segmented_radix_sort_implIS3_Lb1EPKlPlS8_S9_N2at6native12_GLOBAL__N_18offset_tEEE10hipError_tPvRmT1_PNSt15iterator_traitsISH_E10value_typeET2_T3_PNSI_ISN_E10value_typeET4_jRbjT5_ST_jjP12ihipStream_tbEUlT_E0_NS1_11comp_targetILNS1_3genE5ELNS1_11target_archE942ELNS1_3gpuE9ELNS1_3repE0EEENS1_60segmented_radix_sort_warp_sort_medium_config_static_selectorELNS0_4arch9wavefront6targetE1EEEvSH_,comdat
	.globl	_ZN7rocprim17ROCPRIM_400000_NS6detail17trampoline_kernelINS0_14default_configENS1_36segmented_radix_sort_config_selectorIllEEZNS1_25segmented_radix_sort_implIS3_Lb1EPKlPlS8_S9_N2at6native12_GLOBAL__N_18offset_tEEE10hipError_tPvRmT1_PNSt15iterator_traitsISH_E10value_typeET2_T3_PNSI_ISN_E10value_typeET4_jRbjT5_ST_jjP12ihipStream_tbEUlT_E0_NS1_11comp_targetILNS1_3genE5ELNS1_11target_archE942ELNS1_3gpuE9ELNS1_3repE0EEENS1_60segmented_radix_sort_warp_sort_medium_config_static_selectorELNS0_4arch9wavefront6targetE1EEEvSH_ ; -- Begin function _ZN7rocprim17ROCPRIM_400000_NS6detail17trampoline_kernelINS0_14default_configENS1_36segmented_radix_sort_config_selectorIllEEZNS1_25segmented_radix_sort_implIS3_Lb1EPKlPlS8_S9_N2at6native12_GLOBAL__N_18offset_tEEE10hipError_tPvRmT1_PNSt15iterator_traitsISH_E10value_typeET2_T3_PNSI_ISN_E10value_typeET4_jRbjT5_ST_jjP12ihipStream_tbEUlT_E0_NS1_11comp_targetILNS1_3genE5ELNS1_11target_archE942ELNS1_3gpuE9ELNS1_3repE0EEENS1_60segmented_radix_sort_warp_sort_medium_config_static_selectorELNS0_4arch9wavefront6targetE1EEEvSH_
	.p2align	8
	.type	_ZN7rocprim17ROCPRIM_400000_NS6detail17trampoline_kernelINS0_14default_configENS1_36segmented_radix_sort_config_selectorIllEEZNS1_25segmented_radix_sort_implIS3_Lb1EPKlPlS8_S9_N2at6native12_GLOBAL__N_18offset_tEEE10hipError_tPvRmT1_PNSt15iterator_traitsISH_E10value_typeET2_T3_PNSI_ISN_E10value_typeET4_jRbjT5_ST_jjP12ihipStream_tbEUlT_E0_NS1_11comp_targetILNS1_3genE5ELNS1_11target_archE942ELNS1_3gpuE9ELNS1_3repE0EEENS1_60segmented_radix_sort_warp_sort_medium_config_static_selectorELNS0_4arch9wavefront6targetE1EEEvSH_,@function
_ZN7rocprim17ROCPRIM_400000_NS6detail17trampoline_kernelINS0_14default_configENS1_36segmented_radix_sort_config_selectorIllEEZNS1_25segmented_radix_sort_implIS3_Lb1EPKlPlS8_S9_N2at6native12_GLOBAL__N_18offset_tEEE10hipError_tPvRmT1_PNSt15iterator_traitsISH_E10value_typeET2_T3_PNSI_ISN_E10value_typeET4_jRbjT5_ST_jjP12ihipStream_tbEUlT_E0_NS1_11comp_targetILNS1_3genE5ELNS1_11target_archE942ELNS1_3gpuE9ELNS1_3repE0EEENS1_60segmented_radix_sort_warp_sort_medium_config_static_selectorELNS0_4arch9wavefront6targetE1EEEvSH_: ; @_ZN7rocprim17ROCPRIM_400000_NS6detail17trampoline_kernelINS0_14default_configENS1_36segmented_radix_sort_config_selectorIllEEZNS1_25segmented_radix_sort_implIS3_Lb1EPKlPlS8_S9_N2at6native12_GLOBAL__N_18offset_tEEE10hipError_tPvRmT1_PNSt15iterator_traitsISH_E10value_typeET2_T3_PNSI_ISN_E10value_typeET4_jRbjT5_ST_jjP12ihipStream_tbEUlT_E0_NS1_11comp_targetILNS1_3genE5ELNS1_11target_archE942ELNS1_3gpuE9ELNS1_3repE0EEENS1_60segmented_radix_sort_warp_sort_medium_config_static_selectorELNS0_4arch9wavefront6targetE1EEEvSH_
; %bb.0:
	.section	.rodata,"a",@progbits
	.p2align	6, 0x0
	.amdhsa_kernel _ZN7rocprim17ROCPRIM_400000_NS6detail17trampoline_kernelINS0_14default_configENS1_36segmented_radix_sort_config_selectorIllEEZNS1_25segmented_radix_sort_implIS3_Lb1EPKlPlS8_S9_N2at6native12_GLOBAL__N_18offset_tEEE10hipError_tPvRmT1_PNSt15iterator_traitsISH_E10value_typeET2_T3_PNSI_ISN_E10value_typeET4_jRbjT5_ST_jjP12ihipStream_tbEUlT_E0_NS1_11comp_targetILNS1_3genE5ELNS1_11target_archE942ELNS1_3gpuE9ELNS1_3repE0EEENS1_60segmented_radix_sort_warp_sort_medium_config_static_selectorELNS0_4arch9wavefront6targetE1EEEvSH_
		.amdhsa_group_segment_fixed_size 0
		.amdhsa_private_segment_fixed_size 0
		.amdhsa_kernarg_size 88
		.amdhsa_user_sgpr_count 6
		.amdhsa_user_sgpr_private_segment_buffer 1
		.amdhsa_user_sgpr_dispatch_ptr 0
		.amdhsa_user_sgpr_queue_ptr 0
		.amdhsa_user_sgpr_kernarg_segment_ptr 1
		.amdhsa_user_sgpr_dispatch_id 0
		.amdhsa_user_sgpr_flat_scratch_init 0
		.amdhsa_user_sgpr_kernarg_preload_length 0
		.amdhsa_user_sgpr_kernarg_preload_offset 0
		.amdhsa_user_sgpr_private_segment_size 0
		.amdhsa_uses_dynamic_stack 0
		.amdhsa_system_sgpr_private_segment_wavefront_offset 0
		.amdhsa_system_sgpr_workgroup_id_x 1
		.amdhsa_system_sgpr_workgroup_id_y 0
		.amdhsa_system_sgpr_workgroup_id_z 0
		.amdhsa_system_sgpr_workgroup_info 0
		.amdhsa_system_vgpr_workitem_id 0
		.amdhsa_next_free_vgpr 1
		.amdhsa_next_free_sgpr 0
		.amdhsa_accum_offset 4
		.amdhsa_reserve_vcc 0
		.amdhsa_reserve_flat_scratch 0
		.amdhsa_float_round_mode_32 0
		.amdhsa_float_round_mode_16_64 0
		.amdhsa_float_denorm_mode_32 3
		.amdhsa_float_denorm_mode_16_64 3
		.amdhsa_dx10_clamp 1
		.amdhsa_ieee_mode 1
		.amdhsa_fp16_overflow 0
		.amdhsa_tg_split 0
		.amdhsa_exception_fp_ieee_invalid_op 0
		.amdhsa_exception_fp_denorm_src 0
		.amdhsa_exception_fp_ieee_div_zero 0
		.amdhsa_exception_fp_ieee_overflow 0
		.amdhsa_exception_fp_ieee_underflow 0
		.amdhsa_exception_fp_ieee_inexact 0
		.amdhsa_exception_int_div_zero 0
	.end_amdhsa_kernel
	.section	.text._ZN7rocprim17ROCPRIM_400000_NS6detail17trampoline_kernelINS0_14default_configENS1_36segmented_radix_sort_config_selectorIllEEZNS1_25segmented_radix_sort_implIS3_Lb1EPKlPlS8_S9_N2at6native12_GLOBAL__N_18offset_tEEE10hipError_tPvRmT1_PNSt15iterator_traitsISH_E10value_typeET2_T3_PNSI_ISN_E10value_typeET4_jRbjT5_ST_jjP12ihipStream_tbEUlT_E0_NS1_11comp_targetILNS1_3genE5ELNS1_11target_archE942ELNS1_3gpuE9ELNS1_3repE0EEENS1_60segmented_radix_sort_warp_sort_medium_config_static_selectorELNS0_4arch9wavefront6targetE1EEEvSH_,"axG",@progbits,_ZN7rocprim17ROCPRIM_400000_NS6detail17trampoline_kernelINS0_14default_configENS1_36segmented_radix_sort_config_selectorIllEEZNS1_25segmented_radix_sort_implIS3_Lb1EPKlPlS8_S9_N2at6native12_GLOBAL__N_18offset_tEEE10hipError_tPvRmT1_PNSt15iterator_traitsISH_E10value_typeET2_T3_PNSI_ISN_E10value_typeET4_jRbjT5_ST_jjP12ihipStream_tbEUlT_E0_NS1_11comp_targetILNS1_3genE5ELNS1_11target_archE942ELNS1_3gpuE9ELNS1_3repE0EEENS1_60segmented_radix_sort_warp_sort_medium_config_static_selectorELNS0_4arch9wavefront6targetE1EEEvSH_,comdat
.Lfunc_end715:
	.size	_ZN7rocprim17ROCPRIM_400000_NS6detail17trampoline_kernelINS0_14default_configENS1_36segmented_radix_sort_config_selectorIllEEZNS1_25segmented_radix_sort_implIS3_Lb1EPKlPlS8_S9_N2at6native12_GLOBAL__N_18offset_tEEE10hipError_tPvRmT1_PNSt15iterator_traitsISH_E10value_typeET2_T3_PNSI_ISN_E10value_typeET4_jRbjT5_ST_jjP12ihipStream_tbEUlT_E0_NS1_11comp_targetILNS1_3genE5ELNS1_11target_archE942ELNS1_3gpuE9ELNS1_3repE0EEENS1_60segmented_radix_sort_warp_sort_medium_config_static_selectorELNS0_4arch9wavefront6targetE1EEEvSH_, .Lfunc_end715-_ZN7rocprim17ROCPRIM_400000_NS6detail17trampoline_kernelINS0_14default_configENS1_36segmented_radix_sort_config_selectorIllEEZNS1_25segmented_radix_sort_implIS3_Lb1EPKlPlS8_S9_N2at6native12_GLOBAL__N_18offset_tEEE10hipError_tPvRmT1_PNSt15iterator_traitsISH_E10value_typeET2_T3_PNSI_ISN_E10value_typeET4_jRbjT5_ST_jjP12ihipStream_tbEUlT_E0_NS1_11comp_targetILNS1_3genE5ELNS1_11target_archE942ELNS1_3gpuE9ELNS1_3repE0EEENS1_60segmented_radix_sort_warp_sort_medium_config_static_selectorELNS0_4arch9wavefront6targetE1EEEvSH_
                                        ; -- End function
	.section	.AMDGPU.csdata,"",@progbits
; Kernel info:
; codeLenInByte = 0
; NumSgprs: 4
; NumVgprs: 0
; NumAgprs: 0
; TotalNumVgprs: 0
; ScratchSize: 0
; MemoryBound: 0
; FloatMode: 240
; IeeeMode: 1
; LDSByteSize: 0 bytes/workgroup (compile time only)
; SGPRBlocks: 0
; VGPRBlocks: 0
; NumSGPRsForWavesPerEU: 4
; NumVGPRsForWavesPerEU: 1
; AccumOffset: 4
; Occupancy: 8
; WaveLimiterHint : 0
; COMPUTE_PGM_RSRC2:SCRATCH_EN: 0
; COMPUTE_PGM_RSRC2:USER_SGPR: 6
; COMPUTE_PGM_RSRC2:TRAP_HANDLER: 0
; COMPUTE_PGM_RSRC2:TGID_X_EN: 1
; COMPUTE_PGM_RSRC2:TGID_Y_EN: 0
; COMPUTE_PGM_RSRC2:TGID_Z_EN: 0
; COMPUTE_PGM_RSRC2:TIDIG_COMP_CNT: 0
; COMPUTE_PGM_RSRC3_GFX90A:ACCUM_OFFSET: 0
; COMPUTE_PGM_RSRC3_GFX90A:TG_SPLIT: 0
	.text
	.p2align	2                               ; -- Begin function _ZN7rocprim17ROCPRIM_400000_NS6detail26segmented_warp_sort_helperINS1_20WarpSortHelperConfigILj16ELj8ELj256EEEllLi256ELb1EvE4sortIPKlPlS8_S9_EEvT_T0_T1_T2_jjjjRNS5_12storage_typeE
	.type	_ZN7rocprim17ROCPRIM_400000_NS6detail26segmented_warp_sort_helperINS1_20WarpSortHelperConfigILj16ELj8ELj256EEEllLi256ELb1EvE4sortIPKlPlS8_S9_EEvT_T0_T1_T2_jjjjRNS5_12storage_typeE,@function
_ZN7rocprim17ROCPRIM_400000_NS6detail26segmented_warp_sort_helperINS1_20WarpSortHelperConfigILj16ELj8ELj256EEEllLi256ELb1EvE4sortIPKlPlS8_S9_EEvT_T0_T1_T2_jjjjRNS5_12storage_typeE: ; @_ZN7rocprim17ROCPRIM_400000_NS6detail26segmented_warp_sort_helperINS1_20WarpSortHelperConfigILj16ELj8ELj256EEEllLi256ELb1EvE4sortIPKlPlS8_S9_EEvT_T0_T1_T2_jjjjRNS5_12storage_typeE
; %bb.0:
	s_waitcnt vmcnt(0) expcnt(0) lgkmcnt(0)
	s_or_saveexec_b64 s[4:5], -1
	buffer_store_dword v40, off, s[0:3], s32 ; 4-byte Folded Spill
	s_mov_b64 exec, s[4:5]
	v_writelane_b32 v40, s34, 0
	v_writelane_b32 v40, s35, 1
	;; [unrolled: 1-line block ×10, first 2 shown]
	v_mbcnt_lo_u32_b32 v13, -1, 0
	v_sub_u32_e32 v12, v9, v8
	v_mov_b32_e32 v9, 0
	v_mbcnt_hi_u32_b32 v13, -1, v13
	v_lshlrev_b64 v[8:9], 3, v[8:9]
	v_lshlrev_b32_e32 v69, 3, v13
	v_add_co_u32_e32 v0, vcc, v0, v8
	v_and_b32_e32 v70, 0x78, v69
	v_addc_co_u32_e32 v1, vcc, v1, v9, vcc
	v_lshlrev_b32_e32 v68, 3, v70
	s_mov_b32 s6, 0
	v_add_co_u32_e32 v0, vcc, v0, v68
	s_brev_b32 s7, 1
	v_addc_co_u32_e32 v1, vcc, 0, v1, vcc
	v_cmp_lt_u32_e32 vcc, v70, v12
	v_pk_mov_b32 v[28:29], s[6:7], s[6:7] op_sel:[0,1]
	s_and_saveexec_b64 s[4:5], vcc
	s_cbranch_execz .LBB716_2
; %bb.1:
	flat_load_dwordx2 v[28:29], v[0:1]
.LBB716_2:
	s_or_b64 exec, exec, s[4:5]
	v_or_b32_e32 v13, 1, v70
	v_cmp_lt_u32_e64 s[4:5], v13, v12
	v_pk_mov_b32 v[34:35], s[6:7], s[6:7] op_sel:[0,1]
	s_and_saveexec_b64 s[6:7], s[4:5]
	s_cbranch_execz .LBB716_4
; %bb.3:
	flat_load_dwordx2 v[34:35], v[0:1] offset:8
.LBB716_4:
	s_or_b64 exec, exec, s[6:7]
	s_mov_b32 s10, 0
	v_or_b32_e32 v13, 2, v70
	s_brev_b32 s11, 1
	v_cmp_lt_u32_e64 s[6:7], v13, v12
	v_pk_mov_b32 v[38:39], s[10:11], s[10:11] op_sel:[0,1]
	s_and_saveexec_b64 s[14:15], s[6:7]
	s_cbranch_execz .LBB716_6
; %bb.5:
	flat_load_dwordx2 v[38:39], v[0:1] offset:16
.LBB716_6:
	s_or_b64 exec, exec, s[14:15]
	v_or_b32_e32 v13, 3, v70
	v_cmp_lt_u32_e64 s[18:19], v13, v12
	v_pk_mov_b32 v[48:49], s[10:11], s[10:11] op_sel:[0,1]
	s_and_saveexec_b64 s[10:11], s[18:19]
	s_cbranch_execz .LBB716_8
; %bb.7:
	flat_load_dwordx2 v[48:49], v[0:1] offset:24
.LBB716_8:
	s_or_b64 exec, exec, s[10:11]
	s_mov_b32 s14, 0
	v_or_b32_e32 v13, 4, v70
	s_brev_b32 s15, 1
	v_cmp_lt_u32_e64 s[10:11], v13, v12
	v_pk_mov_b32 v[50:51], s[14:15], s[14:15] op_sel:[0,1]
	s_and_saveexec_b64 s[16:17], s[10:11]
	s_cbranch_execz .LBB716_10
; %bb.9:
	flat_load_dwordx2 v[50:51], v[0:1] offset:32
.LBB716_10:
	;; [unrolled: 20-line block ×3, first 2 shown]
	s_or_b64 exec, exec, s[16:17]
	v_or_b32_e32 v13, 7, v70
	v_cmp_lt_u32_e64 s[16:17], v13, v12
	v_pk_mov_b32 v[32:33], s[20:21], s[20:21] op_sel:[0,1]
	s_and_saveexec_b64 s[20:21], s[16:17]
	s_cbranch_execz .LBB716_16
; %bb.15:
	flat_load_dwordx2 v[32:33], v[0:1] offset:56
.LBB716_16:
	s_or_b64 exec, exec, s[20:21]
	v_add_co_u32_e64 v0, s[20:21], v4, v8
	v_addc_co_u32_e64 v1, s[20:21], v5, v9, s[20:21]
	v_add_co_u32_e64 v54, s[20:21], v0, v68
	v_addc_co_u32_e64 v55, s[20:21], 0, v1, s[20:21]
	; wave barrier
                                        ; implicit-def: $vgpr0_vgpr1
	s_and_saveexec_b64 s[20:21], vcc
	s_cbranch_execnz .LBB716_244
; %bb.17:
	s_or_b64 exec, exec, s[20:21]
	s_and_saveexec_b64 s[20:21], s[4:5]
                                        ; implicit-def: $vgpr12_vgpr13_vgpr14_vgpr15
	s_cbranch_execnz .LBB716_245
.LBB716_18:
	s_or_b64 exec, exec, s[20:21]
                                        ; implicit-def: $vgpr4_vgpr5
	s_and_saveexec_b64 s[20:21], s[6:7]
	s_cbranch_execnz .LBB716_246
.LBB716_19:
	s_or_b64 exec, exec, s[20:21]
	s_and_saveexec_b64 s[20:21], s[18:19]
                                        ; implicit-def: $vgpr16_vgpr17_vgpr18_vgpr19
	s_cbranch_execnz .LBB716_247
.LBB716_20:
	s_or_b64 exec, exec, s[20:21]
                                        ; implicit-def: $vgpr12_vgpr13
	s_and_saveexec_b64 s[20:21], s[10:11]
	s_cbranch_execnz .LBB716_248
.LBB716_21:
	s_or_b64 exec, exec, s[20:21]
	s_and_saveexec_b64 s[20:21], s[26:27]
                                        ; implicit-def: $vgpr20_vgpr21_vgpr22_vgpr23
	s_cbranch_execnz .LBB716_249
.LBB716_22:
	s_or_b64 exec, exec, s[20:21]
                                        ; implicit-def: $vgpr16_vgpr17
	s_and_saveexec_b64 s[20:21], s[14:15]
	s_cbranch_execnz .LBB716_250
.LBB716_23:
	s_or_b64 exec, exec, s[20:21]
	s_and_saveexec_b64 s[20:21], s[16:17]
                                        ; implicit-def: $vgpr24_vgpr25_vgpr26_vgpr27
	s_cbranch_execz .LBB716_25
.LBB716_24:
	flat_load_dwordx2 v[26:27], v[54:55] offset:56
.LBB716_25:
	s_or_b64 exec, exec, s[20:21]
	v_cmp_ne_u32_e64 s[20:21], 0, v10
	v_cmp_ne_u32_e64 s[22:23], 64, v11
	s_or_b64 s[20:21], s[20:21], s[22:23]
	v_bfe_u32 v20, v31, 10, 10
	v_bfe_u32 v21, v31, 20, 10
	; wave barrier
	s_and_saveexec_b64 s[22:23], s[20:21]
	s_xor_b64 s[38:39], exec, s[22:23]
	s_cbranch_execz .LBB716_125
; %bb.26:
	s_load_dwordx2 s[20:21], s[8:9], 0x0
	v_mov_b32_e32 v24, 0
	v_and_b32_e32 v31, 0x3ff, v31
	s_waitcnt lgkmcnt(0)
	s_cmp_lt_u32 s12, s20
	s_cselect_b32 s22, 12, 18
	s_cmp_lt_u32 s13, s21
	s_cselect_b32 s20, 14, 20
	s_add_u32 s20, s8, s20
	s_addc_u32 s21, s9, 0
	s_add_u32 s22, s8, s22
	s_addc_u32 s23, s9, 0
	global_load_ushort v30, v24, s[20:21]
	global_load_ushort v54, v24, s[22:23]
	v_lshlrev_b64 v[24:25], v11, -1
	v_lshlrev_b64 v[10:11], v10, -1
	s_movk_i32 s20, 0x800
	v_xor_b32_e32 v11, v25, v11
	v_xor_b32_e32 v10, v24, v10
	s_waitcnt vmcnt(0)
	v_mad_u32_u24 v20, v21, v30, v20
	v_mul_lo_u32 v20, v20, v54
	v_add_lshl_u32 v71, v20, v31, 3
	v_cmp_gt_u32_e64 s[20:21], s20, v71
	s_and_saveexec_b64 s[22:23], s[20:21]
	s_cbranch_execz .LBB716_84
; %bb.27:
	v_and_b32_e32 v21, v35, v11
	v_and_b32_e32 v20, v34, v10
	v_and_b32_e32 v25, v29, v11
	v_and_b32_e32 v24, v28, v10
	v_cmp_gt_u64_e64 s[20:21], v[20:21], v[24:25]
	v_pk_mov_b32 v[20:21], v[34:35], v[34:35] op_sel:[0,1]
	v_pk_mov_b32 v[24:25], v[14:15], v[14:15] op_sel:[0,1]
	s_and_saveexec_b64 s[24:25], s[20:21]
; %bb.28:
	v_pk_mov_b32 v[20:21], v[28:29], v[28:29] op_sel:[0,1]
	v_pk_mov_b32 v[28:29], v[34:35], v[34:35] op_sel:[0,1]
	v_pk_mov_b32 v[24:25], v[0:1], v[0:1] op_sel:[0,1]
	v_pk_mov_b32 v[0:1], v[14:15], v[14:15] op_sel:[0,1]
; %bb.29:
	s_or_b64 exec, exec, s[24:25]
	v_and_b32_e32 v15, v49, v11
	v_and_b32_e32 v14, v48, v10
	v_and_b32_e32 v31, v39, v11
	v_and_b32_e32 v30, v38, v10
	v_cmp_gt_u64_e64 s[20:21], v[14:15], v[30:31]
	v_pk_mov_b32 v[64:65], v[48:49], v[48:49] op_sel:[0,1]
	v_pk_mov_b32 v[30:31], v[18:19], v[18:19] op_sel:[0,1]
	s_and_saveexec_b64 s[24:25], s[20:21]
; %bb.30:
	v_pk_mov_b32 v[64:65], v[38:39], v[38:39] op_sel:[0,1]
	v_pk_mov_b32 v[38:39], v[48:49], v[48:49] op_sel:[0,1]
	v_pk_mov_b32 v[30:31], v[4:5], v[4:5] op_sel:[0,1]
	v_pk_mov_b32 v[4:5], v[18:19], v[18:19] op_sel:[0,1]
; %bb.31:
	s_or_b64 exec, exec, s[24:25]
	;; [unrolled: 15-line block ×4, first 2 shown]
	v_and_b32_e32 v23, v39, v11
	v_and_b32_e32 v22, v38, v10
	;; [unrolled: 1-line block ×4, first 2 shown]
	v_cmp_gt_u64_e64 s[20:21], v[22:23], v[26:27]
	v_pk_mov_b32 v[22:23], v[38:39], v[38:39] op_sel:[0,1]
	v_pk_mov_b32 v[26:27], v[4:5], v[4:5] op_sel:[0,1]
	s_and_saveexec_b64 s[24:25], s[20:21]
	s_xor_b64 s[20:21], exec, s[24:25]
; %bb.36:
	v_pk_mov_b32 v[22:23], v[20:21], v[20:21] op_sel:[0,1]
	v_pk_mov_b32 v[20:21], v[38:39], v[38:39] op_sel:[0,1]
	v_pk_mov_b32 v[26:27], v[24:25], v[24:25] op_sel:[0,1]
	v_pk_mov_b32 v[24:25], v[4:5], v[4:5] op_sel:[0,1]
; %bb.37:
	s_or_b64 exec, exec, s[20:21]
	v_and_b32_e32 v5, v55, v11
	v_and_b32_e32 v4, v54, v10
	v_and_b32_e32 v39, v65, v11
	v_and_b32_e32 v38, v64, v10
	v_cmp_gt_u64_e64 s[20:21], v[4:5], v[38:39]
	v_pk_mov_b32 v[4:5], v[64:65], v[64:65] op_sel:[0,1]
	v_pk_mov_b32 v[38:39], v[12:13], v[12:13] op_sel:[0,1]
	s_and_saveexec_b64 s[24:25], s[20:21]
; %bb.38:
	v_pk_mov_b32 v[4:5], v[54:55], v[54:55] op_sel:[0,1]
	v_pk_mov_b32 v[38:39], v[30:31], v[30:31] op_sel:[0,1]
	v_pk_mov_b32 v[30:31], v[12:13], v[12:13] op_sel:[0,1]
	v_pk_mov_b32 v[54:55], v[64:65], v[64:65] op_sel:[0,1]
; %bb.39:
	s_or_b64 exec, exec, s[24:25]
	v_and_b32_e32 v13, v35, v11
	v_and_b32_e32 v12, v34, v10
	v_and_b32_e32 v49, v37, v11
	v_and_b32_e32 v48, v36, v10
	v_cmp_gt_u64_e64 s[20:21], v[12:13], v[48:49]
	v_pk_mov_b32 v[12:13], v[16:17], v[16:17] op_sel:[0,1]
	v_pk_mov_b32 v[48:49], v[36:37], v[36:37] op_sel:[0,1]
	s_and_saveexec_b64 s[24:25], s[20:21]
	;; [unrolled: 15-line block ×23, first 2 shown]
; %bb.82:
	v_pk_mov_b32 v[52:53], v[36:37], v[36:37] op_sel:[0,1]
	v_pk_mov_b32 v[36:37], v[24:25], v[24:25] op_sel:[0,1]
	;; [unrolled: 1-line block ×4, first 2 shown]
; %bb.83:
	s_or_b64 exec, exec, s[24:25]
.LBB716_84:
	s_or_b64 exec, exec, s[22:23]
	v_and_b32_e32 v20, 0xfffffe00, v71
	v_lshlrev_b32_e32 v24, 3, v20
	s_movk_i32 s20, 0x800
	v_lshl_add_u32 v31, v69, 3, v24
	v_sub_u32_e64 v25, s20, v20 clamp
	v_add_u32_e32 v20, 0x4010, v31
	v_add_u32_e32 v30, 0x4000, v31
	ds_write2_b64 v31, v[28:29], v[34:35] offset1:1
	ds_write2_b64 v30, v[0:1], v[14:15] offset1:1
	ds_write2_b64 v31, v[38:39], v[48:49] offset0:2 offset1:3
	ds_write2_b64 v20, v[4:5], v[18:19] offset1:1
	v_add_u32_e32 v20, 0x4020, v31
	ds_write2_b64 v31, v[50:51], v[36:37] offset0:4 offset1:5
	ds_write2_b64 v20, v[12:13], v[22:23] offset1:1
	v_add_u32_e32 v20, 0x4030, v31
	ds_write2_b64 v31, v[52:53], v[32:33] offset0:6 offset1:7
	ds_write2_b64 v20, v[16:17], v[26:27] offset1:1
	v_or_b32_e32 v20, 8, v69
	v_min_u32_e32 v54, v25, v20
	v_add_u32_e32 v20, 8, v54
	v_and_b32_e32 v64, 0x3f0, v69
	v_min_u32_e32 v55, v25, v20
	v_and_b32_e32 v20, 8, v69
	v_min_u32_e32 v65, v25, v20
	v_sub_u32_e32 v66, v54, v64
	v_sub_u32_e32 v21, v55, v54
	v_sub_u32_e64 v21, v65, v21 clamp
	v_min_u32_e32 v66, v65, v66
	v_lshl_add_u32 v20, v64, 3, v24
	v_cmp_lt_u32_e64 s[20:21], v21, v66
	; wave barrier
	s_and_saveexec_b64 s[22:23], s[20:21]
	s_cbranch_execz .LBB716_88
; %bb.85:
	v_lshlrev_b32_e32 v67, 3, v54
	v_lshlrev_b32_e32 v71, 3, v65
	v_add3_u32 v67, v24, v67, v71
	s_mov_b64 s[24:25], 0
.LBB716_86:                             ; =>This Inner Loop Header: Depth=1
	v_add_u32_e32 v71, v66, v21
	v_lshrrev_b32_e32 v71, 1, v71
	v_not_b32_e32 v82, v71
	v_lshl_add_u32 v80, v71, 3, v20
	v_lshl_add_u32 v82, v82, 3, v67
	ds_read_b64 v[80:81], v80
	ds_read_b64 v[82:83], v82
	v_add_u32_e32 v84, 1, v71
	s_waitcnt lgkmcnt(1)
	v_and_b32_e32 v81, v81, v11
	v_and_b32_e32 v80, v80, v10
	s_waitcnt lgkmcnt(0)
	v_and_b32_e32 v83, v83, v11
	v_and_b32_e32 v82, v82, v10
	v_cmp_gt_u64_e64 s[20:21], v[82:83], v[80:81]
	v_cndmask_b32_e64 v66, v66, v71, s[20:21]
	v_cndmask_b32_e64 v21, v84, v21, s[20:21]
	v_cmp_ge_u32_e64 s[20:21], v21, v66
	s_or_b64 s[24:25], s[20:21], s[24:25]
	s_andn2_b64 exec, exec, s[24:25]
	s_cbranch_execnz .LBB716_86
; %bb.87:
	s_or_b64 exec, exec, s[24:25]
.LBB716_88:
	s_or_b64 exec, exec, s[22:23]
	v_add_u32_e32 v65, v54, v65
	v_add_u32_e32 v64, v21, v64
	v_sub_u32_e32 v65, v65, v21
	v_cmp_le_u32_e64 s[20:21], v64, v54
	v_cmp_le_u32_e64 s[22:23], v65, v55
	s_or_b64 s[20:21], s[20:21], s[22:23]
	s_and_saveexec_b64 s[40:41], s[20:21]
	s_cbranch_execz .LBB716_94
; %bb.89:
	v_cmp_lt_u32_e64 s[20:21], v64, v54
                                        ; implicit-def: $vgpr16_vgpr17
	s_and_saveexec_b64 s[22:23], s[20:21]
	s_cbranch_execz .LBB716_91
; %bb.90:
	v_lshl_add_u32 v0, v21, 3, v20
	ds_read_b64 v[16:17], v0
.LBB716_91:
	s_or_b64 exec, exec, s[22:23]
	v_cmp_ge_u32_e64 s[22:23], v65, v55
	v_cmp_lt_u32_e64 s[24:25], v65, v55
                                        ; implicit-def: $vgpr20_vgpr21
	s_and_saveexec_b64 s[28:29], s[24:25]
	s_cbranch_execz .LBB716_93
; %bb.92:
	v_lshl_add_u32 v0, v65, 3, v24
	ds_read_b64 v[20:21], v0
.LBB716_93:
	s_or_b64 exec, exec, s[28:29]
	s_waitcnt lgkmcnt(0)
	v_and_b32_e32 v1, v21, v11
	v_and_b32_e32 v0, v20, v10
	;; [unrolled: 1-line block ×4, first 2 shown]
	v_cmp_le_u64_e64 s[24:25], v[0:1], v[4:5]
	s_and_b64 s[20:21], s[20:21], s[24:25]
	s_or_b64 s[20:21], s[22:23], s[20:21]
	v_cndmask_b32_e64 v12, v65, v64, s[20:21]
	v_cndmask_b32_e64 v0, v55, v54, s[20:21]
	v_add_u32_e32 v4, 1, v12
	v_add_u32_e32 v0, -1, v0
	v_min_u32_e32 v0, v4, v0
	v_lshl_add_u32 v0, v0, 3, v24
	ds_read_b64 v[0:1], v0
	v_cndmask_b32_e64 v13, v4, v65, s[20:21]
	v_cndmask_b32_e64 v14, v64, v4, s[20:21]
	v_cmp_lt_u32_e64 s[24:25], v14, v54
	v_cmp_ge_u32_e64 s[22:23], v13, v55
	s_waitcnt lgkmcnt(0)
	v_cndmask_b32_e64 v26, v1, v21, s[20:21]
	v_cndmask_b32_e64 v27, v0, v20, s[20:21]
	;; [unrolled: 1-line block ×4, first 2 shown]
	v_and_b32_e32 v1, v26, v11
	v_and_b32_e32 v0, v27, v10
	;; [unrolled: 1-line block ×4, first 2 shown]
	v_cmp_le_u64_e64 s[28:29], v[0:1], v[4:5]
	s_and_b64 s[24:25], s[24:25], s[28:29]
	s_or_b64 s[24:25], s[22:23], s[24:25]
	v_cndmask_b32_e64 v15, v13, v14, s[24:25]
	v_cndmask_b32_e64 v0, v55, v54, s[24:25]
	v_add_u32_e32 v4, 1, v15
	v_add_u32_e32 v0, -1, v0
	v_min_u32_e32 v0, v4, v0
	v_lshl_add_u32 v0, v0, 3, v24
	ds_read_b64 v[0:1], v0
	v_cndmask_b32_e64 v13, v4, v13, s[24:25]
	v_cndmask_b32_e64 v18, v14, v4, s[24:25]
	v_cmp_lt_u32_e64 s[28:29], v18, v54
	v_cmp_ge_u32_e64 s[22:23], v13, v55
	s_waitcnt lgkmcnt(0)
	v_cndmask_b32_e64 v36, v1, v26, s[24:25]
	v_cndmask_b32_e64 v37, v0, v27, s[24:25]
	;; [unrolled: 1-line block ×4, first 2 shown]
	v_and_b32_e32 v1, v36, v11
	v_and_b32_e32 v0, v37, v10
	;; [unrolled: 1-line block ×4, first 2 shown]
	v_cmp_le_u64_e64 s[30:31], v[0:1], v[4:5]
	s_and_b64 s[28:29], s[28:29], s[30:31]
	s_or_b64 s[22:23], s[22:23], s[28:29]
	v_cndmask_b32_e64 v19, v13, v18, s[22:23]
	v_cndmask_b32_e64 v0, v55, v54, s[22:23]
	v_add_u32_e32 v22, 1, v19
	v_add_u32_e32 v0, -1, v0
	v_min_u32_e32 v0, v22, v0
	v_lshl_add_u32 v0, v0, 3, v24
	ds_read_b64 v[4:5], v0
	v_lshl_add_u32 v0, v12, 3, v24
	v_lshl_add_u32 v12, v15, 3, v24
	ds_read_b64 v[14:15], v12 offset:16384
	v_cndmask_b32_e64 v23, v22, v13, s[22:23]
	s_waitcnt lgkmcnt(1)
	v_cndmask_b32_e64 v49, v5, v36, s[22:23]
	v_cndmask_b32_e64 v50, v4, v37, s[22:23]
	;; [unrolled: 1-line block ×5, first 2 shown]
	v_and_b32_e32 v5, v49, v11
	v_and_b32_e32 v4, v50, v10
	;; [unrolled: 1-line block ×4, first 2 shown]
	v_cmp_lt_u32_e64 s[30:31], v22, v54
	v_cmp_le_u64_e64 s[34:35], v[4:5], v[12:13]
	v_cmp_ge_u32_e64 s[28:29], v23, v55
	s_and_b64 s[30:31], s[30:31], s[34:35]
	s_or_b64 s[28:29], s[28:29], s[30:31]
	v_cndmask_b32_e64 v18, v23, v22, s[28:29]
	v_cndmask_b32_e64 v4, v55, v54, s[28:29]
	v_add_u32_e32 v28, 1, v18
	v_add_u32_e32 v4, -1, v4
	v_min_u32_e32 v4, v28, v4
	v_lshl_add_u32 v4, v4, 3, v24
	ds_read_b64 v[0:1], v0 offset:16384
	ds_read_b64 v[12:13], v4
	v_cndmask_b32_e64 v39, v28, v23, s[28:29]
	v_cndmask_b32_e64 v67, v22, v28, s[28:29]
	v_cmp_lt_u32_e64 s[34:35], v67, v54
	v_cmp_ge_u32_e64 s[30:31], v39, v55
	s_waitcnt lgkmcnt(0)
	v_cndmask_b32_e64 v53, v13, v49, s[28:29]
	v_cndmask_b32_e64 v64, v12, v50, s[28:29]
	;; [unrolled: 1-line block ×4, first 2 shown]
	v_and_b32_e32 v13, v53, v11
	v_and_b32_e32 v12, v64, v10
	;; [unrolled: 1-line block ×4, first 2 shown]
	v_cmp_le_u64_e64 s[36:37], v[12:13], v[22:23]
	s_and_b64 s[34:35], s[34:35], s[36:37]
	s_or_b64 s[30:31], s[30:31], s[34:35]
	v_cndmask_b32_e64 v12, v39, v67, s[30:31]
	v_cndmask_b32_e64 v13, v55, v54, s[30:31]
	v_lshl_add_u32 v22, v12, 3, v24
	v_add_u32_e32 v71, 1, v12
	v_add_u32_e32 v12, -1, v13
	v_min_u32_e32 v12, v71, v12
	v_lshl_add_u32 v4, v19, 3, v24
	v_lshl_add_u32 v18, v18, 3, v24
	;; [unrolled: 1-line block ×3, first 2 shown]
	ds_read_b64 v[4:5], v4 offset:16384
	ds_read_b64 v[18:19], v18 offset:16384
	;; [unrolled: 1-line block ×3, first 2 shown]
	ds_read_b64 v[22:23], v23
	v_cndmask_b32_e64 v35, v26, v32, s[24:25]
	v_cndmask_b32_e64 v34, v27, v33, s[24:25]
	;; [unrolled: 1-line block ×4, first 2 shown]
	s_waitcnt lgkmcnt(0)
	v_cndmask_b32_e64 v26, v23, v53, s[30:31]
	v_cndmask_b32_e64 v27, v22, v64, s[30:31]
	;; [unrolled: 1-line block ×5, first 2 shown]
	v_and_b32_e32 v17, v26, v11
	v_and_b32_e32 v16, v27, v10
	;; [unrolled: 1-line block ×4, first 2 shown]
	v_cndmask_b32_e64 v80, v71, v39, s[30:31]
	v_cmp_lt_u32_e64 s[24:25], v67, v54
	v_cmp_le_u64_e64 s[34:35], v[16:17], v[20:21]
	v_cmp_ge_u32_e64 s[20:21], v80, v55
	s_and_b64 s[24:25], s[24:25], s[34:35]
	s_or_b64 s[20:21], s[20:21], s[24:25]
	v_cndmask_b32_e64 v16, v80, v67, s[20:21]
	v_cndmask_b32_e64 v17, v55, v54, s[20:21]
	v_lshl_add_u32 v20, v16, 3, v24
	v_add_u32_e32 v21, 1, v16
	v_add_u32_e32 v16, -1, v17
	v_min_u32_e32 v16, v21, v16
	v_lshl_add_u32 v16, v16, 3, v24
	ds_read_b64 v[22:23], v20 offset:16384
	ds_read_b64 v[16:17], v16
	v_cndmask_b32_e64 v39, v36, v38, s[22:23]
	v_cndmask_b32_e64 v38, v37, v48, s[22:23]
	;; [unrolled: 1-line block ×4, first 2 shown]
	s_waitcnt lgkmcnt(0)
	v_cndmask_b32_e64 v52, v17, v26, s[20:21]
	v_cndmask_b32_e64 v71, v16, v27, s[20:21]
	;; [unrolled: 1-line block ×5, first 2 shown]
	v_and_b32_e32 v17, v52, v11
	v_and_b32_e32 v16, v71, v10
	;; [unrolled: 1-line block ×4, first 2 shown]
	v_cndmask_b32_e64 v49, v49, v51, s[28:29]
	v_cmp_lt_u32_e64 s[24:25], v67, v54
	v_cmp_le_u64_e64 s[28:29], v[16:17], v[20:21]
	v_cmp_ge_u32_e64 s[22:23], v80, v55
	s_and_b64 s[24:25], s[24:25], s[28:29]
	s_or_b64 s[22:23], s[22:23], s[24:25]
	v_cndmask_b32_e64 v16, v80, v67, s[22:23]
	v_cndmask_b32_e64 v17, v55, v54, s[22:23]
	v_lshl_add_u32 v20, v16, 3, v24
	v_add_u32_e32 v83, 1, v16
	v_add_u32_e32 v16, -1, v17
	v_min_u32_e32 v16, v83, v16
	v_lshl_add_u32 v21, v16, 3, v24
	ds_read_b64 v[16:17], v20 offset:16384
	ds_read_b64 v[20:21], v21
	v_cndmask_b32_e64 v51, v53, v65, s[30:31]
	v_cndmask_b32_e64 v50, v64, v66, s[30:31]
	v_cndmask_b32_e64 v37, v26, v32, s[20:21]
	v_cndmask_b32_e64 v36, v27, v33, s[20:21]
	s_waitcnt lgkmcnt(0)
	v_cndmask_b32_e64 v32, v21, v52, s[22:23]
	v_cndmask_b32_e64 v64, v20, v71, s[22:23]
	;; [unrolled: 1-line block ×5, first 2 shown]
	v_and_b32_e32 v21, v32, v11
	v_and_b32_e32 v20, v64, v10
	v_and_b32_e32 v27, v33, v11
	v_and_b32_e32 v26, v65, v10
	v_cndmask_b32_e64 v53, v83, v80, s[22:23]
	v_cmp_lt_u32_e64 s[24:25], v66, v54
	v_cmp_le_u64_e64 s[28:29], v[20:21], v[26:27]
	v_cmp_ge_u32_e64 s[20:21], v53, v55
	s_and_b64 s[24:25], s[24:25], s[28:29]
	s_or_b64 s[20:21], s[20:21], s[24:25]
	v_cndmask_b32_e64 v20, v53, v66, s[20:21]
	v_lshl_add_u32 v20, v20, 3, v24
	ds_read_b64 v[26:27], v20 offset:16384
	v_cndmask_b32_e64 v53, v52, v81, s[22:23]
	v_cndmask_b32_e64 v52, v71, v82, s[22:23]
	;; [unrolled: 1-line block ×4, first 2 shown]
.LBB716_94:
	s_or_b64 exec, exec, s[40:41]
	v_add_u32_e32 v20, 0x4000, v31
	v_and_b32_e32 v64, 0x3e0, v69
	; wave barrier
	ds_write2_b64 v31, v[28:29], v[34:35] offset1:1
	ds_write2_b64 v20, v[0:1], v[14:15] offset1:1
	ds_write2_b64 v31, v[38:39], v[48:49] offset0:2 offset1:3
	ds_write2_b64 v30, v[4:5], v[18:19] offset0:2 offset1:3
	;; [unrolled: 1-line block ×5, first 2 shown]
	s_waitcnt lgkmcnt(7)
	ds_write2_b64 v30, v[16:17], v[26:27] offset0:6 offset1:7
	v_or_b32_e32 v20, 16, v64
	v_min_u32_e32 v54, v25, v20
	v_add_u32_e32 v20, 16, v54
	v_min_u32_e32 v55, v25, v20
	v_and_b32_e32 v20, 24, v69
	v_min_u32_e32 v65, v25, v20
	v_sub_u32_e32 v66, v54, v64
	v_sub_u32_e32 v21, v55, v54
	v_sub_u32_e64 v21, v65, v21 clamp
	v_min_u32_e32 v66, v65, v66
	v_lshl_add_u32 v20, v64, 3, v24
	v_cmp_lt_u32_e64 s[20:21], v21, v66
	; wave barrier
	s_and_saveexec_b64 s[22:23], s[20:21]
	s_cbranch_execz .LBB716_98
; %bb.95:
	v_lshlrev_b32_e32 v67, 3, v54
	v_lshlrev_b32_e32 v71, 3, v65
	v_add3_u32 v67, v24, v67, v71
	s_mov_b64 s[24:25], 0
.LBB716_96:                             ; =>This Inner Loop Header: Depth=1
	v_add_u32_e32 v71, v66, v21
	v_lshrrev_b32_e32 v71, 1, v71
	v_not_b32_e32 v82, v71
	v_lshl_add_u32 v80, v71, 3, v20
	v_lshl_add_u32 v82, v82, 3, v67
	ds_read_b64 v[80:81], v80
	ds_read_b64 v[82:83], v82
	v_add_u32_e32 v84, 1, v71
	s_waitcnt lgkmcnt(1)
	v_and_b32_e32 v81, v81, v11
	v_and_b32_e32 v80, v80, v10
	s_waitcnt lgkmcnt(0)
	v_and_b32_e32 v83, v83, v11
	v_and_b32_e32 v82, v82, v10
	v_cmp_gt_u64_e64 s[20:21], v[82:83], v[80:81]
	v_cndmask_b32_e64 v66, v66, v71, s[20:21]
	v_cndmask_b32_e64 v21, v84, v21, s[20:21]
	v_cmp_ge_u32_e64 s[20:21], v21, v66
	s_or_b64 s[24:25], s[20:21], s[24:25]
	s_andn2_b64 exec, exec, s[24:25]
	s_cbranch_execnz .LBB716_96
; %bb.97:
	s_or_b64 exec, exec, s[24:25]
.LBB716_98:
	s_or_b64 exec, exec, s[22:23]
	v_add_u32_e32 v65, v54, v65
	v_add_u32_e32 v64, v21, v64
	v_sub_u32_e32 v65, v65, v21
	v_cmp_le_u32_e64 s[20:21], v64, v54
	v_cmp_le_u32_e64 s[22:23], v65, v55
	s_or_b64 s[20:21], s[20:21], s[22:23]
	s_and_saveexec_b64 s[40:41], s[20:21]
	s_cbranch_execz .LBB716_104
; %bb.99:
	v_cmp_lt_u32_e64 s[20:21], v64, v54
                                        ; implicit-def: $vgpr16_vgpr17
	s_and_saveexec_b64 s[22:23], s[20:21]
	s_cbranch_execz .LBB716_101
; %bb.100:
	v_lshl_add_u32 v0, v21, 3, v20
	ds_read_b64 v[16:17], v0
.LBB716_101:
	s_or_b64 exec, exec, s[22:23]
	v_cmp_ge_u32_e64 s[22:23], v65, v55
	v_cmp_lt_u32_e64 s[24:25], v65, v55
                                        ; implicit-def: $vgpr20_vgpr21
	s_and_saveexec_b64 s[28:29], s[24:25]
	s_cbranch_execz .LBB716_103
; %bb.102:
	v_lshl_add_u32 v0, v65, 3, v24
	ds_read_b64 v[20:21], v0
.LBB716_103:
	s_or_b64 exec, exec, s[28:29]
	s_waitcnt lgkmcnt(0)
	v_and_b32_e32 v1, v21, v11
	v_and_b32_e32 v0, v20, v10
	;; [unrolled: 1-line block ×4, first 2 shown]
	v_cmp_le_u64_e64 s[24:25], v[0:1], v[4:5]
	s_and_b64 s[20:21], s[20:21], s[24:25]
	s_or_b64 s[20:21], s[22:23], s[20:21]
	v_cndmask_b32_e64 v12, v65, v64, s[20:21]
	v_cndmask_b32_e64 v0, v55, v54, s[20:21]
	v_add_u32_e32 v4, 1, v12
	v_add_u32_e32 v0, -1, v0
	v_min_u32_e32 v0, v4, v0
	v_lshl_add_u32 v0, v0, 3, v24
	ds_read_b64 v[0:1], v0
	v_cndmask_b32_e64 v13, v4, v65, s[20:21]
	v_cndmask_b32_e64 v14, v64, v4, s[20:21]
	v_cmp_lt_u32_e64 s[24:25], v14, v54
	v_cmp_ge_u32_e64 s[22:23], v13, v55
	s_waitcnt lgkmcnt(0)
	v_cndmask_b32_e64 v26, v1, v21, s[20:21]
	v_cndmask_b32_e64 v27, v0, v20, s[20:21]
	;; [unrolled: 1-line block ×4, first 2 shown]
	v_and_b32_e32 v1, v26, v11
	v_and_b32_e32 v0, v27, v10
	;; [unrolled: 1-line block ×4, first 2 shown]
	v_cmp_le_u64_e64 s[28:29], v[0:1], v[4:5]
	s_and_b64 s[24:25], s[24:25], s[28:29]
	s_or_b64 s[24:25], s[22:23], s[24:25]
	v_cndmask_b32_e64 v15, v13, v14, s[24:25]
	v_cndmask_b32_e64 v0, v55, v54, s[24:25]
	v_add_u32_e32 v4, 1, v15
	v_add_u32_e32 v0, -1, v0
	v_min_u32_e32 v0, v4, v0
	v_lshl_add_u32 v0, v0, 3, v24
	ds_read_b64 v[0:1], v0
	v_cndmask_b32_e64 v13, v4, v13, s[24:25]
	v_cndmask_b32_e64 v18, v14, v4, s[24:25]
	v_cmp_lt_u32_e64 s[28:29], v18, v54
	v_cmp_ge_u32_e64 s[22:23], v13, v55
	s_waitcnt lgkmcnt(0)
	v_cndmask_b32_e64 v36, v1, v26, s[24:25]
	v_cndmask_b32_e64 v37, v0, v27, s[24:25]
	;; [unrolled: 1-line block ×4, first 2 shown]
	v_and_b32_e32 v1, v36, v11
	v_and_b32_e32 v0, v37, v10
	;; [unrolled: 1-line block ×4, first 2 shown]
	v_cmp_le_u64_e64 s[30:31], v[0:1], v[4:5]
	s_and_b64 s[28:29], s[28:29], s[30:31]
	s_or_b64 s[22:23], s[22:23], s[28:29]
	v_cndmask_b32_e64 v19, v13, v18, s[22:23]
	v_cndmask_b32_e64 v0, v55, v54, s[22:23]
	v_add_u32_e32 v22, 1, v19
	v_add_u32_e32 v0, -1, v0
	v_min_u32_e32 v0, v22, v0
	v_lshl_add_u32 v0, v0, 3, v24
	ds_read_b64 v[4:5], v0
	v_lshl_add_u32 v0, v12, 3, v24
	v_lshl_add_u32 v12, v15, 3, v24
	ds_read_b64 v[14:15], v12 offset:16384
	v_cndmask_b32_e64 v23, v22, v13, s[22:23]
	s_waitcnt lgkmcnt(1)
	v_cndmask_b32_e64 v49, v5, v36, s[22:23]
	v_cndmask_b32_e64 v50, v4, v37, s[22:23]
	;; [unrolled: 1-line block ×5, first 2 shown]
	v_and_b32_e32 v5, v49, v11
	v_and_b32_e32 v4, v50, v10
	;; [unrolled: 1-line block ×4, first 2 shown]
	v_cmp_lt_u32_e64 s[30:31], v22, v54
	v_cmp_le_u64_e64 s[34:35], v[4:5], v[12:13]
	v_cmp_ge_u32_e64 s[28:29], v23, v55
	s_and_b64 s[30:31], s[30:31], s[34:35]
	s_or_b64 s[28:29], s[28:29], s[30:31]
	v_cndmask_b32_e64 v18, v23, v22, s[28:29]
	v_cndmask_b32_e64 v4, v55, v54, s[28:29]
	v_add_u32_e32 v28, 1, v18
	v_add_u32_e32 v4, -1, v4
	v_min_u32_e32 v4, v28, v4
	v_lshl_add_u32 v4, v4, 3, v24
	ds_read_b64 v[0:1], v0 offset:16384
	ds_read_b64 v[12:13], v4
	v_cndmask_b32_e64 v39, v28, v23, s[28:29]
	v_cndmask_b32_e64 v67, v22, v28, s[28:29]
	v_cmp_lt_u32_e64 s[34:35], v67, v54
	v_cmp_ge_u32_e64 s[30:31], v39, v55
	s_waitcnt lgkmcnt(0)
	v_cndmask_b32_e64 v53, v13, v49, s[28:29]
	v_cndmask_b32_e64 v64, v12, v50, s[28:29]
	;; [unrolled: 1-line block ×4, first 2 shown]
	v_and_b32_e32 v13, v53, v11
	v_and_b32_e32 v12, v64, v10
	;; [unrolled: 1-line block ×4, first 2 shown]
	v_cmp_le_u64_e64 s[36:37], v[12:13], v[22:23]
	s_and_b64 s[34:35], s[34:35], s[36:37]
	s_or_b64 s[30:31], s[30:31], s[34:35]
	v_cndmask_b32_e64 v12, v39, v67, s[30:31]
	v_cndmask_b32_e64 v13, v55, v54, s[30:31]
	v_lshl_add_u32 v22, v12, 3, v24
	v_add_u32_e32 v71, 1, v12
	v_add_u32_e32 v12, -1, v13
	v_min_u32_e32 v12, v71, v12
	v_lshl_add_u32 v4, v19, 3, v24
	v_lshl_add_u32 v18, v18, 3, v24
	;; [unrolled: 1-line block ×3, first 2 shown]
	ds_read_b64 v[4:5], v4 offset:16384
	ds_read_b64 v[18:19], v18 offset:16384
	;; [unrolled: 1-line block ×3, first 2 shown]
	ds_read_b64 v[22:23], v23
	v_cndmask_b32_e64 v35, v26, v32, s[24:25]
	v_cndmask_b32_e64 v34, v27, v33, s[24:25]
	;; [unrolled: 1-line block ×4, first 2 shown]
	s_waitcnt lgkmcnt(0)
	v_cndmask_b32_e64 v26, v23, v53, s[30:31]
	v_cndmask_b32_e64 v27, v22, v64, s[30:31]
	;; [unrolled: 1-line block ×5, first 2 shown]
	v_and_b32_e32 v17, v26, v11
	v_and_b32_e32 v16, v27, v10
	v_and_b32_e32 v21, v32, v11
	v_and_b32_e32 v20, v33, v10
	v_cndmask_b32_e64 v80, v71, v39, s[30:31]
	v_cmp_lt_u32_e64 s[24:25], v67, v54
	v_cmp_le_u64_e64 s[34:35], v[16:17], v[20:21]
	v_cmp_ge_u32_e64 s[20:21], v80, v55
	s_and_b64 s[24:25], s[24:25], s[34:35]
	s_or_b64 s[20:21], s[20:21], s[24:25]
	v_cndmask_b32_e64 v16, v80, v67, s[20:21]
	v_cndmask_b32_e64 v17, v55, v54, s[20:21]
	v_lshl_add_u32 v20, v16, 3, v24
	v_add_u32_e32 v21, 1, v16
	v_add_u32_e32 v16, -1, v17
	v_min_u32_e32 v16, v21, v16
	v_lshl_add_u32 v16, v16, 3, v24
	ds_read_b64 v[22:23], v20 offset:16384
	ds_read_b64 v[16:17], v16
	v_cndmask_b32_e64 v39, v36, v38, s[22:23]
	v_cndmask_b32_e64 v38, v37, v48, s[22:23]
	;; [unrolled: 1-line block ×4, first 2 shown]
	s_waitcnt lgkmcnt(0)
	v_cndmask_b32_e64 v52, v17, v26, s[20:21]
	v_cndmask_b32_e64 v71, v16, v27, s[20:21]
	;; [unrolled: 1-line block ×5, first 2 shown]
	v_and_b32_e32 v17, v52, v11
	v_and_b32_e32 v16, v71, v10
	;; [unrolled: 1-line block ×4, first 2 shown]
	v_cndmask_b32_e64 v49, v49, v51, s[28:29]
	v_cmp_lt_u32_e64 s[24:25], v67, v54
	v_cmp_le_u64_e64 s[28:29], v[16:17], v[20:21]
	v_cmp_ge_u32_e64 s[22:23], v80, v55
	s_and_b64 s[24:25], s[24:25], s[28:29]
	s_or_b64 s[22:23], s[22:23], s[24:25]
	v_cndmask_b32_e64 v16, v80, v67, s[22:23]
	v_cndmask_b32_e64 v17, v55, v54, s[22:23]
	v_lshl_add_u32 v20, v16, 3, v24
	v_add_u32_e32 v83, 1, v16
	v_add_u32_e32 v16, -1, v17
	v_min_u32_e32 v16, v83, v16
	v_lshl_add_u32 v21, v16, 3, v24
	ds_read_b64 v[16:17], v20 offset:16384
	ds_read_b64 v[20:21], v21
	v_cndmask_b32_e64 v51, v53, v65, s[30:31]
	v_cndmask_b32_e64 v50, v64, v66, s[30:31]
	;; [unrolled: 1-line block ×4, first 2 shown]
	s_waitcnt lgkmcnt(0)
	v_cndmask_b32_e64 v32, v21, v52, s[22:23]
	v_cndmask_b32_e64 v64, v20, v71, s[22:23]
	;; [unrolled: 1-line block ×5, first 2 shown]
	v_and_b32_e32 v21, v32, v11
	v_and_b32_e32 v20, v64, v10
	;; [unrolled: 1-line block ×4, first 2 shown]
	v_cndmask_b32_e64 v53, v83, v80, s[22:23]
	v_cmp_lt_u32_e64 s[24:25], v66, v54
	v_cmp_le_u64_e64 s[28:29], v[20:21], v[26:27]
	v_cmp_ge_u32_e64 s[20:21], v53, v55
	s_and_b64 s[24:25], s[24:25], s[28:29]
	s_or_b64 s[20:21], s[20:21], s[24:25]
	v_cndmask_b32_e64 v20, v53, v66, s[20:21]
	v_lshl_add_u32 v20, v20, 3, v24
	ds_read_b64 v[26:27], v20 offset:16384
	v_cndmask_b32_e64 v53, v52, v81, s[22:23]
	v_cndmask_b32_e64 v52, v71, v82, s[22:23]
	;; [unrolled: 1-line block ×4, first 2 shown]
.LBB716_104:
	s_or_b64 exec, exec, s[40:41]
	v_add_u32_e32 v20, 0x4000, v31
	v_and_b32_e32 v64, 0x3c0, v69
	; wave barrier
	ds_write2_b64 v31, v[28:29], v[34:35] offset1:1
	ds_write2_b64 v20, v[0:1], v[14:15] offset1:1
	ds_write2_b64 v31, v[38:39], v[48:49] offset0:2 offset1:3
	ds_write2_b64 v30, v[4:5], v[18:19] offset0:2 offset1:3
	;; [unrolled: 1-line block ×5, first 2 shown]
	s_waitcnt lgkmcnt(7)
	ds_write2_b64 v30, v[16:17], v[26:27] offset0:6 offset1:7
	v_or_b32_e32 v20, 32, v64
	v_min_u32_e32 v54, v25, v20
	v_add_u32_e32 v20, 32, v54
	v_min_u32_e32 v55, v25, v20
	v_and_b32_e32 v20, 56, v69
	v_min_u32_e32 v65, v25, v20
	v_sub_u32_e32 v66, v54, v64
	v_sub_u32_e32 v21, v55, v54
	v_sub_u32_e64 v21, v65, v21 clamp
	v_min_u32_e32 v66, v65, v66
	v_lshl_add_u32 v20, v64, 3, v24
	v_cmp_lt_u32_e64 s[20:21], v21, v66
	; wave barrier
	s_and_saveexec_b64 s[22:23], s[20:21]
	s_cbranch_execz .LBB716_108
; %bb.105:
	v_lshlrev_b32_e32 v67, 3, v54
	v_lshlrev_b32_e32 v71, 3, v65
	v_add3_u32 v67, v24, v67, v71
	s_mov_b64 s[24:25], 0
.LBB716_106:                            ; =>This Inner Loop Header: Depth=1
	v_add_u32_e32 v71, v66, v21
	v_lshrrev_b32_e32 v71, 1, v71
	v_not_b32_e32 v82, v71
	v_lshl_add_u32 v80, v71, 3, v20
	v_lshl_add_u32 v82, v82, 3, v67
	ds_read_b64 v[80:81], v80
	ds_read_b64 v[82:83], v82
	v_add_u32_e32 v84, 1, v71
	s_waitcnt lgkmcnt(1)
	v_and_b32_e32 v81, v81, v11
	v_and_b32_e32 v80, v80, v10
	s_waitcnt lgkmcnt(0)
	v_and_b32_e32 v83, v83, v11
	v_and_b32_e32 v82, v82, v10
	v_cmp_gt_u64_e64 s[20:21], v[82:83], v[80:81]
	v_cndmask_b32_e64 v66, v66, v71, s[20:21]
	v_cndmask_b32_e64 v21, v84, v21, s[20:21]
	v_cmp_ge_u32_e64 s[20:21], v21, v66
	s_or_b64 s[24:25], s[20:21], s[24:25]
	s_andn2_b64 exec, exec, s[24:25]
	s_cbranch_execnz .LBB716_106
; %bb.107:
	s_or_b64 exec, exec, s[24:25]
.LBB716_108:
	s_or_b64 exec, exec, s[22:23]
	v_add_u32_e32 v65, v54, v65
	v_add_u32_e32 v64, v21, v64
	v_sub_u32_e32 v65, v65, v21
	v_cmp_le_u32_e64 s[20:21], v64, v54
	v_cmp_le_u32_e64 s[22:23], v65, v55
	s_or_b64 s[20:21], s[20:21], s[22:23]
	s_and_saveexec_b64 s[40:41], s[20:21]
	s_cbranch_execz .LBB716_114
; %bb.109:
	v_cmp_lt_u32_e64 s[20:21], v64, v54
                                        ; implicit-def: $vgpr16_vgpr17
	s_and_saveexec_b64 s[22:23], s[20:21]
	s_cbranch_execz .LBB716_111
; %bb.110:
	v_lshl_add_u32 v0, v21, 3, v20
	ds_read_b64 v[16:17], v0
.LBB716_111:
	s_or_b64 exec, exec, s[22:23]
	v_cmp_ge_u32_e64 s[22:23], v65, v55
	v_cmp_lt_u32_e64 s[24:25], v65, v55
                                        ; implicit-def: $vgpr20_vgpr21
	s_and_saveexec_b64 s[28:29], s[24:25]
	s_cbranch_execz .LBB716_113
; %bb.112:
	v_lshl_add_u32 v0, v65, 3, v24
	ds_read_b64 v[20:21], v0
.LBB716_113:
	s_or_b64 exec, exec, s[28:29]
	s_waitcnt lgkmcnt(0)
	v_and_b32_e32 v1, v21, v11
	v_and_b32_e32 v0, v20, v10
	;; [unrolled: 1-line block ×4, first 2 shown]
	v_cmp_le_u64_e64 s[24:25], v[0:1], v[4:5]
	s_and_b64 s[20:21], s[20:21], s[24:25]
	s_or_b64 s[20:21], s[22:23], s[20:21]
	v_cndmask_b32_e64 v12, v65, v64, s[20:21]
	v_cndmask_b32_e64 v0, v55, v54, s[20:21]
	v_add_u32_e32 v4, 1, v12
	v_add_u32_e32 v0, -1, v0
	v_min_u32_e32 v0, v4, v0
	v_lshl_add_u32 v0, v0, 3, v24
	ds_read_b64 v[0:1], v0
	v_cndmask_b32_e64 v13, v4, v65, s[20:21]
	v_cndmask_b32_e64 v14, v64, v4, s[20:21]
	v_cmp_lt_u32_e64 s[24:25], v14, v54
	v_cmp_ge_u32_e64 s[22:23], v13, v55
	s_waitcnt lgkmcnt(0)
	v_cndmask_b32_e64 v26, v1, v21, s[20:21]
	v_cndmask_b32_e64 v27, v0, v20, s[20:21]
	;; [unrolled: 1-line block ×4, first 2 shown]
	v_and_b32_e32 v1, v26, v11
	v_and_b32_e32 v0, v27, v10
	;; [unrolled: 1-line block ×4, first 2 shown]
	v_cmp_le_u64_e64 s[28:29], v[0:1], v[4:5]
	s_and_b64 s[24:25], s[24:25], s[28:29]
	s_or_b64 s[24:25], s[22:23], s[24:25]
	v_cndmask_b32_e64 v15, v13, v14, s[24:25]
	v_cndmask_b32_e64 v0, v55, v54, s[24:25]
	v_add_u32_e32 v4, 1, v15
	v_add_u32_e32 v0, -1, v0
	v_min_u32_e32 v0, v4, v0
	v_lshl_add_u32 v0, v0, 3, v24
	ds_read_b64 v[0:1], v0
	v_cndmask_b32_e64 v13, v4, v13, s[24:25]
	v_cndmask_b32_e64 v18, v14, v4, s[24:25]
	v_cmp_lt_u32_e64 s[28:29], v18, v54
	v_cmp_ge_u32_e64 s[22:23], v13, v55
	s_waitcnt lgkmcnt(0)
	v_cndmask_b32_e64 v36, v1, v26, s[24:25]
	v_cndmask_b32_e64 v37, v0, v27, s[24:25]
	;; [unrolled: 1-line block ×4, first 2 shown]
	v_and_b32_e32 v1, v36, v11
	v_and_b32_e32 v0, v37, v10
	;; [unrolled: 1-line block ×4, first 2 shown]
	v_cmp_le_u64_e64 s[30:31], v[0:1], v[4:5]
	s_and_b64 s[28:29], s[28:29], s[30:31]
	s_or_b64 s[22:23], s[22:23], s[28:29]
	v_cndmask_b32_e64 v19, v13, v18, s[22:23]
	v_cndmask_b32_e64 v0, v55, v54, s[22:23]
	v_add_u32_e32 v22, 1, v19
	v_add_u32_e32 v0, -1, v0
	v_min_u32_e32 v0, v22, v0
	v_lshl_add_u32 v0, v0, 3, v24
	ds_read_b64 v[4:5], v0
	v_lshl_add_u32 v0, v12, 3, v24
	v_lshl_add_u32 v12, v15, 3, v24
	ds_read_b64 v[14:15], v12 offset:16384
	v_cndmask_b32_e64 v23, v22, v13, s[22:23]
	s_waitcnt lgkmcnt(1)
	v_cndmask_b32_e64 v49, v5, v36, s[22:23]
	v_cndmask_b32_e64 v50, v4, v37, s[22:23]
	;; [unrolled: 1-line block ×5, first 2 shown]
	v_and_b32_e32 v5, v49, v11
	v_and_b32_e32 v4, v50, v10
	;; [unrolled: 1-line block ×4, first 2 shown]
	v_cmp_lt_u32_e64 s[30:31], v22, v54
	v_cmp_le_u64_e64 s[34:35], v[4:5], v[12:13]
	v_cmp_ge_u32_e64 s[28:29], v23, v55
	s_and_b64 s[30:31], s[30:31], s[34:35]
	s_or_b64 s[28:29], s[28:29], s[30:31]
	v_cndmask_b32_e64 v18, v23, v22, s[28:29]
	v_cndmask_b32_e64 v4, v55, v54, s[28:29]
	v_add_u32_e32 v28, 1, v18
	v_add_u32_e32 v4, -1, v4
	v_min_u32_e32 v4, v28, v4
	v_lshl_add_u32 v4, v4, 3, v24
	ds_read_b64 v[0:1], v0 offset:16384
	ds_read_b64 v[12:13], v4
	v_cndmask_b32_e64 v39, v28, v23, s[28:29]
	v_cndmask_b32_e64 v67, v22, v28, s[28:29]
	v_cmp_lt_u32_e64 s[34:35], v67, v54
	v_cmp_ge_u32_e64 s[30:31], v39, v55
	s_waitcnt lgkmcnt(0)
	v_cndmask_b32_e64 v53, v13, v49, s[28:29]
	v_cndmask_b32_e64 v64, v12, v50, s[28:29]
	;; [unrolled: 1-line block ×4, first 2 shown]
	v_and_b32_e32 v13, v53, v11
	v_and_b32_e32 v12, v64, v10
	;; [unrolled: 1-line block ×4, first 2 shown]
	v_cmp_le_u64_e64 s[36:37], v[12:13], v[22:23]
	s_and_b64 s[34:35], s[34:35], s[36:37]
	s_or_b64 s[30:31], s[30:31], s[34:35]
	v_cndmask_b32_e64 v12, v39, v67, s[30:31]
	v_cndmask_b32_e64 v13, v55, v54, s[30:31]
	v_lshl_add_u32 v22, v12, 3, v24
	v_add_u32_e32 v71, 1, v12
	v_add_u32_e32 v12, -1, v13
	v_min_u32_e32 v12, v71, v12
	v_lshl_add_u32 v4, v19, 3, v24
	v_lshl_add_u32 v18, v18, 3, v24
	;; [unrolled: 1-line block ×3, first 2 shown]
	ds_read_b64 v[4:5], v4 offset:16384
	ds_read_b64 v[18:19], v18 offset:16384
	;; [unrolled: 1-line block ×3, first 2 shown]
	ds_read_b64 v[22:23], v23
	v_cndmask_b32_e64 v35, v26, v32, s[24:25]
	v_cndmask_b32_e64 v34, v27, v33, s[24:25]
	;; [unrolled: 1-line block ×4, first 2 shown]
	s_waitcnt lgkmcnt(0)
	v_cndmask_b32_e64 v26, v23, v53, s[30:31]
	v_cndmask_b32_e64 v27, v22, v64, s[30:31]
	;; [unrolled: 1-line block ×5, first 2 shown]
	v_and_b32_e32 v17, v26, v11
	v_and_b32_e32 v16, v27, v10
	v_and_b32_e32 v21, v32, v11
	v_and_b32_e32 v20, v33, v10
	v_cndmask_b32_e64 v80, v71, v39, s[30:31]
	v_cmp_lt_u32_e64 s[24:25], v67, v54
	v_cmp_le_u64_e64 s[34:35], v[16:17], v[20:21]
	v_cmp_ge_u32_e64 s[20:21], v80, v55
	s_and_b64 s[24:25], s[24:25], s[34:35]
	s_or_b64 s[20:21], s[20:21], s[24:25]
	v_cndmask_b32_e64 v16, v80, v67, s[20:21]
	v_cndmask_b32_e64 v17, v55, v54, s[20:21]
	v_lshl_add_u32 v20, v16, 3, v24
	v_add_u32_e32 v21, 1, v16
	v_add_u32_e32 v16, -1, v17
	v_min_u32_e32 v16, v21, v16
	v_lshl_add_u32 v16, v16, 3, v24
	ds_read_b64 v[22:23], v20 offset:16384
	ds_read_b64 v[16:17], v16
	v_cndmask_b32_e64 v39, v36, v38, s[22:23]
	v_cndmask_b32_e64 v38, v37, v48, s[22:23]
	;; [unrolled: 1-line block ×4, first 2 shown]
	s_waitcnt lgkmcnt(0)
	v_cndmask_b32_e64 v52, v17, v26, s[20:21]
	v_cndmask_b32_e64 v71, v16, v27, s[20:21]
	;; [unrolled: 1-line block ×5, first 2 shown]
	v_and_b32_e32 v17, v52, v11
	v_and_b32_e32 v16, v71, v10
	;; [unrolled: 1-line block ×4, first 2 shown]
	v_cndmask_b32_e64 v49, v49, v51, s[28:29]
	v_cmp_lt_u32_e64 s[24:25], v67, v54
	v_cmp_le_u64_e64 s[28:29], v[16:17], v[20:21]
	v_cmp_ge_u32_e64 s[22:23], v80, v55
	s_and_b64 s[24:25], s[24:25], s[28:29]
	s_or_b64 s[22:23], s[22:23], s[24:25]
	v_cndmask_b32_e64 v16, v80, v67, s[22:23]
	v_cndmask_b32_e64 v17, v55, v54, s[22:23]
	v_lshl_add_u32 v20, v16, 3, v24
	v_add_u32_e32 v83, 1, v16
	v_add_u32_e32 v16, -1, v17
	v_min_u32_e32 v16, v83, v16
	v_lshl_add_u32 v21, v16, 3, v24
	ds_read_b64 v[16:17], v20 offset:16384
	ds_read_b64 v[20:21], v21
	v_cndmask_b32_e64 v51, v53, v65, s[30:31]
	v_cndmask_b32_e64 v50, v64, v66, s[30:31]
	;; [unrolled: 1-line block ×4, first 2 shown]
	s_waitcnt lgkmcnt(0)
	v_cndmask_b32_e64 v32, v21, v52, s[22:23]
	v_cndmask_b32_e64 v64, v20, v71, s[22:23]
	;; [unrolled: 1-line block ×5, first 2 shown]
	v_and_b32_e32 v21, v32, v11
	v_and_b32_e32 v20, v64, v10
	;; [unrolled: 1-line block ×4, first 2 shown]
	v_cndmask_b32_e64 v53, v83, v80, s[22:23]
	v_cmp_lt_u32_e64 s[24:25], v66, v54
	v_cmp_le_u64_e64 s[28:29], v[20:21], v[26:27]
	v_cmp_ge_u32_e64 s[20:21], v53, v55
	s_and_b64 s[24:25], s[24:25], s[28:29]
	s_or_b64 s[20:21], s[20:21], s[24:25]
	v_cndmask_b32_e64 v20, v53, v66, s[20:21]
	v_lshl_add_u32 v20, v20, 3, v24
	ds_read_b64 v[26:27], v20 offset:16384
	v_cndmask_b32_e64 v53, v52, v81, s[22:23]
	v_cndmask_b32_e64 v52, v71, v82, s[22:23]
	;; [unrolled: 1-line block ×4, first 2 shown]
.LBB716_114:
	s_or_b64 exec, exec, s[40:41]
	v_add_u32_e32 v20, 0x4000, v31
	v_and_b32_e32 v54, 0x380, v69
	; wave barrier
	ds_write2_b64 v31, v[28:29], v[34:35] offset1:1
	ds_write2_b64 v20, v[0:1], v[14:15] offset1:1
	ds_write2_b64 v31, v[38:39], v[48:49] offset0:2 offset1:3
	ds_write2_b64 v30, v[4:5], v[18:19] offset0:2 offset1:3
	;; [unrolled: 1-line block ×5, first 2 shown]
	s_waitcnt lgkmcnt(7)
	ds_write2_b64 v30, v[16:17], v[26:27] offset0:6 offset1:7
	v_or_b32_e32 v20, 64, v54
	v_min_u32_e32 v30, v25, v20
	v_add_u32_e32 v20, 64, v30
	v_min_u32_e32 v31, v25, v20
	v_min_u32_e32 v55, v25, v70
	v_sub_u32_e32 v25, v30, v54
	v_sub_u32_e32 v21, v31, v30
	v_sub_u32_e64 v21, v55, v21 clamp
	v_min_u32_e32 v25, v55, v25
	v_lshl_add_u32 v20, v54, 3, v24
	v_cmp_lt_u32_e64 s[20:21], v21, v25
	; wave barrier
	s_and_saveexec_b64 s[22:23], s[20:21]
	s_cbranch_execz .LBB716_118
; %bb.115:
	v_lshlrev_b32_e32 v64, 3, v30
	v_lshlrev_b32_e32 v65, 3, v55
	v_add3_u32 v64, v24, v64, v65
	s_mov_b64 s[24:25], 0
.LBB716_116:                            ; =>This Inner Loop Header: Depth=1
	v_add_u32_e32 v65, v25, v21
	v_lshrrev_b32_e32 v65, 1, v65
	v_not_b32_e32 v69, v65
	v_lshl_add_u32 v66, v65, 3, v20
	v_lshl_add_u32 v69, v69, 3, v64
	ds_read_b64 v[66:67], v66
	ds_read_b64 v[70:71], v69
	v_add_u32_e32 v80, 1, v65
	s_waitcnt lgkmcnt(1)
	v_and_b32_e32 v67, v67, v11
	v_and_b32_e32 v66, v66, v10
	s_waitcnt lgkmcnt(0)
	v_and_b32_e32 v71, v71, v11
	v_and_b32_e32 v70, v70, v10
	v_cmp_gt_u64_e64 s[20:21], v[70:71], v[66:67]
	v_cndmask_b32_e64 v25, v25, v65, s[20:21]
	v_cndmask_b32_e64 v21, v80, v21, s[20:21]
	v_cmp_ge_u32_e64 s[20:21], v21, v25
	s_or_b64 s[24:25], s[20:21], s[24:25]
	s_andn2_b64 exec, exec, s[24:25]
	s_cbranch_execnz .LBB716_116
; %bb.117:
	s_or_b64 exec, exec, s[24:25]
.LBB716_118:
	s_or_b64 exec, exec, s[22:23]
	v_add_u32_e32 v25, v21, v54
	v_add_u32_e32 v54, v30, v55
	v_sub_u32_e32 v54, v54, v21
	v_cmp_le_u32_e64 s[20:21], v25, v30
	v_cmp_le_u32_e64 s[22:23], v54, v31
	s_or_b64 s[20:21], s[20:21], s[22:23]
	s_and_saveexec_b64 s[40:41], s[20:21]
	s_cbranch_execz .LBB716_124
; %bb.119:
	v_cmp_lt_u32_e64 s[20:21], v25, v30
                                        ; implicit-def: $vgpr16_vgpr17
	s_and_saveexec_b64 s[22:23], s[20:21]
	s_cbranch_execz .LBB716_121
; %bb.120:
	v_lshl_add_u32 v0, v21, 3, v20
	ds_read_b64 v[16:17], v0
.LBB716_121:
	s_or_b64 exec, exec, s[22:23]
	v_cmp_ge_u32_e64 s[22:23], v54, v31
	v_cmp_lt_u32_e64 s[24:25], v54, v31
                                        ; implicit-def: $vgpr20_vgpr21
	s_and_saveexec_b64 s[28:29], s[24:25]
	s_cbranch_execz .LBB716_123
; %bb.122:
	v_lshl_add_u32 v0, v54, 3, v24
	ds_read_b64 v[20:21], v0
.LBB716_123:
	s_or_b64 exec, exec, s[28:29]
	s_waitcnt lgkmcnt(0)
	v_and_b32_e32 v1, v21, v11
	v_and_b32_e32 v0, v20, v10
	v_and_b32_e32 v5, v17, v11
	v_and_b32_e32 v4, v16, v10
	v_cmp_le_u64_e64 s[24:25], v[0:1], v[4:5]
	s_and_b64 s[20:21], s[20:21], s[24:25]
	s_or_b64 s[20:21], s[22:23], s[20:21]
	v_cndmask_b32_e64 v12, v54, v25, s[20:21]
	v_cndmask_b32_e64 v0, v31, v30, s[20:21]
	v_add_u32_e32 v4, 1, v12
	v_add_u32_e32 v0, -1, v0
	v_min_u32_e32 v0, v4, v0
	v_lshl_add_u32 v0, v0, 3, v24
	ds_read_b64 v[0:1], v0
	v_cndmask_b32_e64 v13, v4, v54, s[20:21]
	v_cndmask_b32_e64 v14, v25, v4, s[20:21]
	v_cmp_lt_u32_e64 s[24:25], v14, v30
	v_cmp_ge_u32_e64 s[22:23], v13, v31
	s_waitcnt lgkmcnt(0)
	v_cndmask_b32_e64 v26, v1, v21, s[20:21]
	v_cndmask_b32_e64 v27, v0, v20, s[20:21]
	;; [unrolled: 1-line block ×4, first 2 shown]
	v_and_b32_e32 v1, v26, v11
	v_and_b32_e32 v0, v27, v10
	;; [unrolled: 1-line block ×4, first 2 shown]
	v_cmp_le_u64_e64 s[28:29], v[0:1], v[4:5]
	s_and_b64 s[24:25], s[24:25], s[28:29]
	s_or_b64 s[24:25], s[22:23], s[24:25]
	v_cndmask_b32_e64 v15, v13, v14, s[24:25]
	v_cndmask_b32_e64 v0, v31, v30, s[24:25]
	v_add_u32_e32 v4, 1, v15
	v_add_u32_e32 v0, -1, v0
	v_min_u32_e32 v0, v4, v0
	v_lshl_add_u32 v0, v0, 3, v24
	ds_read_b64 v[0:1], v0
	v_cndmask_b32_e64 v13, v4, v13, s[24:25]
	v_cndmask_b32_e64 v18, v14, v4, s[24:25]
	v_cmp_lt_u32_e64 s[28:29], v18, v30
	v_cmp_ge_u32_e64 s[22:23], v13, v31
	s_waitcnt lgkmcnt(0)
	v_cndmask_b32_e64 v25, v1, v26, s[24:25]
	v_cndmask_b32_e64 v36, v0, v27, s[24:25]
	;; [unrolled: 1-line block ×4, first 2 shown]
	v_and_b32_e32 v1, v25, v11
	v_and_b32_e32 v0, v36, v10
	;; [unrolled: 1-line block ×4, first 2 shown]
	v_cmp_le_u64_e64 s[30:31], v[0:1], v[4:5]
	s_and_b64 s[28:29], s[28:29], s[30:31]
	s_or_b64 s[22:23], s[22:23], s[28:29]
	v_cndmask_b32_e64 v19, v13, v18, s[22:23]
	v_cndmask_b32_e64 v0, v31, v30, s[22:23]
	v_add_u32_e32 v22, 1, v19
	v_add_u32_e32 v0, -1, v0
	v_min_u32_e32 v0, v22, v0
	v_lshl_add_u32 v0, v0, 3, v24
	ds_read_b64 v[4:5], v0
	v_lshl_add_u32 v0, v12, 3, v24
	v_lshl_add_u32 v12, v15, 3, v24
	ds_read_b64 v[14:15], v12 offset:16384
	v_cndmask_b32_e64 v23, v22, v13, s[22:23]
	s_waitcnt lgkmcnt(1)
	v_cndmask_b32_e64 v48, v5, v25, s[22:23]
	v_cndmask_b32_e64 v50, v4, v36, s[22:23]
	;; [unrolled: 1-line block ×5, first 2 shown]
	v_and_b32_e32 v5, v48, v11
	v_and_b32_e32 v4, v50, v10
	;; [unrolled: 1-line block ×4, first 2 shown]
	v_cmp_lt_u32_e64 s[30:31], v22, v30
	v_cmp_le_u64_e64 s[34:35], v[4:5], v[12:13]
	v_cmp_ge_u32_e64 s[28:29], v23, v31
	s_and_b64 s[30:31], s[30:31], s[34:35]
	s_or_b64 s[28:29], s[28:29], s[30:31]
	v_cndmask_b32_e64 v18, v23, v22, s[28:29]
	v_cndmask_b32_e64 v4, v31, v30, s[28:29]
	v_add_u32_e32 v28, 1, v18
	v_add_u32_e32 v4, -1, v4
	v_min_u32_e32 v4, v28, v4
	v_lshl_add_u32 v4, v4, 3, v24
	ds_read_b64 v[0:1], v0 offset:16384
	ds_read_b64 v[12:13], v4
	v_cndmask_b32_e64 v39, v28, v23, s[28:29]
	v_cndmask_b32_e64 v64, v22, v28, s[28:29]
	v_cmp_lt_u32_e64 s[34:35], v64, v30
	v_cmp_ge_u32_e64 s[30:31], v39, v31
	s_waitcnt lgkmcnt(0)
	v_cndmask_b32_e64 v52, v13, v48, s[28:29]
	v_cndmask_b32_e64 v53, v12, v50, s[28:29]
	;; [unrolled: 1-line block ×4, first 2 shown]
	v_and_b32_e32 v13, v52, v11
	v_and_b32_e32 v12, v53, v10
	;; [unrolled: 1-line block ×4, first 2 shown]
	v_cmp_le_u64_e64 s[36:37], v[12:13], v[22:23]
	s_and_b64 s[34:35], s[34:35], s[36:37]
	s_or_b64 s[30:31], s[30:31], s[34:35]
	v_cndmask_b32_e64 v12, v39, v64, s[30:31]
	v_cndmask_b32_e64 v13, v31, v30, s[30:31]
	v_lshl_add_u32 v22, v12, 3, v24
	v_add_u32_e32 v65, 1, v12
	v_add_u32_e32 v12, -1, v13
	v_min_u32_e32 v12, v65, v12
	v_lshl_add_u32 v4, v19, 3, v24
	v_lshl_add_u32 v18, v18, 3, v24
	v_lshl_add_u32 v23, v12, 3, v24
	ds_read_b64 v[4:5], v4 offset:16384
	ds_read_b64 v[18:19], v18 offset:16384
	;; [unrolled: 1-line block ×3, first 2 shown]
	ds_read_b64 v[22:23], v23
	v_cndmask_b32_e64 v35, v26, v32, s[24:25]
	v_cndmask_b32_e64 v34, v27, v33, s[24:25]
	;; [unrolled: 1-line block ×4, first 2 shown]
	s_waitcnt lgkmcnt(0)
	v_cndmask_b32_e64 v26, v23, v52, s[30:31]
	v_cndmask_b32_e64 v27, v22, v53, s[30:31]
	;; [unrolled: 1-line block ×5, first 2 shown]
	v_and_b32_e32 v17, v26, v11
	v_and_b32_e32 v16, v27, v10
	;; [unrolled: 1-line block ×4, first 2 shown]
	v_cndmask_b32_e64 v66, v65, v39, s[30:31]
	v_cmp_lt_u32_e64 s[24:25], v64, v30
	v_cmp_le_u64_e64 s[34:35], v[16:17], v[20:21]
	v_cmp_ge_u32_e64 s[20:21], v66, v31
	s_and_b64 s[24:25], s[24:25], s[34:35]
	s_or_b64 s[20:21], s[20:21], s[24:25]
	v_cndmask_b32_e64 v16, v66, v64, s[20:21]
	v_cndmask_b32_e64 v17, v31, v30, s[20:21]
	v_lshl_add_u32 v20, v16, 3, v24
	v_add_u32_e32 v21, 1, v16
	v_add_u32_e32 v16, -1, v17
	v_min_u32_e32 v16, v21, v16
	v_lshl_add_u32 v16, v16, 3, v24
	ds_read_b64 v[22:23], v20 offset:16384
	ds_read_b64 v[16:17], v16
	v_cndmask_b32_e64 v39, v25, v37, s[22:23]
	v_cndmask_b32_e64 v66, v21, v66, s[20:21]
	;; [unrolled: 1-line block ×4, first 2 shown]
	s_waitcnt lgkmcnt(0)
	v_cndmask_b32_e64 v25, v17, v26, s[20:21]
	v_cndmask_b32_e64 v65, v16, v27, s[20:21]
	;; [unrolled: 1-line block ×4, first 2 shown]
	v_and_b32_e32 v17, v25, v11
	v_and_b32_e32 v16, v65, v10
	;; [unrolled: 1-line block ×4, first 2 shown]
	v_cndmask_b32_e64 v48, v50, v51, s[28:29]
	v_cmp_lt_u32_e64 s[24:25], v64, v30
	v_cmp_le_u64_e64 s[28:29], v[16:17], v[20:21]
	v_cndmask_b32_e64 v38, v36, v38, s[22:23]
	v_cmp_ge_u32_e64 s[22:23], v66, v31
	s_and_b64 s[24:25], s[24:25], s[28:29]
	s_or_b64 s[22:23], s[22:23], s[24:25]
	v_cndmask_b32_e64 v16, v66, v64, s[22:23]
	v_cndmask_b32_e64 v17, v31, v30, s[22:23]
	v_lshl_add_u32 v20, v16, 3, v24
	v_add_u32_e32 v70, 1, v16
	v_add_u32_e32 v16, -1, v17
	v_min_u32_e32 v16, v70, v16
	v_lshl_add_u32 v21, v16, 3, v24
	ds_read_b64 v[16:17], v20 offset:16384
	ds_read_b64 v[20:21], v21
	v_cndmask_b32_e64 v51, v52, v54, s[30:31]
	v_cndmask_b32_e64 v50, v53, v55, s[30:31]
	;; [unrolled: 1-line block ×4, first 2 shown]
	s_waitcnt lgkmcnt(0)
	v_cndmask_b32_e64 v32, v21, v25, s[22:23]
	v_cndmask_b32_e64 v54, v20, v65, s[22:23]
	;; [unrolled: 1-line block ×5, first 2 shown]
	v_and_b32_e32 v21, v32, v11
	v_and_b32_e32 v20, v54, v10
	;; [unrolled: 1-line block ×4, first 2 shown]
	v_cndmask_b32_e64 v26, v70, v66, s[22:23]
	v_cmp_lt_u32_e64 s[24:25], v27, v30
	v_cmp_le_u64_e64 s[28:29], v[20:21], v[10:11]
	v_cmp_ge_u32_e64 s[20:21], v26, v31
	s_and_b64 s[24:25], s[24:25], s[28:29]
	s_or_b64 s[20:21], s[20:21], s[24:25]
	v_cndmask_b32_e64 v10, v26, v27, s[20:21]
	v_lshl_add_u32 v10, v10, 3, v24
	ds_read_b64 v[26:27], v10 offset:16384
	v_cndmask_b32_e64 v53, v25, v67, s[22:23]
	v_cndmask_b32_e64 v52, v65, v69, s[22:23]
	;; [unrolled: 1-line block ×4, first 2 shown]
.LBB716_124:
	s_or_b64 exec, exec, s[40:41]
	; wave barrier
	s_waitcnt lgkmcnt(0)
	s_barrier
                                        ; implicit-def: $vgpr69
                                        ; implicit-def: $vgpr70
                                        ; implicit-def: $vgpr31
                                        ; implicit-def: $vgpr20
                                        ; implicit-def: $vgpr21
.LBB716_125:
	s_andn2_saveexec_b64 s[34:35], s[38:39]
	s_cbranch_execz .LBB716_225
; %bb.126:
	s_load_dwordx2 s[20:21], s[8:9], 0x0
	v_mov_b32_e32 v10, 0
	s_waitcnt lgkmcnt(0)
	s_cmp_lt_u32 s12, s20
	s_cselect_b32 s20, 12, 18
	s_cmp_lt_u32 s13, s21
	s_cselect_b32 s12, 14, 20
	s_add_u32 s12, s8, s12
	s_addc_u32 s13, s9, 0
	s_add_u32 s8, s8, s20
	s_addc_u32 s9, s9, 0
	global_load_ushort v11, v10, s[12:13]
	global_load_ushort v24, v10, s[8:9]
	v_and_b32_e32 v10, 0x3ff, v31
	s_movk_i32 s8, 0x800
	s_waitcnt vmcnt(0)
	v_mad_u32_u24 v11, v21, v11, v20
	v_mul_lo_u32 v11, v11, v24
	v_add_lshl_u32 v71, v11, v10, 3
	v_cmp_gt_u32_e64 s[8:9], s8, v71
	s_and_saveexec_b64 s[12:13], s[8:9]
	s_cbranch_execz .LBB716_184
; %bb.127:
	v_cmp_gt_i64_e64 s[8:9], v[34:35], v[28:29]
	v_pk_mov_b32 v[10:11], v[34:35], v[34:35] op_sel:[0,1]
	v_pk_mov_b32 v[24:25], v[14:15], v[14:15] op_sel:[0,1]
	s_and_saveexec_b64 s[20:21], s[8:9]
; %bb.128:
	v_pk_mov_b32 v[10:11], v[28:29], v[28:29] op_sel:[0,1]
	v_pk_mov_b32 v[28:29], v[34:35], v[34:35] op_sel:[0,1]
	v_pk_mov_b32 v[24:25], v[0:1], v[0:1] op_sel:[0,1]
	v_pk_mov_b32 v[0:1], v[14:15], v[14:15] op_sel:[0,1]
; %bb.129:
	s_or_b64 exec, exec, s[20:21]
	v_cmp_gt_i64_e64 s[8:9], v[48:49], v[38:39]
	v_pk_mov_b32 v[64:65], v[48:49], v[48:49] op_sel:[0,1]
	v_pk_mov_b32 v[30:31], v[18:19], v[18:19] op_sel:[0,1]
	s_and_saveexec_b64 s[20:21], s[8:9]
; %bb.130:
	v_pk_mov_b32 v[64:65], v[38:39], v[38:39] op_sel:[0,1]
	v_pk_mov_b32 v[38:39], v[48:49], v[48:49] op_sel:[0,1]
	v_pk_mov_b32 v[30:31], v[4:5], v[4:5] op_sel:[0,1]
	v_pk_mov_b32 v[4:5], v[18:19], v[18:19] op_sel:[0,1]
; %bb.131:
	s_or_b64 exec, exec, s[20:21]
	;; [unrolled: 11-line block ×4, first 2 shown]
	v_cmp_gt_i64_e64 s[8:9], v[38:39], v[10:11]
	v_pk_mov_b32 v[20:21], v[38:39], v[38:39] op_sel:[0,1]
	v_pk_mov_b32 v[26:27], v[4:5], v[4:5] op_sel:[0,1]
	s_and_saveexec_b64 s[20:21], s[8:9]
	s_xor_b64 s[8:9], exec, s[20:21]
; %bb.136:
	v_pk_mov_b32 v[20:21], v[10:11], v[10:11] op_sel:[0,1]
	v_pk_mov_b32 v[10:11], v[38:39], v[38:39] op_sel:[0,1]
	v_pk_mov_b32 v[26:27], v[24:25], v[24:25] op_sel:[0,1]
	v_pk_mov_b32 v[24:25], v[4:5], v[4:5] op_sel:[0,1]
; %bb.137:
	s_or_b64 exec, exec, s[8:9]
	v_cmp_gt_i64_e64 s[8:9], v[54:55], v[64:65]
	v_pk_mov_b32 v[4:5], v[64:65], v[64:65] op_sel:[0,1]
	v_pk_mov_b32 v[34:35], v[12:13], v[12:13] op_sel:[0,1]
	s_and_saveexec_b64 s[20:21], s[8:9]
; %bb.138:
	v_pk_mov_b32 v[4:5], v[54:55], v[54:55] op_sel:[0,1]
	v_pk_mov_b32 v[34:35], v[30:31], v[30:31] op_sel:[0,1]
	v_pk_mov_b32 v[30:31], v[12:13], v[12:13] op_sel:[0,1]
	v_pk_mov_b32 v[54:55], v[64:65], v[64:65] op_sel:[0,1]
; %bb.139:
	s_or_b64 exec, exec, s[20:21]
	v_cmp_gt_i64_e64 s[8:9], v[22:23], v[36:37]
	v_pk_mov_b32 v[12:13], v[16:17], v[16:17] op_sel:[0,1]
	v_pk_mov_b32 v[38:39], v[36:37], v[36:37] op_sel:[0,1]
	s_and_saveexec_b64 s[20:21], s[8:9]
	;; [unrolled: 11-line block ×23, first 2 shown]
; %bb.182:
	v_pk_mov_b32 v[52:53], v[36:37], v[36:37] op_sel:[0,1]
	v_pk_mov_b32 v[36:37], v[20:21], v[20:21] op_sel:[0,1]
	;; [unrolled: 1-line block ×4, first 2 shown]
; %bb.183:
	s_or_b64 exec, exec, s[20:21]
.LBB716_184:
	s_or_b64 exec, exec, s[12:13]
	v_and_b32_e32 v10, 0xfffffe00, v71
	v_lshlrev_b32_e32 v20, 3, v10
	s_movk_i32 s8, 0x800
	v_lshl_add_u32 v25, v69, 3, v20
	v_sub_u32_e64 v21, s8, v10 clamp
	v_add_u32_e32 v10, 0x4010, v25
	v_or_b32_e32 v11, 8, v69
	v_add_u32_e32 v24, 0x4000, v25
	ds_write2_b64 v25, v[28:29], v[34:35] offset1:1
	ds_write2_b64 v24, v[0:1], v[14:15] offset1:1
	ds_write2_b64 v25, v[38:39], v[48:49] offset0:2 offset1:3
	ds_write2_b64 v10, v[4:5], v[18:19] offset1:1
	v_add_u32_e32 v10, 0x4020, v25
	v_min_u32_e32 v30, v21, v11
	ds_write2_b64 v25, v[50:51], v[36:37] offset0:4 offset1:5
	ds_write2_b64 v10, v[12:13], v[22:23] offset1:1
	v_add_u32_e32 v10, 0x4030, v25
	v_add_u32_e32 v11, 8, v30
	ds_write2_b64 v25, v[52:53], v[32:33] offset0:6 offset1:7
	ds_write2_b64 v10, v[16:17], v[26:27] offset1:1
	v_and_b32_e32 v10, 0x3f0, v69
	v_min_u32_e32 v31, v21, v11
	v_and_b32_e32 v11, 8, v69
	v_min_u32_e32 v11, v21, v11
	v_sub_u32_e32 v64, v30, v10
	v_sub_u32_e32 v55, v31, v30
	v_sub_u32_e64 v55, v11, v55 clamp
	v_min_u32_e32 v64, v11, v64
	v_lshl_add_u32 v54, v10, 3, v20
	v_cmp_lt_u32_e64 s[8:9], v55, v64
	; wave barrier
	s_and_saveexec_b64 s[12:13], s[8:9]
	s_cbranch_execz .LBB716_188
; %bb.185:
	v_lshlrev_b32_e32 v65, 3, v30
	v_lshlrev_b32_e32 v66, 3, v11
	v_add3_u32 v65, v20, v65, v66
	s_mov_b64 s[20:21], 0
.LBB716_186:                            ; =>This Inner Loop Header: Depth=1
	v_add_u32_e32 v66, v64, v55
	v_lshrrev_b32_e32 v71, 1, v66
	v_not_b32_e32 v66, v71
	v_lshl_add_u32 v67, v71, 3, v54
	v_lshl_add_u32 v80, v66, 3, v65
	ds_read_b64 v[66:67], v67
	ds_read_b64 v[80:81], v80
	v_add_u32_e32 v82, 1, v71
	s_waitcnt lgkmcnt(0)
	v_cmp_gt_i64_e64 s[8:9], v[80:81], v[66:67]
	v_cndmask_b32_e64 v64, v64, v71, s[8:9]
	v_cndmask_b32_e64 v55, v82, v55, s[8:9]
	v_cmp_ge_u32_e64 s[8:9], v55, v64
	s_or_b64 s[20:21], s[8:9], s[20:21]
	s_andn2_b64 exec, exec, s[20:21]
	s_cbranch_execnz .LBB716_186
; %bb.187:
	s_or_b64 exec, exec, s[20:21]
.LBB716_188:
	s_or_b64 exec, exec, s[12:13]
	v_add_u32_e32 v64, v55, v10
	v_add_u32_e32 v10, v30, v11
	v_sub_u32_e32 v65, v10, v55
	v_cmp_le_u32_e64 s[8:9], v64, v30
	v_cmp_le_u32_e64 s[12:13], v65, v31
	s_or_b64 s[8:9], s[8:9], s[12:13]
	s_and_saveexec_b64 s[36:37], s[8:9]
	s_cbranch_execz .LBB716_194
; %bb.189:
	v_cmp_lt_u32_e64 s[8:9], v64, v30
                                        ; implicit-def: $vgpr10_vgpr11
	s_and_saveexec_b64 s[12:13], s[8:9]
	s_cbranch_execz .LBB716_191
; %bb.190:
	v_lshl_add_u32 v0, v55, 3, v54
	ds_read_b64 v[10:11], v0
.LBB716_191:
	s_or_b64 exec, exec, s[12:13]
	v_cmp_ge_u32_e64 s[20:21], v65, v31
	v_cmp_lt_u32_e64 s[12:13], v65, v31
                                        ; implicit-def: $vgpr16_vgpr17
	s_and_saveexec_b64 s[22:23], s[12:13]
	s_cbranch_execz .LBB716_193
; %bb.192:
	v_lshl_add_u32 v0, v65, 3, v20
	ds_read_b64 v[16:17], v0
.LBB716_193:
	s_or_b64 exec, exec, s[22:23]
	s_waitcnt lgkmcnt(0)
	v_cmp_le_i64_e64 s[12:13], v[16:17], v[10:11]
	s_and_b64 s[8:9], s[8:9], s[12:13]
	s_or_b64 s[8:9], s[20:21], s[8:9]
	v_cndmask_b32_e64 v12, v65, v64, s[8:9]
	v_cndmask_b32_e64 v0, v31, v30, s[8:9]
	v_add_u32_e32 v4, 1, v12
	v_add_u32_e32 v0, -1, v0
	v_min_u32_e32 v0, v4, v0
	v_lshl_add_u32 v0, v0, 3, v20
	ds_read_b64 v[0:1], v0
	v_cndmask_b32_e64 v5, v4, v65, s[8:9]
	v_cndmask_b32_e64 v4, v64, v4, s[8:9]
	v_cmp_lt_u32_e64 s[20:21], v4, v30
	v_cmp_ge_u32_e64 s[12:13], v5, v31
	s_waitcnt lgkmcnt(0)
	v_cndmask_b32_e64 v23, v1, v17, s[8:9]
	v_cndmask_b32_e64 v22, v0, v16, s[8:9]
	v_cndmask_b32_e64 v27, v11, v1, s[8:9]
	v_cndmask_b32_e64 v26, v10, v0, s[8:9]
	v_cmp_le_i64_e64 s[22:23], v[22:23], v[26:27]
	s_and_b64 s[20:21], s[20:21], s[22:23]
	s_or_b64 s[22:23], s[12:13], s[20:21]
	v_cndmask_b32_e64 v13, v5, v4, s[22:23]
	v_cndmask_b32_e64 v0, v31, v30, s[22:23]
	v_add_u32_e32 v14, 1, v13
	v_add_u32_e32 v0, -1, v0
	v_min_u32_e32 v0, v14, v0
	v_lshl_add_u32 v0, v0, 3, v20
	ds_read_b64 v[0:1], v0
	v_cndmask_b32_e64 v19, v4, v14, s[22:23]
	v_cndmask_b32_e64 v18, v14, v5, s[22:23]
	v_cmp_lt_u32_e64 s[20:21], v19, v30
	v_cmp_ge_u32_e64 s[12:13], v18, v31
	s_waitcnt lgkmcnt(0)
	v_cndmask_b32_e64 v33, v1, v23, s[22:23]
	v_cndmask_b32_e64 v32, v0, v22, s[22:23]
	v_cndmask_b32_e64 v37, v27, v1, s[22:23]
	v_cndmask_b32_e64 v36, v26, v0, s[22:23]
	;; [unrolled: 19-line block ×3, first 2 shown]
	v_cmp_le_i64_e64 s[28:29], v[48:49], v[50:51]
	s_and_b64 s[24:25], s[24:25], s[28:29]
	s_or_b64 s[12:13], s[12:13], s[24:25]
	v_cndmask_b32_e64 v18, v34, v29, s[12:13]
	v_cndmask_b32_e64 v4, v31, v30, s[12:13]
	v_add_u32_e32 v35, 1, v18
	v_add_u32_e32 v4, -1, v4
	v_min_u32_e32 v4, v35, v4
	v_lshl_add_u32 v0, v12, 3, v20
	v_lshl_add_u32 v12, v13, 3, v20
	;; [unrolled: 1-line block ×3, first 2 shown]
	ds_read_b64 v[0:1], v0 offset:16384
	ds_read_b64 v[14:15], v12 offset:16384
	ds_read_b64 v[12:13], v4
	v_lshl_add_u32 v18, v18, 3, v20
	ds_read_b64 v[18:19], v18 offset:16384
	v_cndmask_b32_e64 v65, v29, v35, s[12:13]
	v_cndmask_b32_e64 v64, v35, v34, s[12:13]
	s_waitcnt lgkmcnt(1)
	v_cndmask_b32_e64 v53, v13, v49, s[12:13]
	v_cndmask_b32_e64 v52, v12, v48, s[12:13]
	;; [unrolled: 1-line block ×4, first 2 shown]
	v_cmp_lt_u32_e64 s[28:29], v65, v30
	v_cmp_le_i64_e64 s[30:31], v[52:53], v[54:55]
	v_cmp_ge_u32_e64 s[24:25], v64, v31
	s_and_b64 s[28:29], s[28:29], s[30:31]
	s_or_b64 s[24:25], s[24:25], s[28:29]
	v_cndmask_b32_e64 v12, v64, v65, s[24:25]
	v_cndmask_b32_e64 v13, v31, v30, s[24:25]
	v_lshl_add_u32 v4, v28, 3, v20
	v_lshl_add_u32 v28, v12, 3, v20
	v_add_u32_e32 v66, 1, v12
	v_add_u32_e32 v12, -1, v13
	v_min_u32_e32 v12, v66, v12
	ds_read_b64 v[4:5], v4 offset:16384
	v_lshl_add_u32 v29, v12, 3, v20
	ds_read_b64 v[12:13], v28 offset:16384
	ds_read_b64 v[38:39], v29
	v_cndmask_b32_e64 v29, v17, v11, s[8:9]
	v_cndmask_b32_e64 v28, v16, v10, s[8:9]
	;; [unrolled: 1-line block ×4, first 2 shown]
	s_waitcnt lgkmcnt(0)
	v_cndmask_b32_e64 v11, v39, v53, s[24:25]
	v_cndmask_b32_e64 v10, v38, v52, s[24:25]
	;; [unrolled: 1-line block ×6, first 2 shown]
	v_cmp_lt_u32_e64 s[22:23], v66, v30
	v_cmp_le_i64_e64 s[28:29], v[10:11], v[26:27]
	v_cmp_ge_u32_e64 s[8:9], v67, v31
	s_and_b64 s[22:23], s[22:23], s[28:29]
	s_or_b64 s[8:9], s[8:9], s[22:23]
	v_cndmask_b32_e64 v16, v67, v66, s[8:9]
	v_cndmask_b32_e64 v17, v31, v30, s[8:9]
	v_lshl_add_u32 v22, v16, 3, v20
	v_add_u32_e32 v71, 1, v16
	v_add_u32_e32 v16, -1, v17
	v_min_u32_e32 v16, v71, v16
	v_lshl_add_u32 v16, v16, 3, v20
	ds_read_b64 v[22:23], v22 offset:16384
	ds_read_b64 v[16:17], v16
	v_cndmask_b32_e64 v39, v33, v37, s[20:21]
	v_cndmask_b32_e64 v38, v32, v36, s[20:21]
	v_cndmask_b32_e64 v80, v71, v67, s[8:9]
	v_cndmask_b32_e64 v71, v66, v71, s[8:9]
	s_waitcnt lgkmcnt(0)
	v_cndmask_b32_e64 v33, v17, v11, s[8:9]
	v_cndmask_b32_e64 v32, v16, v10, s[8:9]
	;; [unrolled: 1-line block ×4, first 2 shown]
	v_cmp_lt_u32_e64 s[20:21], v71, v30
	v_cmp_le_i64_e64 s[22:23], v[32:33], v[64:65]
	v_cndmask_b32_e64 v49, v49, v51, s[12:13]
	v_cndmask_b32_e64 v48, v48, v50, s[12:13]
	v_cmp_ge_u32_e64 s[12:13], v80, v31
	s_and_b64 s[20:21], s[20:21], s[22:23]
	s_or_b64 s[12:13], s[12:13], s[20:21]
	v_cndmask_b32_e64 v16, v80, v71, s[12:13]
	v_cndmask_b32_e64 v17, v31, v30, s[12:13]
	v_lshl_add_u32 v36, v16, 3, v20
	v_add_u32_e32 v81, 1, v16
	v_add_u32_e32 v16, -1, v17
	v_min_u32_e32 v16, v81, v16
	v_lshl_add_u32 v37, v16, 3, v20
	ds_read_b64 v[16:17], v36 offset:16384
	ds_read_b64 v[66:67], v37
	v_cndmask_b32_e64 v51, v53, v55, s[24:25]
	v_cndmask_b32_e64 v50, v52, v54, s[24:25]
	;; [unrolled: 1-line block ×4, first 2 shown]
	s_waitcnt lgkmcnt(0)
	v_cndmask_b32_e64 v11, v67, v33, s[12:13]
	v_cndmask_b32_e64 v10, v66, v32, s[12:13]
	;; [unrolled: 1-line block ×6, first 2 shown]
	v_cmp_lt_u32_e64 s[20:21], v27, v30
	v_cmp_le_i64_e64 s[22:23], v[10:11], v[54:55]
	v_cmp_ge_u32_e64 s[8:9], v26, v31
	s_and_b64 s[20:21], s[20:21], s[22:23]
	s_or_b64 s[8:9], s[8:9], s[20:21]
	v_cndmask_b32_e64 v26, v26, v27, s[8:9]
	v_lshl_add_u32 v26, v26, 3, v20
	ds_read_b64 v[26:27], v26 offset:16384
	v_cndmask_b32_e64 v53, v33, v65, s[12:13]
	v_cndmask_b32_e64 v52, v32, v64, s[12:13]
	v_cndmask_b32_e64 v33, v11, v55, s[8:9]
	v_cndmask_b32_e64 v32, v10, v54, s[8:9]
.LBB716_194:
	s_or_b64 exec, exec, s[36:37]
	v_add_u32_e32 v10, 0x4000, v25
	; wave barrier
	ds_write2_b64 v25, v[28:29], v[34:35] offset1:1
	ds_write2_b64 v10, v[0:1], v[14:15] offset1:1
	ds_write2_b64 v25, v[38:39], v[48:49] offset0:2 offset1:3
	ds_write2_b64 v24, v[4:5], v[18:19] offset0:2 offset1:3
	;; [unrolled: 1-line block ×5, first 2 shown]
	s_waitcnt lgkmcnt(7)
	ds_write2_b64 v24, v[16:17], v[26:27] offset0:6 offset1:7
	v_and_b32_e32 v10, 0x3e0, v69
	v_or_b32_e32 v11, 16, v10
	v_min_u32_e32 v30, v21, v11
	v_add_u32_e32 v11, 16, v30
	v_min_u32_e32 v31, v21, v11
	v_and_b32_e32 v11, 24, v69
	v_min_u32_e32 v11, v21, v11
	v_sub_u32_e32 v64, v30, v10
	v_sub_u32_e32 v55, v31, v30
	v_sub_u32_e64 v55, v11, v55 clamp
	v_min_u32_e32 v64, v11, v64
	v_lshl_add_u32 v54, v10, 3, v20
	v_cmp_lt_u32_e64 s[8:9], v55, v64
	; wave barrier
	s_and_saveexec_b64 s[12:13], s[8:9]
	s_cbranch_execz .LBB716_198
; %bb.195:
	v_lshlrev_b32_e32 v65, 3, v30
	v_lshlrev_b32_e32 v66, 3, v11
	v_add3_u32 v65, v20, v65, v66
	s_mov_b64 s[20:21], 0
.LBB716_196:                            ; =>This Inner Loop Header: Depth=1
	v_add_u32_e32 v66, v64, v55
	v_lshrrev_b32_e32 v71, 1, v66
	v_not_b32_e32 v66, v71
	v_lshl_add_u32 v67, v71, 3, v54
	v_lshl_add_u32 v80, v66, 3, v65
	ds_read_b64 v[66:67], v67
	ds_read_b64 v[80:81], v80
	v_add_u32_e32 v82, 1, v71
	s_waitcnt lgkmcnt(0)
	v_cmp_gt_i64_e64 s[8:9], v[80:81], v[66:67]
	v_cndmask_b32_e64 v64, v64, v71, s[8:9]
	v_cndmask_b32_e64 v55, v82, v55, s[8:9]
	v_cmp_ge_u32_e64 s[8:9], v55, v64
	s_or_b64 s[20:21], s[8:9], s[20:21]
	s_andn2_b64 exec, exec, s[20:21]
	s_cbranch_execnz .LBB716_196
; %bb.197:
	s_or_b64 exec, exec, s[20:21]
.LBB716_198:
	s_or_b64 exec, exec, s[12:13]
	v_add_u32_e32 v64, v55, v10
	v_add_u32_e32 v10, v30, v11
	v_sub_u32_e32 v65, v10, v55
	v_cmp_le_u32_e64 s[8:9], v64, v30
	v_cmp_le_u32_e64 s[12:13], v65, v31
	s_or_b64 s[8:9], s[8:9], s[12:13]
	s_and_saveexec_b64 s[36:37], s[8:9]
	s_cbranch_execz .LBB716_204
; %bb.199:
	v_cmp_lt_u32_e64 s[8:9], v64, v30
                                        ; implicit-def: $vgpr10_vgpr11
	s_and_saveexec_b64 s[12:13], s[8:9]
	s_cbranch_execz .LBB716_201
; %bb.200:
	v_lshl_add_u32 v0, v55, 3, v54
	ds_read_b64 v[10:11], v0
.LBB716_201:
	s_or_b64 exec, exec, s[12:13]
	v_cmp_ge_u32_e64 s[20:21], v65, v31
	v_cmp_lt_u32_e64 s[12:13], v65, v31
                                        ; implicit-def: $vgpr16_vgpr17
	s_and_saveexec_b64 s[22:23], s[12:13]
	s_cbranch_execz .LBB716_203
; %bb.202:
	v_lshl_add_u32 v0, v65, 3, v20
	ds_read_b64 v[16:17], v0
.LBB716_203:
	s_or_b64 exec, exec, s[22:23]
	s_waitcnt lgkmcnt(0)
	v_cmp_le_i64_e64 s[12:13], v[16:17], v[10:11]
	s_and_b64 s[8:9], s[8:9], s[12:13]
	s_or_b64 s[8:9], s[20:21], s[8:9]
	v_cndmask_b32_e64 v12, v65, v64, s[8:9]
	v_cndmask_b32_e64 v0, v31, v30, s[8:9]
	v_add_u32_e32 v4, 1, v12
	v_add_u32_e32 v0, -1, v0
	v_min_u32_e32 v0, v4, v0
	v_lshl_add_u32 v0, v0, 3, v20
	ds_read_b64 v[0:1], v0
	v_cndmask_b32_e64 v5, v4, v65, s[8:9]
	v_cndmask_b32_e64 v4, v64, v4, s[8:9]
	v_cmp_lt_u32_e64 s[20:21], v4, v30
	v_cmp_ge_u32_e64 s[12:13], v5, v31
	s_waitcnt lgkmcnt(0)
	v_cndmask_b32_e64 v23, v1, v17, s[8:9]
	v_cndmask_b32_e64 v22, v0, v16, s[8:9]
	v_cndmask_b32_e64 v27, v11, v1, s[8:9]
	v_cndmask_b32_e64 v26, v10, v0, s[8:9]
	v_cmp_le_i64_e64 s[22:23], v[22:23], v[26:27]
	s_and_b64 s[20:21], s[20:21], s[22:23]
	s_or_b64 s[22:23], s[12:13], s[20:21]
	v_cndmask_b32_e64 v13, v5, v4, s[22:23]
	v_cndmask_b32_e64 v0, v31, v30, s[22:23]
	v_add_u32_e32 v14, 1, v13
	v_add_u32_e32 v0, -1, v0
	v_min_u32_e32 v0, v14, v0
	v_lshl_add_u32 v0, v0, 3, v20
	ds_read_b64 v[0:1], v0
	v_cndmask_b32_e64 v19, v4, v14, s[22:23]
	v_cndmask_b32_e64 v18, v14, v5, s[22:23]
	v_cmp_lt_u32_e64 s[20:21], v19, v30
	v_cmp_ge_u32_e64 s[12:13], v18, v31
	s_waitcnt lgkmcnt(0)
	v_cndmask_b32_e64 v33, v1, v23, s[22:23]
	v_cndmask_b32_e64 v32, v0, v22, s[22:23]
	v_cndmask_b32_e64 v37, v27, v1, s[22:23]
	v_cndmask_b32_e64 v36, v26, v0, s[22:23]
	;; [unrolled: 19-line block ×3, first 2 shown]
	v_cmp_le_i64_e64 s[28:29], v[48:49], v[50:51]
	s_and_b64 s[24:25], s[24:25], s[28:29]
	s_or_b64 s[12:13], s[12:13], s[24:25]
	v_cndmask_b32_e64 v18, v34, v29, s[12:13]
	v_cndmask_b32_e64 v4, v31, v30, s[12:13]
	v_add_u32_e32 v35, 1, v18
	v_add_u32_e32 v4, -1, v4
	v_min_u32_e32 v4, v35, v4
	v_lshl_add_u32 v0, v12, 3, v20
	v_lshl_add_u32 v12, v13, 3, v20
	;; [unrolled: 1-line block ×3, first 2 shown]
	ds_read_b64 v[0:1], v0 offset:16384
	ds_read_b64 v[14:15], v12 offset:16384
	ds_read_b64 v[12:13], v4
	v_lshl_add_u32 v18, v18, 3, v20
	ds_read_b64 v[18:19], v18 offset:16384
	v_cndmask_b32_e64 v65, v29, v35, s[12:13]
	v_cndmask_b32_e64 v64, v35, v34, s[12:13]
	s_waitcnt lgkmcnt(1)
	v_cndmask_b32_e64 v53, v13, v49, s[12:13]
	v_cndmask_b32_e64 v52, v12, v48, s[12:13]
	;; [unrolled: 1-line block ×4, first 2 shown]
	v_cmp_lt_u32_e64 s[28:29], v65, v30
	v_cmp_le_i64_e64 s[30:31], v[52:53], v[54:55]
	v_cmp_ge_u32_e64 s[24:25], v64, v31
	s_and_b64 s[28:29], s[28:29], s[30:31]
	s_or_b64 s[24:25], s[24:25], s[28:29]
	v_cndmask_b32_e64 v12, v64, v65, s[24:25]
	v_cndmask_b32_e64 v13, v31, v30, s[24:25]
	v_lshl_add_u32 v4, v28, 3, v20
	v_lshl_add_u32 v28, v12, 3, v20
	v_add_u32_e32 v66, 1, v12
	v_add_u32_e32 v12, -1, v13
	v_min_u32_e32 v12, v66, v12
	ds_read_b64 v[4:5], v4 offset:16384
	v_lshl_add_u32 v29, v12, 3, v20
	ds_read_b64 v[12:13], v28 offset:16384
	ds_read_b64 v[38:39], v29
	v_cndmask_b32_e64 v29, v17, v11, s[8:9]
	v_cndmask_b32_e64 v28, v16, v10, s[8:9]
	;; [unrolled: 1-line block ×4, first 2 shown]
	s_waitcnt lgkmcnt(0)
	v_cndmask_b32_e64 v11, v39, v53, s[24:25]
	v_cndmask_b32_e64 v10, v38, v52, s[24:25]
	;; [unrolled: 1-line block ×6, first 2 shown]
	v_cmp_lt_u32_e64 s[22:23], v66, v30
	v_cmp_le_i64_e64 s[28:29], v[10:11], v[26:27]
	v_cmp_ge_u32_e64 s[8:9], v67, v31
	s_and_b64 s[22:23], s[22:23], s[28:29]
	s_or_b64 s[8:9], s[8:9], s[22:23]
	v_cndmask_b32_e64 v16, v67, v66, s[8:9]
	v_cndmask_b32_e64 v17, v31, v30, s[8:9]
	v_lshl_add_u32 v22, v16, 3, v20
	v_add_u32_e32 v71, 1, v16
	v_add_u32_e32 v16, -1, v17
	v_min_u32_e32 v16, v71, v16
	v_lshl_add_u32 v16, v16, 3, v20
	ds_read_b64 v[22:23], v22 offset:16384
	ds_read_b64 v[16:17], v16
	v_cndmask_b32_e64 v39, v33, v37, s[20:21]
	v_cndmask_b32_e64 v38, v32, v36, s[20:21]
	;; [unrolled: 1-line block ×4, first 2 shown]
	s_waitcnt lgkmcnt(0)
	v_cndmask_b32_e64 v33, v17, v11, s[8:9]
	v_cndmask_b32_e64 v32, v16, v10, s[8:9]
	;; [unrolled: 1-line block ×4, first 2 shown]
	v_cmp_lt_u32_e64 s[20:21], v71, v30
	v_cmp_le_i64_e64 s[22:23], v[32:33], v[64:65]
	v_cndmask_b32_e64 v49, v49, v51, s[12:13]
	v_cndmask_b32_e64 v48, v48, v50, s[12:13]
	v_cmp_ge_u32_e64 s[12:13], v80, v31
	s_and_b64 s[20:21], s[20:21], s[22:23]
	s_or_b64 s[12:13], s[12:13], s[20:21]
	v_cndmask_b32_e64 v16, v80, v71, s[12:13]
	v_cndmask_b32_e64 v17, v31, v30, s[12:13]
	v_lshl_add_u32 v36, v16, 3, v20
	v_add_u32_e32 v81, 1, v16
	v_add_u32_e32 v16, -1, v17
	v_min_u32_e32 v16, v81, v16
	v_lshl_add_u32 v37, v16, 3, v20
	ds_read_b64 v[16:17], v36 offset:16384
	ds_read_b64 v[66:67], v37
	v_cndmask_b32_e64 v51, v53, v55, s[24:25]
	v_cndmask_b32_e64 v50, v52, v54, s[24:25]
	;; [unrolled: 1-line block ×4, first 2 shown]
	s_waitcnt lgkmcnt(0)
	v_cndmask_b32_e64 v11, v67, v33, s[12:13]
	v_cndmask_b32_e64 v10, v66, v32, s[12:13]
	;; [unrolled: 1-line block ×6, first 2 shown]
	v_cmp_lt_u32_e64 s[20:21], v27, v30
	v_cmp_le_i64_e64 s[22:23], v[10:11], v[54:55]
	v_cmp_ge_u32_e64 s[8:9], v26, v31
	s_and_b64 s[20:21], s[20:21], s[22:23]
	s_or_b64 s[8:9], s[8:9], s[20:21]
	v_cndmask_b32_e64 v26, v26, v27, s[8:9]
	v_lshl_add_u32 v26, v26, 3, v20
	ds_read_b64 v[26:27], v26 offset:16384
	v_cndmask_b32_e64 v53, v33, v65, s[12:13]
	v_cndmask_b32_e64 v52, v32, v64, s[12:13]
	;; [unrolled: 1-line block ×4, first 2 shown]
.LBB716_204:
	s_or_b64 exec, exec, s[36:37]
	v_add_u32_e32 v10, 0x4000, v25
	; wave barrier
	ds_write2_b64 v25, v[28:29], v[34:35] offset1:1
	ds_write2_b64 v10, v[0:1], v[14:15] offset1:1
	ds_write2_b64 v25, v[38:39], v[48:49] offset0:2 offset1:3
	ds_write2_b64 v24, v[4:5], v[18:19] offset0:2 offset1:3
	;; [unrolled: 1-line block ×5, first 2 shown]
	s_waitcnt lgkmcnt(7)
	ds_write2_b64 v24, v[16:17], v[26:27] offset0:6 offset1:7
	v_and_b32_e32 v10, 0x3c0, v69
	v_or_b32_e32 v11, 32, v10
	v_min_u32_e32 v30, v21, v11
	v_add_u32_e32 v11, 32, v30
	v_min_u32_e32 v31, v21, v11
	v_and_b32_e32 v11, 56, v69
	v_min_u32_e32 v11, v21, v11
	v_sub_u32_e32 v64, v30, v10
	v_sub_u32_e32 v55, v31, v30
	v_sub_u32_e64 v55, v11, v55 clamp
	v_min_u32_e32 v64, v11, v64
	v_lshl_add_u32 v54, v10, 3, v20
	v_cmp_lt_u32_e64 s[8:9], v55, v64
	; wave barrier
	s_and_saveexec_b64 s[12:13], s[8:9]
	s_cbranch_execz .LBB716_208
; %bb.205:
	v_lshlrev_b32_e32 v65, 3, v30
	v_lshlrev_b32_e32 v66, 3, v11
	v_add3_u32 v65, v20, v65, v66
	s_mov_b64 s[20:21], 0
.LBB716_206:                            ; =>This Inner Loop Header: Depth=1
	v_add_u32_e32 v66, v64, v55
	v_lshrrev_b32_e32 v71, 1, v66
	v_not_b32_e32 v66, v71
	v_lshl_add_u32 v67, v71, 3, v54
	v_lshl_add_u32 v80, v66, 3, v65
	ds_read_b64 v[66:67], v67
	ds_read_b64 v[80:81], v80
	v_add_u32_e32 v82, 1, v71
	s_waitcnt lgkmcnt(0)
	v_cmp_gt_i64_e64 s[8:9], v[80:81], v[66:67]
	v_cndmask_b32_e64 v64, v64, v71, s[8:9]
	v_cndmask_b32_e64 v55, v82, v55, s[8:9]
	v_cmp_ge_u32_e64 s[8:9], v55, v64
	s_or_b64 s[20:21], s[8:9], s[20:21]
	s_andn2_b64 exec, exec, s[20:21]
	s_cbranch_execnz .LBB716_206
; %bb.207:
	s_or_b64 exec, exec, s[20:21]
.LBB716_208:
	s_or_b64 exec, exec, s[12:13]
	v_add_u32_e32 v64, v55, v10
	v_add_u32_e32 v10, v30, v11
	v_sub_u32_e32 v65, v10, v55
	v_cmp_le_u32_e64 s[8:9], v64, v30
	v_cmp_le_u32_e64 s[12:13], v65, v31
	s_or_b64 s[8:9], s[8:9], s[12:13]
	s_and_saveexec_b64 s[36:37], s[8:9]
	s_cbranch_execz .LBB716_214
; %bb.209:
	v_cmp_lt_u32_e64 s[8:9], v64, v30
                                        ; implicit-def: $vgpr10_vgpr11
	s_and_saveexec_b64 s[12:13], s[8:9]
	s_cbranch_execz .LBB716_211
; %bb.210:
	v_lshl_add_u32 v0, v55, 3, v54
	ds_read_b64 v[10:11], v0
.LBB716_211:
	s_or_b64 exec, exec, s[12:13]
	v_cmp_ge_u32_e64 s[20:21], v65, v31
	v_cmp_lt_u32_e64 s[12:13], v65, v31
                                        ; implicit-def: $vgpr16_vgpr17
	s_and_saveexec_b64 s[22:23], s[12:13]
	s_cbranch_execz .LBB716_213
; %bb.212:
	v_lshl_add_u32 v0, v65, 3, v20
	ds_read_b64 v[16:17], v0
.LBB716_213:
	s_or_b64 exec, exec, s[22:23]
	s_waitcnt lgkmcnt(0)
	v_cmp_le_i64_e64 s[12:13], v[16:17], v[10:11]
	s_and_b64 s[8:9], s[8:9], s[12:13]
	s_or_b64 s[8:9], s[20:21], s[8:9]
	v_cndmask_b32_e64 v12, v65, v64, s[8:9]
	v_cndmask_b32_e64 v0, v31, v30, s[8:9]
	v_add_u32_e32 v4, 1, v12
	v_add_u32_e32 v0, -1, v0
	v_min_u32_e32 v0, v4, v0
	v_lshl_add_u32 v0, v0, 3, v20
	ds_read_b64 v[0:1], v0
	v_cndmask_b32_e64 v5, v4, v65, s[8:9]
	v_cndmask_b32_e64 v4, v64, v4, s[8:9]
	v_cmp_lt_u32_e64 s[20:21], v4, v30
	v_cmp_ge_u32_e64 s[12:13], v5, v31
	s_waitcnt lgkmcnt(0)
	v_cndmask_b32_e64 v23, v1, v17, s[8:9]
	v_cndmask_b32_e64 v22, v0, v16, s[8:9]
	v_cndmask_b32_e64 v27, v11, v1, s[8:9]
	v_cndmask_b32_e64 v26, v10, v0, s[8:9]
	v_cmp_le_i64_e64 s[22:23], v[22:23], v[26:27]
	s_and_b64 s[20:21], s[20:21], s[22:23]
	s_or_b64 s[22:23], s[12:13], s[20:21]
	v_cndmask_b32_e64 v13, v5, v4, s[22:23]
	v_cndmask_b32_e64 v0, v31, v30, s[22:23]
	v_add_u32_e32 v14, 1, v13
	v_add_u32_e32 v0, -1, v0
	v_min_u32_e32 v0, v14, v0
	v_lshl_add_u32 v0, v0, 3, v20
	ds_read_b64 v[0:1], v0
	v_cndmask_b32_e64 v19, v4, v14, s[22:23]
	v_cndmask_b32_e64 v18, v14, v5, s[22:23]
	v_cmp_lt_u32_e64 s[20:21], v19, v30
	v_cmp_ge_u32_e64 s[12:13], v18, v31
	s_waitcnt lgkmcnt(0)
	v_cndmask_b32_e64 v33, v1, v23, s[22:23]
	v_cndmask_b32_e64 v32, v0, v22, s[22:23]
	v_cndmask_b32_e64 v37, v27, v1, s[22:23]
	v_cndmask_b32_e64 v36, v26, v0, s[22:23]
	;; [unrolled: 19-line block ×3, first 2 shown]
	v_cmp_le_i64_e64 s[28:29], v[48:49], v[50:51]
	s_and_b64 s[24:25], s[24:25], s[28:29]
	s_or_b64 s[12:13], s[12:13], s[24:25]
	v_cndmask_b32_e64 v18, v34, v29, s[12:13]
	v_cndmask_b32_e64 v4, v31, v30, s[12:13]
	v_add_u32_e32 v35, 1, v18
	v_add_u32_e32 v4, -1, v4
	v_min_u32_e32 v4, v35, v4
	v_lshl_add_u32 v0, v12, 3, v20
	v_lshl_add_u32 v12, v13, 3, v20
	;; [unrolled: 1-line block ×3, first 2 shown]
	ds_read_b64 v[0:1], v0 offset:16384
	ds_read_b64 v[14:15], v12 offset:16384
	ds_read_b64 v[12:13], v4
	v_lshl_add_u32 v18, v18, 3, v20
	ds_read_b64 v[18:19], v18 offset:16384
	v_cndmask_b32_e64 v65, v29, v35, s[12:13]
	v_cndmask_b32_e64 v64, v35, v34, s[12:13]
	s_waitcnt lgkmcnt(1)
	v_cndmask_b32_e64 v53, v13, v49, s[12:13]
	v_cndmask_b32_e64 v52, v12, v48, s[12:13]
	;; [unrolled: 1-line block ×4, first 2 shown]
	v_cmp_lt_u32_e64 s[28:29], v65, v30
	v_cmp_le_i64_e64 s[30:31], v[52:53], v[54:55]
	v_cmp_ge_u32_e64 s[24:25], v64, v31
	s_and_b64 s[28:29], s[28:29], s[30:31]
	s_or_b64 s[24:25], s[24:25], s[28:29]
	v_cndmask_b32_e64 v12, v64, v65, s[24:25]
	v_cndmask_b32_e64 v13, v31, v30, s[24:25]
	v_lshl_add_u32 v4, v28, 3, v20
	v_lshl_add_u32 v28, v12, 3, v20
	v_add_u32_e32 v66, 1, v12
	v_add_u32_e32 v12, -1, v13
	v_min_u32_e32 v12, v66, v12
	ds_read_b64 v[4:5], v4 offset:16384
	v_lshl_add_u32 v29, v12, 3, v20
	ds_read_b64 v[12:13], v28 offset:16384
	ds_read_b64 v[38:39], v29
	v_cndmask_b32_e64 v29, v17, v11, s[8:9]
	v_cndmask_b32_e64 v28, v16, v10, s[8:9]
	;; [unrolled: 1-line block ×4, first 2 shown]
	s_waitcnt lgkmcnt(0)
	v_cndmask_b32_e64 v11, v39, v53, s[24:25]
	v_cndmask_b32_e64 v10, v38, v52, s[24:25]
	;; [unrolled: 1-line block ×6, first 2 shown]
	v_cmp_lt_u32_e64 s[22:23], v66, v30
	v_cmp_le_i64_e64 s[28:29], v[10:11], v[26:27]
	v_cmp_ge_u32_e64 s[8:9], v67, v31
	s_and_b64 s[22:23], s[22:23], s[28:29]
	s_or_b64 s[8:9], s[8:9], s[22:23]
	v_cndmask_b32_e64 v16, v67, v66, s[8:9]
	v_cndmask_b32_e64 v17, v31, v30, s[8:9]
	v_lshl_add_u32 v22, v16, 3, v20
	v_add_u32_e32 v71, 1, v16
	v_add_u32_e32 v16, -1, v17
	v_min_u32_e32 v16, v71, v16
	v_lshl_add_u32 v16, v16, 3, v20
	ds_read_b64 v[22:23], v22 offset:16384
	ds_read_b64 v[16:17], v16
	v_cndmask_b32_e64 v39, v33, v37, s[20:21]
	v_cndmask_b32_e64 v38, v32, v36, s[20:21]
	;; [unrolled: 1-line block ×4, first 2 shown]
	s_waitcnt lgkmcnt(0)
	v_cndmask_b32_e64 v33, v17, v11, s[8:9]
	v_cndmask_b32_e64 v32, v16, v10, s[8:9]
	;; [unrolled: 1-line block ×4, first 2 shown]
	v_cmp_lt_u32_e64 s[20:21], v71, v30
	v_cmp_le_i64_e64 s[22:23], v[32:33], v[64:65]
	v_cndmask_b32_e64 v49, v49, v51, s[12:13]
	v_cndmask_b32_e64 v48, v48, v50, s[12:13]
	v_cmp_ge_u32_e64 s[12:13], v80, v31
	s_and_b64 s[20:21], s[20:21], s[22:23]
	s_or_b64 s[12:13], s[12:13], s[20:21]
	v_cndmask_b32_e64 v16, v80, v71, s[12:13]
	v_cndmask_b32_e64 v17, v31, v30, s[12:13]
	v_lshl_add_u32 v36, v16, 3, v20
	v_add_u32_e32 v81, 1, v16
	v_add_u32_e32 v16, -1, v17
	v_min_u32_e32 v16, v81, v16
	v_lshl_add_u32 v37, v16, 3, v20
	ds_read_b64 v[16:17], v36 offset:16384
	ds_read_b64 v[66:67], v37
	v_cndmask_b32_e64 v51, v53, v55, s[24:25]
	v_cndmask_b32_e64 v50, v52, v54, s[24:25]
	;; [unrolled: 1-line block ×4, first 2 shown]
	s_waitcnt lgkmcnt(0)
	v_cndmask_b32_e64 v11, v67, v33, s[12:13]
	v_cndmask_b32_e64 v10, v66, v32, s[12:13]
	;; [unrolled: 1-line block ×6, first 2 shown]
	v_cmp_lt_u32_e64 s[20:21], v27, v30
	v_cmp_le_i64_e64 s[22:23], v[10:11], v[54:55]
	v_cmp_ge_u32_e64 s[8:9], v26, v31
	s_and_b64 s[20:21], s[20:21], s[22:23]
	s_or_b64 s[8:9], s[8:9], s[20:21]
	v_cndmask_b32_e64 v26, v26, v27, s[8:9]
	v_lshl_add_u32 v26, v26, 3, v20
	ds_read_b64 v[26:27], v26 offset:16384
	v_cndmask_b32_e64 v53, v33, v65, s[12:13]
	v_cndmask_b32_e64 v52, v32, v64, s[12:13]
	v_cndmask_b32_e64 v33, v11, v55, s[8:9]
	v_cndmask_b32_e64 v32, v10, v54, s[8:9]
.LBB716_214:
	s_or_b64 exec, exec, s[36:37]
	v_add_u32_e32 v10, 0x4000, v25
	; wave barrier
	ds_write2_b64 v25, v[28:29], v[34:35] offset1:1
	ds_write2_b64 v10, v[0:1], v[14:15] offset1:1
	ds_write2_b64 v25, v[38:39], v[48:49] offset0:2 offset1:3
	ds_write2_b64 v24, v[4:5], v[18:19] offset0:2 offset1:3
	;; [unrolled: 1-line block ×5, first 2 shown]
	s_waitcnt lgkmcnt(7)
	ds_write2_b64 v24, v[16:17], v[26:27] offset0:6 offset1:7
	v_and_b32_e32 v10, 0x380, v69
	v_or_b32_e32 v11, 64, v10
	v_min_u32_e32 v24, v21, v11
	v_add_u32_e32 v11, 64, v24
	v_min_u32_e32 v25, v21, v11
	v_min_u32_e32 v11, v21, v70
	v_sub_u32_e32 v31, v24, v10
	v_sub_u32_e32 v30, v25, v24
	v_sub_u32_e64 v30, v11, v30 clamp
	v_min_u32_e32 v31, v11, v31
	v_lshl_add_u32 v21, v10, 3, v20
	v_cmp_lt_u32_e64 s[8:9], v30, v31
	; wave barrier
	s_and_saveexec_b64 s[12:13], s[8:9]
	s_cbranch_execz .LBB716_218
; %bb.215:
	v_lshlrev_b32_e32 v54, 3, v24
	v_lshlrev_b32_e32 v55, 3, v11
	v_add3_u32 v54, v20, v54, v55
	s_mov_b64 s[20:21], 0
.LBB716_216:                            ; =>This Inner Loop Header: Depth=1
	v_add_u32_e32 v55, v31, v30
	v_lshrrev_b32_e32 v55, 1, v55
	v_not_b32_e32 v64, v55
	v_lshl_add_u32 v65, v55, 3, v21
	v_lshl_add_u32 v66, v64, 3, v54
	ds_read_b64 v[64:65], v65
	ds_read_b64 v[66:67], v66
	v_add_u32_e32 v69, 1, v55
	s_waitcnt lgkmcnt(0)
	v_cmp_gt_i64_e64 s[8:9], v[66:67], v[64:65]
	v_cndmask_b32_e64 v31, v31, v55, s[8:9]
	v_cndmask_b32_e64 v30, v69, v30, s[8:9]
	v_cmp_ge_u32_e64 s[8:9], v30, v31
	s_or_b64 s[20:21], s[8:9], s[20:21]
	s_andn2_b64 exec, exec, s[20:21]
	s_cbranch_execnz .LBB716_216
; %bb.217:
	s_or_b64 exec, exec, s[20:21]
.LBB716_218:
	s_or_b64 exec, exec, s[12:13]
	v_add_u32_e32 v31, v30, v10
	v_add_u32_e32 v10, v24, v11
	v_sub_u32_e32 v54, v10, v30
	v_cmp_le_u32_e64 s[8:9], v31, v24
	v_cmp_le_u32_e64 s[12:13], v54, v25
	s_or_b64 s[8:9], s[8:9], s[12:13]
	s_and_saveexec_b64 s[36:37], s[8:9]
	s_cbranch_execz .LBB716_224
; %bb.219:
	v_cmp_lt_u32_e64 s[8:9], v31, v24
                                        ; implicit-def: $vgpr10_vgpr11
	s_and_saveexec_b64 s[12:13], s[8:9]
	s_cbranch_execz .LBB716_221
; %bb.220:
	v_lshl_add_u32 v0, v30, 3, v21
	ds_read_b64 v[10:11], v0
.LBB716_221:
	s_or_b64 exec, exec, s[12:13]
	v_cmp_ge_u32_e64 s[20:21], v54, v25
	v_cmp_lt_u32_e64 s[12:13], v54, v25
                                        ; implicit-def: $vgpr16_vgpr17
	s_and_saveexec_b64 s[22:23], s[12:13]
	s_cbranch_execz .LBB716_223
; %bb.222:
	v_lshl_add_u32 v0, v54, 3, v20
	ds_read_b64 v[16:17], v0
.LBB716_223:
	s_or_b64 exec, exec, s[22:23]
	s_waitcnt lgkmcnt(0)
	v_cmp_le_i64_e64 s[12:13], v[16:17], v[10:11]
	s_and_b64 s[8:9], s[8:9], s[12:13]
	s_or_b64 s[8:9], s[20:21], s[8:9]
	v_cndmask_b32_e64 v12, v54, v31, s[8:9]
	v_cndmask_b32_e64 v0, v25, v24, s[8:9]
	v_add_u32_e32 v4, 1, v12
	v_add_u32_e32 v0, -1, v0
	v_min_u32_e32 v0, v4, v0
	v_lshl_add_u32 v0, v0, 3, v20
	ds_read_b64 v[0:1], v0
	v_cndmask_b32_e64 v5, v4, v54, s[8:9]
	v_cndmask_b32_e64 v4, v31, v4, s[8:9]
	v_cmp_lt_u32_e64 s[20:21], v4, v24
	v_cmp_ge_u32_e64 s[12:13], v5, v25
	s_waitcnt lgkmcnt(0)
	v_cndmask_b32_e64 v23, v1, v17, s[8:9]
	v_cndmask_b32_e64 v22, v0, v16, s[8:9]
	v_cndmask_b32_e64 v27, v11, v1, s[8:9]
	v_cndmask_b32_e64 v26, v10, v0, s[8:9]
	v_cmp_le_i64_e64 s[22:23], v[22:23], v[26:27]
	s_and_b64 s[20:21], s[20:21], s[22:23]
	s_or_b64 s[22:23], s[12:13], s[20:21]
	v_cndmask_b32_e64 v13, v5, v4, s[22:23]
	v_cndmask_b32_e64 v0, v25, v24, s[22:23]
	v_add_u32_e32 v14, 1, v13
	v_add_u32_e32 v0, -1, v0
	v_min_u32_e32 v0, v14, v0
	v_lshl_add_u32 v0, v0, 3, v20
	ds_read_b64 v[0:1], v0
	v_cndmask_b32_e64 v19, v4, v14, s[22:23]
	v_cndmask_b32_e64 v18, v14, v5, s[22:23]
	v_cmp_lt_u32_e64 s[20:21], v19, v24
	v_cmp_ge_u32_e64 s[12:13], v18, v25
	s_waitcnt lgkmcnt(0)
	v_cndmask_b32_e64 v31, v1, v23, s[22:23]
	v_cndmask_b32_e64 v30, v0, v22, s[22:23]
	v_cndmask_b32_e64 v33, v27, v1, s[22:23]
	v_cndmask_b32_e64 v32, v26, v0, s[22:23]
	;; [unrolled: 19-line block ×3, first 2 shown]
	v_cmp_le_i64_e64 s[28:29], v[36:37], v[48:49]
	s_and_b64 s[24:25], s[24:25], s[28:29]
	s_or_b64 s[12:13], s[12:13], s[24:25]
	v_cndmask_b32_e64 v18, v29, v28, s[12:13]
	v_cndmask_b32_e64 v4, v25, v24, s[12:13]
	v_add_u32_e32 v34, 1, v18
	v_add_u32_e32 v4, -1, v4
	v_min_u32_e32 v4, v34, v4
	v_lshl_add_u32 v0, v12, 3, v20
	v_lshl_add_u32 v12, v13, 3, v20
	;; [unrolled: 1-line block ×3, first 2 shown]
	ds_read_b64 v[0:1], v0 offset:16384
	ds_read_b64 v[14:15], v12 offset:16384
	ds_read_b64 v[12:13], v4
	v_lshl_add_u32 v18, v18, 3, v20
	ds_read_b64 v[18:19], v18 offset:16384
	v_cndmask_b32_e64 v54, v28, v34, s[12:13]
	v_lshl_add_u32 v4, v21, 3, v20
	s_waitcnt lgkmcnt(1)
	v_cndmask_b32_e64 v51, v13, v37, s[12:13]
	v_cndmask_b32_e64 v50, v12, v36, s[12:13]
	;; [unrolled: 1-line block ×5, first 2 shown]
	v_cmp_lt_u32_e64 s[28:29], v54, v24
	v_cmp_le_i64_e64 s[30:31], v[50:51], v[52:53]
	v_cmp_ge_u32_e64 s[24:25], v21, v25
	s_and_b64 s[28:29], s[28:29], s[30:31]
	s_or_b64 s[24:25], s[24:25], s[28:29]
	v_cndmask_b32_e64 v12, v21, v54, s[24:25]
	v_cndmask_b32_e64 v13, v25, v24, s[24:25]
	v_lshl_add_u32 v28, v12, 3, v20
	v_add_u32_e32 v55, 1, v12
	v_add_u32_e32 v12, -1, v13
	v_min_u32_e32 v12, v55, v12
	ds_read_b64 v[4:5], v4 offset:16384
	v_lshl_add_u32 v29, v12, 3, v20
	ds_read_b64 v[12:13], v28 offset:16384
	ds_read_b64 v[38:39], v29
	v_cndmask_b32_e64 v29, v17, v11, s[8:9]
	v_cndmask_b32_e64 v28, v16, v10, s[8:9]
	;; [unrolled: 1-line block ×4, first 2 shown]
	s_waitcnt lgkmcnt(0)
	v_cndmask_b32_e64 v11, v39, v51, s[24:25]
	v_cndmask_b32_e64 v10, v38, v50, s[24:25]
	;; [unrolled: 1-line block ×6, first 2 shown]
	v_cmp_lt_u32_e64 s[22:23], v54, v24
	v_cmp_le_i64_e64 s[28:29], v[10:11], v[26:27]
	v_cmp_ge_u32_e64 s[8:9], v21, v25
	s_and_b64 s[22:23], s[22:23], s[28:29]
	s_or_b64 s[8:9], s[8:9], s[22:23]
	v_cndmask_b32_e64 v16, v21, v54, s[8:9]
	v_cndmask_b32_e64 v17, v25, v24, s[8:9]
	v_lshl_add_u32 v22, v16, 3, v20
	v_add_u32_e32 v55, 1, v16
	v_add_u32_e32 v16, -1, v17
	v_min_u32_e32 v16, v55, v16
	v_lshl_add_u32 v16, v16, 3, v20
	ds_read_b64 v[22:23], v22 offset:16384
	ds_read_b64 v[16:17], v16
	v_cndmask_b32_e64 v39, v31, v33, s[20:21]
	v_cndmask_b32_e64 v38, v30, v32, s[20:21]
	;; [unrolled: 1-line block ×4, first 2 shown]
	s_waitcnt lgkmcnt(0)
	v_cndmask_b32_e64 v31, v17, v11, s[8:9]
	v_cndmask_b32_e64 v30, v16, v10, s[8:9]
	;; [unrolled: 1-line block ×4, first 2 shown]
	v_cmp_lt_u32_e64 s[20:21], v64, v24
	v_cmp_le_i64_e64 s[22:23], v[30:31], v[32:33]
	v_cndmask_b32_e64 v49, v37, v49, s[12:13]
	v_cndmask_b32_e64 v48, v36, v48, s[12:13]
	v_cmp_ge_u32_e64 s[12:13], v21, v25
	s_and_b64 s[20:21], s[20:21], s[22:23]
	s_or_b64 s[12:13], s[12:13], s[20:21]
	v_cndmask_b32_e64 v16, v21, v64, s[12:13]
	v_cndmask_b32_e64 v17, v25, v24, s[12:13]
	v_lshl_add_u32 v36, v16, 3, v20
	v_add_u32_e32 v65, 1, v16
	v_add_u32_e32 v16, -1, v17
	v_min_u32_e32 v16, v65, v16
	v_lshl_add_u32 v37, v16, 3, v20
	ds_read_b64 v[16:17], v36 offset:16384
	ds_read_b64 v[54:55], v37
	v_cndmask_b32_e64 v37, v11, v27, s[8:9]
	v_cndmask_b32_e64 v36, v10, v26, s[8:9]
	;; [unrolled: 1-line block ×4, first 2 shown]
	s_waitcnt lgkmcnt(0)
	v_cndmask_b32_e64 v11, v55, v31, s[12:13]
	v_cndmask_b32_e64 v10, v54, v30, s[12:13]
	v_cndmask_b32_e64 v55, v33, v55, s[12:13]
	v_cndmask_b32_e64 v54, v32, v54, s[12:13]
	v_cmp_lt_u32_e64 s[20:21], v26, v24
	v_cmp_le_i64_e64 s[22:23], v[10:11], v[54:55]
	v_cmp_ge_u32_e64 s[8:9], v21, v25
	s_and_b64 s[20:21], s[20:21], s[22:23]
	s_or_b64 s[8:9], s[8:9], s[20:21]
	v_cndmask_b32_e64 v21, v21, v26, s[8:9]
	v_lshl_add_u32 v20, v21, 3, v20
	ds_read_b64 v[26:27], v20 offset:16384
	v_cndmask_b32_e64 v51, v51, v53, s[24:25]
	v_cndmask_b32_e64 v50, v50, v52, s[24:25]
	;; [unrolled: 1-line block ×6, first 2 shown]
.LBB716_224:
	s_or_b64 exec, exec, s[36:37]
	; wave barrier
	s_waitcnt lgkmcnt(0)
	s_barrier
.LBB716_225:
	s_or_b64 exec, exec, s[34:35]
	v_add_co_u32_e64 v2, s[8:9], v2, v8
	v_addc_co_u32_e64 v3, s[8:9], v3, v9, s[8:9]
	v_add_co_u32_e64 v2, s[8:9], v2, v68
	v_addc_co_u32_e64 v3, s[8:9], 0, v3, s[8:9]
	s_waitcnt lgkmcnt(0)
	; wave barrier
	s_and_saveexec_b64 s[8:9], vcc
	s_cbranch_execnz .LBB716_251
; %bb.226:
	s_or_b64 exec, exec, s[8:9]
	s_and_saveexec_b64 s[8:9], s[4:5]
	s_cbranch_execnz .LBB716_252
.LBB716_227:
	s_or_b64 exec, exec, s[8:9]
	s_and_saveexec_b64 s[8:9], s[6:7]
	s_cbranch_execnz .LBB716_253
.LBB716_228:
	s_or_b64 exec, exec, s[8:9]
	s_and_saveexec_b64 s[8:9], s[18:19]
	s_cbranch_execnz .LBB716_254
.LBB716_229:
	s_or_b64 exec, exec, s[8:9]
	s_and_saveexec_b64 s[8:9], s[10:11]
	s_cbranch_execnz .LBB716_255
.LBB716_230:
	s_or_b64 exec, exec, s[8:9]
	s_and_saveexec_b64 s[8:9], s[26:27]
	s_cbranch_execnz .LBB716_256
.LBB716_231:
	s_or_b64 exec, exec, s[8:9]
	s_and_saveexec_b64 s[8:9], s[14:15]
	s_cbranch_execnz .LBB716_257
.LBB716_232:
	s_or_b64 exec, exec, s[8:9]
	s_and_saveexec_b64 s[8:9], s[16:17]
	s_cbranch_execz .LBB716_234
.LBB716_233:
	s_waitcnt vmcnt(0) lgkmcnt(0)
	flat_store_dwordx2 v[2:3], v[32:33] offset:56
.LBB716_234:
	s_or_b64 exec, exec, s[8:9]
	v_add_co_u32_e64 v2, s[8:9], v6, v8
	v_addc_co_u32_e64 v3, s[8:9], v7, v9, s[8:9]
	v_add_co_u32_e64 v2, s[8:9], v2, v68
	v_addc_co_u32_e64 v3, s[8:9], 0, v3, s[8:9]
	; wave barrier
	s_and_saveexec_b64 s[8:9], vcc
	s_cbranch_execnz .LBB716_258
; %bb.235:
	s_or_b64 exec, exec, s[8:9]
	s_and_saveexec_b64 s[8:9], s[4:5]
	s_cbranch_execnz .LBB716_259
.LBB716_236:
	s_or_b64 exec, exec, s[8:9]
	s_and_saveexec_b64 s[4:5], s[6:7]
	s_cbranch_execnz .LBB716_260
.LBB716_237:
	s_or_b64 exec, exec, s[4:5]
	s_and_saveexec_b64 s[4:5], s[18:19]
	s_cbranch_execnz .LBB716_261
.LBB716_238:
	s_or_b64 exec, exec, s[4:5]
	s_and_saveexec_b64 s[4:5], s[10:11]
	s_cbranch_execnz .LBB716_262
.LBB716_239:
	s_or_b64 exec, exec, s[4:5]
	s_and_saveexec_b64 s[4:5], s[26:27]
	s_cbranch_execnz .LBB716_263
.LBB716_240:
	s_or_b64 exec, exec, s[4:5]
	s_and_saveexec_b64 s[4:5], s[14:15]
	s_cbranch_execnz .LBB716_264
.LBB716_241:
	s_or_b64 exec, exec, s[4:5]
	s_and_saveexec_b64 s[4:5], s[16:17]
	s_cbranch_execz .LBB716_243
.LBB716_242:
	s_waitcnt vmcnt(0) lgkmcnt(0)
	flat_store_dwordx2 v[2:3], v[26:27] offset:56
.LBB716_243:
	s_or_b64 exec, exec, s[4:5]
	v_readlane_b32 s30, v40, 8
	v_readlane_b32 s31, v40, 9
	;; [unrolled: 1-line block ×10, first 2 shown]
	s_or_saveexec_b64 s[4:5], -1
	buffer_load_dword v40, off, s[0:3], s32 ; 4-byte Folded Reload
	s_mov_b64 exec, s[4:5]
	s_waitcnt vmcnt(0) lgkmcnt(0)
	s_setpc_b64 s[30:31]
.LBB716_244:
	flat_load_dwordx2 v[0:1], v[54:55]
	s_or_b64 exec, exec, s[20:21]
	s_and_saveexec_b64 s[20:21], s[4:5]
                                        ; implicit-def: $vgpr12_vgpr13_vgpr14_vgpr15
	s_cbranch_execz .LBB716_18
.LBB716_245:
	flat_load_dwordx2 v[14:15], v[54:55] offset:8
	s_or_b64 exec, exec, s[20:21]
                                        ; implicit-def: $vgpr4_vgpr5
	s_and_saveexec_b64 s[20:21], s[6:7]
	s_cbranch_execz .LBB716_19
.LBB716_246:
	flat_load_dwordx2 v[4:5], v[54:55] offset:16
	s_or_b64 exec, exec, s[20:21]
	s_and_saveexec_b64 s[20:21], s[18:19]
                                        ; implicit-def: $vgpr16_vgpr17_vgpr18_vgpr19
	s_cbranch_execz .LBB716_20
.LBB716_247:
	flat_load_dwordx2 v[18:19], v[54:55] offset:24
	s_or_b64 exec, exec, s[20:21]
                                        ; implicit-def: $vgpr12_vgpr13
	s_and_saveexec_b64 s[20:21], s[10:11]
	s_cbranch_execz .LBB716_21
.LBB716_248:
	flat_load_dwordx2 v[12:13], v[54:55] offset:32
	s_or_b64 exec, exec, s[20:21]
	s_and_saveexec_b64 s[20:21], s[26:27]
                                        ; implicit-def: $vgpr20_vgpr21_vgpr22_vgpr23
	s_cbranch_execz .LBB716_22
.LBB716_249:
	flat_load_dwordx2 v[22:23], v[54:55] offset:40
	s_or_b64 exec, exec, s[20:21]
                                        ; implicit-def: $vgpr16_vgpr17
	s_and_saveexec_b64 s[20:21], s[14:15]
	s_cbranch_execz .LBB716_23
.LBB716_250:
	flat_load_dwordx2 v[16:17], v[54:55] offset:48
	s_or_b64 exec, exec, s[20:21]
	s_and_saveexec_b64 s[20:21], s[16:17]
                                        ; implicit-def: $vgpr24_vgpr25_vgpr26_vgpr27
	s_cbranch_execnz .LBB716_24
	s_branch .LBB716_25
.LBB716_251:
	s_waitcnt vmcnt(0) lgkmcnt(0)
	flat_store_dwordx2 v[2:3], v[28:29]
	s_or_b64 exec, exec, s[8:9]
	s_and_saveexec_b64 s[8:9], s[4:5]
	s_cbranch_execz .LBB716_227
.LBB716_252:
	s_waitcnt vmcnt(0) lgkmcnt(0)
	flat_store_dwordx2 v[2:3], v[34:35] offset:8
	s_or_b64 exec, exec, s[8:9]
	s_and_saveexec_b64 s[8:9], s[6:7]
	s_cbranch_execz .LBB716_228
.LBB716_253:
	s_waitcnt vmcnt(0) lgkmcnt(0)
	flat_store_dwordx2 v[2:3], v[38:39] offset:16
	s_or_b64 exec, exec, s[8:9]
	s_and_saveexec_b64 s[8:9], s[18:19]
	s_cbranch_execz .LBB716_229
.LBB716_254:
	s_waitcnt vmcnt(0) lgkmcnt(0)
	flat_store_dwordx2 v[2:3], v[48:49] offset:24
	s_or_b64 exec, exec, s[8:9]
	s_and_saveexec_b64 s[8:9], s[10:11]
	s_cbranch_execz .LBB716_230
.LBB716_255:
	s_waitcnt vmcnt(0) lgkmcnt(0)
	flat_store_dwordx2 v[2:3], v[50:51] offset:32
	s_or_b64 exec, exec, s[8:9]
	s_and_saveexec_b64 s[8:9], s[26:27]
	s_cbranch_execz .LBB716_231
.LBB716_256:
	s_waitcnt vmcnt(0) lgkmcnt(0)
	flat_store_dwordx2 v[2:3], v[36:37] offset:40
	s_or_b64 exec, exec, s[8:9]
	s_and_saveexec_b64 s[8:9], s[14:15]
	s_cbranch_execz .LBB716_232
.LBB716_257:
	s_waitcnt vmcnt(0) lgkmcnt(0)
	flat_store_dwordx2 v[2:3], v[52:53] offset:48
	s_or_b64 exec, exec, s[8:9]
	s_and_saveexec_b64 s[8:9], s[16:17]
	s_cbranch_execnz .LBB716_233
	s_branch .LBB716_234
.LBB716_258:
	s_waitcnt vmcnt(0) lgkmcnt(0)
	flat_store_dwordx2 v[2:3], v[0:1]
	s_or_b64 exec, exec, s[8:9]
	s_and_saveexec_b64 s[8:9], s[4:5]
	s_cbranch_execz .LBB716_236
.LBB716_259:
	s_waitcnt vmcnt(0) lgkmcnt(0)
	flat_store_dwordx2 v[2:3], v[14:15] offset:8
	s_or_b64 exec, exec, s[8:9]
	s_and_saveexec_b64 s[4:5], s[6:7]
	s_cbranch_execz .LBB716_237
.LBB716_260:
	s_waitcnt vmcnt(0) lgkmcnt(0)
	flat_store_dwordx2 v[2:3], v[4:5] offset:16
	s_or_b64 exec, exec, s[4:5]
	s_and_saveexec_b64 s[4:5], s[18:19]
	s_cbranch_execz .LBB716_238
.LBB716_261:
	s_waitcnt vmcnt(0) lgkmcnt(0)
	flat_store_dwordx2 v[2:3], v[18:19] offset:24
	s_or_b64 exec, exec, s[4:5]
	s_and_saveexec_b64 s[4:5], s[10:11]
	s_cbranch_execz .LBB716_239
.LBB716_262:
	s_waitcnt vmcnt(0) lgkmcnt(0)
	flat_store_dwordx2 v[2:3], v[12:13] offset:32
	s_or_b64 exec, exec, s[4:5]
	s_and_saveexec_b64 s[4:5], s[26:27]
	s_cbranch_execz .LBB716_240
.LBB716_263:
	s_waitcnt vmcnt(0) lgkmcnt(0)
	flat_store_dwordx2 v[2:3], v[22:23] offset:40
	s_or_b64 exec, exec, s[4:5]
	s_and_saveexec_b64 s[4:5], s[14:15]
	s_cbranch_execz .LBB716_241
.LBB716_264:
	s_waitcnt vmcnt(0) lgkmcnt(0)
	flat_store_dwordx2 v[2:3], v[16:17] offset:48
	s_or_b64 exec, exec, s[4:5]
	s_and_saveexec_b64 s[4:5], s[16:17]
	s_cbranch_execnz .LBB716_242
	s_branch .LBB716_243
.Lfunc_end716:
	.size	_ZN7rocprim17ROCPRIM_400000_NS6detail26segmented_warp_sort_helperINS1_20WarpSortHelperConfigILj16ELj8ELj256EEEllLi256ELb1EvE4sortIPKlPlS8_S9_EEvT_T0_T1_T2_jjjjRNS5_12storage_typeE, .Lfunc_end716-_ZN7rocprim17ROCPRIM_400000_NS6detail26segmented_warp_sort_helperINS1_20WarpSortHelperConfigILj16ELj8ELj256EEEllLi256ELb1EvE4sortIPKlPlS8_S9_EEvT_T0_T1_T2_jjjjRNS5_12storage_typeE
                                        ; -- End function
	.section	.AMDGPU.csdata,"",@progbits
; Function info:
; codeLenInByte = 19236
; NumSgprs: 46
; NumVgprs: 85
; NumAgprs: 0
; TotalNumVgprs: 85
; ScratchSize: 8
; MemoryBound: 0
	.section	.text._ZN7rocprim17ROCPRIM_400000_NS6detail17trampoline_kernelINS0_14default_configENS1_36segmented_radix_sort_config_selectorIllEEZNS1_25segmented_radix_sort_implIS3_Lb1EPKlPlS8_S9_N2at6native12_GLOBAL__N_18offset_tEEE10hipError_tPvRmT1_PNSt15iterator_traitsISH_E10value_typeET2_T3_PNSI_ISN_E10value_typeET4_jRbjT5_ST_jjP12ihipStream_tbEUlT_E0_NS1_11comp_targetILNS1_3genE4ELNS1_11target_archE910ELNS1_3gpuE8ELNS1_3repE0EEENS1_60segmented_radix_sort_warp_sort_medium_config_static_selectorELNS0_4arch9wavefront6targetE1EEEvSH_,"axG",@progbits,_ZN7rocprim17ROCPRIM_400000_NS6detail17trampoline_kernelINS0_14default_configENS1_36segmented_radix_sort_config_selectorIllEEZNS1_25segmented_radix_sort_implIS3_Lb1EPKlPlS8_S9_N2at6native12_GLOBAL__N_18offset_tEEE10hipError_tPvRmT1_PNSt15iterator_traitsISH_E10value_typeET2_T3_PNSI_ISN_E10value_typeET4_jRbjT5_ST_jjP12ihipStream_tbEUlT_E0_NS1_11comp_targetILNS1_3genE4ELNS1_11target_archE910ELNS1_3gpuE8ELNS1_3repE0EEENS1_60segmented_radix_sort_warp_sort_medium_config_static_selectorELNS0_4arch9wavefront6targetE1EEEvSH_,comdat
	.globl	_ZN7rocprim17ROCPRIM_400000_NS6detail17trampoline_kernelINS0_14default_configENS1_36segmented_radix_sort_config_selectorIllEEZNS1_25segmented_radix_sort_implIS3_Lb1EPKlPlS8_S9_N2at6native12_GLOBAL__N_18offset_tEEE10hipError_tPvRmT1_PNSt15iterator_traitsISH_E10value_typeET2_T3_PNSI_ISN_E10value_typeET4_jRbjT5_ST_jjP12ihipStream_tbEUlT_E0_NS1_11comp_targetILNS1_3genE4ELNS1_11target_archE910ELNS1_3gpuE8ELNS1_3repE0EEENS1_60segmented_radix_sort_warp_sort_medium_config_static_selectorELNS0_4arch9wavefront6targetE1EEEvSH_ ; -- Begin function _ZN7rocprim17ROCPRIM_400000_NS6detail17trampoline_kernelINS0_14default_configENS1_36segmented_radix_sort_config_selectorIllEEZNS1_25segmented_radix_sort_implIS3_Lb1EPKlPlS8_S9_N2at6native12_GLOBAL__N_18offset_tEEE10hipError_tPvRmT1_PNSt15iterator_traitsISH_E10value_typeET2_T3_PNSI_ISN_E10value_typeET4_jRbjT5_ST_jjP12ihipStream_tbEUlT_E0_NS1_11comp_targetILNS1_3genE4ELNS1_11target_archE910ELNS1_3gpuE8ELNS1_3repE0EEENS1_60segmented_radix_sort_warp_sort_medium_config_static_selectorELNS0_4arch9wavefront6targetE1EEEvSH_
	.p2align	8
	.type	_ZN7rocprim17ROCPRIM_400000_NS6detail17trampoline_kernelINS0_14default_configENS1_36segmented_radix_sort_config_selectorIllEEZNS1_25segmented_radix_sort_implIS3_Lb1EPKlPlS8_S9_N2at6native12_GLOBAL__N_18offset_tEEE10hipError_tPvRmT1_PNSt15iterator_traitsISH_E10value_typeET2_T3_PNSI_ISN_E10value_typeET4_jRbjT5_ST_jjP12ihipStream_tbEUlT_E0_NS1_11comp_targetILNS1_3genE4ELNS1_11target_archE910ELNS1_3gpuE8ELNS1_3repE0EEENS1_60segmented_radix_sort_warp_sort_medium_config_static_selectorELNS0_4arch9wavefront6targetE1EEEvSH_,@function
_ZN7rocprim17ROCPRIM_400000_NS6detail17trampoline_kernelINS0_14default_configENS1_36segmented_radix_sort_config_selectorIllEEZNS1_25segmented_radix_sort_implIS3_Lb1EPKlPlS8_S9_N2at6native12_GLOBAL__N_18offset_tEEE10hipError_tPvRmT1_PNSt15iterator_traitsISH_E10value_typeET2_T3_PNSI_ISN_E10value_typeET4_jRbjT5_ST_jjP12ihipStream_tbEUlT_E0_NS1_11comp_targetILNS1_3genE4ELNS1_11target_archE910ELNS1_3gpuE8ELNS1_3repE0EEENS1_60segmented_radix_sort_warp_sort_medium_config_static_selectorELNS0_4arch9wavefront6targetE1EEEvSH_: ; @_ZN7rocprim17ROCPRIM_400000_NS6detail17trampoline_kernelINS0_14default_configENS1_36segmented_radix_sort_config_selectorIllEEZNS1_25segmented_radix_sort_implIS3_Lb1EPKlPlS8_S9_N2at6native12_GLOBAL__N_18offset_tEEE10hipError_tPvRmT1_PNSt15iterator_traitsISH_E10value_typeET2_T3_PNSI_ISN_E10value_typeET4_jRbjT5_ST_jjP12ihipStream_tbEUlT_E0_NS1_11comp_targetILNS1_3genE4ELNS1_11target_archE910ELNS1_3gpuE8ELNS1_3repE0EEENS1_60segmented_radix_sort_warp_sort_medium_config_static_selectorELNS0_4arch9wavefront6targetE1EEEvSH_
; %bb.0:
	s_add_u32 flat_scratch_lo, s6, s10
	s_addc_u32 flat_scratch_hi, s7, 0
	s_add_u32 s0, s0, s10
	s_load_dword s6, s[4:5], 0x64
	s_load_dword s10, s[4:5], 0x34
	s_addc_u32 s1, s1, 0
	v_bfe_u32 v1, v0, 10, 10
	v_bfe_u32 v2, v0, 20, 10
	s_waitcnt lgkmcnt(0)
	s_lshr_b32 s7, s6, 16
	s_and_b32 s6, s6, 0xffff
	v_mad_u32_u24 v1, v2, s7, v1
	v_and_b32_e32 v2, 0x3ff, v0
	v_mad_u64_u32 v[2:3], s[6:7], v1, s6, v[2:3]
	v_lshrrev_b32_e32 v1, 4, v2
	v_lshl_add_u32 v2, s8, 4, v1
	v_cmp_gt_u32_e32 vcc, s10, v2
	s_mov_b32 s32, 0
	s_and_saveexec_b64 s[6:7], vcc
	s_cbranch_execz .LBB717_6
; %bb.1:
	s_load_dwordx2 s[6:7], s[4:5], 0x38
	s_load_dwordx4 s[12:15], s[4:5], 0x40
	v_mov_b32_e32 v3, 0
	v_lshlrev_b64 v[2:3], 2, v[2:3]
	s_waitcnt lgkmcnt(0)
	v_mov_b32_e32 v1, s7
	v_add_co_u32_e32 v2, vcc, s6, v2
	v_addc_co_u32_e32 v3, vcc, v1, v3, vcc
	global_load_dword v1, v[2:3], off
	s_waitcnt vmcnt(0)
	v_add_u32_e32 v2, s13, v1
	v_add_u32_e32 v1, s15, v1
	v_mul_lo_u32 v41, v2, s12
	v_mul_lo_u32 v42, v1, s14
	v_cmp_gt_u32_e32 vcc, v42, v41
	s_and_b64 exec, exec, vcc
	s_cbranch_execz .LBB717_6
; %bb.2:
	s_load_dwordx4 s[52:55], s[4:5], 0x20
	s_load_dword s6, s[4:5], 0x30
	s_load_dwordx8 s[44:51], s[4:5], 0x0
	s_load_dwordx2 s[56:57], s[4:5], 0x50
	s_mov_b32 s42, s8
	s_mov_b32 s33, s9
	s_waitcnt lgkmcnt(0)
	s_bitcmp0_b32 s6, 0
	s_mov_b64 s[6:7], -1
	s_cbranch_scc0 .LBB717_4
; %bb.3:
	s_add_u32 s8, s4, 0x58
	s_addc_u32 s9, s5, 0
	s_mov_b32 s12, s42
	s_mov_b32 s13, s33
	v_mov_b32_e32 v31, v0
	v_mov_b32_e32 v43, v0
	;; [unrolled: 1-line block ×14, first 2 shown]
	s_getpc_b64 s[6:7]
	s_add_u32 s6, s6, _ZN7rocprim17ROCPRIM_400000_NS6detail26segmented_warp_sort_helperINS1_20WarpSortHelperConfigILj16ELj8ELj256EEEllLi256ELb1EvE4sortIPKlPlS8_S9_EEvT_T0_T1_T2_jjjjRNS5_12storage_typeE@rel32@lo+4
	s_addc_u32 s7, s7, _ZN7rocprim17ROCPRIM_400000_NS6detail26segmented_warp_sort_helperINS1_20WarpSortHelperConfigILj16ELj8ELj256EEEllLi256ELb1EvE4sortIPKlPlS8_S9_EEvT_T0_T1_T2_jjjjRNS5_12storage_typeE@rel32@hi+12
	s_mov_b64 s[46:47], s[4:5]
	s_swappc_b64 s[30:31], s[6:7]
	v_mov_b32_e32 v0, v43
	s_mov_b64 s[4:5], s[46:47]
	s_mov_b64 s[6:7], 0
.LBB717_4:
	s_andn2_b64 vcc, exec, s[6:7]
	s_cbranch_vccnz .LBB717_6
; %bb.5:
	s_add_u32 s8, s4, 0x58
	s_addc_u32 s9, s5, 0
	s_mov_b32 s12, s42
	s_mov_b32 s13, s33
	v_mov_b32_e32 v31, v0
	v_mov_b32_e32 v0, s44
	;; [unrolled: 1-line block ×13, first 2 shown]
	s_getpc_b64 s[4:5]
	s_add_u32 s4, s4, _ZN7rocprim17ROCPRIM_400000_NS6detail26segmented_warp_sort_helperINS1_20WarpSortHelperConfigILj16ELj8ELj256EEEllLi256ELb1EvE4sortIPKlPlS8_S9_EEvT_T0_T1_T2_jjjjRNS5_12storage_typeE@rel32@lo+4
	s_addc_u32 s5, s5, _ZN7rocprim17ROCPRIM_400000_NS6detail26segmented_warp_sort_helperINS1_20WarpSortHelperConfigILj16ELj8ELj256EEEllLi256ELb1EvE4sortIPKlPlS8_S9_EEvT_T0_T1_T2_jjjjRNS5_12storage_typeE@rel32@hi+12
	s_swappc_b64 s[30:31], s[4:5]
.LBB717_6:
	s_endpgm
	.section	.rodata,"a",@progbits
	.p2align	6, 0x0
	.amdhsa_kernel _ZN7rocprim17ROCPRIM_400000_NS6detail17trampoline_kernelINS0_14default_configENS1_36segmented_radix_sort_config_selectorIllEEZNS1_25segmented_radix_sort_implIS3_Lb1EPKlPlS8_S9_N2at6native12_GLOBAL__N_18offset_tEEE10hipError_tPvRmT1_PNSt15iterator_traitsISH_E10value_typeET2_T3_PNSI_ISN_E10value_typeET4_jRbjT5_ST_jjP12ihipStream_tbEUlT_E0_NS1_11comp_targetILNS1_3genE4ELNS1_11target_archE910ELNS1_3gpuE8ELNS1_3repE0EEENS1_60segmented_radix_sort_warp_sort_medium_config_static_selectorELNS0_4arch9wavefront6targetE1EEEvSH_
		.amdhsa_group_segment_fixed_size 32768
		.amdhsa_private_segment_fixed_size 8
		.amdhsa_kernarg_size 344
		.amdhsa_user_sgpr_count 8
		.amdhsa_user_sgpr_private_segment_buffer 1
		.amdhsa_user_sgpr_dispatch_ptr 0
		.amdhsa_user_sgpr_queue_ptr 0
		.amdhsa_user_sgpr_kernarg_segment_ptr 1
		.amdhsa_user_sgpr_dispatch_id 0
		.amdhsa_user_sgpr_flat_scratch_init 1
		.amdhsa_user_sgpr_kernarg_preload_length 0
		.amdhsa_user_sgpr_kernarg_preload_offset 0
		.amdhsa_user_sgpr_private_segment_size 0
		.amdhsa_uses_dynamic_stack 0
		.amdhsa_system_sgpr_private_segment_wavefront_offset 1
		.amdhsa_system_sgpr_workgroup_id_x 1
		.amdhsa_system_sgpr_workgroup_id_y 1
		.amdhsa_system_sgpr_workgroup_id_z 0
		.amdhsa_system_sgpr_workgroup_info 0
		.amdhsa_system_vgpr_workitem_id 2
		.amdhsa_next_free_vgpr 85
		.amdhsa_next_free_sgpr 58
		.amdhsa_accum_offset 88
		.amdhsa_reserve_vcc 1
		.amdhsa_reserve_flat_scratch 1
		.amdhsa_float_round_mode_32 0
		.amdhsa_float_round_mode_16_64 0
		.amdhsa_float_denorm_mode_32 3
		.amdhsa_float_denorm_mode_16_64 3
		.amdhsa_dx10_clamp 1
		.amdhsa_ieee_mode 1
		.amdhsa_fp16_overflow 0
		.amdhsa_tg_split 0
		.amdhsa_exception_fp_ieee_invalid_op 0
		.amdhsa_exception_fp_denorm_src 0
		.amdhsa_exception_fp_ieee_div_zero 0
		.amdhsa_exception_fp_ieee_overflow 0
		.amdhsa_exception_fp_ieee_underflow 0
		.amdhsa_exception_fp_ieee_inexact 0
		.amdhsa_exception_int_div_zero 0
	.end_amdhsa_kernel
	.section	.text._ZN7rocprim17ROCPRIM_400000_NS6detail17trampoline_kernelINS0_14default_configENS1_36segmented_radix_sort_config_selectorIllEEZNS1_25segmented_radix_sort_implIS3_Lb1EPKlPlS8_S9_N2at6native12_GLOBAL__N_18offset_tEEE10hipError_tPvRmT1_PNSt15iterator_traitsISH_E10value_typeET2_T3_PNSI_ISN_E10value_typeET4_jRbjT5_ST_jjP12ihipStream_tbEUlT_E0_NS1_11comp_targetILNS1_3genE4ELNS1_11target_archE910ELNS1_3gpuE8ELNS1_3repE0EEENS1_60segmented_radix_sort_warp_sort_medium_config_static_selectorELNS0_4arch9wavefront6targetE1EEEvSH_,"axG",@progbits,_ZN7rocprim17ROCPRIM_400000_NS6detail17trampoline_kernelINS0_14default_configENS1_36segmented_radix_sort_config_selectorIllEEZNS1_25segmented_radix_sort_implIS3_Lb1EPKlPlS8_S9_N2at6native12_GLOBAL__N_18offset_tEEE10hipError_tPvRmT1_PNSt15iterator_traitsISH_E10value_typeET2_T3_PNSI_ISN_E10value_typeET4_jRbjT5_ST_jjP12ihipStream_tbEUlT_E0_NS1_11comp_targetILNS1_3genE4ELNS1_11target_archE910ELNS1_3gpuE8ELNS1_3repE0EEENS1_60segmented_radix_sort_warp_sort_medium_config_static_selectorELNS0_4arch9wavefront6targetE1EEEvSH_,comdat
.Lfunc_end717:
	.size	_ZN7rocprim17ROCPRIM_400000_NS6detail17trampoline_kernelINS0_14default_configENS1_36segmented_radix_sort_config_selectorIllEEZNS1_25segmented_radix_sort_implIS3_Lb1EPKlPlS8_S9_N2at6native12_GLOBAL__N_18offset_tEEE10hipError_tPvRmT1_PNSt15iterator_traitsISH_E10value_typeET2_T3_PNSI_ISN_E10value_typeET4_jRbjT5_ST_jjP12ihipStream_tbEUlT_E0_NS1_11comp_targetILNS1_3genE4ELNS1_11target_archE910ELNS1_3gpuE8ELNS1_3repE0EEENS1_60segmented_radix_sort_warp_sort_medium_config_static_selectorELNS0_4arch9wavefront6targetE1EEEvSH_, .Lfunc_end717-_ZN7rocprim17ROCPRIM_400000_NS6detail17trampoline_kernelINS0_14default_configENS1_36segmented_radix_sort_config_selectorIllEEZNS1_25segmented_radix_sort_implIS3_Lb1EPKlPlS8_S9_N2at6native12_GLOBAL__N_18offset_tEEE10hipError_tPvRmT1_PNSt15iterator_traitsISH_E10value_typeET2_T3_PNSI_ISN_E10value_typeET4_jRbjT5_ST_jjP12ihipStream_tbEUlT_E0_NS1_11comp_targetILNS1_3genE4ELNS1_11target_archE910ELNS1_3gpuE8ELNS1_3repE0EEENS1_60segmented_radix_sort_warp_sort_medium_config_static_selectorELNS0_4arch9wavefront6targetE1EEEvSH_
                                        ; -- End function
	.section	.AMDGPU.csdata,"",@progbits
; Kernel info:
; codeLenInByte = 488
; NumSgprs: 64
; NumVgprs: 85
; NumAgprs: 0
; TotalNumVgprs: 85
; ScratchSize: 8
; MemoryBound: 0
; FloatMode: 240
; IeeeMode: 1
; LDSByteSize: 32768 bytes/workgroup (compile time only)
; SGPRBlocks: 7
; VGPRBlocks: 10
; NumSGPRsForWavesPerEU: 64
; NumVGPRsForWavesPerEU: 85
; AccumOffset: 88
; Occupancy: 2
; WaveLimiterHint : 0
; COMPUTE_PGM_RSRC2:SCRATCH_EN: 1
; COMPUTE_PGM_RSRC2:USER_SGPR: 8
; COMPUTE_PGM_RSRC2:TRAP_HANDLER: 0
; COMPUTE_PGM_RSRC2:TGID_X_EN: 1
; COMPUTE_PGM_RSRC2:TGID_Y_EN: 1
; COMPUTE_PGM_RSRC2:TGID_Z_EN: 0
; COMPUTE_PGM_RSRC2:TIDIG_COMP_CNT: 2
; COMPUTE_PGM_RSRC3_GFX90A:ACCUM_OFFSET: 21
; COMPUTE_PGM_RSRC3_GFX90A:TG_SPLIT: 0
	.section	.text._ZN7rocprim17ROCPRIM_400000_NS6detail17trampoline_kernelINS0_14default_configENS1_36segmented_radix_sort_config_selectorIllEEZNS1_25segmented_radix_sort_implIS3_Lb1EPKlPlS8_S9_N2at6native12_GLOBAL__N_18offset_tEEE10hipError_tPvRmT1_PNSt15iterator_traitsISH_E10value_typeET2_T3_PNSI_ISN_E10value_typeET4_jRbjT5_ST_jjP12ihipStream_tbEUlT_E0_NS1_11comp_targetILNS1_3genE3ELNS1_11target_archE908ELNS1_3gpuE7ELNS1_3repE0EEENS1_60segmented_radix_sort_warp_sort_medium_config_static_selectorELNS0_4arch9wavefront6targetE1EEEvSH_,"axG",@progbits,_ZN7rocprim17ROCPRIM_400000_NS6detail17trampoline_kernelINS0_14default_configENS1_36segmented_radix_sort_config_selectorIllEEZNS1_25segmented_radix_sort_implIS3_Lb1EPKlPlS8_S9_N2at6native12_GLOBAL__N_18offset_tEEE10hipError_tPvRmT1_PNSt15iterator_traitsISH_E10value_typeET2_T3_PNSI_ISN_E10value_typeET4_jRbjT5_ST_jjP12ihipStream_tbEUlT_E0_NS1_11comp_targetILNS1_3genE3ELNS1_11target_archE908ELNS1_3gpuE7ELNS1_3repE0EEENS1_60segmented_radix_sort_warp_sort_medium_config_static_selectorELNS0_4arch9wavefront6targetE1EEEvSH_,comdat
	.globl	_ZN7rocprim17ROCPRIM_400000_NS6detail17trampoline_kernelINS0_14default_configENS1_36segmented_radix_sort_config_selectorIllEEZNS1_25segmented_radix_sort_implIS3_Lb1EPKlPlS8_S9_N2at6native12_GLOBAL__N_18offset_tEEE10hipError_tPvRmT1_PNSt15iterator_traitsISH_E10value_typeET2_T3_PNSI_ISN_E10value_typeET4_jRbjT5_ST_jjP12ihipStream_tbEUlT_E0_NS1_11comp_targetILNS1_3genE3ELNS1_11target_archE908ELNS1_3gpuE7ELNS1_3repE0EEENS1_60segmented_radix_sort_warp_sort_medium_config_static_selectorELNS0_4arch9wavefront6targetE1EEEvSH_ ; -- Begin function _ZN7rocprim17ROCPRIM_400000_NS6detail17trampoline_kernelINS0_14default_configENS1_36segmented_radix_sort_config_selectorIllEEZNS1_25segmented_radix_sort_implIS3_Lb1EPKlPlS8_S9_N2at6native12_GLOBAL__N_18offset_tEEE10hipError_tPvRmT1_PNSt15iterator_traitsISH_E10value_typeET2_T3_PNSI_ISN_E10value_typeET4_jRbjT5_ST_jjP12ihipStream_tbEUlT_E0_NS1_11comp_targetILNS1_3genE3ELNS1_11target_archE908ELNS1_3gpuE7ELNS1_3repE0EEENS1_60segmented_radix_sort_warp_sort_medium_config_static_selectorELNS0_4arch9wavefront6targetE1EEEvSH_
	.p2align	8
	.type	_ZN7rocprim17ROCPRIM_400000_NS6detail17trampoline_kernelINS0_14default_configENS1_36segmented_radix_sort_config_selectorIllEEZNS1_25segmented_radix_sort_implIS3_Lb1EPKlPlS8_S9_N2at6native12_GLOBAL__N_18offset_tEEE10hipError_tPvRmT1_PNSt15iterator_traitsISH_E10value_typeET2_T3_PNSI_ISN_E10value_typeET4_jRbjT5_ST_jjP12ihipStream_tbEUlT_E0_NS1_11comp_targetILNS1_3genE3ELNS1_11target_archE908ELNS1_3gpuE7ELNS1_3repE0EEENS1_60segmented_radix_sort_warp_sort_medium_config_static_selectorELNS0_4arch9wavefront6targetE1EEEvSH_,@function
_ZN7rocprim17ROCPRIM_400000_NS6detail17trampoline_kernelINS0_14default_configENS1_36segmented_radix_sort_config_selectorIllEEZNS1_25segmented_radix_sort_implIS3_Lb1EPKlPlS8_S9_N2at6native12_GLOBAL__N_18offset_tEEE10hipError_tPvRmT1_PNSt15iterator_traitsISH_E10value_typeET2_T3_PNSI_ISN_E10value_typeET4_jRbjT5_ST_jjP12ihipStream_tbEUlT_E0_NS1_11comp_targetILNS1_3genE3ELNS1_11target_archE908ELNS1_3gpuE7ELNS1_3repE0EEENS1_60segmented_radix_sort_warp_sort_medium_config_static_selectorELNS0_4arch9wavefront6targetE1EEEvSH_: ; @_ZN7rocprim17ROCPRIM_400000_NS6detail17trampoline_kernelINS0_14default_configENS1_36segmented_radix_sort_config_selectorIllEEZNS1_25segmented_radix_sort_implIS3_Lb1EPKlPlS8_S9_N2at6native12_GLOBAL__N_18offset_tEEE10hipError_tPvRmT1_PNSt15iterator_traitsISH_E10value_typeET2_T3_PNSI_ISN_E10value_typeET4_jRbjT5_ST_jjP12ihipStream_tbEUlT_E0_NS1_11comp_targetILNS1_3genE3ELNS1_11target_archE908ELNS1_3gpuE7ELNS1_3repE0EEENS1_60segmented_radix_sort_warp_sort_medium_config_static_selectorELNS0_4arch9wavefront6targetE1EEEvSH_
; %bb.0:
	.section	.rodata,"a",@progbits
	.p2align	6, 0x0
	.amdhsa_kernel _ZN7rocprim17ROCPRIM_400000_NS6detail17trampoline_kernelINS0_14default_configENS1_36segmented_radix_sort_config_selectorIllEEZNS1_25segmented_radix_sort_implIS3_Lb1EPKlPlS8_S9_N2at6native12_GLOBAL__N_18offset_tEEE10hipError_tPvRmT1_PNSt15iterator_traitsISH_E10value_typeET2_T3_PNSI_ISN_E10value_typeET4_jRbjT5_ST_jjP12ihipStream_tbEUlT_E0_NS1_11comp_targetILNS1_3genE3ELNS1_11target_archE908ELNS1_3gpuE7ELNS1_3repE0EEENS1_60segmented_radix_sort_warp_sort_medium_config_static_selectorELNS0_4arch9wavefront6targetE1EEEvSH_
		.amdhsa_group_segment_fixed_size 0
		.amdhsa_private_segment_fixed_size 0
		.amdhsa_kernarg_size 88
		.amdhsa_user_sgpr_count 6
		.amdhsa_user_sgpr_private_segment_buffer 1
		.amdhsa_user_sgpr_dispatch_ptr 0
		.amdhsa_user_sgpr_queue_ptr 0
		.amdhsa_user_sgpr_kernarg_segment_ptr 1
		.amdhsa_user_sgpr_dispatch_id 0
		.amdhsa_user_sgpr_flat_scratch_init 0
		.amdhsa_user_sgpr_kernarg_preload_length 0
		.amdhsa_user_sgpr_kernarg_preload_offset 0
		.amdhsa_user_sgpr_private_segment_size 0
		.amdhsa_uses_dynamic_stack 0
		.amdhsa_system_sgpr_private_segment_wavefront_offset 0
		.amdhsa_system_sgpr_workgroup_id_x 1
		.amdhsa_system_sgpr_workgroup_id_y 0
		.amdhsa_system_sgpr_workgroup_id_z 0
		.amdhsa_system_sgpr_workgroup_info 0
		.amdhsa_system_vgpr_workitem_id 0
		.amdhsa_next_free_vgpr 1
		.amdhsa_next_free_sgpr 0
		.amdhsa_accum_offset 4
		.amdhsa_reserve_vcc 0
		.amdhsa_reserve_flat_scratch 0
		.amdhsa_float_round_mode_32 0
		.amdhsa_float_round_mode_16_64 0
		.amdhsa_float_denorm_mode_32 3
		.amdhsa_float_denorm_mode_16_64 3
		.amdhsa_dx10_clamp 1
		.amdhsa_ieee_mode 1
		.amdhsa_fp16_overflow 0
		.amdhsa_tg_split 0
		.amdhsa_exception_fp_ieee_invalid_op 0
		.amdhsa_exception_fp_denorm_src 0
		.amdhsa_exception_fp_ieee_div_zero 0
		.amdhsa_exception_fp_ieee_overflow 0
		.amdhsa_exception_fp_ieee_underflow 0
		.amdhsa_exception_fp_ieee_inexact 0
		.amdhsa_exception_int_div_zero 0
	.end_amdhsa_kernel
	.section	.text._ZN7rocprim17ROCPRIM_400000_NS6detail17trampoline_kernelINS0_14default_configENS1_36segmented_radix_sort_config_selectorIllEEZNS1_25segmented_radix_sort_implIS3_Lb1EPKlPlS8_S9_N2at6native12_GLOBAL__N_18offset_tEEE10hipError_tPvRmT1_PNSt15iterator_traitsISH_E10value_typeET2_T3_PNSI_ISN_E10value_typeET4_jRbjT5_ST_jjP12ihipStream_tbEUlT_E0_NS1_11comp_targetILNS1_3genE3ELNS1_11target_archE908ELNS1_3gpuE7ELNS1_3repE0EEENS1_60segmented_radix_sort_warp_sort_medium_config_static_selectorELNS0_4arch9wavefront6targetE1EEEvSH_,"axG",@progbits,_ZN7rocprim17ROCPRIM_400000_NS6detail17trampoline_kernelINS0_14default_configENS1_36segmented_radix_sort_config_selectorIllEEZNS1_25segmented_radix_sort_implIS3_Lb1EPKlPlS8_S9_N2at6native12_GLOBAL__N_18offset_tEEE10hipError_tPvRmT1_PNSt15iterator_traitsISH_E10value_typeET2_T3_PNSI_ISN_E10value_typeET4_jRbjT5_ST_jjP12ihipStream_tbEUlT_E0_NS1_11comp_targetILNS1_3genE3ELNS1_11target_archE908ELNS1_3gpuE7ELNS1_3repE0EEENS1_60segmented_radix_sort_warp_sort_medium_config_static_selectorELNS0_4arch9wavefront6targetE1EEEvSH_,comdat
.Lfunc_end718:
	.size	_ZN7rocprim17ROCPRIM_400000_NS6detail17trampoline_kernelINS0_14default_configENS1_36segmented_radix_sort_config_selectorIllEEZNS1_25segmented_radix_sort_implIS3_Lb1EPKlPlS8_S9_N2at6native12_GLOBAL__N_18offset_tEEE10hipError_tPvRmT1_PNSt15iterator_traitsISH_E10value_typeET2_T3_PNSI_ISN_E10value_typeET4_jRbjT5_ST_jjP12ihipStream_tbEUlT_E0_NS1_11comp_targetILNS1_3genE3ELNS1_11target_archE908ELNS1_3gpuE7ELNS1_3repE0EEENS1_60segmented_radix_sort_warp_sort_medium_config_static_selectorELNS0_4arch9wavefront6targetE1EEEvSH_, .Lfunc_end718-_ZN7rocprim17ROCPRIM_400000_NS6detail17trampoline_kernelINS0_14default_configENS1_36segmented_radix_sort_config_selectorIllEEZNS1_25segmented_radix_sort_implIS3_Lb1EPKlPlS8_S9_N2at6native12_GLOBAL__N_18offset_tEEE10hipError_tPvRmT1_PNSt15iterator_traitsISH_E10value_typeET2_T3_PNSI_ISN_E10value_typeET4_jRbjT5_ST_jjP12ihipStream_tbEUlT_E0_NS1_11comp_targetILNS1_3genE3ELNS1_11target_archE908ELNS1_3gpuE7ELNS1_3repE0EEENS1_60segmented_radix_sort_warp_sort_medium_config_static_selectorELNS0_4arch9wavefront6targetE1EEEvSH_
                                        ; -- End function
	.section	.AMDGPU.csdata,"",@progbits
; Kernel info:
; codeLenInByte = 0
; NumSgprs: 4
; NumVgprs: 0
; NumAgprs: 0
; TotalNumVgprs: 0
; ScratchSize: 0
; MemoryBound: 0
; FloatMode: 240
; IeeeMode: 1
; LDSByteSize: 0 bytes/workgroup (compile time only)
; SGPRBlocks: 0
; VGPRBlocks: 0
; NumSGPRsForWavesPerEU: 4
; NumVGPRsForWavesPerEU: 1
; AccumOffset: 4
; Occupancy: 8
; WaveLimiterHint : 0
; COMPUTE_PGM_RSRC2:SCRATCH_EN: 0
; COMPUTE_PGM_RSRC2:USER_SGPR: 6
; COMPUTE_PGM_RSRC2:TRAP_HANDLER: 0
; COMPUTE_PGM_RSRC2:TGID_X_EN: 1
; COMPUTE_PGM_RSRC2:TGID_Y_EN: 0
; COMPUTE_PGM_RSRC2:TGID_Z_EN: 0
; COMPUTE_PGM_RSRC2:TIDIG_COMP_CNT: 0
; COMPUTE_PGM_RSRC3_GFX90A:ACCUM_OFFSET: 0
; COMPUTE_PGM_RSRC3_GFX90A:TG_SPLIT: 0
	.section	.text._ZN7rocprim17ROCPRIM_400000_NS6detail17trampoline_kernelINS0_14default_configENS1_36segmented_radix_sort_config_selectorIllEEZNS1_25segmented_radix_sort_implIS3_Lb1EPKlPlS8_S9_N2at6native12_GLOBAL__N_18offset_tEEE10hipError_tPvRmT1_PNSt15iterator_traitsISH_E10value_typeET2_T3_PNSI_ISN_E10value_typeET4_jRbjT5_ST_jjP12ihipStream_tbEUlT_E0_NS1_11comp_targetILNS1_3genE2ELNS1_11target_archE906ELNS1_3gpuE6ELNS1_3repE0EEENS1_60segmented_radix_sort_warp_sort_medium_config_static_selectorELNS0_4arch9wavefront6targetE1EEEvSH_,"axG",@progbits,_ZN7rocprim17ROCPRIM_400000_NS6detail17trampoline_kernelINS0_14default_configENS1_36segmented_radix_sort_config_selectorIllEEZNS1_25segmented_radix_sort_implIS3_Lb1EPKlPlS8_S9_N2at6native12_GLOBAL__N_18offset_tEEE10hipError_tPvRmT1_PNSt15iterator_traitsISH_E10value_typeET2_T3_PNSI_ISN_E10value_typeET4_jRbjT5_ST_jjP12ihipStream_tbEUlT_E0_NS1_11comp_targetILNS1_3genE2ELNS1_11target_archE906ELNS1_3gpuE6ELNS1_3repE0EEENS1_60segmented_radix_sort_warp_sort_medium_config_static_selectorELNS0_4arch9wavefront6targetE1EEEvSH_,comdat
	.globl	_ZN7rocprim17ROCPRIM_400000_NS6detail17trampoline_kernelINS0_14default_configENS1_36segmented_radix_sort_config_selectorIllEEZNS1_25segmented_radix_sort_implIS3_Lb1EPKlPlS8_S9_N2at6native12_GLOBAL__N_18offset_tEEE10hipError_tPvRmT1_PNSt15iterator_traitsISH_E10value_typeET2_T3_PNSI_ISN_E10value_typeET4_jRbjT5_ST_jjP12ihipStream_tbEUlT_E0_NS1_11comp_targetILNS1_3genE2ELNS1_11target_archE906ELNS1_3gpuE6ELNS1_3repE0EEENS1_60segmented_radix_sort_warp_sort_medium_config_static_selectorELNS0_4arch9wavefront6targetE1EEEvSH_ ; -- Begin function _ZN7rocprim17ROCPRIM_400000_NS6detail17trampoline_kernelINS0_14default_configENS1_36segmented_radix_sort_config_selectorIllEEZNS1_25segmented_radix_sort_implIS3_Lb1EPKlPlS8_S9_N2at6native12_GLOBAL__N_18offset_tEEE10hipError_tPvRmT1_PNSt15iterator_traitsISH_E10value_typeET2_T3_PNSI_ISN_E10value_typeET4_jRbjT5_ST_jjP12ihipStream_tbEUlT_E0_NS1_11comp_targetILNS1_3genE2ELNS1_11target_archE906ELNS1_3gpuE6ELNS1_3repE0EEENS1_60segmented_radix_sort_warp_sort_medium_config_static_selectorELNS0_4arch9wavefront6targetE1EEEvSH_
	.p2align	8
	.type	_ZN7rocprim17ROCPRIM_400000_NS6detail17trampoline_kernelINS0_14default_configENS1_36segmented_radix_sort_config_selectorIllEEZNS1_25segmented_radix_sort_implIS3_Lb1EPKlPlS8_S9_N2at6native12_GLOBAL__N_18offset_tEEE10hipError_tPvRmT1_PNSt15iterator_traitsISH_E10value_typeET2_T3_PNSI_ISN_E10value_typeET4_jRbjT5_ST_jjP12ihipStream_tbEUlT_E0_NS1_11comp_targetILNS1_3genE2ELNS1_11target_archE906ELNS1_3gpuE6ELNS1_3repE0EEENS1_60segmented_radix_sort_warp_sort_medium_config_static_selectorELNS0_4arch9wavefront6targetE1EEEvSH_,@function
_ZN7rocprim17ROCPRIM_400000_NS6detail17trampoline_kernelINS0_14default_configENS1_36segmented_radix_sort_config_selectorIllEEZNS1_25segmented_radix_sort_implIS3_Lb1EPKlPlS8_S9_N2at6native12_GLOBAL__N_18offset_tEEE10hipError_tPvRmT1_PNSt15iterator_traitsISH_E10value_typeET2_T3_PNSI_ISN_E10value_typeET4_jRbjT5_ST_jjP12ihipStream_tbEUlT_E0_NS1_11comp_targetILNS1_3genE2ELNS1_11target_archE906ELNS1_3gpuE6ELNS1_3repE0EEENS1_60segmented_radix_sort_warp_sort_medium_config_static_selectorELNS0_4arch9wavefront6targetE1EEEvSH_: ; @_ZN7rocprim17ROCPRIM_400000_NS6detail17trampoline_kernelINS0_14default_configENS1_36segmented_radix_sort_config_selectorIllEEZNS1_25segmented_radix_sort_implIS3_Lb1EPKlPlS8_S9_N2at6native12_GLOBAL__N_18offset_tEEE10hipError_tPvRmT1_PNSt15iterator_traitsISH_E10value_typeET2_T3_PNSI_ISN_E10value_typeET4_jRbjT5_ST_jjP12ihipStream_tbEUlT_E0_NS1_11comp_targetILNS1_3genE2ELNS1_11target_archE906ELNS1_3gpuE6ELNS1_3repE0EEENS1_60segmented_radix_sort_warp_sort_medium_config_static_selectorELNS0_4arch9wavefront6targetE1EEEvSH_
; %bb.0:
	.section	.rodata,"a",@progbits
	.p2align	6, 0x0
	.amdhsa_kernel _ZN7rocprim17ROCPRIM_400000_NS6detail17trampoline_kernelINS0_14default_configENS1_36segmented_radix_sort_config_selectorIllEEZNS1_25segmented_radix_sort_implIS3_Lb1EPKlPlS8_S9_N2at6native12_GLOBAL__N_18offset_tEEE10hipError_tPvRmT1_PNSt15iterator_traitsISH_E10value_typeET2_T3_PNSI_ISN_E10value_typeET4_jRbjT5_ST_jjP12ihipStream_tbEUlT_E0_NS1_11comp_targetILNS1_3genE2ELNS1_11target_archE906ELNS1_3gpuE6ELNS1_3repE0EEENS1_60segmented_radix_sort_warp_sort_medium_config_static_selectorELNS0_4arch9wavefront6targetE1EEEvSH_
		.amdhsa_group_segment_fixed_size 0
		.amdhsa_private_segment_fixed_size 0
		.amdhsa_kernarg_size 88
		.amdhsa_user_sgpr_count 6
		.amdhsa_user_sgpr_private_segment_buffer 1
		.amdhsa_user_sgpr_dispatch_ptr 0
		.amdhsa_user_sgpr_queue_ptr 0
		.amdhsa_user_sgpr_kernarg_segment_ptr 1
		.amdhsa_user_sgpr_dispatch_id 0
		.amdhsa_user_sgpr_flat_scratch_init 0
		.amdhsa_user_sgpr_kernarg_preload_length 0
		.amdhsa_user_sgpr_kernarg_preload_offset 0
		.amdhsa_user_sgpr_private_segment_size 0
		.amdhsa_uses_dynamic_stack 0
		.amdhsa_system_sgpr_private_segment_wavefront_offset 0
		.amdhsa_system_sgpr_workgroup_id_x 1
		.amdhsa_system_sgpr_workgroup_id_y 0
		.amdhsa_system_sgpr_workgroup_id_z 0
		.amdhsa_system_sgpr_workgroup_info 0
		.amdhsa_system_vgpr_workitem_id 0
		.amdhsa_next_free_vgpr 1
		.amdhsa_next_free_sgpr 0
		.amdhsa_accum_offset 4
		.amdhsa_reserve_vcc 0
		.amdhsa_reserve_flat_scratch 0
		.amdhsa_float_round_mode_32 0
		.amdhsa_float_round_mode_16_64 0
		.amdhsa_float_denorm_mode_32 3
		.amdhsa_float_denorm_mode_16_64 3
		.amdhsa_dx10_clamp 1
		.amdhsa_ieee_mode 1
		.amdhsa_fp16_overflow 0
		.amdhsa_tg_split 0
		.amdhsa_exception_fp_ieee_invalid_op 0
		.amdhsa_exception_fp_denorm_src 0
		.amdhsa_exception_fp_ieee_div_zero 0
		.amdhsa_exception_fp_ieee_overflow 0
		.amdhsa_exception_fp_ieee_underflow 0
		.amdhsa_exception_fp_ieee_inexact 0
		.amdhsa_exception_int_div_zero 0
	.end_amdhsa_kernel
	.section	.text._ZN7rocprim17ROCPRIM_400000_NS6detail17trampoline_kernelINS0_14default_configENS1_36segmented_radix_sort_config_selectorIllEEZNS1_25segmented_radix_sort_implIS3_Lb1EPKlPlS8_S9_N2at6native12_GLOBAL__N_18offset_tEEE10hipError_tPvRmT1_PNSt15iterator_traitsISH_E10value_typeET2_T3_PNSI_ISN_E10value_typeET4_jRbjT5_ST_jjP12ihipStream_tbEUlT_E0_NS1_11comp_targetILNS1_3genE2ELNS1_11target_archE906ELNS1_3gpuE6ELNS1_3repE0EEENS1_60segmented_radix_sort_warp_sort_medium_config_static_selectorELNS0_4arch9wavefront6targetE1EEEvSH_,"axG",@progbits,_ZN7rocprim17ROCPRIM_400000_NS6detail17trampoline_kernelINS0_14default_configENS1_36segmented_radix_sort_config_selectorIllEEZNS1_25segmented_radix_sort_implIS3_Lb1EPKlPlS8_S9_N2at6native12_GLOBAL__N_18offset_tEEE10hipError_tPvRmT1_PNSt15iterator_traitsISH_E10value_typeET2_T3_PNSI_ISN_E10value_typeET4_jRbjT5_ST_jjP12ihipStream_tbEUlT_E0_NS1_11comp_targetILNS1_3genE2ELNS1_11target_archE906ELNS1_3gpuE6ELNS1_3repE0EEENS1_60segmented_radix_sort_warp_sort_medium_config_static_selectorELNS0_4arch9wavefront6targetE1EEEvSH_,comdat
.Lfunc_end719:
	.size	_ZN7rocprim17ROCPRIM_400000_NS6detail17trampoline_kernelINS0_14default_configENS1_36segmented_radix_sort_config_selectorIllEEZNS1_25segmented_radix_sort_implIS3_Lb1EPKlPlS8_S9_N2at6native12_GLOBAL__N_18offset_tEEE10hipError_tPvRmT1_PNSt15iterator_traitsISH_E10value_typeET2_T3_PNSI_ISN_E10value_typeET4_jRbjT5_ST_jjP12ihipStream_tbEUlT_E0_NS1_11comp_targetILNS1_3genE2ELNS1_11target_archE906ELNS1_3gpuE6ELNS1_3repE0EEENS1_60segmented_radix_sort_warp_sort_medium_config_static_selectorELNS0_4arch9wavefront6targetE1EEEvSH_, .Lfunc_end719-_ZN7rocprim17ROCPRIM_400000_NS6detail17trampoline_kernelINS0_14default_configENS1_36segmented_radix_sort_config_selectorIllEEZNS1_25segmented_radix_sort_implIS3_Lb1EPKlPlS8_S9_N2at6native12_GLOBAL__N_18offset_tEEE10hipError_tPvRmT1_PNSt15iterator_traitsISH_E10value_typeET2_T3_PNSI_ISN_E10value_typeET4_jRbjT5_ST_jjP12ihipStream_tbEUlT_E0_NS1_11comp_targetILNS1_3genE2ELNS1_11target_archE906ELNS1_3gpuE6ELNS1_3repE0EEENS1_60segmented_radix_sort_warp_sort_medium_config_static_selectorELNS0_4arch9wavefront6targetE1EEEvSH_
                                        ; -- End function
	.section	.AMDGPU.csdata,"",@progbits
; Kernel info:
; codeLenInByte = 0
; NumSgprs: 4
; NumVgprs: 0
; NumAgprs: 0
; TotalNumVgprs: 0
; ScratchSize: 0
; MemoryBound: 0
; FloatMode: 240
; IeeeMode: 1
; LDSByteSize: 0 bytes/workgroup (compile time only)
; SGPRBlocks: 0
; VGPRBlocks: 0
; NumSGPRsForWavesPerEU: 4
; NumVGPRsForWavesPerEU: 1
; AccumOffset: 4
; Occupancy: 8
; WaveLimiterHint : 0
; COMPUTE_PGM_RSRC2:SCRATCH_EN: 0
; COMPUTE_PGM_RSRC2:USER_SGPR: 6
; COMPUTE_PGM_RSRC2:TRAP_HANDLER: 0
; COMPUTE_PGM_RSRC2:TGID_X_EN: 1
; COMPUTE_PGM_RSRC2:TGID_Y_EN: 0
; COMPUTE_PGM_RSRC2:TGID_Z_EN: 0
; COMPUTE_PGM_RSRC2:TIDIG_COMP_CNT: 0
; COMPUTE_PGM_RSRC3_GFX90A:ACCUM_OFFSET: 0
; COMPUTE_PGM_RSRC3_GFX90A:TG_SPLIT: 0
	.section	.text._ZN7rocprim17ROCPRIM_400000_NS6detail17trampoline_kernelINS0_14default_configENS1_36segmented_radix_sort_config_selectorIllEEZNS1_25segmented_radix_sort_implIS3_Lb1EPKlPlS8_S9_N2at6native12_GLOBAL__N_18offset_tEEE10hipError_tPvRmT1_PNSt15iterator_traitsISH_E10value_typeET2_T3_PNSI_ISN_E10value_typeET4_jRbjT5_ST_jjP12ihipStream_tbEUlT_E0_NS1_11comp_targetILNS1_3genE10ELNS1_11target_archE1201ELNS1_3gpuE5ELNS1_3repE0EEENS1_60segmented_radix_sort_warp_sort_medium_config_static_selectorELNS0_4arch9wavefront6targetE1EEEvSH_,"axG",@progbits,_ZN7rocprim17ROCPRIM_400000_NS6detail17trampoline_kernelINS0_14default_configENS1_36segmented_radix_sort_config_selectorIllEEZNS1_25segmented_radix_sort_implIS3_Lb1EPKlPlS8_S9_N2at6native12_GLOBAL__N_18offset_tEEE10hipError_tPvRmT1_PNSt15iterator_traitsISH_E10value_typeET2_T3_PNSI_ISN_E10value_typeET4_jRbjT5_ST_jjP12ihipStream_tbEUlT_E0_NS1_11comp_targetILNS1_3genE10ELNS1_11target_archE1201ELNS1_3gpuE5ELNS1_3repE0EEENS1_60segmented_radix_sort_warp_sort_medium_config_static_selectorELNS0_4arch9wavefront6targetE1EEEvSH_,comdat
	.globl	_ZN7rocprim17ROCPRIM_400000_NS6detail17trampoline_kernelINS0_14default_configENS1_36segmented_radix_sort_config_selectorIllEEZNS1_25segmented_radix_sort_implIS3_Lb1EPKlPlS8_S9_N2at6native12_GLOBAL__N_18offset_tEEE10hipError_tPvRmT1_PNSt15iterator_traitsISH_E10value_typeET2_T3_PNSI_ISN_E10value_typeET4_jRbjT5_ST_jjP12ihipStream_tbEUlT_E0_NS1_11comp_targetILNS1_3genE10ELNS1_11target_archE1201ELNS1_3gpuE5ELNS1_3repE0EEENS1_60segmented_radix_sort_warp_sort_medium_config_static_selectorELNS0_4arch9wavefront6targetE1EEEvSH_ ; -- Begin function _ZN7rocprim17ROCPRIM_400000_NS6detail17trampoline_kernelINS0_14default_configENS1_36segmented_radix_sort_config_selectorIllEEZNS1_25segmented_radix_sort_implIS3_Lb1EPKlPlS8_S9_N2at6native12_GLOBAL__N_18offset_tEEE10hipError_tPvRmT1_PNSt15iterator_traitsISH_E10value_typeET2_T3_PNSI_ISN_E10value_typeET4_jRbjT5_ST_jjP12ihipStream_tbEUlT_E0_NS1_11comp_targetILNS1_3genE10ELNS1_11target_archE1201ELNS1_3gpuE5ELNS1_3repE0EEENS1_60segmented_radix_sort_warp_sort_medium_config_static_selectorELNS0_4arch9wavefront6targetE1EEEvSH_
	.p2align	8
	.type	_ZN7rocprim17ROCPRIM_400000_NS6detail17trampoline_kernelINS0_14default_configENS1_36segmented_radix_sort_config_selectorIllEEZNS1_25segmented_radix_sort_implIS3_Lb1EPKlPlS8_S9_N2at6native12_GLOBAL__N_18offset_tEEE10hipError_tPvRmT1_PNSt15iterator_traitsISH_E10value_typeET2_T3_PNSI_ISN_E10value_typeET4_jRbjT5_ST_jjP12ihipStream_tbEUlT_E0_NS1_11comp_targetILNS1_3genE10ELNS1_11target_archE1201ELNS1_3gpuE5ELNS1_3repE0EEENS1_60segmented_radix_sort_warp_sort_medium_config_static_selectorELNS0_4arch9wavefront6targetE1EEEvSH_,@function
_ZN7rocprim17ROCPRIM_400000_NS6detail17trampoline_kernelINS0_14default_configENS1_36segmented_radix_sort_config_selectorIllEEZNS1_25segmented_radix_sort_implIS3_Lb1EPKlPlS8_S9_N2at6native12_GLOBAL__N_18offset_tEEE10hipError_tPvRmT1_PNSt15iterator_traitsISH_E10value_typeET2_T3_PNSI_ISN_E10value_typeET4_jRbjT5_ST_jjP12ihipStream_tbEUlT_E0_NS1_11comp_targetILNS1_3genE10ELNS1_11target_archE1201ELNS1_3gpuE5ELNS1_3repE0EEENS1_60segmented_radix_sort_warp_sort_medium_config_static_selectorELNS0_4arch9wavefront6targetE1EEEvSH_: ; @_ZN7rocprim17ROCPRIM_400000_NS6detail17trampoline_kernelINS0_14default_configENS1_36segmented_radix_sort_config_selectorIllEEZNS1_25segmented_radix_sort_implIS3_Lb1EPKlPlS8_S9_N2at6native12_GLOBAL__N_18offset_tEEE10hipError_tPvRmT1_PNSt15iterator_traitsISH_E10value_typeET2_T3_PNSI_ISN_E10value_typeET4_jRbjT5_ST_jjP12ihipStream_tbEUlT_E0_NS1_11comp_targetILNS1_3genE10ELNS1_11target_archE1201ELNS1_3gpuE5ELNS1_3repE0EEENS1_60segmented_radix_sort_warp_sort_medium_config_static_selectorELNS0_4arch9wavefront6targetE1EEEvSH_
; %bb.0:
	.section	.rodata,"a",@progbits
	.p2align	6, 0x0
	.amdhsa_kernel _ZN7rocprim17ROCPRIM_400000_NS6detail17trampoline_kernelINS0_14default_configENS1_36segmented_radix_sort_config_selectorIllEEZNS1_25segmented_radix_sort_implIS3_Lb1EPKlPlS8_S9_N2at6native12_GLOBAL__N_18offset_tEEE10hipError_tPvRmT1_PNSt15iterator_traitsISH_E10value_typeET2_T3_PNSI_ISN_E10value_typeET4_jRbjT5_ST_jjP12ihipStream_tbEUlT_E0_NS1_11comp_targetILNS1_3genE10ELNS1_11target_archE1201ELNS1_3gpuE5ELNS1_3repE0EEENS1_60segmented_radix_sort_warp_sort_medium_config_static_selectorELNS0_4arch9wavefront6targetE1EEEvSH_
		.amdhsa_group_segment_fixed_size 0
		.amdhsa_private_segment_fixed_size 0
		.amdhsa_kernarg_size 88
		.amdhsa_user_sgpr_count 6
		.amdhsa_user_sgpr_private_segment_buffer 1
		.amdhsa_user_sgpr_dispatch_ptr 0
		.amdhsa_user_sgpr_queue_ptr 0
		.amdhsa_user_sgpr_kernarg_segment_ptr 1
		.amdhsa_user_sgpr_dispatch_id 0
		.amdhsa_user_sgpr_flat_scratch_init 0
		.amdhsa_user_sgpr_kernarg_preload_length 0
		.amdhsa_user_sgpr_kernarg_preload_offset 0
		.amdhsa_user_sgpr_private_segment_size 0
		.amdhsa_uses_dynamic_stack 0
		.amdhsa_system_sgpr_private_segment_wavefront_offset 0
		.amdhsa_system_sgpr_workgroup_id_x 1
		.amdhsa_system_sgpr_workgroup_id_y 0
		.amdhsa_system_sgpr_workgroup_id_z 0
		.amdhsa_system_sgpr_workgroup_info 0
		.amdhsa_system_vgpr_workitem_id 0
		.amdhsa_next_free_vgpr 1
		.amdhsa_next_free_sgpr 0
		.amdhsa_accum_offset 4
		.amdhsa_reserve_vcc 0
		.amdhsa_reserve_flat_scratch 0
		.amdhsa_float_round_mode_32 0
		.amdhsa_float_round_mode_16_64 0
		.amdhsa_float_denorm_mode_32 3
		.amdhsa_float_denorm_mode_16_64 3
		.amdhsa_dx10_clamp 1
		.amdhsa_ieee_mode 1
		.amdhsa_fp16_overflow 0
		.amdhsa_tg_split 0
		.amdhsa_exception_fp_ieee_invalid_op 0
		.amdhsa_exception_fp_denorm_src 0
		.amdhsa_exception_fp_ieee_div_zero 0
		.amdhsa_exception_fp_ieee_overflow 0
		.amdhsa_exception_fp_ieee_underflow 0
		.amdhsa_exception_fp_ieee_inexact 0
		.amdhsa_exception_int_div_zero 0
	.end_amdhsa_kernel
	.section	.text._ZN7rocprim17ROCPRIM_400000_NS6detail17trampoline_kernelINS0_14default_configENS1_36segmented_radix_sort_config_selectorIllEEZNS1_25segmented_radix_sort_implIS3_Lb1EPKlPlS8_S9_N2at6native12_GLOBAL__N_18offset_tEEE10hipError_tPvRmT1_PNSt15iterator_traitsISH_E10value_typeET2_T3_PNSI_ISN_E10value_typeET4_jRbjT5_ST_jjP12ihipStream_tbEUlT_E0_NS1_11comp_targetILNS1_3genE10ELNS1_11target_archE1201ELNS1_3gpuE5ELNS1_3repE0EEENS1_60segmented_radix_sort_warp_sort_medium_config_static_selectorELNS0_4arch9wavefront6targetE1EEEvSH_,"axG",@progbits,_ZN7rocprim17ROCPRIM_400000_NS6detail17trampoline_kernelINS0_14default_configENS1_36segmented_radix_sort_config_selectorIllEEZNS1_25segmented_radix_sort_implIS3_Lb1EPKlPlS8_S9_N2at6native12_GLOBAL__N_18offset_tEEE10hipError_tPvRmT1_PNSt15iterator_traitsISH_E10value_typeET2_T3_PNSI_ISN_E10value_typeET4_jRbjT5_ST_jjP12ihipStream_tbEUlT_E0_NS1_11comp_targetILNS1_3genE10ELNS1_11target_archE1201ELNS1_3gpuE5ELNS1_3repE0EEENS1_60segmented_radix_sort_warp_sort_medium_config_static_selectorELNS0_4arch9wavefront6targetE1EEEvSH_,comdat
.Lfunc_end720:
	.size	_ZN7rocprim17ROCPRIM_400000_NS6detail17trampoline_kernelINS0_14default_configENS1_36segmented_radix_sort_config_selectorIllEEZNS1_25segmented_radix_sort_implIS3_Lb1EPKlPlS8_S9_N2at6native12_GLOBAL__N_18offset_tEEE10hipError_tPvRmT1_PNSt15iterator_traitsISH_E10value_typeET2_T3_PNSI_ISN_E10value_typeET4_jRbjT5_ST_jjP12ihipStream_tbEUlT_E0_NS1_11comp_targetILNS1_3genE10ELNS1_11target_archE1201ELNS1_3gpuE5ELNS1_3repE0EEENS1_60segmented_radix_sort_warp_sort_medium_config_static_selectorELNS0_4arch9wavefront6targetE1EEEvSH_, .Lfunc_end720-_ZN7rocprim17ROCPRIM_400000_NS6detail17trampoline_kernelINS0_14default_configENS1_36segmented_radix_sort_config_selectorIllEEZNS1_25segmented_radix_sort_implIS3_Lb1EPKlPlS8_S9_N2at6native12_GLOBAL__N_18offset_tEEE10hipError_tPvRmT1_PNSt15iterator_traitsISH_E10value_typeET2_T3_PNSI_ISN_E10value_typeET4_jRbjT5_ST_jjP12ihipStream_tbEUlT_E0_NS1_11comp_targetILNS1_3genE10ELNS1_11target_archE1201ELNS1_3gpuE5ELNS1_3repE0EEENS1_60segmented_radix_sort_warp_sort_medium_config_static_selectorELNS0_4arch9wavefront6targetE1EEEvSH_
                                        ; -- End function
	.section	.AMDGPU.csdata,"",@progbits
; Kernel info:
; codeLenInByte = 0
; NumSgprs: 4
; NumVgprs: 0
; NumAgprs: 0
; TotalNumVgprs: 0
; ScratchSize: 0
; MemoryBound: 0
; FloatMode: 240
; IeeeMode: 1
; LDSByteSize: 0 bytes/workgroup (compile time only)
; SGPRBlocks: 0
; VGPRBlocks: 0
; NumSGPRsForWavesPerEU: 4
; NumVGPRsForWavesPerEU: 1
; AccumOffset: 4
; Occupancy: 8
; WaveLimiterHint : 0
; COMPUTE_PGM_RSRC2:SCRATCH_EN: 0
; COMPUTE_PGM_RSRC2:USER_SGPR: 6
; COMPUTE_PGM_RSRC2:TRAP_HANDLER: 0
; COMPUTE_PGM_RSRC2:TGID_X_EN: 1
; COMPUTE_PGM_RSRC2:TGID_Y_EN: 0
; COMPUTE_PGM_RSRC2:TGID_Z_EN: 0
; COMPUTE_PGM_RSRC2:TIDIG_COMP_CNT: 0
; COMPUTE_PGM_RSRC3_GFX90A:ACCUM_OFFSET: 0
; COMPUTE_PGM_RSRC3_GFX90A:TG_SPLIT: 0
	.section	.text._ZN7rocprim17ROCPRIM_400000_NS6detail17trampoline_kernelINS0_14default_configENS1_36segmented_radix_sort_config_selectorIllEEZNS1_25segmented_radix_sort_implIS3_Lb1EPKlPlS8_S9_N2at6native12_GLOBAL__N_18offset_tEEE10hipError_tPvRmT1_PNSt15iterator_traitsISH_E10value_typeET2_T3_PNSI_ISN_E10value_typeET4_jRbjT5_ST_jjP12ihipStream_tbEUlT_E0_NS1_11comp_targetILNS1_3genE10ELNS1_11target_archE1200ELNS1_3gpuE4ELNS1_3repE0EEENS1_60segmented_radix_sort_warp_sort_medium_config_static_selectorELNS0_4arch9wavefront6targetE1EEEvSH_,"axG",@progbits,_ZN7rocprim17ROCPRIM_400000_NS6detail17trampoline_kernelINS0_14default_configENS1_36segmented_radix_sort_config_selectorIllEEZNS1_25segmented_radix_sort_implIS3_Lb1EPKlPlS8_S9_N2at6native12_GLOBAL__N_18offset_tEEE10hipError_tPvRmT1_PNSt15iterator_traitsISH_E10value_typeET2_T3_PNSI_ISN_E10value_typeET4_jRbjT5_ST_jjP12ihipStream_tbEUlT_E0_NS1_11comp_targetILNS1_3genE10ELNS1_11target_archE1200ELNS1_3gpuE4ELNS1_3repE0EEENS1_60segmented_radix_sort_warp_sort_medium_config_static_selectorELNS0_4arch9wavefront6targetE1EEEvSH_,comdat
	.globl	_ZN7rocprim17ROCPRIM_400000_NS6detail17trampoline_kernelINS0_14default_configENS1_36segmented_radix_sort_config_selectorIllEEZNS1_25segmented_radix_sort_implIS3_Lb1EPKlPlS8_S9_N2at6native12_GLOBAL__N_18offset_tEEE10hipError_tPvRmT1_PNSt15iterator_traitsISH_E10value_typeET2_T3_PNSI_ISN_E10value_typeET4_jRbjT5_ST_jjP12ihipStream_tbEUlT_E0_NS1_11comp_targetILNS1_3genE10ELNS1_11target_archE1200ELNS1_3gpuE4ELNS1_3repE0EEENS1_60segmented_radix_sort_warp_sort_medium_config_static_selectorELNS0_4arch9wavefront6targetE1EEEvSH_ ; -- Begin function _ZN7rocprim17ROCPRIM_400000_NS6detail17trampoline_kernelINS0_14default_configENS1_36segmented_radix_sort_config_selectorIllEEZNS1_25segmented_radix_sort_implIS3_Lb1EPKlPlS8_S9_N2at6native12_GLOBAL__N_18offset_tEEE10hipError_tPvRmT1_PNSt15iterator_traitsISH_E10value_typeET2_T3_PNSI_ISN_E10value_typeET4_jRbjT5_ST_jjP12ihipStream_tbEUlT_E0_NS1_11comp_targetILNS1_3genE10ELNS1_11target_archE1200ELNS1_3gpuE4ELNS1_3repE0EEENS1_60segmented_radix_sort_warp_sort_medium_config_static_selectorELNS0_4arch9wavefront6targetE1EEEvSH_
	.p2align	8
	.type	_ZN7rocprim17ROCPRIM_400000_NS6detail17trampoline_kernelINS0_14default_configENS1_36segmented_radix_sort_config_selectorIllEEZNS1_25segmented_radix_sort_implIS3_Lb1EPKlPlS8_S9_N2at6native12_GLOBAL__N_18offset_tEEE10hipError_tPvRmT1_PNSt15iterator_traitsISH_E10value_typeET2_T3_PNSI_ISN_E10value_typeET4_jRbjT5_ST_jjP12ihipStream_tbEUlT_E0_NS1_11comp_targetILNS1_3genE10ELNS1_11target_archE1200ELNS1_3gpuE4ELNS1_3repE0EEENS1_60segmented_radix_sort_warp_sort_medium_config_static_selectorELNS0_4arch9wavefront6targetE1EEEvSH_,@function
_ZN7rocprim17ROCPRIM_400000_NS6detail17trampoline_kernelINS0_14default_configENS1_36segmented_radix_sort_config_selectorIllEEZNS1_25segmented_radix_sort_implIS3_Lb1EPKlPlS8_S9_N2at6native12_GLOBAL__N_18offset_tEEE10hipError_tPvRmT1_PNSt15iterator_traitsISH_E10value_typeET2_T3_PNSI_ISN_E10value_typeET4_jRbjT5_ST_jjP12ihipStream_tbEUlT_E0_NS1_11comp_targetILNS1_3genE10ELNS1_11target_archE1200ELNS1_3gpuE4ELNS1_3repE0EEENS1_60segmented_radix_sort_warp_sort_medium_config_static_selectorELNS0_4arch9wavefront6targetE1EEEvSH_: ; @_ZN7rocprim17ROCPRIM_400000_NS6detail17trampoline_kernelINS0_14default_configENS1_36segmented_radix_sort_config_selectorIllEEZNS1_25segmented_radix_sort_implIS3_Lb1EPKlPlS8_S9_N2at6native12_GLOBAL__N_18offset_tEEE10hipError_tPvRmT1_PNSt15iterator_traitsISH_E10value_typeET2_T3_PNSI_ISN_E10value_typeET4_jRbjT5_ST_jjP12ihipStream_tbEUlT_E0_NS1_11comp_targetILNS1_3genE10ELNS1_11target_archE1200ELNS1_3gpuE4ELNS1_3repE0EEENS1_60segmented_radix_sort_warp_sort_medium_config_static_selectorELNS0_4arch9wavefront6targetE1EEEvSH_
; %bb.0:
	.section	.rodata,"a",@progbits
	.p2align	6, 0x0
	.amdhsa_kernel _ZN7rocprim17ROCPRIM_400000_NS6detail17trampoline_kernelINS0_14default_configENS1_36segmented_radix_sort_config_selectorIllEEZNS1_25segmented_radix_sort_implIS3_Lb1EPKlPlS8_S9_N2at6native12_GLOBAL__N_18offset_tEEE10hipError_tPvRmT1_PNSt15iterator_traitsISH_E10value_typeET2_T3_PNSI_ISN_E10value_typeET4_jRbjT5_ST_jjP12ihipStream_tbEUlT_E0_NS1_11comp_targetILNS1_3genE10ELNS1_11target_archE1200ELNS1_3gpuE4ELNS1_3repE0EEENS1_60segmented_radix_sort_warp_sort_medium_config_static_selectorELNS0_4arch9wavefront6targetE1EEEvSH_
		.amdhsa_group_segment_fixed_size 0
		.amdhsa_private_segment_fixed_size 0
		.amdhsa_kernarg_size 88
		.amdhsa_user_sgpr_count 6
		.amdhsa_user_sgpr_private_segment_buffer 1
		.amdhsa_user_sgpr_dispatch_ptr 0
		.amdhsa_user_sgpr_queue_ptr 0
		.amdhsa_user_sgpr_kernarg_segment_ptr 1
		.amdhsa_user_sgpr_dispatch_id 0
		.amdhsa_user_sgpr_flat_scratch_init 0
		.amdhsa_user_sgpr_kernarg_preload_length 0
		.amdhsa_user_sgpr_kernarg_preload_offset 0
		.amdhsa_user_sgpr_private_segment_size 0
		.amdhsa_uses_dynamic_stack 0
		.amdhsa_system_sgpr_private_segment_wavefront_offset 0
		.amdhsa_system_sgpr_workgroup_id_x 1
		.amdhsa_system_sgpr_workgroup_id_y 0
		.amdhsa_system_sgpr_workgroup_id_z 0
		.amdhsa_system_sgpr_workgroup_info 0
		.amdhsa_system_vgpr_workitem_id 0
		.amdhsa_next_free_vgpr 1
		.amdhsa_next_free_sgpr 0
		.amdhsa_accum_offset 4
		.amdhsa_reserve_vcc 0
		.amdhsa_reserve_flat_scratch 0
		.amdhsa_float_round_mode_32 0
		.amdhsa_float_round_mode_16_64 0
		.amdhsa_float_denorm_mode_32 3
		.amdhsa_float_denorm_mode_16_64 3
		.amdhsa_dx10_clamp 1
		.amdhsa_ieee_mode 1
		.amdhsa_fp16_overflow 0
		.amdhsa_tg_split 0
		.amdhsa_exception_fp_ieee_invalid_op 0
		.amdhsa_exception_fp_denorm_src 0
		.amdhsa_exception_fp_ieee_div_zero 0
		.amdhsa_exception_fp_ieee_overflow 0
		.amdhsa_exception_fp_ieee_underflow 0
		.amdhsa_exception_fp_ieee_inexact 0
		.amdhsa_exception_int_div_zero 0
	.end_amdhsa_kernel
	.section	.text._ZN7rocprim17ROCPRIM_400000_NS6detail17trampoline_kernelINS0_14default_configENS1_36segmented_radix_sort_config_selectorIllEEZNS1_25segmented_radix_sort_implIS3_Lb1EPKlPlS8_S9_N2at6native12_GLOBAL__N_18offset_tEEE10hipError_tPvRmT1_PNSt15iterator_traitsISH_E10value_typeET2_T3_PNSI_ISN_E10value_typeET4_jRbjT5_ST_jjP12ihipStream_tbEUlT_E0_NS1_11comp_targetILNS1_3genE10ELNS1_11target_archE1200ELNS1_3gpuE4ELNS1_3repE0EEENS1_60segmented_radix_sort_warp_sort_medium_config_static_selectorELNS0_4arch9wavefront6targetE1EEEvSH_,"axG",@progbits,_ZN7rocprim17ROCPRIM_400000_NS6detail17trampoline_kernelINS0_14default_configENS1_36segmented_radix_sort_config_selectorIllEEZNS1_25segmented_radix_sort_implIS3_Lb1EPKlPlS8_S9_N2at6native12_GLOBAL__N_18offset_tEEE10hipError_tPvRmT1_PNSt15iterator_traitsISH_E10value_typeET2_T3_PNSI_ISN_E10value_typeET4_jRbjT5_ST_jjP12ihipStream_tbEUlT_E0_NS1_11comp_targetILNS1_3genE10ELNS1_11target_archE1200ELNS1_3gpuE4ELNS1_3repE0EEENS1_60segmented_radix_sort_warp_sort_medium_config_static_selectorELNS0_4arch9wavefront6targetE1EEEvSH_,comdat
.Lfunc_end721:
	.size	_ZN7rocprim17ROCPRIM_400000_NS6detail17trampoline_kernelINS0_14default_configENS1_36segmented_radix_sort_config_selectorIllEEZNS1_25segmented_radix_sort_implIS3_Lb1EPKlPlS8_S9_N2at6native12_GLOBAL__N_18offset_tEEE10hipError_tPvRmT1_PNSt15iterator_traitsISH_E10value_typeET2_T3_PNSI_ISN_E10value_typeET4_jRbjT5_ST_jjP12ihipStream_tbEUlT_E0_NS1_11comp_targetILNS1_3genE10ELNS1_11target_archE1200ELNS1_3gpuE4ELNS1_3repE0EEENS1_60segmented_radix_sort_warp_sort_medium_config_static_selectorELNS0_4arch9wavefront6targetE1EEEvSH_, .Lfunc_end721-_ZN7rocprim17ROCPRIM_400000_NS6detail17trampoline_kernelINS0_14default_configENS1_36segmented_radix_sort_config_selectorIllEEZNS1_25segmented_radix_sort_implIS3_Lb1EPKlPlS8_S9_N2at6native12_GLOBAL__N_18offset_tEEE10hipError_tPvRmT1_PNSt15iterator_traitsISH_E10value_typeET2_T3_PNSI_ISN_E10value_typeET4_jRbjT5_ST_jjP12ihipStream_tbEUlT_E0_NS1_11comp_targetILNS1_3genE10ELNS1_11target_archE1200ELNS1_3gpuE4ELNS1_3repE0EEENS1_60segmented_radix_sort_warp_sort_medium_config_static_selectorELNS0_4arch9wavefront6targetE1EEEvSH_
                                        ; -- End function
	.section	.AMDGPU.csdata,"",@progbits
; Kernel info:
; codeLenInByte = 0
; NumSgprs: 4
; NumVgprs: 0
; NumAgprs: 0
; TotalNumVgprs: 0
; ScratchSize: 0
; MemoryBound: 0
; FloatMode: 240
; IeeeMode: 1
; LDSByteSize: 0 bytes/workgroup (compile time only)
; SGPRBlocks: 0
; VGPRBlocks: 0
; NumSGPRsForWavesPerEU: 4
; NumVGPRsForWavesPerEU: 1
; AccumOffset: 4
; Occupancy: 8
; WaveLimiterHint : 0
; COMPUTE_PGM_RSRC2:SCRATCH_EN: 0
; COMPUTE_PGM_RSRC2:USER_SGPR: 6
; COMPUTE_PGM_RSRC2:TRAP_HANDLER: 0
; COMPUTE_PGM_RSRC2:TGID_X_EN: 1
; COMPUTE_PGM_RSRC2:TGID_Y_EN: 0
; COMPUTE_PGM_RSRC2:TGID_Z_EN: 0
; COMPUTE_PGM_RSRC2:TIDIG_COMP_CNT: 0
; COMPUTE_PGM_RSRC3_GFX90A:ACCUM_OFFSET: 0
; COMPUTE_PGM_RSRC3_GFX90A:TG_SPLIT: 0
	.section	.text._ZN7rocprim17ROCPRIM_400000_NS6detail17trampoline_kernelINS0_14default_configENS1_36segmented_radix_sort_config_selectorIllEEZNS1_25segmented_radix_sort_implIS3_Lb1EPKlPlS8_S9_N2at6native12_GLOBAL__N_18offset_tEEE10hipError_tPvRmT1_PNSt15iterator_traitsISH_E10value_typeET2_T3_PNSI_ISN_E10value_typeET4_jRbjT5_ST_jjP12ihipStream_tbEUlT_E0_NS1_11comp_targetILNS1_3genE9ELNS1_11target_archE1100ELNS1_3gpuE3ELNS1_3repE0EEENS1_60segmented_radix_sort_warp_sort_medium_config_static_selectorELNS0_4arch9wavefront6targetE1EEEvSH_,"axG",@progbits,_ZN7rocprim17ROCPRIM_400000_NS6detail17trampoline_kernelINS0_14default_configENS1_36segmented_radix_sort_config_selectorIllEEZNS1_25segmented_radix_sort_implIS3_Lb1EPKlPlS8_S9_N2at6native12_GLOBAL__N_18offset_tEEE10hipError_tPvRmT1_PNSt15iterator_traitsISH_E10value_typeET2_T3_PNSI_ISN_E10value_typeET4_jRbjT5_ST_jjP12ihipStream_tbEUlT_E0_NS1_11comp_targetILNS1_3genE9ELNS1_11target_archE1100ELNS1_3gpuE3ELNS1_3repE0EEENS1_60segmented_radix_sort_warp_sort_medium_config_static_selectorELNS0_4arch9wavefront6targetE1EEEvSH_,comdat
	.globl	_ZN7rocprim17ROCPRIM_400000_NS6detail17trampoline_kernelINS0_14default_configENS1_36segmented_radix_sort_config_selectorIllEEZNS1_25segmented_radix_sort_implIS3_Lb1EPKlPlS8_S9_N2at6native12_GLOBAL__N_18offset_tEEE10hipError_tPvRmT1_PNSt15iterator_traitsISH_E10value_typeET2_T3_PNSI_ISN_E10value_typeET4_jRbjT5_ST_jjP12ihipStream_tbEUlT_E0_NS1_11comp_targetILNS1_3genE9ELNS1_11target_archE1100ELNS1_3gpuE3ELNS1_3repE0EEENS1_60segmented_radix_sort_warp_sort_medium_config_static_selectorELNS0_4arch9wavefront6targetE1EEEvSH_ ; -- Begin function _ZN7rocprim17ROCPRIM_400000_NS6detail17trampoline_kernelINS0_14default_configENS1_36segmented_radix_sort_config_selectorIllEEZNS1_25segmented_radix_sort_implIS3_Lb1EPKlPlS8_S9_N2at6native12_GLOBAL__N_18offset_tEEE10hipError_tPvRmT1_PNSt15iterator_traitsISH_E10value_typeET2_T3_PNSI_ISN_E10value_typeET4_jRbjT5_ST_jjP12ihipStream_tbEUlT_E0_NS1_11comp_targetILNS1_3genE9ELNS1_11target_archE1100ELNS1_3gpuE3ELNS1_3repE0EEENS1_60segmented_radix_sort_warp_sort_medium_config_static_selectorELNS0_4arch9wavefront6targetE1EEEvSH_
	.p2align	8
	.type	_ZN7rocprim17ROCPRIM_400000_NS6detail17trampoline_kernelINS0_14default_configENS1_36segmented_radix_sort_config_selectorIllEEZNS1_25segmented_radix_sort_implIS3_Lb1EPKlPlS8_S9_N2at6native12_GLOBAL__N_18offset_tEEE10hipError_tPvRmT1_PNSt15iterator_traitsISH_E10value_typeET2_T3_PNSI_ISN_E10value_typeET4_jRbjT5_ST_jjP12ihipStream_tbEUlT_E0_NS1_11comp_targetILNS1_3genE9ELNS1_11target_archE1100ELNS1_3gpuE3ELNS1_3repE0EEENS1_60segmented_radix_sort_warp_sort_medium_config_static_selectorELNS0_4arch9wavefront6targetE1EEEvSH_,@function
_ZN7rocprim17ROCPRIM_400000_NS6detail17trampoline_kernelINS0_14default_configENS1_36segmented_radix_sort_config_selectorIllEEZNS1_25segmented_radix_sort_implIS3_Lb1EPKlPlS8_S9_N2at6native12_GLOBAL__N_18offset_tEEE10hipError_tPvRmT1_PNSt15iterator_traitsISH_E10value_typeET2_T3_PNSI_ISN_E10value_typeET4_jRbjT5_ST_jjP12ihipStream_tbEUlT_E0_NS1_11comp_targetILNS1_3genE9ELNS1_11target_archE1100ELNS1_3gpuE3ELNS1_3repE0EEENS1_60segmented_radix_sort_warp_sort_medium_config_static_selectorELNS0_4arch9wavefront6targetE1EEEvSH_: ; @_ZN7rocprim17ROCPRIM_400000_NS6detail17trampoline_kernelINS0_14default_configENS1_36segmented_radix_sort_config_selectorIllEEZNS1_25segmented_radix_sort_implIS3_Lb1EPKlPlS8_S9_N2at6native12_GLOBAL__N_18offset_tEEE10hipError_tPvRmT1_PNSt15iterator_traitsISH_E10value_typeET2_T3_PNSI_ISN_E10value_typeET4_jRbjT5_ST_jjP12ihipStream_tbEUlT_E0_NS1_11comp_targetILNS1_3genE9ELNS1_11target_archE1100ELNS1_3gpuE3ELNS1_3repE0EEENS1_60segmented_radix_sort_warp_sort_medium_config_static_selectorELNS0_4arch9wavefront6targetE1EEEvSH_
; %bb.0:
	.section	.rodata,"a",@progbits
	.p2align	6, 0x0
	.amdhsa_kernel _ZN7rocprim17ROCPRIM_400000_NS6detail17trampoline_kernelINS0_14default_configENS1_36segmented_radix_sort_config_selectorIllEEZNS1_25segmented_radix_sort_implIS3_Lb1EPKlPlS8_S9_N2at6native12_GLOBAL__N_18offset_tEEE10hipError_tPvRmT1_PNSt15iterator_traitsISH_E10value_typeET2_T3_PNSI_ISN_E10value_typeET4_jRbjT5_ST_jjP12ihipStream_tbEUlT_E0_NS1_11comp_targetILNS1_3genE9ELNS1_11target_archE1100ELNS1_3gpuE3ELNS1_3repE0EEENS1_60segmented_radix_sort_warp_sort_medium_config_static_selectorELNS0_4arch9wavefront6targetE1EEEvSH_
		.amdhsa_group_segment_fixed_size 0
		.amdhsa_private_segment_fixed_size 0
		.amdhsa_kernarg_size 88
		.amdhsa_user_sgpr_count 6
		.amdhsa_user_sgpr_private_segment_buffer 1
		.amdhsa_user_sgpr_dispatch_ptr 0
		.amdhsa_user_sgpr_queue_ptr 0
		.amdhsa_user_sgpr_kernarg_segment_ptr 1
		.amdhsa_user_sgpr_dispatch_id 0
		.amdhsa_user_sgpr_flat_scratch_init 0
		.amdhsa_user_sgpr_kernarg_preload_length 0
		.amdhsa_user_sgpr_kernarg_preload_offset 0
		.amdhsa_user_sgpr_private_segment_size 0
		.amdhsa_uses_dynamic_stack 0
		.amdhsa_system_sgpr_private_segment_wavefront_offset 0
		.amdhsa_system_sgpr_workgroup_id_x 1
		.amdhsa_system_sgpr_workgroup_id_y 0
		.amdhsa_system_sgpr_workgroup_id_z 0
		.amdhsa_system_sgpr_workgroup_info 0
		.amdhsa_system_vgpr_workitem_id 0
		.amdhsa_next_free_vgpr 1
		.amdhsa_next_free_sgpr 0
		.amdhsa_accum_offset 4
		.amdhsa_reserve_vcc 0
		.amdhsa_reserve_flat_scratch 0
		.amdhsa_float_round_mode_32 0
		.amdhsa_float_round_mode_16_64 0
		.amdhsa_float_denorm_mode_32 3
		.amdhsa_float_denorm_mode_16_64 3
		.amdhsa_dx10_clamp 1
		.amdhsa_ieee_mode 1
		.amdhsa_fp16_overflow 0
		.amdhsa_tg_split 0
		.amdhsa_exception_fp_ieee_invalid_op 0
		.amdhsa_exception_fp_denorm_src 0
		.amdhsa_exception_fp_ieee_div_zero 0
		.amdhsa_exception_fp_ieee_overflow 0
		.amdhsa_exception_fp_ieee_underflow 0
		.amdhsa_exception_fp_ieee_inexact 0
		.amdhsa_exception_int_div_zero 0
	.end_amdhsa_kernel
	.section	.text._ZN7rocprim17ROCPRIM_400000_NS6detail17trampoline_kernelINS0_14default_configENS1_36segmented_radix_sort_config_selectorIllEEZNS1_25segmented_radix_sort_implIS3_Lb1EPKlPlS8_S9_N2at6native12_GLOBAL__N_18offset_tEEE10hipError_tPvRmT1_PNSt15iterator_traitsISH_E10value_typeET2_T3_PNSI_ISN_E10value_typeET4_jRbjT5_ST_jjP12ihipStream_tbEUlT_E0_NS1_11comp_targetILNS1_3genE9ELNS1_11target_archE1100ELNS1_3gpuE3ELNS1_3repE0EEENS1_60segmented_radix_sort_warp_sort_medium_config_static_selectorELNS0_4arch9wavefront6targetE1EEEvSH_,"axG",@progbits,_ZN7rocprim17ROCPRIM_400000_NS6detail17trampoline_kernelINS0_14default_configENS1_36segmented_radix_sort_config_selectorIllEEZNS1_25segmented_radix_sort_implIS3_Lb1EPKlPlS8_S9_N2at6native12_GLOBAL__N_18offset_tEEE10hipError_tPvRmT1_PNSt15iterator_traitsISH_E10value_typeET2_T3_PNSI_ISN_E10value_typeET4_jRbjT5_ST_jjP12ihipStream_tbEUlT_E0_NS1_11comp_targetILNS1_3genE9ELNS1_11target_archE1100ELNS1_3gpuE3ELNS1_3repE0EEENS1_60segmented_radix_sort_warp_sort_medium_config_static_selectorELNS0_4arch9wavefront6targetE1EEEvSH_,comdat
.Lfunc_end722:
	.size	_ZN7rocprim17ROCPRIM_400000_NS6detail17trampoline_kernelINS0_14default_configENS1_36segmented_radix_sort_config_selectorIllEEZNS1_25segmented_radix_sort_implIS3_Lb1EPKlPlS8_S9_N2at6native12_GLOBAL__N_18offset_tEEE10hipError_tPvRmT1_PNSt15iterator_traitsISH_E10value_typeET2_T3_PNSI_ISN_E10value_typeET4_jRbjT5_ST_jjP12ihipStream_tbEUlT_E0_NS1_11comp_targetILNS1_3genE9ELNS1_11target_archE1100ELNS1_3gpuE3ELNS1_3repE0EEENS1_60segmented_radix_sort_warp_sort_medium_config_static_selectorELNS0_4arch9wavefront6targetE1EEEvSH_, .Lfunc_end722-_ZN7rocprim17ROCPRIM_400000_NS6detail17trampoline_kernelINS0_14default_configENS1_36segmented_radix_sort_config_selectorIllEEZNS1_25segmented_radix_sort_implIS3_Lb1EPKlPlS8_S9_N2at6native12_GLOBAL__N_18offset_tEEE10hipError_tPvRmT1_PNSt15iterator_traitsISH_E10value_typeET2_T3_PNSI_ISN_E10value_typeET4_jRbjT5_ST_jjP12ihipStream_tbEUlT_E0_NS1_11comp_targetILNS1_3genE9ELNS1_11target_archE1100ELNS1_3gpuE3ELNS1_3repE0EEENS1_60segmented_radix_sort_warp_sort_medium_config_static_selectorELNS0_4arch9wavefront6targetE1EEEvSH_
                                        ; -- End function
	.section	.AMDGPU.csdata,"",@progbits
; Kernel info:
; codeLenInByte = 0
; NumSgprs: 4
; NumVgprs: 0
; NumAgprs: 0
; TotalNumVgprs: 0
; ScratchSize: 0
; MemoryBound: 0
; FloatMode: 240
; IeeeMode: 1
; LDSByteSize: 0 bytes/workgroup (compile time only)
; SGPRBlocks: 0
; VGPRBlocks: 0
; NumSGPRsForWavesPerEU: 4
; NumVGPRsForWavesPerEU: 1
; AccumOffset: 4
; Occupancy: 8
; WaveLimiterHint : 0
; COMPUTE_PGM_RSRC2:SCRATCH_EN: 0
; COMPUTE_PGM_RSRC2:USER_SGPR: 6
; COMPUTE_PGM_RSRC2:TRAP_HANDLER: 0
; COMPUTE_PGM_RSRC2:TGID_X_EN: 1
; COMPUTE_PGM_RSRC2:TGID_Y_EN: 0
; COMPUTE_PGM_RSRC2:TGID_Z_EN: 0
; COMPUTE_PGM_RSRC2:TIDIG_COMP_CNT: 0
; COMPUTE_PGM_RSRC3_GFX90A:ACCUM_OFFSET: 0
; COMPUTE_PGM_RSRC3_GFX90A:TG_SPLIT: 0
	.section	.text._ZN7rocprim17ROCPRIM_400000_NS6detail17trampoline_kernelINS0_14default_configENS1_36segmented_radix_sort_config_selectorIllEEZNS1_25segmented_radix_sort_implIS3_Lb1EPKlPlS8_S9_N2at6native12_GLOBAL__N_18offset_tEEE10hipError_tPvRmT1_PNSt15iterator_traitsISH_E10value_typeET2_T3_PNSI_ISN_E10value_typeET4_jRbjT5_ST_jjP12ihipStream_tbEUlT_E0_NS1_11comp_targetILNS1_3genE8ELNS1_11target_archE1030ELNS1_3gpuE2ELNS1_3repE0EEENS1_60segmented_radix_sort_warp_sort_medium_config_static_selectorELNS0_4arch9wavefront6targetE1EEEvSH_,"axG",@progbits,_ZN7rocprim17ROCPRIM_400000_NS6detail17trampoline_kernelINS0_14default_configENS1_36segmented_radix_sort_config_selectorIllEEZNS1_25segmented_radix_sort_implIS3_Lb1EPKlPlS8_S9_N2at6native12_GLOBAL__N_18offset_tEEE10hipError_tPvRmT1_PNSt15iterator_traitsISH_E10value_typeET2_T3_PNSI_ISN_E10value_typeET4_jRbjT5_ST_jjP12ihipStream_tbEUlT_E0_NS1_11comp_targetILNS1_3genE8ELNS1_11target_archE1030ELNS1_3gpuE2ELNS1_3repE0EEENS1_60segmented_radix_sort_warp_sort_medium_config_static_selectorELNS0_4arch9wavefront6targetE1EEEvSH_,comdat
	.globl	_ZN7rocprim17ROCPRIM_400000_NS6detail17trampoline_kernelINS0_14default_configENS1_36segmented_radix_sort_config_selectorIllEEZNS1_25segmented_radix_sort_implIS3_Lb1EPKlPlS8_S9_N2at6native12_GLOBAL__N_18offset_tEEE10hipError_tPvRmT1_PNSt15iterator_traitsISH_E10value_typeET2_T3_PNSI_ISN_E10value_typeET4_jRbjT5_ST_jjP12ihipStream_tbEUlT_E0_NS1_11comp_targetILNS1_3genE8ELNS1_11target_archE1030ELNS1_3gpuE2ELNS1_3repE0EEENS1_60segmented_radix_sort_warp_sort_medium_config_static_selectorELNS0_4arch9wavefront6targetE1EEEvSH_ ; -- Begin function _ZN7rocprim17ROCPRIM_400000_NS6detail17trampoline_kernelINS0_14default_configENS1_36segmented_radix_sort_config_selectorIllEEZNS1_25segmented_radix_sort_implIS3_Lb1EPKlPlS8_S9_N2at6native12_GLOBAL__N_18offset_tEEE10hipError_tPvRmT1_PNSt15iterator_traitsISH_E10value_typeET2_T3_PNSI_ISN_E10value_typeET4_jRbjT5_ST_jjP12ihipStream_tbEUlT_E0_NS1_11comp_targetILNS1_3genE8ELNS1_11target_archE1030ELNS1_3gpuE2ELNS1_3repE0EEENS1_60segmented_radix_sort_warp_sort_medium_config_static_selectorELNS0_4arch9wavefront6targetE1EEEvSH_
	.p2align	8
	.type	_ZN7rocprim17ROCPRIM_400000_NS6detail17trampoline_kernelINS0_14default_configENS1_36segmented_radix_sort_config_selectorIllEEZNS1_25segmented_radix_sort_implIS3_Lb1EPKlPlS8_S9_N2at6native12_GLOBAL__N_18offset_tEEE10hipError_tPvRmT1_PNSt15iterator_traitsISH_E10value_typeET2_T3_PNSI_ISN_E10value_typeET4_jRbjT5_ST_jjP12ihipStream_tbEUlT_E0_NS1_11comp_targetILNS1_3genE8ELNS1_11target_archE1030ELNS1_3gpuE2ELNS1_3repE0EEENS1_60segmented_radix_sort_warp_sort_medium_config_static_selectorELNS0_4arch9wavefront6targetE1EEEvSH_,@function
_ZN7rocprim17ROCPRIM_400000_NS6detail17trampoline_kernelINS0_14default_configENS1_36segmented_radix_sort_config_selectorIllEEZNS1_25segmented_radix_sort_implIS3_Lb1EPKlPlS8_S9_N2at6native12_GLOBAL__N_18offset_tEEE10hipError_tPvRmT1_PNSt15iterator_traitsISH_E10value_typeET2_T3_PNSI_ISN_E10value_typeET4_jRbjT5_ST_jjP12ihipStream_tbEUlT_E0_NS1_11comp_targetILNS1_3genE8ELNS1_11target_archE1030ELNS1_3gpuE2ELNS1_3repE0EEENS1_60segmented_radix_sort_warp_sort_medium_config_static_selectorELNS0_4arch9wavefront6targetE1EEEvSH_: ; @_ZN7rocprim17ROCPRIM_400000_NS6detail17trampoline_kernelINS0_14default_configENS1_36segmented_radix_sort_config_selectorIllEEZNS1_25segmented_radix_sort_implIS3_Lb1EPKlPlS8_S9_N2at6native12_GLOBAL__N_18offset_tEEE10hipError_tPvRmT1_PNSt15iterator_traitsISH_E10value_typeET2_T3_PNSI_ISN_E10value_typeET4_jRbjT5_ST_jjP12ihipStream_tbEUlT_E0_NS1_11comp_targetILNS1_3genE8ELNS1_11target_archE1030ELNS1_3gpuE2ELNS1_3repE0EEENS1_60segmented_radix_sort_warp_sort_medium_config_static_selectorELNS0_4arch9wavefront6targetE1EEEvSH_
; %bb.0:
	.section	.rodata,"a",@progbits
	.p2align	6, 0x0
	.amdhsa_kernel _ZN7rocprim17ROCPRIM_400000_NS6detail17trampoline_kernelINS0_14default_configENS1_36segmented_radix_sort_config_selectorIllEEZNS1_25segmented_radix_sort_implIS3_Lb1EPKlPlS8_S9_N2at6native12_GLOBAL__N_18offset_tEEE10hipError_tPvRmT1_PNSt15iterator_traitsISH_E10value_typeET2_T3_PNSI_ISN_E10value_typeET4_jRbjT5_ST_jjP12ihipStream_tbEUlT_E0_NS1_11comp_targetILNS1_3genE8ELNS1_11target_archE1030ELNS1_3gpuE2ELNS1_3repE0EEENS1_60segmented_radix_sort_warp_sort_medium_config_static_selectorELNS0_4arch9wavefront6targetE1EEEvSH_
		.amdhsa_group_segment_fixed_size 0
		.amdhsa_private_segment_fixed_size 0
		.amdhsa_kernarg_size 88
		.amdhsa_user_sgpr_count 6
		.amdhsa_user_sgpr_private_segment_buffer 1
		.amdhsa_user_sgpr_dispatch_ptr 0
		.amdhsa_user_sgpr_queue_ptr 0
		.amdhsa_user_sgpr_kernarg_segment_ptr 1
		.amdhsa_user_sgpr_dispatch_id 0
		.amdhsa_user_sgpr_flat_scratch_init 0
		.amdhsa_user_sgpr_kernarg_preload_length 0
		.amdhsa_user_sgpr_kernarg_preload_offset 0
		.amdhsa_user_sgpr_private_segment_size 0
		.amdhsa_uses_dynamic_stack 0
		.amdhsa_system_sgpr_private_segment_wavefront_offset 0
		.amdhsa_system_sgpr_workgroup_id_x 1
		.amdhsa_system_sgpr_workgroup_id_y 0
		.amdhsa_system_sgpr_workgroup_id_z 0
		.amdhsa_system_sgpr_workgroup_info 0
		.amdhsa_system_vgpr_workitem_id 0
		.amdhsa_next_free_vgpr 1
		.amdhsa_next_free_sgpr 0
		.amdhsa_accum_offset 4
		.amdhsa_reserve_vcc 0
		.amdhsa_reserve_flat_scratch 0
		.amdhsa_float_round_mode_32 0
		.amdhsa_float_round_mode_16_64 0
		.amdhsa_float_denorm_mode_32 3
		.amdhsa_float_denorm_mode_16_64 3
		.amdhsa_dx10_clamp 1
		.amdhsa_ieee_mode 1
		.amdhsa_fp16_overflow 0
		.amdhsa_tg_split 0
		.amdhsa_exception_fp_ieee_invalid_op 0
		.amdhsa_exception_fp_denorm_src 0
		.amdhsa_exception_fp_ieee_div_zero 0
		.amdhsa_exception_fp_ieee_overflow 0
		.amdhsa_exception_fp_ieee_underflow 0
		.amdhsa_exception_fp_ieee_inexact 0
		.amdhsa_exception_int_div_zero 0
	.end_amdhsa_kernel
	.section	.text._ZN7rocprim17ROCPRIM_400000_NS6detail17trampoline_kernelINS0_14default_configENS1_36segmented_radix_sort_config_selectorIllEEZNS1_25segmented_radix_sort_implIS3_Lb1EPKlPlS8_S9_N2at6native12_GLOBAL__N_18offset_tEEE10hipError_tPvRmT1_PNSt15iterator_traitsISH_E10value_typeET2_T3_PNSI_ISN_E10value_typeET4_jRbjT5_ST_jjP12ihipStream_tbEUlT_E0_NS1_11comp_targetILNS1_3genE8ELNS1_11target_archE1030ELNS1_3gpuE2ELNS1_3repE0EEENS1_60segmented_radix_sort_warp_sort_medium_config_static_selectorELNS0_4arch9wavefront6targetE1EEEvSH_,"axG",@progbits,_ZN7rocprim17ROCPRIM_400000_NS6detail17trampoline_kernelINS0_14default_configENS1_36segmented_radix_sort_config_selectorIllEEZNS1_25segmented_radix_sort_implIS3_Lb1EPKlPlS8_S9_N2at6native12_GLOBAL__N_18offset_tEEE10hipError_tPvRmT1_PNSt15iterator_traitsISH_E10value_typeET2_T3_PNSI_ISN_E10value_typeET4_jRbjT5_ST_jjP12ihipStream_tbEUlT_E0_NS1_11comp_targetILNS1_3genE8ELNS1_11target_archE1030ELNS1_3gpuE2ELNS1_3repE0EEENS1_60segmented_radix_sort_warp_sort_medium_config_static_selectorELNS0_4arch9wavefront6targetE1EEEvSH_,comdat
.Lfunc_end723:
	.size	_ZN7rocprim17ROCPRIM_400000_NS6detail17trampoline_kernelINS0_14default_configENS1_36segmented_radix_sort_config_selectorIllEEZNS1_25segmented_radix_sort_implIS3_Lb1EPKlPlS8_S9_N2at6native12_GLOBAL__N_18offset_tEEE10hipError_tPvRmT1_PNSt15iterator_traitsISH_E10value_typeET2_T3_PNSI_ISN_E10value_typeET4_jRbjT5_ST_jjP12ihipStream_tbEUlT_E0_NS1_11comp_targetILNS1_3genE8ELNS1_11target_archE1030ELNS1_3gpuE2ELNS1_3repE0EEENS1_60segmented_radix_sort_warp_sort_medium_config_static_selectorELNS0_4arch9wavefront6targetE1EEEvSH_, .Lfunc_end723-_ZN7rocprim17ROCPRIM_400000_NS6detail17trampoline_kernelINS0_14default_configENS1_36segmented_radix_sort_config_selectorIllEEZNS1_25segmented_radix_sort_implIS3_Lb1EPKlPlS8_S9_N2at6native12_GLOBAL__N_18offset_tEEE10hipError_tPvRmT1_PNSt15iterator_traitsISH_E10value_typeET2_T3_PNSI_ISN_E10value_typeET4_jRbjT5_ST_jjP12ihipStream_tbEUlT_E0_NS1_11comp_targetILNS1_3genE8ELNS1_11target_archE1030ELNS1_3gpuE2ELNS1_3repE0EEENS1_60segmented_radix_sort_warp_sort_medium_config_static_selectorELNS0_4arch9wavefront6targetE1EEEvSH_
                                        ; -- End function
	.section	.AMDGPU.csdata,"",@progbits
; Kernel info:
; codeLenInByte = 0
; NumSgprs: 4
; NumVgprs: 0
; NumAgprs: 0
; TotalNumVgprs: 0
; ScratchSize: 0
; MemoryBound: 0
; FloatMode: 240
; IeeeMode: 1
; LDSByteSize: 0 bytes/workgroup (compile time only)
; SGPRBlocks: 0
; VGPRBlocks: 0
; NumSGPRsForWavesPerEU: 4
; NumVGPRsForWavesPerEU: 1
; AccumOffset: 4
; Occupancy: 8
; WaveLimiterHint : 0
; COMPUTE_PGM_RSRC2:SCRATCH_EN: 0
; COMPUTE_PGM_RSRC2:USER_SGPR: 6
; COMPUTE_PGM_RSRC2:TRAP_HANDLER: 0
; COMPUTE_PGM_RSRC2:TGID_X_EN: 1
; COMPUTE_PGM_RSRC2:TGID_Y_EN: 0
; COMPUTE_PGM_RSRC2:TGID_Z_EN: 0
; COMPUTE_PGM_RSRC2:TIDIG_COMP_CNT: 0
; COMPUTE_PGM_RSRC3_GFX90A:ACCUM_OFFSET: 0
; COMPUTE_PGM_RSRC3_GFX90A:TG_SPLIT: 0
	.section	.text._ZN7rocprim17ROCPRIM_400000_NS6detail17trampoline_kernelINS0_14default_configENS1_36segmented_radix_sort_config_selectorIllEEZNS1_25segmented_radix_sort_implIS3_Lb1EPKlPlS8_S9_N2at6native12_GLOBAL__N_18offset_tEEE10hipError_tPvRmT1_PNSt15iterator_traitsISH_E10value_typeET2_T3_PNSI_ISN_E10value_typeET4_jRbjT5_ST_jjP12ihipStream_tbEUlT_E1_NS1_11comp_targetILNS1_3genE0ELNS1_11target_archE4294967295ELNS1_3gpuE0ELNS1_3repE0EEENS1_59segmented_radix_sort_warp_sort_small_config_static_selectorELNS0_4arch9wavefront6targetE1EEEvSH_,"axG",@progbits,_ZN7rocprim17ROCPRIM_400000_NS6detail17trampoline_kernelINS0_14default_configENS1_36segmented_radix_sort_config_selectorIllEEZNS1_25segmented_radix_sort_implIS3_Lb1EPKlPlS8_S9_N2at6native12_GLOBAL__N_18offset_tEEE10hipError_tPvRmT1_PNSt15iterator_traitsISH_E10value_typeET2_T3_PNSI_ISN_E10value_typeET4_jRbjT5_ST_jjP12ihipStream_tbEUlT_E1_NS1_11comp_targetILNS1_3genE0ELNS1_11target_archE4294967295ELNS1_3gpuE0ELNS1_3repE0EEENS1_59segmented_radix_sort_warp_sort_small_config_static_selectorELNS0_4arch9wavefront6targetE1EEEvSH_,comdat
	.globl	_ZN7rocprim17ROCPRIM_400000_NS6detail17trampoline_kernelINS0_14default_configENS1_36segmented_radix_sort_config_selectorIllEEZNS1_25segmented_radix_sort_implIS3_Lb1EPKlPlS8_S9_N2at6native12_GLOBAL__N_18offset_tEEE10hipError_tPvRmT1_PNSt15iterator_traitsISH_E10value_typeET2_T3_PNSI_ISN_E10value_typeET4_jRbjT5_ST_jjP12ihipStream_tbEUlT_E1_NS1_11comp_targetILNS1_3genE0ELNS1_11target_archE4294967295ELNS1_3gpuE0ELNS1_3repE0EEENS1_59segmented_radix_sort_warp_sort_small_config_static_selectorELNS0_4arch9wavefront6targetE1EEEvSH_ ; -- Begin function _ZN7rocprim17ROCPRIM_400000_NS6detail17trampoline_kernelINS0_14default_configENS1_36segmented_radix_sort_config_selectorIllEEZNS1_25segmented_radix_sort_implIS3_Lb1EPKlPlS8_S9_N2at6native12_GLOBAL__N_18offset_tEEE10hipError_tPvRmT1_PNSt15iterator_traitsISH_E10value_typeET2_T3_PNSI_ISN_E10value_typeET4_jRbjT5_ST_jjP12ihipStream_tbEUlT_E1_NS1_11comp_targetILNS1_3genE0ELNS1_11target_archE4294967295ELNS1_3gpuE0ELNS1_3repE0EEENS1_59segmented_radix_sort_warp_sort_small_config_static_selectorELNS0_4arch9wavefront6targetE1EEEvSH_
	.p2align	8
	.type	_ZN7rocprim17ROCPRIM_400000_NS6detail17trampoline_kernelINS0_14default_configENS1_36segmented_radix_sort_config_selectorIllEEZNS1_25segmented_radix_sort_implIS3_Lb1EPKlPlS8_S9_N2at6native12_GLOBAL__N_18offset_tEEE10hipError_tPvRmT1_PNSt15iterator_traitsISH_E10value_typeET2_T3_PNSI_ISN_E10value_typeET4_jRbjT5_ST_jjP12ihipStream_tbEUlT_E1_NS1_11comp_targetILNS1_3genE0ELNS1_11target_archE4294967295ELNS1_3gpuE0ELNS1_3repE0EEENS1_59segmented_radix_sort_warp_sort_small_config_static_selectorELNS0_4arch9wavefront6targetE1EEEvSH_,@function
_ZN7rocprim17ROCPRIM_400000_NS6detail17trampoline_kernelINS0_14default_configENS1_36segmented_radix_sort_config_selectorIllEEZNS1_25segmented_radix_sort_implIS3_Lb1EPKlPlS8_S9_N2at6native12_GLOBAL__N_18offset_tEEE10hipError_tPvRmT1_PNSt15iterator_traitsISH_E10value_typeET2_T3_PNSI_ISN_E10value_typeET4_jRbjT5_ST_jjP12ihipStream_tbEUlT_E1_NS1_11comp_targetILNS1_3genE0ELNS1_11target_archE4294967295ELNS1_3gpuE0ELNS1_3repE0EEENS1_59segmented_radix_sort_warp_sort_small_config_static_selectorELNS0_4arch9wavefront6targetE1EEEvSH_: ; @_ZN7rocprim17ROCPRIM_400000_NS6detail17trampoline_kernelINS0_14default_configENS1_36segmented_radix_sort_config_selectorIllEEZNS1_25segmented_radix_sort_implIS3_Lb1EPKlPlS8_S9_N2at6native12_GLOBAL__N_18offset_tEEE10hipError_tPvRmT1_PNSt15iterator_traitsISH_E10value_typeET2_T3_PNSI_ISN_E10value_typeET4_jRbjT5_ST_jjP12ihipStream_tbEUlT_E1_NS1_11comp_targetILNS1_3genE0ELNS1_11target_archE4294967295ELNS1_3gpuE0ELNS1_3repE0EEENS1_59segmented_radix_sort_warp_sort_small_config_static_selectorELNS0_4arch9wavefront6targetE1EEEvSH_
; %bb.0:
	.section	.rodata,"a",@progbits
	.p2align	6, 0x0
	.amdhsa_kernel _ZN7rocprim17ROCPRIM_400000_NS6detail17trampoline_kernelINS0_14default_configENS1_36segmented_radix_sort_config_selectorIllEEZNS1_25segmented_radix_sort_implIS3_Lb1EPKlPlS8_S9_N2at6native12_GLOBAL__N_18offset_tEEE10hipError_tPvRmT1_PNSt15iterator_traitsISH_E10value_typeET2_T3_PNSI_ISN_E10value_typeET4_jRbjT5_ST_jjP12ihipStream_tbEUlT_E1_NS1_11comp_targetILNS1_3genE0ELNS1_11target_archE4294967295ELNS1_3gpuE0ELNS1_3repE0EEENS1_59segmented_radix_sort_warp_sort_small_config_static_selectorELNS0_4arch9wavefront6targetE1EEEvSH_
		.amdhsa_group_segment_fixed_size 0
		.amdhsa_private_segment_fixed_size 0
		.amdhsa_kernarg_size 88
		.amdhsa_user_sgpr_count 6
		.amdhsa_user_sgpr_private_segment_buffer 1
		.amdhsa_user_sgpr_dispatch_ptr 0
		.amdhsa_user_sgpr_queue_ptr 0
		.amdhsa_user_sgpr_kernarg_segment_ptr 1
		.amdhsa_user_sgpr_dispatch_id 0
		.amdhsa_user_sgpr_flat_scratch_init 0
		.amdhsa_user_sgpr_kernarg_preload_length 0
		.amdhsa_user_sgpr_kernarg_preload_offset 0
		.amdhsa_user_sgpr_private_segment_size 0
		.amdhsa_uses_dynamic_stack 0
		.amdhsa_system_sgpr_private_segment_wavefront_offset 0
		.amdhsa_system_sgpr_workgroup_id_x 1
		.amdhsa_system_sgpr_workgroup_id_y 0
		.amdhsa_system_sgpr_workgroup_id_z 0
		.amdhsa_system_sgpr_workgroup_info 0
		.amdhsa_system_vgpr_workitem_id 0
		.amdhsa_next_free_vgpr 1
		.amdhsa_next_free_sgpr 0
		.amdhsa_accum_offset 4
		.amdhsa_reserve_vcc 0
		.amdhsa_reserve_flat_scratch 0
		.amdhsa_float_round_mode_32 0
		.amdhsa_float_round_mode_16_64 0
		.amdhsa_float_denorm_mode_32 3
		.amdhsa_float_denorm_mode_16_64 3
		.amdhsa_dx10_clamp 1
		.amdhsa_ieee_mode 1
		.amdhsa_fp16_overflow 0
		.amdhsa_tg_split 0
		.amdhsa_exception_fp_ieee_invalid_op 0
		.amdhsa_exception_fp_denorm_src 0
		.amdhsa_exception_fp_ieee_div_zero 0
		.amdhsa_exception_fp_ieee_overflow 0
		.amdhsa_exception_fp_ieee_underflow 0
		.amdhsa_exception_fp_ieee_inexact 0
		.amdhsa_exception_int_div_zero 0
	.end_amdhsa_kernel
	.section	.text._ZN7rocprim17ROCPRIM_400000_NS6detail17trampoline_kernelINS0_14default_configENS1_36segmented_radix_sort_config_selectorIllEEZNS1_25segmented_radix_sort_implIS3_Lb1EPKlPlS8_S9_N2at6native12_GLOBAL__N_18offset_tEEE10hipError_tPvRmT1_PNSt15iterator_traitsISH_E10value_typeET2_T3_PNSI_ISN_E10value_typeET4_jRbjT5_ST_jjP12ihipStream_tbEUlT_E1_NS1_11comp_targetILNS1_3genE0ELNS1_11target_archE4294967295ELNS1_3gpuE0ELNS1_3repE0EEENS1_59segmented_radix_sort_warp_sort_small_config_static_selectorELNS0_4arch9wavefront6targetE1EEEvSH_,"axG",@progbits,_ZN7rocprim17ROCPRIM_400000_NS6detail17trampoline_kernelINS0_14default_configENS1_36segmented_radix_sort_config_selectorIllEEZNS1_25segmented_radix_sort_implIS3_Lb1EPKlPlS8_S9_N2at6native12_GLOBAL__N_18offset_tEEE10hipError_tPvRmT1_PNSt15iterator_traitsISH_E10value_typeET2_T3_PNSI_ISN_E10value_typeET4_jRbjT5_ST_jjP12ihipStream_tbEUlT_E1_NS1_11comp_targetILNS1_3genE0ELNS1_11target_archE4294967295ELNS1_3gpuE0ELNS1_3repE0EEENS1_59segmented_radix_sort_warp_sort_small_config_static_selectorELNS0_4arch9wavefront6targetE1EEEvSH_,comdat
.Lfunc_end724:
	.size	_ZN7rocprim17ROCPRIM_400000_NS6detail17trampoline_kernelINS0_14default_configENS1_36segmented_radix_sort_config_selectorIllEEZNS1_25segmented_radix_sort_implIS3_Lb1EPKlPlS8_S9_N2at6native12_GLOBAL__N_18offset_tEEE10hipError_tPvRmT1_PNSt15iterator_traitsISH_E10value_typeET2_T3_PNSI_ISN_E10value_typeET4_jRbjT5_ST_jjP12ihipStream_tbEUlT_E1_NS1_11comp_targetILNS1_3genE0ELNS1_11target_archE4294967295ELNS1_3gpuE0ELNS1_3repE0EEENS1_59segmented_radix_sort_warp_sort_small_config_static_selectorELNS0_4arch9wavefront6targetE1EEEvSH_, .Lfunc_end724-_ZN7rocprim17ROCPRIM_400000_NS6detail17trampoline_kernelINS0_14default_configENS1_36segmented_radix_sort_config_selectorIllEEZNS1_25segmented_radix_sort_implIS3_Lb1EPKlPlS8_S9_N2at6native12_GLOBAL__N_18offset_tEEE10hipError_tPvRmT1_PNSt15iterator_traitsISH_E10value_typeET2_T3_PNSI_ISN_E10value_typeET4_jRbjT5_ST_jjP12ihipStream_tbEUlT_E1_NS1_11comp_targetILNS1_3genE0ELNS1_11target_archE4294967295ELNS1_3gpuE0ELNS1_3repE0EEENS1_59segmented_radix_sort_warp_sort_small_config_static_selectorELNS0_4arch9wavefront6targetE1EEEvSH_
                                        ; -- End function
	.section	.AMDGPU.csdata,"",@progbits
; Kernel info:
; codeLenInByte = 0
; NumSgprs: 4
; NumVgprs: 0
; NumAgprs: 0
; TotalNumVgprs: 0
; ScratchSize: 0
; MemoryBound: 0
; FloatMode: 240
; IeeeMode: 1
; LDSByteSize: 0 bytes/workgroup (compile time only)
; SGPRBlocks: 0
; VGPRBlocks: 0
; NumSGPRsForWavesPerEU: 4
; NumVGPRsForWavesPerEU: 1
; AccumOffset: 4
; Occupancy: 8
; WaveLimiterHint : 0
; COMPUTE_PGM_RSRC2:SCRATCH_EN: 0
; COMPUTE_PGM_RSRC2:USER_SGPR: 6
; COMPUTE_PGM_RSRC2:TRAP_HANDLER: 0
; COMPUTE_PGM_RSRC2:TGID_X_EN: 1
; COMPUTE_PGM_RSRC2:TGID_Y_EN: 0
; COMPUTE_PGM_RSRC2:TGID_Z_EN: 0
; COMPUTE_PGM_RSRC2:TIDIG_COMP_CNT: 0
; COMPUTE_PGM_RSRC3_GFX90A:ACCUM_OFFSET: 0
; COMPUTE_PGM_RSRC3_GFX90A:TG_SPLIT: 0
	.section	.text._ZN7rocprim17ROCPRIM_400000_NS6detail17trampoline_kernelINS0_14default_configENS1_36segmented_radix_sort_config_selectorIllEEZNS1_25segmented_radix_sort_implIS3_Lb1EPKlPlS8_S9_N2at6native12_GLOBAL__N_18offset_tEEE10hipError_tPvRmT1_PNSt15iterator_traitsISH_E10value_typeET2_T3_PNSI_ISN_E10value_typeET4_jRbjT5_ST_jjP12ihipStream_tbEUlT_E1_NS1_11comp_targetILNS1_3genE5ELNS1_11target_archE942ELNS1_3gpuE9ELNS1_3repE0EEENS1_59segmented_radix_sort_warp_sort_small_config_static_selectorELNS0_4arch9wavefront6targetE1EEEvSH_,"axG",@progbits,_ZN7rocprim17ROCPRIM_400000_NS6detail17trampoline_kernelINS0_14default_configENS1_36segmented_radix_sort_config_selectorIllEEZNS1_25segmented_radix_sort_implIS3_Lb1EPKlPlS8_S9_N2at6native12_GLOBAL__N_18offset_tEEE10hipError_tPvRmT1_PNSt15iterator_traitsISH_E10value_typeET2_T3_PNSI_ISN_E10value_typeET4_jRbjT5_ST_jjP12ihipStream_tbEUlT_E1_NS1_11comp_targetILNS1_3genE5ELNS1_11target_archE942ELNS1_3gpuE9ELNS1_3repE0EEENS1_59segmented_radix_sort_warp_sort_small_config_static_selectorELNS0_4arch9wavefront6targetE1EEEvSH_,comdat
	.globl	_ZN7rocprim17ROCPRIM_400000_NS6detail17trampoline_kernelINS0_14default_configENS1_36segmented_radix_sort_config_selectorIllEEZNS1_25segmented_radix_sort_implIS3_Lb1EPKlPlS8_S9_N2at6native12_GLOBAL__N_18offset_tEEE10hipError_tPvRmT1_PNSt15iterator_traitsISH_E10value_typeET2_T3_PNSI_ISN_E10value_typeET4_jRbjT5_ST_jjP12ihipStream_tbEUlT_E1_NS1_11comp_targetILNS1_3genE5ELNS1_11target_archE942ELNS1_3gpuE9ELNS1_3repE0EEENS1_59segmented_radix_sort_warp_sort_small_config_static_selectorELNS0_4arch9wavefront6targetE1EEEvSH_ ; -- Begin function _ZN7rocprim17ROCPRIM_400000_NS6detail17trampoline_kernelINS0_14default_configENS1_36segmented_radix_sort_config_selectorIllEEZNS1_25segmented_radix_sort_implIS3_Lb1EPKlPlS8_S9_N2at6native12_GLOBAL__N_18offset_tEEE10hipError_tPvRmT1_PNSt15iterator_traitsISH_E10value_typeET2_T3_PNSI_ISN_E10value_typeET4_jRbjT5_ST_jjP12ihipStream_tbEUlT_E1_NS1_11comp_targetILNS1_3genE5ELNS1_11target_archE942ELNS1_3gpuE9ELNS1_3repE0EEENS1_59segmented_radix_sort_warp_sort_small_config_static_selectorELNS0_4arch9wavefront6targetE1EEEvSH_
	.p2align	8
	.type	_ZN7rocprim17ROCPRIM_400000_NS6detail17trampoline_kernelINS0_14default_configENS1_36segmented_radix_sort_config_selectorIllEEZNS1_25segmented_radix_sort_implIS3_Lb1EPKlPlS8_S9_N2at6native12_GLOBAL__N_18offset_tEEE10hipError_tPvRmT1_PNSt15iterator_traitsISH_E10value_typeET2_T3_PNSI_ISN_E10value_typeET4_jRbjT5_ST_jjP12ihipStream_tbEUlT_E1_NS1_11comp_targetILNS1_3genE5ELNS1_11target_archE942ELNS1_3gpuE9ELNS1_3repE0EEENS1_59segmented_radix_sort_warp_sort_small_config_static_selectorELNS0_4arch9wavefront6targetE1EEEvSH_,@function
_ZN7rocprim17ROCPRIM_400000_NS6detail17trampoline_kernelINS0_14default_configENS1_36segmented_radix_sort_config_selectorIllEEZNS1_25segmented_radix_sort_implIS3_Lb1EPKlPlS8_S9_N2at6native12_GLOBAL__N_18offset_tEEE10hipError_tPvRmT1_PNSt15iterator_traitsISH_E10value_typeET2_T3_PNSI_ISN_E10value_typeET4_jRbjT5_ST_jjP12ihipStream_tbEUlT_E1_NS1_11comp_targetILNS1_3genE5ELNS1_11target_archE942ELNS1_3gpuE9ELNS1_3repE0EEENS1_59segmented_radix_sort_warp_sort_small_config_static_selectorELNS0_4arch9wavefront6targetE1EEEvSH_: ; @_ZN7rocprim17ROCPRIM_400000_NS6detail17trampoline_kernelINS0_14default_configENS1_36segmented_radix_sort_config_selectorIllEEZNS1_25segmented_radix_sort_implIS3_Lb1EPKlPlS8_S9_N2at6native12_GLOBAL__N_18offset_tEEE10hipError_tPvRmT1_PNSt15iterator_traitsISH_E10value_typeET2_T3_PNSI_ISN_E10value_typeET4_jRbjT5_ST_jjP12ihipStream_tbEUlT_E1_NS1_11comp_targetILNS1_3genE5ELNS1_11target_archE942ELNS1_3gpuE9ELNS1_3repE0EEENS1_59segmented_radix_sort_warp_sort_small_config_static_selectorELNS0_4arch9wavefront6targetE1EEEvSH_
; %bb.0:
	.section	.rodata,"a",@progbits
	.p2align	6, 0x0
	.amdhsa_kernel _ZN7rocprim17ROCPRIM_400000_NS6detail17trampoline_kernelINS0_14default_configENS1_36segmented_radix_sort_config_selectorIllEEZNS1_25segmented_radix_sort_implIS3_Lb1EPKlPlS8_S9_N2at6native12_GLOBAL__N_18offset_tEEE10hipError_tPvRmT1_PNSt15iterator_traitsISH_E10value_typeET2_T3_PNSI_ISN_E10value_typeET4_jRbjT5_ST_jjP12ihipStream_tbEUlT_E1_NS1_11comp_targetILNS1_3genE5ELNS1_11target_archE942ELNS1_3gpuE9ELNS1_3repE0EEENS1_59segmented_radix_sort_warp_sort_small_config_static_selectorELNS0_4arch9wavefront6targetE1EEEvSH_
		.amdhsa_group_segment_fixed_size 0
		.amdhsa_private_segment_fixed_size 0
		.amdhsa_kernarg_size 88
		.amdhsa_user_sgpr_count 6
		.amdhsa_user_sgpr_private_segment_buffer 1
		.amdhsa_user_sgpr_dispatch_ptr 0
		.amdhsa_user_sgpr_queue_ptr 0
		.amdhsa_user_sgpr_kernarg_segment_ptr 1
		.amdhsa_user_sgpr_dispatch_id 0
		.amdhsa_user_sgpr_flat_scratch_init 0
		.amdhsa_user_sgpr_kernarg_preload_length 0
		.amdhsa_user_sgpr_kernarg_preload_offset 0
		.amdhsa_user_sgpr_private_segment_size 0
		.amdhsa_uses_dynamic_stack 0
		.amdhsa_system_sgpr_private_segment_wavefront_offset 0
		.amdhsa_system_sgpr_workgroup_id_x 1
		.amdhsa_system_sgpr_workgroup_id_y 0
		.amdhsa_system_sgpr_workgroup_id_z 0
		.amdhsa_system_sgpr_workgroup_info 0
		.amdhsa_system_vgpr_workitem_id 0
		.amdhsa_next_free_vgpr 1
		.amdhsa_next_free_sgpr 0
		.amdhsa_accum_offset 4
		.amdhsa_reserve_vcc 0
		.amdhsa_reserve_flat_scratch 0
		.amdhsa_float_round_mode_32 0
		.amdhsa_float_round_mode_16_64 0
		.amdhsa_float_denorm_mode_32 3
		.amdhsa_float_denorm_mode_16_64 3
		.amdhsa_dx10_clamp 1
		.amdhsa_ieee_mode 1
		.amdhsa_fp16_overflow 0
		.amdhsa_tg_split 0
		.amdhsa_exception_fp_ieee_invalid_op 0
		.amdhsa_exception_fp_denorm_src 0
		.amdhsa_exception_fp_ieee_div_zero 0
		.amdhsa_exception_fp_ieee_overflow 0
		.amdhsa_exception_fp_ieee_underflow 0
		.amdhsa_exception_fp_ieee_inexact 0
		.amdhsa_exception_int_div_zero 0
	.end_amdhsa_kernel
	.section	.text._ZN7rocprim17ROCPRIM_400000_NS6detail17trampoline_kernelINS0_14default_configENS1_36segmented_radix_sort_config_selectorIllEEZNS1_25segmented_radix_sort_implIS3_Lb1EPKlPlS8_S9_N2at6native12_GLOBAL__N_18offset_tEEE10hipError_tPvRmT1_PNSt15iterator_traitsISH_E10value_typeET2_T3_PNSI_ISN_E10value_typeET4_jRbjT5_ST_jjP12ihipStream_tbEUlT_E1_NS1_11comp_targetILNS1_3genE5ELNS1_11target_archE942ELNS1_3gpuE9ELNS1_3repE0EEENS1_59segmented_radix_sort_warp_sort_small_config_static_selectorELNS0_4arch9wavefront6targetE1EEEvSH_,"axG",@progbits,_ZN7rocprim17ROCPRIM_400000_NS6detail17trampoline_kernelINS0_14default_configENS1_36segmented_radix_sort_config_selectorIllEEZNS1_25segmented_radix_sort_implIS3_Lb1EPKlPlS8_S9_N2at6native12_GLOBAL__N_18offset_tEEE10hipError_tPvRmT1_PNSt15iterator_traitsISH_E10value_typeET2_T3_PNSI_ISN_E10value_typeET4_jRbjT5_ST_jjP12ihipStream_tbEUlT_E1_NS1_11comp_targetILNS1_3genE5ELNS1_11target_archE942ELNS1_3gpuE9ELNS1_3repE0EEENS1_59segmented_radix_sort_warp_sort_small_config_static_selectorELNS0_4arch9wavefront6targetE1EEEvSH_,comdat
.Lfunc_end725:
	.size	_ZN7rocprim17ROCPRIM_400000_NS6detail17trampoline_kernelINS0_14default_configENS1_36segmented_radix_sort_config_selectorIllEEZNS1_25segmented_radix_sort_implIS3_Lb1EPKlPlS8_S9_N2at6native12_GLOBAL__N_18offset_tEEE10hipError_tPvRmT1_PNSt15iterator_traitsISH_E10value_typeET2_T3_PNSI_ISN_E10value_typeET4_jRbjT5_ST_jjP12ihipStream_tbEUlT_E1_NS1_11comp_targetILNS1_3genE5ELNS1_11target_archE942ELNS1_3gpuE9ELNS1_3repE0EEENS1_59segmented_radix_sort_warp_sort_small_config_static_selectorELNS0_4arch9wavefront6targetE1EEEvSH_, .Lfunc_end725-_ZN7rocprim17ROCPRIM_400000_NS6detail17trampoline_kernelINS0_14default_configENS1_36segmented_radix_sort_config_selectorIllEEZNS1_25segmented_radix_sort_implIS3_Lb1EPKlPlS8_S9_N2at6native12_GLOBAL__N_18offset_tEEE10hipError_tPvRmT1_PNSt15iterator_traitsISH_E10value_typeET2_T3_PNSI_ISN_E10value_typeET4_jRbjT5_ST_jjP12ihipStream_tbEUlT_E1_NS1_11comp_targetILNS1_3genE5ELNS1_11target_archE942ELNS1_3gpuE9ELNS1_3repE0EEENS1_59segmented_radix_sort_warp_sort_small_config_static_selectorELNS0_4arch9wavefront6targetE1EEEvSH_
                                        ; -- End function
	.section	.AMDGPU.csdata,"",@progbits
; Kernel info:
; codeLenInByte = 0
; NumSgprs: 4
; NumVgprs: 0
; NumAgprs: 0
; TotalNumVgprs: 0
; ScratchSize: 0
; MemoryBound: 0
; FloatMode: 240
; IeeeMode: 1
; LDSByteSize: 0 bytes/workgroup (compile time only)
; SGPRBlocks: 0
; VGPRBlocks: 0
; NumSGPRsForWavesPerEU: 4
; NumVGPRsForWavesPerEU: 1
; AccumOffset: 4
; Occupancy: 8
; WaveLimiterHint : 0
; COMPUTE_PGM_RSRC2:SCRATCH_EN: 0
; COMPUTE_PGM_RSRC2:USER_SGPR: 6
; COMPUTE_PGM_RSRC2:TRAP_HANDLER: 0
; COMPUTE_PGM_RSRC2:TGID_X_EN: 1
; COMPUTE_PGM_RSRC2:TGID_Y_EN: 0
; COMPUTE_PGM_RSRC2:TGID_Z_EN: 0
; COMPUTE_PGM_RSRC2:TIDIG_COMP_CNT: 0
; COMPUTE_PGM_RSRC3_GFX90A:ACCUM_OFFSET: 0
; COMPUTE_PGM_RSRC3_GFX90A:TG_SPLIT: 0
	.text
	.p2align	2                               ; -- Begin function _ZN7rocprim17ROCPRIM_400000_NS6detail26segmented_warp_sort_helperINS1_20WarpSortHelperConfigILj8ELj4ELj256EEEllLi256ELb1EvE4sortIPKlPlS8_S9_EEvT_T0_T1_T2_jjjjRNS5_12storage_typeE
	.type	_ZN7rocprim17ROCPRIM_400000_NS6detail26segmented_warp_sort_helperINS1_20WarpSortHelperConfigILj8ELj4ELj256EEEllLi256ELb1EvE4sortIPKlPlS8_S9_EEvT_T0_T1_T2_jjjjRNS5_12storage_typeE,@function
_ZN7rocprim17ROCPRIM_400000_NS6detail26segmented_warp_sort_helperINS1_20WarpSortHelperConfigILj8ELj4ELj256EEEllLi256ELb1EvE4sortIPKlPlS8_S9_EEvT_T0_T1_T2_jjjjRNS5_12storage_typeE: ; @_ZN7rocprim17ROCPRIM_400000_NS6detail26segmented_warp_sort_helperINS1_20WarpSortHelperConfigILj8ELj4ELj256EEEllLi256ELb1EvE4sortIPKlPlS8_S9_EEvT_T0_T1_T2_jjjjRNS5_12storage_typeE
; %bb.0:
	s_waitcnt vmcnt(0) expcnt(0) lgkmcnt(0)
	v_sub_u32_e32 v18, v9, v8
	v_mov_b32_e32 v9, 0
	v_lshlrev_b64 v[80:81], 3, v[8:9]
	v_mbcnt_lo_u32_b32 v8, -1, 0
	v_mbcnt_hi_u32_b32 v8, -1, v8
	v_lshlrev_b32_e32 v83, 2, v8
	v_add_co_u32_e32 v0, vcc, v0, v80
	v_and_b32_e32 v84, 28, v83
	s_mov_b32 s10, 0
	v_addc_co_u32_e32 v1, vcc, v1, v81, vcc
	v_lshlrev_b32_e32 v82, 3, v84
	s_brev_b32 s11, 1
	v_add_co_u32_e32 v16, vcc, v0, v82
	v_addc_co_u32_e32 v17, vcc, 0, v1, vcc
	v_cmp_lt_u32_e64 s[4:5], v84, v18
	v_pk_mov_b32 v[8:9], s[10:11], s[10:11] op_sel:[0,1]
	s_and_saveexec_b64 s[6:7], s[4:5]
	s_cbranch_execz .LBB726_2
; %bb.1:
	flat_load_dwordx2 v[8:9], v[16:17]
.LBB726_2:
	s_or_b64 exec, exec, s[6:7]
	v_or_b32_e32 v0, 1, v84
	v_mov_b32_e32 v50, s10
	v_mov_b32_e32 v51, s11
	;; [unrolled: 1-line block ×6, first 2 shown]
	v_cmp_lt_u32_e64 s[6:7], v0, v18
	v_pk_mov_b32 v[0:1], s[10:11], s[10:11] op_sel:[0,1]
	s_and_saveexec_b64 s[10:11], s[6:7]
	s_cbranch_execz .LBB726_4
; %bb.3:
	flat_load_dwordx2 v[50:51], v[16:17] offset:8
	s_mov_b32 s14, 0
	s_brev_b32 s15, 1
	v_mov_b32_e32 v26, s14
	v_mov_b32_e32 v27, s15
	;; [unrolled: 1-line block ×4, first 2 shown]
	s_waitcnt vmcnt(0) lgkmcnt(0)
	v_pk_mov_b32 v[0:1], v[50:51], v[50:51] op_sel:[0,1]
.LBB726_4:
	s_or_b64 exec, exec, s[10:11]
	s_mov_b32 s14, 0
	v_or_b32_e32 v14, 2, v84
	s_brev_b32 s15, 1
	v_cmp_lt_u32_e64 s[16:17], v14, v18
	v_pk_mov_b32 v[14:15], s[14:15], s[14:15] op_sel:[0,1]
	s_and_saveexec_b64 s[10:11], s[16:17]
	s_cbranch_execz .LBB726_6
; %bb.5:
	flat_load_dwordx2 v[26:27], v[16:17] offset:16
	v_mov_b32_e32 v38, s14
	v_mov_b32_e32 v39, s15
	s_waitcnt vmcnt(0) lgkmcnt(0)
	v_pk_mov_b32 v[14:15], v[26:27], v[26:27] op_sel:[0,1]
.LBB726_6:
	s_or_b64 exec, exec, s[10:11]
	v_or_b32_e32 v19, 3, v84
	v_cmp_lt_u32_e64 s[10:11], v19, v18
	v_pk_mov_b32 v[20:21], s[14:15], s[14:15] op_sel:[0,1]
	s_and_saveexec_b64 s[14:15], s[10:11]
	s_cbranch_execz .LBB726_8
; %bb.7:
	flat_load_dwordx2 v[38:39], v[16:17] offset:24
	s_waitcnt vmcnt(0) lgkmcnt(0)
	v_pk_mov_b32 v[20:21], v[38:39], v[38:39] op_sel:[0,1]
.LBB726_8:
	s_or_b64 exec, exec, s[14:15]
	v_add_co_u32_e32 v4, vcc, v4, v80
	v_addc_co_u32_e32 v5, vcc, v5, v81, vcc
	v_add_co_u32_e32 v4, vcc, v4, v82
	v_addc_co_u32_e32 v5, vcc, 0, v5, vcc
	; wave barrier
                                        ; implicit-def: $vgpr64_vgpr65
	s_and_saveexec_b64 s[14:15], s[4:5]
	s_cbranch_execnz .LBB726_107
; %bb.9:
	s_or_b64 exec, exec, s[14:15]
	s_and_saveexec_b64 s[14:15], s[6:7]
	s_cbranch_execnz .LBB726_108
.LBB726_10:
	s_or_b64 exec, exec, s[14:15]
                                        ; implicit-def: $vgpr68_vgpr69
	s_and_saveexec_b64 s[14:15], s[16:17]
	s_cbranch_execnz .LBB726_109
.LBB726_11:
	s_or_b64 exec, exec, s[14:15]
	s_and_saveexec_b64 s[14:15], s[10:11]
	s_cbranch_execz .LBB726_13
.LBB726_12:
	flat_load_dwordx2 v[70:71], v[4:5] offset:24
.LBB726_13:
	s_or_b64 exec, exec, s[14:15]
	v_cmp_ne_u32_e32 vcc, 0, v10
	v_cmp_ne_u32_e64 s[14:15], 64, v11
	s_or_b64 s[14:15], vcc, s[14:15]
	v_bfe_u32 v16, v31, 10, 10
	v_bfe_u32 v17, v31, 20, 10
	; wave barrier
	s_and_saveexec_b64 s[18:19], s[14:15]
	s_xor_b64 s[26:27], exec, s[18:19]
	s_cbranch_execz .LBB726_55
; %bb.14:
	s_load_dwordx2 s[14:15], s[8:9], 0x0
	v_mov_b32_e32 v4, 0
	v_and_b32_e32 v22, 0x3ff, v31
	s_waitcnt lgkmcnt(0)
	s_cmp_lt_u32 s12, s14
	s_cselect_b32 s18, 12, 18
	s_cmp_lt_u32 s13, s15
	s_cselect_b32 s14, 14, 20
	s_add_u32 s14, s8, s14
	s_addc_u32 s15, s9, 0
	s_add_u32 s18, s8, s18
	s_addc_u32 s19, s9, 0
	global_load_ushort v18, v4, s[14:15]
	global_load_ushort v19, v4, s[18:19]
	v_lshlrev_b64 v[4:5], v11, -1
	v_lshlrev_b64 v[10:11], v10, -1
	v_xor_b32_e32 v4, v4, v10
	s_movk_i32 s14, 0x400
	v_xor_b32_e32 v5, v5, v11
	s_waitcnt vmcnt(0)
	v_mad_u32_u24 v10, v17, v18, v16
	v_mul_lo_u32 v10, v10, v19
	v_add_lshl_u32 v36, v10, v22, 2
	v_cmp_gt_u32_e32 vcc, s14, v36
	s_and_saveexec_b64 s[20:21], vcc
	s_cbranch_execz .LBB726_24
; %bb.15:
	v_and_b32_e32 v1, v1, v5
	v_and_b32_e32 v0, v0, v4
	;; [unrolled: 1-line block ×4, first 2 shown]
	v_cmp_gt_u64_e32 vcc, v[0:1], v[10:11]
	v_cndmask_b32_e32 v31, v51, v9, vcc
	v_cndmask_b32_e32 v30, v50, v8, vcc
	;; [unrolled: 1-line block ×4, first 2 shown]
	v_and_b32_e32 v1, v39, v5
	v_and_b32_e32 v0, v38, v4
	;; [unrolled: 1-line block ×4, first 2 shown]
	v_pk_mov_b32 v[34:35], v[38:39], v[38:39] op_sel:[0,1]
	v_cmp_gt_u64_e64 s[14:15], v[0:1], v[8:9]
	v_pk_mov_b32 v[10:11], v[68:69], v[68:69] op_sel:[0,1]
	v_pk_mov_b32 v[32:33], v[26:27], v[26:27] op_sel:[0,1]
	s_and_saveexec_b64 s[18:19], s[14:15]
; %bb.16:
	v_pk_mov_b32 v[14:15], v[26:27], v[26:27] op_sel:[0,1]
	v_pk_mov_b32 v[10:11], v[70:71], v[70:71] op_sel:[0,1]
	;; [unrolled: 1-line block ×7, first 2 shown]
; %bb.17:
	s_or_b64 exec, exec, s[18:19]
	v_cndmask_b32_e32 v1, v67, v65, vcc
	v_cndmask_b32_e32 v0, v66, v64, vcc
	v_and_b32_e32 v25, v31, v5
	v_and_b32_e32 v24, v30, v4
	v_pk_mov_b32 v[14:15], v[28:29], v[28:29] op_sel:[0,1]
	v_cmp_gt_i64_e64 s[14:15], v[8:9], v[24:25]
	v_pk_mov_b32 v[16:17], v[30:31], v[30:31] op_sel:[0,1]
	v_pk_mov_b32 v[18:19], v[32:33], v[32:33] op_sel:[0,1]
	;; [unrolled: 1-line block ×4, first 2 shown]
	s_and_saveexec_b64 s[18:19], s[14:15]
	s_xor_b64 s[14:15], exec, s[18:19]
	s_cbranch_execz .LBB726_19
; %bb.18:
	v_pk_mov_b32 v[14:15], v[28:29], v[28:29] op_sel:[0,1]
	v_pk_mov_b32 v[16:17], v[30:31], v[30:31] op_sel:[0,1]
	;; [unrolled: 1-line block ×4, first 2 shown]
	v_and_b32_e32 v25, v27, v5
	v_and_b32_e32 v24, v26, v4
	v_mov_b32_e32 v16, v26
	v_mov_b32_e32 v17, v27
	;; [unrolled: 1-line block ×6, first 2 shown]
	v_pk_mov_b32 v[22:23], v[10:11], v[10:11] op_sel:[0,1]
	v_pk_mov_b32 v[10:11], v[0:1], v[0:1] op_sel:[0,1]
	;; [unrolled: 1-line block ×3, first 2 shown]
.LBB726_19:
	s_or_b64 exec, exec, s[14:15]
	v_and_b32_e32 v1, v29, v5
	v_and_b32_e32 v0, v28, v4
	v_cmp_gt_i64_e64 s[14:15], v[24:25], v[0:1]
	v_and_b32_e32 v25, v21, v5
	v_and_b32_e32 v24, v20, v4
	;; [unrolled: 1-line block ×4, first 2 shown]
	v_cndmask_b32_e64 v1, v17, v15, s[14:15]
	v_cndmask_b32_e64 v0, v16, v14, s[14:15]
	;; [unrolled: 1-line block ×4, first 2 shown]
	v_cmp_gt_u64_e64 s[18:19], v[24:25], v[26:27]
	v_pk_mov_b32 v[16:17], v[10:11], v[10:11] op_sel:[0,1]
	v_pk_mov_b32 v[14:15], v[18:19], v[18:19] op_sel:[0,1]
	s_and_saveexec_b64 s[22:23], s[18:19]
; %bb.20:
	v_pk_mov_b32 v[28:29], v[18:19], v[18:19] op_sel:[0,1]
	v_pk_mov_b32 v[16:17], v[70:71], v[70:71] op_sel:[0,1]
	;; [unrolled: 1-line block ×7, first 2 shown]
; %bb.21:
	s_or_b64 exec, exec, s[22:23]
	v_cndmask_b32_e32 v10, v64, v66, vcc
	v_cndmask_b32_e32 v11, v65, v67, vcc
	v_cndmask_b32_e64 v65, v11, v23, s[14:15]
	v_cndmask_b32_e64 v64, v10, v22, s[14:15]
	;; [unrolled: 1-line block ×4, first 2 shown]
	v_and_b32_e32 v11, v1, v5
	v_and_b32_e32 v10, v0, v4
	v_cmp_gt_i64_e32 vcc, v[26:27], v[10:11]
	v_pk_mov_b32 v[68:69], v[16:17], v[16:17] op_sel:[0,1]
	s_and_saveexec_b64 s[14:15], vcc
; %bb.22:
	v_pk_mov_b32 v[14:15], v[0:1], v[0:1] op_sel:[0,1]
	v_pk_mov_b32 v[0:1], v[18:19], v[18:19] op_sel:[0,1]
	;; [unrolled: 1-line block ×4, first 2 shown]
; %bb.23:
	s_or_b64 exec, exec, s[14:15]
.LBB726_24:
	s_or_b64 exec, exec, s[20:21]
	v_and_b32_e32 v22, 0xffffff00, v36
	v_mov_b32_e32 v23, 0
	v_lshlrev_b64 v[10:11], 3, v[22:23]
	v_add_co_u32_e32 v26, vcc, v12, v10
	v_addc_co_u32_e32 v27, vcc, v13, v11, vcc
	v_add_co_u32_e32 v24, vcc, 0x2000, v26
	v_addc_co_u32_e32 v25, vcc, 0, v27, vcc
	v_lshlrev_b32_e32 v10, 3, v83
	v_add_co_u32_e32 v18, vcc, v26, v10
	v_addc_co_u32_e32 v19, vcc, 0, v27, vcc
	s_movk_i32 s14, 0x400
	v_add_co_u32_e32 v12, vcc, v24, v10
	v_mov_b32_e32 v10, v0
	v_mov_b32_e32 v11, v1
	v_sub_u32_e64 v28, s14, v22 clamp
	v_addc_co_u32_e32 v13, vcc, 0, v25, vcc
	flat_store_dwordx4 v[18:19], v[8:11]
	flat_store_dwordx4 v[12:13], v[64:67]
	v_or_b32_e32 v11, 4, v83
	v_min_u32_e32 v29, v28, v11
	v_add_u32_e32 v11, 4, v29
	v_mov_b32_e32 v16, v20
	v_mov_b32_e32 v17, v21
	v_and_b32_e32 v10, 0x1f8, v83
	v_min_u32_e32 v30, v28, v11
	v_and_b32_e32 v11, 4, v83
	flat_store_dwordx4 v[18:19], v[14:17] offset:16
	flat_store_dwordx4 v[12:13], v[68:71] offset:16
	v_min_u32_e32 v11, v28, v11
	v_sub_u32_e32 v17, v29, v10
	v_sub_u32_e32 v16, v30, v29
	v_sub_u32_e64 v16, v11, v16 clamp
	v_min_u32_e32 v17, v11, v17
	v_cmp_lt_u32_e32 vcc, v16, v17
	; wave barrier
	s_and_saveexec_b64 s[14:15], vcc
	s_cbranch_execz .LBB726_28
; %bb.25:
	v_lshlrev_b32_e32 v22, 3, v10
	v_add_co_u32_e32 v31, vcc, v26, v22
	v_addc_co_u32_e32 v32, vcc, 0, v27, vcc
	v_lshlrev_b32_e32 v22, 3, v29
	v_add_co_u32_e32 v33, vcc, v26, v22
	v_addc_co_u32_e32 v34, vcc, 0, v27, vcc
	s_mov_b64 s[18:19], 0
.LBB726_26:                             ; =>This Inner Loop Header: Depth=1
	v_add_u32_e32 v22, v17, v16
	v_lshrrev_b32_e32 v22, 1, v22
	v_lshlrev_b64 v[38:39], 3, v[22:23]
	v_mov_b32_e32 v37, v23
	v_xad_u32 v36, v22, -1, v11
	v_add_co_u32_e32 v38, vcc, v31, v38
	v_addc_co_u32_e32 v39, vcc, v32, v39, vcc
	v_lshlrev_b64 v[36:37], 3, v[36:37]
	v_add_co_u32_e32 v36, vcc, v33, v36
	v_addc_co_u32_e32 v37, vcc, v34, v37, vcc
	flat_load_dwordx2 v[38:39], v[38:39]
	v_add_u32_e32 v35, 1, v22
	flat_load_dwordx2 v[36:37], v[36:37]
	s_waitcnt vmcnt(0) lgkmcnt(0)
	v_and_b32_e32 v39, v39, v5
	v_and_b32_e32 v38, v38, v4
	;; [unrolled: 1-line block ×4, first 2 shown]
	v_cmp_gt_u64_e32 vcc, v[36:37], v[38:39]
	v_cndmask_b32_e32 v17, v17, v22, vcc
	v_cndmask_b32_e32 v16, v35, v16, vcc
	v_cmp_ge_u32_e32 vcc, v16, v17
	s_or_b64 s[18:19], vcc, s[18:19]
	s_andn2_b64 exec, exec, s[18:19]
	s_cbranch_execnz .LBB726_26
; %bb.27:
	s_or_b64 exec, exec, s[18:19]
.LBB726_28:
	s_or_b64 exec, exec, s[14:15]
	v_add_u32_e32 v11, v29, v11
	v_add_u32_e32 v10, v16, v10
	v_sub_u32_e32 v16, v11, v16
	v_cmp_le_u32_e32 vcc, v10, v29
	v_cmp_le_u32_e64 s[14:15], v16, v30
	s_or_b64 s[14:15], vcc, s[14:15]
	s_and_saveexec_b64 s[28:29], s[14:15]
	s_cbranch_execz .LBB726_34
; %bb.29:
	v_cmp_lt_u32_e32 vcc, v10, v29
                                        ; implicit-def: $vgpr0_vgpr1
	s_and_saveexec_b64 s[18:19], vcc
	s_cbranch_execz .LBB726_31
; %bb.30:
	v_mov_b32_e32 v11, 0
	v_lshlrev_b64 v[0:1], 3, v[10:11]
	v_add_co_u32_e64 v0, s[14:15], v26, v0
	v_addc_co_u32_e64 v1, s[14:15], v27, v1, s[14:15]
	flat_load_dwordx2 v[0:1], v[0:1]
.LBB726_31:
	s_or_b64 exec, exec, s[18:19]
	v_cmp_ge_u32_e64 s[14:15], v16, v30
	v_cmp_lt_u32_e64 s[18:19], v16, v30
                                        ; implicit-def: $vgpr8_vgpr9
	s_and_saveexec_b64 s[20:21], s[18:19]
	s_cbranch_execz .LBB726_33
; %bb.32:
	v_mov_b32_e32 v17, 0
	v_lshlrev_b64 v[8:9], 3, v[16:17]
	v_add_co_u32_e64 v8, s[18:19], v26, v8
	v_addc_co_u32_e64 v9, s[18:19], v27, v9, s[18:19]
	flat_load_dwordx2 v[8:9], v[8:9]
.LBB726_33:
	s_or_b64 exec, exec, s[20:21]
	s_waitcnt vmcnt(0) lgkmcnt(0)
	v_and_b32_e32 v15, v9, v5
	v_and_b32_e32 v14, v8, v4
	;; [unrolled: 1-line block ×4, first 2 shown]
	v_cmp_le_u64_e64 s[18:19], v[14:15], v[20:21]
	s_and_b64 s[18:19], vcc, s[18:19]
	s_or_b64 vcc, s[14:15], s[18:19]
	v_cndmask_b32_e32 v14, v16, v10, vcc
	v_cndmask_b32_e32 v11, v30, v29, vcc
	v_mov_b32_e32 v15, 0
	v_add_u32_e32 v17, 1, v14
	v_add_u32_e32 v11, -1, v11
	v_lshlrev_b64 v[20:21], 3, v[14:15]
	v_min_u32_e32 v14, v17, v11
	v_lshlrev_b64 v[22:23], 3, v[14:15]
	v_add_co_u32_e64 v22, s[14:15], v26, v22
	v_addc_co_u32_e64 v23, s[14:15], v27, v23, s[14:15]
	flat_load_dwordx2 v[22:23], v[22:23]
	v_cndmask_b32_e32 v31, v17, v16, vcc
	v_cndmask_b32_e32 v32, v10, v17, vcc
	v_cmp_lt_u32_e64 s[18:19], v32, v29
	v_cmp_ge_u32_e64 s[14:15], v31, v30
	s_waitcnt vmcnt(0) lgkmcnt(0)
	v_cndmask_b32_e32 v33, v23, v9, vcc
	v_cndmask_b32_e32 v34, v22, v8, vcc
	;; [unrolled: 1-line block ×4, first 2 shown]
	v_and_b32_e32 v11, v33, v5
	v_and_b32_e32 v10, v34, v4
	v_and_b32_e32 v17, v35, v5
	v_and_b32_e32 v16, v36, v4
	v_cmp_le_u64_e64 s[20:21], v[10:11], v[16:17]
	s_and_b64 s[18:19], s[18:19], s[20:21]
	s_or_b64 s[14:15], s[14:15], s[18:19]
	v_cndmask_b32_e64 v14, v31, v32, s[14:15]
	v_cndmask_b32_e64 v16, v30, v29, s[14:15]
	v_lshlrev_b64 v[10:11], 3, v[14:15]
	v_add_u32_e32 v22, 1, v14
	v_add_u32_e32 v14, -1, v16
	v_min_u32_e32 v14, v22, v14
	v_lshlrev_b64 v[16:17], 3, v[14:15]
	v_add_co_u32_e64 v16, s[18:19], v26, v16
	v_addc_co_u32_e64 v17, s[18:19], v27, v17, s[18:19]
	flat_load_dwordx2 v[16:17], v[16:17]
	v_cndmask_b32_e64 v31, v22, v31, s[14:15]
	v_cndmask_b32_e64 v32, v32, v22, s[14:15]
	v_cmp_lt_u32_e64 s[20:21], v32, v29
	v_cmp_ge_u32_e64 s[18:19], v31, v30
	v_cndmask_b32_e32 v9, v9, v1, vcc
	v_cndmask_b32_e32 v8, v8, v0, vcc
	v_cndmask_b32_e64 v1, v33, v35, s[14:15]
	v_cndmask_b32_e64 v0, v34, v36, s[14:15]
	s_waitcnt vmcnt(0) lgkmcnt(0)
	v_cndmask_b32_e64 v37, v17, v33, s[14:15]
	v_cndmask_b32_e64 v38, v16, v34, s[14:15]
	;; [unrolled: 1-line block ×4, first 2 shown]
	v_and_b32_e32 v17, v37, v5
	v_and_b32_e32 v16, v38, v4
	;; [unrolled: 1-line block ×4, first 2 shown]
	v_cmp_le_u64_e64 s[22:23], v[16:17], v[22:23]
	s_and_b64 s[20:21], s[20:21], s[22:23]
	s_or_b64 s[18:19], s[18:19], s[20:21]
	v_cndmask_b32_e64 v14, v31, v32, s[18:19]
	v_cndmask_b32_e64 v22, v30, v29, s[18:19]
	v_lshlrev_b64 v[16:17], 3, v[14:15]
	v_add_u32_e32 v49, 1, v14
	v_add_u32_e32 v14, -1, v22
	v_min_u32_e32 v14, v49, v14
	v_lshlrev_b64 v[22:23], 3, v[14:15]
	v_add_co_u32_e64 v22, s[20:21], v26, v22
	v_addc_co_u32_e64 v23, s[20:21], v27, v23, s[20:21]
	flat_load_dwordx2 v[22:23], v[22:23]
	v_add_co_u32_e64 v20, s[20:21], v24, v20
	v_addc_co_u32_e64 v21, s[20:21], v25, v21, s[20:21]
	v_add_co_u32_e64 v10, s[20:21], v24, v10
	v_addc_co_u32_e64 v11, s[20:21], v25, v11, s[20:21]
	flat_load_dwordx2 v[64:65], v[20:21]
	flat_load_dwordx2 v[66:67], v[10:11]
	v_add_co_u32_e64 v10, s[20:21], v24, v16
	v_addc_co_u32_e64 v11, s[20:21], v25, v17, s[20:21]
	v_cndmask_b32_e64 v20, v32, v49, s[18:19]
	flat_load_dwordx2 v[68:69], v[10:11]
	v_cmp_lt_u32_e64 s[22:23], v20, v29
	v_cndmask_b32_e64 v14, v49, v31, s[18:19]
	v_cmp_ge_u32_e64 s[20:21], v14, v30
	s_waitcnt vmcnt(0) lgkmcnt(0)
	v_cndmask_b32_e64 v21, v23, v37, s[18:19]
	v_cndmask_b32_e64 v29, v22, v38, s[18:19]
	v_cndmask_b32_e64 v23, v39, v23, s[18:19]
	v_cndmask_b32_e64 v22, v48, v22, s[18:19]
	v_and_b32_e32 v11, v21, v5
	v_and_b32_e32 v10, v29, v4
	;; [unrolled: 1-line block ×4, first 2 shown]
	v_cmp_le_u64_e64 s[24:25], v[10:11], v[16:17]
	s_and_b64 s[22:23], s[22:23], s[24:25]
	s_or_b64 s[20:21], s[20:21], s[22:23]
	v_cndmask_b32_e64 v14, v14, v20, s[20:21]
	v_lshlrev_b64 v[10:11], 3, v[14:15]
	v_add_co_u32_e64 v10, s[22:23], v24, v10
	v_addc_co_u32_e64 v11, s[22:23], v25, v11, s[22:23]
	flat_load_dwordx2 v[70:71], v[10:11]
	v_cndmask_b32_e64 v15, v37, v39, s[18:19]
	v_cndmask_b32_e64 v14, v38, v48, s[18:19]
	;; [unrolled: 1-line block ×4, first 2 shown]
.LBB726_34:
	s_or_b64 exec, exec, s[28:29]
	v_mov_b32_e32 v10, v0
	v_mov_b32_e32 v11, v1
	;; [unrolled: 1-line block ×4, first 2 shown]
	; wave barrier
	flat_store_dwordx4 v[18:19], v[8:11]
	flat_store_dwordx4 v[12:13], v[64:67]
	flat_store_dwordx4 v[18:19], v[14:17] offset:16
	s_waitcnt vmcnt(0) lgkmcnt(0)
	flat_store_dwordx4 v[12:13], v[68:71] offset:16
	v_and_b32_e32 v16, 0x1f0, v83
	v_or_b32_e32 v10, 8, v16
	v_min_u32_e32 v22, v28, v10
	v_add_u32_e32 v10, 8, v22
	v_min_u32_e32 v23, v28, v10
	v_and_b32_e32 v10, 12, v83
	v_min_u32_e32 v17, v28, v10
	v_sub_u32_e32 v10, v22, v16
	v_sub_u32_e32 v11, v23, v22
	v_sub_u32_e64 v29, v17, v11 clamp
	v_min_u32_e32 v30, v17, v10
	v_cmp_lt_u32_e32 vcc, v29, v30
	; wave barrier
	s_and_saveexec_b64 s[14:15], vcc
	s_cbranch_execz .LBB726_38
; %bb.35:
	v_lshlrev_b32_e32 v10, 3, v16
	v_add_co_u32_e32 v31, vcc, v26, v10
	v_addc_co_u32_e32 v32, vcc, 0, v27, vcc
	v_lshlrev_b32_e32 v10, 3, v22
	v_add_co_u32_e32 v33, vcc, v26, v10
	v_addc_co_u32_e32 v34, vcc, 0, v27, vcc
	s_mov_b64 s[18:19], 0
	v_mov_b32_e32 v11, 0
.LBB726_36:                             ; =>This Inner Loop Header: Depth=1
	v_add_u32_e32 v10, v30, v29
	v_lshrrev_b32_e32 v10, 1, v10
	v_lshlrev_b64 v[38:39], 3, v[10:11]
	v_mov_b32_e32 v37, v11
	v_xad_u32 v36, v10, -1, v17
	v_add_co_u32_e32 v38, vcc, v31, v38
	v_addc_co_u32_e32 v39, vcc, v32, v39, vcc
	v_lshlrev_b64 v[36:37], 3, v[36:37]
	v_add_co_u32_e32 v36, vcc, v33, v36
	v_addc_co_u32_e32 v37, vcc, v34, v37, vcc
	flat_load_dwordx2 v[38:39], v[38:39]
	v_add_u32_e32 v35, 1, v10
	flat_load_dwordx2 v[36:37], v[36:37]
	s_waitcnt vmcnt(0) lgkmcnt(0)
	v_and_b32_e32 v39, v39, v5
	v_and_b32_e32 v38, v38, v4
	;; [unrolled: 1-line block ×4, first 2 shown]
	v_cmp_gt_u64_e32 vcc, v[36:37], v[38:39]
	v_cndmask_b32_e32 v30, v30, v10, vcc
	v_cndmask_b32_e32 v29, v35, v29, vcc
	v_cmp_ge_u32_e32 vcc, v29, v30
	s_or_b64 s[18:19], vcc, s[18:19]
	s_andn2_b64 exec, exec, s[18:19]
	s_cbranch_execnz .LBB726_36
; %bb.37:
	s_or_b64 exec, exec, s[18:19]
.LBB726_38:
	s_or_b64 exec, exec, s[14:15]
	v_add_u32_e32 v11, v22, v17
	v_add_u32_e32 v10, v29, v16
	v_sub_u32_e32 v16, v11, v29
	v_cmp_le_u32_e32 vcc, v10, v22
	v_cmp_le_u32_e64 s[14:15], v16, v23
	s_or_b64 s[14:15], vcc, s[14:15]
	s_and_saveexec_b64 s[28:29], s[14:15]
	s_cbranch_execz .LBB726_44
; %bb.39:
	v_cmp_lt_u32_e32 vcc, v10, v22
                                        ; implicit-def: $vgpr0_vgpr1
	s_and_saveexec_b64 s[18:19], vcc
	s_cbranch_execz .LBB726_41
; %bb.40:
	v_mov_b32_e32 v11, 0
	v_lshlrev_b64 v[0:1], 3, v[10:11]
	v_add_co_u32_e64 v0, s[14:15], v26, v0
	v_addc_co_u32_e64 v1, s[14:15], v27, v1, s[14:15]
	flat_load_dwordx2 v[0:1], v[0:1]
.LBB726_41:
	s_or_b64 exec, exec, s[18:19]
	v_cmp_ge_u32_e64 s[14:15], v16, v23
	v_cmp_lt_u32_e64 s[18:19], v16, v23
                                        ; implicit-def: $vgpr8_vgpr9
	s_and_saveexec_b64 s[20:21], s[18:19]
	s_cbranch_execz .LBB726_43
; %bb.42:
	v_mov_b32_e32 v17, 0
	v_lshlrev_b64 v[8:9], 3, v[16:17]
	v_add_co_u32_e64 v8, s[18:19], v26, v8
	v_addc_co_u32_e64 v9, s[18:19], v27, v9, s[18:19]
	flat_load_dwordx2 v[8:9], v[8:9]
.LBB726_43:
	s_or_b64 exec, exec, s[20:21]
	s_waitcnt vmcnt(0) lgkmcnt(0)
	v_and_b32_e32 v15, v9, v5
	v_and_b32_e32 v14, v8, v4
	;; [unrolled: 1-line block ×4, first 2 shown]
	v_cmp_le_u64_e64 s[18:19], v[14:15], v[20:21]
	s_and_b64 s[18:19], vcc, s[18:19]
	s_or_b64 vcc, s[14:15], s[18:19]
	v_cndmask_b32_e32 v14, v16, v10, vcc
	v_cndmask_b32_e32 v11, v23, v22, vcc
	v_mov_b32_e32 v15, 0
	v_add_u32_e32 v17, 1, v14
	v_add_u32_e32 v11, -1, v11
	v_lshlrev_b64 v[20:21], 3, v[14:15]
	v_min_u32_e32 v14, v17, v11
	v_lshlrev_b64 v[30:31], 3, v[14:15]
	v_add_co_u32_e64 v30, s[14:15], v26, v30
	v_addc_co_u32_e64 v31, s[14:15], v27, v31, s[14:15]
	flat_load_dwordx2 v[30:31], v[30:31]
	v_cndmask_b32_e32 v29, v17, v16, vcc
	v_cndmask_b32_e32 v32, v10, v17, vcc
	v_cmp_lt_u32_e64 s[18:19], v32, v22
	v_cmp_ge_u32_e64 s[14:15], v29, v23
	s_waitcnt vmcnt(0) lgkmcnt(0)
	v_cndmask_b32_e32 v33, v31, v9, vcc
	v_cndmask_b32_e32 v34, v30, v8, vcc
	;; [unrolled: 1-line block ×4, first 2 shown]
	v_and_b32_e32 v11, v33, v5
	v_and_b32_e32 v10, v34, v4
	;; [unrolled: 1-line block ×4, first 2 shown]
	v_cmp_le_u64_e64 s[20:21], v[10:11], v[16:17]
	s_and_b64 s[18:19], s[18:19], s[20:21]
	s_or_b64 s[14:15], s[14:15], s[18:19]
	v_cndmask_b32_e64 v14, v29, v32, s[14:15]
	v_cndmask_b32_e64 v16, v23, v22, s[14:15]
	v_lshlrev_b64 v[10:11], 3, v[14:15]
	v_add_u32_e32 v30, 1, v14
	v_add_u32_e32 v14, -1, v16
	v_min_u32_e32 v14, v30, v14
	v_lshlrev_b64 v[16:17], 3, v[14:15]
	v_add_co_u32_e64 v16, s[18:19], v26, v16
	v_addc_co_u32_e64 v17, s[18:19], v27, v17, s[18:19]
	flat_load_dwordx2 v[16:17], v[16:17]
	v_cndmask_b32_e64 v29, v30, v29, s[14:15]
	v_cndmask_b32_e64 v32, v32, v30, s[14:15]
	v_cmp_lt_u32_e64 s[20:21], v32, v22
	v_cmp_ge_u32_e64 s[18:19], v29, v23
	v_cndmask_b32_e32 v9, v9, v1, vcc
	v_cndmask_b32_e32 v8, v8, v0, vcc
	v_cndmask_b32_e64 v1, v33, v35, s[14:15]
	v_cndmask_b32_e64 v0, v34, v36, s[14:15]
	s_waitcnt vmcnt(0) lgkmcnt(0)
	v_cndmask_b32_e64 v37, v17, v33, s[14:15]
	v_cndmask_b32_e64 v38, v16, v34, s[14:15]
	;; [unrolled: 1-line block ×4, first 2 shown]
	v_and_b32_e32 v17, v37, v5
	v_and_b32_e32 v16, v38, v4
	;; [unrolled: 1-line block ×4, first 2 shown]
	v_cmp_le_u64_e64 s[22:23], v[16:17], v[30:31]
	s_and_b64 s[20:21], s[20:21], s[22:23]
	s_or_b64 s[18:19], s[18:19], s[20:21]
	v_cndmask_b32_e64 v14, v29, v32, s[18:19]
	v_cndmask_b32_e64 v30, v23, v22, s[18:19]
	v_lshlrev_b64 v[16:17], 3, v[14:15]
	v_add_u32_e32 v49, 1, v14
	v_add_u32_e32 v14, -1, v30
	v_min_u32_e32 v14, v49, v14
	v_lshlrev_b64 v[30:31], 3, v[14:15]
	v_add_co_u32_e64 v30, s[20:21], v26, v30
	v_addc_co_u32_e64 v31, s[20:21], v27, v31, s[20:21]
	flat_load_dwordx2 v[30:31], v[30:31]
	v_add_co_u32_e64 v20, s[20:21], v24, v20
	v_addc_co_u32_e64 v21, s[20:21], v25, v21, s[20:21]
	v_add_co_u32_e64 v10, s[20:21], v24, v10
	v_addc_co_u32_e64 v11, s[20:21], v25, v11, s[20:21]
	flat_load_dwordx2 v[64:65], v[20:21]
	flat_load_dwordx2 v[66:67], v[10:11]
	v_add_co_u32_e64 v10, s[20:21], v24, v16
	v_addc_co_u32_e64 v11, s[20:21], v25, v17, s[20:21]
	v_cndmask_b32_e64 v14, v49, v29, s[18:19]
	v_cndmask_b32_e64 v20, v32, v49, s[18:19]
	flat_load_dwordx2 v[68:69], v[10:11]
	v_cmp_ge_u32_e64 s[20:21], v14, v23
	v_cmp_lt_u32_e64 s[22:23], v20, v22
	s_waitcnt vmcnt(0) lgkmcnt(0)
	v_cndmask_b32_e64 v21, v31, v37, s[18:19]
	v_cndmask_b32_e64 v22, v30, v38, s[18:19]
	;; [unrolled: 1-line block ×4, first 2 shown]
	v_and_b32_e32 v11, v21, v5
	v_and_b32_e32 v10, v22, v4
	;; [unrolled: 1-line block ×4, first 2 shown]
	v_cmp_le_u64_e64 s[24:25], v[10:11], v[16:17]
	s_and_b64 s[22:23], s[22:23], s[24:25]
	s_or_b64 s[20:21], s[20:21], s[22:23]
	v_cndmask_b32_e64 v14, v14, v20, s[20:21]
	v_lshlrev_b64 v[10:11], 3, v[14:15]
	v_add_co_u32_e64 v10, s[22:23], v24, v10
	v_addc_co_u32_e64 v11, s[22:23], v25, v11, s[22:23]
	flat_load_dwordx2 v[70:71], v[10:11]
	v_cndmask_b32_e64 v15, v37, v39, s[18:19]
	v_cndmask_b32_e64 v14, v38, v48, s[18:19]
	;; [unrolled: 1-line block ×4, first 2 shown]
.LBB726_44:
	s_or_b64 exec, exec, s[28:29]
	v_mov_b32_e32 v10, v0
	v_mov_b32_e32 v11, v1
	;; [unrolled: 1-line block ×4, first 2 shown]
	; wave barrier
	flat_store_dwordx4 v[18:19], v[8:11]
	flat_store_dwordx4 v[12:13], v[64:67]
	flat_store_dwordx4 v[18:19], v[14:17] offset:16
	s_waitcnt vmcnt(0) lgkmcnt(0)
	flat_store_dwordx4 v[12:13], v[68:71] offset:16
	v_and_b32_e32 v12, 0x1e0, v83
	v_or_b32_e32 v10, 16, v12
	v_min_u32_e32 v16, v28, v10
	v_add_u32_e32 v10, 16, v16
	v_min_u32_e32 v17, v28, v10
	v_min_u32_e32 v13, v28, v84
	v_sub_u32_e32 v10, v16, v12
	v_sub_u32_e32 v11, v17, v16
	v_sub_u32_e64 v18, v13, v11 clamp
	v_min_u32_e32 v19, v13, v10
	v_cmp_lt_u32_e32 vcc, v18, v19
	; wave barrier
	s_and_saveexec_b64 s[14:15], vcc
	s_cbranch_execz .LBB726_48
; %bb.45:
	v_lshlrev_b32_e32 v10, 3, v12
	v_add_co_u32_e32 v22, vcc, v26, v10
	v_addc_co_u32_e32 v23, vcc, 0, v27, vcc
	v_lshlrev_b32_e32 v10, 3, v16
	v_add_co_u32_e32 v28, vcc, v26, v10
	v_addc_co_u32_e32 v29, vcc, 0, v27, vcc
	s_mov_b64 s[18:19], 0
	v_mov_b32_e32 v11, 0
.LBB726_46:                             ; =>This Inner Loop Header: Depth=1
	v_add_u32_e32 v10, v19, v18
	v_lshrrev_b32_e32 v10, 1, v10
	v_lshlrev_b64 v[32:33], 3, v[10:11]
	v_mov_b32_e32 v31, v11
	v_xad_u32 v30, v10, -1, v13
	v_add_co_u32_e32 v32, vcc, v22, v32
	v_addc_co_u32_e32 v33, vcc, v23, v33, vcc
	v_lshlrev_b64 v[30:31], 3, v[30:31]
	v_add_co_u32_e32 v30, vcc, v28, v30
	v_addc_co_u32_e32 v31, vcc, v29, v31, vcc
	flat_load_dwordx2 v[32:33], v[32:33]
	v_add_u32_e32 v34, 1, v10
	flat_load_dwordx2 v[30:31], v[30:31]
	s_waitcnt vmcnt(0) lgkmcnt(0)
	v_and_b32_e32 v33, v33, v5
	v_and_b32_e32 v32, v32, v4
	;; [unrolled: 1-line block ×4, first 2 shown]
	v_cmp_gt_u64_e32 vcc, v[30:31], v[32:33]
	v_cndmask_b32_e32 v19, v19, v10, vcc
	v_cndmask_b32_e32 v18, v34, v18, vcc
	v_cmp_ge_u32_e32 vcc, v18, v19
	s_or_b64 s[18:19], vcc, s[18:19]
	s_andn2_b64 exec, exec, s[18:19]
	s_cbranch_execnz .LBB726_46
; %bb.47:
	s_or_b64 exec, exec, s[18:19]
.LBB726_48:
	s_or_b64 exec, exec, s[14:15]
	v_add_u32_e32 v11, v16, v13
	v_add_u32_e32 v10, v18, v12
	v_sub_u32_e32 v12, v11, v18
	v_cmp_le_u32_e32 vcc, v10, v16
	v_cmp_le_u32_e64 s[14:15], v12, v17
	s_or_b64 s[14:15], vcc, s[14:15]
	s_and_saveexec_b64 s[28:29], s[14:15]
	s_cbranch_execz .LBB726_54
; %bb.49:
	v_cmp_lt_u32_e32 vcc, v10, v16
                                        ; implicit-def: $vgpr0_vgpr1
	s_and_saveexec_b64 s[18:19], vcc
	s_cbranch_execz .LBB726_51
; %bb.50:
	v_mov_b32_e32 v11, 0
	v_lshlrev_b64 v[0:1], 3, v[10:11]
	v_add_co_u32_e64 v0, s[14:15], v26, v0
	v_addc_co_u32_e64 v1, s[14:15], v27, v1, s[14:15]
	flat_load_dwordx2 v[0:1], v[0:1]
.LBB726_51:
	s_or_b64 exec, exec, s[18:19]
	v_cmp_ge_u32_e64 s[14:15], v12, v17
	v_cmp_lt_u32_e64 s[18:19], v12, v17
                                        ; implicit-def: $vgpr8_vgpr9
	s_and_saveexec_b64 s[20:21], s[18:19]
	s_cbranch_execz .LBB726_53
; %bb.52:
	v_mov_b32_e32 v13, 0
	v_lshlrev_b64 v[8:9], 3, v[12:13]
	v_add_co_u32_e64 v8, s[18:19], v26, v8
	v_addc_co_u32_e64 v9, s[18:19], v27, v9, s[18:19]
	flat_load_dwordx2 v[8:9], v[8:9]
.LBB726_53:
	s_or_b64 exec, exec, s[20:21]
	s_waitcnt vmcnt(0) lgkmcnt(0)
	v_and_b32_e32 v15, v9, v5
	v_and_b32_e32 v14, v8, v4
	;; [unrolled: 1-line block ×4, first 2 shown]
	v_cmp_le_u64_e64 s[18:19], v[14:15], v[18:19]
	s_and_b64 s[18:19], vcc, s[18:19]
	s_or_b64 vcc, s[14:15], s[18:19]
	v_cndmask_b32_e32 v14, v12, v10, vcc
	v_cndmask_b32_e32 v11, v17, v16, vcc
	v_mov_b32_e32 v15, 0
	v_add_u32_e32 v13, 1, v14
	v_add_u32_e32 v11, -1, v11
	v_lshlrev_b64 v[18:19], 3, v[14:15]
	v_min_u32_e32 v14, v13, v11
	v_lshlrev_b64 v[20:21], 3, v[14:15]
	v_add_co_u32_e64 v20, s[14:15], v26, v20
	v_addc_co_u32_e64 v21, s[14:15], v27, v21, s[14:15]
	flat_load_dwordx2 v[20:21], v[20:21]
	v_cndmask_b32_e32 v22, v13, v12, vcc
	v_cndmask_b32_e32 v23, v10, v13, vcc
	v_cmp_lt_u32_e64 s[18:19], v23, v16
	v_cmp_ge_u32_e64 s[14:15], v22, v17
	s_waitcnt vmcnt(0) lgkmcnt(0)
	v_cndmask_b32_e32 v28, v21, v9, vcc
	v_cndmask_b32_e32 v29, v20, v8, vcc
	;; [unrolled: 1-line block ×4, first 2 shown]
	v_and_b32_e32 v11, v28, v5
	v_and_b32_e32 v10, v29, v4
	;; [unrolled: 1-line block ×4, first 2 shown]
	v_cmp_le_u64_e64 s[20:21], v[10:11], v[12:13]
	s_and_b64 s[18:19], s[18:19], s[20:21]
	s_or_b64 s[14:15], s[14:15], s[18:19]
	v_cndmask_b32_e64 v14, v22, v23, s[14:15]
	v_cndmask_b32_e64 v12, v17, v16, s[14:15]
	v_add_u32_e32 v20, 1, v14
	v_add_u32_e32 v12, -1, v12
	v_lshlrev_b64 v[10:11], 3, v[14:15]
	v_min_u32_e32 v14, v20, v12
	v_lshlrev_b64 v[12:13], 3, v[14:15]
	v_add_co_u32_e64 v12, s[18:19], v26, v12
	v_addc_co_u32_e64 v13, s[18:19], v27, v13, s[18:19]
	flat_load_dwordx2 v[12:13], v[12:13]
	v_cndmask_b32_e64 v22, v20, v22, s[14:15]
	v_cndmask_b32_e64 v23, v23, v20, s[14:15]
	v_cmp_lt_u32_e64 s[20:21], v23, v16
	v_cmp_ge_u32_e64 s[18:19], v22, v17
	v_cndmask_b32_e32 v9, v9, v1, vcc
	v_cndmask_b32_e32 v8, v8, v0, vcc
	v_cndmask_b32_e64 v1, v28, v30, s[14:15]
	v_cndmask_b32_e64 v0, v29, v31, s[14:15]
	s_waitcnt vmcnt(0) lgkmcnt(0)
	v_cndmask_b32_e64 v32, v13, v28, s[14:15]
	v_cndmask_b32_e64 v33, v12, v29, s[14:15]
	;; [unrolled: 1-line block ×4, first 2 shown]
	v_and_b32_e32 v13, v32, v5
	v_and_b32_e32 v12, v33, v4
	;; [unrolled: 1-line block ×4, first 2 shown]
	v_cmp_le_u64_e64 s[22:23], v[12:13], v[20:21]
	s_and_b64 s[20:21], s[20:21], s[22:23]
	s_or_b64 s[18:19], s[18:19], s[20:21]
	v_cndmask_b32_e64 v14, v22, v23, s[18:19]
	v_cndmask_b32_e64 v20, v17, v16, s[18:19]
	v_lshlrev_b64 v[12:13], 3, v[14:15]
	v_add_u32_e32 v36, 1, v14
	v_add_u32_e32 v14, -1, v20
	v_min_u32_e32 v14, v36, v14
	v_lshlrev_b64 v[20:21], 3, v[14:15]
	v_add_co_u32_e64 v20, s[20:21], v26, v20
	v_addc_co_u32_e64 v21, s[20:21], v27, v21, s[20:21]
	flat_load_dwordx2 v[20:21], v[20:21]
	v_add_co_u32_e64 v18, s[20:21], v24, v18
	v_addc_co_u32_e64 v19, s[20:21], v25, v19, s[20:21]
	v_add_co_u32_e64 v10, s[20:21], v24, v10
	v_addc_co_u32_e64 v11, s[20:21], v25, v11, s[20:21]
	flat_load_dwordx2 v[64:65], v[18:19]
	flat_load_dwordx2 v[66:67], v[10:11]
	v_add_co_u32_e64 v10, s[20:21], v24, v12
	v_addc_co_u32_e64 v11, s[20:21], v25, v13, s[20:21]
	v_cndmask_b32_e64 v12, v36, v22, s[18:19]
	v_cndmask_b32_e64 v13, v23, v36, s[18:19]
	flat_load_dwordx2 v[68:69], v[10:11]
	v_cmp_ge_u32_e64 s[20:21], v12, v17
	v_cmp_lt_u32_e64 s[22:23], v13, v16
	s_waitcnt vmcnt(0) lgkmcnt(0)
	v_cndmask_b32_e64 v16, v21, v32, s[18:19]
	v_cndmask_b32_e64 v17, v20, v33, s[18:19]
	v_cndmask_b32_e64 v18, v34, v21, s[18:19]
	v_cndmask_b32_e64 v19, v35, v20, s[18:19]
	v_and_b32_e32 v11, v16, v5
	v_and_b32_e32 v10, v17, v4
	;; [unrolled: 1-line block ×4, first 2 shown]
	v_cmp_le_u64_e64 s[24:25], v[10:11], v[4:5]
	s_and_b64 s[22:23], s[22:23], s[24:25]
	s_or_b64 s[20:21], s[20:21], s[22:23]
	v_cndmask_b32_e64 v14, v12, v13, s[20:21]
	v_lshlrev_b64 v[4:5], 3, v[14:15]
	v_add_co_u32_e64 v4, s[22:23], v24, v4
	v_addc_co_u32_e64 v5, s[22:23], v25, v5, s[22:23]
	flat_load_dwordx2 v[70:71], v[4:5]
	v_cndmask_b32_e64 v15, v32, v34, s[18:19]
	v_cndmask_b32_e64 v14, v33, v35, s[18:19]
	;; [unrolled: 1-line block ×4, first 2 shown]
.LBB726_54:
	s_or_b64 exec, exec, s[28:29]
	; wave barrier
	s_waitcnt lgkmcnt(0)
	s_barrier
                                        ; implicit-def: $vgpr83
                                        ; implicit-def: $vgpr12
                                        ; implicit-def: $vgpr13
                                        ; implicit-def: $vgpr84
                                        ; implicit-def: $vgpr31
                                        ; implicit-def: $vgpr16
                                        ; implicit-def: $vgpr17
                                        ; implicit-def: $vgpr48_vgpr49_vgpr50_vgpr51_vgpr52_vgpr53_vgpr54_vgpr55
                                        ; implicit-def: $vgpr22_vgpr23_vgpr24_vgpr25_vgpr26_vgpr27_vgpr28_vgpr29
                                        ; implicit-def: $vgpr32_vgpr33_vgpr34_vgpr35_vgpr36_vgpr37_vgpr38_vgpr39
.LBB726_55:
	s_andn2_saveexec_b64 s[22:23], s[26:27]
	s_cbranch_execz .LBB726_97
; %bb.56:
	s_load_dwordx2 s[14:15], s[8:9], 0x0
	v_mov_b32_e32 v4, 0
	s_waitcnt lgkmcnt(0)
	s_cmp_lt_u32 s12, s14
	s_cselect_b32 s14, 12, 18
	s_cmp_lt_u32 s13, s15
	s_cselect_b32 s12, 14, 20
	s_add_u32 s12, s8, s12
	s_addc_u32 s13, s9, 0
	s_add_u32 s8, s8, s14
	s_addc_u32 s9, s9, 0
	global_load_ushort v5, v4, s[12:13]
	global_load_ushort v10, v4, s[8:9]
	v_and_b32_e32 v4, 0x3ff, v31
	s_movk_i32 s8, 0x400
	s_waitcnt vmcnt(0)
	v_mad_u32_u24 v5, v17, v5, v16
	v_mul_lo_u32 v5, v5, v10
	v_add_lshl_u32 v22, v5, v4, 2
	v_cmp_gt_u32_e32 vcc, s8, v22
	s_and_saveexec_b64 s[14:15], vcc
	s_cbranch_execz .LBB726_66
; %bb.57:
	v_cmp_gt_i64_e32 vcc, v[0:1], v[8:9]
	v_cndmask_b32_e32 v31, v51, v9, vcc
	v_cndmask_b32_e32 v30, v50, v8, vcc
	;; [unrolled: 1-line block ×4, first 2 shown]
	v_pk_mov_b32 v[34:35], v[38:39], v[38:39] op_sel:[0,1]
	v_cmp_gt_i64_e64 s[8:9], v[38:39], v[26:27]
	v_pk_mov_b32 v[4:5], v[68:69], v[68:69] op_sel:[0,1]
	v_pk_mov_b32 v[32:33], v[26:27], v[26:27] op_sel:[0,1]
	s_and_saveexec_b64 s[12:13], s[8:9]
; %bb.58:
	v_pk_mov_b32 v[0:1], v[26:27], v[26:27] op_sel:[0,1]
	v_pk_mov_b32 v[4:5], v[70:71], v[70:71] op_sel:[0,1]
	;; [unrolled: 1-line block ×6, first 2 shown]
; %bb.59:
	s_or_b64 exec, exec, s[12:13]
	v_cndmask_b32_e32 v1, v67, v65, vcc
	v_cndmask_b32_e32 v0, v66, v64, vcc
	v_pk_mov_b32 v[14:15], v[28:29], v[28:29] op_sel:[0,1]
	v_cmp_gt_i64_e64 s[8:9], v[26:27], v[30:31]
	v_pk_mov_b32 v[16:17], v[30:31], v[30:31] op_sel:[0,1]
	v_pk_mov_b32 v[18:19], v[32:33], v[32:33] op_sel:[0,1]
	;; [unrolled: 1-line block ×4, first 2 shown]
	s_and_saveexec_b64 s[12:13], s[8:9]
	s_xor_b64 s[8:9], exec, s[12:13]
	s_cbranch_execz .LBB726_61
; %bb.60:
	v_pk_mov_b32 v[14:15], v[28:29], v[28:29] op_sel:[0,1]
	v_pk_mov_b32 v[16:17], v[30:31], v[30:31] op_sel:[0,1]
	;; [unrolled: 1-line block ×4, first 2 shown]
	v_mov_b32_e32 v16, v26
	v_mov_b32_e32 v17, v27
	;; [unrolled: 1-line block ×6, first 2 shown]
	v_pk_mov_b32 v[10:11], v[4:5], v[4:5] op_sel:[0,1]
	v_pk_mov_b32 v[4:5], v[0:1], v[0:1] op_sel:[0,1]
	v_pk_mov_b32 v[30:31], v[26:27], v[26:27] op_sel:[0,1]
.LBB726_61:
	s_or_b64 exec, exec, s[8:9]
	v_cmp_gt_i64_e64 s[8:9], v[30:31], v[28:29]
	v_cndmask_b32_e64 v1, v17, v15, s[8:9]
	v_cndmask_b32_e64 v0, v16, v14, s[8:9]
	;; [unrolled: 1-line block ×4, first 2 shown]
	v_cmp_gt_i64_e64 s[12:13], v[20:21], v[18:19]
	v_pk_mov_b32 v[16:17], v[4:5], v[4:5] op_sel:[0,1]
	v_pk_mov_b32 v[14:15], v[18:19], v[18:19] op_sel:[0,1]
	s_and_saveexec_b64 s[18:19], s[12:13]
; %bb.62:
	v_pk_mov_b32 v[24:25], v[18:19], v[18:19] op_sel:[0,1]
	v_pk_mov_b32 v[16:17], v[70:71], v[70:71] op_sel:[0,1]
	;; [unrolled: 1-line block ×6, first 2 shown]
; %bb.63:
	s_or_b64 exec, exec, s[18:19]
	v_cndmask_b32_e32 v4, v64, v66, vcc
	v_cndmask_b32_e32 v5, v65, v67, vcc
	v_cndmask_b32_e64 v65, v5, v11, s[8:9]
	v_cndmask_b32_e64 v64, v4, v10, s[8:9]
	;; [unrolled: 1-line block ×4, first 2 shown]
	v_cmp_gt_i64_e32 vcc, v[18:19], v[0:1]
	v_pk_mov_b32 v[68:69], v[16:17], v[16:17] op_sel:[0,1]
	s_and_saveexec_b64 s[8:9], vcc
; %bb.64:
	v_pk_mov_b32 v[14:15], v[0:1], v[0:1] op_sel:[0,1]
	v_pk_mov_b32 v[0:1], v[18:19], v[18:19] op_sel:[0,1]
	;; [unrolled: 1-line block ×4, first 2 shown]
; %bb.65:
	s_or_b64 exec, exec, s[8:9]
.LBB726_66:
	s_or_b64 exec, exec, s[14:15]
	v_and_b32_e32 v18, 0xffffff00, v22
	v_mov_b32_e32 v19, 0
	v_lshlrev_b64 v[4:5], 3, v[18:19]
	v_add_co_u32_e32 v24, vcc, v12, v4
	v_addc_co_u32_e32 v25, vcc, v13, v5, vcc
	v_add_co_u32_e32 v22, vcc, 0x2000, v24
	v_addc_co_u32_e32 v23, vcc, 0, v25, vcc
	v_lshlrev_b32_e32 v4, 3, v83
	v_add_co_u32_e32 v12, vcc, v24, v4
	v_addc_co_u32_e32 v13, vcc, 0, v25, vcc
	s_movk_i32 s8, 0x400
	v_add_co_u32_e32 v4, vcc, v22, v4
	v_mov_b32_e32 v10, v0
	v_mov_b32_e32 v11, v1
	v_sub_u32_e64 v26, s8, v18 clamp
	v_addc_co_u32_e32 v5, vcc, 0, v23, vcc
	flat_store_dwordx4 v[12:13], v[8:11]
	flat_store_dwordx4 v[4:5], v[64:67]
	v_or_b32_e32 v11, 4, v83
	v_min_u32_e32 v27, v26, v11
	v_add_u32_e32 v11, 4, v27
	v_mov_b32_e32 v16, v20
	v_mov_b32_e32 v17, v21
	v_and_b32_e32 v10, 0x1f8, v83
	v_min_u32_e32 v28, v26, v11
	v_and_b32_e32 v11, 4, v83
	flat_store_dwordx4 v[12:13], v[14:17] offset:16
	flat_store_dwordx4 v[4:5], v[68:71] offset:16
	v_min_u32_e32 v11, v26, v11
	v_sub_u32_e32 v17, v27, v10
	v_sub_u32_e32 v16, v28, v27
	v_sub_u32_e64 v16, v11, v16 clamp
	v_min_u32_e32 v17, v11, v17
	v_cmp_lt_u32_e32 vcc, v16, v17
	; wave barrier
	s_and_saveexec_b64 s[8:9], vcc
	s_cbranch_execz .LBB726_70
; %bb.67:
	v_lshlrev_b32_e32 v18, 3, v10
	v_add_co_u32_e32 v29, vcc, v24, v18
	v_addc_co_u32_e32 v30, vcc, 0, v25, vcc
	v_lshlrev_b32_e32 v18, 3, v27
	v_add_co_u32_e32 v31, vcc, v24, v18
	v_addc_co_u32_e32 v32, vcc, 0, v25, vcc
	s_mov_b64 s[12:13], 0
.LBB726_68:                             ; =>This Inner Loop Header: Depth=1
	v_add_u32_e32 v18, v17, v16
	v_lshrrev_b32_e32 v18, 1, v18
	v_lshlrev_b64 v[36:37], 3, v[18:19]
	v_mov_b32_e32 v35, v19
	v_xad_u32 v34, v18, -1, v11
	v_add_co_u32_e32 v36, vcc, v29, v36
	v_addc_co_u32_e32 v37, vcc, v30, v37, vcc
	v_lshlrev_b64 v[34:35], 3, v[34:35]
	v_add_co_u32_e32 v34, vcc, v31, v34
	v_addc_co_u32_e32 v35, vcc, v32, v35, vcc
	flat_load_dwordx2 v[38:39], v[36:37]
	flat_load_dwordx2 v[48:49], v[34:35]
	v_add_u32_e32 v33, 1, v18
	s_waitcnt vmcnt(0) lgkmcnt(0)
	v_cmp_gt_i64_e32 vcc, v[48:49], v[38:39]
	v_cndmask_b32_e32 v17, v17, v18, vcc
	v_cndmask_b32_e32 v16, v33, v16, vcc
	v_cmp_ge_u32_e32 vcc, v16, v17
	s_or_b64 s[12:13], vcc, s[12:13]
	s_andn2_b64 exec, exec, s[12:13]
	s_cbranch_execnz .LBB726_68
; %bb.69:
	s_or_b64 exec, exec, s[12:13]
.LBB726_70:
	s_or_b64 exec, exec, s[8:9]
	v_add_u32_e32 v11, v27, v11
	v_add_u32_e32 v10, v16, v10
	v_sub_u32_e32 v16, v11, v16
	v_cmp_le_u32_e32 vcc, v10, v27
	v_cmp_le_u32_e64 s[8:9], v16, v28
	s_or_b64 s[8:9], vcc, s[8:9]
	s_and_saveexec_b64 s[24:25], s[8:9]
	s_cbranch_execz .LBB726_76
; %bb.71:
	v_cmp_lt_u32_e32 vcc, v10, v27
                                        ; implicit-def: $vgpr0_vgpr1
	s_and_saveexec_b64 s[12:13], vcc
	s_cbranch_execz .LBB726_73
; %bb.72:
	v_mov_b32_e32 v11, 0
	v_lshlrev_b64 v[0:1], 3, v[10:11]
	v_add_co_u32_e64 v0, s[8:9], v24, v0
	v_addc_co_u32_e64 v1, s[8:9], v25, v1, s[8:9]
	flat_load_dwordx2 v[0:1], v[0:1]
.LBB726_73:
	s_or_b64 exec, exec, s[12:13]
	v_cmp_ge_u32_e64 s[8:9], v16, v28
	v_cmp_lt_u32_e64 s[12:13], v16, v28
                                        ; implicit-def: $vgpr8_vgpr9
	s_and_saveexec_b64 s[14:15], s[12:13]
	s_cbranch_execz .LBB726_75
; %bb.74:
	v_mov_b32_e32 v17, 0
	v_lshlrev_b64 v[8:9], 3, v[16:17]
	v_add_co_u32_e64 v8, s[12:13], v24, v8
	v_addc_co_u32_e64 v9, s[12:13], v25, v9, s[12:13]
	flat_load_dwordx2 v[8:9], v[8:9]
.LBB726_75:
	s_or_b64 exec, exec, s[14:15]
	s_waitcnt vmcnt(0) lgkmcnt(0)
	v_cmp_le_i64_e64 s[12:13], v[8:9], v[0:1]
	s_and_b64 s[12:13], vcc, s[12:13]
	s_or_b64 vcc, s[8:9], s[12:13]
	v_cndmask_b32_e32 v14, v16, v10, vcc
	v_cndmask_b32_e32 v11, v28, v27, vcc
	v_mov_b32_e32 v15, 0
	v_add_u32_e32 v17, 1, v14
	v_add_u32_e32 v11, -1, v11
	v_lshlrev_b64 v[18:19], 3, v[14:15]
	v_min_u32_e32 v14, v17, v11
	v_lshlrev_b64 v[20:21], 3, v[14:15]
	v_add_co_u32_e64 v20, s[8:9], v24, v20
	v_addc_co_u32_e64 v21, s[8:9], v25, v21, s[8:9]
	flat_load_dwordx2 v[20:21], v[20:21]
	v_cndmask_b32_e32 v29, v17, v16, vcc
	v_cndmask_b32_e32 v32, v10, v17, vcc
	v_cmp_lt_u32_e64 s[12:13], v32, v27
	v_cmp_ge_u32_e64 s[8:9], v29, v28
	s_waitcnt vmcnt(0) lgkmcnt(0)
	v_cndmask_b32_e32 v11, v21, v9, vcc
	v_cndmask_b32_e32 v10, v20, v8, vcc
	;; [unrolled: 1-line block ×4, first 2 shown]
	v_cmp_le_i64_e64 s[14:15], v[10:11], v[16:17]
	s_and_b64 s[12:13], s[12:13], s[14:15]
	s_or_b64 s[8:9], s[8:9], s[12:13]
	v_cndmask_b32_e64 v14, v29, v32, s[8:9]
	v_cndmask_b32_e64 v30, v28, v27, s[8:9]
	v_lshlrev_b64 v[20:21], 3, v[14:15]
	v_add_u32_e32 v33, 1, v14
	v_add_u32_e32 v14, -1, v30
	v_min_u32_e32 v14, v33, v14
	v_lshlrev_b64 v[30:31], 3, v[14:15]
	v_add_co_u32_e64 v30, s[12:13], v24, v30
	v_addc_co_u32_e64 v31, s[12:13], v25, v31, s[12:13]
	flat_load_dwordx2 v[30:31], v[30:31]
	v_cndmask_b32_e64 v29, v33, v29, s[8:9]
	v_cndmask_b32_e64 v38, v32, v33, s[8:9]
	v_cmp_lt_u32_e64 s[14:15], v38, v27
	v_cmp_ge_u32_e64 s[12:13], v29, v28
	v_cndmask_b32_e32 v9, v9, v1, vcc
	v_cndmask_b32_e32 v8, v8, v0, vcc
	v_cndmask_b32_e64 v1, v11, v17, s[8:9]
	v_cndmask_b32_e64 v0, v10, v16, s[8:9]
	s_waitcnt vmcnt(0) lgkmcnt(0)
	v_cndmask_b32_e64 v33, v31, v11, s[8:9]
	v_cndmask_b32_e64 v32, v30, v10, s[8:9]
	;; [unrolled: 1-line block ×4, first 2 shown]
	v_cmp_le_i64_e64 s[18:19], v[32:33], v[30:31]
	s_and_b64 s[14:15], s[14:15], s[18:19]
	s_or_b64 s[12:13], s[12:13], s[14:15]
	v_cndmask_b32_e64 v14, v29, v38, s[12:13]
	v_cndmask_b32_e64 v36, v28, v27, s[12:13]
	v_lshlrev_b64 v[34:35], 3, v[14:15]
	v_add_u32_e32 v39, 1, v14
	v_add_u32_e32 v14, -1, v36
	v_min_u32_e32 v14, v39, v14
	v_lshlrev_b64 v[36:37], 3, v[14:15]
	v_add_co_u32_e64 v36, s[14:15], v24, v36
	v_addc_co_u32_e64 v37, s[14:15], v25, v37, s[14:15]
	flat_load_dwordx2 v[36:37], v[36:37]
	v_add_co_u32_e64 v18, s[14:15], v22, v18
	v_addc_co_u32_e64 v19, s[14:15], v23, v19, s[14:15]
	flat_load_dwordx2 v[64:65], v[18:19]
	v_add_co_u32_e64 v18, s[14:15], v22, v20
	v_addc_co_u32_e64 v19, s[14:15], v23, v21, s[14:15]
	flat_load_dwordx2 v[66:67], v[18:19]
	v_add_co_u32_e64 v18, s[14:15], v22, v34
	v_addc_co_u32_e64 v19, s[14:15], v23, v35, s[14:15]
	flat_load_dwordx2 v[68:69], v[18:19]
	v_cndmask_b32_e64 v14, v39, v29, s[12:13]
	v_cndmask_b32_e64 v29, v38, v39, s[12:13]
	v_cmp_lt_u32_e64 s[18:19], v29, v27
	v_cmp_ge_u32_e64 s[14:15], v14, v28
	s_waitcnt vmcnt(0) lgkmcnt(0)
	v_cndmask_b32_e64 v19, v37, v33, s[12:13]
	v_cndmask_b32_e64 v18, v36, v32, s[12:13]
	;; [unrolled: 1-line block ×4, first 2 shown]
	v_cmp_le_i64_e64 s[20:21], v[18:19], v[20:21]
	s_and_b64 s[18:19], s[18:19], s[20:21]
	s_or_b64 s[14:15], s[14:15], s[18:19]
	v_cndmask_b32_e64 v14, v14, v29, s[14:15]
	v_lshlrev_b64 v[14:15], 3, v[14:15]
	v_add_co_u32_e64 v14, s[18:19], v22, v14
	v_addc_co_u32_e64 v15, s[18:19], v23, v15, s[18:19]
	flat_load_dwordx2 v[70:71], v[14:15]
	v_cndmask_b32_e64 v15, v33, v31, s[12:13]
	v_cndmask_b32_e64 v14, v32, v30, s[12:13]
	;; [unrolled: 1-line block ×4, first 2 shown]
.LBB726_76:
	s_or_b64 exec, exec, s[24:25]
	v_mov_b32_e32 v10, v0
	v_mov_b32_e32 v11, v1
	;; [unrolled: 1-line block ×4, first 2 shown]
	; wave barrier
	flat_store_dwordx4 v[12:13], v[8:11]
	flat_store_dwordx4 v[4:5], v[64:67]
	flat_store_dwordx4 v[12:13], v[14:17] offset:16
	s_waitcnt vmcnt(0) lgkmcnt(0)
	flat_store_dwordx4 v[4:5], v[68:71] offset:16
	v_and_b32_e32 v16, 0x1f0, v83
	v_or_b32_e32 v10, 8, v16
	v_min_u32_e32 v18, v26, v10
	v_add_u32_e32 v10, 8, v18
	v_min_u32_e32 v19, v26, v10
	v_and_b32_e32 v10, 12, v83
	v_min_u32_e32 v17, v26, v10
	v_sub_u32_e32 v10, v18, v16
	v_sub_u32_e32 v11, v19, v18
	v_sub_u32_e64 v27, v17, v11 clamp
	v_min_u32_e32 v28, v17, v10
	v_cmp_lt_u32_e32 vcc, v27, v28
	; wave barrier
	s_and_saveexec_b64 s[8:9], vcc
	s_cbranch_execz .LBB726_80
; %bb.77:
	v_lshlrev_b32_e32 v10, 3, v16
	v_add_co_u32_e32 v29, vcc, v24, v10
	v_addc_co_u32_e32 v30, vcc, 0, v25, vcc
	v_lshlrev_b32_e32 v10, 3, v18
	v_add_co_u32_e32 v31, vcc, v24, v10
	v_addc_co_u32_e32 v32, vcc, 0, v25, vcc
	s_mov_b64 s[12:13], 0
	v_mov_b32_e32 v11, 0
.LBB726_78:                             ; =>This Inner Loop Header: Depth=1
	v_add_u32_e32 v10, v28, v27
	v_lshrrev_b32_e32 v10, 1, v10
	v_lshlrev_b64 v[36:37], 3, v[10:11]
	v_mov_b32_e32 v35, v11
	v_xad_u32 v34, v10, -1, v17
	v_add_co_u32_e32 v36, vcc, v29, v36
	v_addc_co_u32_e32 v37, vcc, v30, v37, vcc
	v_lshlrev_b64 v[34:35], 3, v[34:35]
	v_add_co_u32_e32 v34, vcc, v31, v34
	v_addc_co_u32_e32 v35, vcc, v32, v35, vcc
	flat_load_dwordx2 v[38:39], v[36:37]
	flat_load_dwordx2 v[48:49], v[34:35]
	v_add_u32_e32 v33, 1, v10
	s_waitcnt vmcnt(0) lgkmcnt(0)
	v_cmp_gt_i64_e32 vcc, v[48:49], v[38:39]
	v_cndmask_b32_e32 v28, v28, v10, vcc
	v_cndmask_b32_e32 v27, v33, v27, vcc
	v_cmp_ge_u32_e32 vcc, v27, v28
	s_or_b64 s[12:13], vcc, s[12:13]
	s_andn2_b64 exec, exec, s[12:13]
	s_cbranch_execnz .LBB726_78
; %bb.79:
	s_or_b64 exec, exec, s[12:13]
.LBB726_80:
	s_or_b64 exec, exec, s[8:9]
	v_add_u32_e32 v11, v18, v17
	v_add_u32_e32 v10, v27, v16
	v_sub_u32_e32 v16, v11, v27
	v_cmp_le_u32_e32 vcc, v10, v18
	v_cmp_le_u32_e64 s[8:9], v16, v19
	s_or_b64 s[8:9], vcc, s[8:9]
	s_and_saveexec_b64 s[24:25], s[8:9]
	s_cbranch_execz .LBB726_86
; %bb.81:
	v_cmp_lt_u32_e32 vcc, v10, v18
                                        ; implicit-def: $vgpr0_vgpr1
	s_and_saveexec_b64 s[12:13], vcc
	s_cbranch_execz .LBB726_83
; %bb.82:
	v_mov_b32_e32 v11, 0
	v_lshlrev_b64 v[0:1], 3, v[10:11]
	v_add_co_u32_e64 v0, s[8:9], v24, v0
	v_addc_co_u32_e64 v1, s[8:9], v25, v1, s[8:9]
	flat_load_dwordx2 v[0:1], v[0:1]
.LBB726_83:
	s_or_b64 exec, exec, s[12:13]
	v_cmp_ge_u32_e64 s[8:9], v16, v19
	v_cmp_lt_u32_e64 s[12:13], v16, v19
                                        ; implicit-def: $vgpr8_vgpr9
	s_and_saveexec_b64 s[14:15], s[12:13]
	s_cbranch_execz .LBB726_85
; %bb.84:
	v_mov_b32_e32 v17, 0
	v_lshlrev_b64 v[8:9], 3, v[16:17]
	v_add_co_u32_e64 v8, s[12:13], v24, v8
	v_addc_co_u32_e64 v9, s[12:13], v25, v9, s[12:13]
	flat_load_dwordx2 v[8:9], v[8:9]
.LBB726_85:
	s_or_b64 exec, exec, s[14:15]
	s_waitcnt vmcnt(0) lgkmcnt(0)
	v_cmp_le_i64_e64 s[12:13], v[8:9], v[0:1]
	s_and_b64 s[12:13], vcc, s[12:13]
	s_or_b64 vcc, s[8:9], s[12:13]
	v_cndmask_b32_e32 v14, v16, v10, vcc
	v_cndmask_b32_e32 v11, v19, v18, vcc
	v_mov_b32_e32 v15, 0
	v_add_u32_e32 v17, 1, v14
	v_add_u32_e32 v11, -1, v11
	v_lshlrev_b64 v[20:21], 3, v[14:15]
	v_min_u32_e32 v14, v17, v11
	v_lshlrev_b64 v[28:29], 3, v[14:15]
	v_add_co_u32_e64 v28, s[8:9], v24, v28
	v_addc_co_u32_e64 v29, s[8:9], v25, v29, s[8:9]
	flat_load_dwordx2 v[28:29], v[28:29]
	v_cndmask_b32_e32 v27, v17, v16, vcc
	v_cndmask_b32_e32 v32, v10, v17, vcc
	v_cmp_lt_u32_e64 s[12:13], v32, v18
	v_cmp_ge_u32_e64 s[8:9], v27, v19
	s_waitcnt vmcnt(0) lgkmcnt(0)
	v_cndmask_b32_e32 v11, v29, v9, vcc
	v_cndmask_b32_e32 v10, v28, v8, vcc
	;; [unrolled: 1-line block ×4, first 2 shown]
	v_cmp_le_i64_e64 s[14:15], v[10:11], v[16:17]
	s_and_b64 s[12:13], s[12:13], s[14:15]
	s_or_b64 s[8:9], s[8:9], s[12:13]
	v_cndmask_b32_e64 v14, v27, v32, s[8:9]
	v_cndmask_b32_e64 v30, v19, v18, s[8:9]
	v_lshlrev_b64 v[28:29], 3, v[14:15]
	v_add_u32_e32 v33, 1, v14
	v_add_u32_e32 v14, -1, v30
	v_min_u32_e32 v14, v33, v14
	v_lshlrev_b64 v[30:31], 3, v[14:15]
	v_add_co_u32_e64 v30, s[12:13], v24, v30
	v_addc_co_u32_e64 v31, s[12:13], v25, v31, s[12:13]
	flat_load_dwordx2 v[30:31], v[30:31]
	v_cndmask_b32_e64 v27, v33, v27, s[8:9]
	v_cndmask_b32_e64 v38, v32, v33, s[8:9]
	v_cmp_lt_u32_e64 s[14:15], v38, v18
	v_cmp_ge_u32_e64 s[12:13], v27, v19
	v_cndmask_b32_e32 v9, v9, v1, vcc
	v_cndmask_b32_e32 v8, v8, v0, vcc
	v_cndmask_b32_e64 v1, v11, v17, s[8:9]
	v_cndmask_b32_e64 v0, v10, v16, s[8:9]
	s_waitcnt vmcnt(0) lgkmcnt(0)
	v_cndmask_b32_e64 v33, v31, v11, s[8:9]
	v_cndmask_b32_e64 v32, v30, v10, s[8:9]
	;; [unrolled: 1-line block ×4, first 2 shown]
	v_cmp_le_i64_e64 s[18:19], v[32:33], v[30:31]
	s_and_b64 s[14:15], s[14:15], s[18:19]
	s_or_b64 s[12:13], s[12:13], s[14:15]
	v_cndmask_b32_e64 v14, v27, v38, s[12:13]
	v_cndmask_b32_e64 v36, v19, v18, s[12:13]
	v_lshlrev_b64 v[34:35], 3, v[14:15]
	v_add_u32_e32 v39, 1, v14
	v_add_u32_e32 v14, -1, v36
	v_min_u32_e32 v14, v39, v14
	v_lshlrev_b64 v[36:37], 3, v[14:15]
	v_add_co_u32_e64 v36, s[14:15], v24, v36
	v_addc_co_u32_e64 v37, s[14:15], v25, v37, s[14:15]
	flat_load_dwordx2 v[36:37], v[36:37]
	v_add_co_u32_e64 v20, s[14:15], v22, v20
	v_addc_co_u32_e64 v21, s[14:15], v23, v21, s[14:15]
	flat_load_dwordx2 v[64:65], v[20:21]
	;; [unrolled: 3-line block ×3, first 2 shown]
	v_add_co_u32_e64 v20, s[14:15], v22, v34
	v_addc_co_u32_e64 v21, s[14:15], v23, v35, s[14:15]
	v_cndmask_b32_e64 v14, v39, v27, s[12:13]
	v_cndmask_b32_e64 v27, v38, v39, s[12:13]
	flat_load_dwordx2 v[68:69], v[20:21]
	v_cmp_ge_u32_e64 s[14:15], v14, v19
	v_cmp_lt_u32_e64 s[18:19], v27, v18
	s_waitcnt vmcnt(0) lgkmcnt(0)
	v_cndmask_b32_e64 v19, v37, v33, s[12:13]
	v_cndmask_b32_e64 v18, v36, v32, s[12:13]
	;; [unrolled: 1-line block ×4, first 2 shown]
	v_cmp_le_i64_e64 s[20:21], v[18:19], v[20:21]
	s_and_b64 s[18:19], s[18:19], s[20:21]
	s_or_b64 s[14:15], s[14:15], s[18:19]
	v_cndmask_b32_e64 v14, v14, v27, s[14:15]
	v_lshlrev_b64 v[14:15], 3, v[14:15]
	v_add_co_u32_e64 v14, s[18:19], v22, v14
	v_addc_co_u32_e64 v15, s[18:19], v23, v15, s[18:19]
	flat_load_dwordx2 v[70:71], v[14:15]
	v_cndmask_b32_e64 v15, v33, v31, s[12:13]
	v_cndmask_b32_e64 v14, v32, v30, s[12:13]
	;; [unrolled: 1-line block ×4, first 2 shown]
.LBB726_86:
	s_or_b64 exec, exec, s[24:25]
	v_mov_b32_e32 v10, v0
	v_mov_b32_e32 v11, v1
	; wave barrier
	flat_store_dwordx4 v[12:13], v[8:11]
	flat_store_dwordx4 v[4:5], v[64:67]
	v_mov_b32_e32 v16, v20
	v_mov_b32_e32 v17, v21
	v_and_b32_e32 v10, 0x1e0, v83
	flat_store_dwordx4 v[12:13], v[14:17] offset:16
	s_waitcnt vmcnt(0) lgkmcnt(0)
	flat_store_dwordx4 v[4:5], v[68:71] offset:16
	v_or_b32_e32 v4, 16, v10
	v_min_u32_e32 v16, v26, v4
	v_add_u32_e32 v4, 16, v16
	v_min_u32_e32 v17, v26, v4
	v_min_u32_e32 v11, v26, v84
	v_sub_u32_e32 v4, v16, v10
	v_sub_u32_e32 v5, v17, v16
	v_sub_u32_e64 v12, v11, v5 clamp
	v_min_u32_e32 v13, v11, v4
	v_cmp_lt_u32_e32 vcc, v12, v13
	; wave barrier
	s_and_saveexec_b64 s[8:9], vcc
	s_cbranch_execz .LBB726_90
; %bb.87:
	v_lshlrev_b32_e32 v4, 3, v10
	v_add_co_u32_e32 v18, vcc, v24, v4
	v_addc_co_u32_e32 v19, vcc, 0, v25, vcc
	v_lshlrev_b32_e32 v4, 3, v16
	v_add_co_u32_e32 v26, vcc, v24, v4
	v_addc_co_u32_e32 v27, vcc, 0, v25, vcc
	s_mov_b64 s[12:13], 0
	v_mov_b32_e32 v5, 0
.LBB726_88:                             ; =>This Inner Loop Header: Depth=1
	v_add_u32_e32 v4, v13, v12
	v_lshrrev_b32_e32 v4, 1, v4
	v_lshlrev_b64 v[30:31], 3, v[4:5]
	v_mov_b32_e32 v29, v5
	v_xad_u32 v28, v4, -1, v11
	v_add_co_u32_e32 v30, vcc, v18, v30
	v_addc_co_u32_e32 v31, vcc, v19, v31, vcc
	v_lshlrev_b64 v[28:29], 3, v[28:29]
	v_add_co_u32_e32 v28, vcc, v26, v28
	v_addc_co_u32_e32 v29, vcc, v27, v29, vcc
	flat_load_dwordx2 v[32:33], v[30:31]
	flat_load_dwordx2 v[34:35], v[28:29]
	v_add_u32_e32 v28, 1, v4
	s_waitcnt vmcnt(0) lgkmcnt(0)
	v_cmp_gt_i64_e32 vcc, v[34:35], v[32:33]
	v_cndmask_b32_e32 v13, v13, v4, vcc
	v_cndmask_b32_e32 v12, v28, v12, vcc
	v_cmp_ge_u32_e32 vcc, v12, v13
	s_or_b64 s[12:13], vcc, s[12:13]
	s_andn2_b64 exec, exec, s[12:13]
	s_cbranch_execnz .LBB726_88
; %bb.89:
	s_or_b64 exec, exec, s[12:13]
.LBB726_90:
	s_or_b64 exec, exec, s[8:9]
	v_add_u32_e32 v4, v16, v11
	v_add_u32_e32 v10, v12, v10
	v_sub_u32_e32 v12, v4, v12
	v_cmp_le_u32_e32 vcc, v10, v16
	v_cmp_le_u32_e64 s[8:9], v12, v17
	s_or_b64 s[8:9], vcc, s[8:9]
	s_and_saveexec_b64 s[24:25], s[8:9]
	s_cbranch_execz .LBB726_96
; %bb.91:
	v_cmp_lt_u32_e32 vcc, v10, v16
                                        ; implicit-def: $vgpr0_vgpr1
	s_and_saveexec_b64 s[12:13], vcc
	s_cbranch_execz .LBB726_93
; %bb.92:
	v_mov_b32_e32 v11, 0
	v_lshlrev_b64 v[0:1], 3, v[10:11]
	v_add_co_u32_e64 v0, s[8:9], v24, v0
	v_addc_co_u32_e64 v1, s[8:9], v25, v1, s[8:9]
	flat_load_dwordx2 v[0:1], v[0:1]
.LBB726_93:
	s_or_b64 exec, exec, s[12:13]
	v_cmp_ge_u32_e64 s[8:9], v12, v17
	v_cmp_lt_u32_e64 s[12:13], v12, v17
                                        ; implicit-def: $vgpr4_vgpr5
	s_and_saveexec_b64 s[14:15], s[12:13]
	s_cbranch_execz .LBB726_95
; %bb.94:
	v_mov_b32_e32 v13, 0
	v_lshlrev_b64 v[4:5], 3, v[12:13]
	v_add_co_u32_e64 v4, s[12:13], v24, v4
	v_addc_co_u32_e64 v5, s[12:13], v25, v5, s[12:13]
	flat_load_dwordx2 v[4:5], v[4:5]
.LBB726_95:
	s_or_b64 exec, exec, s[14:15]
	s_waitcnt vmcnt(0) lgkmcnt(0)
	v_cmp_le_i64_e64 s[12:13], v[4:5], v[0:1]
	s_and_b64 s[12:13], vcc, s[12:13]
	s_or_b64 vcc, s[8:9], s[12:13]
	v_cndmask_b32_e32 v8, v12, v10, vcc
	v_cndmask_b32_e32 v11, v17, v16, vcc
	v_mov_b32_e32 v9, 0
	v_lshlrev_b64 v[14:15], 3, v[8:9]
	v_add_u32_e32 v13, 1, v8
	v_add_u32_e32 v8, -1, v11
	v_min_u32_e32 v8, v13, v8
	v_lshlrev_b64 v[18:19], 3, v[8:9]
	v_add_co_u32_e64 v18, s[8:9], v24, v18
	v_addc_co_u32_e64 v19, s[8:9], v25, v19, s[8:9]
	flat_load_dwordx2 v[18:19], v[18:19]
	v_cndmask_b32_e32 v26, v13, v12, vcc
	v_cndmask_b32_e32 v27, v10, v13, vcc
	v_cmp_lt_u32_e64 s[12:13], v27, v16
	v_cmp_ge_u32_e64 s[8:9], v26, v17
	s_waitcnt vmcnt(0) lgkmcnt(0)
	v_cndmask_b32_e32 v11, v19, v5, vcc
	v_cndmask_b32_e32 v10, v18, v4, vcc
	;; [unrolled: 1-line block ×4, first 2 shown]
	v_cmp_le_i64_e64 s[14:15], v[10:11], v[12:13]
	s_and_b64 s[12:13], s[12:13], s[14:15]
	s_or_b64 s[8:9], s[8:9], s[12:13]
	v_cndmask_b32_e64 v8, v26, v27, s[8:9]
	v_cndmask_b32_e64 v20, v17, v16, s[8:9]
	v_lshlrev_b64 v[18:19], 3, v[8:9]
	v_add_u32_e32 v28, 1, v8
	v_add_u32_e32 v8, -1, v20
	v_min_u32_e32 v8, v28, v8
	v_lshlrev_b64 v[20:21], 3, v[8:9]
	v_add_co_u32_e64 v20, s[12:13], v24, v20
	v_addc_co_u32_e64 v21, s[12:13], v25, v21, s[12:13]
	flat_load_dwordx2 v[20:21], v[20:21]
	v_cndmask_b32_e64 v32, v28, v26, s[8:9]
	v_cndmask_b32_e64 v33, v27, v28, s[8:9]
	v_cmp_lt_u32_e64 s[14:15], v33, v16
	v_cmp_ge_u32_e64 s[12:13], v32, v17
	s_waitcnt vmcnt(0) lgkmcnt(0)
	v_cndmask_b32_e64 v27, v21, v11, s[8:9]
	v_cndmask_b32_e64 v26, v20, v10, s[8:9]
	;; [unrolled: 1-line block ×4, first 2 shown]
	v_cmp_le_i64_e64 s[18:19], v[26:27], v[20:21]
	s_and_b64 s[14:15], s[14:15], s[18:19]
	s_or_b64 s[12:13], s[12:13], s[14:15]
	v_cndmask_b32_e64 v8, v32, v33, s[12:13]
	v_cndmask_b32_e64 v30, v17, v16, s[12:13]
	v_lshlrev_b64 v[28:29], 3, v[8:9]
	v_add_u32_e32 v34, 1, v8
	v_add_u32_e32 v8, -1, v30
	v_min_u32_e32 v8, v34, v8
	v_lshlrev_b64 v[30:31], 3, v[8:9]
	v_add_co_u32_e64 v24, s[14:15], v24, v30
	v_addc_co_u32_e64 v25, s[14:15], v25, v31, s[14:15]
	flat_load_dwordx2 v[24:25], v[24:25]
	v_add_co_u32_e64 v14, s[14:15], v22, v14
	v_addc_co_u32_e64 v15, s[14:15], v23, v15, s[14:15]
	flat_load_dwordx2 v[64:65], v[14:15]
	;; [unrolled: 3-line block ×4, first 2 shown]
	v_cndmask_b32_e64 v8, v34, v32, s[12:13]
	v_cndmask_b32_e64 v14, v33, v34, s[12:13]
	v_cmp_ge_u32_e64 s[14:15], v8, v17
	v_cmp_lt_u32_e64 s[18:19], v14, v16
	v_cndmask_b32_e64 v15, v27, v21, s[12:13]
	s_waitcnt vmcnt(0) lgkmcnt(0)
	v_cndmask_b32_e64 v17, v25, v27, s[12:13]
	v_cndmask_b32_e64 v16, v24, v26, s[12:13]
	;; [unrolled: 1-line block ×4, first 2 shown]
	v_cmp_le_i64_e64 s[20:21], v[16:17], v[18:19]
	s_and_b64 s[18:19], s[18:19], s[20:21]
	s_or_b64 s[14:15], s[14:15], s[18:19]
	v_cndmask_b32_e64 v8, v8, v14, s[14:15]
	v_lshlrev_b64 v[8:9], 3, v[8:9]
	v_add_co_u32_e64 v8, s[18:19], v22, v8
	v_addc_co_u32_e64 v9, s[18:19], v23, v9, s[18:19]
	flat_load_dwordx2 v[70:71], v[8:9]
	v_cndmask_b32_e32 v9, v5, v1, vcc
	v_cndmask_b32_e32 v8, v4, v0, vcc
	v_cndmask_b32_e64 v1, v11, v13, s[8:9]
	v_cndmask_b32_e64 v0, v10, v12, s[8:9]
	;; [unrolled: 1-line block ×5, first 2 shown]
.LBB726_96:
	s_or_b64 exec, exec, s[24:25]
	; wave barrier
	s_waitcnt lgkmcnt(0)
	s_barrier
.LBB726_97:
	s_or_b64 exec, exec, s[22:23]
	v_add_co_u32_e32 v2, vcc, v2, v80
	v_addc_co_u32_e32 v3, vcc, v3, v81, vcc
	v_add_co_u32_e32 v2, vcc, v2, v82
	v_addc_co_u32_e32 v3, vcc, 0, v3, vcc
	s_waitcnt lgkmcnt(0)
	; wave barrier
	s_and_saveexec_b64 s[8:9], s[4:5]
	s_cbranch_execnz .LBB726_110
; %bb.98:
	s_or_b64 exec, exec, s[8:9]
	s_and_saveexec_b64 s[8:9], s[6:7]
	s_cbranch_execnz .LBB726_111
.LBB726_99:
	s_or_b64 exec, exec, s[8:9]
	s_and_saveexec_b64 s[8:9], s[16:17]
	s_cbranch_execnz .LBB726_112
.LBB726_100:
	s_or_b64 exec, exec, s[8:9]
	s_and_saveexec_b64 s[8:9], s[10:11]
	s_cbranch_execz .LBB726_102
.LBB726_101:
	flat_store_dwordx2 v[2:3], v[20:21] offset:24
.LBB726_102:
	s_or_b64 exec, exec, s[8:9]
	v_add_co_u32_e32 v0, vcc, v6, v80
	v_addc_co_u32_e32 v1, vcc, v7, v81, vcc
	v_add_co_u32_e32 v0, vcc, v0, v82
	v_addc_co_u32_e32 v1, vcc, 0, v1, vcc
	; wave barrier
	s_and_saveexec_b64 s[8:9], s[4:5]
	s_cbranch_execnz .LBB726_113
; %bb.103:
	s_or_b64 exec, exec, s[8:9]
	s_and_saveexec_b64 s[4:5], s[6:7]
	s_cbranch_execnz .LBB726_114
.LBB726_104:
	s_or_b64 exec, exec, s[4:5]
	s_and_saveexec_b64 s[4:5], s[16:17]
	s_cbranch_execnz .LBB726_115
.LBB726_105:
	s_or_b64 exec, exec, s[4:5]
	s_and_saveexec_b64 s[4:5], s[10:11]
	s_cbranch_execnz .LBB726_116
.LBB726_106:
	s_or_b64 exec, exec, s[4:5]
	s_waitcnt vmcnt(0) lgkmcnt(0)
	s_setpc_b64 s[30:31]
.LBB726_107:
	flat_load_dwordx2 v[64:65], v[4:5]
	s_or_b64 exec, exec, s[14:15]
	s_and_saveexec_b64 s[14:15], s[6:7]
	s_cbranch_execz .LBB726_10
.LBB726_108:
	flat_load_dwordx2 v[66:67], v[4:5] offset:8
	s_or_b64 exec, exec, s[14:15]
                                        ; implicit-def: $vgpr68_vgpr69
	s_and_saveexec_b64 s[14:15], s[16:17]
	s_cbranch_execz .LBB726_11
.LBB726_109:
	flat_load_dwordx2 v[68:69], v[4:5] offset:16
	s_or_b64 exec, exec, s[14:15]
	s_and_saveexec_b64 s[14:15], s[10:11]
	s_cbranch_execnz .LBB726_12
	s_branch .LBB726_13
.LBB726_110:
	s_waitcnt vmcnt(0) lgkmcnt(0)
	flat_store_dwordx2 v[2:3], v[8:9]
	s_or_b64 exec, exec, s[8:9]
	s_and_saveexec_b64 s[8:9], s[6:7]
	s_cbranch_execz .LBB726_99
.LBB726_111:
	flat_store_dwordx2 v[2:3], v[0:1] offset:8
	s_or_b64 exec, exec, s[8:9]
	s_and_saveexec_b64 s[8:9], s[16:17]
	s_cbranch_execz .LBB726_100
.LBB726_112:
	flat_store_dwordx2 v[2:3], v[14:15] offset:16
	s_or_b64 exec, exec, s[8:9]
	s_and_saveexec_b64 s[8:9], s[10:11]
	s_cbranch_execnz .LBB726_101
	s_branch .LBB726_102
.LBB726_113:
	s_waitcnt vmcnt(0) lgkmcnt(0)
	flat_store_dwordx2 v[0:1], v[64:65]
	s_or_b64 exec, exec, s[8:9]
	s_and_saveexec_b64 s[4:5], s[6:7]
	s_cbranch_execz .LBB726_104
.LBB726_114:
	s_waitcnt vmcnt(0) lgkmcnt(0)
	flat_store_dwordx2 v[0:1], v[66:67] offset:8
	s_or_b64 exec, exec, s[4:5]
	s_and_saveexec_b64 s[4:5], s[16:17]
	s_cbranch_execz .LBB726_105
.LBB726_115:
	s_waitcnt vmcnt(0) lgkmcnt(0)
	flat_store_dwordx2 v[0:1], v[68:69] offset:16
	s_or_b64 exec, exec, s[4:5]
	s_and_saveexec_b64 s[4:5], s[10:11]
	s_cbranch_execz .LBB726_106
.LBB726_116:
	s_waitcnt vmcnt(0) lgkmcnt(0)
	flat_store_dwordx2 v[0:1], v[70:71] offset:24
	s_or_b64 exec, exec, s[4:5]
	s_waitcnt vmcnt(0) lgkmcnt(0)
	s_setpc_b64 s[30:31]
.Lfunc_end726:
	.size	_ZN7rocprim17ROCPRIM_400000_NS6detail26segmented_warp_sort_helperINS1_20WarpSortHelperConfigILj8ELj4ELj256EEEllLi256ELb1EvE4sortIPKlPlS8_S9_EEvT_T0_T1_T2_jjjjRNS5_12storage_typeE, .Lfunc_end726-_ZN7rocprim17ROCPRIM_400000_NS6detail26segmented_warp_sort_helperINS1_20WarpSortHelperConfigILj8ELj4ELj256EEEllLi256ELb1EvE4sortIPKlPlS8_S9_EEvT_T0_T1_T2_jjjjRNS5_12storage_typeE
                                        ; -- End function
	.section	.AMDGPU.csdata,"",@progbits
; Function info:
; codeLenInByte = 8704
; NumSgprs: 36
; NumVgprs: 85
; NumAgprs: 0
; TotalNumVgprs: 85
; ScratchSize: 0
; MemoryBound: 1
	.section	.text._ZN7rocprim17ROCPRIM_400000_NS6detail17trampoline_kernelINS0_14default_configENS1_36segmented_radix_sort_config_selectorIllEEZNS1_25segmented_radix_sort_implIS3_Lb1EPKlPlS8_S9_N2at6native12_GLOBAL__N_18offset_tEEE10hipError_tPvRmT1_PNSt15iterator_traitsISH_E10value_typeET2_T3_PNSI_ISN_E10value_typeET4_jRbjT5_ST_jjP12ihipStream_tbEUlT_E1_NS1_11comp_targetILNS1_3genE4ELNS1_11target_archE910ELNS1_3gpuE8ELNS1_3repE0EEENS1_59segmented_radix_sort_warp_sort_small_config_static_selectorELNS0_4arch9wavefront6targetE1EEEvSH_,"axG",@progbits,_ZN7rocprim17ROCPRIM_400000_NS6detail17trampoline_kernelINS0_14default_configENS1_36segmented_radix_sort_config_selectorIllEEZNS1_25segmented_radix_sort_implIS3_Lb1EPKlPlS8_S9_N2at6native12_GLOBAL__N_18offset_tEEE10hipError_tPvRmT1_PNSt15iterator_traitsISH_E10value_typeET2_T3_PNSI_ISN_E10value_typeET4_jRbjT5_ST_jjP12ihipStream_tbEUlT_E1_NS1_11comp_targetILNS1_3genE4ELNS1_11target_archE910ELNS1_3gpuE8ELNS1_3repE0EEENS1_59segmented_radix_sort_warp_sort_small_config_static_selectorELNS0_4arch9wavefront6targetE1EEEvSH_,comdat
	.globl	_ZN7rocprim17ROCPRIM_400000_NS6detail17trampoline_kernelINS0_14default_configENS1_36segmented_radix_sort_config_selectorIllEEZNS1_25segmented_radix_sort_implIS3_Lb1EPKlPlS8_S9_N2at6native12_GLOBAL__N_18offset_tEEE10hipError_tPvRmT1_PNSt15iterator_traitsISH_E10value_typeET2_T3_PNSI_ISN_E10value_typeET4_jRbjT5_ST_jjP12ihipStream_tbEUlT_E1_NS1_11comp_targetILNS1_3genE4ELNS1_11target_archE910ELNS1_3gpuE8ELNS1_3repE0EEENS1_59segmented_radix_sort_warp_sort_small_config_static_selectorELNS0_4arch9wavefront6targetE1EEEvSH_ ; -- Begin function _ZN7rocprim17ROCPRIM_400000_NS6detail17trampoline_kernelINS0_14default_configENS1_36segmented_radix_sort_config_selectorIllEEZNS1_25segmented_radix_sort_implIS3_Lb1EPKlPlS8_S9_N2at6native12_GLOBAL__N_18offset_tEEE10hipError_tPvRmT1_PNSt15iterator_traitsISH_E10value_typeET2_T3_PNSI_ISN_E10value_typeET4_jRbjT5_ST_jjP12ihipStream_tbEUlT_E1_NS1_11comp_targetILNS1_3genE4ELNS1_11target_archE910ELNS1_3gpuE8ELNS1_3repE0EEENS1_59segmented_radix_sort_warp_sort_small_config_static_selectorELNS0_4arch9wavefront6targetE1EEEvSH_
	.p2align	8
	.type	_ZN7rocprim17ROCPRIM_400000_NS6detail17trampoline_kernelINS0_14default_configENS1_36segmented_radix_sort_config_selectorIllEEZNS1_25segmented_radix_sort_implIS3_Lb1EPKlPlS8_S9_N2at6native12_GLOBAL__N_18offset_tEEE10hipError_tPvRmT1_PNSt15iterator_traitsISH_E10value_typeET2_T3_PNSI_ISN_E10value_typeET4_jRbjT5_ST_jjP12ihipStream_tbEUlT_E1_NS1_11comp_targetILNS1_3genE4ELNS1_11target_archE910ELNS1_3gpuE8ELNS1_3repE0EEENS1_59segmented_radix_sort_warp_sort_small_config_static_selectorELNS0_4arch9wavefront6targetE1EEEvSH_,@function
_ZN7rocprim17ROCPRIM_400000_NS6detail17trampoline_kernelINS0_14default_configENS1_36segmented_radix_sort_config_selectorIllEEZNS1_25segmented_radix_sort_implIS3_Lb1EPKlPlS8_S9_N2at6native12_GLOBAL__N_18offset_tEEE10hipError_tPvRmT1_PNSt15iterator_traitsISH_E10value_typeET2_T3_PNSI_ISN_E10value_typeET4_jRbjT5_ST_jjP12ihipStream_tbEUlT_E1_NS1_11comp_targetILNS1_3genE4ELNS1_11target_archE910ELNS1_3gpuE8ELNS1_3repE0EEENS1_59segmented_radix_sort_warp_sort_small_config_static_selectorELNS0_4arch9wavefront6targetE1EEEvSH_: ; @_ZN7rocprim17ROCPRIM_400000_NS6detail17trampoline_kernelINS0_14default_configENS1_36segmented_radix_sort_config_selectorIllEEZNS1_25segmented_radix_sort_implIS3_Lb1EPKlPlS8_S9_N2at6native12_GLOBAL__N_18offset_tEEE10hipError_tPvRmT1_PNSt15iterator_traitsISH_E10value_typeET2_T3_PNSI_ISN_E10value_typeET4_jRbjT5_ST_jjP12ihipStream_tbEUlT_E1_NS1_11comp_targetILNS1_3genE4ELNS1_11target_archE910ELNS1_3gpuE8ELNS1_3repE0EEENS1_59segmented_radix_sort_warp_sort_small_config_static_selectorELNS0_4arch9wavefront6targetE1EEEvSH_
; %bb.0:
	s_add_u32 flat_scratch_lo, s6, s10
	s_addc_u32 flat_scratch_hi, s7, 0
	s_add_u32 s0, s0, s10
	s_load_dword s6, s[4:5], 0x64
	s_load_dword s10, s[4:5], 0x34
	s_addc_u32 s1, s1, 0
	v_bfe_u32 v1, v0, 10, 10
	v_bfe_u32 v2, v0, 20, 10
	s_waitcnt lgkmcnt(0)
	s_lshr_b32 s7, s6, 16
	s_and_b32 s6, s6, 0xffff
	v_mad_u32_u24 v1, v2, s7, v1
	v_and_b32_e32 v2, 0x3ff, v0
	v_mad_u64_u32 v[2:3], s[6:7], v1, s6, v[2:3]
	v_lshrrev_b32_e32 v1, 3, v2
	v_lshl_add_u32 v2, s8, 5, v1
	v_cmp_gt_u32_e32 vcc, s10, v2
	s_mov_b32 s32, 0
	s_and_saveexec_b64 s[6:7], vcc
	s_cbranch_execz .LBB727_6
; %bb.1:
	s_load_dwordx2 s[6:7], s[4:5], 0x38
	s_load_dwordx4 s[12:15], s[4:5], 0x40
	v_mov_b32_e32 v3, 0
	v_lshlrev_b64 v[2:3], 2, v[2:3]
	s_waitcnt lgkmcnt(0)
	v_mov_b32_e32 v1, s7
	v_sub_co_u32_e32 v2, vcc, s6, v2
	v_subb_co_u32_e32 v3, vcc, v1, v3, vcc
	global_load_dword v1, v[2:3], off offset:-4
	s_waitcnt vmcnt(0)
	v_add_u32_e32 v2, s13, v1
	v_add_u32_e32 v1, s15, v1
	v_mul_lo_u32 v40, v2, s12
	v_mul_lo_u32 v41, v1, s14
	v_cmp_gt_u32_e32 vcc, v41, v40
	s_and_b64 exec, exec, vcc
	s_cbranch_execz .LBB727_6
; %bb.2:
	s_load_dwordx4 s[44:47], s[4:5], 0x20
	s_load_dword s6, s[4:5], 0x30
	s_load_dwordx8 s[36:43], s[4:5], 0x0
	s_load_dwordx2 s[48:49], s[4:5], 0x50
	s_mov_b32 s34, s8
	s_mov_b32 s33, s9
	s_waitcnt lgkmcnt(0)
	s_bitcmp0_b32 s6, 0
	s_mov_b64 s[6:7], -1
	s_cbranch_scc0 .LBB727_4
; %bb.3:
	s_add_u32 s8, s4, 0x58
	s_mov_b64 s[6:7], src_shared_base
	s_addc_u32 s9, s5, 0
	s_mov_b32 s12, s34
	s_mov_b32 s13, s33
	v_mov_b32_e32 v31, v0
	v_mov_b32_e32 v42, v0
	;; [unrolled: 1-line block ×16, first 2 shown]
	s_getpc_b64 s[10:11]
	s_add_u32 s10, s10, _ZN7rocprim17ROCPRIM_400000_NS6detail26segmented_warp_sort_helperINS1_20WarpSortHelperConfigILj8ELj4ELj256EEEllLi256ELb1EvE4sortIPKlPlS8_S9_EEvT_T0_T1_T2_jjjjRNS5_12storage_typeE@rel32@lo+4
	s_addc_u32 s11, s11, _ZN7rocprim17ROCPRIM_400000_NS6detail26segmented_warp_sort_helperINS1_20WarpSortHelperConfigILj8ELj4ELj256EEEllLi256ELb1EvE4sortIPKlPlS8_S9_EEvT_T0_T1_T2_jjjjRNS5_12storage_typeE@rel32@hi+12
	s_mov_b64 s[38:39], s[4:5]
	s_swappc_b64 s[30:31], s[10:11]
	v_mov_b32_e32 v0, v42
	s_mov_b64 s[4:5], s[38:39]
	s_mov_b64 s[6:7], 0
.LBB727_4:
	s_andn2_b64 vcc, exec, s[6:7]
	s_cbranch_vccnz .LBB727_6
; %bb.5:
	s_add_u32 s8, s4, 0x58
	s_addc_u32 s9, s5, 0
	s_mov_b64 s[4:5], src_shared_base
	s_mov_b32 s12, s34
	s_mov_b32 s13, s33
	v_mov_b32_e32 v31, v0
	v_mov_b32_e32 v0, s36
	;; [unrolled: 1-line block ×15, first 2 shown]
	s_getpc_b64 s[6:7]
	s_add_u32 s6, s6, _ZN7rocprim17ROCPRIM_400000_NS6detail26segmented_warp_sort_helperINS1_20WarpSortHelperConfigILj8ELj4ELj256EEEllLi256ELb1EvE4sortIPKlPlS8_S9_EEvT_T0_T1_T2_jjjjRNS5_12storage_typeE@rel32@lo+4
	s_addc_u32 s7, s7, _ZN7rocprim17ROCPRIM_400000_NS6detail26segmented_warp_sort_helperINS1_20WarpSortHelperConfigILj8ELj4ELj256EEEllLi256ELb1EvE4sortIPKlPlS8_S9_EEvT_T0_T1_T2_jjjjRNS5_12storage_typeE@rel32@hi+12
	s_swappc_b64 s[30:31], s[6:7]
.LBB727_6:
	s_endpgm
	.section	.rodata,"a",@progbits
	.p2align	6, 0x0
	.amdhsa_kernel _ZN7rocprim17ROCPRIM_400000_NS6detail17trampoline_kernelINS0_14default_configENS1_36segmented_radix_sort_config_selectorIllEEZNS1_25segmented_radix_sort_implIS3_Lb1EPKlPlS8_S9_N2at6native12_GLOBAL__N_18offset_tEEE10hipError_tPvRmT1_PNSt15iterator_traitsISH_E10value_typeET2_T3_PNSI_ISN_E10value_typeET4_jRbjT5_ST_jjP12ihipStream_tbEUlT_E1_NS1_11comp_targetILNS1_3genE4ELNS1_11target_archE910ELNS1_3gpuE8ELNS1_3repE0EEENS1_59segmented_radix_sort_warp_sort_small_config_static_selectorELNS0_4arch9wavefront6targetE1EEEvSH_
		.amdhsa_group_segment_fixed_size 16384
		.amdhsa_private_segment_fixed_size 0
		.amdhsa_kernarg_size 344
		.amdhsa_user_sgpr_count 8
		.amdhsa_user_sgpr_private_segment_buffer 1
		.amdhsa_user_sgpr_dispatch_ptr 0
		.amdhsa_user_sgpr_queue_ptr 0
		.amdhsa_user_sgpr_kernarg_segment_ptr 1
		.amdhsa_user_sgpr_dispatch_id 0
		.amdhsa_user_sgpr_flat_scratch_init 1
		.amdhsa_user_sgpr_kernarg_preload_length 0
		.amdhsa_user_sgpr_kernarg_preload_offset 0
		.amdhsa_user_sgpr_private_segment_size 0
		.amdhsa_uses_dynamic_stack 0
		.amdhsa_system_sgpr_private_segment_wavefront_offset 0
		.amdhsa_system_sgpr_workgroup_id_x 1
		.amdhsa_system_sgpr_workgroup_id_y 1
		.amdhsa_system_sgpr_workgroup_id_z 0
		.amdhsa_system_sgpr_workgroup_info 0
		.amdhsa_system_vgpr_workitem_id 2
		.amdhsa_next_free_vgpr 85
		.amdhsa_next_free_sgpr 50
		.amdhsa_accum_offset 88
		.amdhsa_reserve_vcc 1
		.amdhsa_reserve_flat_scratch 1
		.amdhsa_float_round_mode_32 0
		.amdhsa_float_round_mode_16_64 0
		.amdhsa_float_denorm_mode_32 3
		.amdhsa_float_denorm_mode_16_64 3
		.amdhsa_dx10_clamp 1
		.amdhsa_ieee_mode 1
		.amdhsa_fp16_overflow 0
		.amdhsa_tg_split 0
		.amdhsa_exception_fp_ieee_invalid_op 0
		.amdhsa_exception_fp_denorm_src 0
		.amdhsa_exception_fp_ieee_div_zero 0
		.amdhsa_exception_fp_ieee_overflow 0
		.amdhsa_exception_fp_ieee_underflow 0
		.amdhsa_exception_fp_ieee_inexact 0
		.amdhsa_exception_int_div_zero 0
	.end_amdhsa_kernel
	.section	.text._ZN7rocprim17ROCPRIM_400000_NS6detail17trampoline_kernelINS0_14default_configENS1_36segmented_radix_sort_config_selectorIllEEZNS1_25segmented_radix_sort_implIS3_Lb1EPKlPlS8_S9_N2at6native12_GLOBAL__N_18offset_tEEE10hipError_tPvRmT1_PNSt15iterator_traitsISH_E10value_typeET2_T3_PNSI_ISN_E10value_typeET4_jRbjT5_ST_jjP12ihipStream_tbEUlT_E1_NS1_11comp_targetILNS1_3genE4ELNS1_11target_archE910ELNS1_3gpuE8ELNS1_3repE0EEENS1_59segmented_radix_sort_warp_sort_small_config_static_selectorELNS0_4arch9wavefront6targetE1EEEvSH_,"axG",@progbits,_ZN7rocprim17ROCPRIM_400000_NS6detail17trampoline_kernelINS0_14default_configENS1_36segmented_radix_sort_config_selectorIllEEZNS1_25segmented_radix_sort_implIS3_Lb1EPKlPlS8_S9_N2at6native12_GLOBAL__N_18offset_tEEE10hipError_tPvRmT1_PNSt15iterator_traitsISH_E10value_typeET2_T3_PNSI_ISN_E10value_typeET4_jRbjT5_ST_jjP12ihipStream_tbEUlT_E1_NS1_11comp_targetILNS1_3genE4ELNS1_11target_archE910ELNS1_3gpuE8ELNS1_3repE0EEENS1_59segmented_radix_sort_warp_sort_small_config_static_selectorELNS0_4arch9wavefront6targetE1EEEvSH_,comdat
.Lfunc_end727:
	.size	_ZN7rocprim17ROCPRIM_400000_NS6detail17trampoline_kernelINS0_14default_configENS1_36segmented_radix_sort_config_selectorIllEEZNS1_25segmented_radix_sort_implIS3_Lb1EPKlPlS8_S9_N2at6native12_GLOBAL__N_18offset_tEEE10hipError_tPvRmT1_PNSt15iterator_traitsISH_E10value_typeET2_T3_PNSI_ISN_E10value_typeET4_jRbjT5_ST_jjP12ihipStream_tbEUlT_E1_NS1_11comp_targetILNS1_3genE4ELNS1_11target_archE910ELNS1_3gpuE8ELNS1_3repE0EEENS1_59segmented_radix_sort_warp_sort_small_config_static_selectorELNS0_4arch9wavefront6targetE1EEEvSH_, .Lfunc_end727-_ZN7rocprim17ROCPRIM_400000_NS6detail17trampoline_kernelINS0_14default_configENS1_36segmented_radix_sort_config_selectorIllEEZNS1_25segmented_radix_sort_implIS3_Lb1EPKlPlS8_S9_N2at6native12_GLOBAL__N_18offset_tEEE10hipError_tPvRmT1_PNSt15iterator_traitsISH_E10value_typeET2_T3_PNSI_ISN_E10value_typeET4_jRbjT5_ST_jjP12ihipStream_tbEUlT_E1_NS1_11comp_targetILNS1_3genE4ELNS1_11target_archE910ELNS1_3gpuE8ELNS1_3repE0EEENS1_59segmented_radix_sort_warp_sort_small_config_static_selectorELNS0_4arch9wavefront6targetE1EEEvSH_
                                        ; -- End function
	.section	.AMDGPU.csdata,"",@progbits
; Kernel info:
; codeLenInByte = 512
; NumSgprs: 56
; NumVgprs: 85
; NumAgprs: 0
; TotalNumVgprs: 85
; ScratchSize: 0
; MemoryBound: 0
; FloatMode: 240
; IeeeMode: 1
; LDSByteSize: 16384 bytes/workgroup (compile time only)
; SGPRBlocks: 6
; VGPRBlocks: 10
; NumSGPRsForWavesPerEU: 56
; NumVGPRsForWavesPerEU: 85
; AccumOffset: 88
; Occupancy: 4
; WaveLimiterHint : 0
; COMPUTE_PGM_RSRC2:SCRATCH_EN: 0
; COMPUTE_PGM_RSRC2:USER_SGPR: 8
; COMPUTE_PGM_RSRC2:TRAP_HANDLER: 0
; COMPUTE_PGM_RSRC2:TGID_X_EN: 1
; COMPUTE_PGM_RSRC2:TGID_Y_EN: 1
; COMPUTE_PGM_RSRC2:TGID_Z_EN: 0
; COMPUTE_PGM_RSRC2:TIDIG_COMP_CNT: 2
; COMPUTE_PGM_RSRC3_GFX90A:ACCUM_OFFSET: 21
; COMPUTE_PGM_RSRC3_GFX90A:TG_SPLIT: 0
	.section	.text._ZN7rocprim17ROCPRIM_400000_NS6detail17trampoline_kernelINS0_14default_configENS1_36segmented_radix_sort_config_selectorIllEEZNS1_25segmented_radix_sort_implIS3_Lb1EPKlPlS8_S9_N2at6native12_GLOBAL__N_18offset_tEEE10hipError_tPvRmT1_PNSt15iterator_traitsISH_E10value_typeET2_T3_PNSI_ISN_E10value_typeET4_jRbjT5_ST_jjP12ihipStream_tbEUlT_E1_NS1_11comp_targetILNS1_3genE3ELNS1_11target_archE908ELNS1_3gpuE7ELNS1_3repE0EEENS1_59segmented_radix_sort_warp_sort_small_config_static_selectorELNS0_4arch9wavefront6targetE1EEEvSH_,"axG",@progbits,_ZN7rocprim17ROCPRIM_400000_NS6detail17trampoline_kernelINS0_14default_configENS1_36segmented_radix_sort_config_selectorIllEEZNS1_25segmented_radix_sort_implIS3_Lb1EPKlPlS8_S9_N2at6native12_GLOBAL__N_18offset_tEEE10hipError_tPvRmT1_PNSt15iterator_traitsISH_E10value_typeET2_T3_PNSI_ISN_E10value_typeET4_jRbjT5_ST_jjP12ihipStream_tbEUlT_E1_NS1_11comp_targetILNS1_3genE3ELNS1_11target_archE908ELNS1_3gpuE7ELNS1_3repE0EEENS1_59segmented_radix_sort_warp_sort_small_config_static_selectorELNS0_4arch9wavefront6targetE1EEEvSH_,comdat
	.globl	_ZN7rocprim17ROCPRIM_400000_NS6detail17trampoline_kernelINS0_14default_configENS1_36segmented_radix_sort_config_selectorIllEEZNS1_25segmented_radix_sort_implIS3_Lb1EPKlPlS8_S9_N2at6native12_GLOBAL__N_18offset_tEEE10hipError_tPvRmT1_PNSt15iterator_traitsISH_E10value_typeET2_T3_PNSI_ISN_E10value_typeET4_jRbjT5_ST_jjP12ihipStream_tbEUlT_E1_NS1_11comp_targetILNS1_3genE3ELNS1_11target_archE908ELNS1_3gpuE7ELNS1_3repE0EEENS1_59segmented_radix_sort_warp_sort_small_config_static_selectorELNS0_4arch9wavefront6targetE1EEEvSH_ ; -- Begin function _ZN7rocprim17ROCPRIM_400000_NS6detail17trampoline_kernelINS0_14default_configENS1_36segmented_radix_sort_config_selectorIllEEZNS1_25segmented_radix_sort_implIS3_Lb1EPKlPlS8_S9_N2at6native12_GLOBAL__N_18offset_tEEE10hipError_tPvRmT1_PNSt15iterator_traitsISH_E10value_typeET2_T3_PNSI_ISN_E10value_typeET4_jRbjT5_ST_jjP12ihipStream_tbEUlT_E1_NS1_11comp_targetILNS1_3genE3ELNS1_11target_archE908ELNS1_3gpuE7ELNS1_3repE0EEENS1_59segmented_radix_sort_warp_sort_small_config_static_selectorELNS0_4arch9wavefront6targetE1EEEvSH_
	.p2align	8
	.type	_ZN7rocprim17ROCPRIM_400000_NS6detail17trampoline_kernelINS0_14default_configENS1_36segmented_radix_sort_config_selectorIllEEZNS1_25segmented_radix_sort_implIS3_Lb1EPKlPlS8_S9_N2at6native12_GLOBAL__N_18offset_tEEE10hipError_tPvRmT1_PNSt15iterator_traitsISH_E10value_typeET2_T3_PNSI_ISN_E10value_typeET4_jRbjT5_ST_jjP12ihipStream_tbEUlT_E1_NS1_11comp_targetILNS1_3genE3ELNS1_11target_archE908ELNS1_3gpuE7ELNS1_3repE0EEENS1_59segmented_radix_sort_warp_sort_small_config_static_selectorELNS0_4arch9wavefront6targetE1EEEvSH_,@function
_ZN7rocprim17ROCPRIM_400000_NS6detail17trampoline_kernelINS0_14default_configENS1_36segmented_radix_sort_config_selectorIllEEZNS1_25segmented_radix_sort_implIS3_Lb1EPKlPlS8_S9_N2at6native12_GLOBAL__N_18offset_tEEE10hipError_tPvRmT1_PNSt15iterator_traitsISH_E10value_typeET2_T3_PNSI_ISN_E10value_typeET4_jRbjT5_ST_jjP12ihipStream_tbEUlT_E1_NS1_11comp_targetILNS1_3genE3ELNS1_11target_archE908ELNS1_3gpuE7ELNS1_3repE0EEENS1_59segmented_radix_sort_warp_sort_small_config_static_selectorELNS0_4arch9wavefront6targetE1EEEvSH_: ; @_ZN7rocprim17ROCPRIM_400000_NS6detail17trampoline_kernelINS0_14default_configENS1_36segmented_radix_sort_config_selectorIllEEZNS1_25segmented_radix_sort_implIS3_Lb1EPKlPlS8_S9_N2at6native12_GLOBAL__N_18offset_tEEE10hipError_tPvRmT1_PNSt15iterator_traitsISH_E10value_typeET2_T3_PNSI_ISN_E10value_typeET4_jRbjT5_ST_jjP12ihipStream_tbEUlT_E1_NS1_11comp_targetILNS1_3genE3ELNS1_11target_archE908ELNS1_3gpuE7ELNS1_3repE0EEENS1_59segmented_radix_sort_warp_sort_small_config_static_selectorELNS0_4arch9wavefront6targetE1EEEvSH_
; %bb.0:
	.section	.rodata,"a",@progbits
	.p2align	6, 0x0
	.amdhsa_kernel _ZN7rocprim17ROCPRIM_400000_NS6detail17trampoline_kernelINS0_14default_configENS1_36segmented_radix_sort_config_selectorIllEEZNS1_25segmented_radix_sort_implIS3_Lb1EPKlPlS8_S9_N2at6native12_GLOBAL__N_18offset_tEEE10hipError_tPvRmT1_PNSt15iterator_traitsISH_E10value_typeET2_T3_PNSI_ISN_E10value_typeET4_jRbjT5_ST_jjP12ihipStream_tbEUlT_E1_NS1_11comp_targetILNS1_3genE3ELNS1_11target_archE908ELNS1_3gpuE7ELNS1_3repE0EEENS1_59segmented_radix_sort_warp_sort_small_config_static_selectorELNS0_4arch9wavefront6targetE1EEEvSH_
		.amdhsa_group_segment_fixed_size 0
		.amdhsa_private_segment_fixed_size 0
		.amdhsa_kernarg_size 88
		.amdhsa_user_sgpr_count 6
		.amdhsa_user_sgpr_private_segment_buffer 1
		.amdhsa_user_sgpr_dispatch_ptr 0
		.amdhsa_user_sgpr_queue_ptr 0
		.amdhsa_user_sgpr_kernarg_segment_ptr 1
		.amdhsa_user_sgpr_dispatch_id 0
		.amdhsa_user_sgpr_flat_scratch_init 0
		.amdhsa_user_sgpr_kernarg_preload_length 0
		.amdhsa_user_sgpr_kernarg_preload_offset 0
		.amdhsa_user_sgpr_private_segment_size 0
		.amdhsa_uses_dynamic_stack 0
		.amdhsa_system_sgpr_private_segment_wavefront_offset 0
		.amdhsa_system_sgpr_workgroup_id_x 1
		.amdhsa_system_sgpr_workgroup_id_y 0
		.amdhsa_system_sgpr_workgroup_id_z 0
		.amdhsa_system_sgpr_workgroup_info 0
		.amdhsa_system_vgpr_workitem_id 0
		.amdhsa_next_free_vgpr 1
		.amdhsa_next_free_sgpr 0
		.amdhsa_accum_offset 4
		.amdhsa_reserve_vcc 0
		.amdhsa_reserve_flat_scratch 0
		.amdhsa_float_round_mode_32 0
		.amdhsa_float_round_mode_16_64 0
		.amdhsa_float_denorm_mode_32 3
		.amdhsa_float_denorm_mode_16_64 3
		.amdhsa_dx10_clamp 1
		.amdhsa_ieee_mode 1
		.amdhsa_fp16_overflow 0
		.amdhsa_tg_split 0
		.amdhsa_exception_fp_ieee_invalid_op 0
		.amdhsa_exception_fp_denorm_src 0
		.amdhsa_exception_fp_ieee_div_zero 0
		.amdhsa_exception_fp_ieee_overflow 0
		.amdhsa_exception_fp_ieee_underflow 0
		.amdhsa_exception_fp_ieee_inexact 0
		.amdhsa_exception_int_div_zero 0
	.end_amdhsa_kernel
	.section	.text._ZN7rocprim17ROCPRIM_400000_NS6detail17trampoline_kernelINS0_14default_configENS1_36segmented_radix_sort_config_selectorIllEEZNS1_25segmented_radix_sort_implIS3_Lb1EPKlPlS8_S9_N2at6native12_GLOBAL__N_18offset_tEEE10hipError_tPvRmT1_PNSt15iterator_traitsISH_E10value_typeET2_T3_PNSI_ISN_E10value_typeET4_jRbjT5_ST_jjP12ihipStream_tbEUlT_E1_NS1_11comp_targetILNS1_3genE3ELNS1_11target_archE908ELNS1_3gpuE7ELNS1_3repE0EEENS1_59segmented_radix_sort_warp_sort_small_config_static_selectorELNS0_4arch9wavefront6targetE1EEEvSH_,"axG",@progbits,_ZN7rocprim17ROCPRIM_400000_NS6detail17trampoline_kernelINS0_14default_configENS1_36segmented_radix_sort_config_selectorIllEEZNS1_25segmented_radix_sort_implIS3_Lb1EPKlPlS8_S9_N2at6native12_GLOBAL__N_18offset_tEEE10hipError_tPvRmT1_PNSt15iterator_traitsISH_E10value_typeET2_T3_PNSI_ISN_E10value_typeET4_jRbjT5_ST_jjP12ihipStream_tbEUlT_E1_NS1_11comp_targetILNS1_3genE3ELNS1_11target_archE908ELNS1_3gpuE7ELNS1_3repE0EEENS1_59segmented_radix_sort_warp_sort_small_config_static_selectorELNS0_4arch9wavefront6targetE1EEEvSH_,comdat
.Lfunc_end728:
	.size	_ZN7rocprim17ROCPRIM_400000_NS6detail17trampoline_kernelINS0_14default_configENS1_36segmented_radix_sort_config_selectorIllEEZNS1_25segmented_radix_sort_implIS3_Lb1EPKlPlS8_S9_N2at6native12_GLOBAL__N_18offset_tEEE10hipError_tPvRmT1_PNSt15iterator_traitsISH_E10value_typeET2_T3_PNSI_ISN_E10value_typeET4_jRbjT5_ST_jjP12ihipStream_tbEUlT_E1_NS1_11comp_targetILNS1_3genE3ELNS1_11target_archE908ELNS1_3gpuE7ELNS1_3repE0EEENS1_59segmented_radix_sort_warp_sort_small_config_static_selectorELNS0_4arch9wavefront6targetE1EEEvSH_, .Lfunc_end728-_ZN7rocprim17ROCPRIM_400000_NS6detail17trampoline_kernelINS0_14default_configENS1_36segmented_radix_sort_config_selectorIllEEZNS1_25segmented_radix_sort_implIS3_Lb1EPKlPlS8_S9_N2at6native12_GLOBAL__N_18offset_tEEE10hipError_tPvRmT1_PNSt15iterator_traitsISH_E10value_typeET2_T3_PNSI_ISN_E10value_typeET4_jRbjT5_ST_jjP12ihipStream_tbEUlT_E1_NS1_11comp_targetILNS1_3genE3ELNS1_11target_archE908ELNS1_3gpuE7ELNS1_3repE0EEENS1_59segmented_radix_sort_warp_sort_small_config_static_selectorELNS0_4arch9wavefront6targetE1EEEvSH_
                                        ; -- End function
	.section	.AMDGPU.csdata,"",@progbits
; Kernel info:
; codeLenInByte = 0
; NumSgprs: 4
; NumVgprs: 0
; NumAgprs: 0
; TotalNumVgprs: 0
; ScratchSize: 0
; MemoryBound: 0
; FloatMode: 240
; IeeeMode: 1
; LDSByteSize: 0 bytes/workgroup (compile time only)
; SGPRBlocks: 0
; VGPRBlocks: 0
; NumSGPRsForWavesPerEU: 4
; NumVGPRsForWavesPerEU: 1
; AccumOffset: 4
; Occupancy: 8
; WaveLimiterHint : 0
; COMPUTE_PGM_RSRC2:SCRATCH_EN: 0
; COMPUTE_PGM_RSRC2:USER_SGPR: 6
; COMPUTE_PGM_RSRC2:TRAP_HANDLER: 0
; COMPUTE_PGM_RSRC2:TGID_X_EN: 1
; COMPUTE_PGM_RSRC2:TGID_Y_EN: 0
; COMPUTE_PGM_RSRC2:TGID_Z_EN: 0
; COMPUTE_PGM_RSRC2:TIDIG_COMP_CNT: 0
; COMPUTE_PGM_RSRC3_GFX90A:ACCUM_OFFSET: 0
; COMPUTE_PGM_RSRC3_GFX90A:TG_SPLIT: 0
	.section	.text._ZN7rocprim17ROCPRIM_400000_NS6detail17trampoline_kernelINS0_14default_configENS1_36segmented_radix_sort_config_selectorIllEEZNS1_25segmented_radix_sort_implIS3_Lb1EPKlPlS8_S9_N2at6native12_GLOBAL__N_18offset_tEEE10hipError_tPvRmT1_PNSt15iterator_traitsISH_E10value_typeET2_T3_PNSI_ISN_E10value_typeET4_jRbjT5_ST_jjP12ihipStream_tbEUlT_E1_NS1_11comp_targetILNS1_3genE2ELNS1_11target_archE906ELNS1_3gpuE6ELNS1_3repE0EEENS1_59segmented_radix_sort_warp_sort_small_config_static_selectorELNS0_4arch9wavefront6targetE1EEEvSH_,"axG",@progbits,_ZN7rocprim17ROCPRIM_400000_NS6detail17trampoline_kernelINS0_14default_configENS1_36segmented_radix_sort_config_selectorIllEEZNS1_25segmented_radix_sort_implIS3_Lb1EPKlPlS8_S9_N2at6native12_GLOBAL__N_18offset_tEEE10hipError_tPvRmT1_PNSt15iterator_traitsISH_E10value_typeET2_T3_PNSI_ISN_E10value_typeET4_jRbjT5_ST_jjP12ihipStream_tbEUlT_E1_NS1_11comp_targetILNS1_3genE2ELNS1_11target_archE906ELNS1_3gpuE6ELNS1_3repE0EEENS1_59segmented_radix_sort_warp_sort_small_config_static_selectorELNS0_4arch9wavefront6targetE1EEEvSH_,comdat
	.globl	_ZN7rocprim17ROCPRIM_400000_NS6detail17trampoline_kernelINS0_14default_configENS1_36segmented_radix_sort_config_selectorIllEEZNS1_25segmented_radix_sort_implIS3_Lb1EPKlPlS8_S9_N2at6native12_GLOBAL__N_18offset_tEEE10hipError_tPvRmT1_PNSt15iterator_traitsISH_E10value_typeET2_T3_PNSI_ISN_E10value_typeET4_jRbjT5_ST_jjP12ihipStream_tbEUlT_E1_NS1_11comp_targetILNS1_3genE2ELNS1_11target_archE906ELNS1_3gpuE6ELNS1_3repE0EEENS1_59segmented_radix_sort_warp_sort_small_config_static_selectorELNS0_4arch9wavefront6targetE1EEEvSH_ ; -- Begin function _ZN7rocprim17ROCPRIM_400000_NS6detail17trampoline_kernelINS0_14default_configENS1_36segmented_radix_sort_config_selectorIllEEZNS1_25segmented_radix_sort_implIS3_Lb1EPKlPlS8_S9_N2at6native12_GLOBAL__N_18offset_tEEE10hipError_tPvRmT1_PNSt15iterator_traitsISH_E10value_typeET2_T3_PNSI_ISN_E10value_typeET4_jRbjT5_ST_jjP12ihipStream_tbEUlT_E1_NS1_11comp_targetILNS1_3genE2ELNS1_11target_archE906ELNS1_3gpuE6ELNS1_3repE0EEENS1_59segmented_radix_sort_warp_sort_small_config_static_selectorELNS0_4arch9wavefront6targetE1EEEvSH_
	.p2align	8
	.type	_ZN7rocprim17ROCPRIM_400000_NS6detail17trampoline_kernelINS0_14default_configENS1_36segmented_radix_sort_config_selectorIllEEZNS1_25segmented_radix_sort_implIS3_Lb1EPKlPlS8_S9_N2at6native12_GLOBAL__N_18offset_tEEE10hipError_tPvRmT1_PNSt15iterator_traitsISH_E10value_typeET2_T3_PNSI_ISN_E10value_typeET4_jRbjT5_ST_jjP12ihipStream_tbEUlT_E1_NS1_11comp_targetILNS1_3genE2ELNS1_11target_archE906ELNS1_3gpuE6ELNS1_3repE0EEENS1_59segmented_radix_sort_warp_sort_small_config_static_selectorELNS0_4arch9wavefront6targetE1EEEvSH_,@function
_ZN7rocprim17ROCPRIM_400000_NS6detail17trampoline_kernelINS0_14default_configENS1_36segmented_radix_sort_config_selectorIllEEZNS1_25segmented_radix_sort_implIS3_Lb1EPKlPlS8_S9_N2at6native12_GLOBAL__N_18offset_tEEE10hipError_tPvRmT1_PNSt15iterator_traitsISH_E10value_typeET2_T3_PNSI_ISN_E10value_typeET4_jRbjT5_ST_jjP12ihipStream_tbEUlT_E1_NS1_11comp_targetILNS1_3genE2ELNS1_11target_archE906ELNS1_3gpuE6ELNS1_3repE0EEENS1_59segmented_radix_sort_warp_sort_small_config_static_selectorELNS0_4arch9wavefront6targetE1EEEvSH_: ; @_ZN7rocprim17ROCPRIM_400000_NS6detail17trampoline_kernelINS0_14default_configENS1_36segmented_radix_sort_config_selectorIllEEZNS1_25segmented_radix_sort_implIS3_Lb1EPKlPlS8_S9_N2at6native12_GLOBAL__N_18offset_tEEE10hipError_tPvRmT1_PNSt15iterator_traitsISH_E10value_typeET2_T3_PNSI_ISN_E10value_typeET4_jRbjT5_ST_jjP12ihipStream_tbEUlT_E1_NS1_11comp_targetILNS1_3genE2ELNS1_11target_archE906ELNS1_3gpuE6ELNS1_3repE0EEENS1_59segmented_radix_sort_warp_sort_small_config_static_selectorELNS0_4arch9wavefront6targetE1EEEvSH_
; %bb.0:
	.section	.rodata,"a",@progbits
	.p2align	6, 0x0
	.amdhsa_kernel _ZN7rocprim17ROCPRIM_400000_NS6detail17trampoline_kernelINS0_14default_configENS1_36segmented_radix_sort_config_selectorIllEEZNS1_25segmented_radix_sort_implIS3_Lb1EPKlPlS8_S9_N2at6native12_GLOBAL__N_18offset_tEEE10hipError_tPvRmT1_PNSt15iterator_traitsISH_E10value_typeET2_T3_PNSI_ISN_E10value_typeET4_jRbjT5_ST_jjP12ihipStream_tbEUlT_E1_NS1_11comp_targetILNS1_3genE2ELNS1_11target_archE906ELNS1_3gpuE6ELNS1_3repE0EEENS1_59segmented_radix_sort_warp_sort_small_config_static_selectorELNS0_4arch9wavefront6targetE1EEEvSH_
		.amdhsa_group_segment_fixed_size 0
		.amdhsa_private_segment_fixed_size 0
		.amdhsa_kernarg_size 88
		.amdhsa_user_sgpr_count 6
		.amdhsa_user_sgpr_private_segment_buffer 1
		.amdhsa_user_sgpr_dispatch_ptr 0
		.amdhsa_user_sgpr_queue_ptr 0
		.amdhsa_user_sgpr_kernarg_segment_ptr 1
		.amdhsa_user_sgpr_dispatch_id 0
		.amdhsa_user_sgpr_flat_scratch_init 0
		.amdhsa_user_sgpr_kernarg_preload_length 0
		.amdhsa_user_sgpr_kernarg_preload_offset 0
		.amdhsa_user_sgpr_private_segment_size 0
		.amdhsa_uses_dynamic_stack 0
		.amdhsa_system_sgpr_private_segment_wavefront_offset 0
		.amdhsa_system_sgpr_workgroup_id_x 1
		.amdhsa_system_sgpr_workgroup_id_y 0
		.amdhsa_system_sgpr_workgroup_id_z 0
		.amdhsa_system_sgpr_workgroup_info 0
		.amdhsa_system_vgpr_workitem_id 0
		.amdhsa_next_free_vgpr 1
		.amdhsa_next_free_sgpr 0
		.amdhsa_accum_offset 4
		.amdhsa_reserve_vcc 0
		.amdhsa_reserve_flat_scratch 0
		.amdhsa_float_round_mode_32 0
		.amdhsa_float_round_mode_16_64 0
		.amdhsa_float_denorm_mode_32 3
		.amdhsa_float_denorm_mode_16_64 3
		.amdhsa_dx10_clamp 1
		.amdhsa_ieee_mode 1
		.amdhsa_fp16_overflow 0
		.amdhsa_tg_split 0
		.amdhsa_exception_fp_ieee_invalid_op 0
		.amdhsa_exception_fp_denorm_src 0
		.amdhsa_exception_fp_ieee_div_zero 0
		.amdhsa_exception_fp_ieee_overflow 0
		.amdhsa_exception_fp_ieee_underflow 0
		.amdhsa_exception_fp_ieee_inexact 0
		.amdhsa_exception_int_div_zero 0
	.end_amdhsa_kernel
	.section	.text._ZN7rocprim17ROCPRIM_400000_NS6detail17trampoline_kernelINS0_14default_configENS1_36segmented_radix_sort_config_selectorIllEEZNS1_25segmented_radix_sort_implIS3_Lb1EPKlPlS8_S9_N2at6native12_GLOBAL__N_18offset_tEEE10hipError_tPvRmT1_PNSt15iterator_traitsISH_E10value_typeET2_T3_PNSI_ISN_E10value_typeET4_jRbjT5_ST_jjP12ihipStream_tbEUlT_E1_NS1_11comp_targetILNS1_3genE2ELNS1_11target_archE906ELNS1_3gpuE6ELNS1_3repE0EEENS1_59segmented_radix_sort_warp_sort_small_config_static_selectorELNS0_4arch9wavefront6targetE1EEEvSH_,"axG",@progbits,_ZN7rocprim17ROCPRIM_400000_NS6detail17trampoline_kernelINS0_14default_configENS1_36segmented_radix_sort_config_selectorIllEEZNS1_25segmented_radix_sort_implIS3_Lb1EPKlPlS8_S9_N2at6native12_GLOBAL__N_18offset_tEEE10hipError_tPvRmT1_PNSt15iterator_traitsISH_E10value_typeET2_T3_PNSI_ISN_E10value_typeET4_jRbjT5_ST_jjP12ihipStream_tbEUlT_E1_NS1_11comp_targetILNS1_3genE2ELNS1_11target_archE906ELNS1_3gpuE6ELNS1_3repE0EEENS1_59segmented_radix_sort_warp_sort_small_config_static_selectorELNS0_4arch9wavefront6targetE1EEEvSH_,comdat
.Lfunc_end729:
	.size	_ZN7rocprim17ROCPRIM_400000_NS6detail17trampoline_kernelINS0_14default_configENS1_36segmented_radix_sort_config_selectorIllEEZNS1_25segmented_radix_sort_implIS3_Lb1EPKlPlS8_S9_N2at6native12_GLOBAL__N_18offset_tEEE10hipError_tPvRmT1_PNSt15iterator_traitsISH_E10value_typeET2_T3_PNSI_ISN_E10value_typeET4_jRbjT5_ST_jjP12ihipStream_tbEUlT_E1_NS1_11comp_targetILNS1_3genE2ELNS1_11target_archE906ELNS1_3gpuE6ELNS1_3repE0EEENS1_59segmented_radix_sort_warp_sort_small_config_static_selectorELNS0_4arch9wavefront6targetE1EEEvSH_, .Lfunc_end729-_ZN7rocprim17ROCPRIM_400000_NS6detail17trampoline_kernelINS0_14default_configENS1_36segmented_radix_sort_config_selectorIllEEZNS1_25segmented_radix_sort_implIS3_Lb1EPKlPlS8_S9_N2at6native12_GLOBAL__N_18offset_tEEE10hipError_tPvRmT1_PNSt15iterator_traitsISH_E10value_typeET2_T3_PNSI_ISN_E10value_typeET4_jRbjT5_ST_jjP12ihipStream_tbEUlT_E1_NS1_11comp_targetILNS1_3genE2ELNS1_11target_archE906ELNS1_3gpuE6ELNS1_3repE0EEENS1_59segmented_radix_sort_warp_sort_small_config_static_selectorELNS0_4arch9wavefront6targetE1EEEvSH_
                                        ; -- End function
	.section	.AMDGPU.csdata,"",@progbits
; Kernel info:
; codeLenInByte = 0
; NumSgprs: 4
; NumVgprs: 0
; NumAgprs: 0
; TotalNumVgprs: 0
; ScratchSize: 0
; MemoryBound: 0
; FloatMode: 240
; IeeeMode: 1
; LDSByteSize: 0 bytes/workgroup (compile time only)
; SGPRBlocks: 0
; VGPRBlocks: 0
; NumSGPRsForWavesPerEU: 4
; NumVGPRsForWavesPerEU: 1
; AccumOffset: 4
; Occupancy: 8
; WaveLimiterHint : 0
; COMPUTE_PGM_RSRC2:SCRATCH_EN: 0
; COMPUTE_PGM_RSRC2:USER_SGPR: 6
; COMPUTE_PGM_RSRC2:TRAP_HANDLER: 0
; COMPUTE_PGM_RSRC2:TGID_X_EN: 1
; COMPUTE_PGM_RSRC2:TGID_Y_EN: 0
; COMPUTE_PGM_RSRC2:TGID_Z_EN: 0
; COMPUTE_PGM_RSRC2:TIDIG_COMP_CNT: 0
; COMPUTE_PGM_RSRC3_GFX90A:ACCUM_OFFSET: 0
; COMPUTE_PGM_RSRC3_GFX90A:TG_SPLIT: 0
	.section	.text._ZN7rocprim17ROCPRIM_400000_NS6detail17trampoline_kernelINS0_14default_configENS1_36segmented_radix_sort_config_selectorIllEEZNS1_25segmented_radix_sort_implIS3_Lb1EPKlPlS8_S9_N2at6native12_GLOBAL__N_18offset_tEEE10hipError_tPvRmT1_PNSt15iterator_traitsISH_E10value_typeET2_T3_PNSI_ISN_E10value_typeET4_jRbjT5_ST_jjP12ihipStream_tbEUlT_E1_NS1_11comp_targetILNS1_3genE10ELNS1_11target_archE1201ELNS1_3gpuE5ELNS1_3repE0EEENS1_59segmented_radix_sort_warp_sort_small_config_static_selectorELNS0_4arch9wavefront6targetE1EEEvSH_,"axG",@progbits,_ZN7rocprim17ROCPRIM_400000_NS6detail17trampoline_kernelINS0_14default_configENS1_36segmented_radix_sort_config_selectorIllEEZNS1_25segmented_radix_sort_implIS3_Lb1EPKlPlS8_S9_N2at6native12_GLOBAL__N_18offset_tEEE10hipError_tPvRmT1_PNSt15iterator_traitsISH_E10value_typeET2_T3_PNSI_ISN_E10value_typeET4_jRbjT5_ST_jjP12ihipStream_tbEUlT_E1_NS1_11comp_targetILNS1_3genE10ELNS1_11target_archE1201ELNS1_3gpuE5ELNS1_3repE0EEENS1_59segmented_radix_sort_warp_sort_small_config_static_selectorELNS0_4arch9wavefront6targetE1EEEvSH_,comdat
	.globl	_ZN7rocprim17ROCPRIM_400000_NS6detail17trampoline_kernelINS0_14default_configENS1_36segmented_radix_sort_config_selectorIllEEZNS1_25segmented_radix_sort_implIS3_Lb1EPKlPlS8_S9_N2at6native12_GLOBAL__N_18offset_tEEE10hipError_tPvRmT1_PNSt15iterator_traitsISH_E10value_typeET2_T3_PNSI_ISN_E10value_typeET4_jRbjT5_ST_jjP12ihipStream_tbEUlT_E1_NS1_11comp_targetILNS1_3genE10ELNS1_11target_archE1201ELNS1_3gpuE5ELNS1_3repE0EEENS1_59segmented_radix_sort_warp_sort_small_config_static_selectorELNS0_4arch9wavefront6targetE1EEEvSH_ ; -- Begin function _ZN7rocprim17ROCPRIM_400000_NS6detail17trampoline_kernelINS0_14default_configENS1_36segmented_radix_sort_config_selectorIllEEZNS1_25segmented_radix_sort_implIS3_Lb1EPKlPlS8_S9_N2at6native12_GLOBAL__N_18offset_tEEE10hipError_tPvRmT1_PNSt15iterator_traitsISH_E10value_typeET2_T3_PNSI_ISN_E10value_typeET4_jRbjT5_ST_jjP12ihipStream_tbEUlT_E1_NS1_11comp_targetILNS1_3genE10ELNS1_11target_archE1201ELNS1_3gpuE5ELNS1_3repE0EEENS1_59segmented_radix_sort_warp_sort_small_config_static_selectorELNS0_4arch9wavefront6targetE1EEEvSH_
	.p2align	8
	.type	_ZN7rocprim17ROCPRIM_400000_NS6detail17trampoline_kernelINS0_14default_configENS1_36segmented_radix_sort_config_selectorIllEEZNS1_25segmented_radix_sort_implIS3_Lb1EPKlPlS8_S9_N2at6native12_GLOBAL__N_18offset_tEEE10hipError_tPvRmT1_PNSt15iterator_traitsISH_E10value_typeET2_T3_PNSI_ISN_E10value_typeET4_jRbjT5_ST_jjP12ihipStream_tbEUlT_E1_NS1_11comp_targetILNS1_3genE10ELNS1_11target_archE1201ELNS1_3gpuE5ELNS1_3repE0EEENS1_59segmented_radix_sort_warp_sort_small_config_static_selectorELNS0_4arch9wavefront6targetE1EEEvSH_,@function
_ZN7rocprim17ROCPRIM_400000_NS6detail17trampoline_kernelINS0_14default_configENS1_36segmented_radix_sort_config_selectorIllEEZNS1_25segmented_radix_sort_implIS3_Lb1EPKlPlS8_S9_N2at6native12_GLOBAL__N_18offset_tEEE10hipError_tPvRmT1_PNSt15iterator_traitsISH_E10value_typeET2_T3_PNSI_ISN_E10value_typeET4_jRbjT5_ST_jjP12ihipStream_tbEUlT_E1_NS1_11comp_targetILNS1_3genE10ELNS1_11target_archE1201ELNS1_3gpuE5ELNS1_3repE0EEENS1_59segmented_radix_sort_warp_sort_small_config_static_selectorELNS0_4arch9wavefront6targetE1EEEvSH_: ; @_ZN7rocprim17ROCPRIM_400000_NS6detail17trampoline_kernelINS0_14default_configENS1_36segmented_radix_sort_config_selectorIllEEZNS1_25segmented_radix_sort_implIS3_Lb1EPKlPlS8_S9_N2at6native12_GLOBAL__N_18offset_tEEE10hipError_tPvRmT1_PNSt15iterator_traitsISH_E10value_typeET2_T3_PNSI_ISN_E10value_typeET4_jRbjT5_ST_jjP12ihipStream_tbEUlT_E1_NS1_11comp_targetILNS1_3genE10ELNS1_11target_archE1201ELNS1_3gpuE5ELNS1_3repE0EEENS1_59segmented_radix_sort_warp_sort_small_config_static_selectorELNS0_4arch9wavefront6targetE1EEEvSH_
; %bb.0:
	.section	.rodata,"a",@progbits
	.p2align	6, 0x0
	.amdhsa_kernel _ZN7rocprim17ROCPRIM_400000_NS6detail17trampoline_kernelINS0_14default_configENS1_36segmented_radix_sort_config_selectorIllEEZNS1_25segmented_radix_sort_implIS3_Lb1EPKlPlS8_S9_N2at6native12_GLOBAL__N_18offset_tEEE10hipError_tPvRmT1_PNSt15iterator_traitsISH_E10value_typeET2_T3_PNSI_ISN_E10value_typeET4_jRbjT5_ST_jjP12ihipStream_tbEUlT_E1_NS1_11comp_targetILNS1_3genE10ELNS1_11target_archE1201ELNS1_3gpuE5ELNS1_3repE0EEENS1_59segmented_radix_sort_warp_sort_small_config_static_selectorELNS0_4arch9wavefront6targetE1EEEvSH_
		.amdhsa_group_segment_fixed_size 0
		.amdhsa_private_segment_fixed_size 0
		.amdhsa_kernarg_size 88
		.amdhsa_user_sgpr_count 6
		.amdhsa_user_sgpr_private_segment_buffer 1
		.amdhsa_user_sgpr_dispatch_ptr 0
		.amdhsa_user_sgpr_queue_ptr 0
		.amdhsa_user_sgpr_kernarg_segment_ptr 1
		.amdhsa_user_sgpr_dispatch_id 0
		.amdhsa_user_sgpr_flat_scratch_init 0
		.amdhsa_user_sgpr_kernarg_preload_length 0
		.amdhsa_user_sgpr_kernarg_preload_offset 0
		.amdhsa_user_sgpr_private_segment_size 0
		.amdhsa_uses_dynamic_stack 0
		.amdhsa_system_sgpr_private_segment_wavefront_offset 0
		.amdhsa_system_sgpr_workgroup_id_x 1
		.amdhsa_system_sgpr_workgroup_id_y 0
		.amdhsa_system_sgpr_workgroup_id_z 0
		.amdhsa_system_sgpr_workgroup_info 0
		.amdhsa_system_vgpr_workitem_id 0
		.amdhsa_next_free_vgpr 1
		.amdhsa_next_free_sgpr 0
		.amdhsa_accum_offset 4
		.amdhsa_reserve_vcc 0
		.amdhsa_reserve_flat_scratch 0
		.amdhsa_float_round_mode_32 0
		.amdhsa_float_round_mode_16_64 0
		.amdhsa_float_denorm_mode_32 3
		.amdhsa_float_denorm_mode_16_64 3
		.amdhsa_dx10_clamp 1
		.amdhsa_ieee_mode 1
		.amdhsa_fp16_overflow 0
		.amdhsa_tg_split 0
		.amdhsa_exception_fp_ieee_invalid_op 0
		.amdhsa_exception_fp_denorm_src 0
		.amdhsa_exception_fp_ieee_div_zero 0
		.amdhsa_exception_fp_ieee_overflow 0
		.amdhsa_exception_fp_ieee_underflow 0
		.amdhsa_exception_fp_ieee_inexact 0
		.amdhsa_exception_int_div_zero 0
	.end_amdhsa_kernel
	.section	.text._ZN7rocprim17ROCPRIM_400000_NS6detail17trampoline_kernelINS0_14default_configENS1_36segmented_radix_sort_config_selectorIllEEZNS1_25segmented_radix_sort_implIS3_Lb1EPKlPlS8_S9_N2at6native12_GLOBAL__N_18offset_tEEE10hipError_tPvRmT1_PNSt15iterator_traitsISH_E10value_typeET2_T3_PNSI_ISN_E10value_typeET4_jRbjT5_ST_jjP12ihipStream_tbEUlT_E1_NS1_11comp_targetILNS1_3genE10ELNS1_11target_archE1201ELNS1_3gpuE5ELNS1_3repE0EEENS1_59segmented_radix_sort_warp_sort_small_config_static_selectorELNS0_4arch9wavefront6targetE1EEEvSH_,"axG",@progbits,_ZN7rocprim17ROCPRIM_400000_NS6detail17trampoline_kernelINS0_14default_configENS1_36segmented_radix_sort_config_selectorIllEEZNS1_25segmented_radix_sort_implIS3_Lb1EPKlPlS8_S9_N2at6native12_GLOBAL__N_18offset_tEEE10hipError_tPvRmT1_PNSt15iterator_traitsISH_E10value_typeET2_T3_PNSI_ISN_E10value_typeET4_jRbjT5_ST_jjP12ihipStream_tbEUlT_E1_NS1_11comp_targetILNS1_3genE10ELNS1_11target_archE1201ELNS1_3gpuE5ELNS1_3repE0EEENS1_59segmented_radix_sort_warp_sort_small_config_static_selectorELNS0_4arch9wavefront6targetE1EEEvSH_,comdat
.Lfunc_end730:
	.size	_ZN7rocprim17ROCPRIM_400000_NS6detail17trampoline_kernelINS0_14default_configENS1_36segmented_radix_sort_config_selectorIllEEZNS1_25segmented_radix_sort_implIS3_Lb1EPKlPlS8_S9_N2at6native12_GLOBAL__N_18offset_tEEE10hipError_tPvRmT1_PNSt15iterator_traitsISH_E10value_typeET2_T3_PNSI_ISN_E10value_typeET4_jRbjT5_ST_jjP12ihipStream_tbEUlT_E1_NS1_11comp_targetILNS1_3genE10ELNS1_11target_archE1201ELNS1_3gpuE5ELNS1_3repE0EEENS1_59segmented_radix_sort_warp_sort_small_config_static_selectorELNS0_4arch9wavefront6targetE1EEEvSH_, .Lfunc_end730-_ZN7rocprim17ROCPRIM_400000_NS6detail17trampoline_kernelINS0_14default_configENS1_36segmented_radix_sort_config_selectorIllEEZNS1_25segmented_radix_sort_implIS3_Lb1EPKlPlS8_S9_N2at6native12_GLOBAL__N_18offset_tEEE10hipError_tPvRmT1_PNSt15iterator_traitsISH_E10value_typeET2_T3_PNSI_ISN_E10value_typeET4_jRbjT5_ST_jjP12ihipStream_tbEUlT_E1_NS1_11comp_targetILNS1_3genE10ELNS1_11target_archE1201ELNS1_3gpuE5ELNS1_3repE0EEENS1_59segmented_radix_sort_warp_sort_small_config_static_selectorELNS0_4arch9wavefront6targetE1EEEvSH_
                                        ; -- End function
	.section	.AMDGPU.csdata,"",@progbits
; Kernel info:
; codeLenInByte = 0
; NumSgprs: 4
; NumVgprs: 0
; NumAgprs: 0
; TotalNumVgprs: 0
; ScratchSize: 0
; MemoryBound: 0
; FloatMode: 240
; IeeeMode: 1
; LDSByteSize: 0 bytes/workgroup (compile time only)
; SGPRBlocks: 0
; VGPRBlocks: 0
; NumSGPRsForWavesPerEU: 4
; NumVGPRsForWavesPerEU: 1
; AccumOffset: 4
; Occupancy: 8
; WaveLimiterHint : 0
; COMPUTE_PGM_RSRC2:SCRATCH_EN: 0
; COMPUTE_PGM_RSRC2:USER_SGPR: 6
; COMPUTE_PGM_RSRC2:TRAP_HANDLER: 0
; COMPUTE_PGM_RSRC2:TGID_X_EN: 1
; COMPUTE_PGM_RSRC2:TGID_Y_EN: 0
; COMPUTE_PGM_RSRC2:TGID_Z_EN: 0
; COMPUTE_PGM_RSRC2:TIDIG_COMP_CNT: 0
; COMPUTE_PGM_RSRC3_GFX90A:ACCUM_OFFSET: 0
; COMPUTE_PGM_RSRC3_GFX90A:TG_SPLIT: 0
	.section	.text._ZN7rocprim17ROCPRIM_400000_NS6detail17trampoline_kernelINS0_14default_configENS1_36segmented_radix_sort_config_selectorIllEEZNS1_25segmented_radix_sort_implIS3_Lb1EPKlPlS8_S9_N2at6native12_GLOBAL__N_18offset_tEEE10hipError_tPvRmT1_PNSt15iterator_traitsISH_E10value_typeET2_T3_PNSI_ISN_E10value_typeET4_jRbjT5_ST_jjP12ihipStream_tbEUlT_E1_NS1_11comp_targetILNS1_3genE10ELNS1_11target_archE1200ELNS1_3gpuE4ELNS1_3repE0EEENS1_59segmented_radix_sort_warp_sort_small_config_static_selectorELNS0_4arch9wavefront6targetE1EEEvSH_,"axG",@progbits,_ZN7rocprim17ROCPRIM_400000_NS6detail17trampoline_kernelINS0_14default_configENS1_36segmented_radix_sort_config_selectorIllEEZNS1_25segmented_radix_sort_implIS3_Lb1EPKlPlS8_S9_N2at6native12_GLOBAL__N_18offset_tEEE10hipError_tPvRmT1_PNSt15iterator_traitsISH_E10value_typeET2_T3_PNSI_ISN_E10value_typeET4_jRbjT5_ST_jjP12ihipStream_tbEUlT_E1_NS1_11comp_targetILNS1_3genE10ELNS1_11target_archE1200ELNS1_3gpuE4ELNS1_3repE0EEENS1_59segmented_radix_sort_warp_sort_small_config_static_selectorELNS0_4arch9wavefront6targetE1EEEvSH_,comdat
	.globl	_ZN7rocprim17ROCPRIM_400000_NS6detail17trampoline_kernelINS0_14default_configENS1_36segmented_radix_sort_config_selectorIllEEZNS1_25segmented_radix_sort_implIS3_Lb1EPKlPlS8_S9_N2at6native12_GLOBAL__N_18offset_tEEE10hipError_tPvRmT1_PNSt15iterator_traitsISH_E10value_typeET2_T3_PNSI_ISN_E10value_typeET4_jRbjT5_ST_jjP12ihipStream_tbEUlT_E1_NS1_11comp_targetILNS1_3genE10ELNS1_11target_archE1200ELNS1_3gpuE4ELNS1_3repE0EEENS1_59segmented_radix_sort_warp_sort_small_config_static_selectorELNS0_4arch9wavefront6targetE1EEEvSH_ ; -- Begin function _ZN7rocprim17ROCPRIM_400000_NS6detail17trampoline_kernelINS0_14default_configENS1_36segmented_radix_sort_config_selectorIllEEZNS1_25segmented_radix_sort_implIS3_Lb1EPKlPlS8_S9_N2at6native12_GLOBAL__N_18offset_tEEE10hipError_tPvRmT1_PNSt15iterator_traitsISH_E10value_typeET2_T3_PNSI_ISN_E10value_typeET4_jRbjT5_ST_jjP12ihipStream_tbEUlT_E1_NS1_11comp_targetILNS1_3genE10ELNS1_11target_archE1200ELNS1_3gpuE4ELNS1_3repE0EEENS1_59segmented_radix_sort_warp_sort_small_config_static_selectorELNS0_4arch9wavefront6targetE1EEEvSH_
	.p2align	8
	.type	_ZN7rocprim17ROCPRIM_400000_NS6detail17trampoline_kernelINS0_14default_configENS1_36segmented_radix_sort_config_selectorIllEEZNS1_25segmented_radix_sort_implIS3_Lb1EPKlPlS8_S9_N2at6native12_GLOBAL__N_18offset_tEEE10hipError_tPvRmT1_PNSt15iterator_traitsISH_E10value_typeET2_T3_PNSI_ISN_E10value_typeET4_jRbjT5_ST_jjP12ihipStream_tbEUlT_E1_NS1_11comp_targetILNS1_3genE10ELNS1_11target_archE1200ELNS1_3gpuE4ELNS1_3repE0EEENS1_59segmented_radix_sort_warp_sort_small_config_static_selectorELNS0_4arch9wavefront6targetE1EEEvSH_,@function
_ZN7rocprim17ROCPRIM_400000_NS6detail17trampoline_kernelINS0_14default_configENS1_36segmented_radix_sort_config_selectorIllEEZNS1_25segmented_radix_sort_implIS3_Lb1EPKlPlS8_S9_N2at6native12_GLOBAL__N_18offset_tEEE10hipError_tPvRmT1_PNSt15iterator_traitsISH_E10value_typeET2_T3_PNSI_ISN_E10value_typeET4_jRbjT5_ST_jjP12ihipStream_tbEUlT_E1_NS1_11comp_targetILNS1_3genE10ELNS1_11target_archE1200ELNS1_3gpuE4ELNS1_3repE0EEENS1_59segmented_radix_sort_warp_sort_small_config_static_selectorELNS0_4arch9wavefront6targetE1EEEvSH_: ; @_ZN7rocprim17ROCPRIM_400000_NS6detail17trampoline_kernelINS0_14default_configENS1_36segmented_radix_sort_config_selectorIllEEZNS1_25segmented_radix_sort_implIS3_Lb1EPKlPlS8_S9_N2at6native12_GLOBAL__N_18offset_tEEE10hipError_tPvRmT1_PNSt15iterator_traitsISH_E10value_typeET2_T3_PNSI_ISN_E10value_typeET4_jRbjT5_ST_jjP12ihipStream_tbEUlT_E1_NS1_11comp_targetILNS1_3genE10ELNS1_11target_archE1200ELNS1_3gpuE4ELNS1_3repE0EEENS1_59segmented_radix_sort_warp_sort_small_config_static_selectorELNS0_4arch9wavefront6targetE1EEEvSH_
; %bb.0:
	.section	.rodata,"a",@progbits
	.p2align	6, 0x0
	.amdhsa_kernel _ZN7rocprim17ROCPRIM_400000_NS6detail17trampoline_kernelINS0_14default_configENS1_36segmented_radix_sort_config_selectorIllEEZNS1_25segmented_radix_sort_implIS3_Lb1EPKlPlS8_S9_N2at6native12_GLOBAL__N_18offset_tEEE10hipError_tPvRmT1_PNSt15iterator_traitsISH_E10value_typeET2_T3_PNSI_ISN_E10value_typeET4_jRbjT5_ST_jjP12ihipStream_tbEUlT_E1_NS1_11comp_targetILNS1_3genE10ELNS1_11target_archE1200ELNS1_3gpuE4ELNS1_3repE0EEENS1_59segmented_radix_sort_warp_sort_small_config_static_selectorELNS0_4arch9wavefront6targetE1EEEvSH_
		.amdhsa_group_segment_fixed_size 0
		.amdhsa_private_segment_fixed_size 0
		.amdhsa_kernarg_size 88
		.amdhsa_user_sgpr_count 6
		.amdhsa_user_sgpr_private_segment_buffer 1
		.amdhsa_user_sgpr_dispatch_ptr 0
		.amdhsa_user_sgpr_queue_ptr 0
		.amdhsa_user_sgpr_kernarg_segment_ptr 1
		.amdhsa_user_sgpr_dispatch_id 0
		.amdhsa_user_sgpr_flat_scratch_init 0
		.amdhsa_user_sgpr_kernarg_preload_length 0
		.amdhsa_user_sgpr_kernarg_preload_offset 0
		.amdhsa_user_sgpr_private_segment_size 0
		.amdhsa_uses_dynamic_stack 0
		.amdhsa_system_sgpr_private_segment_wavefront_offset 0
		.amdhsa_system_sgpr_workgroup_id_x 1
		.amdhsa_system_sgpr_workgroup_id_y 0
		.amdhsa_system_sgpr_workgroup_id_z 0
		.amdhsa_system_sgpr_workgroup_info 0
		.amdhsa_system_vgpr_workitem_id 0
		.amdhsa_next_free_vgpr 1
		.amdhsa_next_free_sgpr 0
		.amdhsa_accum_offset 4
		.amdhsa_reserve_vcc 0
		.amdhsa_reserve_flat_scratch 0
		.amdhsa_float_round_mode_32 0
		.amdhsa_float_round_mode_16_64 0
		.amdhsa_float_denorm_mode_32 3
		.amdhsa_float_denorm_mode_16_64 3
		.amdhsa_dx10_clamp 1
		.amdhsa_ieee_mode 1
		.amdhsa_fp16_overflow 0
		.amdhsa_tg_split 0
		.amdhsa_exception_fp_ieee_invalid_op 0
		.amdhsa_exception_fp_denorm_src 0
		.amdhsa_exception_fp_ieee_div_zero 0
		.amdhsa_exception_fp_ieee_overflow 0
		.amdhsa_exception_fp_ieee_underflow 0
		.amdhsa_exception_fp_ieee_inexact 0
		.amdhsa_exception_int_div_zero 0
	.end_amdhsa_kernel
	.section	.text._ZN7rocprim17ROCPRIM_400000_NS6detail17trampoline_kernelINS0_14default_configENS1_36segmented_radix_sort_config_selectorIllEEZNS1_25segmented_radix_sort_implIS3_Lb1EPKlPlS8_S9_N2at6native12_GLOBAL__N_18offset_tEEE10hipError_tPvRmT1_PNSt15iterator_traitsISH_E10value_typeET2_T3_PNSI_ISN_E10value_typeET4_jRbjT5_ST_jjP12ihipStream_tbEUlT_E1_NS1_11comp_targetILNS1_3genE10ELNS1_11target_archE1200ELNS1_3gpuE4ELNS1_3repE0EEENS1_59segmented_radix_sort_warp_sort_small_config_static_selectorELNS0_4arch9wavefront6targetE1EEEvSH_,"axG",@progbits,_ZN7rocprim17ROCPRIM_400000_NS6detail17trampoline_kernelINS0_14default_configENS1_36segmented_radix_sort_config_selectorIllEEZNS1_25segmented_radix_sort_implIS3_Lb1EPKlPlS8_S9_N2at6native12_GLOBAL__N_18offset_tEEE10hipError_tPvRmT1_PNSt15iterator_traitsISH_E10value_typeET2_T3_PNSI_ISN_E10value_typeET4_jRbjT5_ST_jjP12ihipStream_tbEUlT_E1_NS1_11comp_targetILNS1_3genE10ELNS1_11target_archE1200ELNS1_3gpuE4ELNS1_3repE0EEENS1_59segmented_radix_sort_warp_sort_small_config_static_selectorELNS0_4arch9wavefront6targetE1EEEvSH_,comdat
.Lfunc_end731:
	.size	_ZN7rocprim17ROCPRIM_400000_NS6detail17trampoline_kernelINS0_14default_configENS1_36segmented_radix_sort_config_selectorIllEEZNS1_25segmented_radix_sort_implIS3_Lb1EPKlPlS8_S9_N2at6native12_GLOBAL__N_18offset_tEEE10hipError_tPvRmT1_PNSt15iterator_traitsISH_E10value_typeET2_T3_PNSI_ISN_E10value_typeET4_jRbjT5_ST_jjP12ihipStream_tbEUlT_E1_NS1_11comp_targetILNS1_3genE10ELNS1_11target_archE1200ELNS1_3gpuE4ELNS1_3repE0EEENS1_59segmented_radix_sort_warp_sort_small_config_static_selectorELNS0_4arch9wavefront6targetE1EEEvSH_, .Lfunc_end731-_ZN7rocprim17ROCPRIM_400000_NS6detail17trampoline_kernelINS0_14default_configENS1_36segmented_radix_sort_config_selectorIllEEZNS1_25segmented_radix_sort_implIS3_Lb1EPKlPlS8_S9_N2at6native12_GLOBAL__N_18offset_tEEE10hipError_tPvRmT1_PNSt15iterator_traitsISH_E10value_typeET2_T3_PNSI_ISN_E10value_typeET4_jRbjT5_ST_jjP12ihipStream_tbEUlT_E1_NS1_11comp_targetILNS1_3genE10ELNS1_11target_archE1200ELNS1_3gpuE4ELNS1_3repE0EEENS1_59segmented_radix_sort_warp_sort_small_config_static_selectorELNS0_4arch9wavefront6targetE1EEEvSH_
                                        ; -- End function
	.section	.AMDGPU.csdata,"",@progbits
; Kernel info:
; codeLenInByte = 0
; NumSgprs: 4
; NumVgprs: 0
; NumAgprs: 0
; TotalNumVgprs: 0
; ScratchSize: 0
; MemoryBound: 0
; FloatMode: 240
; IeeeMode: 1
; LDSByteSize: 0 bytes/workgroup (compile time only)
; SGPRBlocks: 0
; VGPRBlocks: 0
; NumSGPRsForWavesPerEU: 4
; NumVGPRsForWavesPerEU: 1
; AccumOffset: 4
; Occupancy: 8
; WaveLimiterHint : 0
; COMPUTE_PGM_RSRC2:SCRATCH_EN: 0
; COMPUTE_PGM_RSRC2:USER_SGPR: 6
; COMPUTE_PGM_RSRC2:TRAP_HANDLER: 0
; COMPUTE_PGM_RSRC2:TGID_X_EN: 1
; COMPUTE_PGM_RSRC2:TGID_Y_EN: 0
; COMPUTE_PGM_RSRC2:TGID_Z_EN: 0
; COMPUTE_PGM_RSRC2:TIDIG_COMP_CNT: 0
; COMPUTE_PGM_RSRC3_GFX90A:ACCUM_OFFSET: 0
; COMPUTE_PGM_RSRC3_GFX90A:TG_SPLIT: 0
	.section	.text._ZN7rocprim17ROCPRIM_400000_NS6detail17trampoline_kernelINS0_14default_configENS1_36segmented_radix_sort_config_selectorIllEEZNS1_25segmented_radix_sort_implIS3_Lb1EPKlPlS8_S9_N2at6native12_GLOBAL__N_18offset_tEEE10hipError_tPvRmT1_PNSt15iterator_traitsISH_E10value_typeET2_T3_PNSI_ISN_E10value_typeET4_jRbjT5_ST_jjP12ihipStream_tbEUlT_E1_NS1_11comp_targetILNS1_3genE9ELNS1_11target_archE1100ELNS1_3gpuE3ELNS1_3repE0EEENS1_59segmented_radix_sort_warp_sort_small_config_static_selectorELNS0_4arch9wavefront6targetE1EEEvSH_,"axG",@progbits,_ZN7rocprim17ROCPRIM_400000_NS6detail17trampoline_kernelINS0_14default_configENS1_36segmented_radix_sort_config_selectorIllEEZNS1_25segmented_radix_sort_implIS3_Lb1EPKlPlS8_S9_N2at6native12_GLOBAL__N_18offset_tEEE10hipError_tPvRmT1_PNSt15iterator_traitsISH_E10value_typeET2_T3_PNSI_ISN_E10value_typeET4_jRbjT5_ST_jjP12ihipStream_tbEUlT_E1_NS1_11comp_targetILNS1_3genE9ELNS1_11target_archE1100ELNS1_3gpuE3ELNS1_3repE0EEENS1_59segmented_radix_sort_warp_sort_small_config_static_selectorELNS0_4arch9wavefront6targetE1EEEvSH_,comdat
	.globl	_ZN7rocprim17ROCPRIM_400000_NS6detail17trampoline_kernelINS0_14default_configENS1_36segmented_radix_sort_config_selectorIllEEZNS1_25segmented_radix_sort_implIS3_Lb1EPKlPlS8_S9_N2at6native12_GLOBAL__N_18offset_tEEE10hipError_tPvRmT1_PNSt15iterator_traitsISH_E10value_typeET2_T3_PNSI_ISN_E10value_typeET4_jRbjT5_ST_jjP12ihipStream_tbEUlT_E1_NS1_11comp_targetILNS1_3genE9ELNS1_11target_archE1100ELNS1_3gpuE3ELNS1_3repE0EEENS1_59segmented_radix_sort_warp_sort_small_config_static_selectorELNS0_4arch9wavefront6targetE1EEEvSH_ ; -- Begin function _ZN7rocprim17ROCPRIM_400000_NS6detail17trampoline_kernelINS0_14default_configENS1_36segmented_radix_sort_config_selectorIllEEZNS1_25segmented_radix_sort_implIS3_Lb1EPKlPlS8_S9_N2at6native12_GLOBAL__N_18offset_tEEE10hipError_tPvRmT1_PNSt15iterator_traitsISH_E10value_typeET2_T3_PNSI_ISN_E10value_typeET4_jRbjT5_ST_jjP12ihipStream_tbEUlT_E1_NS1_11comp_targetILNS1_3genE9ELNS1_11target_archE1100ELNS1_3gpuE3ELNS1_3repE0EEENS1_59segmented_radix_sort_warp_sort_small_config_static_selectorELNS0_4arch9wavefront6targetE1EEEvSH_
	.p2align	8
	.type	_ZN7rocprim17ROCPRIM_400000_NS6detail17trampoline_kernelINS0_14default_configENS1_36segmented_radix_sort_config_selectorIllEEZNS1_25segmented_radix_sort_implIS3_Lb1EPKlPlS8_S9_N2at6native12_GLOBAL__N_18offset_tEEE10hipError_tPvRmT1_PNSt15iterator_traitsISH_E10value_typeET2_T3_PNSI_ISN_E10value_typeET4_jRbjT5_ST_jjP12ihipStream_tbEUlT_E1_NS1_11comp_targetILNS1_3genE9ELNS1_11target_archE1100ELNS1_3gpuE3ELNS1_3repE0EEENS1_59segmented_radix_sort_warp_sort_small_config_static_selectorELNS0_4arch9wavefront6targetE1EEEvSH_,@function
_ZN7rocprim17ROCPRIM_400000_NS6detail17trampoline_kernelINS0_14default_configENS1_36segmented_radix_sort_config_selectorIllEEZNS1_25segmented_radix_sort_implIS3_Lb1EPKlPlS8_S9_N2at6native12_GLOBAL__N_18offset_tEEE10hipError_tPvRmT1_PNSt15iterator_traitsISH_E10value_typeET2_T3_PNSI_ISN_E10value_typeET4_jRbjT5_ST_jjP12ihipStream_tbEUlT_E1_NS1_11comp_targetILNS1_3genE9ELNS1_11target_archE1100ELNS1_3gpuE3ELNS1_3repE0EEENS1_59segmented_radix_sort_warp_sort_small_config_static_selectorELNS0_4arch9wavefront6targetE1EEEvSH_: ; @_ZN7rocprim17ROCPRIM_400000_NS6detail17trampoline_kernelINS0_14default_configENS1_36segmented_radix_sort_config_selectorIllEEZNS1_25segmented_radix_sort_implIS3_Lb1EPKlPlS8_S9_N2at6native12_GLOBAL__N_18offset_tEEE10hipError_tPvRmT1_PNSt15iterator_traitsISH_E10value_typeET2_T3_PNSI_ISN_E10value_typeET4_jRbjT5_ST_jjP12ihipStream_tbEUlT_E1_NS1_11comp_targetILNS1_3genE9ELNS1_11target_archE1100ELNS1_3gpuE3ELNS1_3repE0EEENS1_59segmented_radix_sort_warp_sort_small_config_static_selectorELNS0_4arch9wavefront6targetE1EEEvSH_
; %bb.0:
	.section	.rodata,"a",@progbits
	.p2align	6, 0x0
	.amdhsa_kernel _ZN7rocprim17ROCPRIM_400000_NS6detail17trampoline_kernelINS0_14default_configENS1_36segmented_radix_sort_config_selectorIllEEZNS1_25segmented_radix_sort_implIS3_Lb1EPKlPlS8_S9_N2at6native12_GLOBAL__N_18offset_tEEE10hipError_tPvRmT1_PNSt15iterator_traitsISH_E10value_typeET2_T3_PNSI_ISN_E10value_typeET4_jRbjT5_ST_jjP12ihipStream_tbEUlT_E1_NS1_11comp_targetILNS1_3genE9ELNS1_11target_archE1100ELNS1_3gpuE3ELNS1_3repE0EEENS1_59segmented_radix_sort_warp_sort_small_config_static_selectorELNS0_4arch9wavefront6targetE1EEEvSH_
		.amdhsa_group_segment_fixed_size 0
		.amdhsa_private_segment_fixed_size 0
		.amdhsa_kernarg_size 88
		.amdhsa_user_sgpr_count 6
		.amdhsa_user_sgpr_private_segment_buffer 1
		.amdhsa_user_sgpr_dispatch_ptr 0
		.amdhsa_user_sgpr_queue_ptr 0
		.amdhsa_user_sgpr_kernarg_segment_ptr 1
		.amdhsa_user_sgpr_dispatch_id 0
		.amdhsa_user_sgpr_flat_scratch_init 0
		.amdhsa_user_sgpr_kernarg_preload_length 0
		.amdhsa_user_sgpr_kernarg_preload_offset 0
		.amdhsa_user_sgpr_private_segment_size 0
		.amdhsa_uses_dynamic_stack 0
		.amdhsa_system_sgpr_private_segment_wavefront_offset 0
		.amdhsa_system_sgpr_workgroup_id_x 1
		.amdhsa_system_sgpr_workgroup_id_y 0
		.amdhsa_system_sgpr_workgroup_id_z 0
		.amdhsa_system_sgpr_workgroup_info 0
		.amdhsa_system_vgpr_workitem_id 0
		.amdhsa_next_free_vgpr 1
		.amdhsa_next_free_sgpr 0
		.amdhsa_accum_offset 4
		.amdhsa_reserve_vcc 0
		.amdhsa_reserve_flat_scratch 0
		.amdhsa_float_round_mode_32 0
		.amdhsa_float_round_mode_16_64 0
		.amdhsa_float_denorm_mode_32 3
		.amdhsa_float_denorm_mode_16_64 3
		.amdhsa_dx10_clamp 1
		.amdhsa_ieee_mode 1
		.amdhsa_fp16_overflow 0
		.amdhsa_tg_split 0
		.amdhsa_exception_fp_ieee_invalid_op 0
		.amdhsa_exception_fp_denorm_src 0
		.amdhsa_exception_fp_ieee_div_zero 0
		.amdhsa_exception_fp_ieee_overflow 0
		.amdhsa_exception_fp_ieee_underflow 0
		.amdhsa_exception_fp_ieee_inexact 0
		.amdhsa_exception_int_div_zero 0
	.end_amdhsa_kernel
	.section	.text._ZN7rocprim17ROCPRIM_400000_NS6detail17trampoline_kernelINS0_14default_configENS1_36segmented_radix_sort_config_selectorIllEEZNS1_25segmented_radix_sort_implIS3_Lb1EPKlPlS8_S9_N2at6native12_GLOBAL__N_18offset_tEEE10hipError_tPvRmT1_PNSt15iterator_traitsISH_E10value_typeET2_T3_PNSI_ISN_E10value_typeET4_jRbjT5_ST_jjP12ihipStream_tbEUlT_E1_NS1_11comp_targetILNS1_3genE9ELNS1_11target_archE1100ELNS1_3gpuE3ELNS1_3repE0EEENS1_59segmented_radix_sort_warp_sort_small_config_static_selectorELNS0_4arch9wavefront6targetE1EEEvSH_,"axG",@progbits,_ZN7rocprim17ROCPRIM_400000_NS6detail17trampoline_kernelINS0_14default_configENS1_36segmented_radix_sort_config_selectorIllEEZNS1_25segmented_radix_sort_implIS3_Lb1EPKlPlS8_S9_N2at6native12_GLOBAL__N_18offset_tEEE10hipError_tPvRmT1_PNSt15iterator_traitsISH_E10value_typeET2_T3_PNSI_ISN_E10value_typeET4_jRbjT5_ST_jjP12ihipStream_tbEUlT_E1_NS1_11comp_targetILNS1_3genE9ELNS1_11target_archE1100ELNS1_3gpuE3ELNS1_3repE0EEENS1_59segmented_radix_sort_warp_sort_small_config_static_selectorELNS0_4arch9wavefront6targetE1EEEvSH_,comdat
.Lfunc_end732:
	.size	_ZN7rocprim17ROCPRIM_400000_NS6detail17trampoline_kernelINS0_14default_configENS1_36segmented_radix_sort_config_selectorIllEEZNS1_25segmented_radix_sort_implIS3_Lb1EPKlPlS8_S9_N2at6native12_GLOBAL__N_18offset_tEEE10hipError_tPvRmT1_PNSt15iterator_traitsISH_E10value_typeET2_T3_PNSI_ISN_E10value_typeET4_jRbjT5_ST_jjP12ihipStream_tbEUlT_E1_NS1_11comp_targetILNS1_3genE9ELNS1_11target_archE1100ELNS1_3gpuE3ELNS1_3repE0EEENS1_59segmented_radix_sort_warp_sort_small_config_static_selectorELNS0_4arch9wavefront6targetE1EEEvSH_, .Lfunc_end732-_ZN7rocprim17ROCPRIM_400000_NS6detail17trampoline_kernelINS0_14default_configENS1_36segmented_radix_sort_config_selectorIllEEZNS1_25segmented_radix_sort_implIS3_Lb1EPKlPlS8_S9_N2at6native12_GLOBAL__N_18offset_tEEE10hipError_tPvRmT1_PNSt15iterator_traitsISH_E10value_typeET2_T3_PNSI_ISN_E10value_typeET4_jRbjT5_ST_jjP12ihipStream_tbEUlT_E1_NS1_11comp_targetILNS1_3genE9ELNS1_11target_archE1100ELNS1_3gpuE3ELNS1_3repE0EEENS1_59segmented_radix_sort_warp_sort_small_config_static_selectorELNS0_4arch9wavefront6targetE1EEEvSH_
                                        ; -- End function
	.section	.AMDGPU.csdata,"",@progbits
; Kernel info:
; codeLenInByte = 0
; NumSgprs: 4
; NumVgprs: 0
; NumAgprs: 0
; TotalNumVgprs: 0
; ScratchSize: 0
; MemoryBound: 0
; FloatMode: 240
; IeeeMode: 1
; LDSByteSize: 0 bytes/workgroup (compile time only)
; SGPRBlocks: 0
; VGPRBlocks: 0
; NumSGPRsForWavesPerEU: 4
; NumVGPRsForWavesPerEU: 1
; AccumOffset: 4
; Occupancy: 8
; WaveLimiterHint : 0
; COMPUTE_PGM_RSRC2:SCRATCH_EN: 0
; COMPUTE_PGM_RSRC2:USER_SGPR: 6
; COMPUTE_PGM_RSRC2:TRAP_HANDLER: 0
; COMPUTE_PGM_RSRC2:TGID_X_EN: 1
; COMPUTE_PGM_RSRC2:TGID_Y_EN: 0
; COMPUTE_PGM_RSRC2:TGID_Z_EN: 0
; COMPUTE_PGM_RSRC2:TIDIG_COMP_CNT: 0
; COMPUTE_PGM_RSRC3_GFX90A:ACCUM_OFFSET: 0
; COMPUTE_PGM_RSRC3_GFX90A:TG_SPLIT: 0
	.section	.text._ZN7rocprim17ROCPRIM_400000_NS6detail17trampoline_kernelINS0_14default_configENS1_36segmented_radix_sort_config_selectorIllEEZNS1_25segmented_radix_sort_implIS3_Lb1EPKlPlS8_S9_N2at6native12_GLOBAL__N_18offset_tEEE10hipError_tPvRmT1_PNSt15iterator_traitsISH_E10value_typeET2_T3_PNSI_ISN_E10value_typeET4_jRbjT5_ST_jjP12ihipStream_tbEUlT_E1_NS1_11comp_targetILNS1_3genE8ELNS1_11target_archE1030ELNS1_3gpuE2ELNS1_3repE0EEENS1_59segmented_radix_sort_warp_sort_small_config_static_selectorELNS0_4arch9wavefront6targetE1EEEvSH_,"axG",@progbits,_ZN7rocprim17ROCPRIM_400000_NS6detail17trampoline_kernelINS0_14default_configENS1_36segmented_radix_sort_config_selectorIllEEZNS1_25segmented_radix_sort_implIS3_Lb1EPKlPlS8_S9_N2at6native12_GLOBAL__N_18offset_tEEE10hipError_tPvRmT1_PNSt15iterator_traitsISH_E10value_typeET2_T3_PNSI_ISN_E10value_typeET4_jRbjT5_ST_jjP12ihipStream_tbEUlT_E1_NS1_11comp_targetILNS1_3genE8ELNS1_11target_archE1030ELNS1_3gpuE2ELNS1_3repE0EEENS1_59segmented_radix_sort_warp_sort_small_config_static_selectorELNS0_4arch9wavefront6targetE1EEEvSH_,comdat
	.globl	_ZN7rocprim17ROCPRIM_400000_NS6detail17trampoline_kernelINS0_14default_configENS1_36segmented_radix_sort_config_selectorIllEEZNS1_25segmented_radix_sort_implIS3_Lb1EPKlPlS8_S9_N2at6native12_GLOBAL__N_18offset_tEEE10hipError_tPvRmT1_PNSt15iterator_traitsISH_E10value_typeET2_T3_PNSI_ISN_E10value_typeET4_jRbjT5_ST_jjP12ihipStream_tbEUlT_E1_NS1_11comp_targetILNS1_3genE8ELNS1_11target_archE1030ELNS1_3gpuE2ELNS1_3repE0EEENS1_59segmented_radix_sort_warp_sort_small_config_static_selectorELNS0_4arch9wavefront6targetE1EEEvSH_ ; -- Begin function _ZN7rocprim17ROCPRIM_400000_NS6detail17trampoline_kernelINS0_14default_configENS1_36segmented_radix_sort_config_selectorIllEEZNS1_25segmented_radix_sort_implIS3_Lb1EPKlPlS8_S9_N2at6native12_GLOBAL__N_18offset_tEEE10hipError_tPvRmT1_PNSt15iterator_traitsISH_E10value_typeET2_T3_PNSI_ISN_E10value_typeET4_jRbjT5_ST_jjP12ihipStream_tbEUlT_E1_NS1_11comp_targetILNS1_3genE8ELNS1_11target_archE1030ELNS1_3gpuE2ELNS1_3repE0EEENS1_59segmented_radix_sort_warp_sort_small_config_static_selectorELNS0_4arch9wavefront6targetE1EEEvSH_
	.p2align	8
	.type	_ZN7rocprim17ROCPRIM_400000_NS6detail17trampoline_kernelINS0_14default_configENS1_36segmented_radix_sort_config_selectorIllEEZNS1_25segmented_radix_sort_implIS3_Lb1EPKlPlS8_S9_N2at6native12_GLOBAL__N_18offset_tEEE10hipError_tPvRmT1_PNSt15iterator_traitsISH_E10value_typeET2_T3_PNSI_ISN_E10value_typeET4_jRbjT5_ST_jjP12ihipStream_tbEUlT_E1_NS1_11comp_targetILNS1_3genE8ELNS1_11target_archE1030ELNS1_3gpuE2ELNS1_3repE0EEENS1_59segmented_radix_sort_warp_sort_small_config_static_selectorELNS0_4arch9wavefront6targetE1EEEvSH_,@function
_ZN7rocprim17ROCPRIM_400000_NS6detail17trampoline_kernelINS0_14default_configENS1_36segmented_radix_sort_config_selectorIllEEZNS1_25segmented_radix_sort_implIS3_Lb1EPKlPlS8_S9_N2at6native12_GLOBAL__N_18offset_tEEE10hipError_tPvRmT1_PNSt15iterator_traitsISH_E10value_typeET2_T3_PNSI_ISN_E10value_typeET4_jRbjT5_ST_jjP12ihipStream_tbEUlT_E1_NS1_11comp_targetILNS1_3genE8ELNS1_11target_archE1030ELNS1_3gpuE2ELNS1_3repE0EEENS1_59segmented_radix_sort_warp_sort_small_config_static_selectorELNS0_4arch9wavefront6targetE1EEEvSH_: ; @_ZN7rocprim17ROCPRIM_400000_NS6detail17trampoline_kernelINS0_14default_configENS1_36segmented_radix_sort_config_selectorIllEEZNS1_25segmented_radix_sort_implIS3_Lb1EPKlPlS8_S9_N2at6native12_GLOBAL__N_18offset_tEEE10hipError_tPvRmT1_PNSt15iterator_traitsISH_E10value_typeET2_T3_PNSI_ISN_E10value_typeET4_jRbjT5_ST_jjP12ihipStream_tbEUlT_E1_NS1_11comp_targetILNS1_3genE8ELNS1_11target_archE1030ELNS1_3gpuE2ELNS1_3repE0EEENS1_59segmented_radix_sort_warp_sort_small_config_static_selectorELNS0_4arch9wavefront6targetE1EEEvSH_
; %bb.0:
	.section	.rodata,"a",@progbits
	.p2align	6, 0x0
	.amdhsa_kernel _ZN7rocprim17ROCPRIM_400000_NS6detail17trampoline_kernelINS0_14default_configENS1_36segmented_radix_sort_config_selectorIllEEZNS1_25segmented_radix_sort_implIS3_Lb1EPKlPlS8_S9_N2at6native12_GLOBAL__N_18offset_tEEE10hipError_tPvRmT1_PNSt15iterator_traitsISH_E10value_typeET2_T3_PNSI_ISN_E10value_typeET4_jRbjT5_ST_jjP12ihipStream_tbEUlT_E1_NS1_11comp_targetILNS1_3genE8ELNS1_11target_archE1030ELNS1_3gpuE2ELNS1_3repE0EEENS1_59segmented_radix_sort_warp_sort_small_config_static_selectorELNS0_4arch9wavefront6targetE1EEEvSH_
		.amdhsa_group_segment_fixed_size 0
		.amdhsa_private_segment_fixed_size 0
		.amdhsa_kernarg_size 88
		.amdhsa_user_sgpr_count 6
		.amdhsa_user_sgpr_private_segment_buffer 1
		.amdhsa_user_sgpr_dispatch_ptr 0
		.amdhsa_user_sgpr_queue_ptr 0
		.amdhsa_user_sgpr_kernarg_segment_ptr 1
		.amdhsa_user_sgpr_dispatch_id 0
		.amdhsa_user_sgpr_flat_scratch_init 0
		.amdhsa_user_sgpr_kernarg_preload_length 0
		.amdhsa_user_sgpr_kernarg_preload_offset 0
		.amdhsa_user_sgpr_private_segment_size 0
		.amdhsa_uses_dynamic_stack 0
		.amdhsa_system_sgpr_private_segment_wavefront_offset 0
		.amdhsa_system_sgpr_workgroup_id_x 1
		.amdhsa_system_sgpr_workgroup_id_y 0
		.amdhsa_system_sgpr_workgroup_id_z 0
		.amdhsa_system_sgpr_workgroup_info 0
		.amdhsa_system_vgpr_workitem_id 0
		.amdhsa_next_free_vgpr 1
		.amdhsa_next_free_sgpr 0
		.amdhsa_accum_offset 4
		.amdhsa_reserve_vcc 0
		.amdhsa_reserve_flat_scratch 0
		.amdhsa_float_round_mode_32 0
		.amdhsa_float_round_mode_16_64 0
		.amdhsa_float_denorm_mode_32 3
		.amdhsa_float_denorm_mode_16_64 3
		.amdhsa_dx10_clamp 1
		.amdhsa_ieee_mode 1
		.amdhsa_fp16_overflow 0
		.amdhsa_tg_split 0
		.amdhsa_exception_fp_ieee_invalid_op 0
		.amdhsa_exception_fp_denorm_src 0
		.amdhsa_exception_fp_ieee_div_zero 0
		.amdhsa_exception_fp_ieee_overflow 0
		.amdhsa_exception_fp_ieee_underflow 0
		.amdhsa_exception_fp_ieee_inexact 0
		.amdhsa_exception_int_div_zero 0
	.end_amdhsa_kernel
	.section	.text._ZN7rocprim17ROCPRIM_400000_NS6detail17trampoline_kernelINS0_14default_configENS1_36segmented_radix_sort_config_selectorIllEEZNS1_25segmented_radix_sort_implIS3_Lb1EPKlPlS8_S9_N2at6native12_GLOBAL__N_18offset_tEEE10hipError_tPvRmT1_PNSt15iterator_traitsISH_E10value_typeET2_T3_PNSI_ISN_E10value_typeET4_jRbjT5_ST_jjP12ihipStream_tbEUlT_E1_NS1_11comp_targetILNS1_3genE8ELNS1_11target_archE1030ELNS1_3gpuE2ELNS1_3repE0EEENS1_59segmented_radix_sort_warp_sort_small_config_static_selectorELNS0_4arch9wavefront6targetE1EEEvSH_,"axG",@progbits,_ZN7rocprim17ROCPRIM_400000_NS6detail17trampoline_kernelINS0_14default_configENS1_36segmented_radix_sort_config_selectorIllEEZNS1_25segmented_radix_sort_implIS3_Lb1EPKlPlS8_S9_N2at6native12_GLOBAL__N_18offset_tEEE10hipError_tPvRmT1_PNSt15iterator_traitsISH_E10value_typeET2_T3_PNSI_ISN_E10value_typeET4_jRbjT5_ST_jjP12ihipStream_tbEUlT_E1_NS1_11comp_targetILNS1_3genE8ELNS1_11target_archE1030ELNS1_3gpuE2ELNS1_3repE0EEENS1_59segmented_radix_sort_warp_sort_small_config_static_selectorELNS0_4arch9wavefront6targetE1EEEvSH_,comdat
.Lfunc_end733:
	.size	_ZN7rocprim17ROCPRIM_400000_NS6detail17trampoline_kernelINS0_14default_configENS1_36segmented_radix_sort_config_selectorIllEEZNS1_25segmented_radix_sort_implIS3_Lb1EPKlPlS8_S9_N2at6native12_GLOBAL__N_18offset_tEEE10hipError_tPvRmT1_PNSt15iterator_traitsISH_E10value_typeET2_T3_PNSI_ISN_E10value_typeET4_jRbjT5_ST_jjP12ihipStream_tbEUlT_E1_NS1_11comp_targetILNS1_3genE8ELNS1_11target_archE1030ELNS1_3gpuE2ELNS1_3repE0EEENS1_59segmented_radix_sort_warp_sort_small_config_static_selectorELNS0_4arch9wavefront6targetE1EEEvSH_, .Lfunc_end733-_ZN7rocprim17ROCPRIM_400000_NS6detail17trampoline_kernelINS0_14default_configENS1_36segmented_radix_sort_config_selectorIllEEZNS1_25segmented_radix_sort_implIS3_Lb1EPKlPlS8_S9_N2at6native12_GLOBAL__N_18offset_tEEE10hipError_tPvRmT1_PNSt15iterator_traitsISH_E10value_typeET2_T3_PNSI_ISN_E10value_typeET4_jRbjT5_ST_jjP12ihipStream_tbEUlT_E1_NS1_11comp_targetILNS1_3genE8ELNS1_11target_archE1030ELNS1_3gpuE2ELNS1_3repE0EEENS1_59segmented_radix_sort_warp_sort_small_config_static_selectorELNS0_4arch9wavefront6targetE1EEEvSH_
                                        ; -- End function
	.section	.AMDGPU.csdata,"",@progbits
; Kernel info:
; codeLenInByte = 0
; NumSgprs: 4
; NumVgprs: 0
; NumAgprs: 0
; TotalNumVgprs: 0
; ScratchSize: 0
; MemoryBound: 0
; FloatMode: 240
; IeeeMode: 1
; LDSByteSize: 0 bytes/workgroup (compile time only)
; SGPRBlocks: 0
; VGPRBlocks: 0
; NumSGPRsForWavesPerEU: 4
; NumVGPRsForWavesPerEU: 1
; AccumOffset: 4
; Occupancy: 8
; WaveLimiterHint : 0
; COMPUTE_PGM_RSRC2:SCRATCH_EN: 0
; COMPUTE_PGM_RSRC2:USER_SGPR: 6
; COMPUTE_PGM_RSRC2:TRAP_HANDLER: 0
; COMPUTE_PGM_RSRC2:TGID_X_EN: 1
; COMPUTE_PGM_RSRC2:TGID_Y_EN: 0
; COMPUTE_PGM_RSRC2:TGID_Z_EN: 0
; COMPUTE_PGM_RSRC2:TIDIG_COMP_CNT: 0
; COMPUTE_PGM_RSRC3_GFX90A:ACCUM_OFFSET: 0
; COMPUTE_PGM_RSRC3_GFX90A:TG_SPLIT: 0
	.section	.text._ZN7rocprim17ROCPRIM_400000_NS6detail17trampoline_kernelINS0_14default_configENS1_36segmented_radix_sort_config_selectorIllEEZNS1_25segmented_radix_sort_implIS3_Lb1EPKlPlS8_S9_N2at6native12_GLOBAL__N_18offset_tEEE10hipError_tPvRmT1_PNSt15iterator_traitsISH_E10value_typeET2_T3_PNSI_ISN_E10value_typeET4_jRbjT5_ST_jjP12ihipStream_tbEUlT_E2_NS1_11comp_targetILNS1_3genE0ELNS1_11target_archE4294967295ELNS1_3gpuE0ELNS1_3repE0EEENS1_30default_config_static_selectorELNS0_4arch9wavefront6targetE1EEEvSH_,"axG",@progbits,_ZN7rocprim17ROCPRIM_400000_NS6detail17trampoline_kernelINS0_14default_configENS1_36segmented_radix_sort_config_selectorIllEEZNS1_25segmented_radix_sort_implIS3_Lb1EPKlPlS8_S9_N2at6native12_GLOBAL__N_18offset_tEEE10hipError_tPvRmT1_PNSt15iterator_traitsISH_E10value_typeET2_T3_PNSI_ISN_E10value_typeET4_jRbjT5_ST_jjP12ihipStream_tbEUlT_E2_NS1_11comp_targetILNS1_3genE0ELNS1_11target_archE4294967295ELNS1_3gpuE0ELNS1_3repE0EEENS1_30default_config_static_selectorELNS0_4arch9wavefront6targetE1EEEvSH_,comdat
	.globl	_ZN7rocprim17ROCPRIM_400000_NS6detail17trampoline_kernelINS0_14default_configENS1_36segmented_radix_sort_config_selectorIllEEZNS1_25segmented_radix_sort_implIS3_Lb1EPKlPlS8_S9_N2at6native12_GLOBAL__N_18offset_tEEE10hipError_tPvRmT1_PNSt15iterator_traitsISH_E10value_typeET2_T3_PNSI_ISN_E10value_typeET4_jRbjT5_ST_jjP12ihipStream_tbEUlT_E2_NS1_11comp_targetILNS1_3genE0ELNS1_11target_archE4294967295ELNS1_3gpuE0ELNS1_3repE0EEENS1_30default_config_static_selectorELNS0_4arch9wavefront6targetE1EEEvSH_ ; -- Begin function _ZN7rocprim17ROCPRIM_400000_NS6detail17trampoline_kernelINS0_14default_configENS1_36segmented_radix_sort_config_selectorIllEEZNS1_25segmented_radix_sort_implIS3_Lb1EPKlPlS8_S9_N2at6native12_GLOBAL__N_18offset_tEEE10hipError_tPvRmT1_PNSt15iterator_traitsISH_E10value_typeET2_T3_PNSI_ISN_E10value_typeET4_jRbjT5_ST_jjP12ihipStream_tbEUlT_E2_NS1_11comp_targetILNS1_3genE0ELNS1_11target_archE4294967295ELNS1_3gpuE0ELNS1_3repE0EEENS1_30default_config_static_selectorELNS0_4arch9wavefront6targetE1EEEvSH_
	.p2align	8
	.type	_ZN7rocprim17ROCPRIM_400000_NS6detail17trampoline_kernelINS0_14default_configENS1_36segmented_radix_sort_config_selectorIllEEZNS1_25segmented_radix_sort_implIS3_Lb1EPKlPlS8_S9_N2at6native12_GLOBAL__N_18offset_tEEE10hipError_tPvRmT1_PNSt15iterator_traitsISH_E10value_typeET2_T3_PNSI_ISN_E10value_typeET4_jRbjT5_ST_jjP12ihipStream_tbEUlT_E2_NS1_11comp_targetILNS1_3genE0ELNS1_11target_archE4294967295ELNS1_3gpuE0ELNS1_3repE0EEENS1_30default_config_static_selectorELNS0_4arch9wavefront6targetE1EEEvSH_,@function
_ZN7rocprim17ROCPRIM_400000_NS6detail17trampoline_kernelINS0_14default_configENS1_36segmented_radix_sort_config_selectorIllEEZNS1_25segmented_radix_sort_implIS3_Lb1EPKlPlS8_S9_N2at6native12_GLOBAL__N_18offset_tEEE10hipError_tPvRmT1_PNSt15iterator_traitsISH_E10value_typeET2_T3_PNSI_ISN_E10value_typeET4_jRbjT5_ST_jjP12ihipStream_tbEUlT_E2_NS1_11comp_targetILNS1_3genE0ELNS1_11target_archE4294967295ELNS1_3gpuE0ELNS1_3repE0EEENS1_30default_config_static_selectorELNS0_4arch9wavefront6targetE1EEEvSH_: ; @_ZN7rocprim17ROCPRIM_400000_NS6detail17trampoline_kernelINS0_14default_configENS1_36segmented_radix_sort_config_selectorIllEEZNS1_25segmented_radix_sort_implIS3_Lb1EPKlPlS8_S9_N2at6native12_GLOBAL__N_18offset_tEEE10hipError_tPvRmT1_PNSt15iterator_traitsISH_E10value_typeET2_T3_PNSI_ISN_E10value_typeET4_jRbjT5_ST_jjP12ihipStream_tbEUlT_E2_NS1_11comp_targetILNS1_3genE0ELNS1_11target_archE4294967295ELNS1_3gpuE0ELNS1_3repE0EEENS1_30default_config_static_selectorELNS0_4arch9wavefront6targetE1EEEvSH_
; %bb.0:
	.section	.rodata,"a",@progbits
	.p2align	6, 0x0
	.amdhsa_kernel _ZN7rocprim17ROCPRIM_400000_NS6detail17trampoline_kernelINS0_14default_configENS1_36segmented_radix_sort_config_selectorIllEEZNS1_25segmented_radix_sort_implIS3_Lb1EPKlPlS8_S9_N2at6native12_GLOBAL__N_18offset_tEEE10hipError_tPvRmT1_PNSt15iterator_traitsISH_E10value_typeET2_T3_PNSI_ISN_E10value_typeET4_jRbjT5_ST_jjP12ihipStream_tbEUlT_E2_NS1_11comp_targetILNS1_3genE0ELNS1_11target_archE4294967295ELNS1_3gpuE0ELNS1_3repE0EEENS1_30default_config_static_selectorELNS0_4arch9wavefront6targetE1EEEvSH_
		.amdhsa_group_segment_fixed_size 0
		.amdhsa_private_segment_fixed_size 0
		.amdhsa_kernarg_size 80
		.amdhsa_user_sgpr_count 6
		.amdhsa_user_sgpr_private_segment_buffer 1
		.amdhsa_user_sgpr_dispatch_ptr 0
		.amdhsa_user_sgpr_queue_ptr 0
		.amdhsa_user_sgpr_kernarg_segment_ptr 1
		.amdhsa_user_sgpr_dispatch_id 0
		.amdhsa_user_sgpr_flat_scratch_init 0
		.amdhsa_user_sgpr_kernarg_preload_length 0
		.amdhsa_user_sgpr_kernarg_preload_offset 0
		.amdhsa_user_sgpr_private_segment_size 0
		.amdhsa_uses_dynamic_stack 0
		.amdhsa_system_sgpr_private_segment_wavefront_offset 0
		.amdhsa_system_sgpr_workgroup_id_x 1
		.amdhsa_system_sgpr_workgroup_id_y 0
		.amdhsa_system_sgpr_workgroup_id_z 0
		.amdhsa_system_sgpr_workgroup_info 0
		.amdhsa_system_vgpr_workitem_id 0
		.amdhsa_next_free_vgpr 1
		.amdhsa_next_free_sgpr 0
		.amdhsa_accum_offset 4
		.amdhsa_reserve_vcc 0
		.amdhsa_reserve_flat_scratch 0
		.amdhsa_float_round_mode_32 0
		.amdhsa_float_round_mode_16_64 0
		.amdhsa_float_denorm_mode_32 3
		.amdhsa_float_denorm_mode_16_64 3
		.amdhsa_dx10_clamp 1
		.amdhsa_ieee_mode 1
		.amdhsa_fp16_overflow 0
		.amdhsa_tg_split 0
		.amdhsa_exception_fp_ieee_invalid_op 0
		.amdhsa_exception_fp_denorm_src 0
		.amdhsa_exception_fp_ieee_div_zero 0
		.amdhsa_exception_fp_ieee_overflow 0
		.amdhsa_exception_fp_ieee_underflow 0
		.amdhsa_exception_fp_ieee_inexact 0
		.amdhsa_exception_int_div_zero 0
	.end_amdhsa_kernel
	.section	.text._ZN7rocprim17ROCPRIM_400000_NS6detail17trampoline_kernelINS0_14default_configENS1_36segmented_radix_sort_config_selectorIllEEZNS1_25segmented_radix_sort_implIS3_Lb1EPKlPlS8_S9_N2at6native12_GLOBAL__N_18offset_tEEE10hipError_tPvRmT1_PNSt15iterator_traitsISH_E10value_typeET2_T3_PNSI_ISN_E10value_typeET4_jRbjT5_ST_jjP12ihipStream_tbEUlT_E2_NS1_11comp_targetILNS1_3genE0ELNS1_11target_archE4294967295ELNS1_3gpuE0ELNS1_3repE0EEENS1_30default_config_static_selectorELNS0_4arch9wavefront6targetE1EEEvSH_,"axG",@progbits,_ZN7rocprim17ROCPRIM_400000_NS6detail17trampoline_kernelINS0_14default_configENS1_36segmented_radix_sort_config_selectorIllEEZNS1_25segmented_radix_sort_implIS3_Lb1EPKlPlS8_S9_N2at6native12_GLOBAL__N_18offset_tEEE10hipError_tPvRmT1_PNSt15iterator_traitsISH_E10value_typeET2_T3_PNSI_ISN_E10value_typeET4_jRbjT5_ST_jjP12ihipStream_tbEUlT_E2_NS1_11comp_targetILNS1_3genE0ELNS1_11target_archE4294967295ELNS1_3gpuE0ELNS1_3repE0EEENS1_30default_config_static_selectorELNS0_4arch9wavefront6targetE1EEEvSH_,comdat
.Lfunc_end734:
	.size	_ZN7rocprim17ROCPRIM_400000_NS6detail17trampoline_kernelINS0_14default_configENS1_36segmented_radix_sort_config_selectorIllEEZNS1_25segmented_radix_sort_implIS3_Lb1EPKlPlS8_S9_N2at6native12_GLOBAL__N_18offset_tEEE10hipError_tPvRmT1_PNSt15iterator_traitsISH_E10value_typeET2_T3_PNSI_ISN_E10value_typeET4_jRbjT5_ST_jjP12ihipStream_tbEUlT_E2_NS1_11comp_targetILNS1_3genE0ELNS1_11target_archE4294967295ELNS1_3gpuE0ELNS1_3repE0EEENS1_30default_config_static_selectorELNS0_4arch9wavefront6targetE1EEEvSH_, .Lfunc_end734-_ZN7rocprim17ROCPRIM_400000_NS6detail17trampoline_kernelINS0_14default_configENS1_36segmented_radix_sort_config_selectorIllEEZNS1_25segmented_radix_sort_implIS3_Lb1EPKlPlS8_S9_N2at6native12_GLOBAL__N_18offset_tEEE10hipError_tPvRmT1_PNSt15iterator_traitsISH_E10value_typeET2_T3_PNSI_ISN_E10value_typeET4_jRbjT5_ST_jjP12ihipStream_tbEUlT_E2_NS1_11comp_targetILNS1_3genE0ELNS1_11target_archE4294967295ELNS1_3gpuE0ELNS1_3repE0EEENS1_30default_config_static_selectorELNS0_4arch9wavefront6targetE1EEEvSH_
                                        ; -- End function
	.section	.AMDGPU.csdata,"",@progbits
; Kernel info:
; codeLenInByte = 0
; NumSgprs: 4
; NumVgprs: 0
; NumAgprs: 0
; TotalNumVgprs: 0
; ScratchSize: 0
; MemoryBound: 0
; FloatMode: 240
; IeeeMode: 1
; LDSByteSize: 0 bytes/workgroup (compile time only)
; SGPRBlocks: 0
; VGPRBlocks: 0
; NumSGPRsForWavesPerEU: 4
; NumVGPRsForWavesPerEU: 1
; AccumOffset: 4
; Occupancy: 8
; WaveLimiterHint : 0
; COMPUTE_PGM_RSRC2:SCRATCH_EN: 0
; COMPUTE_PGM_RSRC2:USER_SGPR: 6
; COMPUTE_PGM_RSRC2:TRAP_HANDLER: 0
; COMPUTE_PGM_RSRC2:TGID_X_EN: 1
; COMPUTE_PGM_RSRC2:TGID_Y_EN: 0
; COMPUTE_PGM_RSRC2:TGID_Z_EN: 0
; COMPUTE_PGM_RSRC2:TIDIG_COMP_CNT: 0
; COMPUTE_PGM_RSRC3_GFX90A:ACCUM_OFFSET: 0
; COMPUTE_PGM_RSRC3_GFX90A:TG_SPLIT: 0
	.section	.text._ZN7rocprim17ROCPRIM_400000_NS6detail17trampoline_kernelINS0_14default_configENS1_36segmented_radix_sort_config_selectorIllEEZNS1_25segmented_radix_sort_implIS3_Lb1EPKlPlS8_S9_N2at6native12_GLOBAL__N_18offset_tEEE10hipError_tPvRmT1_PNSt15iterator_traitsISH_E10value_typeET2_T3_PNSI_ISN_E10value_typeET4_jRbjT5_ST_jjP12ihipStream_tbEUlT_E2_NS1_11comp_targetILNS1_3genE5ELNS1_11target_archE942ELNS1_3gpuE9ELNS1_3repE0EEENS1_30default_config_static_selectorELNS0_4arch9wavefront6targetE1EEEvSH_,"axG",@progbits,_ZN7rocprim17ROCPRIM_400000_NS6detail17trampoline_kernelINS0_14default_configENS1_36segmented_radix_sort_config_selectorIllEEZNS1_25segmented_radix_sort_implIS3_Lb1EPKlPlS8_S9_N2at6native12_GLOBAL__N_18offset_tEEE10hipError_tPvRmT1_PNSt15iterator_traitsISH_E10value_typeET2_T3_PNSI_ISN_E10value_typeET4_jRbjT5_ST_jjP12ihipStream_tbEUlT_E2_NS1_11comp_targetILNS1_3genE5ELNS1_11target_archE942ELNS1_3gpuE9ELNS1_3repE0EEENS1_30default_config_static_selectorELNS0_4arch9wavefront6targetE1EEEvSH_,comdat
	.globl	_ZN7rocprim17ROCPRIM_400000_NS6detail17trampoline_kernelINS0_14default_configENS1_36segmented_radix_sort_config_selectorIllEEZNS1_25segmented_radix_sort_implIS3_Lb1EPKlPlS8_S9_N2at6native12_GLOBAL__N_18offset_tEEE10hipError_tPvRmT1_PNSt15iterator_traitsISH_E10value_typeET2_T3_PNSI_ISN_E10value_typeET4_jRbjT5_ST_jjP12ihipStream_tbEUlT_E2_NS1_11comp_targetILNS1_3genE5ELNS1_11target_archE942ELNS1_3gpuE9ELNS1_3repE0EEENS1_30default_config_static_selectorELNS0_4arch9wavefront6targetE1EEEvSH_ ; -- Begin function _ZN7rocprim17ROCPRIM_400000_NS6detail17trampoline_kernelINS0_14default_configENS1_36segmented_radix_sort_config_selectorIllEEZNS1_25segmented_radix_sort_implIS3_Lb1EPKlPlS8_S9_N2at6native12_GLOBAL__N_18offset_tEEE10hipError_tPvRmT1_PNSt15iterator_traitsISH_E10value_typeET2_T3_PNSI_ISN_E10value_typeET4_jRbjT5_ST_jjP12ihipStream_tbEUlT_E2_NS1_11comp_targetILNS1_3genE5ELNS1_11target_archE942ELNS1_3gpuE9ELNS1_3repE0EEENS1_30default_config_static_selectorELNS0_4arch9wavefront6targetE1EEEvSH_
	.p2align	8
	.type	_ZN7rocprim17ROCPRIM_400000_NS6detail17trampoline_kernelINS0_14default_configENS1_36segmented_radix_sort_config_selectorIllEEZNS1_25segmented_radix_sort_implIS3_Lb1EPKlPlS8_S9_N2at6native12_GLOBAL__N_18offset_tEEE10hipError_tPvRmT1_PNSt15iterator_traitsISH_E10value_typeET2_T3_PNSI_ISN_E10value_typeET4_jRbjT5_ST_jjP12ihipStream_tbEUlT_E2_NS1_11comp_targetILNS1_3genE5ELNS1_11target_archE942ELNS1_3gpuE9ELNS1_3repE0EEENS1_30default_config_static_selectorELNS0_4arch9wavefront6targetE1EEEvSH_,@function
_ZN7rocprim17ROCPRIM_400000_NS6detail17trampoline_kernelINS0_14default_configENS1_36segmented_radix_sort_config_selectorIllEEZNS1_25segmented_radix_sort_implIS3_Lb1EPKlPlS8_S9_N2at6native12_GLOBAL__N_18offset_tEEE10hipError_tPvRmT1_PNSt15iterator_traitsISH_E10value_typeET2_T3_PNSI_ISN_E10value_typeET4_jRbjT5_ST_jjP12ihipStream_tbEUlT_E2_NS1_11comp_targetILNS1_3genE5ELNS1_11target_archE942ELNS1_3gpuE9ELNS1_3repE0EEENS1_30default_config_static_selectorELNS0_4arch9wavefront6targetE1EEEvSH_: ; @_ZN7rocprim17ROCPRIM_400000_NS6detail17trampoline_kernelINS0_14default_configENS1_36segmented_radix_sort_config_selectorIllEEZNS1_25segmented_radix_sort_implIS3_Lb1EPKlPlS8_S9_N2at6native12_GLOBAL__N_18offset_tEEE10hipError_tPvRmT1_PNSt15iterator_traitsISH_E10value_typeET2_T3_PNSI_ISN_E10value_typeET4_jRbjT5_ST_jjP12ihipStream_tbEUlT_E2_NS1_11comp_targetILNS1_3genE5ELNS1_11target_archE942ELNS1_3gpuE9ELNS1_3repE0EEENS1_30default_config_static_selectorELNS0_4arch9wavefront6targetE1EEEvSH_
; %bb.0:
	.section	.rodata,"a",@progbits
	.p2align	6, 0x0
	.amdhsa_kernel _ZN7rocprim17ROCPRIM_400000_NS6detail17trampoline_kernelINS0_14default_configENS1_36segmented_radix_sort_config_selectorIllEEZNS1_25segmented_radix_sort_implIS3_Lb1EPKlPlS8_S9_N2at6native12_GLOBAL__N_18offset_tEEE10hipError_tPvRmT1_PNSt15iterator_traitsISH_E10value_typeET2_T3_PNSI_ISN_E10value_typeET4_jRbjT5_ST_jjP12ihipStream_tbEUlT_E2_NS1_11comp_targetILNS1_3genE5ELNS1_11target_archE942ELNS1_3gpuE9ELNS1_3repE0EEENS1_30default_config_static_selectorELNS0_4arch9wavefront6targetE1EEEvSH_
		.amdhsa_group_segment_fixed_size 0
		.amdhsa_private_segment_fixed_size 0
		.amdhsa_kernarg_size 80
		.amdhsa_user_sgpr_count 6
		.amdhsa_user_sgpr_private_segment_buffer 1
		.amdhsa_user_sgpr_dispatch_ptr 0
		.amdhsa_user_sgpr_queue_ptr 0
		.amdhsa_user_sgpr_kernarg_segment_ptr 1
		.amdhsa_user_sgpr_dispatch_id 0
		.amdhsa_user_sgpr_flat_scratch_init 0
		.amdhsa_user_sgpr_kernarg_preload_length 0
		.amdhsa_user_sgpr_kernarg_preload_offset 0
		.amdhsa_user_sgpr_private_segment_size 0
		.amdhsa_uses_dynamic_stack 0
		.amdhsa_system_sgpr_private_segment_wavefront_offset 0
		.amdhsa_system_sgpr_workgroup_id_x 1
		.amdhsa_system_sgpr_workgroup_id_y 0
		.amdhsa_system_sgpr_workgroup_id_z 0
		.amdhsa_system_sgpr_workgroup_info 0
		.amdhsa_system_vgpr_workitem_id 0
		.amdhsa_next_free_vgpr 1
		.amdhsa_next_free_sgpr 0
		.amdhsa_accum_offset 4
		.amdhsa_reserve_vcc 0
		.amdhsa_reserve_flat_scratch 0
		.amdhsa_float_round_mode_32 0
		.amdhsa_float_round_mode_16_64 0
		.amdhsa_float_denorm_mode_32 3
		.amdhsa_float_denorm_mode_16_64 3
		.amdhsa_dx10_clamp 1
		.amdhsa_ieee_mode 1
		.amdhsa_fp16_overflow 0
		.amdhsa_tg_split 0
		.amdhsa_exception_fp_ieee_invalid_op 0
		.amdhsa_exception_fp_denorm_src 0
		.amdhsa_exception_fp_ieee_div_zero 0
		.amdhsa_exception_fp_ieee_overflow 0
		.amdhsa_exception_fp_ieee_underflow 0
		.amdhsa_exception_fp_ieee_inexact 0
		.amdhsa_exception_int_div_zero 0
	.end_amdhsa_kernel
	.section	.text._ZN7rocprim17ROCPRIM_400000_NS6detail17trampoline_kernelINS0_14default_configENS1_36segmented_radix_sort_config_selectorIllEEZNS1_25segmented_radix_sort_implIS3_Lb1EPKlPlS8_S9_N2at6native12_GLOBAL__N_18offset_tEEE10hipError_tPvRmT1_PNSt15iterator_traitsISH_E10value_typeET2_T3_PNSI_ISN_E10value_typeET4_jRbjT5_ST_jjP12ihipStream_tbEUlT_E2_NS1_11comp_targetILNS1_3genE5ELNS1_11target_archE942ELNS1_3gpuE9ELNS1_3repE0EEENS1_30default_config_static_selectorELNS0_4arch9wavefront6targetE1EEEvSH_,"axG",@progbits,_ZN7rocprim17ROCPRIM_400000_NS6detail17trampoline_kernelINS0_14default_configENS1_36segmented_radix_sort_config_selectorIllEEZNS1_25segmented_radix_sort_implIS3_Lb1EPKlPlS8_S9_N2at6native12_GLOBAL__N_18offset_tEEE10hipError_tPvRmT1_PNSt15iterator_traitsISH_E10value_typeET2_T3_PNSI_ISN_E10value_typeET4_jRbjT5_ST_jjP12ihipStream_tbEUlT_E2_NS1_11comp_targetILNS1_3genE5ELNS1_11target_archE942ELNS1_3gpuE9ELNS1_3repE0EEENS1_30default_config_static_selectorELNS0_4arch9wavefront6targetE1EEEvSH_,comdat
.Lfunc_end735:
	.size	_ZN7rocprim17ROCPRIM_400000_NS6detail17trampoline_kernelINS0_14default_configENS1_36segmented_radix_sort_config_selectorIllEEZNS1_25segmented_radix_sort_implIS3_Lb1EPKlPlS8_S9_N2at6native12_GLOBAL__N_18offset_tEEE10hipError_tPvRmT1_PNSt15iterator_traitsISH_E10value_typeET2_T3_PNSI_ISN_E10value_typeET4_jRbjT5_ST_jjP12ihipStream_tbEUlT_E2_NS1_11comp_targetILNS1_3genE5ELNS1_11target_archE942ELNS1_3gpuE9ELNS1_3repE0EEENS1_30default_config_static_selectorELNS0_4arch9wavefront6targetE1EEEvSH_, .Lfunc_end735-_ZN7rocprim17ROCPRIM_400000_NS6detail17trampoline_kernelINS0_14default_configENS1_36segmented_radix_sort_config_selectorIllEEZNS1_25segmented_radix_sort_implIS3_Lb1EPKlPlS8_S9_N2at6native12_GLOBAL__N_18offset_tEEE10hipError_tPvRmT1_PNSt15iterator_traitsISH_E10value_typeET2_T3_PNSI_ISN_E10value_typeET4_jRbjT5_ST_jjP12ihipStream_tbEUlT_E2_NS1_11comp_targetILNS1_3genE5ELNS1_11target_archE942ELNS1_3gpuE9ELNS1_3repE0EEENS1_30default_config_static_selectorELNS0_4arch9wavefront6targetE1EEEvSH_
                                        ; -- End function
	.section	.AMDGPU.csdata,"",@progbits
; Kernel info:
; codeLenInByte = 0
; NumSgprs: 4
; NumVgprs: 0
; NumAgprs: 0
; TotalNumVgprs: 0
; ScratchSize: 0
; MemoryBound: 0
; FloatMode: 240
; IeeeMode: 1
; LDSByteSize: 0 bytes/workgroup (compile time only)
; SGPRBlocks: 0
; VGPRBlocks: 0
; NumSGPRsForWavesPerEU: 4
; NumVGPRsForWavesPerEU: 1
; AccumOffset: 4
; Occupancy: 8
; WaveLimiterHint : 0
; COMPUTE_PGM_RSRC2:SCRATCH_EN: 0
; COMPUTE_PGM_RSRC2:USER_SGPR: 6
; COMPUTE_PGM_RSRC2:TRAP_HANDLER: 0
; COMPUTE_PGM_RSRC2:TGID_X_EN: 1
; COMPUTE_PGM_RSRC2:TGID_Y_EN: 0
; COMPUTE_PGM_RSRC2:TGID_Z_EN: 0
; COMPUTE_PGM_RSRC2:TIDIG_COMP_CNT: 0
; COMPUTE_PGM_RSRC3_GFX90A:ACCUM_OFFSET: 0
; COMPUTE_PGM_RSRC3_GFX90A:TG_SPLIT: 0
	.section	.text._ZN7rocprim17ROCPRIM_400000_NS6detail17trampoline_kernelINS0_14default_configENS1_36segmented_radix_sort_config_selectorIllEEZNS1_25segmented_radix_sort_implIS3_Lb1EPKlPlS8_S9_N2at6native12_GLOBAL__N_18offset_tEEE10hipError_tPvRmT1_PNSt15iterator_traitsISH_E10value_typeET2_T3_PNSI_ISN_E10value_typeET4_jRbjT5_ST_jjP12ihipStream_tbEUlT_E2_NS1_11comp_targetILNS1_3genE4ELNS1_11target_archE910ELNS1_3gpuE8ELNS1_3repE0EEENS1_30default_config_static_selectorELNS0_4arch9wavefront6targetE1EEEvSH_,"axG",@progbits,_ZN7rocprim17ROCPRIM_400000_NS6detail17trampoline_kernelINS0_14default_configENS1_36segmented_radix_sort_config_selectorIllEEZNS1_25segmented_radix_sort_implIS3_Lb1EPKlPlS8_S9_N2at6native12_GLOBAL__N_18offset_tEEE10hipError_tPvRmT1_PNSt15iterator_traitsISH_E10value_typeET2_T3_PNSI_ISN_E10value_typeET4_jRbjT5_ST_jjP12ihipStream_tbEUlT_E2_NS1_11comp_targetILNS1_3genE4ELNS1_11target_archE910ELNS1_3gpuE8ELNS1_3repE0EEENS1_30default_config_static_selectorELNS0_4arch9wavefront6targetE1EEEvSH_,comdat
	.globl	_ZN7rocprim17ROCPRIM_400000_NS6detail17trampoline_kernelINS0_14default_configENS1_36segmented_radix_sort_config_selectorIllEEZNS1_25segmented_radix_sort_implIS3_Lb1EPKlPlS8_S9_N2at6native12_GLOBAL__N_18offset_tEEE10hipError_tPvRmT1_PNSt15iterator_traitsISH_E10value_typeET2_T3_PNSI_ISN_E10value_typeET4_jRbjT5_ST_jjP12ihipStream_tbEUlT_E2_NS1_11comp_targetILNS1_3genE4ELNS1_11target_archE910ELNS1_3gpuE8ELNS1_3repE0EEENS1_30default_config_static_selectorELNS0_4arch9wavefront6targetE1EEEvSH_ ; -- Begin function _ZN7rocprim17ROCPRIM_400000_NS6detail17trampoline_kernelINS0_14default_configENS1_36segmented_radix_sort_config_selectorIllEEZNS1_25segmented_radix_sort_implIS3_Lb1EPKlPlS8_S9_N2at6native12_GLOBAL__N_18offset_tEEE10hipError_tPvRmT1_PNSt15iterator_traitsISH_E10value_typeET2_T3_PNSI_ISN_E10value_typeET4_jRbjT5_ST_jjP12ihipStream_tbEUlT_E2_NS1_11comp_targetILNS1_3genE4ELNS1_11target_archE910ELNS1_3gpuE8ELNS1_3repE0EEENS1_30default_config_static_selectorELNS0_4arch9wavefront6targetE1EEEvSH_
	.p2align	8
	.type	_ZN7rocprim17ROCPRIM_400000_NS6detail17trampoline_kernelINS0_14default_configENS1_36segmented_radix_sort_config_selectorIllEEZNS1_25segmented_radix_sort_implIS3_Lb1EPKlPlS8_S9_N2at6native12_GLOBAL__N_18offset_tEEE10hipError_tPvRmT1_PNSt15iterator_traitsISH_E10value_typeET2_T3_PNSI_ISN_E10value_typeET4_jRbjT5_ST_jjP12ihipStream_tbEUlT_E2_NS1_11comp_targetILNS1_3genE4ELNS1_11target_archE910ELNS1_3gpuE8ELNS1_3repE0EEENS1_30default_config_static_selectorELNS0_4arch9wavefront6targetE1EEEvSH_,@function
_ZN7rocprim17ROCPRIM_400000_NS6detail17trampoline_kernelINS0_14default_configENS1_36segmented_radix_sort_config_selectorIllEEZNS1_25segmented_radix_sort_implIS3_Lb1EPKlPlS8_S9_N2at6native12_GLOBAL__N_18offset_tEEE10hipError_tPvRmT1_PNSt15iterator_traitsISH_E10value_typeET2_T3_PNSI_ISN_E10value_typeET4_jRbjT5_ST_jjP12ihipStream_tbEUlT_E2_NS1_11comp_targetILNS1_3genE4ELNS1_11target_archE910ELNS1_3gpuE8ELNS1_3repE0EEENS1_30default_config_static_selectorELNS0_4arch9wavefront6targetE1EEEvSH_: ; @_ZN7rocprim17ROCPRIM_400000_NS6detail17trampoline_kernelINS0_14default_configENS1_36segmented_radix_sort_config_selectorIllEEZNS1_25segmented_radix_sort_implIS3_Lb1EPKlPlS8_S9_N2at6native12_GLOBAL__N_18offset_tEEE10hipError_tPvRmT1_PNSt15iterator_traitsISH_E10value_typeET2_T3_PNSI_ISN_E10value_typeET4_jRbjT5_ST_jjP12ihipStream_tbEUlT_E2_NS1_11comp_targetILNS1_3genE4ELNS1_11target_archE910ELNS1_3gpuE8ELNS1_3repE0EEENS1_30default_config_static_selectorELNS0_4arch9wavefront6targetE1EEEvSH_
; %bb.0:
	s_load_dwordx4 s[12:15], s[4:5], 0x34
	s_add_u32 flat_scratch_lo, s6, s10
	s_addc_u32 flat_scratch_hi, s7, 0
	s_add_u32 s0, s0, s10
	s_addc_u32 s1, s1, 0
	s_waitcnt lgkmcnt(0)
	s_add_i32 s6, s13, s8
	s_add_i32 s94, s15, s8
                                        ; implicit-def: $vgpr235 : SGPR spill to VGPR lane
	s_mul_i32 s7, s6, s12
	s_mul_i32 s94, s94, s14
	v_writelane_b32 v235, s9, 0
	s_cmp_le_u32 s94, s7
	s_mov_b32 s32, 0
	v_writelane_b32 v235, s8, 1
	s_cbranch_scc1 .LBB736_1198
; %bb.1:
	s_load_dword s6, s[4:5], 0x30
	s_load_dwordx4 s[80:83], s[4:5], 0x20
	s_load_dwordx4 s[52:55], s[4:5], 0x44
	s_load_dwordx8 s[72:79], s[4:5], 0x0
	v_writelane_b32 v235, s7, 2
	s_waitcnt lgkmcnt(0)
	s_bitcmp1_b32 s6, 0
	s_cselect_b64 s[70:71], -1, 0
	s_sub_i32 s85, s94, s7
	s_cmpk_lt_u32 s85, 0x1001
	s_mov_b64 s[6:7], -1
	s_cbranch_scc0 .LBB736_15
; %bb.2:
	s_cmp_lt_u32 s85, 33
	s_cbranch_scc0 .LBB736_9
; %bb.3:
	s_load_dword s6, s[4:5], 0x5c
	v_bfe_u32 v1, v0, 10, 10
	v_bfe_u32 v3, v0, 20, 10
	v_and_b32_e32 v2, 0x3ff, v0
	s_waitcnt lgkmcnt(0)
	s_lshr_b32 s7, s6, 16
	s_and_b32 s6, s6, 0xffff
	v_mad_u32_u24 v1, v3, s7, v1
	v_mad_u64_u32 v[2:3], s[6:7], v1, s6, v[2:3]
	v_cmp_gt_u32_e32 vcc, 8, v2
	s_and_saveexec_b64 s[34:35], vcc
	s_cbranch_execz .LBB736_8
; %bb.4:
	s_and_b32 s6, s52, 1
	v_cndmask_b32_e64 v1, 0, 1, s[70:71]
	v_cmp_ne_u32_e32 vcc, s6, v1
	s_mov_b64 s[6:7], -1
	s_cbranch_vccnz .LBB736_6
; %bb.5:
	s_mov_b64 s[6:7], src_shared_base
	s_add_u32 s8, s4, 0x50
	v_readlane_b32 s6, v235, 2
	s_addc_u32 s9, s5, 0
	v_readlane_b32 s12, v235, 1
	v_readlane_b32 s13, v235, 0
	v_mov_b32_e32 v31, v0
	v_mov_b32_e32 v40, v0
	;; [unrolled: 1-line block ×16, first 2 shown]
	s_getpc_b64 s[10:11]
	s_add_u32 s10, s10, _ZN7rocprim17ROCPRIM_400000_NS6detail26segmented_warp_sort_helperINS1_20WarpSortHelperConfigILj8ELj4ELj256EEEllLi256ELb1EvE4sortIPKlPlS8_S9_EEvT_T0_T1_T2_jjjjRNS5_12storage_typeE@rel32@lo+4
	s_addc_u32 s11, s11, _ZN7rocprim17ROCPRIM_400000_NS6detail26segmented_warp_sort_helperINS1_20WarpSortHelperConfigILj8ELj4ELj256EEEllLi256ELb1EvE4sortIPKlPlS8_S9_EEvT_T0_T1_T2_jjjjRNS5_12storage_typeE@rel32@hi+12
	s_mov_b64 s[36:37], s[4:5]
	s_swappc_b64 s[30:31], s[10:11]
	v_mov_b32_e32 v0, v40
	s_mov_b64 s[4:5], s[36:37]
	s_mov_b64 s[6:7], 0
.LBB736_6:
	s_andn2_b64 vcc, exec, s[6:7]
	s_cbranch_vccnz .LBB736_8
; %bb.7:
	s_mov_b64 s[6:7], src_shared_base
	s_add_u32 s8, s4, 0x50
	v_readlane_b32 s6, v235, 2
	s_addc_u32 s9, s5, 0
	v_readlane_b32 s12, v235, 1
	v_readlane_b32 s13, v235, 0
	v_mov_b32_e32 v31, v0
	v_mov_b32_e32 v40, v0
	;; [unrolled: 1-line block ×16, first 2 shown]
	s_getpc_b64 s[10:11]
	s_add_u32 s10, s10, _ZN7rocprim17ROCPRIM_400000_NS6detail26segmented_warp_sort_helperINS1_20WarpSortHelperConfigILj8ELj4ELj256EEEllLi256ELb1EvE4sortIPKlPlS8_S9_EEvT_T0_T1_T2_jjjjRNS5_12storage_typeE@rel32@lo+4
	s_addc_u32 s11, s11, _ZN7rocprim17ROCPRIM_400000_NS6detail26segmented_warp_sort_helperINS1_20WarpSortHelperConfigILj8ELj4ELj256EEEllLi256ELb1EvE4sortIPKlPlS8_S9_EEvT_T0_T1_T2_jjjjRNS5_12storage_typeE@rel32@hi+12
	s_mov_b64 s[36:37], s[4:5]
	s_swappc_b64 s[30:31], s[10:11]
	v_mov_b32_e32 v0, v40
	s_mov_b64 s[4:5], s[36:37]
.LBB736_8:
	s_or_b64 exec, exec, s[34:35]
	s_mov_b64 s[6:7], 0
.LBB736_9:
	s_andn2_b64 vcc, exec, s[6:7]
	s_cbranch_vccnz .LBB736_14
; %bb.10:
	s_and_b32 s6, s52, 1
	v_cndmask_b32_e64 v1, 0, 1, s[70:71]
	v_cmp_ne_u32_e32 vcc, s6, v1
	s_mov_b64 s[6:7], -1
	s_cbranch_vccnz .LBB736_12
; %bb.11:
	s_mov_b64 s[6:7], src_shared_base
	s_add_u32 s8, s4, 0x50
	v_readlane_b32 s6, v235, 2
	s_addc_u32 s9, s5, 0
	v_readlane_b32 s12, v235, 1
	v_readlane_b32 s13, v235, 0
	v_mov_b32_e32 v31, v0
	v_mov_b32_e32 v40, v0
	;; [unrolled: 1-line block ×16, first 2 shown]
	s_getpc_b64 s[10:11]
	s_add_u32 s10, s10, _ZN7rocprim17ROCPRIM_400000_NS6detail40segmented_radix_sort_single_block_helperIllLj256ELj16ELb1EE4sortIPKlPlS6_S7_EEbT_T0_T1_T2_jjjjRNS3_12storage_typeE@rel32@lo+4
	s_addc_u32 s11, s11, _ZN7rocprim17ROCPRIM_400000_NS6detail40segmented_radix_sort_single_block_helperIllLj256ELj16ELb1EE4sortIPKlPlS6_S7_EEbT_T0_T1_T2_jjjjRNS3_12storage_typeE@rel32@hi+12
	s_mov_b64 s[48:49], s[4:5]
	s_swappc_b64 s[30:31], s[10:11]
	v_mov_b32_e32 v0, v40
	s_mov_b64 s[4:5], s[48:49]
	s_mov_b64 s[6:7], 0
.LBB736_12:
	s_andn2_b64 vcc, exec, s[6:7]
	s_cbranch_vccnz .LBB736_14
; %bb.13:
	s_mov_b64 s[6:7], src_shared_base
	s_add_u32 s8, s4, 0x50
	v_readlane_b32 s6, v235, 2
	s_addc_u32 s9, s5, 0
	v_readlane_b32 s12, v235, 1
	v_readlane_b32 s13, v235, 0
	v_mov_b32_e32 v31, v0
	v_mov_b32_e32 v40, v0
	;; [unrolled: 1-line block ×16, first 2 shown]
	s_getpc_b64 s[10:11]
	s_add_u32 s10, s10, _ZN7rocprim17ROCPRIM_400000_NS6detail40segmented_radix_sort_single_block_helperIllLj256ELj16ELb1EE4sortIPKlPlS6_S7_EEbT_T0_T1_T2_jjjjRNS3_12storage_typeE@rel32@lo+4
	s_addc_u32 s11, s11, _ZN7rocprim17ROCPRIM_400000_NS6detail40segmented_radix_sort_single_block_helperIllLj256ELj16ELb1EE4sortIPKlPlS6_S7_EEbT_T0_T1_T2_jjjjRNS3_12storage_typeE@rel32@hi+12
	s_mov_b64 s[48:49], s[4:5]
	s_swappc_b64 s[30:31], s[10:11]
	v_mov_b32_e32 v0, v40
	s_mov_b64 s[4:5], s[48:49]
.LBB736_14:
	s_mov_b64 s[6:7], 0
.LBB736_15:
	s_andn2_b64 vcc, exec, s[6:7]
	s_cbranch_vccnz .LBB736_1198
; %bb.16:
	s_cmp_ge_u32 s53, s54
	s_cbranch_scc1 .LBB736_1198
; %bb.17:
	v_and_b32_e32 v2, 0x3ff, v0
	v_lshlrev_b32_e32 v5, 3, v2
	v_lshlrev_b32_e32 v33, 4, v2
	v_mov_b32_e32 v10, s77
	v_add_co_u32_e32 v9, vcc, s76, v5
	v_and_b32_e32 v34, 0xc00, v33
	v_bfe_u32 v23, v0, 20, 10
	v_bfe_u32 v25, v0, 10, 10
	v_mul_u32_u24_e32 v0, 5, v2
	v_mov_b32_e32 v29, 0x410
	v_addc_co_u32_e32 v11, vcc, 0, v10, vcc
	v_lshl_add_u32 v31, v0, 2, v29
	v_lshlrev_b32_e32 v0, 3, v34
	v_mov_b32_e32 v35, s83
	v_add_co_u32_e32 v100, vcc, s82, v0
	v_addc_co_u32_e32 v101, vcc, 0, v35, vcc
	v_mov_b32_e32 v35, s77
	v_add_co_u32_e32 v102, vcc, s76, v0
	v_addc_co_u32_e32 v103, vcc, 0, v35, vcc
	;; [unrolled: 3-line block ×6, first 2 shown]
	v_add_u32_e32 v104, 0x400, v5
	v_mov_b32_e32 v5, s79
	v_add_co_u32_e32 v113, vcc, s78, v0
	v_addc_co_u32_e32 v114, vcc, 0, v5, vcc
	v_add_co_u32_e32 v115, vcc, s72, v0
	v_mbcnt_lo_u32_b32 v0, -1, 0
	v_lshlrev_b32_e32 v3, 2, v2
	s_movk_i32 s6, 0x100
	v_or_b32_e32 v15, 63, v2
	v_mbcnt_hi_u32_b32 v134, -1, v0
	s_mov_b64 s[12:13], s[4:5]
	v_cmp_gt_u32_e64 s[4:5], s6, v2
	v_mad_u32_u24 v13, v2, 12, v3
	v_cmp_eq_u32_e64 s[6:7], v15, v2
	v_lshrrev_b32_e32 v15, 4, v2
	s_mov_b32 s84, s53
	v_and_b32_e32 v0, 63, v134
	s_mov_b32 s33, s53
	v_readlane_b32 s38, v235, 2
	v_writelane_b32 v235, s52, 3
	s_mov_b32 s88, 0
	v_or_b32_e32 v6, 0x200, v2
	v_or_b32_e32 v8, 0x300, v2
	v_and_b32_e32 v1, 3, v2
	v_or_b32_e32 v10, 0x400, v2
	v_or_b32_e32 v12, 0x500, v2
	;; [unrolled: 1-line block ×12, first 2 shown]
	v_and_b32_e32 v15, 12, v15
	s_add_u32 s90, s12, 0x50
	v_add_u32_e32 v27, v13, v3
	s_movk_i32 s14, 0xff
	v_mov_b32_e32 v5, s73
	v_or_b32_e32 v142, v0, v34
	v_writelane_b32 v235, s53, 4
	s_brev_b32 s89, 1
	v_mov_b32_e32 v4, 0
	v_or_b32_e32 v7, 0x100, v2
	v_or_b32_e32 v17, 0x8400, v15
	v_cmp_gt_u32_e64 s[8:9], 4, v2
	v_add_u32_e32 v19, 0x8400, v3
	v_cmp_lt_u32_e64 s[10:11], 63, v2
	v_add_u32_e32 v21, 0x83fc, v15
	s_addc_u32 s91, s13, 0
	v_sub_u32_e32 v33, v27, v33
	v_cmp_eq_u32_e64 s[12:13], 0, v2
	v_cmp_ne_u32_e64 s[14:15], s14, v2
	v_addc_co_u32_e32 v116, vcc, 0, v5, vcc
	s_movk_i32 s95, 0x2000
	s_movk_i32 s96, 0x3000
	;; [unrolled: 1-line block ×5, first 2 shown]
	v_mov_b32_e32 v117, 1
	v_lshlrev_b32_e32 v118, 3, v2
	v_lshlrev_b32_e32 v119, 3, v6
	v_lshlrev_b32_e32 v120, 3, v8
	v_lshlrev_b32_e32 v121, 3, v10
	v_lshlrev_b32_e32 v122, 3, v12
	v_lshlrev_b32_e32 v123, 3, v14
	v_lshlrev_b32_e32 v124, 3, v16
	v_lshlrev_b32_e32 v125, 3, v18
	v_lshlrev_b32_e32 v126, 3, v20
	v_lshlrev_b32_e32 v127, 3, v22
	v_lshlrev_b32_e32 v128, 3, v24
	v_lshlrev_b32_e32 v129, 3, v26
	v_lshlrev_b32_e32 v130, 3, v28
	v_lshlrev_b32_e32 v131, 3, v30
	v_lshlrev_b32_e32 v132, 3, v32
	v_lshlrev_b32_e32 v133, 2, v1
	v_and_b32_e32 v135, 15, v134
	v_bfe_i32 v136, v134, 4, 1
	v_and_b32_e32 v137, 16, v134
	v_and_b32_e32 v138, 3, v134
	v_add_u32_e32 v139, -1, v134
	v_and_b32_e32 v140, 64, v134
	v_lshlrev_b32_e32 v141, 3, v0
	v_or_b32_e32 v143, 64, v142
	v_or_b32_e32 v144, 0x80, v142
	;; [unrolled: 1-line block ×15, first 2 shown]
	v_writelane_b32 v235, s54, 5
	v_writelane_b32 v235, s55, 6
	s_branch .LBB736_20
.LBB736_18:                             ;   in Loop: Header=BB736_20 Depth=1
	v_readlane_b32 s38, v235, 2
	s_waitcnt lgkmcnt(0)
	s_barrier
.LBB736_19:                             ;   in Loop: Header=BB736_20 Depth=1
	v_readlane_b32 s52, v235, 3
	s_add_i32 s33, s33, 8
	v_readlane_b32 s54, v235, 5
	v_readlane_b32 s53, v235, 4
	s_cmp_ge_u32 s33, s54
	v_readlane_b32 s55, v235, 6
	s_cbranch_scc1 .LBB736_1198
.LBB736_20:                             ; =>This Loop Header: Depth=1
                                        ;     Child Loop BB736_24 Depth 2
                                        ;     Child Loop BB736_106 Depth 2
	;; [unrolled: 1-line block ×8, first 2 shown]
	s_sub_i32 s16, s54, s33
	s_xor_b64 s[70:71], s[70:71], -1
	s_min_u32 s68, s16, 8
	s_cmp_lg_u32 s33, s53
	s_mov_b64 s[16:17], -1
	ds_write2st64_b32 v3, v4, v4 offset1:4
	ds_write2st64_b32 v3, v4, v4 offset0:8 offset1:12
	s_waitcnt lgkmcnt(0)
	s_cbranch_scc0 .LBB736_610
; %bb.21:                               ;   in Loop: Header=BB736_20 Depth=1
	s_lshl_b32 s16, -1, s68
	s_not_b32 s69, s16
	s_mov_b64 s[16:17], -1
	s_and_b64 vcc, exec, s[70:71]
	s_cbranch_vccz .LBB736_315
; %bb.22:                               ;   in Loop: Header=BB736_20 Depth=1
	s_mov_b32 s24, s85
	s_mov_b32 s18, s38
	s_barrier
	s_waitcnt lgkmcnt(0)
                                        ; implicit-def: $vgpr62_vgpr63
                                        ; implicit-def: $vgpr0_vgpr1
                                        ; implicit-def: $vgpr34_vgpr35
                                        ; implicit-def: $vgpr36_vgpr37
                                        ; implicit-def: $vgpr38_vgpr39
                                        ; implicit-def: $vgpr40_vgpr41
                                        ; implicit-def: $vgpr42_vgpr43
                                        ; implicit-def: $vgpr44_vgpr45
                                        ; implicit-def: $vgpr46_vgpr47
                                        ; implicit-def: $vgpr48_vgpr49
                                        ; implicit-def: $vgpr50_vgpr51
                                        ; implicit-def: $vgpr52_vgpr53
                                        ; implicit-def: $vgpr54_vgpr55
                                        ; implicit-def: $vgpr56_vgpr57
                                        ; implicit-def: $vgpr58_vgpr59
                                        ; implicit-def: $vgpr60_vgpr61
	s_branch .LBB736_24
.LBB736_23:                             ;   in Loop: Header=BB736_24 Depth=2
	s_or_b64 exec, exec, s[16:17]
	s_addk_i32 s24, 0xf000
	s_cmp_ge_u32 s25, s94
	s_mov_b32 s18, s25
	s_cbranch_scc1 .LBB736_94
.LBB736_24:                             ;   Parent Loop BB736_20 Depth=1
                                        ; =>  This Inner Loop Header: Depth=2
	s_add_i32 s25, s18, 0x1000
	s_cmp_gt_u32 s25, s94
	s_cbranch_scc1 .LBB736_27
; %bb.25:                               ;   in Loop: Header=BB736_24 Depth=2
	s_mov_b32 s19, s88
	s_lshl_b64 s[16:17], s[18:19], 3
	v_mov_b32_e32 v5, s17
	v_add_co_u32_e32 v64, vcc, s16, v9
	v_addc_co_u32_e32 v65, vcc, v11, v5, vcc
	s_waitcnt vmcnt(11)
	v_add_co_u32_e32 v72, vcc, 0x1000, v64
	v_addc_co_u32_e32 v73, vcc, 0, v65, vcc
	s_waitcnt vmcnt(5)
	;; [unrolled: 3-line block ×3, first 2 shown]
	v_add_co_u32_e32 v82, vcc, s96, v64
	v_addc_co_u32_e32 v83, vcc, 0, v65, vcc
	v_add_co_u32_e32 v86, vcc, s97, v64
	v_addc_co_u32_e32 v87, vcc, 0, v65, vcc
	;; [unrolled: 2-line block ×4, first 2 shown]
	global_load_dwordx2 v[66:67], v[64:65], off
	global_load_dwordx2 v[68:69], v[64:65], off offset:2048
	global_load_dwordx2 v[70:71], v[72:73], off
	s_nop 0
	global_load_dwordx2 v[72:73], v[72:73], off offset:2048
	s_nop 0
	global_load_dwordx2 v[74:75], v[82:83], off
	global_load_dwordx2 v[76:77], v[82:83], off offset:2048
	global_load_dwordx2 v[80:81], v[88:89], off offset:-4096
	global_load_dwordx2 v[84:85], v[88:89], off
	s_nop 0
	global_load_dwordx2 v[88:89], v[88:89], off offset:2048
	s_nop 0
	global_load_dwordx2 v[78:79], v[78:79], off offset:2048
	;; [unrolled: 2-line block ×3, first 2 shown]
	s_nop 0
	global_load_dwordx2 v[90:91], v[92:93], off
	s_nop 0
	global_load_dwordx2 v[92:93], v[92:93], off offset:2048
	s_waitcnt vmcnt(13)
	v_add_co_u32_e32 v94, vcc, 0x7000, v64
	v_addc_co_u32_e32 v95, vcc, 0, v65, vcc
	global_load_dwordx2 v[82:83], v[82:83], off offset:-4096
	s_nop 0
	global_load_dwordx2 v[94:95], v[94:95], off
	v_add_co_u32_e32 v64, vcc, 0x7800, v64
	s_movk_i32 s26, 0x1000
	v_addc_co_u32_e32 v65, vcc, 0, v65, vcc
	s_mov_b64 s[16:17], -1
	s_cbranch_execz .LBB736_28
; %bb.26:                               ;   in Loop: Header=BB736_24 Depth=2
                                        ; implicit-def: $vgpr60_vgpr61
                                        ; implicit-def: $vgpr58_vgpr59
                                        ; implicit-def: $vgpr56_vgpr57
                                        ; implicit-def: $vgpr54_vgpr55
                                        ; implicit-def: $vgpr52_vgpr53
                                        ; implicit-def: $vgpr50_vgpr51
                                        ; implicit-def: $vgpr48_vgpr49
                                        ; implicit-def: $vgpr46_vgpr47
                                        ; implicit-def: $vgpr44_vgpr45
                                        ; implicit-def: $vgpr42_vgpr43
                                        ; implicit-def: $vgpr40_vgpr41
                                        ; implicit-def: $vgpr38_vgpr39
                                        ; implicit-def: $vgpr36_vgpr37
                                        ; implicit-def: $vgpr34_vgpr35
                                        ; implicit-def: $vgpr0_vgpr1
                                        ; implicit-def: $vgpr62_vgpr63
	v_mov_b32_e32 v5, s24
	s_and_saveexec_b64 s[18:19], s[16:17]
	s_cbranch_execnz .LBB736_47
	s_branch .LBB736_48
.LBB736_27:                             ;   in Loop: Header=BB736_24 Depth=2
	s_mov_b64 s[16:17], 0
                                        ; implicit-def: $sgpr26
                                        ; implicit-def: $vgpr66_vgpr67
                                        ; implicit-def: $vgpr68_vgpr69
                                        ; implicit-def: $vgpr70_vgpr71
                                        ; implicit-def: $vgpr72_vgpr73
                                        ; implicit-def: $vgpr82_vgpr83
                                        ; implicit-def: $vgpr78_vgpr79
                                        ; implicit-def: $vgpr74_vgpr75
                                        ; implicit-def: $vgpr76_vgpr77
                                        ; implicit-def: $vgpr80_vgpr81
                                        ; implicit-def: $vgpr86_vgpr87
                                        ; implicit-def: $vgpr84_vgpr85
                                        ; implicit-def: $vgpr88_vgpr89
                                        ; implicit-def: $vgpr90_vgpr91
                                        ; implicit-def: $vgpr92_vgpr93
                                        ; implicit-def: $vgpr94_vgpr95
                                        ; implicit-def: $vgpr64_vgpr65
.LBB736_28:                             ;   in Loop: Header=BB736_24 Depth=2
	s_mov_b32 s19, s88
	s_lshl_b64 s[20:21], s[18:19], 3
	s_add_u32 s20, s76, s20
	s_addc_u32 s21, s77, s21
	v_cmp_gt_u32_e32 vcc, s24, v2
	s_and_saveexec_b64 s[22:23], vcc
	s_cbranch_execz .LBB736_80
; %bb.29:                               ;   in Loop: Header=BB736_24 Depth=2
	global_load_dwordx2 v[60:61], v118, s[20:21]
	s_or_b64 exec, exec, s[22:23]
	v_cmp_gt_u32_e32 vcc, s24, v7
	s_and_saveexec_b64 s[22:23], vcc
	s_cbranch_execnz .LBB736_81
.LBB736_30:                             ;   in Loop: Header=BB736_24 Depth=2
	s_or_b64 exec, exec, s[22:23]
	v_cmp_gt_u32_e32 vcc, s24, v6
	s_and_saveexec_b64 s[22:23], vcc
	s_cbranch_execz .LBB736_82
.LBB736_31:                             ;   in Loop: Header=BB736_24 Depth=2
	global_load_dwordx2 v[56:57], v119, s[20:21]
	s_or_b64 exec, exec, s[22:23]
	v_cmp_gt_u32_e32 vcc, s24, v8
	s_and_saveexec_b64 s[22:23], vcc
	s_cbranch_execnz .LBB736_83
.LBB736_32:                             ;   in Loop: Header=BB736_24 Depth=2
	s_or_b64 exec, exec, s[22:23]
	v_cmp_gt_u32_e32 vcc, s24, v10
	s_and_saveexec_b64 s[22:23], vcc
	s_cbranch_execz .LBB736_84
.LBB736_33:                             ;   in Loop: Header=BB736_24 Depth=2
	global_load_dwordx2 v[52:53], v121, s[20:21]
	s_or_b64 exec, exec, s[22:23]
	v_cmp_gt_u32_e32 vcc, s24, v12
	s_and_saveexec_b64 s[22:23], vcc
	s_cbranch_execnz .LBB736_85
.LBB736_34:                             ;   in Loop: Header=BB736_24 Depth=2
	s_or_b64 exec, exec, s[22:23]
	v_cmp_gt_u32_e32 vcc, s24, v14
	s_and_saveexec_b64 s[22:23], vcc
	s_cbranch_execz .LBB736_86
.LBB736_35:                             ;   in Loop: Header=BB736_24 Depth=2
	global_load_dwordx2 v[48:49], v123, s[20:21]
	s_or_b64 exec, exec, s[22:23]
	v_cmp_gt_u32_e32 vcc, s24, v16
	s_and_saveexec_b64 s[22:23], vcc
	s_cbranch_execnz .LBB736_87
.LBB736_36:                             ;   in Loop: Header=BB736_24 Depth=2
	s_or_b64 exec, exec, s[22:23]
	v_cmp_gt_u32_e32 vcc, s24, v18
	s_and_saveexec_b64 s[22:23], vcc
	s_cbranch_execz .LBB736_88
.LBB736_37:                             ;   in Loop: Header=BB736_24 Depth=2
	global_load_dwordx2 v[44:45], v125, s[20:21]
	s_or_b64 exec, exec, s[22:23]
	v_cmp_gt_u32_e32 vcc, s24, v20
	s_and_saveexec_b64 s[22:23], vcc
	s_cbranch_execnz .LBB736_89
.LBB736_38:                             ;   in Loop: Header=BB736_24 Depth=2
	s_or_b64 exec, exec, s[22:23]
	v_cmp_gt_u32_e32 vcc, s24, v22
	s_and_saveexec_b64 s[22:23], vcc
	s_cbranch_execz .LBB736_90
.LBB736_39:                             ;   in Loop: Header=BB736_24 Depth=2
	global_load_dwordx2 v[40:41], v127, s[20:21]
	s_or_b64 exec, exec, s[22:23]
	v_cmp_gt_u32_e32 vcc, s24, v24
	s_and_saveexec_b64 s[22:23], vcc
	s_cbranch_execnz .LBB736_91
.LBB736_40:                             ;   in Loop: Header=BB736_24 Depth=2
	s_or_b64 exec, exec, s[22:23]
	v_cmp_gt_u32_e32 vcc, s24, v26
	s_and_saveexec_b64 s[22:23], vcc
	s_cbranch_execz .LBB736_92
.LBB736_41:                             ;   in Loop: Header=BB736_24 Depth=2
	global_load_dwordx2 v[36:37], v129, s[20:21]
	s_or_b64 exec, exec, s[22:23]
	v_cmp_gt_u32_e32 vcc, s24, v28
	s_and_saveexec_b64 s[22:23], vcc
	s_cbranch_execnz .LBB736_93
.LBB736_42:                             ;   in Loop: Header=BB736_24 Depth=2
	s_or_b64 exec, exec, s[22:23]
	v_cmp_gt_u32_e32 vcc, s24, v30
	s_and_saveexec_b64 s[22:23], vcc
	s_cbranch_execz .LBB736_44
.LBB736_43:                             ;   in Loop: Header=BB736_24 Depth=2
	global_load_dwordx2 v[0:1], v131, s[20:21]
.LBB736_44:                             ;   in Loop: Header=BB736_24 Depth=2
	s_or_b64 exec, exec, s[22:23]
	v_cmp_gt_u32_e32 vcc, s24, v32
                                        ; implicit-def: $sgpr26
                                        ; implicit-def: $vgpr64_vgpr65
	s_and_saveexec_b64 s[22:23], vcc
; %bb.45:                               ;   in Loop: Header=BB736_24 Depth=2
	v_mov_b32_e32 v5, s21
	v_add_co_u32_e32 v64, vcc, s20, v132
	s_sub_i32 s26, s94, s18
	v_addc_co_u32_e32 v65, vcc, 0, v5, vcc
	s_or_b64 s[16:17], s[16:17], exec
                                        ; implicit-def: $vgpr62_vgpr63
; %bb.46:                               ;   in Loop: Header=BB736_24 Depth=2
	s_or_b64 exec, exec, s[22:23]
	s_waitcnt vmcnt(0)
	v_pk_mov_b32 v[66:67], v[60:61], v[60:61] op_sel:[0,1]
	v_pk_mov_b32 v[68:69], v[58:59], v[58:59] op_sel:[0,1]
	;; [unrolled: 1-line block ×15, first 2 shown]
	v_mov_b32_e32 v5, s24
	s_and_saveexec_b64 s[18:19], s[16:17]
	s_cbranch_execz .LBB736_48
.LBB736_47:                             ;   in Loop: Header=BB736_24 Depth=2
	global_load_dwordx2 v[62:63], v[64:65], off
	v_mov_b32_e32 v5, s26
	s_waitcnt vmcnt(1)
	v_pk_mov_b32 v[0:1], v[94:95], v[94:95] op_sel:[0,1]
	v_pk_mov_b32 v[34:35], v[92:93], v[92:93] op_sel:[0,1]
	;; [unrolled: 1-line block ×15, first 2 shown]
.LBB736_48:                             ;   in Loop: Header=BB736_24 Depth=2
	s_or_b64 exec, exec, s[18:19]
	v_cmp_lt_u32_e32 vcc, v2, v5
	s_and_saveexec_b64 s[16:17], vcc
	s_cbranch_execz .LBB736_64
; %bb.49:                               ;   in Loop: Header=BB736_24 Depth=2
	v_xor_b32_e32 v65, 0x7fffffff, v61
	v_not_b32_e32 v64, v60
	v_lshrrev_b64 v[64:65], s33, v[64:65]
	v_and_b32_e32 v64, s69, v64
	v_lshl_or_b32 v64, v64, 4, v133
	ds_add_u32 v64, v117
	s_or_b64 exec, exec, s[16:17]
	v_cmp_lt_u32_e32 vcc, v7, v5
	s_and_saveexec_b64 s[16:17], vcc
	s_cbranch_execnz .LBB736_65
.LBB736_50:                             ;   in Loop: Header=BB736_24 Depth=2
	s_or_b64 exec, exec, s[16:17]
	v_cmp_lt_u32_e32 vcc, v6, v5
	s_and_saveexec_b64 s[16:17], vcc
	s_cbranch_execz .LBB736_66
.LBB736_51:                             ;   in Loop: Header=BB736_24 Depth=2
	v_xor_b32_e32 v65, 0x7fffffff, v57
	v_not_b32_e32 v64, v56
	v_lshrrev_b64 v[64:65], s33, v[64:65]
	v_and_b32_e32 v64, s69, v64
	v_lshl_or_b32 v64, v64, 4, v133
	ds_add_u32 v64, v117
	s_or_b64 exec, exec, s[16:17]
	v_cmp_lt_u32_e32 vcc, v8, v5
	s_and_saveexec_b64 s[16:17], vcc
	s_cbranch_execnz .LBB736_67
.LBB736_52:                             ;   in Loop: Header=BB736_24 Depth=2
	s_or_b64 exec, exec, s[16:17]
	v_cmp_lt_u32_e32 vcc, v10, v5
	s_and_saveexec_b64 s[16:17], vcc
	s_cbranch_execz .LBB736_68
.LBB736_53:                             ;   in Loop: Header=BB736_24 Depth=2
	v_xor_b32_e32 v65, 0x7fffffff, v53
	v_not_b32_e32 v64, v52
	v_lshrrev_b64 v[64:65], s33, v[64:65]
	v_and_b32_e32 v64, s69, v64
	v_lshl_or_b32 v64, v64, 4, v133
	ds_add_u32 v64, v117
	s_or_b64 exec, exec, s[16:17]
	v_cmp_lt_u32_e32 vcc, v12, v5
	s_and_saveexec_b64 s[16:17], vcc
	s_cbranch_execnz .LBB736_69
.LBB736_54:                             ;   in Loop: Header=BB736_24 Depth=2
	s_or_b64 exec, exec, s[16:17]
	v_cmp_lt_u32_e32 vcc, v14, v5
	s_and_saveexec_b64 s[16:17], vcc
	s_cbranch_execz .LBB736_70
.LBB736_55:                             ;   in Loop: Header=BB736_24 Depth=2
	v_xor_b32_e32 v65, 0x7fffffff, v49
	v_not_b32_e32 v64, v48
	v_lshrrev_b64 v[64:65], s33, v[64:65]
	v_and_b32_e32 v64, s69, v64
	v_lshl_or_b32 v64, v64, 4, v133
	ds_add_u32 v64, v117
	s_or_b64 exec, exec, s[16:17]
	v_cmp_lt_u32_e32 vcc, v16, v5
	s_and_saveexec_b64 s[16:17], vcc
	s_cbranch_execnz .LBB736_71
.LBB736_56:                             ;   in Loop: Header=BB736_24 Depth=2
	s_or_b64 exec, exec, s[16:17]
	v_cmp_lt_u32_e32 vcc, v18, v5
	s_and_saveexec_b64 s[16:17], vcc
	s_cbranch_execz .LBB736_72
.LBB736_57:                             ;   in Loop: Header=BB736_24 Depth=2
	v_xor_b32_e32 v65, 0x7fffffff, v45
	v_not_b32_e32 v64, v44
	v_lshrrev_b64 v[64:65], s33, v[64:65]
	v_and_b32_e32 v64, s69, v64
	v_lshl_or_b32 v64, v64, 4, v133
	ds_add_u32 v64, v117
	s_or_b64 exec, exec, s[16:17]
	v_cmp_lt_u32_e32 vcc, v20, v5
	s_and_saveexec_b64 s[16:17], vcc
	s_cbranch_execnz .LBB736_73
.LBB736_58:                             ;   in Loop: Header=BB736_24 Depth=2
	s_or_b64 exec, exec, s[16:17]
	v_cmp_lt_u32_e32 vcc, v22, v5
	s_and_saveexec_b64 s[16:17], vcc
	s_cbranch_execz .LBB736_74
.LBB736_59:                             ;   in Loop: Header=BB736_24 Depth=2
	v_xor_b32_e32 v65, 0x7fffffff, v41
	v_not_b32_e32 v64, v40
	v_lshrrev_b64 v[64:65], s33, v[64:65]
	v_and_b32_e32 v64, s69, v64
	v_lshl_or_b32 v64, v64, 4, v133
	ds_add_u32 v64, v117
	s_or_b64 exec, exec, s[16:17]
	v_cmp_lt_u32_e32 vcc, v24, v5
	s_and_saveexec_b64 s[16:17], vcc
	s_cbranch_execnz .LBB736_75
.LBB736_60:                             ;   in Loop: Header=BB736_24 Depth=2
	s_or_b64 exec, exec, s[16:17]
	v_cmp_lt_u32_e32 vcc, v26, v5
	s_and_saveexec_b64 s[16:17], vcc
	s_cbranch_execz .LBB736_76
.LBB736_61:                             ;   in Loop: Header=BB736_24 Depth=2
	v_xor_b32_e32 v65, 0x7fffffff, v37
	v_not_b32_e32 v64, v36
	v_lshrrev_b64 v[64:65], s33, v[64:65]
	v_and_b32_e32 v64, s69, v64
	v_lshl_or_b32 v64, v64, 4, v133
	ds_add_u32 v64, v117
	s_or_b64 exec, exec, s[16:17]
	v_cmp_lt_u32_e32 vcc, v28, v5
	s_and_saveexec_b64 s[16:17], vcc
	s_cbranch_execnz .LBB736_77
.LBB736_62:                             ;   in Loop: Header=BB736_24 Depth=2
	s_or_b64 exec, exec, s[16:17]
	v_cmp_lt_u32_e32 vcc, v30, v5
	s_and_saveexec_b64 s[16:17], vcc
	s_cbranch_execz .LBB736_78
.LBB736_63:                             ;   in Loop: Header=BB736_24 Depth=2
	v_xor_b32_e32 v65, 0x7fffffff, v1
	v_not_b32_e32 v64, v0
	v_lshrrev_b64 v[64:65], s33, v[64:65]
	v_and_b32_e32 v64, s69, v64
	v_lshl_or_b32 v64, v64, 4, v133
	ds_add_u32 v64, v117
	s_or_b64 exec, exec, s[16:17]
	v_cmp_lt_u32_e32 vcc, v32, v5
	s_and_saveexec_b64 s[16:17], vcc
	s_cbranch_execz .LBB736_23
	s_branch .LBB736_79
.LBB736_64:                             ;   in Loop: Header=BB736_24 Depth=2
	s_or_b64 exec, exec, s[16:17]
	v_cmp_lt_u32_e32 vcc, v7, v5
	s_and_saveexec_b64 s[16:17], vcc
	s_cbranch_execz .LBB736_50
.LBB736_65:                             ;   in Loop: Header=BB736_24 Depth=2
	v_xor_b32_e32 v65, 0x7fffffff, v59
	v_not_b32_e32 v64, v58
	v_lshrrev_b64 v[64:65], s33, v[64:65]
	v_and_b32_e32 v64, s69, v64
	v_lshl_or_b32 v64, v64, 4, v133
	ds_add_u32 v64, v117
	s_or_b64 exec, exec, s[16:17]
	v_cmp_lt_u32_e32 vcc, v6, v5
	s_and_saveexec_b64 s[16:17], vcc
	s_cbranch_execnz .LBB736_51
.LBB736_66:                             ;   in Loop: Header=BB736_24 Depth=2
	s_or_b64 exec, exec, s[16:17]
	v_cmp_lt_u32_e32 vcc, v8, v5
	s_and_saveexec_b64 s[16:17], vcc
	s_cbranch_execz .LBB736_52
.LBB736_67:                             ;   in Loop: Header=BB736_24 Depth=2
	v_xor_b32_e32 v65, 0x7fffffff, v55
	v_not_b32_e32 v64, v54
	v_lshrrev_b64 v[64:65], s33, v[64:65]
	v_and_b32_e32 v64, s69, v64
	v_lshl_or_b32 v64, v64, 4, v133
	ds_add_u32 v64, v117
	s_or_b64 exec, exec, s[16:17]
	v_cmp_lt_u32_e32 vcc, v10, v5
	s_and_saveexec_b64 s[16:17], vcc
	s_cbranch_execnz .LBB736_53
.LBB736_68:                             ;   in Loop: Header=BB736_24 Depth=2
	s_or_b64 exec, exec, s[16:17]
	v_cmp_lt_u32_e32 vcc, v12, v5
	s_and_saveexec_b64 s[16:17], vcc
	s_cbranch_execz .LBB736_54
.LBB736_69:                             ;   in Loop: Header=BB736_24 Depth=2
	v_xor_b32_e32 v65, 0x7fffffff, v51
	v_not_b32_e32 v64, v50
	v_lshrrev_b64 v[64:65], s33, v[64:65]
	v_and_b32_e32 v64, s69, v64
	v_lshl_or_b32 v64, v64, 4, v133
	ds_add_u32 v64, v117
	s_or_b64 exec, exec, s[16:17]
	v_cmp_lt_u32_e32 vcc, v14, v5
	s_and_saveexec_b64 s[16:17], vcc
	s_cbranch_execnz .LBB736_55
.LBB736_70:                             ;   in Loop: Header=BB736_24 Depth=2
	s_or_b64 exec, exec, s[16:17]
	v_cmp_lt_u32_e32 vcc, v16, v5
	s_and_saveexec_b64 s[16:17], vcc
	s_cbranch_execz .LBB736_56
.LBB736_71:                             ;   in Loop: Header=BB736_24 Depth=2
	v_xor_b32_e32 v65, 0x7fffffff, v47
	v_not_b32_e32 v64, v46
	v_lshrrev_b64 v[64:65], s33, v[64:65]
	v_and_b32_e32 v64, s69, v64
	v_lshl_or_b32 v64, v64, 4, v133
	ds_add_u32 v64, v117
	s_or_b64 exec, exec, s[16:17]
	v_cmp_lt_u32_e32 vcc, v18, v5
	s_and_saveexec_b64 s[16:17], vcc
	s_cbranch_execnz .LBB736_57
.LBB736_72:                             ;   in Loop: Header=BB736_24 Depth=2
	s_or_b64 exec, exec, s[16:17]
	v_cmp_lt_u32_e32 vcc, v20, v5
	s_and_saveexec_b64 s[16:17], vcc
	s_cbranch_execz .LBB736_58
.LBB736_73:                             ;   in Loop: Header=BB736_24 Depth=2
	v_xor_b32_e32 v65, 0x7fffffff, v43
	v_not_b32_e32 v64, v42
	v_lshrrev_b64 v[64:65], s33, v[64:65]
	v_and_b32_e32 v64, s69, v64
	v_lshl_or_b32 v64, v64, 4, v133
	ds_add_u32 v64, v117
	s_or_b64 exec, exec, s[16:17]
	v_cmp_lt_u32_e32 vcc, v22, v5
	s_and_saveexec_b64 s[16:17], vcc
	s_cbranch_execnz .LBB736_59
.LBB736_74:                             ;   in Loop: Header=BB736_24 Depth=2
	s_or_b64 exec, exec, s[16:17]
	v_cmp_lt_u32_e32 vcc, v24, v5
	s_and_saveexec_b64 s[16:17], vcc
	s_cbranch_execz .LBB736_60
.LBB736_75:                             ;   in Loop: Header=BB736_24 Depth=2
	v_xor_b32_e32 v65, 0x7fffffff, v39
	v_not_b32_e32 v64, v38
	v_lshrrev_b64 v[64:65], s33, v[64:65]
	v_and_b32_e32 v64, s69, v64
	v_lshl_or_b32 v64, v64, 4, v133
	ds_add_u32 v64, v117
	s_or_b64 exec, exec, s[16:17]
	v_cmp_lt_u32_e32 vcc, v26, v5
	s_and_saveexec_b64 s[16:17], vcc
	s_cbranch_execnz .LBB736_61
.LBB736_76:                             ;   in Loop: Header=BB736_24 Depth=2
	s_or_b64 exec, exec, s[16:17]
	v_cmp_lt_u32_e32 vcc, v28, v5
	s_and_saveexec_b64 s[16:17], vcc
	s_cbranch_execz .LBB736_62
.LBB736_77:                             ;   in Loop: Header=BB736_24 Depth=2
	v_xor_b32_e32 v65, 0x7fffffff, v35
	v_not_b32_e32 v64, v34
	v_lshrrev_b64 v[64:65], s33, v[64:65]
	v_and_b32_e32 v64, s69, v64
	v_lshl_or_b32 v64, v64, 4, v133
	ds_add_u32 v64, v117
	s_or_b64 exec, exec, s[16:17]
	v_cmp_lt_u32_e32 vcc, v30, v5
	s_and_saveexec_b64 s[16:17], vcc
	s_cbranch_execnz .LBB736_63
.LBB736_78:                             ;   in Loop: Header=BB736_24 Depth=2
	s_or_b64 exec, exec, s[16:17]
	v_cmp_lt_u32_e32 vcc, v32, v5
	s_and_saveexec_b64 s[16:17], vcc
	s_cbranch_execz .LBB736_23
.LBB736_79:                             ;   in Loop: Header=BB736_24 Depth=2
	s_waitcnt vmcnt(0)
	v_xor_b32_e32 v65, 0x7fffffff, v63
	v_not_b32_e32 v64, v62
	v_lshrrev_b64 v[64:65], s33, v[64:65]
	v_and_b32_e32 v5, s69, v64
	v_lshl_or_b32 v5, v5, 4, v133
	ds_add_u32 v5, v117
	s_branch .LBB736_23
.LBB736_80:                             ;   in Loop: Header=BB736_24 Depth=2
	s_or_b64 exec, exec, s[22:23]
	v_cmp_gt_u32_e32 vcc, s24, v7
	s_and_saveexec_b64 s[22:23], vcc
	s_cbranch_execz .LBB736_30
.LBB736_81:                             ;   in Loop: Header=BB736_24 Depth=2
	global_load_dwordx2 v[58:59], v118, s[20:21] offset:2048
	s_or_b64 exec, exec, s[22:23]
	v_cmp_gt_u32_e32 vcc, s24, v6
	s_and_saveexec_b64 s[22:23], vcc
	s_cbranch_execnz .LBB736_31
.LBB736_82:                             ;   in Loop: Header=BB736_24 Depth=2
	s_or_b64 exec, exec, s[22:23]
	v_cmp_gt_u32_e32 vcc, s24, v8
	s_and_saveexec_b64 s[22:23], vcc
	s_cbranch_execz .LBB736_32
.LBB736_83:                             ;   in Loop: Header=BB736_24 Depth=2
	global_load_dwordx2 v[54:55], v120, s[20:21]
	s_or_b64 exec, exec, s[22:23]
	v_cmp_gt_u32_e32 vcc, s24, v10
	s_and_saveexec_b64 s[22:23], vcc
	s_cbranch_execnz .LBB736_33
.LBB736_84:                             ;   in Loop: Header=BB736_24 Depth=2
	s_or_b64 exec, exec, s[22:23]
	v_cmp_gt_u32_e32 vcc, s24, v12
	s_and_saveexec_b64 s[22:23], vcc
	s_cbranch_execz .LBB736_34
.LBB736_85:                             ;   in Loop: Header=BB736_24 Depth=2
	global_load_dwordx2 v[50:51], v122, s[20:21]
	s_or_b64 exec, exec, s[22:23]
	v_cmp_gt_u32_e32 vcc, s24, v14
	s_and_saveexec_b64 s[22:23], vcc
	s_cbranch_execnz .LBB736_35
.LBB736_86:                             ;   in Loop: Header=BB736_24 Depth=2
	s_or_b64 exec, exec, s[22:23]
	v_cmp_gt_u32_e32 vcc, s24, v16
	s_and_saveexec_b64 s[22:23], vcc
	s_cbranch_execz .LBB736_36
.LBB736_87:                             ;   in Loop: Header=BB736_24 Depth=2
	global_load_dwordx2 v[46:47], v124, s[20:21]
	s_or_b64 exec, exec, s[22:23]
	v_cmp_gt_u32_e32 vcc, s24, v18
	s_and_saveexec_b64 s[22:23], vcc
	s_cbranch_execnz .LBB736_37
.LBB736_88:                             ;   in Loop: Header=BB736_24 Depth=2
	s_or_b64 exec, exec, s[22:23]
	v_cmp_gt_u32_e32 vcc, s24, v20
	s_and_saveexec_b64 s[22:23], vcc
	s_cbranch_execz .LBB736_38
.LBB736_89:                             ;   in Loop: Header=BB736_24 Depth=2
	global_load_dwordx2 v[42:43], v126, s[20:21]
	s_or_b64 exec, exec, s[22:23]
	v_cmp_gt_u32_e32 vcc, s24, v22
	s_and_saveexec_b64 s[22:23], vcc
	s_cbranch_execnz .LBB736_39
.LBB736_90:                             ;   in Loop: Header=BB736_24 Depth=2
	s_or_b64 exec, exec, s[22:23]
	v_cmp_gt_u32_e32 vcc, s24, v24
	s_and_saveexec_b64 s[22:23], vcc
	s_cbranch_execz .LBB736_40
.LBB736_91:                             ;   in Loop: Header=BB736_24 Depth=2
	global_load_dwordx2 v[38:39], v128, s[20:21]
	s_or_b64 exec, exec, s[22:23]
	v_cmp_gt_u32_e32 vcc, s24, v26
	s_and_saveexec_b64 s[22:23], vcc
	s_cbranch_execnz .LBB736_41
.LBB736_92:                             ;   in Loop: Header=BB736_24 Depth=2
	s_or_b64 exec, exec, s[22:23]
	v_cmp_gt_u32_e32 vcc, s24, v28
	s_and_saveexec_b64 s[22:23], vcc
	s_cbranch_execz .LBB736_42
.LBB736_93:                             ;   in Loop: Header=BB736_24 Depth=2
	global_load_dwordx2 v[34:35], v130, s[20:21]
	s_or_b64 exec, exec, s[22:23]
	v_cmp_gt_u32_e32 vcc, s24, v30
	s_and_saveexec_b64 s[22:23], vcc
	s_cbranch_execz .LBB736_44
	s_branch .LBB736_43
.LBB736_94:                             ;   in Loop: Header=BB736_20 Depth=1
	v_mov_b32_e32 v0, 0
	s_waitcnt lgkmcnt(0)
	s_barrier
	s_and_saveexec_b64 s[16:17], s[4:5]
	s_cbranch_execz .LBB736_96
; %bb.95:                               ;   in Loop: Header=BB736_20 Depth=1
	ds_read2_b64 v[34:37], v13 offset1:1
	s_waitcnt lgkmcnt(0)
	v_add_u32_e32 v0, v35, v34
	v_add3_u32 v0, v0, v36, v37
.LBB736_96:                             ;   in Loop: Header=BB736_20 Depth=1
	s_or_b64 exec, exec, s[16:17]
	s_nop 0
	v_mov_b32_dpp v1, v0 row_shr:1 row_mask:0xf bank_mask:0xf
	v_cmp_eq_u32_e64 s[16:17], 0, v135
	v_cndmask_b32_e64 v1, v1, 0, s[16:17]
	v_add_u32_e32 v0, v1, v0
	v_cmp_lt_u32_e64 s[18:19], 1, v135
	v_cmp_lt_u32_e64 s[20:21], 3, v135
	v_mov_b32_dpp v1, v0 row_shr:2 row_mask:0xf bank_mask:0xf
	v_cndmask_b32_e64 v1, 0, v1, s[18:19]
	v_add_u32_e32 v0, v0, v1
	v_cmp_lt_u32_e64 s[22:23], 7, v135
	v_cmp_lt_u32_e64 s[26:27], 31, v134
	v_mov_b32_dpp v1, v0 row_shr:4 row_mask:0xf bank_mask:0xf
	v_cndmask_b32_e64 v1, 0, v1, s[20:21]
	v_add_u32_e32 v0, v0, v1
	v_cmp_eq_u32_e64 s[24:25], 0, v137
	s_nop 0
	v_mov_b32_dpp v1, v0 row_shr:8 row_mask:0xf bank_mask:0xf
	v_cndmask_b32_e64 v1, 0, v1, s[22:23]
	v_add_u32_e32 v0, v0, v1
	s_nop 1
	v_mov_b32_dpp v1, v0 row_bcast:15 row_mask:0xf bank_mask:0xf
	v_and_b32_e32 v1, v136, v1
	v_add_u32_e32 v0, v0, v1
	s_nop 1
	v_mov_b32_dpp v1, v0 row_bcast:31 row_mask:0xf bank_mask:0xf
	v_cndmask_b32_e64 v1, 0, v1, s[26:27]
	v_add_u32_e32 v0, v0, v1
	s_and_saveexec_b64 s[28:29], s[6:7]
	s_cbranch_execz .LBB736_98
; %bb.97:                               ;   in Loop: Header=BB736_20 Depth=1
	ds_write_b32 v17, v0
.LBB736_98:                             ;   in Loop: Header=BB736_20 Depth=1
	s_or_b64 exec, exec, s[28:29]
	s_waitcnt lgkmcnt(0)
	s_barrier
	s_and_saveexec_b64 s[28:29], s[8:9]
	s_cbranch_execz .LBB736_100
; %bb.99:                               ;   in Loop: Header=BB736_20 Depth=1
	ds_read_b32 v1, v19
	v_cmp_ne_u32_e32 vcc, 0, v138
	s_waitcnt lgkmcnt(0)
	v_mov_b32_dpp v5, v1 row_shr:1 row_mask:0xf bank_mask:0xf
	v_cndmask_b32_e32 v5, 0, v5, vcc
	v_add_u32_e32 v1, v5, v1
	v_cmp_lt_u32_e32 vcc, 1, v138
	s_nop 0
	v_mov_b32_dpp v5, v1 row_shr:2 row_mask:0xf bank_mask:0xf
	v_cndmask_b32_e32 v5, 0, v5, vcc
	v_add_u32_e32 v1, v1, v5
	ds_write_b32 v19, v1
.LBB736_100:                            ;   in Loop: Header=BB736_20 Depth=1
	s_or_b64 exec, exec, s[28:29]
	v_mov_b32_e32 v1, 0
	s_waitcnt lgkmcnt(0)
	s_barrier
	s_and_saveexec_b64 s[28:29], s[10:11]
	s_cbranch_execz .LBB736_102
; %bb.101:                              ;   in Loop: Header=BB736_20 Depth=1
	ds_read_b32 v1, v21
.LBB736_102:                            ;   in Loop: Header=BB736_20 Depth=1
	s_or_b64 exec, exec, s[28:29]
	v_cmp_lt_i32_e32 vcc, v139, v140
	v_cndmask_b32_e32 v5, v139, v134, vcc
	s_waitcnt lgkmcnt(0)
	v_add_u32_e32 v0, v1, v0
	v_lshlrev_b32_e32 v158, 2, v5
	ds_bpermute_b32 v0, v158, v0
	v_cmp_eq_u32_e64 s[28:29], 0, v134
	s_waitcnt lgkmcnt(0)
	s_barrier
	s_and_saveexec_b64 s[30:31], s[4:5]
	s_cbranch_execz .LBB736_104
; %bb.103:                              ;   in Loop: Header=BB736_20 Depth=1
	v_cndmask_b32_e64 v0, v0, v1, s[28:29]
	v_add_u32_e32 v0, s38, v0
	ds_write_b32 v3, v0
.LBB736_104:                            ;   in Loop: Header=BB736_20 Depth=1
	s_or_b64 exec, exec, s[30:31]
	s_load_dword s30, s[90:91], 0x4
	s_load_dword s36, s[90:91], 0xc
	v_readlane_b32 s31, v235, 0
	v_add_co_u32_e32 v159, vcc, v100, v141
	s_waitcnt lgkmcnt(0)
	s_cmp_lt_u32 s31, s30
	s_cselect_b32 s30, 14, 20
	s_add_u32 s30, s90, s30
	s_addc_u32 s31, s91, 0
	global_load_ushort v5, v4, s[30:31]
	v_addc_co_u32_e32 v160, vcc, 0, v101, vcc
	v_add_co_u32_e32 v161, vcc, v102, v141
	v_addc_co_u32_e32 v162, vcc, 0, v103, vcc
	s_and_b32 s36, s36, 0xffff
	v_add_co_u32_e32 v176, vcc, 0x1e00, v161
	v_cmp_eq_u32_e64 s[30:31], 0, v138
	v_cmp_lt_u32_e64 s[34:35], 1, v138
	s_mov_b32 s87, s85
	v_addc_co_u32_e32 v179, vcc, 0, v162, vcc
	s_mov_b32 s78, s38
                                        ; implicit-def: $vgpr0_vgpr1
                                        ; implicit-def: $vgpr34_vgpr35
                                        ; implicit-def: $vgpr36_vgpr37
                                        ; implicit-def: $vgpr40_vgpr41
                                        ; implicit-def: $vgpr44_vgpr45
                                        ; implicit-def: $vgpr48_vgpr49
                                        ; implicit-def: $vgpr52_vgpr53
                                        ; implicit-def: $vgpr56_vgpr57
                                        ; implicit-def: $vgpr38_vgpr39
                                        ; implicit-def: $vgpr42_vgpr43
                                        ; implicit-def: $vgpr46_vgpr47
                                        ; implicit-def: $vgpr50_vgpr51
                                        ; implicit-def: $vgpr54_vgpr55
                                        ; implicit-def: $vgpr58_vgpr59
                                        ; implicit-def: $vgpr60_vgpr61
                                        ; implicit-def: $vgpr62_vgpr63
                                        ; implicit-def: $vgpr163
                                        ; implicit-def: $vgpr164
                                        ; implicit-def: $vgpr165
                                        ; implicit-def: $vgpr166
                                        ; implicit-def: $vgpr167
                                        ; implicit-def: $vgpr168
                                        ; implicit-def: $vgpr169
                                        ; implicit-def: $vgpr170
                                        ; implicit-def: $vgpr171
                                        ; implicit-def: $vgpr172
                                        ; implicit-def: $vgpr173
                                        ; implicit-def: $vgpr174
                                        ; implicit-def: $vgpr175
                                        ; implicit-def: $vgpr177
                                        ; implicit-def: $vgpr178
                                        ; implicit-def: $vgpr180
	s_waitcnt vmcnt(0)
	v_mad_u32_u24 v5, v23, v5, v25
	v_mad_u64_u32 v[64:65], s[36:37], v5, s36, v[2:3]
	v_lshrrev_b32_e32 v181, 6, v64
	s_branch .LBB736_106
.LBB736_105:                            ;   in Loop: Header=BB736_106 Depth=2
	s_or_b64 exec, exec, s[36:37]
	s_addk_i32 s87, 0xf000
	s_cmp_lt_u32 s86, s94
	s_mov_b32 s78, s86
	s_cbranch_scc0 .LBB736_314
.LBB736_106:                            ;   Parent Loop BB736_20 Depth=1
                                        ; =>  This Inner Loop Header: Depth=2
	s_add_i32 s86, s78, 0x1000
	s_cmp_gt_u32 s86, s94
	s_cbranch_scc1 .LBB736_108
; %bb.107:                              ;   in Loop: Header=BB736_106 Depth=2
	s_mov_b32 s79, s88
	s_lshl_b64 s[36:37], s[78:79], 3
	v_mov_b32_e32 v5, s37
	v_add_co_u32_e32 v68, vcc, s36, v161
	v_addc_co_u32_e32 v69, vcc, v162, v5, vcc
	global_load_dwordx2 v[64:65], v[68:69], off
	global_load_dwordx2 v[66:67], v[68:69], off offset:512
	global_load_dwordx2 v[74:75], v[68:69], off offset:1024
	;; [unrolled: 1-line block ×7, first 2 shown]
	v_add_co_u32_e32 v68, vcc, 0x1000, v68
	v_addc_co_u32_e32 v69, vcc, 0, v69, vcc
	global_load_dwordx2 v[92:93], v[68:69], off
	global_load_dwordx2 v[88:89], v[68:69], off offset:512
	global_load_dwordx2 v[84:85], v[68:69], off offset:1024
	;; [unrolled: 1-line block ×5, first 2 shown]
	s_nop 0
	global_load_dwordx2 v[68:69], v[68:69], off offset:3072
	s_movk_i32 s40, 0x1000
	s_mov_b64 s[36:37], -1
	s_cbranch_execz .LBB736_109
	s_branch .LBB736_140
.LBB736_108:                            ;   in Loop: Header=BB736_106 Depth=2
	s_mov_b64 s[36:37], 0
                                        ; implicit-def: $sgpr40
                                        ; implicit-def: $vgpr64_vgpr65
                                        ; implicit-def: $vgpr66_vgpr67
                                        ; implicit-def: $vgpr74_vgpr75
                                        ; implicit-def: $vgpr78_vgpr79
                                        ; implicit-def: $vgpr82_vgpr83
                                        ; implicit-def: $vgpr86_vgpr87
                                        ; implicit-def: $vgpr90_vgpr91
                                        ; implicit-def: $vgpr94_vgpr95
                                        ; implicit-def: $vgpr92_vgpr93
                                        ; implicit-def: $vgpr88_vgpr89
                                        ; implicit-def: $vgpr84_vgpr85
                                        ; implicit-def: $vgpr80_vgpr81
                                        ; implicit-def: $vgpr76_vgpr77
                                        ; implicit-def: $vgpr72_vgpr73
                                        ; implicit-def: $vgpr68_vgpr69
.LBB736_109:                            ;   in Loop: Header=BB736_106 Depth=2
	s_mov_b32 s79, s88
	s_lshl_b64 s[36:37], s[78:79], 3
	v_mov_b32_e32 v5, s37
	v_add_co_u32_e32 v70, vcc, s36, v161
	v_addc_co_u32_e32 v71, vcc, v162, v5, vcc
	v_cmp_gt_u32_e32 vcc, s87, v142
	s_waitcnt vmcnt(14)
	v_pk_mov_b32 v[64:65], s[88:89], s[88:89] op_sel:[0,1]
	s_and_saveexec_b64 s[36:37], vcc
	s_cbranch_execz .LBB736_111
; %bb.110:                              ;   in Loop: Header=BB736_106 Depth=2
	global_load_dwordx2 v[64:65], v[70:71], off
.LBB736_111:                            ;   in Loop: Header=BB736_106 Depth=2
	s_or_b64 exec, exec, s[36:37]
	v_cmp_gt_u32_e32 vcc, s87, v143
	s_waitcnt vmcnt(13)
	v_pk_mov_b32 v[66:67], s[88:89], s[88:89] op_sel:[0,1]
	s_and_saveexec_b64 s[36:37], vcc
	s_cbranch_execz .LBB736_113
; %bb.112:                              ;   in Loop: Header=BB736_106 Depth=2
	global_load_dwordx2 v[66:67], v[70:71], off offset:512
.LBB736_113:                            ;   in Loop: Header=BB736_106 Depth=2
	s_or_b64 exec, exec, s[36:37]
	v_cmp_gt_u32_e32 vcc, s87, v144
	s_waitcnt vmcnt(12)
	v_pk_mov_b32 v[74:75], s[88:89], s[88:89] op_sel:[0,1]
	s_and_saveexec_b64 s[36:37], vcc
	s_cbranch_execz .LBB736_115
; %bb.114:                              ;   in Loop: Header=BB736_106 Depth=2
	global_load_dwordx2 v[74:75], v[70:71], off offset:1024
.LBB736_115:                            ;   in Loop: Header=BB736_106 Depth=2
	;; [unrolled: 9-line block ×7, first 2 shown]
	s_or_b64 exec, exec, s[36:37]
	v_cmp_gt_u32_e32 vcc, s87, v150
	s_waitcnt vmcnt(6)
	v_pk_mov_b32 v[92:93], s[88:89], s[88:89] op_sel:[0,1]
	s_and_saveexec_b64 s[36:37], vcc
	s_cbranch_execz .LBB736_127
; %bb.126:                              ;   in Loop: Header=BB736_106 Depth=2
	s_waitcnt vmcnt(0)
	v_add_co_u32_e32 v68, vcc, 0x1000, v70
	v_addc_co_u32_e32 v69, vcc, 0, v71, vcc
	global_load_dwordx2 v[92:93], v[68:69], off
.LBB736_127:                            ;   in Loop: Header=BB736_106 Depth=2
	s_or_b64 exec, exec, s[36:37]
	v_cmp_gt_u32_e32 vcc, s87, v151
	s_waitcnt vmcnt(5)
	v_pk_mov_b32 v[88:89], s[88:89], s[88:89] op_sel:[0,1]
	s_and_saveexec_b64 s[36:37], vcc
	s_cbranch_execz .LBB736_129
; %bb.128:                              ;   in Loop: Header=BB736_106 Depth=2
	s_waitcnt vmcnt(0)
	v_add_co_u32_e32 v68, vcc, 0x1000, v70
	v_addc_co_u32_e32 v69, vcc, 0, v71, vcc
	global_load_dwordx2 v[88:89], v[68:69], off offset:512
.LBB736_129:                            ;   in Loop: Header=BB736_106 Depth=2
	s_or_b64 exec, exec, s[36:37]
	v_cmp_gt_u32_e32 vcc, s87, v152
	s_waitcnt vmcnt(4)
	v_pk_mov_b32 v[84:85], s[88:89], s[88:89] op_sel:[0,1]
	s_and_saveexec_b64 s[36:37], vcc
	s_cbranch_execz .LBB736_131
; %bb.130:                              ;   in Loop: Header=BB736_106 Depth=2
	s_waitcnt vmcnt(0)
	v_add_co_u32_e32 v68, vcc, 0x1000, v70
	v_addc_co_u32_e32 v69, vcc, 0, v71, vcc
	global_load_dwordx2 v[84:85], v[68:69], off offset:1024
.LBB736_131:                            ;   in Loop: Header=BB736_106 Depth=2
	;; [unrolled: 12-line block ×5, first 2 shown]
	s_or_b64 exec, exec, s[36:37]
	v_cmp_gt_u32_e32 vcc, s87, v156
	s_waitcnt vmcnt(0)
	v_pk_mov_b32 v[68:69], s[88:89], s[88:89] op_sel:[0,1]
	s_and_saveexec_b64 s[36:37], vcc
	s_cbranch_execz .LBB736_139
; %bb.138:                              ;   in Loop: Header=BB736_106 Depth=2
	v_add_co_u32_e32 v68, vcc, 0x1000, v70
	v_addc_co_u32_e32 v69, vcc, 0, v71, vcc
	global_load_dwordx2 v[68:69], v[68:69], off offset:3072
.LBB736_139:                            ;   in Loop: Header=BB736_106 Depth=2
	s_or_b64 exec, exec, s[36:37]
	s_sub_i32 s40, s94, s78
	v_cmp_gt_u32_e64 s[36:37], s87, v157
.LBB736_140:                            ;   in Loop: Header=BB736_106 Depth=2
	v_pk_mov_b32 v[70:71], s[88:89], s[88:89] op_sel:[0,1]
	v_mov_b32_e32 v182, s87
	s_and_saveexec_b64 s[38:39], s[36:37]
	s_cbranch_execz .LBB736_142
; %bb.141:                              ;   in Loop: Header=BB736_106 Depth=2
	s_lshl_b64 s[36:37], s[78:79], 3
	v_mov_b32_e32 v5, s37
	v_add_co_u32_e32 v70, vcc, s36, v176
	v_addc_co_u32_e32 v71, vcc, v179, v5, vcc
	global_load_dwordx2 v[70:71], v[70:71], off
	v_mov_b32_e32 v182, s40
.LBB736_142:                            ;   in Loop: Header=BB736_106 Depth=2
	s_or_b64 exec, exec, s[38:39]
	s_waitcnt vmcnt(14)
	v_xor_b32_e32 v65, 0x7fffffff, v65
	v_not_b32_e32 v64, v64
	v_lshrrev_b64 v[96:97], s33, v[64:65]
	v_add_u32_e32 v5, 0x410, v27
	v_and_b32_e32 v96, s69, v96
	ds_write2_b32 v5, v4, v4 offset1:1
	ds_write2_b32 v31, v4, v4 offset0:2 offset1:3
	ds_write_b32 v31, v4 offset:16
	v_mad_u32_u24 v5, v96, 5, v181
	v_lshl_add_u32 v183, v5, 2, v29
	v_and_b32_e32 v5, 1, v96
	v_add_co_u32_e32 v97, vcc, -1, v5
	v_addc_co_u32_e64 v98, s[36:37], 0, -1, vcc
	v_cmp_ne_u32_e32 vcc, 0, v5
	v_xor_b32_e32 v5, vcc_hi, v98
	v_and_b32_e32 v98, exec_hi, v5
	v_lshlrev_b32_e32 v5, 30, v96
	v_xor_b32_e32 v97, vcc_lo, v97
	v_cmp_gt_i64_e32 vcc, 0, v[4:5]
	v_not_b32_e32 v5, v5
	v_ashrrev_i32_e32 v5, 31, v5
	v_and_b32_e32 v97, exec_lo, v97
	v_xor_b32_e32 v99, vcc_hi, v5
	v_xor_b32_e32 v5, vcc_lo, v5
	v_and_b32_e32 v97, v97, v5
	v_lshlrev_b32_e32 v5, 29, v96
	v_cmp_gt_i64_e32 vcc, 0, v[4:5]
	v_not_b32_e32 v5, v5
	v_ashrrev_i32_e32 v5, 31, v5
	v_and_b32_e32 v98, v98, v99
	v_xor_b32_e32 v99, vcc_hi, v5
	v_xor_b32_e32 v5, vcc_lo, v5
	v_and_b32_e32 v97, v97, v5
	v_lshlrev_b32_e32 v5, 28, v96
	v_cmp_gt_i64_e32 vcc, 0, v[4:5]
	v_not_b32_e32 v5, v5
	v_ashrrev_i32_e32 v5, 31, v5
	v_and_b32_e32 v98, v98, v99
	;; [unrolled: 8-line block ×5, first 2 shown]
	v_xor_b32_e32 v99, vcc_hi, v5
	v_xor_b32_e32 v5, vcc_lo, v5
	v_and_b32_e32 v98, v98, v99
	v_and_b32_e32 v99, v97, v5
	v_lshlrev_b32_e32 v5, 24, v96
	v_cmp_gt_i64_e32 vcc, 0, v[4:5]
	v_not_b32_e32 v5, v5
	v_ashrrev_i32_e32 v5, 31, v5
	v_xor_b32_e32 v96, vcc_hi, v5
	v_xor_b32_e32 v5, vcc_lo, v5
	v_and_b32_e32 v97, v98, v96
	v_and_b32_e32 v96, v99, v5
	v_mbcnt_lo_u32_b32 v5, v96, 0
	v_mbcnt_hi_u32_b32 v184, v97, v5
	v_cmp_eq_u32_e32 vcc, 0, v184
	v_cmp_ne_u64_e64 s[36:37], 0, v[96:97]
	s_and_b64 s[38:39], s[36:37], vcc
	s_waitcnt lgkmcnt(0)
	s_barrier
	s_waitcnt lgkmcnt(0)
	; wave barrier
	s_and_saveexec_b64 s[36:37], s[38:39]
	s_cbranch_execz .LBB736_144
; %bb.143:                              ;   in Loop: Header=BB736_106 Depth=2
	v_bcnt_u32_b32 v5, v96, 0
	v_bcnt_u32_b32 v5, v97, v5
	ds_write_b32 v183, v5
.LBB736_144:                            ;   in Loop: Header=BB736_106 Depth=2
	s_or_b64 exec, exec, s[36:37]
	s_waitcnt vmcnt(13)
	v_xor_b32_e32 v67, 0x7fffffff, v67
	v_not_b32_e32 v66, v66
	v_lshrrev_b64 v[96:97], s33, v[66:67]
	v_and_b32_e32 v96, s69, v96
	v_mul_u32_u24_e32 v5, 5, v96
	v_add_lshl_u32 v5, v5, v181, 2
	; wave barrier
	v_add_u32_e32 v186, 0x410, v5
	ds_read_b32 v185, v5 offset:1040
	v_and_b32_e32 v5, 1, v96
	v_add_co_u32_e32 v97, vcc, -1, v5
	v_addc_co_u32_e64 v98, s[36:37], 0, -1, vcc
	v_cmp_ne_u32_e32 vcc, 0, v5
	v_xor_b32_e32 v5, vcc_hi, v98
	v_and_b32_e32 v98, exec_hi, v5
	v_lshlrev_b32_e32 v5, 30, v96
	v_xor_b32_e32 v97, vcc_lo, v97
	v_cmp_gt_i64_e32 vcc, 0, v[4:5]
	v_not_b32_e32 v5, v5
	v_ashrrev_i32_e32 v5, 31, v5
	v_and_b32_e32 v97, exec_lo, v97
	v_xor_b32_e32 v99, vcc_hi, v5
	v_xor_b32_e32 v5, vcc_lo, v5
	v_and_b32_e32 v97, v97, v5
	v_lshlrev_b32_e32 v5, 29, v96
	v_cmp_gt_i64_e32 vcc, 0, v[4:5]
	v_not_b32_e32 v5, v5
	v_ashrrev_i32_e32 v5, 31, v5
	v_and_b32_e32 v98, v98, v99
	v_xor_b32_e32 v99, vcc_hi, v5
	v_xor_b32_e32 v5, vcc_lo, v5
	v_and_b32_e32 v97, v97, v5
	v_lshlrev_b32_e32 v5, 28, v96
	v_cmp_gt_i64_e32 vcc, 0, v[4:5]
	v_not_b32_e32 v5, v5
	v_ashrrev_i32_e32 v5, 31, v5
	v_and_b32_e32 v98, v98, v99
	;; [unrolled: 8-line block ×5, first 2 shown]
	v_xor_b32_e32 v99, vcc_hi, v5
	v_xor_b32_e32 v5, vcc_lo, v5
	v_and_b32_e32 v98, v98, v99
	v_and_b32_e32 v99, v97, v5
	v_lshlrev_b32_e32 v5, 24, v96
	v_cmp_gt_i64_e32 vcc, 0, v[4:5]
	v_not_b32_e32 v5, v5
	v_ashrrev_i32_e32 v5, 31, v5
	v_xor_b32_e32 v96, vcc_hi, v5
	v_xor_b32_e32 v5, vcc_lo, v5
	v_and_b32_e32 v97, v98, v96
	v_and_b32_e32 v96, v99, v5
	v_mbcnt_lo_u32_b32 v5, v96, 0
	v_mbcnt_hi_u32_b32 v187, v97, v5
	v_cmp_eq_u32_e32 vcc, 0, v187
	v_cmp_ne_u64_e64 s[36:37], 0, v[96:97]
	s_and_b64 s[38:39], s[36:37], vcc
	; wave barrier
	s_and_saveexec_b64 s[36:37], s[38:39]
	s_cbranch_execz .LBB736_146
; %bb.145:                              ;   in Loop: Header=BB736_106 Depth=2
	v_bcnt_u32_b32 v5, v96, 0
	v_bcnt_u32_b32 v5, v97, v5
	s_waitcnt lgkmcnt(0)
	v_add_u32_e32 v5, v185, v5
	ds_write_b32 v186, v5
.LBB736_146:                            ;   in Loop: Header=BB736_106 Depth=2
	s_or_b64 exec, exec, s[36:37]
	s_waitcnt vmcnt(12)
	v_xor_b32_e32 v75, 0x7fffffff, v75
	v_not_b32_e32 v74, v74
	v_lshrrev_b64 v[96:97], s33, v[74:75]
	v_and_b32_e32 v96, s69, v96
	v_mul_u32_u24_e32 v5, 5, v96
	v_add_lshl_u32 v5, v5, v181, 2
	; wave barrier
	v_add_u32_e32 v189, 0x410, v5
	ds_read_b32 v188, v5 offset:1040
	v_and_b32_e32 v5, 1, v96
	v_add_co_u32_e32 v97, vcc, -1, v5
	v_addc_co_u32_e64 v98, s[36:37], 0, -1, vcc
	v_cmp_ne_u32_e32 vcc, 0, v5
	v_xor_b32_e32 v5, vcc_hi, v98
	v_and_b32_e32 v98, exec_hi, v5
	v_lshlrev_b32_e32 v5, 30, v96
	v_xor_b32_e32 v97, vcc_lo, v97
	v_cmp_gt_i64_e32 vcc, 0, v[4:5]
	v_not_b32_e32 v5, v5
	v_ashrrev_i32_e32 v5, 31, v5
	v_and_b32_e32 v97, exec_lo, v97
	v_xor_b32_e32 v99, vcc_hi, v5
	v_xor_b32_e32 v5, vcc_lo, v5
	v_and_b32_e32 v97, v97, v5
	v_lshlrev_b32_e32 v5, 29, v96
	v_cmp_gt_i64_e32 vcc, 0, v[4:5]
	v_not_b32_e32 v5, v5
	v_ashrrev_i32_e32 v5, 31, v5
	v_and_b32_e32 v98, v98, v99
	v_xor_b32_e32 v99, vcc_hi, v5
	v_xor_b32_e32 v5, vcc_lo, v5
	v_and_b32_e32 v97, v97, v5
	v_lshlrev_b32_e32 v5, 28, v96
	v_cmp_gt_i64_e32 vcc, 0, v[4:5]
	v_not_b32_e32 v5, v5
	v_ashrrev_i32_e32 v5, 31, v5
	v_and_b32_e32 v98, v98, v99
	;; [unrolled: 8-line block ×5, first 2 shown]
	v_xor_b32_e32 v99, vcc_hi, v5
	v_xor_b32_e32 v5, vcc_lo, v5
	v_and_b32_e32 v98, v98, v99
	v_and_b32_e32 v99, v97, v5
	v_lshlrev_b32_e32 v5, 24, v96
	v_cmp_gt_i64_e32 vcc, 0, v[4:5]
	v_not_b32_e32 v5, v5
	v_ashrrev_i32_e32 v5, 31, v5
	v_xor_b32_e32 v96, vcc_hi, v5
	v_xor_b32_e32 v5, vcc_lo, v5
	v_and_b32_e32 v97, v98, v96
	v_and_b32_e32 v96, v99, v5
	v_mbcnt_lo_u32_b32 v5, v96, 0
	v_mbcnt_hi_u32_b32 v190, v97, v5
	v_cmp_eq_u32_e32 vcc, 0, v190
	v_cmp_ne_u64_e64 s[36:37], 0, v[96:97]
	s_and_b64 s[38:39], s[36:37], vcc
	; wave barrier
	s_and_saveexec_b64 s[36:37], s[38:39]
	s_cbranch_execz .LBB736_148
; %bb.147:                              ;   in Loop: Header=BB736_106 Depth=2
	v_bcnt_u32_b32 v5, v96, 0
	v_bcnt_u32_b32 v5, v97, v5
	s_waitcnt lgkmcnt(0)
	v_add_u32_e32 v5, v188, v5
	ds_write_b32 v189, v5
.LBB736_148:                            ;   in Loop: Header=BB736_106 Depth=2
	s_or_b64 exec, exec, s[36:37]
	s_waitcnt vmcnt(11)
	v_xor_b32_e32 v79, 0x7fffffff, v79
	v_not_b32_e32 v78, v78
	v_lshrrev_b64 v[96:97], s33, v[78:79]
	v_and_b32_e32 v96, s69, v96
	v_mul_u32_u24_e32 v5, 5, v96
	v_add_lshl_u32 v5, v5, v181, 2
	; wave barrier
	v_add_u32_e32 v192, 0x410, v5
	ds_read_b32 v191, v5 offset:1040
	v_and_b32_e32 v5, 1, v96
	v_add_co_u32_e32 v97, vcc, -1, v5
	v_addc_co_u32_e64 v98, s[36:37], 0, -1, vcc
	v_cmp_ne_u32_e32 vcc, 0, v5
	v_xor_b32_e32 v5, vcc_hi, v98
	v_and_b32_e32 v98, exec_hi, v5
	v_lshlrev_b32_e32 v5, 30, v96
	v_xor_b32_e32 v97, vcc_lo, v97
	v_cmp_gt_i64_e32 vcc, 0, v[4:5]
	v_not_b32_e32 v5, v5
	v_ashrrev_i32_e32 v5, 31, v5
	v_and_b32_e32 v97, exec_lo, v97
	v_xor_b32_e32 v99, vcc_hi, v5
	v_xor_b32_e32 v5, vcc_lo, v5
	v_and_b32_e32 v97, v97, v5
	v_lshlrev_b32_e32 v5, 29, v96
	v_cmp_gt_i64_e32 vcc, 0, v[4:5]
	v_not_b32_e32 v5, v5
	v_ashrrev_i32_e32 v5, 31, v5
	v_and_b32_e32 v98, v98, v99
	v_xor_b32_e32 v99, vcc_hi, v5
	v_xor_b32_e32 v5, vcc_lo, v5
	v_and_b32_e32 v97, v97, v5
	v_lshlrev_b32_e32 v5, 28, v96
	v_cmp_gt_i64_e32 vcc, 0, v[4:5]
	v_not_b32_e32 v5, v5
	v_ashrrev_i32_e32 v5, 31, v5
	v_and_b32_e32 v98, v98, v99
	;; [unrolled: 8-line block ×5, first 2 shown]
	v_xor_b32_e32 v99, vcc_hi, v5
	v_xor_b32_e32 v5, vcc_lo, v5
	v_and_b32_e32 v98, v98, v99
	v_and_b32_e32 v99, v97, v5
	v_lshlrev_b32_e32 v5, 24, v96
	v_cmp_gt_i64_e32 vcc, 0, v[4:5]
	v_not_b32_e32 v5, v5
	v_ashrrev_i32_e32 v5, 31, v5
	v_xor_b32_e32 v96, vcc_hi, v5
	v_xor_b32_e32 v5, vcc_lo, v5
	v_and_b32_e32 v97, v98, v96
	v_and_b32_e32 v96, v99, v5
	v_mbcnt_lo_u32_b32 v5, v96, 0
	v_mbcnt_hi_u32_b32 v193, v97, v5
	v_cmp_eq_u32_e32 vcc, 0, v193
	v_cmp_ne_u64_e64 s[36:37], 0, v[96:97]
	s_and_b64 s[38:39], s[36:37], vcc
	; wave barrier
	s_and_saveexec_b64 s[36:37], s[38:39]
	s_cbranch_execz .LBB736_150
; %bb.149:                              ;   in Loop: Header=BB736_106 Depth=2
	v_bcnt_u32_b32 v5, v96, 0
	v_bcnt_u32_b32 v5, v97, v5
	s_waitcnt lgkmcnt(0)
	v_add_u32_e32 v5, v191, v5
	ds_write_b32 v192, v5
.LBB736_150:                            ;   in Loop: Header=BB736_106 Depth=2
	s_or_b64 exec, exec, s[36:37]
	s_waitcnt vmcnt(10)
	v_xor_b32_e32 v83, 0x7fffffff, v83
	v_not_b32_e32 v82, v82
	v_lshrrev_b64 v[96:97], s33, v[82:83]
	v_and_b32_e32 v96, s69, v96
	v_mul_u32_u24_e32 v5, 5, v96
	v_add_lshl_u32 v5, v5, v181, 2
	; wave barrier
	v_add_u32_e32 v195, 0x410, v5
	ds_read_b32 v194, v5 offset:1040
	v_and_b32_e32 v5, 1, v96
	v_add_co_u32_e32 v97, vcc, -1, v5
	v_addc_co_u32_e64 v98, s[36:37], 0, -1, vcc
	v_cmp_ne_u32_e32 vcc, 0, v5
	v_xor_b32_e32 v5, vcc_hi, v98
	v_and_b32_e32 v98, exec_hi, v5
	v_lshlrev_b32_e32 v5, 30, v96
	v_xor_b32_e32 v97, vcc_lo, v97
	v_cmp_gt_i64_e32 vcc, 0, v[4:5]
	v_not_b32_e32 v5, v5
	v_ashrrev_i32_e32 v5, 31, v5
	v_and_b32_e32 v97, exec_lo, v97
	v_xor_b32_e32 v99, vcc_hi, v5
	v_xor_b32_e32 v5, vcc_lo, v5
	v_and_b32_e32 v97, v97, v5
	v_lshlrev_b32_e32 v5, 29, v96
	v_cmp_gt_i64_e32 vcc, 0, v[4:5]
	v_not_b32_e32 v5, v5
	v_ashrrev_i32_e32 v5, 31, v5
	v_and_b32_e32 v98, v98, v99
	v_xor_b32_e32 v99, vcc_hi, v5
	v_xor_b32_e32 v5, vcc_lo, v5
	v_and_b32_e32 v97, v97, v5
	v_lshlrev_b32_e32 v5, 28, v96
	v_cmp_gt_i64_e32 vcc, 0, v[4:5]
	v_not_b32_e32 v5, v5
	v_ashrrev_i32_e32 v5, 31, v5
	v_and_b32_e32 v98, v98, v99
	;; [unrolled: 8-line block ×5, first 2 shown]
	v_xor_b32_e32 v99, vcc_hi, v5
	v_xor_b32_e32 v5, vcc_lo, v5
	v_and_b32_e32 v98, v98, v99
	v_and_b32_e32 v99, v97, v5
	v_lshlrev_b32_e32 v5, 24, v96
	v_cmp_gt_i64_e32 vcc, 0, v[4:5]
	v_not_b32_e32 v5, v5
	v_ashrrev_i32_e32 v5, 31, v5
	v_xor_b32_e32 v96, vcc_hi, v5
	v_xor_b32_e32 v5, vcc_lo, v5
	v_and_b32_e32 v97, v98, v96
	v_and_b32_e32 v96, v99, v5
	v_mbcnt_lo_u32_b32 v5, v96, 0
	v_mbcnt_hi_u32_b32 v196, v97, v5
	v_cmp_eq_u32_e32 vcc, 0, v196
	v_cmp_ne_u64_e64 s[36:37], 0, v[96:97]
	s_and_b64 s[38:39], s[36:37], vcc
	; wave barrier
	s_and_saveexec_b64 s[36:37], s[38:39]
	s_cbranch_execz .LBB736_152
; %bb.151:                              ;   in Loop: Header=BB736_106 Depth=2
	v_bcnt_u32_b32 v5, v96, 0
	v_bcnt_u32_b32 v5, v97, v5
	s_waitcnt lgkmcnt(0)
	v_add_u32_e32 v5, v194, v5
	ds_write_b32 v195, v5
.LBB736_152:                            ;   in Loop: Header=BB736_106 Depth=2
	s_or_b64 exec, exec, s[36:37]
	s_waitcnt vmcnt(9)
	v_xor_b32_e32 v87, 0x7fffffff, v87
	v_not_b32_e32 v86, v86
	v_lshrrev_b64 v[96:97], s33, v[86:87]
	v_and_b32_e32 v96, s69, v96
	v_mul_u32_u24_e32 v5, 5, v96
	v_add_lshl_u32 v5, v5, v181, 2
	; wave barrier
	v_add_u32_e32 v198, 0x410, v5
	ds_read_b32 v197, v5 offset:1040
	v_and_b32_e32 v5, 1, v96
	v_add_co_u32_e32 v97, vcc, -1, v5
	v_addc_co_u32_e64 v98, s[36:37], 0, -1, vcc
	v_cmp_ne_u32_e32 vcc, 0, v5
	v_xor_b32_e32 v5, vcc_hi, v98
	v_and_b32_e32 v98, exec_hi, v5
	v_lshlrev_b32_e32 v5, 30, v96
	v_xor_b32_e32 v97, vcc_lo, v97
	v_cmp_gt_i64_e32 vcc, 0, v[4:5]
	v_not_b32_e32 v5, v5
	v_ashrrev_i32_e32 v5, 31, v5
	v_and_b32_e32 v97, exec_lo, v97
	v_xor_b32_e32 v99, vcc_hi, v5
	v_xor_b32_e32 v5, vcc_lo, v5
	v_and_b32_e32 v97, v97, v5
	v_lshlrev_b32_e32 v5, 29, v96
	v_cmp_gt_i64_e32 vcc, 0, v[4:5]
	v_not_b32_e32 v5, v5
	v_ashrrev_i32_e32 v5, 31, v5
	v_and_b32_e32 v98, v98, v99
	v_xor_b32_e32 v99, vcc_hi, v5
	v_xor_b32_e32 v5, vcc_lo, v5
	v_and_b32_e32 v97, v97, v5
	v_lshlrev_b32_e32 v5, 28, v96
	v_cmp_gt_i64_e32 vcc, 0, v[4:5]
	v_not_b32_e32 v5, v5
	v_ashrrev_i32_e32 v5, 31, v5
	v_and_b32_e32 v98, v98, v99
	;; [unrolled: 8-line block ×5, first 2 shown]
	v_xor_b32_e32 v99, vcc_hi, v5
	v_xor_b32_e32 v5, vcc_lo, v5
	v_and_b32_e32 v98, v98, v99
	v_and_b32_e32 v99, v97, v5
	v_lshlrev_b32_e32 v5, 24, v96
	v_cmp_gt_i64_e32 vcc, 0, v[4:5]
	v_not_b32_e32 v5, v5
	v_ashrrev_i32_e32 v5, 31, v5
	v_xor_b32_e32 v96, vcc_hi, v5
	v_xor_b32_e32 v5, vcc_lo, v5
	v_and_b32_e32 v97, v98, v96
	v_and_b32_e32 v96, v99, v5
	v_mbcnt_lo_u32_b32 v5, v96, 0
	v_mbcnt_hi_u32_b32 v199, v97, v5
	v_cmp_eq_u32_e32 vcc, 0, v199
	v_cmp_ne_u64_e64 s[36:37], 0, v[96:97]
	s_and_b64 s[38:39], s[36:37], vcc
	; wave barrier
	s_and_saveexec_b64 s[36:37], s[38:39]
	s_cbranch_execz .LBB736_154
; %bb.153:                              ;   in Loop: Header=BB736_106 Depth=2
	v_bcnt_u32_b32 v5, v96, 0
	v_bcnt_u32_b32 v5, v97, v5
	s_waitcnt lgkmcnt(0)
	v_add_u32_e32 v5, v197, v5
	ds_write_b32 v198, v5
.LBB736_154:                            ;   in Loop: Header=BB736_106 Depth=2
	s_or_b64 exec, exec, s[36:37]
	s_waitcnt vmcnt(8)
	v_xor_b32_e32 v91, 0x7fffffff, v91
	v_not_b32_e32 v90, v90
	v_lshrrev_b64 v[96:97], s33, v[90:91]
	v_and_b32_e32 v96, s69, v96
	v_mul_u32_u24_e32 v5, 5, v96
	v_add_lshl_u32 v5, v5, v181, 2
	; wave barrier
	v_add_u32_e32 v201, 0x410, v5
	ds_read_b32 v200, v5 offset:1040
	v_and_b32_e32 v5, 1, v96
	v_add_co_u32_e32 v97, vcc, -1, v5
	v_addc_co_u32_e64 v98, s[36:37], 0, -1, vcc
	v_cmp_ne_u32_e32 vcc, 0, v5
	v_xor_b32_e32 v5, vcc_hi, v98
	v_and_b32_e32 v98, exec_hi, v5
	v_lshlrev_b32_e32 v5, 30, v96
	v_xor_b32_e32 v97, vcc_lo, v97
	v_cmp_gt_i64_e32 vcc, 0, v[4:5]
	v_not_b32_e32 v5, v5
	v_ashrrev_i32_e32 v5, 31, v5
	v_and_b32_e32 v97, exec_lo, v97
	v_xor_b32_e32 v99, vcc_hi, v5
	v_xor_b32_e32 v5, vcc_lo, v5
	v_and_b32_e32 v97, v97, v5
	v_lshlrev_b32_e32 v5, 29, v96
	v_cmp_gt_i64_e32 vcc, 0, v[4:5]
	v_not_b32_e32 v5, v5
	v_ashrrev_i32_e32 v5, 31, v5
	v_and_b32_e32 v98, v98, v99
	v_xor_b32_e32 v99, vcc_hi, v5
	v_xor_b32_e32 v5, vcc_lo, v5
	v_and_b32_e32 v97, v97, v5
	v_lshlrev_b32_e32 v5, 28, v96
	v_cmp_gt_i64_e32 vcc, 0, v[4:5]
	v_not_b32_e32 v5, v5
	v_ashrrev_i32_e32 v5, 31, v5
	v_and_b32_e32 v98, v98, v99
	;; [unrolled: 8-line block ×5, first 2 shown]
	v_xor_b32_e32 v99, vcc_hi, v5
	v_xor_b32_e32 v5, vcc_lo, v5
	v_and_b32_e32 v98, v98, v99
	v_and_b32_e32 v99, v97, v5
	v_lshlrev_b32_e32 v5, 24, v96
	v_cmp_gt_i64_e32 vcc, 0, v[4:5]
	v_not_b32_e32 v5, v5
	v_ashrrev_i32_e32 v5, 31, v5
	v_xor_b32_e32 v96, vcc_hi, v5
	v_xor_b32_e32 v5, vcc_lo, v5
	v_and_b32_e32 v97, v98, v96
	v_and_b32_e32 v96, v99, v5
	v_mbcnt_lo_u32_b32 v5, v96, 0
	v_mbcnt_hi_u32_b32 v202, v97, v5
	v_cmp_eq_u32_e32 vcc, 0, v202
	v_cmp_ne_u64_e64 s[36:37], 0, v[96:97]
	s_and_b64 s[38:39], s[36:37], vcc
	; wave barrier
	s_and_saveexec_b64 s[36:37], s[38:39]
	s_cbranch_execz .LBB736_156
; %bb.155:                              ;   in Loop: Header=BB736_106 Depth=2
	v_bcnt_u32_b32 v5, v96, 0
	v_bcnt_u32_b32 v5, v97, v5
	s_waitcnt lgkmcnt(0)
	v_add_u32_e32 v5, v200, v5
	ds_write_b32 v201, v5
.LBB736_156:                            ;   in Loop: Header=BB736_106 Depth=2
	s_or_b64 exec, exec, s[36:37]
	s_waitcnt vmcnt(7)
	v_xor_b32_e32 v95, 0x7fffffff, v95
	v_not_b32_e32 v94, v94
	v_lshrrev_b64 v[96:97], s33, v[94:95]
	v_and_b32_e32 v96, s69, v96
	v_mul_u32_u24_e32 v5, 5, v96
	v_add_lshl_u32 v5, v5, v181, 2
	; wave barrier
	v_add_u32_e32 v204, 0x410, v5
	ds_read_b32 v203, v5 offset:1040
	v_and_b32_e32 v5, 1, v96
	v_add_co_u32_e32 v97, vcc, -1, v5
	v_addc_co_u32_e64 v98, s[36:37], 0, -1, vcc
	v_cmp_ne_u32_e32 vcc, 0, v5
	v_xor_b32_e32 v5, vcc_hi, v98
	v_and_b32_e32 v98, exec_hi, v5
	v_lshlrev_b32_e32 v5, 30, v96
	v_xor_b32_e32 v97, vcc_lo, v97
	v_cmp_gt_i64_e32 vcc, 0, v[4:5]
	v_not_b32_e32 v5, v5
	v_ashrrev_i32_e32 v5, 31, v5
	v_and_b32_e32 v97, exec_lo, v97
	v_xor_b32_e32 v99, vcc_hi, v5
	v_xor_b32_e32 v5, vcc_lo, v5
	v_and_b32_e32 v97, v97, v5
	v_lshlrev_b32_e32 v5, 29, v96
	v_cmp_gt_i64_e32 vcc, 0, v[4:5]
	v_not_b32_e32 v5, v5
	v_ashrrev_i32_e32 v5, 31, v5
	v_and_b32_e32 v98, v98, v99
	v_xor_b32_e32 v99, vcc_hi, v5
	v_xor_b32_e32 v5, vcc_lo, v5
	v_and_b32_e32 v97, v97, v5
	v_lshlrev_b32_e32 v5, 28, v96
	v_cmp_gt_i64_e32 vcc, 0, v[4:5]
	v_not_b32_e32 v5, v5
	v_ashrrev_i32_e32 v5, 31, v5
	v_and_b32_e32 v98, v98, v99
	;; [unrolled: 8-line block ×5, first 2 shown]
	v_xor_b32_e32 v99, vcc_hi, v5
	v_xor_b32_e32 v5, vcc_lo, v5
	v_and_b32_e32 v98, v98, v99
	v_and_b32_e32 v99, v97, v5
	v_lshlrev_b32_e32 v5, 24, v96
	v_cmp_gt_i64_e32 vcc, 0, v[4:5]
	v_not_b32_e32 v5, v5
	v_ashrrev_i32_e32 v5, 31, v5
	v_xor_b32_e32 v96, vcc_hi, v5
	v_xor_b32_e32 v5, vcc_lo, v5
	v_and_b32_e32 v97, v98, v96
	v_and_b32_e32 v96, v99, v5
	v_mbcnt_lo_u32_b32 v5, v96, 0
	v_mbcnt_hi_u32_b32 v205, v97, v5
	v_cmp_eq_u32_e32 vcc, 0, v205
	v_cmp_ne_u64_e64 s[36:37], 0, v[96:97]
	s_and_b64 s[38:39], s[36:37], vcc
	; wave barrier
	s_and_saveexec_b64 s[36:37], s[38:39]
	s_cbranch_execz .LBB736_158
; %bb.157:                              ;   in Loop: Header=BB736_106 Depth=2
	v_bcnt_u32_b32 v5, v96, 0
	v_bcnt_u32_b32 v5, v97, v5
	s_waitcnt lgkmcnt(0)
	v_add_u32_e32 v5, v203, v5
	ds_write_b32 v204, v5
.LBB736_158:                            ;   in Loop: Header=BB736_106 Depth=2
	s_or_b64 exec, exec, s[36:37]
	s_waitcnt vmcnt(6)
	v_xor_b32_e32 v93, 0x7fffffff, v93
	v_not_b32_e32 v92, v92
	v_lshrrev_b64 v[96:97], s33, v[92:93]
	v_and_b32_e32 v96, s69, v96
	v_mul_u32_u24_e32 v5, 5, v96
	v_add_lshl_u32 v5, v5, v181, 2
	; wave barrier
	v_add_u32_e32 v207, 0x410, v5
	ds_read_b32 v206, v5 offset:1040
	v_and_b32_e32 v5, 1, v96
	v_add_co_u32_e32 v97, vcc, -1, v5
	v_addc_co_u32_e64 v98, s[36:37], 0, -1, vcc
	v_cmp_ne_u32_e32 vcc, 0, v5
	v_xor_b32_e32 v5, vcc_hi, v98
	v_and_b32_e32 v98, exec_hi, v5
	v_lshlrev_b32_e32 v5, 30, v96
	v_xor_b32_e32 v97, vcc_lo, v97
	v_cmp_gt_i64_e32 vcc, 0, v[4:5]
	v_not_b32_e32 v5, v5
	v_ashrrev_i32_e32 v5, 31, v5
	v_and_b32_e32 v97, exec_lo, v97
	v_xor_b32_e32 v99, vcc_hi, v5
	v_xor_b32_e32 v5, vcc_lo, v5
	v_and_b32_e32 v97, v97, v5
	v_lshlrev_b32_e32 v5, 29, v96
	v_cmp_gt_i64_e32 vcc, 0, v[4:5]
	v_not_b32_e32 v5, v5
	v_ashrrev_i32_e32 v5, 31, v5
	v_and_b32_e32 v98, v98, v99
	v_xor_b32_e32 v99, vcc_hi, v5
	v_xor_b32_e32 v5, vcc_lo, v5
	v_and_b32_e32 v97, v97, v5
	v_lshlrev_b32_e32 v5, 28, v96
	v_cmp_gt_i64_e32 vcc, 0, v[4:5]
	v_not_b32_e32 v5, v5
	v_ashrrev_i32_e32 v5, 31, v5
	v_and_b32_e32 v98, v98, v99
	;; [unrolled: 8-line block ×5, first 2 shown]
	v_xor_b32_e32 v99, vcc_hi, v5
	v_xor_b32_e32 v5, vcc_lo, v5
	v_and_b32_e32 v98, v98, v99
	v_and_b32_e32 v99, v97, v5
	v_lshlrev_b32_e32 v5, 24, v96
	v_cmp_gt_i64_e32 vcc, 0, v[4:5]
	v_not_b32_e32 v5, v5
	v_ashrrev_i32_e32 v5, 31, v5
	v_xor_b32_e32 v96, vcc_hi, v5
	v_xor_b32_e32 v5, vcc_lo, v5
	v_and_b32_e32 v97, v98, v96
	v_and_b32_e32 v96, v99, v5
	v_mbcnt_lo_u32_b32 v5, v96, 0
	v_mbcnt_hi_u32_b32 v208, v97, v5
	v_cmp_eq_u32_e32 vcc, 0, v208
	v_cmp_ne_u64_e64 s[36:37], 0, v[96:97]
	s_and_b64 s[38:39], s[36:37], vcc
	; wave barrier
	s_and_saveexec_b64 s[36:37], s[38:39]
	s_cbranch_execz .LBB736_160
; %bb.159:                              ;   in Loop: Header=BB736_106 Depth=2
	v_bcnt_u32_b32 v5, v96, 0
	v_bcnt_u32_b32 v5, v97, v5
	s_waitcnt lgkmcnt(0)
	v_add_u32_e32 v5, v206, v5
	ds_write_b32 v207, v5
.LBB736_160:                            ;   in Loop: Header=BB736_106 Depth=2
	s_or_b64 exec, exec, s[36:37]
	s_waitcnt vmcnt(5)
	v_xor_b32_e32 v89, 0x7fffffff, v89
	v_not_b32_e32 v88, v88
	v_lshrrev_b64 v[96:97], s33, v[88:89]
	v_and_b32_e32 v96, s69, v96
	v_mul_u32_u24_e32 v5, 5, v96
	v_add_lshl_u32 v5, v5, v181, 2
	; wave barrier
	v_add_u32_e32 v210, 0x410, v5
	ds_read_b32 v209, v5 offset:1040
	v_and_b32_e32 v5, 1, v96
	v_add_co_u32_e32 v97, vcc, -1, v5
	v_addc_co_u32_e64 v98, s[36:37], 0, -1, vcc
	v_cmp_ne_u32_e32 vcc, 0, v5
	v_xor_b32_e32 v5, vcc_hi, v98
	v_and_b32_e32 v98, exec_hi, v5
	v_lshlrev_b32_e32 v5, 30, v96
	v_xor_b32_e32 v97, vcc_lo, v97
	v_cmp_gt_i64_e32 vcc, 0, v[4:5]
	v_not_b32_e32 v5, v5
	v_ashrrev_i32_e32 v5, 31, v5
	v_and_b32_e32 v97, exec_lo, v97
	v_xor_b32_e32 v99, vcc_hi, v5
	v_xor_b32_e32 v5, vcc_lo, v5
	v_and_b32_e32 v97, v97, v5
	v_lshlrev_b32_e32 v5, 29, v96
	v_cmp_gt_i64_e32 vcc, 0, v[4:5]
	v_not_b32_e32 v5, v5
	v_ashrrev_i32_e32 v5, 31, v5
	v_and_b32_e32 v98, v98, v99
	v_xor_b32_e32 v99, vcc_hi, v5
	v_xor_b32_e32 v5, vcc_lo, v5
	v_and_b32_e32 v97, v97, v5
	v_lshlrev_b32_e32 v5, 28, v96
	v_cmp_gt_i64_e32 vcc, 0, v[4:5]
	v_not_b32_e32 v5, v5
	v_ashrrev_i32_e32 v5, 31, v5
	v_and_b32_e32 v98, v98, v99
	;; [unrolled: 8-line block ×5, first 2 shown]
	v_xor_b32_e32 v99, vcc_hi, v5
	v_xor_b32_e32 v5, vcc_lo, v5
	v_and_b32_e32 v98, v98, v99
	v_and_b32_e32 v99, v97, v5
	v_lshlrev_b32_e32 v5, 24, v96
	v_cmp_gt_i64_e32 vcc, 0, v[4:5]
	v_not_b32_e32 v5, v5
	v_ashrrev_i32_e32 v5, 31, v5
	v_xor_b32_e32 v96, vcc_hi, v5
	v_xor_b32_e32 v5, vcc_lo, v5
	v_and_b32_e32 v97, v98, v96
	v_and_b32_e32 v96, v99, v5
	v_mbcnt_lo_u32_b32 v5, v96, 0
	v_mbcnt_hi_u32_b32 v211, v97, v5
	v_cmp_eq_u32_e32 vcc, 0, v211
	v_cmp_ne_u64_e64 s[36:37], 0, v[96:97]
	s_and_b64 s[38:39], s[36:37], vcc
	; wave barrier
	s_and_saveexec_b64 s[36:37], s[38:39]
	s_cbranch_execz .LBB736_162
; %bb.161:                              ;   in Loop: Header=BB736_106 Depth=2
	v_bcnt_u32_b32 v5, v96, 0
	v_bcnt_u32_b32 v5, v97, v5
	s_waitcnt lgkmcnt(0)
	v_add_u32_e32 v5, v209, v5
	ds_write_b32 v210, v5
.LBB736_162:                            ;   in Loop: Header=BB736_106 Depth=2
	s_or_b64 exec, exec, s[36:37]
	s_waitcnt vmcnt(4)
	v_xor_b32_e32 v85, 0x7fffffff, v85
	v_not_b32_e32 v84, v84
	v_lshrrev_b64 v[96:97], s33, v[84:85]
	v_and_b32_e32 v96, s69, v96
	v_mul_u32_u24_e32 v5, 5, v96
	v_add_lshl_u32 v5, v5, v181, 2
	; wave barrier
	v_add_u32_e32 v213, 0x410, v5
	ds_read_b32 v212, v5 offset:1040
	v_and_b32_e32 v5, 1, v96
	v_add_co_u32_e32 v97, vcc, -1, v5
	v_addc_co_u32_e64 v98, s[36:37], 0, -1, vcc
	v_cmp_ne_u32_e32 vcc, 0, v5
	v_xor_b32_e32 v5, vcc_hi, v98
	v_and_b32_e32 v98, exec_hi, v5
	v_lshlrev_b32_e32 v5, 30, v96
	v_xor_b32_e32 v97, vcc_lo, v97
	v_cmp_gt_i64_e32 vcc, 0, v[4:5]
	v_not_b32_e32 v5, v5
	v_ashrrev_i32_e32 v5, 31, v5
	v_and_b32_e32 v97, exec_lo, v97
	v_xor_b32_e32 v99, vcc_hi, v5
	v_xor_b32_e32 v5, vcc_lo, v5
	v_and_b32_e32 v97, v97, v5
	v_lshlrev_b32_e32 v5, 29, v96
	v_cmp_gt_i64_e32 vcc, 0, v[4:5]
	v_not_b32_e32 v5, v5
	v_ashrrev_i32_e32 v5, 31, v5
	v_and_b32_e32 v98, v98, v99
	v_xor_b32_e32 v99, vcc_hi, v5
	v_xor_b32_e32 v5, vcc_lo, v5
	v_and_b32_e32 v97, v97, v5
	v_lshlrev_b32_e32 v5, 28, v96
	v_cmp_gt_i64_e32 vcc, 0, v[4:5]
	v_not_b32_e32 v5, v5
	v_ashrrev_i32_e32 v5, 31, v5
	v_and_b32_e32 v98, v98, v99
	;; [unrolled: 8-line block ×5, first 2 shown]
	v_xor_b32_e32 v99, vcc_hi, v5
	v_xor_b32_e32 v5, vcc_lo, v5
	v_and_b32_e32 v98, v98, v99
	v_and_b32_e32 v99, v97, v5
	v_lshlrev_b32_e32 v5, 24, v96
	v_cmp_gt_i64_e32 vcc, 0, v[4:5]
	v_not_b32_e32 v5, v5
	v_ashrrev_i32_e32 v5, 31, v5
	v_xor_b32_e32 v96, vcc_hi, v5
	v_xor_b32_e32 v5, vcc_lo, v5
	v_and_b32_e32 v97, v98, v96
	v_and_b32_e32 v96, v99, v5
	v_mbcnt_lo_u32_b32 v5, v96, 0
	v_mbcnt_hi_u32_b32 v214, v97, v5
	v_cmp_eq_u32_e32 vcc, 0, v214
	v_cmp_ne_u64_e64 s[36:37], 0, v[96:97]
	s_and_b64 s[38:39], s[36:37], vcc
	; wave barrier
	s_and_saveexec_b64 s[36:37], s[38:39]
	s_cbranch_execz .LBB736_164
; %bb.163:                              ;   in Loop: Header=BB736_106 Depth=2
	v_bcnt_u32_b32 v5, v96, 0
	v_bcnt_u32_b32 v5, v97, v5
	s_waitcnt lgkmcnt(0)
	v_add_u32_e32 v5, v212, v5
	ds_write_b32 v213, v5
.LBB736_164:                            ;   in Loop: Header=BB736_106 Depth=2
	s_or_b64 exec, exec, s[36:37]
	s_waitcnt vmcnt(3)
	v_xor_b32_e32 v81, 0x7fffffff, v81
	v_not_b32_e32 v80, v80
	v_lshrrev_b64 v[96:97], s33, v[80:81]
	v_and_b32_e32 v96, s69, v96
	v_mul_u32_u24_e32 v5, 5, v96
	v_add_lshl_u32 v5, v5, v181, 2
	; wave barrier
	v_add_u32_e32 v216, 0x410, v5
	ds_read_b32 v215, v5 offset:1040
	v_and_b32_e32 v5, 1, v96
	v_add_co_u32_e32 v97, vcc, -1, v5
	v_addc_co_u32_e64 v98, s[36:37], 0, -1, vcc
	v_cmp_ne_u32_e32 vcc, 0, v5
	v_xor_b32_e32 v5, vcc_hi, v98
	v_and_b32_e32 v98, exec_hi, v5
	v_lshlrev_b32_e32 v5, 30, v96
	v_xor_b32_e32 v97, vcc_lo, v97
	v_cmp_gt_i64_e32 vcc, 0, v[4:5]
	v_not_b32_e32 v5, v5
	v_ashrrev_i32_e32 v5, 31, v5
	v_and_b32_e32 v97, exec_lo, v97
	v_xor_b32_e32 v99, vcc_hi, v5
	v_xor_b32_e32 v5, vcc_lo, v5
	v_and_b32_e32 v97, v97, v5
	v_lshlrev_b32_e32 v5, 29, v96
	v_cmp_gt_i64_e32 vcc, 0, v[4:5]
	v_not_b32_e32 v5, v5
	v_ashrrev_i32_e32 v5, 31, v5
	v_and_b32_e32 v98, v98, v99
	v_xor_b32_e32 v99, vcc_hi, v5
	v_xor_b32_e32 v5, vcc_lo, v5
	v_and_b32_e32 v97, v97, v5
	v_lshlrev_b32_e32 v5, 28, v96
	v_cmp_gt_i64_e32 vcc, 0, v[4:5]
	v_not_b32_e32 v5, v5
	v_ashrrev_i32_e32 v5, 31, v5
	v_and_b32_e32 v98, v98, v99
	;; [unrolled: 8-line block ×5, first 2 shown]
	v_xor_b32_e32 v99, vcc_hi, v5
	v_xor_b32_e32 v5, vcc_lo, v5
	v_and_b32_e32 v98, v98, v99
	v_and_b32_e32 v99, v97, v5
	v_lshlrev_b32_e32 v5, 24, v96
	v_cmp_gt_i64_e32 vcc, 0, v[4:5]
	v_not_b32_e32 v5, v5
	v_ashrrev_i32_e32 v5, 31, v5
	v_xor_b32_e32 v96, vcc_hi, v5
	v_xor_b32_e32 v5, vcc_lo, v5
	v_and_b32_e32 v97, v98, v96
	v_and_b32_e32 v96, v99, v5
	v_mbcnt_lo_u32_b32 v5, v96, 0
	v_mbcnt_hi_u32_b32 v217, v97, v5
	v_cmp_eq_u32_e32 vcc, 0, v217
	v_cmp_ne_u64_e64 s[36:37], 0, v[96:97]
	s_and_b64 s[38:39], s[36:37], vcc
	; wave barrier
	s_and_saveexec_b64 s[36:37], s[38:39]
	s_cbranch_execz .LBB736_166
; %bb.165:                              ;   in Loop: Header=BB736_106 Depth=2
	v_bcnt_u32_b32 v5, v96, 0
	v_bcnt_u32_b32 v5, v97, v5
	s_waitcnt lgkmcnt(0)
	v_add_u32_e32 v5, v215, v5
	ds_write_b32 v216, v5
.LBB736_166:                            ;   in Loop: Header=BB736_106 Depth=2
	s_or_b64 exec, exec, s[36:37]
	s_waitcnt vmcnt(2)
	v_xor_b32_e32 v77, 0x7fffffff, v77
	v_not_b32_e32 v76, v76
	v_lshrrev_b64 v[96:97], s33, v[76:77]
	v_and_b32_e32 v96, s69, v96
	v_mul_u32_u24_e32 v5, 5, v96
	v_add_lshl_u32 v5, v5, v181, 2
	; wave barrier
	v_add_u32_e32 v219, 0x410, v5
	ds_read_b32 v218, v5 offset:1040
	v_and_b32_e32 v5, 1, v96
	v_add_co_u32_e32 v97, vcc, -1, v5
	v_addc_co_u32_e64 v98, s[36:37], 0, -1, vcc
	v_cmp_ne_u32_e32 vcc, 0, v5
	v_xor_b32_e32 v5, vcc_hi, v98
	v_and_b32_e32 v98, exec_hi, v5
	v_lshlrev_b32_e32 v5, 30, v96
	v_xor_b32_e32 v97, vcc_lo, v97
	v_cmp_gt_i64_e32 vcc, 0, v[4:5]
	v_not_b32_e32 v5, v5
	v_ashrrev_i32_e32 v5, 31, v5
	v_and_b32_e32 v97, exec_lo, v97
	v_xor_b32_e32 v99, vcc_hi, v5
	v_xor_b32_e32 v5, vcc_lo, v5
	v_and_b32_e32 v97, v97, v5
	v_lshlrev_b32_e32 v5, 29, v96
	v_cmp_gt_i64_e32 vcc, 0, v[4:5]
	v_not_b32_e32 v5, v5
	v_ashrrev_i32_e32 v5, 31, v5
	v_and_b32_e32 v98, v98, v99
	v_xor_b32_e32 v99, vcc_hi, v5
	v_xor_b32_e32 v5, vcc_lo, v5
	v_and_b32_e32 v97, v97, v5
	v_lshlrev_b32_e32 v5, 28, v96
	v_cmp_gt_i64_e32 vcc, 0, v[4:5]
	v_not_b32_e32 v5, v5
	v_ashrrev_i32_e32 v5, 31, v5
	v_and_b32_e32 v98, v98, v99
	;; [unrolled: 8-line block ×5, first 2 shown]
	v_xor_b32_e32 v99, vcc_hi, v5
	v_xor_b32_e32 v5, vcc_lo, v5
	v_and_b32_e32 v98, v98, v99
	v_and_b32_e32 v99, v97, v5
	v_lshlrev_b32_e32 v5, 24, v96
	v_cmp_gt_i64_e32 vcc, 0, v[4:5]
	v_not_b32_e32 v5, v5
	v_ashrrev_i32_e32 v5, 31, v5
	v_xor_b32_e32 v96, vcc_hi, v5
	v_xor_b32_e32 v5, vcc_lo, v5
	v_and_b32_e32 v97, v98, v96
	v_and_b32_e32 v96, v99, v5
	v_mbcnt_lo_u32_b32 v5, v96, 0
	v_mbcnt_hi_u32_b32 v220, v97, v5
	v_cmp_eq_u32_e32 vcc, 0, v220
	v_cmp_ne_u64_e64 s[36:37], 0, v[96:97]
	s_and_b64 s[38:39], s[36:37], vcc
	; wave barrier
	s_and_saveexec_b64 s[36:37], s[38:39]
	s_cbranch_execz .LBB736_168
; %bb.167:                              ;   in Loop: Header=BB736_106 Depth=2
	v_bcnt_u32_b32 v5, v96, 0
	v_bcnt_u32_b32 v5, v97, v5
	s_waitcnt lgkmcnt(0)
	v_add_u32_e32 v5, v218, v5
	ds_write_b32 v219, v5
.LBB736_168:                            ;   in Loop: Header=BB736_106 Depth=2
	s_or_b64 exec, exec, s[36:37]
	s_waitcnt vmcnt(1)
	v_xor_b32_e32 v73, 0x7fffffff, v73
	v_not_b32_e32 v72, v72
	v_lshrrev_b64 v[96:97], s33, v[72:73]
	v_and_b32_e32 v96, s69, v96
	v_mul_u32_u24_e32 v5, 5, v96
	v_add_lshl_u32 v5, v5, v181, 2
	; wave barrier
	v_add_u32_e32 v222, 0x410, v5
	ds_read_b32 v221, v5 offset:1040
	v_and_b32_e32 v5, 1, v96
	v_add_co_u32_e32 v97, vcc, -1, v5
	v_addc_co_u32_e64 v98, s[36:37], 0, -1, vcc
	v_cmp_ne_u32_e32 vcc, 0, v5
	v_xor_b32_e32 v5, vcc_hi, v98
	v_and_b32_e32 v98, exec_hi, v5
	v_lshlrev_b32_e32 v5, 30, v96
	v_xor_b32_e32 v97, vcc_lo, v97
	v_cmp_gt_i64_e32 vcc, 0, v[4:5]
	v_not_b32_e32 v5, v5
	v_ashrrev_i32_e32 v5, 31, v5
	v_and_b32_e32 v97, exec_lo, v97
	v_xor_b32_e32 v99, vcc_hi, v5
	v_xor_b32_e32 v5, vcc_lo, v5
	v_and_b32_e32 v97, v97, v5
	v_lshlrev_b32_e32 v5, 29, v96
	v_cmp_gt_i64_e32 vcc, 0, v[4:5]
	v_not_b32_e32 v5, v5
	v_ashrrev_i32_e32 v5, 31, v5
	v_and_b32_e32 v98, v98, v99
	v_xor_b32_e32 v99, vcc_hi, v5
	v_xor_b32_e32 v5, vcc_lo, v5
	v_and_b32_e32 v97, v97, v5
	v_lshlrev_b32_e32 v5, 28, v96
	v_cmp_gt_i64_e32 vcc, 0, v[4:5]
	v_not_b32_e32 v5, v5
	v_ashrrev_i32_e32 v5, 31, v5
	v_and_b32_e32 v98, v98, v99
	;; [unrolled: 8-line block ×5, first 2 shown]
	v_xor_b32_e32 v99, vcc_hi, v5
	v_xor_b32_e32 v5, vcc_lo, v5
	v_and_b32_e32 v98, v98, v99
	v_and_b32_e32 v99, v97, v5
	v_lshlrev_b32_e32 v5, 24, v96
	v_cmp_gt_i64_e32 vcc, 0, v[4:5]
	v_not_b32_e32 v5, v5
	v_ashrrev_i32_e32 v5, 31, v5
	v_xor_b32_e32 v96, vcc_hi, v5
	v_xor_b32_e32 v5, vcc_lo, v5
	v_and_b32_e32 v97, v98, v96
	v_and_b32_e32 v96, v99, v5
	v_mbcnt_lo_u32_b32 v5, v96, 0
	v_mbcnt_hi_u32_b32 v223, v97, v5
	v_cmp_eq_u32_e32 vcc, 0, v223
	v_cmp_ne_u64_e64 s[36:37], 0, v[96:97]
	s_and_b64 s[38:39], s[36:37], vcc
	; wave barrier
	s_and_saveexec_b64 s[36:37], s[38:39]
	s_cbranch_execz .LBB736_170
; %bb.169:                              ;   in Loop: Header=BB736_106 Depth=2
	v_bcnt_u32_b32 v5, v96, 0
	v_bcnt_u32_b32 v5, v97, v5
	s_waitcnt lgkmcnt(0)
	v_add_u32_e32 v5, v221, v5
	ds_write_b32 v222, v5
.LBB736_170:                            ;   in Loop: Header=BB736_106 Depth=2
	s_or_b64 exec, exec, s[36:37]
	s_waitcnt vmcnt(0)
	v_xor_b32_e32 v69, 0x7fffffff, v69
	v_not_b32_e32 v68, v68
	v_lshrrev_b64 v[96:97], s33, v[68:69]
	v_and_b32_e32 v96, s69, v96
	v_mul_u32_u24_e32 v5, 5, v96
	v_add_lshl_u32 v5, v5, v181, 2
	; wave barrier
	v_add_u32_e32 v225, 0x410, v5
	ds_read_b32 v224, v5 offset:1040
	v_and_b32_e32 v5, 1, v96
	v_add_co_u32_e32 v97, vcc, -1, v5
	v_addc_co_u32_e64 v98, s[36:37], 0, -1, vcc
	v_cmp_ne_u32_e32 vcc, 0, v5
	v_xor_b32_e32 v5, vcc_hi, v98
	v_and_b32_e32 v98, exec_hi, v5
	v_lshlrev_b32_e32 v5, 30, v96
	v_xor_b32_e32 v97, vcc_lo, v97
	v_cmp_gt_i64_e32 vcc, 0, v[4:5]
	v_not_b32_e32 v5, v5
	v_ashrrev_i32_e32 v5, 31, v5
	v_and_b32_e32 v97, exec_lo, v97
	v_xor_b32_e32 v99, vcc_hi, v5
	v_xor_b32_e32 v5, vcc_lo, v5
	v_and_b32_e32 v97, v97, v5
	v_lshlrev_b32_e32 v5, 29, v96
	v_cmp_gt_i64_e32 vcc, 0, v[4:5]
	v_not_b32_e32 v5, v5
	v_ashrrev_i32_e32 v5, 31, v5
	v_and_b32_e32 v98, v98, v99
	v_xor_b32_e32 v99, vcc_hi, v5
	v_xor_b32_e32 v5, vcc_lo, v5
	v_and_b32_e32 v97, v97, v5
	v_lshlrev_b32_e32 v5, 28, v96
	v_cmp_gt_i64_e32 vcc, 0, v[4:5]
	v_not_b32_e32 v5, v5
	v_ashrrev_i32_e32 v5, 31, v5
	v_and_b32_e32 v98, v98, v99
	;; [unrolled: 8-line block ×5, first 2 shown]
	v_xor_b32_e32 v99, vcc_hi, v5
	v_xor_b32_e32 v5, vcc_lo, v5
	v_and_b32_e32 v98, v98, v99
	v_and_b32_e32 v99, v97, v5
	v_lshlrev_b32_e32 v5, 24, v96
	v_cmp_gt_i64_e32 vcc, 0, v[4:5]
	v_not_b32_e32 v5, v5
	v_ashrrev_i32_e32 v5, 31, v5
	v_xor_b32_e32 v96, vcc_hi, v5
	v_xor_b32_e32 v5, vcc_lo, v5
	v_and_b32_e32 v97, v98, v96
	v_and_b32_e32 v96, v99, v5
	v_mbcnt_lo_u32_b32 v5, v96, 0
	v_mbcnt_hi_u32_b32 v226, v97, v5
	v_cmp_eq_u32_e32 vcc, 0, v226
	v_cmp_ne_u64_e64 s[36:37], 0, v[96:97]
	s_and_b64 s[38:39], s[36:37], vcc
	; wave barrier
	s_and_saveexec_b64 s[36:37], s[38:39]
	s_cbranch_execz .LBB736_172
; %bb.171:                              ;   in Loop: Header=BB736_106 Depth=2
	v_bcnt_u32_b32 v5, v96, 0
	v_bcnt_u32_b32 v5, v97, v5
	s_waitcnt lgkmcnt(0)
	v_add_u32_e32 v5, v224, v5
	ds_write_b32 v225, v5
.LBB736_172:                            ;   in Loop: Header=BB736_106 Depth=2
	s_or_b64 exec, exec, s[36:37]
	v_xor_b32_e32 v71, 0x7fffffff, v71
	v_not_b32_e32 v70, v70
	v_lshrrev_b64 v[96:97], s33, v[70:71]
	v_and_b32_e32 v96, s69, v96
	v_mul_u32_u24_e32 v5, 5, v96
	v_add_lshl_u32 v5, v5, v181, 2
	; wave barrier
	v_add_u32_e32 v228, 0x410, v5
	ds_read_b32 v227, v5 offset:1040
	v_and_b32_e32 v5, 1, v96
	v_add_co_u32_e32 v97, vcc, -1, v5
	v_addc_co_u32_e64 v98, s[36:37], 0, -1, vcc
	v_cmp_ne_u32_e32 vcc, 0, v5
	v_xor_b32_e32 v5, vcc_hi, v98
	v_and_b32_e32 v98, exec_hi, v5
	v_lshlrev_b32_e32 v5, 30, v96
	v_xor_b32_e32 v97, vcc_lo, v97
	v_cmp_gt_i64_e32 vcc, 0, v[4:5]
	v_not_b32_e32 v5, v5
	v_ashrrev_i32_e32 v5, 31, v5
	v_and_b32_e32 v97, exec_lo, v97
	v_xor_b32_e32 v99, vcc_hi, v5
	v_xor_b32_e32 v5, vcc_lo, v5
	v_and_b32_e32 v97, v97, v5
	v_lshlrev_b32_e32 v5, 29, v96
	v_cmp_gt_i64_e32 vcc, 0, v[4:5]
	v_not_b32_e32 v5, v5
	v_ashrrev_i32_e32 v5, 31, v5
	v_and_b32_e32 v98, v98, v99
	v_xor_b32_e32 v99, vcc_hi, v5
	v_xor_b32_e32 v5, vcc_lo, v5
	v_and_b32_e32 v97, v97, v5
	v_lshlrev_b32_e32 v5, 28, v96
	v_cmp_gt_i64_e32 vcc, 0, v[4:5]
	v_not_b32_e32 v5, v5
	v_ashrrev_i32_e32 v5, 31, v5
	v_and_b32_e32 v98, v98, v99
	;; [unrolled: 8-line block ×5, first 2 shown]
	v_xor_b32_e32 v99, vcc_hi, v5
	v_xor_b32_e32 v5, vcc_lo, v5
	v_and_b32_e32 v98, v98, v99
	v_and_b32_e32 v99, v97, v5
	v_lshlrev_b32_e32 v5, 24, v96
	v_cmp_gt_i64_e32 vcc, 0, v[4:5]
	v_not_b32_e32 v5, v5
	v_ashrrev_i32_e32 v5, 31, v5
	v_xor_b32_e32 v96, vcc_hi, v5
	v_xor_b32_e32 v5, vcc_lo, v5
	v_and_b32_e32 v97, v98, v96
	v_and_b32_e32 v96, v99, v5
	v_mbcnt_lo_u32_b32 v5, v96, 0
	v_mbcnt_hi_u32_b32 v229, v97, v5
	v_cmp_eq_u32_e32 vcc, 0, v229
	v_cmp_ne_u64_e64 s[36:37], 0, v[96:97]
	s_and_b64 s[38:39], s[36:37], vcc
	; wave barrier
	s_and_saveexec_b64 s[36:37], s[38:39]
	s_cbranch_execz .LBB736_174
; %bb.173:                              ;   in Loop: Header=BB736_106 Depth=2
	v_bcnt_u32_b32 v5, v96, 0
	v_bcnt_u32_b32 v5, v97, v5
	s_waitcnt lgkmcnt(0)
	v_add_u32_e32 v5, v227, v5
	ds_write_b32 v228, v5
.LBB736_174:                            ;   in Loop: Header=BB736_106 Depth=2
	s_or_b64 exec, exec, s[36:37]
	; wave barrier
	s_waitcnt lgkmcnt(0)
	s_barrier
	ds_read_b32 v5, v27 offset:1040
	ds_read2_b32 v[98:99], v31 offset0:1 offset1:2
	ds_read2_b32 v[96:97], v31 offset0:3 offset1:4
	s_waitcnt lgkmcnt(1)
	v_add3_u32 v230, v98, v5, v99
	s_waitcnt lgkmcnt(0)
	v_add3_u32 v97, v230, v96, v97
	s_nop 1
	v_mov_b32_dpp v230, v97 row_shr:1 row_mask:0xf bank_mask:0xf
	v_cndmask_b32_e64 v230, v230, 0, s[16:17]
	v_add_u32_e32 v97, v230, v97
	s_nop 1
	v_mov_b32_dpp v230, v97 row_shr:2 row_mask:0xf bank_mask:0xf
	v_cndmask_b32_e64 v230, 0, v230, s[18:19]
	v_add_u32_e32 v97, v97, v230
	s_nop 1
	v_mov_b32_dpp v230, v97 row_shr:4 row_mask:0xf bank_mask:0xf
	v_cndmask_b32_e64 v230, 0, v230, s[20:21]
	v_add_u32_e32 v97, v97, v230
	s_nop 1
	v_mov_b32_dpp v230, v97 row_shr:8 row_mask:0xf bank_mask:0xf
	v_cndmask_b32_e64 v230, 0, v230, s[22:23]
	v_add_u32_e32 v97, v97, v230
	s_nop 1
	v_mov_b32_dpp v230, v97 row_bcast:15 row_mask:0xf bank_mask:0xf
	v_cndmask_b32_e64 v230, v230, 0, s[24:25]
	v_add_u32_e32 v97, v97, v230
	s_nop 1
	v_mov_b32_dpp v230, v97 row_bcast:31 row_mask:0xf bank_mask:0xf
	v_cndmask_b32_e64 v230, 0, v230, s[26:27]
	v_add_u32_e32 v97, v97, v230
	s_and_saveexec_b64 s[36:37], s[6:7]
	s_cbranch_execz .LBB736_176
; %bb.175:                              ;   in Loop: Header=BB736_106 Depth=2
	ds_write_b32 v15, v97 offset:1024
.LBB736_176:                            ;   in Loop: Header=BB736_106 Depth=2
	s_or_b64 exec, exec, s[36:37]
	s_waitcnt lgkmcnt(0)
	s_barrier
	s_and_saveexec_b64 s[36:37], s[8:9]
	s_cbranch_execz .LBB736_178
; %bb.177:                              ;   in Loop: Header=BB736_106 Depth=2
	ds_read_b32 v230, v33 offset:1024
	s_waitcnt lgkmcnt(0)
	s_nop 0
	v_mov_b32_dpp v231, v230 row_shr:1 row_mask:0xf bank_mask:0xf
	v_cndmask_b32_e64 v231, v231, 0, s[30:31]
	v_add_u32_e32 v230, v231, v230
	s_nop 1
	v_mov_b32_dpp v231, v230 row_shr:2 row_mask:0xf bank_mask:0xf
	v_cndmask_b32_e64 v231, 0, v231, s[34:35]
	v_add_u32_e32 v230, v230, v231
	ds_write_b32 v33, v230 offset:1024
.LBB736_178:                            ;   in Loop: Header=BB736_106 Depth=2
	s_or_b64 exec, exec, s[36:37]
	v_mov_b32_e32 v230, 0
	s_waitcnt lgkmcnt(0)
	s_barrier
	s_and_saveexec_b64 s[36:37], s[10:11]
	s_cbranch_execz .LBB736_180
; %bb.179:                              ;   in Loop: Header=BB736_106 Depth=2
	ds_read_b32 v230, v15 offset:1020
.LBB736_180:                            ;   in Loop: Header=BB736_106 Depth=2
	s_or_b64 exec, exec, s[36:37]
	s_waitcnt lgkmcnt(0)
	v_add_u32_e32 v97, v230, v97
	ds_bpermute_b32 v97, v158, v97
	s_waitcnt lgkmcnt(0)
	v_cndmask_b32_e64 v97, v97, v230, s[28:29]
	v_cndmask_b32_e64 v97, v97, 0, s[12:13]
	v_add_u32_e32 v5, v97, v5
	ds_write_b32 v27, v97 offset:1040
	v_add_u32_e32 v97, v5, v98
	v_add_u32_e32 v98, v97, v99
	ds_write2_b32 v31, v5, v97 offset0:1 offset1:2
	v_add_u32_e32 v5, v98, v96
	ds_write2_b32 v31, v98, v5 offset0:3 offset1:4
	s_waitcnt lgkmcnt(0)
	s_barrier
	ds_read_b32 v97, v186
	ds_read_b32 v234, v189
	;; [unrolled: 1-line block ×16, first 2 shown]
	ds_read_b32 v183, v27 offset:1040
	v_mov_b32_e32 v5, 0x1000
	s_and_saveexec_b64 s[36:37], s[14:15]
	s_cbranch_execz .LBB736_182
; %bb.181:                              ;   in Loop: Header=BB736_106 Depth=2
	ds_read_b32 v5, v27 offset:1060
.LBB736_182:                            ;   in Loop: Header=BB736_106 Depth=2
	s_or_b64 exec, exec, s[36:37]
	s_waitcnt lgkmcnt(0)
	s_barrier
	s_and_saveexec_b64 s[36:37], s[4:5]
	s_cbranch_execz .LBB736_184
; %bb.183:                              ;   in Loop: Header=BB736_106 Depth=2
	ds_read_b32 v207, v3
	s_waitcnt lgkmcnt(0)
	v_sub_u32_e32 v183, v207, v183
	ds_write_b32 v3, v183
.LBB736_184:                            ;   in Loop: Header=BB736_106 Depth=2
	s_or_b64 exec, exec, s[36:37]
	v_add_u32_e32 v185, v187, v185
	v_add_u32_e32 v188, v190, v188
	v_add_lshl_u32 v96, v96, v184, 3
	v_add_lshl_u32 v97, v185, v97, 3
	v_add_u32_e32 v197, v199, v197
	v_add_u32_e32 v194, v196, v194
	;; [unrolled: 1-line block ×3, first 2 shown]
	ds_write_b64 v96, v[64:65] offset:1024
	ds_write_b64 v97, v[66:67] offset:1024
	v_add_lshl_u32 v66, v188, v234, 3
	v_add_u32_e32 v212, v214, v212
	v_add_u32_e32 v209, v211, v209
	;; [unrolled: 1-line block ×5, first 2 shown]
	ds_write_b64 v66, v[74:75] offset:1024
	v_add_lshl_u32 v67, v191, v233, 3
	v_add_lshl_u32 v74, v194, v232, 3
	v_add_lshl_u32 v75, v197, v231, 3
	v_add_u32_e32 v215, v217, v215
	ds_write_b64 v67, v[78:79] offset:1024
	ds_write_b64 v74, v[82:83] offset:1024
	;; [unrolled: 1-line block ×3, first 2 shown]
	v_add_lshl_u32 v78, v200, v230, 3
	v_add_lshl_u32 v79, v203, v204, 3
	;; [unrolled: 1-line block ×5, first 2 shown]
	v_add_u32_e32 v213, v220, v218
	ds_write_b64 v78, v[90:91] offset:1024
	ds_write_b64 v79, v[94:95] offset:1024
	;; [unrolled: 1-line block ×5, first 2 shown]
	v_add_lshl_u32 v84, v215, v192, 3
	v_add_u32_e32 v210, v223, v221
	ds_write_b64 v84, v[80:81] offset:1024
	v_add_lshl_u32 v80, v213, v189, 3
	v_add_u32_e32 v207, v226, v224
	ds_write_b64 v80, v[76:77] offset:1024
	;; [unrolled: 3-line block ×3, first 2 shown]
	v_add_lshl_u32 v72, v207, v99, 3
	ds_write_b64 v72, v[68:69] offset:1024
	v_add_lshl_u32 v68, v183, v98, 3
	v_cmp_lt_u32_e64 s[36:37], v2, v182
	ds_write_b64 v68, v[70:71] offset:1024
	s_waitcnt lgkmcnt(0)
	s_barrier
	s_and_saveexec_b64 s[38:39], s[36:37]
	s_cbranch_execz .LBB736_200
; %bb.185:                              ;   in Loop: Header=BB736_106 Depth=2
	v_add_u32_e32 v64, v33, v3
	ds_read_b64 v[64:65], v64 offset:1024
	v_mov_b32_e32 v73, s75
	s_waitcnt lgkmcnt(0)
	v_lshrrev_b64 v[70:71], s33, v[64:65]
	v_and_b32_e32 v69, s69, v70
	v_lshlrev_b32_e32 v69, 2, v69
	ds_read_b32 v69, v69
	v_mov_b32_e32 v71, v4
	v_xor_b32_e32 v65, 0x7fffffff, v65
	v_not_b32_e32 v64, v64
	s_waitcnt lgkmcnt(0)
	v_add_u32_e32 v70, v69, v2
	v_lshlrev_b64 v[70:71], 3, v[70:71]
	v_add_co_u32_e32 v70, vcc, s74, v70
	v_addc_co_u32_e32 v71, vcc, v73, v71, vcc
	global_store_dwordx2 v[70:71], v[64:65], off
	s_or_b64 exec, exec, s[38:39]
	v_cmp_lt_u32_e64 s[38:39], v7, v182
	s_and_saveexec_b64 s[40:41], s[38:39]
	s_cbranch_execnz .LBB736_201
.LBB736_186:                            ;   in Loop: Header=BB736_106 Depth=2
	s_or_b64 exec, exec, s[40:41]
	v_cmp_lt_u32_e64 s[40:41], v6, v182
	s_and_saveexec_b64 s[42:43], s[40:41]
	s_cbranch_execz .LBB736_202
.LBB736_187:                            ;   in Loop: Header=BB736_106 Depth=2
	ds_read_b64 v[64:65], v104 offset:4096
	v_mov_b32_e32 v73, s75
	s_waitcnt lgkmcnt(0)
	v_lshrrev_b64 v[70:71], s33, v[64:65]
	v_and_b32_e32 v69, s69, v70
	v_lshlrev_b32_e32 v69, 2, v69
	ds_read_b32 v69, v69
	v_mov_b32_e32 v71, v4
	v_xor_b32_e32 v65, 0x7fffffff, v65
	v_not_b32_e32 v64, v64
	s_waitcnt lgkmcnt(0)
	v_add_u32_e32 v70, v69, v6
	v_lshlrev_b64 v[70:71], 3, v[70:71]
	v_add_co_u32_e32 v70, vcc, s74, v70
	v_addc_co_u32_e32 v71, vcc, v73, v71, vcc
	global_store_dwordx2 v[70:71], v[64:65], off
	s_or_b64 exec, exec, s[42:43]
	v_cmp_lt_u32_e64 s[42:43], v8, v182
	s_and_saveexec_b64 s[44:45], s[42:43]
	s_cbranch_execnz .LBB736_203
.LBB736_188:                            ;   in Loop: Header=BB736_106 Depth=2
	s_or_b64 exec, exec, s[44:45]
	v_cmp_lt_u32_e64 s[44:45], v10, v182
	s_and_saveexec_b64 s[46:47], s[44:45]
	s_cbranch_execz .LBB736_204
.LBB736_189:                            ;   in Loop: Header=BB736_106 Depth=2
	ds_read_b64 v[64:65], v104 offset:8192
	v_mov_b32_e32 v73, s75
	s_waitcnt lgkmcnt(0)
	v_lshrrev_b64 v[70:71], s33, v[64:65]
	v_and_b32_e32 v69, s69, v70
	v_lshlrev_b32_e32 v69, 2, v69
	ds_read_b32 v69, v69
	v_mov_b32_e32 v71, v4
	v_xor_b32_e32 v65, 0x7fffffff, v65
	v_not_b32_e32 v64, v64
	s_waitcnt lgkmcnt(0)
	v_add_u32_e32 v70, v69, v10
	v_lshlrev_b64 v[70:71], 3, v[70:71]
	v_add_co_u32_e32 v70, vcc, s74, v70
	v_addc_co_u32_e32 v71, vcc, v73, v71, vcc
	global_store_dwordx2 v[70:71], v[64:65], off
	s_or_b64 exec, exec, s[46:47]
	v_cmp_lt_u32_e64 s[46:47], v12, v182
	s_and_saveexec_b64 s[48:49], s[46:47]
	s_cbranch_execnz .LBB736_205
.LBB736_190:                            ;   in Loop: Header=BB736_106 Depth=2
	s_or_b64 exec, exec, s[48:49]
	v_cmp_lt_u32_e64 s[48:49], v14, v182
	s_and_saveexec_b64 s[50:51], s[48:49]
	s_cbranch_execz .LBB736_206
.LBB736_191:                            ;   in Loop: Header=BB736_106 Depth=2
	ds_read_b64 v[64:65], v104 offset:12288
	v_mov_b32_e32 v73, s75
	s_waitcnt lgkmcnt(0)
	v_lshrrev_b64 v[70:71], s33, v[64:65]
	v_and_b32_e32 v69, s69, v70
	v_lshlrev_b32_e32 v69, 2, v69
	ds_read_b32 v69, v69
	v_mov_b32_e32 v71, v4
	v_xor_b32_e32 v65, 0x7fffffff, v65
	v_not_b32_e32 v64, v64
	s_waitcnt lgkmcnt(0)
	v_add_u32_e32 v70, v69, v14
	v_lshlrev_b64 v[70:71], 3, v[70:71]
	v_add_co_u32_e32 v70, vcc, s74, v70
	v_addc_co_u32_e32 v71, vcc, v73, v71, vcc
	global_store_dwordx2 v[70:71], v[64:65], off
	s_or_b64 exec, exec, s[50:51]
	v_cmp_lt_u32_e64 s[50:51], v16, v182
	s_and_saveexec_b64 s[52:53], s[50:51]
	s_cbranch_execnz .LBB736_207
.LBB736_192:                            ;   in Loop: Header=BB736_106 Depth=2
	s_or_b64 exec, exec, s[52:53]
	v_cmp_lt_u32_e64 s[52:53], v18, v182
	s_and_saveexec_b64 s[54:55], s[52:53]
	s_cbranch_execz .LBB736_208
.LBB736_193:                            ;   in Loop: Header=BB736_106 Depth=2
	ds_read_b64 v[64:65], v104 offset:16384
	v_mov_b32_e32 v73, s75
	s_waitcnt lgkmcnt(0)
	v_lshrrev_b64 v[70:71], s33, v[64:65]
	v_and_b32_e32 v69, s69, v70
	v_lshlrev_b32_e32 v69, 2, v69
	ds_read_b32 v69, v69
	v_mov_b32_e32 v71, v4
	v_xor_b32_e32 v65, 0x7fffffff, v65
	v_not_b32_e32 v64, v64
	s_waitcnt lgkmcnt(0)
	v_add_u32_e32 v70, v69, v18
	v_lshlrev_b64 v[70:71], 3, v[70:71]
	v_add_co_u32_e32 v70, vcc, s74, v70
	v_addc_co_u32_e32 v71, vcc, v73, v71, vcc
	global_store_dwordx2 v[70:71], v[64:65], off
	s_or_b64 exec, exec, s[54:55]
	v_cmp_lt_u32_e64 s[54:55], v20, v182
	s_and_saveexec_b64 s[56:57], s[54:55]
	s_cbranch_execnz .LBB736_209
.LBB736_194:                            ;   in Loop: Header=BB736_106 Depth=2
	s_or_b64 exec, exec, s[56:57]
	v_cmp_lt_u32_e64 s[56:57], v22, v182
	s_and_saveexec_b64 s[58:59], s[56:57]
	s_cbranch_execz .LBB736_210
.LBB736_195:                            ;   in Loop: Header=BB736_106 Depth=2
	ds_read_b64 v[64:65], v104 offset:20480
	v_mov_b32_e32 v73, s75
	s_waitcnt lgkmcnt(0)
	v_lshrrev_b64 v[70:71], s33, v[64:65]
	v_and_b32_e32 v69, s69, v70
	v_lshlrev_b32_e32 v69, 2, v69
	ds_read_b32 v69, v69
	v_mov_b32_e32 v71, v4
	v_xor_b32_e32 v65, 0x7fffffff, v65
	v_not_b32_e32 v64, v64
	s_waitcnt lgkmcnt(0)
	v_add_u32_e32 v70, v69, v22
	v_lshlrev_b64 v[70:71], 3, v[70:71]
	v_add_co_u32_e32 v70, vcc, s74, v70
	v_addc_co_u32_e32 v71, vcc, v73, v71, vcc
	global_store_dwordx2 v[70:71], v[64:65], off
	s_or_b64 exec, exec, s[58:59]
	v_cmp_lt_u32_e64 s[58:59], v24, v182
	s_and_saveexec_b64 s[60:61], s[58:59]
	s_cbranch_execnz .LBB736_211
.LBB736_196:                            ;   in Loop: Header=BB736_106 Depth=2
	s_or_b64 exec, exec, s[60:61]
	v_cmp_lt_u32_e64 s[60:61], v26, v182
	s_and_saveexec_b64 s[62:63], s[60:61]
	s_cbranch_execz .LBB736_212
.LBB736_197:                            ;   in Loop: Header=BB736_106 Depth=2
	ds_read_b64 v[64:65], v104 offset:24576
	v_mov_b32_e32 v73, s75
	s_waitcnt lgkmcnt(0)
	v_lshrrev_b64 v[70:71], s33, v[64:65]
	v_and_b32_e32 v69, s69, v70
	v_lshlrev_b32_e32 v69, 2, v69
	ds_read_b32 v69, v69
	v_mov_b32_e32 v71, v4
	v_xor_b32_e32 v65, 0x7fffffff, v65
	v_not_b32_e32 v64, v64
	s_waitcnt lgkmcnt(0)
	v_add_u32_e32 v70, v69, v26
	v_lshlrev_b64 v[70:71], 3, v[70:71]
	v_add_co_u32_e32 v70, vcc, s74, v70
	v_addc_co_u32_e32 v71, vcc, v73, v71, vcc
	global_store_dwordx2 v[70:71], v[64:65], off
	s_or_b64 exec, exec, s[62:63]
	v_cmp_lt_u32_e64 s[62:63], v28, v182
	s_and_saveexec_b64 s[64:65], s[62:63]
	s_cbranch_execnz .LBB736_213
.LBB736_198:                            ;   in Loop: Header=BB736_106 Depth=2
	s_or_b64 exec, exec, s[64:65]
	v_cmp_lt_u32_e64 s[64:65], v30, v182
	s_and_saveexec_b64 s[66:67], s[64:65]
	s_cbranch_execz .LBB736_214
.LBB736_199:                            ;   in Loop: Header=BB736_106 Depth=2
	ds_read_b64 v[64:65], v104 offset:28672
	v_mov_b32_e32 v73, s75
	s_waitcnt lgkmcnt(0)
	v_lshrrev_b64 v[70:71], s33, v[64:65]
	v_and_b32_e32 v69, s69, v70
	v_lshlrev_b32_e32 v69, 2, v69
	ds_read_b32 v69, v69
	v_mov_b32_e32 v71, v4
	v_xor_b32_e32 v65, 0x7fffffff, v65
	v_not_b32_e32 v64, v64
	s_waitcnt lgkmcnt(0)
	v_add_u32_e32 v70, v69, v30
	v_lshlrev_b64 v[70:71], 3, v[70:71]
	v_add_co_u32_e32 v70, vcc, s74, v70
	v_addc_co_u32_e32 v71, vcc, v73, v71, vcc
	global_store_dwordx2 v[70:71], v[64:65], off
	s_or_b64 exec, exec, s[66:67]
	v_cmp_lt_u32_e64 s[66:67], v32, v182
	s_and_saveexec_b64 s[92:93], s[66:67]
	s_cbranch_execnz .LBB736_215
	s_branch .LBB736_216
.LBB736_200:                            ;   in Loop: Header=BB736_106 Depth=2
	s_or_b64 exec, exec, s[38:39]
	v_cmp_lt_u32_e64 s[38:39], v7, v182
	s_and_saveexec_b64 s[40:41], s[38:39]
	s_cbranch_execz .LBB736_186
.LBB736_201:                            ;   in Loop: Header=BB736_106 Depth=2
	ds_read_b64 v[64:65], v104 offset:2048
	v_mov_b32_e32 v73, s75
	s_waitcnt lgkmcnt(0)
	v_lshrrev_b64 v[70:71], s33, v[64:65]
	v_and_b32_e32 v69, s69, v70
	v_lshlrev_b32_e32 v69, 2, v69
	ds_read_b32 v69, v69
	v_mov_b32_e32 v71, v4
	v_xor_b32_e32 v65, 0x7fffffff, v65
	v_not_b32_e32 v64, v64
	s_waitcnt lgkmcnt(0)
	v_add_u32_e32 v70, v69, v7
	v_lshlrev_b64 v[70:71], 3, v[70:71]
	v_add_co_u32_e32 v70, vcc, s74, v70
	v_addc_co_u32_e32 v71, vcc, v73, v71, vcc
	global_store_dwordx2 v[70:71], v[64:65], off
	s_or_b64 exec, exec, s[40:41]
	v_cmp_lt_u32_e64 s[40:41], v6, v182
	s_and_saveexec_b64 s[42:43], s[40:41]
	s_cbranch_execnz .LBB736_187
.LBB736_202:                            ;   in Loop: Header=BB736_106 Depth=2
	s_or_b64 exec, exec, s[42:43]
	v_cmp_lt_u32_e64 s[42:43], v8, v182
	s_and_saveexec_b64 s[44:45], s[42:43]
	s_cbranch_execz .LBB736_188
.LBB736_203:                            ;   in Loop: Header=BB736_106 Depth=2
	ds_read_b64 v[64:65], v104 offset:6144
	v_mov_b32_e32 v73, s75
	s_waitcnt lgkmcnt(0)
	v_lshrrev_b64 v[70:71], s33, v[64:65]
	v_and_b32_e32 v69, s69, v70
	v_lshlrev_b32_e32 v69, 2, v69
	ds_read_b32 v69, v69
	v_mov_b32_e32 v71, v4
	v_xor_b32_e32 v65, 0x7fffffff, v65
	v_not_b32_e32 v64, v64
	s_waitcnt lgkmcnt(0)
	v_add_u32_e32 v70, v69, v8
	v_lshlrev_b64 v[70:71], 3, v[70:71]
	v_add_co_u32_e32 v70, vcc, s74, v70
	v_addc_co_u32_e32 v71, vcc, v73, v71, vcc
	global_store_dwordx2 v[70:71], v[64:65], off
	s_or_b64 exec, exec, s[44:45]
	v_cmp_lt_u32_e64 s[44:45], v10, v182
	s_and_saveexec_b64 s[46:47], s[44:45]
	s_cbranch_execnz .LBB736_189
.LBB736_204:                            ;   in Loop: Header=BB736_106 Depth=2
	s_or_b64 exec, exec, s[46:47]
	v_cmp_lt_u32_e64 s[46:47], v12, v182
	s_and_saveexec_b64 s[48:49], s[46:47]
	s_cbranch_execz .LBB736_190
.LBB736_205:                            ;   in Loop: Header=BB736_106 Depth=2
	ds_read_b64 v[64:65], v104 offset:10240
	v_mov_b32_e32 v73, s75
	s_waitcnt lgkmcnt(0)
	v_lshrrev_b64 v[70:71], s33, v[64:65]
	v_and_b32_e32 v69, s69, v70
	v_lshlrev_b32_e32 v69, 2, v69
	ds_read_b32 v69, v69
	v_mov_b32_e32 v71, v4
	v_xor_b32_e32 v65, 0x7fffffff, v65
	v_not_b32_e32 v64, v64
	s_waitcnt lgkmcnt(0)
	v_add_u32_e32 v70, v69, v12
	v_lshlrev_b64 v[70:71], 3, v[70:71]
	v_add_co_u32_e32 v70, vcc, s74, v70
	v_addc_co_u32_e32 v71, vcc, v73, v71, vcc
	global_store_dwordx2 v[70:71], v[64:65], off
	s_or_b64 exec, exec, s[48:49]
	v_cmp_lt_u32_e64 s[48:49], v14, v182
	s_and_saveexec_b64 s[50:51], s[48:49]
	s_cbranch_execnz .LBB736_191
.LBB736_206:                            ;   in Loop: Header=BB736_106 Depth=2
	s_or_b64 exec, exec, s[50:51]
	v_cmp_lt_u32_e64 s[50:51], v16, v182
	s_and_saveexec_b64 s[52:53], s[50:51]
	s_cbranch_execz .LBB736_192
.LBB736_207:                            ;   in Loop: Header=BB736_106 Depth=2
	ds_read_b64 v[64:65], v104 offset:14336
	v_mov_b32_e32 v73, s75
	s_waitcnt lgkmcnt(0)
	v_lshrrev_b64 v[70:71], s33, v[64:65]
	v_and_b32_e32 v69, s69, v70
	v_lshlrev_b32_e32 v69, 2, v69
	ds_read_b32 v69, v69
	v_mov_b32_e32 v71, v4
	v_xor_b32_e32 v65, 0x7fffffff, v65
	v_not_b32_e32 v64, v64
	s_waitcnt lgkmcnt(0)
	v_add_u32_e32 v70, v69, v16
	v_lshlrev_b64 v[70:71], 3, v[70:71]
	v_add_co_u32_e32 v70, vcc, s74, v70
	v_addc_co_u32_e32 v71, vcc, v73, v71, vcc
	global_store_dwordx2 v[70:71], v[64:65], off
	s_or_b64 exec, exec, s[52:53]
	v_cmp_lt_u32_e64 s[52:53], v18, v182
	s_and_saveexec_b64 s[54:55], s[52:53]
	s_cbranch_execnz .LBB736_193
.LBB736_208:                            ;   in Loop: Header=BB736_106 Depth=2
	s_or_b64 exec, exec, s[54:55]
	v_cmp_lt_u32_e64 s[54:55], v20, v182
	s_and_saveexec_b64 s[56:57], s[54:55]
	s_cbranch_execz .LBB736_194
.LBB736_209:                            ;   in Loop: Header=BB736_106 Depth=2
	ds_read_b64 v[64:65], v104 offset:18432
	v_mov_b32_e32 v73, s75
	s_waitcnt lgkmcnt(0)
	v_lshrrev_b64 v[70:71], s33, v[64:65]
	v_and_b32_e32 v69, s69, v70
	v_lshlrev_b32_e32 v69, 2, v69
	ds_read_b32 v69, v69
	v_mov_b32_e32 v71, v4
	v_xor_b32_e32 v65, 0x7fffffff, v65
	v_not_b32_e32 v64, v64
	s_waitcnt lgkmcnt(0)
	v_add_u32_e32 v70, v69, v20
	v_lshlrev_b64 v[70:71], 3, v[70:71]
	v_add_co_u32_e32 v70, vcc, s74, v70
	v_addc_co_u32_e32 v71, vcc, v73, v71, vcc
	global_store_dwordx2 v[70:71], v[64:65], off
	s_or_b64 exec, exec, s[56:57]
	v_cmp_lt_u32_e64 s[56:57], v22, v182
	s_and_saveexec_b64 s[58:59], s[56:57]
	s_cbranch_execnz .LBB736_195
.LBB736_210:                            ;   in Loop: Header=BB736_106 Depth=2
	s_or_b64 exec, exec, s[58:59]
	v_cmp_lt_u32_e64 s[58:59], v24, v182
	s_and_saveexec_b64 s[60:61], s[58:59]
	s_cbranch_execz .LBB736_196
.LBB736_211:                            ;   in Loop: Header=BB736_106 Depth=2
	ds_read_b64 v[64:65], v104 offset:22528
	v_mov_b32_e32 v73, s75
	s_waitcnt lgkmcnt(0)
	v_lshrrev_b64 v[70:71], s33, v[64:65]
	v_and_b32_e32 v69, s69, v70
	v_lshlrev_b32_e32 v69, 2, v69
	ds_read_b32 v69, v69
	v_mov_b32_e32 v71, v4
	v_xor_b32_e32 v65, 0x7fffffff, v65
	v_not_b32_e32 v64, v64
	s_waitcnt lgkmcnt(0)
	v_add_u32_e32 v70, v69, v24
	v_lshlrev_b64 v[70:71], 3, v[70:71]
	v_add_co_u32_e32 v70, vcc, s74, v70
	v_addc_co_u32_e32 v71, vcc, v73, v71, vcc
	global_store_dwordx2 v[70:71], v[64:65], off
	s_or_b64 exec, exec, s[60:61]
	v_cmp_lt_u32_e64 s[60:61], v26, v182
	s_and_saveexec_b64 s[62:63], s[60:61]
	s_cbranch_execnz .LBB736_197
.LBB736_212:                            ;   in Loop: Header=BB736_106 Depth=2
	s_or_b64 exec, exec, s[62:63]
	v_cmp_lt_u32_e64 s[62:63], v28, v182
	s_and_saveexec_b64 s[64:65], s[62:63]
	s_cbranch_execz .LBB736_198
.LBB736_213:                            ;   in Loop: Header=BB736_106 Depth=2
	ds_read_b64 v[64:65], v104 offset:26624
	v_mov_b32_e32 v73, s75
	s_waitcnt lgkmcnt(0)
	v_lshrrev_b64 v[70:71], s33, v[64:65]
	v_and_b32_e32 v69, s69, v70
	v_lshlrev_b32_e32 v69, 2, v69
	ds_read_b32 v69, v69
	v_mov_b32_e32 v71, v4
	v_xor_b32_e32 v65, 0x7fffffff, v65
	v_not_b32_e32 v64, v64
	s_waitcnt lgkmcnt(0)
	v_add_u32_e32 v70, v69, v28
	v_lshlrev_b64 v[70:71], 3, v[70:71]
	v_add_co_u32_e32 v70, vcc, s74, v70
	v_addc_co_u32_e32 v71, vcc, v73, v71, vcc
	global_store_dwordx2 v[70:71], v[64:65], off
	s_or_b64 exec, exec, s[64:65]
	v_cmp_lt_u32_e64 s[64:65], v30, v182
	s_and_saveexec_b64 s[66:67], s[64:65]
	s_cbranch_execnz .LBB736_199
.LBB736_214:                            ;   in Loop: Header=BB736_106 Depth=2
	s_or_b64 exec, exec, s[66:67]
	v_cmp_lt_u32_e64 s[66:67], v32, v182
	s_and_saveexec_b64 s[92:93], s[66:67]
	s_cbranch_execz .LBB736_216
.LBB736_215:                            ;   in Loop: Header=BB736_106 Depth=2
	ds_read_b64 v[64:65], v104 offset:30720
	s_waitcnt lgkmcnt(0)
	v_lshrrev_b64 v[70:71], s33, v[64:65]
	v_and_b32_e32 v69, s69, v70
	v_lshlrev_b32_e32 v69, 2, v69
	ds_read_b32 v69, v69
	v_mov_b32_e32 v71, v4
	v_xor_b32_e32 v65, 0x7fffffff, v65
	v_not_b32_e32 v64, v64
	s_waitcnt lgkmcnt(0)
	v_add_u32_e32 v70, v69, v32
	v_lshlrev_b64 v[70:71], 3, v[70:71]
	v_add_co_u32_e32 v70, vcc, s74, v70
	v_mov_b32_e32 v69, s75
	v_addc_co_u32_e32 v71, vcc, v69, v71, vcc
	global_store_dwordx2 v[70:71], v[64:65], off
.LBB736_216:                            ;   in Loop: Header=BB736_106 Depth=2
	s_or_b64 exec, exec, s[92:93]
	s_mov_b32 s79, s88
	s_lshl_b64 s[78:79], s[78:79], 3
	v_mov_b32_e32 v65, s79
	v_add_co_u32_e32 v64, vcc, s78, v159
	v_addc_co_u32_e32 v65, vcc, v160, v65, vcc
	v_cmp_lt_u32_e32 vcc, v142, v182
	s_and_saveexec_b64 s[78:79], vcc
	s_xor_b64 s[78:79], exec, s[78:79]
	s_cbranch_execz .LBB736_248
; %bb.217:                              ;   in Loop: Header=BB736_106 Depth=2
	global_load_dwordx2 v[62:63], v[64:65], off
	s_or_b64 exec, exec, s[78:79]
	v_cmp_lt_u32_e32 vcc, v143, v182
	s_and_saveexec_b64 s[78:79], vcc
	s_cbranch_execnz .LBB736_249
.LBB736_218:                            ;   in Loop: Header=BB736_106 Depth=2
	s_or_b64 exec, exec, s[78:79]
	v_cmp_lt_u32_e32 vcc, v144, v182
	s_and_saveexec_b64 s[78:79], vcc
	s_cbranch_execz .LBB736_250
.LBB736_219:                            ;   in Loop: Header=BB736_106 Depth=2
	global_load_dwordx2 v[58:59], v[64:65], off offset:1024
	s_or_b64 exec, exec, s[78:79]
	v_cmp_lt_u32_e32 vcc, v145, v182
	s_and_saveexec_b64 s[78:79], vcc
	s_cbranch_execnz .LBB736_251
.LBB736_220:                            ;   in Loop: Header=BB736_106 Depth=2
	s_or_b64 exec, exec, s[78:79]
	v_cmp_lt_u32_e32 vcc, v146, v182
	s_and_saveexec_b64 s[78:79], vcc
	s_cbranch_execz .LBB736_252
.LBB736_221:                            ;   in Loop: Header=BB736_106 Depth=2
	global_load_dwordx2 v[50:51], v[64:65], off offset:2048
	s_or_b64 exec, exec, s[78:79]
	v_cmp_lt_u32_e32 vcc, v147, v182
	s_and_saveexec_b64 s[78:79], vcc
	s_cbranch_execnz .LBB736_253
.LBB736_222:                            ;   in Loop: Header=BB736_106 Depth=2
	s_or_b64 exec, exec, s[78:79]
	v_cmp_lt_u32_e32 vcc, v148, v182
	s_and_saveexec_b64 s[78:79], vcc
	s_cbranch_execz .LBB736_254
.LBB736_223:                            ;   in Loop: Header=BB736_106 Depth=2
	global_load_dwordx2 v[42:43], v[64:65], off offset:3072
	s_or_b64 exec, exec, s[78:79]
	v_cmp_lt_u32_e32 vcc, v149, v182
	s_and_saveexec_b64 s[78:79], vcc
	s_cbranch_execnz .LBB736_255
.LBB736_224:                            ;   in Loop: Header=BB736_106 Depth=2
	s_or_b64 exec, exec, s[78:79]
	v_cmp_lt_u32_e32 vcc, v150, v182
	s_and_saveexec_b64 s[78:79], vcc
	s_cbranch_execz .LBB736_256
.LBB736_225:                            ;   in Loop: Header=BB736_106 Depth=2
	v_add_co_u32_e32 v56, vcc, 0x1000, v64
	v_addc_co_u32_e32 v57, vcc, 0, v65, vcc
	global_load_dwordx2 v[56:57], v[56:57], off
	s_or_b64 exec, exec, s[78:79]
	v_cmp_lt_u32_e32 vcc, v151, v182
	s_and_saveexec_b64 s[78:79], vcc
	s_cbranch_execnz .LBB736_257
.LBB736_226:                            ;   in Loop: Header=BB736_106 Depth=2
	s_or_b64 exec, exec, s[78:79]
	v_cmp_lt_u32_e32 vcc, v152, v182
	s_and_saveexec_b64 s[78:79], vcc
	s_cbranch_execz .LBB736_258
.LBB736_227:                            ;   in Loop: Header=BB736_106 Depth=2
	v_add_co_u32_e32 v48, vcc, 0x1000, v64
	v_addc_co_u32_e32 v49, vcc, 0, v65, vcc
	global_load_dwordx2 v[48:49], v[48:49], off offset:1024
	s_or_b64 exec, exec, s[78:79]
	v_cmp_lt_u32_e32 vcc, v153, v182
	s_and_saveexec_b64 s[78:79], vcc
	s_cbranch_execnz .LBB736_259
.LBB736_228:                            ;   in Loop: Header=BB736_106 Depth=2
	s_or_b64 exec, exec, s[78:79]
	v_cmp_lt_u32_e32 vcc, v154, v182
	s_and_saveexec_b64 s[78:79], vcc
	s_cbranch_execz .LBB736_260
.LBB736_229:                            ;   in Loop: Header=BB736_106 Depth=2
	v_add_co_u32_e32 v40, vcc, 0x1000, v64
	v_addc_co_u32_e32 v41, vcc, 0, v65, vcc
	global_load_dwordx2 v[40:41], v[40:41], off offset:2048
	s_or_b64 exec, exec, s[78:79]
	v_cmp_lt_u32_e32 vcc, v155, v182
	s_and_saveexec_b64 s[78:79], vcc
	s_cbranch_execnz .LBB736_261
.LBB736_230:                            ;   in Loop: Header=BB736_106 Depth=2
	s_or_b64 exec, exec, s[78:79]
	v_cmp_lt_u32_e32 vcc, v156, v182
	s_and_saveexec_b64 s[78:79], vcc
	s_cbranch_execz .LBB736_262
.LBB736_231:                            ;   in Loop: Header=BB736_106 Depth=2
	v_add_co_u32_e32 v34, vcc, 0x1000, v64
	v_addc_co_u32_e32 v35, vcc, 0, v65, vcc
	global_load_dwordx2 v[34:35], v[34:35], off offset:3072
	s_or_b64 exec, exec, s[78:79]
	v_cmp_lt_u32_e32 vcc, v157, v182
	s_and_saveexec_b64 s[78:79], vcc
	s_cbranch_execnz .LBB736_263
.LBB736_232:                            ;   in Loop: Header=BB736_106 Depth=2
	s_or_b64 exec, exec, s[78:79]
	s_and_saveexec_b64 s[78:79], s[36:37]
	s_cbranch_execz .LBB736_264
.LBB736_233:                            ;   in Loop: Header=BB736_106 Depth=2
	v_add_u32_e32 v64, v33, v3
	ds_read_b64 v[64:65], v64 offset:1024
	s_waitcnt lgkmcnt(0)
	v_lshrrev_b64 v[64:65], s33, v[64:65]
	v_and_b32_e32 v180, s69, v64
	s_or_b64 exec, exec, s[78:79]
	s_and_saveexec_b64 s[78:79], s[38:39]
	s_cbranch_execnz .LBB736_265
.LBB736_234:                            ;   in Loop: Header=BB736_106 Depth=2
	s_or_b64 exec, exec, s[78:79]
	s_and_saveexec_b64 s[78:79], s[40:41]
	s_cbranch_execz .LBB736_266
.LBB736_235:                            ;   in Loop: Header=BB736_106 Depth=2
	ds_read_b64 v[64:65], v104 offset:4096
	s_waitcnt lgkmcnt(0)
	v_lshrrev_b64 v[64:65], s33, v[64:65]
	v_and_b32_e32 v177, s69, v64
	s_or_b64 exec, exec, s[78:79]
	s_and_saveexec_b64 s[78:79], s[42:43]
	s_cbranch_execnz .LBB736_267
.LBB736_236:                            ;   in Loop: Header=BB736_106 Depth=2
	s_or_b64 exec, exec, s[78:79]
	s_and_saveexec_b64 s[78:79], s[44:45]
	s_cbranch_execz .LBB736_268
.LBB736_237:                            ;   in Loop: Header=BB736_106 Depth=2
	ds_read_b64 v[64:65], v104 offset:8192
	s_waitcnt lgkmcnt(0)
	v_lshrrev_b64 v[64:65], s33, v[64:65]
	v_and_b32_e32 v174, s69, v64
	s_or_b64 exec, exec, s[78:79]
	s_and_saveexec_b64 s[78:79], s[46:47]
	s_cbranch_execnz .LBB736_269
.LBB736_238:                            ;   in Loop: Header=BB736_106 Depth=2
	s_or_b64 exec, exec, s[78:79]
	s_and_saveexec_b64 s[78:79], s[48:49]
	s_cbranch_execz .LBB736_270
.LBB736_239:                            ;   in Loop: Header=BB736_106 Depth=2
	ds_read_b64 v[64:65], v104 offset:12288
	s_waitcnt lgkmcnt(0)
	v_lshrrev_b64 v[64:65], s33, v[64:65]
	v_and_b32_e32 v172, s69, v64
	s_or_b64 exec, exec, s[78:79]
	s_and_saveexec_b64 s[78:79], s[50:51]
	s_cbranch_execnz .LBB736_271
.LBB736_240:                            ;   in Loop: Header=BB736_106 Depth=2
	s_or_b64 exec, exec, s[78:79]
	s_and_saveexec_b64 s[78:79], s[52:53]
	s_cbranch_execz .LBB736_272
.LBB736_241:                            ;   in Loop: Header=BB736_106 Depth=2
	ds_read_b64 v[64:65], v104 offset:16384
	s_waitcnt lgkmcnt(0)
	v_lshrrev_b64 v[64:65], s33, v[64:65]
	v_and_b32_e32 v170, s69, v64
	s_or_b64 exec, exec, s[78:79]
	s_and_saveexec_b64 s[78:79], s[54:55]
	s_cbranch_execnz .LBB736_273
.LBB736_242:                            ;   in Loop: Header=BB736_106 Depth=2
	s_or_b64 exec, exec, s[78:79]
	s_and_saveexec_b64 s[78:79], s[56:57]
	s_cbranch_execz .LBB736_274
.LBB736_243:                            ;   in Loop: Header=BB736_106 Depth=2
	ds_read_b64 v[64:65], v104 offset:20480
	s_waitcnt lgkmcnt(0)
	v_lshrrev_b64 v[64:65], s33, v[64:65]
	v_and_b32_e32 v168, s69, v64
	s_or_b64 exec, exec, s[78:79]
	s_and_saveexec_b64 s[78:79], s[58:59]
	s_cbranch_execnz .LBB736_275
.LBB736_244:                            ;   in Loop: Header=BB736_106 Depth=2
	s_or_b64 exec, exec, s[78:79]
	s_and_saveexec_b64 s[78:79], s[60:61]
	s_cbranch_execz .LBB736_276
.LBB736_245:                            ;   in Loop: Header=BB736_106 Depth=2
	ds_read_b64 v[64:65], v104 offset:24576
	s_waitcnt lgkmcnt(0)
	v_lshrrev_b64 v[64:65], s33, v[64:65]
	v_and_b32_e32 v166, s69, v64
	s_or_b64 exec, exec, s[78:79]
	s_and_saveexec_b64 s[78:79], s[62:63]
	s_cbranch_execnz .LBB736_277
.LBB736_246:                            ;   in Loop: Header=BB736_106 Depth=2
	s_or_b64 exec, exec, s[78:79]
	s_and_saveexec_b64 s[78:79], s[64:65]
	s_cbranch_execz .LBB736_278
.LBB736_247:                            ;   in Loop: Header=BB736_106 Depth=2
	ds_read_b64 v[64:65], v104 offset:28672
	s_waitcnt lgkmcnt(0)
	v_lshrrev_b64 v[64:65], s33, v[64:65]
	v_and_b32_e32 v164, s69, v64
	s_or_b64 exec, exec, s[78:79]
	s_and_saveexec_b64 s[78:79], s[66:67]
	s_cbranch_execnz .LBB736_279
	s_branch .LBB736_280
.LBB736_248:                            ;   in Loop: Header=BB736_106 Depth=2
	s_or_b64 exec, exec, s[78:79]
	v_cmp_lt_u32_e32 vcc, v143, v182
	s_and_saveexec_b64 s[78:79], vcc
	s_cbranch_execz .LBB736_218
.LBB736_249:                            ;   in Loop: Header=BB736_106 Depth=2
	global_load_dwordx2 v[60:61], v[64:65], off offset:512
	s_or_b64 exec, exec, s[78:79]
	v_cmp_lt_u32_e32 vcc, v144, v182
	s_and_saveexec_b64 s[78:79], vcc
	s_cbranch_execnz .LBB736_219
.LBB736_250:                            ;   in Loop: Header=BB736_106 Depth=2
	s_or_b64 exec, exec, s[78:79]
	v_cmp_lt_u32_e32 vcc, v145, v182
	s_and_saveexec_b64 s[78:79], vcc
	s_cbranch_execz .LBB736_220
.LBB736_251:                            ;   in Loop: Header=BB736_106 Depth=2
	global_load_dwordx2 v[54:55], v[64:65], off offset:1536
	s_or_b64 exec, exec, s[78:79]
	v_cmp_lt_u32_e32 vcc, v146, v182
	s_and_saveexec_b64 s[78:79], vcc
	s_cbranch_execnz .LBB736_221
.LBB736_252:                            ;   in Loop: Header=BB736_106 Depth=2
	s_or_b64 exec, exec, s[78:79]
	v_cmp_lt_u32_e32 vcc, v147, v182
	s_and_saveexec_b64 s[78:79], vcc
	s_cbranch_execz .LBB736_222
.LBB736_253:                            ;   in Loop: Header=BB736_106 Depth=2
	global_load_dwordx2 v[46:47], v[64:65], off offset:2560
	s_or_b64 exec, exec, s[78:79]
	v_cmp_lt_u32_e32 vcc, v148, v182
	s_and_saveexec_b64 s[78:79], vcc
	s_cbranch_execnz .LBB736_223
.LBB736_254:                            ;   in Loop: Header=BB736_106 Depth=2
	s_or_b64 exec, exec, s[78:79]
	v_cmp_lt_u32_e32 vcc, v149, v182
	s_and_saveexec_b64 s[78:79], vcc
	s_cbranch_execz .LBB736_224
.LBB736_255:                            ;   in Loop: Header=BB736_106 Depth=2
	global_load_dwordx2 v[38:39], v[64:65], off offset:3584
	s_or_b64 exec, exec, s[78:79]
	v_cmp_lt_u32_e32 vcc, v150, v182
	s_and_saveexec_b64 s[78:79], vcc
	s_cbranch_execnz .LBB736_225
.LBB736_256:                            ;   in Loop: Header=BB736_106 Depth=2
	s_or_b64 exec, exec, s[78:79]
	v_cmp_lt_u32_e32 vcc, v151, v182
	s_and_saveexec_b64 s[78:79], vcc
	s_cbranch_execz .LBB736_226
.LBB736_257:                            ;   in Loop: Header=BB736_106 Depth=2
	v_add_co_u32_e32 v52, vcc, 0x1000, v64
	v_addc_co_u32_e32 v53, vcc, 0, v65, vcc
	global_load_dwordx2 v[52:53], v[52:53], off offset:512
	s_or_b64 exec, exec, s[78:79]
	v_cmp_lt_u32_e32 vcc, v152, v182
	s_and_saveexec_b64 s[78:79], vcc
	s_cbranch_execnz .LBB736_227
.LBB736_258:                            ;   in Loop: Header=BB736_106 Depth=2
	s_or_b64 exec, exec, s[78:79]
	v_cmp_lt_u32_e32 vcc, v153, v182
	s_and_saveexec_b64 s[78:79], vcc
	s_cbranch_execz .LBB736_228
.LBB736_259:                            ;   in Loop: Header=BB736_106 Depth=2
	v_add_co_u32_e32 v44, vcc, 0x1000, v64
	v_addc_co_u32_e32 v45, vcc, 0, v65, vcc
	global_load_dwordx2 v[44:45], v[44:45], off offset:1536
	s_or_b64 exec, exec, s[78:79]
	v_cmp_lt_u32_e32 vcc, v154, v182
	s_and_saveexec_b64 s[78:79], vcc
	s_cbranch_execnz .LBB736_229
.LBB736_260:                            ;   in Loop: Header=BB736_106 Depth=2
	s_or_b64 exec, exec, s[78:79]
	v_cmp_lt_u32_e32 vcc, v155, v182
	s_and_saveexec_b64 s[78:79], vcc
	s_cbranch_execz .LBB736_230
.LBB736_261:                            ;   in Loop: Header=BB736_106 Depth=2
	v_add_co_u32_e32 v36, vcc, 0x1000, v64
	v_addc_co_u32_e32 v37, vcc, 0, v65, vcc
	global_load_dwordx2 v[36:37], v[36:37], off offset:2560
	s_or_b64 exec, exec, s[78:79]
	v_cmp_lt_u32_e32 vcc, v156, v182
	s_and_saveexec_b64 s[78:79], vcc
	s_cbranch_execnz .LBB736_231
.LBB736_262:                            ;   in Loop: Header=BB736_106 Depth=2
	s_or_b64 exec, exec, s[78:79]
	v_cmp_lt_u32_e32 vcc, v157, v182
	s_and_saveexec_b64 s[78:79], vcc
	s_cbranch_execz .LBB736_232
.LBB736_263:                            ;   in Loop: Header=BB736_106 Depth=2
	v_add_co_u32_e32 v0, vcc, 0x1000, v64
	v_addc_co_u32_e32 v1, vcc, 0, v65, vcc
	global_load_dwordx2 v[0:1], v[0:1], off offset:3584
	s_or_b64 exec, exec, s[78:79]
	s_and_saveexec_b64 s[78:79], s[36:37]
	s_cbranch_execnz .LBB736_233
.LBB736_264:                            ;   in Loop: Header=BB736_106 Depth=2
	s_or_b64 exec, exec, s[78:79]
	s_and_saveexec_b64 s[78:79], s[38:39]
	s_cbranch_execz .LBB736_234
.LBB736_265:                            ;   in Loop: Header=BB736_106 Depth=2
	ds_read_b64 v[64:65], v104 offset:2048
	s_waitcnt lgkmcnt(0)
	v_lshrrev_b64 v[64:65], s33, v[64:65]
	v_and_b32_e32 v178, s69, v64
	s_or_b64 exec, exec, s[78:79]
	s_and_saveexec_b64 s[78:79], s[40:41]
	s_cbranch_execnz .LBB736_235
.LBB736_266:                            ;   in Loop: Header=BB736_106 Depth=2
	s_or_b64 exec, exec, s[78:79]
	s_and_saveexec_b64 s[78:79], s[42:43]
	s_cbranch_execz .LBB736_236
.LBB736_267:                            ;   in Loop: Header=BB736_106 Depth=2
	ds_read_b64 v[64:65], v104 offset:6144
	s_waitcnt lgkmcnt(0)
	v_lshrrev_b64 v[64:65], s33, v[64:65]
	v_and_b32_e32 v175, s69, v64
	s_or_b64 exec, exec, s[78:79]
	s_and_saveexec_b64 s[78:79], s[44:45]
	s_cbranch_execnz .LBB736_237
.LBB736_268:                            ;   in Loop: Header=BB736_106 Depth=2
	s_or_b64 exec, exec, s[78:79]
	s_and_saveexec_b64 s[78:79], s[46:47]
	s_cbranch_execz .LBB736_238
.LBB736_269:                            ;   in Loop: Header=BB736_106 Depth=2
	ds_read_b64 v[64:65], v104 offset:10240
	s_waitcnt lgkmcnt(0)
	v_lshrrev_b64 v[64:65], s33, v[64:65]
	v_and_b32_e32 v173, s69, v64
	s_or_b64 exec, exec, s[78:79]
	s_and_saveexec_b64 s[78:79], s[48:49]
	s_cbranch_execnz .LBB736_239
.LBB736_270:                            ;   in Loop: Header=BB736_106 Depth=2
	s_or_b64 exec, exec, s[78:79]
	s_and_saveexec_b64 s[78:79], s[50:51]
	s_cbranch_execz .LBB736_240
.LBB736_271:                            ;   in Loop: Header=BB736_106 Depth=2
	ds_read_b64 v[64:65], v104 offset:14336
	s_waitcnt lgkmcnt(0)
	v_lshrrev_b64 v[64:65], s33, v[64:65]
	v_and_b32_e32 v171, s69, v64
	s_or_b64 exec, exec, s[78:79]
	s_and_saveexec_b64 s[78:79], s[52:53]
	s_cbranch_execnz .LBB736_241
.LBB736_272:                            ;   in Loop: Header=BB736_106 Depth=2
	s_or_b64 exec, exec, s[78:79]
	s_and_saveexec_b64 s[78:79], s[54:55]
	s_cbranch_execz .LBB736_242
.LBB736_273:                            ;   in Loop: Header=BB736_106 Depth=2
	ds_read_b64 v[64:65], v104 offset:18432
	s_waitcnt lgkmcnt(0)
	v_lshrrev_b64 v[64:65], s33, v[64:65]
	v_and_b32_e32 v169, s69, v64
	s_or_b64 exec, exec, s[78:79]
	s_and_saveexec_b64 s[78:79], s[56:57]
	s_cbranch_execnz .LBB736_243
.LBB736_274:                            ;   in Loop: Header=BB736_106 Depth=2
	s_or_b64 exec, exec, s[78:79]
	s_and_saveexec_b64 s[78:79], s[58:59]
	s_cbranch_execz .LBB736_244
.LBB736_275:                            ;   in Loop: Header=BB736_106 Depth=2
	ds_read_b64 v[64:65], v104 offset:22528
	s_waitcnt lgkmcnt(0)
	v_lshrrev_b64 v[64:65], s33, v[64:65]
	v_and_b32_e32 v167, s69, v64
	s_or_b64 exec, exec, s[78:79]
	s_and_saveexec_b64 s[78:79], s[60:61]
	s_cbranch_execnz .LBB736_245
.LBB736_276:                            ;   in Loop: Header=BB736_106 Depth=2
	s_or_b64 exec, exec, s[78:79]
	s_and_saveexec_b64 s[78:79], s[62:63]
	s_cbranch_execz .LBB736_246
.LBB736_277:                            ;   in Loop: Header=BB736_106 Depth=2
	ds_read_b64 v[64:65], v104 offset:26624
	s_waitcnt lgkmcnt(0)
	v_lshrrev_b64 v[64:65], s33, v[64:65]
	v_and_b32_e32 v165, s69, v64
	s_or_b64 exec, exec, s[78:79]
	s_and_saveexec_b64 s[78:79], s[64:65]
	s_cbranch_execnz .LBB736_247
.LBB736_278:                            ;   in Loop: Header=BB736_106 Depth=2
	s_or_b64 exec, exec, s[78:79]
	s_and_saveexec_b64 s[78:79], s[66:67]
	s_cbranch_execz .LBB736_280
.LBB736_279:                            ;   in Loop: Header=BB736_106 Depth=2
	ds_read_b64 v[64:65], v104 offset:30720
	s_waitcnt lgkmcnt(0)
	v_lshrrev_b64 v[64:65], s33, v[64:65]
	v_and_b32_e32 v163, s69, v64
.LBB736_280:                            ;   in Loop: Header=BB736_106 Depth=2
	s_or_b64 exec, exec, s[78:79]
	v_add_u32_e32 v64, 0x400, v96
	v_add_u32_e32 v65, 0x400, v97
	;; [unrolled: 1-line block ×16, first 2 shown]
	s_barrier
	s_waitcnt vmcnt(0)
	ds_write_b64 v64, v[62:63]
	ds_write_b64 v65, v[60:61]
	;; [unrolled: 1-line block ×16, first 2 shown]
	s_waitcnt lgkmcnt(0)
	s_barrier
	s_and_saveexec_b64 s[78:79], s[36:37]
	s_cbranch_execz .LBB736_296
; %bb.281:                              ;   in Loop: Header=BB736_106 Depth=2
	v_lshlrev_b32_e32 v64, 2, v180
	ds_read_b32 v66, v64
	v_add_u32_e32 v64, v33, v3
	ds_read_b64 v[64:65], v64 offset:1024
	v_mov_b32_e32 v67, v4
	v_mov_b32_e32 v68, s81
	s_waitcnt lgkmcnt(1)
	v_add_u32_e32 v66, v66, v2
	v_lshlrev_b64 v[66:67], 3, v[66:67]
	v_add_co_u32_e32 v66, vcc, s80, v66
	v_addc_co_u32_e32 v67, vcc, v68, v67, vcc
	s_waitcnt lgkmcnt(0)
	global_store_dwordx2 v[66:67], v[64:65], off
	s_or_b64 exec, exec, s[78:79]
	s_and_saveexec_b64 s[36:37], s[38:39]
	s_cbranch_execnz .LBB736_297
.LBB736_282:                            ;   in Loop: Header=BB736_106 Depth=2
	s_or_b64 exec, exec, s[36:37]
	s_and_saveexec_b64 s[36:37], s[40:41]
	s_cbranch_execz .LBB736_298
.LBB736_283:                            ;   in Loop: Header=BB736_106 Depth=2
	v_lshlrev_b32_e32 v64, 2, v177
	ds_read_b32 v66, v64
	ds_read_b64 v[64:65], v104 offset:4096
	v_mov_b32_e32 v67, v4
	v_mov_b32_e32 v68, s81
	s_waitcnt lgkmcnt(1)
	v_add_u32_e32 v66, v66, v6
	v_lshlrev_b64 v[66:67], 3, v[66:67]
	v_add_co_u32_e32 v66, vcc, s80, v66
	v_addc_co_u32_e32 v67, vcc, v68, v67, vcc
	s_waitcnt lgkmcnt(0)
	global_store_dwordx2 v[66:67], v[64:65], off
	s_or_b64 exec, exec, s[36:37]
	s_and_saveexec_b64 s[36:37], s[42:43]
	s_cbranch_execnz .LBB736_299
.LBB736_284:                            ;   in Loop: Header=BB736_106 Depth=2
	s_or_b64 exec, exec, s[36:37]
	s_and_saveexec_b64 s[36:37], s[44:45]
	s_cbranch_execz .LBB736_300
.LBB736_285:                            ;   in Loop: Header=BB736_106 Depth=2
	v_lshlrev_b32_e32 v64, 2, v174
	ds_read_b32 v66, v64
	ds_read_b64 v[64:65], v104 offset:8192
	v_mov_b32_e32 v67, v4
	v_mov_b32_e32 v68, s81
	s_waitcnt lgkmcnt(1)
	v_add_u32_e32 v66, v66, v10
	v_lshlrev_b64 v[66:67], 3, v[66:67]
	v_add_co_u32_e32 v66, vcc, s80, v66
	v_addc_co_u32_e32 v67, vcc, v68, v67, vcc
	s_waitcnt lgkmcnt(0)
	global_store_dwordx2 v[66:67], v[64:65], off
	s_or_b64 exec, exec, s[36:37]
	s_and_saveexec_b64 s[36:37], s[46:47]
	s_cbranch_execnz .LBB736_301
.LBB736_286:                            ;   in Loop: Header=BB736_106 Depth=2
	s_or_b64 exec, exec, s[36:37]
	s_and_saveexec_b64 s[36:37], s[48:49]
	s_cbranch_execz .LBB736_302
.LBB736_287:                            ;   in Loop: Header=BB736_106 Depth=2
	v_lshlrev_b32_e32 v64, 2, v172
	ds_read_b32 v66, v64
	ds_read_b64 v[64:65], v104 offset:12288
	v_mov_b32_e32 v67, v4
	v_mov_b32_e32 v68, s81
	s_waitcnt lgkmcnt(1)
	v_add_u32_e32 v66, v66, v14
	v_lshlrev_b64 v[66:67], 3, v[66:67]
	v_add_co_u32_e32 v66, vcc, s80, v66
	v_addc_co_u32_e32 v67, vcc, v68, v67, vcc
	s_waitcnt lgkmcnt(0)
	global_store_dwordx2 v[66:67], v[64:65], off
	s_or_b64 exec, exec, s[36:37]
	s_and_saveexec_b64 s[36:37], s[50:51]
	s_cbranch_execnz .LBB736_303
.LBB736_288:                            ;   in Loop: Header=BB736_106 Depth=2
	s_or_b64 exec, exec, s[36:37]
	s_and_saveexec_b64 s[36:37], s[52:53]
	s_cbranch_execz .LBB736_304
.LBB736_289:                            ;   in Loop: Header=BB736_106 Depth=2
	v_lshlrev_b32_e32 v64, 2, v170
	ds_read_b32 v66, v64
	ds_read_b64 v[64:65], v104 offset:16384
	v_mov_b32_e32 v67, v4
	v_mov_b32_e32 v68, s81
	s_waitcnt lgkmcnt(1)
	v_add_u32_e32 v66, v66, v18
	v_lshlrev_b64 v[66:67], 3, v[66:67]
	v_add_co_u32_e32 v66, vcc, s80, v66
	v_addc_co_u32_e32 v67, vcc, v68, v67, vcc
	s_waitcnt lgkmcnt(0)
	global_store_dwordx2 v[66:67], v[64:65], off
	s_or_b64 exec, exec, s[36:37]
	s_and_saveexec_b64 s[36:37], s[54:55]
	s_cbranch_execnz .LBB736_305
.LBB736_290:                            ;   in Loop: Header=BB736_106 Depth=2
	s_or_b64 exec, exec, s[36:37]
	s_and_saveexec_b64 s[36:37], s[56:57]
	s_cbranch_execz .LBB736_306
.LBB736_291:                            ;   in Loop: Header=BB736_106 Depth=2
	v_lshlrev_b32_e32 v64, 2, v168
	ds_read_b32 v66, v64
	ds_read_b64 v[64:65], v104 offset:20480
	v_mov_b32_e32 v67, v4
	v_mov_b32_e32 v68, s81
	s_waitcnt lgkmcnt(1)
	v_add_u32_e32 v66, v66, v22
	v_lshlrev_b64 v[66:67], 3, v[66:67]
	v_add_co_u32_e32 v66, vcc, s80, v66
	v_addc_co_u32_e32 v67, vcc, v68, v67, vcc
	s_waitcnt lgkmcnt(0)
	global_store_dwordx2 v[66:67], v[64:65], off
	s_or_b64 exec, exec, s[36:37]
	s_and_saveexec_b64 s[36:37], s[58:59]
	s_cbranch_execnz .LBB736_307
.LBB736_292:                            ;   in Loop: Header=BB736_106 Depth=2
	s_or_b64 exec, exec, s[36:37]
	s_and_saveexec_b64 s[36:37], s[60:61]
	s_cbranch_execz .LBB736_308
.LBB736_293:                            ;   in Loop: Header=BB736_106 Depth=2
	v_lshlrev_b32_e32 v64, 2, v166
	ds_read_b32 v66, v64
	ds_read_b64 v[64:65], v104 offset:24576
	v_mov_b32_e32 v67, v4
	v_mov_b32_e32 v68, s81
	s_waitcnt lgkmcnt(1)
	v_add_u32_e32 v66, v66, v26
	v_lshlrev_b64 v[66:67], 3, v[66:67]
	v_add_co_u32_e32 v66, vcc, s80, v66
	v_addc_co_u32_e32 v67, vcc, v68, v67, vcc
	s_waitcnt lgkmcnt(0)
	global_store_dwordx2 v[66:67], v[64:65], off
	s_or_b64 exec, exec, s[36:37]
	s_and_saveexec_b64 s[36:37], s[62:63]
	s_cbranch_execnz .LBB736_309
.LBB736_294:                            ;   in Loop: Header=BB736_106 Depth=2
	s_or_b64 exec, exec, s[36:37]
	s_and_saveexec_b64 s[36:37], s[64:65]
	s_cbranch_execz .LBB736_310
.LBB736_295:                            ;   in Loop: Header=BB736_106 Depth=2
	v_lshlrev_b32_e32 v64, 2, v164
	ds_read_b32 v66, v64
	ds_read_b64 v[64:65], v104 offset:28672
	v_mov_b32_e32 v67, v4
	v_mov_b32_e32 v68, s81
	s_waitcnt lgkmcnt(1)
	v_add_u32_e32 v66, v66, v30
	v_lshlrev_b64 v[66:67], 3, v[66:67]
	v_add_co_u32_e32 v66, vcc, s80, v66
	v_addc_co_u32_e32 v67, vcc, v68, v67, vcc
	s_waitcnt lgkmcnt(0)
	global_store_dwordx2 v[66:67], v[64:65], off
	s_or_b64 exec, exec, s[36:37]
	s_and_saveexec_b64 s[36:37], s[66:67]
	s_cbranch_execnz .LBB736_311
	s_branch .LBB736_312
.LBB736_296:                            ;   in Loop: Header=BB736_106 Depth=2
	s_or_b64 exec, exec, s[78:79]
	s_and_saveexec_b64 s[36:37], s[38:39]
	s_cbranch_execz .LBB736_282
.LBB736_297:                            ;   in Loop: Header=BB736_106 Depth=2
	v_lshlrev_b32_e32 v64, 2, v178
	ds_read_b32 v66, v64
	ds_read_b64 v[64:65], v104 offset:2048
	v_mov_b32_e32 v67, v4
	v_mov_b32_e32 v68, s81
	s_waitcnt lgkmcnt(1)
	v_add_u32_e32 v66, v66, v7
	v_lshlrev_b64 v[66:67], 3, v[66:67]
	v_add_co_u32_e32 v66, vcc, s80, v66
	v_addc_co_u32_e32 v67, vcc, v68, v67, vcc
	s_waitcnt lgkmcnt(0)
	global_store_dwordx2 v[66:67], v[64:65], off
	s_or_b64 exec, exec, s[36:37]
	s_and_saveexec_b64 s[36:37], s[40:41]
	s_cbranch_execnz .LBB736_283
.LBB736_298:                            ;   in Loop: Header=BB736_106 Depth=2
	s_or_b64 exec, exec, s[36:37]
	s_and_saveexec_b64 s[36:37], s[42:43]
	s_cbranch_execz .LBB736_284
.LBB736_299:                            ;   in Loop: Header=BB736_106 Depth=2
	v_lshlrev_b32_e32 v64, 2, v175
	ds_read_b32 v66, v64
	ds_read_b64 v[64:65], v104 offset:6144
	v_mov_b32_e32 v67, v4
	v_mov_b32_e32 v68, s81
	s_waitcnt lgkmcnt(1)
	v_add_u32_e32 v66, v66, v8
	v_lshlrev_b64 v[66:67], 3, v[66:67]
	v_add_co_u32_e32 v66, vcc, s80, v66
	v_addc_co_u32_e32 v67, vcc, v68, v67, vcc
	s_waitcnt lgkmcnt(0)
	global_store_dwordx2 v[66:67], v[64:65], off
	s_or_b64 exec, exec, s[36:37]
	s_and_saveexec_b64 s[36:37], s[44:45]
	s_cbranch_execnz .LBB736_285
.LBB736_300:                            ;   in Loop: Header=BB736_106 Depth=2
	s_or_b64 exec, exec, s[36:37]
	s_and_saveexec_b64 s[36:37], s[46:47]
	s_cbranch_execz .LBB736_286
.LBB736_301:                            ;   in Loop: Header=BB736_106 Depth=2
	v_lshlrev_b32_e32 v64, 2, v173
	ds_read_b32 v66, v64
	ds_read_b64 v[64:65], v104 offset:10240
	v_mov_b32_e32 v67, v4
	v_mov_b32_e32 v68, s81
	s_waitcnt lgkmcnt(1)
	v_add_u32_e32 v66, v66, v12
	v_lshlrev_b64 v[66:67], 3, v[66:67]
	v_add_co_u32_e32 v66, vcc, s80, v66
	v_addc_co_u32_e32 v67, vcc, v68, v67, vcc
	s_waitcnt lgkmcnt(0)
	global_store_dwordx2 v[66:67], v[64:65], off
	s_or_b64 exec, exec, s[36:37]
	s_and_saveexec_b64 s[36:37], s[48:49]
	s_cbranch_execnz .LBB736_287
.LBB736_302:                            ;   in Loop: Header=BB736_106 Depth=2
	s_or_b64 exec, exec, s[36:37]
	s_and_saveexec_b64 s[36:37], s[50:51]
	s_cbranch_execz .LBB736_288
.LBB736_303:                            ;   in Loop: Header=BB736_106 Depth=2
	v_lshlrev_b32_e32 v64, 2, v171
	ds_read_b32 v66, v64
	ds_read_b64 v[64:65], v104 offset:14336
	v_mov_b32_e32 v67, v4
	v_mov_b32_e32 v68, s81
	s_waitcnt lgkmcnt(1)
	v_add_u32_e32 v66, v66, v16
	v_lshlrev_b64 v[66:67], 3, v[66:67]
	v_add_co_u32_e32 v66, vcc, s80, v66
	v_addc_co_u32_e32 v67, vcc, v68, v67, vcc
	s_waitcnt lgkmcnt(0)
	global_store_dwordx2 v[66:67], v[64:65], off
	s_or_b64 exec, exec, s[36:37]
	s_and_saveexec_b64 s[36:37], s[52:53]
	s_cbranch_execnz .LBB736_289
.LBB736_304:                            ;   in Loop: Header=BB736_106 Depth=2
	s_or_b64 exec, exec, s[36:37]
	s_and_saveexec_b64 s[36:37], s[54:55]
	s_cbranch_execz .LBB736_290
.LBB736_305:                            ;   in Loop: Header=BB736_106 Depth=2
	v_lshlrev_b32_e32 v64, 2, v169
	ds_read_b32 v66, v64
	ds_read_b64 v[64:65], v104 offset:18432
	v_mov_b32_e32 v67, v4
	v_mov_b32_e32 v68, s81
	s_waitcnt lgkmcnt(1)
	v_add_u32_e32 v66, v66, v20
	v_lshlrev_b64 v[66:67], 3, v[66:67]
	v_add_co_u32_e32 v66, vcc, s80, v66
	v_addc_co_u32_e32 v67, vcc, v68, v67, vcc
	s_waitcnt lgkmcnt(0)
	global_store_dwordx2 v[66:67], v[64:65], off
	s_or_b64 exec, exec, s[36:37]
	s_and_saveexec_b64 s[36:37], s[56:57]
	s_cbranch_execnz .LBB736_291
.LBB736_306:                            ;   in Loop: Header=BB736_106 Depth=2
	s_or_b64 exec, exec, s[36:37]
	s_and_saveexec_b64 s[36:37], s[58:59]
	s_cbranch_execz .LBB736_292
.LBB736_307:                            ;   in Loop: Header=BB736_106 Depth=2
	v_lshlrev_b32_e32 v64, 2, v167
	ds_read_b32 v66, v64
	ds_read_b64 v[64:65], v104 offset:22528
	v_mov_b32_e32 v67, v4
	v_mov_b32_e32 v68, s81
	s_waitcnt lgkmcnt(1)
	v_add_u32_e32 v66, v66, v24
	v_lshlrev_b64 v[66:67], 3, v[66:67]
	v_add_co_u32_e32 v66, vcc, s80, v66
	v_addc_co_u32_e32 v67, vcc, v68, v67, vcc
	s_waitcnt lgkmcnt(0)
	global_store_dwordx2 v[66:67], v[64:65], off
	s_or_b64 exec, exec, s[36:37]
	s_and_saveexec_b64 s[36:37], s[60:61]
	s_cbranch_execnz .LBB736_293
.LBB736_308:                            ;   in Loop: Header=BB736_106 Depth=2
	s_or_b64 exec, exec, s[36:37]
	s_and_saveexec_b64 s[36:37], s[62:63]
	s_cbranch_execz .LBB736_294
.LBB736_309:                            ;   in Loop: Header=BB736_106 Depth=2
	v_lshlrev_b32_e32 v64, 2, v165
	ds_read_b32 v66, v64
	ds_read_b64 v[64:65], v104 offset:26624
	v_mov_b32_e32 v67, v4
	v_mov_b32_e32 v68, s81
	s_waitcnt lgkmcnt(1)
	v_add_u32_e32 v66, v66, v28
	v_lshlrev_b64 v[66:67], 3, v[66:67]
	v_add_co_u32_e32 v66, vcc, s80, v66
	v_addc_co_u32_e32 v67, vcc, v68, v67, vcc
	s_waitcnt lgkmcnt(0)
	global_store_dwordx2 v[66:67], v[64:65], off
	s_or_b64 exec, exec, s[36:37]
	s_and_saveexec_b64 s[36:37], s[64:65]
	s_cbranch_execnz .LBB736_295
.LBB736_310:                            ;   in Loop: Header=BB736_106 Depth=2
	s_or_b64 exec, exec, s[36:37]
	s_and_saveexec_b64 s[36:37], s[66:67]
	s_cbranch_execz .LBB736_312
.LBB736_311:                            ;   in Loop: Header=BB736_106 Depth=2
	v_lshlrev_b32_e32 v64, 2, v163
	ds_read_b32 v66, v64
	ds_read_b64 v[64:65], v104 offset:30720
	v_mov_b32_e32 v67, v4
	v_mov_b32_e32 v68, s81
	s_waitcnt lgkmcnt(1)
	v_add_u32_e32 v66, v66, v32
	v_lshlrev_b64 v[66:67], 3, v[66:67]
	v_add_co_u32_e32 v66, vcc, s80, v66
	v_addc_co_u32_e32 v67, vcc, v68, v67, vcc
	s_waitcnt lgkmcnt(0)
	global_store_dwordx2 v[66:67], v[64:65], off
.LBB736_312:                            ;   in Loop: Header=BB736_106 Depth=2
	s_or_b64 exec, exec, s[36:37]
	s_barrier
	s_and_saveexec_b64 s[36:37], s[4:5]
	s_cbranch_execz .LBB736_105
; %bb.313:                              ;   in Loop: Header=BB736_106 Depth=2
	ds_read_b32 v64, v3
	s_waitcnt lgkmcnt(0)
	v_add_u32_e32 v5, v64, v5
	ds_write_b32 v3, v5
	s_branch .LBB736_105
.LBB736_314:                            ;   in Loop: Header=BB736_20 Depth=1
	s_waitcnt lgkmcnt(0)
	s_barrier
	s_mov_b64 s[16:17], 0
	v_readlane_b32 s38, v235, 2
.LBB736_315:                            ;   in Loop: Header=BB736_20 Depth=1
	s_and_b64 vcc, exec, s[16:17]
	s_cbranch_vccz .LBB736_609
; %bb.316:                              ;   in Loop: Header=BB736_20 Depth=1
	s_mov_b32 s24, s85
	s_mov_b32 s18, s38
	s_barrier
	s_waitcnt lgkmcnt(0)
                                        ; implicit-def: $vgpr62_vgpr63
                                        ; implicit-def: $vgpr0_vgpr1
                                        ; implicit-def: $vgpr34_vgpr35
                                        ; implicit-def: $vgpr36_vgpr37
                                        ; implicit-def: $vgpr38_vgpr39
                                        ; implicit-def: $vgpr40_vgpr41
                                        ; implicit-def: $vgpr42_vgpr43
                                        ; implicit-def: $vgpr44_vgpr45
                                        ; implicit-def: $vgpr46_vgpr47
                                        ; implicit-def: $vgpr48_vgpr49
                                        ; implicit-def: $vgpr50_vgpr51
                                        ; implicit-def: $vgpr52_vgpr53
                                        ; implicit-def: $vgpr54_vgpr55
                                        ; implicit-def: $vgpr56_vgpr57
                                        ; implicit-def: $vgpr58_vgpr59
                                        ; implicit-def: $vgpr60_vgpr61
	s_branch .LBB736_318
.LBB736_317:                            ;   in Loop: Header=BB736_318 Depth=2
	s_or_b64 exec, exec, s[16:17]
	s_addk_i32 s24, 0xf000
	s_cmp_ge_u32 s25, s94
	s_mov_b32 s18, s25
	s_cbranch_scc1 .LBB736_388
.LBB736_318:                            ;   Parent Loop BB736_20 Depth=1
                                        ; =>  This Inner Loop Header: Depth=2
	s_add_i32 s25, s18, 0x1000
	s_cmp_gt_u32 s25, s94
	s_cbranch_scc1 .LBB736_321
; %bb.319:                              ;   in Loop: Header=BB736_318 Depth=2
	s_mov_b32 s19, s88
	s_lshl_b64 s[16:17], s[18:19], 3
	v_mov_b32_e32 v5, s17
	v_add_co_u32_e32 v64, vcc, s16, v105
	v_addc_co_u32_e32 v65, vcc, v106, v5, vcc
	s_waitcnt vmcnt(11)
	v_add_co_u32_e32 v72, vcc, 0x1000, v64
	v_addc_co_u32_e32 v73, vcc, 0, v65, vcc
	s_waitcnt vmcnt(5)
	;; [unrolled: 3-line block ×3, first 2 shown]
	v_add_co_u32_e32 v82, vcc, s96, v64
	v_addc_co_u32_e32 v83, vcc, 0, v65, vcc
	v_add_co_u32_e32 v86, vcc, s97, v64
	v_addc_co_u32_e32 v87, vcc, 0, v65, vcc
	;; [unrolled: 2-line block ×4, first 2 shown]
	global_load_dwordx2 v[66:67], v[64:65], off
	global_load_dwordx2 v[68:69], v[64:65], off offset:2048
	global_load_dwordx2 v[70:71], v[72:73], off
	s_nop 0
	global_load_dwordx2 v[72:73], v[72:73], off offset:2048
	s_nop 0
	global_load_dwordx2 v[74:75], v[82:83], off
	global_load_dwordx2 v[76:77], v[82:83], off offset:2048
	global_load_dwordx2 v[80:81], v[88:89], off offset:-4096
	global_load_dwordx2 v[84:85], v[88:89], off
	s_nop 0
	global_load_dwordx2 v[88:89], v[88:89], off offset:2048
	s_nop 0
	global_load_dwordx2 v[78:79], v[78:79], off offset:2048
	;; [unrolled: 2-line block ×3, first 2 shown]
	s_nop 0
	global_load_dwordx2 v[90:91], v[92:93], off
	s_nop 0
	global_load_dwordx2 v[92:93], v[92:93], off offset:2048
	s_waitcnt vmcnt(13)
	v_add_co_u32_e32 v94, vcc, 0x7000, v64
	v_addc_co_u32_e32 v95, vcc, 0, v65, vcc
	global_load_dwordx2 v[82:83], v[82:83], off offset:-4096
	s_nop 0
	global_load_dwordx2 v[94:95], v[94:95], off
	v_add_co_u32_e32 v64, vcc, 0x7800, v64
	s_movk_i32 s26, 0x1000
	v_addc_co_u32_e32 v65, vcc, 0, v65, vcc
	s_mov_b64 s[16:17], -1
	s_cbranch_execz .LBB736_322
; %bb.320:                              ;   in Loop: Header=BB736_318 Depth=2
                                        ; implicit-def: $vgpr60_vgpr61
                                        ; implicit-def: $vgpr58_vgpr59
                                        ; implicit-def: $vgpr56_vgpr57
                                        ; implicit-def: $vgpr54_vgpr55
                                        ; implicit-def: $vgpr52_vgpr53
                                        ; implicit-def: $vgpr50_vgpr51
                                        ; implicit-def: $vgpr48_vgpr49
                                        ; implicit-def: $vgpr46_vgpr47
                                        ; implicit-def: $vgpr44_vgpr45
                                        ; implicit-def: $vgpr42_vgpr43
                                        ; implicit-def: $vgpr40_vgpr41
                                        ; implicit-def: $vgpr38_vgpr39
                                        ; implicit-def: $vgpr36_vgpr37
                                        ; implicit-def: $vgpr34_vgpr35
                                        ; implicit-def: $vgpr0_vgpr1
                                        ; implicit-def: $vgpr62_vgpr63
	v_mov_b32_e32 v5, s24
	s_and_saveexec_b64 s[18:19], s[16:17]
	s_cbranch_execnz .LBB736_341
	s_branch .LBB736_342
.LBB736_321:                            ;   in Loop: Header=BB736_318 Depth=2
	s_mov_b64 s[16:17], 0
                                        ; implicit-def: $sgpr26
                                        ; implicit-def: $vgpr66_vgpr67
                                        ; implicit-def: $vgpr68_vgpr69
                                        ; implicit-def: $vgpr70_vgpr71
                                        ; implicit-def: $vgpr72_vgpr73
                                        ; implicit-def: $vgpr82_vgpr83
                                        ; implicit-def: $vgpr78_vgpr79
                                        ; implicit-def: $vgpr74_vgpr75
                                        ; implicit-def: $vgpr76_vgpr77
                                        ; implicit-def: $vgpr80_vgpr81
                                        ; implicit-def: $vgpr86_vgpr87
                                        ; implicit-def: $vgpr84_vgpr85
                                        ; implicit-def: $vgpr88_vgpr89
                                        ; implicit-def: $vgpr90_vgpr91
                                        ; implicit-def: $vgpr92_vgpr93
                                        ; implicit-def: $vgpr94_vgpr95
                                        ; implicit-def: $vgpr64_vgpr65
.LBB736_322:                            ;   in Loop: Header=BB736_318 Depth=2
	s_mov_b32 s19, s88
	s_lshl_b64 s[20:21], s[18:19], 3
	s_add_u32 s20, s74, s20
	s_addc_u32 s21, s75, s21
	v_cmp_gt_u32_e32 vcc, s24, v2
	s_and_saveexec_b64 s[22:23], vcc
	s_cbranch_execz .LBB736_374
; %bb.323:                              ;   in Loop: Header=BB736_318 Depth=2
	global_load_dwordx2 v[60:61], v118, s[20:21]
	s_or_b64 exec, exec, s[22:23]
	v_cmp_gt_u32_e32 vcc, s24, v7
	s_and_saveexec_b64 s[22:23], vcc
	s_cbranch_execnz .LBB736_375
.LBB736_324:                            ;   in Loop: Header=BB736_318 Depth=2
	s_or_b64 exec, exec, s[22:23]
	v_cmp_gt_u32_e32 vcc, s24, v6
	s_and_saveexec_b64 s[22:23], vcc
	s_cbranch_execz .LBB736_376
.LBB736_325:                            ;   in Loop: Header=BB736_318 Depth=2
	global_load_dwordx2 v[56:57], v119, s[20:21]
	s_or_b64 exec, exec, s[22:23]
	v_cmp_gt_u32_e32 vcc, s24, v8
	s_and_saveexec_b64 s[22:23], vcc
	s_cbranch_execnz .LBB736_377
.LBB736_326:                            ;   in Loop: Header=BB736_318 Depth=2
	s_or_b64 exec, exec, s[22:23]
	v_cmp_gt_u32_e32 vcc, s24, v10
	s_and_saveexec_b64 s[22:23], vcc
	s_cbranch_execz .LBB736_378
.LBB736_327:                            ;   in Loop: Header=BB736_318 Depth=2
	global_load_dwordx2 v[52:53], v121, s[20:21]
	s_or_b64 exec, exec, s[22:23]
	v_cmp_gt_u32_e32 vcc, s24, v12
	s_and_saveexec_b64 s[22:23], vcc
	s_cbranch_execnz .LBB736_379
.LBB736_328:                            ;   in Loop: Header=BB736_318 Depth=2
	s_or_b64 exec, exec, s[22:23]
	v_cmp_gt_u32_e32 vcc, s24, v14
	s_and_saveexec_b64 s[22:23], vcc
	s_cbranch_execz .LBB736_380
.LBB736_329:                            ;   in Loop: Header=BB736_318 Depth=2
	global_load_dwordx2 v[48:49], v123, s[20:21]
	s_or_b64 exec, exec, s[22:23]
	v_cmp_gt_u32_e32 vcc, s24, v16
	s_and_saveexec_b64 s[22:23], vcc
	s_cbranch_execnz .LBB736_381
.LBB736_330:                            ;   in Loop: Header=BB736_318 Depth=2
	s_or_b64 exec, exec, s[22:23]
	v_cmp_gt_u32_e32 vcc, s24, v18
	s_and_saveexec_b64 s[22:23], vcc
	s_cbranch_execz .LBB736_382
.LBB736_331:                            ;   in Loop: Header=BB736_318 Depth=2
	global_load_dwordx2 v[44:45], v125, s[20:21]
	s_or_b64 exec, exec, s[22:23]
	v_cmp_gt_u32_e32 vcc, s24, v20
	s_and_saveexec_b64 s[22:23], vcc
	s_cbranch_execnz .LBB736_383
.LBB736_332:                            ;   in Loop: Header=BB736_318 Depth=2
	s_or_b64 exec, exec, s[22:23]
	v_cmp_gt_u32_e32 vcc, s24, v22
	s_and_saveexec_b64 s[22:23], vcc
	s_cbranch_execz .LBB736_384
.LBB736_333:                            ;   in Loop: Header=BB736_318 Depth=2
	global_load_dwordx2 v[40:41], v127, s[20:21]
	s_or_b64 exec, exec, s[22:23]
	v_cmp_gt_u32_e32 vcc, s24, v24
	s_and_saveexec_b64 s[22:23], vcc
	s_cbranch_execnz .LBB736_385
.LBB736_334:                            ;   in Loop: Header=BB736_318 Depth=2
	s_or_b64 exec, exec, s[22:23]
	v_cmp_gt_u32_e32 vcc, s24, v26
	s_and_saveexec_b64 s[22:23], vcc
	s_cbranch_execz .LBB736_386
.LBB736_335:                            ;   in Loop: Header=BB736_318 Depth=2
	global_load_dwordx2 v[36:37], v129, s[20:21]
	s_or_b64 exec, exec, s[22:23]
	v_cmp_gt_u32_e32 vcc, s24, v28
	s_and_saveexec_b64 s[22:23], vcc
	s_cbranch_execnz .LBB736_387
.LBB736_336:                            ;   in Loop: Header=BB736_318 Depth=2
	s_or_b64 exec, exec, s[22:23]
	v_cmp_gt_u32_e32 vcc, s24, v30
	s_and_saveexec_b64 s[22:23], vcc
	s_cbranch_execz .LBB736_338
.LBB736_337:                            ;   in Loop: Header=BB736_318 Depth=2
	global_load_dwordx2 v[0:1], v131, s[20:21]
.LBB736_338:                            ;   in Loop: Header=BB736_318 Depth=2
	s_or_b64 exec, exec, s[22:23]
	v_cmp_gt_u32_e32 vcc, s24, v32
                                        ; implicit-def: $sgpr26
                                        ; implicit-def: $vgpr64_vgpr65
	s_and_saveexec_b64 s[22:23], vcc
; %bb.339:                              ;   in Loop: Header=BB736_318 Depth=2
	v_mov_b32_e32 v5, s21
	v_add_co_u32_e32 v64, vcc, s20, v132
	s_sub_i32 s26, s94, s18
	v_addc_co_u32_e32 v65, vcc, 0, v5, vcc
	s_or_b64 s[16:17], s[16:17], exec
                                        ; implicit-def: $vgpr62_vgpr63
; %bb.340:                              ;   in Loop: Header=BB736_318 Depth=2
	s_or_b64 exec, exec, s[22:23]
	s_waitcnt vmcnt(0)
	v_pk_mov_b32 v[66:67], v[60:61], v[60:61] op_sel:[0,1]
	v_pk_mov_b32 v[68:69], v[58:59], v[58:59] op_sel:[0,1]
	;; [unrolled: 1-line block ×15, first 2 shown]
	v_mov_b32_e32 v5, s24
	s_and_saveexec_b64 s[18:19], s[16:17]
	s_cbranch_execz .LBB736_342
.LBB736_341:                            ;   in Loop: Header=BB736_318 Depth=2
	global_load_dwordx2 v[62:63], v[64:65], off
	v_mov_b32_e32 v5, s26
	s_waitcnt vmcnt(1)
	v_pk_mov_b32 v[0:1], v[94:95], v[94:95] op_sel:[0,1]
	v_pk_mov_b32 v[34:35], v[92:93], v[92:93] op_sel:[0,1]
	;; [unrolled: 1-line block ×15, first 2 shown]
.LBB736_342:                            ;   in Loop: Header=BB736_318 Depth=2
	s_or_b64 exec, exec, s[18:19]
	v_cmp_lt_u32_e32 vcc, v2, v5
	s_and_saveexec_b64 s[16:17], vcc
	s_cbranch_execz .LBB736_358
; %bb.343:                              ;   in Loop: Header=BB736_318 Depth=2
	v_xor_b32_e32 v65, 0x7fffffff, v61
	v_not_b32_e32 v64, v60
	v_lshrrev_b64 v[64:65], s33, v[64:65]
	v_and_b32_e32 v64, s69, v64
	v_lshl_or_b32 v64, v64, 4, v133
	ds_add_u32 v64, v117
	s_or_b64 exec, exec, s[16:17]
	v_cmp_lt_u32_e32 vcc, v7, v5
	s_and_saveexec_b64 s[16:17], vcc
	s_cbranch_execnz .LBB736_359
.LBB736_344:                            ;   in Loop: Header=BB736_318 Depth=2
	s_or_b64 exec, exec, s[16:17]
	v_cmp_lt_u32_e32 vcc, v6, v5
	s_and_saveexec_b64 s[16:17], vcc
	s_cbranch_execz .LBB736_360
.LBB736_345:                            ;   in Loop: Header=BB736_318 Depth=2
	v_xor_b32_e32 v65, 0x7fffffff, v57
	v_not_b32_e32 v64, v56
	v_lshrrev_b64 v[64:65], s33, v[64:65]
	v_and_b32_e32 v64, s69, v64
	v_lshl_or_b32 v64, v64, 4, v133
	ds_add_u32 v64, v117
	s_or_b64 exec, exec, s[16:17]
	v_cmp_lt_u32_e32 vcc, v8, v5
	s_and_saveexec_b64 s[16:17], vcc
	s_cbranch_execnz .LBB736_361
.LBB736_346:                            ;   in Loop: Header=BB736_318 Depth=2
	s_or_b64 exec, exec, s[16:17]
	v_cmp_lt_u32_e32 vcc, v10, v5
	s_and_saveexec_b64 s[16:17], vcc
	s_cbranch_execz .LBB736_362
.LBB736_347:                            ;   in Loop: Header=BB736_318 Depth=2
	v_xor_b32_e32 v65, 0x7fffffff, v53
	v_not_b32_e32 v64, v52
	v_lshrrev_b64 v[64:65], s33, v[64:65]
	v_and_b32_e32 v64, s69, v64
	v_lshl_or_b32 v64, v64, 4, v133
	ds_add_u32 v64, v117
	s_or_b64 exec, exec, s[16:17]
	v_cmp_lt_u32_e32 vcc, v12, v5
	s_and_saveexec_b64 s[16:17], vcc
	s_cbranch_execnz .LBB736_363
.LBB736_348:                            ;   in Loop: Header=BB736_318 Depth=2
	s_or_b64 exec, exec, s[16:17]
	v_cmp_lt_u32_e32 vcc, v14, v5
	s_and_saveexec_b64 s[16:17], vcc
	s_cbranch_execz .LBB736_364
.LBB736_349:                            ;   in Loop: Header=BB736_318 Depth=2
	v_xor_b32_e32 v65, 0x7fffffff, v49
	v_not_b32_e32 v64, v48
	v_lshrrev_b64 v[64:65], s33, v[64:65]
	v_and_b32_e32 v64, s69, v64
	v_lshl_or_b32 v64, v64, 4, v133
	ds_add_u32 v64, v117
	s_or_b64 exec, exec, s[16:17]
	v_cmp_lt_u32_e32 vcc, v16, v5
	s_and_saveexec_b64 s[16:17], vcc
	s_cbranch_execnz .LBB736_365
.LBB736_350:                            ;   in Loop: Header=BB736_318 Depth=2
	s_or_b64 exec, exec, s[16:17]
	v_cmp_lt_u32_e32 vcc, v18, v5
	s_and_saveexec_b64 s[16:17], vcc
	s_cbranch_execz .LBB736_366
.LBB736_351:                            ;   in Loop: Header=BB736_318 Depth=2
	v_xor_b32_e32 v65, 0x7fffffff, v45
	v_not_b32_e32 v64, v44
	v_lshrrev_b64 v[64:65], s33, v[64:65]
	v_and_b32_e32 v64, s69, v64
	v_lshl_or_b32 v64, v64, 4, v133
	ds_add_u32 v64, v117
	s_or_b64 exec, exec, s[16:17]
	v_cmp_lt_u32_e32 vcc, v20, v5
	s_and_saveexec_b64 s[16:17], vcc
	s_cbranch_execnz .LBB736_367
.LBB736_352:                            ;   in Loop: Header=BB736_318 Depth=2
	s_or_b64 exec, exec, s[16:17]
	v_cmp_lt_u32_e32 vcc, v22, v5
	s_and_saveexec_b64 s[16:17], vcc
	s_cbranch_execz .LBB736_368
.LBB736_353:                            ;   in Loop: Header=BB736_318 Depth=2
	v_xor_b32_e32 v65, 0x7fffffff, v41
	v_not_b32_e32 v64, v40
	v_lshrrev_b64 v[64:65], s33, v[64:65]
	v_and_b32_e32 v64, s69, v64
	v_lshl_or_b32 v64, v64, 4, v133
	ds_add_u32 v64, v117
	s_or_b64 exec, exec, s[16:17]
	v_cmp_lt_u32_e32 vcc, v24, v5
	s_and_saveexec_b64 s[16:17], vcc
	s_cbranch_execnz .LBB736_369
.LBB736_354:                            ;   in Loop: Header=BB736_318 Depth=2
	s_or_b64 exec, exec, s[16:17]
	v_cmp_lt_u32_e32 vcc, v26, v5
	s_and_saveexec_b64 s[16:17], vcc
	s_cbranch_execz .LBB736_370
.LBB736_355:                            ;   in Loop: Header=BB736_318 Depth=2
	v_xor_b32_e32 v65, 0x7fffffff, v37
	v_not_b32_e32 v64, v36
	v_lshrrev_b64 v[64:65], s33, v[64:65]
	v_and_b32_e32 v64, s69, v64
	v_lshl_or_b32 v64, v64, 4, v133
	ds_add_u32 v64, v117
	s_or_b64 exec, exec, s[16:17]
	v_cmp_lt_u32_e32 vcc, v28, v5
	s_and_saveexec_b64 s[16:17], vcc
	s_cbranch_execnz .LBB736_371
.LBB736_356:                            ;   in Loop: Header=BB736_318 Depth=2
	s_or_b64 exec, exec, s[16:17]
	v_cmp_lt_u32_e32 vcc, v30, v5
	s_and_saveexec_b64 s[16:17], vcc
	s_cbranch_execz .LBB736_372
.LBB736_357:                            ;   in Loop: Header=BB736_318 Depth=2
	v_xor_b32_e32 v65, 0x7fffffff, v1
	v_not_b32_e32 v64, v0
	v_lshrrev_b64 v[64:65], s33, v[64:65]
	v_and_b32_e32 v64, s69, v64
	v_lshl_or_b32 v64, v64, 4, v133
	ds_add_u32 v64, v117
	s_or_b64 exec, exec, s[16:17]
	v_cmp_lt_u32_e32 vcc, v32, v5
	s_and_saveexec_b64 s[16:17], vcc
	s_cbranch_execz .LBB736_317
	s_branch .LBB736_373
.LBB736_358:                            ;   in Loop: Header=BB736_318 Depth=2
	s_or_b64 exec, exec, s[16:17]
	v_cmp_lt_u32_e32 vcc, v7, v5
	s_and_saveexec_b64 s[16:17], vcc
	s_cbranch_execz .LBB736_344
.LBB736_359:                            ;   in Loop: Header=BB736_318 Depth=2
	v_xor_b32_e32 v65, 0x7fffffff, v59
	v_not_b32_e32 v64, v58
	v_lshrrev_b64 v[64:65], s33, v[64:65]
	v_and_b32_e32 v64, s69, v64
	v_lshl_or_b32 v64, v64, 4, v133
	ds_add_u32 v64, v117
	s_or_b64 exec, exec, s[16:17]
	v_cmp_lt_u32_e32 vcc, v6, v5
	s_and_saveexec_b64 s[16:17], vcc
	s_cbranch_execnz .LBB736_345
.LBB736_360:                            ;   in Loop: Header=BB736_318 Depth=2
	s_or_b64 exec, exec, s[16:17]
	v_cmp_lt_u32_e32 vcc, v8, v5
	s_and_saveexec_b64 s[16:17], vcc
	s_cbranch_execz .LBB736_346
.LBB736_361:                            ;   in Loop: Header=BB736_318 Depth=2
	v_xor_b32_e32 v65, 0x7fffffff, v55
	v_not_b32_e32 v64, v54
	v_lshrrev_b64 v[64:65], s33, v[64:65]
	v_and_b32_e32 v64, s69, v64
	v_lshl_or_b32 v64, v64, 4, v133
	ds_add_u32 v64, v117
	s_or_b64 exec, exec, s[16:17]
	v_cmp_lt_u32_e32 vcc, v10, v5
	s_and_saveexec_b64 s[16:17], vcc
	s_cbranch_execnz .LBB736_347
.LBB736_362:                            ;   in Loop: Header=BB736_318 Depth=2
	s_or_b64 exec, exec, s[16:17]
	v_cmp_lt_u32_e32 vcc, v12, v5
	s_and_saveexec_b64 s[16:17], vcc
	s_cbranch_execz .LBB736_348
.LBB736_363:                            ;   in Loop: Header=BB736_318 Depth=2
	v_xor_b32_e32 v65, 0x7fffffff, v51
	v_not_b32_e32 v64, v50
	v_lshrrev_b64 v[64:65], s33, v[64:65]
	v_and_b32_e32 v64, s69, v64
	v_lshl_or_b32 v64, v64, 4, v133
	ds_add_u32 v64, v117
	s_or_b64 exec, exec, s[16:17]
	v_cmp_lt_u32_e32 vcc, v14, v5
	s_and_saveexec_b64 s[16:17], vcc
	s_cbranch_execnz .LBB736_349
.LBB736_364:                            ;   in Loop: Header=BB736_318 Depth=2
	s_or_b64 exec, exec, s[16:17]
	v_cmp_lt_u32_e32 vcc, v16, v5
	s_and_saveexec_b64 s[16:17], vcc
	s_cbranch_execz .LBB736_350
.LBB736_365:                            ;   in Loop: Header=BB736_318 Depth=2
	v_xor_b32_e32 v65, 0x7fffffff, v47
	v_not_b32_e32 v64, v46
	v_lshrrev_b64 v[64:65], s33, v[64:65]
	v_and_b32_e32 v64, s69, v64
	v_lshl_or_b32 v64, v64, 4, v133
	ds_add_u32 v64, v117
	s_or_b64 exec, exec, s[16:17]
	v_cmp_lt_u32_e32 vcc, v18, v5
	s_and_saveexec_b64 s[16:17], vcc
	s_cbranch_execnz .LBB736_351
.LBB736_366:                            ;   in Loop: Header=BB736_318 Depth=2
	s_or_b64 exec, exec, s[16:17]
	v_cmp_lt_u32_e32 vcc, v20, v5
	s_and_saveexec_b64 s[16:17], vcc
	s_cbranch_execz .LBB736_352
.LBB736_367:                            ;   in Loop: Header=BB736_318 Depth=2
	v_xor_b32_e32 v65, 0x7fffffff, v43
	v_not_b32_e32 v64, v42
	v_lshrrev_b64 v[64:65], s33, v[64:65]
	v_and_b32_e32 v64, s69, v64
	v_lshl_or_b32 v64, v64, 4, v133
	ds_add_u32 v64, v117
	s_or_b64 exec, exec, s[16:17]
	v_cmp_lt_u32_e32 vcc, v22, v5
	s_and_saveexec_b64 s[16:17], vcc
	s_cbranch_execnz .LBB736_353
.LBB736_368:                            ;   in Loop: Header=BB736_318 Depth=2
	s_or_b64 exec, exec, s[16:17]
	v_cmp_lt_u32_e32 vcc, v24, v5
	s_and_saveexec_b64 s[16:17], vcc
	s_cbranch_execz .LBB736_354
.LBB736_369:                            ;   in Loop: Header=BB736_318 Depth=2
	v_xor_b32_e32 v65, 0x7fffffff, v39
	v_not_b32_e32 v64, v38
	v_lshrrev_b64 v[64:65], s33, v[64:65]
	v_and_b32_e32 v64, s69, v64
	v_lshl_or_b32 v64, v64, 4, v133
	ds_add_u32 v64, v117
	s_or_b64 exec, exec, s[16:17]
	v_cmp_lt_u32_e32 vcc, v26, v5
	s_and_saveexec_b64 s[16:17], vcc
	s_cbranch_execnz .LBB736_355
.LBB736_370:                            ;   in Loop: Header=BB736_318 Depth=2
	s_or_b64 exec, exec, s[16:17]
	v_cmp_lt_u32_e32 vcc, v28, v5
	s_and_saveexec_b64 s[16:17], vcc
	s_cbranch_execz .LBB736_356
.LBB736_371:                            ;   in Loop: Header=BB736_318 Depth=2
	v_xor_b32_e32 v65, 0x7fffffff, v35
	v_not_b32_e32 v64, v34
	v_lshrrev_b64 v[64:65], s33, v[64:65]
	v_and_b32_e32 v64, s69, v64
	v_lshl_or_b32 v64, v64, 4, v133
	ds_add_u32 v64, v117
	s_or_b64 exec, exec, s[16:17]
	v_cmp_lt_u32_e32 vcc, v30, v5
	s_and_saveexec_b64 s[16:17], vcc
	s_cbranch_execnz .LBB736_357
.LBB736_372:                            ;   in Loop: Header=BB736_318 Depth=2
	s_or_b64 exec, exec, s[16:17]
	v_cmp_lt_u32_e32 vcc, v32, v5
	s_and_saveexec_b64 s[16:17], vcc
	s_cbranch_execz .LBB736_317
.LBB736_373:                            ;   in Loop: Header=BB736_318 Depth=2
	s_waitcnt vmcnt(0)
	v_xor_b32_e32 v65, 0x7fffffff, v63
	v_not_b32_e32 v64, v62
	v_lshrrev_b64 v[64:65], s33, v[64:65]
	v_and_b32_e32 v5, s69, v64
	v_lshl_or_b32 v5, v5, 4, v133
	ds_add_u32 v5, v117
	s_branch .LBB736_317
.LBB736_374:                            ;   in Loop: Header=BB736_318 Depth=2
	s_or_b64 exec, exec, s[22:23]
	v_cmp_gt_u32_e32 vcc, s24, v7
	s_and_saveexec_b64 s[22:23], vcc
	s_cbranch_execz .LBB736_324
.LBB736_375:                            ;   in Loop: Header=BB736_318 Depth=2
	global_load_dwordx2 v[58:59], v118, s[20:21] offset:2048
	s_or_b64 exec, exec, s[22:23]
	v_cmp_gt_u32_e32 vcc, s24, v6
	s_and_saveexec_b64 s[22:23], vcc
	s_cbranch_execnz .LBB736_325
.LBB736_376:                            ;   in Loop: Header=BB736_318 Depth=2
	s_or_b64 exec, exec, s[22:23]
	v_cmp_gt_u32_e32 vcc, s24, v8
	s_and_saveexec_b64 s[22:23], vcc
	s_cbranch_execz .LBB736_326
.LBB736_377:                            ;   in Loop: Header=BB736_318 Depth=2
	global_load_dwordx2 v[54:55], v120, s[20:21]
	s_or_b64 exec, exec, s[22:23]
	v_cmp_gt_u32_e32 vcc, s24, v10
	s_and_saveexec_b64 s[22:23], vcc
	s_cbranch_execnz .LBB736_327
.LBB736_378:                            ;   in Loop: Header=BB736_318 Depth=2
	s_or_b64 exec, exec, s[22:23]
	v_cmp_gt_u32_e32 vcc, s24, v12
	s_and_saveexec_b64 s[22:23], vcc
	s_cbranch_execz .LBB736_328
.LBB736_379:                            ;   in Loop: Header=BB736_318 Depth=2
	global_load_dwordx2 v[50:51], v122, s[20:21]
	s_or_b64 exec, exec, s[22:23]
	v_cmp_gt_u32_e32 vcc, s24, v14
	s_and_saveexec_b64 s[22:23], vcc
	s_cbranch_execnz .LBB736_329
.LBB736_380:                            ;   in Loop: Header=BB736_318 Depth=2
	s_or_b64 exec, exec, s[22:23]
	v_cmp_gt_u32_e32 vcc, s24, v16
	s_and_saveexec_b64 s[22:23], vcc
	s_cbranch_execz .LBB736_330
.LBB736_381:                            ;   in Loop: Header=BB736_318 Depth=2
	global_load_dwordx2 v[46:47], v124, s[20:21]
	s_or_b64 exec, exec, s[22:23]
	v_cmp_gt_u32_e32 vcc, s24, v18
	s_and_saveexec_b64 s[22:23], vcc
	s_cbranch_execnz .LBB736_331
.LBB736_382:                            ;   in Loop: Header=BB736_318 Depth=2
	s_or_b64 exec, exec, s[22:23]
	v_cmp_gt_u32_e32 vcc, s24, v20
	s_and_saveexec_b64 s[22:23], vcc
	s_cbranch_execz .LBB736_332
.LBB736_383:                            ;   in Loop: Header=BB736_318 Depth=2
	global_load_dwordx2 v[42:43], v126, s[20:21]
	s_or_b64 exec, exec, s[22:23]
	v_cmp_gt_u32_e32 vcc, s24, v22
	s_and_saveexec_b64 s[22:23], vcc
	s_cbranch_execnz .LBB736_333
.LBB736_384:                            ;   in Loop: Header=BB736_318 Depth=2
	s_or_b64 exec, exec, s[22:23]
	v_cmp_gt_u32_e32 vcc, s24, v24
	s_and_saveexec_b64 s[22:23], vcc
	s_cbranch_execz .LBB736_334
.LBB736_385:                            ;   in Loop: Header=BB736_318 Depth=2
	global_load_dwordx2 v[38:39], v128, s[20:21]
	s_or_b64 exec, exec, s[22:23]
	v_cmp_gt_u32_e32 vcc, s24, v26
	s_and_saveexec_b64 s[22:23], vcc
	s_cbranch_execnz .LBB736_335
.LBB736_386:                            ;   in Loop: Header=BB736_318 Depth=2
	s_or_b64 exec, exec, s[22:23]
	v_cmp_gt_u32_e32 vcc, s24, v28
	s_and_saveexec_b64 s[22:23], vcc
	s_cbranch_execz .LBB736_336
.LBB736_387:                            ;   in Loop: Header=BB736_318 Depth=2
	global_load_dwordx2 v[34:35], v130, s[20:21]
	s_or_b64 exec, exec, s[22:23]
	v_cmp_gt_u32_e32 vcc, s24, v30
	s_and_saveexec_b64 s[22:23], vcc
	s_cbranch_execz .LBB736_338
	s_branch .LBB736_337
.LBB736_388:                            ;   in Loop: Header=BB736_20 Depth=1
	v_mov_b32_e32 v0, 0
	s_waitcnt lgkmcnt(0)
	s_barrier
	s_and_saveexec_b64 s[16:17], s[4:5]
	s_cbranch_execz .LBB736_390
; %bb.389:                              ;   in Loop: Header=BB736_20 Depth=1
	ds_read2_b64 v[34:37], v13 offset1:1
	s_waitcnt lgkmcnt(0)
	v_add_u32_e32 v0, v35, v34
	v_add3_u32 v0, v0, v36, v37
.LBB736_390:                            ;   in Loop: Header=BB736_20 Depth=1
	s_or_b64 exec, exec, s[16:17]
	s_nop 0
	v_mov_b32_dpp v1, v0 row_shr:1 row_mask:0xf bank_mask:0xf
	v_cmp_eq_u32_e64 s[16:17], 0, v135
	v_cndmask_b32_e64 v1, v1, 0, s[16:17]
	v_add_u32_e32 v0, v1, v0
	v_cmp_lt_u32_e64 s[18:19], 1, v135
	v_cmp_lt_u32_e64 s[20:21], 3, v135
	v_mov_b32_dpp v1, v0 row_shr:2 row_mask:0xf bank_mask:0xf
	v_cndmask_b32_e64 v1, 0, v1, s[18:19]
	v_add_u32_e32 v0, v0, v1
	v_cmp_lt_u32_e64 s[22:23], 7, v135
	v_cmp_lt_u32_e64 s[26:27], 31, v134
	v_mov_b32_dpp v1, v0 row_shr:4 row_mask:0xf bank_mask:0xf
	v_cndmask_b32_e64 v1, 0, v1, s[20:21]
	v_add_u32_e32 v0, v0, v1
	v_cmp_eq_u32_e64 s[24:25], 0, v137
	s_nop 0
	v_mov_b32_dpp v1, v0 row_shr:8 row_mask:0xf bank_mask:0xf
	v_cndmask_b32_e64 v1, 0, v1, s[22:23]
	v_add_u32_e32 v0, v0, v1
	s_nop 1
	v_mov_b32_dpp v1, v0 row_bcast:15 row_mask:0xf bank_mask:0xf
	v_and_b32_e32 v1, v136, v1
	v_add_u32_e32 v0, v0, v1
	s_nop 1
	v_mov_b32_dpp v1, v0 row_bcast:31 row_mask:0xf bank_mask:0xf
	v_cndmask_b32_e64 v1, 0, v1, s[26:27]
	v_add_u32_e32 v0, v0, v1
	s_and_saveexec_b64 s[28:29], s[6:7]
	s_cbranch_execz .LBB736_392
; %bb.391:                              ;   in Loop: Header=BB736_20 Depth=1
	ds_write_b32 v17, v0
.LBB736_392:                            ;   in Loop: Header=BB736_20 Depth=1
	s_or_b64 exec, exec, s[28:29]
	s_waitcnt lgkmcnt(0)
	s_barrier
	s_and_saveexec_b64 s[28:29], s[8:9]
	s_cbranch_execz .LBB736_394
; %bb.393:                              ;   in Loop: Header=BB736_20 Depth=1
	ds_read_b32 v1, v19
	v_cmp_ne_u32_e32 vcc, 0, v138
	s_waitcnt lgkmcnt(0)
	v_mov_b32_dpp v5, v1 row_shr:1 row_mask:0xf bank_mask:0xf
	v_cndmask_b32_e32 v5, 0, v5, vcc
	v_add_u32_e32 v1, v5, v1
	v_cmp_lt_u32_e32 vcc, 1, v138
	s_nop 0
	v_mov_b32_dpp v5, v1 row_shr:2 row_mask:0xf bank_mask:0xf
	v_cndmask_b32_e32 v5, 0, v5, vcc
	v_add_u32_e32 v1, v1, v5
	ds_write_b32 v19, v1
.LBB736_394:                            ;   in Loop: Header=BB736_20 Depth=1
	s_or_b64 exec, exec, s[28:29]
	v_mov_b32_e32 v1, 0
	s_waitcnt lgkmcnt(0)
	s_barrier
	s_and_saveexec_b64 s[28:29], s[10:11]
	s_cbranch_execz .LBB736_396
; %bb.395:                              ;   in Loop: Header=BB736_20 Depth=1
	ds_read_b32 v1, v21
.LBB736_396:                            ;   in Loop: Header=BB736_20 Depth=1
	s_or_b64 exec, exec, s[28:29]
	v_cmp_lt_i32_e32 vcc, v139, v140
	v_cndmask_b32_e32 v5, v139, v134, vcc
	s_waitcnt lgkmcnt(0)
	v_add_u32_e32 v0, v1, v0
	v_lshlrev_b32_e32 v158, 2, v5
	ds_bpermute_b32 v0, v158, v0
	v_cmp_eq_u32_e64 s[28:29], 0, v134
	s_waitcnt lgkmcnt(0)
	s_barrier
	s_and_saveexec_b64 s[30:31], s[4:5]
	s_cbranch_execz .LBB736_398
; %bb.397:                              ;   in Loop: Header=BB736_20 Depth=1
	v_cndmask_b32_e64 v0, v0, v1, s[28:29]
	v_add_u32_e32 v0, s38, v0
	ds_write_b32 v3, v0
.LBB736_398:                            ;   in Loop: Header=BB736_20 Depth=1
	s_or_b64 exec, exec, s[30:31]
	s_load_dwordx2 s[30:31], s[90:91], 0x0
	v_readlane_b32 s34, v235, 1
	v_add_co_u32_e32 v159, vcc, v107, v141
	v_addc_co_u32_e32 v160, vcc, 0, v108, vcc
	s_waitcnt lgkmcnt(0)
	s_cmp_lt_u32 s34, s30
	v_readlane_b32 s30, v235, 0
	s_cselect_b32 s34, 12, 18
	s_cmp_lt_u32 s30, s31
	s_cselect_b32 s30, 14, 20
	s_add_u32 s30, s90, s30
	s_addc_u32 s31, s91, 0
	s_add_u32 s34, s90, s34
	global_load_ushort v5, v4, s[30:31]
	s_addc_u32 s35, s91, 0
	global_load_ushort v64, v4, s[34:35]
	v_add_co_u32_e32 v161, vcc, v109, v141
	v_addc_co_u32_e32 v162, vcc, 0, v110, vcc
	v_add_co_u32_e32 v176, vcc, 0x1e00, v161
	v_cmp_eq_u32_e64 s[30:31], 0, v138
	v_cmp_lt_u32_e64 s[34:35], 1, v138
	s_mov_b32 s86, s85
	v_addc_co_u32_e32 v179, vcc, 0, v162, vcc
	s_mov_b32 s78, s38
                                        ; implicit-def: $vgpr0_vgpr1
                                        ; implicit-def: $vgpr34_vgpr35
                                        ; implicit-def: $vgpr36_vgpr37
                                        ; implicit-def: $vgpr40_vgpr41
                                        ; implicit-def: $vgpr44_vgpr45
                                        ; implicit-def: $vgpr48_vgpr49
                                        ; implicit-def: $vgpr52_vgpr53
                                        ; implicit-def: $vgpr56_vgpr57
                                        ; implicit-def: $vgpr38_vgpr39
                                        ; implicit-def: $vgpr42_vgpr43
                                        ; implicit-def: $vgpr46_vgpr47
                                        ; implicit-def: $vgpr50_vgpr51
                                        ; implicit-def: $vgpr54_vgpr55
                                        ; implicit-def: $vgpr58_vgpr59
                                        ; implicit-def: $vgpr60_vgpr61
                                        ; implicit-def: $vgpr62_vgpr63
                                        ; implicit-def: $vgpr163
                                        ; implicit-def: $vgpr164
                                        ; implicit-def: $vgpr165
                                        ; implicit-def: $vgpr166
                                        ; implicit-def: $vgpr167
                                        ; implicit-def: $vgpr168
                                        ; implicit-def: $vgpr169
                                        ; implicit-def: $vgpr170
                                        ; implicit-def: $vgpr171
                                        ; implicit-def: $vgpr172
                                        ; implicit-def: $vgpr173
                                        ; implicit-def: $vgpr174
                                        ; implicit-def: $vgpr175
                                        ; implicit-def: $vgpr177
                                        ; implicit-def: $vgpr178
                                        ; implicit-def: $vgpr180
	s_waitcnt vmcnt(1)
	v_mad_u32_u24 v5, v23, v5, v25
	s_waitcnt vmcnt(0)
	v_mad_u64_u32 v[64:65], s[36:37], v5, v64, v[2:3]
	v_lshrrev_b32_e32 v181, 6, v64
	s_branch .LBB736_400
.LBB736_399:                            ;   in Loop: Header=BB736_400 Depth=2
	s_or_b64 exec, exec, s[36:37]
	s_addk_i32 s86, 0xf000
	s_cmp_lt_u32 s87, s94
	s_mov_b32 s78, s87
	s_cbranch_scc0 .LBB736_608
.LBB736_400:                            ;   Parent Loop BB736_20 Depth=1
                                        ; =>  This Inner Loop Header: Depth=2
	s_add_i32 s87, s78, 0x1000
	s_cmp_gt_u32 s87, s94
	s_cbranch_scc1 .LBB736_402
; %bb.401:                              ;   in Loop: Header=BB736_400 Depth=2
	s_mov_b32 s79, s88
	s_lshl_b64 s[36:37], s[78:79], 3
	v_mov_b32_e32 v5, s37
	v_add_co_u32_e32 v68, vcc, s36, v161
	v_addc_co_u32_e32 v69, vcc, v162, v5, vcc
	global_load_dwordx2 v[64:65], v[68:69], off
	global_load_dwordx2 v[66:67], v[68:69], off offset:512
	global_load_dwordx2 v[74:75], v[68:69], off offset:1024
	;; [unrolled: 1-line block ×7, first 2 shown]
	v_add_co_u32_e32 v68, vcc, 0x1000, v68
	v_addc_co_u32_e32 v69, vcc, 0, v69, vcc
	global_load_dwordx2 v[92:93], v[68:69], off
	global_load_dwordx2 v[88:89], v[68:69], off offset:512
	global_load_dwordx2 v[84:85], v[68:69], off offset:1024
	;; [unrolled: 1-line block ×5, first 2 shown]
	s_nop 0
	global_load_dwordx2 v[68:69], v[68:69], off offset:3072
	s_movk_i32 s40, 0x1000
	s_mov_b64 s[36:37], -1
	s_cbranch_execz .LBB736_403
	s_branch .LBB736_434
.LBB736_402:                            ;   in Loop: Header=BB736_400 Depth=2
	s_mov_b64 s[36:37], 0
                                        ; implicit-def: $sgpr40
                                        ; implicit-def: $vgpr64_vgpr65
                                        ; implicit-def: $vgpr66_vgpr67
                                        ; implicit-def: $vgpr74_vgpr75
                                        ; implicit-def: $vgpr78_vgpr79
                                        ; implicit-def: $vgpr82_vgpr83
                                        ; implicit-def: $vgpr86_vgpr87
                                        ; implicit-def: $vgpr90_vgpr91
                                        ; implicit-def: $vgpr94_vgpr95
                                        ; implicit-def: $vgpr92_vgpr93
                                        ; implicit-def: $vgpr88_vgpr89
                                        ; implicit-def: $vgpr84_vgpr85
                                        ; implicit-def: $vgpr80_vgpr81
                                        ; implicit-def: $vgpr76_vgpr77
                                        ; implicit-def: $vgpr72_vgpr73
                                        ; implicit-def: $vgpr68_vgpr69
.LBB736_403:                            ;   in Loop: Header=BB736_400 Depth=2
	s_mov_b32 s79, s88
	s_lshl_b64 s[36:37], s[78:79], 3
	v_mov_b32_e32 v5, s37
	v_add_co_u32_e32 v70, vcc, s36, v161
	v_addc_co_u32_e32 v71, vcc, v162, v5, vcc
	v_cmp_gt_u32_e32 vcc, s86, v142
	s_waitcnt vmcnt(14)
	v_pk_mov_b32 v[64:65], s[88:89], s[88:89] op_sel:[0,1]
	s_and_saveexec_b64 s[36:37], vcc
	s_cbranch_execz .LBB736_405
; %bb.404:                              ;   in Loop: Header=BB736_400 Depth=2
	global_load_dwordx2 v[64:65], v[70:71], off
.LBB736_405:                            ;   in Loop: Header=BB736_400 Depth=2
	s_or_b64 exec, exec, s[36:37]
	v_cmp_gt_u32_e32 vcc, s86, v143
	s_waitcnt vmcnt(13)
	v_pk_mov_b32 v[66:67], s[88:89], s[88:89] op_sel:[0,1]
	s_and_saveexec_b64 s[36:37], vcc
	s_cbranch_execz .LBB736_407
; %bb.406:                              ;   in Loop: Header=BB736_400 Depth=2
	global_load_dwordx2 v[66:67], v[70:71], off offset:512
.LBB736_407:                            ;   in Loop: Header=BB736_400 Depth=2
	s_or_b64 exec, exec, s[36:37]
	v_cmp_gt_u32_e32 vcc, s86, v144
	s_waitcnt vmcnt(12)
	v_pk_mov_b32 v[74:75], s[88:89], s[88:89] op_sel:[0,1]
	s_and_saveexec_b64 s[36:37], vcc
	s_cbranch_execz .LBB736_409
; %bb.408:                              ;   in Loop: Header=BB736_400 Depth=2
	global_load_dwordx2 v[74:75], v[70:71], off offset:1024
.LBB736_409:                            ;   in Loop: Header=BB736_400 Depth=2
	;; [unrolled: 9-line block ×7, first 2 shown]
	s_or_b64 exec, exec, s[36:37]
	v_cmp_gt_u32_e32 vcc, s86, v150
	s_waitcnt vmcnt(6)
	v_pk_mov_b32 v[92:93], s[88:89], s[88:89] op_sel:[0,1]
	s_and_saveexec_b64 s[36:37], vcc
	s_cbranch_execz .LBB736_421
; %bb.420:                              ;   in Loop: Header=BB736_400 Depth=2
	s_waitcnt vmcnt(0)
	v_add_co_u32_e32 v68, vcc, 0x1000, v70
	v_addc_co_u32_e32 v69, vcc, 0, v71, vcc
	global_load_dwordx2 v[92:93], v[68:69], off
.LBB736_421:                            ;   in Loop: Header=BB736_400 Depth=2
	s_or_b64 exec, exec, s[36:37]
	v_cmp_gt_u32_e32 vcc, s86, v151
	s_waitcnt vmcnt(5)
	v_pk_mov_b32 v[88:89], s[88:89], s[88:89] op_sel:[0,1]
	s_and_saveexec_b64 s[36:37], vcc
	s_cbranch_execz .LBB736_423
; %bb.422:                              ;   in Loop: Header=BB736_400 Depth=2
	s_waitcnt vmcnt(0)
	v_add_co_u32_e32 v68, vcc, 0x1000, v70
	v_addc_co_u32_e32 v69, vcc, 0, v71, vcc
	global_load_dwordx2 v[88:89], v[68:69], off offset:512
.LBB736_423:                            ;   in Loop: Header=BB736_400 Depth=2
	s_or_b64 exec, exec, s[36:37]
	v_cmp_gt_u32_e32 vcc, s86, v152
	s_waitcnt vmcnt(4)
	v_pk_mov_b32 v[84:85], s[88:89], s[88:89] op_sel:[0,1]
	s_and_saveexec_b64 s[36:37], vcc
	s_cbranch_execz .LBB736_425
; %bb.424:                              ;   in Loop: Header=BB736_400 Depth=2
	s_waitcnt vmcnt(0)
	v_add_co_u32_e32 v68, vcc, 0x1000, v70
	v_addc_co_u32_e32 v69, vcc, 0, v71, vcc
	global_load_dwordx2 v[84:85], v[68:69], off offset:1024
.LBB736_425:                            ;   in Loop: Header=BB736_400 Depth=2
	;; [unrolled: 12-line block ×5, first 2 shown]
	s_or_b64 exec, exec, s[36:37]
	v_cmp_gt_u32_e32 vcc, s86, v156
	s_waitcnt vmcnt(0)
	v_pk_mov_b32 v[68:69], s[88:89], s[88:89] op_sel:[0,1]
	s_and_saveexec_b64 s[36:37], vcc
	s_cbranch_execz .LBB736_433
; %bb.432:                              ;   in Loop: Header=BB736_400 Depth=2
	v_add_co_u32_e32 v68, vcc, 0x1000, v70
	v_addc_co_u32_e32 v69, vcc, 0, v71, vcc
	global_load_dwordx2 v[68:69], v[68:69], off offset:3072
.LBB736_433:                            ;   in Loop: Header=BB736_400 Depth=2
	s_or_b64 exec, exec, s[36:37]
	s_sub_i32 s40, s94, s78
	v_cmp_gt_u32_e64 s[36:37], s86, v157
.LBB736_434:                            ;   in Loop: Header=BB736_400 Depth=2
	v_pk_mov_b32 v[70:71], s[88:89], s[88:89] op_sel:[0,1]
	v_mov_b32_e32 v182, s86
	s_and_saveexec_b64 s[38:39], s[36:37]
	s_cbranch_execz .LBB736_436
; %bb.435:                              ;   in Loop: Header=BB736_400 Depth=2
	s_lshl_b64 s[36:37], s[78:79], 3
	v_mov_b32_e32 v5, s37
	v_add_co_u32_e32 v70, vcc, s36, v176
	v_addc_co_u32_e32 v71, vcc, v179, v5, vcc
	global_load_dwordx2 v[70:71], v[70:71], off
	v_mov_b32_e32 v182, s40
.LBB736_436:                            ;   in Loop: Header=BB736_400 Depth=2
	s_or_b64 exec, exec, s[38:39]
	s_waitcnt vmcnt(14)
	v_xor_b32_e32 v65, 0x7fffffff, v65
	v_not_b32_e32 v64, v64
	v_lshrrev_b64 v[96:97], s33, v[64:65]
	v_add_u32_e32 v5, 0x410, v27
	v_and_b32_e32 v96, s69, v96
	ds_write2_b32 v5, v4, v4 offset1:1
	ds_write2_b32 v31, v4, v4 offset0:2 offset1:3
	ds_write_b32 v31, v4 offset:16
	v_mad_u32_u24 v5, v96, 5, v181
	v_lshl_add_u32 v183, v5, 2, v29
	v_and_b32_e32 v5, 1, v96
	v_add_co_u32_e32 v97, vcc, -1, v5
	v_addc_co_u32_e64 v98, s[36:37], 0, -1, vcc
	v_cmp_ne_u32_e32 vcc, 0, v5
	v_xor_b32_e32 v5, vcc_hi, v98
	v_and_b32_e32 v98, exec_hi, v5
	v_lshlrev_b32_e32 v5, 30, v96
	v_xor_b32_e32 v97, vcc_lo, v97
	v_cmp_gt_i64_e32 vcc, 0, v[4:5]
	v_not_b32_e32 v5, v5
	v_ashrrev_i32_e32 v5, 31, v5
	v_and_b32_e32 v97, exec_lo, v97
	v_xor_b32_e32 v99, vcc_hi, v5
	v_xor_b32_e32 v5, vcc_lo, v5
	v_and_b32_e32 v97, v97, v5
	v_lshlrev_b32_e32 v5, 29, v96
	v_cmp_gt_i64_e32 vcc, 0, v[4:5]
	v_not_b32_e32 v5, v5
	v_ashrrev_i32_e32 v5, 31, v5
	v_and_b32_e32 v98, v98, v99
	v_xor_b32_e32 v99, vcc_hi, v5
	v_xor_b32_e32 v5, vcc_lo, v5
	v_and_b32_e32 v97, v97, v5
	v_lshlrev_b32_e32 v5, 28, v96
	v_cmp_gt_i64_e32 vcc, 0, v[4:5]
	v_not_b32_e32 v5, v5
	v_ashrrev_i32_e32 v5, 31, v5
	v_and_b32_e32 v98, v98, v99
	;; [unrolled: 8-line block ×5, first 2 shown]
	v_xor_b32_e32 v99, vcc_hi, v5
	v_xor_b32_e32 v5, vcc_lo, v5
	v_and_b32_e32 v98, v98, v99
	v_and_b32_e32 v99, v97, v5
	v_lshlrev_b32_e32 v5, 24, v96
	v_cmp_gt_i64_e32 vcc, 0, v[4:5]
	v_not_b32_e32 v5, v5
	v_ashrrev_i32_e32 v5, 31, v5
	v_xor_b32_e32 v96, vcc_hi, v5
	v_xor_b32_e32 v5, vcc_lo, v5
	v_and_b32_e32 v97, v98, v96
	v_and_b32_e32 v96, v99, v5
	v_mbcnt_lo_u32_b32 v5, v96, 0
	v_mbcnt_hi_u32_b32 v184, v97, v5
	v_cmp_eq_u32_e32 vcc, 0, v184
	v_cmp_ne_u64_e64 s[36:37], 0, v[96:97]
	s_and_b64 s[38:39], s[36:37], vcc
	s_waitcnt lgkmcnt(0)
	s_barrier
	s_waitcnt lgkmcnt(0)
	; wave barrier
	s_and_saveexec_b64 s[36:37], s[38:39]
	s_cbranch_execz .LBB736_438
; %bb.437:                              ;   in Loop: Header=BB736_400 Depth=2
	v_bcnt_u32_b32 v5, v96, 0
	v_bcnt_u32_b32 v5, v97, v5
	ds_write_b32 v183, v5
.LBB736_438:                            ;   in Loop: Header=BB736_400 Depth=2
	s_or_b64 exec, exec, s[36:37]
	s_waitcnt vmcnt(13)
	v_xor_b32_e32 v67, 0x7fffffff, v67
	v_not_b32_e32 v66, v66
	v_lshrrev_b64 v[96:97], s33, v[66:67]
	v_and_b32_e32 v96, s69, v96
	v_mul_u32_u24_e32 v5, 5, v96
	v_add_lshl_u32 v5, v5, v181, 2
	; wave barrier
	v_add_u32_e32 v186, 0x410, v5
	ds_read_b32 v185, v5 offset:1040
	v_and_b32_e32 v5, 1, v96
	v_add_co_u32_e32 v97, vcc, -1, v5
	v_addc_co_u32_e64 v98, s[36:37], 0, -1, vcc
	v_cmp_ne_u32_e32 vcc, 0, v5
	v_xor_b32_e32 v5, vcc_hi, v98
	v_and_b32_e32 v98, exec_hi, v5
	v_lshlrev_b32_e32 v5, 30, v96
	v_xor_b32_e32 v97, vcc_lo, v97
	v_cmp_gt_i64_e32 vcc, 0, v[4:5]
	v_not_b32_e32 v5, v5
	v_ashrrev_i32_e32 v5, 31, v5
	v_and_b32_e32 v97, exec_lo, v97
	v_xor_b32_e32 v99, vcc_hi, v5
	v_xor_b32_e32 v5, vcc_lo, v5
	v_and_b32_e32 v97, v97, v5
	v_lshlrev_b32_e32 v5, 29, v96
	v_cmp_gt_i64_e32 vcc, 0, v[4:5]
	v_not_b32_e32 v5, v5
	v_ashrrev_i32_e32 v5, 31, v5
	v_and_b32_e32 v98, v98, v99
	v_xor_b32_e32 v99, vcc_hi, v5
	v_xor_b32_e32 v5, vcc_lo, v5
	v_and_b32_e32 v97, v97, v5
	v_lshlrev_b32_e32 v5, 28, v96
	v_cmp_gt_i64_e32 vcc, 0, v[4:5]
	v_not_b32_e32 v5, v5
	v_ashrrev_i32_e32 v5, 31, v5
	v_and_b32_e32 v98, v98, v99
	;; [unrolled: 8-line block ×5, first 2 shown]
	v_xor_b32_e32 v99, vcc_hi, v5
	v_xor_b32_e32 v5, vcc_lo, v5
	v_and_b32_e32 v98, v98, v99
	v_and_b32_e32 v99, v97, v5
	v_lshlrev_b32_e32 v5, 24, v96
	v_cmp_gt_i64_e32 vcc, 0, v[4:5]
	v_not_b32_e32 v5, v5
	v_ashrrev_i32_e32 v5, 31, v5
	v_xor_b32_e32 v96, vcc_hi, v5
	v_xor_b32_e32 v5, vcc_lo, v5
	v_and_b32_e32 v97, v98, v96
	v_and_b32_e32 v96, v99, v5
	v_mbcnt_lo_u32_b32 v5, v96, 0
	v_mbcnt_hi_u32_b32 v187, v97, v5
	v_cmp_eq_u32_e32 vcc, 0, v187
	v_cmp_ne_u64_e64 s[36:37], 0, v[96:97]
	s_and_b64 s[38:39], s[36:37], vcc
	; wave barrier
	s_and_saveexec_b64 s[36:37], s[38:39]
	s_cbranch_execz .LBB736_440
; %bb.439:                              ;   in Loop: Header=BB736_400 Depth=2
	v_bcnt_u32_b32 v5, v96, 0
	v_bcnt_u32_b32 v5, v97, v5
	s_waitcnt lgkmcnt(0)
	v_add_u32_e32 v5, v185, v5
	ds_write_b32 v186, v5
.LBB736_440:                            ;   in Loop: Header=BB736_400 Depth=2
	s_or_b64 exec, exec, s[36:37]
	s_waitcnt vmcnt(12)
	v_xor_b32_e32 v75, 0x7fffffff, v75
	v_not_b32_e32 v74, v74
	v_lshrrev_b64 v[96:97], s33, v[74:75]
	v_and_b32_e32 v96, s69, v96
	v_mul_u32_u24_e32 v5, 5, v96
	v_add_lshl_u32 v5, v5, v181, 2
	; wave barrier
	v_add_u32_e32 v189, 0x410, v5
	ds_read_b32 v188, v5 offset:1040
	v_and_b32_e32 v5, 1, v96
	v_add_co_u32_e32 v97, vcc, -1, v5
	v_addc_co_u32_e64 v98, s[36:37], 0, -1, vcc
	v_cmp_ne_u32_e32 vcc, 0, v5
	v_xor_b32_e32 v5, vcc_hi, v98
	v_and_b32_e32 v98, exec_hi, v5
	v_lshlrev_b32_e32 v5, 30, v96
	v_xor_b32_e32 v97, vcc_lo, v97
	v_cmp_gt_i64_e32 vcc, 0, v[4:5]
	v_not_b32_e32 v5, v5
	v_ashrrev_i32_e32 v5, 31, v5
	v_and_b32_e32 v97, exec_lo, v97
	v_xor_b32_e32 v99, vcc_hi, v5
	v_xor_b32_e32 v5, vcc_lo, v5
	v_and_b32_e32 v97, v97, v5
	v_lshlrev_b32_e32 v5, 29, v96
	v_cmp_gt_i64_e32 vcc, 0, v[4:5]
	v_not_b32_e32 v5, v5
	v_ashrrev_i32_e32 v5, 31, v5
	v_and_b32_e32 v98, v98, v99
	v_xor_b32_e32 v99, vcc_hi, v5
	v_xor_b32_e32 v5, vcc_lo, v5
	v_and_b32_e32 v97, v97, v5
	v_lshlrev_b32_e32 v5, 28, v96
	v_cmp_gt_i64_e32 vcc, 0, v[4:5]
	v_not_b32_e32 v5, v5
	v_ashrrev_i32_e32 v5, 31, v5
	v_and_b32_e32 v98, v98, v99
	;; [unrolled: 8-line block ×5, first 2 shown]
	v_xor_b32_e32 v99, vcc_hi, v5
	v_xor_b32_e32 v5, vcc_lo, v5
	v_and_b32_e32 v98, v98, v99
	v_and_b32_e32 v99, v97, v5
	v_lshlrev_b32_e32 v5, 24, v96
	v_cmp_gt_i64_e32 vcc, 0, v[4:5]
	v_not_b32_e32 v5, v5
	v_ashrrev_i32_e32 v5, 31, v5
	v_xor_b32_e32 v96, vcc_hi, v5
	v_xor_b32_e32 v5, vcc_lo, v5
	v_and_b32_e32 v97, v98, v96
	v_and_b32_e32 v96, v99, v5
	v_mbcnt_lo_u32_b32 v5, v96, 0
	v_mbcnt_hi_u32_b32 v190, v97, v5
	v_cmp_eq_u32_e32 vcc, 0, v190
	v_cmp_ne_u64_e64 s[36:37], 0, v[96:97]
	s_and_b64 s[38:39], s[36:37], vcc
	; wave barrier
	s_and_saveexec_b64 s[36:37], s[38:39]
	s_cbranch_execz .LBB736_442
; %bb.441:                              ;   in Loop: Header=BB736_400 Depth=2
	v_bcnt_u32_b32 v5, v96, 0
	v_bcnt_u32_b32 v5, v97, v5
	s_waitcnt lgkmcnt(0)
	v_add_u32_e32 v5, v188, v5
	ds_write_b32 v189, v5
.LBB736_442:                            ;   in Loop: Header=BB736_400 Depth=2
	s_or_b64 exec, exec, s[36:37]
	s_waitcnt vmcnt(11)
	v_xor_b32_e32 v79, 0x7fffffff, v79
	v_not_b32_e32 v78, v78
	v_lshrrev_b64 v[96:97], s33, v[78:79]
	v_and_b32_e32 v96, s69, v96
	v_mul_u32_u24_e32 v5, 5, v96
	v_add_lshl_u32 v5, v5, v181, 2
	; wave barrier
	v_add_u32_e32 v192, 0x410, v5
	ds_read_b32 v191, v5 offset:1040
	v_and_b32_e32 v5, 1, v96
	v_add_co_u32_e32 v97, vcc, -1, v5
	v_addc_co_u32_e64 v98, s[36:37], 0, -1, vcc
	v_cmp_ne_u32_e32 vcc, 0, v5
	v_xor_b32_e32 v5, vcc_hi, v98
	v_and_b32_e32 v98, exec_hi, v5
	v_lshlrev_b32_e32 v5, 30, v96
	v_xor_b32_e32 v97, vcc_lo, v97
	v_cmp_gt_i64_e32 vcc, 0, v[4:5]
	v_not_b32_e32 v5, v5
	v_ashrrev_i32_e32 v5, 31, v5
	v_and_b32_e32 v97, exec_lo, v97
	v_xor_b32_e32 v99, vcc_hi, v5
	v_xor_b32_e32 v5, vcc_lo, v5
	v_and_b32_e32 v97, v97, v5
	v_lshlrev_b32_e32 v5, 29, v96
	v_cmp_gt_i64_e32 vcc, 0, v[4:5]
	v_not_b32_e32 v5, v5
	v_ashrrev_i32_e32 v5, 31, v5
	v_and_b32_e32 v98, v98, v99
	v_xor_b32_e32 v99, vcc_hi, v5
	v_xor_b32_e32 v5, vcc_lo, v5
	v_and_b32_e32 v97, v97, v5
	v_lshlrev_b32_e32 v5, 28, v96
	v_cmp_gt_i64_e32 vcc, 0, v[4:5]
	v_not_b32_e32 v5, v5
	v_ashrrev_i32_e32 v5, 31, v5
	v_and_b32_e32 v98, v98, v99
	;; [unrolled: 8-line block ×5, first 2 shown]
	v_xor_b32_e32 v99, vcc_hi, v5
	v_xor_b32_e32 v5, vcc_lo, v5
	v_and_b32_e32 v98, v98, v99
	v_and_b32_e32 v99, v97, v5
	v_lshlrev_b32_e32 v5, 24, v96
	v_cmp_gt_i64_e32 vcc, 0, v[4:5]
	v_not_b32_e32 v5, v5
	v_ashrrev_i32_e32 v5, 31, v5
	v_xor_b32_e32 v96, vcc_hi, v5
	v_xor_b32_e32 v5, vcc_lo, v5
	v_and_b32_e32 v97, v98, v96
	v_and_b32_e32 v96, v99, v5
	v_mbcnt_lo_u32_b32 v5, v96, 0
	v_mbcnt_hi_u32_b32 v193, v97, v5
	v_cmp_eq_u32_e32 vcc, 0, v193
	v_cmp_ne_u64_e64 s[36:37], 0, v[96:97]
	s_and_b64 s[38:39], s[36:37], vcc
	; wave barrier
	s_and_saveexec_b64 s[36:37], s[38:39]
	s_cbranch_execz .LBB736_444
; %bb.443:                              ;   in Loop: Header=BB736_400 Depth=2
	v_bcnt_u32_b32 v5, v96, 0
	v_bcnt_u32_b32 v5, v97, v5
	s_waitcnt lgkmcnt(0)
	v_add_u32_e32 v5, v191, v5
	ds_write_b32 v192, v5
.LBB736_444:                            ;   in Loop: Header=BB736_400 Depth=2
	s_or_b64 exec, exec, s[36:37]
	s_waitcnt vmcnt(10)
	v_xor_b32_e32 v83, 0x7fffffff, v83
	v_not_b32_e32 v82, v82
	v_lshrrev_b64 v[96:97], s33, v[82:83]
	v_and_b32_e32 v96, s69, v96
	v_mul_u32_u24_e32 v5, 5, v96
	v_add_lshl_u32 v5, v5, v181, 2
	; wave barrier
	v_add_u32_e32 v195, 0x410, v5
	ds_read_b32 v194, v5 offset:1040
	v_and_b32_e32 v5, 1, v96
	v_add_co_u32_e32 v97, vcc, -1, v5
	v_addc_co_u32_e64 v98, s[36:37], 0, -1, vcc
	v_cmp_ne_u32_e32 vcc, 0, v5
	v_xor_b32_e32 v5, vcc_hi, v98
	v_and_b32_e32 v98, exec_hi, v5
	v_lshlrev_b32_e32 v5, 30, v96
	v_xor_b32_e32 v97, vcc_lo, v97
	v_cmp_gt_i64_e32 vcc, 0, v[4:5]
	v_not_b32_e32 v5, v5
	v_ashrrev_i32_e32 v5, 31, v5
	v_and_b32_e32 v97, exec_lo, v97
	v_xor_b32_e32 v99, vcc_hi, v5
	v_xor_b32_e32 v5, vcc_lo, v5
	v_and_b32_e32 v97, v97, v5
	v_lshlrev_b32_e32 v5, 29, v96
	v_cmp_gt_i64_e32 vcc, 0, v[4:5]
	v_not_b32_e32 v5, v5
	v_ashrrev_i32_e32 v5, 31, v5
	v_and_b32_e32 v98, v98, v99
	v_xor_b32_e32 v99, vcc_hi, v5
	v_xor_b32_e32 v5, vcc_lo, v5
	v_and_b32_e32 v97, v97, v5
	v_lshlrev_b32_e32 v5, 28, v96
	v_cmp_gt_i64_e32 vcc, 0, v[4:5]
	v_not_b32_e32 v5, v5
	v_ashrrev_i32_e32 v5, 31, v5
	v_and_b32_e32 v98, v98, v99
	;; [unrolled: 8-line block ×5, first 2 shown]
	v_xor_b32_e32 v99, vcc_hi, v5
	v_xor_b32_e32 v5, vcc_lo, v5
	v_and_b32_e32 v98, v98, v99
	v_and_b32_e32 v99, v97, v5
	v_lshlrev_b32_e32 v5, 24, v96
	v_cmp_gt_i64_e32 vcc, 0, v[4:5]
	v_not_b32_e32 v5, v5
	v_ashrrev_i32_e32 v5, 31, v5
	v_xor_b32_e32 v96, vcc_hi, v5
	v_xor_b32_e32 v5, vcc_lo, v5
	v_and_b32_e32 v97, v98, v96
	v_and_b32_e32 v96, v99, v5
	v_mbcnt_lo_u32_b32 v5, v96, 0
	v_mbcnt_hi_u32_b32 v196, v97, v5
	v_cmp_eq_u32_e32 vcc, 0, v196
	v_cmp_ne_u64_e64 s[36:37], 0, v[96:97]
	s_and_b64 s[38:39], s[36:37], vcc
	; wave barrier
	s_and_saveexec_b64 s[36:37], s[38:39]
	s_cbranch_execz .LBB736_446
; %bb.445:                              ;   in Loop: Header=BB736_400 Depth=2
	v_bcnt_u32_b32 v5, v96, 0
	v_bcnt_u32_b32 v5, v97, v5
	s_waitcnt lgkmcnt(0)
	v_add_u32_e32 v5, v194, v5
	ds_write_b32 v195, v5
.LBB736_446:                            ;   in Loop: Header=BB736_400 Depth=2
	s_or_b64 exec, exec, s[36:37]
	s_waitcnt vmcnt(9)
	v_xor_b32_e32 v87, 0x7fffffff, v87
	v_not_b32_e32 v86, v86
	v_lshrrev_b64 v[96:97], s33, v[86:87]
	v_and_b32_e32 v96, s69, v96
	v_mul_u32_u24_e32 v5, 5, v96
	v_add_lshl_u32 v5, v5, v181, 2
	; wave barrier
	v_add_u32_e32 v198, 0x410, v5
	ds_read_b32 v197, v5 offset:1040
	v_and_b32_e32 v5, 1, v96
	v_add_co_u32_e32 v97, vcc, -1, v5
	v_addc_co_u32_e64 v98, s[36:37], 0, -1, vcc
	v_cmp_ne_u32_e32 vcc, 0, v5
	v_xor_b32_e32 v5, vcc_hi, v98
	v_and_b32_e32 v98, exec_hi, v5
	v_lshlrev_b32_e32 v5, 30, v96
	v_xor_b32_e32 v97, vcc_lo, v97
	v_cmp_gt_i64_e32 vcc, 0, v[4:5]
	v_not_b32_e32 v5, v5
	v_ashrrev_i32_e32 v5, 31, v5
	v_and_b32_e32 v97, exec_lo, v97
	v_xor_b32_e32 v99, vcc_hi, v5
	v_xor_b32_e32 v5, vcc_lo, v5
	v_and_b32_e32 v97, v97, v5
	v_lshlrev_b32_e32 v5, 29, v96
	v_cmp_gt_i64_e32 vcc, 0, v[4:5]
	v_not_b32_e32 v5, v5
	v_ashrrev_i32_e32 v5, 31, v5
	v_and_b32_e32 v98, v98, v99
	v_xor_b32_e32 v99, vcc_hi, v5
	v_xor_b32_e32 v5, vcc_lo, v5
	v_and_b32_e32 v97, v97, v5
	v_lshlrev_b32_e32 v5, 28, v96
	v_cmp_gt_i64_e32 vcc, 0, v[4:5]
	v_not_b32_e32 v5, v5
	v_ashrrev_i32_e32 v5, 31, v5
	v_and_b32_e32 v98, v98, v99
	;; [unrolled: 8-line block ×5, first 2 shown]
	v_xor_b32_e32 v99, vcc_hi, v5
	v_xor_b32_e32 v5, vcc_lo, v5
	v_and_b32_e32 v98, v98, v99
	v_and_b32_e32 v99, v97, v5
	v_lshlrev_b32_e32 v5, 24, v96
	v_cmp_gt_i64_e32 vcc, 0, v[4:5]
	v_not_b32_e32 v5, v5
	v_ashrrev_i32_e32 v5, 31, v5
	v_xor_b32_e32 v96, vcc_hi, v5
	v_xor_b32_e32 v5, vcc_lo, v5
	v_and_b32_e32 v97, v98, v96
	v_and_b32_e32 v96, v99, v5
	v_mbcnt_lo_u32_b32 v5, v96, 0
	v_mbcnt_hi_u32_b32 v199, v97, v5
	v_cmp_eq_u32_e32 vcc, 0, v199
	v_cmp_ne_u64_e64 s[36:37], 0, v[96:97]
	s_and_b64 s[38:39], s[36:37], vcc
	; wave barrier
	s_and_saveexec_b64 s[36:37], s[38:39]
	s_cbranch_execz .LBB736_448
; %bb.447:                              ;   in Loop: Header=BB736_400 Depth=2
	v_bcnt_u32_b32 v5, v96, 0
	v_bcnt_u32_b32 v5, v97, v5
	s_waitcnt lgkmcnt(0)
	v_add_u32_e32 v5, v197, v5
	ds_write_b32 v198, v5
.LBB736_448:                            ;   in Loop: Header=BB736_400 Depth=2
	s_or_b64 exec, exec, s[36:37]
	s_waitcnt vmcnt(8)
	v_xor_b32_e32 v91, 0x7fffffff, v91
	v_not_b32_e32 v90, v90
	v_lshrrev_b64 v[96:97], s33, v[90:91]
	v_and_b32_e32 v96, s69, v96
	v_mul_u32_u24_e32 v5, 5, v96
	v_add_lshl_u32 v5, v5, v181, 2
	; wave barrier
	v_add_u32_e32 v201, 0x410, v5
	ds_read_b32 v200, v5 offset:1040
	v_and_b32_e32 v5, 1, v96
	v_add_co_u32_e32 v97, vcc, -1, v5
	v_addc_co_u32_e64 v98, s[36:37], 0, -1, vcc
	v_cmp_ne_u32_e32 vcc, 0, v5
	v_xor_b32_e32 v5, vcc_hi, v98
	v_and_b32_e32 v98, exec_hi, v5
	v_lshlrev_b32_e32 v5, 30, v96
	v_xor_b32_e32 v97, vcc_lo, v97
	v_cmp_gt_i64_e32 vcc, 0, v[4:5]
	v_not_b32_e32 v5, v5
	v_ashrrev_i32_e32 v5, 31, v5
	v_and_b32_e32 v97, exec_lo, v97
	v_xor_b32_e32 v99, vcc_hi, v5
	v_xor_b32_e32 v5, vcc_lo, v5
	v_and_b32_e32 v97, v97, v5
	v_lshlrev_b32_e32 v5, 29, v96
	v_cmp_gt_i64_e32 vcc, 0, v[4:5]
	v_not_b32_e32 v5, v5
	v_ashrrev_i32_e32 v5, 31, v5
	v_and_b32_e32 v98, v98, v99
	v_xor_b32_e32 v99, vcc_hi, v5
	v_xor_b32_e32 v5, vcc_lo, v5
	v_and_b32_e32 v97, v97, v5
	v_lshlrev_b32_e32 v5, 28, v96
	v_cmp_gt_i64_e32 vcc, 0, v[4:5]
	v_not_b32_e32 v5, v5
	v_ashrrev_i32_e32 v5, 31, v5
	v_and_b32_e32 v98, v98, v99
	;; [unrolled: 8-line block ×5, first 2 shown]
	v_xor_b32_e32 v99, vcc_hi, v5
	v_xor_b32_e32 v5, vcc_lo, v5
	v_and_b32_e32 v98, v98, v99
	v_and_b32_e32 v99, v97, v5
	v_lshlrev_b32_e32 v5, 24, v96
	v_cmp_gt_i64_e32 vcc, 0, v[4:5]
	v_not_b32_e32 v5, v5
	v_ashrrev_i32_e32 v5, 31, v5
	v_xor_b32_e32 v96, vcc_hi, v5
	v_xor_b32_e32 v5, vcc_lo, v5
	v_and_b32_e32 v97, v98, v96
	v_and_b32_e32 v96, v99, v5
	v_mbcnt_lo_u32_b32 v5, v96, 0
	v_mbcnt_hi_u32_b32 v202, v97, v5
	v_cmp_eq_u32_e32 vcc, 0, v202
	v_cmp_ne_u64_e64 s[36:37], 0, v[96:97]
	s_and_b64 s[38:39], s[36:37], vcc
	; wave barrier
	s_and_saveexec_b64 s[36:37], s[38:39]
	s_cbranch_execz .LBB736_450
; %bb.449:                              ;   in Loop: Header=BB736_400 Depth=2
	v_bcnt_u32_b32 v5, v96, 0
	v_bcnt_u32_b32 v5, v97, v5
	s_waitcnt lgkmcnt(0)
	v_add_u32_e32 v5, v200, v5
	ds_write_b32 v201, v5
.LBB736_450:                            ;   in Loop: Header=BB736_400 Depth=2
	s_or_b64 exec, exec, s[36:37]
	s_waitcnt vmcnt(7)
	v_xor_b32_e32 v95, 0x7fffffff, v95
	v_not_b32_e32 v94, v94
	v_lshrrev_b64 v[96:97], s33, v[94:95]
	v_and_b32_e32 v96, s69, v96
	v_mul_u32_u24_e32 v5, 5, v96
	v_add_lshl_u32 v5, v5, v181, 2
	; wave barrier
	v_add_u32_e32 v204, 0x410, v5
	ds_read_b32 v203, v5 offset:1040
	v_and_b32_e32 v5, 1, v96
	v_add_co_u32_e32 v97, vcc, -1, v5
	v_addc_co_u32_e64 v98, s[36:37], 0, -1, vcc
	v_cmp_ne_u32_e32 vcc, 0, v5
	v_xor_b32_e32 v5, vcc_hi, v98
	v_and_b32_e32 v98, exec_hi, v5
	v_lshlrev_b32_e32 v5, 30, v96
	v_xor_b32_e32 v97, vcc_lo, v97
	v_cmp_gt_i64_e32 vcc, 0, v[4:5]
	v_not_b32_e32 v5, v5
	v_ashrrev_i32_e32 v5, 31, v5
	v_and_b32_e32 v97, exec_lo, v97
	v_xor_b32_e32 v99, vcc_hi, v5
	v_xor_b32_e32 v5, vcc_lo, v5
	v_and_b32_e32 v97, v97, v5
	v_lshlrev_b32_e32 v5, 29, v96
	v_cmp_gt_i64_e32 vcc, 0, v[4:5]
	v_not_b32_e32 v5, v5
	v_ashrrev_i32_e32 v5, 31, v5
	v_and_b32_e32 v98, v98, v99
	v_xor_b32_e32 v99, vcc_hi, v5
	v_xor_b32_e32 v5, vcc_lo, v5
	v_and_b32_e32 v97, v97, v5
	v_lshlrev_b32_e32 v5, 28, v96
	v_cmp_gt_i64_e32 vcc, 0, v[4:5]
	v_not_b32_e32 v5, v5
	v_ashrrev_i32_e32 v5, 31, v5
	v_and_b32_e32 v98, v98, v99
	;; [unrolled: 8-line block ×5, first 2 shown]
	v_xor_b32_e32 v99, vcc_hi, v5
	v_xor_b32_e32 v5, vcc_lo, v5
	v_and_b32_e32 v98, v98, v99
	v_and_b32_e32 v99, v97, v5
	v_lshlrev_b32_e32 v5, 24, v96
	v_cmp_gt_i64_e32 vcc, 0, v[4:5]
	v_not_b32_e32 v5, v5
	v_ashrrev_i32_e32 v5, 31, v5
	v_xor_b32_e32 v96, vcc_hi, v5
	v_xor_b32_e32 v5, vcc_lo, v5
	v_and_b32_e32 v97, v98, v96
	v_and_b32_e32 v96, v99, v5
	v_mbcnt_lo_u32_b32 v5, v96, 0
	v_mbcnt_hi_u32_b32 v205, v97, v5
	v_cmp_eq_u32_e32 vcc, 0, v205
	v_cmp_ne_u64_e64 s[36:37], 0, v[96:97]
	s_and_b64 s[38:39], s[36:37], vcc
	; wave barrier
	s_and_saveexec_b64 s[36:37], s[38:39]
	s_cbranch_execz .LBB736_452
; %bb.451:                              ;   in Loop: Header=BB736_400 Depth=2
	v_bcnt_u32_b32 v5, v96, 0
	v_bcnt_u32_b32 v5, v97, v5
	s_waitcnt lgkmcnt(0)
	v_add_u32_e32 v5, v203, v5
	ds_write_b32 v204, v5
.LBB736_452:                            ;   in Loop: Header=BB736_400 Depth=2
	s_or_b64 exec, exec, s[36:37]
	s_waitcnt vmcnt(6)
	v_xor_b32_e32 v93, 0x7fffffff, v93
	v_not_b32_e32 v92, v92
	v_lshrrev_b64 v[96:97], s33, v[92:93]
	v_and_b32_e32 v96, s69, v96
	v_mul_u32_u24_e32 v5, 5, v96
	v_add_lshl_u32 v5, v5, v181, 2
	; wave barrier
	v_add_u32_e32 v207, 0x410, v5
	ds_read_b32 v206, v5 offset:1040
	v_and_b32_e32 v5, 1, v96
	v_add_co_u32_e32 v97, vcc, -1, v5
	v_addc_co_u32_e64 v98, s[36:37], 0, -1, vcc
	v_cmp_ne_u32_e32 vcc, 0, v5
	v_xor_b32_e32 v5, vcc_hi, v98
	v_and_b32_e32 v98, exec_hi, v5
	v_lshlrev_b32_e32 v5, 30, v96
	v_xor_b32_e32 v97, vcc_lo, v97
	v_cmp_gt_i64_e32 vcc, 0, v[4:5]
	v_not_b32_e32 v5, v5
	v_ashrrev_i32_e32 v5, 31, v5
	v_and_b32_e32 v97, exec_lo, v97
	v_xor_b32_e32 v99, vcc_hi, v5
	v_xor_b32_e32 v5, vcc_lo, v5
	v_and_b32_e32 v97, v97, v5
	v_lshlrev_b32_e32 v5, 29, v96
	v_cmp_gt_i64_e32 vcc, 0, v[4:5]
	v_not_b32_e32 v5, v5
	v_ashrrev_i32_e32 v5, 31, v5
	v_and_b32_e32 v98, v98, v99
	v_xor_b32_e32 v99, vcc_hi, v5
	v_xor_b32_e32 v5, vcc_lo, v5
	v_and_b32_e32 v97, v97, v5
	v_lshlrev_b32_e32 v5, 28, v96
	v_cmp_gt_i64_e32 vcc, 0, v[4:5]
	v_not_b32_e32 v5, v5
	v_ashrrev_i32_e32 v5, 31, v5
	v_and_b32_e32 v98, v98, v99
	;; [unrolled: 8-line block ×5, first 2 shown]
	v_xor_b32_e32 v99, vcc_hi, v5
	v_xor_b32_e32 v5, vcc_lo, v5
	v_and_b32_e32 v98, v98, v99
	v_and_b32_e32 v99, v97, v5
	v_lshlrev_b32_e32 v5, 24, v96
	v_cmp_gt_i64_e32 vcc, 0, v[4:5]
	v_not_b32_e32 v5, v5
	v_ashrrev_i32_e32 v5, 31, v5
	v_xor_b32_e32 v96, vcc_hi, v5
	v_xor_b32_e32 v5, vcc_lo, v5
	v_and_b32_e32 v97, v98, v96
	v_and_b32_e32 v96, v99, v5
	v_mbcnt_lo_u32_b32 v5, v96, 0
	v_mbcnt_hi_u32_b32 v208, v97, v5
	v_cmp_eq_u32_e32 vcc, 0, v208
	v_cmp_ne_u64_e64 s[36:37], 0, v[96:97]
	s_and_b64 s[38:39], s[36:37], vcc
	; wave barrier
	s_and_saveexec_b64 s[36:37], s[38:39]
	s_cbranch_execz .LBB736_454
; %bb.453:                              ;   in Loop: Header=BB736_400 Depth=2
	v_bcnt_u32_b32 v5, v96, 0
	v_bcnt_u32_b32 v5, v97, v5
	s_waitcnt lgkmcnt(0)
	v_add_u32_e32 v5, v206, v5
	ds_write_b32 v207, v5
.LBB736_454:                            ;   in Loop: Header=BB736_400 Depth=2
	s_or_b64 exec, exec, s[36:37]
	s_waitcnt vmcnt(5)
	v_xor_b32_e32 v89, 0x7fffffff, v89
	v_not_b32_e32 v88, v88
	v_lshrrev_b64 v[96:97], s33, v[88:89]
	v_and_b32_e32 v96, s69, v96
	v_mul_u32_u24_e32 v5, 5, v96
	v_add_lshl_u32 v5, v5, v181, 2
	; wave barrier
	v_add_u32_e32 v210, 0x410, v5
	ds_read_b32 v209, v5 offset:1040
	v_and_b32_e32 v5, 1, v96
	v_add_co_u32_e32 v97, vcc, -1, v5
	v_addc_co_u32_e64 v98, s[36:37], 0, -1, vcc
	v_cmp_ne_u32_e32 vcc, 0, v5
	v_xor_b32_e32 v5, vcc_hi, v98
	v_and_b32_e32 v98, exec_hi, v5
	v_lshlrev_b32_e32 v5, 30, v96
	v_xor_b32_e32 v97, vcc_lo, v97
	v_cmp_gt_i64_e32 vcc, 0, v[4:5]
	v_not_b32_e32 v5, v5
	v_ashrrev_i32_e32 v5, 31, v5
	v_and_b32_e32 v97, exec_lo, v97
	v_xor_b32_e32 v99, vcc_hi, v5
	v_xor_b32_e32 v5, vcc_lo, v5
	v_and_b32_e32 v97, v97, v5
	v_lshlrev_b32_e32 v5, 29, v96
	v_cmp_gt_i64_e32 vcc, 0, v[4:5]
	v_not_b32_e32 v5, v5
	v_ashrrev_i32_e32 v5, 31, v5
	v_and_b32_e32 v98, v98, v99
	v_xor_b32_e32 v99, vcc_hi, v5
	v_xor_b32_e32 v5, vcc_lo, v5
	v_and_b32_e32 v97, v97, v5
	v_lshlrev_b32_e32 v5, 28, v96
	v_cmp_gt_i64_e32 vcc, 0, v[4:5]
	v_not_b32_e32 v5, v5
	v_ashrrev_i32_e32 v5, 31, v5
	v_and_b32_e32 v98, v98, v99
	;; [unrolled: 8-line block ×5, first 2 shown]
	v_xor_b32_e32 v99, vcc_hi, v5
	v_xor_b32_e32 v5, vcc_lo, v5
	v_and_b32_e32 v98, v98, v99
	v_and_b32_e32 v99, v97, v5
	v_lshlrev_b32_e32 v5, 24, v96
	v_cmp_gt_i64_e32 vcc, 0, v[4:5]
	v_not_b32_e32 v5, v5
	v_ashrrev_i32_e32 v5, 31, v5
	v_xor_b32_e32 v96, vcc_hi, v5
	v_xor_b32_e32 v5, vcc_lo, v5
	v_and_b32_e32 v97, v98, v96
	v_and_b32_e32 v96, v99, v5
	v_mbcnt_lo_u32_b32 v5, v96, 0
	v_mbcnt_hi_u32_b32 v211, v97, v5
	v_cmp_eq_u32_e32 vcc, 0, v211
	v_cmp_ne_u64_e64 s[36:37], 0, v[96:97]
	s_and_b64 s[38:39], s[36:37], vcc
	; wave barrier
	s_and_saveexec_b64 s[36:37], s[38:39]
	s_cbranch_execz .LBB736_456
; %bb.455:                              ;   in Loop: Header=BB736_400 Depth=2
	v_bcnt_u32_b32 v5, v96, 0
	v_bcnt_u32_b32 v5, v97, v5
	s_waitcnt lgkmcnt(0)
	v_add_u32_e32 v5, v209, v5
	ds_write_b32 v210, v5
.LBB736_456:                            ;   in Loop: Header=BB736_400 Depth=2
	s_or_b64 exec, exec, s[36:37]
	s_waitcnt vmcnt(4)
	v_xor_b32_e32 v85, 0x7fffffff, v85
	v_not_b32_e32 v84, v84
	v_lshrrev_b64 v[96:97], s33, v[84:85]
	v_and_b32_e32 v96, s69, v96
	v_mul_u32_u24_e32 v5, 5, v96
	v_add_lshl_u32 v5, v5, v181, 2
	; wave barrier
	v_add_u32_e32 v213, 0x410, v5
	ds_read_b32 v212, v5 offset:1040
	v_and_b32_e32 v5, 1, v96
	v_add_co_u32_e32 v97, vcc, -1, v5
	v_addc_co_u32_e64 v98, s[36:37], 0, -1, vcc
	v_cmp_ne_u32_e32 vcc, 0, v5
	v_xor_b32_e32 v5, vcc_hi, v98
	v_and_b32_e32 v98, exec_hi, v5
	v_lshlrev_b32_e32 v5, 30, v96
	v_xor_b32_e32 v97, vcc_lo, v97
	v_cmp_gt_i64_e32 vcc, 0, v[4:5]
	v_not_b32_e32 v5, v5
	v_ashrrev_i32_e32 v5, 31, v5
	v_and_b32_e32 v97, exec_lo, v97
	v_xor_b32_e32 v99, vcc_hi, v5
	v_xor_b32_e32 v5, vcc_lo, v5
	v_and_b32_e32 v97, v97, v5
	v_lshlrev_b32_e32 v5, 29, v96
	v_cmp_gt_i64_e32 vcc, 0, v[4:5]
	v_not_b32_e32 v5, v5
	v_ashrrev_i32_e32 v5, 31, v5
	v_and_b32_e32 v98, v98, v99
	v_xor_b32_e32 v99, vcc_hi, v5
	v_xor_b32_e32 v5, vcc_lo, v5
	v_and_b32_e32 v97, v97, v5
	v_lshlrev_b32_e32 v5, 28, v96
	v_cmp_gt_i64_e32 vcc, 0, v[4:5]
	v_not_b32_e32 v5, v5
	v_ashrrev_i32_e32 v5, 31, v5
	v_and_b32_e32 v98, v98, v99
	;; [unrolled: 8-line block ×5, first 2 shown]
	v_xor_b32_e32 v99, vcc_hi, v5
	v_xor_b32_e32 v5, vcc_lo, v5
	v_and_b32_e32 v98, v98, v99
	v_and_b32_e32 v99, v97, v5
	v_lshlrev_b32_e32 v5, 24, v96
	v_cmp_gt_i64_e32 vcc, 0, v[4:5]
	v_not_b32_e32 v5, v5
	v_ashrrev_i32_e32 v5, 31, v5
	v_xor_b32_e32 v96, vcc_hi, v5
	v_xor_b32_e32 v5, vcc_lo, v5
	v_and_b32_e32 v97, v98, v96
	v_and_b32_e32 v96, v99, v5
	v_mbcnt_lo_u32_b32 v5, v96, 0
	v_mbcnt_hi_u32_b32 v214, v97, v5
	v_cmp_eq_u32_e32 vcc, 0, v214
	v_cmp_ne_u64_e64 s[36:37], 0, v[96:97]
	s_and_b64 s[38:39], s[36:37], vcc
	; wave barrier
	s_and_saveexec_b64 s[36:37], s[38:39]
	s_cbranch_execz .LBB736_458
; %bb.457:                              ;   in Loop: Header=BB736_400 Depth=2
	v_bcnt_u32_b32 v5, v96, 0
	v_bcnt_u32_b32 v5, v97, v5
	s_waitcnt lgkmcnt(0)
	v_add_u32_e32 v5, v212, v5
	ds_write_b32 v213, v5
.LBB736_458:                            ;   in Loop: Header=BB736_400 Depth=2
	s_or_b64 exec, exec, s[36:37]
	s_waitcnt vmcnt(3)
	v_xor_b32_e32 v81, 0x7fffffff, v81
	v_not_b32_e32 v80, v80
	v_lshrrev_b64 v[96:97], s33, v[80:81]
	v_and_b32_e32 v96, s69, v96
	v_mul_u32_u24_e32 v5, 5, v96
	v_add_lshl_u32 v5, v5, v181, 2
	; wave barrier
	v_add_u32_e32 v216, 0x410, v5
	ds_read_b32 v215, v5 offset:1040
	v_and_b32_e32 v5, 1, v96
	v_add_co_u32_e32 v97, vcc, -1, v5
	v_addc_co_u32_e64 v98, s[36:37], 0, -1, vcc
	v_cmp_ne_u32_e32 vcc, 0, v5
	v_xor_b32_e32 v5, vcc_hi, v98
	v_and_b32_e32 v98, exec_hi, v5
	v_lshlrev_b32_e32 v5, 30, v96
	v_xor_b32_e32 v97, vcc_lo, v97
	v_cmp_gt_i64_e32 vcc, 0, v[4:5]
	v_not_b32_e32 v5, v5
	v_ashrrev_i32_e32 v5, 31, v5
	v_and_b32_e32 v97, exec_lo, v97
	v_xor_b32_e32 v99, vcc_hi, v5
	v_xor_b32_e32 v5, vcc_lo, v5
	v_and_b32_e32 v97, v97, v5
	v_lshlrev_b32_e32 v5, 29, v96
	v_cmp_gt_i64_e32 vcc, 0, v[4:5]
	v_not_b32_e32 v5, v5
	v_ashrrev_i32_e32 v5, 31, v5
	v_and_b32_e32 v98, v98, v99
	v_xor_b32_e32 v99, vcc_hi, v5
	v_xor_b32_e32 v5, vcc_lo, v5
	v_and_b32_e32 v97, v97, v5
	v_lshlrev_b32_e32 v5, 28, v96
	v_cmp_gt_i64_e32 vcc, 0, v[4:5]
	v_not_b32_e32 v5, v5
	v_ashrrev_i32_e32 v5, 31, v5
	v_and_b32_e32 v98, v98, v99
	;; [unrolled: 8-line block ×5, first 2 shown]
	v_xor_b32_e32 v99, vcc_hi, v5
	v_xor_b32_e32 v5, vcc_lo, v5
	v_and_b32_e32 v98, v98, v99
	v_and_b32_e32 v99, v97, v5
	v_lshlrev_b32_e32 v5, 24, v96
	v_cmp_gt_i64_e32 vcc, 0, v[4:5]
	v_not_b32_e32 v5, v5
	v_ashrrev_i32_e32 v5, 31, v5
	v_xor_b32_e32 v96, vcc_hi, v5
	v_xor_b32_e32 v5, vcc_lo, v5
	v_and_b32_e32 v97, v98, v96
	v_and_b32_e32 v96, v99, v5
	v_mbcnt_lo_u32_b32 v5, v96, 0
	v_mbcnt_hi_u32_b32 v217, v97, v5
	v_cmp_eq_u32_e32 vcc, 0, v217
	v_cmp_ne_u64_e64 s[36:37], 0, v[96:97]
	s_and_b64 s[38:39], s[36:37], vcc
	; wave barrier
	s_and_saveexec_b64 s[36:37], s[38:39]
	s_cbranch_execz .LBB736_460
; %bb.459:                              ;   in Loop: Header=BB736_400 Depth=2
	v_bcnt_u32_b32 v5, v96, 0
	v_bcnt_u32_b32 v5, v97, v5
	s_waitcnt lgkmcnt(0)
	v_add_u32_e32 v5, v215, v5
	ds_write_b32 v216, v5
.LBB736_460:                            ;   in Loop: Header=BB736_400 Depth=2
	s_or_b64 exec, exec, s[36:37]
	s_waitcnt vmcnt(2)
	v_xor_b32_e32 v77, 0x7fffffff, v77
	v_not_b32_e32 v76, v76
	v_lshrrev_b64 v[96:97], s33, v[76:77]
	v_and_b32_e32 v96, s69, v96
	v_mul_u32_u24_e32 v5, 5, v96
	v_add_lshl_u32 v5, v5, v181, 2
	; wave barrier
	v_add_u32_e32 v219, 0x410, v5
	ds_read_b32 v218, v5 offset:1040
	v_and_b32_e32 v5, 1, v96
	v_add_co_u32_e32 v97, vcc, -1, v5
	v_addc_co_u32_e64 v98, s[36:37], 0, -1, vcc
	v_cmp_ne_u32_e32 vcc, 0, v5
	v_xor_b32_e32 v5, vcc_hi, v98
	v_and_b32_e32 v98, exec_hi, v5
	v_lshlrev_b32_e32 v5, 30, v96
	v_xor_b32_e32 v97, vcc_lo, v97
	v_cmp_gt_i64_e32 vcc, 0, v[4:5]
	v_not_b32_e32 v5, v5
	v_ashrrev_i32_e32 v5, 31, v5
	v_and_b32_e32 v97, exec_lo, v97
	v_xor_b32_e32 v99, vcc_hi, v5
	v_xor_b32_e32 v5, vcc_lo, v5
	v_and_b32_e32 v97, v97, v5
	v_lshlrev_b32_e32 v5, 29, v96
	v_cmp_gt_i64_e32 vcc, 0, v[4:5]
	v_not_b32_e32 v5, v5
	v_ashrrev_i32_e32 v5, 31, v5
	v_and_b32_e32 v98, v98, v99
	v_xor_b32_e32 v99, vcc_hi, v5
	v_xor_b32_e32 v5, vcc_lo, v5
	v_and_b32_e32 v97, v97, v5
	v_lshlrev_b32_e32 v5, 28, v96
	v_cmp_gt_i64_e32 vcc, 0, v[4:5]
	v_not_b32_e32 v5, v5
	v_ashrrev_i32_e32 v5, 31, v5
	v_and_b32_e32 v98, v98, v99
	;; [unrolled: 8-line block ×5, first 2 shown]
	v_xor_b32_e32 v99, vcc_hi, v5
	v_xor_b32_e32 v5, vcc_lo, v5
	v_and_b32_e32 v98, v98, v99
	v_and_b32_e32 v99, v97, v5
	v_lshlrev_b32_e32 v5, 24, v96
	v_cmp_gt_i64_e32 vcc, 0, v[4:5]
	v_not_b32_e32 v5, v5
	v_ashrrev_i32_e32 v5, 31, v5
	v_xor_b32_e32 v96, vcc_hi, v5
	v_xor_b32_e32 v5, vcc_lo, v5
	v_and_b32_e32 v97, v98, v96
	v_and_b32_e32 v96, v99, v5
	v_mbcnt_lo_u32_b32 v5, v96, 0
	v_mbcnt_hi_u32_b32 v220, v97, v5
	v_cmp_eq_u32_e32 vcc, 0, v220
	v_cmp_ne_u64_e64 s[36:37], 0, v[96:97]
	s_and_b64 s[38:39], s[36:37], vcc
	; wave barrier
	s_and_saveexec_b64 s[36:37], s[38:39]
	s_cbranch_execz .LBB736_462
; %bb.461:                              ;   in Loop: Header=BB736_400 Depth=2
	v_bcnt_u32_b32 v5, v96, 0
	v_bcnt_u32_b32 v5, v97, v5
	s_waitcnt lgkmcnt(0)
	v_add_u32_e32 v5, v218, v5
	ds_write_b32 v219, v5
.LBB736_462:                            ;   in Loop: Header=BB736_400 Depth=2
	s_or_b64 exec, exec, s[36:37]
	s_waitcnt vmcnt(1)
	v_xor_b32_e32 v73, 0x7fffffff, v73
	v_not_b32_e32 v72, v72
	v_lshrrev_b64 v[96:97], s33, v[72:73]
	v_and_b32_e32 v96, s69, v96
	v_mul_u32_u24_e32 v5, 5, v96
	v_add_lshl_u32 v5, v5, v181, 2
	; wave barrier
	v_add_u32_e32 v222, 0x410, v5
	ds_read_b32 v221, v5 offset:1040
	v_and_b32_e32 v5, 1, v96
	v_add_co_u32_e32 v97, vcc, -1, v5
	v_addc_co_u32_e64 v98, s[36:37], 0, -1, vcc
	v_cmp_ne_u32_e32 vcc, 0, v5
	v_xor_b32_e32 v5, vcc_hi, v98
	v_and_b32_e32 v98, exec_hi, v5
	v_lshlrev_b32_e32 v5, 30, v96
	v_xor_b32_e32 v97, vcc_lo, v97
	v_cmp_gt_i64_e32 vcc, 0, v[4:5]
	v_not_b32_e32 v5, v5
	v_ashrrev_i32_e32 v5, 31, v5
	v_and_b32_e32 v97, exec_lo, v97
	v_xor_b32_e32 v99, vcc_hi, v5
	v_xor_b32_e32 v5, vcc_lo, v5
	v_and_b32_e32 v97, v97, v5
	v_lshlrev_b32_e32 v5, 29, v96
	v_cmp_gt_i64_e32 vcc, 0, v[4:5]
	v_not_b32_e32 v5, v5
	v_ashrrev_i32_e32 v5, 31, v5
	v_and_b32_e32 v98, v98, v99
	v_xor_b32_e32 v99, vcc_hi, v5
	v_xor_b32_e32 v5, vcc_lo, v5
	v_and_b32_e32 v97, v97, v5
	v_lshlrev_b32_e32 v5, 28, v96
	v_cmp_gt_i64_e32 vcc, 0, v[4:5]
	v_not_b32_e32 v5, v5
	v_ashrrev_i32_e32 v5, 31, v5
	v_and_b32_e32 v98, v98, v99
	;; [unrolled: 8-line block ×5, first 2 shown]
	v_xor_b32_e32 v99, vcc_hi, v5
	v_xor_b32_e32 v5, vcc_lo, v5
	v_and_b32_e32 v98, v98, v99
	v_and_b32_e32 v99, v97, v5
	v_lshlrev_b32_e32 v5, 24, v96
	v_cmp_gt_i64_e32 vcc, 0, v[4:5]
	v_not_b32_e32 v5, v5
	v_ashrrev_i32_e32 v5, 31, v5
	v_xor_b32_e32 v96, vcc_hi, v5
	v_xor_b32_e32 v5, vcc_lo, v5
	v_and_b32_e32 v97, v98, v96
	v_and_b32_e32 v96, v99, v5
	v_mbcnt_lo_u32_b32 v5, v96, 0
	v_mbcnt_hi_u32_b32 v223, v97, v5
	v_cmp_eq_u32_e32 vcc, 0, v223
	v_cmp_ne_u64_e64 s[36:37], 0, v[96:97]
	s_and_b64 s[38:39], s[36:37], vcc
	; wave barrier
	s_and_saveexec_b64 s[36:37], s[38:39]
	s_cbranch_execz .LBB736_464
; %bb.463:                              ;   in Loop: Header=BB736_400 Depth=2
	v_bcnt_u32_b32 v5, v96, 0
	v_bcnt_u32_b32 v5, v97, v5
	s_waitcnt lgkmcnt(0)
	v_add_u32_e32 v5, v221, v5
	ds_write_b32 v222, v5
.LBB736_464:                            ;   in Loop: Header=BB736_400 Depth=2
	s_or_b64 exec, exec, s[36:37]
	s_waitcnt vmcnt(0)
	v_xor_b32_e32 v69, 0x7fffffff, v69
	v_not_b32_e32 v68, v68
	v_lshrrev_b64 v[96:97], s33, v[68:69]
	v_and_b32_e32 v96, s69, v96
	v_mul_u32_u24_e32 v5, 5, v96
	v_add_lshl_u32 v5, v5, v181, 2
	; wave barrier
	v_add_u32_e32 v225, 0x410, v5
	ds_read_b32 v224, v5 offset:1040
	v_and_b32_e32 v5, 1, v96
	v_add_co_u32_e32 v97, vcc, -1, v5
	v_addc_co_u32_e64 v98, s[36:37], 0, -1, vcc
	v_cmp_ne_u32_e32 vcc, 0, v5
	v_xor_b32_e32 v5, vcc_hi, v98
	v_and_b32_e32 v98, exec_hi, v5
	v_lshlrev_b32_e32 v5, 30, v96
	v_xor_b32_e32 v97, vcc_lo, v97
	v_cmp_gt_i64_e32 vcc, 0, v[4:5]
	v_not_b32_e32 v5, v5
	v_ashrrev_i32_e32 v5, 31, v5
	v_and_b32_e32 v97, exec_lo, v97
	v_xor_b32_e32 v99, vcc_hi, v5
	v_xor_b32_e32 v5, vcc_lo, v5
	v_and_b32_e32 v97, v97, v5
	v_lshlrev_b32_e32 v5, 29, v96
	v_cmp_gt_i64_e32 vcc, 0, v[4:5]
	v_not_b32_e32 v5, v5
	v_ashrrev_i32_e32 v5, 31, v5
	v_and_b32_e32 v98, v98, v99
	v_xor_b32_e32 v99, vcc_hi, v5
	v_xor_b32_e32 v5, vcc_lo, v5
	v_and_b32_e32 v97, v97, v5
	v_lshlrev_b32_e32 v5, 28, v96
	v_cmp_gt_i64_e32 vcc, 0, v[4:5]
	v_not_b32_e32 v5, v5
	v_ashrrev_i32_e32 v5, 31, v5
	v_and_b32_e32 v98, v98, v99
	;; [unrolled: 8-line block ×5, first 2 shown]
	v_xor_b32_e32 v99, vcc_hi, v5
	v_xor_b32_e32 v5, vcc_lo, v5
	v_and_b32_e32 v98, v98, v99
	v_and_b32_e32 v99, v97, v5
	v_lshlrev_b32_e32 v5, 24, v96
	v_cmp_gt_i64_e32 vcc, 0, v[4:5]
	v_not_b32_e32 v5, v5
	v_ashrrev_i32_e32 v5, 31, v5
	v_xor_b32_e32 v96, vcc_hi, v5
	v_xor_b32_e32 v5, vcc_lo, v5
	v_and_b32_e32 v97, v98, v96
	v_and_b32_e32 v96, v99, v5
	v_mbcnt_lo_u32_b32 v5, v96, 0
	v_mbcnt_hi_u32_b32 v226, v97, v5
	v_cmp_eq_u32_e32 vcc, 0, v226
	v_cmp_ne_u64_e64 s[36:37], 0, v[96:97]
	s_and_b64 s[38:39], s[36:37], vcc
	; wave barrier
	s_and_saveexec_b64 s[36:37], s[38:39]
	s_cbranch_execz .LBB736_466
; %bb.465:                              ;   in Loop: Header=BB736_400 Depth=2
	v_bcnt_u32_b32 v5, v96, 0
	v_bcnt_u32_b32 v5, v97, v5
	s_waitcnt lgkmcnt(0)
	v_add_u32_e32 v5, v224, v5
	ds_write_b32 v225, v5
.LBB736_466:                            ;   in Loop: Header=BB736_400 Depth=2
	s_or_b64 exec, exec, s[36:37]
	v_xor_b32_e32 v71, 0x7fffffff, v71
	v_not_b32_e32 v70, v70
	v_lshrrev_b64 v[96:97], s33, v[70:71]
	v_and_b32_e32 v96, s69, v96
	v_mul_u32_u24_e32 v5, 5, v96
	v_add_lshl_u32 v5, v5, v181, 2
	; wave barrier
	v_add_u32_e32 v228, 0x410, v5
	ds_read_b32 v227, v5 offset:1040
	v_and_b32_e32 v5, 1, v96
	v_add_co_u32_e32 v97, vcc, -1, v5
	v_addc_co_u32_e64 v98, s[36:37], 0, -1, vcc
	v_cmp_ne_u32_e32 vcc, 0, v5
	v_xor_b32_e32 v5, vcc_hi, v98
	v_and_b32_e32 v98, exec_hi, v5
	v_lshlrev_b32_e32 v5, 30, v96
	v_xor_b32_e32 v97, vcc_lo, v97
	v_cmp_gt_i64_e32 vcc, 0, v[4:5]
	v_not_b32_e32 v5, v5
	v_ashrrev_i32_e32 v5, 31, v5
	v_and_b32_e32 v97, exec_lo, v97
	v_xor_b32_e32 v99, vcc_hi, v5
	v_xor_b32_e32 v5, vcc_lo, v5
	v_and_b32_e32 v97, v97, v5
	v_lshlrev_b32_e32 v5, 29, v96
	v_cmp_gt_i64_e32 vcc, 0, v[4:5]
	v_not_b32_e32 v5, v5
	v_ashrrev_i32_e32 v5, 31, v5
	v_and_b32_e32 v98, v98, v99
	v_xor_b32_e32 v99, vcc_hi, v5
	v_xor_b32_e32 v5, vcc_lo, v5
	v_and_b32_e32 v97, v97, v5
	v_lshlrev_b32_e32 v5, 28, v96
	v_cmp_gt_i64_e32 vcc, 0, v[4:5]
	v_not_b32_e32 v5, v5
	v_ashrrev_i32_e32 v5, 31, v5
	v_and_b32_e32 v98, v98, v99
	;; [unrolled: 8-line block ×5, first 2 shown]
	v_xor_b32_e32 v99, vcc_hi, v5
	v_xor_b32_e32 v5, vcc_lo, v5
	v_and_b32_e32 v98, v98, v99
	v_and_b32_e32 v99, v97, v5
	v_lshlrev_b32_e32 v5, 24, v96
	v_cmp_gt_i64_e32 vcc, 0, v[4:5]
	v_not_b32_e32 v5, v5
	v_ashrrev_i32_e32 v5, 31, v5
	v_xor_b32_e32 v96, vcc_hi, v5
	v_xor_b32_e32 v5, vcc_lo, v5
	v_and_b32_e32 v97, v98, v96
	v_and_b32_e32 v96, v99, v5
	v_mbcnt_lo_u32_b32 v5, v96, 0
	v_mbcnt_hi_u32_b32 v229, v97, v5
	v_cmp_eq_u32_e32 vcc, 0, v229
	v_cmp_ne_u64_e64 s[36:37], 0, v[96:97]
	s_and_b64 s[38:39], s[36:37], vcc
	; wave barrier
	s_and_saveexec_b64 s[36:37], s[38:39]
	s_cbranch_execz .LBB736_468
; %bb.467:                              ;   in Loop: Header=BB736_400 Depth=2
	v_bcnt_u32_b32 v5, v96, 0
	v_bcnt_u32_b32 v5, v97, v5
	s_waitcnt lgkmcnt(0)
	v_add_u32_e32 v5, v227, v5
	ds_write_b32 v228, v5
.LBB736_468:                            ;   in Loop: Header=BB736_400 Depth=2
	s_or_b64 exec, exec, s[36:37]
	; wave barrier
	s_waitcnt lgkmcnt(0)
	s_barrier
	ds_read_b32 v5, v27 offset:1040
	ds_read2_b32 v[98:99], v31 offset0:1 offset1:2
	ds_read2_b32 v[96:97], v31 offset0:3 offset1:4
	s_waitcnt lgkmcnt(1)
	v_add3_u32 v230, v98, v5, v99
	s_waitcnt lgkmcnt(0)
	v_add3_u32 v97, v230, v96, v97
	s_nop 1
	v_mov_b32_dpp v230, v97 row_shr:1 row_mask:0xf bank_mask:0xf
	v_cndmask_b32_e64 v230, v230, 0, s[16:17]
	v_add_u32_e32 v97, v230, v97
	s_nop 1
	v_mov_b32_dpp v230, v97 row_shr:2 row_mask:0xf bank_mask:0xf
	v_cndmask_b32_e64 v230, 0, v230, s[18:19]
	v_add_u32_e32 v97, v97, v230
	;; [unrolled: 4-line block ×4, first 2 shown]
	s_nop 1
	v_mov_b32_dpp v230, v97 row_bcast:15 row_mask:0xf bank_mask:0xf
	v_cndmask_b32_e64 v230, v230, 0, s[24:25]
	v_add_u32_e32 v97, v97, v230
	s_nop 1
	v_mov_b32_dpp v230, v97 row_bcast:31 row_mask:0xf bank_mask:0xf
	v_cndmask_b32_e64 v230, 0, v230, s[26:27]
	v_add_u32_e32 v97, v97, v230
	s_and_saveexec_b64 s[36:37], s[6:7]
	s_cbranch_execz .LBB736_470
; %bb.469:                              ;   in Loop: Header=BB736_400 Depth=2
	ds_write_b32 v15, v97 offset:1024
.LBB736_470:                            ;   in Loop: Header=BB736_400 Depth=2
	s_or_b64 exec, exec, s[36:37]
	s_waitcnt lgkmcnt(0)
	s_barrier
	s_and_saveexec_b64 s[36:37], s[8:9]
	s_cbranch_execz .LBB736_472
; %bb.471:                              ;   in Loop: Header=BB736_400 Depth=2
	ds_read_b32 v230, v33 offset:1024
	s_waitcnt lgkmcnt(0)
	s_nop 0
	v_mov_b32_dpp v231, v230 row_shr:1 row_mask:0xf bank_mask:0xf
	v_cndmask_b32_e64 v231, v231, 0, s[30:31]
	v_add_u32_e32 v230, v231, v230
	s_nop 1
	v_mov_b32_dpp v231, v230 row_shr:2 row_mask:0xf bank_mask:0xf
	v_cndmask_b32_e64 v231, 0, v231, s[34:35]
	v_add_u32_e32 v230, v230, v231
	ds_write_b32 v33, v230 offset:1024
.LBB736_472:                            ;   in Loop: Header=BB736_400 Depth=2
	s_or_b64 exec, exec, s[36:37]
	v_mov_b32_e32 v230, 0
	s_waitcnt lgkmcnt(0)
	s_barrier
	s_and_saveexec_b64 s[36:37], s[10:11]
	s_cbranch_execz .LBB736_474
; %bb.473:                              ;   in Loop: Header=BB736_400 Depth=2
	ds_read_b32 v230, v15 offset:1020
.LBB736_474:                            ;   in Loop: Header=BB736_400 Depth=2
	s_or_b64 exec, exec, s[36:37]
	s_waitcnt lgkmcnt(0)
	v_add_u32_e32 v97, v230, v97
	ds_bpermute_b32 v97, v158, v97
	s_waitcnt lgkmcnt(0)
	v_cndmask_b32_e64 v97, v97, v230, s[28:29]
	v_cndmask_b32_e64 v97, v97, 0, s[12:13]
	v_add_u32_e32 v5, v97, v5
	ds_write_b32 v27, v97 offset:1040
	v_add_u32_e32 v97, v5, v98
	v_add_u32_e32 v98, v97, v99
	ds_write2_b32 v31, v5, v97 offset0:1 offset1:2
	v_add_u32_e32 v5, v98, v96
	ds_write2_b32 v31, v98, v5 offset0:3 offset1:4
	s_waitcnt lgkmcnt(0)
	s_barrier
	ds_read_b32 v97, v186
	ds_read_b32 v234, v189
	;; [unrolled: 1-line block ×16, first 2 shown]
	ds_read_b32 v183, v27 offset:1040
	v_mov_b32_e32 v5, 0x1000
	s_and_saveexec_b64 s[36:37], s[14:15]
	s_cbranch_execz .LBB736_476
; %bb.475:                              ;   in Loop: Header=BB736_400 Depth=2
	ds_read_b32 v5, v27 offset:1060
.LBB736_476:                            ;   in Loop: Header=BB736_400 Depth=2
	s_or_b64 exec, exec, s[36:37]
	s_waitcnt lgkmcnt(0)
	s_barrier
	s_and_saveexec_b64 s[36:37], s[4:5]
	s_cbranch_execz .LBB736_478
; %bb.477:                              ;   in Loop: Header=BB736_400 Depth=2
	ds_read_b32 v207, v3
	s_waitcnt lgkmcnt(0)
	v_sub_u32_e32 v183, v207, v183
	ds_write_b32 v3, v183
.LBB736_478:                            ;   in Loop: Header=BB736_400 Depth=2
	s_or_b64 exec, exec, s[36:37]
	v_add_u32_e32 v185, v187, v185
	v_add_u32_e32 v188, v190, v188
	v_add_lshl_u32 v96, v96, v184, 3
	v_add_lshl_u32 v97, v185, v97, 3
	v_add_u32_e32 v197, v199, v197
	v_add_u32_e32 v194, v196, v194
	;; [unrolled: 1-line block ×3, first 2 shown]
	ds_write_b64 v96, v[64:65] offset:1024
	ds_write_b64 v97, v[66:67] offset:1024
	v_add_lshl_u32 v66, v188, v234, 3
	v_add_u32_e32 v212, v214, v212
	v_add_u32_e32 v209, v211, v209
	;; [unrolled: 1-line block ×5, first 2 shown]
	ds_write_b64 v66, v[74:75] offset:1024
	v_add_lshl_u32 v67, v191, v233, 3
	v_add_lshl_u32 v74, v194, v232, 3
	;; [unrolled: 1-line block ×3, first 2 shown]
	v_add_u32_e32 v215, v217, v215
	ds_write_b64 v67, v[78:79] offset:1024
	ds_write_b64 v74, v[82:83] offset:1024
	ds_write_b64 v75, v[86:87] offset:1024
	v_add_lshl_u32 v78, v200, v230, 3
	v_add_lshl_u32 v79, v203, v204, 3
	;; [unrolled: 1-line block ×5, first 2 shown]
	v_add_u32_e32 v213, v220, v218
	ds_write_b64 v78, v[90:91] offset:1024
	ds_write_b64 v79, v[94:95] offset:1024
	;; [unrolled: 1-line block ×5, first 2 shown]
	v_add_lshl_u32 v84, v215, v192, 3
	v_add_u32_e32 v210, v223, v221
	ds_write_b64 v84, v[80:81] offset:1024
	v_add_lshl_u32 v80, v213, v189, 3
	v_add_u32_e32 v207, v226, v224
	ds_write_b64 v80, v[76:77] offset:1024
	v_add_lshl_u32 v76, v210, v186, 3
	v_add_u32_e32 v183, v229, v227
	ds_write_b64 v76, v[72:73] offset:1024
	v_add_lshl_u32 v72, v207, v99, 3
	ds_write_b64 v72, v[68:69] offset:1024
	v_add_lshl_u32 v68, v183, v98, 3
	v_cmp_lt_u32_e64 s[36:37], v2, v182
	ds_write_b64 v68, v[70:71] offset:1024
	s_waitcnt lgkmcnt(0)
	s_barrier
	s_and_saveexec_b64 s[38:39], s[36:37]
	s_cbranch_execz .LBB736_494
; %bb.479:                              ;   in Loop: Header=BB736_400 Depth=2
	v_add_u32_e32 v64, v33, v3
	ds_read_b64 v[64:65], v64 offset:1024
	v_mov_b32_e32 v73, s77
	s_waitcnt lgkmcnt(0)
	v_lshrrev_b64 v[70:71], s33, v[64:65]
	v_and_b32_e32 v69, s69, v70
	v_lshlrev_b32_e32 v69, 2, v69
	ds_read_b32 v69, v69
	v_mov_b32_e32 v71, v4
	v_xor_b32_e32 v65, 0x7fffffff, v65
	v_not_b32_e32 v64, v64
	s_waitcnt lgkmcnt(0)
	v_add_u32_e32 v70, v69, v2
	v_lshlrev_b64 v[70:71], 3, v[70:71]
	v_add_co_u32_e32 v70, vcc, s76, v70
	v_addc_co_u32_e32 v71, vcc, v73, v71, vcc
	global_store_dwordx2 v[70:71], v[64:65], off
	s_or_b64 exec, exec, s[38:39]
	v_cmp_lt_u32_e64 s[38:39], v7, v182
	s_and_saveexec_b64 s[40:41], s[38:39]
	s_cbranch_execnz .LBB736_495
.LBB736_480:                            ;   in Loop: Header=BB736_400 Depth=2
	s_or_b64 exec, exec, s[40:41]
	v_cmp_lt_u32_e64 s[40:41], v6, v182
	s_and_saveexec_b64 s[42:43], s[40:41]
	s_cbranch_execz .LBB736_496
.LBB736_481:                            ;   in Loop: Header=BB736_400 Depth=2
	ds_read_b64 v[64:65], v104 offset:4096
	v_mov_b32_e32 v73, s77
	s_waitcnt lgkmcnt(0)
	v_lshrrev_b64 v[70:71], s33, v[64:65]
	v_and_b32_e32 v69, s69, v70
	v_lshlrev_b32_e32 v69, 2, v69
	ds_read_b32 v69, v69
	v_mov_b32_e32 v71, v4
	v_xor_b32_e32 v65, 0x7fffffff, v65
	v_not_b32_e32 v64, v64
	s_waitcnt lgkmcnt(0)
	v_add_u32_e32 v70, v69, v6
	v_lshlrev_b64 v[70:71], 3, v[70:71]
	v_add_co_u32_e32 v70, vcc, s76, v70
	v_addc_co_u32_e32 v71, vcc, v73, v71, vcc
	global_store_dwordx2 v[70:71], v[64:65], off
	s_or_b64 exec, exec, s[42:43]
	v_cmp_lt_u32_e64 s[42:43], v8, v182
	s_and_saveexec_b64 s[44:45], s[42:43]
	s_cbranch_execnz .LBB736_497
.LBB736_482:                            ;   in Loop: Header=BB736_400 Depth=2
	s_or_b64 exec, exec, s[44:45]
	v_cmp_lt_u32_e64 s[44:45], v10, v182
	s_and_saveexec_b64 s[46:47], s[44:45]
	s_cbranch_execz .LBB736_498
.LBB736_483:                            ;   in Loop: Header=BB736_400 Depth=2
	ds_read_b64 v[64:65], v104 offset:8192
	v_mov_b32_e32 v73, s77
	s_waitcnt lgkmcnt(0)
	v_lshrrev_b64 v[70:71], s33, v[64:65]
	v_and_b32_e32 v69, s69, v70
	v_lshlrev_b32_e32 v69, 2, v69
	ds_read_b32 v69, v69
	v_mov_b32_e32 v71, v4
	v_xor_b32_e32 v65, 0x7fffffff, v65
	v_not_b32_e32 v64, v64
	s_waitcnt lgkmcnt(0)
	v_add_u32_e32 v70, v69, v10
	v_lshlrev_b64 v[70:71], 3, v[70:71]
	v_add_co_u32_e32 v70, vcc, s76, v70
	v_addc_co_u32_e32 v71, vcc, v73, v71, vcc
	global_store_dwordx2 v[70:71], v[64:65], off
	s_or_b64 exec, exec, s[46:47]
	v_cmp_lt_u32_e64 s[46:47], v12, v182
	s_and_saveexec_b64 s[48:49], s[46:47]
	s_cbranch_execnz .LBB736_499
.LBB736_484:                            ;   in Loop: Header=BB736_400 Depth=2
	s_or_b64 exec, exec, s[48:49]
	v_cmp_lt_u32_e64 s[48:49], v14, v182
	s_and_saveexec_b64 s[50:51], s[48:49]
	s_cbranch_execz .LBB736_500
.LBB736_485:                            ;   in Loop: Header=BB736_400 Depth=2
	ds_read_b64 v[64:65], v104 offset:12288
	v_mov_b32_e32 v73, s77
	s_waitcnt lgkmcnt(0)
	v_lshrrev_b64 v[70:71], s33, v[64:65]
	v_and_b32_e32 v69, s69, v70
	v_lshlrev_b32_e32 v69, 2, v69
	ds_read_b32 v69, v69
	v_mov_b32_e32 v71, v4
	v_xor_b32_e32 v65, 0x7fffffff, v65
	v_not_b32_e32 v64, v64
	s_waitcnt lgkmcnt(0)
	v_add_u32_e32 v70, v69, v14
	v_lshlrev_b64 v[70:71], 3, v[70:71]
	v_add_co_u32_e32 v70, vcc, s76, v70
	v_addc_co_u32_e32 v71, vcc, v73, v71, vcc
	global_store_dwordx2 v[70:71], v[64:65], off
	s_or_b64 exec, exec, s[50:51]
	v_cmp_lt_u32_e64 s[50:51], v16, v182
	s_and_saveexec_b64 s[52:53], s[50:51]
	s_cbranch_execnz .LBB736_501
.LBB736_486:                            ;   in Loop: Header=BB736_400 Depth=2
	s_or_b64 exec, exec, s[52:53]
	v_cmp_lt_u32_e64 s[52:53], v18, v182
	s_and_saveexec_b64 s[54:55], s[52:53]
	s_cbranch_execz .LBB736_502
.LBB736_487:                            ;   in Loop: Header=BB736_400 Depth=2
	ds_read_b64 v[64:65], v104 offset:16384
	v_mov_b32_e32 v73, s77
	s_waitcnt lgkmcnt(0)
	v_lshrrev_b64 v[70:71], s33, v[64:65]
	v_and_b32_e32 v69, s69, v70
	v_lshlrev_b32_e32 v69, 2, v69
	ds_read_b32 v69, v69
	v_mov_b32_e32 v71, v4
	v_xor_b32_e32 v65, 0x7fffffff, v65
	v_not_b32_e32 v64, v64
	s_waitcnt lgkmcnt(0)
	v_add_u32_e32 v70, v69, v18
	v_lshlrev_b64 v[70:71], 3, v[70:71]
	v_add_co_u32_e32 v70, vcc, s76, v70
	v_addc_co_u32_e32 v71, vcc, v73, v71, vcc
	global_store_dwordx2 v[70:71], v[64:65], off
	s_or_b64 exec, exec, s[54:55]
	v_cmp_lt_u32_e64 s[54:55], v20, v182
	s_and_saveexec_b64 s[56:57], s[54:55]
	s_cbranch_execnz .LBB736_503
.LBB736_488:                            ;   in Loop: Header=BB736_400 Depth=2
	s_or_b64 exec, exec, s[56:57]
	v_cmp_lt_u32_e64 s[56:57], v22, v182
	s_and_saveexec_b64 s[58:59], s[56:57]
	s_cbranch_execz .LBB736_504
.LBB736_489:                            ;   in Loop: Header=BB736_400 Depth=2
	ds_read_b64 v[64:65], v104 offset:20480
	v_mov_b32_e32 v73, s77
	s_waitcnt lgkmcnt(0)
	v_lshrrev_b64 v[70:71], s33, v[64:65]
	v_and_b32_e32 v69, s69, v70
	v_lshlrev_b32_e32 v69, 2, v69
	ds_read_b32 v69, v69
	v_mov_b32_e32 v71, v4
	v_xor_b32_e32 v65, 0x7fffffff, v65
	v_not_b32_e32 v64, v64
	s_waitcnt lgkmcnt(0)
	v_add_u32_e32 v70, v69, v22
	v_lshlrev_b64 v[70:71], 3, v[70:71]
	v_add_co_u32_e32 v70, vcc, s76, v70
	v_addc_co_u32_e32 v71, vcc, v73, v71, vcc
	global_store_dwordx2 v[70:71], v[64:65], off
	s_or_b64 exec, exec, s[58:59]
	v_cmp_lt_u32_e64 s[58:59], v24, v182
	s_and_saveexec_b64 s[60:61], s[58:59]
	s_cbranch_execnz .LBB736_505
.LBB736_490:                            ;   in Loop: Header=BB736_400 Depth=2
	s_or_b64 exec, exec, s[60:61]
	v_cmp_lt_u32_e64 s[60:61], v26, v182
	s_and_saveexec_b64 s[62:63], s[60:61]
	s_cbranch_execz .LBB736_506
.LBB736_491:                            ;   in Loop: Header=BB736_400 Depth=2
	ds_read_b64 v[64:65], v104 offset:24576
	v_mov_b32_e32 v73, s77
	s_waitcnt lgkmcnt(0)
	v_lshrrev_b64 v[70:71], s33, v[64:65]
	v_and_b32_e32 v69, s69, v70
	v_lshlrev_b32_e32 v69, 2, v69
	ds_read_b32 v69, v69
	v_mov_b32_e32 v71, v4
	v_xor_b32_e32 v65, 0x7fffffff, v65
	v_not_b32_e32 v64, v64
	s_waitcnt lgkmcnt(0)
	v_add_u32_e32 v70, v69, v26
	v_lshlrev_b64 v[70:71], 3, v[70:71]
	v_add_co_u32_e32 v70, vcc, s76, v70
	v_addc_co_u32_e32 v71, vcc, v73, v71, vcc
	global_store_dwordx2 v[70:71], v[64:65], off
	s_or_b64 exec, exec, s[62:63]
	v_cmp_lt_u32_e64 s[62:63], v28, v182
	s_and_saveexec_b64 s[64:65], s[62:63]
	s_cbranch_execnz .LBB736_507
.LBB736_492:                            ;   in Loop: Header=BB736_400 Depth=2
	s_or_b64 exec, exec, s[64:65]
	v_cmp_lt_u32_e64 s[64:65], v30, v182
	s_and_saveexec_b64 s[66:67], s[64:65]
	s_cbranch_execz .LBB736_508
.LBB736_493:                            ;   in Loop: Header=BB736_400 Depth=2
	ds_read_b64 v[64:65], v104 offset:28672
	v_mov_b32_e32 v73, s77
	s_waitcnt lgkmcnt(0)
	v_lshrrev_b64 v[70:71], s33, v[64:65]
	v_and_b32_e32 v69, s69, v70
	v_lshlrev_b32_e32 v69, 2, v69
	ds_read_b32 v69, v69
	v_mov_b32_e32 v71, v4
	v_xor_b32_e32 v65, 0x7fffffff, v65
	v_not_b32_e32 v64, v64
	s_waitcnt lgkmcnt(0)
	v_add_u32_e32 v70, v69, v30
	v_lshlrev_b64 v[70:71], 3, v[70:71]
	v_add_co_u32_e32 v70, vcc, s76, v70
	v_addc_co_u32_e32 v71, vcc, v73, v71, vcc
	global_store_dwordx2 v[70:71], v[64:65], off
	s_or_b64 exec, exec, s[66:67]
	v_cmp_lt_u32_e64 s[66:67], v32, v182
	s_and_saveexec_b64 s[92:93], s[66:67]
	s_cbranch_execnz .LBB736_509
	s_branch .LBB736_510
.LBB736_494:                            ;   in Loop: Header=BB736_400 Depth=2
	s_or_b64 exec, exec, s[38:39]
	v_cmp_lt_u32_e64 s[38:39], v7, v182
	s_and_saveexec_b64 s[40:41], s[38:39]
	s_cbranch_execz .LBB736_480
.LBB736_495:                            ;   in Loop: Header=BB736_400 Depth=2
	ds_read_b64 v[64:65], v104 offset:2048
	v_mov_b32_e32 v73, s77
	s_waitcnt lgkmcnt(0)
	v_lshrrev_b64 v[70:71], s33, v[64:65]
	v_and_b32_e32 v69, s69, v70
	v_lshlrev_b32_e32 v69, 2, v69
	ds_read_b32 v69, v69
	v_mov_b32_e32 v71, v4
	v_xor_b32_e32 v65, 0x7fffffff, v65
	v_not_b32_e32 v64, v64
	s_waitcnt lgkmcnt(0)
	v_add_u32_e32 v70, v69, v7
	v_lshlrev_b64 v[70:71], 3, v[70:71]
	v_add_co_u32_e32 v70, vcc, s76, v70
	v_addc_co_u32_e32 v71, vcc, v73, v71, vcc
	global_store_dwordx2 v[70:71], v[64:65], off
	s_or_b64 exec, exec, s[40:41]
	v_cmp_lt_u32_e64 s[40:41], v6, v182
	s_and_saveexec_b64 s[42:43], s[40:41]
	s_cbranch_execnz .LBB736_481
.LBB736_496:                            ;   in Loop: Header=BB736_400 Depth=2
	s_or_b64 exec, exec, s[42:43]
	v_cmp_lt_u32_e64 s[42:43], v8, v182
	s_and_saveexec_b64 s[44:45], s[42:43]
	s_cbranch_execz .LBB736_482
.LBB736_497:                            ;   in Loop: Header=BB736_400 Depth=2
	ds_read_b64 v[64:65], v104 offset:6144
	v_mov_b32_e32 v73, s77
	s_waitcnt lgkmcnt(0)
	v_lshrrev_b64 v[70:71], s33, v[64:65]
	v_and_b32_e32 v69, s69, v70
	v_lshlrev_b32_e32 v69, 2, v69
	ds_read_b32 v69, v69
	v_mov_b32_e32 v71, v4
	v_xor_b32_e32 v65, 0x7fffffff, v65
	v_not_b32_e32 v64, v64
	s_waitcnt lgkmcnt(0)
	v_add_u32_e32 v70, v69, v8
	v_lshlrev_b64 v[70:71], 3, v[70:71]
	v_add_co_u32_e32 v70, vcc, s76, v70
	v_addc_co_u32_e32 v71, vcc, v73, v71, vcc
	global_store_dwordx2 v[70:71], v[64:65], off
	s_or_b64 exec, exec, s[44:45]
	v_cmp_lt_u32_e64 s[44:45], v10, v182
	s_and_saveexec_b64 s[46:47], s[44:45]
	s_cbranch_execnz .LBB736_483
.LBB736_498:                            ;   in Loop: Header=BB736_400 Depth=2
	s_or_b64 exec, exec, s[46:47]
	v_cmp_lt_u32_e64 s[46:47], v12, v182
	s_and_saveexec_b64 s[48:49], s[46:47]
	s_cbranch_execz .LBB736_484
.LBB736_499:                            ;   in Loop: Header=BB736_400 Depth=2
	ds_read_b64 v[64:65], v104 offset:10240
	v_mov_b32_e32 v73, s77
	s_waitcnt lgkmcnt(0)
	v_lshrrev_b64 v[70:71], s33, v[64:65]
	v_and_b32_e32 v69, s69, v70
	v_lshlrev_b32_e32 v69, 2, v69
	ds_read_b32 v69, v69
	v_mov_b32_e32 v71, v4
	v_xor_b32_e32 v65, 0x7fffffff, v65
	v_not_b32_e32 v64, v64
	s_waitcnt lgkmcnt(0)
	v_add_u32_e32 v70, v69, v12
	v_lshlrev_b64 v[70:71], 3, v[70:71]
	v_add_co_u32_e32 v70, vcc, s76, v70
	v_addc_co_u32_e32 v71, vcc, v73, v71, vcc
	global_store_dwordx2 v[70:71], v[64:65], off
	s_or_b64 exec, exec, s[48:49]
	v_cmp_lt_u32_e64 s[48:49], v14, v182
	s_and_saveexec_b64 s[50:51], s[48:49]
	s_cbranch_execnz .LBB736_485
.LBB736_500:                            ;   in Loop: Header=BB736_400 Depth=2
	s_or_b64 exec, exec, s[50:51]
	v_cmp_lt_u32_e64 s[50:51], v16, v182
	s_and_saveexec_b64 s[52:53], s[50:51]
	s_cbranch_execz .LBB736_486
.LBB736_501:                            ;   in Loop: Header=BB736_400 Depth=2
	ds_read_b64 v[64:65], v104 offset:14336
	v_mov_b32_e32 v73, s77
	s_waitcnt lgkmcnt(0)
	v_lshrrev_b64 v[70:71], s33, v[64:65]
	v_and_b32_e32 v69, s69, v70
	v_lshlrev_b32_e32 v69, 2, v69
	ds_read_b32 v69, v69
	v_mov_b32_e32 v71, v4
	v_xor_b32_e32 v65, 0x7fffffff, v65
	v_not_b32_e32 v64, v64
	s_waitcnt lgkmcnt(0)
	v_add_u32_e32 v70, v69, v16
	v_lshlrev_b64 v[70:71], 3, v[70:71]
	v_add_co_u32_e32 v70, vcc, s76, v70
	v_addc_co_u32_e32 v71, vcc, v73, v71, vcc
	global_store_dwordx2 v[70:71], v[64:65], off
	s_or_b64 exec, exec, s[52:53]
	v_cmp_lt_u32_e64 s[52:53], v18, v182
	s_and_saveexec_b64 s[54:55], s[52:53]
	s_cbranch_execnz .LBB736_487
.LBB736_502:                            ;   in Loop: Header=BB736_400 Depth=2
	s_or_b64 exec, exec, s[54:55]
	v_cmp_lt_u32_e64 s[54:55], v20, v182
	s_and_saveexec_b64 s[56:57], s[54:55]
	s_cbranch_execz .LBB736_488
.LBB736_503:                            ;   in Loop: Header=BB736_400 Depth=2
	ds_read_b64 v[64:65], v104 offset:18432
	v_mov_b32_e32 v73, s77
	s_waitcnt lgkmcnt(0)
	v_lshrrev_b64 v[70:71], s33, v[64:65]
	v_and_b32_e32 v69, s69, v70
	v_lshlrev_b32_e32 v69, 2, v69
	ds_read_b32 v69, v69
	v_mov_b32_e32 v71, v4
	v_xor_b32_e32 v65, 0x7fffffff, v65
	v_not_b32_e32 v64, v64
	s_waitcnt lgkmcnt(0)
	v_add_u32_e32 v70, v69, v20
	v_lshlrev_b64 v[70:71], 3, v[70:71]
	v_add_co_u32_e32 v70, vcc, s76, v70
	v_addc_co_u32_e32 v71, vcc, v73, v71, vcc
	global_store_dwordx2 v[70:71], v[64:65], off
	s_or_b64 exec, exec, s[56:57]
	v_cmp_lt_u32_e64 s[56:57], v22, v182
	s_and_saveexec_b64 s[58:59], s[56:57]
	s_cbranch_execnz .LBB736_489
.LBB736_504:                            ;   in Loop: Header=BB736_400 Depth=2
	s_or_b64 exec, exec, s[58:59]
	v_cmp_lt_u32_e64 s[58:59], v24, v182
	s_and_saveexec_b64 s[60:61], s[58:59]
	s_cbranch_execz .LBB736_490
.LBB736_505:                            ;   in Loop: Header=BB736_400 Depth=2
	ds_read_b64 v[64:65], v104 offset:22528
	v_mov_b32_e32 v73, s77
	s_waitcnt lgkmcnt(0)
	v_lshrrev_b64 v[70:71], s33, v[64:65]
	v_and_b32_e32 v69, s69, v70
	v_lshlrev_b32_e32 v69, 2, v69
	ds_read_b32 v69, v69
	v_mov_b32_e32 v71, v4
	v_xor_b32_e32 v65, 0x7fffffff, v65
	v_not_b32_e32 v64, v64
	s_waitcnt lgkmcnt(0)
	v_add_u32_e32 v70, v69, v24
	v_lshlrev_b64 v[70:71], 3, v[70:71]
	v_add_co_u32_e32 v70, vcc, s76, v70
	v_addc_co_u32_e32 v71, vcc, v73, v71, vcc
	global_store_dwordx2 v[70:71], v[64:65], off
	s_or_b64 exec, exec, s[60:61]
	v_cmp_lt_u32_e64 s[60:61], v26, v182
	s_and_saveexec_b64 s[62:63], s[60:61]
	s_cbranch_execnz .LBB736_491
.LBB736_506:                            ;   in Loop: Header=BB736_400 Depth=2
	s_or_b64 exec, exec, s[62:63]
	v_cmp_lt_u32_e64 s[62:63], v28, v182
	s_and_saveexec_b64 s[64:65], s[62:63]
	s_cbranch_execz .LBB736_492
.LBB736_507:                            ;   in Loop: Header=BB736_400 Depth=2
	ds_read_b64 v[64:65], v104 offset:26624
	v_mov_b32_e32 v73, s77
	s_waitcnt lgkmcnt(0)
	v_lshrrev_b64 v[70:71], s33, v[64:65]
	v_and_b32_e32 v69, s69, v70
	v_lshlrev_b32_e32 v69, 2, v69
	ds_read_b32 v69, v69
	v_mov_b32_e32 v71, v4
	v_xor_b32_e32 v65, 0x7fffffff, v65
	v_not_b32_e32 v64, v64
	s_waitcnt lgkmcnt(0)
	v_add_u32_e32 v70, v69, v28
	v_lshlrev_b64 v[70:71], 3, v[70:71]
	v_add_co_u32_e32 v70, vcc, s76, v70
	v_addc_co_u32_e32 v71, vcc, v73, v71, vcc
	global_store_dwordx2 v[70:71], v[64:65], off
	s_or_b64 exec, exec, s[64:65]
	v_cmp_lt_u32_e64 s[64:65], v30, v182
	s_and_saveexec_b64 s[66:67], s[64:65]
	s_cbranch_execnz .LBB736_493
.LBB736_508:                            ;   in Loop: Header=BB736_400 Depth=2
	s_or_b64 exec, exec, s[66:67]
	v_cmp_lt_u32_e64 s[66:67], v32, v182
	s_and_saveexec_b64 s[92:93], s[66:67]
	s_cbranch_execz .LBB736_510
.LBB736_509:                            ;   in Loop: Header=BB736_400 Depth=2
	ds_read_b64 v[64:65], v104 offset:30720
	s_waitcnt lgkmcnt(0)
	v_lshrrev_b64 v[70:71], s33, v[64:65]
	v_and_b32_e32 v69, s69, v70
	v_lshlrev_b32_e32 v69, 2, v69
	ds_read_b32 v69, v69
	v_mov_b32_e32 v71, v4
	v_xor_b32_e32 v65, 0x7fffffff, v65
	v_not_b32_e32 v64, v64
	s_waitcnt lgkmcnt(0)
	v_add_u32_e32 v70, v69, v32
	v_lshlrev_b64 v[70:71], 3, v[70:71]
	v_add_co_u32_e32 v70, vcc, s76, v70
	v_mov_b32_e32 v69, s77
	v_addc_co_u32_e32 v71, vcc, v69, v71, vcc
	global_store_dwordx2 v[70:71], v[64:65], off
.LBB736_510:                            ;   in Loop: Header=BB736_400 Depth=2
	s_or_b64 exec, exec, s[92:93]
	s_mov_b32 s79, s88
	s_lshl_b64 s[78:79], s[78:79], 3
	v_mov_b32_e32 v65, s79
	v_add_co_u32_e32 v64, vcc, s78, v159
	v_addc_co_u32_e32 v65, vcc, v160, v65, vcc
	v_cmp_lt_u32_e32 vcc, v142, v182
	s_and_saveexec_b64 s[78:79], vcc
	s_xor_b64 s[78:79], exec, s[78:79]
	s_cbranch_execz .LBB736_542
; %bb.511:                              ;   in Loop: Header=BB736_400 Depth=2
	global_load_dwordx2 v[62:63], v[64:65], off
	s_or_b64 exec, exec, s[78:79]
	v_cmp_lt_u32_e32 vcc, v143, v182
	s_and_saveexec_b64 s[78:79], vcc
	s_cbranch_execnz .LBB736_543
.LBB736_512:                            ;   in Loop: Header=BB736_400 Depth=2
	s_or_b64 exec, exec, s[78:79]
	v_cmp_lt_u32_e32 vcc, v144, v182
	s_and_saveexec_b64 s[78:79], vcc
	s_cbranch_execz .LBB736_544
.LBB736_513:                            ;   in Loop: Header=BB736_400 Depth=2
	global_load_dwordx2 v[58:59], v[64:65], off offset:1024
	s_or_b64 exec, exec, s[78:79]
	v_cmp_lt_u32_e32 vcc, v145, v182
	s_and_saveexec_b64 s[78:79], vcc
	s_cbranch_execnz .LBB736_545
.LBB736_514:                            ;   in Loop: Header=BB736_400 Depth=2
	s_or_b64 exec, exec, s[78:79]
	v_cmp_lt_u32_e32 vcc, v146, v182
	s_and_saveexec_b64 s[78:79], vcc
	s_cbranch_execz .LBB736_546
.LBB736_515:                            ;   in Loop: Header=BB736_400 Depth=2
	global_load_dwordx2 v[50:51], v[64:65], off offset:2048
	s_or_b64 exec, exec, s[78:79]
	v_cmp_lt_u32_e32 vcc, v147, v182
	s_and_saveexec_b64 s[78:79], vcc
	s_cbranch_execnz .LBB736_547
.LBB736_516:                            ;   in Loop: Header=BB736_400 Depth=2
	s_or_b64 exec, exec, s[78:79]
	v_cmp_lt_u32_e32 vcc, v148, v182
	s_and_saveexec_b64 s[78:79], vcc
	s_cbranch_execz .LBB736_548
.LBB736_517:                            ;   in Loop: Header=BB736_400 Depth=2
	global_load_dwordx2 v[42:43], v[64:65], off offset:3072
	s_or_b64 exec, exec, s[78:79]
	v_cmp_lt_u32_e32 vcc, v149, v182
	s_and_saveexec_b64 s[78:79], vcc
	s_cbranch_execnz .LBB736_549
.LBB736_518:                            ;   in Loop: Header=BB736_400 Depth=2
	s_or_b64 exec, exec, s[78:79]
	v_cmp_lt_u32_e32 vcc, v150, v182
	s_and_saveexec_b64 s[78:79], vcc
	s_cbranch_execz .LBB736_550
.LBB736_519:                            ;   in Loop: Header=BB736_400 Depth=2
	v_add_co_u32_e32 v56, vcc, 0x1000, v64
	v_addc_co_u32_e32 v57, vcc, 0, v65, vcc
	global_load_dwordx2 v[56:57], v[56:57], off
	s_or_b64 exec, exec, s[78:79]
	v_cmp_lt_u32_e32 vcc, v151, v182
	s_and_saveexec_b64 s[78:79], vcc
	s_cbranch_execnz .LBB736_551
.LBB736_520:                            ;   in Loop: Header=BB736_400 Depth=2
	s_or_b64 exec, exec, s[78:79]
	v_cmp_lt_u32_e32 vcc, v152, v182
	s_and_saveexec_b64 s[78:79], vcc
	s_cbranch_execz .LBB736_552
.LBB736_521:                            ;   in Loop: Header=BB736_400 Depth=2
	v_add_co_u32_e32 v48, vcc, 0x1000, v64
	v_addc_co_u32_e32 v49, vcc, 0, v65, vcc
	global_load_dwordx2 v[48:49], v[48:49], off offset:1024
	s_or_b64 exec, exec, s[78:79]
	v_cmp_lt_u32_e32 vcc, v153, v182
	s_and_saveexec_b64 s[78:79], vcc
	s_cbranch_execnz .LBB736_553
.LBB736_522:                            ;   in Loop: Header=BB736_400 Depth=2
	s_or_b64 exec, exec, s[78:79]
	v_cmp_lt_u32_e32 vcc, v154, v182
	s_and_saveexec_b64 s[78:79], vcc
	s_cbranch_execz .LBB736_554
.LBB736_523:                            ;   in Loop: Header=BB736_400 Depth=2
	v_add_co_u32_e32 v40, vcc, 0x1000, v64
	v_addc_co_u32_e32 v41, vcc, 0, v65, vcc
	global_load_dwordx2 v[40:41], v[40:41], off offset:2048
	s_or_b64 exec, exec, s[78:79]
	v_cmp_lt_u32_e32 vcc, v155, v182
	s_and_saveexec_b64 s[78:79], vcc
	s_cbranch_execnz .LBB736_555
.LBB736_524:                            ;   in Loop: Header=BB736_400 Depth=2
	s_or_b64 exec, exec, s[78:79]
	v_cmp_lt_u32_e32 vcc, v156, v182
	s_and_saveexec_b64 s[78:79], vcc
	s_cbranch_execz .LBB736_556
.LBB736_525:                            ;   in Loop: Header=BB736_400 Depth=2
	v_add_co_u32_e32 v34, vcc, 0x1000, v64
	v_addc_co_u32_e32 v35, vcc, 0, v65, vcc
	global_load_dwordx2 v[34:35], v[34:35], off offset:3072
	s_or_b64 exec, exec, s[78:79]
	v_cmp_lt_u32_e32 vcc, v157, v182
	s_and_saveexec_b64 s[78:79], vcc
	s_cbranch_execnz .LBB736_557
.LBB736_526:                            ;   in Loop: Header=BB736_400 Depth=2
	s_or_b64 exec, exec, s[78:79]
	s_and_saveexec_b64 s[78:79], s[36:37]
	s_cbranch_execz .LBB736_558
.LBB736_527:                            ;   in Loop: Header=BB736_400 Depth=2
	v_add_u32_e32 v64, v33, v3
	ds_read_b64 v[64:65], v64 offset:1024
	s_waitcnt lgkmcnt(0)
	v_lshrrev_b64 v[64:65], s33, v[64:65]
	v_and_b32_e32 v180, s69, v64
	s_or_b64 exec, exec, s[78:79]
	s_and_saveexec_b64 s[78:79], s[38:39]
	s_cbranch_execnz .LBB736_559
.LBB736_528:                            ;   in Loop: Header=BB736_400 Depth=2
	s_or_b64 exec, exec, s[78:79]
	s_and_saveexec_b64 s[78:79], s[40:41]
	s_cbranch_execz .LBB736_560
.LBB736_529:                            ;   in Loop: Header=BB736_400 Depth=2
	ds_read_b64 v[64:65], v104 offset:4096
	s_waitcnt lgkmcnt(0)
	v_lshrrev_b64 v[64:65], s33, v[64:65]
	v_and_b32_e32 v177, s69, v64
	s_or_b64 exec, exec, s[78:79]
	s_and_saveexec_b64 s[78:79], s[42:43]
	s_cbranch_execnz .LBB736_561
.LBB736_530:                            ;   in Loop: Header=BB736_400 Depth=2
	s_or_b64 exec, exec, s[78:79]
	s_and_saveexec_b64 s[78:79], s[44:45]
	s_cbranch_execz .LBB736_562
.LBB736_531:                            ;   in Loop: Header=BB736_400 Depth=2
	ds_read_b64 v[64:65], v104 offset:8192
	s_waitcnt lgkmcnt(0)
	v_lshrrev_b64 v[64:65], s33, v[64:65]
	v_and_b32_e32 v174, s69, v64
	s_or_b64 exec, exec, s[78:79]
	s_and_saveexec_b64 s[78:79], s[46:47]
	s_cbranch_execnz .LBB736_563
.LBB736_532:                            ;   in Loop: Header=BB736_400 Depth=2
	s_or_b64 exec, exec, s[78:79]
	s_and_saveexec_b64 s[78:79], s[48:49]
	s_cbranch_execz .LBB736_564
.LBB736_533:                            ;   in Loop: Header=BB736_400 Depth=2
	ds_read_b64 v[64:65], v104 offset:12288
	s_waitcnt lgkmcnt(0)
	v_lshrrev_b64 v[64:65], s33, v[64:65]
	v_and_b32_e32 v172, s69, v64
	s_or_b64 exec, exec, s[78:79]
	s_and_saveexec_b64 s[78:79], s[50:51]
	s_cbranch_execnz .LBB736_565
.LBB736_534:                            ;   in Loop: Header=BB736_400 Depth=2
	s_or_b64 exec, exec, s[78:79]
	s_and_saveexec_b64 s[78:79], s[52:53]
	s_cbranch_execz .LBB736_566
.LBB736_535:                            ;   in Loop: Header=BB736_400 Depth=2
	ds_read_b64 v[64:65], v104 offset:16384
	s_waitcnt lgkmcnt(0)
	v_lshrrev_b64 v[64:65], s33, v[64:65]
	v_and_b32_e32 v170, s69, v64
	s_or_b64 exec, exec, s[78:79]
	s_and_saveexec_b64 s[78:79], s[54:55]
	s_cbranch_execnz .LBB736_567
.LBB736_536:                            ;   in Loop: Header=BB736_400 Depth=2
	s_or_b64 exec, exec, s[78:79]
	s_and_saveexec_b64 s[78:79], s[56:57]
	s_cbranch_execz .LBB736_568
.LBB736_537:                            ;   in Loop: Header=BB736_400 Depth=2
	ds_read_b64 v[64:65], v104 offset:20480
	s_waitcnt lgkmcnt(0)
	v_lshrrev_b64 v[64:65], s33, v[64:65]
	v_and_b32_e32 v168, s69, v64
	s_or_b64 exec, exec, s[78:79]
	s_and_saveexec_b64 s[78:79], s[58:59]
	s_cbranch_execnz .LBB736_569
.LBB736_538:                            ;   in Loop: Header=BB736_400 Depth=2
	s_or_b64 exec, exec, s[78:79]
	s_and_saveexec_b64 s[78:79], s[60:61]
	s_cbranch_execz .LBB736_570
.LBB736_539:                            ;   in Loop: Header=BB736_400 Depth=2
	ds_read_b64 v[64:65], v104 offset:24576
	s_waitcnt lgkmcnt(0)
	v_lshrrev_b64 v[64:65], s33, v[64:65]
	v_and_b32_e32 v166, s69, v64
	s_or_b64 exec, exec, s[78:79]
	s_and_saveexec_b64 s[78:79], s[62:63]
	s_cbranch_execnz .LBB736_571
.LBB736_540:                            ;   in Loop: Header=BB736_400 Depth=2
	s_or_b64 exec, exec, s[78:79]
	s_and_saveexec_b64 s[78:79], s[64:65]
	s_cbranch_execz .LBB736_572
.LBB736_541:                            ;   in Loop: Header=BB736_400 Depth=2
	ds_read_b64 v[64:65], v104 offset:28672
	s_waitcnt lgkmcnt(0)
	v_lshrrev_b64 v[64:65], s33, v[64:65]
	v_and_b32_e32 v164, s69, v64
	s_or_b64 exec, exec, s[78:79]
	s_and_saveexec_b64 s[78:79], s[66:67]
	s_cbranch_execnz .LBB736_573
	s_branch .LBB736_574
.LBB736_542:                            ;   in Loop: Header=BB736_400 Depth=2
	s_or_b64 exec, exec, s[78:79]
	v_cmp_lt_u32_e32 vcc, v143, v182
	s_and_saveexec_b64 s[78:79], vcc
	s_cbranch_execz .LBB736_512
.LBB736_543:                            ;   in Loop: Header=BB736_400 Depth=2
	global_load_dwordx2 v[60:61], v[64:65], off offset:512
	s_or_b64 exec, exec, s[78:79]
	v_cmp_lt_u32_e32 vcc, v144, v182
	s_and_saveexec_b64 s[78:79], vcc
	s_cbranch_execnz .LBB736_513
.LBB736_544:                            ;   in Loop: Header=BB736_400 Depth=2
	s_or_b64 exec, exec, s[78:79]
	v_cmp_lt_u32_e32 vcc, v145, v182
	s_and_saveexec_b64 s[78:79], vcc
	s_cbranch_execz .LBB736_514
.LBB736_545:                            ;   in Loop: Header=BB736_400 Depth=2
	global_load_dwordx2 v[54:55], v[64:65], off offset:1536
	s_or_b64 exec, exec, s[78:79]
	v_cmp_lt_u32_e32 vcc, v146, v182
	s_and_saveexec_b64 s[78:79], vcc
	s_cbranch_execnz .LBB736_515
.LBB736_546:                            ;   in Loop: Header=BB736_400 Depth=2
	s_or_b64 exec, exec, s[78:79]
	v_cmp_lt_u32_e32 vcc, v147, v182
	s_and_saveexec_b64 s[78:79], vcc
	s_cbranch_execz .LBB736_516
.LBB736_547:                            ;   in Loop: Header=BB736_400 Depth=2
	global_load_dwordx2 v[46:47], v[64:65], off offset:2560
	s_or_b64 exec, exec, s[78:79]
	v_cmp_lt_u32_e32 vcc, v148, v182
	s_and_saveexec_b64 s[78:79], vcc
	s_cbranch_execnz .LBB736_517
.LBB736_548:                            ;   in Loop: Header=BB736_400 Depth=2
	s_or_b64 exec, exec, s[78:79]
	v_cmp_lt_u32_e32 vcc, v149, v182
	s_and_saveexec_b64 s[78:79], vcc
	s_cbranch_execz .LBB736_518
.LBB736_549:                            ;   in Loop: Header=BB736_400 Depth=2
	global_load_dwordx2 v[38:39], v[64:65], off offset:3584
	s_or_b64 exec, exec, s[78:79]
	v_cmp_lt_u32_e32 vcc, v150, v182
	s_and_saveexec_b64 s[78:79], vcc
	s_cbranch_execnz .LBB736_519
.LBB736_550:                            ;   in Loop: Header=BB736_400 Depth=2
	s_or_b64 exec, exec, s[78:79]
	v_cmp_lt_u32_e32 vcc, v151, v182
	s_and_saveexec_b64 s[78:79], vcc
	s_cbranch_execz .LBB736_520
.LBB736_551:                            ;   in Loop: Header=BB736_400 Depth=2
	v_add_co_u32_e32 v52, vcc, 0x1000, v64
	v_addc_co_u32_e32 v53, vcc, 0, v65, vcc
	global_load_dwordx2 v[52:53], v[52:53], off offset:512
	s_or_b64 exec, exec, s[78:79]
	v_cmp_lt_u32_e32 vcc, v152, v182
	s_and_saveexec_b64 s[78:79], vcc
	s_cbranch_execnz .LBB736_521
.LBB736_552:                            ;   in Loop: Header=BB736_400 Depth=2
	s_or_b64 exec, exec, s[78:79]
	v_cmp_lt_u32_e32 vcc, v153, v182
	s_and_saveexec_b64 s[78:79], vcc
	s_cbranch_execz .LBB736_522
.LBB736_553:                            ;   in Loop: Header=BB736_400 Depth=2
	v_add_co_u32_e32 v44, vcc, 0x1000, v64
	v_addc_co_u32_e32 v45, vcc, 0, v65, vcc
	global_load_dwordx2 v[44:45], v[44:45], off offset:1536
	s_or_b64 exec, exec, s[78:79]
	v_cmp_lt_u32_e32 vcc, v154, v182
	s_and_saveexec_b64 s[78:79], vcc
	s_cbranch_execnz .LBB736_523
.LBB736_554:                            ;   in Loop: Header=BB736_400 Depth=2
	s_or_b64 exec, exec, s[78:79]
	v_cmp_lt_u32_e32 vcc, v155, v182
	s_and_saveexec_b64 s[78:79], vcc
	s_cbranch_execz .LBB736_524
.LBB736_555:                            ;   in Loop: Header=BB736_400 Depth=2
	v_add_co_u32_e32 v36, vcc, 0x1000, v64
	v_addc_co_u32_e32 v37, vcc, 0, v65, vcc
	global_load_dwordx2 v[36:37], v[36:37], off offset:2560
	s_or_b64 exec, exec, s[78:79]
	v_cmp_lt_u32_e32 vcc, v156, v182
	s_and_saveexec_b64 s[78:79], vcc
	s_cbranch_execnz .LBB736_525
.LBB736_556:                            ;   in Loop: Header=BB736_400 Depth=2
	s_or_b64 exec, exec, s[78:79]
	v_cmp_lt_u32_e32 vcc, v157, v182
	s_and_saveexec_b64 s[78:79], vcc
	s_cbranch_execz .LBB736_526
.LBB736_557:                            ;   in Loop: Header=BB736_400 Depth=2
	v_add_co_u32_e32 v0, vcc, 0x1000, v64
	v_addc_co_u32_e32 v1, vcc, 0, v65, vcc
	global_load_dwordx2 v[0:1], v[0:1], off offset:3584
	s_or_b64 exec, exec, s[78:79]
	s_and_saveexec_b64 s[78:79], s[36:37]
	s_cbranch_execnz .LBB736_527
.LBB736_558:                            ;   in Loop: Header=BB736_400 Depth=2
	s_or_b64 exec, exec, s[78:79]
	s_and_saveexec_b64 s[78:79], s[38:39]
	s_cbranch_execz .LBB736_528
.LBB736_559:                            ;   in Loop: Header=BB736_400 Depth=2
	ds_read_b64 v[64:65], v104 offset:2048
	s_waitcnt lgkmcnt(0)
	v_lshrrev_b64 v[64:65], s33, v[64:65]
	v_and_b32_e32 v178, s69, v64
	s_or_b64 exec, exec, s[78:79]
	s_and_saveexec_b64 s[78:79], s[40:41]
	s_cbranch_execnz .LBB736_529
.LBB736_560:                            ;   in Loop: Header=BB736_400 Depth=2
	s_or_b64 exec, exec, s[78:79]
	s_and_saveexec_b64 s[78:79], s[42:43]
	s_cbranch_execz .LBB736_530
.LBB736_561:                            ;   in Loop: Header=BB736_400 Depth=2
	ds_read_b64 v[64:65], v104 offset:6144
	s_waitcnt lgkmcnt(0)
	v_lshrrev_b64 v[64:65], s33, v[64:65]
	v_and_b32_e32 v175, s69, v64
	s_or_b64 exec, exec, s[78:79]
	s_and_saveexec_b64 s[78:79], s[44:45]
	s_cbranch_execnz .LBB736_531
.LBB736_562:                            ;   in Loop: Header=BB736_400 Depth=2
	s_or_b64 exec, exec, s[78:79]
	s_and_saveexec_b64 s[78:79], s[46:47]
	s_cbranch_execz .LBB736_532
.LBB736_563:                            ;   in Loop: Header=BB736_400 Depth=2
	ds_read_b64 v[64:65], v104 offset:10240
	s_waitcnt lgkmcnt(0)
	v_lshrrev_b64 v[64:65], s33, v[64:65]
	v_and_b32_e32 v173, s69, v64
	s_or_b64 exec, exec, s[78:79]
	s_and_saveexec_b64 s[78:79], s[48:49]
	s_cbranch_execnz .LBB736_533
.LBB736_564:                            ;   in Loop: Header=BB736_400 Depth=2
	s_or_b64 exec, exec, s[78:79]
	s_and_saveexec_b64 s[78:79], s[50:51]
	s_cbranch_execz .LBB736_534
.LBB736_565:                            ;   in Loop: Header=BB736_400 Depth=2
	ds_read_b64 v[64:65], v104 offset:14336
	s_waitcnt lgkmcnt(0)
	v_lshrrev_b64 v[64:65], s33, v[64:65]
	v_and_b32_e32 v171, s69, v64
	s_or_b64 exec, exec, s[78:79]
	s_and_saveexec_b64 s[78:79], s[52:53]
	s_cbranch_execnz .LBB736_535
.LBB736_566:                            ;   in Loop: Header=BB736_400 Depth=2
	s_or_b64 exec, exec, s[78:79]
	s_and_saveexec_b64 s[78:79], s[54:55]
	s_cbranch_execz .LBB736_536
.LBB736_567:                            ;   in Loop: Header=BB736_400 Depth=2
	ds_read_b64 v[64:65], v104 offset:18432
	s_waitcnt lgkmcnt(0)
	v_lshrrev_b64 v[64:65], s33, v[64:65]
	v_and_b32_e32 v169, s69, v64
	s_or_b64 exec, exec, s[78:79]
	s_and_saveexec_b64 s[78:79], s[56:57]
	s_cbranch_execnz .LBB736_537
.LBB736_568:                            ;   in Loop: Header=BB736_400 Depth=2
	s_or_b64 exec, exec, s[78:79]
	s_and_saveexec_b64 s[78:79], s[58:59]
	s_cbranch_execz .LBB736_538
.LBB736_569:                            ;   in Loop: Header=BB736_400 Depth=2
	ds_read_b64 v[64:65], v104 offset:22528
	s_waitcnt lgkmcnt(0)
	v_lshrrev_b64 v[64:65], s33, v[64:65]
	v_and_b32_e32 v167, s69, v64
	s_or_b64 exec, exec, s[78:79]
	s_and_saveexec_b64 s[78:79], s[60:61]
	s_cbranch_execnz .LBB736_539
.LBB736_570:                            ;   in Loop: Header=BB736_400 Depth=2
	s_or_b64 exec, exec, s[78:79]
	s_and_saveexec_b64 s[78:79], s[62:63]
	s_cbranch_execz .LBB736_540
.LBB736_571:                            ;   in Loop: Header=BB736_400 Depth=2
	ds_read_b64 v[64:65], v104 offset:26624
	s_waitcnt lgkmcnt(0)
	v_lshrrev_b64 v[64:65], s33, v[64:65]
	v_and_b32_e32 v165, s69, v64
	s_or_b64 exec, exec, s[78:79]
	s_and_saveexec_b64 s[78:79], s[64:65]
	s_cbranch_execnz .LBB736_541
.LBB736_572:                            ;   in Loop: Header=BB736_400 Depth=2
	s_or_b64 exec, exec, s[78:79]
	s_and_saveexec_b64 s[78:79], s[66:67]
	s_cbranch_execz .LBB736_574
.LBB736_573:                            ;   in Loop: Header=BB736_400 Depth=2
	ds_read_b64 v[64:65], v104 offset:30720
	s_waitcnt lgkmcnt(0)
	v_lshrrev_b64 v[64:65], s33, v[64:65]
	v_and_b32_e32 v163, s69, v64
.LBB736_574:                            ;   in Loop: Header=BB736_400 Depth=2
	s_or_b64 exec, exec, s[78:79]
	v_add_u32_e32 v64, 0x400, v96
	v_add_u32_e32 v65, 0x400, v97
	;; [unrolled: 1-line block ×16, first 2 shown]
	s_barrier
	s_waitcnt vmcnt(0)
	ds_write_b64 v64, v[62:63]
	ds_write_b64 v65, v[60:61]
	;; [unrolled: 1-line block ×16, first 2 shown]
	s_waitcnt lgkmcnt(0)
	s_barrier
	s_and_saveexec_b64 s[78:79], s[36:37]
	s_cbranch_execz .LBB736_590
; %bb.575:                              ;   in Loop: Header=BB736_400 Depth=2
	v_lshlrev_b32_e32 v64, 2, v180
	ds_read_b32 v66, v64
	v_add_u32_e32 v64, v33, v3
	ds_read_b64 v[64:65], v64 offset:1024
	v_mov_b32_e32 v67, v4
	v_mov_b32_e32 v68, s83
	s_waitcnt lgkmcnt(1)
	v_add_u32_e32 v66, v66, v2
	v_lshlrev_b64 v[66:67], 3, v[66:67]
	v_add_co_u32_e32 v66, vcc, s82, v66
	v_addc_co_u32_e32 v67, vcc, v68, v67, vcc
	s_waitcnt lgkmcnt(0)
	global_store_dwordx2 v[66:67], v[64:65], off
	s_or_b64 exec, exec, s[78:79]
	s_and_saveexec_b64 s[36:37], s[38:39]
	s_cbranch_execnz .LBB736_591
.LBB736_576:                            ;   in Loop: Header=BB736_400 Depth=2
	s_or_b64 exec, exec, s[36:37]
	s_and_saveexec_b64 s[36:37], s[40:41]
	s_cbranch_execz .LBB736_592
.LBB736_577:                            ;   in Loop: Header=BB736_400 Depth=2
	v_lshlrev_b32_e32 v64, 2, v177
	ds_read_b32 v66, v64
	ds_read_b64 v[64:65], v104 offset:4096
	v_mov_b32_e32 v67, v4
	v_mov_b32_e32 v68, s83
	s_waitcnt lgkmcnt(1)
	v_add_u32_e32 v66, v66, v6
	v_lshlrev_b64 v[66:67], 3, v[66:67]
	v_add_co_u32_e32 v66, vcc, s82, v66
	v_addc_co_u32_e32 v67, vcc, v68, v67, vcc
	s_waitcnt lgkmcnt(0)
	global_store_dwordx2 v[66:67], v[64:65], off
	s_or_b64 exec, exec, s[36:37]
	s_and_saveexec_b64 s[36:37], s[42:43]
	s_cbranch_execnz .LBB736_593
.LBB736_578:                            ;   in Loop: Header=BB736_400 Depth=2
	s_or_b64 exec, exec, s[36:37]
	s_and_saveexec_b64 s[36:37], s[44:45]
	s_cbranch_execz .LBB736_594
.LBB736_579:                            ;   in Loop: Header=BB736_400 Depth=2
	v_lshlrev_b32_e32 v64, 2, v174
	ds_read_b32 v66, v64
	ds_read_b64 v[64:65], v104 offset:8192
	v_mov_b32_e32 v67, v4
	v_mov_b32_e32 v68, s83
	s_waitcnt lgkmcnt(1)
	v_add_u32_e32 v66, v66, v10
	v_lshlrev_b64 v[66:67], 3, v[66:67]
	v_add_co_u32_e32 v66, vcc, s82, v66
	v_addc_co_u32_e32 v67, vcc, v68, v67, vcc
	s_waitcnt lgkmcnt(0)
	global_store_dwordx2 v[66:67], v[64:65], off
	s_or_b64 exec, exec, s[36:37]
	s_and_saveexec_b64 s[36:37], s[46:47]
	s_cbranch_execnz .LBB736_595
.LBB736_580:                            ;   in Loop: Header=BB736_400 Depth=2
	s_or_b64 exec, exec, s[36:37]
	s_and_saveexec_b64 s[36:37], s[48:49]
	s_cbranch_execz .LBB736_596
.LBB736_581:                            ;   in Loop: Header=BB736_400 Depth=2
	v_lshlrev_b32_e32 v64, 2, v172
	ds_read_b32 v66, v64
	ds_read_b64 v[64:65], v104 offset:12288
	v_mov_b32_e32 v67, v4
	v_mov_b32_e32 v68, s83
	s_waitcnt lgkmcnt(1)
	v_add_u32_e32 v66, v66, v14
	v_lshlrev_b64 v[66:67], 3, v[66:67]
	v_add_co_u32_e32 v66, vcc, s82, v66
	v_addc_co_u32_e32 v67, vcc, v68, v67, vcc
	s_waitcnt lgkmcnt(0)
	global_store_dwordx2 v[66:67], v[64:65], off
	s_or_b64 exec, exec, s[36:37]
	s_and_saveexec_b64 s[36:37], s[50:51]
	s_cbranch_execnz .LBB736_597
.LBB736_582:                            ;   in Loop: Header=BB736_400 Depth=2
	s_or_b64 exec, exec, s[36:37]
	s_and_saveexec_b64 s[36:37], s[52:53]
	s_cbranch_execz .LBB736_598
.LBB736_583:                            ;   in Loop: Header=BB736_400 Depth=2
	v_lshlrev_b32_e32 v64, 2, v170
	ds_read_b32 v66, v64
	ds_read_b64 v[64:65], v104 offset:16384
	v_mov_b32_e32 v67, v4
	v_mov_b32_e32 v68, s83
	s_waitcnt lgkmcnt(1)
	v_add_u32_e32 v66, v66, v18
	v_lshlrev_b64 v[66:67], 3, v[66:67]
	v_add_co_u32_e32 v66, vcc, s82, v66
	v_addc_co_u32_e32 v67, vcc, v68, v67, vcc
	s_waitcnt lgkmcnt(0)
	global_store_dwordx2 v[66:67], v[64:65], off
	s_or_b64 exec, exec, s[36:37]
	s_and_saveexec_b64 s[36:37], s[54:55]
	s_cbranch_execnz .LBB736_599
.LBB736_584:                            ;   in Loop: Header=BB736_400 Depth=2
	s_or_b64 exec, exec, s[36:37]
	s_and_saveexec_b64 s[36:37], s[56:57]
	s_cbranch_execz .LBB736_600
.LBB736_585:                            ;   in Loop: Header=BB736_400 Depth=2
	v_lshlrev_b32_e32 v64, 2, v168
	ds_read_b32 v66, v64
	ds_read_b64 v[64:65], v104 offset:20480
	v_mov_b32_e32 v67, v4
	v_mov_b32_e32 v68, s83
	s_waitcnt lgkmcnt(1)
	v_add_u32_e32 v66, v66, v22
	v_lshlrev_b64 v[66:67], 3, v[66:67]
	v_add_co_u32_e32 v66, vcc, s82, v66
	v_addc_co_u32_e32 v67, vcc, v68, v67, vcc
	s_waitcnt lgkmcnt(0)
	global_store_dwordx2 v[66:67], v[64:65], off
	s_or_b64 exec, exec, s[36:37]
	s_and_saveexec_b64 s[36:37], s[58:59]
	s_cbranch_execnz .LBB736_601
.LBB736_586:                            ;   in Loop: Header=BB736_400 Depth=2
	s_or_b64 exec, exec, s[36:37]
	s_and_saveexec_b64 s[36:37], s[60:61]
	s_cbranch_execz .LBB736_602
.LBB736_587:                            ;   in Loop: Header=BB736_400 Depth=2
	v_lshlrev_b32_e32 v64, 2, v166
	ds_read_b32 v66, v64
	ds_read_b64 v[64:65], v104 offset:24576
	v_mov_b32_e32 v67, v4
	v_mov_b32_e32 v68, s83
	s_waitcnt lgkmcnt(1)
	v_add_u32_e32 v66, v66, v26
	v_lshlrev_b64 v[66:67], 3, v[66:67]
	v_add_co_u32_e32 v66, vcc, s82, v66
	v_addc_co_u32_e32 v67, vcc, v68, v67, vcc
	s_waitcnt lgkmcnt(0)
	global_store_dwordx2 v[66:67], v[64:65], off
	s_or_b64 exec, exec, s[36:37]
	s_and_saveexec_b64 s[36:37], s[62:63]
	s_cbranch_execnz .LBB736_603
.LBB736_588:                            ;   in Loop: Header=BB736_400 Depth=2
	s_or_b64 exec, exec, s[36:37]
	s_and_saveexec_b64 s[36:37], s[64:65]
	s_cbranch_execz .LBB736_604
.LBB736_589:                            ;   in Loop: Header=BB736_400 Depth=2
	v_lshlrev_b32_e32 v64, 2, v164
	ds_read_b32 v66, v64
	ds_read_b64 v[64:65], v104 offset:28672
	v_mov_b32_e32 v67, v4
	v_mov_b32_e32 v68, s83
	s_waitcnt lgkmcnt(1)
	v_add_u32_e32 v66, v66, v30
	v_lshlrev_b64 v[66:67], 3, v[66:67]
	v_add_co_u32_e32 v66, vcc, s82, v66
	v_addc_co_u32_e32 v67, vcc, v68, v67, vcc
	s_waitcnt lgkmcnt(0)
	global_store_dwordx2 v[66:67], v[64:65], off
	s_or_b64 exec, exec, s[36:37]
	s_and_saveexec_b64 s[36:37], s[66:67]
	s_cbranch_execnz .LBB736_605
	s_branch .LBB736_606
.LBB736_590:                            ;   in Loop: Header=BB736_400 Depth=2
	s_or_b64 exec, exec, s[78:79]
	s_and_saveexec_b64 s[36:37], s[38:39]
	s_cbranch_execz .LBB736_576
.LBB736_591:                            ;   in Loop: Header=BB736_400 Depth=2
	v_lshlrev_b32_e32 v64, 2, v178
	ds_read_b32 v66, v64
	ds_read_b64 v[64:65], v104 offset:2048
	v_mov_b32_e32 v67, v4
	v_mov_b32_e32 v68, s83
	s_waitcnt lgkmcnt(1)
	v_add_u32_e32 v66, v66, v7
	v_lshlrev_b64 v[66:67], 3, v[66:67]
	v_add_co_u32_e32 v66, vcc, s82, v66
	v_addc_co_u32_e32 v67, vcc, v68, v67, vcc
	s_waitcnt lgkmcnt(0)
	global_store_dwordx2 v[66:67], v[64:65], off
	s_or_b64 exec, exec, s[36:37]
	s_and_saveexec_b64 s[36:37], s[40:41]
	s_cbranch_execnz .LBB736_577
.LBB736_592:                            ;   in Loop: Header=BB736_400 Depth=2
	s_or_b64 exec, exec, s[36:37]
	s_and_saveexec_b64 s[36:37], s[42:43]
	s_cbranch_execz .LBB736_578
.LBB736_593:                            ;   in Loop: Header=BB736_400 Depth=2
	v_lshlrev_b32_e32 v64, 2, v175
	ds_read_b32 v66, v64
	ds_read_b64 v[64:65], v104 offset:6144
	v_mov_b32_e32 v67, v4
	v_mov_b32_e32 v68, s83
	s_waitcnt lgkmcnt(1)
	v_add_u32_e32 v66, v66, v8
	v_lshlrev_b64 v[66:67], 3, v[66:67]
	v_add_co_u32_e32 v66, vcc, s82, v66
	v_addc_co_u32_e32 v67, vcc, v68, v67, vcc
	s_waitcnt lgkmcnt(0)
	global_store_dwordx2 v[66:67], v[64:65], off
	s_or_b64 exec, exec, s[36:37]
	s_and_saveexec_b64 s[36:37], s[44:45]
	s_cbranch_execnz .LBB736_579
.LBB736_594:                            ;   in Loop: Header=BB736_400 Depth=2
	s_or_b64 exec, exec, s[36:37]
	s_and_saveexec_b64 s[36:37], s[46:47]
	s_cbranch_execz .LBB736_580
.LBB736_595:                            ;   in Loop: Header=BB736_400 Depth=2
	v_lshlrev_b32_e32 v64, 2, v173
	ds_read_b32 v66, v64
	ds_read_b64 v[64:65], v104 offset:10240
	v_mov_b32_e32 v67, v4
	v_mov_b32_e32 v68, s83
	s_waitcnt lgkmcnt(1)
	v_add_u32_e32 v66, v66, v12
	v_lshlrev_b64 v[66:67], 3, v[66:67]
	v_add_co_u32_e32 v66, vcc, s82, v66
	v_addc_co_u32_e32 v67, vcc, v68, v67, vcc
	s_waitcnt lgkmcnt(0)
	global_store_dwordx2 v[66:67], v[64:65], off
	s_or_b64 exec, exec, s[36:37]
	s_and_saveexec_b64 s[36:37], s[48:49]
	s_cbranch_execnz .LBB736_581
.LBB736_596:                            ;   in Loop: Header=BB736_400 Depth=2
	s_or_b64 exec, exec, s[36:37]
	s_and_saveexec_b64 s[36:37], s[50:51]
	s_cbranch_execz .LBB736_582
.LBB736_597:                            ;   in Loop: Header=BB736_400 Depth=2
	v_lshlrev_b32_e32 v64, 2, v171
	ds_read_b32 v66, v64
	ds_read_b64 v[64:65], v104 offset:14336
	v_mov_b32_e32 v67, v4
	v_mov_b32_e32 v68, s83
	s_waitcnt lgkmcnt(1)
	v_add_u32_e32 v66, v66, v16
	v_lshlrev_b64 v[66:67], 3, v[66:67]
	v_add_co_u32_e32 v66, vcc, s82, v66
	v_addc_co_u32_e32 v67, vcc, v68, v67, vcc
	s_waitcnt lgkmcnt(0)
	global_store_dwordx2 v[66:67], v[64:65], off
	s_or_b64 exec, exec, s[36:37]
	s_and_saveexec_b64 s[36:37], s[52:53]
	s_cbranch_execnz .LBB736_583
.LBB736_598:                            ;   in Loop: Header=BB736_400 Depth=2
	s_or_b64 exec, exec, s[36:37]
	s_and_saveexec_b64 s[36:37], s[54:55]
	s_cbranch_execz .LBB736_584
.LBB736_599:                            ;   in Loop: Header=BB736_400 Depth=2
	v_lshlrev_b32_e32 v64, 2, v169
	ds_read_b32 v66, v64
	ds_read_b64 v[64:65], v104 offset:18432
	v_mov_b32_e32 v67, v4
	v_mov_b32_e32 v68, s83
	s_waitcnt lgkmcnt(1)
	v_add_u32_e32 v66, v66, v20
	v_lshlrev_b64 v[66:67], 3, v[66:67]
	v_add_co_u32_e32 v66, vcc, s82, v66
	v_addc_co_u32_e32 v67, vcc, v68, v67, vcc
	s_waitcnt lgkmcnt(0)
	global_store_dwordx2 v[66:67], v[64:65], off
	s_or_b64 exec, exec, s[36:37]
	s_and_saveexec_b64 s[36:37], s[56:57]
	s_cbranch_execnz .LBB736_585
.LBB736_600:                            ;   in Loop: Header=BB736_400 Depth=2
	s_or_b64 exec, exec, s[36:37]
	s_and_saveexec_b64 s[36:37], s[58:59]
	s_cbranch_execz .LBB736_586
.LBB736_601:                            ;   in Loop: Header=BB736_400 Depth=2
	v_lshlrev_b32_e32 v64, 2, v167
	ds_read_b32 v66, v64
	ds_read_b64 v[64:65], v104 offset:22528
	v_mov_b32_e32 v67, v4
	v_mov_b32_e32 v68, s83
	s_waitcnt lgkmcnt(1)
	v_add_u32_e32 v66, v66, v24
	v_lshlrev_b64 v[66:67], 3, v[66:67]
	v_add_co_u32_e32 v66, vcc, s82, v66
	v_addc_co_u32_e32 v67, vcc, v68, v67, vcc
	s_waitcnt lgkmcnt(0)
	global_store_dwordx2 v[66:67], v[64:65], off
	s_or_b64 exec, exec, s[36:37]
	s_and_saveexec_b64 s[36:37], s[60:61]
	s_cbranch_execnz .LBB736_587
.LBB736_602:                            ;   in Loop: Header=BB736_400 Depth=2
	s_or_b64 exec, exec, s[36:37]
	s_and_saveexec_b64 s[36:37], s[62:63]
	s_cbranch_execz .LBB736_588
.LBB736_603:                            ;   in Loop: Header=BB736_400 Depth=2
	v_lshlrev_b32_e32 v64, 2, v165
	ds_read_b32 v66, v64
	ds_read_b64 v[64:65], v104 offset:26624
	v_mov_b32_e32 v67, v4
	v_mov_b32_e32 v68, s83
	s_waitcnt lgkmcnt(1)
	v_add_u32_e32 v66, v66, v28
	v_lshlrev_b64 v[66:67], 3, v[66:67]
	v_add_co_u32_e32 v66, vcc, s82, v66
	v_addc_co_u32_e32 v67, vcc, v68, v67, vcc
	s_waitcnt lgkmcnt(0)
	global_store_dwordx2 v[66:67], v[64:65], off
	s_or_b64 exec, exec, s[36:37]
	s_and_saveexec_b64 s[36:37], s[64:65]
	s_cbranch_execnz .LBB736_589
.LBB736_604:                            ;   in Loop: Header=BB736_400 Depth=2
	s_or_b64 exec, exec, s[36:37]
	s_and_saveexec_b64 s[36:37], s[66:67]
	s_cbranch_execz .LBB736_606
.LBB736_605:                            ;   in Loop: Header=BB736_400 Depth=2
	v_lshlrev_b32_e32 v64, 2, v163
	ds_read_b32 v66, v64
	ds_read_b64 v[64:65], v104 offset:30720
	v_mov_b32_e32 v67, v4
	v_mov_b32_e32 v68, s83
	s_waitcnt lgkmcnt(1)
	v_add_u32_e32 v66, v66, v32
	v_lshlrev_b64 v[66:67], 3, v[66:67]
	v_add_co_u32_e32 v66, vcc, s82, v66
	v_addc_co_u32_e32 v67, vcc, v68, v67, vcc
	s_waitcnt lgkmcnt(0)
	global_store_dwordx2 v[66:67], v[64:65], off
.LBB736_606:                            ;   in Loop: Header=BB736_400 Depth=2
	s_or_b64 exec, exec, s[36:37]
	s_barrier
	s_and_saveexec_b64 s[36:37], s[4:5]
	s_cbranch_execz .LBB736_399
; %bb.607:                              ;   in Loop: Header=BB736_400 Depth=2
	ds_read_b32 v64, v3
	s_waitcnt lgkmcnt(0)
	v_add_u32_e32 v5, v64, v5
	ds_write_b32 v3, v5
	s_branch .LBB736_399
.LBB736_608:                            ;   in Loop: Header=BB736_20 Depth=1
	v_readlane_b32 s38, v235, 2
	s_waitcnt lgkmcnt(0)
	s_barrier
.LBB736_609:                            ;   in Loop: Header=BB736_20 Depth=1
	s_mov_b64 s[16:17], 0
.LBB736_610:                            ;   in Loop: Header=BB736_20 Depth=1
	s_andn2_b64 vcc, exec, s[16:17]
	s_cbranch_vccnz .LBB736_19
; %bb.611:                              ;   in Loop: Header=BB736_20 Depth=1
	s_lshl_b32 s16, -1, s68
	s_not_b32 s68, s16
	s_mov_b64 s[16:17], -1
	s_and_b64 vcc, exec, s[70:71]
	s_cbranch_vccz .LBB736_905
; %bb.612:                              ;   in Loop: Header=BB736_20 Depth=1
	s_mov_b32 s24, s85
	s_mov_b32 s18, s38
	s_barrier
	s_waitcnt lgkmcnt(0)
                                        ; implicit-def: $vgpr62_vgpr63
                                        ; implicit-def: $vgpr0_vgpr1
                                        ; implicit-def: $vgpr34_vgpr35
                                        ; implicit-def: $vgpr36_vgpr37
                                        ; implicit-def: $vgpr38_vgpr39
                                        ; implicit-def: $vgpr40_vgpr41
                                        ; implicit-def: $vgpr42_vgpr43
                                        ; implicit-def: $vgpr44_vgpr45
                                        ; implicit-def: $vgpr46_vgpr47
                                        ; implicit-def: $vgpr48_vgpr49
                                        ; implicit-def: $vgpr50_vgpr51
                                        ; implicit-def: $vgpr52_vgpr53
                                        ; implicit-def: $vgpr54_vgpr55
                                        ; implicit-def: $vgpr56_vgpr57
                                        ; implicit-def: $vgpr58_vgpr59
                                        ; implicit-def: $vgpr60_vgpr61
	s_branch .LBB736_614
.LBB736_613:                            ;   in Loop: Header=BB736_614 Depth=2
	s_or_b64 exec, exec, s[16:17]
	s_addk_i32 s24, 0xf000
	s_cmp_ge_u32 s25, s94
	s_mov_b32 s18, s25
	s_cbranch_scc1 .LBB736_684
.LBB736_614:                            ;   Parent Loop BB736_20 Depth=1
                                        ; =>  This Inner Loop Header: Depth=2
	s_add_i32 s25, s18, 0x1000
	s_cmp_gt_u32 s25, s94
	s_cbranch_scc1 .LBB736_617
; %bb.615:                              ;   in Loop: Header=BB736_614 Depth=2
	s_mov_b32 s19, s88
	s_lshl_b64 s[16:17], s[18:19], 3
	v_mov_b32_e32 v5, s17
	v_add_co_u32_e32 v64, vcc, s16, v111
	v_addc_co_u32_e32 v65, vcc, v112, v5, vcc
	s_waitcnt vmcnt(11)
	v_add_co_u32_e32 v72, vcc, 0x1000, v64
	v_addc_co_u32_e32 v73, vcc, 0, v65, vcc
	s_waitcnt vmcnt(5)
	;; [unrolled: 3-line block ×3, first 2 shown]
	v_add_co_u32_e32 v82, vcc, s96, v64
	v_addc_co_u32_e32 v83, vcc, 0, v65, vcc
	v_add_co_u32_e32 v86, vcc, s97, v64
	v_addc_co_u32_e32 v87, vcc, 0, v65, vcc
	;; [unrolled: 2-line block ×4, first 2 shown]
	global_load_dwordx2 v[66:67], v[64:65], off
	global_load_dwordx2 v[68:69], v[64:65], off offset:2048
	global_load_dwordx2 v[70:71], v[72:73], off
	s_nop 0
	global_load_dwordx2 v[72:73], v[72:73], off offset:2048
	s_nop 0
	global_load_dwordx2 v[74:75], v[82:83], off
	global_load_dwordx2 v[76:77], v[82:83], off offset:2048
	global_load_dwordx2 v[80:81], v[88:89], off offset:-4096
	global_load_dwordx2 v[84:85], v[88:89], off
	s_nop 0
	global_load_dwordx2 v[88:89], v[88:89], off offset:2048
	s_nop 0
	global_load_dwordx2 v[78:79], v[78:79], off offset:2048
	;; [unrolled: 2-line block ×3, first 2 shown]
	s_nop 0
	global_load_dwordx2 v[90:91], v[92:93], off
	s_nop 0
	global_load_dwordx2 v[92:93], v[92:93], off offset:2048
	s_waitcnt vmcnt(13)
	v_add_co_u32_e32 v94, vcc, 0x7000, v64
	v_addc_co_u32_e32 v95, vcc, 0, v65, vcc
	global_load_dwordx2 v[82:83], v[82:83], off offset:-4096
	s_nop 0
	global_load_dwordx2 v[94:95], v[94:95], off
	v_add_co_u32_e32 v64, vcc, 0x7800, v64
	s_movk_i32 s26, 0x1000
	v_addc_co_u32_e32 v65, vcc, 0, v65, vcc
	s_mov_b64 s[16:17], -1
	s_cbranch_execz .LBB736_618
; %bb.616:                              ;   in Loop: Header=BB736_614 Depth=2
                                        ; implicit-def: $vgpr60_vgpr61
                                        ; implicit-def: $vgpr58_vgpr59
                                        ; implicit-def: $vgpr56_vgpr57
                                        ; implicit-def: $vgpr54_vgpr55
                                        ; implicit-def: $vgpr52_vgpr53
                                        ; implicit-def: $vgpr50_vgpr51
                                        ; implicit-def: $vgpr48_vgpr49
                                        ; implicit-def: $vgpr46_vgpr47
                                        ; implicit-def: $vgpr44_vgpr45
                                        ; implicit-def: $vgpr42_vgpr43
                                        ; implicit-def: $vgpr40_vgpr41
                                        ; implicit-def: $vgpr38_vgpr39
                                        ; implicit-def: $vgpr36_vgpr37
                                        ; implicit-def: $vgpr34_vgpr35
                                        ; implicit-def: $vgpr0_vgpr1
                                        ; implicit-def: $vgpr62_vgpr63
	v_mov_b32_e32 v5, s24
	s_and_saveexec_b64 s[18:19], s[16:17]
	s_cbranch_execnz .LBB736_637
	s_branch .LBB736_638
.LBB736_617:                            ;   in Loop: Header=BB736_614 Depth=2
	s_mov_b64 s[16:17], 0
                                        ; implicit-def: $sgpr26
                                        ; implicit-def: $vgpr66_vgpr67
                                        ; implicit-def: $vgpr68_vgpr69
                                        ; implicit-def: $vgpr70_vgpr71
                                        ; implicit-def: $vgpr72_vgpr73
                                        ; implicit-def: $vgpr82_vgpr83
                                        ; implicit-def: $vgpr78_vgpr79
                                        ; implicit-def: $vgpr74_vgpr75
                                        ; implicit-def: $vgpr76_vgpr77
                                        ; implicit-def: $vgpr80_vgpr81
                                        ; implicit-def: $vgpr86_vgpr87
                                        ; implicit-def: $vgpr84_vgpr85
                                        ; implicit-def: $vgpr88_vgpr89
                                        ; implicit-def: $vgpr90_vgpr91
                                        ; implicit-def: $vgpr92_vgpr93
                                        ; implicit-def: $vgpr94_vgpr95
                                        ; implicit-def: $vgpr64_vgpr65
.LBB736_618:                            ;   in Loop: Header=BB736_614 Depth=2
	s_mov_b32 s19, s88
	s_lshl_b64 s[20:21], s[18:19], 3
	s_add_u32 s20, s72, s20
	s_addc_u32 s21, s73, s21
	v_cmp_gt_u32_e32 vcc, s24, v2
	s_and_saveexec_b64 s[22:23], vcc
	s_cbranch_execz .LBB736_670
; %bb.619:                              ;   in Loop: Header=BB736_614 Depth=2
	global_load_dwordx2 v[60:61], v118, s[20:21]
	s_or_b64 exec, exec, s[22:23]
	v_cmp_gt_u32_e32 vcc, s24, v7
	s_and_saveexec_b64 s[22:23], vcc
	s_cbranch_execnz .LBB736_671
.LBB736_620:                            ;   in Loop: Header=BB736_614 Depth=2
	s_or_b64 exec, exec, s[22:23]
	v_cmp_gt_u32_e32 vcc, s24, v6
	s_and_saveexec_b64 s[22:23], vcc
	s_cbranch_execz .LBB736_672
.LBB736_621:                            ;   in Loop: Header=BB736_614 Depth=2
	global_load_dwordx2 v[56:57], v119, s[20:21]
	s_or_b64 exec, exec, s[22:23]
	v_cmp_gt_u32_e32 vcc, s24, v8
	s_and_saveexec_b64 s[22:23], vcc
	s_cbranch_execnz .LBB736_673
.LBB736_622:                            ;   in Loop: Header=BB736_614 Depth=2
	s_or_b64 exec, exec, s[22:23]
	v_cmp_gt_u32_e32 vcc, s24, v10
	s_and_saveexec_b64 s[22:23], vcc
	s_cbranch_execz .LBB736_674
.LBB736_623:                            ;   in Loop: Header=BB736_614 Depth=2
	global_load_dwordx2 v[52:53], v121, s[20:21]
	s_or_b64 exec, exec, s[22:23]
	v_cmp_gt_u32_e32 vcc, s24, v12
	s_and_saveexec_b64 s[22:23], vcc
	s_cbranch_execnz .LBB736_675
.LBB736_624:                            ;   in Loop: Header=BB736_614 Depth=2
	s_or_b64 exec, exec, s[22:23]
	v_cmp_gt_u32_e32 vcc, s24, v14
	s_and_saveexec_b64 s[22:23], vcc
	s_cbranch_execz .LBB736_676
.LBB736_625:                            ;   in Loop: Header=BB736_614 Depth=2
	global_load_dwordx2 v[48:49], v123, s[20:21]
	s_or_b64 exec, exec, s[22:23]
	v_cmp_gt_u32_e32 vcc, s24, v16
	s_and_saveexec_b64 s[22:23], vcc
	s_cbranch_execnz .LBB736_677
.LBB736_626:                            ;   in Loop: Header=BB736_614 Depth=2
	s_or_b64 exec, exec, s[22:23]
	v_cmp_gt_u32_e32 vcc, s24, v18
	s_and_saveexec_b64 s[22:23], vcc
	s_cbranch_execz .LBB736_678
.LBB736_627:                            ;   in Loop: Header=BB736_614 Depth=2
	global_load_dwordx2 v[44:45], v125, s[20:21]
	s_or_b64 exec, exec, s[22:23]
	v_cmp_gt_u32_e32 vcc, s24, v20
	s_and_saveexec_b64 s[22:23], vcc
	s_cbranch_execnz .LBB736_679
.LBB736_628:                            ;   in Loop: Header=BB736_614 Depth=2
	s_or_b64 exec, exec, s[22:23]
	v_cmp_gt_u32_e32 vcc, s24, v22
	s_and_saveexec_b64 s[22:23], vcc
	s_cbranch_execz .LBB736_680
.LBB736_629:                            ;   in Loop: Header=BB736_614 Depth=2
	global_load_dwordx2 v[40:41], v127, s[20:21]
	s_or_b64 exec, exec, s[22:23]
	v_cmp_gt_u32_e32 vcc, s24, v24
	s_and_saveexec_b64 s[22:23], vcc
	s_cbranch_execnz .LBB736_681
.LBB736_630:                            ;   in Loop: Header=BB736_614 Depth=2
	s_or_b64 exec, exec, s[22:23]
	v_cmp_gt_u32_e32 vcc, s24, v26
	s_and_saveexec_b64 s[22:23], vcc
	s_cbranch_execz .LBB736_682
.LBB736_631:                            ;   in Loop: Header=BB736_614 Depth=2
	global_load_dwordx2 v[36:37], v129, s[20:21]
	s_or_b64 exec, exec, s[22:23]
	v_cmp_gt_u32_e32 vcc, s24, v28
	s_and_saveexec_b64 s[22:23], vcc
	s_cbranch_execnz .LBB736_683
.LBB736_632:                            ;   in Loop: Header=BB736_614 Depth=2
	s_or_b64 exec, exec, s[22:23]
	v_cmp_gt_u32_e32 vcc, s24, v30
	s_and_saveexec_b64 s[22:23], vcc
	s_cbranch_execz .LBB736_634
.LBB736_633:                            ;   in Loop: Header=BB736_614 Depth=2
	global_load_dwordx2 v[0:1], v131, s[20:21]
.LBB736_634:                            ;   in Loop: Header=BB736_614 Depth=2
	s_or_b64 exec, exec, s[22:23]
	v_cmp_gt_u32_e32 vcc, s24, v32
                                        ; implicit-def: $sgpr26
                                        ; implicit-def: $vgpr64_vgpr65
	s_and_saveexec_b64 s[22:23], vcc
; %bb.635:                              ;   in Loop: Header=BB736_614 Depth=2
	v_mov_b32_e32 v5, s21
	v_add_co_u32_e32 v64, vcc, s20, v132
	s_sub_i32 s26, s94, s18
	v_addc_co_u32_e32 v65, vcc, 0, v5, vcc
	s_or_b64 s[16:17], s[16:17], exec
                                        ; implicit-def: $vgpr62_vgpr63
; %bb.636:                              ;   in Loop: Header=BB736_614 Depth=2
	s_or_b64 exec, exec, s[22:23]
	s_waitcnt vmcnt(0)
	v_pk_mov_b32 v[66:67], v[60:61], v[60:61] op_sel:[0,1]
	v_pk_mov_b32 v[68:69], v[58:59], v[58:59] op_sel:[0,1]
	;; [unrolled: 1-line block ×15, first 2 shown]
	v_mov_b32_e32 v5, s24
	s_and_saveexec_b64 s[18:19], s[16:17]
	s_cbranch_execz .LBB736_638
.LBB736_637:                            ;   in Loop: Header=BB736_614 Depth=2
	global_load_dwordx2 v[62:63], v[64:65], off
	v_mov_b32_e32 v5, s26
	s_waitcnt vmcnt(1)
	v_pk_mov_b32 v[0:1], v[94:95], v[94:95] op_sel:[0,1]
	v_pk_mov_b32 v[34:35], v[92:93], v[92:93] op_sel:[0,1]
	;; [unrolled: 1-line block ×15, first 2 shown]
.LBB736_638:                            ;   in Loop: Header=BB736_614 Depth=2
	s_or_b64 exec, exec, s[18:19]
	v_cmp_lt_u32_e32 vcc, v2, v5
	s_and_saveexec_b64 s[16:17], vcc
	s_cbranch_execz .LBB736_654
; %bb.639:                              ;   in Loop: Header=BB736_614 Depth=2
	v_xor_b32_e32 v65, 0x7fffffff, v61
	v_not_b32_e32 v64, v60
	v_lshrrev_b64 v[64:65], s84, v[64:65]
	v_and_b32_e32 v64, s68, v64
	v_lshl_or_b32 v64, v64, 4, v133
	ds_add_u32 v64, v117
	s_or_b64 exec, exec, s[16:17]
	v_cmp_lt_u32_e32 vcc, v7, v5
	s_and_saveexec_b64 s[16:17], vcc
	s_cbranch_execnz .LBB736_655
.LBB736_640:                            ;   in Loop: Header=BB736_614 Depth=2
	s_or_b64 exec, exec, s[16:17]
	v_cmp_lt_u32_e32 vcc, v6, v5
	s_and_saveexec_b64 s[16:17], vcc
	s_cbranch_execz .LBB736_656
.LBB736_641:                            ;   in Loop: Header=BB736_614 Depth=2
	v_xor_b32_e32 v65, 0x7fffffff, v57
	v_not_b32_e32 v64, v56
	v_lshrrev_b64 v[64:65], s84, v[64:65]
	v_and_b32_e32 v64, s68, v64
	v_lshl_or_b32 v64, v64, 4, v133
	ds_add_u32 v64, v117
	s_or_b64 exec, exec, s[16:17]
	v_cmp_lt_u32_e32 vcc, v8, v5
	s_and_saveexec_b64 s[16:17], vcc
	s_cbranch_execnz .LBB736_657
.LBB736_642:                            ;   in Loop: Header=BB736_614 Depth=2
	s_or_b64 exec, exec, s[16:17]
	v_cmp_lt_u32_e32 vcc, v10, v5
	s_and_saveexec_b64 s[16:17], vcc
	s_cbranch_execz .LBB736_658
.LBB736_643:                            ;   in Loop: Header=BB736_614 Depth=2
	v_xor_b32_e32 v65, 0x7fffffff, v53
	v_not_b32_e32 v64, v52
	v_lshrrev_b64 v[64:65], s84, v[64:65]
	v_and_b32_e32 v64, s68, v64
	v_lshl_or_b32 v64, v64, 4, v133
	ds_add_u32 v64, v117
	s_or_b64 exec, exec, s[16:17]
	v_cmp_lt_u32_e32 vcc, v12, v5
	s_and_saveexec_b64 s[16:17], vcc
	s_cbranch_execnz .LBB736_659
.LBB736_644:                            ;   in Loop: Header=BB736_614 Depth=2
	s_or_b64 exec, exec, s[16:17]
	v_cmp_lt_u32_e32 vcc, v14, v5
	s_and_saveexec_b64 s[16:17], vcc
	s_cbranch_execz .LBB736_660
.LBB736_645:                            ;   in Loop: Header=BB736_614 Depth=2
	v_xor_b32_e32 v65, 0x7fffffff, v49
	v_not_b32_e32 v64, v48
	v_lshrrev_b64 v[64:65], s84, v[64:65]
	v_and_b32_e32 v64, s68, v64
	v_lshl_or_b32 v64, v64, 4, v133
	ds_add_u32 v64, v117
	s_or_b64 exec, exec, s[16:17]
	v_cmp_lt_u32_e32 vcc, v16, v5
	s_and_saveexec_b64 s[16:17], vcc
	s_cbranch_execnz .LBB736_661
.LBB736_646:                            ;   in Loop: Header=BB736_614 Depth=2
	s_or_b64 exec, exec, s[16:17]
	v_cmp_lt_u32_e32 vcc, v18, v5
	s_and_saveexec_b64 s[16:17], vcc
	s_cbranch_execz .LBB736_662
.LBB736_647:                            ;   in Loop: Header=BB736_614 Depth=2
	v_xor_b32_e32 v65, 0x7fffffff, v45
	v_not_b32_e32 v64, v44
	v_lshrrev_b64 v[64:65], s84, v[64:65]
	v_and_b32_e32 v64, s68, v64
	v_lshl_or_b32 v64, v64, 4, v133
	ds_add_u32 v64, v117
	s_or_b64 exec, exec, s[16:17]
	v_cmp_lt_u32_e32 vcc, v20, v5
	s_and_saveexec_b64 s[16:17], vcc
	s_cbranch_execnz .LBB736_663
.LBB736_648:                            ;   in Loop: Header=BB736_614 Depth=2
	s_or_b64 exec, exec, s[16:17]
	v_cmp_lt_u32_e32 vcc, v22, v5
	s_and_saveexec_b64 s[16:17], vcc
	s_cbranch_execz .LBB736_664
.LBB736_649:                            ;   in Loop: Header=BB736_614 Depth=2
	v_xor_b32_e32 v65, 0x7fffffff, v41
	v_not_b32_e32 v64, v40
	v_lshrrev_b64 v[64:65], s84, v[64:65]
	v_and_b32_e32 v64, s68, v64
	v_lshl_or_b32 v64, v64, 4, v133
	ds_add_u32 v64, v117
	s_or_b64 exec, exec, s[16:17]
	v_cmp_lt_u32_e32 vcc, v24, v5
	s_and_saveexec_b64 s[16:17], vcc
	s_cbranch_execnz .LBB736_665
.LBB736_650:                            ;   in Loop: Header=BB736_614 Depth=2
	s_or_b64 exec, exec, s[16:17]
	v_cmp_lt_u32_e32 vcc, v26, v5
	s_and_saveexec_b64 s[16:17], vcc
	s_cbranch_execz .LBB736_666
.LBB736_651:                            ;   in Loop: Header=BB736_614 Depth=2
	v_xor_b32_e32 v65, 0x7fffffff, v37
	v_not_b32_e32 v64, v36
	v_lshrrev_b64 v[64:65], s84, v[64:65]
	v_and_b32_e32 v64, s68, v64
	v_lshl_or_b32 v64, v64, 4, v133
	ds_add_u32 v64, v117
	s_or_b64 exec, exec, s[16:17]
	v_cmp_lt_u32_e32 vcc, v28, v5
	s_and_saveexec_b64 s[16:17], vcc
	s_cbranch_execnz .LBB736_667
.LBB736_652:                            ;   in Loop: Header=BB736_614 Depth=2
	s_or_b64 exec, exec, s[16:17]
	v_cmp_lt_u32_e32 vcc, v30, v5
	s_and_saveexec_b64 s[16:17], vcc
	s_cbranch_execz .LBB736_668
.LBB736_653:                            ;   in Loop: Header=BB736_614 Depth=2
	v_xor_b32_e32 v65, 0x7fffffff, v1
	v_not_b32_e32 v64, v0
	v_lshrrev_b64 v[64:65], s84, v[64:65]
	v_and_b32_e32 v64, s68, v64
	v_lshl_or_b32 v64, v64, 4, v133
	ds_add_u32 v64, v117
	s_or_b64 exec, exec, s[16:17]
	v_cmp_lt_u32_e32 vcc, v32, v5
	s_and_saveexec_b64 s[16:17], vcc
	s_cbranch_execz .LBB736_613
	s_branch .LBB736_669
.LBB736_654:                            ;   in Loop: Header=BB736_614 Depth=2
	s_or_b64 exec, exec, s[16:17]
	v_cmp_lt_u32_e32 vcc, v7, v5
	s_and_saveexec_b64 s[16:17], vcc
	s_cbranch_execz .LBB736_640
.LBB736_655:                            ;   in Loop: Header=BB736_614 Depth=2
	v_xor_b32_e32 v65, 0x7fffffff, v59
	v_not_b32_e32 v64, v58
	v_lshrrev_b64 v[64:65], s84, v[64:65]
	v_and_b32_e32 v64, s68, v64
	v_lshl_or_b32 v64, v64, 4, v133
	ds_add_u32 v64, v117
	s_or_b64 exec, exec, s[16:17]
	v_cmp_lt_u32_e32 vcc, v6, v5
	s_and_saveexec_b64 s[16:17], vcc
	s_cbranch_execnz .LBB736_641
.LBB736_656:                            ;   in Loop: Header=BB736_614 Depth=2
	s_or_b64 exec, exec, s[16:17]
	v_cmp_lt_u32_e32 vcc, v8, v5
	s_and_saveexec_b64 s[16:17], vcc
	s_cbranch_execz .LBB736_642
.LBB736_657:                            ;   in Loop: Header=BB736_614 Depth=2
	v_xor_b32_e32 v65, 0x7fffffff, v55
	v_not_b32_e32 v64, v54
	v_lshrrev_b64 v[64:65], s84, v[64:65]
	v_and_b32_e32 v64, s68, v64
	v_lshl_or_b32 v64, v64, 4, v133
	ds_add_u32 v64, v117
	s_or_b64 exec, exec, s[16:17]
	v_cmp_lt_u32_e32 vcc, v10, v5
	s_and_saveexec_b64 s[16:17], vcc
	s_cbranch_execnz .LBB736_643
.LBB736_658:                            ;   in Loop: Header=BB736_614 Depth=2
	s_or_b64 exec, exec, s[16:17]
	v_cmp_lt_u32_e32 vcc, v12, v5
	s_and_saveexec_b64 s[16:17], vcc
	s_cbranch_execz .LBB736_644
.LBB736_659:                            ;   in Loop: Header=BB736_614 Depth=2
	v_xor_b32_e32 v65, 0x7fffffff, v51
	v_not_b32_e32 v64, v50
	v_lshrrev_b64 v[64:65], s84, v[64:65]
	v_and_b32_e32 v64, s68, v64
	v_lshl_or_b32 v64, v64, 4, v133
	ds_add_u32 v64, v117
	s_or_b64 exec, exec, s[16:17]
	v_cmp_lt_u32_e32 vcc, v14, v5
	s_and_saveexec_b64 s[16:17], vcc
	s_cbranch_execnz .LBB736_645
.LBB736_660:                            ;   in Loop: Header=BB736_614 Depth=2
	s_or_b64 exec, exec, s[16:17]
	v_cmp_lt_u32_e32 vcc, v16, v5
	s_and_saveexec_b64 s[16:17], vcc
	s_cbranch_execz .LBB736_646
.LBB736_661:                            ;   in Loop: Header=BB736_614 Depth=2
	v_xor_b32_e32 v65, 0x7fffffff, v47
	v_not_b32_e32 v64, v46
	v_lshrrev_b64 v[64:65], s84, v[64:65]
	v_and_b32_e32 v64, s68, v64
	v_lshl_or_b32 v64, v64, 4, v133
	ds_add_u32 v64, v117
	s_or_b64 exec, exec, s[16:17]
	v_cmp_lt_u32_e32 vcc, v18, v5
	s_and_saveexec_b64 s[16:17], vcc
	s_cbranch_execnz .LBB736_647
.LBB736_662:                            ;   in Loop: Header=BB736_614 Depth=2
	s_or_b64 exec, exec, s[16:17]
	v_cmp_lt_u32_e32 vcc, v20, v5
	s_and_saveexec_b64 s[16:17], vcc
	s_cbranch_execz .LBB736_648
.LBB736_663:                            ;   in Loop: Header=BB736_614 Depth=2
	v_xor_b32_e32 v65, 0x7fffffff, v43
	v_not_b32_e32 v64, v42
	v_lshrrev_b64 v[64:65], s84, v[64:65]
	v_and_b32_e32 v64, s68, v64
	v_lshl_or_b32 v64, v64, 4, v133
	ds_add_u32 v64, v117
	s_or_b64 exec, exec, s[16:17]
	v_cmp_lt_u32_e32 vcc, v22, v5
	s_and_saveexec_b64 s[16:17], vcc
	s_cbranch_execnz .LBB736_649
.LBB736_664:                            ;   in Loop: Header=BB736_614 Depth=2
	s_or_b64 exec, exec, s[16:17]
	v_cmp_lt_u32_e32 vcc, v24, v5
	s_and_saveexec_b64 s[16:17], vcc
	s_cbranch_execz .LBB736_650
.LBB736_665:                            ;   in Loop: Header=BB736_614 Depth=2
	v_xor_b32_e32 v65, 0x7fffffff, v39
	v_not_b32_e32 v64, v38
	v_lshrrev_b64 v[64:65], s84, v[64:65]
	v_and_b32_e32 v64, s68, v64
	v_lshl_or_b32 v64, v64, 4, v133
	ds_add_u32 v64, v117
	s_or_b64 exec, exec, s[16:17]
	v_cmp_lt_u32_e32 vcc, v26, v5
	s_and_saveexec_b64 s[16:17], vcc
	s_cbranch_execnz .LBB736_651
.LBB736_666:                            ;   in Loop: Header=BB736_614 Depth=2
	s_or_b64 exec, exec, s[16:17]
	v_cmp_lt_u32_e32 vcc, v28, v5
	s_and_saveexec_b64 s[16:17], vcc
	s_cbranch_execz .LBB736_652
.LBB736_667:                            ;   in Loop: Header=BB736_614 Depth=2
	v_xor_b32_e32 v65, 0x7fffffff, v35
	v_not_b32_e32 v64, v34
	v_lshrrev_b64 v[64:65], s84, v[64:65]
	v_and_b32_e32 v64, s68, v64
	v_lshl_or_b32 v64, v64, 4, v133
	ds_add_u32 v64, v117
	s_or_b64 exec, exec, s[16:17]
	v_cmp_lt_u32_e32 vcc, v30, v5
	s_and_saveexec_b64 s[16:17], vcc
	s_cbranch_execnz .LBB736_653
.LBB736_668:                            ;   in Loop: Header=BB736_614 Depth=2
	s_or_b64 exec, exec, s[16:17]
	v_cmp_lt_u32_e32 vcc, v32, v5
	s_and_saveexec_b64 s[16:17], vcc
	s_cbranch_execz .LBB736_613
.LBB736_669:                            ;   in Loop: Header=BB736_614 Depth=2
	s_waitcnt vmcnt(0)
	v_xor_b32_e32 v65, 0x7fffffff, v63
	v_not_b32_e32 v64, v62
	v_lshrrev_b64 v[64:65], s84, v[64:65]
	v_and_b32_e32 v5, s68, v64
	v_lshl_or_b32 v5, v5, 4, v133
	ds_add_u32 v5, v117
	s_branch .LBB736_613
.LBB736_670:                            ;   in Loop: Header=BB736_614 Depth=2
	s_or_b64 exec, exec, s[22:23]
	v_cmp_gt_u32_e32 vcc, s24, v7
	s_and_saveexec_b64 s[22:23], vcc
	s_cbranch_execz .LBB736_620
.LBB736_671:                            ;   in Loop: Header=BB736_614 Depth=2
	global_load_dwordx2 v[58:59], v118, s[20:21] offset:2048
	s_or_b64 exec, exec, s[22:23]
	v_cmp_gt_u32_e32 vcc, s24, v6
	s_and_saveexec_b64 s[22:23], vcc
	s_cbranch_execnz .LBB736_621
.LBB736_672:                            ;   in Loop: Header=BB736_614 Depth=2
	s_or_b64 exec, exec, s[22:23]
	v_cmp_gt_u32_e32 vcc, s24, v8
	s_and_saveexec_b64 s[22:23], vcc
	s_cbranch_execz .LBB736_622
.LBB736_673:                            ;   in Loop: Header=BB736_614 Depth=2
	global_load_dwordx2 v[54:55], v120, s[20:21]
	s_or_b64 exec, exec, s[22:23]
	v_cmp_gt_u32_e32 vcc, s24, v10
	s_and_saveexec_b64 s[22:23], vcc
	s_cbranch_execnz .LBB736_623
.LBB736_674:                            ;   in Loop: Header=BB736_614 Depth=2
	s_or_b64 exec, exec, s[22:23]
	v_cmp_gt_u32_e32 vcc, s24, v12
	s_and_saveexec_b64 s[22:23], vcc
	s_cbranch_execz .LBB736_624
.LBB736_675:                            ;   in Loop: Header=BB736_614 Depth=2
	global_load_dwordx2 v[50:51], v122, s[20:21]
	s_or_b64 exec, exec, s[22:23]
	v_cmp_gt_u32_e32 vcc, s24, v14
	s_and_saveexec_b64 s[22:23], vcc
	s_cbranch_execnz .LBB736_625
.LBB736_676:                            ;   in Loop: Header=BB736_614 Depth=2
	s_or_b64 exec, exec, s[22:23]
	v_cmp_gt_u32_e32 vcc, s24, v16
	s_and_saveexec_b64 s[22:23], vcc
	s_cbranch_execz .LBB736_626
.LBB736_677:                            ;   in Loop: Header=BB736_614 Depth=2
	global_load_dwordx2 v[46:47], v124, s[20:21]
	s_or_b64 exec, exec, s[22:23]
	v_cmp_gt_u32_e32 vcc, s24, v18
	s_and_saveexec_b64 s[22:23], vcc
	s_cbranch_execnz .LBB736_627
.LBB736_678:                            ;   in Loop: Header=BB736_614 Depth=2
	s_or_b64 exec, exec, s[22:23]
	v_cmp_gt_u32_e32 vcc, s24, v20
	s_and_saveexec_b64 s[22:23], vcc
	s_cbranch_execz .LBB736_628
.LBB736_679:                            ;   in Loop: Header=BB736_614 Depth=2
	global_load_dwordx2 v[42:43], v126, s[20:21]
	s_or_b64 exec, exec, s[22:23]
	v_cmp_gt_u32_e32 vcc, s24, v22
	s_and_saveexec_b64 s[22:23], vcc
	s_cbranch_execnz .LBB736_629
.LBB736_680:                            ;   in Loop: Header=BB736_614 Depth=2
	s_or_b64 exec, exec, s[22:23]
	v_cmp_gt_u32_e32 vcc, s24, v24
	s_and_saveexec_b64 s[22:23], vcc
	s_cbranch_execz .LBB736_630
.LBB736_681:                            ;   in Loop: Header=BB736_614 Depth=2
	global_load_dwordx2 v[38:39], v128, s[20:21]
	s_or_b64 exec, exec, s[22:23]
	v_cmp_gt_u32_e32 vcc, s24, v26
	s_and_saveexec_b64 s[22:23], vcc
	s_cbranch_execnz .LBB736_631
.LBB736_682:                            ;   in Loop: Header=BB736_614 Depth=2
	s_or_b64 exec, exec, s[22:23]
	v_cmp_gt_u32_e32 vcc, s24, v28
	s_and_saveexec_b64 s[22:23], vcc
	s_cbranch_execz .LBB736_632
.LBB736_683:                            ;   in Loop: Header=BB736_614 Depth=2
	global_load_dwordx2 v[34:35], v130, s[20:21]
	s_or_b64 exec, exec, s[22:23]
	v_cmp_gt_u32_e32 vcc, s24, v30
	s_and_saveexec_b64 s[22:23], vcc
	s_cbranch_execz .LBB736_634
	s_branch .LBB736_633
.LBB736_684:                            ;   in Loop: Header=BB736_20 Depth=1
	v_mov_b32_e32 v0, 0
	s_waitcnt lgkmcnt(0)
	s_barrier
	s_and_saveexec_b64 s[16:17], s[4:5]
	s_cbranch_execz .LBB736_686
; %bb.685:                              ;   in Loop: Header=BB736_20 Depth=1
	ds_read2_b64 v[34:37], v13 offset1:1
	s_waitcnt lgkmcnt(0)
	v_add_u32_e32 v0, v35, v34
	v_add3_u32 v0, v0, v36, v37
.LBB736_686:                            ;   in Loop: Header=BB736_20 Depth=1
	s_or_b64 exec, exec, s[16:17]
	s_nop 0
	v_mov_b32_dpp v1, v0 row_shr:1 row_mask:0xf bank_mask:0xf
	v_cmp_eq_u32_e64 s[16:17], 0, v135
	v_cndmask_b32_e64 v1, v1, 0, s[16:17]
	v_add_u32_e32 v0, v1, v0
	v_cmp_lt_u32_e64 s[18:19], 1, v135
	v_cmp_lt_u32_e64 s[20:21], 3, v135
	v_mov_b32_dpp v1, v0 row_shr:2 row_mask:0xf bank_mask:0xf
	v_cndmask_b32_e64 v1, 0, v1, s[18:19]
	v_add_u32_e32 v0, v0, v1
	v_cmp_lt_u32_e64 s[22:23], 7, v135
	v_cmp_lt_u32_e64 s[26:27], 31, v134
	v_mov_b32_dpp v1, v0 row_shr:4 row_mask:0xf bank_mask:0xf
	v_cndmask_b32_e64 v1, 0, v1, s[20:21]
	v_add_u32_e32 v0, v0, v1
	v_cmp_eq_u32_e64 s[24:25], 0, v137
	s_nop 0
	v_mov_b32_dpp v1, v0 row_shr:8 row_mask:0xf bank_mask:0xf
	v_cndmask_b32_e64 v1, 0, v1, s[22:23]
	v_add_u32_e32 v0, v0, v1
	s_nop 1
	v_mov_b32_dpp v1, v0 row_bcast:15 row_mask:0xf bank_mask:0xf
	v_and_b32_e32 v1, v136, v1
	v_add_u32_e32 v0, v0, v1
	s_nop 1
	v_mov_b32_dpp v1, v0 row_bcast:31 row_mask:0xf bank_mask:0xf
	v_cndmask_b32_e64 v1, 0, v1, s[26:27]
	v_add_u32_e32 v0, v0, v1
	s_and_saveexec_b64 s[28:29], s[6:7]
	s_cbranch_execz .LBB736_688
; %bb.687:                              ;   in Loop: Header=BB736_20 Depth=1
	ds_write_b32 v17, v0
.LBB736_688:                            ;   in Loop: Header=BB736_20 Depth=1
	s_or_b64 exec, exec, s[28:29]
	s_waitcnt lgkmcnt(0)
	s_barrier
	s_and_saveexec_b64 s[28:29], s[8:9]
	s_cbranch_execz .LBB736_690
; %bb.689:                              ;   in Loop: Header=BB736_20 Depth=1
	ds_read_b32 v1, v19
	v_cmp_ne_u32_e32 vcc, 0, v138
	s_waitcnt lgkmcnt(0)
	v_mov_b32_dpp v5, v1 row_shr:1 row_mask:0xf bank_mask:0xf
	v_cndmask_b32_e32 v5, 0, v5, vcc
	v_add_u32_e32 v1, v5, v1
	v_cmp_lt_u32_e32 vcc, 1, v138
	s_nop 0
	v_mov_b32_dpp v5, v1 row_shr:2 row_mask:0xf bank_mask:0xf
	v_cndmask_b32_e32 v5, 0, v5, vcc
	v_add_u32_e32 v1, v1, v5
	ds_write_b32 v19, v1
.LBB736_690:                            ;   in Loop: Header=BB736_20 Depth=1
	s_or_b64 exec, exec, s[28:29]
	v_mov_b32_e32 v1, 0
	s_waitcnt lgkmcnt(0)
	s_barrier
	s_and_saveexec_b64 s[28:29], s[10:11]
	s_cbranch_execz .LBB736_692
; %bb.691:                              ;   in Loop: Header=BB736_20 Depth=1
	ds_read_b32 v1, v21
.LBB736_692:                            ;   in Loop: Header=BB736_20 Depth=1
	s_or_b64 exec, exec, s[28:29]
	v_cmp_lt_i32_e32 vcc, v139, v140
	v_cndmask_b32_e32 v5, v139, v134, vcc
	s_waitcnt lgkmcnt(0)
	v_add_u32_e32 v0, v1, v0
	v_lshlrev_b32_e32 v158, 2, v5
	ds_bpermute_b32 v0, v158, v0
	v_cmp_eq_u32_e64 s[28:29], 0, v134
	s_waitcnt lgkmcnt(0)
	s_barrier
	s_and_saveexec_b64 s[30:31], s[4:5]
	s_cbranch_execz .LBB736_694
; %bb.693:                              ;   in Loop: Header=BB736_20 Depth=1
	v_cndmask_b32_e64 v0, v0, v1, s[28:29]
	v_add_u32_e32 v0, s38, v0
	ds_write_b32 v3, v0
.LBB736_694:                            ;   in Loop: Header=BB736_20 Depth=1
	s_or_b64 exec, exec, s[30:31]
	s_load_dwordx2 s[30:31], s[90:91], 0x0
	v_readlane_b32 s34, v235, 1
	v_add_co_u32_e32 v159, vcc, v113, v141
	v_addc_co_u32_e32 v160, vcc, 0, v114, vcc
	s_waitcnt lgkmcnt(0)
	s_cmp_lt_u32 s34, s30
	v_readlane_b32 s30, v235, 0
	s_cselect_b32 s34, 12, 18
	s_cmp_lt_u32 s30, s31
	s_cselect_b32 s30, 14, 20
	s_add_u32 s30, s90, s30
	s_addc_u32 s31, s91, 0
	s_add_u32 s34, s90, s34
	global_load_ushort v5, v4, s[30:31]
	s_addc_u32 s35, s91, 0
	global_load_ushort v64, v4, s[34:35]
	v_add_co_u32_e32 v161, vcc, v115, v141
	v_addc_co_u32_e32 v162, vcc, 0, v116, vcc
	v_add_co_u32_e32 v176, vcc, 0x1e00, v161
	v_cmp_eq_u32_e64 s[30:31], 0, v138
	v_cmp_lt_u32_e64 s[34:35], 1, v138
	s_mov_b32 s69, s85
	v_addc_co_u32_e32 v179, vcc, 0, v162, vcc
	s_mov_b32 s78, s38
                                        ; implicit-def: $vgpr0_vgpr1
                                        ; implicit-def: $vgpr34_vgpr35
                                        ; implicit-def: $vgpr36_vgpr37
                                        ; implicit-def: $vgpr40_vgpr41
                                        ; implicit-def: $vgpr44_vgpr45
                                        ; implicit-def: $vgpr48_vgpr49
                                        ; implicit-def: $vgpr52_vgpr53
                                        ; implicit-def: $vgpr56_vgpr57
                                        ; implicit-def: $vgpr38_vgpr39
                                        ; implicit-def: $vgpr42_vgpr43
                                        ; implicit-def: $vgpr46_vgpr47
                                        ; implicit-def: $vgpr50_vgpr51
                                        ; implicit-def: $vgpr54_vgpr55
                                        ; implicit-def: $vgpr58_vgpr59
                                        ; implicit-def: $vgpr60_vgpr61
                                        ; implicit-def: $vgpr62_vgpr63
                                        ; implicit-def: $vgpr163
                                        ; implicit-def: $vgpr164
                                        ; implicit-def: $vgpr165
                                        ; implicit-def: $vgpr166
                                        ; implicit-def: $vgpr167
                                        ; implicit-def: $vgpr168
                                        ; implicit-def: $vgpr169
                                        ; implicit-def: $vgpr170
                                        ; implicit-def: $vgpr171
                                        ; implicit-def: $vgpr172
                                        ; implicit-def: $vgpr173
                                        ; implicit-def: $vgpr174
                                        ; implicit-def: $vgpr175
                                        ; implicit-def: $vgpr177
                                        ; implicit-def: $vgpr178
                                        ; implicit-def: $vgpr180
	s_waitcnt vmcnt(1)
	v_mad_u32_u24 v5, v23, v5, v25
	s_waitcnt vmcnt(0)
	v_mad_u64_u32 v[64:65], s[36:37], v5, v64, v[2:3]
	v_lshrrev_b32_e32 v181, 6, v64
	s_branch .LBB736_696
.LBB736_695:                            ;   in Loop: Header=BB736_696 Depth=2
	s_or_b64 exec, exec, s[36:37]
	s_addk_i32 s69, 0xf000
	s_cmp_lt_u32 s86, s94
	s_mov_b32 s78, s86
	s_cbranch_scc0 .LBB736_904
.LBB736_696:                            ;   Parent Loop BB736_20 Depth=1
                                        ; =>  This Inner Loop Header: Depth=2
	s_add_i32 s86, s78, 0x1000
	s_cmp_gt_u32 s86, s94
	s_cbranch_scc1 .LBB736_698
; %bb.697:                              ;   in Loop: Header=BB736_696 Depth=2
	s_mov_b32 s79, s88
	s_lshl_b64 s[36:37], s[78:79], 3
	v_mov_b32_e32 v5, s37
	v_add_co_u32_e32 v68, vcc, s36, v161
	v_addc_co_u32_e32 v69, vcc, v162, v5, vcc
	global_load_dwordx2 v[64:65], v[68:69], off
	global_load_dwordx2 v[66:67], v[68:69], off offset:512
	global_load_dwordx2 v[74:75], v[68:69], off offset:1024
	;; [unrolled: 1-line block ×7, first 2 shown]
	v_add_co_u32_e32 v68, vcc, 0x1000, v68
	v_addc_co_u32_e32 v69, vcc, 0, v69, vcc
	global_load_dwordx2 v[92:93], v[68:69], off
	global_load_dwordx2 v[88:89], v[68:69], off offset:512
	global_load_dwordx2 v[84:85], v[68:69], off offset:1024
	global_load_dwordx2 v[80:81], v[68:69], off offset:1536
	global_load_dwordx2 v[76:77], v[68:69], off offset:2048
	global_load_dwordx2 v[72:73], v[68:69], off offset:2560
	s_nop 0
	global_load_dwordx2 v[68:69], v[68:69], off offset:3072
	s_movk_i32 s40, 0x1000
	s_mov_b64 s[36:37], -1
	s_cbranch_execz .LBB736_699
	s_branch .LBB736_730
.LBB736_698:                            ;   in Loop: Header=BB736_696 Depth=2
	s_mov_b64 s[36:37], 0
                                        ; implicit-def: $sgpr40
                                        ; implicit-def: $vgpr64_vgpr65
                                        ; implicit-def: $vgpr66_vgpr67
                                        ; implicit-def: $vgpr74_vgpr75
                                        ; implicit-def: $vgpr78_vgpr79
                                        ; implicit-def: $vgpr82_vgpr83
                                        ; implicit-def: $vgpr86_vgpr87
                                        ; implicit-def: $vgpr90_vgpr91
                                        ; implicit-def: $vgpr94_vgpr95
                                        ; implicit-def: $vgpr92_vgpr93
                                        ; implicit-def: $vgpr88_vgpr89
                                        ; implicit-def: $vgpr84_vgpr85
                                        ; implicit-def: $vgpr80_vgpr81
                                        ; implicit-def: $vgpr76_vgpr77
                                        ; implicit-def: $vgpr72_vgpr73
                                        ; implicit-def: $vgpr68_vgpr69
.LBB736_699:                            ;   in Loop: Header=BB736_696 Depth=2
	s_mov_b32 s79, s88
	s_lshl_b64 s[36:37], s[78:79], 3
	v_mov_b32_e32 v5, s37
	v_add_co_u32_e32 v70, vcc, s36, v161
	v_addc_co_u32_e32 v71, vcc, v162, v5, vcc
	v_cmp_gt_u32_e32 vcc, s69, v142
	s_waitcnt vmcnt(14)
	v_pk_mov_b32 v[64:65], s[88:89], s[88:89] op_sel:[0,1]
	s_and_saveexec_b64 s[36:37], vcc
	s_cbranch_execz .LBB736_701
; %bb.700:                              ;   in Loop: Header=BB736_696 Depth=2
	global_load_dwordx2 v[64:65], v[70:71], off
.LBB736_701:                            ;   in Loop: Header=BB736_696 Depth=2
	s_or_b64 exec, exec, s[36:37]
	v_cmp_gt_u32_e32 vcc, s69, v143
	s_waitcnt vmcnt(13)
	v_pk_mov_b32 v[66:67], s[88:89], s[88:89] op_sel:[0,1]
	s_and_saveexec_b64 s[36:37], vcc
	s_cbranch_execz .LBB736_703
; %bb.702:                              ;   in Loop: Header=BB736_696 Depth=2
	global_load_dwordx2 v[66:67], v[70:71], off offset:512
.LBB736_703:                            ;   in Loop: Header=BB736_696 Depth=2
	s_or_b64 exec, exec, s[36:37]
	v_cmp_gt_u32_e32 vcc, s69, v144
	s_waitcnt vmcnt(12)
	v_pk_mov_b32 v[74:75], s[88:89], s[88:89] op_sel:[0,1]
	s_and_saveexec_b64 s[36:37], vcc
	s_cbranch_execz .LBB736_705
; %bb.704:                              ;   in Loop: Header=BB736_696 Depth=2
	global_load_dwordx2 v[74:75], v[70:71], off offset:1024
.LBB736_705:                            ;   in Loop: Header=BB736_696 Depth=2
	s_or_b64 exec, exec, s[36:37]
	v_cmp_gt_u32_e32 vcc, s69, v145
	s_waitcnt vmcnt(11)
	v_pk_mov_b32 v[78:79], s[88:89], s[88:89] op_sel:[0,1]
	s_and_saveexec_b64 s[36:37], vcc
	s_cbranch_execz .LBB736_707
; %bb.706:                              ;   in Loop: Header=BB736_696 Depth=2
	global_load_dwordx2 v[78:79], v[70:71], off offset:1536
.LBB736_707:                            ;   in Loop: Header=BB736_696 Depth=2
	s_or_b64 exec, exec, s[36:37]
	v_cmp_gt_u32_e32 vcc, s69, v146
	s_waitcnt vmcnt(10)
	v_pk_mov_b32 v[82:83], s[88:89], s[88:89] op_sel:[0,1]
	s_and_saveexec_b64 s[36:37], vcc
	s_cbranch_execz .LBB736_709
; %bb.708:                              ;   in Loop: Header=BB736_696 Depth=2
	global_load_dwordx2 v[82:83], v[70:71], off offset:2048
.LBB736_709:                            ;   in Loop: Header=BB736_696 Depth=2
	s_or_b64 exec, exec, s[36:37]
	v_cmp_gt_u32_e32 vcc, s69, v147
	s_waitcnt vmcnt(9)
	v_pk_mov_b32 v[86:87], s[88:89], s[88:89] op_sel:[0,1]
	s_and_saveexec_b64 s[36:37], vcc
	s_cbranch_execz .LBB736_711
; %bb.710:                              ;   in Loop: Header=BB736_696 Depth=2
	global_load_dwordx2 v[86:87], v[70:71], off offset:2560
.LBB736_711:                            ;   in Loop: Header=BB736_696 Depth=2
	s_or_b64 exec, exec, s[36:37]
	v_cmp_gt_u32_e32 vcc, s69, v148
	s_waitcnt vmcnt(8)
	v_pk_mov_b32 v[90:91], s[88:89], s[88:89] op_sel:[0,1]
	s_and_saveexec_b64 s[36:37], vcc
	s_cbranch_execz .LBB736_713
; %bb.712:                              ;   in Loop: Header=BB736_696 Depth=2
	global_load_dwordx2 v[90:91], v[70:71], off offset:3072
.LBB736_713:                            ;   in Loop: Header=BB736_696 Depth=2
	s_or_b64 exec, exec, s[36:37]
	v_cmp_gt_u32_e32 vcc, s69, v149
	s_waitcnt vmcnt(7)
	v_pk_mov_b32 v[94:95], s[88:89], s[88:89] op_sel:[0,1]
	s_and_saveexec_b64 s[36:37], vcc
	s_cbranch_execz .LBB736_715
; %bb.714:                              ;   in Loop: Header=BB736_696 Depth=2
	global_load_dwordx2 v[94:95], v[70:71], off offset:3584
.LBB736_715:                            ;   in Loop: Header=BB736_696 Depth=2
	s_or_b64 exec, exec, s[36:37]
	v_cmp_gt_u32_e32 vcc, s69, v150
	s_waitcnt vmcnt(6)
	v_pk_mov_b32 v[92:93], s[88:89], s[88:89] op_sel:[0,1]
	s_and_saveexec_b64 s[36:37], vcc
	s_cbranch_execz .LBB736_717
; %bb.716:                              ;   in Loop: Header=BB736_696 Depth=2
	s_waitcnt vmcnt(0)
	v_add_co_u32_e32 v68, vcc, 0x1000, v70
	v_addc_co_u32_e32 v69, vcc, 0, v71, vcc
	global_load_dwordx2 v[92:93], v[68:69], off
.LBB736_717:                            ;   in Loop: Header=BB736_696 Depth=2
	s_or_b64 exec, exec, s[36:37]
	v_cmp_gt_u32_e32 vcc, s69, v151
	s_waitcnt vmcnt(5)
	v_pk_mov_b32 v[88:89], s[88:89], s[88:89] op_sel:[0,1]
	s_and_saveexec_b64 s[36:37], vcc
	s_cbranch_execz .LBB736_719
; %bb.718:                              ;   in Loop: Header=BB736_696 Depth=2
	s_waitcnt vmcnt(0)
	v_add_co_u32_e32 v68, vcc, 0x1000, v70
	v_addc_co_u32_e32 v69, vcc, 0, v71, vcc
	global_load_dwordx2 v[88:89], v[68:69], off offset:512
.LBB736_719:                            ;   in Loop: Header=BB736_696 Depth=2
	s_or_b64 exec, exec, s[36:37]
	v_cmp_gt_u32_e32 vcc, s69, v152
	s_waitcnt vmcnt(4)
	v_pk_mov_b32 v[84:85], s[88:89], s[88:89] op_sel:[0,1]
	s_and_saveexec_b64 s[36:37], vcc
	s_cbranch_execz .LBB736_721
; %bb.720:                              ;   in Loop: Header=BB736_696 Depth=2
	s_waitcnt vmcnt(0)
	v_add_co_u32_e32 v68, vcc, 0x1000, v70
	v_addc_co_u32_e32 v69, vcc, 0, v71, vcc
	global_load_dwordx2 v[84:85], v[68:69], off offset:1024
.LBB736_721:                            ;   in Loop: Header=BB736_696 Depth=2
	;; [unrolled: 12-line block ×5, first 2 shown]
	s_or_b64 exec, exec, s[36:37]
	v_cmp_gt_u32_e32 vcc, s69, v156
	s_waitcnt vmcnt(0)
	v_pk_mov_b32 v[68:69], s[88:89], s[88:89] op_sel:[0,1]
	s_and_saveexec_b64 s[36:37], vcc
	s_cbranch_execz .LBB736_729
; %bb.728:                              ;   in Loop: Header=BB736_696 Depth=2
	v_add_co_u32_e32 v68, vcc, 0x1000, v70
	v_addc_co_u32_e32 v69, vcc, 0, v71, vcc
	global_load_dwordx2 v[68:69], v[68:69], off offset:3072
.LBB736_729:                            ;   in Loop: Header=BB736_696 Depth=2
	s_or_b64 exec, exec, s[36:37]
	s_sub_i32 s40, s94, s78
	v_cmp_gt_u32_e64 s[36:37], s69, v157
.LBB736_730:                            ;   in Loop: Header=BB736_696 Depth=2
	v_pk_mov_b32 v[70:71], s[88:89], s[88:89] op_sel:[0,1]
	v_mov_b32_e32 v182, s69
	s_and_saveexec_b64 s[38:39], s[36:37]
	s_cbranch_execz .LBB736_732
; %bb.731:                              ;   in Loop: Header=BB736_696 Depth=2
	s_lshl_b64 s[36:37], s[78:79], 3
	v_mov_b32_e32 v5, s37
	v_add_co_u32_e32 v70, vcc, s36, v176
	v_addc_co_u32_e32 v71, vcc, v179, v5, vcc
	global_load_dwordx2 v[70:71], v[70:71], off
	v_mov_b32_e32 v182, s40
.LBB736_732:                            ;   in Loop: Header=BB736_696 Depth=2
	s_or_b64 exec, exec, s[38:39]
	s_waitcnt vmcnt(14)
	v_xor_b32_e32 v65, 0x7fffffff, v65
	v_not_b32_e32 v64, v64
	v_lshrrev_b64 v[96:97], s84, v[64:65]
	v_add_u32_e32 v5, 0x410, v27
	v_and_b32_e32 v96, s68, v96
	ds_write2_b32 v5, v4, v4 offset1:1
	ds_write2_b32 v31, v4, v4 offset0:2 offset1:3
	ds_write_b32 v31, v4 offset:16
	v_mad_u32_u24 v5, v96, 5, v181
	v_lshl_add_u32 v183, v5, 2, v29
	v_and_b32_e32 v5, 1, v96
	v_add_co_u32_e32 v97, vcc, -1, v5
	v_addc_co_u32_e64 v98, s[36:37], 0, -1, vcc
	v_cmp_ne_u32_e32 vcc, 0, v5
	v_xor_b32_e32 v5, vcc_hi, v98
	v_and_b32_e32 v98, exec_hi, v5
	v_lshlrev_b32_e32 v5, 30, v96
	v_xor_b32_e32 v97, vcc_lo, v97
	v_cmp_gt_i64_e32 vcc, 0, v[4:5]
	v_not_b32_e32 v5, v5
	v_ashrrev_i32_e32 v5, 31, v5
	v_and_b32_e32 v97, exec_lo, v97
	v_xor_b32_e32 v99, vcc_hi, v5
	v_xor_b32_e32 v5, vcc_lo, v5
	v_and_b32_e32 v97, v97, v5
	v_lshlrev_b32_e32 v5, 29, v96
	v_cmp_gt_i64_e32 vcc, 0, v[4:5]
	v_not_b32_e32 v5, v5
	v_ashrrev_i32_e32 v5, 31, v5
	v_and_b32_e32 v98, v98, v99
	v_xor_b32_e32 v99, vcc_hi, v5
	v_xor_b32_e32 v5, vcc_lo, v5
	v_and_b32_e32 v97, v97, v5
	v_lshlrev_b32_e32 v5, 28, v96
	v_cmp_gt_i64_e32 vcc, 0, v[4:5]
	v_not_b32_e32 v5, v5
	v_ashrrev_i32_e32 v5, 31, v5
	v_and_b32_e32 v98, v98, v99
	;; [unrolled: 8-line block ×5, first 2 shown]
	v_xor_b32_e32 v99, vcc_hi, v5
	v_xor_b32_e32 v5, vcc_lo, v5
	v_and_b32_e32 v98, v98, v99
	v_and_b32_e32 v99, v97, v5
	v_lshlrev_b32_e32 v5, 24, v96
	v_cmp_gt_i64_e32 vcc, 0, v[4:5]
	v_not_b32_e32 v5, v5
	v_ashrrev_i32_e32 v5, 31, v5
	v_xor_b32_e32 v96, vcc_hi, v5
	v_xor_b32_e32 v5, vcc_lo, v5
	v_and_b32_e32 v97, v98, v96
	v_and_b32_e32 v96, v99, v5
	v_mbcnt_lo_u32_b32 v5, v96, 0
	v_mbcnt_hi_u32_b32 v184, v97, v5
	v_cmp_eq_u32_e32 vcc, 0, v184
	v_cmp_ne_u64_e64 s[36:37], 0, v[96:97]
	s_and_b64 s[38:39], s[36:37], vcc
	s_waitcnt lgkmcnt(0)
	s_barrier
	s_waitcnt lgkmcnt(0)
	; wave barrier
	s_and_saveexec_b64 s[36:37], s[38:39]
	s_cbranch_execz .LBB736_734
; %bb.733:                              ;   in Loop: Header=BB736_696 Depth=2
	v_bcnt_u32_b32 v5, v96, 0
	v_bcnt_u32_b32 v5, v97, v5
	ds_write_b32 v183, v5
.LBB736_734:                            ;   in Loop: Header=BB736_696 Depth=2
	s_or_b64 exec, exec, s[36:37]
	s_waitcnt vmcnt(13)
	v_xor_b32_e32 v67, 0x7fffffff, v67
	v_not_b32_e32 v66, v66
	v_lshrrev_b64 v[96:97], s84, v[66:67]
	v_and_b32_e32 v96, s68, v96
	v_mul_u32_u24_e32 v5, 5, v96
	v_add_lshl_u32 v5, v5, v181, 2
	; wave barrier
	v_add_u32_e32 v186, 0x410, v5
	ds_read_b32 v185, v5 offset:1040
	v_and_b32_e32 v5, 1, v96
	v_add_co_u32_e32 v97, vcc, -1, v5
	v_addc_co_u32_e64 v98, s[36:37], 0, -1, vcc
	v_cmp_ne_u32_e32 vcc, 0, v5
	v_xor_b32_e32 v5, vcc_hi, v98
	v_and_b32_e32 v98, exec_hi, v5
	v_lshlrev_b32_e32 v5, 30, v96
	v_xor_b32_e32 v97, vcc_lo, v97
	v_cmp_gt_i64_e32 vcc, 0, v[4:5]
	v_not_b32_e32 v5, v5
	v_ashrrev_i32_e32 v5, 31, v5
	v_and_b32_e32 v97, exec_lo, v97
	v_xor_b32_e32 v99, vcc_hi, v5
	v_xor_b32_e32 v5, vcc_lo, v5
	v_and_b32_e32 v97, v97, v5
	v_lshlrev_b32_e32 v5, 29, v96
	v_cmp_gt_i64_e32 vcc, 0, v[4:5]
	v_not_b32_e32 v5, v5
	v_ashrrev_i32_e32 v5, 31, v5
	v_and_b32_e32 v98, v98, v99
	v_xor_b32_e32 v99, vcc_hi, v5
	v_xor_b32_e32 v5, vcc_lo, v5
	v_and_b32_e32 v97, v97, v5
	v_lshlrev_b32_e32 v5, 28, v96
	v_cmp_gt_i64_e32 vcc, 0, v[4:5]
	v_not_b32_e32 v5, v5
	v_ashrrev_i32_e32 v5, 31, v5
	v_and_b32_e32 v98, v98, v99
	;; [unrolled: 8-line block ×5, first 2 shown]
	v_xor_b32_e32 v99, vcc_hi, v5
	v_xor_b32_e32 v5, vcc_lo, v5
	v_and_b32_e32 v98, v98, v99
	v_and_b32_e32 v99, v97, v5
	v_lshlrev_b32_e32 v5, 24, v96
	v_cmp_gt_i64_e32 vcc, 0, v[4:5]
	v_not_b32_e32 v5, v5
	v_ashrrev_i32_e32 v5, 31, v5
	v_xor_b32_e32 v96, vcc_hi, v5
	v_xor_b32_e32 v5, vcc_lo, v5
	v_and_b32_e32 v97, v98, v96
	v_and_b32_e32 v96, v99, v5
	v_mbcnt_lo_u32_b32 v5, v96, 0
	v_mbcnt_hi_u32_b32 v187, v97, v5
	v_cmp_eq_u32_e32 vcc, 0, v187
	v_cmp_ne_u64_e64 s[36:37], 0, v[96:97]
	s_and_b64 s[38:39], s[36:37], vcc
	; wave barrier
	s_and_saveexec_b64 s[36:37], s[38:39]
	s_cbranch_execz .LBB736_736
; %bb.735:                              ;   in Loop: Header=BB736_696 Depth=2
	v_bcnt_u32_b32 v5, v96, 0
	v_bcnt_u32_b32 v5, v97, v5
	s_waitcnt lgkmcnt(0)
	v_add_u32_e32 v5, v185, v5
	ds_write_b32 v186, v5
.LBB736_736:                            ;   in Loop: Header=BB736_696 Depth=2
	s_or_b64 exec, exec, s[36:37]
	s_waitcnt vmcnt(12)
	v_xor_b32_e32 v75, 0x7fffffff, v75
	v_not_b32_e32 v74, v74
	v_lshrrev_b64 v[96:97], s84, v[74:75]
	v_and_b32_e32 v96, s68, v96
	v_mul_u32_u24_e32 v5, 5, v96
	v_add_lshl_u32 v5, v5, v181, 2
	; wave barrier
	v_add_u32_e32 v189, 0x410, v5
	ds_read_b32 v188, v5 offset:1040
	v_and_b32_e32 v5, 1, v96
	v_add_co_u32_e32 v97, vcc, -1, v5
	v_addc_co_u32_e64 v98, s[36:37], 0, -1, vcc
	v_cmp_ne_u32_e32 vcc, 0, v5
	v_xor_b32_e32 v5, vcc_hi, v98
	v_and_b32_e32 v98, exec_hi, v5
	v_lshlrev_b32_e32 v5, 30, v96
	v_xor_b32_e32 v97, vcc_lo, v97
	v_cmp_gt_i64_e32 vcc, 0, v[4:5]
	v_not_b32_e32 v5, v5
	v_ashrrev_i32_e32 v5, 31, v5
	v_and_b32_e32 v97, exec_lo, v97
	v_xor_b32_e32 v99, vcc_hi, v5
	v_xor_b32_e32 v5, vcc_lo, v5
	v_and_b32_e32 v97, v97, v5
	v_lshlrev_b32_e32 v5, 29, v96
	v_cmp_gt_i64_e32 vcc, 0, v[4:5]
	v_not_b32_e32 v5, v5
	v_ashrrev_i32_e32 v5, 31, v5
	v_and_b32_e32 v98, v98, v99
	v_xor_b32_e32 v99, vcc_hi, v5
	v_xor_b32_e32 v5, vcc_lo, v5
	v_and_b32_e32 v97, v97, v5
	v_lshlrev_b32_e32 v5, 28, v96
	v_cmp_gt_i64_e32 vcc, 0, v[4:5]
	v_not_b32_e32 v5, v5
	v_ashrrev_i32_e32 v5, 31, v5
	v_and_b32_e32 v98, v98, v99
	;; [unrolled: 8-line block ×5, first 2 shown]
	v_xor_b32_e32 v99, vcc_hi, v5
	v_xor_b32_e32 v5, vcc_lo, v5
	v_and_b32_e32 v98, v98, v99
	v_and_b32_e32 v99, v97, v5
	v_lshlrev_b32_e32 v5, 24, v96
	v_cmp_gt_i64_e32 vcc, 0, v[4:5]
	v_not_b32_e32 v5, v5
	v_ashrrev_i32_e32 v5, 31, v5
	v_xor_b32_e32 v96, vcc_hi, v5
	v_xor_b32_e32 v5, vcc_lo, v5
	v_and_b32_e32 v97, v98, v96
	v_and_b32_e32 v96, v99, v5
	v_mbcnt_lo_u32_b32 v5, v96, 0
	v_mbcnt_hi_u32_b32 v190, v97, v5
	v_cmp_eq_u32_e32 vcc, 0, v190
	v_cmp_ne_u64_e64 s[36:37], 0, v[96:97]
	s_and_b64 s[38:39], s[36:37], vcc
	; wave barrier
	s_and_saveexec_b64 s[36:37], s[38:39]
	s_cbranch_execz .LBB736_738
; %bb.737:                              ;   in Loop: Header=BB736_696 Depth=2
	v_bcnt_u32_b32 v5, v96, 0
	v_bcnt_u32_b32 v5, v97, v5
	s_waitcnt lgkmcnt(0)
	v_add_u32_e32 v5, v188, v5
	ds_write_b32 v189, v5
.LBB736_738:                            ;   in Loop: Header=BB736_696 Depth=2
	s_or_b64 exec, exec, s[36:37]
	s_waitcnt vmcnt(11)
	v_xor_b32_e32 v79, 0x7fffffff, v79
	v_not_b32_e32 v78, v78
	v_lshrrev_b64 v[96:97], s84, v[78:79]
	v_and_b32_e32 v96, s68, v96
	v_mul_u32_u24_e32 v5, 5, v96
	v_add_lshl_u32 v5, v5, v181, 2
	; wave barrier
	v_add_u32_e32 v192, 0x410, v5
	ds_read_b32 v191, v5 offset:1040
	v_and_b32_e32 v5, 1, v96
	v_add_co_u32_e32 v97, vcc, -1, v5
	v_addc_co_u32_e64 v98, s[36:37], 0, -1, vcc
	v_cmp_ne_u32_e32 vcc, 0, v5
	v_xor_b32_e32 v5, vcc_hi, v98
	v_and_b32_e32 v98, exec_hi, v5
	v_lshlrev_b32_e32 v5, 30, v96
	v_xor_b32_e32 v97, vcc_lo, v97
	v_cmp_gt_i64_e32 vcc, 0, v[4:5]
	v_not_b32_e32 v5, v5
	v_ashrrev_i32_e32 v5, 31, v5
	v_and_b32_e32 v97, exec_lo, v97
	v_xor_b32_e32 v99, vcc_hi, v5
	v_xor_b32_e32 v5, vcc_lo, v5
	v_and_b32_e32 v97, v97, v5
	v_lshlrev_b32_e32 v5, 29, v96
	v_cmp_gt_i64_e32 vcc, 0, v[4:5]
	v_not_b32_e32 v5, v5
	v_ashrrev_i32_e32 v5, 31, v5
	v_and_b32_e32 v98, v98, v99
	v_xor_b32_e32 v99, vcc_hi, v5
	v_xor_b32_e32 v5, vcc_lo, v5
	v_and_b32_e32 v97, v97, v5
	v_lshlrev_b32_e32 v5, 28, v96
	v_cmp_gt_i64_e32 vcc, 0, v[4:5]
	v_not_b32_e32 v5, v5
	v_ashrrev_i32_e32 v5, 31, v5
	v_and_b32_e32 v98, v98, v99
	;; [unrolled: 8-line block ×5, first 2 shown]
	v_xor_b32_e32 v99, vcc_hi, v5
	v_xor_b32_e32 v5, vcc_lo, v5
	v_and_b32_e32 v98, v98, v99
	v_and_b32_e32 v99, v97, v5
	v_lshlrev_b32_e32 v5, 24, v96
	v_cmp_gt_i64_e32 vcc, 0, v[4:5]
	v_not_b32_e32 v5, v5
	v_ashrrev_i32_e32 v5, 31, v5
	v_xor_b32_e32 v96, vcc_hi, v5
	v_xor_b32_e32 v5, vcc_lo, v5
	v_and_b32_e32 v97, v98, v96
	v_and_b32_e32 v96, v99, v5
	v_mbcnt_lo_u32_b32 v5, v96, 0
	v_mbcnt_hi_u32_b32 v193, v97, v5
	v_cmp_eq_u32_e32 vcc, 0, v193
	v_cmp_ne_u64_e64 s[36:37], 0, v[96:97]
	s_and_b64 s[38:39], s[36:37], vcc
	; wave barrier
	s_and_saveexec_b64 s[36:37], s[38:39]
	s_cbranch_execz .LBB736_740
; %bb.739:                              ;   in Loop: Header=BB736_696 Depth=2
	v_bcnt_u32_b32 v5, v96, 0
	v_bcnt_u32_b32 v5, v97, v5
	s_waitcnt lgkmcnt(0)
	v_add_u32_e32 v5, v191, v5
	ds_write_b32 v192, v5
.LBB736_740:                            ;   in Loop: Header=BB736_696 Depth=2
	s_or_b64 exec, exec, s[36:37]
	s_waitcnt vmcnt(10)
	v_xor_b32_e32 v83, 0x7fffffff, v83
	v_not_b32_e32 v82, v82
	v_lshrrev_b64 v[96:97], s84, v[82:83]
	v_and_b32_e32 v96, s68, v96
	v_mul_u32_u24_e32 v5, 5, v96
	v_add_lshl_u32 v5, v5, v181, 2
	; wave barrier
	v_add_u32_e32 v195, 0x410, v5
	ds_read_b32 v194, v5 offset:1040
	v_and_b32_e32 v5, 1, v96
	v_add_co_u32_e32 v97, vcc, -1, v5
	v_addc_co_u32_e64 v98, s[36:37], 0, -1, vcc
	v_cmp_ne_u32_e32 vcc, 0, v5
	v_xor_b32_e32 v5, vcc_hi, v98
	v_and_b32_e32 v98, exec_hi, v5
	v_lshlrev_b32_e32 v5, 30, v96
	v_xor_b32_e32 v97, vcc_lo, v97
	v_cmp_gt_i64_e32 vcc, 0, v[4:5]
	v_not_b32_e32 v5, v5
	v_ashrrev_i32_e32 v5, 31, v5
	v_and_b32_e32 v97, exec_lo, v97
	v_xor_b32_e32 v99, vcc_hi, v5
	v_xor_b32_e32 v5, vcc_lo, v5
	v_and_b32_e32 v97, v97, v5
	v_lshlrev_b32_e32 v5, 29, v96
	v_cmp_gt_i64_e32 vcc, 0, v[4:5]
	v_not_b32_e32 v5, v5
	v_ashrrev_i32_e32 v5, 31, v5
	v_and_b32_e32 v98, v98, v99
	v_xor_b32_e32 v99, vcc_hi, v5
	v_xor_b32_e32 v5, vcc_lo, v5
	v_and_b32_e32 v97, v97, v5
	v_lshlrev_b32_e32 v5, 28, v96
	v_cmp_gt_i64_e32 vcc, 0, v[4:5]
	v_not_b32_e32 v5, v5
	v_ashrrev_i32_e32 v5, 31, v5
	v_and_b32_e32 v98, v98, v99
	;; [unrolled: 8-line block ×5, first 2 shown]
	v_xor_b32_e32 v99, vcc_hi, v5
	v_xor_b32_e32 v5, vcc_lo, v5
	v_and_b32_e32 v98, v98, v99
	v_and_b32_e32 v99, v97, v5
	v_lshlrev_b32_e32 v5, 24, v96
	v_cmp_gt_i64_e32 vcc, 0, v[4:5]
	v_not_b32_e32 v5, v5
	v_ashrrev_i32_e32 v5, 31, v5
	v_xor_b32_e32 v96, vcc_hi, v5
	v_xor_b32_e32 v5, vcc_lo, v5
	v_and_b32_e32 v97, v98, v96
	v_and_b32_e32 v96, v99, v5
	v_mbcnt_lo_u32_b32 v5, v96, 0
	v_mbcnt_hi_u32_b32 v196, v97, v5
	v_cmp_eq_u32_e32 vcc, 0, v196
	v_cmp_ne_u64_e64 s[36:37], 0, v[96:97]
	s_and_b64 s[38:39], s[36:37], vcc
	; wave barrier
	s_and_saveexec_b64 s[36:37], s[38:39]
	s_cbranch_execz .LBB736_742
; %bb.741:                              ;   in Loop: Header=BB736_696 Depth=2
	v_bcnt_u32_b32 v5, v96, 0
	v_bcnt_u32_b32 v5, v97, v5
	s_waitcnt lgkmcnt(0)
	v_add_u32_e32 v5, v194, v5
	ds_write_b32 v195, v5
.LBB736_742:                            ;   in Loop: Header=BB736_696 Depth=2
	s_or_b64 exec, exec, s[36:37]
	s_waitcnt vmcnt(9)
	v_xor_b32_e32 v87, 0x7fffffff, v87
	v_not_b32_e32 v86, v86
	v_lshrrev_b64 v[96:97], s84, v[86:87]
	v_and_b32_e32 v96, s68, v96
	v_mul_u32_u24_e32 v5, 5, v96
	v_add_lshl_u32 v5, v5, v181, 2
	; wave barrier
	v_add_u32_e32 v198, 0x410, v5
	ds_read_b32 v197, v5 offset:1040
	v_and_b32_e32 v5, 1, v96
	v_add_co_u32_e32 v97, vcc, -1, v5
	v_addc_co_u32_e64 v98, s[36:37], 0, -1, vcc
	v_cmp_ne_u32_e32 vcc, 0, v5
	v_xor_b32_e32 v5, vcc_hi, v98
	v_and_b32_e32 v98, exec_hi, v5
	v_lshlrev_b32_e32 v5, 30, v96
	v_xor_b32_e32 v97, vcc_lo, v97
	v_cmp_gt_i64_e32 vcc, 0, v[4:5]
	v_not_b32_e32 v5, v5
	v_ashrrev_i32_e32 v5, 31, v5
	v_and_b32_e32 v97, exec_lo, v97
	v_xor_b32_e32 v99, vcc_hi, v5
	v_xor_b32_e32 v5, vcc_lo, v5
	v_and_b32_e32 v97, v97, v5
	v_lshlrev_b32_e32 v5, 29, v96
	v_cmp_gt_i64_e32 vcc, 0, v[4:5]
	v_not_b32_e32 v5, v5
	v_ashrrev_i32_e32 v5, 31, v5
	v_and_b32_e32 v98, v98, v99
	v_xor_b32_e32 v99, vcc_hi, v5
	v_xor_b32_e32 v5, vcc_lo, v5
	v_and_b32_e32 v97, v97, v5
	v_lshlrev_b32_e32 v5, 28, v96
	v_cmp_gt_i64_e32 vcc, 0, v[4:5]
	v_not_b32_e32 v5, v5
	v_ashrrev_i32_e32 v5, 31, v5
	v_and_b32_e32 v98, v98, v99
	;; [unrolled: 8-line block ×5, first 2 shown]
	v_xor_b32_e32 v99, vcc_hi, v5
	v_xor_b32_e32 v5, vcc_lo, v5
	v_and_b32_e32 v98, v98, v99
	v_and_b32_e32 v99, v97, v5
	v_lshlrev_b32_e32 v5, 24, v96
	v_cmp_gt_i64_e32 vcc, 0, v[4:5]
	v_not_b32_e32 v5, v5
	v_ashrrev_i32_e32 v5, 31, v5
	v_xor_b32_e32 v96, vcc_hi, v5
	v_xor_b32_e32 v5, vcc_lo, v5
	v_and_b32_e32 v97, v98, v96
	v_and_b32_e32 v96, v99, v5
	v_mbcnt_lo_u32_b32 v5, v96, 0
	v_mbcnt_hi_u32_b32 v199, v97, v5
	v_cmp_eq_u32_e32 vcc, 0, v199
	v_cmp_ne_u64_e64 s[36:37], 0, v[96:97]
	s_and_b64 s[38:39], s[36:37], vcc
	; wave barrier
	s_and_saveexec_b64 s[36:37], s[38:39]
	s_cbranch_execz .LBB736_744
; %bb.743:                              ;   in Loop: Header=BB736_696 Depth=2
	v_bcnt_u32_b32 v5, v96, 0
	v_bcnt_u32_b32 v5, v97, v5
	s_waitcnt lgkmcnt(0)
	v_add_u32_e32 v5, v197, v5
	ds_write_b32 v198, v5
.LBB736_744:                            ;   in Loop: Header=BB736_696 Depth=2
	s_or_b64 exec, exec, s[36:37]
	s_waitcnt vmcnt(8)
	v_xor_b32_e32 v91, 0x7fffffff, v91
	v_not_b32_e32 v90, v90
	v_lshrrev_b64 v[96:97], s84, v[90:91]
	v_and_b32_e32 v96, s68, v96
	v_mul_u32_u24_e32 v5, 5, v96
	v_add_lshl_u32 v5, v5, v181, 2
	; wave barrier
	v_add_u32_e32 v201, 0x410, v5
	ds_read_b32 v200, v5 offset:1040
	v_and_b32_e32 v5, 1, v96
	v_add_co_u32_e32 v97, vcc, -1, v5
	v_addc_co_u32_e64 v98, s[36:37], 0, -1, vcc
	v_cmp_ne_u32_e32 vcc, 0, v5
	v_xor_b32_e32 v5, vcc_hi, v98
	v_and_b32_e32 v98, exec_hi, v5
	v_lshlrev_b32_e32 v5, 30, v96
	v_xor_b32_e32 v97, vcc_lo, v97
	v_cmp_gt_i64_e32 vcc, 0, v[4:5]
	v_not_b32_e32 v5, v5
	v_ashrrev_i32_e32 v5, 31, v5
	v_and_b32_e32 v97, exec_lo, v97
	v_xor_b32_e32 v99, vcc_hi, v5
	v_xor_b32_e32 v5, vcc_lo, v5
	v_and_b32_e32 v97, v97, v5
	v_lshlrev_b32_e32 v5, 29, v96
	v_cmp_gt_i64_e32 vcc, 0, v[4:5]
	v_not_b32_e32 v5, v5
	v_ashrrev_i32_e32 v5, 31, v5
	v_and_b32_e32 v98, v98, v99
	v_xor_b32_e32 v99, vcc_hi, v5
	v_xor_b32_e32 v5, vcc_lo, v5
	v_and_b32_e32 v97, v97, v5
	v_lshlrev_b32_e32 v5, 28, v96
	v_cmp_gt_i64_e32 vcc, 0, v[4:5]
	v_not_b32_e32 v5, v5
	v_ashrrev_i32_e32 v5, 31, v5
	v_and_b32_e32 v98, v98, v99
	;; [unrolled: 8-line block ×5, first 2 shown]
	v_xor_b32_e32 v99, vcc_hi, v5
	v_xor_b32_e32 v5, vcc_lo, v5
	v_and_b32_e32 v98, v98, v99
	v_and_b32_e32 v99, v97, v5
	v_lshlrev_b32_e32 v5, 24, v96
	v_cmp_gt_i64_e32 vcc, 0, v[4:5]
	v_not_b32_e32 v5, v5
	v_ashrrev_i32_e32 v5, 31, v5
	v_xor_b32_e32 v96, vcc_hi, v5
	v_xor_b32_e32 v5, vcc_lo, v5
	v_and_b32_e32 v97, v98, v96
	v_and_b32_e32 v96, v99, v5
	v_mbcnt_lo_u32_b32 v5, v96, 0
	v_mbcnt_hi_u32_b32 v202, v97, v5
	v_cmp_eq_u32_e32 vcc, 0, v202
	v_cmp_ne_u64_e64 s[36:37], 0, v[96:97]
	s_and_b64 s[38:39], s[36:37], vcc
	; wave barrier
	s_and_saveexec_b64 s[36:37], s[38:39]
	s_cbranch_execz .LBB736_746
; %bb.745:                              ;   in Loop: Header=BB736_696 Depth=2
	v_bcnt_u32_b32 v5, v96, 0
	v_bcnt_u32_b32 v5, v97, v5
	s_waitcnt lgkmcnt(0)
	v_add_u32_e32 v5, v200, v5
	ds_write_b32 v201, v5
.LBB736_746:                            ;   in Loop: Header=BB736_696 Depth=2
	s_or_b64 exec, exec, s[36:37]
	s_waitcnt vmcnt(7)
	v_xor_b32_e32 v95, 0x7fffffff, v95
	v_not_b32_e32 v94, v94
	v_lshrrev_b64 v[96:97], s84, v[94:95]
	v_and_b32_e32 v96, s68, v96
	v_mul_u32_u24_e32 v5, 5, v96
	v_add_lshl_u32 v5, v5, v181, 2
	; wave barrier
	v_add_u32_e32 v204, 0x410, v5
	ds_read_b32 v203, v5 offset:1040
	v_and_b32_e32 v5, 1, v96
	v_add_co_u32_e32 v97, vcc, -1, v5
	v_addc_co_u32_e64 v98, s[36:37], 0, -1, vcc
	v_cmp_ne_u32_e32 vcc, 0, v5
	v_xor_b32_e32 v5, vcc_hi, v98
	v_and_b32_e32 v98, exec_hi, v5
	v_lshlrev_b32_e32 v5, 30, v96
	v_xor_b32_e32 v97, vcc_lo, v97
	v_cmp_gt_i64_e32 vcc, 0, v[4:5]
	v_not_b32_e32 v5, v5
	v_ashrrev_i32_e32 v5, 31, v5
	v_and_b32_e32 v97, exec_lo, v97
	v_xor_b32_e32 v99, vcc_hi, v5
	v_xor_b32_e32 v5, vcc_lo, v5
	v_and_b32_e32 v97, v97, v5
	v_lshlrev_b32_e32 v5, 29, v96
	v_cmp_gt_i64_e32 vcc, 0, v[4:5]
	v_not_b32_e32 v5, v5
	v_ashrrev_i32_e32 v5, 31, v5
	v_and_b32_e32 v98, v98, v99
	v_xor_b32_e32 v99, vcc_hi, v5
	v_xor_b32_e32 v5, vcc_lo, v5
	v_and_b32_e32 v97, v97, v5
	v_lshlrev_b32_e32 v5, 28, v96
	v_cmp_gt_i64_e32 vcc, 0, v[4:5]
	v_not_b32_e32 v5, v5
	v_ashrrev_i32_e32 v5, 31, v5
	v_and_b32_e32 v98, v98, v99
	v_xor_b32_e32 v99, vcc_hi, v5
	v_xor_b32_e32 v5, vcc_lo, v5
	v_and_b32_e32 v97, v97, v5
	v_lshlrev_b32_e32 v5, 27, v96
	v_cmp_gt_i64_e32 vcc, 0, v[4:5]
	v_not_b32_e32 v5, v5
	v_ashrrev_i32_e32 v5, 31, v5
	v_and_b32_e32 v98, v98, v99
	v_xor_b32_e32 v99, vcc_hi, v5
	v_xor_b32_e32 v5, vcc_lo, v5
	v_and_b32_e32 v97, v97, v5
	v_lshlrev_b32_e32 v5, 26, v96
	v_cmp_gt_i64_e32 vcc, 0, v[4:5]
	v_not_b32_e32 v5, v5
	v_ashrrev_i32_e32 v5, 31, v5
	v_and_b32_e32 v98, v98, v99
	v_xor_b32_e32 v99, vcc_hi, v5
	v_xor_b32_e32 v5, vcc_lo, v5
	v_and_b32_e32 v97, v97, v5
	v_lshlrev_b32_e32 v5, 25, v96
	v_cmp_gt_i64_e32 vcc, 0, v[4:5]
	v_not_b32_e32 v5, v5
	v_ashrrev_i32_e32 v5, 31, v5
	v_and_b32_e32 v98, v98, v99
	v_xor_b32_e32 v99, vcc_hi, v5
	v_xor_b32_e32 v5, vcc_lo, v5
	v_and_b32_e32 v98, v98, v99
	v_and_b32_e32 v99, v97, v5
	v_lshlrev_b32_e32 v5, 24, v96
	v_cmp_gt_i64_e32 vcc, 0, v[4:5]
	v_not_b32_e32 v5, v5
	v_ashrrev_i32_e32 v5, 31, v5
	v_xor_b32_e32 v96, vcc_hi, v5
	v_xor_b32_e32 v5, vcc_lo, v5
	v_and_b32_e32 v97, v98, v96
	v_and_b32_e32 v96, v99, v5
	v_mbcnt_lo_u32_b32 v5, v96, 0
	v_mbcnt_hi_u32_b32 v205, v97, v5
	v_cmp_eq_u32_e32 vcc, 0, v205
	v_cmp_ne_u64_e64 s[36:37], 0, v[96:97]
	s_and_b64 s[38:39], s[36:37], vcc
	; wave barrier
	s_and_saveexec_b64 s[36:37], s[38:39]
	s_cbranch_execz .LBB736_748
; %bb.747:                              ;   in Loop: Header=BB736_696 Depth=2
	v_bcnt_u32_b32 v5, v96, 0
	v_bcnt_u32_b32 v5, v97, v5
	s_waitcnt lgkmcnt(0)
	v_add_u32_e32 v5, v203, v5
	ds_write_b32 v204, v5
.LBB736_748:                            ;   in Loop: Header=BB736_696 Depth=2
	s_or_b64 exec, exec, s[36:37]
	s_waitcnt vmcnt(6)
	v_xor_b32_e32 v93, 0x7fffffff, v93
	v_not_b32_e32 v92, v92
	v_lshrrev_b64 v[96:97], s84, v[92:93]
	v_and_b32_e32 v96, s68, v96
	v_mul_u32_u24_e32 v5, 5, v96
	v_add_lshl_u32 v5, v5, v181, 2
	; wave barrier
	v_add_u32_e32 v207, 0x410, v5
	ds_read_b32 v206, v5 offset:1040
	v_and_b32_e32 v5, 1, v96
	v_add_co_u32_e32 v97, vcc, -1, v5
	v_addc_co_u32_e64 v98, s[36:37], 0, -1, vcc
	v_cmp_ne_u32_e32 vcc, 0, v5
	v_xor_b32_e32 v5, vcc_hi, v98
	v_and_b32_e32 v98, exec_hi, v5
	v_lshlrev_b32_e32 v5, 30, v96
	v_xor_b32_e32 v97, vcc_lo, v97
	v_cmp_gt_i64_e32 vcc, 0, v[4:5]
	v_not_b32_e32 v5, v5
	v_ashrrev_i32_e32 v5, 31, v5
	v_and_b32_e32 v97, exec_lo, v97
	v_xor_b32_e32 v99, vcc_hi, v5
	v_xor_b32_e32 v5, vcc_lo, v5
	v_and_b32_e32 v97, v97, v5
	v_lshlrev_b32_e32 v5, 29, v96
	v_cmp_gt_i64_e32 vcc, 0, v[4:5]
	v_not_b32_e32 v5, v5
	v_ashrrev_i32_e32 v5, 31, v5
	v_and_b32_e32 v98, v98, v99
	v_xor_b32_e32 v99, vcc_hi, v5
	v_xor_b32_e32 v5, vcc_lo, v5
	v_and_b32_e32 v97, v97, v5
	v_lshlrev_b32_e32 v5, 28, v96
	v_cmp_gt_i64_e32 vcc, 0, v[4:5]
	v_not_b32_e32 v5, v5
	v_ashrrev_i32_e32 v5, 31, v5
	v_and_b32_e32 v98, v98, v99
	;; [unrolled: 8-line block ×5, first 2 shown]
	v_xor_b32_e32 v99, vcc_hi, v5
	v_xor_b32_e32 v5, vcc_lo, v5
	v_and_b32_e32 v98, v98, v99
	v_and_b32_e32 v99, v97, v5
	v_lshlrev_b32_e32 v5, 24, v96
	v_cmp_gt_i64_e32 vcc, 0, v[4:5]
	v_not_b32_e32 v5, v5
	v_ashrrev_i32_e32 v5, 31, v5
	v_xor_b32_e32 v96, vcc_hi, v5
	v_xor_b32_e32 v5, vcc_lo, v5
	v_and_b32_e32 v97, v98, v96
	v_and_b32_e32 v96, v99, v5
	v_mbcnt_lo_u32_b32 v5, v96, 0
	v_mbcnt_hi_u32_b32 v208, v97, v5
	v_cmp_eq_u32_e32 vcc, 0, v208
	v_cmp_ne_u64_e64 s[36:37], 0, v[96:97]
	s_and_b64 s[38:39], s[36:37], vcc
	; wave barrier
	s_and_saveexec_b64 s[36:37], s[38:39]
	s_cbranch_execz .LBB736_750
; %bb.749:                              ;   in Loop: Header=BB736_696 Depth=2
	v_bcnt_u32_b32 v5, v96, 0
	v_bcnt_u32_b32 v5, v97, v5
	s_waitcnt lgkmcnt(0)
	v_add_u32_e32 v5, v206, v5
	ds_write_b32 v207, v5
.LBB736_750:                            ;   in Loop: Header=BB736_696 Depth=2
	s_or_b64 exec, exec, s[36:37]
	s_waitcnt vmcnt(5)
	v_xor_b32_e32 v89, 0x7fffffff, v89
	v_not_b32_e32 v88, v88
	v_lshrrev_b64 v[96:97], s84, v[88:89]
	v_and_b32_e32 v96, s68, v96
	v_mul_u32_u24_e32 v5, 5, v96
	v_add_lshl_u32 v5, v5, v181, 2
	; wave barrier
	v_add_u32_e32 v210, 0x410, v5
	ds_read_b32 v209, v5 offset:1040
	v_and_b32_e32 v5, 1, v96
	v_add_co_u32_e32 v97, vcc, -1, v5
	v_addc_co_u32_e64 v98, s[36:37], 0, -1, vcc
	v_cmp_ne_u32_e32 vcc, 0, v5
	v_xor_b32_e32 v5, vcc_hi, v98
	v_and_b32_e32 v98, exec_hi, v5
	v_lshlrev_b32_e32 v5, 30, v96
	v_xor_b32_e32 v97, vcc_lo, v97
	v_cmp_gt_i64_e32 vcc, 0, v[4:5]
	v_not_b32_e32 v5, v5
	v_ashrrev_i32_e32 v5, 31, v5
	v_and_b32_e32 v97, exec_lo, v97
	v_xor_b32_e32 v99, vcc_hi, v5
	v_xor_b32_e32 v5, vcc_lo, v5
	v_and_b32_e32 v97, v97, v5
	v_lshlrev_b32_e32 v5, 29, v96
	v_cmp_gt_i64_e32 vcc, 0, v[4:5]
	v_not_b32_e32 v5, v5
	v_ashrrev_i32_e32 v5, 31, v5
	v_and_b32_e32 v98, v98, v99
	v_xor_b32_e32 v99, vcc_hi, v5
	v_xor_b32_e32 v5, vcc_lo, v5
	v_and_b32_e32 v97, v97, v5
	v_lshlrev_b32_e32 v5, 28, v96
	v_cmp_gt_i64_e32 vcc, 0, v[4:5]
	v_not_b32_e32 v5, v5
	v_ashrrev_i32_e32 v5, 31, v5
	v_and_b32_e32 v98, v98, v99
	v_xor_b32_e32 v99, vcc_hi, v5
	v_xor_b32_e32 v5, vcc_lo, v5
	v_and_b32_e32 v97, v97, v5
	v_lshlrev_b32_e32 v5, 27, v96
	v_cmp_gt_i64_e32 vcc, 0, v[4:5]
	v_not_b32_e32 v5, v5
	v_ashrrev_i32_e32 v5, 31, v5
	v_and_b32_e32 v98, v98, v99
	v_xor_b32_e32 v99, vcc_hi, v5
	v_xor_b32_e32 v5, vcc_lo, v5
	v_and_b32_e32 v97, v97, v5
	v_lshlrev_b32_e32 v5, 26, v96
	v_cmp_gt_i64_e32 vcc, 0, v[4:5]
	v_not_b32_e32 v5, v5
	v_ashrrev_i32_e32 v5, 31, v5
	v_and_b32_e32 v98, v98, v99
	v_xor_b32_e32 v99, vcc_hi, v5
	v_xor_b32_e32 v5, vcc_lo, v5
	v_and_b32_e32 v97, v97, v5
	v_lshlrev_b32_e32 v5, 25, v96
	v_cmp_gt_i64_e32 vcc, 0, v[4:5]
	v_not_b32_e32 v5, v5
	v_ashrrev_i32_e32 v5, 31, v5
	v_and_b32_e32 v98, v98, v99
	v_xor_b32_e32 v99, vcc_hi, v5
	v_xor_b32_e32 v5, vcc_lo, v5
	v_and_b32_e32 v98, v98, v99
	v_and_b32_e32 v99, v97, v5
	v_lshlrev_b32_e32 v5, 24, v96
	v_cmp_gt_i64_e32 vcc, 0, v[4:5]
	v_not_b32_e32 v5, v5
	v_ashrrev_i32_e32 v5, 31, v5
	v_xor_b32_e32 v96, vcc_hi, v5
	v_xor_b32_e32 v5, vcc_lo, v5
	v_and_b32_e32 v97, v98, v96
	v_and_b32_e32 v96, v99, v5
	v_mbcnt_lo_u32_b32 v5, v96, 0
	v_mbcnt_hi_u32_b32 v211, v97, v5
	v_cmp_eq_u32_e32 vcc, 0, v211
	v_cmp_ne_u64_e64 s[36:37], 0, v[96:97]
	s_and_b64 s[38:39], s[36:37], vcc
	; wave barrier
	s_and_saveexec_b64 s[36:37], s[38:39]
	s_cbranch_execz .LBB736_752
; %bb.751:                              ;   in Loop: Header=BB736_696 Depth=2
	v_bcnt_u32_b32 v5, v96, 0
	v_bcnt_u32_b32 v5, v97, v5
	s_waitcnt lgkmcnt(0)
	v_add_u32_e32 v5, v209, v5
	ds_write_b32 v210, v5
.LBB736_752:                            ;   in Loop: Header=BB736_696 Depth=2
	s_or_b64 exec, exec, s[36:37]
	s_waitcnt vmcnt(4)
	v_xor_b32_e32 v85, 0x7fffffff, v85
	v_not_b32_e32 v84, v84
	v_lshrrev_b64 v[96:97], s84, v[84:85]
	v_and_b32_e32 v96, s68, v96
	v_mul_u32_u24_e32 v5, 5, v96
	v_add_lshl_u32 v5, v5, v181, 2
	; wave barrier
	v_add_u32_e32 v213, 0x410, v5
	ds_read_b32 v212, v5 offset:1040
	v_and_b32_e32 v5, 1, v96
	v_add_co_u32_e32 v97, vcc, -1, v5
	v_addc_co_u32_e64 v98, s[36:37], 0, -1, vcc
	v_cmp_ne_u32_e32 vcc, 0, v5
	v_xor_b32_e32 v5, vcc_hi, v98
	v_and_b32_e32 v98, exec_hi, v5
	v_lshlrev_b32_e32 v5, 30, v96
	v_xor_b32_e32 v97, vcc_lo, v97
	v_cmp_gt_i64_e32 vcc, 0, v[4:5]
	v_not_b32_e32 v5, v5
	v_ashrrev_i32_e32 v5, 31, v5
	v_and_b32_e32 v97, exec_lo, v97
	v_xor_b32_e32 v99, vcc_hi, v5
	v_xor_b32_e32 v5, vcc_lo, v5
	v_and_b32_e32 v97, v97, v5
	v_lshlrev_b32_e32 v5, 29, v96
	v_cmp_gt_i64_e32 vcc, 0, v[4:5]
	v_not_b32_e32 v5, v5
	v_ashrrev_i32_e32 v5, 31, v5
	v_and_b32_e32 v98, v98, v99
	v_xor_b32_e32 v99, vcc_hi, v5
	v_xor_b32_e32 v5, vcc_lo, v5
	v_and_b32_e32 v97, v97, v5
	v_lshlrev_b32_e32 v5, 28, v96
	v_cmp_gt_i64_e32 vcc, 0, v[4:5]
	v_not_b32_e32 v5, v5
	v_ashrrev_i32_e32 v5, 31, v5
	v_and_b32_e32 v98, v98, v99
	;; [unrolled: 8-line block ×5, first 2 shown]
	v_xor_b32_e32 v99, vcc_hi, v5
	v_xor_b32_e32 v5, vcc_lo, v5
	v_and_b32_e32 v98, v98, v99
	v_and_b32_e32 v99, v97, v5
	v_lshlrev_b32_e32 v5, 24, v96
	v_cmp_gt_i64_e32 vcc, 0, v[4:5]
	v_not_b32_e32 v5, v5
	v_ashrrev_i32_e32 v5, 31, v5
	v_xor_b32_e32 v96, vcc_hi, v5
	v_xor_b32_e32 v5, vcc_lo, v5
	v_and_b32_e32 v97, v98, v96
	v_and_b32_e32 v96, v99, v5
	v_mbcnt_lo_u32_b32 v5, v96, 0
	v_mbcnt_hi_u32_b32 v214, v97, v5
	v_cmp_eq_u32_e32 vcc, 0, v214
	v_cmp_ne_u64_e64 s[36:37], 0, v[96:97]
	s_and_b64 s[38:39], s[36:37], vcc
	; wave barrier
	s_and_saveexec_b64 s[36:37], s[38:39]
	s_cbranch_execz .LBB736_754
; %bb.753:                              ;   in Loop: Header=BB736_696 Depth=2
	v_bcnt_u32_b32 v5, v96, 0
	v_bcnt_u32_b32 v5, v97, v5
	s_waitcnt lgkmcnt(0)
	v_add_u32_e32 v5, v212, v5
	ds_write_b32 v213, v5
.LBB736_754:                            ;   in Loop: Header=BB736_696 Depth=2
	s_or_b64 exec, exec, s[36:37]
	s_waitcnt vmcnt(3)
	v_xor_b32_e32 v81, 0x7fffffff, v81
	v_not_b32_e32 v80, v80
	v_lshrrev_b64 v[96:97], s84, v[80:81]
	v_and_b32_e32 v96, s68, v96
	v_mul_u32_u24_e32 v5, 5, v96
	v_add_lshl_u32 v5, v5, v181, 2
	; wave barrier
	v_add_u32_e32 v216, 0x410, v5
	ds_read_b32 v215, v5 offset:1040
	v_and_b32_e32 v5, 1, v96
	v_add_co_u32_e32 v97, vcc, -1, v5
	v_addc_co_u32_e64 v98, s[36:37], 0, -1, vcc
	v_cmp_ne_u32_e32 vcc, 0, v5
	v_xor_b32_e32 v5, vcc_hi, v98
	v_and_b32_e32 v98, exec_hi, v5
	v_lshlrev_b32_e32 v5, 30, v96
	v_xor_b32_e32 v97, vcc_lo, v97
	v_cmp_gt_i64_e32 vcc, 0, v[4:5]
	v_not_b32_e32 v5, v5
	v_ashrrev_i32_e32 v5, 31, v5
	v_and_b32_e32 v97, exec_lo, v97
	v_xor_b32_e32 v99, vcc_hi, v5
	v_xor_b32_e32 v5, vcc_lo, v5
	v_and_b32_e32 v97, v97, v5
	v_lshlrev_b32_e32 v5, 29, v96
	v_cmp_gt_i64_e32 vcc, 0, v[4:5]
	v_not_b32_e32 v5, v5
	v_ashrrev_i32_e32 v5, 31, v5
	v_and_b32_e32 v98, v98, v99
	v_xor_b32_e32 v99, vcc_hi, v5
	v_xor_b32_e32 v5, vcc_lo, v5
	v_and_b32_e32 v97, v97, v5
	v_lshlrev_b32_e32 v5, 28, v96
	v_cmp_gt_i64_e32 vcc, 0, v[4:5]
	v_not_b32_e32 v5, v5
	v_ashrrev_i32_e32 v5, 31, v5
	v_and_b32_e32 v98, v98, v99
	;; [unrolled: 8-line block ×5, first 2 shown]
	v_xor_b32_e32 v99, vcc_hi, v5
	v_xor_b32_e32 v5, vcc_lo, v5
	v_and_b32_e32 v98, v98, v99
	v_and_b32_e32 v99, v97, v5
	v_lshlrev_b32_e32 v5, 24, v96
	v_cmp_gt_i64_e32 vcc, 0, v[4:5]
	v_not_b32_e32 v5, v5
	v_ashrrev_i32_e32 v5, 31, v5
	v_xor_b32_e32 v96, vcc_hi, v5
	v_xor_b32_e32 v5, vcc_lo, v5
	v_and_b32_e32 v97, v98, v96
	v_and_b32_e32 v96, v99, v5
	v_mbcnt_lo_u32_b32 v5, v96, 0
	v_mbcnt_hi_u32_b32 v217, v97, v5
	v_cmp_eq_u32_e32 vcc, 0, v217
	v_cmp_ne_u64_e64 s[36:37], 0, v[96:97]
	s_and_b64 s[38:39], s[36:37], vcc
	; wave barrier
	s_and_saveexec_b64 s[36:37], s[38:39]
	s_cbranch_execz .LBB736_756
; %bb.755:                              ;   in Loop: Header=BB736_696 Depth=2
	v_bcnt_u32_b32 v5, v96, 0
	v_bcnt_u32_b32 v5, v97, v5
	s_waitcnt lgkmcnt(0)
	v_add_u32_e32 v5, v215, v5
	ds_write_b32 v216, v5
.LBB736_756:                            ;   in Loop: Header=BB736_696 Depth=2
	s_or_b64 exec, exec, s[36:37]
	s_waitcnt vmcnt(2)
	v_xor_b32_e32 v77, 0x7fffffff, v77
	v_not_b32_e32 v76, v76
	v_lshrrev_b64 v[96:97], s84, v[76:77]
	v_and_b32_e32 v96, s68, v96
	v_mul_u32_u24_e32 v5, 5, v96
	v_add_lshl_u32 v5, v5, v181, 2
	; wave barrier
	v_add_u32_e32 v219, 0x410, v5
	ds_read_b32 v218, v5 offset:1040
	v_and_b32_e32 v5, 1, v96
	v_add_co_u32_e32 v97, vcc, -1, v5
	v_addc_co_u32_e64 v98, s[36:37], 0, -1, vcc
	v_cmp_ne_u32_e32 vcc, 0, v5
	v_xor_b32_e32 v5, vcc_hi, v98
	v_and_b32_e32 v98, exec_hi, v5
	v_lshlrev_b32_e32 v5, 30, v96
	v_xor_b32_e32 v97, vcc_lo, v97
	v_cmp_gt_i64_e32 vcc, 0, v[4:5]
	v_not_b32_e32 v5, v5
	v_ashrrev_i32_e32 v5, 31, v5
	v_and_b32_e32 v97, exec_lo, v97
	v_xor_b32_e32 v99, vcc_hi, v5
	v_xor_b32_e32 v5, vcc_lo, v5
	v_and_b32_e32 v97, v97, v5
	v_lshlrev_b32_e32 v5, 29, v96
	v_cmp_gt_i64_e32 vcc, 0, v[4:5]
	v_not_b32_e32 v5, v5
	v_ashrrev_i32_e32 v5, 31, v5
	v_and_b32_e32 v98, v98, v99
	v_xor_b32_e32 v99, vcc_hi, v5
	v_xor_b32_e32 v5, vcc_lo, v5
	v_and_b32_e32 v97, v97, v5
	v_lshlrev_b32_e32 v5, 28, v96
	v_cmp_gt_i64_e32 vcc, 0, v[4:5]
	v_not_b32_e32 v5, v5
	v_ashrrev_i32_e32 v5, 31, v5
	v_and_b32_e32 v98, v98, v99
	;; [unrolled: 8-line block ×5, first 2 shown]
	v_xor_b32_e32 v99, vcc_hi, v5
	v_xor_b32_e32 v5, vcc_lo, v5
	v_and_b32_e32 v98, v98, v99
	v_and_b32_e32 v99, v97, v5
	v_lshlrev_b32_e32 v5, 24, v96
	v_cmp_gt_i64_e32 vcc, 0, v[4:5]
	v_not_b32_e32 v5, v5
	v_ashrrev_i32_e32 v5, 31, v5
	v_xor_b32_e32 v96, vcc_hi, v5
	v_xor_b32_e32 v5, vcc_lo, v5
	v_and_b32_e32 v97, v98, v96
	v_and_b32_e32 v96, v99, v5
	v_mbcnt_lo_u32_b32 v5, v96, 0
	v_mbcnt_hi_u32_b32 v220, v97, v5
	v_cmp_eq_u32_e32 vcc, 0, v220
	v_cmp_ne_u64_e64 s[36:37], 0, v[96:97]
	s_and_b64 s[38:39], s[36:37], vcc
	; wave barrier
	s_and_saveexec_b64 s[36:37], s[38:39]
	s_cbranch_execz .LBB736_758
; %bb.757:                              ;   in Loop: Header=BB736_696 Depth=2
	v_bcnt_u32_b32 v5, v96, 0
	v_bcnt_u32_b32 v5, v97, v5
	s_waitcnt lgkmcnt(0)
	v_add_u32_e32 v5, v218, v5
	ds_write_b32 v219, v5
.LBB736_758:                            ;   in Loop: Header=BB736_696 Depth=2
	s_or_b64 exec, exec, s[36:37]
	s_waitcnt vmcnt(1)
	v_xor_b32_e32 v73, 0x7fffffff, v73
	v_not_b32_e32 v72, v72
	v_lshrrev_b64 v[96:97], s84, v[72:73]
	v_and_b32_e32 v96, s68, v96
	v_mul_u32_u24_e32 v5, 5, v96
	v_add_lshl_u32 v5, v5, v181, 2
	; wave barrier
	v_add_u32_e32 v222, 0x410, v5
	ds_read_b32 v221, v5 offset:1040
	v_and_b32_e32 v5, 1, v96
	v_add_co_u32_e32 v97, vcc, -1, v5
	v_addc_co_u32_e64 v98, s[36:37], 0, -1, vcc
	v_cmp_ne_u32_e32 vcc, 0, v5
	v_xor_b32_e32 v5, vcc_hi, v98
	v_and_b32_e32 v98, exec_hi, v5
	v_lshlrev_b32_e32 v5, 30, v96
	v_xor_b32_e32 v97, vcc_lo, v97
	v_cmp_gt_i64_e32 vcc, 0, v[4:5]
	v_not_b32_e32 v5, v5
	v_ashrrev_i32_e32 v5, 31, v5
	v_and_b32_e32 v97, exec_lo, v97
	v_xor_b32_e32 v99, vcc_hi, v5
	v_xor_b32_e32 v5, vcc_lo, v5
	v_and_b32_e32 v97, v97, v5
	v_lshlrev_b32_e32 v5, 29, v96
	v_cmp_gt_i64_e32 vcc, 0, v[4:5]
	v_not_b32_e32 v5, v5
	v_ashrrev_i32_e32 v5, 31, v5
	v_and_b32_e32 v98, v98, v99
	v_xor_b32_e32 v99, vcc_hi, v5
	v_xor_b32_e32 v5, vcc_lo, v5
	v_and_b32_e32 v97, v97, v5
	v_lshlrev_b32_e32 v5, 28, v96
	v_cmp_gt_i64_e32 vcc, 0, v[4:5]
	v_not_b32_e32 v5, v5
	v_ashrrev_i32_e32 v5, 31, v5
	v_and_b32_e32 v98, v98, v99
	;; [unrolled: 8-line block ×5, first 2 shown]
	v_xor_b32_e32 v99, vcc_hi, v5
	v_xor_b32_e32 v5, vcc_lo, v5
	v_and_b32_e32 v98, v98, v99
	v_and_b32_e32 v99, v97, v5
	v_lshlrev_b32_e32 v5, 24, v96
	v_cmp_gt_i64_e32 vcc, 0, v[4:5]
	v_not_b32_e32 v5, v5
	v_ashrrev_i32_e32 v5, 31, v5
	v_xor_b32_e32 v96, vcc_hi, v5
	v_xor_b32_e32 v5, vcc_lo, v5
	v_and_b32_e32 v97, v98, v96
	v_and_b32_e32 v96, v99, v5
	v_mbcnt_lo_u32_b32 v5, v96, 0
	v_mbcnt_hi_u32_b32 v223, v97, v5
	v_cmp_eq_u32_e32 vcc, 0, v223
	v_cmp_ne_u64_e64 s[36:37], 0, v[96:97]
	s_and_b64 s[38:39], s[36:37], vcc
	; wave barrier
	s_and_saveexec_b64 s[36:37], s[38:39]
	s_cbranch_execz .LBB736_760
; %bb.759:                              ;   in Loop: Header=BB736_696 Depth=2
	v_bcnt_u32_b32 v5, v96, 0
	v_bcnt_u32_b32 v5, v97, v5
	s_waitcnt lgkmcnt(0)
	v_add_u32_e32 v5, v221, v5
	ds_write_b32 v222, v5
.LBB736_760:                            ;   in Loop: Header=BB736_696 Depth=2
	s_or_b64 exec, exec, s[36:37]
	s_waitcnt vmcnt(0)
	v_xor_b32_e32 v69, 0x7fffffff, v69
	v_not_b32_e32 v68, v68
	v_lshrrev_b64 v[96:97], s84, v[68:69]
	v_and_b32_e32 v96, s68, v96
	v_mul_u32_u24_e32 v5, 5, v96
	v_add_lshl_u32 v5, v5, v181, 2
	; wave barrier
	v_add_u32_e32 v225, 0x410, v5
	ds_read_b32 v224, v5 offset:1040
	v_and_b32_e32 v5, 1, v96
	v_add_co_u32_e32 v97, vcc, -1, v5
	v_addc_co_u32_e64 v98, s[36:37], 0, -1, vcc
	v_cmp_ne_u32_e32 vcc, 0, v5
	v_xor_b32_e32 v5, vcc_hi, v98
	v_and_b32_e32 v98, exec_hi, v5
	v_lshlrev_b32_e32 v5, 30, v96
	v_xor_b32_e32 v97, vcc_lo, v97
	v_cmp_gt_i64_e32 vcc, 0, v[4:5]
	v_not_b32_e32 v5, v5
	v_ashrrev_i32_e32 v5, 31, v5
	v_and_b32_e32 v97, exec_lo, v97
	v_xor_b32_e32 v99, vcc_hi, v5
	v_xor_b32_e32 v5, vcc_lo, v5
	v_and_b32_e32 v97, v97, v5
	v_lshlrev_b32_e32 v5, 29, v96
	v_cmp_gt_i64_e32 vcc, 0, v[4:5]
	v_not_b32_e32 v5, v5
	v_ashrrev_i32_e32 v5, 31, v5
	v_and_b32_e32 v98, v98, v99
	v_xor_b32_e32 v99, vcc_hi, v5
	v_xor_b32_e32 v5, vcc_lo, v5
	v_and_b32_e32 v97, v97, v5
	v_lshlrev_b32_e32 v5, 28, v96
	v_cmp_gt_i64_e32 vcc, 0, v[4:5]
	v_not_b32_e32 v5, v5
	v_ashrrev_i32_e32 v5, 31, v5
	v_and_b32_e32 v98, v98, v99
	;; [unrolled: 8-line block ×5, first 2 shown]
	v_xor_b32_e32 v99, vcc_hi, v5
	v_xor_b32_e32 v5, vcc_lo, v5
	v_and_b32_e32 v98, v98, v99
	v_and_b32_e32 v99, v97, v5
	v_lshlrev_b32_e32 v5, 24, v96
	v_cmp_gt_i64_e32 vcc, 0, v[4:5]
	v_not_b32_e32 v5, v5
	v_ashrrev_i32_e32 v5, 31, v5
	v_xor_b32_e32 v96, vcc_hi, v5
	v_xor_b32_e32 v5, vcc_lo, v5
	v_and_b32_e32 v97, v98, v96
	v_and_b32_e32 v96, v99, v5
	v_mbcnt_lo_u32_b32 v5, v96, 0
	v_mbcnt_hi_u32_b32 v226, v97, v5
	v_cmp_eq_u32_e32 vcc, 0, v226
	v_cmp_ne_u64_e64 s[36:37], 0, v[96:97]
	s_and_b64 s[38:39], s[36:37], vcc
	; wave barrier
	s_and_saveexec_b64 s[36:37], s[38:39]
	s_cbranch_execz .LBB736_762
; %bb.761:                              ;   in Loop: Header=BB736_696 Depth=2
	v_bcnt_u32_b32 v5, v96, 0
	v_bcnt_u32_b32 v5, v97, v5
	s_waitcnt lgkmcnt(0)
	v_add_u32_e32 v5, v224, v5
	ds_write_b32 v225, v5
.LBB736_762:                            ;   in Loop: Header=BB736_696 Depth=2
	s_or_b64 exec, exec, s[36:37]
	v_xor_b32_e32 v71, 0x7fffffff, v71
	v_not_b32_e32 v70, v70
	v_lshrrev_b64 v[96:97], s84, v[70:71]
	v_and_b32_e32 v96, s68, v96
	v_mul_u32_u24_e32 v5, 5, v96
	v_add_lshl_u32 v5, v5, v181, 2
	; wave barrier
	v_add_u32_e32 v228, 0x410, v5
	ds_read_b32 v227, v5 offset:1040
	v_and_b32_e32 v5, 1, v96
	v_add_co_u32_e32 v97, vcc, -1, v5
	v_addc_co_u32_e64 v98, s[36:37], 0, -1, vcc
	v_cmp_ne_u32_e32 vcc, 0, v5
	v_xor_b32_e32 v5, vcc_hi, v98
	v_and_b32_e32 v98, exec_hi, v5
	v_lshlrev_b32_e32 v5, 30, v96
	v_xor_b32_e32 v97, vcc_lo, v97
	v_cmp_gt_i64_e32 vcc, 0, v[4:5]
	v_not_b32_e32 v5, v5
	v_ashrrev_i32_e32 v5, 31, v5
	v_and_b32_e32 v97, exec_lo, v97
	v_xor_b32_e32 v99, vcc_hi, v5
	v_xor_b32_e32 v5, vcc_lo, v5
	v_and_b32_e32 v97, v97, v5
	v_lshlrev_b32_e32 v5, 29, v96
	v_cmp_gt_i64_e32 vcc, 0, v[4:5]
	v_not_b32_e32 v5, v5
	v_ashrrev_i32_e32 v5, 31, v5
	v_and_b32_e32 v98, v98, v99
	v_xor_b32_e32 v99, vcc_hi, v5
	v_xor_b32_e32 v5, vcc_lo, v5
	v_and_b32_e32 v97, v97, v5
	v_lshlrev_b32_e32 v5, 28, v96
	v_cmp_gt_i64_e32 vcc, 0, v[4:5]
	v_not_b32_e32 v5, v5
	v_ashrrev_i32_e32 v5, 31, v5
	v_and_b32_e32 v98, v98, v99
	;; [unrolled: 8-line block ×5, first 2 shown]
	v_xor_b32_e32 v99, vcc_hi, v5
	v_xor_b32_e32 v5, vcc_lo, v5
	v_and_b32_e32 v98, v98, v99
	v_and_b32_e32 v99, v97, v5
	v_lshlrev_b32_e32 v5, 24, v96
	v_cmp_gt_i64_e32 vcc, 0, v[4:5]
	v_not_b32_e32 v5, v5
	v_ashrrev_i32_e32 v5, 31, v5
	v_xor_b32_e32 v96, vcc_hi, v5
	v_xor_b32_e32 v5, vcc_lo, v5
	v_and_b32_e32 v97, v98, v96
	v_and_b32_e32 v96, v99, v5
	v_mbcnt_lo_u32_b32 v5, v96, 0
	v_mbcnt_hi_u32_b32 v229, v97, v5
	v_cmp_eq_u32_e32 vcc, 0, v229
	v_cmp_ne_u64_e64 s[36:37], 0, v[96:97]
	s_and_b64 s[38:39], s[36:37], vcc
	; wave barrier
	s_and_saveexec_b64 s[36:37], s[38:39]
	s_cbranch_execz .LBB736_764
; %bb.763:                              ;   in Loop: Header=BB736_696 Depth=2
	v_bcnt_u32_b32 v5, v96, 0
	v_bcnt_u32_b32 v5, v97, v5
	s_waitcnt lgkmcnt(0)
	v_add_u32_e32 v5, v227, v5
	ds_write_b32 v228, v5
.LBB736_764:                            ;   in Loop: Header=BB736_696 Depth=2
	s_or_b64 exec, exec, s[36:37]
	; wave barrier
	s_waitcnt lgkmcnt(0)
	s_barrier
	ds_read_b32 v5, v27 offset:1040
	ds_read2_b32 v[98:99], v31 offset0:1 offset1:2
	ds_read2_b32 v[96:97], v31 offset0:3 offset1:4
	s_waitcnt lgkmcnt(1)
	v_add3_u32 v230, v98, v5, v99
	s_waitcnt lgkmcnt(0)
	v_add3_u32 v97, v230, v96, v97
	s_nop 1
	v_mov_b32_dpp v230, v97 row_shr:1 row_mask:0xf bank_mask:0xf
	v_cndmask_b32_e64 v230, v230, 0, s[16:17]
	v_add_u32_e32 v97, v230, v97
	s_nop 1
	v_mov_b32_dpp v230, v97 row_shr:2 row_mask:0xf bank_mask:0xf
	v_cndmask_b32_e64 v230, 0, v230, s[18:19]
	v_add_u32_e32 v97, v97, v230
	;; [unrolled: 4-line block ×4, first 2 shown]
	s_nop 1
	v_mov_b32_dpp v230, v97 row_bcast:15 row_mask:0xf bank_mask:0xf
	v_cndmask_b32_e64 v230, v230, 0, s[24:25]
	v_add_u32_e32 v97, v97, v230
	s_nop 1
	v_mov_b32_dpp v230, v97 row_bcast:31 row_mask:0xf bank_mask:0xf
	v_cndmask_b32_e64 v230, 0, v230, s[26:27]
	v_add_u32_e32 v97, v97, v230
	s_and_saveexec_b64 s[36:37], s[6:7]
	s_cbranch_execz .LBB736_766
; %bb.765:                              ;   in Loop: Header=BB736_696 Depth=2
	ds_write_b32 v15, v97 offset:1024
.LBB736_766:                            ;   in Loop: Header=BB736_696 Depth=2
	s_or_b64 exec, exec, s[36:37]
	s_waitcnt lgkmcnt(0)
	s_barrier
	s_and_saveexec_b64 s[36:37], s[8:9]
	s_cbranch_execz .LBB736_768
; %bb.767:                              ;   in Loop: Header=BB736_696 Depth=2
	ds_read_b32 v230, v33 offset:1024
	s_waitcnt lgkmcnt(0)
	s_nop 0
	v_mov_b32_dpp v231, v230 row_shr:1 row_mask:0xf bank_mask:0xf
	v_cndmask_b32_e64 v231, v231, 0, s[30:31]
	v_add_u32_e32 v230, v231, v230
	s_nop 1
	v_mov_b32_dpp v231, v230 row_shr:2 row_mask:0xf bank_mask:0xf
	v_cndmask_b32_e64 v231, 0, v231, s[34:35]
	v_add_u32_e32 v230, v230, v231
	ds_write_b32 v33, v230 offset:1024
.LBB736_768:                            ;   in Loop: Header=BB736_696 Depth=2
	s_or_b64 exec, exec, s[36:37]
	v_mov_b32_e32 v230, 0
	s_waitcnt lgkmcnt(0)
	s_barrier
	s_and_saveexec_b64 s[36:37], s[10:11]
	s_cbranch_execz .LBB736_770
; %bb.769:                              ;   in Loop: Header=BB736_696 Depth=2
	ds_read_b32 v230, v15 offset:1020
.LBB736_770:                            ;   in Loop: Header=BB736_696 Depth=2
	s_or_b64 exec, exec, s[36:37]
	s_waitcnt lgkmcnt(0)
	v_add_u32_e32 v97, v230, v97
	ds_bpermute_b32 v97, v158, v97
	s_waitcnt lgkmcnt(0)
	v_cndmask_b32_e64 v97, v97, v230, s[28:29]
	v_cndmask_b32_e64 v97, v97, 0, s[12:13]
	v_add_u32_e32 v5, v97, v5
	ds_write_b32 v27, v97 offset:1040
	v_add_u32_e32 v97, v5, v98
	v_add_u32_e32 v98, v97, v99
	ds_write2_b32 v31, v5, v97 offset0:1 offset1:2
	v_add_u32_e32 v5, v98, v96
	ds_write2_b32 v31, v98, v5 offset0:3 offset1:4
	s_waitcnt lgkmcnt(0)
	s_barrier
	ds_read_b32 v97, v186
	ds_read_b32 v234, v189
	;; [unrolled: 1-line block ×16, first 2 shown]
	ds_read_b32 v183, v27 offset:1040
	v_mov_b32_e32 v5, 0x1000
	s_and_saveexec_b64 s[36:37], s[14:15]
	s_cbranch_execz .LBB736_772
; %bb.771:                              ;   in Loop: Header=BB736_696 Depth=2
	ds_read_b32 v5, v27 offset:1060
.LBB736_772:                            ;   in Loop: Header=BB736_696 Depth=2
	s_or_b64 exec, exec, s[36:37]
	s_waitcnt lgkmcnt(0)
	s_barrier
	s_and_saveexec_b64 s[36:37], s[4:5]
	s_cbranch_execz .LBB736_774
; %bb.773:                              ;   in Loop: Header=BB736_696 Depth=2
	ds_read_b32 v207, v3
	s_waitcnt lgkmcnt(0)
	v_sub_u32_e32 v183, v207, v183
	ds_write_b32 v3, v183
.LBB736_774:                            ;   in Loop: Header=BB736_696 Depth=2
	s_or_b64 exec, exec, s[36:37]
	v_add_u32_e32 v185, v187, v185
	v_add_u32_e32 v188, v190, v188
	v_add_lshl_u32 v96, v96, v184, 3
	v_add_lshl_u32 v97, v185, v97, 3
	v_add_u32_e32 v197, v199, v197
	v_add_u32_e32 v194, v196, v194
	;; [unrolled: 1-line block ×3, first 2 shown]
	ds_write_b64 v96, v[64:65] offset:1024
	ds_write_b64 v97, v[66:67] offset:1024
	v_add_lshl_u32 v66, v188, v234, 3
	v_add_u32_e32 v212, v214, v212
	v_add_u32_e32 v209, v211, v209
	;; [unrolled: 1-line block ×5, first 2 shown]
	ds_write_b64 v66, v[74:75] offset:1024
	v_add_lshl_u32 v67, v191, v233, 3
	v_add_lshl_u32 v74, v194, v232, 3
	;; [unrolled: 1-line block ×3, first 2 shown]
	v_add_u32_e32 v215, v217, v215
	ds_write_b64 v67, v[78:79] offset:1024
	ds_write_b64 v74, v[82:83] offset:1024
	;; [unrolled: 1-line block ×3, first 2 shown]
	v_add_lshl_u32 v78, v200, v230, 3
	v_add_lshl_u32 v79, v203, v204, 3
	;; [unrolled: 1-line block ×5, first 2 shown]
	v_add_u32_e32 v213, v220, v218
	ds_write_b64 v78, v[90:91] offset:1024
	ds_write_b64 v79, v[94:95] offset:1024
	;; [unrolled: 1-line block ×5, first 2 shown]
	v_add_lshl_u32 v84, v215, v192, 3
	v_add_u32_e32 v210, v223, v221
	ds_write_b64 v84, v[80:81] offset:1024
	v_add_lshl_u32 v80, v213, v189, 3
	v_add_u32_e32 v207, v226, v224
	ds_write_b64 v80, v[76:77] offset:1024
	;; [unrolled: 3-line block ×3, first 2 shown]
	v_add_lshl_u32 v72, v207, v99, 3
	ds_write_b64 v72, v[68:69] offset:1024
	v_add_lshl_u32 v68, v183, v98, 3
	v_cmp_lt_u32_e64 s[36:37], v2, v182
	ds_write_b64 v68, v[70:71] offset:1024
	s_waitcnt lgkmcnt(0)
	s_barrier
	s_and_saveexec_b64 s[38:39], s[36:37]
	s_cbranch_execz .LBB736_790
; %bb.775:                              ;   in Loop: Header=BB736_696 Depth=2
	v_add_u32_e32 v64, v33, v3
	ds_read_b64 v[64:65], v64 offset:1024
	v_mov_b32_e32 v73, s75
	s_waitcnt lgkmcnt(0)
	v_lshrrev_b64 v[70:71], s84, v[64:65]
	v_and_b32_e32 v69, s68, v70
	v_lshlrev_b32_e32 v69, 2, v69
	ds_read_b32 v69, v69
	v_mov_b32_e32 v71, v4
	v_xor_b32_e32 v65, 0x7fffffff, v65
	v_not_b32_e32 v64, v64
	s_waitcnt lgkmcnt(0)
	v_add_u32_e32 v70, v69, v2
	v_lshlrev_b64 v[70:71], 3, v[70:71]
	v_add_co_u32_e32 v70, vcc, s74, v70
	v_addc_co_u32_e32 v71, vcc, v73, v71, vcc
	global_store_dwordx2 v[70:71], v[64:65], off
	s_or_b64 exec, exec, s[38:39]
	v_cmp_lt_u32_e64 s[38:39], v7, v182
	s_and_saveexec_b64 s[40:41], s[38:39]
	s_cbranch_execnz .LBB736_791
.LBB736_776:                            ;   in Loop: Header=BB736_696 Depth=2
	s_or_b64 exec, exec, s[40:41]
	v_cmp_lt_u32_e64 s[40:41], v6, v182
	s_and_saveexec_b64 s[42:43], s[40:41]
	s_cbranch_execz .LBB736_792
.LBB736_777:                            ;   in Loop: Header=BB736_696 Depth=2
	ds_read_b64 v[64:65], v104 offset:4096
	v_mov_b32_e32 v73, s75
	s_waitcnt lgkmcnt(0)
	v_lshrrev_b64 v[70:71], s84, v[64:65]
	v_and_b32_e32 v69, s68, v70
	v_lshlrev_b32_e32 v69, 2, v69
	ds_read_b32 v69, v69
	v_mov_b32_e32 v71, v4
	v_xor_b32_e32 v65, 0x7fffffff, v65
	v_not_b32_e32 v64, v64
	s_waitcnt lgkmcnt(0)
	v_add_u32_e32 v70, v69, v6
	v_lshlrev_b64 v[70:71], 3, v[70:71]
	v_add_co_u32_e32 v70, vcc, s74, v70
	v_addc_co_u32_e32 v71, vcc, v73, v71, vcc
	global_store_dwordx2 v[70:71], v[64:65], off
	s_or_b64 exec, exec, s[42:43]
	v_cmp_lt_u32_e64 s[42:43], v8, v182
	s_and_saveexec_b64 s[44:45], s[42:43]
	s_cbranch_execnz .LBB736_793
.LBB736_778:                            ;   in Loop: Header=BB736_696 Depth=2
	s_or_b64 exec, exec, s[44:45]
	v_cmp_lt_u32_e64 s[44:45], v10, v182
	s_and_saveexec_b64 s[46:47], s[44:45]
	s_cbranch_execz .LBB736_794
.LBB736_779:                            ;   in Loop: Header=BB736_696 Depth=2
	ds_read_b64 v[64:65], v104 offset:8192
	v_mov_b32_e32 v73, s75
	s_waitcnt lgkmcnt(0)
	v_lshrrev_b64 v[70:71], s84, v[64:65]
	v_and_b32_e32 v69, s68, v70
	v_lshlrev_b32_e32 v69, 2, v69
	ds_read_b32 v69, v69
	v_mov_b32_e32 v71, v4
	v_xor_b32_e32 v65, 0x7fffffff, v65
	v_not_b32_e32 v64, v64
	s_waitcnt lgkmcnt(0)
	v_add_u32_e32 v70, v69, v10
	v_lshlrev_b64 v[70:71], 3, v[70:71]
	v_add_co_u32_e32 v70, vcc, s74, v70
	v_addc_co_u32_e32 v71, vcc, v73, v71, vcc
	global_store_dwordx2 v[70:71], v[64:65], off
	s_or_b64 exec, exec, s[46:47]
	v_cmp_lt_u32_e64 s[46:47], v12, v182
	s_and_saveexec_b64 s[48:49], s[46:47]
	s_cbranch_execnz .LBB736_795
.LBB736_780:                            ;   in Loop: Header=BB736_696 Depth=2
	s_or_b64 exec, exec, s[48:49]
	v_cmp_lt_u32_e64 s[48:49], v14, v182
	s_and_saveexec_b64 s[50:51], s[48:49]
	s_cbranch_execz .LBB736_796
.LBB736_781:                            ;   in Loop: Header=BB736_696 Depth=2
	ds_read_b64 v[64:65], v104 offset:12288
	v_mov_b32_e32 v73, s75
	s_waitcnt lgkmcnt(0)
	v_lshrrev_b64 v[70:71], s84, v[64:65]
	v_and_b32_e32 v69, s68, v70
	v_lshlrev_b32_e32 v69, 2, v69
	ds_read_b32 v69, v69
	v_mov_b32_e32 v71, v4
	v_xor_b32_e32 v65, 0x7fffffff, v65
	v_not_b32_e32 v64, v64
	s_waitcnt lgkmcnt(0)
	v_add_u32_e32 v70, v69, v14
	v_lshlrev_b64 v[70:71], 3, v[70:71]
	v_add_co_u32_e32 v70, vcc, s74, v70
	v_addc_co_u32_e32 v71, vcc, v73, v71, vcc
	global_store_dwordx2 v[70:71], v[64:65], off
	s_or_b64 exec, exec, s[50:51]
	v_cmp_lt_u32_e64 s[50:51], v16, v182
	s_and_saveexec_b64 s[52:53], s[50:51]
	s_cbranch_execnz .LBB736_797
.LBB736_782:                            ;   in Loop: Header=BB736_696 Depth=2
	s_or_b64 exec, exec, s[52:53]
	v_cmp_lt_u32_e64 s[52:53], v18, v182
	s_and_saveexec_b64 s[54:55], s[52:53]
	s_cbranch_execz .LBB736_798
.LBB736_783:                            ;   in Loop: Header=BB736_696 Depth=2
	ds_read_b64 v[64:65], v104 offset:16384
	v_mov_b32_e32 v73, s75
	s_waitcnt lgkmcnt(0)
	v_lshrrev_b64 v[70:71], s84, v[64:65]
	v_and_b32_e32 v69, s68, v70
	v_lshlrev_b32_e32 v69, 2, v69
	ds_read_b32 v69, v69
	v_mov_b32_e32 v71, v4
	v_xor_b32_e32 v65, 0x7fffffff, v65
	v_not_b32_e32 v64, v64
	s_waitcnt lgkmcnt(0)
	v_add_u32_e32 v70, v69, v18
	v_lshlrev_b64 v[70:71], 3, v[70:71]
	v_add_co_u32_e32 v70, vcc, s74, v70
	v_addc_co_u32_e32 v71, vcc, v73, v71, vcc
	global_store_dwordx2 v[70:71], v[64:65], off
	s_or_b64 exec, exec, s[54:55]
	v_cmp_lt_u32_e64 s[54:55], v20, v182
	s_and_saveexec_b64 s[56:57], s[54:55]
	s_cbranch_execnz .LBB736_799
.LBB736_784:                            ;   in Loop: Header=BB736_696 Depth=2
	s_or_b64 exec, exec, s[56:57]
	v_cmp_lt_u32_e64 s[56:57], v22, v182
	s_and_saveexec_b64 s[58:59], s[56:57]
	s_cbranch_execz .LBB736_800
.LBB736_785:                            ;   in Loop: Header=BB736_696 Depth=2
	ds_read_b64 v[64:65], v104 offset:20480
	v_mov_b32_e32 v73, s75
	s_waitcnt lgkmcnt(0)
	v_lshrrev_b64 v[70:71], s84, v[64:65]
	v_and_b32_e32 v69, s68, v70
	v_lshlrev_b32_e32 v69, 2, v69
	ds_read_b32 v69, v69
	v_mov_b32_e32 v71, v4
	v_xor_b32_e32 v65, 0x7fffffff, v65
	v_not_b32_e32 v64, v64
	s_waitcnt lgkmcnt(0)
	v_add_u32_e32 v70, v69, v22
	v_lshlrev_b64 v[70:71], 3, v[70:71]
	v_add_co_u32_e32 v70, vcc, s74, v70
	v_addc_co_u32_e32 v71, vcc, v73, v71, vcc
	global_store_dwordx2 v[70:71], v[64:65], off
	s_or_b64 exec, exec, s[58:59]
	v_cmp_lt_u32_e64 s[58:59], v24, v182
	s_and_saveexec_b64 s[60:61], s[58:59]
	s_cbranch_execnz .LBB736_801
.LBB736_786:                            ;   in Loop: Header=BB736_696 Depth=2
	s_or_b64 exec, exec, s[60:61]
	v_cmp_lt_u32_e64 s[60:61], v26, v182
	s_and_saveexec_b64 s[62:63], s[60:61]
	s_cbranch_execz .LBB736_802
.LBB736_787:                            ;   in Loop: Header=BB736_696 Depth=2
	ds_read_b64 v[64:65], v104 offset:24576
	v_mov_b32_e32 v73, s75
	s_waitcnt lgkmcnt(0)
	v_lshrrev_b64 v[70:71], s84, v[64:65]
	v_and_b32_e32 v69, s68, v70
	v_lshlrev_b32_e32 v69, 2, v69
	ds_read_b32 v69, v69
	v_mov_b32_e32 v71, v4
	v_xor_b32_e32 v65, 0x7fffffff, v65
	v_not_b32_e32 v64, v64
	s_waitcnt lgkmcnt(0)
	v_add_u32_e32 v70, v69, v26
	v_lshlrev_b64 v[70:71], 3, v[70:71]
	v_add_co_u32_e32 v70, vcc, s74, v70
	v_addc_co_u32_e32 v71, vcc, v73, v71, vcc
	global_store_dwordx2 v[70:71], v[64:65], off
	s_or_b64 exec, exec, s[62:63]
	v_cmp_lt_u32_e64 s[62:63], v28, v182
	s_and_saveexec_b64 s[64:65], s[62:63]
	s_cbranch_execnz .LBB736_803
.LBB736_788:                            ;   in Loop: Header=BB736_696 Depth=2
	s_or_b64 exec, exec, s[64:65]
	v_cmp_lt_u32_e64 s[64:65], v30, v182
	s_and_saveexec_b64 s[66:67], s[64:65]
	s_cbranch_execz .LBB736_804
.LBB736_789:                            ;   in Loop: Header=BB736_696 Depth=2
	ds_read_b64 v[64:65], v104 offset:28672
	v_mov_b32_e32 v73, s75
	s_waitcnt lgkmcnt(0)
	v_lshrrev_b64 v[70:71], s84, v[64:65]
	v_and_b32_e32 v69, s68, v70
	v_lshlrev_b32_e32 v69, 2, v69
	ds_read_b32 v69, v69
	v_mov_b32_e32 v71, v4
	v_xor_b32_e32 v65, 0x7fffffff, v65
	v_not_b32_e32 v64, v64
	s_waitcnt lgkmcnt(0)
	v_add_u32_e32 v70, v69, v30
	v_lshlrev_b64 v[70:71], 3, v[70:71]
	v_add_co_u32_e32 v70, vcc, s74, v70
	v_addc_co_u32_e32 v71, vcc, v73, v71, vcc
	global_store_dwordx2 v[70:71], v[64:65], off
	s_or_b64 exec, exec, s[66:67]
	v_cmp_lt_u32_e64 s[66:67], v32, v182
	s_and_saveexec_b64 s[92:93], s[66:67]
	s_cbranch_execnz .LBB736_805
	s_branch .LBB736_806
.LBB736_790:                            ;   in Loop: Header=BB736_696 Depth=2
	s_or_b64 exec, exec, s[38:39]
	v_cmp_lt_u32_e64 s[38:39], v7, v182
	s_and_saveexec_b64 s[40:41], s[38:39]
	s_cbranch_execz .LBB736_776
.LBB736_791:                            ;   in Loop: Header=BB736_696 Depth=2
	ds_read_b64 v[64:65], v104 offset:2048
	v_mov_b32_e32 v73, s75
	s_waitcnt lgkmcnt(0)
	v_lshrrev_b64 v[70:71], s84, v[64:65]
	v_and_b32_e32 v69, s68, v70
	v_lshlrev_b32_e32 v69, 2, v69
	ds_read_b32 v69, v69
	v_mov_b32_e32 v71, v4
	v_xor_b32_e32 v65, 0x7fffffff, v65
	v_not_b32_e32 v64, v64
	s_waitcnt lgkmcnt(0)
	v_add_u32_e32 v70, v69, v7
	v_lshlrev_b64 v[70:71], 3, v[70:71]
	v_add_co_u32_e32 v70, vcc, s74, v70
	v_addc_co_u32_e32 v71, vcc, v73, v71, vcc
	global_store_dwordx2 v[70:71], v[64:65], off
	s_or_b64 exec, exec, s[40:41]
	v_cmp_lt_u32_e64 s[40:41], v6, v182
	s_and_saveexec_b64 s[42:43], s[40:41]
	s_cbranch_execnz .LBB736_777
.LBB736_792:                            ;   in Loop: Header=BB736_696 Depth=2
	s_or_b64 exec, exec, s[42:43]
	v_cmp_lt_u32_e64 s[42:43], v8, v182
	s_and_saveexec_b64 s[44:45], s[42:43]
	s_cbranch_execz .LBB736_778
.LBB736_793:                            ;   in Loop: Header=BB736_696 Depth=2
	ds_read_b64 v[64:65], v104 offset:6144
	v_mov_b32_e32 v73, s75
	s_waitcnt lgkmcnt(0)
	v_lshrrev_b64 v[70:71], s84, v[64:65]
	v_and_b32_e32 v69, s68, v70
	v_lshlrev_b32_e32 v69, 2, v69
	ds_read_b32 v69, v69
	v_mov_b32_e32 v71, v4
	v_xor_b32_e32 v65, 0x7fffffff, v65
	v_not_b32_e32 v64, v64
	s_waitcnt lgkmcnt(0)
	v_add_u32_e32 v70, v69, v8
	v_lshlrev_b64 v[70:71], 3, v[70:71]
	v_add_co_u32_e32 v70, vcc, s74, v70
	v_addc_co_u32_e32 v71, vcc, v73, v71, vcc
	global_store_dwordx2 v[70:71], v[64:65], off
	s_or_b64 exec, exec, s[44:45]
	v_cmp_lt_u32_e64 s[44:45], v10, v182
	s_and_saveexec_b64 s[46:47], s[44:45]
	s_cbranch_execnz .LBB736_779
.LBB736_794:                            ;   in Loop: Header=BB736_696 Depth=2
	s_or_b64 exec, exec, s[46:47]
	v_cmp_lt_u32_e64 s[46:47], v12, v182
	s_and_saveexec_b64 s[48:49], s[46:47]
	s_cbranch_execz .LBB736_780
.LBB736_795:                            ;   in Loop: Header=BB736_696 Depth=2
	ds_read_b64 v[64:65], v104 offset:10240
	v_mov_b32_e32 v73, s75
	s_waitcnt lgkmcnt(0)
	v_lshrrev_b64 v[70:71], s84, v[64:65]
	v_and_b32_e32 v69, s68, v70
	v_lshlrev_b32_e32 v69, 2, v69
	ds_read_b32 v69, v69
	v_mov_b32_e32 v71, v4
	v_xor_b32_e32 v65, 0x7fffffff, v65
	v_not_b32_e32 v64, v64
	s_waitcnt lgkmcnt(0)
	v_add_u32_e32 v70, v69, v12
	v_lshlrev_b64 v[70:71], 3, v[70:71]
	v_add_co_u32_e32 v70, vcc, s74, v70
	v_addc_co_u32_e32 v71, vcc, v73, v71, vcc
	global_store_dwordx2 v[70:71], v[64:65], off
	s_or_b64 exec, exec, s[48:49]
	v_cmp_lt_u32_e64 s[48:49], v14, v182
	s_and_saveexec_b64 s[50:51], s[48:49]
	s_cbranch_execnz .LBB736_781
.LBB736_796:                            ;   in Loop: Header=BB736_696 Depth=2
	s_or_b64 exec, exec, s[50:51]
	v_cmp_lt_u32_e64 s[50:51], v16, v182
	s_and_saveexec_b64 s[52:53], s[50:51]
	s_cbranch_execz .LBB736_782
.LBB736_797:                            ;   in Loop: Header=BB736_696 Depth=2
	ds_read_b64 v[64:65], v104 offset:14336
	v_mov_b32_e32 v73, s75
	s_waitcnt lgkmcnt(0)
	v_lshrrev_b64 v[70:71], s84, v[64:65]
	v_and_b32_e32 v69, s68, v70
	v_lshlrev_b32_e32 v69, 2, v69
	ds_read_b32 v69, v69
	v_mov_b32_e32 v71, v4
	v_xor_b32_e32 v65, 0x7fffffff, v65
	v_not_b32_e32 v64, v64
	s_waitcnt lgkmcnt(0)
	v_add_u32_e32 v70, v69, v16
	v_lshlrev_b64 v[70:71], 3, v[70:71]
	v_add_co_u32_e32 v70, vcc, s74, v70
	v_addc_co_u32_e32 v71, vcc, v73, v71, vcc
	global_store_dwordx2 v[70:71], v[64:65], off
	s_or_b64 exec, exec, s[52:53]
	v_cmp_lt_u32_e64 s[52:53], v18, v182
	s_and_saveexec_b64 s[54:55], s[52:53]
	s_cbranch_execnz .LBB736_783
.LBB736_798:                            ;   in Loop: Header=BB736_696 Depth=2
	s_or_b64 exec, exec, s[54:55]
	v_cmp_lt_u32_e64 s[54:55], v20, v182
	s_and_saveexec_b64 s[56:57], s[54:55]
	s_cbranch_execz .LBB736_784
.LBB736_799:                            ;   in Loop: Header=BB736_696 Depth=2
	ds_read_b64 v[64:65], v104 offset:18432
	v_mov_b32_e32 v73, s75
	s_waitcnt lgkmcnt(0)
	v_lshrrev_b64 v[70:71], s84, v[64:65]
	v_and_b32_e32 v69, s68, v70
	v_lshlrev_b32_e32 v69, 2, v69
	ds_read_b32 v69, v69
	v_mov_b32_e32 v71, v4
	v_xor_b32_e32 v65, 0x7fffffff, v65
	v_not_b32_e32 v64, v64
	s_waitcnt lgkmcnt(0)
	v_add_u32_e32 v70, v69, v20
	v_lshlrev_b64 v[70:71], 3, v[70:71]
	v_add_co_u32_e32 v70, vcc, s74, v70
	v_addc_co_u32_e32 v71, vcc, v73, v71, vcc
	global_store_dwordx2 v[70:71], v[64:65], off
	s_or_b64 exec, exec, s[56:57]
	v_cmp_lt_u32_e64 s[56:57], v22, v182
	s_and_saveexec_b64 s[58:59], s[56:57]
	s_cbranch_execnz .LBB736_785
.LBB736_800:                            ;   in Loop: Header=BB736_696 Depth=2
	s_or_b64 exec, exec, s[58:59]
	v_cmp_lt_u32_e64 s[58:59], v24, v182
	s_and_saveexec_b64 s[60:61], s[58:59]
	s_cbranch_execz .LBB736_786
.LBB736_801:                            ;   in Loop: Header=BB736_696 Depth=2
	ds_read_b64 v[64:65], v104 offset:22528
	v_mov_b32_e32 v73, s75
	s_waitcnt lgkmcnt(0)
	v_lshrrev_b64 v[70:71], s84, v[64:65]
	v_and_b32_e32 v69, s68, v70
	v_lshlrev_b32_e32 v69, 2, v69
	ds_read_b32 v69, v69
	v_mov_b32_e32 v71, v4
	v_xor_b32_e32 v65, 0x7fffffff, v65
	v_not_b32_e32 v64, v64
	s_waitcnt lgkmcnt(0)
	v_add_u32_e32 v70, v69, v24
	v_lshlrev_b64 v[70:71], 3, v[70:71]
	v_add_co_u32_e32 v70, vcc, s74, v70
	v_addc_co_u32_e32 v71, vcc, v73, v71, vcc
	global_store_dwordx2 v[70:71], v[64:65], off
	s_or_b64 exec, exec, s[60:61]
	v_cmp_lt_u32_e64 s[60:61], v26, v182
	s_and_saveexec_b64 s[62:63], s[60:61]
	s_cbranch_execnz .LBB736_787
.LBB736_802:                            ;   in Loop: Header=BB736_696 Depth=2
	s_or_b64 exec, exec, s[62:63]
	v_cmp_lt_u32_e64 s[62:63], v28, v182
	s_and_saveexec_b64 s[64:65], s[62:63]
	s_cbranch_execz .LBB736_788
.LBB736_803:                            ;   in Loop: Header=BB736_696 Depth=2
	ds_read_b64 v[64:65], v104 offset:26624
	v_mov_b32_e32 v73, s75
	s_waitcnt lgkmcnt(0)
	v_lshrrev_b64 v[70:71], s84, v[64:65]
	v_and_b32_e32 v69, s68, v70
	v_lshlrev_b32_e32 v69, 2, v69
	ds_read_b32 v69, v69
	v_mov_b32_e32 v71, v4
	v_xor_b32_e32 v65, 0x7fffffff, v65
	v_not_b32_e32 v64, v64
	s_waitcnt lgkmcnt(0)
	v_add_u32_e32 v70, v69, v28
	v_lshlrev_b64 v[70:71], 3, v[70:71]
	v_add_co_u32_e32 v70, vcc, s74, v70
	v_addc_co_u32_e32 v71, vcc, v73, v71, vcc
	global_store_dwordx2 v[70:71], v[64:65], off
	s_or_b64 exec, exec, s[64:65]
	v_cmp_lt_u32_e64 s[64:65], v30, v182
	s_and_saveexec_b64 s[66:67], s[64:65]
	s_cbranch_execnz .LBB736_789
.LBB736_804:                            ;   in Loop: Header=BB736_696 Depth=2
	s_or_b64 exec, exec, s[66:67]
	v_cmp_lt_u32_e64 s[66:67], v32, v182
	s_and_saveexec_b64 s[92:93], s[66:67]
	s_cbranch_execz .LBB736_806
.LBB736_805:                            ;   in Loop: Header=BB736_696 Depth=2
	ds_read_b64 v[64:65], v104 offset:30720
	v_mov_b32_e32 v73, s75
	s_waitcnt lgkmcnt(0)
	v_lshrrev_b64 v[70:71], s84, v[64:65]
	v_and_b32_e32 v69, s68, v70
	v_lshlrev_b32_e32 v69, 2, v69
	ds_read_b32 v69, v69
	v_mov_b32_e32 v71, v4
	v_xor_b32_e32 v65, 0x7fffffff, v65
	v_not_b32_e32 v64, v64
	s_waitcnt lgkmcnt(0)
	v_add_u32_e32 v70, v69, v32
	v_lshlrev_b64 v[70:71], 3, v[70:71]
	v_add_co_u32_e32 v70, vcc, s74, v70
	v_addc_co_u32_e32 v71, vcc, v73, v71, vcc
	global_store_dwordx2 v[70:71], v[64:65], off
.LBB736_806:                            ;   in Loop: Header=BB736_696 Depth=2
	s_or_b64 exec, exec, s[92:93]
	s_mov_b32 s79, s88
	s_lshl_b64 s[78:79], s[78:79], 3
	v_mov_b32_e32 v65, s79
	v_add_co_u32_e32 v64, vcc, s78, v159
	v_addc_co_u32_e32 v65, vcc, v160, v65, vcc
	v_cmp_lt_u32_e32 vcc, v142, v182
	s_and_saveexec_b64 s[78:79], vcc
	s_xor_b64 s[78:79], exec, s[78:79]
	s_cbranch_execz .LBB736_838
; %bb.807:                              ;   in Loop: Header=BB736_696 Depth=2
	global_load_dwordx2 v[62:63], v[64:65], off
	s_or_b64 exec, exec, s[78:79]
	v_cmp_lt_u32_e32 vcc, v143, v182
	s_and_saveexec_b64 s[78:79], vcc
	s_cbranch_execnz .LBB736_839
.LBB736_808:                            ;   in Loop: Header=BB736_696 Depth=2
	s_or_b64 exec, exec, s[78:79]
	v_cmp_lt_u32_e32 vcc, v144, v182
	s_and_saveexec_b64 s[78:79], vcc
	s_cbranch_execz .LBB736_840
.LBB736_809:                            ;   in Loop: Header=BB736_696 Depth=2
	global_load_dwordx2 v[58:59], v[64:65], off offset:1024
	s_or_b64 exec, exec, s[78:79]
	v_cmp_lt_u32_e32 vcc, v145, v182
	s_and_saveexec_b64 s[78:79], vcc
	s_cbranch_execnz .LBB736_841
.LBB736_810:                            ;   in Loop: Header=BB736_696 Depth=2
	s_or_b64 exec, exec, s[78:79]
	v_cmp_lt_u32_e32 vcc, v146, v182
	s_and_saveexec_b64 s[78:79], vcc
	s_cbranch_execz .LBB736_842
.LBB736_811:                            ;   in Loop: Header=BB736_696 Depth=2
	global_load_dwordx2 v[50:51], v[64:65], off offset:2048
	s_or_b64 exec, exec, s[78:79]
	v_cmp_lt_u32_e32 vcc, v147, v182
	s_and_saveexec_b64 s[78:79], vcc
	s_cbranch_execnz .LBB736_843
.LBB736_812:                            ;   in Loop: Header=BB736_696 Depth=2
	s_or_b64 exec, exec, s[78:79]
	v_cmp_lt_u32_e32 vcc, v148, v182
	s_and_saveexec_b64 s[78:79], vcc
	s_cbranch_execz .LBB736_844
.LBB736_813:                            ;   in Loop: Header=BB736_696 Depth=2
	global_load_dwordx2 v[42:43], v[64:65], off offset:3072
	s_or_b64 exec, exec, s[78:79]
	v_cmp_lt_u32_e32 vcc, v149, v182
	s_and_saveexec_b64 s[78:79], vcc
	s_cbranch_execnz .LBB736_845
.LBB736_814:                            ;   in Loop: Header=BB736_696 Depth=2
	s_or_b64 exec, exec, s[78:79]
	v_cmp_lt_u32_e32 vcc, v150, v182
	s_and_saveexec_b64 s[78:79], vcc
	s_cbranch_execz .LBB736_846
.LBB736_815:                            ;   in Loop: Header=BB736_696 Depth=2
	v_add_co_u32_e32 v56, vcc, 0x1000, v64
	v_addc_co_u32_e32 v57, vcc, 0, v65, vcc
	global_load_dwordx2 v[56:57], v[56:57], off
	s_or_b64 exec, exec, s[78:79]
	v_cmp_lt_u32_e32 vcc, v151, v182
	s_and_saveexec_b64 s[78:79], vcc
	s_cbranch_execnz .LBB736_847
.LBB736_816:                            ;   in Loop: Header=BB736_696 Depth=2
	s_or_b64 exec, exec, s[78:79]
	v_cmp_lt_u32_e32 vcc, v152, v182
	s_and_saveexec_b64 s[78:79], vcc
	s_cbranch_execz .LBB736_848
.LBB736_817:                            ;   in Loop: Header=BB736_696 Depth=2
	v_add_co_u32_e32 v48, vcc, 0x1000, v64
	v_addc_co_u32_e32 v49, vcc, 0, v65, vcc
	global_load_dwordx2 v[48:49], v[48:49], off offset:1024
	s_or_b64 exec, exec, s[78:79]
	v_cmp_lt_u32_e32 vcc, v153, v182
	s_and_saveexec_b64 s[78:79], vcc
	s_cbranch_execnz .LBB736_849
.LBB736_818:                            ;   in Loop: Header=BB736_696 Depth=2
	s_or_b64 exec, exec, s[78:79]
	v_cmp_lt_u32_e32 vcc, v154, v182
	s_and_saveexec_b64 s[78:79], vcc
	s_cbranch_execz .LBB736_850
.LBB736_819:                            ;   in Loop: Header=BB736_696 Depth=2
	v_add_co_u32_e32 v40, vcc, 0x1000, v64
	v_addc_co_u32_e32 v41, vcc, 0, v65, vcc
	global_load_dwordx2 v[40:41], v[40:41], off offset:2048
	s_or_b64 exec, exec, s[78:79]
	v_cmp_lt_u32_e32 vcc, v155, v182
	s_and_saveexec_b64 s[78:79], vcc
	s_cbranch_execnz .LBB736_851
.LBB736_820:                            ;   in Loop: Header=BB736_696 Depth=2
	s_or_b64 exec, exec, s[78:79]
	v_cmp_lt_u32_e32 vcc, v156, v182
	s_and_saveexec_b64 s[78:79], vcc
	s_cbranch_execz .LBB736_852
.LBB736_821:                            ;   in Loop: Header=BB736_696 Depth=2
	v_add_co_u32_e32 v34, vcc, 0x1000, v64
	v_addc_co_u32_e32 v35, vcc, 0, v65, vcc
	global_load_dwordx2 v[34:35], v[34:35], off offset:3072
	s_or_b64 exec, exec, s[78:79]
	v_cmp_lt_u32_e32 vcc, v157, v182
	s_and_saveexec_b64 s[78:79], vcc
	s_cbranch_execnz .LBB736_853
.LBB736_822:                            ;   in Loop: Header=BB736_696 Depth=2
	s_or_b64 exec, exec, s[78:79]
	s_and_saveexec_b64 s[78:79], s[36:37]
	s_cbranch_execz .LBB736_854
.LBB736_823:                            ;   in Loop: Header=BB736_696 Depth=2
	v_add_u32_e32 v64, v33, v3
	ds_read_b64 v[64:65], v64 offset:1024
	s_waitcnt lgkmcnt(0)
	v_lshrrev_b64 v[64:65], s84, v[64:65]
	v_and_b32_e32 v180, s68, v64
	s_or_b64 exec, exec, s[78:79]
	s_and_saveexec_b64 s[78:79], s[38:39]
	s_cbranch_execnz .LBB736_855
.LBB736_824:                            ;   in Loop: Header=BB736_696 Depth=2
	s_or_b64 exec, exec, s[78:79]
	s_and_saveexec_b64 s[78:79], s[40:41]
	s_cbranch_execz .LBB736_856
.LBB736_825:                            ;   in Loop: Header=BB736_696 Depth=2
	ds_read_b64 v[64:65], v104 offset:4096
	s_waitcnt lgkmcnt(0)
	v_lshrrev_b64 v[64:65], s84, v[64:65]
	v_and_b32_e32 v177, s68, v64
	s_or_b64 exec, exec, s[78:79]
	s_and_saveexec_b64 s[78:79], s[42:43]
	s_cbranch_execnz .LBB736_857
.LBB736_826:                            ;   in Loop: Header=BB736_696 Depth=2
	s_or_b64 exec, exec, s[78:79]
	s_and_saveexec_b64 s[78:79], s[44:45]
	s_cbranch_execz .LBB736_858
.LBB736_827:                            ;   in Loop: Header=BB736_696 Depth=2
	ds_read_b64 v[64:65], v104 offset:8192
	s_waitcnt lgkmcnt(0)
	v_lshrrev_b64 v[64:65], s84, v[64:65]
	v_and_b32_e32 v174, s68, v64
	s_or_b64 exec, exec, s[78:79]
	s_and_saveexec_b64 s[78:79], s[46:47]
	s_cbranch_execnz .LBB736_859
.LBB736_828:                            ;   in Loop: Header=BB736_696 Depth=2
	s_or_b64 exec, exec, s[78:79]
	s_and_saveexec_b64 s[78:79], s[48:49]
	s_cbranch_execz .LBB736_860
.LBB736_829:                            ;   in Loop: Header=BB736_696 Depth=2
	ds_read_b64 v[64:65], v104 offset:12288
	s_waitcnt lgkmcnt(0)
	v_lshrrev_b64 v[64:65], s84, v[64:65]
	v_and_b32_e32 v172, s68, v64
	s_or_b64 exec, exec, s[78:79]
	s_and_saveexec_b64 s[78:79], s[50:51]
	s_cbranch_execnz .LBB736_861
.LBB736_830:                            ;   in Loop: Header=BB736_696 Depth=2
	s_or_b64 exec, exec, s[78:79]
	s_and_saveexec_b64 s[78:79], s[52:53]
	s_cbranch_execz .LBB736_862
.LBB736_831:                            ;   in Loop: Header=BB736_696 Depth=2
	ds_read_b64 v[64:65], v104 offset:16384
	s_waitcnt lgkmcnt(0)
	v_lshrrev_b64 v[64:65], s84, v[64:65]
	v_and_b32_e32 v170, s68, v64
	s_or_b64 exec, exec, s[78:79]
	s_and_saveexec_b64 s[78:79], s[54:55]
	s_cbranch_execnz .LBB736_863
.LBB736_832:                            ;   in Loop: Header=BB736_696 Depth=2
	s_or_b64 exec, exec, s[78:79]
	s_and_saveexec_b64 s[78:79], s[56:57]
	s_cbranch_execz .LBB736_864
.LBB736_833:                            ;   in Loop: Header=BB736_696 Depth=2
	ds_read_b64 v[64:65], v104 offset:20480
	s_waitcnt lgkmcnt(0)
	v_lshrrev_b64 v[64:65], s84, v[64:65]
	v_and_b32_e32 v168, s68, v64
	s_or_b64 exec, exec, s[78:79]
	s_and_saveexec_b64 s[78:79], s[58:59]
	s_cbranch_execnz .LBB736_865
.LBB736_834:                            ;   in Loop: Header=BB736_696 Depth=2
	s_or_b64 exec, exec, s[78:79]
	s_and_saveexec_b64 s[78:79], s[60:61]
	s_cbranch_execz .LBB736_866
.LBB736_835:                            ;   in Loop: Header=BB736_696 Depth=2
	ds_read_b64 v[64:65], v104 offset:24576
	s_waitcnt lgkmcnt(0)
	v_lshrrev_b64 v[64:65], s84, v[64:65]
	v_and_b32_e32 v166, s68, v64
	s_or_b64 exec, exec, s[78:79]
	s_and_saveexec_b64 s[78:79], s[62:63]
	s_cbranch_execnz .LBB736_867
.LBB736_836:                            ;   in Loop: Header=BB736_696 Depth=2
	s_or_b64 exec, exec, s[78:79]
	s_and_saveexec_b64 s[78:79], s[64:65]
	s_cbranch_execz .LBB736_868
.LBB736_837:                            ;   in Loop: Header=BB736_696 Depth=2
	ds_read_b64 v[64:65], v104 offset:28672
	s_waitcnt lgkmcnt(0)
	v_lshrrev_b64 v[64:65], s84, v[64:65]
	v_and_b32_e32 v164, s68, v64
	s_or_b64 exec, exec, s[78:79]
	s_and_saveexec_b64 s[78:79], s[66:67]
	s_cbranch_execnz .LBB736_869
	s_branch .LBB736_870
.LBB736_838:                            ;   in Loop: Header=BB736_696 Depth=2
	s_or_b64 exec, exec, s[78:79]
	v_cmp_lt_u32_e32 vcc, v143, v182
	s_and_saveexec_b64 s[78:79], vcc
	s_cbranch_execz .LBB736_808
.LBB736_839:                            ;   in Loop: Header=BB736_696 Depth=2
	global_load_dwordx2 v[60:61], v[64:65], off offset:512
	s_or_b64 exec, exec, s[78:79]
	v_cmp_lt_u32_e32 vcc, v144, v182
	s_and_saveexec_b64 s[78:79], vcc
	s_cbranch_execnz .LBB736_809
.LBB736_840:                            ;   in Loop: Header=BB736_696 Depth=2
	s_or_b64 exec, exec, s[78:79]
	v_cmp_lt_u32_e32 vcc, v145, v182
	s_and_saveexec_b64 s[78:79], vcc
	s_cbranch_execz .LBB736_810
.LBB736_841:                            ;   in Loop: Header=BB736_696 Depth=2
	global_load_dwordx2 v[54:55], v[64:65], off offset:1536
	s_or_b64 exec, exec, s[78:79]
	v_cmp_lt_u32_e32 vcc, v146, v182
	s_and_saveexec_b64 s[78:79], vcc
	s_cbranch_execnz .LBB736_811
.LBB736_842:                            ;   in Loop: Header=BB736_696 Depth=2
	s_or_b64 exec, exec, s[78:79]
	v_cmp_lt_u32_e32 vcc, v147, v182
	s_and_saveexec_b64 s[78:79], vcc
	s_cbranch_execz .LBB736_812
.LBB736_843:                            ;   in Loop: Header=BB736_696 Depth=2
	global_load_dwordx2 v[46:47], v[64:65], off offset:2560
	s_or_b64 exec, exec, s[78:79]
	v_cmp_lt_u32_e32 vcc, v148, v182
	s_and_saveexec_b64 s[78:79], vcc
	s_cbranch_execnz .LBB736_813
.LBB736_844:                            ;   in Loop: Header=BB736_696 Depth=2
	s_or_b64 exec, exec, s[78:79]
	v_cmp_lt_u32_e32 vcc, v149, v182
	s_and_saveexec_b64 s[78:79], vcc
	s_cbranch_execz .LBB736_814
.LBB736_845:                            ;   in Loop: Header=BB736_696 Depth=2
	global_load_dwordx2 v[38:39], v[64:65], off offset:3584
	s_or_b64 exec, exec, s[78:79]
	v_cmp_lt_u32_e32 vcc, v150, v182
	s_and_saveexec_b64 s[78:79], vcc
	s_cbranch_execnz .LBB736_815
.LBB736_846:                            ;   in Loop: Header=BB736_696 Depth=2
	s_or_b64 exec, exec, s[78:79]
	v_cmp_lt_u32_e32 vcc, v151, v182
	s_and_saveexec_b64 s[78:79], vcc
	s_cbranch_execz .LBB736_816
.LBB736_847:                            ;   in Loop: Header=BB736_696 Depth=2
	v_add_co_u32_e32 v52, vcc, 0x1000, v64
	v_addc_co_u32_e32 v53, vcc, 0, v65, vcc
	global_load_dwordx2 v[52:53], v[52:53], off offset:512
	s_or_b64 exec, exec, s[78:79]
	v_cmp_lt_u32_e32 vcc, v152, v182
	s_and_saveexec_b64 s[78:79], vcc
	s_cbranch_execnz .LBB736_817
.LBB736_848:                            ;   in Loop: Header=BB736_696 Depth=2
	s_or_b64 exec, exec, s[78:79]
	v_cmp_lt_u32_e32 vcc, v153, v182
	s_and_saveexec_b64 s[78:79], vcc
	s_cbranch_execz .LBB736_818
.LBB736_849:                            ;   in Loop: Header=BB736_696 Depth=2
	v_add_co_u32_e32 v44, vcc, 0x1000, v64
	v_addc_co_u32_e32 v45, vcc, 0, v65, vcc
	global_load_dwordx2 v[44:45], v[44:45], off offset:1536
	s_or_b64 exec, exec, s[78:79]
	v_cmp_lt_u32_e32 vcc, v154, v182
	s_and_saveexec_b64 s[78:79], vcc
	s_cbranch_execnz .LBB736_819
.LBB736_850:                            ;   in Loop: Header=BB736_696 Depth=2
	s_or_b64 exec, exec, s[78:79]
	v_cmp_lt_u32_e32 vcc, v155, v182
	s_and_saveexec_b64 s[78:79], vcc
	s_cbranch_execz .LBB736_820
.LBB736_851:                            ;   in Loop: Header=BB736_696 Depth=2
	v_add_co_u32_e32 v36, vcc, 0x1000, v64
	v_addc_co_u32_e32 v37, vcc, 0, v65, vcc
	global_load_dwordx2 v[36:37], v[36:37], off offset:2560
	s_or_b64 exec, exec, s[78:79]
	v_cmp_lt_u32_e32 vcc, v156, v182
	s_and_saveexec_b64 s[78:79], vcc
	s_cbranch_execnz .LBB736_821
.LBB736_852:                            ;   in Loop: Header=BB736_696 Depth=2
	s_or_b64 exec, exec, s[78:79]
	v_cmp_lt_u32_e32 vcc, v157, v182
	s_and_saveexec_b64 s[78:79], vcc
	s_cbranch_execz .LBB736_822
.LBB736_853:                            ;   in Loop: Header=BB736_696 Depth=2
	v_add_co_u32_e32 v0, vcc, 0x1000, v64
	v_addc_co_u32_e32 v1, vcc, 0, v65, vcc
	global_load_dwordx2 v[0:1], v[0:1], off offset:3584
	s_or_b64 exec, exec, s[78:79]
	s_and_saveexec_b64 s[78:79], s[36:37]
	s_cbranch_execnz .LBB736_823
.LBB736_854:                            ;   in Loop: Header=BB736_696 Depth=2
	s_or_b64 exec, exec, s[78:79]
	s_and_saveexec_b64 s[78:79], s[38:39]
	s_cbranch_execz .LBB736_824
.LBB736_855:                            ;   in Loop: Header=BB736_696 Depth=2
	ds_read_b64 v[64:65], v104 offset:2048
	s_waitcnt lgkmcnt(0)
	v_lshrrev_b64 v[64:65], s84, v[64:65]
	v_and_b32_e32 v178, s68, v64
	s_or_b64 exec, exec, s[78:79]
	s_and_saveexec_b64 s[78:79], s[40:41]
	s_cbranch_execnz .LBB736_825
.LBB736_856:                            ;   in Loop: Header=BB736_696 Depth=2
	s_or_b64 exec, exec, s[78:79]
	s_and_saveexec_b64 s[78:79], s[42:43]
	s_cbranch_execz .LBB736_826
.LBB736_857:                            ;   in Loop: Header=BB736_696 Depth=2
	ds_read_b64 v[64:65], v104 offset:6144
	s_waitcnt lgkmcnt(0)
	v_lshrrev_b64 v[64:65], s84, v[64:65]
	v_and_b32_e32 v175, s68, v64
	s_or_b64 exec, exec, s[78:79]
	s_and_saveexec_b64 s[78:79], s[44:45]
	s_cbranch_execnz .LBB736_827
.LBB736_858:                            ;   in Loop: Header=BB736_696 Depth=2
	s_or_b64 exec, exec, s[78:79]
	s_and_saveexec_b64 s[78:79], s[46:47]
	s_cbranch_execz .LBB736_828
.LBB736_859:                            ;   in Loop: Header=BB736_696 Depth=2
	ds_read_b64 v[64:65], v104 offset:10240
	s_waitcnt lgkmcnt(0)
	v_lshrrev_b64 v[64:65], s84, v[64:65]
	v_and_b32_e32 v173, s68, v64
	s_or_b64 exec, exec, s[78:79]
	s_and_saveexec_b64 s[78:79], s[48:49]
	s_cbranch_execnz .LBB736_829
.LBB736_860:                            ;   in Loop: Header=BB736_696 Depth=2
	s_or_b64 exec, exec, s[78:79]
	s_and_saveexec_b64 s[78:79], s[50:51]
	s_cbranch_execz .LBB736_830
.LBB736_861:                            ;   in Loop: Header=BB736_696 Depth=2
	ds_read_b64 v[64:65], v104 offset:14336
	s_waitcnt lgkmcnt(0)
	v_lshrrev_b64 v[64:65], s84, v[64:65]
	v_and_b32_e32 v171, s68, v64
	s_or_b64 exec, exec, s[78:79]
	s_and_saveexec_b64 s[78:79], s[52:53]
	s_cbranch_execnz .LBB736_831
.LBB736_862:                            ;   in Loop: Header=BB736_696 Depth=2
	s_or_b64 exec, exec, s[78:79]
	s_and_saveexec_b64 s[78:79], s[54:55]
	s_cbranch_execz .LBB736_832
.LBB736_863:                            ;   in Loop: Header=BB736_696 Depth=2
	ds_read_b64 v[64:65], v104 offset:18432
	s_waitcnt lgkmcnt(0)
	v_lshrrev_b64 v[64:65], s84, v[64:65]
	v_and_b32_e32 v169, s68, v64
	s_or_b64 exec, exec, s[78:79]
	s_and_saveexec_b64 s[78:79], s[56:57]
	s_cbranch_execnz .LBB736_833
.LBB736_864:                            ;   in Loop: Header=BB736_696 Depth=2
	s_or_b64 exec, exec, s[78:79]
	s_and_saveexec_b64 s[78:79], s[58:59]
	s_cbranch_execz .LBB736_834
.LBB736_865:                            ;   in Loop: Header=BB736_696 Depth=2
	ds_read_b64 v[64:65], v104 offset:22528
	s_waitcnt lgkmcnt(0)
	v_lshrrev_b64 v[64:65], s84, v[64:65]
	v_and_b32_e32 v167, s68, v64
	s_or_b64 exec, exec, s[78:79]
	s_and_saveexec_b64 s[78:79], s[60:61]
	s_cbranch_execnz .LBB736_835
.LBB736_866:                            ;   in Loop: Header=BB736_696 Depth=2
	s_or_b64 exec, exec, s[78:79]
	s_and_saveexec_b64 s[78:79], s[62:63]
	s_cbranch_execz .LBB736_836
.LBB736_867:                            ;   in Loop: Header=BB736_696 Depth=2
	ds_read_b64 v[64:65], v104 offset:26624
	s_waitcnt lgkmcnt(0)
	v_lshrrev_b64 v[64:65], s84, v[64:65]
	v_and_b32_e32 v165, s68, v64
	s_or_b64 exec, exec, s[78:79]
	s_and_saveexec_b64 s[78:79], s[64:65]
	s_cbranch_execnz .LBB736_837
.LBB736_868:                            ;   in Loop: Header=BB736_696 Depth=2
	s_or_b64 exec, exec, s[78:79]
	s_and_saveexec_b64 s[78:79], s[66:67]
	s_cbranch_execz .LBB736_870
.LBB736_869:                            ;   in Loop: Header=BB736_696 Depth=2
	ds_read_b64 v[64:65], v104 offset:30720
	s_waitcnt lgkmcnt(0)
	v_lshrrev_b64 v[64:65], s84, v[64:65]
	v_and_b32_e32 v163, s68, v64
.LBB736_870:                            ;   in Loop: Header=BB736_696 Depth=2
	s_or_b64 exec, exec, s[78:79]
	v_add_u32_e32 v64, 0x400, v96
	v_add_u32_e32 v65, 0x400, v97
	;; [unrolled: 1-line block ×16, first 2 shown]
	s_barrier
	s_waitcnt vmcnt(0)
	ds_write_b64 v64, v[62:63]
	ds_write_b64 v65, v[60:61]
	;; [unrolled: 1-line block ×16, first 2 shown]
	s_waitcnt lgkmcnt(0)
	s_barrier
	s_and_saveexec_b64 s[78:79], s[36:37]
	s_cbranch_execz .LBB736_886
; %bb.871:                              ;   in Loop: Header=BB736_696 Depth=2
	v_lshlrev_b32_e32 v64, 2, v180
	ds_read_b32 v66, v64
	v_add_u32_e32 v64, v33, v3
	ds_read_b64 v[64:65], v64 offset:1024
	v_mov_b32_e32 v67, v4
	v_mov_b32_e32 v68, s81
	s_waitcnt lgkmcnt(1)
	v_add_u32_e32 v66, v66, v2
	v_lshlrev_b64 v[66:67], 3, v[66:67]
	v_add_co_u32_e32 v66, vcc, s80, v66
	v_addc_co_u32_e32 v67, vcc, v68, v67, vcc
	s_waitcnt lgkmcnt(0)
	global_store_dwordx2 v[66:67], v[64:65], off
	s_or_b64 exec, exec, s[78:79]
	s_and_saveexec_b64 s[36:37], s[38:39]
	s_cbranch_execnz .LBB736_887
.LBB736_872:                            ;   in Loop: Header=BB736_696 Depth=2
	s_or_b64 exec, exec, s[36:37]
	s_and_saveexec_b64 s[36:37], s[40:41]
	s_cbranch_execz .LBB736_888
.LBB736_873:                            ;   in Loop: Header=BB736_696 Depth=2
	v_lshlrev_b32_e32 v64, 2, v177
	ds_read_b32 v66, v64
	ds_read_b64 v[64:65], v104 offset:4096
	v_mov_b32_e32 v67, v4
	v_mov_b32_e32 v68, s81
	s_waitcnt lgkmcnt(1)
	v_add_u32_e32 v66, v66, v6
	v_lshlrev_b64 v[66:67], 3, v[66:67]
	v_add_co_u32_e32 v66, vcc, s80, v66
	v_addc_co_u32_e32 v67, vcc, v68, v67, vcc
	s_waitcnt lgkmcnt(0)
	global_store_dwordx2 v[66:67], v[64:65], off
	s_or_b64 exec, exec, s[36:37]
	s_and_saveexec_b64 s[36:37], s[42:43]
	s_cbranch_execnz .LBB736_889
.LBB736_874:                            ;   in Loop: Header=BB736_696 Depth=2
	s_or_b64 exec, exec, s[36:37]
	s_and_saveexec_b64 s[36:37], s[44:45]
	s_cbranch_execz .LBB736_890
.LBB736_875:                            ;   in Loop: Header=BB736_696 Depth=2
	v_lshlrev_b32_e32 v64, 2, v174
	ds_read_b32 v66, v64
	ds_read_b64 v[64:65], v104 offset:8192
	v_mov_b32_e32 v67, v4
	v_mov_b32_e32 v68, s81
	s_waitcnt lgkmcnt(1)
	v_add_u32_e32 v66, v66, v10
	v_lshlrev_b64 v[66:67], 3, v[66:67]
	v_add_co_u32_e32 v66, vcc, s80, v66
	v_addc_co_u32_e32 v67, vcc, v68, v67, vcc
	s_waitcnt lgkmcnt(0)
	global_store_dwordx2 v[66:67], v[64:65], off
	s_or_b64 exec, exec, s[36:37]
	s_and_saveexec_b64 s[36:37], s[46:47]
	s_cbranch_execnz .LBB736_891
.LBB736_876:                            ;   in Loop: Header=BB736_696 Depth=2
	s_or_b64 exec, exec, s[36:37]
	s_and_saveexec_b64 s[36:37], s[48:49]
	s_cbranch_execz .LBB736_892
.LBB736_877:                            ;   in Loop: Header=BB736_696 Depth=2
	v_lshlrev_b32_e32 v64, 2, v172
	ds_read_b32 v66, v64
	ds_read_b64 v[64:65], v104 offset:12288
	v_mov_b32_e32 v67, v4
	v_mov_b32_e32 v68, s81
	s_waitcnt lgkmcnt(1)
	v_add_u32_e32 v66, v66, v14
	v_lshlrev_b64 v[66:67], 3, v[66:67]
	v_add_co_u32_e32 v66, vcc, s80, v66
	v_addc_co_u32_e32 v67, vcc, v68, v67, vcc
	s_waitcnt lgkmcnt(0)
	global_store_dwordx2 v[66:67], v[64:65], off
	s_or_b64 exec, exec, s[36:37]
	s_and_saveexec_b64 s[36:37], s[50:51]
	s_cbranch_execnz .LBB736_893
.LBB736_878:                            ;   in Loop: Header=BB736_696 Depth=2
	s_or_b64 exec, exec, s[36:37]
	s_and_saveexec_b64 s[36:37], s[52:53]
	s_cbranch_execz .LBB736_894
.LBB736_879:                            ;   in Loop: Header=BB736_696 Depth=2
	v_lshlrev_b32_e32 v64, 2, v170
	ds_read_b32 v66, v64
	ds_read_b64 v[64:65], v104 offset:16384
	v_mov_b32_e32 v67, v4
	v_mov_b32_e32 v68, s81
	s_waitcnt lgkmcnt(1)
	v_add_u32_e32 v66, v66, v18
	v_lshlrev_b64 v[66:67], 3, v[66:67]
	v_add_co_u32_e32 v66, vcc, s80, v66
	v_addc_co_u32_e32 v67, vcc, v68, v67, vcc
	s_waitcnt lgkmcnt(0)
	global_store_dwordx2 v[66:67], v[64:65], off
	s_or_b64 exec, exec, s[36:37]
	s_and_saveexec_b64 s[36:37], s[54:55]
	s_cbranch_execnz .LBB736_895
.LBB736_880:                            ;   in Loop: Header=BB736_696 Depth=2
	s_or_b64 exec, exec, s[36:37]
	s_and_saveexec_b64 s[36:37], s[56:57]
	s_cbranch_execz .LBB736_896
.LBB736_881:                            ;   in Loop: Header=BB736_696 Depth=2
	v_lshlrev_b32_e32 v64, 2, v168
	ds_read_b32 v66, v64
	ds_read_b64 v[64:65], v104 offset:20480
	v_mov_b32_e32 v67, v4
	v_mov_b32_e32 v68, s81
	s_waitcnt lgkmcnt(1)
	v_add_u32_e32 v66, v66, v22
	v_lshlrev_b64 v[66:67], 3, v[66:67]
	v_add_co_u32_e32 v66, vcc, s80, v66
	v_addc_co_u32_e32 v67, vcc, v68, v67, vcc
	s_waitcnt lgkmcnt(0)
	global_store_dwordx2 v[66:67], v[64:65], off
	s_or_b64 exec, exec, s[36:37]
	s_and_saveexec_b64 s[36:37], s[58:59]
	s_cbranch_execnz .LBB736_897
.LBB736_882:                            ;   in Loop: Header=BB736_696 Depth=2
	s_or_b64 exec, exec, s[36:37]
	s_and_saveexec_b64 s[36:37], s[60:61]
	s_cbranch_execz .LBB736_898
.LBB736_883:                            ;   in Loop: Header=BB736_696 Depth=2
	v_lshlrev_b32_e32 v64, 2, v166
	ds_read_b32 v66, v64
	ds_read_b64 v[64:65], v104 offset:24576
	v_mov_b32_e32 v67, v4
	v_mov_b32_e32 v68, s81
	s_waitcnt lgkmcnt(1)
	v_add_u32_e32 v66, v66, v26
	v_lshlrev_b64 v[66:67], 3, v[66:67]
	v_add_co_u32_e32 v66, vcc, s80, v66
	v_addc_co_u32_e32 v67, vcc, v68, v67, vcc
	s_waitcnt lgkmcnt(0)
	global_store_dwordx2 v[66:67], v[64:65], off
	s_or_b64 exec, exec, s[36:37]
	s_and_saveexec_b64 s[36:37], s[62:63]
	s_cbranch_execnz .LBB736_899
.LBB736_884:                            ;   in Loop: Header=BB736_696 Depth=2
	s_or_b64 exec, exec, s[36:37]
	s_and_saveexec_b64 s[36:37], s[64:65]
	s_cbranch_execz .LBB736_900
.LBB736_885:                            ;   in Loop: Header=BB736_696 Depth=2
	v_lshlrev_b32_e32 v64, 2, v164
	ds_read_b32 v66, v64
	ds_read_b64 v[64:65], v104 offset:28672
	v_mov_b32_e32 v67, v4
	v_mov_b32_e32 v68, s81
	s_waitcnt lgkmcnt(1)
	v_add_u32_e32 v66, v66, v30
	v_lshlrev_b64 v[66:67], 3, v[66:67]
	v_add_co_u32_e32 v66, vcc, s80, v66
	v_addc_co_u32_e32 v67, vcc, v68, v67, vcc
	s_waitcnt lgkmcnt(0)
	global_store_dwordx2 v[66:67], v[64:65], off
	s_or_b64 exec, exec, s[36:37]
	s_and_saveexec_b64 s[36:37], s[66:67]
	s_cbranch_execnz .LBB736_901
	s_branch .LBB736_902
.LBB736_886:                            ;   in Loop: Header=BB736_696 Depth=2
	s_or_b64 exec, exec, s[78:79]
	s_and_saveexec_b64 s[36:37], s[38:39]
	s_cbranch_execz .LBB736_872
.LBB736_887:                            ;   in Loop: Header=BB736_696 Depth=2
	v_lshlrev_b32_e32 v64, 2, v178
	ds_read_b32 v66, v64
	ds_read_b64 v[64:65], v104 offset:2048
	v_mov_b32_e32 v67, v4
	v_mov_b32_e32 v68, s81
	s_waitcnt lgkmcnt(1)
	v_add_u32_e32 v66, v66, v7
	v_lshlrev_b64 v[66:67], 3, v[66:67]
	v_add_co_u32_e32 v66, vcc, s80, v66
	v_addc_co_u32_e32 v67, vcc, v68, v67, vcc
	s_waitcnt lgkmcnt(0)
	global_store_dwordx2 v[66:67], v[64:65], off
	s_or_b64 exec, exec, s[36:37]
	s_and_saveexec_b64 s[36:37], s[40:41]
	s_cbranch_execnz .LBB736_873
.LBB736_888:                            ;   in Loop: Header=BB736_696 Depth=2
	s_or_b64 exec, exec, s[36:37]
	s_and_saveexec_b64 s[36:37], s[42:43]
	s_cbranch_execz .LBB736_874
.LBB736_889:                            ;   in Loop: Header=BB736_696 Depth=2
	v_lshlrev_b32_e32 v64, 2, v175
	ds_read_b32 v66, v64
	ds_read_b64 v[64:65], v104 offset:6144
	v_mov_b32_e32 v67, v4
	v_mov_b32_e32 v68, s81
	s_waitcnt lgkmcnt(1)
	v_add_u32_e32 v66, v66, v8
	v_lshlrev_b64 v[66:67], 3, v[66:67]
	v_add_co_u32_e32 v66, vcc, s80, v66
	v_addc_co_u32_e32 v67, vcc, v68, v67, vcc
	s_waitcnt lgkmcnt(0)
	global_store_dwordx2 v[66:67], v[64:65], off
	s_or_b64 exec, exec, s[36:37]
	s_and_saveexec_b64 s[36:37], s[44:45]
	s_cbranch_execnz .LBB736_875
.LBB736_890:                            ;   in Loop: Header=BB736_696 Depth=2
	s_or_b64 exec, exec, s[36:37]
	s_and_saveexec_b64 s[36:37], s[46:47]
	s_cbranch_execz .LBB736_876
.LBB736_891:                            ;   in Loop: Header=BB736_696 Depth=2
	v_lshlrev_b32_e32 v64, 2, v173
	ds_read_b32 v66, v64
	ds_read_b64 v[64:65], v104 offset:10240
	v_mov_b32_e32 v67, v4
	v_mov_b32_e32 v68, s81
	s_waitcnt lgkmcnt(1)
	v_add_u32_e32 v66, v66, v12
	v_lshlrev_b64 v[66:67], 3, v[66:67]
	v_add_co_u32_e32 v66, vcc, s80, v66
	v_addc_co_u32_e32 v67, vcc, v68, v67, vcc
	s_waitcnt lgkmcnt(0)
	global_store_dwordx2 v[66:67], v[64:65], off
	s_or_b64 exec, exec, s[36:37]
	s_and_saveexec_b64 s[36:37], s[48:49]
	s_cbranch_execnz .LBB736_877
.LBB736_892:                            ;   in Loop: Header=BB736_696 Depth=2
	s_or_b64 exec, exec, s[36:37]
	s_and_saveexec_b64 s[36:37], s[50:51]
	s_cbranch_execz .LBB736_878
.LBB736_893:                            ;   in Loop: Header=BB736_696 Depth=2
	v_lshlrev_b32_e32 v64, 2, v171
	ds_read_b32 v66, v64
	ds_read_b64 v[64:65], v104 offset:14336
	v_mov_b32_e32 v67, v4
	v_mov_b32_e32 v68, s81
	s_waitcnt lgkmcnt(1)
	v_add_u32_e32 v66, v66, v16
	v_lshlrev_b64 v[66:67], 3, v[66:67]
	v_add_co_u32_e32 v66, vcc, s80, v66
	v_addc_co_u32_e32 v67, vcc, v68, v67, vcc
	s_waitcnt lgkmcnt(0)
	global_store_dwordx2 v[66:67], v[64:65], off
	s_or_b64 exec, exec, s[36:37]
	s_and_saveexec_b64 s[36:37], s[52:53]
	s_cbranch_execnz .LBB736_879
.LBB736_894:                            ;   in Loop: Header=BB736_696 Depth=2
	s_or_b64 exec, exec, s[36:37]
	s_and_saveexec_b64 s[36:37], s[54:55]
	s_cbranch_execz .LBB736_880
.LBB736_895:                            ;   in Loop: Header=BB736_696 Depth=2
	v_lshlrev_b32_e32 v64, 2, v169
	ds_read_b32 v66, v64
	ds_read_b64 v[64:65], v104 offset:18432
	v_mov_b32_e32 v67, v4
	v_mov_b32_e32 v68, s81
	s_waitcnt lgkmcnt(1)
	v_add_u32_e32 v66, v66, v20
	v_lshlrev_b64 v[66:67], 3, v[66:67]
	v_add_co_u32_e32 v66, vcc, s80, v66
	v_addc_co_u32_e32 v67, vcc, v68, v67, vcc
	s_waitcnt lgkmcnt(0)
	global_store_dwordx2 v[66:67], v[64:65], off
	s_or_b64 exec, exec, s[36:37]
	s_and_saveexec_b64 s[36:37], s[56:57]
	s_cbranch_execnz .LBB736_881
.LBB736_896:                            ;   in Loop: Header=BB736_696 Depth=2
	s_or_b64 exec, exec, s[36:37]
	s_and_saveexec_b64 s[36:37], s[58:59]
	s_cbranch_execz .LBB736_882
.LBB736_897:                            ;   in Loop: Header=BB736_696 Depth=2
	v_lshlrev_b32_e32 v64, 2, v167
	ds_read_b32 v66, v64
	ds_read_b64 v[64:65], v104 offset:22528
	v_mov_b32_e32 v67, v4
	v_mov_b32_e32 v68, s81
	s_waitcnt lgkmcnt(1)
	v_add_u32_e32 v66, v66, v24
	v_lshlrev_b64 v[66:67], 3, v[66:67]
	v_add_co_u32_e32 v66, vcc, s80, v66
	v_addc_co_u32_e32 v67, vcc, v68, v67, vcc
	s_waitcnt lgkmcnt(0)
	global_store_dwordx2 v[66:67], v[64:65], off
	s_or_b64 exec, exec, s[36:37]
	s_and_saveexec_b64 s[36:37], s[60:61]
	s_cbranch_execnz .LBB736_883
.LBB736_898:                            ;   in Loop: Header=BB736_696 Depth=2
	s_or_b64 exec, exec, s[36:37]
	s_and_saveexec_b64 s[36:37], s[62:63]
	s_cbranch_execz .LBB736_884
.LBB736_899:                            ;   in Loop: Header=BB736_696 Depth=2
	v_lshlrev_b32_e32 v64, 2, v165
	ds_read_b32 v66, v64
	ds_read_b64 v[64:65], v104 offset:26624
	v_mov_b32_e32 v67, v4
	v_mov_b32_e32 v68, s81
	s_waitcnt lgkmcnt(1)
	v_add_u32_e32 v66, v66, v28
	v_lshlrev_b64 v[66:67], 3, v[66:67]
	v_add_co_u32_e32 v66, vcc, s80, v66
	v_addc_co_u32_e32 v67, vcc, v68, v67, vcc
	s_waitcnt lgkmcnt(0)
	global_store_dwordx2 v[66:67], v[64:65], off
	s_or_b64 exec, exec, s[36:37]
	s_and_saveexec_b64 s[36:37], s[64:65]
	s_cbranch_execnz .LBB736_885
.LBB736_900:                            ;   in Loop: Header=BB736_696 Depth=2
	s_or_b64 exec, exec, s[36:37]
	s_and_saveexec_b64 s[36:37], s[66:67]
	s_cbranch_execz .LBB736_902
.LBB736_901:                            ;   in Loop: Header=BB736_696 Depth=2
	v_lshlrev_b32_e32 v64, 2, v163
	ds_read_b32 v66, v64
	ds_read_b64 v[64:65], v104 offset:30720
	v_mov_b32_e32 v67, v4
	v_mov_b32_e32 v68, s81
	s_waitcnt lgkmcnt(1)
	v_add_u32_e32 v66, v66, v32
	v_lshlrev_b64 v[66:67], 3, v[66:67]
	v_add_co_u32_e32 v66, vcc, s80, v66
	v_addc_co_u32_e32 v67, vcc, v68, v67, vcc
	s_waitcnt lgkmcnt(0)
	global_store_dwordx2 v[66:67], v[64:65], off
.LBB736_902:                            ;   in Loop: Header=BB736_696 Depth=2
	s_or_b64 exec, exec, s[36:37]
	s_barrier
	s_and_saveexec_b64 s[36:37], s[4:5]
	s_cbranch_execz .LBB736_695
; %bb.903:                              ;   in Loop: Header=BB736_696 Depth=2
	ds_read_b32 v64, v3
	s_waitcnt lgkmcnt(0)
	v_add_u32_e32 v5, v64, v5
	ds_write_b32 v3, v5
	s_branch .LBB736_695
.LBB736_904:                            ;   in Loop: Header=BB736_20 Depth=1
	s_waitcnt lgkmcnt(0)
	s_barrier
	s_mov_b64 s[16:17], 0
	v_readlane_b32 s38, v235, 2
.LBB736_905:                            ;   in Loop: Header=BB736_20 Depth=1
	s_and_b64 vcc, exec, s[16:17]
	s_cbranch_vccz .LBB736_19
; %bb.906:                              ;   in Loop: Header=BB736_20 Depth=1
	s_mov_b32 s24, s85
	s_mov_b32 s18, s38
	s_barrier
	s_waitcnt lgkmcnt(0)
                                        ; implicit-def: $vgpr62_vgpr63
                                        ; implicit-def: $vgpr0_vgpr1
                                        ; implicit-def: $vgpr34_vgpr35
                                        ; implicit-def: $vgpr36_vgpr37
                                        ; implicit-def: $vgpr38_vgpr39
                                        ; implicit-def: $vgpr40_vgpr41
                                        ; implicit-def: $vgpr42_vgpr43
                                        ; implicit-def: $vgpr44_vgpr45
                                        ; implicit-def: $vgpr46_vgpr47
                                        ; implicit-def: $vgpr48_vgpr49
                                        ; implicit-def: $vgpr50_vgpr51
                                        ; implicit-def: $vgpr52_vgpr53
                                        ; implicit-def: $vgpr54_vgpr55
                                        ; implicit-def: $vgpr56_vgpr57
                                        ; implicit-def: $vgpr58_vgpr59
                                        ; implicit-def: $vgpr60_vgpr61
	s_branch .LBB736_908
.LBB736_907:                            ;   in Loop: Header=BB736_908 Depth=2
	s_or_b64 exec, exec, s[16:17]
	s_addk_i32 s24, 0xf000
	s_cmp_ge_u32 s25, s94
	s_mov_b32 s18, s25
	s_cbranch_scc1 .LBB736_978
.LBB736_908:                            ;   Parent Loop BB736_20 Depth=1
                                        ; =>  This Inner Loop Header: Depth=2
	s_add_i32 s25, s18, 0x1000
	s_cmp_gt_u32 s25, s94
	s_cbranch_scc1 .LBB736_911
; %bb.909:                              ;   in Loop: Header=BB736_908 Depth=2
	s_mov_b32 s19, s88
	s_lshl_b64 s[16:17], s[18:19], 3
	v_mov_b32_e32 v5, s17
	v_add_co_u32_e32 v64, vcc, s16, v111
	v_addc_co_u32_e32 v65, vcc, v112, v5, vcc
	s_waitcnt vmcnt(11)
	v_add_co_u32_e32 v72, vcc, 0x1000, v64
	v_addc_co_u32_e32 v73, vcc, 0, v65, vcc
	s_waitcnt vmcnt(5)
	;; [unrolled: 3-line block ×3, first 2 shown]
	v_add_co_u32_e32 v82, vcc, s96, v64
	v_addc_co_u32_e32 v83, vcc, 0, v65, vcc
	v_add_co_u32_e32 v86, vcc, s97, v64
	v_addc_co_u32_e32 v87, vcc, 0, v65, vcc
	;; [unrolled: 2-line block ×4, first 2 shown]
	global_load_dwordx2 v[66:67], v[64:65], off
	global_load_dwordx2 v[68:69], v[64:65], off offset:2048
	global_load_dwordx2 v[70:71], v[72:73], off
	s_nop 0
	global_load_dwordx2 v[72:73], v[72:73], off offset:2048
	s_nop 0
	global_load_dwordx2 v[74:75], v[82:83], off
	global_load_dwordx2 v[76:77], v[82:83], off offset:2048
	global_load_dwordx2 v[80:81], v[88:89], off offset:-4096
	global_load_dwordx2 v[84:85], v[88:89], off
	s_nop 0
	global_load_dwordx2 v[88:89], v[88:89], off offset:2048
	s_nop 0
	global_load_dwordx2 v[78:79], v[78:79], off offset:2048
	;; [unrolled: 2-line block ×3, first 2 shown]
	s_nop 0
	global_load_dwordx2 v[90:91], v[92:93], off
	s_nop 0
	global_load_dwordx2 v[92:93], v[92:93], off offset:2048
	s_waitcnt vmcnt(13)
	v_add_co_u32_e32 v94, vcc, 0x7000, v64
	v_addc_co_u32_e32 v95, vcc, 0, v65, vcc
	global_load_dwordx2 v[82:83], v[82:83], off offset:-4096
	s_nop 0
	global_load_dwordx2 v[94:95], v[94:95], off
	v_add_co_u32_e32 v64, vcc, 0x7800, v64
	s_movk_i32 s26, 0x1000
	v_addc_co_u32_e32 v65, vcc, 0, v65, vcc
	s_mov_b64 s[16:17], -1
	s_cbranch_execz .LBB736_912
; %bb.910:                              ;   in Loop: Header=BB736_908 Depth=2
                                        ; implicit-def: $vgpr60_vgpr61
                                        ; implicit-def: $vgpr58_vgpr59
                                        ; implicit-def: $vgpr56_vgpr57
                                        ; implicit-def: $vgpr54_vgpr55
                                        ; implicit-def: $vgpr52_vgpr53
                                        ; implicit-def: $vgpr50_vgpr51
                                        ; implicit-def: $vgpr48_vgpr49
                                        ; implicit-def: $vgpr46_vgpr47
                                        ; implicit-def: $vgpr44_vgpr45
                                        ; implicit-def: $vgpr42_vgpr43
                                        ; implicit-def: $vgpr40_vgpr41
                                        ; implicit-def: $vgpr38_vgpr39
                                        ; implicit-def: $vgpr36_vgpr37
                                        ; implicit-def: $vgpr34_vgpr35
                                        ; implicit-def: $vgpr0_vgpr1
                                        ; implicit-def: $vgpr62_vgpr63
	v_mov_b32_e32 v5, s24
	s_and_saveexec_b64 s[18:19], s[16:17]
	s_cbranch_execnz .LBB736_931
	s_branch .LBB736_932
.LBB736_911:                            ;   in Loop: Header=BB736_908 Depth=2
	s_mov_b64 s[16:17], 0
                                        ; implicit-def: $sgpr26
                                        ; implicit-def: $vgpr66_vgpr67
                                        ; implicit-def: $vgpr68_vgpr69
                                        ; implicit-def: $vgpr70_vgpr71
                                        ; implicit-def: $vgpr72_vgpr73
                                        ; implicit-def: $vgpr82_vgpr83
                                        ; implicit-def: $vgpr78_vgpr79
                                        ; implicit-def: $vgpr74_vgpr75
                                        ; implicit-def: $vgpr76_vgpr77
                                        ; implicit-def: $vgpr80_vgpr81
                                        ; implicit-def: $vgpr86_vgpr87
                                        ; implicit-def: $vgpr84_vgpr85
                                        ; implicit-def: $vgpr88_vgpr89
                                        ; implicit-def: $vgpr90_vgpr91
                                        ; implicit-def: $vgpr92_vgpr93
                                        ; implicit-def: $vgpr94_vgpr95
                                        ; implicit-def: $vgpr64_vgpr65
.LBB736_912:                            ;   in Loop: Header=BB736_908 Depth=2
	s_mov_b32 s19, s88
	s_lshl_b64 s[20:21], s[18:19], 3
	s_add_u32 s20, s72, s20
	s_addc_u32 s21, s73, s21
	v_cmp_gt_u32_e32 vcc, s24, v2
	s_and_saveexec_b64 s[22:23], vcc
	s_cbranch_execz .LBB736_964
; %bb.913:                              ;   in Loop: Header=BB736_908 Depth=2
	global_load_dwordx2 v[60:61], v118, s[20:21]
	s_or_b64 exec, exec, s[22:23]
	v_cmp_gt_u32_e32 vcc, s24, v7
	s_and_saveexec_b64 s[22:23], vcc
	s_cbranch_execnz .LBB736_965
.LBB736_914:                            ;   in Loop: Header=BB736_908 Depth=2
	s_or_b64 exec, exec, s[22:23]
	v_cmp_gt_u32_e32 vcc, s24, v6
	s_and_saveexec_b64 s[22:23], vcc
	s_cbranch_execz .LBB736_966
.LBB736_915:                            ;   in Loop: Header=BB736_908 Depth=2
	global_load_dwordx2 v[56:57], v119, s[20:21]
	s_or_b64 exec, exec, s[22:23]
	v_cmp_gt_u32_e32 vcc, s24, v8
	s_and_saveexec_b64 s[22:23], vcc
	s_cbranch_execnz .LBB736_967
.LBB736_916:                            ;   in Loop: Header=BB736_908 Depth=2
	s_or_b64 exec, exec, s[22:23]
	v_cmp_gt_u32_e32 vcc, s24, v10
	s_and_saveexec_b64 s[22:23], vcc
	s_cbranch_execz .LBB736_968
.LBB736_917:                            ;   in Loop: Header=BB736_908 Depth=2
	global_load_dwordx2 v[52:53], v121, s[20:21]
	s_or_b64 exec, exec, s[22:23]
	v_cmp_gt_u32_e32 vcc, s24, v12
	s_and_saveexec_b64 s[22:23], vcc
	s_cbranch_execnz .LBB736_969
.LBB736_918:                            ;   in Loop: Header=BB736_908 Depth=2
	s_or_b64 exec, exec, s[22:23]
	v_cmp_gt_u32_e32 vcc, s24, v14
	s_and_saveexec_b64 s[22:23], vcc
	s_cbranch_execz .LBB736_970
.LBB736_919:                            ;   in Loop: Header=BB736_908 Depth=2
	global_load_dwordx2 v[48:49], v123, s[20:21]
	s_or_b64 exec, exec, s[22:23]
	v_cmp_gt_u32_e32 vcc, s24, v16
	s_and_saveexec_b64 s[22:23], vcc
	s_cbranch_execnz .LBB736_971
.LBB736_920:                            ;   in Loop: Header=BB736_908 Depth=2
	s_or_b64 exec, exec, s[22:23]
	v_cmp_gt_u32_e32 vcc, s24, v18
	s_and_saveexec_b64 s[22:23], vcc
	s_cbranch_execz .LBB736_972
.LBB736_921:                            ;   in Loop: Header=BB736_908 Depth=2
	global_load_dwordx2 v[44:45], v125, s[20:21]
	s_or_b64 exec, exec, s[22:23]
	v_cmp_gt_u32_e32 vcc, s24, v20
	s_and_saveexec_b64 s[22:23], vcc
	s_cbranch_execnz .LBB736_973
.LBB736_922:                            ;   in Loop: Header=BB736_908 Depth=2
	s_or_b64 exec, exec, s[22:23]
	v_cmp_gt_u32_e32 vcc, s24, v22
	s_and_saveexec_b64 s[22:23], vcc
	s_cbranch_execz .LBB736_974
.LBB736_923:                            ;   in Loop: Header=BB736_908 Depth=2
	global_load_dwordx2 v[40:41], v127, s[20:21]
	s_or_b64 exec, exec, s[22:23]
	v_cmp_gt_u32_e32 vcc, s24, v24
	s_and_saveexec_b64 s[22:23], vcc
	s_cbranch_execnz .LBB736_975
.LBB736_924:                            ;   in Loop: Header=BB736_908 Depth=2
	s_or_b64 exec, exec, s[22:23]
	v_cmp_gt_u32_e32 vcc, s24, v26
	s_and_saveexec_b64 s[22:23], vcc
	s_cbranch_execz .LBB736_976
.LBB736_925:                            ;   in Loop: Header=BB736_908 Depth=2
	global_load_dwordx2 v[36:37], v129, s[20:21]
	s_or_b64 exec, exec, s[22:23]
	v_cmp_gt_u32_e32 vcc, s24, v28
	s_and_saveexec_b64 s[22:23], vcc
	s_cbranch_execnz .LBB736_977
.LBB736_926:                            ;   in Loop: Header=BB736_908 Depth=2
	s_or_b64 exec, exec, s[22:23]
	v_cmp_gt_u32_e32 vcc, s24, v30
	s_and_saveexec_b64 s[22:23], vcc
	s_cbranch_execz .LBB736_928
.LBB736_927:                            ;   in Loop: Header=BB736_908 Depth=2
	global_load_dwordx2 v[0:1], v131, s[20:21]
.LBB736_928:                            ;   in Loop: Header=BB736_908 Depth=2
	s_or_b64 exec, exec, s[22:23]
	v_cmp_gt_u32_e32 vcc, s24, v32
                                        ; implicit-def: $sgpr26
                                        ; implicit-def: $vgpr64_vgpr65
	s_and_saveexec_b64 s[22:23], vcc
; %bb.929:                              ;   in Loop: Header=BB736_908 Depth=2
	v_mov_b32_e32 v5, s21
	v_add_co_u32_e32 v64, vcc, s20, v132
	s_sub_i32 s26, s94, s18
	v_addc_co_u32_e32 v65, vcc, 0, v5, vcc
	s_or_b64 s[16:17], s[16:17], exec
                                        ; implicit-def: $vgpr62_vgpr63
; %bb.930:                              ;   in Loop: Header=BB736_908 Depth=2
	s_or_b64 exec, exec, s[22:23]
	s_waitcnt vmcnt(0)
	v_pk_mov_b32 v[66:67], v[60:61], v[60:61] op_sel:[0,1]
	v_pk_mov_b32 v[68:69], v[58:59], v[58:59] op_sel:[0,1]
	;; [unrolled: 1-line block ×15, first 2 shown]
	v_mov_b32_e32 v5, s24
	s_and_saveexec_b64 s[18:19], s[16:17]
	s_cbranch_execz .LBB736_932
.LBB736_931:                            ;   in Loop: Header=BB736_908 Depth=2
	global_load_dwordx2 v[62:63], v[64:65], off
	v_mov_b32_e32 v5, s26
	s_waitcnt vmcnt(1)
	v_pk_mov_b32 v[0:1], v[94:95], v[94:95] op_sel:[0,1]
	v_pk_mov_b32 v[34:35], v[92:93], v[92:93] op_sel:[0,1]
	;; [unrolled: 1-line block ×15, first 2 shown]
.LBB736_932:                            ;   in Loop: Header=BB736_908 Depth=2
	s_or_b64 exec, exec, s[18:19]
	v_cmp_lt_u32_e32 vcc, v2, v5
	s_and_saveexec_b64 s[16:17], vcc
	s_cbranch_execz .LBB736_948
; %bb.933:                              ;   in Loop: Header=BB736_908 Depth=2
	v_xor_b32_e32 v65, 0x7fffffff, v61
	v_not_b32_e32 v64, v60
	v_lshrrev_b64 v[64:65], s84, v[64:65]
	v_and_b32_e32 v64, s68, v64
	v_lshl_or_b32 v64, v64, 4, v133
	ds_add_u32 v64, v117
	s_or_b64 exec, exec, s[16:17]
	v_cmp_lt_u32_e32 vcc, v7, v5
	s_and_saveexec_b64 s[16:17], vcc
	s_cbranch_execnz .LBB736_949
.LBB736_934:                            ;   in Loop: Header=BB736_908 Depth=2
	s_or_b64 exec, exec, s[16:17]
	v_cmp_lt_u32_e32 vcc, v6, v5
	s_and_saveexec_b64 s[16:17], vcc
	s_cbranch_execz .LBB736_950
.LBB736_935:                            ;   in Loop: Header=BB736_908 Depth=2
	v_xor_b32_e32 v65, 0x7fffffff, v57
	v_not_b32_e32 v64, v56
	v_lshrrev_b64 v[64:65], s84, v[64:65]
	v_and_b32_e32 v64, s68, v64
	v_lshl_or_b32 v64, v64, 4, v133
	ds_add_u32 v64, v117
	s_or_b64 exec, exec, s[16:17]
	v_cmp_lt_u32_e32 vcc, v8, v5
	s_and_saveexec_b64 s[16:17], vcc
	s_cbranch_execnz .LBB736_951
.LBB736_936:                            ;   in Loop: Header=BB736_908 Depth=2
	s_or_b64 exec, exec, s[16:17]
	v_cmp_lt_u32_e32 vcc, v10, v5
	s_and_saveexec_b64 s[16:17], vcc
	s_cbranch_execz .LBB736_952
.LBB736_937:                            ;   in Loop: Header=BB736_908 Depth=2
	v_xor_b32_e32 v65, 0x7fffffff, v53
	v_not_b32_e32 v64, v52
	v_lshrrev_b64 v[64:65], s84, v[64:65]
	v_and_b32_e32 v64, s68, v64
	v_lshl_or_b32 v64, v64, 4, v133
	ds_add_u32 v64, v117
	s_or_b64 exec, exec, s[16:17]
	v_cmp_lt_u32_e32 vcc, v12, v5
	s_and_saveexec_b64 s[16:17], vcc
	s_cbranch_execnz .LBB736_953
.LBB736_938:                            ;   in Loop: Header=BB736_908 Depth=2
	s_or_b64 exec, exec, s[16:17]
	v_cmp_lt_u32_e32 vcc, v14, v5
	s_and_saveexec_b64 s[16:17], vcc
	s_cbranch_execz .LBB736_954
.LBB736_939:                            ;   in Loop: Header=BB736_908 Depth=2
	v_xor_b32_e32 v65, 0x7fffffff, v49
	v_not_b32_e32 v64, v48
	v_lshrrev_b64 v[64:65], s84, v[64:65]
	v_and_b32_e32 v64, s68, v64
	v_lshl_or_b32 v64, v64, 4, v133
	ds_add_u32 v64, v117
	s_or_b64 exec, exec, s[16:17]
	v_cmp_lt_u32_e32 vcc, v16, v5
	s_and_saveexec_b64 s[16:17], vcc
	s_cbranch_execnz .LBB736_955
.LBB736_940:                            ;   in Loop: Header=BB736_908 Depth=2
	s_or_b64 exec, exec, s[16:17]
	v_cmp_lt_u32_e32 vcc, v18, v5
	s_and_saveexec_b64 s[16:17], vcc
	s_cbranch_execz .LBB736_956
.LBB736_941:                            ;   in Loop: Header=BB736_908 Depth=2
	v_xor_b32_e32 v65, 0x7fffffff, v45
	v_not_b32_e32 v64, v44
	v_lshrrev_b64 v[64:65], s84, v[64:65]
	v_and_b32_e32 v64, s68, v64
	v_lshl_or_b32 v64, v64, 4, v133
	ds_add_u32 v64, v117
	s_or_b64 exec, exec, s[16:17]
	v_cmp_lt_u32_e32 vcc, v20, v5
	s_and_saveexec_b64 s[16:17], vcc
	s_cbranch_execnz .LBB736_957
.LBB736_942:                            ;   in Loop: Header=BB736_908 Depth=2
	s_or_b64 exec, exec, s[16:17]
	v_cmp_lt_u32_e32 vcc, v22, v5
	s_and_saveexec_b64 s[16:17], vcc
	s_cbranch_execz .LBB736_958
.LBB736_943:                            ;   in Loop: Header=BB736_908 Depth=2
	v_xor_b32_e32 v65, 0x7fffffff, v41
	v_not_b32_e32 v64, v40
	v_lshrrev_b64 v[64:65], s84, v[64:65]
	v_and_b32_e32 v64, s68, v64
	v_lshl_or_b32 v64, v64, 4, v133
	ds_add_u32 v64, v117
	s_or_b64 exec, exec, s[16:17]
	v_cmp_lt_u32_e32 vcc, v24, v5
	s_and_saveexec_b64 s[16:17], vcc
	s_cbranch_execnz .LBB736_959
.LBB736_944:                            ;   in Loop: Header=BB736_908 Depth=2
	s_or_b64 exec, exec, s[16:17]
	v_cmp_lt_u32_e32 vcc, v26, v5
	s_and_saveexec_b64 s[16:17], vcc
	s_cbranch_execz .LBB736_960
.LBB736_945:                            ;   in Loop: Header=BB736_908 Depth=2
	v_xor_b32_e32 v65, 0x7fffffff, v37
	v_not_b32_e32 v64, v36
	v_lshrrev_b64 v[64:65], s84, v[64:65]
	v_and_b32_e32 v64, s68, v64
	v_lshl_or_b32 v64, v64, 4, v133
	ds_add_u32 v64, v117
	s_or_b64 exec, exec, s[16:17]
	v_cmp_lt_u32_e32 vcc, v28, v5
	s_and_saveexec_b64 s[16:17], vcc
	s_cbranch_execnz .LBB736_961
.LBB736_946:                            ;   in Loop: Header=BB736_908 Depth=2
	s_or_b64 exec, exec, s[16:17]
	v_cmp_lt_u32_e32 vcc, v30, v5
	s_and_saveexec_b64 s[16:17], vcc
	s_cbranch_execz .LBB736_962
.LBB736_947:                            ;   in Loop: Header=BB736_908 Depth=2
	v_xor_b32_e32 v65, 0x7fffffff, v1
	v_not_b32_e32 v64, v0
	v_lshrrev_b64 v[64:65], s84, v[64:65]
	v_and_b32_e32 v64, s68, v64
	v_lshl_or_b32 v64, v64, 4, v133
	ds_add_u32 v64, v117
	s_or_b64 exec, exec, s[16:17]
	v_cmp_lt_u32_e32 vcc, v32, v5
	s_and_saveexec_b64 s[16:17], vcc
	s_cbranch_execz .LBB736_907
	s_branch .LBB736_963
.LBB736_948:                            ;   in Loop: Header=BB736_908 Depth=2
	s_or_b64 exec, exec, s[16:17]
	v_cmp_lt_u32_e32 vcc, v7, v5
	s_and_saveexec_b64 s[16:17], vcc
	s_cbranch_execz .LBB736_934
.LBB736_949:                            ;   in Loop: Header=BB736_908 Depth=2
	v_xor_b32_e32 v65, 0x7fffffff, v59
	v_not_b32_e32 v64, v58
	v_lshrrev_b64 v[64:65], s84, v[64:65]
	v_and_b32_e32 v64, s68, v64
	v_lshl_or_b32 v64, v64, 4, v133
	ds_add_u32 v64, v117
	s_or_b64 exec, exec, s[16:17]
	v_cmp_lt_u32_e32 vcc, v6, v5
	s_and_saveexec_b64 s[16:17], vcc
	s_cbranch_execnz .LBB736_935
.LBB736_950:                            ;   in Loop: Header=BB736_908 Depth=2
	s_or_b64 exec, exec, s[16:17]
	v_cmp_lt_u32_e32 vcc, v8, v5
	s_and_saveexec_b64 s[16:17], vcc
	s_cbranch_execz .LBB736_936
.LBB736_951:                            ;   in Loop: Header=BB736_908 Depth=2
	v_xor_b32_e32 v65, 0x7fffffff, v55
	v_not_b32_e32 v64, v54
	v_lshrrev_b64 v[64:65], s84, v[64:65]
	v_and_b32_e32 v64, s68, v64
	v_lshl_or_b32 v64, v64, 4, v133
	ds_add_u32 v64, v117
	s_or_b64 exec, exec, s[16:17]
	v_cmp_lt_u32_e32 vcc, v10, v5
	s_and_saveexec_b64 s[16:17], vcc
	s_cbranch_execnz .LBB736_937
.LBB736_952:                            ;   in Loop: Header=BB736_908 Depth=2
	s_or_b64 exec, exec, s[16:17]
	v_cmp_lt_u32_e32 vcc, v12, v5
	s_and_saveexec_b64 s[16:17], vcc
	s_cbranch_execz .LBB736_938
.LBB736_953:                            ;   in Loop: Header=BB736_908 Depth=2
	v_xor_b32_e32 v65, 0x7fffffff, v51
	v_not_b32_e32 v64, v50
	v_lshrrev_b64 v[64:65], s84, v[64:65]
	v_and_b32_e32 v64, s68, v64
	v_lshl_or_b32 v64, v64, 4, v133
	ds_add_u32 v64, v117
	s_or_b64 exec, exec, s[16:17]
	v_cmp_lt_u32_e32 vcc, v14, v5
	s_and_saveexec_b64 s[16:17], vcc
	s_cbranch_execnz .LBB736_939
.LBB736_954:                            ;   in Loop: Header=BB736_908 Depth=2
	s_or_b64 exec, exec, s[16:17]
	v_cmp_lt_u32_e32 vcc, v16, v5
	s_and_saveexec_b64 s[16:17], vcc
	s_cbranch_execz .LBB736_940
.LBB736_955:                            ;   in Loop: Header=BB736_908 Depth=2
	v_xor_b32_e32 v65, 0x7fffffff, v47
	v_not_b32_e32 v64, v46
	v_lshrrev_b64 v[64:65], s84, v[64:65]
	v_and_b32_e32 v64, s68, v64
	v_lshl_or_b32 v64, v64, 4, v133
	ds_add_u32 v64, v117
	s_or_b64 exec, exec, s[16:17]
	v_cmp_lt_u32_e32 vcc, v18, v5
	s_and_saveexec_b64 s[16:17], vcc
	s_cbranch_execnz .LBB736_941
.LBB736_956:                            ;   in Loop: Header=BB736_908 Depth=2
	s_or_b64 exec, exec, s[16:17]
	v_cmp_lt_u32_e32 vcc, v20, v5
	s_and_saveexec_b64 s[16:17], vcc
	s_cbranch_execz .LBB736_942
.LBB736_957:                            ;   in Loop: Header=BB736_908 Depth=2
	v_xor_b32_e32 v65, 0x7fffffff, v43
	v_not_b32_e32 v64, v42
	v_lshrrev_b64 v[64:65], s84, v[64:65]
	v_and_b32_e32 v64, s68, v64
	v_lshl_or_b32 v64, v64, 4, v133
	ds_add_u32 v64, v117
	s_or_b64 exec, exec, s[16:17]
	v_cmp_lt_u32_e32 vcc, v22, v5
	s_and_saveexec_b64 s[16:17], vcc
	s_cbranch_execnz .LBB736_943
.LBB736_958:                            ;   in Loop: Header=BB736_908 Depth=2
	s_or_b64 exec, exec, s[16:17]
	v_cmp_lt_u32_e32 vcc, v24, v5
	s_and_saveexec_b64 s[16:17], vcc
	s_cbranch_execz .LBB736_944
.LBB736_959:                            ;   in Loop: Header=BB736_908 Depth=2
	v_xor_b32_e32 v65, 0x7fffffff, v39
	v_not_b32_e32 v64, v38
	v_lshrrev_b64 v[64:65], s84, v[64:65]
	v_and_b32_e32 v64, s68, v64
	v_lshl_or_b32 v64, v64, 4, v133
	ds_add_u32 v64, v117
	s_or_b64 exec, exec, s[16:17]
	v_cmp_lt_u32_e32 vcc, v26, v5
	s_and_saveexec_b64 s[16:17], vcc
	s_cbranch_execnz .LBB736_945
.LBB736_960:                            ;   in Loop: Header=BB736_908 Depth=2
	s_or_b64 exec, exec, s[16:17]
	v_cmp_lt_u32_e32 vcc, v28, v5
	s_and_saveexec_b64 s[16:17], vcc
	s_cbranch_execz .LBB736_946
.LBB736_961:                            ;   in Loop: Header=BB736_908 Depth=2
	v_xor_b32_e32 v65, 0x7fffffff, v35
	v_not_b32_e32 v64, v34
	v_lshrrev_b64 v[64:65], s84, v[64:65]
	v_and_b32_e32 v64, s68, v64
	v_lshl_or_b32 v64, v64, 4, v133
	ds_add_u32 v64, v117
	s_or_b64 exec, exec, s[16:17]
	v_cmp_lt_u32_e32 vcc, v30, v5
	s_and_saveexec_b64 s[16:17], vcc
	s_cbranch_execnz .LBB736_947
.LBB736_962:                            ;   in Loop: Header=BB736_908 Depth=2
	s_or_b64 exec, exec, s[16:17]
	v_cmp_lt_u32_e32 vcc, v32, v5
	s_and_saveexec_b64 s[16:17], vcc
	s_cbranch_execz .LBB736_907
.LBB736_963:                            ;   in Loop: Header=BB736_908 Depth=2
	s_waitcnt vmcnt(0)
	v_xor_b32_e32 v65, 0x7fffffff, v63
	v_not_b32_e32 v64, v62
	v_lshrrev_b64 v[64:65], s84, v[64:65]
	v_and_b32_e32 v5, s68, v64
	v_lshl_or_b32 v5, v5, 4, v133
	ds_add_u32 v5, v117
	s_branch .LBB736_907
.LBB736_964:                            ;   in Loop: Header=BB736_908 Depth=2
	s_or_b64 exec, exec, s[22:23]
	v_cmp_gt_u32_e32 vcc, s24, v7
	s_and_saveexec_b64 s[22:23], vcc
	s_cbranch_execz .LBB736_914
.LBB736_965:                            ;   in Loop: Header=BB736_908 Depth=2
	global_load_dwordx2 v[58:59], v118, s[20:21] offset:2048
	s_or_b64 exec, exec, s[22:23]
	v_cmp_gt_u32_e32 vcc, s24, v6
	s_and_saveexec_b64 s[22:23], vcc
	s_cbranch_execnz .LBB736_915
.LBB736_966:                            ;   in Loop: Header=BB736_908 Depth=2
	s_or_b64 exec, exec, s[22:23]
	v_cmp_gt_u32_e32 vcc, s24, v8
	s_and_saveexec_b64 s[22:23], vcc
	s_cbranch_execz .LBB736_916
.LBB736_967:                            ;   in Loop: Header=BB736_908 Depth=2
	global_load_dwordx2 v[54:55], v120, s[20:21]
	s_or_b64 exec, exec, s[22:23]
	v_cmp_gt_u32_e32 vcc, s24, v10
	s_and_saveexec_b64 s[22:23], vcc
	s_cbranch_execnz .LBB736_917
.LBB736_968:                            ;   in Loop: Header=BB736_908 Depth=2
	s_or_b64 exec, exec, s[22:23]
	v_cmp_gt_u32_e32 vcc, s24, v12
	s_and_saveexec_b64 s[22:23], vcc
	s_cbranch_execz .LBB736_918
.LBB736_969:                            ;   in Loop: Header=BB736_908 Depth=2
	global_load_dwordx2 v[50:51], v122, s[20:21]
	s_or_b64 exec, exec, s[22:23]
	v_cmp_gt_u32_e32 vcc, s24, v14
	s_and_saveexec_b64 s[22:23], vcc
	s_cbranch_execnz .LBB736_919
.LBB736_970:                            ;   in Loop: Header=BB736_908 Depth=2
	s_or_b64 exec, exec, s[22:23]
	v_cmp_gt_u32_e32 vcc, s24, v16
	s_and_saveexec_b64 s[22:23], vcc
	s_cbranch_execz .LBB736_920
.LBB736_971:                            ;   in Loop: Header=BB736_908 Depth=2
	global_load_dwordx2 v[46:47], v124, s[20:21]
	s_or_b64 exec, exec, s[22:23]
	v_cmp_gt_u32_e32 vcc, s24, v18
	s_and_saveexec_b64 s[22:23], vcc
	s_cbranch_execnz .LBB736_921
.LBB736_972:                            ;   in Loop: Header=BB736_908 Depth=2
	s_or_b64 exec, exec, s[22:23]
	v_cmp_gt_u32_e32 vcc, s24, v20
	s_and_saveexec_b64 s[22:23], vcc
	s_cbranch_execz .LBB736_922
.LBB736_973:                            ;   in Loop: Header=BB736_908 Depth=2
	global_load_dwordx2 v[42:43], v126, s[20:21]
	s_or_b64 exec, exec, s[22:23]
	v_cmp_gt_u32_e32 vcc, s24, v22
	s_and_saveexec_b64 s[22:23], vcc
	s_cbranch_execnz .LBB736_923
.LBB736_974:                            ;   in Loop: Header=BB736_908 Depth=2
	s_or_b64 exec, exec, s[22:23]
	v_cmp_gt_u32_e32 vcc, s24, v24
	s_and_saveexec_b64 s[22:23], vcc
	s_cbranch_execz .LBB736_924
.LBB736_975:                            ;   in Loop: Header=BB736_908 Depth=2
	global_load_dwordx2 v[38:39], v128, s[20:21]
	s_or_b64 exec, exec, s[22:23]
	v_cmp_gt_u32_e32 vcc, s24, v26
	s_and_saveexec_b64 s[22:23], vcc
	s_cbranch_execnz .LBB736_925
.LBB736_976:                            ;   in Loop: Header=BB736_908 Depth=2
	s_or_b64 exec, exec, s[22:23]
	v_cmp_gt_u32_e32 vcc, s24, v28
	s_and_saveexec_b64 s[22:23], vcc
	s_cbranch_execz .LBB736_926
.LBB736_977:                            ;   in Loop: Header=BB736_908 Depth=2
	global_load_dwordx2 v[34:35], v130, s[20:21]
	s_or_b64 exec, exec, s[22:23]
	v_cmp_gt_u32_e32 vcc, s24, v30
	s_and_saveexec_b64 s[22:23], vcc
	s_cbranch_execz .LBB736_928
	s_branch .LBB736_927
.LBB736_978:                            ;   in Loop: Header=BB736_20 Depth=1
	v_mov_b32_e32 v0, 0
	s_waitcnt lgkmcnt(0)
	s_barrier
	s_and_saveexec_b64 s[16:17], s[4:5]
	s_cbranch_execz .LBB736_980
; %bb.979:                              ;   in Loop: Header=BB736_20 Depth=1
	ds_read2_b64 v[34:37], v13 offset1:1
	s_waitcnt lgkmcnt(0)
	v_add_u32_e32 v0, v35, v34
	v_add3_u32 v0, v0, v36, v37
.LBB736_980:                            ;   in Loop: Header=BB736_20 Depth=1
	s_or_b64 exec, exec, s[16:17]
	s_nop 0
	v_mov_b32_dpp v1, v0 row_shr:1 row_mask:0xf bank_mask:0xf
	v_cmp_eq_u32_e64 s[16:17], 0, v135
	v_cndmask_b32_e64 v1, v1, 0, s[16:17]
	v_add_u32_e32 v0, v1, v0
	v_cmp_lt_u32_e64 s[18:19], 1, v135
	v_cmp_lt_u32_e64 s[20:21], 3, v135
	v_mov_b32_dpp v1, v0 row_shr:2 row_mask:0xf bank_mask:0xf
	v_cndmask_b32_e64 v1, 0, v1, s[18:19]
	v_add_u32_e32 v0, v0, v1
	v_cmp_lt_u32_e64 s[22:23], 7, v135
	v_cmp_lt_u32_e64 s[26:27], 31, v134
	v_mov_b32_dpp v1, v0 row_shr:4 row_mask:0xf bank_mask:0xf
	v_cndmask_b32_e64 v1, 0, v1, s[20:21]
	v_add_u32_e32 v0, v0, v1
	v_cmp_eq_u32_e64 s[24:25], 0, v137
	s_nop 0
	v_mov_b32_dpp v1, v0 row_shr:8 row_mask:0xf bank_mask:0xf
	v_cndmask_b32_e64 v1, 0, v1, s[22:23]
	v_add_u32_e32 v0, v0, v1
	s_nop 1
	v_mov_b32_dpp v1, v0 row_bcast:15 row_mask:0xf bank_mask:0xf
	v_and_b32_e32 v1, v136, v1
	v_add_u32_e32 v0, v0, v1
	s_nop 1
	v_mov_b32_dpp v1, v0 row_bcast:31 row_mask:0xf bank_mask:0xf
	v_cndmask_b32_e64 v1, 0, v1, s[26:27]
	v_add_u32_e32 v0, v0, v1
	s_and_saveexec_b64 s[28:29], s[6:7]
	s_cbranch_execz .LBB736_982
; %bb.981:                              ;   in Loop: Header=BB736_20 Depth=1
	ds_write_b32 v17, v0
.LBB736_982:                            ;   in Loop: Header=BB736_20 Depth=1
	s_or_b64 exec, exec, s[28:29]
	s_waitcnt lgkmcnt(0)
	s_barrier
	s_and_saveexec_b64 s[28:29], s[8:9]
	s_cbranch_execz .LBB736_984
; %bb.983:                              ;   in Loop: Header=BB736_20 Depth=1
	ds_read_b32 v1, v19
	v_cmp_ne_u32_e32 vcc, 0, v138
	s_waitcnt lgkmcnt(0)
	v_mov_b32_dpp v5, v1 row_shr:1 row_mask:0xf bank_mask:0xf
	v_cndmask_b32_e32 v5, 0, v5, vcc
	v_add_u32_e32 v1, v5, v1
	v_cmp_lt_u32_e32 vcc, 1, v138
	s_nop 0
	v_mov_b32_dpp v5, v1 row_shr:2 row_mask:0xf bank_mask:0xf
	v_cndmask_b32_e32 v5, 0, v5, vcc
	v_add_u32_e32 v1, v1, v5
	ds_write_b32 v19, v1
.LBB736_984:                            ;   in Loop: Header=BB736_20 Depth=1
	s_or_b64 exec, exec, s[28:29]
	v_mov_b32_e32 v1, 0
	s_waitcnt lgkmcnt(0)
	s_barrier
	s_and_saveexec_b64 s[28:29], s[10:11]
	s_cbranch_execz .LBB736_986
; %bb.985:                              ;   in Loop: Header=BB736_20 Depth=1
	ds_read_b32 v1, v21
.LBB736_986:                            ;   in Loop: Header=BB736_20 Depth=1
	s_or_b64 exec, exec, s[28:29]
	v_cmp_lt_i32_e32 vcc, v139, v140
	v_cndmask_b32_e32 v5, v139, v134, vcc
	s_waitcnt lgkmcnt(0)
	v_add_u32_e32 v0, v1, v0
	v_lshlrev_b32_e32 v158, 2, v5
	ds_bpermute_b32 v0, v158, v0
	v_cmp_eq_u32_e64 s[28:29], 0, v134
	s_waitcnt lgkmcnt(0)
	s_barrier
	s_and_saveexec_b64 s[30:31], s[4:5]
	s_cbranch_execz .LBB736_988
; %bb.987:                              ;   in Loop: Header=BB736_20 Depth=1
	v_cndmask_b32_e64 v0, v0, v1, s[28:29]
	v_add_u32_e32 v0, s38, v0
	ds_write_b32 v3, v0
.LBB736_988:                            ;   in Loop: Header=BB736_20 Depth=1
	s_or_b64 exec, exec, s[30:31]
	s_load_dwordx2 s[30:31], s[90:91], 0x0
	v_readlane_b32 s34, v235, 1
	v_add_co_u32_e32 v159, vcc, v113, v141
	v_addc_co_u32_e32 v160, vcc, 0, v114, vcc
	s_waitcnt lgkmcnt(0)
	s_cmp_lt_u32 s34, s30
	v_readlane_b32 s30, v235, 0
	s_cselect_b32 s34, 12, 18
	s_cmp_lt_u32 s30, s31
	s_cselect_b32 s30, 14, 20
	s_add_u32 s30, s90, s30
	s_addc_u32 s31, s91, 0
	s_add_u32 s34, s90, s34
	global_load_ushort v5, v4, s[30:31]
	s_addc_u32 s35, s91, 0
	global_load_ushort v64, v4, s[34:35]
	v_add_co_u32_e32 v161, vcc, v115, v141
	v_addc_co_u32_e32 v162, vcc, 0, v116, vcc
	v_add_co_u32_e32 v176, vcc, 0x1e00, v161
	v_cmp_eq_u32_e64 s[30:31], 0, v138
	v_cmp_lt_u32_e64 s[34:35], 1, v138
	s_mov_b32 s69, s85
	v_addc_co_u32_e32 v179, vcc, 0, v162, vcc
	s_mov_b32 s78, s38
                                        ; implicit-def: $vgpr0_vgpr1
                                        ; implicit-def: $vgpr34_vgpr35
                                        ; implicit-def: $vgpr36_vgpr37
                                        ; implicit-def: $vgpr40_vgpr41
                                        ; implicit-def: $vgpr44_vgpr45
                                        ; implicit-def: $vgpr48_vgpr49
                                        ; implicit-def: $vgpr52_vgpr53
                                        ; implicit-def: $vgpr56_vgpr57
                                        ; implicit-def: $vgpr38_vgpr39
                                        ; implicit-def: $vgpr42_vgpr43
                                        ; implicit-def: $vgpr46_vgpr47
                                        ; implicit-def: $vgpr50_vgpr51
                                        ; implicit-def: $vgpr54_vgpr55
                                        ; implicit-def: $vgpr58_vgpr59
                                        ; implicit-def: $vgpr60_vgpr61
                                        ; implicit-def: $vgpr62_vgpr63
                                        ; implicit-def: $vgpr163
                                        ; implicit-def: $vgpr164
                                        ; implicit-def: $vgpr165
                                        ; implicit-def: $vgpr166
                                        ; implicit-def: $vgpr167
                                        ; implicit-def: $vgpr168
                                        ; implicit-def: $vgpr169
                                        ; implicit-def: $vgpr170
                                        ; implicit-def: $vgpr171
                                        ; implicit-def: $vgpr172
                                        ; implicit-def: $vgpr173
                                        ; implicit-def: $vgpr174
                                        ; implicit-def: $vgpr175
                                        ; implicit-def: $vgpr177
                                        ; implicit-def: $vgpr178
                                        ; implicit-def: $vgpr180
	s_waitcnt vmcnt(1)
	v_mad_u32_u24 v5, v23, v5, v25
	s_waitcnt vmcnt(0)
	v_mad_u64_u32 v[64:65], s[36:37], v5, v64, v[2:3]
	v_lshrrev_b32_e32 v181, 6, v64
	s_branch .LBB736_990
.LBB736_989:                            ;   in Loop: Header=BB736_990 Depth=2
	s_or_b64 exec, exec, s[36:37]
	s_addk_i32 s69, 0xf000
	s_cmp_lt_u32 s86, s94
	s_mov_b32 s78, s86
	s_cbranch_scc0 .LBB736_18
.LBB736_990:                            ;   Parent Loop BB736_20 Depth=1
                                        ; =>  This Inner Loop Header: Depth=2
	s_add_i32 s86, s78, 0x1000
	s_cmp_gt_u32 s86, s94
	s_cbranch_scc1 .LBB736_992
; %bb.991:                              ;   in Loop: Header=BB736_990 Depth=2
	s_mov_b32 s79, s88
	s_lshl_b64 s[36:37], s[78:79], 3
	v_mov_b32_e32 v5, s37
	v_add_co_u32_e32 v68, vcc, s36, v161
	v_addc_co_u32_e32 v69, vcc, v162, v5, vcc
	global_load_dwordx2 v[64:65], v[68:69], off
	global_load_dwordx2 v[66:67], v[68:69], off offset:512
	global_load_dwordx2 v[74:75], v[68:69], off offset:1024
	;; [unrolled: 1-line block ×7, first 2 shown]
	v_add_co_u32_e32 v68, vcc, 0x1000, v68
	v_addc_co_u32_e32 v69, vcc, 0, v69, vcc
	global_load_dwordx2 v[92:93], v[68:69], off
	global_load_dwordx2 v[88:89], v[68:69], off offset:512
	global_load_dwordx2 v[84:85], v[68:69], off offset:1024
	global_load_dwordx2 v[80:81], v[68:69], off offset:1536
	global_load_dwordx2 v[76:77], v[68:69], off offset:2048
	global_load_dwordx2 v[72:73], v[68:69], off offset:2560
	s_nop 0
	global_load_dwordx2 v[68:69], v[68:69], off offset:3072
	s_movk_i32 s40, 0x1000
	s_mov_b64 s[36:37], -1
	s_cbranch_execz .LBB736_993
	s_branch .LBB736_1024
.LBB736_992:                            ;   in Loop: Header=BB736_990 Depth=2
	s_mov_b64 s[36:37], 0
                                        ; implicit-def: $sgpr40
                                        ; implicit-def: $vgpr64_vgpr65
                                        ; implicit-def: $vgpr66_vgpr67
                                        ; implicit-def: $vgpr74_vgpr75
                                        ; implicit-def: $vgpr78_vgpr79
                                        ; implicit-def: $vgpr82_vgpr83
                                        ; implicit-def: $vgpr86_vgpr87
                                        ; implicit-def: $vgpr90_vgpr91
                                        ; implicit-def: $vgpr94_vgpr95
                                        ; implicit-def: $vgpr92_vgpr93
                                        ; implicit-def: $vgpr88_vgpr89
                                        ; implicit-def: $vgpr84_vgpr85
                                        ; implicit-def: $vgpr80_vgpr81
                                        ; implicit-def: $vgpr76_vgpr77
                                        ; implicit-def: $vgpr72_vgpr73
                                        ; implicit-def: $vgpr68_vgpr69
.LBB736_993:                            ;   in Loop: Header=BB736_990 Depth=2
	s_mov_b32 s79, s88
	s_lshl_b64 s[36:37], s[78:79], 3
	v_mov_b32_e32 v5, s37
	v_add_co_u32_e32 v70, vcc, s36, v161
	v_addc_co_u32_e32 v71, vcc, v162, v5, vcc
	v_cmp_gt_u32_e32 vcc, s69, v142
	s_waitcnt vmcnt(14)
	v_pk_mov_b32 v[64:65], s[88:89], s[88:89] op_sel:[0,1]
	s_and_saveexec_b64 s[36:37], vcc
	s_cbranch_execz .LBB736_995
; %bb.994:                              ;   in Loop: Header=BB736_990 Depth=2
	global_load_dwordx2 v[64:65], v[70:71], off
.LBB736_995:                            ;   in Loop: Header=BB736_990 Depth=2
	s_or_b64 exec, exec, s[36:37]
	v_cmp_gt_u32_e32 vcc, s69, v143
	s_waitcnt vmcnt(13)
	v_pk_mov_b32 v[66:67], s[88:89], s[88:89] op_sel:[0,1]
	s_and_saveexec_b64 s[36:37], vcc
	s_cbranch_execz .LBB736_997
; %bb.996:                              ;   in Loop: Header=BB736_990 Depth=2
	global_load_dwordx2 v[66:67], v[70:71], off offset:512
.LBB736_997:                            ;   in Loop: Header=BB736_990 Depth=2
	s_or_b64 exec, exec, s[36:37]
	v_cmp_gt_u32_e32 vcc, s69, v144
	s_waitcnt vmcnt(12)
	v_pk_mov_b32 v[74:75], s[88:89], s[88:89] op_sel:[0,1]
	s_and_saveexec_b64 s[36:37], vcc
	s_cbranch_execz .LBB736_999
; %bb.998:                              ;   in Loop: Header=BB736_990 Depth=2
	global_load_dwordx2 v[74:75], v[70:71], off offset:1024
.LBB736_999:                            ;   in Loop: Header=BB736_990 Depth=2
	s_or_b64 exec, exec, s[36:37]
	v_cmp_gt_u32_e32 vcc, s69, v145
	s_waitcnt vmcnt(11)
	v_pk_mov_b32 v[78:79], s[88:89], s[88:89] op_sel:[0,1]
	s_and_saveexec_b64 s[36:37], vcc
	s_cbranch_execz .LBB736_1001
; %bb.1000:                             ;   in Loop: Header=BB736_990 Depth=2
	global_load_dwordx2 v[78:79], v[70:71], off offset:1536
.LBB736_1001:                           ;   in Loop: Header=BB736_990 Depth=2
	s_or_b64 exec, exec, s[36:37]
	v_cmp_gt_u32_e32 vcc, s69, v146
	s_waitcnt vmcnt(10)
	v_pk_mov_b32 v[82:83], s[88:89], s[88:89] op_sel:[0,1]
	s_and_saveexec_b64 s[36:37], vcc
	s_cbranch_execz .LBB736_1003
; %bb.1002:                             ;   in Loop: Header=BB736_990 Depth=2
	global_load_dwordx2 v[82:83], v[70:71], off offset:2048
.LBB736_1003:                           ;   in Loop: Header=BB736_990 Depth=2
	;; [unrolled: 9-line block ×5, first 2 shown]
	s_or_b64 exec, exec, s[36:37]
	v_cmp_gt_u32_e32 vcc, s69, v150
	s_waitcnt vmcnt(6)
	v_pk_mov_b32 v[92:93], s[88:89], s[88:89] op_sel:[0,1]
	s_and_saveexec_b64 s[36:37], vcc
	s_cbranch_execz .LBB736_1011
; %bb.1010:                             ;   in Loop: Header=BB736_990 Depth=2
	s_waitcnt vmcnt(0)
	v_add_co_u32_e32 v68, vcc, 0x1000, v70
	v_addc_co_u32_e32 v69, vcc, 0, v71, vcc
	global_load_dwordx2 v[92:93], v[68:69], off
.LBB736_1011:                           ;   in Loop: Header=BB736_990 Depth=2
	s_or_b64 exec, exec, s[36:37]
	v_cmp_gt_u32_e32 vcc, s69, v151
	s_waitcnt vmcnt(5)
	v_pk_mov_b32 v[88:89], s[88:89], s[88:89] op_sel:[0,1]
	s_and_saveexec_b64 s[36:37], vcc
	s_cbranch_execz .LBB736_1013
; %bb.1012:                             ;   in Loop: Header=BB736_990 Depth=2
	s_waitcnt vmcnt(0)
	v_add_co_u32_e32 v68, vcc, 0x1000, v70
	v_addc_co_u32_e32 v69, vcc, 0, v71, vcc
	global_load_dwordx2 v[88:89], v[68:69], off offset:512
.LBB736_1013:                           ;   in Loop: Header=BB736_990 Depth=2
	s_or_b64 exec, exec, s[36:37]
	v_cmp_gt_u32_e32 vcc, s69, v152
	s_waitcnt vmcnt(4)
	v_pk_mov_b32 v[84:85], s[88:89], s[88:89] op_sel:[0,1]
	s_and_saveexec_b64 s[36:37], vcc
	s_cbranch_execz .LBB736_1015
; %bb.1014:                             ;   in Loop: Header=BB736_990 Depth=2
	s_waitcnt vmcnt(0)
	v_add_co_u32_e32 v68, vcc, 0x1000, v70
	v_addc_co_u32_e32 v69, vcc, 0, v71, vcc
	global_load_dwordx2 v[84:85], v[68:69], off offset:1024
.LBB736_1015:                           ;   in Loop: Header=BB736_990 Depth=2
	;; [unrolled: 12-line block ×5, first 2 shown]
	s_or_b64 exec, exec, s[36:37]
	v_cmp_gt_u32_e32 vcc, s69, v156
	s_waitcnt vmcnt(0)
	v_pk_mov_b32 v[68:69], s[88:89], s[88:89] op_sel:[0,1]
	s_and_saveexec_b64 s[36:37], vcc
	s_cbranch_execz .LBB736_1023
; %bb.1022:                             ;   in Loop: Header=BB736_990 Depth=2
	v_add_co_u32_e32 v68, vcc, 0x1000, v70
	v_addc_co_u32_e32 v69, vcc, 0, v71, vcc
	global_load_dwordx2 v[68:69], v[68:69], off offset:3072
.LBB736_1023:                           ;   in Loop: Header=BB736_990 Depth=2
	s_or_b64 exec, exec, s[36:37]
	s_sub_i32 s40, s94, s78
	v_cmp_gt_u32_e64 s[36:37], s69, v157
.LBB736_1024:                           ;   in Loop: Header=BB736_990 Depth=2
	v_pk_mov_b32 v[70:71], s[88:89], s[88:89] op_sel:[0,1]
	v_mov_b32_e32 v182, s69
	s_and_saveexec_b64 s[38:39], s[36:37]
	s_cbranch_execz .LBB736_1026
; %bb.1025:                             ;   in Loop: Header=BB736_990 Depth=2
	s_lshl_b64 s[36:37], s[78:79], 3
	v_mov_b32_e32 v5, s37
	v_add_co_u32_e32 v70, vcc, s36, v176
	v_addc_co_u32_e32 v71, vcc, v179, v5, vcc
	global_load_dwordx2 v[70:71], v[70:71], off
	v_mov_b32_e32 v182, s40
.LBB736_1026:                           ;   in Loop: Header=BB736_990 Depth=2
	s_or_b64 exec, exec, s[38:39]
	s_waitcnt vmcnt(14)
	v_xor_b32_e32 v65, 0x7fffffff, v65
	v_not_b32_e32 v64, v64
	v_lshrrev_b64 v[96:97], s84, v[64:65]
	v_add_u32_e32 v5, 0x410, v27
	v_and_b32_e32 v96, s68, v96
	ds_write2_b32 v5, v4, v4 offset1:1
	ds_write2_b32 v31, v4, v4 offset0:2 offset1:3
	ds_write_b32 v31, v4 offset:16
	v_mad_u32_u24 v5, v96, 5, v181
	v_lshl_add_u32 v183, v5, 2, v29
	v_and_b32_e32 v5, 1, v96
	v_add_co_u32_e32 v97, vcc, -1, v5
	v_addc_co_u32_e64 v98, s[36:37], 0, -1, vcc
	v_cmp_ne_u32_e32 vcc, 0, v5
	v_xor_b32_e32 v5, vcc_hi, v98
	v_and_b32_e32 v98, exec_hi, v5
	v_lshlrev_b32_e32 v5, 30, v96
	v_xor_b32_e32 v97, vcc_lo, v97
	v_cmp_gt_i64_e32 vcc, 0, v[4:5]
	v_not_b32_e32 v5, v5
	v_ashrrev_i32_e32 v5, 31, v5
	v_and_b32_e32 v97, exec_lo, v97
	v_xor_b32_e32 v99, vcc_hi, v5
	v_xor_b32_e32 v5, vcc_lo, v5
	v_and_b32_e32 v97, v97, v5
	v_lshlrev_b32_e32 v5, 29, v96
	v_cmp_gt_i64_e32 vcc, 0, v[4:5]
	v_not_b32_e32 v5, v5
	v_ashrrev_i32_e32 v5, 31, v5
	v_and_b32_e32 v98, v98, v99
	v_xor_b32_e32 v99, vcc_hi, v5
	v_xor_b32_e32 v5, vcc_lo, v5
	v_and_b32_e32 v97, v97, v5
	v_lshlrev_b32_e32 v5, 28, v96
	v_cmp_gt_i64_e32 vcc, 0, v[4:5]
	v_not_b32_e32 v5, v5
	v_ashrrev_i32_e32 v5, 31, v5
	v_and_b32_e32 v98, v98, v99
	;; [unrolled: 8-line block ×5, first 2 shown]
	v_xor_b32_e32 v99, vcc_hi, v5
	v_xor_b32_e32 v5, vcc_lo, v5
	v_and_b32_e32 v98, v98, v99
	v_and_b32_e32 v99, v97, v5
	v_lshlrev_b32_e32 v5, 24, v96
	v_cmp_gt_i64_e32 vcc, 0, v[4:5]
	v_not_b32_e32 v5, v5
	v_ashrrev_i32_e32 v5, 31, v5
	v_xor_b32_e32 v96, vcc_hi, v5
	v_xor_b32_e32 v5, vcc_lo, v5
	v_and_b32_e32 v97, v98, v96
	v_and_b32_e32 v96, v99, v5
	v_mbcnt_lo_u32_b32 v5, v96, 0
	v_mbcnt_hi_u32_b32 v184, v97, v5
	v_cmp_eq_u32_e32 vcc, 0, v184
	v_cmp_ne_u64_e64 s[36:37], 0, v[96:97]
	s_and_b64 s[38:39], s[36:37], vcc
	s_waitcnt lgkmcnt(0)
	s_barrier
	s_waitcnt lgkmcnt(0)
	; wave barrier
	s_and_saveexec_b64 s[36:37], s[38:39]
	s_cbranch_execz .LBB736_1028
; %bb.1027:                             ;   in Loop: Header=BB736_990 Depth=2
	v_bcnt_u32_b32 v5, v96, 0
	v_bcnt_u32_b32 v5, v97, v5
	ds_write_b32 v183, v5
.LBB736_1028:                           ;   in Loop: Header=BB736_990 Depth=2
	s_or_b64 exec, exec, s[36:37]
	s_waitcnt vmcnt(13)
	v_xor_b32_e32 v67, 0x7fffffff, v67
	v_not_b32_e32 v66, v66
	v_lshrrev_b64 v[96:97], s84, v[66:67]
	v_and_b32_e32 v96, s68, v96
	v_mul_u32_u24_e32 v5, 5, v96
	v_add_lshl_u32 v5, v5, v181, 2
	; wave barrier
	v_add_u32_e32 v186, 0x410, v5
	ds_read_b32 v185, v5 offset:1040
	v_and_b32_e32 v5, 1, v96
	v_add_co_u32_e32 v97, vcc, -1, v5
	v_addc_co_u32_e64 v98, s[36:37], 0, -1, vcc
	v_cmp_ne_u32_e32 vcc, 0, v5
	v_xor_b32_e32 v5, vcc_hi, v98
	v_and_b32_e32 v98, exec_hi, v5
	v_lshlrev_b32_e32 v5, 30, v96
	v_xor_b32_e32 v97, vcc_lo, v97
	v_cmp_gt_i64_e32 vcc, 0, v[4:5]
	v_not_b32_e32 v5, v5
	v_ashrrev_i32_e32 v5, 31, v5
	v_and_b32_e32 v97, exec_lo, v97
	v_xor_b32_e32 v99, vcc_hi, v5
	v_xor_b32_e32 v5, vcc_lo, v5
	v_and_b32_e32 v97, v97, v5
	v_lshlrev_b32_e32 v5, 29, v96
	v_cmp_gt_i64_e32 vcc, 0, v[4:5]
	v_not_b32_e32 v5, v5
	v_ashrrev_i32_e32 v5, 31, v5
	v_and_b32_e32 v98, v98, v99
	v_xor_b32_e32 v99, vcc_hi, v5
	v_xor_b32_e32 v5, vcc_lo, v5
	v_and_b32_e32 v97, v97, v5
	v_lshlrev_b32_e32 v5, 28, v96
	v_cmp_gt_i64_e32 vcc, 0, v[4:5]
	v_not_b32_e32 v5, v5
	v_ashrrev_i32_e32 v5, 31, v5
	v_and_b32_e32 v98, v98, v99
	;; [unrolled: 8-line block ×5, first 2 shown]
	v_xor_b32_e32 v99, vcc_hi, v5
	v_xor_b32_e32 v5, vcc_lo, v5
	v_and_b32_e32 v98, v98, v99
	v_and_b32_e32 v99, v97, v5
	v_lshlrev_b32_e32 v5, 24, v96
	v_cmp_gt_i64_e32 vcc, 0, v[4:5]
	v_not_b32_e32 v5, v5
	v_ashrrev_i32_e32 v5, 31, v5
	v_xor_b32_e32 v96, vcc_hi, v5
	v_xor_b32_e32 v5, vcc_lo, v5
	v_and_b32_e32 v97, v98, v96
	v_and_b32_e32 v96, v99, v5
	v_mbcnt_lo_u32_b32 v5, v96, 0
	v_mbcnt_hi_u32_b32 v187, v97, v5
	v_cmp_eq_u32_e32 vcc, 0, v187
	v_cmp_ne_u64_e64 s[36:37], 0, v[96:97]
	s_and_b64 s[38:39], s[36:37], vcc
	; wave barrier
	s_and_saveexec_b64 s[36:37], s[38:39]
	s_cbranch_execz .LBB736_1030
; %bb.1029:                             ;   in Loop: Header=BB736_990 Depth=2
	v_bcnt_u32_b32 v5, v96, 0
	v_bcnt_u32_b32 v5, v97, v5
	s_waitcnt lgkmcnt(0)
	v_add_u32_e32 v5, v185, v5
	ds_write_b32 v186, v5
.LBB736_1030:                           ;   in Loop: Header=BB736_990 Depth=2
	s_or_b64 exec, exec, s[36:37]
	s_waitcnt vmcnt(12)
	v_xor_b32_e32 v75, 0x7fffffff, v75
	v_not_b32_e32 v74, v74
	v_lshrrev_b64 v[96:97], s84, v[74:75]
	v_and_b32_e32 v96, s68, v96
	v_mul_u32_u24_e32 v5, 5, v96
	v_add_lshl_u32 v5, v5, v181, 2
	; wave barrier
	v_add_u32_e32 v189, 0x410, v5
	ds_read_b32 v188, v5 offset:1040
	v_and_b32_e32 v5, 1, v96
	v_add_co_u32_e32 v97, vcc, -1, v5
	v_addc_co_u32_e64 v98, s[36:37], 0, -1, vcc
	v_cmp_ne_u32_e32 vcc, 0, v5
	v_xor_b32_e32 v5, vcc_hi, v98
	v_and_b32_e32 v98, exec_hi, v5
	v_lshlrev_b32_e32 v5, 30, v96
	v_xor_b32_e32 v97, vcc_lo, v97
	v_cmp_gt_i64_e32 vcc, 0, v[4:5]
	v_not_b32_e32 v5, v5
	v_ashrrev_i32_e32 v5, 31, v5
	v_and_b32_e32 v97, exec_lo, v97
	v_xor_b32_e32 v99, vcc_hi, v5
	v_xor_b32_e32 v5, vcc_lo, v5
	v_and_b32_e32 v97, v97, v5
	v_lshlrev_b32_e32 v5, 29, v96
	v_cmp_gt_i64_e32 vcc, 0, v[4:5]
	v_not_b32_e32 v5, v5
	v_ashrrev_i32_e32 v5, 31, v5
	v_and_b32_e32 v98, v98, v99
	v_xor_b32_e32 v99, vcc_hi, v5
	v_xor_b32_e32 v5, vcc_lo, v5
	v_and_b32_e32 v97, v97, v5
	v_lshlrev_b32_e32 v5, 28, v96
	v_cmp_gt_i64_e32 vcc, 0, v[4:5]
	v_not_b32_e32 v5, v5
	v_ashrrev_i32_e32 v5, 31, v5
	v_and_b32_e32 v98, v98, v99
	;; [unrolled: 8-line block ×5, first 2 shown]
	v_xor_b32_e32 v99, vcc_hi, v5
	v_xor_b32_e32 v5, vcc_lo, v5
	v_and_b32_e32 v98, v98, v99
	v_and_b32_e32 v99, v97, v5
	v_lshlrev_b32_e32 v5, 24, v96
	v_cmp_gt_i64_e32 vcc, 0, v[4:5]
	v_not_b32_e32 v5, v5
	v_ashrrev_i32_e32 v5, 31, v5
	v_xor_b32_e32 v96, vcc_hi, v5
	v_xor_b32_e32 v5, vcc_lo, v5
	v_and_b32_e32 v97, v98, v96
	v_and_b32_e32 v96, v99, v5
	v_mbcnt_lo_u32_b32 v5, v96, 0
	v_mbcnt_hi_u32_b32 v190, v97, v5
	v_cmp_eq_u32_e32 vcc, 0, v190
	v_cmp_ne_u64_e64 s[36:37], 0, v[96:97]
	s_and_b64 s[38:39], s[36:37], vcc
	; wave barrier
	s_and_saveexec_b64 s[36:37], s[38:39]
	s_cbranch_execz .LBB736_1032
; %bb.1031:                             ;   in Loop: Header=BB736_990 Depth=2
	v_bcnt_u32_b32 v5, v96, 0
	v_bcnt_u32_b32 v5, v97, v5
	s_waitcnt lgkmcnt(0)
	v_add_u32_e32 v5, v188, v5
	ds_write_b32 v189, v5
.LBB736_1032:                           ;   in Loop: Header=BB736_990 Depth=2
	s_or_b64 exec, exec, s[36:37]
	s_waitcnt vmcnt(11)
	v_xor_b32_e32 v79, 0x7fffffff, v79
	v_not_b32_e32 v78, v78
	v_lshrrev_b64 v[96:97], s84, v[78:79]
	v_and_b32_e32 v96, s68, v96
	v_mul_u32_u24_e32 v5, 5, v96
	v_add_lshl_u32 v5, v5, v181, 2
	; wave barrier
	v_add_u32_e32 v192, 0x410, v5
	ds_read_b32 v191, v5 offset:1040
	v_and_b32_e32 v5, 1, v96
	v_add_co_u32_e32 v97, vcc, -1, v5
	v_addc_co_u32_e64 v98, s[36:37], 0, -1, vcc
	v_cmp_ne_u32_e32 vcc, 0, v5
	v_xor_b32_e32 v5, vcc_hi, v98
	v_and_b32_e32 v98, exec_hi, v5
	v_lshlrev_b32_e32 v5, 30, v96
	v_xor_b32_e32 v97, vcc_lo, v97
	v_cmp_gt_i64_e32 vcc, 0, v[4:5]
	v_not_b32_e32 v5, v5
	v_ashrrev_i32_e32 v5, 31, v5
	v_and_b32_e32 v97, exec_lo, v97
	v_xor_b32_e32 v99, vcc_hi, v5
	v_xor_b32_e32 v5, vcc_lo, v5
	v_and_b32_e32 v97, v97, v5
	v_lshlrev_b32_e32 v5, 29, v96
	v_cmp_gt_i64_e32 vcc, 0, v[4:5]
	v_not_b32_e32 v5, v5
	v_ashrrev_i32_e32 v5, 31, v5
	v_and_b32_e32 v98, v98, v99
	v_xor_b32_e32 v99, vcc_hi, v5
	v_xor_b32_e32 v5, vcc_lo, v5
	v_and_b32_e32 v97, v97, v5
	v_lshlrev_b32_e32 v5, 28, v96
	v_cmp_gt_i64_e32 vcc, 0, v[4:5]
	v_not_b32_e32 v5, v5
	v_ashrrev_i32_e32 v5, 31, v5
	v_and_b32_e32 v98, v98, v99
	;; [unrolled: 8-line block ×5, first 2 shown]
	v_xor_b32_e32 v99, vcc_hi, v5
	v_xor_b32_e32 v5, vcc_lo, v5
	v_and_b32_e32 v98, v98, v99
	v_and_b32_e32 v99, v97, v5
	v_lshlrev_b32_e32 v5, 24, v96
	v_cmp_gt_i64_e32 vcc, 0, v[4:5]
	v_not_b32_e32 v5, v5
	v_ashrrev_i32_e32 v5, 31, v5
	v_xor_b32_e32 v96, vcc_hi, v5
	v_xor_b32_e32 v5, vcc_lo, v5
	v_and_b32_e32 v97, v98, v96
	v_and_b32_e32 v96, v99, v5
	v_mbcnt_lo_u32_b32 v5, v96, 0
	v_mbcnt_hi_u32_b32 v193, v97, v5
	v_cmp_eq_u32_e32 vcc, 0, v193
	v_cmp_ne_u64_e64 s[36:37], 0, v[96:97]
	s_and_b64 s[38:39], s[36:37], vcc
	; wave barrier
	s_and_saveexec_b64 s[36:37], s[38:39]
	s_cbranch_execz .LBB736_1034
; %bb.1033:                             ;   in Loop: Header=BB736_990 Depth=2
	v_bcnt_u32_b32 v5, v96, 0
	v_bcnt_u32_b32 v5, v97, v5
	s_waitcnt lgkmcnt(0)
	v_add_u32_e32 v5, v191, v5
	ds_write_b32 v192, v5
.LBB736_1034:                           ;   in Loop: Header=BB736_990 Depth=2
	s_or_b64 exec, exec, s[36:37]
	s_waitcnt vmcnt(10)
	v_xor_b32_e32 v83, 0x7fffffff, v83
	v_not_b32_e32 v82, v82
	v_lshrrev_b64 v[96:97], s84, v[82:83]
	v_and_b32_e32 v96, s68, v96
	v_mul_u32_u24_e32 v5, 5, v96
	v_add_lshl_u32 v5, v5, v181, 2
	; wave barrier
	v_add_u32_e32 v195, 0x410, v5
	ds_read_b32 v194, v5 offset:1040
	v_and_b32_e32 v5, 1, v96
	v_add_co_u32_e32 v97, vcc, -1, v5
	v_addc_co_u32_e64 v98, s[36:37], 0, -1, vcc
	v_cmp_ne_u32_e32 vcc, 0, v5
	v_xor_b32_e32 v5, vcc_hi, v98
	v_and_b32_e32 v98, exec_hi, v5
	v_lshlrev_b32_e32 v5, 30, v96
	v_xor_b32_e32 v97, vcc_lo, v97
	v_cmp_gt_i64_e32 vcc, 0, v[4:5]
	v_not_b32_e32 v5, v5
	v_ashrrev_i32_e32 v5, 31, v5
	v_and_b32_e32 v97, exec_lo, v97
	v_xor_b32_e32 v99, vcc_hi, v5
	v_xor_b32_e32 v5, vcc_lo, v5
	v_and_b32_e32 v97, v97, v5
	v_lshlrev_b32_e32 v5, 29, v96
	v_cmp_gt_i64_e32 vcc, 0, v[4:5]
	v_not_b32_e32 v5, v5
	v_ashrrev_i32_e32 v5, 31, v5
	v_and_b32_e32 v98, v98, v99
	v_xor_b32_e32 v99, vcc_hi, v5
	v_xor_b32_e32 v5, vcc_lo, v5
	v_and_b32_e32 v97, v97, v5
	v_lshlrev_b32_e32 v5, 28, v96
	v_cmp_gt_i64_e32 vcc, 0, v[4:5]
	v_not_b32_e32 v5, v5
	v_ashrrev_i32_e32 v5, 31, v5
	v_and_b32_e32 v98, v98, v99
	;; [unrolled: 8-line block ×5, first 2 shown]
	v_xor_b32_e32 v99, vcc_hi, v5
	v_xor_b32_e32 v5, vcc_lo, v5
	v_and_b32_e32 v98, v98, v99
	v_and_b32_e32 v99, v97, v5
	v_lshlrev_b32_e32 v5, 24, v96
	v_cmp_gt_i64_e32 vcc, 0, v[4:5]
	v_not_b32_e32 v5, v5
	v_ashrrev_i32_e32 v5, 31, v5
	v_xor_b32_e32 v96, vcc_hi, v5
	v_xor_b32_e32 v5, vcc_lo, v5
	v_and_b32_e32 v97, v98, v96
	v_and_b32_e32 v96, v99, v5
	v_mbcnt_lo_u32_b32 v5, v96, 0
	v_mbcnt_hi_u32_b32 v196, v97, v5
	v_cmp_eq_u32_e32 vcc, 0, v196
	v_cmp_ne_u64_e64 s[36:37], 0, v[96:97]
	s_and_b64 s[38:39], s[36:37], vcc
	; wave barrier
	s_and_saveexec_b64 s[36:37], s[38:39]
	s_cbranch_execz .LBB736_1036
; %bb.1035:                             ;   in Loop: Header=BB736_990 Depth=2
	v_bcnt_u32_b32 v5, v96, 0
	v_bcnt_u32_b32 v5, v97, v5
	s_waitcnt lgkmcnt(0)
	v_add_u32_e32 v5, v194, v5
	ds_write_b32 v195, v5
.LBB736_1036:                           ;   in Loop: Header=BB736_990 Depth=2
	s_or_b64 exec, exec, s[36:37]
	s_waitcnt vmcnt(9)
	v_xor_b32_e32 v87, 0x7fffffff, v87
	v_not_b32_e32 v86, v86
	v_lshrrev_b64 v[96:97], s84, v[86:87]
	v_and_b32_e32 v96, s68, v96
	v_mul_u32_u24_e32 v5, 5, v96
	v_add_lshl_u32 v5, v5, v181, 2
	; wave barrier
	v_add_u32_e32 v198, 0x410, v5
	ds_read_b32 v197, v5 offset:1040
	v_and_b32_e32 v5, 1, v96
	v_add_co_u32_e32 v97, vcc, -1, v5
	v_addc_co_u32_e64 v98, s[36:37], 0, -1, vcc
	v_cmp_ne_u32_e32 vcc, 0, v5
	v_xor_b32_e32 v5, vcc_hi, v98
	v_and_b32_e32 v98, exec_hi, v5
	v_lshlrev_b32_e32 v5, 30, v96
	v_xor_b32_e32 v97, vcc_lo, v97
	v_cmp_gt_i64_e32 vcc, 0, v[4:5]
	v_not_b32_e32 v5, v5
	v_ashrrev_i32_e32 v5, 31, v5
	v_and_b32_e32 v97, exec_lo, v97
	v_xor_b32_e32 v99, vcc_hi, v5
	v_xor_b32_e32 v5, vcc_lo, v5
	v_and_b32_e32 v97, v97, v5
	v_lshlrev_b32_e32 v5, 29, v96
	v_cmp_gt_i64_e32 vcc, 0, v[4:5]
	v_not_b32_e32 v5, v5
	v_ashrrev_i32_e32 v5, 31, v5
	v_and_b32_e32 v98, v98, v99
	v_xor_b32_e32 v99, vcc_hi, v5
	v_xor_b32_e32 v5, vcc_lo, v5
	v_and_b32_e32 v97, v97, v5
	v_lshlrev_b32_e32 v5, 28, v96
	v_cmp_gt_i64_e32 vcc, 0, v[4:5]
	v_not_b32_e32 v5, v5
	v_ashrrev_i32_e32 v5, 31, v5
	v_and_b32_e32 v98, v98, v99
	;; [unrolled: 8-line block ×5, first 2 shown]
	v_xor_b32_e32 v99, vcc_hi, v5
	v_xor_b32_e32 v5, vcc_lo, v5
	v_and_b32_e32 v98, v98, v99
	v_and_b32_e32 v99, v97, v5
	v_lshlrev_b32_e32 v5, 24, v96
	v_cmp_gt_i64_e32 vcc, 0, v[4:5]
	v_not_b32_e32 v5, v5
	v_ashrrev_i32_e32 v5, 31, v5
	v_xor_b32_e32 v96, vcc_hi, v5
	v_xor_b32_e32 v5, vcc_lo, v5
	v_and_b32_e32 v97, v98, v96
	v_and_b32_e32 v96, v99, v5
	v_mbcnt_lo_u32_b32 v5, v96, 0
	v_mbcnt_hi_u32_b32 v199, v97, v5
	v_cmp_eq_u32_e32 vcc, 0, v199
	v_cmp_ne_u64_e64 s[36:37], 0, v[96:97]
	s_and_b64 s[38:39], s[36:37], vcc
	; wave barrier
	s_and_saveexec_b64 s[36:37], s[38:39]
	s_cbranch_execz .LBB736_1038
; %bb.1037:                             ;   in Loop: Header=BB736_990 Depth=2
	v_bcnt_u32_b32 v5, v96, 0
	v_bcnt_u32_b32 v5, v97, v5
	s_waitcnt lgkmcnt(0)
	v_add_u32_e32 v5, v197, v5
	ds_write_b32 v198, v5
.LBB736_1038:                           ;   in Loop: Header=BB736_990 Depth=2
	s_or_b64 exec, exec, s[36:37]
	s_waitcnt vmcnt(8)
	v_xor_b32_e32 v91, 0x7fffffff, v91
	v_not_b32_e32 v90, v90
	v_lshrrev_b64 v[96:97], s84, v[90:91]
	v_and_b32_e32 v96, s68, v96
	v_mul_u32_u24_e32 v5, 5, v96
	v_add_lshl_u32 v5, v5, v181, 2
	; wave barrier
	v_add_u32_e32 v201, 0x410, v5
	ds_read_b32 v200, v5 offset:1040
	v_and_b32_e32 v5, 1, v96
	v_add_co_u32_e32 v97, vcc, -1, v5
	v_addc_co_u32_e64 v98, s[36:37], 0, -1, vcc
	v_cmp_ne_u32_e32 vcc, 0, v5
	v_xor_b32_e32 v5, vcc_hi, v98
	v_and_b32_e32 v98, exec_hi, v5
	v_lshlrev_b32_e32 v5, 30, v96
	v_xor_b32_e32 v97, vcc_lo, v97
	v_cmp_gt_i64_e32 vcc, 0, v[4:5]
	v_not_b32_e32 v5, v5
	v_ashrrev_i32_e32 v5, 31, v5
	v_and_b32_e32 v97, exec_lo, v97
	v_xor_b32_e32 v99, vcc_hi, v5
	v_xor_b32_e32 v5, vcc_lo, v5
	v_and_b32_e32 v97, v97, v5
	v_lshlrev_b32_e32 v5, 29, v96
	v_cmp_gt_i64_e32 vcc, 0, v[4:5]
	v_not_b32_e32 v5, v5
	v_ashrrev_i32_e32 v5, 31, v5
	v_and_b32_e32 v98, v98, v99
	v_xor_b32_e32 v99, vcc_hi, v5
	v_xor_b32_e32 v5, vcc_lo, v5
	v_and_b32_e32 v97, v97, v5
	v_lshlrev_b32_e32 v5, 28, v96
	v_cmp_gt_i64_e32 vcc, 0, v[4:5]
	v_not_b32_e32 v5, v5
	v_ashrrev_i32_e32 v5, 31, v5
	v_and_b32_e32 v98, v98, v99
	;; [unrolled: 8-line block ×5, first 2 shown]
	v_xor_b32_e32 v99, vcc_hi, v5
	v_xor_b32_e32 v5, vcc_lo, v5
	v_and_b32_e32 v98, v98, v99
	v_and_b32_e32 v99, v97, v5
	v_lshlrev_b32_e32 v5, 24, v96
	v_cmp_gt_i64_e32 vcc, 0, v[4:5]
	v_not_b32_e32 v5, v5
	v_ashrrev_i32_e32 v5, 31, v5
	v_xor_b32_e32 v96, vcc_hi, v5
	v_xor_b32_e32 v5, vcc_lo, v5
	v_and_b32_e32 v97, v98, v96
	v_and_b32_e32 v96, v99, v5
	v_mbcnt_lo_u32_b32 v5, v96, 0
	v_mbcnt_hi_u32_b32 v202, v97, v5
	v_cmp_eq_u32_e32 vcc, 0, v202
	v_cmp_ne_u64_e64 s[36:37], 0, v[96:97]
	s_and_b64 s[38:39], s[36:37], vcc
	; wave barrier
	s_and_saveexec_b64 s[36:37], s[38:39]
	s_cbranch_execz .LBB736_1040
; %bb.1039:                             ;   in Loop: Header=BB736_990 Depth=2
	v_bcnt_u32_b32 v5, v96, 0
	v_bcnt_u32_b32 v5, v97, v5
	s_waitcnt lgkmcnt(0)
	v_add_u32_e32 v5, v200, v5
	ds_write_b32 v201, v5
.LBB736_1040:                           ;   in Loop: Header=BB736_990 Depth=2
	s_or_b64 exec, exec, s[36:37]
	s_waitcnt vmcnt(7)
	v_xor_b32_e32 v95, 0x7fffffff, v95
	v_not_b32_e32 v94, v94
	v_lshrrev_b64 v[96:97], s84, v[94:95]
	v_and_b32_e32 v96, s68, v96
	v_mul_u32_u24_e32 v5, 5, v96
	v_add_lshl_u32 v5, v5, v181, 2
	; wave barrier
	v_add_u32_e32 v204, 0x410, v5
	ds_read_b32 v203, v5 offset:1040
	v_and_b32_e32 v5, 1, v96
	v_add_co_u32_e32 v97, vcc, -1, v5
	v_addc_co_u32_e64 v98, s[36:37], 0, -1, vcc
	v_cmp_ne_u32_e32 vcc, 0, v5
	v_xor_b32_e32 v5, vcc_hi, v98
	v_and_b32_e32 v98, exec_hi, v5
	v_lshlrev_b32_e32 v5, 30, v96
	v_xor_b32_e32 v97, vcc_lo, v97
	v_cmp_gt_i64_e32 vcc, 0, v[4:5]
	v_not_b32_e32 v5, v5
	v_ashrrev_i32_e32 v5, 31, v5
	v_and_b32_e32 v97, exec_lo, v97
	v_xor_b32_e32 v99, vcc_hi, v5
	v_xor_b32_e32 v5, vcc_lo, v5
	v_and_b32_e32 v97, v97, v5
	v_lshlrev_b32_e32 v5, 29, v96
	v_cmp_gt_i64_e32 vcc, 0, v[4:5]
	v_not_b32_e32 v5, v5
	v_ashrrev_i32_e32 v5, 31, v5
	v_and_b32_e32 v98, v98, v99
	v_xor_b32_e32 v99, vcc_hi, v5
	v_xor_b32_e32 v5, vcc_lo, v5
	v_and_b32_e32 v97, v97, v5
	v_lshlrev_b32_e32 v5, 28, v96
	v_cmp_gt_i64_e32 vcc, 0, v[4:5]
	v_not_b32_e32 v5, v5
	v_ashrrev_i32_e32 v5, 31, v5
	v_and_b32_e32 v98, v98, v99
	;; [unrolled: 8-line block ×5, first 2 shown]
	v_xor_b32_e32 v99, vcc_hi, v5
	v_xor_b32_e32 v5, vcc_lo, v5
	v_and_b32_e32 v98, v98, v99
	v_and_b32_e32 v99, v97, v5
	v_lshlrev_b32_e32 v5, 24, v96
	v_cmp_gt_i64_e32 vcc, 0, v[4:5]
	v_not_b32_e32 v5, v5
	v_ashrrev_i32_e32 v5, 31, v5
	v_xor_b32_e32 v96, vcc_hi, v5
	v_xor_b32_e32 v5, vcc_lo, v5
	v_and_b32_e32 v97, v98, v96
	v_and_b32_e32 v96, v99, v5
	v_mbcnt_lo_u32_b32 v5, v96, 0
	v_mbcnt_hi_u32_b32 v205, v97, v5
	v_cmp_eq_u32_e32 vcc, 0, v205
	v_cmp_ne_u64_e64 s[36:37], 0, v[96:97]
	s_and_b64 s[38:39], s[36:37], vcc
	; wave barrier
	s_and_saveexec_b64 s[36:37], s[38:39]
	s_cbranch_execz .LBB736_1042
; %bb.1041:                             ;   in Loop: Header=BB736_990 Depth=2
	v_bcnt_u32_b32 v5, v96, 0
	v_bcnt_u32_b32 v5, v97, v5
	s_waitcnt lgkmcnt(0)
	v_add_u32_e32 v5, v203, v5
	ds_write_b32 v204, v5
.LBB736_1042:                           ;   in Loop: Header=BB736_990 Depth=2
	s_or_b64 exec, exec, s[36:37]
	s_waitcnt vmcnt(6)
	v_xor_b32_e32 v93, 0x7fffffff, v93
	v_not_b32_e32 v92, v92
	v_lshrrev_b64 v[96:97], s84, v[92:93]
	v_and_b32_e32 v96, s68, v96
	v_mul_u32_u24_e32 v5, 5, v96
	v_add_lshl_u32 v5, v5, v181, 2
	; wave barrier
	v_add_u32_e32 v207, 0x410, v5
	ds_read_b32 v206, v5 offset:1040
	v_and_b32_e32 v5, 1, v96
	v_add_co_u32_e32 v97, vcc, -1, v5
	v_addc_co_u32_e64 v98, s[36:37], 0, -1, vcc
	v_cmp_ne_u32_e32 vcc, 0, v5
	v_xor_b32_e32 v5, vcc_hi, v98
	v_and_b32_e32 v98, exec_hi, v5
	v_lshlrev_b32_e32 v5, 30, v96
	v_xor_b32_e32 v97, vcc_lo, v97
	v_cmp_gt_i64_e32 vcc, 0, v[4:5]
	v_not_b32_e32 v5, v5
	v_ashrrev_i32_e32 v5, 31, v5
	v_and_b32_e32 v97, exec_lo, v97
	v_xor_b32_e32 v99, vcc_hi, v5
	v_xor_b32_e32 v5, vcc_lo, v5
	v_and_b32_e32 v97, v97, v5
	v_lshlrev_b32_e32 v5, 29, v96
	v_cmp_gt_i64_e32 vcc, 0, v[4:5]
	v_not_b32_e32 v5, v5
	v_ashrrev_i32_e32 v5, 31, v5
	v_and_b32_e32 v98, v98, v99
	v_xor_b32_e32 v99, vcc_hi, v5
	v_xor_b32_e32 v5, vcc_lo, v5
	v_and_b32_e32 v97, v97, v5
	v_lshlrev_b32_e32 v5, 28, v96
	v_cmp_gt_i64_e32 vcc, 0, v[4:5]
	v_not_b32_e32 v5, v5
	v_ashrrev_i32_e32 v5, 31, v5
	v_and_b32_e32 v98, v98, v99
	;; [unrolled: 8-line block ×5, first 2 shown]
	v_xor_b32_e32 v99, vcc_hi, v5
	v_xor_b32_e32 v5, vcc_lo, v5
	v_and_b32_e32 v98, v98, v99
	v_and_b32_e32 v99, v97, v5
	v_lshlrev_b32_e32 v5, 24, v96
	v_cmp_gt_i64_e32 vcc, 0, v[4:5]
	v_not_b32_e32 v5, v5
	v_ashrrev_i32_e32 v5, 31, v5
	v_xor_b32_e32 v96, vcc_hi, v5
	v_xor_b32_e32 v5, vcc_lo, v5
	v_and_b32_e32 v97, v98, v96
	v_and_b32_e32 v96, v99, v5
	v_mbcnt_lo_u32_b32 v5, v96, 0
	v_mbcnt_hi_u32_b32 v208, v97, v5
	v_cmp_eq_u32_e32 vcc, 0, v208
	v_cmp_ne_u64_e64 s[36:37], 0, v[96:97]
	s_and_b64 s[38:39], s[36:37], vcc
	; wave barrier
	s_and_saveexec_b64 s[36:37], s[38:39]
	s_cbranch_execz .LBB736_1044
; %bb.1043:                             ;   in Loop: Header=BB736_990 Depth=2
	v_bcnt_u32_b32 v5, v96, 0
	v_bcnt_u32_b32 v5, v97, v5
	s_waitcnt lgkmcnt(0)
	v_add_u32_e32 v5, v206, v5
	ds_write_b32 v207, v5
.LBB736_1044:                           ;   in Loop: Header=BB736_990 Depth=2
	s_or_b64 exec, exec, s[36:37]
	s_waitcnt vmcnt(5)
	v_xor_b32_e32 v89, 0x7fffffff, v89
	v_not_b32_e32 v88, v88
	v_lshrrev_b64 v[96:97], s84, v[88:89]
	v_and_b32_e32 v96, s68, v96
	v_mul_u32_u24_e32 v5, 5, v96
	v_add_lshl_u32 v5, v5, v181, 2
	; wave barrier
	v_add_u32_e32 v210, 0x410, v5
	ds_read_b32 v209, v5 offset:1040
	v_and_b32_e32 v5, 1, v96
	v_add_co_u32_e32 v97, vcc, -1, v5
	v_addc_co_u32_e64 v98, s[36:37], 0, -1, vcc
	v_cmp_ne_u32_e32 vcc, 0, v5
	v_xor_b32_e32 v5, vcc_hi, v98
	v_and_b32_e32 v98, exec_hi, v5
	v_lshlrev_b32_e32 v5, 30, v96
	v_xor_b32_e32 v97, vcc_lo, v97
	v_cmp_gt_i64_e32 vcc, 0, v[4:5]
	v_not_b32_e32 v5, v5
	v_ashrrev_i32_e32 v5, 31, v5
	v_and_b32_e32 v97, exec_lo, v97
	v_xor_b32_e32 v99, vcc_hi, v5
	v_xor_b32_e32 v5, vcc_lo, v5
	v_and_b32_e32 v97, v97, v5
	v_lshlrev_b32_e32 v5, 29, v96
	v_cmp_gt_i64_e32 vcc, 0, v[4:5]
	v_not_b32_e32 v5, v5
	v_ashrrev_i32_e32 v5, 31, v5
	v_and_b32_e32 v98, v98, v99
	v_xor_b32_e32 v99, vcc_hi, v5
	v_xor_b32_e32 v5, vcc_lo, v5
	v_and_b32_e32 v97, v97, v5
	v_lshlrev_b32_e32 v5, 28, v96
	v_cmp_gt_i64_e32 vcc, 0, v[4:5]
	v_not_b32_e32 v5, v5
	v_ashrrev_i32_e32 v5, 31, v5
	v_and_b32_e32 v98, v98, v99
	;; [unrolled: 8-line block ×5, first 2 shown]
	v_xor_b32_e32 v99, vcc_hi, v5
	v_xor_b32_e32 v5, vcc_lo, v5
	v_and_b32_e32 v98, v98, v99
	v_and_b32_e32 v99, v97, v5
	v_lshlrev_b32_e32 v5, 24, v96
	v_cmp_gt_i64_e32 vcc, 0, v[4:5]
	v_not_b32_e32 v5, v5
	v_ashrrev_i32_e32 v5, 31, v5
	v_xor_b32_e32 v96, vcc_hi, v5
	v_xor_b32_e32 v5, vcc_lo, v5
	v_and_b32_e32 v97, v98, v96
	v_and_b32_e32 v96, v99, v5
	v_mbcnt_lo_u32_b32 v5, v96, 0
	v_mbcnt_hi_u32_b32 v211, v97, v5
	v_cmp_eq_u32_e32 vcc, 0, v211
	v_cmp_ne_u64_e64 s[36:37], 0, v[96:97]
	s_and_b64 s[38:39], s[36:37], vcc
	; wave barrier
	s_and_saveexec_b64 s[36:37], s[38:39]
	s_cbranch_execz .LBB736_1046
; %bb.1045:                             ;   in Loop: Header=BB736_990 Depth=2
	v_bcnt_u32_b32 v5, v96, 0
	v_bcnt_u32_b32 v5, v97, v5
	s_waitcnt lgkmcnt(0)
	v_add_u32_e32 v5, v209, v5
	ds_write_b32 v210, v5
.LBB736_1046:                           ;   in Loop: Header=BB736_990 Depth=2
	s_or_b64 exec, exec, s[36:37]
	s_waitcnt vmcnt(4)
	v_xor_b32_e32 v85, 0x7fffffff, v85
	v_not_b32_e32 v84, v84
	v_lshrrev_b64 v[96:97], s84, v[84:85]
	v_and_b32_e32 v96, s68, v96
	v_mul_u32_u24_e32 v5, 5, v96
	v_add_lshl_u32 v5, v5, v181, 2
	; wave barrier
	v_add_u32_e32 v213, 0x410, v5
	ds_read_b32 v212, v5 offset:1040
	v_and_b32_e32 v5, 1, v96
	v_add_co_u32_e32 v97, vcc, -1, v5
	v_addc_co_u32_e64 v98, s[36:37], 0, -1, vcc
	v_cmp_ne_u32_e32 vcc, 0, v5
	v_xor_b32_e32 v5, vcc_hi, v98
	v_and_b32_e32 v98, exec_hi, v5
	v_lshlrev_b32_e32 v5, 30, v96
	v_xor_b32_e32 v97, vcc_lo, v97
	v_cmp_gt_i64_e32 vcc, 0, v[4:5]
	v_not_b32_e32 v5, v5
	v_ashrrev_i32_e32 v5, 31, v5
	v_and_b32_e32 v97, exec_lo, v97
	v_xor_b32_e32 v99, vcc_hi, v5
	v_xor_b32_e32 v5, vcc_lo, v5
	v_and_b32_e32 v97, v97, v5
	v_lshlrev_b32_e32 v5, 29, v96
	v_cmp_gt_i64_e32 vcc, 0, v[4:5]
	v_not_b32_e32 v5, v5
	v_ashrrev_i32_e32 v5, 31, v5
	v_and_b32_e32 v98, v98, v99
	v_xor_b32_e32 v99, vcc_hi, v5
	v_xor_b32_e32 v5, vcc_lo, v5
	v_and_b32_e32 v97, v97, v5
	v_lshlrev_b32_e32 v5, 28, v96
	v_cmp_gt_i64_e32 vcc, 0, v[4:5]
	v_not_b32_e32 v5, v5
	v_ashrrev_i32_e32 v5, 31, v5
	v_and_b32_e32 v98, v98, v99
	;; [unrolled: 8-line block ×5, first 2 shown]
	v_xor_b32_e32 v99, vcc_hi, v5
	v_xor_b32_e32 v5, vcc_lo, v5
	v_and_b32_e32 v98, v98, v99
	v_and_b32_e32 v99, v97, v5
	v_lshlrev_b32_e32 v5, 24, v96
	v_cmp_gt_i64_e32 vcc, 0, v[4:5]
	v_not_b32_e32 v5, v5
	v_ashrrev_i32_e32 v5, 31, v5
	v_xor_b32_e32 v96, vcc_hi, v5
	v_xor_b32_e32 v5, vcc_lo, v5
	v_and_b32_e32 v97, v98, v96
	v_and_b32_e32 v96, v99, v5
	v_mbcnt_lo_u32_b32 v5, v96, 0
	v_mbcnt_hi_u32_b32 v214, v97, v5
	v_cmp_eq_u32_e32 vcc, 0, v214
	v_cmp_ne_u64_e64 s[36:37], 0, v[96:97]
	s_and_b64 s[38:39], s[36:37], vcc
	; wave barrier
	s_and_saveexec_b64 s[36:37], s[38:39]
	s_cbranch_execz .LBB736_1048
; %bb.1047:                             ;   in Loop: Header=BB736_990 Depth=2
	v_bcnt_u32_b32 v5, v96, 0
	v_bcnt_u32_b32 v5, v97, v5
	s_waitcnt lgkmcnt(0)
	v_add_u32_e32 v5, v212, v5
	ds_write_b32 v213, v5
.LBB736_1048:                           ;   in Loop: Header=BB736_990 Depth=2
	s_or_b64 exec, exec, s[36:37]
	s_waitcnt vmcnt(3)
	v_xor_b32_e32 v81, 0x7fffffff, v81
	v_not_b32_e32 v80, v80
	v_lshrrev_b64 v[96:97], s84, v[80:81]
	v_and_b32_e32 v96, s68, v96
	v_mul_u32_u24_e32 v5, 5, v96
	v_add_lshl_u32 v5, v5, v181, 2
	; wave barrier
	v_add_u32_e32 v216, 0x410, v5
	ds_read_b32 v215, v5 offset:1040
	v_and_b32_e32 v5, 1, v96
	v_add_co_u32_e32 v97, vcc, -1, v5
	v_addc_co_u32_e64 v98, s[36:37], 0, -1, vcc
	v_cmp_ne_u32_e32 vcc, 0, v5
	v_xor_b32_e32 v5, vcc_hi, v98
	v_and_b32_e32 v98, exec_hi, v5
	v_lshlrev_b32_e32 v5, 30, v96
	v_xor_b32_e32 v97, vcc_lo, v97
	v_cmp_gt_i64_e32 vcc, 0, v[4:5]
	v_not_b32_e32 v5, v5
	v_ashrrev_i32_e32 v5, 31, v5
	v_and_b32_e32 v97, exec_lo, v97
	v_xor_b32_e32 v99, vcc_hi, v5
	v_xor_b32_e32 v5, vcc_lo, v5
	v_and_b32_e32 v97, v97, v5
	v_lshlrev_b32_e32 v5, 29, v96
	v_cmp_gt_i64_e32 vcc, 0, v[4:5]
	v_not_b32_e32 v5, v5
	v_ashrrev_i32_e32 v5, 31, v5
	v_and_b32_e32 v98, v98, v99
	v_xor_b32_e32 v99, vcc_hi, v5
	v_xor_b32_e32 v5, vcc_lo, v5
	v_and_b32_e32 v97, v97, v5
	v_lshlrev_b32_e32 v5, 28, v96
	v_cmp_gt_i64_e32 vcc, 0, v[4:5]
	v_not_b32_e32 v5, v5
	v_ashrrev_i32_e32 v5, 31, v5
	v_and_b32_e32 v98, v98, v99
	;; [unrolled: 8-line block ×5, first 2 shown]
	v_xor_b32_e32 v99, vcc_hi, v5
	v_xor_b32_e32 v5, vcc_lo, v5
	v_and_b32_e32 v98, v98, v99
	v_and_b32_e32 v99, v97, v5
	v_lshlrev_b32_e32 v5, 24, v96
	v_cmp_gt_i64_e32 vcc, 0, v[4:5]
	v_not_b32_e32 v5, v5
	v_ashrrev_i32_e32 v5, 31, v5
	v_xor_b32_e32 v96, vcc_hi, v5
	v_xor_b32_e32 v5, vcc_lo, v5
	v_and_b32_e32 v97, v98, v96
	v_and_b32_e32 v96, v99, v5
	v_mbcnt_lo_u32_b32 v5, v96, 0
	v_mbcnt_hi_u32_b32 v217, v97, v5
	v_cmp_eq_u32_e32 vcc, 0, v217
	v_cmp_ne_u64_e64 s[36:37], 0, v[96:97]
	s_and_b64 s[38:39], s[36:37], vcc
	; wave barrier
	s_and_saveexec_b64 s[36:37], s[38:39]
	s_cbranch_execz .LBB736_1050
; %bb.1049:                             ;   in Loop: Header=BB736_990 Depth=2
	v_bcnt_u32_b32 v5, v96, 0
	v_bcnt_u32_b32 v5, v97, v5
	s_waitcnt lgkmcnt(0)
	v_add_u32_e32 v5, v215, v5
	ds_write_b32 v216, v5
.LBB736_1050:                           ;   in Loop: Header=BB736_990 Depth=2
	s_or_b64 exec, exec, s[36:37]
	s_waitcnt vmcnt(2)
	v_xor_b32_e32 v77, 0x7fffffff, v77
	v_not_b32_e32 v76, v76
	v_lshrrev_b64 v[96:97], s84, v[76:77]
	v_and_b32_e32 v96, s68, v96
	v_mul_u32_u24_e32 v5, 5, v96
	v_add_lshl_u32 v5, v5, v181, 2
	; wave barrier
	v_add_u32_e32 v219, 0x410, v5
	ds_read_b32 v218, v5 offset:1040
	v_and_b32_e32 v5, 1, v96
	v_add_co_u32_e32 v97, vcc, -1, v5
	v_addc_co_u32_e64 v98, s[36:37], 0, -1, vcc
	v_cmp_ne_u32_e32 vcc, 0, v5
	v_xor_b32_e32 v5, vcc_hi, v98
	v_and_b32_e32 v98, exec_hi, v5
	v_lshlrev_b32_e32 v5, 30, v96
	v_xor_b32_e32 v97, vcc_lo, v97
	v_cmp_gt_i64_e32 vcc, 0, v[4:5]
	v_not_b32_e32 v5, v5
	v_ashrrev_i32_e32 v5, 31, v5
	v_and_b32_e32 v97, exec_lo, v97
	v_xor_b32_e32 v99, vcc_hi, v5
	v_xor_b32_e32 v5, vcc_lo, v5
	v_and_b32_e32 v97, v97, v5
	v_lshlrev_b32_e32 v5, 29, v96
	v_cmp_gt_i64_e32 vcc, 0, v[4:5]
	v_not_b32_e32 v5, v5
	v_ashrrev_i32_e32 v5, 31, v5
	v_and_b32_e32 v98, v98, v99
	v_xor_b32_e32 v99, vcc_hi, v5
	v_xor_b32_e32 v5, vcc_lo, v5
	v_and_b32_e32 v97, v97, v5
	v_lshlrev_b32_e32 v5, 28, v96
	v_cmp_gt_i64_e32 vcc, 0, v[4:5]
	v_not_b32_e32 v5, v5
	v_ashrrev_i32_e32 v5, 31, v5
	v_and_b32_e32 v98, v98, v99
	;; [unrolled: 8-line block ×5, first 2 shown]
	v_xor_b32_e32 v99, vcc_hi, v5
	v_xor_b32_e32 v5, vcc_lo, v5
	v_and_b32_e32 v98, v98, v99
	v_and_b32_e32 v99, v97, v5
	v_lshlrev_b32_e32 v5, 24, v96
	v_cmp_gt_i64_e32 vcc, 0, v[4:5]
	v_not_b32_e32 v5, v5
	v_ashrrev_i32_e32 v5, 31, v5
	v_xor_b32_e32 v96, vcc_hi, v5
	v_xor_b32_e32 v5, vcc_lo, v5
	v_and_b32_e32 v97, v98, v96
	v_and_b32_e32 v96, v99, v5
	v_mbcnt_lo_u32_b32 v5, v96, 0
	v_mbcnt_hi_u32_b32 v220, v97, v5
	v_cmp_eq_u32_e32 vcc, 0, v220
	v_cmp_ne_u64_e64 s[36:37], 0, v[96:97]
	s_and_b64 s[38:39], s[36:37], vcc
	; wave barrier
	s_and_saveexec_b64 s[36:37], s[38:39]
	s_cbranch_execz .LBB736_1052
; %bb.1051:                             ;   in Loop: Header=BB736_990 Depth=2
	v_bcnt_u32_b32 v5, v96, 0
	v_bcnt_u32_b32 v5, v97, v5
	s_waitcnt lgkmcnt(0)
	v_add_u32_e32 v5, v218, v5
	ds_write_b32 v219, v5
.LBB736_1052:                           ;   in Loop: Header=BB736_990 Depth=2
	s_or_b64 exec, exec, s[36:37]
	s_waitcnt vmcnt(1)
	v_xor_b32_e32 v73, 0x7fffffff, v73
	v_not_b32_e32 v72, v72
	v_lshrrev_b64 v[96:97], s84, v[72:73]
	v_and_b32_e32 v96, s68, v96
	v_mul_u32_u24_e32 v5, 5, v96
	v_add_lshl_u32 v5, v5, v181, 2
	; wave barrier
	v_add_u32_e32 v222, 0x410, v5
	ds_read_b32 v221, v5 offset:1040
	v_and_b32_e32 v5, 1, v96
	v_add_co_u32_e32 v97, vcc, -1, v5
	v_addc_co_u32_e64 v98, s[36:37], 0, -1, vcc
	v_cmp_ne_u32_e32 vcc, 0, v5
	v_xor_b32_e32 v5, vcc_hi, v98
	v_and_b32_e32 v98, exec_hi, v5
	v_lshlrev_b32_e32 v5, 30, v96
	v_xor_b32_e32 v97, vcc_lo, v97
	v_cmp_gt_i64_e32 vcc, 0, v[4:5]
	v_not_b32_e32 v5, v5
	v_ashrrev_i32_e32 v5, 31, v5
	v_and_b32_e32 v97, exec_lo, v97
	v_xor_b32_e32 v99, vcc_hi, v5
	v_xor_b32_e32 v5, vcc_lo, v5
	v_and_b32_e32 v97, v97, v5
	v_lshlrev_b32_e32 v5, 29, v96
	v_cmp_gt_i64_e32 vcc, 0, v[4:5]
	v_not_b32_e32 v5, v5
	v_ashrrev_i32_e32 v5, 31, v5
	v_and_b32_e32 v98, v98, v99
	v_xor_b32_e32 v99, vcc_hi, v5
	v_xor_b32_e32 v5, vcc_lo, v5
	v_and_b32_e32 v97, v97, v5
	v_lshlrev_b32_e32 v5, 28, v96
	v_cmp_gt_i64_e32 vcc, 0, v[4:5]
	v_not_b32_e32 v5, v5
	v_ashrrev_i32_e32 v5, 31, v5
	v_and_b32_e32 v98, v98, v99
	v_xor_b32_e32 v99, vcc_hi, v5
	v_xor_b32_e32 v5, vcc_lo, v5
	v_and_b32_e32 v97, v97, v5
	v_lshlrev_b32_e32 v5, 27, v96
	v_cmp_gt_i64_e32 vcc, 0, v[4:5]
	v_not_b32_e32 v5, v5
	v_ashrrev_i32_e32 v5, 31, v5
	v_and_b32_e32 v98, v98, v99
	v_xor_b32_e32 v99, vcc_hi, v5
	v_xor_b32_e32 v5, vcc_lo, v5
	v_and_b32_e32 v97, v97, v5
	v_lshlrev_b32_e32 v5, 26, v96
	v_cmp_gt_i64_e32 vcc, 0, v[4:5]
	v_not_b32_e32 v5, v5
	v_ashrrev_i32_e32 v5, 31, v5
	v_and_b32_e32 v98, v98, v99
	v_xor_b32_e32 v99, vcc_hi, v5
	v_xor_b32_e32 v5, vcc_lo, v5
	v_and_b32_e32 v97, v97, v5
	v_lshlrev_b32_e32 v5, 25, v96
	v_cmp_gt_i64_e32 vcc, 0, v[4:5]
	v_not_b32_e32 v5, v5
	v_ashrrev_i32_e32 v5, 31, v5
	v_and_b32_e32 v98, v98, v99
	v_xor_b32_e32 v99, vcc_hi, v5
	v_xor_b32_e32 v5, vcc_lo, v5
	v_and_b32_e32 v98, v98, v99
	v_and_b32_e32 v99, v97, v5
	v_lshlrev_b32_e32 v5, 24, v96
	v_cmp_gt_i64_e32 vcc, 0, v[4:5]
	v_not_b32_e32 v5, v5
	v_ashrrev_i32_e32 v5, 31, v5
	v_xor_b32_e32 v96, vcc_hi, v5
	v_xor_b32_e32 v5, vcc_lo, v5
	v_and_b32_e32 v97, v98, v96
	v_and_b32_e32 v96, v99, v5
	v_mbcnt_lo_u32_b32 v5, v96, 0
	v_mbcnt_hi_u32_b32 v223, v97, v5
	v_cmp_eq_u32_e32 vcc, 0, v223
	v_cmp_ne_u64_e64 s[36:37], 0, v[96:97]
	s_and_b64 s[38:39], s[36:37], vcc
	; wave barrier
	s_and_saveexec_b64 s[36:37], s[38:39]
	s_cbranch_execz .LBB736_1054
; %bb.1053:                             ;   in Loop: Header=BB736_990 Depth=2
	v_bcnt_u32_b32 v5, v96, 0
	v_bcnt_u32_b32 v5, v97, v5
	s_waitcnt lgkmcnt(0)
	v_add_u32_e32 v5, v221, v5
	ds_write_b32 v222, v5
.LBB736_1054:                           ;   in Loop: Header=BB736_990 Depth=2
	s_or_b64 exec, exec, s[36:37]
	s_waitcnt vmcnt(0)
	v_xor_b32_e32 v69, 0x7fffffff, v69
	v_not_b32_e32 v68, v68
	v_lshrrev_b64 v[96:97], s84, v[68:69]
	v_and_b32_e32 v96, s68, v96
	v_mul_u32_u24_e32 v5, 5, v96
	v_add_lshl_u32 v5, v5, v181, 2
	; wave barrier
	v_add_u32_e32 v225, 0x410, v5
	ds_read_b32 v224, v5 offset:1040
	v_and_b32_e32 v5, 1, v96
	v_add_co_u32_e32 v97, vcc, -1, v5
	v_addc_co_u32_e64 v98, s[36:37], 0, -1, vcc
	v_cmp_ne_u32_e32 vcc, 0, v5
	v_xor_b32_e32 v5, vcc_hi, v98
	v_and_b32_e32 v98, exec_hi, v5
	v_lshlrev_b32_e32 v5, 30, v96
	v_xor_b32_e32 v97, vcc_lo, v97
	v_cmp_gt_i64_e32 vcc, 0, v[4:5]
	v_not_b32_e32 v5, v5
	v_ashrrev_i32_e32 v5, 31, v5
	v_and_b32_e32 v97, exec_lo, v97
	v_xor_b32_e32 v99, vcc_hi, v5
	v_xor_b32_e32 v5, vcc_lo, v5
	v_and_b32_e32 v97, v97, v5
	v_lshlrev_b32_e32 v5, 29, v96
	v_cmp_gt_i64_e32 vcc, 0, v[4:5]
	v_not_b32_e32 v5, v5
	v_ashrrev_i32_e32 v5, 31, v5
	v_and_b32_e32 v98, v98, v99
	v_xor_b32_e32 v99, vcc_hi, v5
	v_xor_b32_e32 v5, vcc_lo, v5
	v_and_b32_e32 v97, v97, v5
	v_lshlrev_b32_e32 v5, 28, v96
	v_cmp_gt_i64_e32 vcc, 0, v[4:5]
	v_not_b32_e32 v5, v5
	v_ashrrev_i32_e32 v5, 31, v5
	v_and_b32_e32 v98, v98, v99
	;; [unrolled: 8-line block ×5, first 2 shown]
	v_xor_b32_e32 v99, vcc_hi, v5
	v_xor_b32_e32 v5, vcc_lo, v5
	v_and_b32_e32 v98, v98, v99
	v_and_b32_e32 v99, v97, v5
	v_lshlrev_b32_e32 v5, 24, v96
	v_cmp_gt_i64_e32 vcc, 0, v[4:5]
	v_not_b32_e32 v5, v5
	v_ashrrev_i32_e32 v5, 31, v5
	v_xor_b32_e32 v96, vcc_hi, v5
	v_xor_b32_e32 v5, vcc_lo, v5
	v_and_b32_e32 v97, v98, v96
	v_and_b32_e32 v96, v99, v5
	v_mbcnt_lo_u32_b32 v5, v96, 0
	v_mbcnt_hi_u32_b32 v226, v97, v5
	v_cmp_eq_u32_e32 vcc, 0, v226
	v_cmp_ne_u64_e64 s[36:37], 0, v[96:97]
	s_and_b64 s[38:39], s[36:37], vcc
	; wave barrier
	s_and_saveexec_b64 s[36:37], s[38:39]
	s_cbranch_execz .LBB736_1056
; %bb.1055:                             ;   in Loop: Header=BB736_990 Depth=2
	v_bcnt_u32_b32 v5, v96, 0
	v_bcnt_u32_b32 v5, v97, v5
	s_waitcnt lgkmcnt(0)
	v_add_u32_e32 v5, v224, v5
	ds_write_b32 v225, v5
.LBB736_1056:                           ;   in Loop: Header=BB736_990 Depth=2
	s_or_b64 exec, exec, s[36:37]
	v_xor_b32_e32 v71, 0x7fffffff, v71
	v_not_b32_e32 v70, v70
	v_lshrrev_b64 v[96:97], s84, v[70:71]
	v_and_b32_e32 v96, s68, v96
	v_mul_u32_u24_e32 v5, 5, v96
	v_add_lshl_u32 v5, v5, v181, 2
	; wave barrier
	v_add_u32_e32 v228, 0x410, v5
	ds_read_b32 v227, v5 offset:1040
	v_and_b32_e32 v5, 1, v96
	v_add_co_u32_e32 v97, vcc, -1, v5
	v_addc_co_u32_e64 v98, s[36:37], 0, -1, vcc
	v_cmp_ne_u32_e32 vcc, 0, v5
	v_xor_b32_e32 v5, vcc_hi, v98
	v_and_b32_e32 v98, exec_hi, v5
	v_lshlrev_b32_e32 v5, 30, v96
	v_xor_b32_e32 v97, vcc_lo, v97
	v_cmp_gt_i64_e32 vcc, 0, v[4:5]
	v_not_b32_e32 v5, v5
	v_ashrrev_i32_e32 v5, 31, v5
	v_and_b32_e32 v97, exec_lo, v97
	v_xor_b32_e32 v99, vcc_hi, v5
	v_xor_b32_e32 v5, vcc_lo, v5
	v_and_b32_e32 v97, v97, v5
	v_lshlrev_b32_e32 v5, 29, v96
	v_cmp_gt_i64_e32 vcc, 0, v[4:5]
	v_not_b32_e32 v5, v5
	v_ashrrev_i32_e32 v5, 31, v5
	v_and_b32_e32 v98, v98, v99
	v_xor_b32_e32 v99, vcc_hi, v5
	v_xor_b32_e32 v5, vcc_lo, v5
	v_and_b32_e32 v97, v97, v5
	v_lshlrev_b32_e32 v5, 28, v96
	v_cmp_gt_i64_e32 vcc, 0, v[4:5]
	v_not_b32_e32 v5, v5
	v_ashrrev_i32_e32 v5, 31, v5
	v_and_b32_e32 v98, v98, v99
	;; [unrolled: 8-line block ×5, first 2 shown]
	v_xor_b32_e32 v99, vcc_hi, v5
	v_xor_b32_e32 v5, vcc_lo, v5
	v_and_b32_e32 v98, v98, v99
	v_and_b32_e32 v99, v97, v5
	v_lshlrev_b32_e32 v5, 24, v96
	v_cmp_gt_i64_e32 vcc, 0, v[4:5]
	v_not_b32_e32 v5, v5
	v_ashrrev_i32_e32 v5, 31, v5
	v_xor_b32_e32 v96, vcc_hi, v5
	v_xor_b32_e32 v5, vcc_lo, v5
	v_and_b32_e32 v97, v98, v96
	v_and_b32_e32 v96, v99, v5
	v_mbcnt_lo_u32_b32 v5, v96, 0
	v_mbcnt_hi_u32_b32 v229, v97, v5
	v_cmp_eq_u32_e32 vcc, 0, v229
	v_cmp_ne_u64_e64 s[36:37], 0, v[96:97]
	s_and_b64 s[38:39], s[36:37], vcc
	; wave barrier
	s_and_saveexec_b64 s[36:37], s[38:39]
	s_cbranch_execz .LBB736_1058
; %bb.1057:                             ;   in Loop: Header=BB736_990 Depth=2
	v_bcnt_u32_b32 v5, v96, 0
	v_bcnt_u32_b32 v5, v97, v5
	s_waitcnt lgkmcnt(0)
	v_add_u32_e32 v5, v227, v5
	ds_write_b32 v228, v5
.LBB736_1058:                           ;   in Loop: Header=BB736_990 Depth=2
	s_or_b64 exec, exec, s[36:37]
	; wave barrier
	s_waitcnt lgkmcnt(0)
	s_barrier
	ds_read_b32 v5, v27 offset:1040
	ds_read2_b32 v[98:99], v31 offset0:1 offset1:2
	ds_read2_b32 v[96:97], v31 offset0:3 offset1:4
	s_waitcnt lgkmcnt(1)
	v_add3_u32 v230, v98, v5, v99
	s_waitcnt lgkmcnt(0)
	v_add3_u32 v97, v230, v96, v97
	s_nop 1
	v_mov_b32_dpp v230, v97 row_shr:1 row_mask:0xf bank_mask:0xf
	v_cndmask_b32_e64 v230, v230, 0, s[16:17]
	v_add_u32_e32 v97, v230, v97
	s_nop 1
	v_mov_b32_dpp v230, v97 row_shr:2 row_mask:0xf bank_mask:0xf
	v_cndmask_b32_e64 v230, 0, v230, s[18:19]
	v_add_u32_e32 v97, v97, v230
	;; [unrolled: 4-line block ×4, first 2 shown]
	s_nop 1
	v_mov_b32_dpp v230, v97 row_bcast:15 row_mask:0xf bank_mask:0xf
	v_cndmask_b32_e64 v230, v230, 0, s[24:25]
	v_add_u32_e32 v97, v97, v230
	s_nop 1
	v_mov_b32_dpp v230, v97 row_bcast:31 row_mask:0xf bank_mask:0xf
	v_cndmask_b32_e64 v230, 0, v230, s[26:27]
	v_add_u32_e32 v97, v97, v230
	s_and_saveexec_b64 s[36:37], s[6:7]
	s_cbranch_execz .LBB736_1060
; %bb.1059:                             ;   in Loop: Header=BB736_990 Depth=2
	ds_write_b32 v15, v97 offset:1024
.LBB736_1060:                           ;   in Loop: Header=BB736_990 Depth=2
	s_or_b64 exec, exec, s[36:37]
	s_waitcnt lgkmcnt(0)
	s_barrier
	s_and_saveexec_b64 s[36:37], s[8:9]
	s_cbranch_execz .LBB736_1062
; %bb.1061:                             ;   in Loop: Header=BB736_990 Depth=2
	ds_read_b32 v230, v33 offset:1024
	s_waitcnt lgkmcnt(0)
	s_nop 0
	v_mov_b32_dpp v231, v230 row_shr:1 row_mask:0xf bank_mask:0xf
	v_cndmask_b32_e64 v231, v231, 0, s[30:31]
	v_add_u32_e32 v230, v231, v230
	s_nop 1
	v_mov_b32_dpp v231, v230 row_shr:2 row_mask:0xf bank_mask:0xf
	v_cndmask_b32_e64 v231, 0, v231, s[34:35]
	v_add_u32_e32 v230, v230, v231
	ds_write_b32 v33, v230 offset:1024
.LBB736_1062:                           ;   in Loop: Header=BB736_990 Depth=2
	s_or_b64 exec, exec, s[36:37]
	v_mov_b32_e32 v230, 0
	s_waitcnt lgkmcnt(0)
	s_barrier
	s_and_saveexec_b64 s[36:37], s[10:11]
	s_cbranch_execz .LBB736_1064
; %bb.1063:                             ;   in Loop: Header=BB736_990 Depth=2
	ds_read_b32 v230, v15 offset:1020
.LBB736_1064:                           ;   in Loop: Header=BB736_990 Depth=2
	s_or_b64 exec, exec, s[36:37]
	s_waitcnt lgkmcnt(0)
	v_add_u32_e32 v97, v230, v97
	ds_bpermute_b32 v97, v158, v97
	s_waitcnt lgkmcnt(0)
	v_cndmask_b32_e64 v97, v97, v230, s[28:29]
	v_cndmask_b32_e64 v97, v97, 0, s[12:13]
	v_add_u32_e32 v5, v97, v5
	ds_write_b32 v27, v97 offset:1040
	v_add_u32_e32 v97, v5, v98
	v_add_u32_e32 v98, v97, v99
	ds_write2_b32 v31, v5, v97 offset0:1 offset1:2
	v_add_u32_e32 v5, v98, v96
	ds_write2_b32 v31, v98, v5 offset0:3 offset1:4
	s_waitcnt lgkmcnt(0)
	s_barrier
	ds_read_b32 v97, v186
	ds_read_b32 v234, v189
	;; [unrolled: 1-line block ×16, first 2 shown]
	ds_read_b32 v183, v27 offset:1040
	v_mov_b32_e32 v5, 0x1000
	s_and_saveexec_b64 s[36:37], s[14:15]
	s_cbranch_execz .LBB736_1066
; %bb.1065:                             ;   in Loop: Header=BB736_990 Depth=2
	ds_read_b32 v5, v27 offset:1060
.LBB736_1066:                           ;   in Loop: Header=BB736_990 Depth=2
	s_or_b64 exec, exec, s[36:37]
	s_waitcnt lgkmcnt(0)
	s_barrier
	s_and_saveexec_b64 s[36:37], s[4:5]
	s_cbranch_execz .LBB736_1068
; %bb.1067:                             ;   in Loop: Header=BB736_990 Depth=2
	ds_read_b32 v207, v3
	s_waitcnt lgkmcnt(0)
	v_sub_u32_e32 v183, v207, v183
	ds_write_b32 v3, v183
.LBB736_1068:                           ;   in Loop: Header=BB736_990 Depth=2
	s_or_b64 exec, exec, s[36:37]
	v_add_u32_e32 v185, v187, v185
	v_add_u32_e32 v188, v190, v188
	v_add_lshl_u32 v96, v96, v184, 3
	v_add_lshl_u32 v97, v185, v97, 3
	v_add_u32_e32 v191, v193, v191
	ds_write_b64 v96, v[64:65] offset:1024
	ds_write_b64 v97, v[66:67] offset:1024
	v_add_lshl_u32 v67, v188, v234, 3
	v_add_u32_e32 v197, v199, v197
	v_add_u32_e32 v194, v196, v194
	ds_write_b64 v67, v[74:75] offset:1024
	v_add_lshl_u32 v74, v191, v233, 3
	v_add_u32_e32 v212, v214, v212
	v_add_u32_e32 v209, v211, v209
	;; [unrolled: 1-line block ×5, first 2 shown]
	ds_write_b64 v74, v[78:79] offset:1024
	v_add_lshl_u32 v75, v194, v232, 3
	v_add_lshl_u32 v78, v197, v231, 3
	v_add_u32_e32 v215, v217, v215
	ds_write_b64 v75, v[82:83] offset:1024
	ds_write_b64 v78, v[86:87] offset:1024
	v_add_lshl_u32 v79, v200, v230, 3
	v_add_lshl_u32 v82, v203, v204, 3
	;; [unrolled: 1-line block ×5, first 2 shown]
	v_add_u32_e32 v213, v220, v218
	ds_write_b64 v79, v[90:91] offset:1024
	ds_write_b64 v82, v[94:95] offset:1024
	;; [unrolled: 1-line block ×5, first 2 shown]
	v_add_lshl_u32 v84, v215, v192, 3
	v_add_u32_e32 v210, v223, v221
	ds_write_b64 v84, v[80:81] offset:1024
	v_add_lshl_u32 v80, v213, v189, 3
	v_add_u32_e32 v207, v226, v224
	ds_write_b64 v80, v[76:77] offset:1024
	;; [unrolled: 3-line block ×3, first 2 shown]
	v_add_lshl_u32 v72, v207, v99, 3
	ds_write_b64 v72, v[68:69] offset:1024
	v_add_lshl_u32 v68, v183, v98, 3
	v_cmp_lt_u32_e64 s[36:37], v2, v182
	v_add_u32_e32 v66, v33, v3
	ds_write_b64 v68, v[70:71] offset:1024
	s_waitcnt lgkmcnt(0)
	s_barrier
	s_and_saveexec_b64 s[38:39], s[36:37]
	s_cbranch_execz .LBB736_1084
; %bb.1069:                             ;   in Loop: Header=BB736_990 Depth=2
	ds_read_b64 v[64:65], v66 offset:1024
	v_mov_b32_e32 v73, s77
	s_waitcnt lgkmcnt(0)
	v_lshrrev_b64 v[70:71], s84, v[64:65]
	v_and_b32_e32 v69, s68, v70
	v_lshlrev_b32_e32 v69, 2, v69
	ds_read_b32 v69, v69
	v_mov_b32_e32 v71, v4
	v_xor_b32_e32 v65, 0x7fffffff, v65
	v_not_b32_e32 v64, v64
	s_waitcnt lgkmcnt(0)
	v_add_u32_e32 v70, v69, v2
	v_lshlrev_b64 v[70:71], 3, v[70:71]
	v_add_co_u32_e32 v70, vcc, s76, v70
	v_addc_co_u32_e32 v71, vcc, v73, v71, vcc
	global_store_dwordx2 v[70:71], v[64:65], off
	s_or_b64 exec, exec, s[38:39]
	v_cmp_lt_u32_e64 s[38:39], v7, v182
	s_and_saveexec_b64 s[40:41], s[38:39]
	s_cbranch_execnz .LBB736_1085
.LBB736_1070:                           ;   in Loop: Header=BB736_990 Depth=2
	s_or_b64 exec, exec, s[40:41]
	v_cmp_lt_u32_e64 s[40:41], v6, v182
	s_and_saveexec_b64 s[42:43], s[40:41]
	s_cbranch_execz .LBB736_1086
.LBB736_1071:                           ;   in Loop: Header=BB736_990 Depth=2
	ds_read_b64 v[64:65], v104 offset:4096
	v_mov_b32_e32 v73, s77
	s_waitcnt lgkmcnt(0)
	v_lshrrev_b64 v[70:71], s84, v[64:65]
	v_and_b32_e32 v69, s68, v70
	v_lshlrev_b32_e32 v69, 2, v69
	ds_read_b32 v69, v69
	v_mov_b32_e32 v71, v4
	v_xor_b32_e32 v65, 0x7fffffff, v65
	v_not_b32_e32 v64, v64
	s_waitcnt lgkmcnt(0)
	v_add_u32_e32 v70, v69, v6
	v_lshlrev_b64 v[70:71], 3, v[70:71]
	v_add_co_u32_e32 v70, vcc, s76, v70
	v_addc_co_u32_e32 v71, vcc, v73, v71, vcc
	global_store_dwordx2 v[70:71], v[64:65], off
	s_or_b64 exec, exec, s[42:43]
	v_cmp_lt_u32_e64 s[42:43], v8, v182
	s_and_saveexec_b64 s[44:45], s[42:43]
	s_cbranch_execnz .LBB736_1087
.LBB736_1072:                           ;   in Loop: Header=BB736_990 Depth=2
	s_or_b64 exec, exec, s[44:45]
	v_cmp_lt_u32_e64 s[44:45], v10, v182
	s_and_saveexec_b64 s[46:47], s[44:45]
	s_cbranch_execz .LBB736_1088
.LBB736_1073:                           ;   in Loop: Header=BB736_990 Depth=2
	ds_read_b64 v[64:65], v104 offset:8192
	v_mov_b32_e32 v73, s77
	s_waitcnt lgkmcnt(0)
	v_lshrrev_b64 v[70:71], s84, v[64:65]
	v_and_b32_e32 v69, s68, v70
	v_lshlrev_b32_e32 v69, 2, v69
	ds_read_b32 v69, v69
	v_mov_b32_e32 v71, v4
	v_xor_b32_e32 v65, 0x7fffffff, v65
	v_not_b32_e32 v64, v64
	s_waitcnt lgkmcnt(0)
	v_add_u32_e32 v70, v69, v10
	v_lshlrev_b64 v[70:71], 3, v[70:71]
	v_add_co_u32_e32 v70, vcc, s76, v70
	v_addc_co_u32_e32 v71, vcc, v73, v71, vcc
	global_store_dwordx2 v[70:71], v[64:65], off
	s_or_b64 exec, exec, s[46:47]
	v_cmp_lt_u32_e64 s[46:47], v12, v182
	s_and_saveexec_b64 s[48:49], s[46:47]
	s_cbranch_execnz .LBB736_1089
.LBB736_1074:                           ;   in Loop: Header=BB736_990 Depth=2
	s_or_b64 exec, exec, s[48:49]
	v_cmp_lt_u32_e64 s[48:49], v14, v182
	s_and_saveexec_b64 s[50:51], s[48:49]
	s_cbranch_execz .LBB736_1090
.LBB736_1075:                           ;   in Loop: Header=BB736_990 Depth=2
	ds_read_b64 v[64:65], v104 offset:12288
	v_mov_b32_e32 v73, s77
	s_waitcnt lgkmcnt(0)
	v_lshrrev_b64 v[70:71], s84, v[64:65]
	v_and_b32_e32 v69, s68, v70
	v_lshlrev_b32_e32 v69, 2, v69
	ds_read_b32 v69, v69
	v_mov_b32_e32 v71, v4
	v_xor_b32_e32 v65, 0x7fffffff, v65
	v_not_b32_e32 v64, v64
	s_waitcnt lgkmcnt(0)
	v_add_u32_e32 v70, v69, v14
	v_lshlrev_b64 v[70:71], 3, v[70:71]
	v_add_co_u32_e32 v70, vcc, s76, v70
	v_addc_co_u32_e32 v71, vcc, v73, v71, vcc
	global_store_dwordx2 v[70:71], v[64:65], off
	s_or_b64 exec, exec, s[50:51]
	v_cmp_lt_u32_e64 s[50:51], v16, v182
	s_and_saveexec_b64 s[52:53], s[50:51]
	s_cbranch_execnz .LBB736_1091
.LBB736_1076:                           ;   in Loop: Header=BB736_990 Depth=2
	s_or_b64 exec, exec, s[52:53]
	v_cmp_lt_u32_e64 s[52:53], v18, v182
	s_and_saveexec_b64 s[54:55], s[52:53]
	s_cbranch_execz .LBB736_1092
.LBB736_1077:                           ;   in Loop: Header=BB736_990 Depth=2
	ds_read_b64 v[64:65], v104 offset:16384
	v_mov_b32_e32 v73, s77
	s_waitcnt lgkmcnt(0)
	v_lshrrev_b64 v[70:71], s84, v[64:65]
	v_and_b32_e32 v69, s68, v70
	v_lshlrev_b32_e32 v69, 2, v69
	ds_read_b32 v69, v69
	v_mov_b32_e32 v71, v4
	v_xor_b32_e32 v65, 0x7fffffff, v65
	v_not_b32_e32 v64, v64
	s_waitcnt lgkmcnt(0)
	v_add_u32_e32 v70, v69, v18
	v_lshlrev_b64 v[70:71], 3, v[70:71]
	v_add_co_u32_e32 v70, vcc, s76, v70
	v_addc_co_u32_e32 v71, vcc, v73, v71, vcc
	global_store_dwordx2 v[70:71], v[64:65], off
	s_or_b64 exec, exec, s[54:55]
	v_cmp_lt_u32_e64 s[54:55], v20, v182
	s_and_saveexec_b64 s[56:57], s[54:55]
	s_cbranch_execnz .LBB736_1093
.LBB736_1078:                           ;   in Loop: Header=BB736_990 Depth=2
	s_or_b64 exec, exec, s[56:57]
	v_cmp_lt_u32_e64 s[56:57], v22, v182
	s_and_saveexec_b64 s[58:59], s[56:57]
	s_cbranch_execz .LBB736_1094
.LBB736_1079:                           ;   in Loop: Header=BB736_990 Depth=2
	ds_read_b64 v[64:65], v104 offset:20480
	v_mov_b32_e32 v73, s77
	s_waitcnt lgkmcnt(0)
	v_lshrrev_b64 v[70:71], s84, v[64:65]
	v_and_b32_e32 v69, s68, v70
	v_lshlrev_b32_e32 v69, 2, v69
	ds_read_b32 v69, v69
	v_mov_b32_e32 v71, v4
	v_xor_b32_e32 v65, 0x7fffffff, v65
	v_not_b32_e32 v64, v64
	s_waitcnt lgkmcnt(0)
	v_add_u32_e32 v70, v69, v22
	v_lshlrev_b64 v[70:71], 3, v[70:71]
	v_add_co_u32_e32 v70, vcc, s76, v70
	v_addc_co_u32_e32 v71, vcc, v73, v71, vcc
	global_store_dwordx2 v[70:71], v[64:65], off
	s_or_b64 exec, exec, s[58:59]
	v_cmp_lt_u32_e64 s[58:59], v24, v182
	s_and_saveexec_b64 s[60:61], s[58:59]
	s_cbranch_execnz .LBB736_1095
.LBB736_1080:                           ;   in Loop: Header=BB736_990 Depth=2
	s_or_b64 exec, exec, s[60:61]
	v_cmp_lt_u32_e64 s[60:61], v26, v182
	s_and_saveexec_b64 s[62:63], s[60:61]
	s_cbranch_execz .LBB736_1096
.LBB736_1081:                           ;   in Loop: Header=BB736_990 Depth=2
	ds_read_b64 v[64:65], v104 offset:24576
	v_mov_b32_e32 v73, s77
	s_waitcnt lgkmcnt(0)
	v_lshrrev_b64 v[70:71], s84, v[64:65]
	v_and_b32_e32 v69, s68, v70
	v_lshlrev_b32_e32 v69, 2, v69
	ds_read_b32 v69, v69
	v_mov_b32_e32 v71, v4
	v_xor_b32_e32 v65, 0x7fffffff, v65
	v_not_b32_e32 v64, v64
	s_waitcnt lgkmcnt(0)
	v_add_u32_e32 v70, v69, v26
	v_lshlrev_b64 v[70:71], 3, v[70:71]
	v_add_co_u32_e32 v70, vcc, s76, v70
	v_addc_co_u32_e32 v71, vcc, v73, v71, vcc
	global_store_dwordx2 v[70:71], v[64:65], off
	s_or_b64 exec, exec, s[62:63]
	v_cmp_lt_u32_e64 s[62:63], v28, v182
	s_and_saveexec_b64 s[64:65], s[62:63]
	s_cbranch_execnz .LBB736_1097
.LBB736_1082:                           ;   in Loop: Header=BB736_990 Depth=2
	s_or_b64 exec, exec, s[64:65]
	v_cmp_lt_u32_e64 s[64:65], v30, v182
	s_and_saveexec_b64 s[66:67], s[64:65]
	s_cbranch_execz .LBB736_1098
.LBB736_1083:                           ;   in Loop: Header=BB736_990 Depth=2
	ds_read_b64 v[64:65], v104 offset:28672
	v_mov_b32_e32 v73, s77
	s_waitcnt lgkmcnt(0)
	v_lshrrev_b64 v[70:71], s84, v[64:65]
	v_and_b32_e32 v69, s68, v70
	v_lshlrev_b32_e32 v69, 2, v69
	ds_read_b32 v69, v69
	v_mov_b32_e32 v71, v4
	v_xor_b32_e32 v65, 0x7fffffff, v65
	v_not_b32_e32 v64, v64
	s_waitcnt lgkmcnt(0)
	v_add_u32_e32 v70, v69, v30
	v_lshlrev_b64 v[70:71], 3, v[70:71]
	v_add_co_u32_e32 v70, vcc, s76, v70
	v_addc_co_u32_e32 v71, vcc, v73, v71, vcc
	global_store_dwordx2 v[70:71], v[64:65], off
	s_or_b64 exec, exec, s[66:67]
	v_cmp_lt_u32_e64 s[66:67], v32, v182
	s_and_saveexec_b64 s[92:93], s[66:67]
	s_cbranch_execnz .LBB736_1099
	s_branch .LBB736_1100
.LBB736_1084:                           ;   in Loop: Header=BB736_990 Depth=2
	s_or_b64 exec, exec, s[38:39]
	v_cmp_lt_u32_e64 s[38:39], v7, v182
	s_and_saveexec_b64 s[40:41], s[38:39]
	s_cbranch_execz .LBB736_1070
.LBB736_1085:                           ;   in Loop: Header=BB736_990 Depth=2
	ds_read_b64 v[64:65], v104 offset:2048
	v_mov_b32_e32 v73, s77
	s_waitcnt lgkmcnt(0)
	v_lshrrev_b64 v[70:71], s84, v[64:65]
	v_and_b32_e32 v69, s68, v70
	v_lshlrev_b32_e32 v69, 2, v69
	ds_read_b32 v69, v69
	v_mov_b32_e32 v71, v4
	v_xor_b32_e32 v65, 0x7fffffff, v65
	v_not_b32_e32 v64, v64
	s_waitcnt lgkmcnt(0)
	v_add_u32_e32 v70, v69, v7
	v_lshlrev_b64 v[70:71], 3, v[70:71]
	v_add_co_u32_e32 v70, vcc, s76, v70
	v_addc_co_u32_e32 v71, vcc, v73, v71, vcc
	global_store_dwordx2 v[70:71], v[64:65], off
	s_or_b64 exec, exec, s[40:41]
	v_cmp_lt_u32_e64 s[40:41], v6, v182
	s_and_saveexec_b64 s[42:43], s[40:41]
	s_cbranch_execnz .LBB736_1071
.LBB736_1086:                           ;   in Loop: Header=BB736_990 Depth=2
	s_or_b64 exec, exec, s[42:43]
	v_cmp_lt_u32_e64 s[42:43], v8, v182
	s_and_saveexec_b64 s[44:45], s[42:43]
	s_cbranch_execz .LBB736_1072
.LBB736_1087:                           ;   in Loop: Header=BB736_990 Depth=2
	ds_read_b64 v[64:65], v104 offset:6144
	v_mov_b32_e32 v73, s77
	s_waitcnt lgkmcnt(0)
	v_lshrrev_b64 v[70:71], s84, v[64:65]
	v_and_b32_e32 v69, s68, v70
	v_lshlrev_b32_e32 v69, 2, v69
	ds_read_b32 v69, v69
	v_mov_b32_e32 v71, v4
	v_xor_b32_e32 v65, 0x7fffffff, v65
	v_not_b32_e32 v64, v64
	s_waitcnt lgkmcnt(0)
	v_add_u32_e32 v70, v69, v8
	v_lshlrev_b64 v[70:71], 3, v[70:71]
	v_add_co_u32_e32 v70, vcc, s76, v70
	v_addc_co_u32_e32 v71, vcc, v73, v71, vcc
	global_store_dwordx2 v[70:71], v[64:65], off
	s_or_b64 exec, exec, s[44:45]
	v_cmp_lt_u32_e64 s[44:45], v10, v182
	s_and_saveexec_b64 s[46:47], s[44:45]
	s_cbranch_execnz .LBB736_1073
.LBB736_1088:                           ;   in Loop: Header=BB736_990 Depth=2
	s_or_b64 exec, exec, s[46:47]
	v_cmp_lt_u32_e64 s[46:47], v12, v182
	s_and_saveexec_b64 s[48:49], s[46:47]
	s_cbranch_execz .LBB736_1074
.LBB736_1089:                           ;   in Loop: Header=BB736_990 Depth=2
	ds_read_b64 v[64:65], v104 offset:10240
	v_mov_b32_e32 v73, s77
	s_waitcnt lgkmcnt(0)
	v_lshrrev_b64 v[70:71], s84, v[64:65]
	v_and_b32_e32 v69, s68, v70
	v_lshlrev_b32_e32 v69, 2, v69
	ds_read_b32 v69, v69
	v_mov_b32_e32 v71, v4
	v_xor_b32_e32 v65, 0x7fffffff, v65
	v_not_b32_e32 v64, v64
	s_waitcnt lgkmcnt(0)
	v_add_u32_e32 v70, v69, v12
	v_lshlrev_b64 v[70:71], 3, v[70:71]
	v_add_co_u32_e32 v70, vcc, s76, v70
	v_addc_co_u32_e32 v71, vcc, v73, v71, vcc
	global_store_dwordx2 v[70:71], v[64:65], off
	s_or_b64 exec, exec, s[48:49]
	v_cmp_lt_u32_e64 s[48:49], v14, v182
	s_and_saveexec_b64 s[50:51], s[48:49]
	s_cbranch_execnz .LBB736_1075
.LBB736_1090:                           ;   in Loop: Header=BB736_990 Depth=2
	s_or_b64 exec, exec, s[50:51]
	v_cmp_lt_u32_e64 s[50:51], v16, v182
	s_and_saveexec_b64 s[52:53], s[50:51]
	s_cbranch_execz .LBB736_1076
.LBB736_1091:                           ;   in Loop: Header=BB736_990 Depth=2
	ds_read_b64 v[64:65], v104 offset:14336
	v_mov_b32_e32 v73, s77
	s_waitcnt lgkmcnt(0)
	v_lshrrev_b64 v[70:71], s84, v[64:65]
	v_and_b32_e32 v69, s68, v70
	v_lshlrev_b32_e32 v69, 2, v69
	ds_read_b32 v69, v69
	v_mov_b32_e32 v71, v4
	v_xor_b32_e32 v65, 0x7fffffff, v65
	v_not_b32_e32 v64, v64
	s_waitcnt lgkmcnt(0)
	v_add_u32_e32 v70, v69, v16
	v_lshlrev_b64 v[70:71], 3, v[70:71]
	v_add_co_u32_e32 v70, vcc, s76, v70
	v_addc_co_u32_e32 v71, vcc, v73, v71, vcc
	global_store_dwordx2 v[70:71], v[64:65], off
	s_or_b64 exec, exec, s[52:53]
	v_cmp_lt_u32_e64 s[52:53], v18, v182
	s_and_saveexec_b64 s[54:55], s[52:53]
	s_cbranch_execnz .LBB736_1077
.LBB736_1092:                           ;   in Loop: Header=BB736_990 Depth=2
	s_or_b64 exec, exec, s[54:55]
	v_cmp_lt_u32_e64 s[54:55], v20, v182
	s_and_saveexec_b64 s[56:57], s[54:55]
	s_cbranch_execz .LBB736_1078
.LBB736_1093:                           ;   in Loop: Header=BB736_990 Depth=2
	ds_read_b64 v[64:65], v104 offset:18432
	v_mov_b32_e32 v73, s77
	s_waitcnt lgkmcnt(0)
	v_lshrrev_b64 v[70:71], s84, v[64:65]
	v_and_b32_e32 v69, s68, v70
	v_lshlrev_b32_e32 v69, 2, v69
	ds_read_b32 v69, v69
	v_mov_b32_e32 v71, v4
	v_xor_b32_e32 v65, 0x7fffffff, v65
	v_not_b32_e32 v64, v64
	s_waitcnt lgkmcnt(0)
	v_add_u32_e32 v70, v69, v20
	v_lshlrev_b64 v[70:71], 3, v[70:71]
	v_add_co_u32_e32 v70, vcc, s76, v70
	v_addc_co_u32_e32 v71, vcc, v73, v71, vcc
	global_store_dwordx2 v[70:71], v[64:65], off
	s_or_b64 exec, exec, s[56:57]
	v_cmp_lt_u32_e64 s[56:57], v22, v182
	s_and_saveexec_b64 s[58:59], s[56:57]
	s_cbranch_execnz .LBB736_1079
.LBB736_1094:                           ;   in Loop: Header=BB736_990 Depth=2
	s_or_b64 exec, exec, s[58:59]
	v_cmp_lt_u32_e64 s[58:59], v24, v182
	s_and_saveexec_b64 s[60:61], s[58:59]
	s_cbranch_execz .LBB736_1080
.LBB736_1095:                           ;   in Loop: Header=BB736_990 Depth=2
	ds_read_b64 v[64:65], v104 offset:22528
	v_mov_b32_e32 v73, s77
	s_waitcnt lgkmcnt(0)
	v_lshrrev_b64 v[70:71], s84, v[64:65]
	v_and_b32_e32 v69, s68, v70
	v_lshlrev_b32_e32 v69, 2, v69
	ds_read_b32 v69, v69
	v_mov_b32_e32 v71, v4
	v_xor_b32_e32 v65, 0x7fffffff, v65
	v_not_b32_e32 v64, v64
	s_waitcnt lgkmcnt(0)
	v_add_u32_e32 v70, v69, v24
	v_lshlrev_b64 v[70:71], 3, v[70:71]
	v_add_co_u32_e32 v70, vcc, s76, v70
	v_addc_co_u32_e32 v71, vcc, v73, v71, vcc
	global_store_dwordx2 v[70:71], v[64:65], off
	s_or_b64 exec, exec, s[60:61]
	v_cmp_lt_u32_e64 s[60:61], v26, v182
	s_and_saveexec_b64 s[62:63], s[60:61]
	s_cbranch_execnz .LBB736_1081
.LBB736_1096:                           ;   in Loop: Header=BB736_990 Depth=2
	s_or_b64 exec, exec, s[62:63]
	v_cmp_lt_u32_e64 s[62:63], v28, v182
	s_and_saveexec_b64 s[64:65], s[62:63]
	s_cbranch_execz .LBB736_1082
.LBB736_1097:                           ;   in Loop: Header=BB736_990 Depth=2
	ds_read_b64 v[64:65], v104 offset:26624
	v_mov_b32_e32 v73, s77
	s_waitcnt lgkmcnt(0)
	v_lshrrev_b64 v[70:71], s84, v[64:65]
	v_and_b32_e32 v69, s68, v70
	v_lshlrev_b32_e32 v69, 2, v69
	ds_read_b32 v69, v69
	v_mov_b32_e32 v71, v4
	v_xor_b32_e32 v65, 0x7fffffff, v65
	v_not_b32_e32 v64, v64
	s_waitcnt lgkmcnt(0)
	v_add_u32_e32 v70, v69, v28
	v_lshlrev_b64 v[70:71], 3, v[70:71]
	v_add_co_u32_e32 v70, vcc, s76, v70
	v_addc_co_u32_e32 v71, vcc, v73, v71, vcc
	global_store_dwordx2 v[70:71], v[64:65], off
	s_or_b64 exec, exec, s[64:65]
	v_cmp_lt_u32_e64 s[64:65], v30, v182
	s_and_saveexec_b64 s[66:67], s[64:65]
	s_cbranch_execnz .LBB736_1083
.LBB736_1098:                           ;   in Loop: Header=BB736_990 Depth=2
	s_or_b64 exec, exec, s[66:67]
	v_cmp_lt_u32_e64 s[66:67], v32, v182
	s_and_saveexec_b64 s[92:93], s[66:67]
	s_cbranch_execz .LBB736_1100
.LBB736_1099:                           ;   in Loop: Header=BB736_990 Depth=2
	ds_read_b64 v[64:65], v104 offset:30720
	v_mov_b32_e32 v73, s77
	s_waitcnt lgkmcnt(0)
	v_lshrrev_b64 v[70:71], s84, v[64:65]
	v_and_b32_e32 v69, s68, v70
	v_lshlrev_b32_e32 v69, 2, v69
	ds_read_b32 v69, v69
	v_mov_b32_e32 v71, v4
	v_xor_b32_e32 v65, 0x7fffffff, v65
	v_not_b32_e32 v64, v64
	s_waitcnt lgkmcnt(0)
	v_add_u32_e32 v70, v69, v32
	v_lshlrev_b64 v[70:71], 3, v[70:71]
	v_add_co_u32_e32 v70, vcc, s76, v70
	v_addc_co_u32_e32 v71, vcc, v73, v71, vcc
	global_store_dwordx2 v[70:71], v[64:65], off
.LBB736_1100:                           ;   in Loop: Header=BB736_990 Depth=2
	s_or_b64 exec, exec, s[92:93]
	s_mov_b32 s79, s88
	s_lshl_b64 s[78:79], s[78:79], 3
	v_mov_b32_e32 v65, s79
	v_add_co_u32_e32 v64, vcc, s78, v159
	v_addc_co_u32_e32 v65, vcc, v160, v65, vcc
	v_cmp_lt_u32_e32 vcc, v142, v182
	s_and_saveexec_b64 s[78:79], vcc
	s_xor_b64 s[78:79], exec, s[78:79]
	s_cbranch_execz .LBB736_1132
; %bb.1101:                             ;   in Loop: Header=BB736_990 Depth=2
	global_load_dwordx2 v[62:63], v[64:65], off
	s_or_b64 exec, exec, s[78:79]
	v_cmp_lt_u32_e32 vcc, v143, v182
	s_and_saveexec_b64 s[78:79], vcc
	s_cbranch_execnz .LBB736_1133
.LBB736_1102:                           ;   in Loop: Header=BB736_990 Depth=2
	s_or_b64 exec, exec, s[78:79]
	v_cmp_lt_u32_e32 vcc, v144, v182
	s_and_saveexec_b64 s[78:79], vcc
	s_cbranch_execz .LBB736_1134
.LBB736_1103:                           ;   in Loop: Header=BB736_990 Depth=2
	global_load_dwordx2 v[58:59], v[64:65], off offset:1024
	s_or_b64 exec, exec, s[78:79]
	v_cmp_lt_u32_e32 vcc, v145, v182
	s_and_saveexec_b64 s[78:79], vcc
	s_cbranch_execnz .LBB736_1135
.LBB736_1104:                           ;   in Loop: Header=BB736_990 Depth=2
	s_or_b64 exec, exec, s[78:79]
	v_cmp_lt_u32_e32 vcc, v146, v182
	s_and_saveexec_b64 s[78:79], vcc
	s_cbranch_execz .LBB736_1136
.LBB736_1105:                           ;   in Loop: Header=BB736_990 Depth=2
	global_load_dwordx2 v[50:51], v[64:65], off offset:2048
	s_or_b64 exec, exec, s[78:79]
	v_cmp_lt_u32_e32 vcc, v147, v182
	s_and_saveexec_b64 s[78:79], vcc
	s_cbranch_execnz .LBB736_1137
.LBB736_1106:                           ;   in Loop: Header=BB736_990 Depth=2
	s_or_b64 exec, exec, s[78:79]
	v_cmp_lt_u32_e32 vcc, v148, v182
	s_and_saveexec_b64 s[78:79], vcc
	s_cbranch_execz .LBB736_1138
.LBB736_1107:                           ;   in Loop: Header=BB736_990 Depth=2
	global_load_dwordx2 v[42:43], v[64:65], off offset:3072
	s_or_b64 exec, exec, s[78:79]
	v_cmp_lt_u32_e32 vcc, v149, v182
	s_and_saveexec_b64 s[78:79], vcc
	s_cbranch_execnz .LBB736_1139
.LBB736_1108:                           ;   in Loop: Header=BB736_990 Depth=2
	s_or_b64 exec, exec, s[78:79]
	v_cmp_lt_u32_e32 vcc, v150, v182
	s_and_saveexec_b64 s[78:79], vcc
	s_cbranch_execz .LBB736_1140
.LBB736_1109:                           ;   in Loop: Header=BB736_990 Depth=2
	v_add_co_u32_e32 v56, vcc, 0x1000, v64
	v_addc_co_u32_e32 v57, vcc, 0, v65, vcc
	global_load_dwordx2 v[56:57], v[56:57], off
	s_or_b64 exec, exec, s[78:79]
	v_cmp_lt_u32_e32 vcc, v151, v182
	s_and_saveexec_b64 s[78:79], vcc
	s_cbranch_execnz .LBB736_1141
.LBB736_1110:                           ;   in Loop: Header=BB736_990 Depth=2
	s_or_b64 exec, exec, s[78:79]
	v_cmp_lt_u32_e32 vcc, v152, v182
	s_and_saveexec_b64 s[78:79], vcc
	s_cbranch_execz .LBB736_1142
.LBB736_1111:                           ;   in Loop: Header=BB736_990 Depth=2
	v_add_co_u32_e32 v48, vcc, 0x1000, v64
	v_addc_co_u32_e32 v49, vcc, 0, v65, vcc
	global_load_dwordx2 v[48:49], v[48:49], off offset:1024
	s_or_b64 exec, exec, s[78:79]
	v_cmp_lt_u32_e32 vcc, v153, v182
	s_and_saveexec_b64 s[78:79], vcc
	s_cbranch_execnz .LBB736_1143
.LBB736_1112:                           ;   in Loop: Header=BB736_990 Depth=2
	s_or_b64 exec, exec, s[78:79]
	v_cmp_lt_u32_e32 vcc, v154, v182
	s_and_saveexec_b64 s[78:79], vcc
	s_cbranch_execz .LBB736_1144
.LBB736_1113:                           ;   in Loop: Header=BB736_990 Depth=2
	v_add_co_u32_e32 v40, vcc, 0x1000, v64
	v_addc_co_u32_e32 v41, vcc, 0, v65, vcc
	global_load_dwordx2 v[40:41], v[40:41], off offset:2048
	s_or_b64 exec, exec, s[78:79]
	v_cmp_lt_u32_e32 vcc, v155, v182
	s_and_saveexec_b64 s[78:79], vcc
	s_cbranch_execnz .LBB736_1145
.LBB736_1114:                           ;   in Loop: Header=BB736_990 Depth=2
	s_or_b64 exec, exec, s[78:79]
	v_cmp_lt_u32_e32 vcc, v156, v182
	s_and_saveexec_b64 s[78:79], vcc
	s_cbranch_execz .LBB736_1146
.LBB736_1115:                           ;   in Loop: Header=BB736_990 Depth=2
	v_add_co_u32_e32 v34, vcc, 0x1000, v64
	v_addc_co_u32_e32 v35, vcc, 0, v65, vcc
	global_load_dwordx2 v[34:35], v[34:35], off offset:3072
	s_or_b64 exec, exec, s[78:79]
	v_cmp_lt_u32_e32 vcc, v157, v182
	s_and_saveexec_b64 s[78:79], vcc
	s_cbranch_execnz .LBB736_1147
.LBB736_1116:                           ;   in Loop: Header=BB736_990 Depth=2
	s_or_b64 exec, exec, s[78:79]
	s_and_saveexec_b64 s[78:79], s[36:37]
	s_cbranch_execz .LBB736_1148
.LBB736_1117:                           ;   in Loop: Header=BB736_990 Depth=2
	ds_read_b64 v[64:65], v66 offset:1024
	s_waitcnt lgkmcnt(0)
	v_lshrrev_b64 v[64:65], s84, v[64:65]
	v_and_b32_e32 v180, s68, v64
	s_or_b64 exec, exec, s[78:79]
	s_and_saveexec_b64 s[78:79], s[38:39]
	s_cbranch_execnz .LBB736_1149
.LBB736_1118:                           ;   in Loop: Header=BB736_990 Depth=2
	s_or_b64 exec, exec, s[78:79]
	s_and_saveexec_b64 s[78:79], s[40:41]
	s_cbranch_execz .LBB736_1150
.LBB736_1119:                           ;   in Loop: Header=BB736_990 Depth=2
	ds_read_b64 v[64:65], v104 offset:4096
	s_waitcnt lgkmcnt(0)
	v_lshrrev_b64 v[64:65], s84, v[64:65]
	v_and_b32_e32 v177, s68, v64
	s_or_b64 exec, exec, s[78:79]
	s_and_saveexec_b64 s[78:79], s[42:43]
	s_cbranch_execnz .LBB736_1151
.LBB736_1120:                           ;   in Loop: Header=BB736_990 Depth=2
	s_or_b64 exec, exec, s[78:79]
	s_and_saveexec_b64 s[78:79], s[44:45]
	s_cbranch_execz .LBB736_1152
.LBB736_1121:                           ;   in Loop: Header=BB736_990 Depth=2
	ds_read_b64 v[64:65], v104 offset:8192
	s_waitcnt lgkmcnt(0)
	v_lshrrev_b64 v[64:65], s84, v[64:65]
	v_and_b32_e32 v174, s68, v64
	s_or_b64 exec, exec, s[78:79]
	s_and_saveexec_b64 s[78:79], s[46:47]
	s_cbranch_execnz .LBB736_1153
.LBB736_1122:                           ;   in Loop: Header=BB736_990 Depth=2
	s_or_b64 exec, exec, s[78:79]
	s_and_saveexec_b64 s[78:79], s[48:49]
	s_cbranch_execz .LBB736_1154
.LBB736_1123:                           ;   in Loop: Header=BB736_990 Depth=2
	ds_read_b64 v[64:65], v104 offset:12288
	s_waitcnt lgkmcnt(0)
	v_lshrrev_b64 v[64:65], s84, v[64:65]
	v_and_b32_e32 v172, s68, v64
	s_or_b64 exec, exec, s[78:79]
	s_and_saveexec_b64 s[78:79], s[50:51]
	s_cbranch_execnz .LBB736_1155
.LBB736_1124:                           ;   in Loop: Header=BB736_990 Depth=2
	s_or_b64 exec, exec, s[78:79]
	s_and_saveexec_b64 s[78:79], s[52:53]
	s_cbranch_execz .LBB736_1156
.LBB736_1125:                           ;   in Loop: Header=BB736_990 Depth=2
	ds_read_b64 v[64:65], v104 offset:16384
	s_waitcnt lgkmcnt(0)
	v_lshrrev_b64 v[64:65], s84, v[64:65]
	v_and_b32_e32 v170, s68, v64
	s_or_b64 exec, exec, s[78:79]
	s_and_saveexec_b64 s[78:79], s[54:55]
	s_cbranch_execnz .LBB736_1157
.LBB736_1126:                           ;   in Loop: Header=BB736_990 Depth=2
	s_or_b64 exec, exec, s[78:79]
	s_and_saveexec_b64 s[78:79], s[56:57]
	s_cbranch_execz .LBB736_1158
.LBB736_1127:                           ;   in Loop: Header=BB736_990 Depth=2
	ds_read_b64 v[64:65], v104 offset:20480
	s_waitcnt lgkmcnt(0)
	v_lshrrev_b64 v[64:65], s84, v[64:65]
	v_and_b32_e32 v168, s68, v64
	s_or_b64 exec, exec, s[78:79]
	s_and_saveexec_b64 s[78:79], s[58:59]
	s_cbranch_execnz .LBB736_1159
.LBB736_1128:                           ;   in Loop: Header=BB736_990 Depth=2
	s_or_b64 exec, exec, s[78:79]
	s_and_saveexec_b64 s[78:79], s[60:61]
	s_cbranch_execz .LBB736_1160
.LBB736_1129:                           ;   in Loop: Header=BB736_990 Depth=2
	ds_read_b64 v[64:65], v104 offset:24576
	s_waitcnt lgkmcnt(0)
	v_lshrrev_b64 v[64:65], s84, v[64:65]
	v_and_b32_e32 v166, s68, v64
	s_or_b64 exec, exec, s[78:79]
	s_and_saveexec_b64 s[78:79], s[62:63]
	s_cbranch_execnz .LBB736_1161
.LBB736_1130:                           ;   in Loop: Header=BB736_990 Depth=2
	s_or_b64 exec, exec, s[78:79]
	s_and_saveexec_b64 s[78:79], s[64:65]
	s_cbranch_execz .LBB736_1162
.LBB736_1131:                           ;   in Loop: Header=BB736_990 Depth=2
	ds_read_b64 v[64:65], v104 offset:28672
	s_waitcnt lgkmcnt(0)
	v_lshrrev_b64 v[64:65], s84, v[64:65]
	v_and_b32_e32 v164, s68, v64
	s_or_b64 exec, exec, s[78:79]
	s_and_saveexec_b64 s[78:79], s[66:67]
	s_cbranch_execnz .LBB736_1163
	s_branch .LBB736_1164
.LBB736_1132:                           ;   in Loop: Header=BB736_990 Depth=2
	s_or_b64 exec, exec, s[78:79]
	v_cmp_lt_u32_e32 vcc, v143, v182
	s_and_saveexec_b64 s[78:79], vcc
	s_cbranch_execz .LBB736_1102
.LBB736_1133:                           ;   in Loop: Header=BB736_990 Depth=2
	global_load_dwordx2 v[60:61], v[64:65], off offset:512
	s_or_b64 exec, exec, s[78:79]
	v_cmp_lt_u32_e32 vcc, v144, v182
	s_and_saveexec_b64 s[78:79], vcc
	s_cbranch_execnz .LBB736_1103
.LBB736_1134:                           ;   in Loop: Header=BB736_990 Depth=2
	s_or_b64 exec, exec, s[78:79]
	v_cmp_lt_u32_e32 vcc, v145, v182
	s_and_saveexec_b64 s[78:79], vcc
	s_cbranch_execz .LBB736_1104
.LBB736_1135:                           ;   in Loop: Header=BB736_990 Depth=2
	global_load_dwordx2 v[54:55], v[64:65], off offset:1536
	s_or_b64 exec, exec, s[78:79]
	v_cmp_lt_u32_e32 vcc, v146, v182
	s_and_saveexec_b64 s[78:79], vcc
	s_cbranch_execnz .LBB736_1105
.LBB736_1136:                           ;   in Loop: Header=BB736_990 Depth=2
	s_or_b64 exec, exec, s[78:79]
	v_cmp_lt_u32_e32 vcc, v147, v182
	s_and_saveexec_b64 s[78:79], vcc
	s_cbranch_execz .LBB736_1106
.LBB736_1137:                           ;   in Loop: Header=BB736_990 Depth=2
	global_load_dwordx2 v[46:47], v[64:65], off offset:2560
	s_or_b64 exec, exec, s[78:79]
	v_cmp_lt_u32_e32 vcc, v148, v182
	s_and_saveexec_b64 s[78:79], vcc
	s_cbranch_execnz .LBB736_1107
.LBB736_1138:                           ;   in Loop: Header=BB736_990 Depth=2
	s_or_b64 exec, exec, s[78:79]
	v_cmp_lt_u32_e32 vcc, v149, v182
	s_and_saveexec_b64 s[78:79], vcc
	s_cbranch_execz .LBB736_1108
.LBB736_1139:                           ;   in Loop: Header=BB736_990 Depth=2
	global_load_dwordx2 v[38:39], v[64:65], off offset:3584
	s_or_b64 exec, exec, s[78:79]
	v_cmp_lt_u32_e32 vcc, v150, v182
	s_and_saveexec_b64 s[78:79], vcc
	s_cbranch_execnz .LBB736_1109
.LBB736_1140:                           ;   in Loop: Header=BB736_990 Depth=2
	s_or_b64 exec, exec, s[78:79]
	v_cmp_lt_u32_e32 vcc, v151, v182
	s_and_saveexec_b64 s[78:79], vcc
	s_cbranch_execz .LBB736_1110
.LBB736_1141:                           ;   in Loop: Header=BB736_990 Depth=2
	v_add_co_u32_e32 v52, vcc, 0x1000, v64
	v_addc_co_u32_e32 v53, vcc, 0, v65, vcc
	global_load_dwordx2 v[52:53], v[52:53], off offset:512
	s_or_b64 exec, exec, s[78:79]
	v_cmp_lt_u32_e32 vcc, v152, v182
	s_and_saveexec_b64 s[78:79], vcc
	s_cbranch_execnz .LBB736_1111
.LBB736_1142:                           ;   in Loop: Header=BB736_990 Depth=2
	s_or_b64 exec, exec, s[78:79]
	v_cmp_lt_u32_e32 vcc, v153, v182
	s_and_saveexec_b64 s[78:79], vcc
	s_cbranch_execz .LBB736_1112
.LBB736_1143:                           ;   in Loop: Header=BB736_990 Depth=2
	v_add_co_u32_e32 v44, vcc, 0x1000, v64
	v_addc_co_u32_e32 v45, vcc, 0, v65, vcc
	global_load_dwordx2 v[44:45], v[44:45], off offset:1536
	s_or_b64 exec, exec, s[78:79]
	v_cmp_lt_u32_e32 vcc, v154, v182
	s_and_saveexec_b64 s[78:79], vcc
	s_cbranch_execnz .LBB736_1113
.LBB736_1144:                           ;   in Loop: Header=BB736_990 Depth=2
	s_or_b64 exec, exec, s[78:79]
	v_cmp_lt_u32_e32 vcc, v155, v182
	s_and_saveexec_b64 s[78:79], vcc
	s_cbranch_execz .LBB736_1114
.LBB736_1145:                           ;   in Loop: Header=BB736_990 Depth=2
	v_add_co_u32_e32 v36, vcc, 0x1000, v64
	v_addc_co_u32_e32 v37, vcc, 0, v65, vcc
	global_load_dwordx2 v[36:37], v[36:37], off offset:2560
	s_or_b64 exec, exec, s[78:79]
	v_cmp_lt_u32_e32 vcc, v156, v182
	s_and_saveexec_b64 s[78:79], vcc
	s_cbranch_execnz .LBB736_1115
.LBB736_1146:                           ;   in Loop: Header=BB736_990 Depth=2
	s_or_b64 exec, exec, s[78:79]
	v_cmp_lt_u32_e32 vcc, v157, v182
	s_and_saveexec_b64 s[78:79], vcc
	s_cbranch_execz .LBB736_1116
.LBB736_1147:                           ;   in Loop: Header=BB736_990 Depth=2
	v_add_co_u32_e32 v0, vcc, 0x1000, v64
	v_addc_co_u32_e32 v1, vcc, 0, v65, vcc
	global_load_dwordx2 v[0:1], v[0:1], off offset:3584
	s_or_b64 exec, exec, s[78:79]
	s_and_saveexec_b64 s[78:79], s[36:37]
	s_cbranch_execnz .LBB736_1117
.LBB736_1148:                           ;   in Loop: Header=BB736_990 Depth=2
	s_or_b64 exec, exec, s[78:79]
	s_and_saveexec_b64 s[78:79], s[38:39]
	s_cbranch_execz .LBB736_1118
.LBB736_1149:                           ;   in Loop: Header=BB736_990 Depth=2
	ds_read_b64 v[64:65], v104 offset:2048
	s_waitcnt lgkmcnt(0)
	v_lshrrev_b64 v[64:65], s84, v[64:65]
	v_and_b32_e32 v178, s68, v64
	s_or_b64 exec, exec, s[78:79]
	s_and_saveexec_b64 s[78:79], s[40:41]
	s_cbranch_execnz .LBB736_1119
.LBB736_1150:                           ;   in Loop: Header=BB736_990 Depth=2
	s_or_b64 exec, exec, s[78:79]
	s_and_saveexec_b64 s[78:79], s[42:43]
	s_cbranch_execz .LBB736_1120
.LBB736_1151:                           ;   in Loop: Header=BB736_990 Depth=2
	ds_read_b64 v[64:65], v104 offset:6144
	s_waitcnt lgkmcnt(0)
	v_lshrrev_b64 v[64:65], s84, v[64:65]
	v_and_b32_e32 v175, s68, v64
	s_or_b64 exec, exec, s[78:79]
	s_and_saveexec_b64 s[78:79], s[44:45]
	s_cbranch_execnz .LBB736_1121
.LBB736_1152:                           ;   in Loop: Header=BB736_990 Depth=2
	s_or_b64 exec, exec, s[78:79]
	s_and_saveexec_b64 s[78:79], s[46:47]
	s_cbranch_execz .LBB736_1122
.LBB736_1153:                           ;   in Loop: Header=BB736_990 Depth=2
	ds_read_b64 v[64:65], v104 offset:10240
	s_waitcnt lgkmcnt(0)
	v_lshrrev_b64 v[64:65], s84, v[64:65]
	v_and_b32_e32 v173, s68, v64
	s_or_b64 exec, exec, s[78:79]
	s_and_saveexec_b64 s[78:79], s[48:49]
	s_cbranch_execnz .LBB736_1123
.LBB736_1154:                           ;   in Loop: Header=BB736_990 Depth=2
	s_or_b64 exec, exec, s[78:79]
	s_and_saveexec_b64 s[78:79], s[50:51]
	s_cbranch_execz .LBB736_1124
.LBB736_1155:                           ;   in Loop: Header=BB736_990 Depth=2
	ds_read_b64 v[64:65], v104 offset:14336
	s_waitcnt lgkmcnt(0)
	v_lshrrev_b64 v[64:65], s84, v[64:65]
	v_and_b32_e32 v171, s68, v64
	s_or_b64 exec, exec, s[78:79]
	s_and_saveexec_b64 s[78:79], s[52:53]
	s_cbranch_execnz .LBB736_1125
.LBB736_1156:                           ;   in Loop: Header=BB736_990 Depth=2
	s_or_b64 exec, exec, s[78:79]
	s_and_saveexec_b64 s[78:79], s[54:55]
	s_cbranch_execz .LBB736_1126
.LBB736_1157:                           ;   in Loop: Header=BB736_990 Depth=2
	ds_read_b64 v[64:65], v104 offset:18432
	s_waitcnt lgkmcnt(0)
	v_lshrrev_b64 v[64:65], s84, v[64:65]
	v_and_b32_e32 v169, s68, v64
	s_or_b64 exec, exec, s[78:79]
	s_and_saveexec_b64 s[78:79], s[56:57]
	s_cbranch_execnz .LBB736_1127
.LBB736_1158:                           ;   in Loop: Header=BB736_990 Depth=2
	s_or_b64 exec, exec, s[78:79]
	s_and_saveexec_b64 s[78:79], s[58:59]
	s_cbranch_execz .LBB736_1128
.LBB736_1159:                           ;   in Loop: Header=BB736_990 Depth=2
	ds_read_b64 v[64:65], v104 offset:22528
	s_waitcnt lgkmcnt(0)
	v_lshrrev_b64 v[64:65], s84, v[64:65]
	v_and_b32_e32 v167, s68, v64
	s_or_b64 exec, exec, s[78:79]
	s_and_saveexec_b64 s[78:79], s[60:61]
	s_cbranch_execnz .LBB736_1129
.LBB736_1160:                           ;   in Loop: Header=BB736_990 Depth=2
	s_or_b64 exec, exec, s[78:79]
	s_and_saveexec_b64 s[78:79], s[62:63]
	s_cbranch_execz .LBB736_1130
.LBB736_1161:                           ;   in Loop: Header=BB736_990 Depth=2
	ds_read_b64 v[64:65], v104 offset:26624
	s_waitcnt lgkmcnt(0)
	v_lshrrev_b64 v[64:65], s84, v[64:65]
	v_and_b32_e32 v165, s68, v64
	s_or_b64 exec, exec, s[78:79]
	s_and_saveexec_b64 s[78:79], s[64:65]
	s_cbranch_execnz .LBB736_1131
.LBB736_1162:                           ;   in Loop: Header=BB736_990 Depth=2
	s_or_b64 exec, exec, s[78:79]
	s_and_saveexec_b64 s[78:79], s[66:67]
	s_cbranch_execz .LBB736_1164
.LBB736_1163:                           ;   in Loop: Header=BB736_990 Depth=2
	ds_read_b64 v[64:65], v104 offset:30720
	s_waitcnt lgkmcnt(0)
	v_lshrrev_b64 v[64:65], s84, v[64:65]
	v_and_b32_e32 v163, s68, v64
.LBB736_1164:                           ;   in Loop: Header=BB736_990 Depth=2
	s_or_b64 exec, exec, s[78:79]
	v_add_u32_e32 v64, 0x400, v96
	v_add_u32_e32 v65, 0x400, v97
	;; [unrolled: 1-line block ×16, first 2 shown]
	s_barrier
	s_waitcnt vmcnt(0)
	ds_write_b64 v64, v[62:63]
	ds_write_b64 v65, v[60:61]
	;; [unrolled: 1-line block ×16, first 2 shown]
	s_waitcnt lgkmcnt(0)
	s_barrier
	s_and_saveexec_b64 s[78:79], s[36:37]
	s_cbranch_execz .LBB736_1180
; %bb.1165:                             ;   in Loop: Header=BB736_990 Depth=2
	v_lshlrev_b32_e32 v64, 2, v180
	ds_read_b32 v68, v64
	ds_read_b64 v[64:65], v66 offset:1024
	v_mov_b32_e32 v67, v4
	v_mov_b32_e32 v69, s83
	s_waitcnt lgkmcnt(1)
	v_add_u32_e32 v66, v68, v2
	v_lshlrev_b64 v[66:67], 3, v[66:67]
	v_add_co_u32_e32 v66, vcc, s82, v66
	v_addc_co_u32_e32 v67, vcc, v69, v67, vcc
	s_waitcnt lgkmcnt(0)
	global_store_dwordx2 v[66:67], v[64:65], off
	s_or_b64 exec, exec, s[78:79]
	s_and_saveexec_b64 s[36:37], s[38:39]
	s_cbranch_execnz .LBB736_1181
.LBB736_1166:                           ;   in Loop: Header=BB736_990 Depth=2
	s_or_b64 exec, exec, s[36:37]
	s_and_saveexec_b64 s[36:37], s[40:41]
	s_cbranch_execz .LBB736_1182
.LBB736_1167:                           ;   in Loop: Header=BB736_990 Depth=2
	v_lshlrev_b32_e32 v64, 2, v177
	ds_read_b32 v66, v64
	ds_read_b64 v[64:65], v104 offset:4096
	v_mov_b32_e32 v67, v4
	v_mov_b32_e32 v68, s83
	s_waitcnt lgkmcnt(1)
	v_add_u32_e32 v66, v66, v6
	v_lshlrev_b64 v[66:67], 3, v[66:67]
	v_add_co_u32_e32 v66, vcc, s82, v66
	v_addc_co_u32_e32 v67, vcc, v68, v67, vcc
	s_waitcnt lgkmcnt(0)
	global_store_dwordx2 v[66:67], v[64:65], off
	s_or_b64 exec, exec, s[36:37]
	s_and_saveexec_b64 s[36:37], s[42:43]
	s_cbranch_execnz .LBB736_1183
.LBB736_1168:                           ;   in Loop: Header=BB736_990 Depth=2
	s_or_b64 exec, exec, s[36:37]
	s_and_saveexec_b64 s[36:37], s[44:45]
	s_cbranch_execz .LBB736_1184
.LBB736_1169:                           ;   in Loop: Header=BB736_990 Depth=2
	v_lshlrev_b32_e32 v64, 2, v174
	ds_read_b32 v66, v64
	ds_read_b64 v[64:65], v104 offset:8192
	v_mov_b32_e32 v67, v4
	v_mov_b32_e32 v68, s83
	s_waitcnt lgkmcnt(1)
	v_add_u32_e32 v66, v66, v10
	v_lshlrev_b64 v[66:67], 3, v[66:67]
	v_add_co_u32_e32 v66, vcc, s82, v66
	v_addc_co_u32_e32 v67, vcc, v68, v67, vcc
	s_waitcnt lgkmcnt(0)
	global_store_dwordx2 v[66:67], v[64:65], off
	s_or_b64 exec, exec, s[36:37]
	s_and_saveexec_b64 s[36:37], s[46:47]
	s_cbranch_execnz .LBB736_1185
.LBB736_1170:                           ;   in Loop: Header=BB736_990 Depth=2
	s_or_b64 exec, exec, s[36:37]
	s_and_saveexec_b64 s[36:37], s[48:49]
	s_cbranch_execz .LBB736_1186
.LBB736_1171:                           ;   in Loop: Header=BB736_990 Depth=2
	v_lshlrev_b32_e32 v64, 2, v172
	ds_read_b32 v66, v64
	ds_read_b64 v[64:65], v104 offset:12288
	v_mov_b32_e32 v67, v4
	v_mov_b32_e32 v68, s83
	s_waitcnt lgkmcnt(1)
	v_add_u32_e32 v66, v66, v14
	v_lshlrev_b64 v[66:67], 3, v[66:67]
	v_add_co_u32_e32 v66, vcc, s82, v66
	v_addc_co_u32_e32 v67, vcc, v68, v67, vcc
	s_waitcnt lgkmcnt(0)
	global_store_dwordx2 v[66:67], v[64:65], off
	s_or_b64 exec, exec, s[36:37]
	s_and_saveexec_b64 s[36:37], s[50:51]
	s_cbranch_execnz .LBB736_1187
.LBB736_1172:                           ;   in Loop: Header=BB736_990 Depth=2
	s_or_b64 exec, exec, s[36:37]
	s_and_saveexec_b64 s[36:37], s[52:53]
	s_cbranch_execz .LBB736_1188
.LBB736_1173:                           ;   in Loop: Header=BB736_990 Depth=2
	v_lshlrev_b32_e32 v64, 2, v170
	ds_read_b32 v66, v64
	ds_read_b64 v[64:65], v104 offset:16384
	v_mov_b32_e32 v67, v4
	v_mov_b32_e32 v68, s83
	s_waitcnt lgkmcnt(1)
	v_add_u32_e32 v66, v66, v18
	v_lshlrev_b64 v[66:67], 3, v[66:67]
	v_add_co_u32_e32 v66, vcc, s82, v66
	v_addc_co_u32_e32 v67, vcc, v68, v67, vcc
	s_waitcnt lgkmcnt(0)
	global_store_dwordx2 v[66:67], v[64:65], off
	s_or_b64 exec, exec, s[36:37]
	s_and_saveexec_b64 s[36:37], s[54:55]
	s_cbranch_execnz .LBB736_1189
.LBB736_1174:                           ;   in Loop: Header=BB736_990 Depth=2
	s_or_b64 exec, exec, s[36:37]
	s_and_saveexec_b64 s[36:37], s[56:57]
	s_cbranch_execz .LBB736_1190
.LBB736_1175:                           ;   in Loop: Header=BB736_990 Depth=2
	v_lshlrev_b32_e32 v64, 2, v168
	ds_read_b32 v66, v64
	ds_read_b64 v[64:65], v104 offset:20480
	v_mov_b32_e32 v67, v4
	v_mov_b32_e32 v68, s83
	s_waitcnt lgkmcnt(1)
	v_add_u32_e32 v66, v66, v22
	v_lshlrev_b64 v[66:67], 3, v[66:67]
	v_add_co_u32_e32 v66, vcc, s82, v66
	v_addc_co_u32_e32 v67, vcc, v68, v67, vcc
	s_waitcnt lgkmcnt(0)
	global_store_dwordx2 v[66:67], v[64:65], off
	s_or_b64 exec, exec, s[36:37]
	s_and_saveexec_b64 s[36:37], s[58:59]
	s_cbranch_execnz .LBB736_1191
.LBB736_1176:                           ;   in Loop: Header=BB736_990 Depth=2
	s_or_b64 exec, exec, s[36:37]
	s_and_saveexec_b64 s[36:37], s[60:61]
	s_cbranch_execz .LBB736_1192
.LBB736_1177:                           ;   in Loop: Header=BB736_990 Depth=2
	v_lshlrev_b32_e32 v64, 2, v166
	ds_read_b32 v66, v64
	ds_read_b64 v[64:65], v104 offset:24576
	v_mov_b32_e32 v67, v4
	v_mov_b32_e32 v68, s83
	s_waitcnt lgkmcnt(1)
	v_add_u32_e32 v66, v66, v26
	v_lshlrev_b64 v[66:67], 3, v[66:67]
	v_add_co_u32_e32 v66, vcc, s82, v66
	v_addc_co_u32_e32 v67, vcc, v68, v67, vcc
	s_waitcnt lgkmcnt(0)
	global_store_dwordx2 v[66:67], v[64:65], off
	s_or_b64 exec, exec, s[36:37]
	s_and_saveexec_b64 s[36:37], s[62:63]
	s_cbranch_execnz .LBB736_1193
.LBB736_1178:                           ;   in Loop: Header=BB736_990 Depth=2
	s_or_b64 exec, exec, s[36:37]
	s_and_saveexec_b64 s[36:37], s[64:65]
	s_cbranch_execz .LBB736_1194
.LBB736_1179:                           ;   in Loop: Header=BB736_990 Depth=2
	v_lshlrev_b32_e32 v64, 2, v164
	ds_read_b32 v66, v64
	ds_read_b64 v[64:65], v104 offset:28672
	v_mov_b32_e32 v67, v4
	v_mov_b32_e32 v68, s83
	s_waitcnt lgkmcnt(1)
	v_add_u32_e32 v66, v66, v30
	v_lshlrev_b64 v[66:67], 3, v[66:67]
	v_add_co_u32_e32 v66, vcc, s82, v66
	v_addc_co_u32_e32 v67, vcc, v68, v67, vcc
	s_waitcnt lgkmcnt(0)
	global_store_dwordx2 v[66:67], v[64:65], off
	s_or_b64 exec, exec, s[36:37]
	s_and_saveexec_b64 s[36:37], s[66:67]
	s_cbranch_execnz .LBB736_1195
	s_branch .LBB736_1196
.LBB736_1180:                           ;   in Loop: Header=BB736_990 Depth=2
	s_or_b64 exec, exec, s[78:79]
	s_and_saveexec_b64 s[36:37], s[38:39]
	s_cbranch_execz .LBB736_1166
.LBB736_1181:                           ;   in Loop: Header=BB736_990 Depth=2
	v_lshlrev_b32_e32 v64, 2, v178
	ds_read_b32 v66, v64
	ds_read_b64 v[64:65], v104 offset:2048
	v_mov_b32_e32 v67, v4
	v_mov_b32_e32 v68, s83
	s_waitcnt lgkmcnt(1)
	v_add_u32_e32 v66, v66, v7
	v_lshlrev_b64 v[66:67], 3, v[66:67]
	v_add_co_u32_e32 v66, vcc, s82, v66
	v_addc_co_u32_e32 v67, vcc, v68, v67, vcc
	s_waitcnt lgkmcnt(0)
	global_store_dwordx2 v[66:67], v[64:65], off
	s_or_b64 exec, exec, s[36:37]
	s_and_saveexec_b64 s[36:37], s[40:41]
	s_cbranch_execnz .LBB736_1167
.LBB736_1182:                           ;   in Loop: Header=BB736_990 Depth=2
	s_or_b64 exec, exec, s[36:37]
	s_and_saveexec_b64 s[36:37], s[42:43]
	s_cbranch_execz .LBB736_1168
.LBB736_1183:                           ;   in Loop: Header=BB736_990 Depth=2
	v_lshlrev_b32_e32 v64, 2, v175
	ds_read_b32 v66, v64
	ds_read_b64 v[64:65], v104 offset:6144
	v_mov_b32_e32 v67, v4
	v_mov_b32_e32 v68, s83
	s_waitcnt lgkmcnt(1)
	v_add_u32_e32 v66, v66, v8
	v_lshlrev_b64 v[66:67], 3, v[66:67]
	v_add_co_u32_e32 v66, vcc, s82, v66
	v_addc_co_u32_e32 v67, vcc, v68, v67, vcc
	s_waitcnt lgkmcnt(0)
	global_store_dwordx2 v[66:67], v[64:65], off
	s_or_b64 exec, exec, s[36:37]
	s_and_saveexec_b64 s[36:37], s[44:45]
	s_cbranch_execnz .LBB736_1169
.LBB736_1184:                           ;   in Loop: Header=BB736_990 Depth=2
	s_or_b64 exec, exec, s[36:37]
	s_and_saveexec_b64 s[36:37], s[46:47]
	s_cbranch_execz .LBB736_1170
.LBB736_1185:                           ;   in Loop: Header=BB736_990 Depth=2
	v_lshlrev_b32_e32 v64, 2, v173
	ds_read_b32 v66, v64
	ds_read_b64 v[64:65], v104 offset:10240
	v_mov_b32_e32 v67, v4
	v_mov_b32_e32 v68, s83
	s_waitcnt lgkmcnt(1)
	v_add_u32_e32 v66, v66, v12
	v_lshlrev_b64 v[66:67], 3, v[66:67]
	v_add_co_u32_e32 v66, vcc, s82, v66
	v_addc_co_u32_e32 v67, vcc, v68, v67, vcc
	s_waitcnt lgkmcnt(0)
	global_store_dwordx2 v[66:67], v[64:65], off
	s_or_b64 exec, exec, s[36:37]
	s_and_saveexec_b64 s[36:37], s[48:49]
	s_cbranch_execnz .LBB736_1171
.LBB736_1186:                           ;   in Loop: Header=BB736_990 Depth=2
	s_or_b64 exec, exec, s[36:37]
	s_and_saveexec_b64 s[36:37], s[50:51]
	s_cbranch_execz .LBB736_1172
.LBB736_1187:                           ;   in Loop: Header=BB736_990 Depth=2
	v_lshlrev_b32_e32 v64, 2, v171
	ds_read_b32 v66, v64
	ds_read_b64 v[64:65], v104 offset:14336
	v_mov_b32_e32 v67, v4
	v_mov_b32_e32 v68, s83
	s_waitcnt lgkmcnt(1)
	v_add_u32_e32 v66, v66, v16
	v_lshlrev_b64 v[66:67], 3, v[66:67]
	v_add_co_u32_e32 v66, vcc, s82, v66
	v_addc_co_u32_e32 v67, vcc, v68, v67, vcc
	s_waitcnt lgkmcnt(0)
	global_store_dwordx2 v[66:67], v[64:65], off
	s_or_b64 exec, exec, s[36:37]
	s_and_saveexec_b64 s[36:37], s[52:53]
	s_cbranch_execnz .LBB736_1173
.LBB736_1188:                           ;   in Loop: Header=BB736_990 Depth=2
	s_or_b64 exec, exec, s[36:37]
	s_and_saveexec_b64 s[36:37], s[54:55]
	s_cbranch_execz .LBB736_1174
.LBB736_1189:                           ;   in Loop: Header=BB736_990 Depth=2
	v_lshlrev_b32_e32 v64, 2, v169
	ds_read_b32 v66, v64
	ds_read_b64 v[64:65], v104 offset:18432
	v_mov_b32_e32 v67, v4
	v_mov_b32_e32 v68, s83
	s_waitcnt lgkmcnt(1)
	v_add_u32_e32 v66, v66, v20
	v_lshlrev_b64 v[66:67], 3, v[66:67]
	v_add_co_u32_e32 v66, vcc, s82, v66
	v_addc_co_u32_e32 v67, vcc, v68, v67, vcc
	s_waitcnt lgkmcnt(0)
	global_store_dwordx2 v[66:67], v[64:65], off
	s_or_b64 exec, exec, s[36:37]
	s_and_saveexec_b64 s[36:37], s[56:57]
	s_cbranch_execnz .LBB736_1175
.LBB736_1190:                           ;   in Loop: Header=BB736_990 Depth=2
	s_or_b64 exec, exec, s[36:37]
	s_and_saveexec_b64 s[36:37], s[58:59]
	s_cbranch_execz .LBB736_1176
.LBB736_1191:                           ;   in Loop: Header=BB736_990 Depth=2
	v_lshlrev_b32_e32 v64, 2, v167
	ds_read_b32 v66, v64
	ds_read_b64 v[64:65], v104 offset:22528
	v_mov_b32_e32 v67, v4
	v_mov_b32_e32 v68, s83
	s_waitcnt lgkmcnt(1)
	v_add_u32_e32 v66, v66, v24
	v_lshlrev_b64 v[66:67], 3, v[66:67]
	v_add_co_u32_e32 v66, vcc, s82, v66
	v_addc_co_u32_e32 v67, vcc, v68, v67, vcc
	s_waitcnt lgkmcnt(0)
	global_store_dwordx2 v[66:67], v[64:65], off
	s_or_b64 exec, exec, s[36:37]
	s_and_saveexec_b64 s[36:37], s[60:61]
	s_cbranch_execnz .LBB736_1177
.LBB736_1192:                           ;   in Loop: Header=BB736_990 Depth=2
	s_or_b64 exec, exec, s[36:37]
	s_and_saveexec_b64 s[36:37], s[62:63]
	s_cbranch_execz .LBB736_1178
.LBB736_1193:                           ;   in Loop: Header=BB736_990 Depth=2
	v_lshlrev_b32_e32 v64, 2, v165
	ds_read_b32 v66, v64
	ds_read_b64 v[64:65], v104 offset:26624
	v_mov_b32_e32 v67, v4
	v_mov_b32_e32 v68, s83
	s_waitcnt lgkmcnt(1)
	v_add_u32_e32 v66, v66, v28
	v_lshlrev_b64 v[66:67], 3, v[66:67]
	v_add_co_u32_e32 v66, vcc, s82, v66
	v_addc_co_u32_e32 v67, vcc, v68, v67, vcc
	s_waitcnt lgkmcnt(0)
	global_store_dwordx2 v[66:67], v[64:65], off
	s_or_b64 exec, exec, s[36:37]
	s_and_saveexec_b64 s[36:37], s[64:65]
	s_cbranch_execnz .LBB736_1179
.LBB736_1194:                           ;   in Loop: Header=BB736_990 Depth=2
	s_or_b64 exec, exec, s[36:37]
	s_and_saveexec_b64 s[36:37], s[66:67]
	s_cbranch_execz .LBB736_1196
.LBB736_1195:                           ;   in Loop: Header=BB736_990 Depth=2
	v_lshlrev_b32_e32 v64, 2, v163
	ds_read_b32 v66, v64
	ds_read_b64 v[64:65], v104 offset:30720
	v_mov_b32_e32 v67, v4
	v_mov_b32_e32 v68, s83
	s_waitcnt lgkmcnt(1)
	v_add_u32_e32 v66, v66, v32
	v_lshlrev_b64 v[66:67], 3, v[66:67]
	v_add_co_u32_e32 v66, vcc, s82, v66
	v_addc_co_u32_e32 v67, vcc, v68, v67, vcc
	s_waitcnt lgkmcnt(0)
	global_store_dwordx2 v[66:67], v[64:65], off
.LBB736_1196:                           ;   in Loop: Header=BB736_990 Depth=2
	s_or_b64 exec, exec, s[36:37]
	s_barrier
	s_and_saveexec_b64 s[36:37], s[4:5]
	s_cbranch_execz .LBB736_989
; %bb.1197:                             ;   in Loop: Header=BB736_990 Depth=2
	ds_read_b32 v64, v3
	s_waitcnt lgkmcnt(0)
	v_add_u32_e32 v5, v64, v5
	ds_write_b32 v3, v5
	s_branch .LBB736_989
.LBB736_1198:
	s_endpgm
	.section	.rodata,"a",@progbits
	.p2align	6, 0x0
	.amdhsa_kernel _ZN7rocprim17ROCPRIM_400000_NS6detail17trampoline_kernelINS0_14default_configENS1_36segmented_radix_sort_config_selectorIllEEZNS1_25segmented_radix_sort_implIS3_Lb1EPKlPlS8_S9_N2at6native12_GLOBAL__N_18offset_tEEE10hipError_tPvRmT1_PNSt15iterator_traitsISH_E10value_typeET2_T3_PNSI_ISN_E10value_typeET4_jRbjT5_ST_jjP12ihipStream_tbEUlT_E2_NS1_11comp_targetILNS1_3genE4ELNS1_11target_archE910ELNS1_3gpuE8ELNS1_3repE0EEENS1_30default_config_static_selectorELNS0_4arch9wavefront6targetE1EEEvSH_
		.amdhsa_group_segment_fixed_size 33808
		.amdhsa_private_segment_fixed_size 128
		.amdhsa_kernarg_size 336
		.amdhsa_user_sgpr_count 8
		.amdhsa_user_sgpr_private_segment_buffer 1
		.amdhsa_user_sgpr_dispatch_ptr 0
		.amdhsa_user_sgpr_queue_ptr 0
		.amdhsa_user_sgpr_kernarg_segment_ptr 1
		.amdhsa_user_sgpr_dispatch_id 0
		.amdhsa_user_sgpr_flat_scratch_init 1
		.amdhsa_user_sgpr_kernarg_preload_length 0
		.amdhsa_user_sgpr_kernarg_preload_offset 0
		.amdhsa_user_sgpr_private_segment_size 0
		.amdhsa_uses_dynamic_stack 0
		.amdhsa_system_sgpr_private_segment_wavefront_offset 1
		.amdhsa_system_sgpr_workgroup_id_x 1
		.amdhsa_system_sgpr_workgroup_id_y 1
		.amdhsa_system_sgpr_workgroup_id_z 0
		.amdhsa_system_sgpr_workgroup_info 0
		.amdhsa_system_vgpr_workitem_id 2
		.amdhsa_next_free_vgpr 280
		.amdhsa_next_free_sgpr 100
		.amdhsa_accum_offset 248
		.amdhsa_reserve_vcc 1
		.amdhsa_reserve_flat_scratch 1
		.amdhsa_float_round_mode_32 0
		.amdhsa_float_round_mode_16_64 0
		.amdhsa_float_denorm_mode_32 3
		.amdhsa_float_denorm_mode_16_64 3
		.amdhsa_dx10_clamp 1
		.amdhsa_ieee_mode 1
		.amdhsa_fp16_overflow 0
		.amdhsa_tg_split 0
		.amdhsa_exception_fp_ieee_invalid_op 0
		.amdhsa_exception_fp_denorm_src 0
		.amdhsa_exception_fp_ieee_div_zero 0
		.amdhsa_exception_fp_ieee_overflow 0
		.amdhsa_exception_fp_ieee_underflow 0
		.amdhsa_exception_fp_ieee_inexact 0
		.amdhsa_exception_int_div_zero 0
	.end_amdhsa_kernel
	.section	.text._ZN7rocprim17ROCPRIM_400000_NS6detail17trampoline_kernelINS0_14default_configENS1_36segmented_radix_sort_config_selectorIllEEZNS1_25segmented_radix_sort_implIS3_Lb1EPKlPlS8_S9_N2at6native12_GLOBAL__N_18offset_tEEE10hipError_tPvRmT1_PNSt15iterator_traitsISH_E10value_typeET2_T3_PNSI_ISN_E10value_typeET4_jRbjT5_ST_jjP12ihipStream_tbEUlT_E2_NS1_11comp_targetILNS1_3genE4ELNS1_11target_archE910ELNS1_3gpuE8ELNS1_3repE0EEENS1_30default_config_static_selectorELNS0_4arch9wavefront6targetE1EEEvSH_,"axG",@progbits,_ZN7rocprim17ROCPRIM_400000_NS6detail17trampoline_kernelINS0_14default_configENS1_36segmented_radix_sort_config_selectorIllEEZNS1_25segmented_radix_sort_implIS3_Lb1EPKlPlS8_S9_N2at6native12_GLOBAL__N_18offset_tEEE10hipError_tPvRmT1_PNSt15iterator_traitsISH_E10value_typeET2_T3_PNSI_ISN_E10value_typeET4_jRbjT5_ST_jjP12ihipStream_tbEUlT_E2_NS1_11comp_targetILNS1_3genE4ELNS1_11target_archE910ELNS1_3gpuE8ELNS1_3repE0EEENS1_30default_config_static_selectorELNS0_4arch9wavefront6targetE1EEEvSH_,comdat
.Lfunc_end736:
	.size	_ZN7rocprim17ROCPRIM_400000_NS6detail17trampoline_kernelINS0_14default_configENS1_36segmented_radix_sort_config_selectorIllEEZNS1_25segmented_radix_sort_implIS3_Lb1EPKlPlS8_S9_N2at6native12_GLOBAL__N_18offset_tEEE10hipError_tPvRmT1_PNSt15iterator_traitsISH_E10value_typeET2_T3_PNSI_ISN_E10value_typeET4_jRbjT5_ST_jjP12ihipStream_tbEUlT_E2_NS1_11comp_targetILNS1_3genE4ELNS1_11target_archE910ELNS1_3gpuE8ELNS1_3repE0EEENS1_30default_config_static_selectorELNS0_4arch9wavefront6targetE1EEEvSH_, .Lfunc_end736-_ZN7rocprim17ROCPRIM_400000_NS6detail17trampoline_kernelINS0_14default_configENS1_36segmented_radix_sort_config_selectorIllEEZNS1_25segmented_radix_sort_implIS3_Lb1EPKlPlS8_S9_N2at6native12_GLOBAL__N_18offset_tEEE10hipError_tPvRmT1_PNSt15iterator_traitsISH_E10value_typeET2_T3_PNSI_ISN_E10value_typeET4_jRbjT5_ST_jjP12ihipStream_tbEUlT_E2_NS1_11comp_targetILNS1_3genE4ELNS1_11target_archE910ELNS1_3gpuE8ELNS1_3repE0EEENS1_30default_config_static_selectorELNS0_4arch9wavefront6targetE1EEEvSH_
                                        ; -- End function
	.section	.AMDGPU.csdata,"",@progbits
; Kernel info:
; codeLenInByte = 67740
; NumSgprs: 106
; NumVgprs: 248
; NumAgprs: 32
; TotalNumVgprs: 280
; ScratchSize: 128
; MemoryBound: 0
; FloatMode: 240
; IeeeMode: 1
; LDSByteSize: 33808 bytes/workgroup (compile time only)
; SGPRBlocks: 13
; VGPRBlocks: 34
; NumSGPRsForWavesPerEU: 106
; NumVGPRsForWavesPerEU: 280
; AccumOffset: 248
; Occupancy: 1
; WaveLimiterHint : 1
; COMPUTE_PGM_RSRC2:SCRATCH_EN: 1
; COMPUTE_PGM_RSRC2:USER_SGPR: 8
; COMPUTE_PGM_RSRC2:TRAP_HANDLER: 0
; COMPUTE_PGM_RSRC2:TGID_X_EN: 1
; COMPUTE_PGM_RSRC2:TGID_Y_EN: 1
; COMPUTE_PGM_RSRC2:TGID_Z_EN: 0
; COMPUTE_PGM_RSRC2:TIDIG_COMP_CNT: 2
; COMPUTE_PGM_RSRC3_GFX90A:ACCUM_OFFSET: 61
; COMPUTE_PGM_RSRC3_GFX90A:TG_SPLIT: 0
	.section	.text._ZN7rocprim17ROCPRIM_400000_NS6detail17trampoline_kernelINS0_14default_configENS1_36segmented_radix_sort_config_selectorIllEEZNS1_25segmented_radix_sort_implIS3_Lb1EPKlPlS8_S9_N2at6native12_GLOBAL__N_18offset_tEEE10hipError_tPvRmT1_PNSt15iterator_traitsISH_E10value_typeET2_T3_PNSI_ISN_E10value_typeET4_jRbjT5_ST_jjP12ihipStream_tbEUlT_E2_NS1_11comp_targetILNS1_3genE3ELNS1_11target_archE908ELNS1_3gpuE7ELNS1_3repE0EEENS1_30default_config_static_selectorELNS0_4arch9wavefront6targetE1EEEvSH_,"axG",@progbits,_ZN7rocprim17ROCPRIM_400000_NS6detail17trampoline_kernelINS0_14default_configENS1_36segmented_radix_sort_config_selectorIllEEZNS1_25segmented_radix_sort_implIS3_Lb1EPKlPlS8_S9_N2at6native12_GLOBAL__N_18offset_tEEE10hipError_tPvRmT1_PNSt15iterator_traitsISH_E10value_typeET2_T3_PNSI_ISN_E10value_typeET4_jRbjT5_ST_jjP12ihipStream_tbEUlT_E2_NS1_11comp_targetILNS1_3genE3ELNS1_11target_archE908ELNS1_3gpuE7ELNS1_3repE0EEENS1_30default_config_static_selectorELNS0_4arch9wavefront6targetE1EEEvSH_,comdat
	.globl	_ZN7rocprim17ROCPRIM_400000_NS6detail17trampoline_kernelINS0_14default_configENS1_36segmented_radix_sort_config_selectorIllEEZNS1_25segmented_radix_sort_implIS3_Lb1EPKlPlS8_S9_N2at6native12_GLOBAL__N_18offset_tEEE10hipError_tPvRmT1_PNSt15iterator_traitsISH_E10value_typeET2_T3_PNSI_ISN_E10value_typeET4_jRbjT5_ST_jjP12ihipStream_tbEUlT_E2_NS1_11comp_targetILNS1_3genE3ELNS1_11target_archE908ELNS1_3gpuE7ELNS1_3repE0EEENS1_30default_config_static_selectorELNS0_4arch9wavefront6targetE1EEEvSH_ ; -- Begin function _ZN7rocprim17ROCPRIM_400000_NS6detail17trampoline_kernelINS0_14default_configENS1_36segmented_radix_sort_config_selectorIllEEZNS1_25segmented_radix_sort_implIS3_Lb1EPKlPlS8_S9_N2at6native12_GLOBAL__N_18offset_tEEE10hipError_tPvRmT1_PNSt15iterator_traitsISH_E10value_typeET2_T3_PNSI_ISN_E10value_typeET4_jRbjT5_ST_jjP12ihipStream_tbEUlT_E2_NS1_11comp_targetILNS1_3genE3ELNS1_11target_archE908ELNS1_3gpuE7ELNS1_3repE0EEENS1_30default_config_static_selectorELNS0_4arch9wavefront6targetE1EEEvSH_
	.p2align	8
	.type	_ZN7rocprim17ROCPRIM_400000_NS6detail17trampoline_kernelINS0_14default_configENS1_36segmented_radix_sort_config_selectorIllEEZNS1_25segmented_radix_sort_implIS3_Lb1EPKlPlS8_S9_N2at6native12_GLOBAL__N_18offset_tEEE10hipError_tPvRmT1_PNSt15iterator_traitsISH_E10value_typeET2_T3_PNSI_ISN_E10value_typeET4_jRbjT5_ST_jjP12ihipStream_tbEUlT_E2_NS1_11comp_targetILNS1_3genE3ELNS1_11target_archE908ELNS1_3gpuE7ELNS1_3repE0EEENS1_30default_config_static_selectorELNS0_4arch9wavefront6targetE1EEEvSH_,@function
_ZN7rocprim17ROCPRIM_400000_NS6detail17trampoline_kernelINS0_14default_configENS1_36segmented_radix_sort_config_selectorIllEEZNS1_25segmented_radix_sort_implIS3_Lb1EPKlPlS8_S9_N2at6native12_GLOBAL__N_18offset_tEEE10hipError_tPvRmT1_PNSt15iterator_traitsISH_E10value_typeET2_T3_PNSI_ISN_E10value_typeET4_jRbjT5_ST_jjP12ihipStream_tbEUlT_E2_NS1_11comp_targetILNS1_3genE3ELNS1_11target_archE908ELNS1_3gpuE7ELNS1_3repE0EEENS1_30default_config_static_selectorELNS0_4arch9wavefront6targetE1EEEvSH_: ; @_ZN7rocprim17ROCPRIM_400000_NS6detail17trampoline_kernelINS0_14default_configENS1_36segmented_radix_sort_config_selectorIllEEZNS1_25segmented_radix_sort_implIS3_Lb1EPKlPlS8_S9_N2at6native12_GLOBAL__N_18offset_tEEE10hipError_tPvRmT1_PNSt15iterator_traitsISH_E10value_typeET2_T3_PNSI_ISN_E10value_typeET4_jRbjT5_ST_jjP12ihipStream_tbEUlT_E2_NS1_11comp_targetILNS1_3genE3ELNS1_11target_archE908ELNS1_3gpuE7ELNS1_3repE0EEENS1_30default_config_static_selectorELNS0_4arch9wavefront6targetE1EEEvSH_
; %bb.0:
	.section	.rodata,"a",@progbits
	.p2align	6, 0x0
	.amdhsa_kernel _ZN7rocprim17ROCPRIM_400000_NS6detail17trampoline_kernelINS0_14default_configENS1_36segmented_radix_sort_config_selectorIllEEZNS1_25segmented_radix_sort_implIS3_Lb1EPKlPlS8_S9_N2at6native12_GLOBAL__N_18offset_tEEE10hipError_tPvRmT1_PNSt15iterator_traitsISH_E10value_typeET2_T3_PNSI_ISN_E10value_typeET4_jRbjT5_ST_jjP12ihipStream_tbEUlT_E2_NS1_11comp_targetILNS1_3genE3ELNS1_11target_archE908ELNS1_3gpuE7ELNS1_3repE0EEENS1_30default_config_static_selectorELNS0_4arch9wavefront6targetE1EEEvSH_
		.amdhsa_group_segment_fixed_size 0
		.amdhsa_private_segment_fixed_size 0
		.amdhsa_kernarg_size 80
		.amdhsa_user_sgpr_count 6
		.amdhsa_user_sgpr_private_segment_buffer 1
		.amdhsa_user_sgpr_dispatch_ptr 0
		.amdhsa_user_sgpr_queue_ptr 0
		.amdhsa_user_sgpr_kernarg_segment_ptr 1
		.amdhsa_user_sgpr_dispatch_id 0
		.amdhsa_user_sgpr_flat_scratch_init 0
		.amdhsa_user_sgpr_kernarg_preload_length 0
		.amdhsa_user_sgpr_kernarg_preload_offset 0
		.amdhsa_user_sgpr_private_segment_size 0
		.amdhsa_uses_dynamic_stack 0
		.amdhsa_system_sgpr_private_segment_wavefront_offset 0
		.amdhsa_system_sgpr_workgroup_id_x 1
		.amdhsa_system_sgpr_workgroup_id_y 0
		.amdhsa_system_sgpr_workgroup_id_z 0
		.amdhsa_system_sgpr_workgroup_info 0
		.amdhsa_system_vgpr_workitem_id 0
		.amdhsa_next_free_vgpr 1
		.amdhsa_next_free_sgpr 0
		.amdhsa_accum_offset 4
		.amdhsa_reserve_vcc 0
		.amdhsa_reserve_flat_scratch 0
		.amdhsa_float_round_mode_32 0
		.amdhsa_float_round_mode_16_64 0
		.amdhsa_float_denorm_mode_32 3
		.amdhsa_float_denorm_mode_16_64 3
		.amdhsa_dx10_clamp 1
		.amdhsa_ieee_mode 1
		.amdhsa_fp16_overflow 0
		.amdhsa_tg_split 0
		.amdhsa_exception_fp_ieee_invalid_op 0
		.amdhsa_exception_fp_denorm_src 0
		.amdhsa_exception_fp_ieee_div_zero 0
		.amdhsa_exception_fp_ieee_overflow 0
		.amdhsa_exception_fp_ieee_underflow 0
		.amdhsa_exception_fp_ieee_inexact 0
		.amdhsa_exception_int_div_zero 0
	.end_amdhsa_kernel
	.section	.text._ZN7rocprim17ROCPRIM_400000_NS6detail17trampoline_kernelINS0_14default_configENS1_36segmented_radix_sort_config_selectorIllEEZNS1_25segmented_radix_sort_implIS3_Lb1EPKlPlS8_S9_N2at6native12_GLOBAL__N_18offset_tEEE10hipError_tPvRmT1_PNSt15iterator_traitsISH_E10value_typeET2_T3_PNSI_ISN_E10value_typeET4_jRbjT5_ST_jjP12ihipStream_tbEUlT_E2_NS1_11comp_targetILNS1_3genE3ELNS1_11target_archE908ELNS1_3gpuE7ELNS1_3repE0EEENS1_30default_config_static_selectorELNS0_4arch9wavefront6targetE1EEEvSH_,"axG",@progbits,_ZN7rocprim17ROCPRIM_400000_NS6detail17trampoline_kernelINS0_14default_configENS1_36segmented_radix_sort_config_selectorIllEEZNS1_25segmented_radix_sort_implIS3_Lb1EPKlPlS8_S9_N2at6native12_GLOBAL__N_18offset_tEEE10hipError_tPvRmT1_PNSt15iterator_traitsISH_E10value_typeET2_T3_PNSI_ISN_E10value_typeET4_jRbjT5_ST_jjP12ihipStream_tbEUlT_E2_NS1_11comp_targetILNS1_3genE3ELNS1_11target_archE908ELNS1_3gpuE7ELNS1_3repE0EEENS1_30default_config_static_selectorELNS0_4arch9wavefront6targetE1EEEvSH_,comdat
.Lfunc_end737:
	.size	_ZN7rocprim17ROCPRIM_400000_NS6detail17trampoline_kernelINS0_14default_configENS1_36segmented_radix_sort_config_selectorIllEEZNS1_25segmented_radix_sort_implIS3_Lb1EPKlPlS8_S9_N2at6native12_GLOBAL__N_18offset_tEEE10hipError_tPvRmT1_PNSt15iterator_traitsISH_E10value_typeET2_T3_PNSI_ISN_E10value_typeET4_jRbjT5_ST_jjP12ihipStream_tbEUlT_E2_NS1_11comp_targetILNS1_3genE3ELNS1_11target_archE908ELNS1_3gpuE7ELNS1_3repE0EEENS1_30default_config_static_selectorELNS0_4arch9wavefront6targetE1EEEvSH_, .Lfunc_end737-_ZN7rocprim17ROCPRIM_400000_NS6detail17trampoline_kernelINS0_14default_configENS1_36segmented_radix_sort_config_selectorIllEEZNS1_25segmented_radix_sort_implIS3_Lb1EPKlPlS8_S9_N2at6native12_GLOBAL__N_18offset_tEEE10hipError_tPvRmT1_PNSt15iterator_traitsISH_E10value_typeET2_T3_PNSI_ISN_E10value_typeET4_jRbjT5_ST_jjP12ihipStream_tbEUlT_E2_NS1_11comp_targetILNS1_3genE3ELNS1_11target_archE908ELNS1_3gpuE7ELNS1_3repE0EEENS1_30default_config_static_selectorELNS0_4arch9wavefront6targetE1EEEvSH_
                                        ; -- End function
	.section	.AMDGPU.csdata,"",@progbits
; Kernel info:
; codeLenInByte = 0
; NumSgprs: 4
; NumVgprs: 0
; NumAgprs: 0
; TotalNumVgprs: 0
; ScratchSize: 0
; MemoryBound: 0
; FloatMode: 240
; IeeeMode: 1
; LDSByteSize: 0 bytes/workgroup (compile time only)
; SGPRBlocks: 0
; VGPRBlocks: 0
; NumSGPRsForWavesPerEU: 4
; NumVGPRsForWavesPerEU: 1
; AccumOffset: 4
; Occupancy: 8
; WaveLimiterHint : 0
; COMPUTE_PGM_RSRC2:SCRATCH_EN: 0
; COMPUTE_PGM_RSRC2:USER_SGPR: 6
; COMPUTE_PGM_RSRC2:TRAP_HANDLER: 0
; COMPUTE_PGM_RSRC2:TGID_X_EN: 1
; COMPUTE_PGM_RSRC2:TGID_Y_EN: 0
; COMPUTE_PGM_RSRC2:TGID_Z_EN: 0
; COMPUTE_PGM_RSRC2:TIDIG_COMP_CNT: 0
; COMPUTE_PGM_RSRC3_GFX90A:ACCUM_OFFSET: 0
; COMPUTE_PGM_RSRC3_GFX90A:TG_SPLIT: 0
	.section	.text._ZN7rocprim17ROCPRIM_400000_NS6detail17trampoline_kernelINS0_14default_configENS1_36segmented_radix_sort_config_selectorIllEEZNS1_25segmented_radix_sort_implIS3_Lb1EPKlPlS8_S9_N2at6native12_GLOBAL__N_18offset_tEEE10hipError_tPvRmT1_PNSt15iterator_traitsISH_E10value_typeET2_T3_PNSI_ISN_E10value_typeET4_jRbjT5_ST_jjP12ihipStream_tbEUlT_E2_NS1_11comp_targetILNS1_3genE2ELNS1_11target_archE906ELNS1_3gpuE6ELNS1_3repE0EEENS1_30default_config_static_selectorELNS0_4arch9wavefront6targetE1EEEvSH_,"axG",@progbits,_ZN7rocprim17ROCPRIM_400000_NS6detail17trampoline_kernelINS0_14default_configENS1_36segmented_radix_sort_config_selectorIllEEZNS1_25segmented_radix_sort_implIS3_Lb1EPKlPlS8_S9_N2at6native12_GLOBAL__N_18offset_tEEE10hipError_tPvRmT1_PNSt15iterator_traitsISH_E10value_typeET2_T3_PNSI_ISN_E10value_typeET4_jRbjT5_ST_jjP12ihipStream_tbEUlT_E2_NS1_11comp_targetILNS1_3genE2ELNS1_11target_archE906ELNS1_3gpuE6ELNS1_3repE0EEENS1_30default_config_static_selectorELNS0_4arch9wavefront6targetE1EEEvSH_,comdat
	.globl	_ZN7rocprim17ROCPRIM_400000_NS6detail17trampoline_kernelINS0_14default_configENS1_36segmented_radix_sort_config_selectorIllEEZNS1_25segmented_radix_sort_implIS3_Lb1EPKlPlS8_S9_N2at6native12_GLOBAL__N_18offset_tEEE10hipError_tPvRmT1_PNSt15iterator_traitsISH_E10value_typeET2_T3_PNSI_ISN_E10value_typeET4_jRbjT5_ST_jjP12ihipStream_tbEUlT_E2_NS1_11comp_targetILNS1_3genE2ELNS1_11target_archE906ELNS1_3gpuE6ELNS1_3repE0EEENS1_30default_config_static_selectorELNS0_4arch9wavefront6targetE1EEEvSH_ ; -- Begin function _ZN7rocprim17ROCPRIM_400000_NS6detail17trampoline_kernelINS0_14default_configENS1_36segmented_radix_sort_config_selectorIllEEZNS1_25segmented_radix_sort_implIS3_Lb1EPKlPlS8_S9_N2at6native12_GLOBAL__N_18offset_tEEE10hipError_tPvRmT1_PNSt15iterator_traitsISH_E10value_typeET2_T3_PNSI_ISN_E10value_typeET4_jRbjT5_ST_jjP12ihipStream_tbEUlT_E2_NS1_11comp_targetILNS1_3genE2ELNS1_11target_archE906ELNS1_3gpuE6ELNS1_3repE0EEENS1_30default_config_static_selectorELNS0_4arch9wavefront6targetE1EEEvSH_
	.p2align	8
	.type	_ZN7rocprim17ROCPRIM_400000_NS6detail17trampoline_kernelINS0_14default_configENS1_36segmented_radix_sort_config_selectorIllEEZNS1_25segmented_radix_sort_implIS3_Lb1EPKlPlS8_S9_N2at6native12_GLOBAL__N_18offset_tEEE10hipError_tPvRmT1_PNSt15iterator_traitsISH_E10value_typeET2_T3_PNSI_ISN_E10value_typeET4_jRbjT5_ST_jjP12ihipStream_tbEUlT_E2_NS1_11comp_targetILNS1_3genE2ELNS1_11target_archE906ELNS1_3gpuE6ELNS1_3repE0EEENS1_30default_config_static_selectorELNS0_4arch9wavefront6targetE1EEEvSH_,@function
_ZN7rocprim17ROCPRIM_400000_NS6detail17trampoline_kernelINS0_14default_configENS1_36segmented_radix_sort_config_selectorIllEEZNS1_25segmented_radix_sort_implIS3_Lb1EPKlPlS8_S9_N2at6native12_GLOBAL__N_18offset_tEEE10hipError_tPvRmT1_PNSt15iterator_traitsISH_E10value_typeET2_T3_PNSI_ISN_E10value_typeET4_jRbjT5_ST_jjP12ihipStream_tbEUlT_E2_NS1_11comp_targetILNS1_3genE2ELNS1_11target_archE906ELNS1_3gpuE6ELNS1_3repE0EEENS1_30default_config_static_selectorELNS0_4arch9wavefront6targetE1EEEvSH_: ; @_ZN7rocprim17ROCPRIM_400000_NS6detail17trampoline_kernelINS0_14default_configENS1_36segmented_radix_sort_config_selectorIllEEZNS1_25segmented_radix_sort_implIS3_Lb1EPKlPlS8_S9_N2at6native12_GLOBAL__N_18offset_tEEE10hipError_tPvRmT1_PNSt15iterator_traitsISH_E10value_typeET2_T3_PNSI_ISN_E10value_typeET4_jRbjT5_ST_jjP12ihipStream_tbEUlT_E2_NS1_11comp_targetILNS1_3genE2ELNS1_11target_archE906ELNS1_3gpuE6ELNS1_3repE0EEENS1_30default_config_static_selectorELNS0_4arch9wavefront6targetE1EEEvSH_
; %bb.0:
	.section	.rodata,"a",@progbits
	.p2align	6, 0x0
	.amdhsa_kernel _ZN7rocprim17ROCPRIM_400000_NS6detail17trampoline_kernelINS0_14default_configENS1_36segmented_radix_sort_config_selectorIllEEZNS1_25segmented_radix_sort_implIS3_Lb1EPKlPlS8_S9_N2at6native12_GLOBAL__N_18offset_tEEE10hipError_tPvRmT1_PNSt15iterator_traitsISH_E10value_typeET2_T3_PNSI_ISN_E10value_typeET4_jRbjT5_ST_jjP12ihipStream_tbEUlT_E2_NS1_11comp_targetILNS1_3genE2ELNS1_11target_archE906ELNS1_3gpuE6ELNS1_3repE0EEENS1_30default_config_static_selectorELNS0_4arch9wavefront6targetE1EEEvSH_
		.amdhsa_group_segment_fixed_size 0
		.amdhsa_private_segment_fixed_size 0
		.amdhsa_kernarg_size 80
		.amdhsa_user_sgpr_count 6
		.amdhsa_user_sgpr_private_segment_buffer 1
		.amdhsa_user_sgpr_dispatch_ptr 0
		.amdhsa_user_sgpr_queue_ptr 0
		.amdhsa_user_sgpr_kernarg_segment_ptr 1
		.amdhsa_user_sgpr_dispatch_id 0
		.amdhsa_user_sgpr_flat_scratch_init 0
		.amdhsa_user_sgpr_kernarg_preload_length 0
		.amdhsa_user_sgpr_kernarg_preload_offset 0
		.amdhsa_user_sgpr_private_segment_size 0
		.amdhsa_uses_dynamic_stack 0
		.amdhsa_system_sgpr_private_segment_wavefront_offset 0
		.amdhsa_system_sgpr_workgroup_id_x 1
		.amdhsa_system_sgpr_workgroup_id_y 0
		.amdhsa_system_sgpr_workgroup_id_z 0
		.amdhsa_system_sgpr_workgroup_info 0
		.amdhsa_system_vgpr_workitem_id 0
		.amdhsa_next_free_vgpr 1
		.amdhsa_next_free_sgpr 0
		.amdhsa_accum_offset 4
		.amdhsa_reserve_vcc 0
		.amdhsa_reserve_flat_scratch 0
		.amdhsa_float_round_mode_32 0
		.amdhsa_float_round_mode_16_64 0
		.amdhsa_float_denorm_mode_32 3
		.amdhsa_float_denorm_mode_16_64 3
		.amdhsa_dx10_clamp 1
		.amdhsa_ieee_mode 1
		.amdhsa_fp16_overflow 0
		.amdhsa_tg_split 0
		.amdhsa_exception_fp_ieee_invalid_op 0
		.amdhsa_exception_fp_denorm_src 0
		.amdhsa_exception_fp_ieee_div_zero 0
		.amdhsa_exception_fp_ieee_overflow 0
		.amdhsa_exception_fp_ieee_underflow 0
		.amdhsa_exception_fp_ieee_inexact 0
		.amdhsa_exception_int_div_zero 0
	.end_amdhsa_kernel
	.section	.text._ZN7rocprim17ROCPRIM_400000_NS6detail17trampoline_kernelINS0_14default_configENS1_36segmented_radix_sort_config_selectorIllEEZNS1_25segmented_radix_sort_implIS3_Lb1EPKlPlS8_S9_N2at6native12_GLOBAL__N_18offset_tEEE10hipError_tPvRmT1_PNSt15iterator_traitsISH_E10value_typeET2_T3_PNSI_ISN_E10value_typeET4_jRbjT5_ST_jjP12ihipStream_tbEUlT_E2_NS1_11comp_targetILNS1_3genE2ELNS1_11target_archE906ELNS1_3gpuE6ELNS1_3repE0EEENS1_30default_config_static_selectorELNS0_4arch9wavefront6targetE1EEEvSH_,"axG",@progbits,_ZN7rocprim17ROCPRIM_400000_NS6detail17trampoline_kernelINS0_14default_configENS1_36segmented_radix_sort_config_selectorIllEEZNS1_25segmented_radix_sort_implIS3_Lb1EPKlPlS8_S9_N2at6native12_GLOBAL__N_18offset_tEEE10hipError_tPvRmT1_PNSt15iterator_traitsISH_E10value_typeET2_T3_PNSI_ISN_E10value_typeET4_jRbjT5_ST_jjP12ihipStream_tbEUlT_E2_NS1_11comp_targetILNS1_3genE2ELNS1_11target_archE906ELNS1_3gpuE6ELNS1_3repE0EEENS1_30default_config_static_selectorELNS0_4arch9wavefront6targetE1EEEvSH_,comdat
.Lfunc_end738:
	.size	_ZN7rocprim17ROCPRIM_400000_NS6detail17trampoline_kernelINS0_14default_configENS1_36segmented_radix_sort_config_selectorIllEEZNS1_25segmented_radix_sort_implIS3_Lb1EPKlPlS8_S9_N2at6native12_GLOBAL__N_18offset_tEEE10hipError_tPvRmT1_PNSt15iterator_traitsISH_E10value_typeET2_T3_PNSI_ISN_E10value_typeET4_jRbjT5_ST_jjP12ihipStream_tbEUlT_E2_NS1_11comp_targetILNS1_3genE2ELNS1_11target_archE906ELNS1_3gpuE6ELNS1_3repE0EEENS1_30default_config_static_selectorELNS0_4arch9wavefront6targetE1EEEvSH_, .Lfunc_end738-_ZN7rocprim17ROCPRIM_400000_NS6detail17trampoline_kernelINS0_14default_configENS1_36segmented_radix_sort_config_selectorIllEEZNS1_25segmented_radix_sort_implIS3_Lb1EPKlPlS8_S9_N2at6native12_GLOBAL__N_18offset_tEEE10hipError_tPvRmT1_PNSt15iterator_traitsISH_E10value_typeET2_T3_PNSI_ISN_E10value_typeET4_jRbjT5_ST_jjP12ihipStream_tbEUlT_E2_NS1_11comp_targetILNS1_3genE2ELNS1_11target_archE906ELNS1_3gpuE6ELNS1_3repE0EEENS1_30default_config_static_selectorELNS0_4arch9wavefront6targetE1EEEvSH_
                                        ; -- End function
	.section	.AMDGPU.csdata,"",@progbits
; Kernel info:
; codeLenInByte = 0
; NumSgprs: 4
; NumVgprs: 0
; NumAgprs: 0
; TotalNumVgprs: 0
; ScratchSize: 0
; MemoryBound: 0
; FloatMode: 240
; IeeeMode: 1
; LDSByteSize: 0 bytes/workgroup (compile time only)
; SGPRBlocks: 0
; VGPRBlocks: 0
; NumSGPRsForWavesPerEU: 4
; NumVGPRsForWavesPerEU: 1
; AccumOffset: 4
; Occupancy: 8
; WaveLimiterHint : 0
; COMPUTE_PGM_RSRC2:SCRATCH_EN: 0
; COMPUTE_PGM_RSRC2:USER_SGPR: 6
; COMPUTE_PGM_RSRC2:TRAP_HANDLER: 0
; COMPUTE_PGM_RSRC2:TGID_X_EN: 1
; COMPUTE_PGM_RSRC2:TGID_Y_EN: 0
; COMPUTE_PGM_RSRC2:TGID_Z_EN: 0
; COMPUTE_PGM_RSRC2:TIDIG_COMP_CNT: 0
; COMPUTE_PGM_RSRC3_GFX90A:ACCUM_OFFSET: 0
; COMPUTE_PGM_RSRC3_GFX90A:TG_SPLIT: 0
	.section	.text._ZN7rocprim17ROCPRIM_400000_NS6detail17trampoline_kernelINS0_14default_configENS1_36segmented_radix_sort_config_selectorIllEEZNS1_25segmented_radix_sort_implIS3_Lb1EPKlPlS8_S9_N2at6native12_GLOBAL__N_18offset_tEEE10hipError_tPvRmT1_PNSt15iterator_traitsISH_E10value_typeET2_T3_PNSI_ISN_E10value_typeET4_jRbjT5_ST_jjP12ihipStream_tbEUlT_E2_NS1_11comp_targetILNS1_3genE10ELNS1_11target_archE1201ELNS1_3gpuE5ELNS1_3repE0EEENS1_30default_config_static_selectorELNS0_4arch9wavefront6targetE1EEEvSH_,"axG",@progbits,_ZN7rocprim17ROCPRIM_400000_NS6detail17trampoline_kernelINS0_14default_configENS1_36segmented_radix_sort_config_selectorIllEEZNS1_25segmented_radix_sort_implIS3_Lb1EPKlPlS8_S9_N2at6native12_GLOBAL__N_18offset_tEEE10hipError_tPvRmT1_PNSt15iterator_traitsISH_E10value_typeET2_T3_PNSI_ISN_E10value_typeET4_jRbjT5_ST_jjP12ihipStream_tbEUlT_E2_NS1_11comp_targetILNS1_3genE10ELNS1_11target_archE1201ELNS1_3gpuE5ELNS1_3repE0EEENS1_30default_config_static_selectorELNS0_4arch9wavefront6targetE1EEEvSH_,comdat
	.globl	_ZN7rocprim17ROCPRIM_400000_NS6detail17trampoline_kernelINS0_14default_configENS1_36segmented_radix_sort_config_selectorIllEEZNS1_25segmented_radix_sort_implIS3_Lb1EPKlPlS8_S9_N2at6native12_GLOBAL__N_18offset_tEEE10hipError_tPvRmT1_PNSt15iterator_traitsISH_E10value_typeET2_T3_PNSI_ISN_E10value_typeET4_jRbjT5_ST_jjP12ihipStream_tbEUlT_E2_NS1_11comp_targetILNS1_3genE10ELNS1_11target_archE1201ELNS1_3gpuE5ELNS1_3repE0EEENS1_30default_config_static_selectorELNS0_4arch9wavefront6targetE1EEEvSH_ ; -- Begin function _ZN7rocprim17ROCPRIM_400000_NS6detail17trampoline_kernelINS0_14default_configENS1_36segmented_radix_sort_config_selectorIllEEZNS1_25segmented_radix_sort_implIS3_Lb1EPKlPlS8_S9_N2at6native12_GLOBAL__N_18offset_tEEE10hipError_tPvRmT1_PNSt15iterator_traitsISH_E10value_typeET2_T3_PNSI_ISN_E10value_typeET4_jRbjT5_ST_jjP12ihipStream_tbEUlT_E2_NS1_11comp_targetILNS1_3genE10ELNS1_11target_archE1201ELNS1_3gpuE5ELNS1_3repE0EEENS1_30default_config_static_selectorELNS0_4arch9wavefront6targetE1EEEvSH_
	.p2align	8
	.type	_ZN7rocprim17ROCPRIM_400000_NS6detail17trampoline_kernelINS0_14default_configENS1_36segmented_radix_sort_config_selectorIllEEZNS1_25segmented_radix_sort_implIS3_Lb1EPKlPlS8_S9_N2at6native12_GLOBAL__N_18offset_tEEE10hipError_tPvRmT1_PNSt15iterator_traitsISH_E10value_typeET2_T3_PNSI_ISN_E10value_typeET4_jRbjT5_ST_jjP12ihipStream_tbEUlT_E2_NS1_11comp_targetILNS1_3genE10ELNS1_11target_archE1201ELNS1_3gpuE5ELNS1_3repE0EEENS1_30default_config_static_selectorELNS0_4arch9wavefront6targetE1EEEvSH_,@function
_ZN7rocprim17ROCPRIM_400000_NS6detail17trampoline_kernelINS0_14default_configENS1_36segmented_radix_sort_config_selectorIllEEZNS1_25segmented_radix_sort_implIS3_Lb1EPKlPlS8_S9_N2at6native12_GLOBAL__N_18offset_tEEE10hipError_tPvRmT1_PNSt15iterator_traitsISH_E10value_typeET2_T3_PNSI_ISN_E10value_typeET4_jRbjT5_ST_jjP12ihipStream_tbEUlT_E2_NS1_11comp_targetILNS1_3genE10ELNS1_11target_archE1201ELNS1_3gpuE5ELNS1_3repE0EEENS1_30default_config_static_selectorELNS0_4arch9wavefront6targetE1EEEvSH_: ; @_ZN7rocprim17ROCPRIM_400000_NS6detail17trampoline_kernelINS0_14default_configENS1_36segmented_radix_sort_config_selectorIllEEZNS1_25segmented_radix_sort_implIS3_Lb1EPKlPlS8_S9_N2at6native12_GLOBAL__N_18offset_tEEE10hipError_tPvRmT1_PNSt15iterator_traitsISH_E10value_typeET2_T3_PNSI_ISN_E10value_typeET4_jRbjT5_ST_jjP12ihipStream_tbEUlT_E2_NS1_11comp_targetILNS1_3genE10ELNS1_11target_archE1201ELNS1_3gpuE5ELNS1_3repE0EEENS1_30default_config_static_selectorELNS0_4arch9wavefront6targetE1EEEvSH_
; %bb.0:
	.section	.rodata,"a",@progbits
	.p2align	6, 0x0
	.amdhsa_kernel _ZN7rocprim17ROCPRIM_400000_NS6detail17trampoline_kernelINS0_14default_configENS1_36segmented_radix_sort_config_selectorIllEEZNS1_25segmented_radix_sort_implIS3_Lb1EPKlPlS8_S9_N2at6native12_GLOBAL__N_18offset_tEEE10hipError_tPvRmT1_PNSt15iterator_traitsISH_E10value_typeET2_T3_PNSI_ISN_E10value_typeET4_jRbjT5_ST_jjP12ihipStream_tbEUlT_E2_NS1_11comp_targetILNS1_3genE10ELNS1_11target_archE1201ELNS1_3gpuE5ELNS1_3repE0EEENS1_30default_config_static_selectorELNS0_4arch9wavefront6targetE1EEEvSH_
		.amdhsa_group_segment_fixed_size 0
		.amdhsa_private_segment_fixed_size 0
		.amdhsa_kernarg_size 80
		.amdhsa_user_sgpr_count 6
		.amdhsa_user_sgpr_private_segment_buffer 1
		.amdhsa_user_sgpr_dispatch_ptr 0
		.amdhsa_user_sgpr_queue_ptr 0
		.amdhsa_user_sgpr_kernarg_segment_ptr 1
		.amdhsa_user_sgpr_dispatch_id 0
		.amdhsa_user_sgpr_flat_scratch_init 0
		.amdhsa_user_sgpr_kernarg_preload_length 0
		.amdhsa_user_sgpr_kernarg_preload_offset 0
		.amdhsa_user_sgpr_private_segment_size 0
		.amdhsa_uses_dynamic_stack 0
		.amdhsa_system_sgpr_private_segment_wavefront_offset 0
		.amdhsa_system_sgpr_workgroup_id_x 1
		.amdhsa_system_sgpr_workgroup_id_y 0
		.amdhsa_system_sgpr_workgroup_id_z 0
		.amdhsa_system_sgpr_workgroup_info 0
		.amdhsa_system_vgpr_workitem_id 0
		.amdhsa_next_free_vgpr 1
		.amdhsa_next_free_sgpr 0
		.amdhsa_accum_offset 4
		.amdhsa_reserve_vcc 0
		.amdhsa_reserve_flat_scratch 0
		.amdhsa_float_round_mode_32 0
		.amdhsa_float_round_mode_16_64 0
		.amdhsa_float_denorm_mode_32 3
		.amdhsa_float_denorm_mode_16_64 3
		.amdhsa_dx10_clamp 1
		.amdhsa_ieee_mode 1
		.amdhsa_fp16_overflow 0
		.amdhsa_tg_split 0
		.amdhsa_exception_fp_ieee_invalid_op 0
		.amdhsa_exception_fp_denorm_src 0
		.amdhsa_exception_fp_ieee_div_zero 0
		.amdhsa_exception_fp_ieee_overflow 0
		.amdhsa_exception_fp_ieee_underflow 0
		.amdhsa_exception_fp_ieee_inexact 0
		.amdhsa_exception_int_div_zero 0
	.end_amdhsa_kernel
	.section	.text._ZN7rocprim17ROCPRIM_400000_NS6detail17trampoline_kernelINS0_14default_configENS1_36segmented_radix_sort_config_selectorIllEEZNS1_25segmented_radix_sort_implIS3_Lb1EPKlPlS8_S9_N2at6native12_GLOBAL__N_18offset_tEEE10hipError_tPvRmT1_PNSt15iterator_traitsISH_E10value_typeET2_T3_PNSI_ISN_E10value_typeET4_jRbjT5_ST_jjP12ihipStream_tbEUlT_E2_NS1_11comp_targetILNS1_3genE10ELNS1_11target_archE1201ELNS1_3gpuE5ELNS1_3repE0EEENS1_30default_config_static_selectorELNS0_4arch9wavefront6targetE1EEEvSH_,"axG",@progbits,_ZN7rocprim17ROCPRIM_400000_NS6detail17trampoline_kernelINS0_14default_configENS1_36segmented_radix_sort_config_selectorIllEEZNS1_25segmented_radix_sort_implIS3_Lb1EPKlPlS8_S9_N2at6native12_GLOBAL__N_18offset_tEEE10hipError_tPvRmT1_PNSt15iterator_traitsISH_E10value_typeET2_T3_PNSI_ISN_E10value_typeET4_jRbjT5_ST_jjP12ihipStream_tbEUlT_E2_NS1_11comp_targetILNS1_3genE10ELNS1_11target_archE1201ELNS1_3gpuE5ELNS1_3repE0EEENS1_30default_config_static_selectorELNS0_4arch9wavefront6targetE1EEEvSH_,comdat
.Lfunc_end739:
	.size	_ZN7rocprim17ROCPRIM_400000_NS6detail17trampoline_kernelINS0_14default_configENS1_36segmented_radix_sort_config_selectorIllEEZNS1_25segmented_radix_sort_implIS3_Lb1EPKlPlS8_S9_N2at6native12_GLOBAL__N_18offset_tEEE10hipError_tPvRmT1_PNSt15iterator_traitsISH_E10value_typeET2_T3_PNSI_ISN_E10value_typeET4_jRbjT5_ST_jjP12ihipStream_tbEUlT_E2_NS1_11comp_targetILNS1_3genE10ELNS1_11target_archE1201ELNS1_3gpuE5ELNS1_3repE0EEENS1_30default_config_static_selectorELNS0_4arch9wavefront6targetE1EEEvSH_, .Lfunc_end739-_ZN7rocprim17ROCPRIM_400000_NS6detail17trampoline_kernelINS0_14default_configENS1_36segmented_radix_sort_config_selectorIllEEZNS1_25segmented_radix_sort_implIS3_Lb1EPKlPlS8_S9_N2at6native12_GLOBAL__N_18offset_tEEE10hipError_tPvRmT1_PNSt15iterator_traitsISH_E10value_typeET2_T3_PNSI_ISN_E10value_typeET4_jRbjT5_ST_jjP12ihipStream_tbEUlT_E2_NS1_11comp_targetILNS1_3genE10ELNS1_11target_archE1201ELNS1_3gpuE5ELNS1_3repE0EEENS1_30default_config_static_selectorELNS0_4arch9wavefront6targetE1EEEvSH_
                                        ; -- End function
	.section	.AMDGPU.csdata,"",@progbits
; Kernel info:
; codeLenInByte = 0
; NumSgprs: 4
; NumVgprs: 0
; NumAgprs: 0
; TotalNumVgprs: 0
; ScratchSize: 0
; MemoryBound: 0
; FloatMode: 240
; IeeeMode: 1
; LDSByteSize: 0 bytes/workgroup (compile time only)
; SGPRBlocks: 0
; VGPRBlocks: 0
; NumSGPRsForWavesPerEU: 4
; NumVGPRsForWavesPerEU: 1
; AccumOffset: 4
; Occupancy: 8
; WaveLimiterHint : 0
; COMPUTE_PGM_RSRC2:SCRATCH_EN: 0
; COMPUTE_PGM_RSRC2:USER_SGPR: 6
; COMPUTE_PGM_RSRC2:TRAP_HANDLER: 0
; COMPUTE_PGM_RSRC2:TGID_X_EN: 1
; COMPUTE_PGM_RSRC2:TGID_Y_EN: 0
; COMPUTE_PGM_RSRC2:TGID_Z_EN: 0
; COMPUTE_PGM_RSRC2:TIDIG_COMP_CNT: 0
; COMPUTE_PGM_RSRC3_GFX90A:ACCUM_OFFSET: 0
; COMPUTE_PGM_RSRC3_GFX90A:TG_SPLIT: 0
	.section	.text._ZN7rocprim17ROCPRIM_400000_NS6detail17trampoline_kernelINS0_14default_configENS1_36segmented_radix_sort_config_selectorIllEEZNS1_25segmented_radix_sort_implIS3_Lb1EPKlPlS8_S9_N2at6native12_GLOBAL__N_18offset_tEEE10hipError_tPvRmT1_PNSt15iterator_traitsISH_E10value_typeET2_T3_PNSI_ISN_E10value_typeET4_jRbjT5_ST_jjP12ihipStream_tbEUlT_E2_NS1_11comp_targetILNS1_3genE10ELNS1_11target_archE1200ELNS1_3gpuE4ELNS1_3repE0EEENS1_30default_config_static_selectorELNS0_4arch9wavefront6targetE1EEEvSH_,"axG",@progbits,_ZN7rocprim17ROCPRIM_400000_NS6detail17trampoline_kernelINS0_14default_configENS1_36segmented_radix_sort_config_selectorIllEEZNS1_25segmented_radix_sort_implIS3_Lb1EPKlPlS8_S9_N2at6native12_GLOBAL__N_18offset_tEEE10hipError_tPvRmT1_PNSt15iterator_traitsISH_E10value_typeET2_T3_PNSI_ISN_E10value_typeET4_jRbjT5_ST_jjP12ihipStream_tbEUlT_E2_NS1_11comp_targetILNS1_3genE10ELNS1_11target_archE1200ELNS1_3gpuE4ELNS1_3repE0EEENS1_30default_config_static_selectorELNS0_4arch9wavefront6targetE1EEEvSH_,comdat
	.globl	_ZN7rocprim17ROCPRIM_400000_NS6detail17trampoline_kernelINS0_14default_configENS1_36segmented_radix_sort_config_selectorIllEEZNS1_25segmented_radix_sort_implIS3_Lb1EPKlPlS8_S9_N2at6native12_GLOBAL__N_18offset_tEEE10hipError_tPvRmT1_PNSt15iterator_traitsISH_E10value_typeET2_T3_PNSI_ISN_E10value_typeET4_jRbjT5_ST_jjP12ihipStream_tbEUlT_E2_NS1_11comp_targetILNS1_3genE10ELNS1_11target_archE1200ELNS1_3gpuE4ELNS1_3repE0EEENS1_30default_config_static_selectorELNS0_4arch9wavefront6targetE1EEEvSH_ ; -- Begin function _ZN7rocprim17ROCPRIM_400000_NS6detail17trampoline_kernelINS0_14default_configENS1_36segmented_radix_sort_config_selectorIllEEZNS1_25segmented_radix_sort_implIS3_Lb1EPKlPlS8_S9_N2at6native12_GLOBAL__N_18offset_tEEE10hipError_tPvRmT1_PNSt15iterator_traitsISH_E10value_typeET2_T3_PNSI_ISN_E10value_typeET4_jRbjT5_ST_jjP12ihipStream_tbEUlT_E2_NS1_11comp_targetILNS1_3genE10ELNS1_11target_archE1200ELNS1_3gpuE4ELNS1_3repE0EEENS1_30default_config_static_selectorELNS0_4arch9wavefront6targetE1EEEvSH_
	.p2align	8
	.type	_ZN7rocprim17ROCPRIM_400000_NS6detail17trampoline_kernelINS0_14default_configENS1_36segmented_radix_sort_config_selectorIllEEZNS1_25segmented_radix_sort_implIS3_Lb1EPKlPlS8_S9_N2at6native12_GLOBAL__N_18offset_tEEE10hipError_tPvRmT1_PNSt15iterator_traitsISH_E10value_typeET2_T3_PNSI_ISN_E10value_typeET4_jRbjT5_ST_jjP12ihipStream_tbEUlT_E2_NS1_11comp_targetILNS1_3genE10ELNS1_11target_archE1200ELNS1_3gpuE4ELNS1_3repE0EEENS1_30default_config_static_selectorELNS0_4arch9wavefront6targetE1EEEvSH_,@function
_ZN7rocprim17ROCPRIM_400000_NS6detail17trampoline_kernelINS0_14default_configENS1_36segmented_radix_sort_config_selectorIllEEZNS1_25segmented_radix_sort_implIS3_Lb1EPKlPlS8_S9_N2at6native12_GLOBAL__N_18offset_tEEE10hipError_tPvRmT1_PNSt15iterator_traitsISH_E10value_typeET2_T3_PNSI_ISN_E10value_typeET4_jRbjT5_ST_jjP12ihipStream_tbEUlT_E2_NS1_11comp_targetILNS1_3genE10ELNS1_11target_archE1200ELNS1_3gpuE4ELNS1_3repE0EEENS1_30default_config_static_selectorELNS0_4arch9wavefront6targetE1EEEvSH_: ; @_ZN7rocprim17ROCPRIM_400000_NS6detail17trampoline_kernelINS0_14default_configENS1_36segmented_radix_sort_config_selectorIllEEZNS1_25segmented_radix_sort_implIS3_Lb1EPKlPlS8_S9_N2at6native12_GLOBAL__N_18offset_tEEE10hipError_tPvRmT1_PNSt15iterator_traitsISH_E10value_typeET2_T3_PNSI_ISN_E10value_typeET4_jRbjT5_ST_jjP12ihipStream_tbEUlT_E2_NS1_11comp_targetILNS1_3genE10ELNS1_11target_archE1200ELNS1_3gpuE4ELNS1_3repE0EEENS1_30default_config_static_selectorELNS0_4arch9wavefront6targetE1EEEvSH_
; %bb.0:
	.section	.rodata,"a",@progbits
	.p2align	6, 0x0
	.amdhsa_kernel _ZN7rocprim17ROCPRIM_400000_NS6detail17trampoline_kernelINS0_14default_configENS1_36segmented_radix_sort_config_selectorIllEEZNS1_25segmented_radix_sort_implIS3_Lb1EPKlPlS8_S9_N2at6native12_GLOBAL__N_18offset_tEEE10hipError_tPvRmT1_PNSt15iterator_traitsISH_E10value_typeET2_T3_PNSI_ISN_E10value_typeET4_jRbjT5_ST_jjP12ihipStream_tbEUlT_E2_NS1_11comp_targetILNS1_3genE10ELNS1_11target_archE1200ELNS1_3gpuE4ELNS1_3repE0EEENS1_30default_config_static_selectorELNS0_4arch9wavefront6targetE1EEEvSH_
		.amdhsa_group_segment_fixed_size 0
		.amdhsa_private_segment_fixed_size 0
		.amdhsa_kernarg_size 80
		.amdhsa_user_sgpr_count 6
		.amdhsa_user_sgpr_private_segment_buffer 1
		.amdhsa_user_sgpr_dispatch_ptr 0
		.amdhsa_user_sgpr_queue_ptr 0
		.amdhsa_user_sgpr_kernarg_segment_ptr 1
		.amdhsa_user_sgpr_dispatch_id 0
		.amdhsa_user_sgpr_flat_scratch_init 0
		.amdhsa_user_sgpr_kernarg_preload_length 0
		.amdhsa_user_sgpr_kernarg_preload_offset 0
		.amdhsa_user_sgpr_private_segment_size 0
		.amdhsa_uses_dynamic_stack 0
		.amdhsa_system_sgpr_private_segment_wavefront_offset 0
		.amdhsa_system_sgpr_workgroup_id_x 1
		.amdhsa_system_sgpr_workgroup_id_y 0
		.amdhsa_system_sgpr_workgroup_id_z 0
		.amdhsa_system_sgpr_workgroup_info 0
		.amdhsa_system_vgpr_workitem_id 0
		.amdhsa_next_free_vgpr 1
		.amdhsa_next_free_sgpr 0
		.amdhsa_accum_offset 4
		.amdhsa_reserve_vcc 0
		.amdhsa_reserve_flat_scratch 0
		.amdhsa_float_round_mode_32 0
		.amdhsa_float_round_mode_16_64 0
		.amdhsa_float_denorm_mode_32 3
		.amdhsa_float_denorm_mode_16_64 3
		.amdhsa_dx10_clamp 1
		.amdhsa_ieee_mode 1
		.amdhsa_fp16_overflow 0
		.amdhsa_tg_split 0
		.amdhsa_exception_fp_ieee_invalid_op 0
		.amdhsa_exception_fp_denorm_src 0
		.amdhsa_exception_fp_ieee_div_zero 0
		.amdhsa_exception_fp_ieee_overflow 0
		.amdhsa_exception_fp_ieee_underflow 0
		.amdhsa_exception_fp_ieee_inexact 0
		.amdhsa_exception_int_div_zero 0
	.end_amdhsa_kernel
	.section	.text._ZN7rocprim17ROCPRIM_400000_NS6detail17trampoline_kernelINS0_14default_configENS1_36segmented_radix_sort_config_selectorIllEEZNS1_25segmented_radix_sort_implIS3_Lb1EPKlPlS8_S9_N2at6native12_GLOBAL__N_18offset_tEEE10hipError_tPvRmT1_PNSt15iterator_traitsISH_E10value_typeET2_T3_PNSI_ISN_E10value_typeET4_jRbjT5_ST_jjP12ihipStream_tbEUlT_E2_NS1_11comp_targetILNS1_3genE10ELNS1_11target_archE1200ELNS1_3gpuE4ELNS1_3repE0EEENS1_30default_config_static_selectorELNS0_4arch9wavefront6targetE1EEEvSH_,"axG",@progbits,_ZN7rocprim17ROCPRIM_400000_NS6detail17trampoline_kernelINS0_14default_configENS1_36segmented_radix_sort_config_selectorIllEEZNS1_25segmented_radix_sort_implIS3_Lb1EPKlPlS8_S9_N2at6native12_GLOBAL__N_18offset_tEEE10hipError_tPvRmT1_PNSt15iterator_traitsISH_E10value_typeET2_T3_PNSI_ISN_E10value_typeET4_jRbjT5_ST_jjP12ihipStream_tbEUlT_E2_NS1_11comp_targetILNS1_3genE10ELNS1_11target_archE1200ELNS1_3gpuE4ELNS1_3repE0EEENS1_30default_config_static_selectorELNS0_4arch9wavefront6targetE1EEEvSH_,comdat
.Lfunc_end740:
	.size	_ZN7rocprim17ROCPRIM_400000_NS6detail17trampoline_kernelINS0_14default_configENS1_36segmented_radix_sort_config_selectorIllEEZNS1_25segmented_radix_sort_implIS3_Lb1EPKlPlS8_S9_N2at6native12_GLOBAL__N_18offset_tEEE10hipError_tPvRmT1_PNSt15iterator_traitsISH_E10value_typeET2_T3_PNSI_ISN_E10value_typeET4_jRbjT5_ST_jjP12ihipStream_tbEUlT_E2_NS1_11comp_targetILNS1_3genE10ELNS1_11target_archE1200ELNS1_3gpuE4ELNS1_3repE0EEENS1_30default_config_static_selectorELNS0_4arch9wavefront6targetE1EEEvSH_, .Lfunc_end740-_ZN7rocprim17ROCPRIM_400000_NS6detail17trampoline_kernelINS0_14default_configENS1_36segmented_radix_sort_config_selectorIllEEZNS1_25segmented_radix_sort_implIS3_Lb1EPKlPlS8_S9_N2at6native12_GLOBAL__N_18offset_tEEE10hipError_tPvRmT1_PNSt15iterator_traitsISH_E10value_typeET2_T3_PNSI_ISN_E10value_typeET4_jRbjT5_ST_jjP12ihipStream_tbEUlT_E2_NS1_11comp_targetILNS1_3genE10ELNS1_11target_archE1200ELNS1_3gpuE4ELNS1_3repE0EEENS1_30default_config_static_selectorELNS0_4arch9wavefront6targetE1EEEvSH_
                                        ; -- End function
	.section	.AMDGPU.csdata,"",@progbits
; Kernel info:
; codeLenInByte = 0
; NumSgprs: 4
; NumVgprs: 0
; NumAgprs: 0
; TotalNumVgprs: 0
; ScratchSize: 0
; MemoryBound: 0
; FloatMode: 240
; IeeeMode: 1
; LDSByteSize: 0 bytes/workgroup (compile time only)
; SGPRBlocks: 0
; VGPRBlocks: 0
; NumSGPRsForWavesPerEU: 4
; NumVGPRsForWavesPerEU: 1
; AccumOffset: 4
; Occupancy: 8
; WaveLimiterHint : 0
; COMPUTE_PGM_RSRC2:SCRATCH_EN: 0
; COMPUTE_PGM_RSRC2:USER_SGPR: 6
; COMPUTE_PGM_RSRC2:TRAP_HANDLER: 0
; COMPUTE_PGM_RSRC2:TGID_X_EN: 1
; COMPUTE_PGM_RSRC2:TGID_Y_EN: 0
; COMPUTE_PGM_RSRC2:TGID_Z_EN: 0
; COMPUTE_PGM_RSRC2:TIDIG_COMP_CNT: 0
; COMPUTE_PGM_RSRC3_GFX90A:ACCUM_OFFSET: 0
; COMPUTE_PGM_RSRC3_GFX90A:TG_SPLIT: 0
	.section	.text._ZN7rocprim17ROCPRIM_400000_NS6detail17trampoline_kernelINS0_14default_configENS1_36segmented_radix_sort_config_selectorIllEEZNS1_25segmented_radix_sort_implIS3_Lb1EPKlPlS8_S9_N2at6native12_GLOBAL__N_18offset_tEEE10hipError_tPvRmT1_PNSt15iterator_traitsISH_E10value_typeET2_T3_PNSI_ISN_E10value_typeET4_jRbjT5_ST_jjP12ihipStream_tbEUlT_E2_NS1_11comp_targetILNS1_3genE9ELNS1_11target_archE1100ELNS1_3gpuE3ELNS1_3repE0EEENS1_30default_config_static_selectorELNS0_4arch9wavefront6targetE1EEEvSH_,"axG",@progbits,_ZN7rocprim17ROCPRIM_400000_NS6detail17trampoline_kernelINS0_14default_configENS1_36segmented_radix_sort_config_selectorIllEEZNS1_25segmented_radix_sort_implIS3_Lb1EPKlPlS8_S9_N2at6native12_GLOBAL__N_18offset_tEEE10hipError_tPvRmT1_PNSt15iterator_traitsISH_E10value_typeET2_T3_PNSI_ISN_E10value_typeET4_jRbjT5_ST_jjP12ihipStream_tbEUlT_E2_NS1_11comp_targetILNS1_3genE9ELNS1_11target_archE1100ELNS1_3gpuE3ELNS1_3repE0EEENS1_30default_config_static_selectorELNS0_4arch9wavefront6targetE1EEEvSH_,comdat
	.globl	_ZN7rocprim17ROCPRIM_400000_NS6detail17trampoline_kernelINS0_14default_configENS1_36segmented_radix_sort_config_selectorIllEEZNS1_25segmented_radix_sort_implIS3_Lb1EPKlPlS8_S9_N2at6native12_GLOBAL__N_18offset_tEEE10hipError_tPvRmT1_PNSt15iterator_traitsISH_E10value_typeET2_T3_PNSI_ISN_E10value_typeET4_jRbjT5_ST_jjP12ihipStream_tbEUlT_E2_NS1_11comp_targetILNS1_3genE9ELNS1_11target_archE1100ELNS1_3gpuE3ELNS1_3repE0EEENS1_30default_config_static_selectorELNS0_4arch9wavefront6targetE1EEEvSH_ ; -- Begin function _ZN7rocprim17ROCPRIM_400000_NS6detail17trampoline_kernelINS0_14default_configENS1_36segmented_radix_sort_config_selectorIllEEZNS1_25segmented_radix_sort_implIS3_Lb1EPKlPlS8_S9_N2at6native12_GLOBAL__N_18offset_tEEE10hipError_tPvRmT1_PNSt15iterator_traitsISH_E10value_typeET2_T3_PNSI_ISN_E10value_typeET4_jRbjT5_ST_jjP12ihipStream_tbEUlT_E2_NS1_11comp_targetILNS1_3genE9ELNS1_11target_archE1100ELNS1_3gpuE3ELNS1_3repE0EEENS1_30default_config_static_selectorELNS0_4arch9wavefront6targetE1EEEvSH_
	.p2align	8
	.type	_ZN7rocprim17ROCPRIM_400000_NS6detail17trampoline_kernelINS0_14default_configENS1_36segmented_radix_sort_config_selectorIllEEZNS1_25segmented_radix_sort_implIS3_Lb1EPKlPlS8_S9_N2at6native12_GLOBAL__N_18offset_tEEE10hipError_tPvRmT1_PNSt15iterator_traitsISH_E10value_typeET2_T3_PNSI_ISN_E10value_typeET4_jRbjT5_ST_jjP12ihipStream_tbEUlT_E2_NS1_11comp_targetILNS1_3genE9ELNS1_11target_archE1100ELNS1_3gpuE3ELNS1_3repE0EEENS1_30default_config_static_selectorELNS0_4arch9wavefront6targetE1EEEvSH_,@function
_ZN7rocprim17ROCPRIM_400000_NS6detail17trampoline_kernelINS0_14default_configENS1_36segmented_radix_sort_config_selectorIllEEZNS1_25segmented_radix_sort_implIS3_Lb1EPKlPlS8_S9_N2at6native12_GLOBAL__N_18offset_tEEE10hipError_tPvRmT1_PNSt15iterator_traitsISH_E10value_typeET2_T3_PNSI_ISN_E10value_typeET4_jRbjT5_ST_jjP12ihipStream_tbEUlT_E2_NS1_11comp_targetILNS1_3genE9ELNS1_11target_archE1100ELNS1_3gpuE3ELNS1_3repE0EEENS1_30default_config_static_selectorELNS0_4arch9wavefront6targetE1EEEvSH_: ; @_ZN7rocprim17ROCPRIM_400000_NS6detail17trampoline_kernelINS0_14default_configENS1_36segmented_radix_sort_config_selectorIllEEZNS1_25segmented_radix_sort_implIS3_Lb1EPKlPlS8_S9_N2at6native12_GLOBAL__N_18offset_tEEE10hipError_tPvRmT1_PNSt15iterator_traitsISH_E10value_typeET2_T3_PNSI_ISN_E10value_typeET4_jRbjT5_ST_jjP12ihipStream_tbEUlT_E2_NS1_11comp_targetILNS1_3genE9ELNS1_11target_archE1100ELNS1_3gpuE3ELNS1_3repE0EEENS1_30default_config_static_selectorELNS0_4arch9wavefront6targetE1EEEvSH_
; %bb.0:
	.section	.rodata,"a",@progbits
	.p2align	6, 0x0
	.amdhsa_kernel _ZN7rocprim17ROCPRIM_400000_NS6detail17trampoline_kernelINS0_14default_configENS1_36segmented_radix_sort_config_selectorIllEEZNS1_25segmented_radix_sort_implIS3_Lb1EPKlPlS8_S9_N2at6native12_GLOBAL__N_18offset_tEEE10hipError_tPvRmT1_PNSt15iterator_traitsISH_E10value_typeET2_T3_PNSI_ISN_E10value_typeET4_jRbjT5_ST_jjP12ihipStream_tbEUlT_E2_NS1_11comp_targetILNS1_3genE9ELNS1_11target_archE1100ELNS1_3gpuE3ELNS1_3repE0EEENS1_30default_config_static_selectorELNS0_4arch9wavefront6targetE1EEEvSH_
		.amdhsa_group_segment_fixed_size 0
		.amdhsa_private_segment_fixed_size 0
		.amdhsa_kernarg_size 80
		.amdhsa_user_sgpr_count 6
		.amdhsa_user_sgpr_private_segment_buffer 1
		.amdhsa_user_sgpr_dispatch_ptr 0
		.amdhsa_user_sgpr_queue_ptr 0
		.amdhsa_user_sgpr_kernarg_segment_ptr 1
		.amdhsa_user_sgpr_dispatch_id 0
		.amdhsa_user_sgpr_flat_scratch_init 0
		.amdhsa_user_sgpr_kernarg_preload_length 0
		.amdhsa_user_sgpr_kernarg_preload_offset 0
		.amdhsa_user_sgpr_private_segment_size 0
		.amdhsa_uses_dynamic_stack 0
		.amdhsa_system_sgpr_private_segment_wavefront_offset 0
		.amdhsa_system_sgpr_workgroup_id_x 1
		.amdhsa_system_sgpr_workgroup_id_y 0
		.amdhsa_system_sgpr_workgroup_id_z 0
		.amdhsa_system_sgpr_workgroup_info 0
		.amdhsa_system_vgpr_workitem_id 0
		.amdhsa_next_free_vgpr 1
		.amdhsa_next_free_sgpr 0
		.amdhsa_accum_offset 4
		.amdhsa_reserve_vcc 0
		.amdhsa_reserve_flat_scratch 0
		.amdhsa_float_round_mode_32 0
		.amdhsa_float_round_mode_16_64 0
		.amdhsa_float_denorm_mode_32 3
		.amdhsa_float_denorm_mode_16_64 3
		.amdhsa_dx10_clamp 1
		.amdhsa_ieee_mode 1
		.amdhsa_fp16_overflow 0
		.amdhsa_tg_split 0
		.amdhsa_exception_fp_ieee_invalid_op 0
		.amdhsa_exception_fp_denorm_src 0
		.amdhsa_exception_fp_ieee_div_zero 0
		.amdhsa_exception_fp_ieee_overflow 0
		.amdhsa_exception_fp_ieee_underflow 0
		.amdhsa_exception_fp_ieee_inexact 0
		.amdhsa_exception_int_div_zero 0
	.end_amdhsa_kernel
	.section	.text._ZN7rocprim17ROCPRIM_400000_NS6detail17trampoline_kernelINS0_14default_configENS1_36segmented_radix_sort_config_selectorIllEEZNS1_25segmented_radix_sort_implIS3_Lb1EPKlPlS8_S9_N2at6native12_GLOBAL__N_18offset_tEEE10hipError_tPvRmT1_PNSt15iterator_traitsISH_E10value_typeET2_T3_PNSI_ISN_E10value_typeET4_jRbjT5_ST_jjP12ihipStream_tbEUlT_E2_NS1_11comp_targetILNS1_3genE9ELNS1_11target_archE1100ELNS1_3gpuE3ELNS1_3repE0EEENS1_30default_config_static_selectorELNS0_4arch9wavefront6targetE1EEEvSH_,"axG",@progbits,_ZN7rocprim17ROCPRIM_400000_NS6detail17trampoline_kernelINS0_14default_configENS1_36segmented_radix_sort_config_selectorIllEEZNS1_25segmented_radix_sort_implIS3_Lb1EPKlPlS8_S9_N2at6native12_GLOBAL__N_18offset_tEEE10hipError_tPvRmT1_PNSt15iterator_traitsISH_E10value_typeET2_T3_PNSI_ISN_E10value_typeET4_jRbjT5_ST_jjP12ihipStream_tbEUlT_E2_NS1_11comp_targetILNS1_3genE9ELNS1_11target_archE1100ELNS1_3gpuE3ELNS1_3repE0EEENS1_30default_config_static_selectorELNS0_4arch9wavefront6targetE1EEEvSH_,comdat
.Lfunc_end741:
	.size	_ZN7rocprim17ROCPRIM_400000_NS6detail17trampoline_kernelINS0_14default_configENS1_36segmented_radix_sort_config_selectorIllEEZNS1_25segmented_radix_sort_implIS3_Lb1EPKlPlS8_S9_N2at6native12_GLOBAL__N_18offset_tEEE10hipError_tPvRmT1_PNSt15iterator_traitsISH_E10value_typeET2_T3_PNSI_ISN_E10value_typeET4_jRbjT5_ST_jjP12ihipStream_tbEUlT_E2_NS1_11comp_targetILNS1_3genE9ELNS1_11target_archE1100ELNS1_3gpuE3ELNS1_3repE0EEENS1_30default_config_static_selectorELNS0_4arch9wavefront6targetE1EEEvSH_, .Lfunc_end741-_ZN7rocprim17ROCPRIM_400000_NS6detail17trampoline_kernelINS0_14default_configENS1_36segmented_radix_sort_config_selectorIllEEZNS1_25segmented_radix_sort_implIS3_Lb1EPKlPlS8_S9_N2at6native12_GLOBAL__N_18offset_tEEE10hipError_tPvRmT1_PNSt15iterator_traitsISH_E10value_typeET2_T3_PNSI_ISN_E10value_typeET4_jRbjT5_ST_jjP12ihipStream_tbEUlT_E2_NS1_11comp_targetILNS1_3genE9ELNS1_11target_archE1100ELNS1_3gpuE3ELNS1_3repE0EEENS1_30default_config_static_selectorELNS0_4arch9wavefront6targetE1EEEvSH_
                                        ; -- End function
	.section	.AMDGPU.csdata,"",@progbits
; Kernel info:
; codeLenInByte = 0
; NumSgprs: 4
; NumVgprs: 0
; NumAgprs: 0
; TotalNumVgprs: 0
; ScratchSize: 0
; MemoryBound: 0
; FloatMode: 240
; IeeeMode: 1
; LDSByteSize: 0 bytes/workgroup (compile time only)
; SGPRBlocks: 0
; VGPRBlocks: 0
; NumSGPRsForWavesPerEU: 4
; NumVGPRsForWavesPerEU: 1
; AccumOffset: 4
; Occupancy: 8
; WaveLimiterHint : 0
; COMPUTE_PGM_RSRC2:SCRATCH_EN: 0
; COMPUTE_PGM_RSRC2:USER_SGPR: 6
; COMPUTE_PGM_RSRC2:TRAP_HANDLER: 0
; COMPUTE_PGM_RSRC2:TGID_X_EN: 1
; COMPUTE_PGM_RSRC2:TGID_Y_EN: 0
; COMPUTE_PGM_RSRC2:TGID_Z_EN: 0
; COMPUTE_PGM_RSRC2:TIDIG_COMP_CNT: 0
; COMPUTE_PGM_RSRC3_GFX90A:ACCUM_OFFSET: 0
; COMPUTE_PGM_RSRC3_GFX90A:TG_SPLIT: 0
	.section	.text._ZN7rocprim17ROCPRIM_400000_NS6detail17trampoline_kernelINS0_14default_configENS1_36segmented_radix_sort_config_selectorIllEEZNS1_25segmented_radix_sort_implIS3_Lb1EPKlPlS8_S9_N2at6native12_GLOBAL__N_18offset_tEEE10hipError_tPvRmT1_PNSt15iterator_traitsISH_E10value_typeET2_T3_PNSI_ISN_E10value_typeET4_jRbjT5_ST_jjP12ihipStream_tbEUlT_E2_NS1_11comp_targetILNS1_3genE8ELNS1_11target_archE1030ELNS1_3gpuE2ELNS1_3repE0EEENS1_30default_config_static_selectorELNS0_4arch9wavefront6targetE1EEEvSH_,"axG",@progbits,_ZN7rocprim17ROCPRIM_400000_NS6detail17trampoline_kernelINS0_14default_configENS1_36segmented_radix_sort_config_selectorIllEEZNS1_25segmented_radix_sort_implIS3_Lb1EPKlPlS8_S9_N2at6native12_GLOBAL__N_18offset_tEEE10hipError_tPvRmT1_PNSt15iterator_traitsISH_E10value_typeET2_T3_PNSI_ISN_E10value_typeET4_jRbjT5_ST_jjP12ihipStream_tbEUlT_E2_NS1_11comp_targetILNS1_3genE8ELNS1_11target_archE1030ELNS1_3gpuE2ELNS1_3repE0EEENS1_30default_config_static_selectorELNS0_4arch9wavefront6targetE1EEEvSH_,comdat
	.globl	_ZN7rocprim17ROCPRIM_400000_NS6detail17trampoline_kernelINS0_14default_configENS1_36segmented_radix_sort_config_selectorIllEEZNS1_25segmented_radix_sort_implIS3_Lb1EPKlPlS8_S9_N2at6native12_GLOBAL__N_18offset_tEEE10hipError_tPvRmT1_PNSt15iterator_traitsISH_E10value_typeET2_T3_PNSI_ISN_E10value_typeET4_jRbjT5_ST_jjP12ihipStream_tbEUlT_E2_NS1_11comp_targetILNS1_3genE8ELNS1_11target_archE1030ELNS1_3gpuE2ELNS1_3repE0EEENS1_30default_config_static_selectorELNS0_4arch9wavefront6targetE1EEEvSH_ ; -- Begin function _ZN7rocprim17ROCPRIM_400000_NS6detail17trampoline_kernelINS0_14default_configENS1_36segmented_radix_sort_config_selectorIllEEZNS1_25segmented_radix_sort_implIS3_Lb1EPKlPlS8_S9_N2at6native12_GLOBAL__N_18offset_tEEE10hipError_tPvRmT1_PNSt15iterator_traitsISH_E10value_typeET2_T3_PNSI_ISN_E10value_typeET4_jRbjT5_ST_jjP12ihipStream_tbEUlT_E2_NS1_11comp_targetILNS1_3genE8ELNS1_11target_archE1030ELNS1_3gpuE2ELNS1_3repE0EEENS1_30default_config_static_selectorELNS0_4arch9wavefront6targetE1EEEvSH_
	.p2align	8
	.type	_ZN7rocprim17ROCPRIM_400000_NS6detail17trampoline_kernelINS0_14default_configENS1_36segmented_radix_sort_config_selectorIllEEZNS1_25segmented_radix_sort_implIS3_Lb1EPKlPlS8_S9_N2at6native12_GLOBAL__N_18offset_tEEE10hipError_tPvRmT1_PNSt15iterator_traitsISH_E10value_typeET2_T3_PNSI_ISN_E10value_typeET4_jRbjT5_ST_jjP12ihipStream_tbEUlT_E2_NS1_11comp_targetILNS1_3genE8ELNS1_11target_archE1030ELNS1_3gpuE2ELNS1_3repE0EEENS1_30default_config_static_selectorELNS0_4arch9wavefront6targetE1EEEvSH_,@function
_ZN7rocprim17ROCPRIM_400000_NS6detail17trampoline_kernelINS0_14default_configENS1_36segmented_radix_sort_config_selectorIllEEZNS1_25segmented_radix_sort_implIS3_Lb1EPKlPlS8_S9_N2at6native12_GLOBAL__N_18offset_tEEE10hipError_tPvRmT1_PNSt15iterator_traitsISH_E10value_typeET2_T3_PNSI_ISN_E10value_typeET4_jRbjT5_ST_jjP12ihipStream_tbEUlT_E2_NS1_11comp_targetILNS1_3genE8ELNS1_11target_archE1030ELNS1_3gpuE2ELNS1_3repE0EEENS1_30default_config_static_selectorELNS0_4arch9wavefront6targetE1EEEvSH_: ; @_ZN7rocprim17ROCPRIM_400000_NS6detail17trampoline_kernelINS0_14default_configENS1_36segmented_radix_sort_config_selectorIllEEZNS1_25segmented_radix_sort_implIS3_Lb1EPKlPlS8_S9_N2at6native12_GLOBAL__N_18offset_tEEE10hipError_tPvRmT1_PNSt15iterator_traitsISH_E10value_typeET2_T3_PNSI_ISN_E10value_typeET4_jRbjT5_ST_jjP12ihipStream_tbEUlT_E2_NS1_11comp_targetILNS1_3genE8ELNS1_11target_archE1030ELNS1_3gpuE2ELNS1_3repE0EEENS1_30default_config_static_selectorELNS0_4arch9wavefront6targetE1EEEvSH_
; %bb.0:
	.section	.rodata,"a",@progbits
	.p2align	6, 0x0
	.amdhsa_kernel _ZN7rocprim17ROCPRIM_400000_NS6detail17trampoline_kernelINS0_14default_configENS1_36segmented_radix_sort_config_selectorIllEEZNS1_25segmented_radix_sort_implIS3_Lb1EPKlPlS8_S9_N2at6native12_GLOBAL__N_18offset_tEEE10hipError_tPvRmT1_PNSt15iterator_traitsISH_E10value_typeET2_T3_PNSI_ISN_E10value_typeET4_jRbjT5_ST_jjP12ihipStream_tbEUlT_E2_NS1_11comp_targetILNS1_3genE8ELNS1_11target_archE1030ELNS1_3gpuE2ELNS1_3repE0EEENS1_30default_config_static_selectorELNS0_4arch9wavefront6targetE1EEEvSH_
		.amdhsa_group_segment_fixed_size 0
		.amdhsa_private_segment_fixed_size 0
		.amdhsa_kernarg_size 80
		.amdhsa_user_sgpr_count 6
		.amdhsa_user_sgpr_private_segment_buffer 1
		.amdhsa_user_sgpr_dispatch_ptr 0
		.amdhsa_user_sgpr_queue_ptr 0
		.amdhsa_user_sgpr_kernarg_segment_ptr 1
		.amdhsa_user_sgpr_dispatch_id 0
		.amdhsa_user_sgpr_flat_scratch_init 0
		.amdhsa_user_sgpr_kernarg_preload_length 0
		.amdhsa_user_sgpr_kernarg_preload_offset 0
		.amdhsa_user_sgpr_private_segment_size 0
		.amdhsa_uses_dynamic_stack 0
		.amdhsa_system_sgpr_private_segment_wavefront_offset 0
		.amdhsa_system_sgpr_workgroup_id_x 1
		.amdhsa_system_sgpr_workgroup_id_y 0
		.amdhsa_system_sgpr_workgroup_id_z 0
		.amdhsa_system_sgpr_workgroup_info 0
		.amdhsa_system_vgpr_workitem_id 0
		.amdhsa_next_free_vgpr 1
		.amdhsa_next_free_sgpr 0
		.amdhsa_accum_offset 4
		.amdhsa_reserve_vcc 0
		.amdhsa_reserve_flat_scratch 0
		.amdhsa_float_round_mode_32 0
		.amdhsa_float_round_mode_16_64 0
		.amdhsa_float_denorm_mode_32 3
		.amdhsa_float_denorm_mode_16_64 3
		.amdhsa_dx10_clamp 1
		.amdhsa_ieee_mode 1
		.amdhsa_fp16_overflow 0
		.amdhsa_tg_split 0
		.amdhsa_exception_fp_ieee_invalid_op 0
		.amdhsa_exception_fp_denorm_src 0
		.amdhsa_exception_fp_ieee_div_zero 0
		.amdhsa_exception_fp_ieee_overflow 0
		.amdhsa_exception_fp_ieee_underflow 0
		.amdhsa_exception_fp_ieee_inexact 0
		.amdhsa_exception_int_div_zero 0
	.end_amdhsa_kernel
	.section	.text._ZN7rocprim17ROCPRIM_400000_NS6detail17trampoline_kernelINS0_14default_configENS1_36segmented_radix_sort_config_selectorIllEEZNS1_25segmented_radix_sort_implIS3_Lb1EPKlPlS8_S9_N2at6native12_GLOBAL__N_18offset_tEEE10hipError_tPvRmT1_PNSt15iterator_traitsISH_E10value_typeET2_T3_PNSI_ISN_E10value_typeET4_jRbjT5_ST_jjP12ihipStream_tbEUlT_E2_NS1_11comp_targetILNS1_3genE8ELNS1_11target_archE1030ELNS1_3gpuE2ELNS1_3repE0EEENS1_30default_config_static_selectorELNS0_4arch9wavefront6targetE1EEEvSH_,"axG",@progbits,_ZN7rocprim17ROCPRIM_400000_NS6detail17trampoline_kernelINS0_14default_configENS1_36segmented_radix_sort_config_selectorIllEEZNS1_25segmented_radix_sort_implIS3_Lb1EPKlPlS8_S9_N2at6native12_GLOBAL__N_18offset_tEEE10hipError_tPvRmT1_PNSt15iterator_traitsISH_E10value_typeET2_T3_PNSI_ISN_E10value_typeET4_jRbjT5_ST_jjP12ihipStream_tbEUlT_E2_NS1_11comp_targetILNS1_3genE8ELNS1_11target_archE1030ELNS1_3gpuE2ELNS1_3repE0EEENS1_30default_config_static_selectorELNS0_4arch9wavefront6targetE1EEEvSH_,comdat
.Lfunc_end742:
	.size	_ZN7rocprim17ROCPRIM_400000_NS6detail17trampoline_kernelINS0_14default_configENS1_36segmented_radix_sort_config_selectorIllEEZNS1_25segmented_radix_sort_implIS3_Lb1EPKlPlS8_S9_N2at6native12_GLOBAL__N_18offset_tEEE10hipError_tPvRmT1_PNSt15iterator_traitsISH_E10value_typeET2_T3_PNSI_ISN_E10value_typeET4_jRbjT5_ST_jjP12ihipStream_tbEUlT_E2_NS1_11comp_targetILNS1_3genE8ELNS1_11target_archE1030ELNS1_3gpuE2ELNS1_3repE0EEENS1_30default_config_static_selectorELNS0_4arch9wavefront6targetE1EEEvSH_, .Lfunc_end742-_ZN7rocprim17ROCPRIM_400000_NS6detail17trampoline_kernelINS0_14default_configENS1_36segmented_radix_sort_config_selectorIllEEZNS1_25segmented_radix_sort_implIS3_Lb1EPKlPlS8_S9_N2at6native12_GLOBAL__N_18offset_tEEE10hipError_tPvRmT1_PNSt15iterator_traitsISH_E10value_typeET2_T3_PNSI_ISN_E10value_typeET4_jRbjT5_ST_jjP12ihipStream_tbEUlT_E2_NS1_11comp_targetILNS1_3genE8ELNS1_11target_archE1030ELNS1_3gpuE2ELNS1_3repE0EEENS1_30default_config_static_selectorELNS0_4arch9wavefront6targetE1EEEvSH_
                                        ; -- End function
	.section	.AMDGPU.csdata,"",@progbits
; Kernel info:
; codeLenInByte = 0
; NumSgprs: 4
; NumVgprs: 0
; NumAgprs: 0
; TotalNumVgprs: 0
; ScratchSize: 0
; MemoryBound: 0
; FloatMode: 240
; IeeeMode: 1
; LDSByteSize: 0 bytes/workgroup (compile time only)
; SGPRBlocks: 0
; VGPRBlocks: 0
; NumSGPRsForWavesPerEU: 4
; NumVGPRsForWavesPerEU: 1
; AccumOffset: 4
; Occupancy: 8
; WaveLimiterHint : 0
; COMPUTE_PGM_RSRC2:SCRATCH_EN: 0
; COMPUTE_PGM_RSRC2:USER_SGPR: 6
; COMPUTE_PGM_RSRC2:TRAP_HANDLER: 0
; COMPUTE_PGM_RSRC2:TGID_X_EN: 1
; COMPUTE_PGM_RSRC2:TGID_Y_EN: 0
; COMPUTE_PGM_RSRC2:TGID_Z_EN: 0
; COMPUTE_PGM_RSRC2:TIDIG_COMP_CNT: 0
; COMPUTE_PGM_RSRC3_GFX90A:ACCUM_OFFSET: 0
; COMPUTE_PGM_RSRC3_GFX90A:TG_SPLIT: 0
	.section	.text._ZN7rocprim17ROCPRIM_400000_NS6detail17trampoline_kernelINS0_13select_configILj256ELj13ELNS0_17block_load_methodE3ELS4_3ELS4_3ELNS0_20block_scan_algorithmE0ELj4294967295EEENS1_25partition_config_selectorILNS1_17partition_subalgoE4EjNS0_10empty_typeEbEEZZNS1_14partition_implILS8_4ELb0ES6_15HIP_vector_typeIjLj2EENS0_17counting_iteratorIjlEEPS9_SG_NS0_5tupleIJPjSI_NS0_16reverse_iteratorISI_EEEEENSH_IJSG_SG_SG_EEES9_SI_JZNS1_25segmented_radix_sort_implINS0_14default_configELb0EPKlPlSQ_SR_N2at6native12_GLOBAL__N_18offset_tEEE10hipError_tPvRmT1_PNSt15iterator_traitsISZ_E10value_typeET2_T3_PNS10_IS15_E10value_typeET4_jRbjT5_S1B_jjP12ihipStream_tbEUljE_ZNSN_ISO_Lb0ESQ_SR_SQ_SR_SV_EESW_SX_SY_SZ_S13_S14_S15_S18_S19_jS1A_jS1B_S1B_jjS1D_bEUljE0_EEESW_SX_SY_S15_S19_S1B_T6_T7_T9_mT8_S1D_bDpT10_ENKUlT_T0_E_clISt17integral_constantIbLb0EES1R_EEDaS1M_S1N_EUlS1M_E_NS1_11comp_targetILNS1_3genE0ELNS1_11target_archE4294967295ELNS1_3gpuE0ELNS1_3repE0EEENS1_30default_config_static_selectorELNS0_4arch9wavefront6targetE1EEEvSZ_,"axG",@progbits,_ZN7rocprim17ROCPRIM_400000_NS6detail17trampoline_kernelINS0_13select_configILj256ELj13ELNS0_17block_load_methodE3ELS4_3ELS4_3ELNS0_20block_scan_algorithmE0ELj4294967295EEENS1_25partition_config_selectorILNS1_17partition_subalgoE4EjNS0_10empty_typeEbEEZZNS1_14partition_implILS8_4ELb0ES6_15HIP_vector_typeIjLj2EENS0_17counting_iteratorIjlEEPS9_SG_NS0_5tupleIJPjSI_NS0_16reverse_iteratorISI_EEEEENSH_IJSG_SG_SG_EEES9_SI_JZNS1_25segmented_radix_sort_implINS0_14default_configELb0EPKlPlSQ_SR_N2at6native12_GLOBAL__N_18offset_tEEE10hipError_tPvRmT1_PNSt15iterator_traitsISZ_E10value_typeET2_T3_PNS10_IS15_E10value_typeET4_jRbjT5_S1B_jjP12ihipStream_tbEUljE_ZNSN_ISO_Lb0ESQ_SR_SQ_SR_SV_EESW_SX_SY_SZ_S13_S14_S15_S18_S19_jS1A_jS1B_S1B_jjS1D_bEUljE0_EEESW_SX_SY_S15_S19_S1B_T6_T7_T9_mT8_S1D_bDpT10_ENKUlT_T0_E_clISt17integral_constantIbLb0EES1R_EEDaS1M_S1N_EUlS1M_E_NS1_11comp_targetILNS1_3genE0ELNS1_11target_archE4294967295ELNS1_3gpuE0ELNS1_3repE0EEENS1_30default_config_static_selectorELNS0_4arch9wavefront6targetE1EEEvSZ_,comdat
	.globl	_ZN7rocprim17ROCPRIM_400000_NS6detail17trampoline_kernelINS0_13select_configILj256ELj13ELNS0_17block_load_methodE3ELS4_3ELS4_3ELNS0_20block_scan_algorithmE0ELj4294967295EEENS1_25partition_config_selectorILNS1_17partition_subalgoE4EjNS0_10empty_typeEbEEZZNS1_14partition_implILS8_4ELb0ES6_15HIP_vector_typeIjLj2EENS0_17counting_iteratorIjlEEPS9_SG_NS0_5tupleIJPjSI_NS0_16reverse_iteratorISI_EEEEENSH_IJSG_SG_SG_EEES9_SI_JZNS1_25segmented_radix_sort_implINS0_14default_configELb0EPKlPlSQ_SR_N2at6native12_GLOBAL__N_18offset_tEEE10hipError_tPvRmT1_PNSt15iterator_traitsISZ_E10value_typeET2_T3_PNS10_IS15_E10value_typeET4_jRbjT5_S1B_jjP12ihipStream_tbEUljE_ZNSN_ISO_Lb0ESQ_SR_SQ_SR_SV_EESW_SX_SY_SZ_S13_S14_S15_S18_S19_jS1A_jS1B_S1B_jjS1D_bEUljE0_EEESW_SX_SY_S15_S19_S1B_T6_T7_T9_mT8_S1D_bDpT10_ENKUlT_T0_E_clISt17integral_constantIbLb0EES1R_EEDaS1M_S1N_EUlS1M_E_NS1_11comp_targetILNS1_3genE0ELNS1_11target_archE4294967295ELNS1_3gpuE0ELNS1_3repE0EEENS1_30default_config_static_selectorELNS0_4arch9wavefront6targetE1EEEvSZ_ ; -- Begin function _ZN7rocprim17ROCPRIM_400000_NS6detail17trampoline_kernelINS0_13select_configILj256ELj13ELNS0_17block_load_methodE3ELS4_3ELS4_3ELNS0_20block_scan_algorithmE0ELj4294967295EEENS1_25partition_config_selectorILNS1_17partition_subalgoE4EjNS0_10empty_typeEbEEZZNS1_14partition_implILS8_4ELb0ES6_15HIP_vector_typeIjLj2EENS0_17counting_iteratorIjlEEPS9_SG_NS0_5tupleIJPjSI_NS0_16reverse_iteratorISI_EEEEENSH_IJSG_SG_SG_EEES9_SI_JZNS1_25segmented_radix_sort_implINS0_14default_configELb0EPKlPlSQ_SR_N2at6native12_GLOBAL__N_18offset_tEEE10hipError_tPvRmT1_PNSt15iterator_traitsISZ_E10value_typeET2_T3_PNS10_IS15_E10value_typeET4_jRbjT5_S1B_jjP12ihipStream_tbEUljE_ZNSN_ISO_Lb0ESQ_SR_SQ_SR_SV_EESW_SX_SY_SZ_S13_S14_S15_S18_S19_jS1A_jS1B_S1B_jjS1D_bEUljE0_EEESW_SX_SY_S15_S19_S1B_T6_T7_T9_mT8_S1D_bDpT10_ENKUlT_T0_E_clISt17integral_constantIbLb0EES1R_EEDaS1M_S1N_EUlS1M_E_NS1_11comp_targetILNS1_3genE0ELNS1_11target_archE4294967295ELNS1_3gpuE0ELNS1_3repE0EEENS1_30default_config_static_selectorELNS0_4arch9wavefront6targetE1EEEvSZ_
	.p2align	8
	.type	_ZN7rocprim17ROCPRIM_400000_NS6detail17trampoline_kernelINS0_13select_configILj256ELj13ELNS0_17block_load_methodE3ELS4_3ELS4_3ELNS0_20block_scan_algorithmE0ELj4294967295EEENS1_25partition_config_selectorILNS1_17partition_subalgoE4EjNS0_10empty_typeEbEEZZNS1_14partition_implILS8_4ELb0ES6_15HIP_vector_typeIjLj2EENS0_17counting_iteratorIjlEEPS9_SG_NS0_5tupleIJPjSI_NS0_16reverse_iteratorISI_EEEEENSH_IJSG_SG_SG_EEES9_SI_JZNS1_25segmented_radix_sort_implINS0_14default_configELb0EPKlPlSQ_SR_N2at6native12_GLOBAL__N_18offset_tEEE10hipError_tPvRmT1_PNSt15iterator_traitsISZ_E10value_typeET2_T3_PNS10_IS15_E10value_typeET4_jRbjT5_S1B_jjP12ihipStream_tbEUljE_ZNSN_ISO_Lb0ESQ_SR_SQ_SR_SV_EESW_SX_SY_SZ_S13_S14_S15_S18_S19_jS1A_jS1B_S1B_jjS1D_bEUljE0_EEESW_SX_SY_S15_S19_S1B_T6_T7_T9_mT8_S1D_bDpT10_ENKUlT_T0_E_clISt17integral_constantIbLb0EES1R_EEDaS1M_S1N_EUlS1M_E_NS1_11comp_targetILNS1_3genE0ELNS1_11target_archE4294967295ELNS1_3gpuE0ELNS1_3repE0EEENS1_30default_config_static_selectorELNS0_4arch9wavefront6targetE1EEEvSZ_,@function
_ZN7rocprim17ROCPRIM_400000_NS6detail17trampoline_kernelINS0_13select_configILj256ELj13ELNS0_17block_load_methodE3ELS4_3ELS4_3ELNS0_20block_scan_algorithmE0ELj4294967295EEENS1_25partition_config_selectorILNS1_17partition_subalgoE4EjNS0_10empty_typeEbEEZZNS1_14partition_implILS8_4ELb0ES6_15HIP_vector_typeIjLj2EENS0_17counting_iteratorIjlEEPS9_SG_NS0_5tupleIJPjSI_NS0_16reverse_iteratorISI_EEEEENSH_IJSG_SG_SG_EEES9_SI_JZNS1_25segmented_radix_sort_implINS0_14default_configELb0EPKlPlSQ_SR_N2at6native12_GLOBAL__N_18offset_tEEE10hipError_tPvRmT1_PNSt15iterator_traitsISZ_E10value_typeET2_T3_PNS10_IS15_E10value_typeET4_jRbjT5_S1B_jjP12ihipStream_tbEUljE_ZNSN_ISO_Lb0ESQ_SR_SQ_SR_SV_EESW_SX_SY_SZ_S13_S14_S15_S18_S19_jS1A_jS1B_S1B_jjS1D_bEUljE0_EEESW_SX_SY_S15_S19_S1B_T6_T7_T9_mT8_S1D_bDpT10_ENKUlT_T0_E_clISt17integral_constantIbLb0EES1R_EEDaS1M_S1N_EUlS1M_E_NS1_11comp_targetILNS1_3genE0ELNS1_11target_archE4294967295ELNS1_3gpuE0ELNS1_3repE0EEENS1_30default_config_static_selectorELNS0_4arch9wavefront6targetE1EEEvSZ_: ; @_ZN7rocprim17ROCPRIM_400000_NS6detail17trampoline_kernelINS0_13select_configILj256ELj13ELNS0_17block_load_methodE3ELS4_3ELS4_3ELNS0_20block_scan_algorithmE0ELj4294967295EEENS1_25partition_config_selectorILNS1_17partition_subalgoE4EjNS0_10empty_typeEbEEZZNS1_14partition_implILS8_4ELb0ES6_15HIP_vector_typeIjLj2EENS0_17counting_iteratorIjlEEPS9_SG_NS0_5tupleIJPjSI_NS0_16reverse_iteratorISI_EEEEENSH_IJSG_SG_SG_EEES9_SI_JZNS1_25segmented_radix_sort_implINS0_14default_configELb0EPKlPlSQ_SR_N2at6native12_GLOBAL__N_18offset_tEEE10hipError_tPvRmT1_PNSt15iterator_traitsISZ_E10value_typeET2_T3_PNS10_IS15_E10value_typeET4_jRbjT5_S1B_jjP12ihipStream_tbEUljE_ZNSN_ISO_Lb0ESQ_SR_SQ_SR_SV_EESW_SX_SY_SZ_S13_S14_S15_S18_S19_jS1A_jS1B_S1B_jjS1D_bEUljE0_EEESW_SX_SY_S15_S19_S1B_T6_T7_T9_mT8_S1D_bDpT10_ENKUlT_T0_E_clISt17integral_constantIbLb0EES1R_EEDaS1M_S1N_EUlS1M_E_NS1_11comp_targetILNS1_3genE0ELNS1_11target_archE4294967295ELNS1_3gpuE0ELNS1_3repE0EEENS1_30default_config_static_selectorELNS0_4arch9wavefront6targetE1EEEvSZ_
; %bb.0:
	.section	.rodata,"a",@progbits
	.p2align	6, 0x0
	.amdhsa_kernel _ZN7rocprim17ROCPRIM_400000_NS6detail17trampoline_kernelINS0_13select_configILj256ELj13ELNS0_17block_load_methodE3ELS4_3ELS4_3ELNS0_20block_scan_algorithmE0ELj4294967295EEENS1_25partition_config_selectorILNS1_17partition_subalgoE4EjNS0_10empty_typeEbEEZZNS1_14partition_implILS8_4ELb0ES6_15HIP_vector_typeIjLj2EENS0_17counting_iteratorIjlEEPS9_SG_NS0_5tupleIJPjSI_NS0_16reverse_iteratorISI_EEEEENSH_IJSG_SG_SG_EEES9_SI_JZNS1_25segmented_radix_sort_implINS0_14default_configELb0EPKlPlSQ_SR_N2at6native12_GLOBAL__N_18offset_tEEE10hipError_tPvRmT1_PNSt15iterator_traitsISZ_E10value_typeET2_T3_PNS10_IS15_E10value_typeET4_jRbjT5_S1B_jjP12ihipStream_tbEUljE_ZNSN_ISO_Lb0ESQ_SR_SQ_SR_SV_EESW_SX_SY_SZ_S13_S14_S15_S18_S19_jS1A_jS1B_S1B_jjS1D_bEUljE0_EEESW_SX_SY_S15_S19_S1B_T6_T7_T9_mT8_S1D_bDpT10_ENKUlT_T0_E_clISt17integral_constantIbLb0EES1R_EEDaS1M_S1N_EUlS1M_E_NS1_11comp_targetILNS1_3genE0ELNS1_11target_archE4294967295ELNS1_3gpuE0ELNS1_3repE0EEENS1_30default_config_static_selectorELNS0_4arch9wavefront6targetE1EEEvSZ_
		.amdhsa_group_segment_fixed_size 0
		.amdhsa_private_segment_fixed_size 0
		.amdhsa_kernarg_size 176
		.amdhsa_user_sgpr_count 6
		.amdhsa_user_sgpr_private_segment_buffer 1
		.amdhsa_user_sgpr_dispatch_ptr 0
		.amdhsa_user_sgpr_queue_ptr 0
		.amdhsa_user_sgpr_kernarg_segment_ptr 1
		.amdhsa_user_sgpr_dispatch_id 0
		.amdhsa_user_sgpr_flat_scratch_init 0
		.amdhsa_user_sgpr_kernarg_preload_length 0
		.amdhsa_user_sgpr_kernarg_preload_offset 0
		.amdhsa_user_sgpr_private_segment_size 0
		.amdhsa_uses_dynamic_stack 0
		.amdhsa_system_sgpr_private_segment_wavefront_offset 0
		.amdhsa_system_sgpr_workgroup_id_x 1
		.amdhsa_system_sgpr_workgroup_id_y 0
		.amdhsa_system_sgpr_workgroup_id_z 0
		.amdhsa_system_sgpr_workgroup_info 0
		.amdhsa_system_vgpr_workitem_id 0
		.amdhsa_next_free_vgpr 1
		.amdhsa_next_free_sgpr 0
		.amdhsa_accum_offset 4
		.amdhsa_reserve_vcc 0
		.amdhsa_reserve_flat_scratch 0
		.amdhsa_float_round_mode_32 0
		.amdhsa_float_round_mode_16_64 0
		.amdhsa_float_denorm_mode_32 3
		.amdhsa_float_denorm_mode_16_64 3
		.amdhsa_dx10_clamp 1
		.amdhsa_ieee_mode 1
		.amdhsa_fp16_overflow 0
		.amdhsa_tg_split 0
		.amdhsa_exception_fp_ieee_invalid_op 0
		.amdhsa_exception_fp_denorm_src 0
		.amdhsa_exception_fp_ieee_div_zero 0
		.amdhsa_exception_fp_ieee_overflow 0
		.amdhsa_exception_fp_ieee_underflow 0
		.amdhsa_exception_fp_ieee_inexact 0
		.amdhsa_exception_int_div_zero 0
	.end_amdhsa_kernel
	.section	.text._ZN7rocprim17ROCPRIM_400000_NS6detail17trampoline_kernelINS0_13select_configILj256ELj13ELNS0_17block_load_methodE3ELS4_3ELS4_3ELNS0_20block_scan_algorithmE0ELj4294967295EEENS1_25partition_config_selectorILNS1_17partition_subalgoE4EjNS0_10empty_typeEbEEZZNS1_14partition_implILS8_4ELb0ES6_15HIP_vector_typeIjLj2EENS0_17counting_iteratorIjlEEPS9_SG_NS0_5tupleIJPjSI_NS0_16reverse_iteratorISI_EEEEENSH_IJSG_SG_SG_EEES9_SI_JZNS1_25segmented_radix_sort_implINS0_14default_configELb0EPKlPlSQ_SR_N2at6native12_GLOBAL__N_18offset_tEEE10hipError_tPvRmT1_PNSt15iterator_traitsISZ_E10value_typeET2_T3_PNS10_IS15_E10value_typeET4_jRbjT5_S1B_jjP12ihipStream_tbEUljE_ZNSN_ISO_Lb0ESQ_SR_SQ_SR_SV_EESW_SX_SY_SZ_S13_S14_S15_S18_S19_jS1A_jS1B_S1B_jjS1D_bEUljE0_EEESW_SX_SY_S15_S19_S1B_T6_T7_T9_mT8_S1D_bDpT10_ENKUlT_T0_E_clISt17integral_constantIbLb0EES1R_EEDaS1M_S1N_EUlS1M_E_NS1_11comp_targetILNS1_3genE0ELNS1_11target_archE4294967295ELNS1_3gpuE0ELNS1_3repE0EEENS1_30default_config_static_selectorELNS0_4arch9wavefront6targetE1EEEvSZ_,"axG",@progbits,_ZN7rocprim17ROCPRIM_400000_NS6detail17trampoline_kernelINS0_13select_configILj256ELj13ELNS0_17block_load_methodE3ELS4_3ELS4_3ELNS0_20block_scan_algorithmE0ELj4294967295EEENS1_25partition_config_selectorILNS1_17partition_subalgoE4EjNS0_10empty_typeEbEEZZNS1_14partition_implILS8_4ELb0ES6_15HIP_vector_typeIjLj2EENS0_17counting_iteratorIjlEEPS9_SG_NS0_5tupleIJPjSI_NS0_16reverse_iteratorISI_EEEEENSH_IJSG_SG_SG_EEES9_SI_JZNS1_25segmented_radix_sort_implINS0_14default_configELb0EPKlPlSQ_SR_N2at6native12_GLOBAL__N_18offset_tEEE10hipError_tPvRmT1_PNSt15iterator_traitsISZ_E10value_typeET2_T3_PNS10_IS15_E10value_typeET4_jRbjT5_S1B_jjP12ihipStream_tbEUljE_ZNSN_ISO_Lb0ESQ_SR_SQ_SR_SV_EESW_SX_SY_SZ_S13_S14_S15_S18_S19_jS1A_jS1B_S1B_jjS1D_bEUljE0_EEESW_SX_SY_S15_S19_S1B_T6_T7_T9_mT8_S1D_bDpT10_ENKUlT_T0_E_clISt17integral_constantIbLb0EES1R_EEDaS1M_S1N_EUlS1M_E_NS1_11comp_targetILNS1_3genE0ELNS1_11target_archE4294967295ELNS1_3gpuE0ELNS1_3repE0EEENS1_30default_config_static_selectorELNS0_4arch9wavefront6targetE1EEEvSZ_,comdat
.Lfunc_end743:
	.size	_ZN7rocprim17ROCPRIM_400000_NS6detail17trampoline_kernelINS0_13select_configILj256ELj13ELNS0_17block_load_methodE3ELS4_3ELS4_3ELNS0_20block_scan_algorithmE0ELj4294967295EEENS1_25partition_config_selectorILNS1_17partition_subalgoE4EjNS0_10empty_typeEbEEZZNS1_14partition_implILS8_4ELb0ES6_15HIP_vector_typeIjLj2EENS0_17counting_iteratorIjlEEPS9_SG_NS0_5tupleIJPjSI_NS0_16reverse_iteratorISI_EEEEENSH_IJSG_SG_SG_EEES9_SI_JZNS1_25segmented_radix_sort_implINS0_14default_configELb0EPKlPlSQ_SR_N2at6native12_GLOBAL__N_18offset_tEEE10hipError_tPvRmT1_PNSt15iterator_traitsISZ_E10value_typeET2_T3_PNS10_IS15_E10value_typeET4_jRbjT5_S1B_jjP12ihipStream_tbEUljE_ZNSN_ISO_Lb0ESQ_SR_SQ_SR_SV_EESW_SX_SY_SZ_S13_S14_S15_S18_S19_jS1A_jS1B_S1B_jjS1D_bEUljE0_EEESW_SX_SY_S15_S19_S1B_T6_T7_T9_mT8_S1D_bDpT10_ENKUlT_T0_E_clISt17integral_constantIbLb0EES1R_EEDaS1M_S1N_EUlS1M_E_NS1_11comp_targetILNS1_3genE0ELNS1_11target_archE4294967295ELNS1_3gpuE0ELNS1_3repE0EEENS1_30default_config_static_selectorELNS0_4arch9wavefront6targetE1EEEvSZ_, .Lfunc_end743-_ZN7rocprim17ROCPRIM_400000_NS6detail17trampoline_kernelINS0_13select_configILj256ELj13ELNS0_17block_load_methodE3ELS4_3ELS4_3ELNS0_20block_scan_algorithmE0ELj4294967295EEENS1_25partition_config_selectorILNS1_17partition_subalgoE4EjNS0_10empty_typeEbEEZZNS1_14partition_implILS8_4ELb0ES6_15HIP_vector_typeIjLj2EENS0_17counting_iteratorIjlEEPS9_SG_NS0_5tupleIJPjSI_NS0_16reverse_iteratorISI_EEEEENSH_IJSG_SG_SG_EEES9_SI_JZNS1_25segmented_radix_sort_implINS0_14default_configELb0EPKlPlSQ_SR_N2at6native12_GLOBAL__N_18offset_tEEE10hipError_tPvRmT1_PNSt15iterator_traitsISZ_E10value_typeET2_T3_PNS10_IS15_E10value_typeET4_jRbjT5_S1B_jjP12ihipStream_tbEUljE_ZNSN_ISO_Lb0ESQ_SR_SQ_SR_SV_EESW_SX_SY_SZ_S13_S14_S15_S18_S19_jS1A_jS1B_S1B_jjS1D_bEUljE0_EEESW_SX_SY_S15_S19_S1B_T6_T7_T9_mT8_S1D_bDpT10_ENKUlT_T0_E_clISt17integral_constantIbLb0EES1R_EEDaS1M_S1N_EUlS1M_E_NS1_11comp_targetILNS1_3genE0ELNS1_11target_archE4294967295ELNS1_3gpuE0ELNS1_3repE0EEENS1_30default_config_static_selectorELNS0_4arch9wavefront6targetE1EEEvSZ_
                                        ; -- End function
	.section	.AMDGPU.csdata,"",@progbits
; Kernel info:
; codeLenInByte = 0
; NumSgprs: 4
; NumVgprs: 0
; NumAgprs: 0
; TotalNumVgprs: 0
; ScratchSize: 0
; MemoryBound: 0
; FloatMode: 240
; IeeeMode: 1
; LDSByteSize: 0 bytes/workgroup (compile time only)
; SGPRBlocks: 0
; VGPRBlocks: 0
; NumSGPRsForWavesPerEU: 4
; NumVGPRsForWavesPerEU: 1
; AccumOffset: 4
; Occupancy: 8
; WaveLimiterHint : 0
; COMPUTE_PGM_RSRC2:SCRATCH_EN: 0
; COMPUTE_PGM_RSRC2:USER_SGPR: 6
; COMPUTE_PGM_RSRC2:TRAP_HANDLER: 0
; COMPUTE_PGM_RSRC2:TGID_X_EN: 1
; COMPUTE_PGM_RSRC2:TGID_Y_EN: 0
; COMPUTE_PGM_RSRC2:TGID_Z_EN: 0
; COMPUTE_PGM_RSRC2:TIDIG_COMP_CNT: 0
; COMPUTE_PGM_RSRC3_GFX90A:ACCUM_OFFSET: 0
; COMPUTE_PGM_RSRC3_GFX90A:TG_SPLIT: 0
	.section	.text._ZN7rocprim17ROCPRIM_400000_NS6detail17trampoline_kernelINS0_13select_configILj256ELj13ELNS0_17block_load_methodE3ELS4_3ELS4_3ELNS0_20block_scan_algorithmE0ELj4294967295EEENS1_25partition_config_selectorILNS1_17partition_subalgoE4EjNS0_10empty_typeEbEEZZNS1_14partition_implILS8_4ELb0ES6_15HIP_vector_typeIjLj2EENS0_17counting_iteratorIjlEEPS9_SG_NS0_5tupleIJPjSI_NS0_16reverse_iteratorISI_EEEEENSH_IJSG_SG_SG_EEES9_SI_JZNS1_25segmented_radix_sort_implINS0_14default_configELb0EPKlPlSQ_SR_N2at6native12_GLOBAL__N_18offset_tEEE10hipError_tPvRmT1_PNSt15iterator_traitsISZ_E10value_typeET2_T3_PNS10_IS15_E10value_typeET4_jRbjT5_S1B_jjP12ihipStream_tbEUljE_ZNSN_ISO_Lb0ESQ_SR_SQ_SR_SV_EESW_SX_SY_SZ_S13_S14_S15_S18_S19_jS1A_jS1B_S1B_jjS1D_bEUljE0_EEESW_SX_SY_S15_S19_S1B_T6_T7_T9_mT8_S1D_bDpT10_ENKUlT_T0_E_clISt17integral_constantIbLb0EES1R_EEDaS1M_S1N_EUlS1M_E_NS1_11comp_targetILNS1_3genE5ELNS1_11target_archE942ELNS1_3gpuE9ELNS1_3repE0EEENS1_30default_config_static_selectorELNS0_4arch9wavefront6targetE1EEEvSZ_,"axG",@progbits,_ZN7rocprim17ROCPRIM_400000_NS6detail17trampoline_kernelINS0_13select_configILj256ELj13ELNS0_17block_load_methodE3ELS4_3ELS4_3ELNS0_20block_scan_algorithmE0ELj4294967295EEENS1_25partition_config_selectorILNS1_17partition_subalgoE4EjNS0_10empty_typeEbEEZZNS1_14partition_implILS8_4ELb0ES6_15HIP_vector_typeIjLj2EENS0_17counting_iteratorIjlEEPS9_SG_NS0_5tupleIJPjSI_NS0_16reverse_iteratorISI_EEEEENSH_IJSG_SG_SG_EEES9_SI_JZNS1_25segmented_radix_sort_implINS0_14default_configELb0EPKlPlSQ_SR_N2at6native12_GLOBAL__N_18offset_tEEE10hipError_tPvRmT1_PNSt15iterator_traitsISZ_E10value_typeET2_T3_PNS10_IS15_E10value_typeET4_jRbjT5_S1B_jjP12ihipStream_tbEUljE_ZNSN_ISO_Lb0ESQ_SR_SQ_SR_SV_EESW_SX_SY_SZ_S13_S14_S15_S18_S19_jS1A_jS1B_S1B_jjS1D_bEUljE0_EEESW_SX_SY_S15_S19_S1B_T6_T7_T9_mT8_S1D_bDpT10_ENKUlT_T0_E_clISt17integral_constantIbLb0EES1R_EEDaS1M_S1N_EUlS1M_E_NS1_11comp_targetILNS1_3genE5ELNS1_11target_archE942ELNS1_3gpuE9ELNS1_3repE0EEENS1_30default_config_static_selectorELNS0_4arch9wavefront6targetE1EEEvSZ_,comdat
	.globl	_ZN7rocprim17ROCPRIM_400000_NS6detail17trampoline_kernelINS0_13select_configILj256ELj13ELNS0_17block_load_methodE3ELS4_3ELS4_3ELNS0_20block_scan_algorithmE0ELj4294967295EEENS1_25partition_config_selectorILNS1_17partition_subalgoE4EjNS0_10empty_typeEbEEZZNS1_14partition_implILS8_4ELb0ES6_15HIP_vector_typeIjLj2EENS0_17counting_iteratorIjlEEPS9_SG_NS0_5tupleIJPjSI_NS0_16reverse_iteratorISI_EEEEENSH_IJSG_SG_SG_EEES9_SI_JZNS1_25segmented_radix_sort_implINS0_14default_configELb0EPKlPlSQ_SR_N2at6native12_GLOBAL__N_18offset_tEEE10hipError_tPvRmT1_PNSt15iterator_traitsISZ_E10value_typeET2_T3_PNS10_IS15_E10value_typeET4_jRbjT5_S1B_jjP12ihipStream_tbEUljE_ZNSN_ISO_Lb0ESQ_SR_SQ_SR_SV_EESW_SX_SY_SZ_S13_S14_S15_S18_S19_jS1A_jS1B_S1B_jjS1D_bEUljE0_EEESW_SX_SY_S15_S19_S1B_T6_T7_T9_mT8_S1D_bDpT10_ENKUlT_T0_E_clISt17integral_constantIbLb0EES1R_EEDaS1M_S1N_EUlS1M_E_NS1_11comp_targetILNS1_3genE5ELNS1_11target_archE942ELNS1_3gpuE9ELNS1_3repE0EEENS1_30default_config_static_selectorELNS0_4arch9wavefront6targetE1EEEvSZ_ ; -- Begin function _ZN7rocprim17ROCPRIM_400000_NS6detail17trampoline_kernelINS0_13select_configILj256ELj13ELNS0_17block_load_methodE3ELS4_3ELS4_3ELNS0_20block_scan_algorithmE0ELj4294967295EEENS1_25partition_config_selectorILNS1_17partition_subalgoE4EjNS0_10empty_typeEbEEZZNS1_14partition_implILS8_4ELb0ES6_15HIP_vector_typeIjLj2EENS0_17counting_iteratorIjlEEPS9_SG_NS0_5tupleIJPjSI_NS0_16reverse_iteratorISI_EEEEENSH_IJSG_SG_SG_EEES9_SI_JZNS1_25segmented_radix_sort_implINS0_14default_configELb0EPKlPlSQ_SR_N2at6native12_GLOBAL__N_18offset_tEEE10hipError_tPvRmT1_PNSt15iterator_traitsISZ_E10value_typeET2_T3_PNS10_IS15_E10value_typeET4_jRbjT5_S1B_jjP12ihipStream_tbEUljE_ZNSN_ISO_Lb0ESQ_SR_SQ_SR_SV_EESW_SX_SY_SZ_S13_S14_S15_S18_S19_jS1A_jS1B_S1B_jjS1D_bEUljE0_EEESW_SX_SY_S15_S19_S1B_T6_T7_T9_mT8_S1D_bDpT10_ENKUlT_T0_E_clISt17integral_constantIbLb0EES1R_EEDaS1M_S1N_EUlS1M_E_NS1_11comp_targetILNS1_3genE5ELNS1_11target_archE942ELNS1_3gpuE9ELNS1_3repE0EEENS1_30default_config_static_selectorELNS0_4arch9wavefront6targetE1EEEvSZ_
	.p2align	8
	.type	_ZN7rocprim17ROCPRIM_400000_NS6detail17trampoline_kernelINS0_13select_configILj256ELj13ELNS0_17block_load_methodE3ELS4_3ELS4_3ELNS0_20block_scan_algorithmE0ELj4294967295EEENS1_25partition_config_selectorILNS1_17partition_subalgoE4EjNS0_10empty_typeEbEEZZNS1_14partition_implILS8_4ELb0ES6_15HIP_vector_typeIjLj2EENS0_17counting_iteratorIjlEEPS9_SG_NS0_5tupleIJPjSI_NS0_16reverse_iteratorISI_EEEEENSH_IJSG_SG_SG_EEES9_SI_JZNS1_25segmented_radix_sort_implINS0_14default_configELb0EPKlPlSQ_SR_N2at6native12_GLOBAL__N_18offset_tEEE10hipError_tPvRmT1_PNSt15iterator_traitsISZ_E10value_typeET2_T3_PNS10_IS15_E10value_typeET4_jRbjT5_S1B_jjP12ihipStream_tbEUljE_ZNSN_ISO_Lb0ESQ_SR_SQ_SR_SV_EESW_SX_SY_SZ_S13_S14_S15_S18_S19_jS1A_jS1B_S1B_jjS1D_bEUljE0_EEESW_SX_SY_S15_S19_S1B_T6_T7_T9_mT8_S1D_bDpT10_ENKUlT_T0_E_clISt17integral_constantIbLb0EES1R_EEDaS1M_S1N_EUlS1M_E_NS1_11comp_targetILNS1_3genE5ELNS1_11target_archE942ELNS1_3gpuE9ELNS1_3repE0EEENS1_30default_config_static_selectorELNS0_4arch9wavefront6targetE1EEEvSZ_,@function
_ZN7rocprim17ROCPRIM_400000_NS6detail17trampoline_kernelINS0_13select_configILj256ELj13ELNS0_17block_load_methodE3ELS4_3ELS4_3ELNS0_20block_scan_algorithmE0ELj4294967295EEENS1_25partition_config_selectorILNS1_17partition_subalgoE4EjNS0_10empty_typeEbEEZZNS1_14partition_implILS8_4ELb0ES6_15HIP_vector_typeIjLj2EENS0_17counting_iteratorIjlEEPS9_SG_NS0_5tupleIJPjSI_NS0_16reverse_iteratorISI_EEEEENSH_IJSG_SG_SG_EEES9_SI_JZNS1_25segmented_radix_sort_implINS0_14default_configELb0EPKlPlSQ_SR_N2at6native12_GLOBAL__N_18offset_tEEE10hipError_tPvRmT1_PNSt15iterator_traitsISZ_E10value_typeET2_T3_PNS10_IS15_E10value_typeET4_jRbjT5_S1B_jjP12ihipStream_tbEUljE_ZNSN_ISO_Lb0ESQ_SR_SQ_SR_SV_EESW_SX_SY_SZ_S13_S14_S15_S18_S19_jS1A_jS1B_S1B_jjS1D_bEUljE0_EEESW_SX_SY_S15_S19_S1B_T6_T7_T9_mT8_S1D_bDpT10_ENKUlT_T0_E_clISt17integral_constantIbLb0EES1R_EEDaS1M_S1N_EUlS1M_E_NS1_11comp_targetILNS1_3genE5ELNS1_11target_archE942ELNS1_3gpuE9ELNS1_3repE0EEENS1_30default_config_static_selectorELNS0_4arch9wavefront6targetE1EEEvSZ_: ; @_ZN7rocprim17ROCPRIM_400000_NS6detail17trampoline_kernelINS0_13select_configILj256ELj13ELNS0_17block_load_methodE3ELS4_3ELS4_3ELNS0_20block_scan_algorithmE0ELj4294967295EEENS1_25partition_config_selectorILNS1_17partition_subalgoE4EjNS0_10empty_typeEbEEZZNS1_14partition_implILS8_4ELb0ES6_15HIP_vector_typeIjLj2EENS0_17counting_iteratorIjlEEPS9_SG_NS0_5tupleIJPjSI_NS0_16reverse_iteratorISI_EEEEENSH_IJSG_SG_SG_EEES9_SI_JZNS1_25segmented_radix_sort_implINS0_14default_configELb0EPKlPlSQ_SR_N2at6native12_GLOBAL__N_18offset_tEEE10hipError_tPvRmT1_PNSt15iterator_traitsISZ_E10value_typeET2_T3_PNS10_IS15_E10value_typeET4_jRbjT5_S1B_jjP12ihipStream_tbEUljE_ZNSN_ISO_Lb0ESQ_SR_SQ_SR_SV_EESW_SX_SY_SZ_S13_S14_S15_S18_S19_jS1A_jS1B_S1B_jjS1D_bEUljE0_EEESW_SX_SY_S15_S19_S1B_T6_T7_T9_mT8_S1D_bDpT10_ENKUlT_T0_E_clISt17integral_constantIbLb0EES1R_EEDaS1M_S1N_EUlS1M_E_NS1_11comp_targetILNS1_3genE5ELNS1_11target_archE942ELNS1_3gpuE9ELNS1_3repE0EEENS1_30default_config_static_selectorELNS0_4arch9wavefront6targetE1EEEvSZ_
; %bb.0:
	.section	.rodata,"a",@progbits
	.p2align	6, 0x0
	.amdhsa_kernel _ZN7rocprim17ROCPRIM_400000_NS6detail17trampoline_kernelINS0_13select_configILj256ELj13ELNS0_17block_load_methodE3ELS4_3ELS4_3ELNS0_20block_scan_algorithmE0ELj4294967295EEENS1_25partition_config_selectorILNS1_17partition_subalgoE4EjNS0_10empty_typeEbEEZZNS1_14partition_implILS8_4ELb0ES6_15HIP_vector_typeIjLj2EENS0_17counting_iteratorIjlEEPS9_SG_NS0_5tupleIJPjSI_NS0_16reverse_iteratorISI_EEEEENSH_IJSG_SG_SG_EEES9_SI_JZNS1_25segmented_radix_sort_implINS0_14default_configELb0EPKlPlSQ_SR_N2at6native12_GLOBAL__N_18offset_tEEE10hipError_tPvRmT1_PNSt15iterator_traitsISZ_E10value_typeET2_T3_PNS10_IS15_E10value_typeET4_jRbjT5_S1B_jjP12ihipStream_tbEUljE_ZNSN_ISO_Lb0ESQ_SR_SQ_SR_SV_EESW_SX_SY_SZ_S13_S14_S15_S18_S19_jS1A_jS1B_S1B_jjS1D_bEUljE0_EEESW_SX_SY_S15_S19_S1B_T6_T7_T9_mT8_S1D_bDpT10_ENKUlT_T0_E_clISt17integral_constantIbLb0EES1R_EEDaS1M_S1N_EUlS1M_E_NS1_11comp_targetILNS1_3genE5ELNS1_11target_archE942ELNS1_3gpuE9ELNS1_3repE0EEENS1_30default_config_static_selectorELNS0_4arch9wavefront6targetE1EEEvSZ_
		.amdhsa_group_segment_fixed_size 0
		.amdhsa_private_segment_fixed_size 0
		.amdhsa_kernarg_size 176
		.amdhsa_user_sgpr_count 6
		.amdhsa_user_sgpr_private_segment_buffer 1
		.amdhsa_user_sgpr_dispatch_ptr 0
		.amdhsa_user_sgpr_queue_ptr 0
		.amdhsa_user_sgpr_kernarg_segment_ptr 1
		.amdhsa_user_sgpr_dispatch_id 0
		.amdhsa_user_sgpr_flat_scratch_init 0
		.amdhsa_user_sgpr_kernarg_preload_length 0
		.amdhsa_user_sgpr_kernarg_preload_offset 0
		.amdhsa_user_sgpr_private_segment_size 0
		.amdhsa_uses_dynamic_stack 0
		.amdhsa_system_sgpr_private_segment_wavefront_offset 0
		.amdhsa_system_sgpr_workgroup_id_x 1
		.amdhsa_system_sgpr_workgroup_id_y 0
		.amdhsa_system_sgpr_workgroup_id_z 0
		.amdhsa_system_sgpr_workgroup_info 0
		.amdhsa_system_vgpr_workitem_id 0
		.amdhsa_next_free_vgpr 1
		.amdhsa_next_free_sgpr 0
		.amdhsa_accum_offset 4
		.amdhsa_reserve_vcc 0
		.amdhsa_reserve_flat_scratch 0
		.amdhsa_float_round_mode_32 0
		.amdhsa_float_round_mode_16_64 0
		.amdhsa_float_denorm_mode_32 3
		.amdhsa_float_denorm_mode_16_64 3
		.amdhsa_dx10_clamp 1
		.amdhsa_ieee_mode 1
		.amdhsa_fp16_overflow 0
		.amdhsa_tg_split 0
		.amdhsa_exception_fp_ieee_invalid_op 0
		.amdhsa_exception_fp_denorm_src 0
		.amdhsa_exception_fp_ieee_div_zero 0
		.amdhsa_exception_fp_ieee_overflow 0
		.amdhsa_exception_fp_ieee_underflow 0
		.amdhsa_exception_fp_ieee_inexact 0
		.amdhsa_exception_int_div_zero 0
	.end_amdhsa_kernel
	.section	.text._ZN7rocprim17ROCPRIM_400000_NS6detail17trampoline_kernelINS0_13select_configILj256ELj13ELNS0_17block_load_methodE3ELS4_3ELS4_3ELNS0_20block_scan_algorithmE0ELj4294967295EEENS1_25partition_config_selectorILNS1_17partition_subalgoE4EjNS0_10empty_typeEbEEZZNS1_14partition_implILS8_4ELb0ES6_15HIP_vector_typeIjLj2EENS0_17counting_iteratorIjlEEPS9_SG_NS0_5tupleIJPjSI_NS0_16reverse_iteratorISI_EEEEENSH_IJSG_SG_SG_EEES9_SI_JZNS1_25segmented_radix_sort_implINS0_14default_configELb0EPKlPlSQ_SR_N2at6native12_GLOBAL__N_18offset_tEEE10hipError_tPvRmT1_PNSt15iterator_traitsISZ_E10value_typeET2_T3_PNS10_IS15_E10value_typeET4_jRbjT5_S1B_jjP12ihipStream_tbEUljE_ZNSN_ISO_Lb0ESQ_SR_SQ_SR_SV_EESW_SX_SY_SZ_S13_S14_S15_S18_S19_jS1A_jS1B_S1B_jjS1D_bEUljE0_EEESW_SX_SY_S15_S19_S1B_T6_T7_T9_mT8_S1D_bDpT10_ENKUlT_T0_E_clISt17integral_constantIbLb0EES1R_EEDaS1M_S1N_EUlS1M_E_NS1_11comp_targetILNS1_3genE5ELNS1_11target_archE942ELNS1_3gpuE9ELNS1_3repE0EEENS1_30default_config_static_selectorELNS0_4arch9wavefront6targetE1EEEvSZ_,"axG",@progbits,_ZN7rocprim17ROCPRIM_400000_NS6detail17trampoline_kernelINS0_13select_configILj256ELj13ELNS0_17block_load_methodE3ELS4_3ELS4_3ELNS0_20block_scan_algorithmE0ELj4294967295EEENS1_25partition_config_selectorILNS1_17partition_subalgoE4EjNS0_10empty_typeEbEEZZNS1_14partition_implILS8_4ELb0ES6_15HIP_vector_typeIjLj2EENS0_17counting_iteratorIjlEEPS9_SG_NS0_5tupleIJPjSI_NS0_16reverse_iteratorISI_EEEEENSH_IJSG_SG_SG_EEES9_SI_JZNS1_25segmented_radix_sort_implINS0_14default_configELb0EPKlPlSQ_SR_N2at6native12_GLOBAL__N_18offset_tEEE10hipError_tPvRmT1_PNSt15iterator_traitsISZ_E10value_typeET2_T3_PNS10_IS15_E10value_typeET4_jRbjT5_S1B_jjP12ihipStream_tbEUljE_ZNSN_ISO_Lb0ESQ_SR_SQ_SR_SV_EESW_SX_SY_SZ_S13_S14_S15_S18_S19_jS1A_jS1B_S1B_jjS1D_bEUljE0_EEESW_SX_SY_S15_S19_S1B_T6_T7_T9_mT8_S1D_bDpT10_ENKUlT_T0_E_clISt17integral_constantIbLb0EES1R_EEDaS1M_S1N_EUlS1M_E_NS1_11comp_targetILNS1_3genE5ELNS1_11target_archE942ELNS1_3gpuE9ELNS1_3repE0EEENS1_30default_config_static_selectorELNS0_4arch9wavefront6targetE1EEEvSZ_,comdat
.Lfunc_end744:
	.size	_ZN7rocprim17ROCPRIM_400000_NS6detail17trampoline_kernelINS0_13select_configILj256ELj13ELNS0_17block_load_methodE3ELS4_3ELS4_3ELNS0_20block_scan_algorithmE0ELj4294967295EEENS1_25partition_config_selectorILNS1_17partition_subalgoE4EjNS0_10empty_typeEbEEZZNS1_14partition_implILS8_4ELb0ES6_15HIP_vector_typeIjLj2EENS0_17counting_iteratorIjlEEPS9_SG_NS0_5tupleIJPjSI_NS0_16reverse_iteratorISI_EEEEENSH_IJSG_SG_SG_EEES9_SI_JZNS1_25segmented_radix_sort_implINS0_14default_configELb0EPKlPlSQ_SR_N2at6native12_GLOBAL__N_18offset_tEEE10hipError_tPvRmT1_PNSt15iterator_traitsISZ_E10value_typeET2_T3_PNS10_IS15_E10value_typeET4_jRbjT5_S1B_jjP12ihipStream_tbEUljE_ZNSN_ISO_Lb0ESQ_SR_SQ_SR_SV_EESW_SX_SY_SZ_S13_S14_S15_S18_S19_jS1A_jS1B_S1B_jjS1D_bEUljE0_EEESW_SX_SY_S15_S19_S1B_T6_T7_T9_mT8_S1D_bDpT10_ENKUlT_T0_E_clISt17integral_constantIbLb0EES1R_EEDaS1M_S1N_EUlS1M_E_NS1_11comp_targetILNS1_3genE5ELNS1_11target_archE942ELNS1_3gpuE9ELNS1_3repE0EEENS1_30default_config_static_selectorELNS0_4arch9wavefront6targetE1EEEvSZ_, .Lfunc_end744-_ZN7rocprim17ROCPRIM_400000_NS6detail17trampoline_kernelINS0_13select_configILj256ELj13ELNS0_17block_load_methodE3ELS4_3ELS4_3ELNS0_20block_scan_algorithmE0ELj4294967295EEENS1_25partition_config_selectorILNS1_17partition_subalgoE4EjNS0_10empty_typeEbEEZZNS1_14partition_implILS8_4ELb0ES6_15HIP_vector_typeIjLj2EENS0_17counting_iteratorIjlEEPS9_SG_NS0_5tupleIJPjSI_NS0_16reverse_iteratorISI_EEEEENSH_IJSG_SG_SG_EEES9_SI_JZNS1_25segmented_radix_sort_implINS0_14default_configELb0EPKlPlSQ_SR_N2at6native12_GLOBAL__N_18offset_tEEE10hipError_tPvRmT1_PNSt15iterator_traitsISZ_E10value_typeET2_T3_PNS10_IS15_E10value_typeET4_jRbjT5_S1B_jjP12ihipStream_tbEUljE_ZNSN_ISO_Lb0ESQ_SR_SQ_SR_SV_EESW_SX_SY_SZ_S13_S14_S15_S18_S19_jS1A_jS1B_S1B_jjS1D_bEUljE0_EEESW_SX_SY_S15_S19_S1B_T6_T7_T9_mT8_S1D_bDpT10_ENKUlT_T0_E_clISt17integral_constantIbLb0EES1R_EEDaS1M_S1N_EUlS1M_E_NS1_11comp_targetILNS1_3genE5ELNS1_11target_archE942ELNS1_3gpuE9ELNS1_3repE0EEENS1_30default_config_static_selectorELNS0_4arch9wavefront6targetE1EEEvSZ_
                                        ; -- End function
	.section	.AMDGPU.csdata,"",@progbits
; Kernel info:
; codeLenInByte = 0
; NumSgprs: 4
; NumVgprs: 0
; NumAgprs: 0
; TotalNumVgprs: 0
; ScratchSize: 0
; MemoryBound: 0
; FloatMode: 240
; IeeeMode: 1
; LDSByteSize: 0 bytes/workgroup (compile time only)
; SGPRBlocks: 0
; VGPRBlocks: 0
; NumSGPRsForWavesPerEU: 4
; NumVGPRsForWavesPerEU: 1
; AccumOffset: 4
; Occupancy: 8
; WaveLimiterHint : 0
; COMPUTE_PGM_RSRC2:SCRATCH_EN: 0
; COMPUTE_PGM_RSRC2:USER_SGPR: 6
; COMPUTE_PGM_RSRC2:TRAP_HANDLER: 0
; COMPUTE_PGM_RSRC2:TGID_X_EN: 1
; COMPUTE_PGM_RSRC2:TGID_Y_EN: 0
; COMPUTE_PGM_RSRC2:TGID_Z_EN: 0
; COMPUTE_PGM_RSRC2:TIDIG_COMP_CNT: 0
; COMPUTE_PGM_RSRC3_GFX90A:ACCUM_OFFSET: 0
; COMPUTE_PGM_RSRC3_GFX90A:TG_SPLIT: 0
	.section	.text._ZN7rocprim17ROCPRIM_400000_NS6detail17trampoline_kernelINS0_13select_configILj256ELj13ELNS0_17block_load_methodE3ELS4_3ELS4_3ELNS0_20block_scan_algorithmE0ELj4294967295EEENS1_25partition_config_selectorILNS1_17partition_subalgoE4EjNS0_10empty_typeEbEEZZNS1_14partition_implILS8_4ELb0ES6_15HIP_vector_typeIjLj2EENS0_17counting_iteratorIjlEEPS9_SG_NS0_5tupleIJPjSI_NS0_16reverse_iteratorISI_EEEEENSH_IJSG_SG_SG_EEES9_SI_JZNS1_25segmented_radix_sort_implINS0_14default_configELb0EPKlPlSQ_SR_N2at6native12_GLOBAL__N_18offset_tEEE10hipError_tPvRmT1_PNSt15iterator_traitsISZ_E10value_typeET2_T3_PNS10_IS15_E10value_typeET4_jRbjT5_S1B_jjP12ihipStream_tbEUljE_ZNSN_ISO_Lb0ESQ_SR_SQ_SR_SV_EESW_SX_SY_SZ_S13_S14_S15_S18_S19_jS1A_jS1B_S1B_jjS1D_bEUljE0_EEESW_SX_SY_S15_S19_S1B_T6_T7_T9_mT8_S1D_bDpT10_ENKUlT_T0_E_clISt17integral_constantIbLb0EES1R_EEDaS1M_S1N_EUlS1M_E_NS1_11comp_targetILNS1_3genE4ELNS1_11target_archE910ELNS1_3gpuE8ELNS1_3repE0EEENS1_30default_config_static_selectorELNS0_4arch9wavefront6targetE1EEEvSZ_,"axG",@progbits,_ZN7rocprim17ROCPRIM_400000_NS6detail17trampoline_kernelINS0_13select_configILj256ELj13ELNS0_17block_load_methodE3ELS4_3ELS4_3ELNS0_20block_scan_algorithmE0ELj4294967295EEENS1_25partition_config_selectorILNS1_17partition_subalgoE4EjNS0_10empty_typeEbEEZZNS1_14partition_implILS8_4ELb0ES6_15HIP_vector_typeIjLj2EENS0_17counting_iteratorIjlEEPS9_SG_NS0_5tupleIJPjSI_NS0_16reverse_iteratorISI_EEEEENSH_IJSG_SG_SG_EEES9_SI_JZNS1_25segmented_radix_sort_implINS0_14default_configELb0EPKlPlSQ_SR_N2at6native12_GLOBAL__N_18offset_tEEE10hipError_tPvRmT1_PNSt15iterator_traitsISZ_E10value_typeET2_T3_PNS10_IS15_E10value_typeET4_jRbjT5_S1B_jjP12ihipStream_tbEUljE_ZNSN_ISO_Lb0ESQ_SR_SQ_SR_SV_EESW_SX_SY_SZ_S13_S14_S15_S18_S19_jS1A_jS1B_S1B_jjS1D_bEUljE0_EEESW_SX_SY_S15_S19_S1B_T6_T7_T9_mT8_S1D_bDpT10_ENKUlT_T0_E_clISt17integral_constantIbLb0EES1R_EEDaS1M_S1N_EUlS1M_E_NS1_11comp_targetILNS1_3genE4ELNS1_11target_archE910ELNS1_3gpuE8ELNS1_3repE0EEENS1_30default_config_static_selectorELNS0_4arch9wavefront6targetE1EEEvSZ_,comdat
	.globl	_ZN7rocprim17ROCPRIM_400000_NS6detail17trampoline_kernelINS0_13select_configILj256ELj13ELNS0_17block_load_methodE3ELS4_3ELS4_3ELNS0_20block_scan_algorithmE0ELj4294967295EEENS1_25partition_config_selectorILNS1_17partition_subalgoE4EjNS0_10empty_typeEbEEZZNS1_14partition_implILS8_4ELb0ES6_15HIP_vector_typeIjLj2EENS0_17counting_iteratorIjlEEPS9_SG_NS0_5tupleIJPjSI_NS0_16reverse_iteratorISI_EEEEENSH_IJSG_SG_SG_EEES9_SI_JZNS1_25segmented_radix_sort_implINS0_14default_configELb0EPKlPlSQ_SR_N2at6native12_GLOBAL__N_18offset_tEEE10hipError_tPvRmT1_PNSt15iterator_traitsISZ_E10value_typeET2_T3_PNS10_IS15_E10value_typeET4_jRbjT5_S1B_jjP12ihipStream_tbEUljE_ZNSN_ISO_Lb0ESQ_SR_SQ_SR_SV_EESW_SX_SY_SZ_S13_S14_S15_S18_S19_jS1A_jS1B_S1B_jjS1D_bEUljE0_EEESW_SX_SY_S15_S19_S1B_T6_T7_T9_mT8_S1D_bDpT10_ENKUlT_T0_E_clISt17integral_constantIbLb0EES1R_EEDaS1M_S1N_EUlS1M_E_NS1_11comp_targetILNS1_3genE4ELNS1_11target_archE910ELNS1_3gpuE8ELNS1_3repE0EEENS1_30default_config_static_selectorELNS0_4arch9wavefront6targetE1EEEvSZ_ ; -- Begin function _ZN7rocprim17ROCPRIM_400000_NS6detail17trampoline_kernelINS0_13select_configILj256ELj13ELNS0_17block_load_methodE3ELS4_3ELS4_3ELNS0_20block_scan_algorithmE0ELj4294967295EEENS1_25partition_config_selectorILNS1_17partition_subalgoE4EjNS0_10empty_typeEbEEZZNS1_14partition_implILS8_4ELb0ES6_15HIP_vector_typeIjLj2EENS0_17counting_iteratorIjlEEPS9_SG_NS0_5tupleIJPjSI_NS0_16reverse_iteratorISI_EEEEENSH_IJSG_SG_SG_EEES9_SI_JZNS1_25segmented_radix_sort_implINS0_14default_configELb0EPKlPlSQ_SR_N2at6native12_GLOBAL__N_18offset_tEEE10hipError_tPvRmT1_PNSt15iterator_traitsISZ_E10value_typeET2_T3_PNS10_IS15_E10value_typeET4_jRbjT5_S1B_jjP12ihipStream_tbEUljE_ZNSN_ISO_Lb0ESQ_SR_SQ_SR_SV_EESW_SX_SY_SZ_S13_S14_S15_S18_S19_jS1A_jS1B_S1B_jjS1D_bEUljE0_EEESW_SX_SY_S15_S19_S1B_T6_T7_T9_mT8_S1D_bDpT10_ENKUlT_T0_E_clISt17integral_constantIbLb0EES1R_EEDaS1M_S1N_EUlS1M_E_NS1_11comp_targetILNS1_3genE4ELNS1_11target_archE910ELNS1_3gpuE8ELNS1_3repE0EEENS1_30default_config_static_selectorELNS0_4arch9wavefront6targetE1EEEvSZ_
	.p2align	8
	.type	_ZN7rocprim17ROCPRIM_400000_NS6detail17trampoline_kernelINS0_13select_configILj256ELj13ELNS0_17block_load_methodE3ELS4_3ELS4_3ELNS0_20block_scan_algorithmE0ELj4294967295EEENS1_25partition_config_selectorILNS1_17partition_subalgoE4EjNS0_10empty_typeEbEEZZNS1_14partition_implILS8_4ELb0ES6_15HIP_vector_typeIjLj2EENS0_17counting_iteratorIjlEEPS9_SG_NS0_5tupleIJPjSI_NS0_16reverse_iteratorISI_EEEEENSH_IJSG_SG_SG_EEES9_SI_JZNS1_25segmented_radix_sort_implINS0_14default_configELb0EPKlPlSQ_SR_N2at6native12_GLOBAL__N_18offset_tEEE10hipError_tPvRmT1_PNSt15iterator_traitsISZ_E10value_typeET2_T3_PNS10_IS15_E10value_typeET4_jRbjT5_S1B_jjP12ihipStream_tbEUljE_ZNSN_ISO_Lb0ESQ_SR_SQ_SR_SV_EESW_SX_SY_SZ_S13_S14_S15_S18_S19_jS1A_jS1B_S1B_jjS1D_bEUljE0_EEESW_SX_SY_S15_S19_S1B_T6_T7_T9_mT8_S1D_bDpT10_ENKUlT_T0_E_clISt17integral_constantIbLb0EES1R_EEDaS1M_S1N_EUlS1M_E_NS1_11comp_targetILNS1_3genE4ELNS1_11target_archE910ELNS1_3gpuE8ELNS1_3repE0EEENS1_30default_config_static_selectorELNS0_4arch9wavefront6targetE1EEEvSZ_,@function
_ZN7rocprim17ROCPRIM_400000_NS6detail17trampoline_kernelINS0_13select_configILj256ELj13ELNS0_17block_load_methodE3ELS4_3ELS4_3ELNS0_20block_scan_algorithmE0ELj4294967295EEENS1_25partition_config_selectorILNS1_17partition_subalgoE4EjNS0_10empty_typeEbEEZZNS1_14partition_implILS8_4ELb0ES6_15HIP_vector_typeIjLj2EENS0_17counting_iteratorIjlEEPS9_SG_NS0_5tupleIJPjSI_NS0_16reverse_iteratorISI_EEEEENSH_IJSG_SG_SG_EEES9_SI_JZNS1_25segmented_radix_sort_implINS0_14default_configELb0EPKlPlSQ_SR_N2at6native12_GLOBAL__N_18offset_tEEE10hipError_tPvRmT1_PNSt15iterator_traitsISZ_E10value_typeET2_T3_PNS10_IS15_E10value_typeET4_jRbjT5_S1B_jjP12ihipStream_tbEUljE_ZNSN_ISO_Lb0ESQ_SR_SQ_SR_SV_EESW_SX_SY_SZ_S13_S14_S15_S18_S19_jS1A_jS1B_S1B_jjS1D_bEUljE0_EEESW_SX_SY_S15_S19_S1B_T6_T7_T9_mT8_S1D_bDpT10_ENKUlT_T0_E_clISt17integral_constantIbLb0EES1R_EEDaS1M_S1N_EUlS1M_E_NS1_11comp_targetILNS1_3genE4ELNS1_11target_archE910ELNS1_3gpuE8ELNS1_3repE0EEENS1_30default_config_static_selectorELNS0_4arch9wavefront6targetE1EEEvSZ_: ; @_ZN7rocprim17ROCPRIM_400000_NS6detail17trampoline_kernelINS0_13select_configILj256ELj13ELNS0_17block_load_methodE3ELS4_3ELS4_3ELNS0_20block_scan_algorithmE0ELj4294967295EEENS1_25partition_config_selectorILNS1_17partition_subalgoE4EjNS0_10empty_typeEbEEZZNS1_14partition_implILS8_4ELb0ES6_15HIP_vector_typeIjLj2EENS0_17counting_iteratorIjlEEPS9_SG_NS0_5tupleIJPjSI_NS0_16reverse_iteratorISI_EEEEENSH_IJSG_SG_SG_EEES9_SI_JZNS1_25segmented_radix_sort_implINS0_14default_configELb0EPKlPlSQ_SR_N2at6native12_GLOBAL__N_18offset_tEEE10hipError_tPvRmT1_PNSt15iterator_traitsISZ_E10value_typeET2_T3_PNS10_IS15_E10value_typeET4_jRbjT5_S1B_jjP12ihipStream_tbEUljE_ZNSN_ISO_Lb0ESQ_SR_SQ_SR_SV_EESW_SX_SY_SZ_S13_S14_S15_S18_S19_jS1A_jS1B_S1B_jjS1D_bEUljE0_EEESW_SX_SY_S15_S19_S1B_T6_T7_T9_mT8_S1D_bDpT10_ENKUlT_T0_E_clISt17integral_constantIbLb0EES1R_EEDaS1M_S1N_EUlS1M_E_NS1_11comp_targetILNS1_3genE4ELNS1_11target_archE910ELNS1_3gpuE8ELNS1_3repE0EEENS1_30default_config_static_selectorELNS0_4arch9wavefront6targetE1EEEvSZ_
; %bb.0:
	s_load_dwordx2 s[0:1], s[4:5], 0x68
	s_load_dword s7, s[4:5], 0x8
	s_load_dwordx2 s[56:57], s[4:5], 0x10
	s_load_dwordx4 s[44:47], s[4:5], 0x58
	s_mul_i32 s33, s6, 0xd00
	s_waitcnt lgkmcnt(0)
	v_mov_b32_e32 v3, s1
	v_mov_b32_e32 v2, s0
	s_load_dword s1, s[4:5], 0x80
	s_load_dwordx2 s[60:61], s[4:5], 0xa8
	s_load_dwordx8 s[36:43], s[4:5], 0x88
	s_load_dwordx4 s[48:51], s[46:47], 0x0
	s_waitcnt lgkmcnt(0)
	s_add_i32 s8, s1, -1
	s_mulk_i32 s1, 0xd00
	s_add_u32 s2, s56, s1
	s_addc_u32 s3, s57, 0
	s_cmp_eq_u32 s6, s8
	s_cselect_b64 s[30:31], -1, 0
	s_cmp_lg_u32 s6, s8
	v_cmp_lt_u64_e32 vcc, s[2:3], v[2:3]
	s_cselect_b64 s[2:3], -1, 0
	s_add_i32 s7, s7, s33
	s_or_b64 s[2:3], s[2:3], vcc
	s_add_i32 s7, s7, s56
	v_add_u32_e32 v1, s7, v0
	s_mov_b64 s[8:9], -1
	s_and_b64 vcc, exec, s[2:3]
	s_cbranch_vccz .LBB745_2
; %bb.1:
	v_add_u32_e32 v2, 0x100, v1
	v_lshlrev_b32_e32 v14, 2, v0
	v_add_u32_e32 v3, 0x200, v1
	v_add_u32_e32 v4, 0x300, v1
	;; [unrolled: 1-line block ×11, first 2 shown]
	ds_write2st64_b32 v14, v1, v2 offset1:4
	ds_write2st64_b32 v14, v3, v4 offset0:8 offset1:12
	ds_write2st64_b32 v14, v5, v6 offset0:16 offset1:20
	;; [unrolled: 1-line block ×5, first 2 shown]
	ds_write_b32 v14, v13 offset:12288
	s_waitcnt lgkmcnt(0)
	s_barrier
	s_mov_b64 s[8:9], 0
.LBB745_2:
	s_andn2_b64 vcc, exec, s[8:9]
	s_add_i32 s1, s1, s56
	s_cbranch_vccnz .LBB745_4
; %bb.3:
	v_add_u32_e32 v2, 0x100, v1
	v_lshlrev_b32_e32 v14, 2, v0
	v_add_u32_e32 v3, 0x200, v1
	v_add_u32_e32 v4, 0x300, v1
	;; [unrolled: 1-line block ×11, first 2 shown]
	ds_write2st64_b32 v14, v1, v2 offset1:4
	ds_write2st64_b32 v14, v3, v4 offset0:8 offset1:12
	ds_write2st64_b32 v14, v5, v6 offset0:16 offset1:20
	;; [unrolled: 1-line block ×5, first 2 shown]
	ds_write_b32 v14, v13 offset:12288
	s_waitcnt lgkmcnt(0)
	s_barrier
.LBB745_4:
	v_mul_u32_u24_e32 v31, 13, v0
	v_lshlrev_b32_e32 v1, 2, v31
	s_load_dwordx4 s[52:55], s[4:5], 0x28
	s_load_dwordx2 s[34:35], s[4:5], 0x38
	s_waitcnt lgkmcnt(0)
	ds_read2_b32 v[18:19], v1 offset1:1
	ds_read2_b32 v[16:17], v1 offset0:2 offset1:3
	ds_read2_b32 v[14:15], v1 offset0:4 offset1:5
	;; [unrolled: 1-line block ×5, first 2 shown]
	ds_read_b32 v30, v1 offset:48
	v_cndmask_b32_e64 v1, 0, 1, s[2:3]
	s_sub_i32 s7, s0, s1
	v_cmp_ne_u32_e64 s[0:1], 1, v1
	s_andn2_b64 vcc, exec, s[2:3]
	s_waitcnt lgkmcnt(0)
	s_barrier
	s_cbranch_vccnz .LBB745_32
; %bb.5:
	v_add_u32_e32 v1, s37, v18
	v_add_u32_e32 v2, s39, v18
	v_mul_lo_u32 v1, v1, s36
	v_mul_lo_u32 v2, v2, s38
	v_sub_u32_e32 v1, v1, v2
	v_cmp_lt_u32_e32 vcc, s40, v1
	v_cmp_ge_u32_e64 s[2:3], s40, v1
	s_mov_b64 s[64:65], 0
	s_mov_b64 s[62:63], 0
	s_and_saveexec_b64 s[8:9], s[2:3]
; %bb.6:
	v_add_u32_e32 v1, s42, v18
	v_add_u32_e32 v2, s60, v18
	v_mul_lo_u32 v1, v1, s41
	v_mul_lo_u32 v2, v2, s43
	v_sub_u32_e32 v1, v1, v2
	v_cmp_lt_u32_e64 s[2:3], s61, v1
	s_and_b64 s[62:63], s[2:3], exec
; %bb.7:
	s_or_b64 exec, exec, s[8:9]
	v_add_u32_e32 v1, s37, v19
	v_add_u32_e32 v2, s39, v19
	v_mul_lo_u32 v1, v1, s36
	v_mul_lo_u32 v2, v2, s38
	v_sub_u32_e32 v1, v1, v2
	v_cmp_lt_u32_e64 s[2:3], s40, v1
	v_cmp_ge_u32_e64 s[8:9], s40, v1
	s_and_saveexec_b64 s[10:11], s[8:9]
; %bb.8:
	v_add_u32_e32 v1, s42, v19
	v_add_u32_e32 v2, s60, v19
	v_mul_lo_u32 v1, v1, s41
	v_mul_lo_u32 v2, v2, s43
	v_sub_u32_e32 v1, v1, v2
	v_cmp_lt_u32_e64 s[8:9], s61, v1
	s_and_b64 s[64:65], s[8:9], exec
; %bb.9:
	s_or_b64 exec, exec, s[10:11]
	v_add_u32_e32 v1, s37, v16
	v_add_u32_e32 v2, s39, v16
	v_mul_lo_u32 v1, v1, s36
	v_mul_lo_u32 v2, v2, s38
	v_sub_u32_e32 v1, v1, v2
	v_cmp_lt_u32_e64 s[26:27], s40, v1
	v_cmp_ge_u32_e64 s[8:9], s40, v1
	s_mov_b64 s[68:69], 0
	s_mov_b64 s[66:67], 0
	s_and_saveexec_b64 s[10:11], s[8:9]
; %bb.10:
	v_add_u32_e32 v1, s42, v16
	v_add_u32_e32 v2, s60, v16
	v_mul_lo_u32 v1, v1, s41
	v_mul_lo_u32 v2, v2, s43
	v_sub_u32_e32 v1, v1, v2
	v_cmp_lt_u32_e64 s[8:9], s61, v1
	s_and_b64 s[66:67], s[8:9], exec
; %bb.11:
	s_or_b64 exec, exec, s[10:11]
	v_add_u32_e32 v1, s37, v17
	v_add_u32_e32 v2, s39, v17
	v_mul_lo_u32 v1, v1, s36
	v_mul_lo_u32 v2, v2, s38
	v_sub_u32_e32 v1, v1, v2
	v_cmp_lt_u32_e64 s[8:9], s40, v1
	v_cmp_ge_u32_e64 s[10:11], s40, v1
	s_and_saveexec_b64 s[12:13], s[10:11]
; %bb.12:
	v_add_u32_e32 v1, s42, v17
	v_add_u32_e32 v2, s60, v17
	v_mul_lo_u32 v1, v1, s41
	v_mul_lo_u32 v2, v2, s43
	v_sub_u32_e32 v1, v1, v2
	v_cmp_lt_u32_e64 s[10:11], s61, v1
	s_and_b64 s[68:69], s[10:11], exec
; %bb.13:
	s_or_b64 exec, exec, s[12:13]
	v_add_u32_e32 v1, s37, v14
	v_add_u32_e32 v2, s39, v14
	v_mul_lo_u32 v1, v1, s36
	v_mul_lo_u32 v2, v2, s38
	v_sub_u32_e32 v1, v1, v2
	v_cmp_lt_u32_e64 s[10:11], s40, v1
	;; [unrolled: 38-line block ×5, first 2 shown]
	v_cmp_ge_u32_e64 s[24:25], s40, v1
	s_mov_b64 s[84:85], 0
	s_mov_b64 s[86:87], 0
	s_and_saveexec_b64 s[28:29], s[24:25]
; %bb.26:
	v_add_u32_e32 v1, s42, v8
	v_add_u32_e32 v2, s60, v8
	v_mul_lo_u32 v1, v1, s41
	v_mul_lo_u32 v2, v2, s43
	v_sub_u32_e32 v1, v1, v2
	v_cmp_lt_u32_e64 s[24:25], s61, v1
	s_and_b64 s[86:87], s[24:25], exec
; %bb.27:
	s_or_b64 exec, exec, s[28:29]
	v_add_u32_e32 v1, s37, v9
	v_add_u32_e32 v2, s39, v9
	v_mul_lo_u32 v1, v1, s36
	v_mul_lo_u32 v2, v2, s38
	v_sub_u32_e32 v1, v1, v2
	v_cmp_lt_u32_e64 s[24:25], s40, v1
	v_cmp_ge_u32_e64 s[28:29], s40, v1
	s_and_saveexec_b64 s[46:47], s[28:29]
; %bb.28:
	v_add_u32_e32 v1, s42, v9
	v_add_u32_e32 v2, s60, v9
	v_mul_lo_u32 v1, v1, s41
	v_mul_lo_u32 v2, v2, s43
	v_sub_u32_e32 v1, v1, v2
	v_cmp_lt_u32_e64 s[28:29], s61, v1
	s_and_b64 s[84:85], s[28:29], exec
; %bb.29:
	s_or_b64 exec, exec, s[46:47]
	v_add_u32_e32 v1, s37, v30
	v_add_u32_e32 v2, s39, v30
	v_mul_lo_u32 v1, v1, s36
	v_mul_lo_u32 v2, v2, s38
	v_sub_u32_e32 v1, v1, v2
	v_cmp_ge_u32_e64 s[28:29], s40, v1
	s_mov_b64 s[46:47], -1
	s_mov_b64 s[78:79], 0
	s_mov_b64 s[58:59], 0
	s_and_saveexec_b64 s[88:89], s[28:29]
; %bb.30:
	v_add_u32_e32 v1, s42, v30
	v_add_u32_e32 v2, s60, v30
	v_mul_lo_u32 v1, v1, s41
	v_mul_lo_u32 v2, v2, s43
	v_sub_u32_e32 v1, v1, v2
	v_cmp_lt_u32_e64 s[28:29], s61, v1
	s_and_b64 s[58:59], s[28:29], exec
	s_xor_b64 s[46:47], exec, -1
; %bb.31:
	s_or_b64 exec, exec, s[88:89]
	v_cndmask_b32_e64 v52, 0, 1, s[86:87]
	v_cndmask_b32_e64 v55, 0, 1, s[24:25]
	;; [unrolled: 1-line block ×22, first 2 shown]
	v_cndmask_b32_e64 v32, 0, 1, vcc
	v_cndmask_b32_e64 v54, 0, 1, s[84:85]
	s_load_dwordx2 s[12:13], s[4:5], 0x78
	s_add_i32 s18, s7, 0xd00
	s_and_b64 vcc, exec, s[78:79]
	s_cbranch_vccnz .LBB745_33
	s_branch .LBB745_86
.LBB745_32:
                                        ; implicit-def: $sgpr46_sgpr47
                                        ; implicit-def: $sgpr58_sgpr59
                                        ; implicit-def: $vgpr54
                                        ; implicit-def: $vgpr52
                                        ; implicit-def: $vgpr50
                                        ; implicit-def: $vgpr48
                                        ; implicit-def: $vgpr46
                                        ; implicit-def: $vgpr44
                                        ; implicit-def: $vgpr42
                                        ; implicit-def: $vgpr40
                                        ; implicit-def: $vgpr38
                                        ; implicit-def: $vgpr32
                                        ; implicit-def: $vgpr34
                                        ; implicit-def: $vgpr36
                                        ; implicit-def: $vgpr39
                                        ; implicit-def: $vgpr41
                                        ; implicit-def: $vgpr43
                                        ; implicit-def: $vgpr45
                                        ; implicit-def: $vgpr47
                                        ; implicit-def: $vgpr49
                                        ; implicit-def: $vgpr51
                                        ; implicit-def: $vgpr53
                                        ; implicit-def: $vgpr55
                                        ; implicit-def: $vgpr33
                                        ; implicit-def: $vgpr35
                                        ; implicit-def: $vgpr37
	s_load_dwordx2 s[12:13], s[4:5], 0x78
	s_add_i32 s18, s7, 0xd00
	s_cbranch_execz .LBB745_86
.LBB745_33:
	v_cmp_gt_u32_e32 vcc, s18, v31
	v_mov_b32_e32 v33, 0
	v_mov_b32_e32 v32, 0
	s_and_saveexec_b64 s[4:5], vcc
	s_cbranch_execz .LBB745_37
; %bb.34:
	v_add_u32_e32 v1, s37, v18
	v_add_u32_e32 v2, s39, v18
	v_mul_lo_u32 v1, v1, s36
	v_mul_lo_u32 v2, v2, s38
	v_sub_u32_e32 v1, v1, v2
	v_cmp_lt_u32_e32 vcc, s40, v1
	v_cmp_ge_u32_e64 s[2:3], s40, v1
	s_mov_b64 s[10:11], 0
	s_and_saveexec_b64 s[8:9], s[2:3]
; %bb.35:
	v_add_u32_e32 v1, s42, v18
	v_add_u32_e32 v2, s60, v18
	v_mul_lo_u32 v1, v1, s41
	v_mul_lo_u32 v2, v2, s43
	v_sub_u32_e32 v1, v1, v2
	v_cmp_lt_u32_e64 s[2:3], s61, v1
	s_and_b64 s[10:11], s[2:3], exec
; %bb.36:
	s_or_b64 exec, exec, s[8:9]
	v_cndmask_b32_e64 v32, 0, 1, vcc
	v_cndmask_b32_e64 v33, 0, 1, s[10:11]
.LBB745_37:
	s_or_b64 exec, exec, s[4:5]
	v_add_u32_e32 v1, 1, v31
	v_cmp_gt_u32_e32 vcc, s18, v1
	v_mov_b32_e32 v34, 0
	v_mov_b32_e32 v35, 0
	s_and_saveexec_b64 s[4:5], vcc
	s_cbranch_execz .LBB745_41
; %bb.38:
	v_add_u32_e32 v1, s37, v19
	v_add_u32_e32 v2, s39, v19
	v_mul_lo_u32 v1, v1, s36
	v_mul_lo_u32 v2, v2, s38
	v_sub_u32_e32 v1, v1, v2
	v_cmp_lt_u32_e32 vcc, s40, v1
	v_cmp_ge_u32_e64 s[2:3], s40, v1
	s_mov_b64 s[10:11], 0
	s_and_saveexec_b64 s[8:9], s[2:3]
; %bb.39:
	v_add_u32_e32 v1, s42, v19
	v_add_u32_e32 v2, s60, v19
	v_mul_lo_u32 v1, v1, s41
	v_mul_lo_u32 v2, v2, s43
	v_sub_u32_e32 v1, v1, v2
	v_cmp_lt_u32_e64 s[2:3], s61, v1
	s_and_b64 s[10:11], s[2:3], exec
; %bb.40:
	s_or_b64 exec, exec, s[8:9]
	v_cndmask_b32_e64 v34, 0, 1, vcc
	v_cndmask_b32_e64 v35, 0, 1, s[10:11]
.LBB745_41:
	s_or_b64 exec, exec, s[4:5]
	v_add_u32_e32 v1, 2, v31
	;; [unrolled: 30-line block ×12, first 2 shown]
	v_cmp_gt_u32_e32 vcc, s18, v1
	s_mov_b64 s[46:47], 0
	s_mov_b64 s[58:59], 0
	s_and_saveexec_b64 s[2:3], vcc
	s_cbranch_execz .LBB745_85
; %bb.82:
	v_add_u32_e32 v1, s37, v30
	v_add_u32_e32 v2, s39, v30
	v_mul_lo_u32 v1, v1, s36
	v_mul_lo_u32 v2, v2, s38
	v_sub_u32_e32 v1, v1, v2
	v_cmp_ge_u32_e32 vcc, s40, v1
	s_mov_b64 s[8:9], -1
	s_mov_b64 s[10:11], 0
	s_and_saveexec_b64 s[4:5], vcc
; %bb.83:
	v_add_u32_e32 v1, s42, v30
	v_add_u32_e32 v2, s60, v30
	v_mul_lo_u32 v1, v1, s41
	v_mul_lo_u32 v2, v2, s43
	v_sub_u32_e32 v1, v1, v2
	v_cmp_lt_u32_e32 vcc, s61, v1
	s_and_b64 s[10:11], vcc, exec
	s_xor_b64 s[8:9], exec, -1
; %bb.84:
	s_or_b64 exec, exec, s[4:5]
	s_and_b64 s[58:59], s[10:11], exec
	s_and_b64 s[46:47], s[8:9], exec
.LBB745_85:
	s_or_b64 exec, exec, s[2:3]
.LBB745_86:
	v_and_b32_e32 v63, 0xff, v33
	v_and_b32_e32 v74, 0xff, v35
	;; [unrolled: 1-line block ×5, first 2 shown]
	v_add3_u32 v2, v74, v65, v63
	v_and_b32_e32 v76, 0xff, v42
	v_and_b32_e32 v69, 0xff, v44
	v_add3_u32 v2, v2, v75, v67
	v_and_b32_e32 v62, 0xff, v32
	v_and_b32_e32 v56, 0xff, v34
	;; [unrolled: 1-line block ×5, first 2 shown]
	v_add3_u32 v2, v2, v76, v69
	v_and_b32_e32 v57, 0xff, v39
	v_and_b32_e32 v66, 0xff, v41
	;; [unrolled: 1-line block ×4, first 2 shown]
	v_add3_u32 v3, v56, v64, v62
	v_add3_u32 v2, v2, v77, v71
	v_and_b32_e32 v58, 0xff, v43
	v_and_b32_e32 v68, 0xff, v45
	;; [unrolled: 1-line block ×3, first 2 shown]
	v_cndmask_b32_e64 v1, 0, 1, s[58:59]
	v_add3_u32 v3, v3, v57, v66
	v_add3_u32 v2, v2, v78, v73
	v_and_b32_e32 v59, 0xff, v47
	v_and_b32_e32 v70, 0xff, v49
	v_add3_u32 v3, v3, v58, v68
	v_add3_u32 v86, v2, v79, v1
	v_mbcnt_lo_u32_b32 v1, -1, 0
	v_and_b32_e32 v60, 0xff, v51
	v_and_b32_e32 v72, 0xff, v53
	v_add3_u32 v3, v3, v59, v70
	v_mbcnt_hi_u32_b32 v80, -1, v1
	v_and_b32_e32 v61, 0xff, v55
	v_add3_u32 v3, v3, v60, v72
	v_cndmask_b32_e64 v4, 0, 1, s[46:47]
	v_and_b32_e32 v84, 15, v80
	s_cmp_lg_u32 s6, 0
	v_add3_u32 v85, v3, v61, v4
	v_cmp_eq_u32_e64 s[4:5], 0, v84
	v_cmp_lt_u32_e64 s[2:3], 1, v84
	v_cmp_lt_u32_e64 s[8:9], 3, v84
	;; [unrolled: 1-line block ×3, first 2 shown]
	v_and_b32_e32 v83, 16, v80
	v_cmp_lt_u32_e32 vcc, 31, v80
	v_lshrrev_b32_e32 v81, 6, v0
	v_or_b32_e32 v82, 63, v0
	s_cbranch_scc0 .LBB745_115
; %bb.87:
	v_mov_b32_dpp v1, v85 row_shr:1 row_mask:0xf bank_mask:0xf
	v_mov_b32_dpp v2, v86 row_shr:1 row_mask:0xf bank_mask:0xf
	v_add_u32_e32 v1, v1, v85
	v_add_u32_e32 v2, v2, v86
	v_cndmask_b32_e64 v2, v2, v86, s[4:5]
	v_cndmask_b32_e64 v1, v1, v85, s[4:5]
	s_nop 0
	v_mov_b32_dpp v4, v2 row_shr:2 row_mask:0xf bank_mask:0xf
	v_mov_b32_dpp v3, v1 row_shr:2 row_mask:0xf bank_mask:0xf
	v_add_u32_e32 v3, v1, v3
	v_add_u32_e32 v4, v2, v4
	v_cndmask_b32_e64 v2, v2, v4, s[2:3]
	v_cndmask_b32_e64 v1, v1, v3, s[2:3]
	s_nop 0
	v_mov_b32_dpp v4, v2 row_shr:4 row_mask:0xf bank_mask:0xf
	v_mov_b32_dpp v3, v1 row_shr:4 row_mask:0xf bank_mask:0xf
	v_add_u32_e32 v3, v1, v3
	v_add_u32_e32 v4, v2, v4
	v_cndmask_b32_e64 v2, v2, v4, s[8:9]
	v_cndmask_b32_e64 v1, v1, v3, s[8:9]
	v_cmp_eq_u32_e64 s[8:9], 0, v83
	v_mov_b32_dpp v4, v2 row_shr:8 row_mask:0xf bank_mask:0xf
	v_mov_b32_dpp v3, v1 row_shr:8 row_mask:0xf bank_mask:0xf
	v_add_u32_e32 v3, v1, v3
	v_add_u32_e32 v4, v2, v4
	v_cndmask_b32_e64 v2, v2, v4, s[10:11]
	v_cndmask_b32_e64 v1, v1, v3, s[10:11]
	s_nop 0
	v_mov_b32_dpp v4, v2 row_bcast:15 row_mask:0xf bank_mask:0xf
	v_mov_b32_dpp v3, v1 row_bcast:15 row_mask:0xf bank_mask:0xf
	v_add_u32_e32 v3, v1, v3
	v_add_u32_e32 v4, v2, v4
	v_cndmask_b32_e64 v2, v4, v2, s[8:9]
	v_cndmask_b32_e64 v1, v3, v1, s[8:9]
	s_nop 0
	v_mov_b32_dpp v4, v2 row_bcast:31 row_mask:0xf bank_mask:0xf
	v_mov_b32_dpp v3, v1 row_bcast:31 row_mask:0xf bank_mask:0xf
	v_add_u32_e32 v4, v2, v4
	v_add_u32_e32 v5, v1, v3
	v_cndmask_b32_e32 v3, v2, v4, vcc
	v_cndmask_b32_e32 v2, v1, v5, vcc
	v_cmp_eq_u32_e32 vcc, v82, v0
	s_and_saveexec_b64 s[8:9], vcc
	s_cbranch_execz .LBB745_89
; %bb.88:
	v_lshlrev_b32_e32 v1, 3, v81
	ds_write_b64 v1, v[2:3]
.LBB745_89:
	s_or_b64 exec, exec, s[8:9]
	v_cmp_gt_u32_e32 vcc, 4, v0
	s_waitcnt lgkmcnt(0)
	s_barrier
	s_and_saveexec_b64 s[8:9], vcc
	s_cbranch_execz .LBB745_91
; %bb.90:
	v_lshlrev_b32_e32 v1, 3, v0
	ds_read_b64 v[4:5], v1
	v_and_b32_e32 v6, 3, v80
	v_cmp_eq_u32_e32 vcc, 0, v6
	s_waitcnt lgkmcnt(0)
	v_mov_b32_dpp v7, v4 row_shr:1 row_mask:0xf bank_mask:0xf
	v_mov_b32_dpp v20, v5 row_shr:1 row_mask:0xf bank_mask:0xf
	v_add_u32_e32 v7, v7, v4
	v_add_u32_e32 v20, v20, v5
	v_cndmask_b32_e32 v5, v20, v5, vcc
	v_cndmask_b32_e32 v4, v7, v4, vcc
	v_cmp_lt_u32_e32 vcc, 1, v6
	v_mov_b32_dpp v20, v5 row_shr:2 row_mask:0xf bank_mask:0xf
	v_mov_b32_dpp v7, v4 row_shr:2 row_mask:0xf bank_mask:0xf
	v_cndmask_b32_e32 v6, 0, v7, vcc
	v_cndmask_b32_e32 v7, 0, v20, vcc
	v_add_u32_e32 v5, v7, v5
	v_add_u32_e32 v4, v6, v4
	ds_write_b64 v1, v[4:5]
.LBB745_91:
	s_or_b64 exec, exec, s[8:9]
	v_cmp_gt_u32_e32 vcc, 64, v0
	v_cmp_lt_u32_e64 s[8:9], 63, v0
	s_waitcnt lgkmcnt(0)
	s_barrier
	s_waitcnt lgkmcnt(0)
                                        ; implicit-def: $vgpr21
	s_and_saveexec_b64 s[10:11], s[8:9]
	s_xor_b64 s[8:9], exec, s[10:11]
	s_cbranch_execz .LBB745_93
; %bb.92:
	v_lshl_add_u32 v1, v81, 3, -8
	ds_read_b64 v[20:21], v1
	s_waitcnt lgkmcnt(0)
	v_add_u32_e32 v3, v21, v3
	v_add_u32_e32 v2, v20, v2
.LBB745_93:
	s_andn2_saveexec_b64 s[8:9], s[8:9]
; %bb.94:
                                        ; implicit-def: $vgpr20
; %bb.95:
	s_or_b64 exec, exec, s[8:9]
	v_add_u32_e32 v1, -1, v80
	v_and_b32_e32 v4, 64, v80
	v_cmp_lt_i32_e64 s[8:9], v1, v4
	v_cndmask_b32_e64 v1, v1, v80, s[8:9]
	v_lshlrev_b32_e32 v4, 2, v1
	ds_bpermute_b32 v1, v4, v2
	ds_bpermute_b32 v87, v4, v3
	v_cmp_eq_u32_e64 s[8:9], 0, v80
	s_and_saveexec_b64 s[10:11], vcc
	s_cbranch_execz .LBB745_114
; %bb.96:
	v_mov_b32_e32 v7, 0
	ds_read_b64 v[22:23], v7 offset:24
	s_and_saveexec_b64 s[14:15], s[8:9]
	s_cbranch_execz .LBB745_98
; %bb.97:
	s_add_i32 s16, s6, 64
	s_mov_b32 s17, 0
	s_lshl_b64 s[16:17], s[16:17], 4
	s_waitcnt lgkmcnt(0)
	v_and_b32_e32 v2, 0xff000000, v23
	v_and_b32_e32 v3, 0xff0000, v23
	s_add_u32 s16, s12, s16
	v_or_b32_e32 v2, v3, v2
	v_and_b32_e32 v3, 0xff00, v23
	s_addc_u32 s17, s13, s17
	v_or_b32_e32 v2, v2, v3
	v_or_b32_sdwa v5, v2, v23 dst_sel:DWORD dst_unused:UNUSED_PAD src0_sel:DWORD src1_sel:BYTE_0
	v_mov_b32_e32 v6, 1
	v_mov_b32_e32 v4, v22
	v_pk_mov_b32 v[2:3], s[16:17], s[16:17] op_sel:[0,1]
	;;#ASMSTART
	global_store_dwordx4 v[2:3], v[4:7] off	
s_waitcnt vmcnt(0)
	;;#ASMEND
.LBB745_98:
	s_or_b64 exec, exec, s[14:15]
	v_xad_u32 v24, v80, -1, s6
	v_add_u32_e32 v6, 64, v24
	v_lshlrev_b64 v[2:3], 4, v[6:7]
	v_mov_b32_e32 v4, s13
	v_add_co_u32_e32 v26, vcc, s12, v2
	v_addc_co_u32_e32 v27, vcc, v4, v3, vcc
	;;#ASMSTART
	global_load_dwordx4 v[2:5], v[26:27] off glc	
s_waitcnt vmcnt(0)
	;;#ASMEND
	v_and_b32_e32 v5, 0xff, v3
	v_and_b32_e32 v6, 0xff00, v3
	v_or3_b32 v5, 0, v5, v6
	v_or3_b32 v2, v2, 0, 0
	v_and_b32_e32 v6, 0xff000000, v3
	v_and_b32_e32 v3, 0xff0000, v3
	v_or3_b32 v3, v5, v3, v6
	v_or3_b32 v2, v2, 0, 0
	v_cmp_eq_u16_sdwa s[16:17], v4, v7 src0_sel:BYTE_0 src1_sel:DWORD
	s_and_saveexec_b64 s[14:15], s[16:17]
	s_cbranch_execz .LBB745_102
; %bb.99:
	s_mov_b64 s[16:17], 0
	v_mov_b32_e32 v6, 0
.LBB745_100:                            ; =>This Inner Loop Header: Depth=1
	;;#ASMSTART
	global_load_dwordx4 v[2:5], v[26:27] off glc	
s_waitcnt vmcnt(0)
	;;#ASMEND
	v_cmp_ne_u16_sdwa s[20:21], v4, v6 src0_sel:BYTE_0 src1_sel:DWORD
	s_or_b64 s[16:17], s[20:21], s[16:17]
	s_andn2_b64 exec, exec, s[16:17]
	s_cbranch_execnz .LBB745_100
; %bb.101:
	s_or_b64 exec, exec, s[16:17]
.LBB745_102:
	s_or_b64 exec, exec, s[14:15]
	v_and_b32_e32 v89, 63, v80
	v_cmp_ne_u32_e32 vcc, 63, v89
	v_mov_b32_e32 v88, 2
	v_addc_co_u32_e32 v26, vcc, 0, v80, vcc
	v_cmp_eq_u16_sdwa s[14:15], v4, v88 src0_sel:BYTE_0 src1_sel:DWORD
	v_lshlrev_b64 v[6:7], v80, -1
	v_lshlrev_b32_e32 v90, 2, v26
	v_and_b32_e32 v5, s15, v7
	ds_bpermute_b32 v26, v90, v2
	ds_bpermute_b32 v27, v90, v3
	v_or_b32_e32 v5, 0x80000000, v5
	v_and_b32_e32 v25, s14, v6
	v_ffbl_b32_e32 v5, v5
	v_add_u32_e32 v5, 32, v5
	v_ffbl_b32_e32 v25, v25
	v_min_u32_e32 v5, v25, v5
	s_waitcnt lgkmcnt(1)
	v_add_u32_e32 v25, v26, v2
	s_waitcnt lgkmcnt(0)
	v_add_u32_e32 v26, v27, v3
	v_cmp_lt_u32_e32 vcc, v89, v5
	v_cndmask_b32_e32 v3, v3, v26, vcc
	v_cndmask_b32_e32 v2, v2, v25, vcc
	v_cmp_gt_u32_e32 vcc, 62, v89
	v_cndmask_b32_e64 v25, 0, 1, vcc
	v_lshlrev_b32_e32 v25, 1, v25
	v_add_lshl_u32 v91, v25, v80, 2
	ds_bpermute_b32 v25, v91, v2
	ds_bpermute_b32 v26, v91, v3
	v_add_u32_e32 v92, 2, v89
	v_cmp_gt_u32_e32 vcc, v92, v5
	v_add_u32_e32 v94, 4, v89
	s_waitcnt lgkmcnt(1)
	v_add_u32_e32 v25, v2, v25
	s_waitcnt lgkmcnt(0)
	v_add_u32_e32 v26, v3, v26
	v_cndmask_b32_e32 v3, v26, v3, vcc
	v_cndmask_b32_e32 v2, v25, v2, vcc
	v_cmp_gt_u32_e32 vcc, 60, v89
	v_cndmask_b32_e64 v25, 0, 1, vcc
	v_lshlrev_b32_e32 v25, 2, v25
	v_add_lshl_u32 v93, v25, v80, 2
	ds_bpermute_b32 v25, v93, v2
	ds_bpermute_b32 v26, v93, v3
	v_cmp_gt_u32_e32 vcc, v94, v5
	v_add_u32_e32 v96, 8, v89
	v_add_u32_e32 v98, 16, v89
	s_waitcnt lgkmcnt(1)
	v_add_u32_e32 v25, v2, v25
	s_waitcnt lgkmcnt(0)
	v_add_u32_e32 v26, v3, v26
	v_cndmask_b32_e32 v3, v26, v3, vcc
	v_cndmask_b32_e32 v2, v25, v2, vcc
	v_cmp_gt_u32_e32 vcc, 56, v89
	v_cndmask_b32_e64 v25, 0, 1, vcc
	v_lshlrev_b32_e32 v25, 3, v25
	v_add_lshl_u32 v95, v25, v80, 2
	ds_bpermute_b32 v25, v95, v2
	ds_bpermute_b32 v26, v95, v3
	v_cmp_gt_u32_e32 vcc, v96, v5
	v_add_u32_e32 v100, 32, v89
	s_waitcnt lgkmcnt(1)
	v_add_u32_e32 v25, v2, v25
	s_waitcnt lgkmcnt(0)
	v_add_u32_e32 v26, v3, v26
	v_cndmask_b32_e32 v3, v26, v3, vcc
	v_cndmask_b32_e32 v2, v25, v2, vcc
	v_cmp_gt_u32_e32 vcc, 48, v89
	v_cndmask_b32_e64 v25, 0, 1, vcc
	v_lshlrev_b32_e32 v25, 4, v25
	v_add_lshl_u32 v97, v25, v80, 2
	ds_bpermute_b32 v25, v97, v2
	ds_bpermute_b32 v26, v97, v3
	v_cmp_gt_u32_e32 vcc, v98, v5
	s_waitcnt lgkmcnt(1)
	v_add_u32_e32 v25, v2, v25
	s_waitcnt lgkmcnt(0)
	v_add_u32_e32 v26, v3, v26
	v_cndmask_b32_e32 v3, v26, v3, vcc
	v_cndmask_b32_e32 v2, v25, v2, vcc
	v_cmp_gt_u32_e32 vcc, 32, v89
	v_cndmask_b32_e64 v25, 0, 1, vcc
	v_lshlrev_b32_e32 v25, 5, v25
	v_add_lshl_u32 v99, v25, v80, 2
	ds_bpermute_b32 v25, v99, v2
	ds_bpermute_b32 v26, v99, v3
	v_cmp_le_u32_e32 vcc, v100, v5
	s_waitcnt lgkmcnt(1)
	v_cndmask_b32_e32 v5, 0, v25, vcc
	s_waitcnt lgkmcnt(0)
	v_cndmask_b32_e32 v25, 0, v26, vcc
	v_add_u32_e32 v3, v3, v25
	v_add_u32_e32 v2, v2, v5
	v_mov_b32_e32 v25, 0
	s_branch .LBB745_104
.LBB745_103:                            ;   in Loop: Header=BB745_104 Depth=1
	s_or_b64 exec, exec, s[14:15]
	v_cmp_eq_u16_sdwa s[14:15], v4, v88 src0_sel:BYTE_0 src1_sel:DWORD
	v_and_b32_e32 v5, s15, v7
	ds_bpermute_b32 v29, v90, v2
	ds_bpermute_b32 v101, v90, v3
	v_or_b32_e32 v5, 0x80000000, v5
	v_and_b32_e32 v28, s14, v6
	v_ffbl_b32_e32 v5, v5
	v_add_u32_e32 v5, 32, v5
	v_ffbl_b32_e32 v28, v28
	v_min_u32_e32 v5, v28, v5
	s_waitcnt lgkmcnt(1)
	v_add_u32_e32 v28, v29, v2
	s_waitcnt lgkmcnt(0)
	v_add_u32_e32 v29, v101, v3
	v_cmp_lt_u32_e32 vcc, v89, v5
	v_cndmask_b32_e32 v3, v3, v29, vcc
	v_cndmask_b32_e32 v2, v2, v28, vcc
	ds_bpermute_b32 v28, v91, v2
	ds_bpermute_b32 v29, v91, v3
	v_cmp_gt_u32_e32 vcc, v92, v5
	v_subrev_u32_e32 v24, 64, v24
	s_waitcnt lgkmcnt(1)
	v_add_u32_e32 v28, v2, v28
	s_waitcnt lgkmcnt(0)
	v_add_u32_e32 v29, v3, v29
	v_cndmask_b32_e32 v3, v29, v3, vcc
	v_cndmask_b32_e32 v2, v28, v2, vcc
	ds_bpermute_b32 v28, v93, v2
	ds_bpermute_b32 v29, v93, v3
	v_cmp_gt_u32_e32 vcc, v94, v5
	s_waitcnt lgkmcnt(1)
	v_add_u32_e32 v28, v2, v28
	s_waitcnt lgkmcnt(0)
	v_add_u32_e32 v29, v3, v29
	v_cndmask_b32_e32 v3, v29, v3, vcc
	v_cndmask_b32_e32 v2, v28, v2, vcc
	ds_bpermute_b32 v28, v95, v2
	ds_bpermute_b32 v29, v95, v3
	v_cmp_gt_u32_e32 vcc, v96, v5
	;; [unrolled: 9-line block ×3, first 2 shown]
	s_waitcnt lgkmcnt(1)
	v_add_u32_e32 v28, v2, v28
	s_waitcnt lgkmcnt(0)
	v_add_u32_e32 v29, v3, v29
	v_cndmask_b32_e32 v3, v29, v3, vcc
	v_cndmask_b32_e32 v2, v28, v2, vcc
	ds_bpermute_b32 v28, v99, v2
	ds_bpermute_b32 v29, v99, v3
	v_cmp_le_u32_e32 vcc, v100, v5
	s_waitcnt lgkmcnt(1)
	v_cndmask_b32_e32 v5, 0, v28, vcc
	s_waitcnt lgkmcnt(0)
	v_cndmask_b32_e32 v28, 0, v29, vcc
	v_add3_u32 v3, v28, v27, v3
	v_add3_u32 v2, v5, v26, v2
.LBB745_104:                            ; =>This Loop Header: Depth=1
                                        ;     Child Loop BB745_107 Depth 2
	v_cmp_ne_u16_sdwa s[14:15], v4, v88 src0_sel:BYTE_0 src1_sel:DWORD
	v_cndmask_b32_e64 v4, 0, 1, s[14:15]
	;;#ASMSTART
	;;#ASMEND
	v_cmp_ne_u32_e32 vcc, 0, v4
	s_cmp_lg_u64 vcc, exec
	v_pk_mov_b32 v[26:27], v[2:3], v[2:3] op_sel:[0,1]
	s_cbranch_scc1 .LBB745_109
; %bb.105:                              ;   in Loop: Header=BB745_104 Depth=1
	v_lshlrev_b64 v[2:3], 4, v[24:25]
	v_mov_b32_e32 v4, s13
	v_add_co_u32_e32 v28, vcc, s12, v2
	v_addc_co_u32_e32 v29, vcc, v4, v3, vcc
	;;#ASMSTART
	global_load_dwordx4 v[2:5], v[28:29] off glc	
s_waitcnt vmcnt(0)
	;;#ASMEND
	v_and_b32_e32 v5, 0xff, v3
	v_and_b32_e32 v101, 0xff00, v3
	v_or3_b32 v5, 0, v5, v101
	v_or3_b32 v2, v2, 0, 0
	v_and_b32_e32 v101, 0xff000000, v3
	v_and_b32_e32 v3, 0xff0000, v3
	v_or3_b32 v3, v5, v3, v101
	v_or3_b32 v2, v2, 0, 0
	v_cmp_eq_u16_sdwa s[16:17], v4, v25 src0_sel:BYTE_0 src1_sel:DWORD
	s_and_saveexec_b64 s[14:15], s[16:17]
	s_cbranch_execz .LBB745_103
; %bb.106:                              ;   in Loop: Header=BB745_104 Depth=1
	s_mov_b64 s[16:17], 0
.LBB745_107:                            ;   Parent Loop BB745_104 Depth=1
                                        ; =>  This Inner Loop Header: Depth=2
	;;#ASMSTART
	global_load_dwordx4 v[2:5], v[28:29] off glc	
s_waitcnt vmcnt(0)
	;;#ASMEND
	v_cmp_ne_u16_sdwa s[20:21], v4, v25 src0_sel:BYTE_0 src1_sel:DWORD
	s_or_b64 s[16:17], s[20:21], s[16:17]
	s_andn2_b64 exec, exec, s[16:17]
	s_cbranch_execnz .LBB745_107
; %bb.108:                              ;   in Loop: Header=BB745_104 Depth=1
	s_or_b64 exec, exec, s[16:17]
	s_branch .LBB745_103
.LBB745_109:                            ;   in Loop: Header=BB745_104 Depth=1
                                        ; implicit-def: $vgpr4
                                        ; implicit-def: $vgpr2_vgpr3
	s_cbranch_execz .LBB745_104
; %bb.110:
	s_and_saveexec_b64 s[14:15], s[8:9]
	s_cbranch_execz .LBB745_112
; %bb.111:
	s_add_i32 s6, s6, 64
	s_mov_b32 s7, 0
	v_add_u32_e32 v3, v27, v23
	s_lshl_b64 s[6:7], s[6:7], 4
	s_add_u32 s6, s12, s6
	v_and_b32_e32 v4, 0xff000000, v3
	v_and_b32_e32 v6, 0xff0000, v3
	s_addc_u32 s7, s13, s7
	v_or_b32_e32 v4, v6, v4
	v_and_b32_e32 v6, 0xff00, v3
	v_and_b32_e32 v3, 0xff, v3
	v_add_u32_e32 v2, v26, v22
	v_mov_b32_e32 v5, 0
	v_or3_b32 v3, v4, v6, v3
	v_mov_b32_e32 v4, 2
	v_pk_mov_b32 v[6:7], s[6:7], s[6:7] op_sel:[0,1]
	;;#ASMSTART
	global_store_dwordx4 v[6:7], v[2:5] off	
s_waitcnt vmcnt(0)
	;;#ASMEND
	s_movk_i32 s6, 0x3400
	v_add_u32_e64 v2, s6, 0
	ds_write2_b32 v2, v22, v23 offset1:2
	ds_write2_b32 v2, v26, v27 offset0:4 offset1:6
.LBB745_112:
	s_or_b64 exec, exec, s[14:15]
	v_cmp_eq_u32_e32 vcc, 0, v0
	s_and_b64 exec, exec, vcc
	s_cbranch_execz .LBB745_114
; %bb.113:
	v_mov_b32_e32 v2, 0
	ds_write_b64 v2, v[26:27] offset:24
.LBB745_114:
	s_or_b64 exec, exec, s[10:11]
	v_mov_b32_e32 v2, 0
	s_waitcnt lgkmcnt(0)
	s_barrier
	ds_read_b64 v[6:7], v2 offset:24
	s_movk_i32 s6, 0x3400
	v_cndmask_b32_e64 v2, v87, v21, s[8:9]
	v_cndmask_b32_e64 v1, v1, v20, s[8:9]
	v_add_u32_e64 v4, s6, 0
	s_waitcnt lgkmcnt(0)
	v_add_u32_e32 v20, v6, v1
	v_add_u32_e32 v1, v7, v2
	s_barrier
	ds_read2_b32 v[2:3], v4 offset1:2
	ds_read2_b32 v[4:5], v4 offset0:4 offset1:6
	v_cmp_eq_u32_e32 vcc, 0, v0
	v_cndmask_b32_e32 v1, v1, v7, vcc
	v_cndmask_b32_e32 v20, v20, v6, vcc
	s_branch .LBB745_125
.LBB745_115:
                                        ; implicit-def: $vgpr1
                                        ; implicit-def: $vgpr4
                                        ; implicit-def: $vgpr2
                                        ; implicit-def: $vgpr20_vgpr21
	s_cbranch_execz .LBB745_125
; %bb.116:
	s_nop 0
	v_mov_b32_dpp v1, v85 row_shr:1 row_mask:0xf bank_mask:0xf
	s_waitcnt lgkmcnt(0)
	v_mov_b32_dpp v2, v86 row_shr:1 row_mask:0xf bank_mask:0xf
	v_add_u32_e32 v1, v1, v85
	v_add_u32_e32 v2, v2, v86
	v_cndmask_b32_e64 v2, v2, v86, s[4:5]
	v_cndmask_b32_e64 v1, v1, v85, s[4:5]
	v_cmp_lt_u32_e32 vcc, 3, v84
	v_mov_b32_dpp v4, v2 row_shr:2 row_mask:0xf bank_mask:0xf
	v_mov_b32_dpp v3, v1 row_shr:2 row_mask:0xf bank_mask:0xf
	v_add_u32_e32 v3, v1, v3
	v_add_u32_e32 v4, v2, v4
	v_cndmask_b32_e64 v2, v2, v4, s[2:3]
	v_cndmask_b32_e64 v1, v1, v3, s[2:3]
	s_nop 0
	v_mov_b32_dpp v4, v2 row_shr:4 row_mask:0xf bank_mask:0xf
	v_mov_b32_dpp v3, v1 row_shr:4 row_mask:0xf bank_mask:0xf
	v_add_u32_e32 v3, v1, v3
	v_add_u32_e32 v4, v2, v4
	v_cndmask_b32_e32 v2, v2, v4, vcc
	v_cndmask_b32_e32 v1, v1, v3, vcc
	v_cmp_lt_u32_e32 vcc, 7, v84
	v_mov_b32_dpp v4, v2 row_shr:8 row_mask:0xf bank_mask:0xf
	v_mov_b32_dpp v3, v1 row_shr:8 row_mask:0xf bank_mask:0xf
	v_add_u32_e32 v3, v1, v3
	v_add_u32_e32 v4, v2, v4
	v_cndmask_b32_e32 v2, v2, v4, vcc
	v_cndmask_b32_e32 v1, v1, v3, vcc
	v_cmp_eq_u32_e32 vcc, 0, v83
	v_mov_b32_dpp v4, v2 row_bcast:15 row_mask:0xf bank_mask:0xf
	v_mov_b32_dpp v3, v1 row_bcast:15 row_mask:0xf bank_mask:0xf
	v_add_u32_e32 v3, v1, v3
	v_add_u32_e32 v4, v2, v4
	v_cndmask_b32_e32 v2, v4, v2, vcc
	v_cndmask_b32_e32 v1, v3, v1, vcc
	v_cmp_lt_u32_e32 vcc, 31, v80
	v_mov_b32_dpp v4, v2 row_bcast:31 row_mask:0xf bank_mask:0xf
	v_mov_b32_dpp v3, v1 row_bcast:31 row_mask:0xf bank_mask:0xf
	v_add_u32_e32 v4, v2, v4
	v_add_u32_e32 v5, v1, v3
	v_cndmask_b32_e32 v3, v2, v4, vcc
	v_cndmask_b32_e32 v2, v1, v5, vcc
	v_cmp_eq_u32_e32 vcc, v82, v0
	s_and_saveexec_b64 s[2:3], vcc
	s_cbranch_execz .LBB745_118
; %bb.117:
	v_lshlrev_b32_e32 v1, 3, v81
	ds_write_b64 v1, v[2:3]
.LBB745_118:
	s_or_b64 exec, exec, s[2:3]
	v_cmp_gt_u32_e32 vcc, 4, v0
	s_waitcnt lgkmcnt(0)
	s_barrier
	s_and_saveexec_b64 s[2:3], vcc
	s_cbranch_execz .LBB745_120
; %bb.119:
	v_lshlrev_b32_e32 v1, 3, v0
	ds_read_b64 v[4:5], v1
	v_and_b32_e32 v6, 3, v80
	v_cmp_eq_u32_e32 vcc, 0, v6
	s_waitcnt lgkmcnt(0)
	v_mov_b32_dpp v7, v4 row_shr:1 row_mask:0xf bank_mask:0xf
	v_mov_b32_dpp v20, v5 row_shr:1 row_mask:0xf bank_mask:0xf
	v_add_u32_e32 v7, v7, v4
	v_add_u32_e32 v20, v20, v5
	v_cndmask_b32_e32 v5, v20, v5, vcc
	v_cndmask_b32_e32 v4, v7, v4, vcc
	v_cmp_lt_u32_e32 vcc, 1, v6
	v_mov_b32_dpp v20, v5 row_shr:2 row_mask:0xf bank_mask:0xf
	v_mov_b32_dpp v7, v4 row_shr:2 row_mask:0xf bank_mask:0xf
	v_cndmask_b32_e32 v6, 0, v7, vcc
	v_cndmask_b32_e32 v7, 0, v20, vcc
	v_add_u32_e32 v5, v7, v5
	v_add_u32_e32 v4, v6, v4
	ds_write_b64 v1, v[4:5]
.LBB745_120:
	s_or_b64 exec, exec, s[2:3]
	v_cmp_lt_u32_e32 vcc, 63, v0
	v_mov_b32_e32 v4, 0
	v_mov_b32_e32 v6, 0
	;; [unrolled: 1-line block ×3, first 2 shown]
	s_waitcnt lgkmcnt(0)
	s_barrier
	s_and_saveexec_b64 s[2:3], vcc
	s_cbranch_execz .LBB745_122
; %bb.121:
	v_lshl_add_u32 v1, v81, 3, -8
	ds_read_b64 v[6:7], v1
.LBB745_122:
	s_or_b64 exec, exec, s[2:3]
	s_waitcnt lgkmcnt(0)
	v_add_u32_e32 v5, v7, v3
	v_add_u32_e32 v1, v6, v2
	v_add_u32_e32 v2, -1, v80
	v_and_b32_e32 v3, 64, v80
	v_cmp_lt_i32_e32 vcc, v2, v3
	v_cndmask_b32_e32 v2, v2, v80, vcc
	v_lshlrev_b32_e32 v20, 2, v2
	ds_read_b64 v[2:3], v4 offset:24
	ds_bpermute_b32 v1, v20, v1
	ds_bpermute_b32 v20, v20, v5
	v_cmp_eq_u32_e32 vcc, 0, v0
	s_waitcnt lgkmcnt(2)
	v_readfirstlane_b32 s4, v3
	s_and_saveexec_b64 s[2:3], vcc
	s_cbranch_execz .LBB745_124
; %bb.123:
	s_add_u32 s6, s12, 0x400
	s_mov_b32 s8, 0
	s_addc_u32 s7, s13, 0
	s_and_b32 s9, s4, 0xff000000
	s_and_b32 s11, s4, 0xff0000
	s_mov_b32 s10, s8
	s_or_b64 s[10:11], s[10:11], s[8:9]
	s_and_b32 s9, s4, 0xff00
	s_or_b64 s[10:11], s[10:11], s[8:9]
	s_and_b32 s9, s4, 0xff
	s_or_b64 s[8:9], s[10:11], s[8:9]
	v_mov_b32_e32 v3, s9
	v_mov_b32_e32 v4, 2
	;; [unrolled: 1-line block ×3, first 2 shown]
	v_pk_mov_b32 v[22:23], s[6:7], s[6:7] op_sel:[0,1]
	;;#ASMSTART
	global_store_dwordx4 v[22:23], v[2:5] off	
s_waitcnt vmcnt(0)
	;;#ASMEND
.LBB745_124:
	s_or_b64 exec, exec, s[2:3]
	v_cmp_eq_u32_e64 s[2:3], 0, v80
	s_waitcnt lgkmcnt(1)
	v_cndmask_b32_e64 v3, v1, v6, s[2:3]
	s_waitcnt lgkmcnt(0)
	v_cndmask_b32_e64 v1, v20, v7, s[2:3]
	v_mov_b32_e32 v4, 0
	v_cndmask_b32_e64 v1, v1, 0, vcc
	v_cndmask_b32_e64 v20, v3, 0, vcc
	s_barrier
	v_mov_b32_e32 v3, s4
	v_mov_b32_e32 v5, 0
.LBB745_125:
	v_add_u32_e32 v24, v1, v63
	v_add_u32_e32 v25, v24, v74
	;; [unrolled: 1-line block ×14, first 2 shown]
	v_mov_b32_e32 v7, s49
	s_waitcnt lgkmcnt(0)
	v_add_co_u32_e32 v6, vcc, s48, v4
	v_add_u32_e32 v64, v58, v68
	v_add_u32_e32 v68, v66, v71
	v_addc_co_u32_e32 v7, vcc, 0, v7, vcc
	v_add_u32_e32 v69, v68, v78
	v_mov_b32_e32 v22, s51
	v_sub_co_u32_e32 v23, vcc, s50, v2
	v_add_u32_e32 v71, v69, v73
	v_subbrev_co_u32_e32 v73, vcc, 0, v22, vcc
	v_add_co_u32_e32 v22, vcc, v23, v5
	v_addc_co_u32_e32 v23, vcc, 0, v73, vcc
	v_lshlrev_b32_e32 v73, 1, v2
	v_sub_u32_e32 v1, v1, v5
	v_add_u32_e32 v74, v73, v3
	v_sub_u32_e32 v20, v20, v4
	v_add_u32_e32 v1, v1, v2
	v_add_u32_e32 v31, v74, v31
	v_and_b32_e32 v33, 1, v33
	v_add_u32_e32 v74, v20, v1
	v_and_b32_e32 v32, 1, v32
	v_sub_u32_e32 v74, v31, v74
	v_cmp_eq_u32_e32 vcc, 1, v33
	v_cndmask_b32_e32 v1, v74, v1, vcc
	v_cmp_eq_u32_e32 vcc, 1, v32
	v_cndmask_b32_e32 v1, v1, v20, vcc
	v_lshlrev_b32_e32 v1, 2, v1
	v_sub_u32_e32 v20, v24, v5
	ds_write_b32 v1, v18
	v_sub_u32_e32 v1, v21, v4
	v_add_u32_e32 v20, v20, v2
	v_add_u32_e32 v24, v20, v1
	v_and_b32_e32 v21, 1, v35
	v_sub_u32_e32 v24, v31, v24
	v_and_b32_e32 v18, 1, v34
	v_add_u32_e32 v24, 1, v24
	v_cmp_eq_u32_e32 vcc, 1, v21
	v_cndmask_b32_e32 v20, v24, v20, vcc
	v_cmp_eq_u32_e32 vcc, 1, v18
	v_cndmask_b32_e32 v1, v20, v1, vcc
	v_lshlrev_b32_e32 v1, 2, v1
	ds_write_b32 v1, v19
	v_sub_u32_e32 v19, v25, v5
	v_sub_u32_e32 v1, v26, v4
	v_add_u32_e32 v19, v19, v2
	v_add_u32_e32 v21, v19, v1
	v_and_b32_e32 v20, 1, v37
	v_sub_u32_e32 v21, v31, v21
	v_and_b32_e32 v18, 1, v36
	v_add_u32_e32 v21, 2, v21
	v_cmp_eq_u32_e32 vcc, 1, v20
	v_cndmask_b32_e32 v19, v21, v19, vcc
	v_cmp_eq_u32_e32 vcc, 1, v18
	v_cndmask_b32_e32 v1, v19, v1, vcc
	v_lshlrev_b32_e32 v1, 2, v1
	v_sub_u32_e32 v18, v28, v5
	ds_write_b32 v1, v16
	v_sub_u32_e32 v1, v27, v4
	v_add_u32_e32 v18, v18, v2
	v_add_u32_e32 v20, v1, v18
	v_and_b32_e32 v19, 1, v38
	v_sub_u32_e32 v20, v31, v20
	v_and_b32_e32 v16, 1, v39
	v_add_u32_e32 v20, 3, v20
	v_cmp_eq_u32_e32 vcc, 1, v19
	v_cndmask_b32_e32 v18, v20, v18, vcc
	v_cmp_eq_u32_e32 vcc, 1, v16
	v_cndmask_b32_e32 v1, v18, v1, vcc
	v_lshlrev_b32_e32 v1, 2, v1
	ds_write_b32 v1, v17
	v_sub_u32_e32 v17, v29, v5
	v_sub_u32_e32 v1, v56, v4
	v_add_u32_e32 v17, v17, v2
	v_add_u32_e32 v19, v1, v17
	v_and_b32_e32 v18, 1, v40
	v_sub_u32_e32 v19, v31, v19
	v_and_b32_e32 v16, 1, v41
	v_add_u32_e32 v19, 4, v19
	;; [unrolled: 28-line block ×3, first 2 shown]
	v_cmp_eq_u32_e32 vcc, 1, v16
	v_cndmask_b32_e32 v15, v17, v15, vcc
	v_cmp_eq_u32_e32 vcc, 1, v14
	v_cndmask_b32_e32 v1, v15, v1, vcc
	v_lshlrev_b32_e32 v1, 2, v1
	v_sub_u32_e32 v14, v65, v5
	ds_write_b32 v1, v12
	v_sub_u32_e32 v1, v64, v4
	v_add_u32_e32 v14, v14, v2
	v_add_u32_e32 v16, v1, v14
	v_and_b32_e32 v15, 1, v46
	v_sub_u32_e32 v16, v31, v16
	v_and_b32_e32 v12, 1, v47
	v_add_u32_e32 v16, 7, v16
	v_cmp_eq_u32_e32 vcc, 1, v15
	v_cndmask_b32_e32 v14, v16, v14, vcc
	v_cmp_eq_u32_e32 vcc, 1, v12
	v_cndmask_b32_e32 v1, v14, v1, vcc
	v_lshlrev_b32_e32 v1, 2, v1
	v_add_u32_e32 v59, v64, v59
	ds_write_b32 v1, v13
	v_sub_u32_e32 v13, v66, v5
	v_sub_u32_e32 v1, v59, v4
	v_add_u32_e32 v13, v13, v2
	v_add_u32_e32 v15, v1, v13
	v_and_b32_e32 v14, 1, v48
	v_sub_u32_e32 v15, v31, v15
	v_and_b32_e32 v12, 1, v49
	v_add_u32_e32 v15, 8, v15
	v_cmp_eq_u32_e32 vcc, 1, v14
	v_cndmask_b32_e32 v13, v15, v13, vcc
	v_cmp_eq_u32_e32 vcc, 1, v12
	v_cndmask_b32_e32 v1, v13, v1, vcc
	v_add_u32_e32 v67, v59, v70
	v_lshlrev_b32_e32 v1, 2, v1
	v_sub_u32_e32 v12, v68, v5
	ds_write_b32 v1, v10
	v_sub_u32_e32 v1, v67, v4
	v_add_u32_e32 v12, v12, v2
	v_add_u32_e32 v14, v1, v12
	v_and_b32_e32 v13, 1, v50
	v_sub_u32_e32 v14, v31, v14
	v_and_b32_e32 v10, 1, v51
	v_add_u32_e32 v14, 9, v14
	v_cmp_eq_u32_e32 vcc, 1, v13
	v_cndmask_b32_e32 v12, v14, v12, vcc
	v_cmp_eq_u32_e32 vcc, 1, v10
	v_cndmask_b32_e32 v1, v12, v1, vcc
	v_lshlrev_b32_e32 v1, 2, v1
	v_add_u32_e32 v60, v67, v60
	ds_write_b32 v1, v11
	v_sub_u32_e32 v11, v69, v5
	v_sub_u32_e32 v1, v60, v4
	v_add_u32_e32 v11, v11, v2
	v_add_u32_e32 v13, v1, v11
	v_and_b32_e32 v12, 1, v52
	v_sub_u32_e32 v13, v31, v13
	v_and_b32_e32 v10, 1, v53
	v_add_u32_e32 v13, 10, v13
	v_cmp_eq_u32_e32 vcc, 1, v12
	v_cndmask_b32_e32 v11, v13, v11, vcc
	v_cmp_eq_u32_e32 vcc, 1, v10
	v_cndmask_b32_e32 v1, v11, v1, vcc
	v_add_u32_e32 v70, v60, v72
	v_lshlrev_b32_e32 v1, 2, v1
	v_sub_u32_e32 v10, v71, v5
	ds_write_b32 v1, v8
	v_sub_u32_e32 v1, v70, v4
	v_add_u32_e32 v10, v10, v2
	v_add_u32_e32 v12, v1, v10
	v_and_b32_e32 v11, 1, v54
	v_sub_u32_e32 v12, v31, v12
	v_and_b32_e32 v8, 1, v55
	v_add_u32_e32 v12, 11, v12
	v_cmp_eq_u32_e32 vcc, 1, v11
	v_cndmask_b32_e32 v10, v12, v10, vcc
	v_cmp_eq_u32_e32 vcc, 1, v8
	v_cndmask_b32_e32 v1, v10, v1, vcc
	v_add_u32_e32 v72, v71, v79
	v_add_u32_e32 v61, v70, v61
	v_lshlrev_b32_e32 v1, 2, v1
	ds_write_b32 v1, v9
	v_sub_u32_e32 v1, v61, v4
	v_sub_u32_e32 v4, v72, v5
	v_add_u32_e32 v4, v4, v2
	v_add_u32_e32 v8, v1, v4
	v_sub_u32_e32 v8, v31, v8
	v_add_u32_e32 v8, 12, v8
	v_cndmask_b32_e64 v4, v8, v4, s[58:59]
	v_cndmask_b32_e64 v1, v4, v1, s[46:47]
	v_lshlrev_b32_e32 v1, 2, v1
	ds_write_b32 v1, v30
	v_add_co_u32_e32 v1, vcc, v3, v73
	v_addc_co_u32_e64 v4, s[2:3], 0, 0, vcc
	v_add_co_u32_e32 v1, vcc, v1, v22
	v_addc_co_u32_e32 v4, vcc, v4, v23, vcc
	s_add_u32 s4, s56, s33
	v_add_co_u32_e32 v1, vcc, v1, v6
	s_addc_u32 s5, s57, 0
	v_addc_co_u32_e32 v4, vcc, v4, v7, vcc
	v_mov_b32_e32 v8, s5
	v_sub_co_u32_e32 v1, vcc, s4, v1
	v_subb_co_u32_e32 v4, vcc, v8, v4, vcc
	v_lshlrev_b64 v[8:9], 2, v[22:23]
	v_mov_b32_e32 v10, s55
	v_add_co_u32_e32 v8, vcc, s54, v8
	v_addc_co_u32_e32 v9, vcc, v10, v9, vcc
	v_lshlrev_b64 v[10:11], 2, v[6:7]
	v_mov_b32_e32 v13, s53
	v_add_co_u32_e32 v10, vcc, s52, v10
	s_add_u32 s6, s34, -4
	v_addc_co_u32_e32 v11, vcc, v13, v11, vcc
	s_addc_u32 s7, s35, -1
	v_add_u32_e32 v12, v2, v3
	s_and_b64 vcc, exec, s[0:1]
	s_mov_b64 s[0:1], -1
	s_waitcnt lgkmcnt(0)
	s_barrier
	s_cbranch_vccz .LBB745_129
; %bb.126:
	s_and_b64 vcc, exec, s[0:1]
	s_cbranch_vccnz .LBB745_234
.LBB745_127:
	v_cmp_eq_u32_e32 vcc, 0, v0
	s_and_b64 s[0:1], vcc, s[30:31]
	s_and_saveexec_b64 s[2:3], s[0:1]
	s_cbranch_execnz .LBB745_352
.LBB745_128:
	s_endpgm
.LBB745_129:
	v_cmp_le_u32_e32 vcc, v2, v0
	s_and_saveexec_b64 s[0:1], vcc
	s_xor_b64 s[0:1], exec, s[0:1]
	s_cbranch_execz .LBB745_135
; %bb.130:
	v_cmp_le_u32_e32 vcc, v12, v0
	s_and_saveexec_b64 s[2:3], vcc
	s_xor_b64 s[2:3], exec, s[2:3]
	s_cbranch_execz .LBB745_132
; %bb.131:
	v_lshlrev_b32_e32 v13, 2, v0
	v_add_co_u32_e32 v14, vcc, v1, v0
	ds_read_b32 v13, v13
	v_addc_co_u32_e32 v15, vcc, 0, v4, vcc
	v_lshlrev_b64 v[14:15], 2, v[14:15]
	v_mov_b32_e32 v16, s35
	v_sub_co_u32_e32 v14, vcc, s34, v14
	v_subb_co_u32_e32 v15, vcc, v16, v15, vcc
	s_waitcnt lgkmcnt(0)
	global_store_dword v[14:15], v13, off offset:-4
.LBB745_132:
	s_andn2_saveexec_b64 s[2:3], s[2:3]
	s_cbranch_execz .LBB745_134
; %bb.133:
	v_lshlrev_b32_e32 v13, 2, v0
	ds_read_b32 v14, v13
	v_readfirstlane_b32 s4, v8
	v_readfirstlane_b32 s5, v9
	s_waitcnt lgkmcnt(0)
	s_nop 3
	global_store_dword v13, v14, s[4:5]
.LBB745_134:
	s_or_b64 exec, exec, s[2:3]
.LBB745_135:
	s_andn2_saveexec_b64 s[0:1], s[0:1]
	s_cbranch_execz .LBB745_137
; %bb.136:
	v_lshlrev_b32_e32 v13, 2, v0
	ds_read_b32 v14, v13
	v_readfirstlane_b32 s2, v10
	v_readfirstlane_b32 s3, v11
	s_waitcnt lgkmcnt(0)
	s_nop 3
	global_store_dword v13, v14, s[2:3]
.LBB745_137:
	s_or_b64 exec, exec, s[0:1]
	v_or_b32_e32 v13, 0x100, v0
	v_cmp_le_u32_e32 vcc, v2, v13
	s_and_saveexec_b64 s[0:1], vcc
	s_xor_b64 s[0:1], exec, s[0:1]
	s_cbranch_execz .LBB745_143
; %bb.138:
	v_cmp_le_u32_e32 vcc, v12, v13
	s_and_saveexec_b64 s[2:3], vcc
	s_xor_b64 s[2:3], exec, s[2:3]
	s_cbranch_execz .LBB745_140
; %bb.139:
	v_lshlrev_b32_e32 v13, 2, v0
	ds_read_b32 v13, v13 offset:1024
	v_add_co_u32_e32 v14, vcc, v1, v0
	v_addc_co_u32_e32 v15, vcc, 0, v4, vcc
	v_lshlrev_b64 v[14:15], 2, v[14:15]
	v_mov_b32_e32 v16, s7
	v_sub_co_u32_e32 v14, vcc, s6, v14
	v_subb_co_u32_e32 v15, vcc, v16, v15, vcc
	s_waitcnt lgkmcnt(0)
	global_store_dword v[14:15], v13, off offset:-1024
.LBB745_140:
	s_andn2_saveexec_b64 s[2:3], s[2:3]
	s_cbranch_execz .LBB745_142
; %bb.141:
	v_lshlrev_b32_e32 v13, 2, v0
	ds_read_b32 v14, v13 offset:1024
	v_readfirstlane_b32 s4, v8
	v_readfirstlane_b32 s5, v9
	s_waitcnt lgkmcnt(0)
	s_nop 3
	global_store_dword v13, v14, s[4:5] offset:1024
.LBB745_142:
	s_or_b64 exec, exec, s[2:3]
.LBB745_143:
	s_andn2_saveexec_b64 s[0:1], s[0:1]
	s_cbranch_execz .LBB745_145
; %bb.144:
	v_lshlrev_b32_e32 v13, 2, v0
	ds_read_b32 v14, v13 offset:1024
	v_readfirstlane_b32 s2, v10
	v_readfirstlane_b32 s3, v11
	s_waitcnt lgkmcnt(0)
	s_nop 3
	global_store_dword v13, v14, s[2:3] offset:1024
.LBB745_145:
	s_or_b64 exec, exec, s[0:1]
	v_or_b32_e32 v13, 0x200, v0
	v_cmp_le_u32_e32 vcc, v2, v13
	s_and_saveexec_b64 s[0:1], vcc
	s_xor_b64 s[0:1], exec, s[0:1]
	s_cbranch_execz .LBB745_151
; %bb.146:
	v_cmp_le_u32_e32 vcc, v12, v13
	s_and_saveexec_b64 s[2:3], vcc
	s_xor_b64 s[2:3], exec, s[2:3]
	s_cbranch_execz .LBB745_148
; %bb.147:
	v_lshlrev_b32_e32 v13, 2, v0
	ds_read_b32 v13, v13 offset:2048
	v_add_co_u32_e32 v14, vcc, v1, v0
	v_addc_co_u32_e32 v15, vcc, 0, v4, vcc
	v_lshlrev_b64 v[14:15], 2, v[14:15]
	v_mov_b32_e32 v16, s7
	v_sub_co_u32_e32 v14, vcc, s6, v14
	v_subb_co_u32_e32 v15, vcc, v16, v15, vcc
	s_waitcnt lgkmcnt(0)
	global_store_dword v[14:15], v13, off offset:-2048
.LBB745_148:
	s_andn2_saveexec_b64 s[2:3], s[2:3]
	s_cbranch_execz .LBB745_150
; %bb.149:
	v_lshlrev_b32_e32 v13, 2, v0
	ds_read_b32 v14, v13 offset:2048
	v_readfirstlane_b32 s4, v8
	v_readfirstlane_b32 s5, v9
	s_waitcnt lgkmcnt(0)
	s_nop 3
	global_store_dword v13, v14, s[4:5] offset:2048
.LBB745_150:
	s_or_b64 exec, exec, s[2:3]
.LBB745_151:
	s_andn2_saveexec_b64 s[0:1], s[0:1]
	s_cbranch_execz .LBB745_153
; %bb.152:
	v_lshlrev_b32_e32 v13, 2, v0
	ds_read_b32 v14, v13 offset:2048
	v_readfirstlane_b32 s2, v10
	v_readfirstlane_b32 s3, v11
	s_waitcnt lgkmcnt(0)
	s_nop 3
	global_store_dword v13, v14, s[2:3] offset:2048
.LBB745_153:
	s_or_b64 exec, exec, s[0:1]
	v_or_b32_e32 v13, 0x300, v0
	v_cmp_le_u32_e32 vcc, v2, v13
	s_and_saveexec_b64 s[0:1], vcc
	s_xor_b64 s[0:1], exec, s[0:1]
	s_cbranch_execz .LBB745_159
; %bb.154:
	v_cmp_le_u32_e32 vcc, v12, v13
	s_and_saveexec_b64 s[2:3], vcc
	s_xor_b64 s[2:3], exec, s[2:3]
	s_cbranch_execz .LBB745_156
; %bb.155:
	v_lshlrev_b32_e32 v13, 2, v0
	ds_read_b32 v13, v13 offset:3072
	v_add_co_u32_e32 v14, vcc, v1, v0
	v_addc_co_u32_e32 v15, vcc, 0, v4, vcc
	v_lshlrev_b64 v[14:15], 2, v[14:15]
	v_mov_b32_e32 v16, s7
	v_sub_co_u32_e32 v14, vcc, s6, v14
	v_subb_co_u32_e32 v15, vcc, v16, v15, vcc
	s_waitcnt lgkmcnt(0)
	global_store_dword v[14:15], v13, off offset:-3072
.LBB745_156:
	s_andn2_saveexec_b64 s[2:3], s[2:3]
	s_cbranch_execz .LBB745_158
; %bb.157:
	v_lshlrev_b32_e32 v13, 2, v0
	ds_read_b32 v14, v13 offset:3072
	v_readfirstlane_b32 s4, v8
	v_readfirstlane_b32 s5, v9
	s_waitcnt lgkmcnt(0)
	s_nop 3
	global_store_dword v13, v14, s[4:5] offset:3072
.LBB745_158:
	s_or_b64 exec, exec, s[2:3]
.LBB745_159:
	s_andn2_saveexec_b64 s[0:1], s[0:1]
	s_cbranch_execz .LBB745_161
; %bb.160:
	v_lshlrev_b32_e32 v13, 2, v0
	ds_read_b32 v14, v13 offset:3072
	v_readfirstlane_b32 s2, v10
	v_readfirstlane_b32 s3, v11
	s_waitcnt lgkmcnt(0)
	s_nop 3
	global_store_dword v13, v14, s[2:3] offset:3072
.LBB745_161:
	s_or_b64 exec, exec, s[0:1]
	v_or_b32_e32 v13, 0x400, v0
	v_cmp_le_u32_e32 vcc, v2, v13
	s_and_saveexec_b64 s[0:1], vcc
	s_xor_b64 s[0:1], exec, s[0:1]
	s_cbranch_execz .LBB745_167
; %bb.162:
	v_cmp_le_u32_e32 vcc, v12, v13
	s_and_saveexec_b64 s[2:3], vcc
	s_xor_b64 s[2:3], exec, s[2:3]
	s_cbranch_execz .LBB745_164
; %bb.163:
	v_lshlrev_b32_e32 v13, 2, v0
	ds_read_b32 v13, v13 offset:4096
	v_add_co_u32_e32 v14, vcc, v1, v0
	v_addc_co_u32_e32 v15, vcc, 0, v4, vcc
	v_lshlrev_b64 v[14:15], 2, v[14:15]
	v_mov_b32_e32 v16, s7
	v_sub_co_u32_e32 v14, vcc, s6, v14
	v_subb_co_u32_e32 v15, vcc, v16, v15, vcc
	s_waitcnt lgkmcnt(0)
	global_store_dword v[14:15], v13, off offset:-4096
                                        ; implicit-def: $vgpr13
.LBB745_164:
	s_andn2_saveexec_b64 s[2:3], s[2:3]
	s_cbranch_execz .LBB745_166
; %bb.165:
	v_lshlrev_b32_e32 v14, 2, v0
	ds_read_b32 v14, v14 offset:4096
	v_lshlrev_b32_e32 v13, 2, v13
	v_readfirstlane_b32 s4, v8
	v_readfirstlane_b32 s5, v9
	s_waitcnt lgkmcnt(0)
	s_nop 3
	global_store_dword v13, v14, s[4:5]
.LBB745_166:
	s_or_b64 exec, exec, s[2:3]
                                        ; implicit-def: $vgpr13
.LBB745_167:
	s_andn2_saveexec_b64 s[0:1], s[0:1]
	s_cbranch_execz .LBB745_169
; %bb.168:
	v_lshlrev_b32_e32 v14, 2, v0
	ds_read_b32 v14, v14 offset:4096
	v_lshlrev_b32_e32 v13, 2, v13
	v_readfirstlane_b32 s2, v10
	v_readfirstlane_b32 s3, v11
	s_waitcnt lgkmcnt(0)
	s_nop 3
	global_store_dword v13, v14, s[2:3]
.LBB745_169:
	s_or_b64 exec, exec, s[0:1]
	v_or_b32_e32 v13, 0x500, v0
	v_cmp_le_u32_e32 vcc, v2, v13
	s_and_saveexec_b64 s[0:1], vcc
	s_xor_b64 s[0:1], exec, s[0:1]
	s_cbranch_execz .LBB745_175
; %bb.170:
	v_cmp_le_u32_e32 vcc, v12, v13
	s_and_saveexec_b64 s[2:3], vcc
	s_xor_b64 s[2:3], exec, s[2:3]
	s_cbranch_execz .LBB745_172
; %bb.171:
	v_add_co_u32_e32 v14, vcc, v1, v13
	v_lshlrev_b32_e32 v13, 2, v0
	ds_read_b32 v13, v13 offset:5120
	v_addc_co_u32_e32 v15, vcc, 0, v4, vcc
	v_lshlrev_b64 v[14:15], 2, v[14:15]
	v_mov_b32_e32 v16, s7
	v_sub_co_u32_e32 v14, vcc, s6, v14
	v_subb_co_u32_e32 v15, vcc, v16, v15, vcc
	s_waitcnt lgkmcnt(0)
	global_store_dword v[14:15], v13, off
                                        ; implicit-def: $vgpr13
.LBB745_172:
	s_andn2_saveexec_b64 s[2:3], s[2:3]
	s_cbranch_execz .LBB745_174
; %bb.173:
	v_lshlrev_b32_e32 v14, 2, v0
	ds_read_b32 v14, v14 offset:5120
	v_lshlrev_b32_e32 v13, 2, v13
	v_readfirstlane_b32 s4, v8
	v_readfirstlane_b32 s5, v9
	s_waitcnt lgkmcnt(0)
	s_nop 3
	global_store_dword v13, v14, s[4:5]
.LBB745_174:
	s_or_b64 exec, exec, s[2:3]
                                        ; implicit-def: $vgpr13
.LBB745_175:
	s_andn2_saveexec_b64 s[0:1], s[0:1]
	s_cbranch_execz .LBB745_177
; %bb.176:
	v_lshlrev_b32_e32 v14, 2, v0
	ds_read_b32 v14, v14 offset:5120
	v_lshlrev_b32_e32 v13, 2, v13
	v_readfirstlane_b32 s2, v10
	v_readfirstlane_b32 s3, v11
	s_waitcnt lgkmcnt(0)
	s_nop 3
	global_store_dword v13, v14, s[2:3]
.LBB745_177:
	s_or_b64 exec, exec, s[0:1]
	v_or_b32_e32 v13, 0x600, v0
	v_cmp_le_u32_e32 vcc, v2, v13
	s_and_saveexec_b64 s[0:1], vcc
	s_xor_b64 s[0:1], exec, s[0:1]
	s_cbranch_execz .LBB745_183
; %bb.178:
	v_cmp_le_u32_e32 vcc, v12, v13
	s_and_saveexec_b64 s[2:3], vcc
	s_xor_b64 s[2:3], exec, s[2:3]
	s_cbranch_execz .LBB745_180
; %bb.179:
	v_add_co_u32_e32 v14, vcc, v1, v13
	v_lshlrev_b32_e32 v13, 2, v0
	ds_read_b32 v13, v13 offset:6144
	v_addc_co_u32_e32 v15, vcc, 0, v4, vcc
	v_lshlrev_b64 v[14:15], 2, v[14:15]
	v_mov_b32_e32 v16, s7
	v_sub_co_u32_e32 v14, vcc, s6, v14
	v_subb_co_u32_e32 v15, vcc, v16, v15, vcc
	s_waitcnt lgkmcnt(0)
	global_store_dword v[14:15], v13, off
                                        ; implicit-def: $vgpr13
.LBB745_180:
	s_andn2_saveexec_b64 s[2:3], s[2:3]
	s_cbranch_execz .LBB745_182
; %bb.181:
	v_lshlrev_b32_e32 v14, 2, v0
	ds_read_b32 v14, v14 offset:6144
	v_lshlrev_b32_e32 v13, 2, v13
	v_readfirstlane_b32 s4, v8
	v_readfirstlane_b32 s5, v9
	s_waitcnt lgkmcnt(0)
	s_nop 3
	global_store_dword v13, v14, s[4:5]
.LBB745_182:
	s_or_b64 exec, exec, s[2:3]
                                        ; implicit-def: $vgpr13
.LBB745_183:
	;; [unrolled: 51-line block ×8, first 2 shown]
	s_andn2_saveexec_b64 s[0:1], s[0:1]
	s_cbranch_execz .LBB745_233
; %bb.232:
	v_lshlrev_b32_e32 v14, 2, v0
	ds_read_b32 v14, v14 offset:12288
	v_lshlrev_b32_e32 v13, 2, v13
	v_readfirstlane_b32 s2, v10
	v_readfirstlane_b32 s3, v11
	s_waitcnt lgkmcnt(0)
	s_nop 3
	global_store_dword v13, v14, s[2:3]
.LBB745_233:
	s_or_b64 exec, exec, s[0:1]
	s_branch .LBB745_127
.LBB745_234:
	v_cmp_gt_u32_e32 vcc, s18, v0
	s_and_saveexec_b64 s[0:1], vcc
	s_cbranch_execz .LBB745_243
; %bb.235:
	v_cmp_le_u32_e32 vcc, v2, v0
	s_and_saveexec_b64 s[2:3], vcc
	s_xor_b64 s[2:3], exec, s[2:3]
	s_cbranch_execz .LBB745_241
; %bb.236:
	v_cmp_le_u32_e32 vcc, v12, v0
	s_and_saveexec_b64 s[4:5], vcc
	s_xor_b64 s[4:5], exec, s[4:5]
	s_cbranch_execz .LBB745_238
; %bb.237:
	v_lshlrev_b32_e32 v13, 2, v0
	v_add_co_u32_e32 v14, vcc, v1, v0
	ds_read_b32 v13, v13
	v_addc_co_u32_e32 v15, vcc, 0, v4, vcc
	v_lshlrev_b64 v[14:15], 2, v[14:15]
	v_mov_b32_e32 v16, s35
	v_sub_co_u32_e32 v14, vcc, s34, v14
	v_subb_co_u32_e32 v15, vcc, v16, v15, vcc
	s_waitcnt lgkmcnt(0)
	global_store_dword v[14:15], v13, off offset:-4
.LBB745_238:
	s_andn2_saveexec_b64 s[4:5], s[4:5]
	s_cbranch_execz .LBB745_240
; %bb.239:
	v_lshlrev_b32_e32 v13, 2, v0
	ds_read_b32 v14, v13
	v_readfirstlane_b32 s8, v8
	v_readfirstlane_b32 s9, v9
	s_waitcnt lgkmcnt(0)
	s_nop 3
	global_store_dword v13, v14, s[8:9]
.LBB745_240:
	s_or_b64 exec, exec, s[4:5]
.LBB745_241:
	s_andn2_saveexec_b64 s[2:3], s[2:3]
	s_cbranch_execz .LBB745_243
; %bb.242:
	v_lshlrev_b32_e32 v13, 2, v0
	ds_read_b32 v14, v13
	v_readfirstlane_b32 s2, v10
	v_readfirstlane_b32 s3, v11
	s_waitcnt lgkmcnt(0)
	s_nop 3
	global_store_dword v13, v14, s[2:3]
.LBB745_243:
	s_or_b64 exec, exec, s[0:1]
	v_or_b32_e32 v13, 0x100, v0
	v_cmp_gt_u32_e32 vcc, s18, v13
	s_and_saveexec_b64 s[0:1], vcc
	s_cbranch_execz .LBB745_252
; %bb.244:
	v_cmp_le_u32_e32 vcc, v2, v13
	s_and_saveexec_b64 s[2:3], vcc
	s_xor_b64 s[2:3], exec, s[2:3]
	s_cbranch_execz .LBB745_250
; %bb.245:
	v_cmp_le_u32_e32 vcc, v12, v13
	s_and_saveexec_b64 s[4:5], vcc
	s_xor_b64 s[4:5], exec, s[4:5]
	s_cbranch_execz .LBB745_247
; %bb.246:
	v_lshlrev_b32_e32 v13, 2, v0
	ds_read_b32 v13, v13 offset:1024
	v_add_co_u32_e32 v14, vcc, v1, v0
	v_addc_co_u32_e32 v15, vcc, 0, v4, vcc
	v_lshlrev_b64 v[14:15], 2, v[14:15]
	v_mov_b32_e32 v16, s7
	v_sub_co_u32_e32 v14, vcc, s6, v14
	v_subb_co_u32_e32 v15, vcc, v16, v15, vcc
	s_waitcnt lgkmcnt(0)
	global_store_dword v[14:15], v13, off offset:-1024
.LBB745_247:
	s_andn2_saveexec_b64 s[4:5], s[4:5]
	s_cbranch_execz .LBB745_249
; %bb.248:
	v_lshlrev_b32_e32 v13, 2, v0
	ds_read_b32 v14, v13 offset:1024
	v_readfirstlane_b32 s8, v8
	v_readfirstlane_b32 s9, v9
	s_waitcnt lgkmcnt(0)
	s_nop 3
	global_store_dword v13, v14, s[8:9] offset:1024
.LBB745_249:
	s_or_b64 exec, exec, s[4:5]
.LBB745_250:
	s_andn2_saveexec_b64 s[2:3], s[2:3]
	s_cbranch_execz .LBB745_252
; %bb.251:
	v_lshlrev_b32_e32 v13, 2, v0
	ds_read_b32 v14, v13 offset:1024
	v_readfirstlane_b32 s2, v10
	v_readfirstlane_b32 s3, v11
	s_waitcnt lgkmcnt(0)
	s_nop 3
	global_store_dword v13, v14, s[2:3] offset:1024
.LBB745_252:
	s_or_b64 exec, exec, s[0:1]
	v_or_b32_e32 v13, 0x200, v0
	v_cmp_gt_u32_e32 vcc, s18, v13
	s_and_saveexec_b64 s[0:1], vcc
	s_cbranch_execz .LBB745_261
; %bb.253:
	v_cmp_le_u32_e32 vcc, v2, v13
	s_and_saveexec_b64 s[2:3], vcc
	s_xor_b64 s[2:3], exec, s[2:3]
	s_cbranch_execz .LBB745_259
; %bb.254:
	v_cmp_le_u32_e32 vcc, v12, v13
	s_and_saveexec_b64 s[4:5], vcc
	s_xor_b64 s[4:5], exec, s[4:5]
	s_cbranch_execz .LBB745_256
; %bb.255:
	v_lshlrev_b32_e32 v13, 2, v0
	ds_read_b32 v13, v13 offset:2048
	v_add_co_u32_e32 v14, vcc, v1, v0
	v_addc_co_u32_e32 v15, vcc, 0, v4, vcc
	v_lshlrev_b64 v[14:15], 2, v[14:15]
	v_mov_b32_e32 v16, s7
	v_sub_co_u32_e32 v14, vcc, s6, v14
	v_subb_co_u32_e32 v15, vcc, v16, v15, vcc
	s_waitcnt lgkmcnt(0)
	global_store_dword v[14:15], v13, off offset:-2048
.LBB745_256:
	s_andn2_saveexec_b64 s[4:5], s[4:5]
	s_cbranch_execz .LBB745_258
; %bb.257:
	v_lshlrev_b32_e32 v13, 2, v0
	ds_read_b32 v14, v13 offset:2048
	v_readfirstlane_b32 s8, v8
	v_readfirstlane_b32 s9, v9
	s_waitcnt lgkmcnt(0)
	s_nop 3
	global_store_dword v13, v14, s[8:9] offset:2048
.LBB745_258:
	s_or_b64 exec, exec, s[4:5]
.LBB745_259:
	s_andn2_saveexec_b64 s[2:3], s[2:3]
	s_cbranch_execz .LBB745_261
; %bb.260:
	v_lshlrev_b32_e32 v13, 2, v0
	ds_read_b32 v14, v13 offset:2048
	v_readfirstlane_b32 s2, v10
	v_readfirstlane_b32 s3, v11
	s_waitcnt lgkmcnt(0)
	s_nop 3
	global_store_dword v13, v14, s[2:3] offset:2048
.LBB745_261:
	;; [unrolled: 51-line block ×3, first 2 shown]
	s_or_b64 exec, exec, s[0:1]
	v_or_b32_e32 v13, 0x400, v0
	v_cmp_gt_u32_e32 vcc, s18, v13
	s_and_saveexec_b64 s[0:1], vcc
	s_cbranch_execz .LBB745_279
; %bb.271:
	v_cmp_le_u32_e32 vcc, v2, v13
	s_and_saveexec_b64 s[2:3], vcc
	s_xor_b64 s[2:3], exec, s[2:3]
	s_cbranch_execz .LBB745_277
; %bb.272:
	v_cmp_le_u32_e32 vcc, v12, v13
	s_and_saveexec_b64 s[4:5], vcc
	s_xor_b64 s[4:5], exec, s[4:5]
	s_cbranch_execz .LBB745_274
; %bb.273:
	v_lshlrev_b32_e32 v13, 2, v0
	ds_read_b32 v13, v13 offset:4096
	v_add_co_u32_e32 v14, vcc, v1, v0
	v_addc_co_u32_e32 v15, vcc, 0, v4, vcc
	v_lshlrev_b64 v[14:15], 2, v[14:15]
	v_mov_b32_e32 v16, s7
	v_sub_co_u32_e32 v14, vcc, s6, v14
	v_subb_co_u32_e32 v15, vcc, v16, v15, vcc
	s_waitcnt lgkmcnt(0)
	global_store_dword v[14:15], v13, off offset:-4096
                                        ; implicit-def: $vgpr13
.LBB745_274:
	s_andn2_saveexec_b64 s[4:5], s[4:5]
	s_cbranch_execz .LBB745_276
; %bb.275:
	v_lshlrev_b32_e32 v14, 2, v0
	ds_read_b32 v14, v14 offset:4096
	v_lshlrev_b32_e32 v13, 2, v13
	v_readfirstlane_b32 s8, v8
	v_readfirstlane_b32 s9, v9
	s_waitcnt lgkmcnt(0)
	s_nop 3
	global_store_dword v13, v14, s[8:9]
.LBB745_276:
	s_or_b64 exec, exec, s[4:5]
                                        ; implicit-def: $vgpr13
.LBB745_277:
	s_andn2_saveexec_b64 s[2:3], s[2:3]
	s_cbranch_execz .LBB745_279
; %bb.278:
	v_lshlrev_b32_e32 v14, 2, v0
	ds_read_b32 v14, v14 offset:4096
	v_lshlrev_b32_e32 v13, 2, v13
	v_readfirstlane_b32 s2, v10
	v_readfirstlane_b32 s3, v11
	s_waitcnt lgkmcnt(0)
	s_nop 3
	global_store_dword v13, v14, s[2:3]
.LBB745_279:
	s_or_b64 exec, exec, s[0:1]
	v_or_b32_e32 v13, 0x500, v0
	v_cmp_gt_u32_e32 vcc, s18, v13
	s_and_saveexec_b64 s[0:1], vcc
	s_cbranch_execz .LBB745_288
; %bb.280:
	v_cmp_le_u32_e32 vcc, v2, v13
	s_and_saveexec_b64 s[2:3], vcc
	s_xor_b64 s[2:3], exec, s[2:3]
	s_cbranch_execz .LBB745_286
; %bb.281:
	v_cmp_le_u32_e32 vcc, v12, v13
	s_and_saveexec_b64 s[4:5], vcc
	s_xor_b64 s[4:5], exec, s[4:5]
	s_cbranch_execz .LBB745_283
; %bb.282:
	v_add_co_u32_e32 v14, vcc, v1, v13
	v_lshlrev_b32_e32 v13, 2, v0
	ds_read_b32 v13, v13 offset:5120
	v_addc_co_u32_e32 v15, vcc, 0, v4, vcc
	v_lshlrev_b64 v[14:15], 2, v[14:15]
	v_mov_b32_e32 v16, s7
	v_sub_co_u32_e32 v14, vcc, s6, v14
	v_subb_co_u32_e32 v15, vcc, v16, v15, vcc
	s_waitcnt lgkmcnt(0)
	global_store_dword v[14:15], v13, off
                                        ; implicit-def: $vgpr13
.LBB745_283:
	s_andn2_saveexec_b64 s[4:5], s[4:5]
	s_cbranch_execz .LBB745_285
; %bb.284:
	v_lshlrev_b32_e32 v14, 2, v0
	ds_read_b32 v14, v14 offset:5120
	v_lshlrev_b32_e32 v13, 2, v13
	v_readfirstlane_b32 s8, v8
	v_readfirstlane_b32 s9, v9
	s_waitcnt lgkmcnt(0)
	s_nop 3
	global_store_dword v13, v14, s[8:9]
.LBB745_285:
	s_or_b64 exec, exec, s[4:5]
                                        ; implicit-def: $vgpr13
.LBB745_286:
	s_andn2_saveexec_b64 s[2:3], s[2:3]
	s_cbranch_execz .LBB745_288
; %bb.287:
	v_lshlrev_b32_e32 v14, 2, v0
	ds_read_b32 v14, v14 offset:5120
	v_lshlrev_b32_e32 v13, 2, v13
	v_readfirstlane_b32 s2, v10
	v_readfirstlane_b32 s3, v11
	s_waitcnt lgkmcnt(0)
	s_nop 3
	global_store_dword v13, v14, s[2:3]
.LBB745_288:
	s_or_b64 exec, exec, s[0:1]
	v_or_b32_e32 v13, 0x600, v0
	v_cmp_gt_u32_e32 vcc, s18, v13
	s_and_saveexec_b64 s[0:1], vcc
	s_cbranch_execz .LBB745_297
; %bb.289:
	v_cmp_le_u32_e32 vcc, v2, v13
	s_and_saveexec_b64 s[2:3], vcc
	s_xor_b64 s[2:3], exec, s[2:3]
	s_cbranch_execz .LBB745_295
; %bb.290:
	v_cmp_le_u32_e32 vcc, v12, v13
	s_and_saveexec_b64 s[4:5], vcc
	s_xor_b64 s[4:5], exec, s[4:5]
	s_cbranch_execz .LBB745_292
; %bb.291:
	v_add_co_u32_e32 v14, vcc, v1, v13
	v_lshlrev_b32_e32 v13, 2, v0
	ds_read_b32 v13, v13 offset:6144
	v_addc_co_u32_e32 v15, vcc, 0, v4, vcc
	v_lshlrev_b64 v[14:15], 2, v[14:15]
	v_mov_b32_e32 v16, s7
	v_sub_co_u32_e32 v14, vcc, s6, v14
	v_subb_co_u32_e32 v15, vcc, v16, v15, vcc
	s_waitcnt lgkmcnt(0)
	global_store_dword v[14:15], v13, off
                                        ; implicit-def: $vgpr13
.LBB745_292:
	s_andn2_saveexec_b64 s[4:5], s[4:5]
	s_cbranch_execz .LBB745_294
; %bb.293:
	v_lshlrev_b32_e32 v14, 2, v0
	ds_read_b32 v14, v14 offset:6144
	v_lshlrev_b32_e32 v13, 2, v13
	v_readfirstlane_b32 s8, v8
	v_readfirstlane_b32 s9, v9
	s_waitcnt lgkmcnt(0)
	s_nop 3
	global_store_dword v13, v14, s[8:9]
.LBB745_294:
	s_or_b64 exec, exec, s[4:5]
                                        ; implicit-def: $vgpr13
.LBB745_295:
	s_andn2_saveexec_b64 s[2:3], s[2:3]
	s_cbranch_execz .LBB745_297
; %bb.296:
	v_lshlrev_b32_e32 v14, 2, v0
	ds_read_b32 v14, v14 offset:6144
	v_lshlrev_b32_e32 v13, 2, v13
	v_readfirstlane_b32 s2, v10
	v_readfirstlane_b32 s3, v11
	s_waitcnt lgkmcnt(0)
	s_nop 3
	global_store_dword v13, v14, s[2:3]
.LBB745_297:
	s_or_b64 exec, exec, s[0:1]
	v_or_b32_e32 v13, 0x700, v0
	v_cmp_gt_u32_e32 vcc, s18, v13
	s_and_saveexec_b64 s[0:1], vcc
	s_cbranch_execz .LBB745_306
; %bb.298:
	v_cmp_le_u32_e32 vcc, v2, v13
	s_and_saveexec_b64 s[2:3], vcc
	s_xor_b64 s[2:3], exec, s[2:3]
	s_cbranch_execz .LBB745_304
; %bb.299:
	v_cmp_le_u32_e32 vcc, v12, v13
	s_and_saveexec_b64 s[4:5], vcc
	s_xor_b64 s[4:5], exec, s[4:5]
	s_cbranch_execz .LBB745_301
; %bb.300:
	v_add_co_u32_e32 v14, vcc, v1, v13
	v_lshlrev_b32_e32 v13, 2, v0
	ds_read_b32 v13, v13 offset:7168
	v_addc_co_u32_e32 v15, vcc, 0, v4, vcc
	v_lshlrev_b64 v[14:15], 2, v[14:15]
	v_mov_b32_e32 v16, s7
	v_sub_co_u32_e32 v14, vcc, s6, v14
	v_subb_co_u32_e32 v15, vcc, v16, v15, vcc
	s_waitcnt lgkmcnt(0)
	global_store_dword v[14:15], v13, off
                                        ; implicit-def: $vgpr13
.LBB745_301:
	s_andn2_saveexec_b64 s[4:5], s[4:5]
	s_cbranch_execz .LBB745_303
; %bb.302:
	v_lshlrev_b32_e32 v14, 2, v0
	ds_read_b32 v14, v14 offset:7168
	v_lshlrev_b32_e32 v13, 2, v13
	v_readfirstlane_b32 s8, v8
	v_readfirstlane_b32 s9, v9
	s_waitcnt lgkmcnt(0)
	s_nop 3
	global_store_dword v13, v14, s[8:9]
.LBB745_303:
	s_or_b64 exec, exec, s[4:5]
                                        ; implicit-def: $vgpr13
.LBB745_304:
	s_andn2_saveexec_b64 s[2:3], s[2:3]
	s_cbranch_execz .LBB745_306
; %bb.305:
	v_lshlrev_b32_e32 v14, 2, v0
	ds_read_b32 v14, v14 offset:7168
	v_lshlrev_b32_e32 v13, 2, v13
	v_readfirstlane_b32 s2, v10
	v_readfirstlane_b32 s3, v11
	s_waitcnt lgkmcnt(0)
	s_nop 3
	global_store_dword v13, v14, s[2:3]
.LBB745_306:
	s_or_b64 exec, exec, s[0:1]
	v_or_b32_e32 v13, 0x800, v0
	v_cmp_gt_u32_e32 vcc, s18, v13
	s_and_saveexec_b64 s[0:1], vcc
	s_cbranch_execz .LBB745_315
; %bb.307:
	v_cmp_le_u32_e32 vcc, v2, v13
	s_and_saveexec_b64 s[2:3], vcc
	s_xor_b64 s[2:3], exec, s[2:3]
	s_cbranch_execz .LBB745_313
; %bb.308:
	v_cmp_le_u32_e32 vcc, v12, v13
	s_and_saveexec_b64 s[4:5], vcc
	s_xor_b64 s[4:5], exec, s[4:5]
	s_cbranch_execz .LBB745_310
; %bb.309:
	v_add_co_u32_e32 v14, vcc, v1, v13
	v_lshlrev_b32_e32 v13, 2, v0
	ds_read_b32 v13, v13 offset:8192
	v_addc_co_u32_e32 v15, vcc, 0, v4, vcc
	v_lshlrev_b64 v[14:15], 2, v[14:15]
	v_mov_b32_e32 v16, s7
	v_sub_co_u32_e32 v14, vcc, s6, v14
	v_subb_co_u32_e32 v15, vcc, v16, v15, vcc
	s_waitcnt lgkmcnt(0)
	global_store_dword v[14:15], v13, off
                                        ; implicit-def: $vgpr13
.LBB745_310:
	s_andn2_saveexec_b64 s[4:5], s[4:5]
	s_cbranch_execz .LBB745_312
; %bb.311:
	v_lshlrev_b32_e32 v14, 2, v0
	ds_read_b32 v14, v14 offset:8192
	v_lshlrev_b32_e32 v13, 2, v13
	v_readfirstlane_b32 s8, v8
	v_readfirstlane_b32 s9, v9
	s_waitcnt lgkmcnt(0)
	s_nop 3
	global_store_dword v13, v14, s[8:9]
.LBB745_312:
	s_or_b64 exec, exec, s[4:5]
                                        ; implicit-def: $vgpr13
.LBB745_313:
	s_andn2_saveexec_b64 s[2:3], s[2:3]
	s_cbranch_execz .LBB745_315
; %bb.314:
	v_lshlrev_b32_e32 v14, 2, v0
	ds_read_b32 v14, v14 offset:8192
	v_lshlrev_b32_e32 v13, 2, v13
	v_readfirstlane_b32 s2, v10
	v_readfirstlane_b32 s3, v11
	s_waitcnt lgkmcnt(0)
	s_nop 3
	global_store_dword v13, v14, s[2:3]
.LBB745_315:
	s_or_b64 exec, exec, s[0:1]
	v_or_b32_e32 v13, 0x900, v0
	v_cmp_gt_u32_e32 vcc, s18, v13
	s_and_saveexec_b64 s[0:1], vcc
	s_cbranch_execz .LBB745_324
; %bb.316:
	v_cmp_le_u32_e32 vcc, v2, v13
	s_and_saveexec_b64 s[2:3], vcc
	s_xor_b64 s[2:3], exec, s[2:3]
	s_cbranch_execz .LBB745_322
; %bb.317:
	v_cmp_le_u32_e32 vcc, v12, v13
	s_and_saveexec_b64 s[4:5], vcc
	s_xor_b64 s[4:5], exec, s[4:5]
	s_cbranch_execz .LBB745_319
; %bb.318:
	v_add_co_u32_e32 v14, vcc, v1, v13
	v_lshlrev_b32_e32 v13, 2, v0
	ds_read_b32 v13, v13 offset:9216
	v_addc_co_u32_e32 v15, vcc, 0, v4, vcc
	v_lshlrev_b64 v[14:15], 2, v[14:15]
	v_mov_b32_e32 v16, s7
	v_sub_co_u32_e32 v14, vcc, s6, v14
	v_subb_co_u32_e32 v15, vcc, v16, v15, vcc
	s_waitcnt lgkmcnt(0)
	global_store_dword v[14:15], v13, off
                                        ; implicit-def: $vgpr13
.LBB745_319:
	s_andn2_saveexec_b64 s[4:5], s[4:5]
	s_cbranch_execz .LBB745_321
; %bb.320:
	v_lshlrev_b32_e32 v14, 2, v0
	ds_read_b32 v14, v14 offset:9216
	v_lshlrev_b32_e32 v13, 2, v13
	v_readfirstlane_b32 s8, v8
	v_readfirstlane_b32 s9, v9
	s_waitcnt lgkmcnt(0)
	s_nop 3
	global_store_dword v13, v14, s[8:9]
.LBB745_321:
	s_or_b64 exec, exec, s[4:5]
                                        ; implicit-def: $vgpr13
.LBB745_322:
	s_andn2_saveexec_b64 s[2:3], s[2:3]
	s_cbranch_execz .LBB745_324
; %bb.323:
	v_lshlrev_b32_e32 v14, 2, v0
	ds_read_b32 v14, v14 offset:9216
	v_lshlrev_b32_e32 v13, 2, v13
	v_readfirstlane_b32 s2, v10
	v_readfirstlane_b32 s3, v11
	s_waitcnt lgkmcnt(0)
	s_nop 3
	global_store_dword v13, v14, s[2:3]
.LBB745_324:
	s_or_b64 exec, exec, s[0:1]
	v_or_b32_e32 v13, 0xa00, v0
	v_cmp_gt_u32_e32 vcc, s18, v13
	s_and_saveexec_b64 s[0:1], vcc
	s_cbranch_execz .LBB745_333
; %bb.325:
	v_cmp_le_u32_e32 vcc, v2, v13
	s_and_saveexec_b64 s[2:3], vcc
	s_xor_b64 s[2:3], exec, s[2:3]
	s_cbranch_execz .LBB745_331
; %bb.326:
	v_cmp_le_u32_e32 vcc, v12, v13
	s_and_saveexec_b64 s[4:5], vcc
	s_xor_b64 s[4:5], exec, s[4:5]
	s_cbranch_execz .LBB745_328
; %bb.327:
	v_add_co_u32_e32 v14, vcc, v1, v13
	v_lshlrev_b32_e32 v13, 2, v0
	ds_read_b32 v13, v13 offset:10240
	v_addc_co_u32_e32 v15, vcc, 0, v4, vcc
	v_lshlrev_b64 v[14:15], 2, v[14:15]
	v_mov_b32_e32 v16, s7
	v_sub_co_u32_e32 v14, vcc, s6, v14
	v_subb_co_u32_e32 v15, vcc, v16, v15, vcc
	s_waitcnt lgkmcnt(0)
	global_store_dword v[14:15], v13, off
                                        ; implicit-def: $vgpr13
.LBB745_328:
	s_andn2_saveexec_b64 s[4:5], s[4:5]
	s_cbranch_execz .LBB745_330
; %bb.329:
	v_lshlrev_b32_e32 v14, 2, v0
	ds_read_b32 v14, v14 offset:10240
	v_lshlrev_b32_e32 v13, 2, v13
	v_readfirstlane_b32 s8, v8
	v_readfirstlane_b32 s9, v9
	s_waitcnt lgkmcnt(0)
	s_nop 3
	global_store_dword v13, v14, s[8:9]
.LBB745_330:
	s_or_b64 exec, exec, s[4:5]
                                        ; implicit-def: $vgpr13
.LBB745_331:
	s_andn2_saveexec_b64 s[2:3], s[2:3]
	s_cbranch_execz .LBB745_333
; %bb.332:
	v_lshlrev_b32_e32 v14, 2, v0
	ds_read_b32 v14, v14 offset:10240
	v_lshlrev_b32_e32 v13, 2, v13
	v_readfirstlane_b32 s2, v10
	v_readfirstlane_b32 s3, v11
	s_waitcnt lgkmcnt(0)
	s_nop 3
	global_store_dword v13, v14, s[2:3]
.LBB745_333:
	s_or_b64 exec, exec, s[0:1]
	v_or_b32_e32 v13, 0xb00, v0
	v_cmp_gt_u32_e32 vcc, s18, v13
	s_and_saveexec_b64 s[0:1], vcc
	s_cbranch_execz .LBB745_342
; %bb.334:
	v_cmp_le_u32_e32 vcc, v2, v13
	s_and_saveexec_b64 s[2:3], vcc
	s_xor_b64 s[2:3], exec, s[2:3]
	s_cbranch_execz .LBB745_340
; %bb.335:
	v_cmp_le_u32_e32 vcc, v12, v13
	s_and_saveexec_b64 s[4:5], vcc
	s_xor_b64 s[4:5], exec, s[4:5]
	s_cbranch_execz .LBB745_337
; %bb.336:
	v_add_co_u32_e32 v14, vcc, v1, v13
	v_lshlrev_b32_e32 v13, 2, v0
	ds_read_b32 v13, v13 offset:11264
	v_addc_co_u32_e32 v15, vcc, 0, v4, vcc
	v_lshlrev_b64 v[14:15], 2, v[14:15]
	v_mov_b32_e32 v16, s7
	v_sub_co_u32_e32 v14, vcc, s6, v14
	v_subb_co_u32_e32 v15, vcc, v16, v15, vcc
	s_waitcnt lgkmcnt(0)
	global_store_dword v[14:15], v13, off
                                        ; implicit-def: $vgpr13
.LBB745_337:
	s_andn2_saveexec_b64 s[4:5], s[4:5]
	s_cbranch_execz .LBB745_339
; %bb.338:
	v_lshlrev_b32_e32 v14, 2, v0
	ds_read_b32 v14, v14 offset:11264
	v_lshlrev_b32_e32 v13, 2, v13
	v_readfirstlane_b32 s8, v8
	v_readfirstlane_b32 s9, v9
	s_waitcnt lgkmcnt(0)
	s_nop 3
	global_store_dword v13, v14, s[8:9]
.LBB745_339:
	s_or_b64 exec, exec, s[4:5]
                                        ; implicit-def: $vgpr13
.LBB745_340:
	s_andn2_saveexec_b64 s[2:3], s[2:3]
	s_cbranch_execz .LBB745_342
; %bb.341:
	v_lshlrev_b32_e32 v14, 2, v0
	ds_read_b32 v14, v14 offset:11264
	v_lshlrev_b32_e32 v13, 2, v13
	v_readfirstlane_b32 s2, v10
	v_readfirstlane_b32 s3, v11
	s_waitcnt lgkmcnt(0)
	s_nop 3
	global_store_dword v13, v14, s[2:3]
.LBB745_342:
	s_or_b64 exec, exec, s[0:1]
	v_or_b32_e32 v13, 0xc00, v0
	v_cmp_gt_u32_e32 vcc, s18, v13
	s_and_saveexec_b64 s[0:1], vcc
	s_cbranch_execz .LBB745_351
; %bb.343:
	v_cmp_le_u32_e32 vcc, v2, v13
	s_and_saveexec_b64 s[2:3], vcc
	s_xor_b64 s[2:3], exec, s[2:3]
	s_cbranch_execz .LBB745_349
; %bb.344:
	v_cmp_le_u32_e32 vcc, v12, v13
	s_and_saveexec_b64 s[4:5], vcc
	s_xor_b64 s[4:5], exec, s[4:5]
	s_cbranch_execz .LBB745_346
; %bb.345:
	v_add_co_u32_e32 v8, vcc, v1, v13
	v_lshlrev_b32_e32 v1, 2, v0
	ds_read_b32 v1, v1 offset:12288
	v_addc_co_u32_e32 v9, vcc, 0, v4, vcc
	v_lshlrev_b64 v[8:9], 2, v[8:9]
	v_mov_b32_e32 v4, s7
	v_sub_co_u32_e32 v8, vcc, s6, v8
	v_subb_co_u32_e32 v9, vcc, v4, v9, vcc
	s_waitcnt lgkmcnt(0)
	global_store_dword v[8:9], v1, off
                                        ; implicit-def: $vgpr13
                                        ; implicit-def: $vgpr8_vgpr9
.LBB745_346:
	s_andn2_saveexec_b64 s[4:5], s[4:5]
	s_cbranch_execz .LBB745_348
; %bb.347:
	v_lshlrev_b32_e32 v1, 2, v0
	ds_read_b32 v1, v1 offset:12288
	v_lshlrev_b32_e32 v4, 2, v13
	v_readfirstlane_b32 s6, v8
	v_readfirstlane_b32 s7, v9
	s_waitcnt lgkmcnt(0)
	s_nop 3
	global_store_dword v4, v1, s[6:7]
.LBB745_348:
	s_or_b64 exec, exec, s[4:5]
                                        ; implicit-def: $vgpr13
                                        ; implicit-def: $vgpr10_vgpr11
.LBB745_349:
	s_andn2_saveexec_b64 s[2:3], s[2:3]
	s_cbranch_execz .LBB745_351
; %bb.350:
	v_lshlrev_b32_e32 v1, 2, v0
	ds_read_b32 v1, v1 offset:12288
	v_lshlrev_b32_e32 v4, 2, v13
	v_readfirstlane_b32 s2, v10
	v_readfirstlane_b32 s3, v11
	s_waitcnt lgkmcnt(0)
	s_nop 3
	global_store_dword v4, v1, s[2:3]
.LBB745_351:
	s_or_b64 exec, exec, s[0:1]
	v_cmp_eq_u32_e32 vcc, 0, v0
	s_and_b64 s[0:1], vcc, s[30:31]
	s_and_saveexec_b64 s[2:3], s[0:1]
	s_cbranch_execz .LBB745_128
.LBB745_352:
	v_add_co_u32_e32 v0, vcc, v6, v2
	v_addc_co_u32_e32 v1, vcc, 0, v7, vcc
	v_mov_b32_e32 v2, s51
	v_add_co_u32_e32 v3, vcc, s50, v3
	v_addc_co_u32_e32 v6, vcc, 0, v2, vcc
	v_add_co_u32_e32 v2, vcc, v3, v5
	v_mov_b32_e32 v4, 0
	v_addc_co_u32_e32 v3, vcc, 0, v6, vcc
	global_store_dwordx4 v4, v[0:3], s[44:45]
	s_endpgm
	.section	.rodata,"a",@progbits
	.p2align	6, 0x0
	.amdhsa_kernel _ZN7rocprim17ROCPRIM_400000_NS6detail17trampoline_kernelINS0_13select_configILj256ELj13ELNS0_17block_load_methodE3ELS4_3ELS4_3ELNS0_20block_scan_algorithmE0ELj4294967295EEENS1_25partition_config_selectorILNS1_17partition_subalgoE4EjNS0_10empty_typeEbEEZZNS1_14partition_implILS8_4ELb0ES6_15HIP_vector_typeIjLj2EENS0_17counting_iteratorIjlEEPS9_SG_NS0_5tupleIJPjSI_NS0_16reverse_iteratorISI_EEEEENSH_IJSG_SG_SG_EEES9_SI_JZNS1_25segmented_radix_sort_implINS0_14default_configELb0EPKlPlSQ_SR_N2at6native12_GLOBAL__N_18offset_tEEE10hipError_tPvRmT1_PNSt15iterator_traitsISZ_E10value_typeET2_T3_PNS10_IS15_E10value_typeET4_jRbjT5_S1B_jjP12ihipStream_tbEUljE_ZNSN_ISO_Lb0ESQ_SR_SQ_SR_SV_EESW_SX_SY_SZ_S13_S14_S15_S18_S19_jS1A_jS1B_S1B_jjS1D_bEUljE0_EEESW_SX_SY_S15_S19_S1B_T6_T7_T9_mT8_S1D_bDpT10_ENKUlT_T0_E_clISt17integral_constantIbLb0EES1R_EEDaS1M_S1N_EUlS1M_E_NS1_11comp_targetILNS1_3genE4ELNS1_11target_archE910ELNS1_3gpuE8ELNS1_3repE0EEENS1_30default_config_static_selectorELNS0_4arch9wavefront6targetE1EEEvSZ_
		.amdhsa_group_segment_fixed_size 13340
		.amdhsa_private_segment_fixed_size 0
		.amdhsa_kernarg_size 176
		.amdhsa_user_sgpr_count 6
		.amdhsa_user_sgpr_private_segment_buffer 1
		.amdhsa_user_sgpr_dispatch_ptr 0
		.amdhsa_user_sgpr_queue_ptr 0
		.amdhsa_user_sgpr_kernarg_segment_ptr 1
		.amdhsa_user_sgpr_dispatch_id 0
		.amdhsa_user_sgpr_flat_scratch_init 0
		.amdhsa_user_sgpr_kernarg_preload_length 0
		.amdhsa_user_sgpr_kernarg_preload_offset 0
		.amdhsa_user_sgpr_private_segment_size 0
		.amdhsa_uses_dynamic_stack 0
		.amdhsa_system_sgpr_private_segment_wavefront_offset 0
		.amdhsa_system_sgpr_workgroup_id_x 1
		.amdhsa_system_sgpr_workgroup_id_y 0
		.amdhsa_system_sgpr_workgroup_id_z 0
		.amdhsa_system_sgpr_workgroup_info 0
		.amdhsa_system_vgpr_workitem_id 0
		.amdhsa_next_free_vgpr 102
		.amdhsa_next_free_sgpr 90
		.amdhsa_accum_offset 104
		.amdhsa_reserve_vcc 1
		.amdhsa_reserve_flat_scratch 0
		.amdhsa_float_round_mode_32 0
		.amdhsa_float_round_mode_16_64 0
		.amdhsa_float_denorm_mode_32 3
		.amdhsa_float_denorm_mode_16_64 3
		.amdhsa_dx10_clamp 1
		.amdhsa_ieee_mode 1
		.amdhsa_fp16_overflow 0
		.amdhsa_tg_split 0
		.amdhsa_exception_fp_ieee_invalid_op 0
		.amdhsa_exception_fp_denorm_src 0
		.amdhsa_exception_fp_ieee_div_zero 0
		.amdhsa_exception_fp_ieee_overflow 0
		.amdhsa_exception_fp_ieee_underflow 0
		.amdhsa_exception_fp_ieee_inexact 0
		.amdhsa_exception_int_div_zero 0
	.end_amdhsa_kernel
	.section	.text._ZN7rocprim17ROCPRIM_400000_NS6detail17trampoline_kernelINS0_13select_configILj256ELj13ELNS0_17block_load_methodE3ELS4_3ELS4_3ELNS0_20block_scan_algorithmE0ELj4294967295EEENS1_25partition_config_selectorILNS1_17partition_subalgoE4EjNS0_10empty_typeEbEEZZNS1_14partition_implILS8_4ELb0ES6_15HIP_vector_typeIjLj2EENS0_17counting_iteratorIjlEEPS9_SG_NS0_5tupleIJPjSI_NS0_16reverse_iteratorISI_EEEEENSH_IJSG_SG_SG_EEES9_SI_JZNS1_25segmented_radix_sort_implINS0_14default_configELb0EPKlPlSQ_SR_N2at6native12_GLOBAL__N_18offset_tEEE10hipError_tPvRmT1_PNSt15iterator_traitsISZ_E10value_typeET2_T3_PNS10_IS15_E10value_typeET4_jRbjT5_S1B_jjP12ihipStream_tbEUljE_ZNSN_ISO_Lb0ESQ_SR_SQ_SR_SV_EESW_SX_SY_SZ_S13_S14_S15_S18_S19_jS1A_jS1B_S1B_jjS1D_bEUljE0_EEESW_SX_SY_S15_S19_S1B_T6_T7_T9_mT8_S1D_bDpT10_ENKUlT_T0_E_clISt17integral_constantIbLb0EES1R_EEDaS1M_S1N_EUlS1M_E_NS1_11comp_targetILNS1_3genE4ELNS1_11target_archE910ELNS1_3gpuE8ELNS1_3repE0EEENS1_30default_config_static_selectorELNS0_4arch9wavefront6targetE1EEEvSZ_,"axG",@progbits,_ZN7rocprim17ROCPRIM_400000_NS6detail17trampoline_kernelINS0_13select_configILj256ELj13ELNS0_17block_load_methodE3ELS4_3ELS4_3ELNS0_20block_scan_algorithmE0ELj4294967295EEENS1_25partition_config_selectorILNS1_17partition_subalgoE4EjNS0_10empty_typeEbEEZZNS1_14partition_implILS8_4ELb0ES6_15HIP_vector_typeIjLj2EENS0_17counting_iteratorIjlEEPS9_SG_NS0_5tupleIJPjSI_NS0_16reverse_iteratorISI_EEEEENSH_IJSG_SG_SG_EEES9_SI_JZNS1_25segmented_radix_sort_implINS0_14default_configELb0EPKlPlSQ_SR_N2at6native12_GLOBAL__N_18offset_tEEE10hipError_tPvRmT1_PNSt15iterator_traitsISZ_E10value_typeET2_T3_PNS10_IS15_E10value_typeET4_jRbjT5_S1B_jjP12ihipStream_tbEUljE_ZNSN_ISO_Lb0ESQ_SR_SQ_SR_SV_EESW_SX_SY_SZ_S13_S14_S15_S18_S19_jS1A_jS1B_S1B_jjS1D_bEUljE0_EEESW_SX_SY_S15_S19_S1B_T6_T7_T9_mT8_S1D_bDpT10_ENKUlT_T0_E_clISt17integral_constantIbLb0EES1R_EEDaS1M_S1N_EUlS1M_E_NS1_11comp_targetILNS1_3genE4ELNS1_11target_archE910ELNS1_3gpuE8ELNS1_3repE0EEENS1_30default_config_static_selectorELNS0_4arch9wavefront6targetE1EEEvSZ_,comdat
.Lfunc_end745:
	.size	_ZN7rocprim17ROCPRIM_400000_NS6detail17trampoline_kernelINS0_13select_configILj256ELj13ELNS0_17block_load_methodE3ELS4_3ELS4_3ELNS0_20block_scan_algorithmE0ELj4294967295EEENS1_25partition_config_selectorILNS1_17partition_subalgoE4EjNS0_10empty_typeEbEEZZNS1_14partition_implILS8_4ELb0ES6_15HIP_vector_typeIjLj2EENS0_17counting_iteratorIjlEEPS9_SG_NS0_5tupleIJPjSI_NS0_16reverse_iteratorISI_EEEEENSH_IJSG_SG_SG_EEES9_SI_JZNS1_25segmented_radix_sort_implINS0_14default_configELb0EPKlPlSQ_SR_N2at6native12_GLOBAL__N_18offset_tEEE10hipError_tPvRmT1_PNSt15iterator_traitsISZ_E10value_typeET2_T3_PNS10_IS15_E10value_typeET4_jRbjT5_S1B_jjP12ihipStream_tbEUljE_ZNSN_ISO_Lb0ESQ_SR_SQ_SR_SV_EESW_SX_SY_SZ_S13_S14_S15_S18_S19_jS1A_jS1B_S1B_jjS1D_bEUljE0_EEESW_SX_SY_S15_S19_S1B_T6_T7_T9_mT8_S1D_bDpT10_ENKUlT_T0_E_clISt17integral_constantIbLb0EES1R_EEDaS1M_S1N_EUlS1M_E_NS1_11comp_targetILNS1_3genE4ELNS1_11target_archE910ELNS1_3gpuE8ELNS1_3repE0EEENS1_30default_config_static_selectorELNS0_4arch9wavefront6targetE1EEEvSZ_, .Lfunc_end745-_ZN7rocprim17ROCPRIM_400000_NS6detail17trampoline_kernelINS0_13select_configILj256ELj13ELNS0_17block_load_methodE3ELS4_3ELS4_3ELNS0_20block_scan_algorithmE0ELj4294967295EEENS1_25partition_config_selectorILNS1_17partition_subalgoE4EjNS0_10empty_typeEbEEZZNS1_14partition_implILS8_4ELb0ES6_15HIP_vector_typeIjLj2EENS0_17counting_iteratorIjlEEPS9_SG_NS0_5tupleIJPjSI_NS0_16reverse_iteratorISI_EEEEENSH_IJSG_SG_SG_EEES9_SI_JZNS1_25segmented_radix_sort_implINS0_14default_configELb0EPKlPlSQ_SR_N2at6native12_GLOBAL__N_18offset_tEEE10hipError_tPvRmT1_PNSt15iterator_traitsISZ_E10value_typeET2_T3_PNS10_IS15_E10value_typeET4_jRbjT5_S1B_jjP12ihipStream_tbEUljE_ZNSN_ISO_Lb0ESQ_SR_SQ_SR_SV_EESW_SX_SY_SZ_S13_S14_S15_S18_S19_jS1A_jS1B_S1B_jjS1D_bEUljE0_EEESW_SX_SY_S15_S19_S1B_T6_T7_T9_mT8_S1D_bDpT10_ENKUlT_T0_E_clISt17integral_constantIbLb0EES1R_EEDaS1M_S1N_EUlS1M_E_NS1_11comp_targetILNS1_3genE4ELNS1_11target_archE910ELNS1_3gpuE8ELNS1_3repE0EEENS1_30default_config_static_selectorELNS0_4arch9wavefront6targetE1EEEvSZ_
                                        ; -- End function
	.section	.AMDGPU.csdata,"",@progbits
; Kernel info:
; codeLenInByte = 13332
; NumSgprs: 94
; NumVgprs: 102
; NumAgprs: 0
; TotalNumVgprs: 102
; ScratchSize: 0
; MemoryBound: 0
; FloatMode: 240
; IeeeMode: 1
; LDSByteSize: 13340 bytes/workgroup (compile time only)
; SGPRBlocks: 11
; VGPRBlocks: 12
; NumSGPRsForWavesPerEU: 94
; NumVGPRsForWavesPerEU: 102
; AccumOffset: 104
; Occupancy: 4
; WaveLimiterHint : 1
; COMPUTE_PGM_RSRC2:SCRATCH_EN: 0
; COMPUTE_PGM_RSRC2:USER_SGPR: 6
; COMPUTE_PGM_RSRC2:TRAP_HANDLER: 0
; COMPUTE_PGM_RSRC2:TGID_X_EN: 1
; COMPUTE_PGM_RSRC2:TGID_Y_EN: 0
; COMPUTE_PGM_RSRC2:TGID_Z_EN: 0
; COMPUTE_PGM_RSRC2:TIDIG_COMP_CNT: 0
; COMPUTE_PGM_RSRC3_GFX90A:ACCUM_OFFSET: 25
; COMPUTE_PGM_RSRC3_GFX90A:TG_SPLIT: 0
	.section	.text._ZN7rocprim17ROCPRIM_400000_NS6detail17trampoline_kernelINS0_13select_configILj256ELj13ELNS0_17block_load_methodE3ELS4_3ELS4_3ELNS0_20block_scan_algorithmE0ELj4294967295EEENS1_25partition_config_selectorILNS1_17partition_subalgoE4EjNS0_10empty_typeEbEEZZNS1_14partition_implILS8_4ELb0ES6_15HIP_vector_typeIjLj2EENS0_17counting_iteratorIjlEEPS9_SG_NS0_5tupleIJPjSI_NS0_16reverse_iteratorISI_EEEEENSH_IJSG_SG_SG_EEES9_SI_JZNS1_25segmented_radix_sort_implINS0_14default_configELb0EPKlPlSQ_SR_N2at6native12_GLOBAL__N_18offset_tEEE10hipError_tPvRmT1_PNSt15iterator_traitsISZ_E10value_typeET2_T3_PNS10_IS15_E10value_typeET4_jRbjT5_S1B_jjP12ihipStream_tbEUljE_ZNSN_ISO_Lb0ESQ_SR_SQ_SR_SV_EESW_SX_SY_SZ_S13_S14_S15_S18_S19_jS1A_jS1B_S1B_jjS1D_bEUljE0_EEESW_SX_SY_S15_S19_S1B_T6_T7_T9_mT8_S1D_bDpT10_ENKUlT_T0_E_clISt17integral_constantIbLb0EES1R_EEDaS1M_S1N_EUlS1M_E_NS1_11comp_targetILNS1_3genE3ELNS1_11target_archE908ELNS1_3gpuE7ELNS1_3repE0EEENS1_30default_config_static_selectorELNS0_4arch9wavefront6targetE1EEEvSZ_,"axG",@progbits,_ZN7rocprim17ROCPRIM_400000_NS6detail17trampoline_kernelINS0_13select_configILj256ELj13ELNS0_17block_load_methodE3ELS4_3ELS4_3ELNS0_20block_scan_algorithmE0ELj4294967295EEENS1_25partition_config_selectorILNS1_17partition_subalgoE4EjNS0_10empty_typeEbEEZZNS1_14partition_implILS8_4ELb0ES6_15HIP_vector_typeIjLj2EENS0_17counting_iteratorIjlEEPS9_SG_NS0_5tupleIJPjSI_NS0_16reverse_iteratorISI_EEEEENSH_IJSG_SG_SG_EEES9_SI_JZNS1_25segmented_radix_sort_implINS0_14default_configELb0EPKlPlSQ_SR_N2at6native12_GLOBAL__N_18offset_tEEE10hipError_tPvRmT1_PNSt15iterator_traitsISZ_E10value_typeET2_T3_PNS10_IS15_E10value_typeET4_jRbjT5_S1B_jjP12ihipStream_tbEUljE_ZNSN_ISO_Lb0ESQ_SR_SQ_SR_SV_EESW_SX_SY_SZ_S13_S14_S15_S18_S19_jS1A_jS1B_S1B_jjS1D_bEUljE0_EEESW_SX_SY_S15_S19_S1B_T6_T7_T9_mT8_S1D_bDpT10_ENKUlT_T0_E_clISt17integral_constantIbLb0EES1R_EEDaS1M_S1N_EUlS1M_E_NS1_11comp_targetILNS1_3genE3ELNS1_11target_archE908ELNS1_3gpuE7ELNS1_3repE0EEENS1_30default_config_static_selectorELNS0_4arch9wavefront6targetE1EEEvSZ_,comdat
	.globl	_ZN7rocprim17ROCPRIM_400000_NS6detail17trampoline_kernelINS0_13select_configILj256ELj13ELNS0_17block_load_methodE3ELS4_3ELS4_3ELNS0_20block_scan_algorithmE0ELj4294967295EEENS1_25partition_config_selectorILNS1_17partition_subalgoE4EjNS0_10empty_typeEbEEZZNS1_14partition_implILS8_4ELb0ES6_15HIP_vector_typeIjLj2EENS0_17counting_iteratorIjlEEPS9_SG_NS0_5tupleIJPjSI_NS0_16reverse_iteratorISI_EEEEENSH_IJSG_SG_SG_EEES9_SI_JZNS1_25segmented_radix_sort_implINS0_14default_configELb0EPKlPlSQ_SR_N2at6native12_GLOBAL__N_18offset_tEEE10hipError_tPvRmT1_PNSt15iterator_traitsISZ_E10value_typeET2_T3_PNS10_IS15_E10value_typeET4_jRbjT5_S1B_jjP12ihipStream_tbEUljE_ZNSN_ISO_Lb0ESQ_SR_SQ_SR_SV_EESW_SX_SY_SZ_S13_S14_S15_S18_S19_jS1A_jS1B_S1B_jjS1D_bEUljE0_EEESW_SX_SY_S15_S19_S1B_T6_T7_T9_mT8_S1D_bDpT10_ENKUlT_T0_E_clISt17integral_constantIbLb0EES1R_EEDaS1M_S1N_EUlS1M_E_NS1_11comp_targetILNS1_3genE3ELNS1_11target_archE908ELNS1_3gpuE7ELNS1_3repE0EEENS1_30default_config_static_selectorELNS0_4arch9wavefront6targetE1EEEvSZ_ ; -- Begin function _ZN7rocprim17ROCPRIM_400000_NS6detail17trampoline_kernelINS0_13select_configILj256ELj13ELNS0_17block_load_methodE3ELS4_3ELS4_3ELNS0_20block_scan_algorithmE0ELj4294967295EEENS1_25partition_config_selectorILNS1_17partition_subalgoE4EjNS0_10empty_typeEbEEZZNS1_14partition_implILS8_4ELb0ES6_15HIP_vector_typeIjLj2EENS0_17counting_iteratorIjlEEPS9_SG_NS0_5tupleIJPjSI_NS0_16reverse_iteratorISI_EEEEENSH_IJSG_SG_SG_EEES9_SI_JZNS1_25segmented_radix_sort_implINS0_14default_configELb0EPKlPlSQ_SR_N2at6native12_GLOBAL__N_18offset_tEEE10hipError_tPvRmT1_PNSt15iterator_traitsISZ_E10value_typeET2_T3_PNS10_IS15_E10value_typeET4_jRbjT5_S1B_jjP12ihipStream_tbEUljE_ZNSN_ISO_Lb0ESQ_SR_SQ_SR_SV_EESW_SX_SY_SZ_S13_S14_S15_S18_S19_jS1A_jS1B_S1B_jjS1D_bEUljE0_EEESW_SX_SY_S15_S19_S1B_T6_T7_T9_mT8_S1D_bDpT10_ENKUlT_T0_E_clISt17integral_constantIbLb0EES1R_EEDaS1M_S1N_EUlS1M_E_NS1_11comp_targetILNS1_3genE3ELNS1_11target_archE908ELNS1_3gpuE7ELNS1_3repE0EEENS1_30default_config_static_selectorELNS0_4arch9wavefront6targetE1EEEvSZ_
	.p2align	8
	.type	_ZN7rocprim17ROCPRIM_400000_NS6detail17trampoline_kernelINS0_13select_configILj256ELj13ELNS0_17block_load_methodE3ELS4_3ELS4_3ELNS0_20block_scan_algorithmE0ELj4294967295EEENS1_25partition_config_selectorILNS1_17partition_subalgoE4EjNS0_10empty_typeEbEEZZNS1_14partition_implILS8_4ELb0ES6_15HIP_vector_typeIjLj2EENS0_17counting_iteratorIjlEEPS9_SG_NS0_5tupleIJPjSI_NS0_16reverse_iteratorISI_EEEEENSH_IJSG_SG_SG_EEES9_SI_JZNS1_25segmented_radix_sort_implINS0_14default_configELb0EPKlPlSQ_SR_N2at6native12_GLOBAL__N_18offset_tEEE10hipError_tPvRmT1_PNSt15iterator_traitsISZ_E10value_typeET2_T3_PNS10_IS15_E10value_typeET4_jRbjT5_S1B_jjP12ihipStream_tbEUljE_ZNSN_ISO_Lb0ESQ_SR_SQ_SR_SV_EESW_SX_SY_SZ_S13_S14_S15_S18_S19_jS1A_jS1B_S1B_jjS1D_bEUljE0_EEESW_SX_SY_S15_S19_S1B_T6_T7_T9_mT8_S1D_bDpT10_ENKUlT_T0_E_clISt17integral_constantIbLb0EES1R_EEDaS1M_S1N_EUlS1M_E_NS1_11comp_targetILNS1_3genE3ELNS1_11target_archE908ELNS1_3gpuE7ELNS1_3repE0EEENS1_30default_config_static_selectorELNS0_4arch9wavefront6targetE1EEEvSZ_,@function
_ZN7rocprim17ROCPRIM_400000_NS6detail17trampoline_kernelINS0_13select_configILj256ELj13ELNS0_17block_load_methodE3ELS4_3ELS4_3ELNS0_20block_scan_algorithmE0ELj4294967295EEENS1_25partition_config_selectorILNS1_17partition_subalgoE4EjNS0_10empty_typeEbEEZZNS1_14partition_implILS8_4ELb0ES6_15HIP_vector_typeIjLj2EENS0_17counting_iteratorIjlEEPS9_SG_NS0_5tupleIJPjSI_NS0_16reverse_iteratorISI_EEEEENSH_IJSG_SG_SG_EEES9_SI_JZNS1_25segmented_radix_sort_implINS0_14default_configELb0EPKlPlSQ_SR_N2at6native12_GLOBAL__N_18offset_tEEE10hipError_tPvRmT1_PNSt15iterator_traitsISZ_E10value_typeET2_T3_PNS10_IS15_E10value_typeET4_jRbjT5_S1B_jjP12ihipStream_tbEUljE_ZNSN_ISO_Lb0ESQ_SR_SQ_SR_SV_EESW_SX_SY_SZ_S13_S14_S15_S18_S19_jS1A_jS1B_S1B_jjS1D_bEUljE0_EEESW_SX_SY_S15_S19_S1B_T6_T7_T9_mT8_S1D_bDpT10_ENKUlT_T0_E_clISt17integral_constantIbLb0EES1R_EEDaS1M_S1N_EUlS1M_E_NS1_11comp_targetILNS1_3genE3ELNS1_11target_archE908ELNS1_3gpuE7ELNS1_3repE0EEENS1_30default_config_static_selectorELNS0_4arch9wavefront6targetE1EEEvSZ_: ; @_ZN7rocprim17ROCPRIM_400000_NS6detail17trampoline_kernelINS0_13select_configILj256ELj13ELNS0_17block_load_methodE3ELS4_3ELS4_3ELNS0_20block_scan_algorithmE0ELj4294967295EEENS1_25partition_config_selectorILNS1_17partition_subalgoE4EjNS0_10empty_typeEbEEZZNS1_14partition_implILS8_4ELb0ES6_15HIP_vector_typeIjLj2EENS0_17counting_iteratorIjlEEPS9_SG_NS0_5tupleIJPjSI_NS0_16reverse_iteratorISI_EEEEENSH_IJSG_SG_SG_EEES9_SI_JZNS1_25segmented_radix_sort_implINS0_14default_configELb0EPKlPlSQ_SR_N2at6native12_GLOBAL__N_18offset_tEEE10hipError_tPvRmT1_PNSt15iterator_traitsISZ_E10value_typeET2_T3_PNS10_IS15_E10value_typeET4_jRbjT5_S1B_jjP12ihipStream_tbEUljE_ZNSN_ISO_Lb0ESQ_SR_SQ_SR_SV_EESW_SX_SY_SZ_S13_S14_S15_S18_S19_jS1A_jS1B_S1B_jjS1D_bEUljE0_EEESW_SX_SY_S15_S19_S1B_T6_T7_T9_mT8_S1D_bDpT10_ENKUlT_T0_E_clISt17integral_constantIbLb0EES1R_EEDaS1M_S1N_EUlS1M_E_NS1_11comp_targetILNS1_3genE3ELNS1_11target_archE908ELNS1_3gpuE7ELNS1_3repE0EEENS1_30default_config_static_selectorELNS0_4arch9wavefront6targetE1EEEvSZ_
; %bb.0:
	.section	.rodata,"a",@progbits
	.p2align	6, 0x0
	.amdhsa_kernel _ZN7rocprim17ROCPRIM_400000_NS6detail17trampoline_kernelINS0_13select_configILj256ELj13ELNS0_17block_load_methodE3ELS4_3ELS4_3ELNS0_20block_scan_algorithmE0ELj4294967295EEENS1_25partition_config_selectorILNS1_17partition_subalgoE4EjNS0_10empty_typeEbEEZZNS1_14partition_implILS8_4ELb0ES6_15HIP_vector_typeIjLj2EENS0_17counting_iteratorIjlEEPS9_SG_NS0_5tupleIJPjSI_NS0_16reverse_iteratorISI_EEEEENSH_IJSG_SG_SG_EEES9_SI_JZNS1_25segmented_radix_sort_implINS0_14default_configELb0EPKlPlSQ_SR_N2at6native12_GLOBAL__N_18offset_tEEE10hipError_tPvRmT1_PNSt15iterator_traitsISZ_E10value_typeET2_T3_PNS10_IS15_E10value_typeET4_jRbjT5_S1B_jjP12ihipStream_tbEUljE_ZNSN_ISO_Lb0ESQ_SR_SQ_SR_SV_EESW_SX_SY_SZ_S13_S14_S15_S18_S19_jS1A_jS1B_S1B_jjS1D_bEUljE0_EEESW_SX_SY_S15_S19_S1B_T6_T7_T9_mT8_S1D_bDpT10_ENKUlT_T0_E_clISt17integral_constantIbLb0EES1R_EEDaS1M_S1N_EUlS1M_E_NS1_11comp_targetILNS1_3genE3ELNS1_11target_archE908ELNS1_3gpuE7ELNS1_3repE0EEENS1_30default_config_static_selectorELNS0_4arch9wavefront6targetE1EEEvSZ_
		.amdhsa_group_segment_fixed_size 0
		.amdhsa_private_segment_fixed_size 0
		.amdhsa_kernarg_size 176
		.amdhsa_user_sgpr_count 6
		.amdhsa_user_sgpr_private_segment_buffer 1
		.amdhsa_user_sgpr_dispatch_ptr 0
		.amdhsa_user_sgpr_queue_ptr 0
		.amdhsa_user_sgpr_kernarg_segment_ptr 1
		.amdhsa_user_sgpr_dispatch_id 0
		.amdhsa_user_sgpr_flat_scratch_init 0
		.amdhsa_user_sgpr_kernarg_preload_length 0
		.amdhsa_user_sgpr_kernarg_preload_offset 0
		.amdhsa_user_sgpr_private_segment_size 0
		.amdhsa_uses_dynamic_stack 0
		.amdhsa_system_sgpr_private_segment_wavefront_offset 0
		.amdhsa_system_sgpr_workgroup_id_x 1
		.amdhsa_system_sgpr_workgroup_id_y 0
		.amdhsa_system_sgpr_workgroup_id_z 0
		.amdhsa_system_sgpr_workgroup_info 0
		.amdhsa_system_vgpr_workitem_id 0
		.amdhsa_next_free_vgpr 1
		.amdhsa_next_free_sgpr 0
		.amdhsa_accum_offset 4
		.amdhsa_reserve_vcc 0
		.amdhsa_reserve_flat_scratch 0
		.amdhsa_float_round_mode_32 0
		.amdhsa_float_round_mode_16_64 0
		.amdhsa_float_denorm_mode_32 3
		.amdhsa_float_denorm_mode_16_64 3
		.amdhsa_dx10_clamp 1
		.amdhsa_ieee_mode 1
		.amdhsa_fp16_overflow 0
		.amdhsa_tg_split 0
		.amdhsa_exception_fp_ieee_invalid_op 0
		.amdhsa_exception_fp_denorm_src 0
		.amdhsa_exception_fp_ieee_div_zero 0
		.amdhsa_exception_fp_ieee_overflow 0
		.amdhsa_exception_fp_ieee_underflow 0
		.amdhsa_exception_fp_ieee_inexact 0
		.amdhsa_exception_int_div_zero 0
	.end_amdhsa_kernel
	.section	.text._ZN7rocprim17ROCPRIM_400000_NS6detail17trampoline_kernelINS0_13select_configILj256ELj13ELNS0_17block_load_methodE3ELS4_3ELS4_3ELNS0_20block_scan_algorithmE0ELj4294967295EEENS1_25partition_config_selectorILNS1_17partition_subalgoE4EjNS0_10empty_typeEbEEZZNS1_14partition_implILS8_4ELb0ES6_15HIP_vector_typeIjLj2EENS0_17counting_iteratorIjlEEPS9_SG_NS0_5tupleIJPjSI_NS0_16reverse_iteratorISI_EEEEENSH_IJSG_SG_SG_EEES9_SI_JZNS1_25segmented_radix_sort_implINS0_14default_configELb0EPKlPlSQ_SR_N2at6native12_GLOBAL__N_18offset_tEEE10hipError_tPvRmT1_PNSt15iterator_traitsISZ_E10value_typeET2_T3_PNS10_IS15_E10value_typeET4_jRbjT5_S1B_jjP12ihipStream_tbEUljE_ZNSN_ISO_Lb0ESQ_SR_SQ_SR_SV_EESW_SX_SY_SZ_S13_S14_S15_S18_S19_jS1A_jS1B_S1B_jjS1D_bEUljE0_EEESW_SX_SY_S15_S19_S1B_T6_T7_T9_mT8_S1D_bDpT10_ENKUlT_T0_E_clISt17integral_constantIbLb0EES1R_EEDaS1M_S1N_EUlS1M_E_NS1_11comp_targetILNS1_3genE3ELNS1_11target_archE908ELNS1_3gpuE7ELNS1_3repE0EEENS1_30default_config_static_selectorELNS0_4arch9wavefront6targetE1EEEvSZ_,"axG",@progbits,_ZN7rocprim17ROCPRIM_400000_NS6detail17trampoline_kernelINS0_13select_configILj256ELj13ELNS0_17block_load_methodE3ELS4_3ELS4_3ELNS0_20block_scan_algorithmE0ELj4294967295EEENS1_25partition_config_selectorILNS1_17partition_subalgoE4EjNS0_10empty_typeEbEEZZNS1_14partition_implILS8_4ELb0ES6_15HIP_vector_typeIjLj2EENS0_17counting_iteratorIjlEEPS9_SG_NS0_5tupleIJPjSI_NS0_16reverse_iteratorISI_EEEEENSH_IJSG_SG_SG_EEES9_SI_JZNS1_25segmented_radix_sort_implINS0_14default_configELb0EPKlPlSQ_SR_N2at6native12_GLOBAL__N_18offset_tEEE10hipError_tPvRmT1_PNSt15iterator_traitsISZ_E10value_typeET2_T3_PNS10_IS15_E10value_typeET4_jRbjT5_S1B_jjP12ihipStream_tbEUljE_ZNSN_ISO_Lb0ESQ_SR_SQ_SR_SV_EESW_SX_SY_SZ_S13_S14_S15_S18_S19_jS1A_jS1B_S1B_jjS1D_bEUljE0_EEESW_SX_SY_S15_S19_S1B_T6_T7_T9_mT8_S1D_bDpT10_ENKUlT_T0_E_clISt17integral_constantIbLb0EES1R_EEDaS1M_S1N_EUlS1M_E_NS1_11comp_targetILNS1_3genE3ELNS1_11target_archE908ELNS1_3gpuE7ELNS1_3repE0EEENS1_30default_config_static_selectorELNS0_4arch9wavefront6targetE1EEEvSZ_,comdat
.Lfunc_end746:
	.size	_ZN7rocprim17ROCPRIM_400000_NS6detail17trampoline_kernelINS0_13select_configILj256ELj13ELNS0_17block_load_methodE3ELS4_3ELS4_3ELNS0_20block_scan_algorithmE0ELj4294967295EEENS1_25partition_config_selectorILNS1_17partition_subalgoE4EjNS0_10empty_typeEbEEZZNS1_14partition_implILS8_4ELb0ES6_15HIP_vector_typeIjLj2EENS0_17counting_iteratorIjlEEPS9_SG_NS0_5tupleIJPjSI_NS0_16reverse_iteratorISI_EEEEENSH_IJSG_SG_SG_EEES9_SI_JZNS1_25segmented_radix_sort_implINS0_14default_configELb0EPKlPlSQ_SR_N2at6native12_GLOBAL__N_18offset_tEEE10hipError_tPvRmT1_PNSt15iterator_traitsISZ_E10value_typeET2_T3_PNS10_IS15_E10value_typeET4_jRbjT5_S1B_jjP12ihipStream_tbEUljE_ZNSN_ISO_Lb0ESQ_SR_SQ_SR_SV_EESW_SX_SY_SZ_S13_S14_S15_S18_S19_jS1A_jS1B_S1B_jjS1D_bEUljE0_EEESW_SX_SY_S15_S19_S1B_T6_T7_T9_mT8_S1D_bDpT10_ENKUlT_T0_E_clISt17integral_constantIbLb0EES1R_EEDaS1M_S1N_EUlS1M_E_NS1_11comp_targetILNS1_3genE3ELNS1_11target_archE908ELNS1_3gpuE7ELNS1_3repE0EEENS1_30default_config_static_selectorELNS0_4arch9wavefront6targetE1EEEvSZ_, .Lfunc_end746-_ZN7rocprim17ROCPRIM_400000_NS6detail17trampoline_kernelINS0_13select_configILj256ELj13ELNS0_17block_load_methodE3ELS4_3ELS4_3ELNS0_20block_scan_algorithmE0ELj4294967295EEENS1_25partition_config_selectorILNS1_17partition_subalgoE4EjNS0_10empty_typeEbEEZZNS1_14partition_implILS8_4ELb0ES6_15HIP_vector_typeIjLj2EENS0_17counting_iteratorIjlEEPS9_SG_NS0_5tupleIJPjSI_NS0_16reverse_iteratorISI_EEEEENSH_IJSG_SG_SG_EEES9_SI_JZNS1_25segmented_radix_sort_implINS0_14default_configELb0EPKlPlSQ_SR_N2at6native12_GLOBAL__N_18offset_tEEE10hipError_tPvRmT1_PNSt15iterator_traitsISZ_E10value_typeET2_T3_PNS10_IS15_E10value_typeET4_jRbjT5_S1B_jjP12ihipStream_tbEUljE_ZNSN_ISO_Lb0ESQ_SR_SQ_SR_SV_EESW_SX_SY_SZ_S13_S14_S15_S18_S19_jS1A_jS1B_S1B_jjS1D_bEUljE0_EEESW_SX_SY_S15_S19_S1B_T6_T7_T9_mT8_S1D_bDpT10_ENKUlT_T0_E_clISt17integral_constantIbLb0EES1R_EEDaS1M_S1N_EUlS1M_E_NS1_11comp_targetILNS1_3genE3ELNS1_11target_archE908ELNS1_3gpuE7ELNS1_3repE0EEENS1_30default_config_static_selectorELNS0_4arch9wavefront6targetE1EEEvSZ_
                                        ; -- End function
	.section	.AMDGPU.csdata,"",@progbits
; Kernel info:
; codeLenInByte = 0
; NumSgprs: 4
; NumVgprs: 0
; NumAgprs: 0
; TotalNumVgprs: 0
; ScratchSize: 0
; MemoryBound: 0
; FloatMode: 240
; IeeeMode: 1
; LDSByteSize: 0 bytes/workgroup (compile time only)
; SGPRBlocks: 0
; VGPRBlocks: 0
; NumSGPRsForWavesPerEU: 4
; NumVGPRsForWavesPerEU: 1
; AccumOffset: 4
; Occupancy: 8
; WaveLimiterHint : 0
; COMPUTE_PGM_RSRC2:SCRATCH_EN: 0
; COMPUTE_PGM_RSRC2:USER_SGPR: 6
; COMPUTE_PGM_RSRC2:TRAP_HANDLER: 0
; COMPUTE_PGM_RSRC2:TGID_X_EN: 1
; COMPUTE_PGM_RSRC2:TGID_Y_EN: 0
; COMPUTE_PGM_RSRC2:TGID_Z_EN: 0
; COMPUTE_PGM_RSRC2:TIDIG_COMP_CNT: 0
; COMPUTE_PGM_RSRC3_GFX90A:ACCUM_OFFSET: 0
; COMPUTE_PGM_RSRC3_GFX90A:TG_SPLIT: 0
	.section	.text._ZN7rocprim17ROCPRIM_400000_NS6detail17trampoline_kernelINS0_13select_configILj256ELj13ELNS0_17block_load_methodE3ELS4_3ELS4_3ELNS0_20block_scan_algorithmE0ELj4294967295EEENS1_25partition_config_selectorILNS1_17partition_subalgoE4EjNS0_10empty_typeEbEEZZNS1_14partition_implILS8_4ELb0ES6_15HIP_vector_typeIjLj2EENS0_17counting_iteratorIjlEEPS9_SG_NS0_5tupleIJPjSI_NS0_16reverse_iteratorISI_EEEEENSH_IJSG_SG_SG_EEES9_SI_JZNS1_25segmented_radix_sort_implINS0_14default_configELb0EPKlPlSQ_SR_N2at6native12_GLOBAL__N_18offset_tEEE10hipError_tPvRmT1_PNSt15iterator_traitsISZ_E10value_typeET2_T3_PNS10_IS15_E10value_typeET4_jRbjT5_S1B_jjP12ihipStream_tbEUljE_ZNSN_ISO_Lb0ESQ_SR_SQ_SR_SV_EESW_SX_SY_SZ_S13_S14_S15_S18_S19_jS1A_jS1B_S1B_jjS1D_bEUljE0_EEESW_SX_SY_S15_S19_S1B_T6_T7_T9_mT8_S1D_bDpT10_ENKUlT_T0_E_clISt17integral_constantIbLb0EES1R_EEDaS1M_S1N_EUlS1M_E_NS1_11comp_targetILNS1_3genE2ELNS1_11target_archE906ELNS1_3gpuE6ELNS1_3repE0EEENS1_30default_config_static_selectorELNS0_4arch9wavefront6targetE1EEEvSZ_,"axG",@progbits,_ZN7rocprim17ROCPRIM_400000_NS6detail17trampoline_kernelINS0_13select_configILj256ELj13ELNS0_17block_load_methodE3ELS4_3ELS4_3ELNS0_20block_scan_algorithmE0ELj4294967295EEENS1_25partition_config_selectorILNS1_17partition_subalgoE4EjNS0_10empty_typeEbEEZZNS1_14partition_implILS8_4ELb0ES6_15HIP_vector_typeIjLj2EENS0_17counting_iteratorIjlEEPS9_SG_NS0_5tupleIJPjSI_NS0_16reverse_iteratorISI_EEEEENSH_IJSG_SG_SG_EEES9_SI_JZNS1_25segmented_radix_sort_implINS0_14default_configELb0EPKlPlSQ_SR_N2at6native12_GLOBAL__N_18offset_tEEE10hipError_tPvRmT1_PNSt15iterator_traitsISZ_E10value_typeET2_T3_PNS10_IS15_E10value_typeET4_jRbjT5_S1B_jjP12ihipStream_tbEUljE_ZNSN_ISO_Lb0ESQ_SR_SQ_SR_SV_EESW_SX_SY_SZ_S13_S14_S15_S18_S19_jS1A_jS1B_S1B_jjS1D_bEUljE0_EEESW_SX_SY_S15_S19_S1B_T6_T7_T9_mT8_S1D_bDpT10_ENKUlT_T0_E_clISt17integral_constantIbLb0EES1R_EEDaS1M_S1N_EUlS1M_E_NS1_11comp_targetILNS1_3genE2ELNS1_11target_archE906ELNS1_3gpuE6ELNS1_3repE0EEENS1_30default_config_static_selectorELNS0_4arch9wavefront6targetE1EEEvSZ_,comdat
	.globl	_ZN7rocprim17ROCPRIM_400000_NS6detail17trampoline_kernelINS0_13select_configILj256ELj13ELNS0_17block_load_methodE3ELS4_3ELS4_3ELNS0_20block_scan_algorithmE0ELj4294967295EEENS1_25partition_config_selectorILNS1_17partition_subalgoE4EjNS0_10empty_typeEbEEZZNS1_14partition_implILS8_4ELb0ES6_15HIP_vector_typeIjLj2EENS0_17counting_iteratorIjlEEPS9_SG_NS0_5tupleIJPjSI_NS0_16reverse_iteratorISI_EEEEENSH_IJSG_SG_SG_EEES9_SI_JZNS1_25segmented_radix_sort_implINS0_14default_configELb0EPKlPlSQ_SR_N2at6native12_GLOBAL__N_18offset_tEEE10hipError_tPvRmT1_PNSt15iterator_traitsISZ_E10value_typeET2_T3_PNS10_IS15_E10value_typeET4_jRbjT5_S1B_jjP12ihipStream_tbEUljE_ZNSN_ISO_Lb0ESQ_SR_SQ_SR_SV_EESW_SX_SY_SZ_S13_S14_S15_S18_S19_jS1A_jS1B_S1B_jjS1D_bEUljE0_EEESW_SX_SY_S15_S19_S1B_T6_T7_T9_mT8_S1D_bDpT10_ENKUlT_T0_E_clISt17integral_constantIbLb0EES1R_EEDaS1M_S1N_EUlS1M_E_NS1_11comp_targetILNS1_3genE2ELNS1_11target_archE906ELNS1_3gpuE6ELNS1_3repE0EEENS1_30default_config_static_selectorELNS0_4arch9wavefront6targetE1EEEvSZ_ ; -- Begin function _ZN7rocprim17ROCPRIM_400000_NS6detail17trampoline_kernelINS0_13select_configILj256ELj13ELNS0_17block_load_methodE3ELS4_3ELS4_3ELNS0_20block_scan_algorithmE0ELj4294967295EEENS1_25partition_config_selectorILNS1_17partition_subalgoE4EjNS0_10empty_typeEbEEZZNS1_14partition_implILS8_4ELb0ES6_15HIP_vector_typeIjLj2EENS0_17counting_iteratorIjlEEPS9_SG_NS0_5tupleIJPjSI_NS0_16reverse_iteratorISI_EEEEENSH_IJSG_SG_SG_EEES9_SI_JZNS1_25segmented_radix_sort_implINS0_14default_configELb0EPKlPlSQ_SR_N2at6native12_GLOBAL__N_18offset_tEEE10hipError_tPvRmT1_PNSt15iterator_traitsISZ_E10value_typeET2_T3_PNS10_IS15_E10value_typeET4_jRbjT5_S1B_jjP12ihipStream_tbEUljE_ZNSN_ISO_Lb0ESQ_SR_SQ_SR_SV_EESW_SX_SY_SZ_S13_S14_S15_S18_S19_jS1A_jS1B_S1B_jjS1D_bEUljE0_EEESW_SX_SY_S15_S19_S1B_T6_T7_T9_mT8_S1D_bDpT10_ENKUlT_T0_E_clISt17integral_constantIbLb0EES1R_EEDaS1M_S1N_EUlS1M_E_NS1_11comp_targetILNS1_3genE2ELNS1_11target_archE906ELNS1_3gpuE6ELNS1_3repE0EEENS1_30default_config_static_selectorELNS0_4arch9wavefront6targetE1EEEvSZ_
	.p2align	8
	.type	_ZN7rocprim17ROCPRIM_400000_NS6detail17trampoline_kernelINS0_13select_configILj256ELj13ELNS0_17block_load_methodE3ELS4_3ELS4_3ELNS0_20block_scan_algorithmE0ELj4294967295EEENS1_25partition_config_selectorILNS1_17partition_subalgoE4EjNS0_10empty_typeEbEEZZNS1_14partition_implILS8_4ELb0ES6_15HIP_vector_typeIjLj2EENS0_17counting_iteratorIjlEEPS9_SG_NS0_5tupleIJPjSI_NS0_16reverse_iteratorISI_EEEEENSH_IJSG_SG_SG_EEES9_SI_JZNS1_25segmented_radix_sort_implINS0_14default_configELb0EPKlPlSQ_SR_N2at6native12_GLOBAL__N_18offset_tEEE10hipError_tPvRmT1_PNSt15iterator_traitsISZ_E10value_typeET2_T3_PNS10_IS15_E10value_typeET4_jRbjT5_S1B_jjP12ihipStream_tbEUljE_ZNSN_ISO_Lb0ESQ_SR_SQ_SR_SV_EESW_SX_SY_SZ_S13_S14_S15_S18_S19_jS1A_jS1B_S1B_jjS1D_bEUljE0_EEESW_SX_SY_S15_S19_S1B_T6_T7_T9_mT8_S1D_bDpT10_ENKUlT_T0_E_clISt17integral_constantIbLb0EES1R_EEDaS1M_S1N_EUlS1M_E_NS1_11comp_targetILNS1_3genE2ELNS1_11target_archE906ELNS1_3gpuE6ELNS1_3repE0EEENS1_30default_config_static_selectorELNS0_4arch9wavefront6targetE1EEEvSZ_,@function
_ZN7rocprim17ROCPRIM_400000_NS6detail17trampoline_kernelINS0_13select_configILj256ELj13ELNS0_17block_load_methodE3ELS4_3ELS4_3ELNS0_20block_scan_algorithmE0ELj4294967295EEENS1_25partition_config_selectorILNS1_17partition_subalgoE4EjNS0_10empty_typeEbEEZZNS1_14partition_implILS8_4ELb0ES6_15HIP_vector_typeIjLj2EENS0_17counting_iteratorIjlEEPS9_SG_NS0_5tupleIJPjSI_NS0_16reverse_iteratorISI_EEEEENSH_IJSG_SG_SG_EEES9_SI_JZNS1_25segmented_radix_sort_implINS0_14default_configELb0EPKlPlSQ_SR_N2at6native12_GLOBAL__N_18offset_tEEE10hipError_tPvRmT1_PNSt15iterator_traitsISZ_E10value_typeET2_T3_PNS10_IS15_E10value_typeET4_jRbjT5_S1B_jjP12ihipStream_tbEUljE_ZNSN_ISO_Lb0ESQ_SR_SQ_SR_SV_EESW_SX_SY_SZ_S13_S14_S15_S18_S19_jS1A_jS1B_S1B_jjS1D_bEUljE0_EEESW_SX_SY_S15_S19_S1B_T6_T7_T9_mT8_S1D_bDpT10_ENKUlT_T0_E_clISt17integral_constantIbLb0EES1R_EEDaS1M_S1N_EUlS1M_E_NS1_11comp_targetILNS1_3genE2ELNS1_11target_archE906ELNS1_3gpuE6ELNS1_3repE0EEENS1_30default_config_static_selectorELNS0_4arch9wavefront6targetE1EEEvSZ_: ; @_ZN7rocprim17ROCPRIM_400000_NS6detail17trampoline_kernelINS0_13select_configILj256ELj13ELNS0_17block_load_methodE3ELS4_3ELS4_3ELNS0_20block_scan_algorithmE0ELj4294967295EEENS1_25partition_config_selectorILNS1_17partition_subalgoE4EjNS0_10empty_typeEbEEZZNS1_14partition_implILS8_4ELb0ES6_15HIP_vector_typeIjLj2EENS0_17counting_iteratorIjlEEPS9_SG_NS0_5tupleIJPjSI_NS0_16reverse_iteratorISI_EEEEENSH_IJSG_SG_SG_EEES9_SI_JZNS1_25segmented_radix_sort_implINS0_14default_configELb0EPKlPlSQ_SR_N2at6native12_GLOBAL__N_18offset_tEEE10hipError_tPvRmT1_PNSt15iterator_traitsISZ_E10value_typeET2_T3_PNS10_IS15_E10value_typeET4_jRbjT5_S1B_jjP12ihipStream_tbEUljE_ZNSN_ISO_Lb0ESQ_SR_SQ_SR_SV_EESW_SX_SY_SZ_S13_S14_S15_S18_S19_jS1A_jS1B_S1B_jjS1D_bEUljE0_EEESW_SX_SY_S15_S19_S1B_T6_T7_T9_mT8_S1D_bDpT10_ENKUlT_T0_E_clISt17integral_constantIbLb0EES1R_EEDaS1M_S1N_EUlS1M_E_NS1_11comp_targetILNS1_3genE2ELNS1_11target_archE906ELNS1_3gpuE6ELNS1_3repE0EEENS1_30default_config_static_selectorELNS0_4arch9wavefront6targetE1EEEvSZ_
; %bb.0:
	.section	.rodata,"a",@progbits
	.p2align	6, 0x0
	.amdhsa_kernel _ZN7rocprim17ROCPRIM_400000_NS6detail17trampoline_kernelINS0_13select_configILj256ELj13ELNS0_17block_load_methodE3ELS4_3ELS4_3ELNS0_20block_scan_algorithmE0ELj4294967295EEENS1_25partition_config_selectorILNS1_17partition_subalgoE4EjNS0_10empty_typeEbEEZZNS1_14partition_implILS8_4ELb0ES6_15HIP_vector_typeIjLj2EENS0_17counting_iteratorIjlEEPS9_SG_NS0_5tupleIJPjSI_NS0_16reverse_iteratorISI_EEEEENSH_IJSG_SG_SG_EEES9_SI_JZNS1_25segmented_radix_sort_implINS0_14default_configELb0EPKlPlSQ_SR_N2at6native12_GLOBAL__N_18offset_tEEE10hipError_tPvRmT1_PNSt15iterator_traitsISZ_E10value_typeET2_T3_PNS10_IS15_E10value_typeET4_jRbjT5_S1B_jjP12ihipStream_tbEUljE_ZNSN_ISO_Lb0ESQ_SR_SQ_SR_SV_EESW_SX_SY_SZ_S13_S14_S15_S18_S19_jS1A_jS1B_S1B_jjS1D_bEUljE0_EEESW_SX_SY_S15_S19_S1B_T6_T7_T9_mT8_S1D_bDpT10_ENKUlT_T0_E_clISt17integral_constantIbLb0EES1R_EEDaS1M_S1N_EUlS1M_E_NS1_11comp_targetILNS1_3genE2ELNS1_11target_archE906ELNS1_3gpuE6ELNS1_3repE0EEENS1_30default_config_static_selectorELNS0_4arch9wavefront6targetE1EEEvSZ_
		.amdhsa_group_segment_fixed_size 0
		.amdhsa_private_segment_fixed_size 0
		.amdhsa_kernarg_size 176
		.amdhsa_user_sgpr_count 6
		.amdhsa_user_sgpr_private_segment_buffer 1
		.amdhsa_user_sgpr_dispatch_ptr 0
		.amdhsa_user_sgpr_queue_ptr 0
		.amdhsa_user_sgpr_kernarg_segment_ptr 1
		.amdhsa_user_sgpr_dispatch_id 0
		.amdhsa_user_sgpr_flat_scratch_init 0
		.amdhsa_user_sgpr_kernarg_preload_length 0
		.amdhsa_user_sgpr_kernarg_preload_offset 0
		.amdhsa_user_sgpr_private_segment_size 0
		.amdhsa_uses_dynamic_stack 0
		.amdhsa_system_sgpr_private_segment_wavefront_offset 0
		.amdhsa_system_sgpr_workgroup_id_x 1
		.amdhsa_system_sgpr_workgroup_id_y 0
		.amdhsa_system_sgpr_workgroup_id_z 0
		.amdhsa_system_sgpr_workgroup_info 0
		.amdhsa_system_vgpr_workitem_id 0
		.amdhsa_next_free_vgpr 1
		.amdhsa_next_free_sgpr 0
		.amdhsa_accum_offset 4
		.amdhsa_reserve_vcc 0
		.amdhsa_reserve_flat_scratch 0
		.amdhsa_float_round_mode_32 0
		.amdhsa_float_round_mode_16_64 0
		.amdhsa_float_denorm_mode_32 3
		.amdhsa_float_denorm_mode_16_64 3
		.amdhsa_dx10_clamp 1
		.amdhsa_ieee_mode 1
		.amdhsa_fp16_overflow 0
		.amdhsa_tg_split 0
		.amdhsa_exception_fp_ieee_invalid_op 0
		.amdhsa_exception_fp_denorm_src 0
		.amdhsa_exception_fp_ieee_div_zero 0
		.amdhsa_exception_fp_ieee_overflow 0
		.amdhsa_exception_fp_ieee_underflow 0
		.amdhsa_exception_fp_ieee_inexact 0
		.amdhsa_exception_int_div_zero 0
	.end_amdhsa_kernel
	.section	.text._ZN7rocprim17ROCPRIM_400000_NS6detail17trampoline_kernelINS0_13select_configILj256ELj13ELNS0_17block_load_methodE3ELS4_3ELS4_3ELNS0_20block_scan_algorithmE0ELj4294967295EEENS1_25partition_config_selectorILNS1_17partition_subalgoE4EjNS0_10empty_typeEbEEZZNS1_14partition_implILS8_4ELb0ES6_15HIP_vector_typeIjLj2EENS0_17counting_iteratorIjlEEPS9_SG_NS0_5tupleIJPjSI_NS0_16reverse_iteratorISI_EEEEENSH_IJSG_SG_SG_EEES9_SI_JZNS1_25segmented_radix_sort_implINS0_14default_configELb0EPKlPlSQ_SR_N2at6native12_GLOBAL__N_18offset_tEEE10hipError_tPvRmT1_PNSt15iterator_traitsISZ_E10value_typeET2_T3_PNS10_IS15_E10value_typeET4_jRbjT5_S1B_jjP12ihipStream_tbEUljE_ZNSN_ISO_Lb0ESQ_SR_SQ_SR_SV_EESW_SX_SY_SZ_S13_S14_S15_S18_S19_jS1A_jS1B_S1B_jjS1D_bEUljE0_EEESW_SX_SY_S15_S19_S1B_T6_T7_T9_mT8_S1D_bDpT10_ENKUlT_T0_E_clISt17integral_constantIbLb0EES1R_EEDaS1M_S1N_EUlS1M_E_NS1_11comp_targetILNS1_3genE2ELNS1_11target_archE906ELNS1_3gpuE6ELNS1_3repE0EEENS1_30default_config_static_selectorELNS0_4arch9wavefront6targetE1EEEvSZ_,"axG",@progbits,_ZN7rocprim17ROCPRIM_400000_NS6detail17trampoline_kernelINS0_13select_configILj256ELj13ELNS0_17block_load_methodE3ELS4_3ELS4_3ELNS0_20block_scan_algorithmE0ELj4294967295EEENS1_25partition_config_selectorILNS1_17partition_subalgoE4EjNS0_10empty_typeEbEEZZNS1_14partition_implILS8_4ELb0ES6_15HIP_vector_typeIjLj2EENS0_17counting_iteratorIjlEEPS9_SG_NS0_5tupleIJPjSI_NS0_16reverse_iteratorISI_EEEEENSH_IJSG_SG_SG_EEES9_SI_JZNS1_25segmented_radix_sort_implINS0_14default_configELb0EPKlPlSQ_SR_N2at6native12_GLOBAL__N_18offset_tEEE10hipError_tPvRmT1_PNSt15iterator_traitsISZ_E10value_typeET2_T3_PNS10_IS15_E10value_typeET4_jRbjT5_S1B_jjP12ihipStream_tbEUljE_ZNSN_ISO_Lb0ESQ_SR_SQ_SR_SV_EESW_SX_SY_SZ_S13_S14_S15_S18_S19_jS1A_jS1B_S1B_jjS1D_bEUljE0_EEESW_SX_SY_S15_S19_S1B_T6_T7_T9_mT8_S1D_bDpT10_ENKUlT_T0_E_clISt17integral_constantIbLb0EES1R_EEDaS1M_S1N_EUlS1M_E_NS1_11comp_targetILNS1_3genE2ELNS1_11target_archE906ELNS1_3gpuE6ELNS1_3repE0EEENS1_30default_config_static_selectorELNS0_4arch9wavefront6targetE1EEEvSZ_,comdat
.Lfunc_end747:
	.size	_ZN7rocprim17ROCPRIM_400000_NS6detail17trampoline_kernelINS0_13select_configILj256ELj13ELNS0_17block_load_methodE3ELS4_3ELS4_3ELNS0_20block_scan_algorithmE0ELj4294967295EEENS1_25partition_config_selectorILNS1_17partition_subalgoE4EjNS0_10empty_typeEbEEZZNS1_14partition_implILS8_4ELb0ES6_15HIP_vector_typeIjLj2EENS0_17counting_iteratorIjlEEPS9_SG_NS0_5tupleIJPjSI_NS0_16reverse_iteratorISI_EEEEENSH_IJSG_SG_SG_EEES9_SI_JZNS1_25segmented_radix_sort_implINS0_14default_configELb0EPKlPlSQ_SR_N2at6native12_GLOBAL__N_18offset_tEEE10hipError_tPvRmT1_PNSt15iterator_traitsISZ_E10value_typeET2_T3_PNS10_IS15_E10value_typeET4_jRbjT5_S1B_jjP12ihipStream_tbEUljE_ZNSN_ISO_Lb0ESQ_SR_SQ_SR_SV_EESW_SX_SY_SZ_S13_S14_S15_S18_S19_jS1A_jS1B_S1B_jjS1D_bEUljE0_EEESW_SX_SY_S15_S19_S1B_T6_T7_T9_mT8_S1D_bDpT10_ENKUlT_T0_E_clISt17integral_constantIbLb0EES1R_EEDaS1M_S1N_EUlS1M_E_NS1_11comp_targetILNS1_3genE2ELNS1_11target_archE906ELNS1_3gpuE6ELNS1_3repE0EEENS1_30default_config_static_selectorELNS0_4arch9wavefront6targetE1EEEvSZ_, .Lfunc_end747-_ZN7rocprim17ROCPRIM_400000_NS6detail17trampoline_kernelINS0_13select_configILj256ELj13ELNS0_17block_load_methodE3ELS4_3ELS4_3ELNS0_20block_scan_algorithmE0ELj4294967295EEENS1_25partition_config_selectorILNS1_17partition_subalgoE4EjNS0_10empty_typeEbEEZZNS1_14partition_implILS8_4ELb0ES6_15HIP_vector_typeIjLj2EENS0_17counting_iteratorIjlEEPS9_SG_NS0_5tupleIJPjSI_NS0_16reverse_iteratorISI_EEEEENSH_IJSG_SG_SG_EEES9_SI_JZNS1_25segmented_radix_sort_implINS0_14default_configELb0EPKlPlSQ_SR_N2at6native12_GLOBAL__N_18offset_tEEE10hipError_tPvRmT1_PNSt15iterator_traitsISZ_E10value_typeET2_T3_PNS10_IS15_E10value_typeET4_jRbjT5_S1B_jjP12ihipStream_tbEUljE_ZNSN_ISO_Lb0ESQ_SR_SQ_SR_SV_EESW_SX_SY_SZ_S13_S14_S15_S18_S19_jS1A_jS1B_S1B_jjS1D_bEUljE0_EEESW_SX_SY_S15_S19_S1B_T6_T7_T9_mT8_S1D_bDpT10_ENKUlT_T0_E_clISt17integral_constantIbLb0EES1R_EEDaS1M_S1N_EUlS1M_E_NS1_11comp_targetILNS1_3genE2ELNS1_11target_archE906ELNS1_3gpuE6ELNS1_3repE0EEENS1_30default_config_static_selectorELNS0_4arch9wavefront6targetE1EEEvSZ_
                                        ; -- End function
	.section	.AMDGPU.csdata,"",@progbits
; Kernel info:
; codeLenInByte = 0
; NumSgprs: 4
; NumVgprs: 0
; NumAgprs: 0
; TotalNumVgprs: 0
; ScratchSize: 0
; MemoryBound: 0
; FloatMode: 240
; IeeeMode: 1
; LDSByteSize: 0 bytes/workgroup (compile time only)
; SGPRBlocks: 0
; VGPRBlocks: 0
; NumSGPRsForWavesPerEU: 4
; NumVGPRsForWavesPerEU: 1
; AccumOffset: 4
; Occupancy: 8
; WaveLimiterHint : 0
; COMPUTE_PGM_RSRC2:SCRATCH_EN: 0
; COMPUTE_PGM_RSRC2:USER_SGPR: 6
; COMPUTE_PGM_RSRC2:TRAP_HANDLER: 0
; COMPUTE_PGM_RSRC2:TGID_X_EN: 1
; COMPUTE_PGM_RSRC2:TGID_Y_EN: 0
; COMPUTE_PGM_RSRC2:TGID_Z_EN: 0
; COMPUTE_PGM_RSRC2:TIDIG_COMP_CNT: 0
; COMPUTE_PGM_RSRC3_GFX90A:ACCUM_OFFSET: 0
; COMPUTE_PGM_RSRC3_GFX90A:TG_SPLIT: 0
	.section	.text._ZN7rocprim17ROCPRIM_400000_NS6detail17trampoline_kernelINS0_13select_configILj256ELj13ELNS0_17block_load_methodE3ELS4_3ELS4_3ELNS0_20block_scan_algorithmE0ELj4294967295EEENS1_25partition_config_selectorILNS1_17partition_subalgoE4EjNS0_10empty_typeEbEEZZNS1_14partition_implILS8_4ELb0ES6_15HIP_vector_typeIjLj2EENS0_17counting_iteratorIjlEEPS9_SG_NS0_5tupleIJPjSI_NS0_16reverse_iteratorISI_EEEEENSH_IJSG_SG_SG_EEES9_SI_JZNS1_25segmented_radix_sort_implINS0_14default_configELb0EPKlPlSQ_SR_N2at6native12_GLOBAL__N_18offset_tEEE10hipError_tPvRmT1_PNSt15iterator_traitsISZ_E10value_typeET2_T3_PNS10_IS15_E10value_typeET4_jRbjT5_S1B_jjP12ihipStream_tbEUljE_ZNSN_ISO_Lb0ESQ_SR_SQ_SR_SV_EESW_SX_SY_SZ_S13_S14_S15_S18_S19_jS1A_jS1B_S1B_jjS1D_bEUljE0_EEESW_SX_SY_S15_S19_S1B_T6_T7_T9_mT8_S1D_bDpT10_ENKUlT_T0_E_clISt17integral_constantIbLb0EES1R_EEDaS1M_S1N_EUlS1M_E_NS1_11comp_targetILNS1_3genE10ELNS1_11target_archE1200ELNS1_3gpuE4ELNS1_3repE0EEENS1_30default_config_static_selectorELNS0_4arch9wavefront6targetE1EEEvSZ_,"axG",@progbits,_ZN7rocprim17ROCPRIM_400000_NS6detail17trampoline_kernelINS0_13select_configILj256ELj13ELNS0_17block_load_methodE3ELS4_3ELS4_3ELNS0_20block_scan_algorithmE0ELj4294967295EEENS1_25partition_config_selectorILNS1_17partition_subalgoE4EjNS0_10empty_typeEbEEZZNS1_14partition_implILS8_4ELb0ES6_15HIP_vector_typeIjLj2EENS0_17counting_iteratorIjlEEPS9_SG_NS0_5tupleIJPjSI_NS0_16reverse_iteratorISI_EEEEENSH_IJSG_SG_SG_EEES9_SI_JZNS1_25segmented_radix_sort_implINS0_14default_configELb0EPKlPlSQ_SR_N2at6native12_GLOBAL__N_18offset_tEEE10hipError_tPvRmT1_PNSt15iterator_traitsISZ_E10value_typeET2_T3_PNS10_IS15_E10value_typeET4_jRbjT5_S1B_jjP12ihipStream_tbEUljE_ZNSN_ISO_Lb0ESQ_SR_SQ_SR_SV_EESW_SX_SY_SZ_S13_S14_S15_S18_S19_jS1A_jS1B_S1B_jjS1D_bEUljE0_EEESW_SX_SY_S15_S19_S1B_T6_T7_T9_mT8_S1D_bDpT10_ENKUlT_T0_E_clISt17integral_constantIbLb0EES1R_EEDaS1M_S1N_EUlS1M_E_NS1_11comp_targetILNS1_3genE10ELNS1_11target_archE1200ELNS1_3gpuE4ELNS1_3repE0EEENS1_30default_config_static_selectorELNS0_4arch9wavefront6targetE1EEEvSZ_,comdat
	.globl	_ZN7rocprim17ROCPRIM_400000_NS6detail17trampoline_kernelINS0_13select_configILj256ELj13ELNS0_17block_load_methodE3ELS4_3ELS4_3ELNS0_20block_scan_algorithmE0ELj4294967295EEENS1_25partition_config_selectorILNS1_17partition_subalgoE4EjNS0_10empty_typeEbEEZZNS1_14partition_implILS8_4ELb0ES6_15HIP_vector_typeIjLj2EENS0_17counting_iteratorIjlEEPS9_SG_NS0_5tupleIJPjSI_NS0_16reverse_iteratorISI_EEEEENSH_IJSG_SG_SG_EEES9_SI_JZNS1_25segmented_radix_sort_implINS0_14default_configELb0EPKlPlSQ_SR_N2at6native12_GLOBAL__N_18offset_tEEE10hipError_tPvRmT1_PNSt15iterator_traitsISZ_E10value_typeET2_T3_PNS10_IS15_E10value_typeET4_jRbjT5_S1B_jjP12ihipStream_tbEUljE_ZNSN_ISO_Lb0ESQ_SR_SQ_SR_SV_EESW_SX_SY_SZ_S13_S14_S15_S18_S19_jS1A_jS1B_S1B_jjS1D_bEUljE0_EEESW_SX_SY_S15_S19_S1B_T6_T7_T9_mT8_S1D_bDpT10_ENKUlT_T0_E_clISt17integral_constantIbLb0EES1R_EEDaS1M_S1N_EUlS1M_E_NS1_11comp_targetILNS1_3genE10ELNS1_11target_archE1200ELNS1_3gpuE4ELNS1_3repE0EEENS1_30default_config_static_selectorELNS0_4arch9wavefront6targetE1EEEvSZ_ ; -- Begin function _ZN7rocprim17ROCPRIM_400000_NS6detail17trampoline_kernelINS0_13select_configILj256ELj13ELNS0_17block_load_methodE3ELS4_3ELS4_3ELNS0_20block_scan_algorithmE0ELj4294967295EEENS1_25partition_config_selectorILNS1_17partition_subalgoE4EjNS0_10empty_typeEbEEZZNS1_14partition_implILS8_4ELb0ES6_15HIP_vector_typeIjLj2EENS0_17counting_iteratorIjlEEPS9_SG_NS0_5tupleIJPjSI_NS0_16reverse_iteratorISI_EEEEENSH_IJSG_SG_SG_EEES9_SI_JZNS1_25segmented_radix_sort_implINS0_14default_configELb0EPKlPlSQ_SR_N2at6native12_GLOBAL__N_18offset_tEEE10hipError_tPvRmT1_PNSt15iterator_traitsISZ_E10value_typeET2_T3_PNS10_IS15_E10value_typeET4_jRbjT5_S1B_jjP12ihipStream_tbEUljE_ZNSN_ISO_Lb0ESQ_SR_SQ_SR_SV_EESW_SX_SY_SZ_S13_S14_S15_S18_S19_jS1A_jS1B_S1B_jjS1D_bEUljE0_EEESW_SX_SY_S15_S19_S1B_T6_T7_T9_mT8_S1D_bDpT10_ENKUlT_T0_E_clISt17integral_constantIbLb0EES1R_EEDaS1M_S1N_EUlS1M_E_NS1_11comp_targetILNS1_3genE10ELNS1_11target_archE1200ELNS1_3gpuE4ELNS1_3repE0EEENS1_30default_config_static_selectorELNS0_4arch9wavefront6targetE1EEEvSZ_
	.p2align	8
	.type	_ZN7rocprim17ROCPRIM_400000_NS6detail17trampoline_kernelINS0_13select_configILj256ELj13ELNS0_17block_load_methodE3ELS4_3ELS4_3ELNS0_20block_scan_algorithmE0ELj4294967295EEENS1_25partition_config_selectorILNS1_17partition_subalgoE4EjNS0_10empty_typeEbEEZZNS1_14partition_implILS8_4ELb0ES6_15HIP_vector_typeIjLj2EENS0_17counting_iteratorIjlEEPS9_SG_NS0_5tupleIJPjSI_NS0_16reverse_iteratorISI_EEEEENSH_IJSG_SG_SG_EEES9_SI_JZNS1_25segmented_radix_sort_implINS0_14default_configELb0EPKlPlSQ_SR_N2at6native12_GLOBAL__N_18offset_tEEE10hipError_tPvRmT1_PNSt15iterator_traitsISZ_E10value_typeET2_T3_PNS10_IS15_E10value_typeET4_jRbjT5_S1B_jjP12ihipStream_tbEUljE_ZNSN_ISO_Lb0ESQ_SR_SQ_SR_SV_EESW_SX_SY_SZ_S13_S14_S15_S18_S19_jS1A_jS1B_S1B_jjS1D_bEUljE0_EEESW_SX_SY_S15_S19_S1B_T6_T7_T9_mT8_S1D_bDpT10_ENKUlT_T0_E_clISt17integral_constantIbLb0EES1R_EEDaS1M_S1N_EUlS1M_E_NS1_11comp_targetILNS1_3genE10ELNS1_11target_archE1200ELNS1_3gpuE4ELNS1_3repE0EEENS1_30default_config_static_selectorELNS0_4arch9wavefront6targetE1EEEvSZ_,@function
_ZN7rocprim17ROCPRIM_400000_NS6detail17trampoline_kernelINS0_13select_configILj256ELj13ELNS0_17block_load_methodE3ELS4_3ELS4_3ELNS0_20block_scan_algorithmE0ELj4294967295EEENS1_25partition_config_selectorILNS1_17partition_subalgoE4EjNS0_10empty_typeEbEEZZNS1_14partition_implILS8_4ELb0ES6_15HIP_vector_typeIjLj2EENS0_17counting_iteratorIjlEEPS9_SG_NS0_5tupleIJPjSI_NS0_16reverse_iteratorISI_EEEEENSH_IJSG_SG_SG_EEES9_SI_JZNS1_25segmented_radix_sort_implINS0_14default_configELb0EPKlPlSQ_SR_N2at6native12_GLOBAL__N_18offset_tEEE10hipError_tPvRmT1_PNSt15iterator_traitsISZ_E10value_typeET2_T3_PNS10_IS15_E10value_typeET4_jRbjT5_S1B_jjP12ihipStream_tbEUljE_ZNSN_ISO_Lb0ESQ_SR_SQ_SR_SV_EESW_SX_SY_SZ_S13_S14_S15_S18_S19_jS1A_jS1B_S1B_jjS1D_bEUljE0_EEESW_SX_SY_S15_S19_S1B_T6_T7_T9_mT8_S1D_bDpT10_ENKUlT_T0_E_clISt17integral_constantIbLb0EES1R_EEDaS1M_S1N_EUlS1M_E_NS1_11comp_targetILNS1_3genE10ELNS1_11target_archE1200ELNS1_3gpuE4ELNS1_3repE0EEENS1_30default_config_static_selectorELNS0_4arch9wavefront6targetE1EEEvSZ_: ; @_ZN7rocprim17ROCPRIM_400000_NS6detail17trampoline_kernelINS0_13select_configILj256ELj13ELNS0_17block_load_methodE3ELS4_3ELS4_3ELNS0_20block_scan_algorithmE0ELj4294967295EEENS1_25partition_config_selectorILNS1_17partition_subalgoE4EjNS0_10empty_typeEbEEZZNS1_14partition_implILS8_4ELb0ES6_15HIP_vector_typeIjLj2EENS0_17counting_iteratorIjlEEPS9_SG_NS0_5tupleIJPjSI_NS0_16reverse_iteratorISI_EEEEENSH_IJSG_SG_SG_EEES9_SI_JZNS1_25segmented_radix_sort_implINS0_14default_configELb0EPKlPlSQ_SR_N2at6native12_GLOBAL__N_18offset_tEEE10hipError_tPvRmT1_PNSt15iterator_traitsISZ_E10value_typeET2_T3_PNS10_IS15_E10value_typeET4_jRbjT5_S1B_jjP12ihipStream_tbEUljE_ZNSN_ISO_Lb0ESQ_SR_SQ_SR_SV_EESW_SX_SY_SZ_S13_S14_S15_S18_S19_jS1A_jS1B_S1B_jjS1D_bEUljE0_EEESW_SX_SY_S15_S19_S1B_T6_T7_T9_mT8_S1D_bDpT10_ENKUlT_T0_E_clISt17integral_constantIbLb0EES1R_EEDaS1M_S1N_EUlS1M_E_NS1_11comp_targetILNS1_3genE10ELNS1_11target_archE1200ELNS1_3gpuE4ELNS1_3repE0EEENS1_30default_config_static_selectorELNS0_4arch9wavefront6targetE1EEEvSZ_
; %bb.0:
	.section	.rodata,"a",@progbits
	.p2align	6, 0x0
	.amdhsa_kernel _ZN7rocprim17ROCPRIM_400000_NS6detail17trampoline_kernelINS0_13select_configILj256ELj13ELNS0_17block_load_methodE3ELS4_3ELS4_3ELNS0_20block_scan_algorithmE0ELj4294967295EEENS1_25partition_config_selectorILNS1_17partition_subalgoE4EjNS0_10empty_typeEbEEZZNS1_14partition_implILS8_4ELb0ES6_15HIP_vector_typeIjLj2EENS0_17counting_iteratorIjlEEPS9_SG_NS0_5tupleIJPjSI_NS0_16reverse_iteratorISI_EEEEENSH_IJSG_SG_SG_EEES9_SI_JZNS1_25segmented_radix_sort_implINS0_14default_configELb0EPKlPlSQ_SR_N2at6native12_GLOBAL__N_18offset_tEEE10hipError_tPvRmT1_PNSt15iterator_traitsISZ_E10value_typeET2_T3_PNS10_IS15_E10value_typeET4_jRbjT5_S1B_jjP12ihipStream_tbEUljE_ZNSN_ISO_Lb0ESQ_SR_SQ_SR_SV_EESW_SX_SY_SZ_S13_S14_S15_S18_S19_jS1A_jS1B_S1B_jjS1D_bEUljE0_EEESW_SX_SY_S15_S19_S1B_T6_T7_T9_mT8_S1D_bDpT10_ENKUlT_T0_E_clISt17integral_constantIbLb0EES1R_EEDaS1M_S1N_EUlS1M_E_NS1_11comp_targetILNS1_3genE10ELNS1_11target_archE1200ELNS1_3gpuE4ELNS1_3repE0EEENS1_30default_config_static_selectorELNS0_4arch9wavefront6targetE1EEEvSZ_
		.amdhsa_group_segment_fixed_size 0
		.amdhsa_private_segment_fixed_size 0
		.amdhsa_kernarg_size 176
		.amdhsa_user_sgpr_count 6
		.amdhsa_user_sgpr_private_segment_buffer 1
		.amdhsa_user_sgpr_dispatch_ptr 0
		.amdhsa_user_sgpr_queue_ptr 0
		.amdhsa_user_sgpr_kernarg_segment_ptr 1
		.amdhsa_user_sgpr_dispatch_id 0
		.amdhsa_user_sgpr_flat_scratch_init 0
		.amdhsa_user_sgpr_kernarg_preload_length 0
		.amdhsa_user_sgpr_kernarg_preload_offset 0
		.amdhsa_user_sgpr_private_segment_size 0
		.amdhsa_uses_dynamic_stack 0
		.amdhsa_system_sgpr_private_segment_wavefront_offset 0
		.amdhsa_system_sgpr_workgroup_id_x 1
		.amdhsa_system_sgpr_workgroup_id_y 0
		.amdhsa_system_sgpr_workgroup_id_z 0
		.amdhsa_system_sgpr_workgroup_info 0
		.amdhsa_system_vgpr_workitem_id 0
		.amdhsa_next_free_vgpr 1
		.amdhsa_next_free_sgpr 0
		.amdhsa_accum_offset 4
		.amdhsa_reserve_vcc 0
		.amdhsa_reserve_flat_scratch 0
		.amdhsa_float_round_mode_32 0
		.amdhsa_float_round_mode_16_64 0
		.amdhsa_float_denorm_mode_32 3
		.amdhsa_float_denorm_mode_16_64 3
		.amdhsa_dx10_clamp 1
		.amdhsa_ieee_mode 1
		.amdhsa_fp16_overflow 0
		.amdhsa_tg_split 0
		.amdhsa_exception_fp_ieee_invalid_op 0
		.amdhsa_exception_fp_denorm_src 0
		.amdhsa_exception_fp_ieee_div_zero 0
		.amdhsa_exception_fp_ieee_overflow 0
		.amdhsa_exception_fp_ieee_underflow 0
		.amdhsa_exception_fp_ieee_inexact 0
		.amdhsa_exception_int_div_zero 0
	.end_amdhsa_kernel
	.section	.text._ZN7rocprim17ROCPRIM_400000_NS6detail17trampoline_kernelINS0_13select_configILj256ELj13ELNS0_17block_load_methodE3ELS4_3ELS4_3ELNS0_20block_scan_algorithmE0ELj4294967295EEENS1_25partition_config_selectorILNS1_17partition_subalgoE4EjNS0_10empty_typeEbEEZZNS1_14partition_implILS8_4ELb0ES6_15HIP_vector_typeIjLj2EENS0_17counting_iteratorIjlEEPS9_SG_NS0_5tupleIJPjSI_NS0_16reverse_iteratorISI_EEEEENSH_IJSG_SG_SG_EEES9_SI_JZNS1_25segmented_radix_sort_implINS0_14default_configELb0EPKlPlSQ_SR_N2at6native12_GLOBAL__N_18offset_tEEE10hipError_tPvRmT1_PNSt15iterator_traitsISZ_E10value_typeET2_T3_PNS10_IS15_E10value_typeET4_jRbjT5_S1B_jjP12ihipStream_tbEUljE_ZNSN_ISO_Lb0ESQ_SR_SQ_SR_SV_EESW_SX_SY_SZ_S13_S14_S15_S18_S19_jS1A_jS1B_S1B_jjS1D_bEUljE0_EEESW_SX_SY_S15_S19_S1B_T6_T7_T9_mT8_S1D_bDpT10_ENKUlT_T0_E_clISt17integral_constantIbLb0EES1R_EEDaS1M_S1N_EUlS1M_E_NS1_11comp_targetILNS1_3genE10ELNS1_11target_archE1200ELNS1_3gpuE4ELNS1_3repE0EEENS1_30default_config_static_selectorELNS0_4arch9wavefront6targetE1EEEvSZ_,"axG",@progbits,_ZN7rocprim17ROCPRIM_400000_NS6detail17trampoline_kernelINS0_13select_configILj256ELj13ELNS0_17block_load_methodE3ELS4_3ELS4_3ELNS0_20block_scan_algorithmE0ELj4294967295EEENS1_25partition_config_selectorILNS1_17partition_subalgoE4EjNS0_10empty_typeEbEEZZNS1_14partition_implILS8_4ELb0ES6_15HIP_vector_typeIjLj2EENS0_17counting_iteratorIjlEEPS9_SG_NS0_5tupleIJPjSI_NS0_16reverse_iteratorISI_EEEEENSH_IJSG_SG_SG_EEES9_SI_JZNS1_25segmented_radix_sort_implINS0_14default_configELb0EPKlPlSQ_SR_N2at6native12_GLOBAL__N_18offset_tEEE10hipError_tPvRmT1_PNSt15iterator_traitsISZ_E10value_typeET2_T3_PNS10_IS15_E10value_typeET4_jRbjT5_S1B_jjP12ihipStream_tbEUljE_ZNSN_ISO_Lb0ESQ_SR_SQ_SR_SV_EESW_SX_SY_SZ_S13_S14_S15_S18_S19_jS1A_jS1B_S1B_jjS1D_bEUljE0_EEESW_SX_SY_S15_S19_S1B_T6_T7_T9_mT8_S1D_bDpT10_ENKUlT_T0_E_clISt17integral_constantIbLb0EES1R_EEDaS1M_S1N_EUlS1M_E_NS1_11comp_targetILNS1_3genE10ELNS1_11target_archE1200ELNS1_3gpuE4ELNS1_3repE0EEENS1_30default_config_static_selectorELNS0_4arch9wavefront6targetE1EEEvSZ_,comdat
.Lfunc_end748:
	.size	_ZN7rocprim17ROCPRIM_400000_NS6detail17trampoline_kernelINS0_13select_configILj256ELj13ELNS0_17block_load_methodE3ELS4_3ELS4_3ELNS0_20block_scan_algorithmE0ELj4294967295EEENS1_25partition_config_selectorILNS1_17partition_subalgoE4EjNS0_10empty_typeEbEEZZNS1_14partition_implILS8_4ELb0ES6_15HIP_vector_typeIjLj2EENS0_17counting_iteratorIjlEEPS9_SG_NS0_5tupleIJPjSI_NS0_16reverse_iteratorISI_EEEEENSH_IJSG_SG_SG_EEES9_SI_JZNS1_25segmented_radix_sort_implINS0_14default_configELb0EPKlPlSQ_SR_N2at6native12_GLOBAL__N_18offset_tEEE10hipError_tPvRmT1_PNSt15iterator_traitsISZ_E10value_typeET2_T3_PNS10_IS15_E10value_typeET4_jRbjT5_S1B_jjP12ihipStream_tbEUljE_ZNSN_ISO_Lb0ESQ_SR_SQ_SR_SV_EESW_SX_SY_SZ_S13_S14_S15_S18_S19_jS1A_jS1B_S1B_jjS1D_bEUljE0_EEESW_SX_SY_S15_S19_S1B_T6_T7_T9_mT8_S1D_bDpT10_ENKUlT_T0_E_clISt17integral_constantIbLb0EES1R_EEDaS1M_S1N_EUlS1M_E_NS1_11comp_targetILNS1_3genE10ELNS1_11target_archE1200ELNS1_3gpuE4ELNS1_3repE0EEENS1_30default_config_static_selectorELNS0_4arch9wavefront6targetE1EEEvSZ_, .Lfunc_end748-_ZN7rocprim17ROCPRIM_400000_NS6detail17trampoline_kernelINS0_13select_configILj256ELj13ELNS0_17block_load_methodE3ELS4_3ELS4_3ELNS0_20block_scan_algorithmE0ELj4294967295EEENS1_25partition_config_selectorILNS1_17partition_subalgoE4EjNS0_10empty_typeEbEEZZNS1_14partition_implILS8_4ELb0ES6_15HIP_vector_typeIjLj2EENS0_17counting_iteratorIjlEEPS9_SG_NS0_5tupleIJPjSI_NS0_16reverse_iteratorISI_EEEEENSH_IJSG_SG_SG_EEES9_SI_JZNS1_25segmented_radix_sort_implINS0_14default_configELb0EPKlPlSQ_SR_N2at6native12_GLOBAL__N_18offset_tEEE10hipError_tPvRmT1_PNSt15iterator_traitsISZ_E10value_typeET2_T3_PNS10_IS15_E10value_typeET4_jRbjT5_S1B_jjP12ihipStream_tbEUljE_ZNSN_ISO_Lb0ESQ_SR_SQ_SR_SV_EESW_SX_SY_SZ_S13_S14_S15_S18_S19_jS1A_jS1B_S1B_jjS1D_bEUljE0_EEESW_SX_SY_S15_S19_S1B_T6_T7_T9_mT8_S1D_bDpT10_ENKUlT_T0_E_clISt17integral_constantIbLb0EES1R_EEDaS1M_S1N_EUlS1M_E_NS1_11comp_targetILNS1_3genE10ELNS1_11target_archE1200ELNS1_3gpuE4ELNS1_3repE0EEENS1_30default_config_static_selectorELNS0_4arch9wavefront6targetE1EEEvSZ_
                                        ; -- End function
	.section	.AMDGPU.csdata,"",@progbits
; Kernel info:
; codeLenInByte = 0
; NumSgprs: 4
; NumVgprs: 0
; NumAgprs: 0
; TotalNumVgprs: 0
; ScratchSize: 0
; MemoryBound: 0
; FloatMode: 240
; IeeeMode: 1
; LDSByteSize: 0 bytes/workgroup (compile time only)
; SGPRBlocks: 0
; VGPRBlocks: 0
; NumSGPRsForWavesPerEU: 4
; NumVGPRsForWavesPerEU: 1
; AccumOffset: 4
; Occupancy: 8
; WaveLimiterHint : 0
; COMPUTE_PGM_RSRC2:SCRATCH_EN: 0
; COMPUTE_PGM_RSRC2:USER_SGPR: 6
; COMPUTE_PGM_RSRC2:TRAP_HANDLER: 0
; COMPUTE_PGM_RSRC2:TGID_X_EN: 1
; COMPUTE_PGM_RSRC2:TGID_Y_EN: 0
; COMPUTE_PGM_RSRC2:TGID_Z_EN: 0
; COMPUTE_PGM_RSRC2:TIDIG_COMP_CNT: 0
; COMPUTE_PGM_RSRC3_GFX90A:ACCUM_OFFSET: 0
; COMPUTE_PGM_RSRC3_GFX90A:TG_SPLIT: 0
	.section	.text._ZN7rocprim17ROCPRIM_400000_NS6detail17trampoline_kernelINS0_13select_configILj256ELj13ELNS0_17block_load_methodE3ELS4_3ELS4_3ELNS0_20block_scan_algorithmE0ELj4294967295EEENS1_25partition_config_selectorILNS1_17partition_subalgoE4EjNS0_10empty_typeEbEEZZNS1_14partition_implILS8_4ELb0ES6_15HIP_vector_typeIjLj2EENS0_17counting_iteratorIjlEEPS9_SG_NS0_5tupleIJPjSI_NS0_16reverse_iteratorISI_EEEEENSH_IJSG_SG_SG_EEES9_SI_JZNS1_25segmented_radix_sort_implINS0_14default_configELb0EPKlPlSQ_SR_N2at6native12_GLOBAL__N_18offset_tEEE10hipError_tPvRmT1_PNSt15iterator_traitsISZ_E10value_typeET2_T3_PNS10_IS15_E10value_typeET4_jRbjT5_S1B_jjP12ihipStream_tbEUljE_ZNSN_ISO_Lb0ESQ_SR_SQ_SR_SV_EESW_SX_SY_SZ_S13_S14_S15_S18_S19_jS1A_jS1B_S1B_jjS1D_bEUljE0_EEESW_SX_SY_S15_S19_S1B_T6_T7_T9_mT8_S1D_bDpT10_ENKUlT_T0_E_clISt17integral_constantIbLb0EES1R_EEDaS1M_S1N_EUlS1M_E_NS1_11comp_targetILNS1_3genE9ELNS1_11target_archE1100ELNS1_3gpuE3ELNS1_3repE0EEENS1_30default_config_static_selectorELNS0_4arch9wavefront6targetE1EEEvSZ_,"axG",@progbits,_ZN7rocprim17ROCPRIM_400000_NS6detail17trampoline_kernelINS0_13select_configILj256ELj13ELNS0_17block_load_methodE3ELS4_3ELS4_3ELNS0_20block_scan_algorithmE0ELj4294967295EEENS1_25partition_config_selectorILNS1_17partition_subalgoE4EjNS0_10empty_typeEbEEZZNS1_14partition_implILS8_4ELb0ES6_15HIP_vector_typeIjLj2EENS0_17counting_iteratorIjlEEPS9_SG_NS0_5tupleIJPjSI_NS0_16reverse_iteratorISI_EEEEENSH_IJSG_SG_SG_EEES9_SI_JZNS1_25segmented_radix_sort_implINS0_14default_configELb0EPKlPlSQ_SR_N2at6native12_GLOBAL__N_18offset_tEEE10hipError_tPvRmT1_PNSt15iterator_traitsISZ_E10value_typeET2_T3_PNS10_IS15_E10value_typeET4_jRbjT5_S1B_jjP12ihipStream_tbEUljE_ZNSN_ISO_Lb0ESQ_SR_SQ_SR_SV_EESW_SX_SY_SZ_S13_S14_S15_S18_S19_jS1A_jS1B_S1B_jjS1D_bEUljE0_EEESW_SX_SY_S15_S19_S1B_T6_T7_T9_mT8_S1D_bDpT10_ENKUlT_T0_E_clISt17integral_constantIbLb0EES1R_EEDaS1M_S1N_EUlS1M_E_NS1_11comp_targetILNS1_3genE9ELNS1_11target_archE1100ELNS1_3gpuE3ELNS1_3repE0EEENS1_30default_config_static_selectorELNS0_4arch9wavefront6targetE1EEEvSZ_,comdat
	.globl	_ZN7rocprim17ROCPRIM_400000_NS6detail17trampoline_kernelINS0_13select_configILj256ELj13ELNS0_17block_load_methodE3ELS4_3ELS4_3ELNS0_20block_scan_algorithmE0ELj4294967295EEENS1_25partition_config_selectorILNS1_17partition_subalgoE4EjNS0_10empty_typeEbEEZZNS1_14partition_implILS8_4ELb0ES6_15HIP_vector_typeIjLj2EENS0_17counting_iteratorIjlEEPS9_SG_NS0_5tupleIJPjSI_NS0_16reverse_iteratorISI_EEEEENSH_IJSG_SG_SG_EEES9_SI_JZNS1_25segmented_radix_sort_implINS0_14default_configELb0EPKlPlSQ_SR_N2at6native12_GLOBAL__N_18offset_tEEE10hipError_tPvRmT1_PNSt15iterator_traitsISZ_E10value_typeET2_T3_PNS10_IS15_E10value_typeET4_jRbjT5_S1B_jjP12ihipStream_tbEUljE_ZNSN_ISO_Lb0ESQ_SR_SQ_SR_SV_EESW_SX_SY_SZ_S13_S14_S15_S18_S19_jS1A_jS1B_S1B_jjS1D_bEUljE0_EEESW_SX_SY_S15_S19_S1B_T6_T7_T9_mT8_S1D_bDpT10_ENKUlT_T0_E_clISt17integral_constantIbLb0EES1R_EEDaS1M_S1N_EUlS1M_E_NS1_11comp_targetILNS1_3genE9ELNS1_11target_archE1100ELNS1_3gpuE3ELNS1_3repE0EEENS1_30default_config_static_selectorELNS0_4arch9wavefront6targetE1EEEvSZ_ ; -- Begin function _ZN7rocprim17ROCPRIM_400000_NS6detail17trampoline_kernelINS0_13select_configILj256ELj13ELNS0_17block_load_methodE3ELS4_3ELS4_3ELNS0_20block_scan_algorithmE0ELj4294967295EEENS1_25partition_config_selectorILNS1_17partition_subalgoE4EjNS0_10empty_typeEbEEZZNS1_14partition_implILS8_4ELb0ES6_15HIP_vector_typeIjLj2EENS0_17counting_iteratorIjlEEPS9_SG_NS0_5tupleIJPjSI_NS0_16reverse_iteratorISI_EEEEENSH_IJSG_SG_SG_EEES9_SI_JZNS1_25segmented_radix_sort_implINS0_14default_configELb0EPKlPlSQ_SR_N2at6native12_GLOBAL__N_18offset_tEEE10hipError_tPvRmT1_PNSt15iterator_traitsISZ_E10value_typeET2_T3_PNS10_IS15_E10value_typeET4_jRbjT5_S1B_jjP12ihipStream_tbEUljE_ZNSN_ISO_Lb0ESQ_SR_SQ_SR_SV_EESW_SX_SY_SZ_S13_S14_S15_S18_S19_jS1A_jS1B_S1B_jjS1D_bEUljE0_EEESW_SX_SY_S15_S19_S1B_T6_T7_T9_mT8_S1D_bDpT10_ENKUlT_T0_E_clISt17integral_constantIbLb0EES1R_EEDaS1M_S1N_EUlS1M_E_NS1_11comp_targetILNS1_3genE9ELNS1_11target_archE1100ELNS1_3gpuE3ELNS1_3repE0EEENS1_30default_config_static_selectorELNS0_4arch9wavefront6targetE1EEEvSZ_
	.p2align	8
	.type	_ZN7rocprim17ROCPRIM_400000_NS6detail17trampoline_kernelINS0_13select_configILj256ELj13ELNS0_17block_load_methodE3ELS4_3ELS4_3ELNS0_20block_scan_algorithmE0ELj4294967295EEENS1_25partition_config_selectorILNS1_17partition_subalgoE4EjNS0_10empty_typeEbEEZZNS1_14partition_implILS8_4ELb0ES6_15HIP_vector_typeIjLj2EENS0_17counting_iteratorIjlEEPS9_SG_NS0_5tupleIJPjSI_NS0_16reverse_iteratorISI_EEEEENSH_IJSG_SG_SG_EEES9_SI_JZNS1_25segmented_radix_sort_implINS0_14default_configELb0EPKlPlSQ_SR_N2at6native12_GLOBAL__N_18offset_tEEE10hipError_tPvRmT1_PNSt15iterator_traitsISZ_E10value_typeET2_T3_PNS10_IS15_E10value_typeET4_jRbjT5_S1B_jjP12ihipStream_tbEUljE_ZNSN_ISO_Lb0ESQ_SR_SQ_SR_SV_EESW_SX_SY_SZ_S13_S14_S15_S18_S19_jS1A_jS1B_S1B_jjS1D_bEUljE0_EEESW_SX_SY_S15_S19_S1B_T6_T7_T9_mT8_S1D_bDpT10_ENKUlT_T0_E_clISt17integral_constantIbLb0EES1R_EEDaS1M_S1N_EUlS1M_E_NS1_11comp_targetILNS1_3genE9ELNS1_11target_archE1100ELNS1_3gpuE3ELNS1_3repE0EEENS1_30default_config_static_selectorELNS0_4arch9wavefront6targetE1EEEvSZ_,@function
_ZN7rocprim17ROCPRIM_400000_NS6detail17trampoline_kernelINS0_13select_configILj256ELj13ELNS0_17block_load_methodE3ELS4_3ELS4_3ELNS0_20block_scan_algorithmE0ELj4294967295EEENS1_25partition_config_selectorILNS1_17partition_subalgoE4EjNS0_10empty_typeEbEEZZNS1_14partition_implILS8_4ELb0ES6_15HIP_vector_typeIjLj2EENS0_17counting_iteratorIjlEEPS9_SG_NS0_5tupleIJPjSI_NS0_16reverse_iteratorISI_EEEEENSH_IJSG_SG_SG_EEES9_SI_JZNS1_25segmented_radix_sort_implINS0_14default_configELb0EPKlPlSQ_SR_N2at6native12_GLOBAL__N_18offset_tEEE10hipError_tPvRmT1_PNSt15iterator_traitsISZ_E10value_typeET2_T3_PNS10_IS15_E10value_typeET4_jRbjT5_S1B_jjP12ihipStream_tbEUljE_ZNSN_ISO_Lb0ESQ_SR_SQ_SR_SV_EESW_SX_SY_SZ_S13_S14_S15_S18_S19_jS1A_jS1B_S1B_jjS1D_bEUljE0_EEESW_SX_SY_S15_S19_S1B_T6_T7_T9_mT8_S1D_bDpT10_ENKUlT_T0_E_clISt17integral_constantIbLb0EES1R_EEDaS1M_S1N_EUlS1M_E_NS1_11comp_targetILNS1_3genE9ELNS1_11target_archE1100ELNS1_3gpuE3ELNS1_3repE0EEENS1_30default_config_static_selectorELNS0_4arch9wavefront6targetE1EEEvSZ_: ; @_ZN7rocprim17ROCPRIM_400000_NS6detail17trampoline_kernelINS0_13select_configILj256ELj13ELNS0_17block_load_methodE3ELS4_3ELS4_3ELNS0_20block_scan_algorithmE0ELj4294967295EEENS1_25partition_config_selectorILNS1_17partition_subalgoE4EjNS0_10empty_typeEbEEZZNS1_14partition_implILS8_4ELb0ES6_15HIP_vector_typeIjLj2EENS0_17counting_iteratorIjlEEPS9_SG_NS0_5tupleIJPjSI_NS0_16reverse_iteratorISI_EEEEENSH_IJSG_SG_SG_EEES9_SI_JZNS1_25segmented_radix_sort_implINS0_14default_configELb0EPKlPlSQ_SR_N2at6native12_GLOBAL__N_18offset_tEEE10hipError_tPvRmT1_PNSt15iterator_traitsISZ_E10value_typeET2_T3_PNS10_IS15_E10value_typeET4_jRbjT5_S1B_jjP12ihipStream_tbEUljE_ZNSN_ISO_Lb0ESQ_SR_SQ_SR_SV_EESW_SX_SY_SZ_S13_S14_S15_S18_S19_jS1A_jS1B_S1B_jjS1D_bEUljE0_EEESW_SX_SY_S15_S19_S1B_T6_T7_T9_mT8_S1D_bDpT10_ENKUlT_T0_E_clISt17integral_constantIbLb0EES1R_EEDaS1M_S1N_EUlS1M_E_NS1_11comp_targetILNS1_3genE9ELNS1_11target_archE1100ELNS1_3gpuE3ELNS1_3repE0EEENS1_30default_config_static_selectorELNS0_4arch9wavefront6targetE1EEEvSZ_
; %bb.0:
	.section	.rodata,"a",@progbits
	.p2align	6, 0x0
	.amdhsa_kernel _ZN7rocprim17ROCPRIM_400000_NS6detail17trampoline_kernelINS0_13select_configILj256ELj13ELNS0_17block_load_methodE3ELS4_3ELS4_3ELNS0_20block_scan_algorithmE0ELj4294967295EEENS1_25partition_config_selectorILNS1_17partition_subalgoE4EjNS0_10empty_typeEbEEZZNS1_14partition_implILS8_4ELb0ES6_15HIP_vector_typeIjLj2EENS0_17counting_iteratorIjlEEPS9_SG_NS0_5tupleIJPjSI_NS0_16reverse_iteratorISI_EEEEENSH_IJSG_SG_SG_EEES9_SI_JZNS1_25segmented_radix_sort_implINS0_14default_configELb0EPKlPlSQ_SR_N2at6native12_GLOBAL__N_18offset_tEEE10hipError_tPvRmT1_PNSt15iterator_traitsISZ_E10value_typeET2_T3_PNS10_IS15_E10value_typeET4_jRbjT5_S1B_jjP12ihipStream_tbEUljE_ZNSN_ISO_Lb0ESQ_SR_SQ_SR_SV_EESW_SX_SY_SZ_S13_S14_S15_S18_S19_jS1A_jS1B_S1B_jjS1D_bEUljE0_EEESW_SX_SY_S15_S19_S1B_T6_T7_T9_mT8_S1D_bDpT10_ENKUlT_T0_E_clISt17integral_constantIbLb0EES1R_EEDaS1M_S1N_EUlS1M_E_NS1_11comp_targetILNS1_3genE9ELNS1_11target_archE1100ELNS1_3gpuE3ELNS1_3repE0EEENS1_30default_config_static_selectorELNS0_4arch9wavefront6targetE1EEEvSZ_
		.amdhsa_group_segment_fixed_size 0
		.amdhsa_private_segment_fixed_size 0
		.amdhsa_kernarg_size 176
		.amdhsa_user_sgpr_count 6
		.amdhsa_user_sgpr_private_segment_buffer 1
		.amdhsa_user_sgpr_dispatch_ptr 0
		.amdhsa_user_sgpr_queue_ptr 0
		.amdhsa_user_sgpr_kernarg_segment_ptr 1
		.amdhsa_user_sgpr_dispatch_id 0
		.amdhsa_user_sgpr_flat_scratch_init 0
		.amdhsa_user_sgpr_kernarg_preload_length 0
		.amdhsa_user_sgpr_kernarg_preload_offset 0
		.amdhsa_user_sgpr_private_segment_size 0
		.amdhsa_uses_dynamic_stack 0
		.amdhsa_system_sgpr_private_segment_wavefront_offset 0
		.amdhsa_system_sgpr_workgroup_id_x 1
		.amdhsa_system_sgpr_workgroup_id_y 0
		.amdhsa_system_sgpr_workgroup_id_z 0
		.amdhsa_system_sgpr_workgroup_info 0
		.amdhsa_system_vgpr_workitem_id 0
		.amdhsa_next_free_vgpr 1
		.amdhsa_next_free_sgpr 0
		.amdhsa_accum_offset 4
		.amdhsa_reserve_vcc 0
		.amdhsa_reserve_flat_scratch 0
		.amdhsa_float_round_mode_32 0
		.amdhsa_float_round_mode_16_64 0
		.amdhsa_float_denorm_mode_32 3
		.amdhsa_float_denorm_mode_16_64 3
		.amdhsa_dx10_clamp 1
		.amdhsa_ieee_mode 1
		.amdhsa_fp16_overflow 0
		.amdhsa_tg_split 0
		.amdhsa_exception_fp_ieee_invalid_op 0
		.amdhsa_exception_fp_denorm_src 0
		.amdhsa_exception_fp_ieee_div_zero 0
		.amdhsa_exception_fp_ieee_overflow 0
		.amdhsa_exception_fp_ieee_underflow 0
		.amdhsa_exception_fp_ieee_inexact 0
		.amdhsa_exception_int_div_zero 0
	.end_amdhsa_kernel
	.section	.text._ZN7rocprim17ROCPRIM_400000_NS6detail17trampoline_kernelINS0_13select_configILj256ELj13ELNS0_17block_load_methodE3ELS4_3ELS4_3ELNS0_20block_scan_algorithmE0ELj4294967295EEENS1_25partition_config_selectorILNS1_17partition_subalgoE4EjNS0_10empty_typeEbEEZZNS1_14partition_implILS8_4ELb0ES6_15HIP_vector_typeIjLj2EENS0_17counting_iteratorIjlEEPS9_SG_NS0_5tupleIJPjSI_NS0_16reverse_iteratorISI_EEEEENSH_IJSG_SG_SG_EEES9_SI_JZNS1_25segmented_radix_sort_implINS0_14default_configELb0EPKlPlSQ_SR_N2at6native12_GLOBAL__N_18offset_tEEE10hipError_tPvRmT1_PNSt15iterator_traitsISZ_E10value_typeET2_T3_PNS10_IS15_E10value_typeET4_jRbjT5_S1B_jjP12ihipStream_tbEUljE_ZNSN_ISO_Lb0ESQ_SR_SQ_SR_SV_EESW_SX_SY_SZ_S13_S14_S15_S18_S19_jS1A_jS1B_S1B_jjS1D_bEUljE0_EEESW_SX_SY_S15_S19_S1B_T6_T7_T9_mT8_S1D_bDpT10_ENKUlT_T0_E_clISt17integral_constantIbLb0EES1R_EEDaS1M_S1N_EUlS1M_E_NS1_11comp_targetILNS1_3genE9ELNS1_11target_archE1100ELNS1_3gpuE3ELNS1_3repE0EEENS1_30default_config_static_selectorELNS0_4arch9wavefront6targetE1EEEvSZ_,"axG",@progbits,_ZN7rocprim17ROCPRIM_400000_NS6detail17trampoline_kernelINS0_13select_configILj256ELj13ELNS0_17block_load_methodE3ELS4_3ELS4_3ELNS0_20block_scan_algorithmE0ELj4294967295EEENS1_25partition_config_selectorILNS1_17partition_subalgoE4EjNS0_10empty_typeEbEEZZNS1_14partition_implILS8_4ELb0ES6_15HIP_vector_typeIjLj2EENS0_17counting_iteratorIjlEEPS9_SG_NS0_5tupleIJPjSI_NS0_16reverse_iteratorISI_EEEEENSH_IJSG_SG_SG_EEES9_SI_JZNS1_25segmented_radix_sort_implINS0_14default_configELb0EPKlPlSQ_SR_N2at6native12_GLOBAL__N_18offset_tEEE10hipError_tPvRmT1_PNSt15iterator_traitsISZ_E10value_typeET2_T3_PNS10_IS15_E10value_typeET4_jRbjT5_S1B_jjP12ihipStream_tbEUljE_ZNSN_ISO_Lb0ESQ_SR_SQ_SR_SV_EESW_SX_SY_SZ_S13_S14_S15_S18_S19_jS1A_jS1B_S1B_jjS1D_bEUljE0_EEESW_SX_SY_S15_S19_S1B_T6_T7_T9_mT8_S1D_bDpT10_ENKUlT_T0_E_clISt17integral_constantIbLb0EES1R_EEDaS1M_S1N_EUlS1M_E_NS1_11comp_targetILNS1_3genE9ELNS1_11target_archE1100ELNS1_3gpuE3ELNS1_3repE0EEENS1_30default_config_static_selectorELNS0_4arch9wavefront6targetE1EEEvSZ_,comdat
.Lfunc_end749:
	.size	_ZN7rocprim17ROCPRIM_400000_NS6detail17trampoline_kernelINS0_13select_configILj256ELj13ELNS0_17block_load_methodE3ELS4_3ELS4_3ELNS0_20block_scan_algorithmE0ELj4294967295EEENS1_25partition_config_selectorILNS1_17partition_subalgoE4EjNS0_10empty_typeEbEEZZNS1_14partition_implILS8_4ELb0ES6_15HIP_vector_typeIjLj2EENS0_17counting_iteratorIjlEEPS9_SG_NS0_5tupleIJPjSI_NS0_16reverse_iteratorISI_EEEEENSH_IJSG_SG_SG_EEES9_SI_JZNS1_25segmented_radix_sort_implINS0_14default_configELb0EPKlPlSQ_SR_N2at6native12_GLOBAL__N_18offset_tEEE10hipError_tPvRmT1_PNSt15iterator_traitsISZ_E10value_typeET2_T3_PNS10_IS15_E10value_typeET4_jRbjT5_S1B_jjP12ihipStream_tbEUljE_ZNSN_ISO_Lb0ESQ_SR_SQ_SR_SV_EESW_SX_SY_SZ_S13_S14_S15_S18_S19_jS1A_jS1B_S1B_jjS1D_bEUljE0_EEESW_SX_SY_S15_S19_S1B_T6_T7_T9_mT8_S1D_bDpT10_ENKUlT_T0_E_clISt17integral_constantIbLb0EES1R_EEDaS1M_S1N_EUlS1M_E_NS1_11comp_targetILNS1_3genE9ELNS1_11target_archE1100ELNS1_3gpuE3ELNS1_3repE0EEENS1_30default_config_static_selectorELNS0_4arch9wavefront6targetE1EEEvSZ_, .Lfunc_end749-_ZN7rocprim17ROCPRIM_400000_NS6detail17trampoline_kernelINS0_13select_configILj256ELj13ELNS0_17block_load_methodE3ELS4_3ELS4_3ELNS0_20block_scan_algorithmE0ELj4294967295EEENS1_25partition_config_selectorILNS1_17partition_subalgoE4EjNS0_10empty_typeEbEEZZNS1_14partition_implILS8_4ELb0ES6_15HIP_vector_typeIjLj2EENS0_17counting_iteratorIjlEEPS9_SG_NS0_5tupleIJPjSI_NS0_16reverse_iteratorISI_EEEEENSH_IJSG_SG_SG_EEES9_SI_JZNS1_25segmented_radix_sort_implINS0_14default_configELb0EPKlPlSQ_SR_N2at6native12_GLOBAL__N_18offset_tEEE10hipError_tPvRmT1_PNSt15iterator_traitsISZ_E10value_typeET2_T3_PNS10_IS15_E10value_typeET4_jRbjT5_S1B_jjP12ihipStream_tbEUljE_ZNSN_ISO_Lb0ESQ_SR_SQ_SR_SV_EESW_SX_SY_SZ_S13_S14_S15_S18_S19_jS1A_jS1B_S1B_jjS1D_bEUljE0_EEESW_SX_SY_S15_S19_S1B_T6_T7_T9_mT8_S1D_bDpT10_ENKUlT_T0_E_clISt17integral_constantIbLb0EES1R_EEDaS1M_S1N_EUlS1M_E_NS1_11comp_targetILNS1_3genE9ELNS1_11target_archE1100ELNS1_3gpuE3ELNS1_3repE0EEENS1_30default_config_static_selectorELNS0_4arch9wavefront6targetE1EEEvSZ_
                                        ; -- End function
	.section	.AMDGPU.csdata,"",@progbits
; Kernel info:
; codeLenInByte = 0
; NumSgprs: 4
; NumVgprs: 0
; NumAgprs: 0
; TotalNumVgprs: 0
; ScratchSize: 0
; MemoryBound: 0
; FloatMode: 240
; IeeeMode: 1
; LDSByteSize: 0 bytes/workgroup (compile time only)
; SGPRBlocks: 0
; VGPRBlocks: 0
; NumSGPRsForWavesPerEU: 4
; NumVGPRsForWavesPerEU: 1
; AccumOffset: 4
; Occupancy: 8
; WaveLimiterHint : 0
; COMPUTE_PGM_RSRC2:SCRATCH_EN: 0
; COMPUTE_PGM_RSRC2:USER_SGPR: 6
; COMPUTE_PGM_RSRC2:TRAP_HANDLER: 0
; COMPUTE_PGM_RSRC2:TGID_X_EN: 1
; COMPUTE_PGM_RSRC2:TGID_Y_EN: 0
; COMPUTE_PGM_RSRC2:TGID_Z_EN: 0
; COMPUTE_PGM_RSRC2:TIDIG_COMP_CNT: 0
; COMPUTE_PGM_RSRC3_GFX90A:ACCUM_OFFSET: 0
; COMPUTE_PGM_RSRC3_GFX90A:TG_SPLIT: 0
	.section	.text._ZN7rocprim17ROCPRIM_400000_NS6detail17trampoline_kernelINS0_13select_configILj256ELj13ELNS0_17block_load_methodE3ELS4_3ELS4_3ELNS0_20block_scan_algorithmE0ELj4294967295EEENS1_25partition_config_selectorILNS1_17partition_subalgoE4EjNS0_10empty_typeEbEEZZNS1_14partition_implILS8_4ELb0ES6_15HIP_vector_typeIjLj2EENS0_17counting_iteratorIjlEEPS9_SG_NS0_5tupleIJPjSI_NS0_16reverse_iteratorISI_EEEEENSH_IJSG_SG_SG_EEES9_SI_JZNS1_25segmented_radix_sort_implINS0_14default_configELb0EPKlPlSQ_SR_N2at6native12_GLOBAL__N_18offset_tEEE10hipError_tPvRmT1_PNSt15iterator_traitsISZ_E10value_typeET2_T3_PNS10_IS15_E10value_typeET4_jRbjT5_S1B_jjP12ihipStream_tbEUljE_ZNSN_ISO_Lb0ESQ_SR_SQ_SR_SV_EESW_SX_SY_SZ_S13_S14_S15_S18_S19_jS1A_jS1B_S1B_jjS1D_bEUljE0_EEESW_SX_SY_S15_S19_S1B_T6_T7_T9_mT8_S1D_bDpT10_ENKUlT_T0_E_clISt17integral_constantIbLb0EES1R_EEDaS1M_S1N_EUlS1M_E_NS1_11comp_targetILNS1_3genE8ELNS1_11target_archE1030ELNS1_3gpuE2ELNS1_3repE0EEENS1_30default_config_static_selectorELNS0_4arch9wavefront6targetE1EEEvSZ_,"axG",@progbits,_ZN7rocprim17ROCPRIM_400000_NS6detail17trampoline_kernelINS0_13select_configILj256ELj13ELNS0_17block_load_methodE3ELS4_3ELS4_3ELNS0_20block_scan_algorithmE0ELj4294967295EEENS1_25partition_config_selectorILNS1_17partition_subalgoE4EjNS0_10empty_typeEbEEZZNS1_14partition_implILS8_4ELb0ES6_15HIP_vector_typeIjLj2EENS0_17counting_iteratorIjlEEPS9_SG_NS0_5tupleIJPjSI_NS0_16reverse_iteratorISI_EEEEENSH_IJSG_SG_SG_EEES9_SI_JZNS1_25segmented_radix_sort_implINS0_14default_configELb0EPKlPlSQ_SR_N2at6native12_GLOBAL__N_18offset_tEEE10hipError_tPvRmT1_PNSt15iterator_traitsISZ_E10value_typeET2_T3_PNS10_IS15_E10value_typeET4_jRbjT5_S1B_jjP12ihipStream_tbEUljE_ZNSN_ISO_Lb0ESQ_SR_SQ_SR_SV_EESW_SX_SY_SZ_S13_S14_S15_S18_S19_jS1A_jS1B_S1B_jjS1D_bEUljE0_EEESW_SX_SY_S15_S19_S1B_T6_T7_T9_mT8_S1D_bDpT10_ENKUlT_T0_E_clISt17integral_constantIbLb0EES1R_EEDaS1M_S1N_EUlS1M_E_NS1_11comp_targetILNS1_3genE8ELNS1_11target_archE1030ELNS1_3gpuE2ELNS1_3repE0EEENS1_30default_config_static_selectorELNS0_4arch9wavefront6targetE1EEEvSZ_,comdat
	.globl	_ZN7rocprim17ROCPRIM_400000_NS6detail17trampoline_kernelINS0_13select_configILj256ELj13ELNS0_17block_load_methodE3ELS4_3ELS4_3ELNS0_20block_scan_algorithmE0ELj4294967295EEENS1_25partition_config_selectorILNS1_17partition_subalgoE4EjNS0_10empty_typeEbEEZZNS1_14partition_implILS8_4ELb0ES6_15HIP_vector_typeIjLj2EENS0_17counting_iteratorIjlEEPS9_SG_NS0_5tupleIJPjSI_NS0_16reverse_iteratorISI_EEEEENSH_IJSG_SG_SG_EEES9_SI_JZNS1_25segmented_radix_sort_implINS0_14default_configELb0EPKlPlSQ_SR_N2at6native12_GLOBAL__N_18offset_tEEE10hipError_tPvRmT1_PNSt15iterator_traitsISZ_E10value_typeET2_T3_PNS10_IS15_E10value_typeET4_jRbjT5_S1B_jjP12ihipStream_tbEUljE_ZNSN_ISO_Lb0ESQ_SR_SQ_SR_SV_EESW_SX_SY_SZ_S13_S14_S15_S18_S19_jS1A_jS1B_S1B_jjS1D_bEUljE0_EEESW_SX_SY_S15_S19_S1B_T6_T7_T9_mT8_S1D_bDpT10_ENKUlT_T0_E_clISt17integral_constantIbLb0EES1R_EEDaS1M_S1N_EUlS1M_E_NS1_11comp_targetILNS1_3genE8ELNS1_11target_archE1030ELNS1_3gpuE2ELNS1_3repE0EEENS1_30default_config_static_selectorELNS0_4arch9wavefront6targetE1EEEvSZ_ ; -- Begin function _ZN7rocprim17ROCPRIM_400000_NS6detail17trampoline_kernelINS0_13select_configILj256ELj13ELNS0_17block_load_methodE3ELS4_3ELS4_3ELNS0_20block_scan_algorithmE0ELj4294967295EEENS1_25partition_config_selectorILNS1_17partition_subalgoE4EjNS0_10empty_typeEbEEZZNS1_14partition_implILS8_4ELb0ES6_15HIP_vector_typeIjLj2EENS0_17counting_iteratorIjlEEPS9_SG_NS0_5tupleIJPjSI_NS0_16reverse_iteratorISI_EEEEENSH_IJSG_SG_SG_EEES9_SI_JZNS1_25segmented_radix_sort_implINS0_14default_configELb0EPKlPlSQ_SR_N2at6native12_GLOBAL__N_18offset_tEEE10hipError_tPvRmT1_PNSt15iterator_traitsISZ_E10value_typeET2_T3_PNS10_IS15_E10value_typeET4_jRbjT5_S1B_jjP12ihipStream_tbEUljE_ZNSN_ISO_Lb0ESQ_SR_SQ_SR_SV_EESW_SX_SY_SZ_S13_S14_S15_S18_S19_jS1A_jS1B_S1B_jjS1D_bEUljE0_EEESW_SX_SY_S15_S19_S1B_T6_T7_T9_mT8_S1D_bDpT10_ENKUlT_T0_E_clISt17integral_constantIbLb0EES1R_EEDaS1M_S1N_EUlS1M_E_NS1_11comp_targetILNS1_3genE8ELNS1_11target_archE1030ELNS1_3gpuE2ELNS1_3repE0EEENS1_30default_config_static_selectorELNS0_4arch9wavefront6targetE1EEEvSZ_
	.p2align	8
	.type	_ZN7rocprim17ROCPRIM_400000_NS6detail17trampoline_kernelINS0_13select_configILj256ELj13ELNS0_17block_load_methodE3ELS4_3ELS4_3ELNS0_20block_scan_algorithmE0ELj4294967295EEENS1_25partition_config_selectorILNS1_17partition_subalgoE4EjNS0_10empty_typeEbEEZZNS1_14partition_implILS8_4ELb0ES6_15HIP_vector_typeIjLj2EENS0_17counting_iteratorIjlEEPS9_SG_NS0_5tupleIJPjSI_NS0_16reverse_iteratorISI_EEEEENSH_IJSG_SG_SG_EEES9_SI_JZNS1_25segmented_radix_sort_implINS0_14default_configELb0EPKlPlSQ_SR_N2at6native12_GLOBAL__N_18offset_tEEE10hipError_tPvRmT1_PNSt15iterator_traitsISZ_E10value_typeET2_T3_PNS10_IS15_E10value_typeET4_jRbjT5_S1B_jjP12ihipStream_tbEUljE_ZNSN_ISO_Lb0ESQ_SR_SQ_SR_SV_EESW_SX_SY_SZ_S13_S14_S15_S18_S19_jS1A_jS1B_S1B_jjS1D_bEUljE0_EEESW_SX_SY_S15_S19_S1B_T6_T7_T9_mT8_S1D_bDpT10_ENKUlT_T0_E_clISt17integral_constantIbLb0EES1R_EEDaS1M_S1N_EUlS1M_E_NS1_11comp_targetILNS1_3genE8ELNS1_11target_archE1030ELNS1_3gpuE2ELNS1_3repE0EEENS1_30default_config_static_selectorELNS0_4arch9wavefront6targetE1EEEvSZ_,@function
_ZN7rocprim17ROCPRIM_400000_NS6detail17trampoline_kernelINS0_13select_configILj256ELj13ELNS0_17block_load_methodE3ELS4_3ELS4_3ELNS0_20block_scan_algorithmE0ELj4294967295EEENS1_25partition_config_selectorILNS1_17partition_subalgoE4EjNS0_10empty_typeEbEEZZNS1_14partition_implILS8_4ELb0ES6_15HIP_vector_typeIjLj2EENS0_17counting_iteratorIjlEEPS9_SG_NS0_5tupleIJPjSI_NS0_16reverse_iteratorISI_EEEEENSH_IJSG_SG_SG_EEES9_SI_JZNS1_25segmented_radix_sort_implINS0_14default_configELb0EPKlPlSQ_SR_N2at6native12_GLOBAL__N_18offset_tEEE10hipError_tPvRmT1_PNSt15iterator_traitsISZ_E10value_typeET2_T3_PNS10_IS15_E10value_typeET4_jRbjT5_S1B_jjP12ihipStream_tbEUljE_ZNSN_ISO_Lb0ESQ_SR_SQ_SR_SV_EESW_SX_SY_SZ_S13_S14_S15_S18_S19_jS1A_jS1B_S1B_jjS1D_bEUljE0_EEESW_SX_SY_S15_S19_S1B_T6_T7_T9_mT8_S1D_bDpT10_ENKUlT_T0_E_clISt17integral_constantIbLb0EES1R_EEDaS1M_S1N_EUlS1M_E_NS1_11comp_targetILNS1_3genE8ELNS1_11target_archE1030ELNS1_3gpuE2ELNS1_3repE0EEENS1_30default_config_static_selectorELNS0_4arch9wavefront6targetE1EEEvSZ_: ; @_ZN7rocprim17ROCPRIM_400000_NS6detail17trampoline_kernelINS0_13select_configILj256ELj13ELNS0_17block_load_methodE3ELS4_3ELS4_3ELNS0_20block_scan_algorithmE0ELj4294967295EEENS1_25partition_config_selectorILNS1_17partition_subalgoE4EjNS0_10empty_typeEbEEZZNS1_14partition_implILS8_4ELb0ES6_15HIP_vector_typeIjLj2EENS0_17counting_iteratorIjlEEPS9_SG_NS0_5tupleIJPjSI_NS0_16reverse_iteratorISI_EEEEENSH_IJSG_SG_SG_EEES9_SI_JZNS1_25segmented_radix_sort_implINS0_14default_configELb0EPKlPlSQ_SR_N2at6native12_GLOBAL__N_18offset_tEEE10hipError_tPvRmT1_PNSt15iterator_traitsISZ_E10value_typeET2_T3_PNS10_IS15_E10value_typeET4_jRbjT5_S1B_jjP12ihipStream_tbEUljE_ZNSN_ISO_Lb0ESQ_SR_SQ_SR_SV_EESW_SX_SY_SZ_S13_S14_S15_S18_S19_jS1A_jS1B_S1B_jjS1D_bEUljE0_EEESW_SX_SY_S15_S19_S1B_T6_T7_T9_mT8_S1D_bDpT10_ENKUlT_T0_E_clISt17integral_constantIbLb0EES1R_EEDaS1M_S1N_EUlS1M_E_NS1_11comp_targetILNS1_3genE8ELNS1_11target_archE1030ELNS1_3gpuE2ELNS1_3repE0EEENS1_30default_config_static_selectorELNS0_4arch9wavefront6targetE1EEEvSZ_
; %bb.0:
	.section	.rodata,"a",@progbits
	.p2align	6, 0x0
	.amdhsa_kernel _ZN7rocprim17ROCPRIM_400000_NS6detail17trampoline_kernelINS0_13select_configILj256ELj13ELNS0_17block_load_methodE3ELS4_3ELS4_3ELNS0_20block_scan_algorithmE0ELj4294967295EEENS1_25partition_config_selectorILNS1_17partition_subalgoE4EjNS0_10empty_typeEbEEZZNS1_14partition_implILS8_4ELb0ES6_15HIP_vector_typeIjLj2EENS0_17counting_iteratorIjlEEPS9_SG_NS0_5tupleIJPjSI_NS0_16reverse_iteratorISI_EEEEENSH_IJSG_SG_SG_EEES9_SI_JZNS1_25segmented_radix_sort_implINS0_14default_configELb0EPKlPlSQ_SR_N2at6native12_GLOBAL__N_18offset_tEEE10hipError_tPvRmT1_PNSt15iterator_traitsISZ_E10value_typeET2_T3_PNS10_IS15_E10value_typeET4_jRbjT5_S1B_jjP12ihipStream_tbEUljE_ZNSN_ISO_Lb0ESQ_SR_SQ_SR_SV_EESW_SX_SY_SZ_S13_S14_S15_S18_S19_jS1A_jS1B_S1B_jjS1D_bEUljE0_EEESW_SX_SY_S15_S19_S1B_T6_T7_T9_mT8_S1D_bDpT10_ENKUlT_T0_E_clISt17integral_constantIbLb0EES1R_EEDaS1M_S1N_EUlS1M_E_NS1_11comp_targetILNS1_3genE8ELNS1_11target_archE1030ELNS1_3gpuE2ELNS1_3repE0EEENS1_30default_config_static_selectorELNS0_4arch9wavefront6targetE1EEEvSZ_
		.amdhsa_group_segment_fixed_size 0
		.amdhsa_private_segment_fixed_size 0
		.amdhsa_kernarg_size 176
		.amdhsa_user_sgpr_count 6
		.amdhsa_user_sgpr_private_segment_buffer 1
		.amdhsa_user_sgpr_dispatch_ptr 0
		.amdhsa_user_sgpr_queue_ptr 0
		.amdhsa_user_sgpr_kernarg_segment_ptr 1
		.amdhsa_user_sgpr_dispatch_id 0
		.amdhsa_user_sgpr_flat_scratch_init 0
		.amdhsa_user_sgpr_kernarg_preload_length 0
		.amdhsa_user_sgpr_kernarg_preload_offset 0
		.amdhsa_user_sgpr_private_segment_size 0
		.amdhsa_uses_dynamic_stack 0
		.amdhsa_system_sgpr_private_segment_wavefront_offset 0
		.amdhsa_system_sgpr_workgroup_id_x 1
		.amdhsa_system_sgpr_workgroup_id_y 0
		.amdhsa_system_sgpr_workgroup_id_z 0
		.amdhsa_system_sgpr_workgroup_info 0
		.amdhsa_system_vgpr_workitem_id 0
		.amdhsa_next_free_vgpr 1
		.amdhsa_next_free_sgpr 0
		.amdhsa_accum_offset 4
		.amdhsa_reserve_vcc 0
		.amdhsa_reserve_flat_scratch 0
		.amdhsa_float_round_mode_32 0
		.amdhsa_float_round_mode_16_64 0
		.amdhsa_float_denorm_mode_32 3
		.amdhsa_float_denorm_mode_16_64 3
		.amdhsa_dx10_clamp 1
		.amdhsa_ieee_mode 1
		.amdhsa_fp16_overflow 0
		.amdhsa_tg_split 0
		.amdhsa_exception_fp_ieee_invalid_op 0
		.amdhsa_exception_fp_denorm_src 0
		.amdhsa_exception_fp_ieee_div_zero 0
		.amdhsa_exception_fp_ieee_overflow 0
		.amdhsa_exception_fp_ieee_underflow 0
		.amdhsa_exception_fp_ieee_inexact 0
		.amdhsa_exception_int_div_zero 0
	.end_amdhsa_kernel
	.section	.text._ZN7rocprim17ROCPRIM_400000_NS6detail17trampoline_kernelINS0_13select_configILj256ELj13ELNS0_17block_load_methodE3ELS4_3ELS4_3ELNS0_20block_scan_algorithmE0ELj4294967295EEENS1_25partition_config_selectorILNS1_17partition_subalgoE4EjNS0_10empty_typeEbEEZZNS1_14partition_implILS8_4ELb0ES6_15HIP_vector_typeIjLj2EENS0_17counting_iteratorIjlEEPS9_SG_NS0_5tupleIJPjSI_NS0_16reverse_iteratorISI_EEEEENSH_IJSG_SG_SG_EEES9_SI_JZNS1_25segmented_radix_sort_implINS0_14default_configELb0EPKlPlSQ_SR_N2at6native12_GLOBAL__N_18offset_tEEE10hipError_tPvRmT1_PNSt15iterator_traitsISZ_E10value_typeET2_T3_PNS10_IS15_E10value_typeET4_jRbjT5_S1B_jjP12ihipStream_tbEUljE_ZNSN_ISO_Lb0ESQ_SR_SQ_SR_SV_EESW_SX_SY_SZ_S13_S14_S15_S18_S19_jS1A_jS1B_S1B_jjS1D_bEUljE0_EEESW_SX_SY_S15_S19_S1B_T6_T7_T9_mT8_S1D_bDpT10_ENKUlT_T0_E_clISt17integral_constantIbLb0EES1R_EEDaS1M_S1N_EUlS1M_E_NS1_11comp_targetILNS1_3genE8ELNS1_11target_archE1030ELNS1_3gpuE2ELNS1_3repE0EEENS1_30default_config_static_selectorELNS0_4arch9wavefront6targetE1EEEvSZ_,"axG",@progbits,_ZN7rocprim17ROCPRIM_400000_NS6detail17trampoline_kernelINS0_13select_configILj256ELj13ELNS0_17block_load_methodE3ELS4_3ELS4_3ELNS0_20block_scan_algorithmE0ELj4294967295EEENS1_25partition_config_selectorILNS1_17partition_subalgoE4EjNS0_10empty_typeEbEEZZNS1_14partition_implILS8_4ELb0ES6_15HIP_vector_typeIjLj2EENS0_17counting_iteratorIjlEEPS9_SG_NS0_5tupleIJPjSI_NS0_16reverse_iteratorISI_EEEEENSH_IJSG_SG_SG_EEES9_SI_JZNS1_25segmented_radix_sort_implINS0_14default_configELb0EPKlPlSQ_SR_N2at6native12_GLOBAL__N_18offset_tEEE10hipError_tPvRmT1_PNSt15iterator_traitsISZ_E10value_typeET2_T3_PNS10_IS15_E10value_typeET4_jRbjT5_S1B_jjP12ihipStream_tbEUljE_ZNSN_ISO_Lb0ESQ_SR_SQ_SR_SV_EESW_SX_SY_SZ_S13_S14_S15_S18_S19_jS1A_jS1B_S1B_jjS1D_bEUljE0_EEESW_SX_SY_S15_S19_S1B_T6_T7_T9_mT8_S1D_bDpT10_ENKUlT_T0_E_clISt17integral_constantIbLb0EES1R_EEDaS1M_S1N_EUlS1M_E_NS1_11comp_targetILNS1_3genE8ELNS1_11target_archE1030ELNS1_3gpuE2ELNS1_3repE0EEENS1_30default_config_static_selectorELNS0_4arch9wavefront6targetE1EEEvSZ_,comdat
.Lfunc_end750:
	.size	_ZN7rocprim17ROCPRIM_400000_NS6detail17trampoline_kernelINS0_13select_configILj256ELj13ELNS0_17block_load_methodE3ELS4_3ELS4_3ELNS0_20block_scan_algorithmE0ELj4294967295EEENS1_25partition_config_selectorILNS1_17partition_subalgoE4EjNS0_10empty_typeEbEEZZNS1_14partition_implILS8_4ELb0ES6_15HIP_vector_typeIjLj2EENS0_17counting_iteratorIjlEEPS9_SG_NS0_5tupleIJPjSI_NS0_16reverse_iteratorISI_EEEEENSH_IJSG_SG_SG_EEES9_SI_JZNS1_25segmented_radix_sort_implINS0_14default_configELb0EPKlPlSQ_SR_N2at6native12_GLOBAL__N_18offset_tEEE10hipError_tPvRmT1_PNSt15iterator_traitsISZ_E10value_typeET2_T3_PNS10_IS15_E10value_typeET4_jRbjT5_S1B_jjP12ihipStream_tbEUljE_ZNSN_ISO_Lb0ESQ_SR_SQ_SR_SV_EESW_SX_SY_SZ_S13_S14_S15_S18_S19_jS1A_jS1B_S1B_jjS1D_bEUljE0_EEESW_SX_SY_S15_S19_S1B_T6_T7_T9_mT8_S1D_bDpT10_ENKUlT_T0_E_clISt17integral_constantIbLb0EES1R_EEDaS1M_S1N_EUlS1M_E_NS1_11comp_targetILNS1_3genE8ELNS1_11target_archE1030ELNS1_3gpuE2ELNS1_3repE0EEENS1_30default_config_static_selectorELNS0_4arch9wavefront6targetE1EEEvSZ_, .Lfunc_end750-_ZN7rocprim17ROCPRIM_400000_NS6detail17trampoline_kernelINS0_13select_configILj256ELj13ELNS0_17block_load_methodE3ELS4_3ELS4_3ELNS0_20block_scan_algorithmE0ELj4294967295EEENS1_25partition_config_selectorILNS1_17partition_subalgoE4EjNS0_10empty_typeEbEEZZNS1_14partition_implILS8_4ELb0ES6_15HIP_vector_typeIjLj2EENS0_17counting_iteratorIjlEEPS9_SG_NS0_5tupleIJPjSI_NS0_16reverse_iteratorISI_EEEEENSH_IJSG_SG_SG_EEES9_SI_JZNS1_25segmented_radix_sort_implINS0_14default_configELb0EPKlPlSQ_SR_N2at6native12_GLOBAL__N_18offset_tEEE10hipError_tPvRmT1_PNSt15iterator_traitsISZ_E10value_typeET2_T3_PNS10_IS15_E10value_typeET4_jRbjT5_S1B_jjP12ihipStream_tbEUljE_ZNSN_ISO_Lb0ESQ_SR_SQ_SR_SV_EESW_SX_SY_SZ_S13_S14_S15_S18_S19_jS1A_jS1B_S1B_jjS1D_bEUljE0_EEESW_SX_SY_S15_S19_S1B_T6_T7_T9_mT8_S1D_bDpT10_ENKUlT_T0_E_clISt17integral_constantIbLb0EES1R_EEDaS1M_S1N_EUlS1M_E_NS1_11comp_targetILNS1_3genE8ELNS1_11target_archE1030ELNS1_3gpuE2ELNS1_3repE0EEENS1_30default_config_static_selectorELNS0_4arch9wavefront6targetE1EEEvSZ_
                                        ; -- End function
	.section	.AMDGPU.csdata,"",@progbits
; Kernel info:
; codeLenInByte = 0
; NumSgprs: 4
; NumVgprs: 0
; NumAgprs: 0
; TotalNumVgprs: 0
; ScratchSize: 0
; MemoryBound: 0
; FloatMode: 240
; IeeeMode: 1
; LDSByteSize: 0 bytes/workgroup (compile time only)
; SGPRBlocks: 0
; VGPRBlocks: 0
; NumSGPRsForWavesPerEU: 4
; NumVGPRsForWavesPerEU: 1
; AccumOffset: 4
; Occupancy: 8
; WaveLimiterHint : 0
; COMPUTE_PGM_RSRC2:SCRATCH_EN: 0
; COMPUTE_PGM_RSRC2:USER_SGPR: 6
; COMPUTE_PGM_RSRC2:TRAP_HANDLER: 0
; COMPUTE_PGM_RSRC2:TGID_X_EN: 1
; COMPUTE_PGM_RSRC2:TGID_Y_EN: 0
; COMPUTE_PGM_RSRC2:TGID_Z_EN: 0
; COMPUTE_PGM_RSRC2:TIDIG_COMP_CNT: 0
; COMPUTE_PGM_RSRC3_GFX90A:ACCUM_OFFSET: 0
; COMPUTE_PGM_RSRC3_GFX90A:TG_SPLIT: 0
	.section	.text._ZN7rocprim17ROCPRIM_400000_NS6detail17trampoline_kernelINS0_13select_configILj256ELj13ELNS0_17block_load_methodE3ELS4_3ELS4_3ELNS0_20block_scan_algorithmE0ELj4294967295EEENS1_25partition_config_selectorILNS1_17partition_subalgoE4EjNS0_10empty_typeEbEEZZNS1_14partition_implILS8_4ELb0ES6_15HIP_vector_typeIjLj2EENS0_17counting_iteratorIjlEEPS9_SG_NS0_5tupleIJPjSI_NS0_16reverse_iteratorISI_EEEEENSH_IJSG_SG_SG_EEES9_SI_JZNS1_25segmented_radix_sort_implINS0_14default_configELb0EPKlPlSQ_SR_N2at6native12_GLOBAL__N_18offset_tEEE10hipError_tPvRmT1_PNSt15iterator_traitsISZ_E10value_typeET2_T3_PNS10_IS15_E10value_typeET4_jRbjT5_S1B_jjP12ihipStream_tbEUljE_ZNSN_ISO_Lb0ESQ_SR_SQ_SR_SV_EESW_SX_SY_SZ_S13_S14_S15_S18_S19_jS1A_jS1B_S1B_jjS1D_bEUljE0_EEESW_SX_SY_S15_S19_S1B_T6_T7_T9_mT8_S1D_bDpT10_ENKUlT_T0_E_clISt17integral_constantIbLb1EES1R_EEDaS1M_S1N_EUlS1M_E_NS1_11comp_targetILNS1_3genE0ELNS1_11target_archE4294967295ELNS1_3gpuE0ELNS1_3repE0EEENS1_30default_config_static_selectorELNS0_4arch9wavefront6targetE1EEEvSZ_,"axG",@progbits,_ZN7rocprim17ROCPRIM_400000_NS6detail17trampoline_kernelINS0_13select_configILj256ELj13ELNS0_17block_load_methodE3ELS4_3ELS4_3ELNS0_20block_scan_algorithmE0ELj4294967295EEENS1_25partition_config_selectorILNS1_17partition_subalgoE4EjNS0_10empty_typeEbEEZZNS1_14partition_implILS8_4ELb0ES6_15HIP_vector_typeIjLj2EENS0_17counting_iteratorIjlEEPS9_SG_NS0_5tupleIJPjSI_NS0_16reverse_iteratorISI_EEEEENSH_IJSG_SG_SG_EEES9_SI_JZNS1_25segmented_radix_sort_implINS0_14default_configELb0EPKlPlSQ_SR_N2at6native12_GLOBAL__N_18offset_tEEE10hipError_tPvRmT1_PNSt15iterator_traitsISZ_E10value_typeET2_T3_PNS10_IS15_E10value_typeET4_jRbjT5_S1B_jjP12ihipStream_tbEUljE_ZNSN_ISO_Lb0ESQ_SR_SQ_SR_SV_EESW_SX_SY_SZ_S13_S14_S15_S18_S19_jS1A_jS1B_S1B_jjS1D_bEUljE0_EEESW_SX_SY_S15_S19_S1B_T6_T7_T9_mT8_S1D_bDpT10_ENKUlT_T0_E_clISt17integral_constantIbLb1EES1R_EEDaS1M_S1N_EUlS1M_E_NS1_11comp_targetILNS1_3genE0ELNS1_11target_archE4294967295ELNS1_3gpuE0ELNS1_3repE0EEENS1_30default_config_static_selectorELNS0_4arch9wavefront6targetE1EEEvSZ_,comdat
	.globl	_ZN7rocprim17ROCPRIM_400000_NS6detail17trampoline_kernelINS0_13select_configILj256ELj13ELNS0_17block_load_methodE3ELS4_3ELS4_3ELNS0_20block_scan_algorithmE0ELj4294967295EEENS1_25partition_config_selectorILNS1_17partition_subalgoE4EjNS0_10empty_typeEbEEZZNS1_14partition_implILS8_4ELb0ES6_15HIP_vector_typeIjLj2EENS0_17counting_iteratorIjlEEPS9_SG_NS0_5tupleIJPjSI_NS0_16reverse_iteratorISI_EEEEENSH_IJSG_SG_SG_EEES9_SI_JZNS1_25segmented_radix_sort_implINS0_14default_configELb0EPKlPlSQ_SR_N2at6native12_GLOBAL__N_18offset_tEEE10hipError_tPvRmT1_PNSt15iterator_traitsISZ_E10value_typeET2_T3_PNS10_IS15_E10value_typeET4_jRbjT5_S1B_jjP12ihipStream_tbEUljE_ZNSN_ISO_Lb0ESQ_SR_SQ_SR_SV_EESW_SX_SY_SZ_S13_S14_S15_S18_S19_jS1A_jS1B_S1B_jjS1D_bEUljE0_EEESW_SX_SY_S15_S19_S1B_T6_T7_T9_mT8_S1D_bDpT10_ENKUlT_T0_E_clISt17integral_constantIbLb1EES1R_EEDaS1M_S1N_EUlS1M_E_NS1_11comp_targetILNS1_3genE0ELNS1_11target_archE4294967295ELNS1_3gpuE0ELNS1_3repE0EEENS1_30default_config_static_selectorELNS0_4arch9wavefront6targetE1EEEvSZ_ ; -- Begin function _ZN7rocprim17ROCPRIM_400000_NS6detail17trampoline_kernelINS0_13select_configILj256ELj13ELNS0_17block_load_methodE3ELS4_3ELS4_3ELNS0_20block_scan_algorithmE0ELj4294967295EEENS1_25partition_config_selectorILNS1_17partition_subalgoE4EjNS0_10empty_typeEbEEZZNS1_14partition_implILS8_4ELb0ES6_15HIP_vector_typeIjLj2EENS0_17counting_iteratorIjlEEPS9_SG_NS0_5tupleIJPjSI_NS0_16reverse_iteratorISI_EEEEENSH_IJSG_SG_SG_EEES9_SI_JZNS1_25segmented_radix_sort_implINS0_14default_configELb0EPKlPlSQ_SR_N2at6native12_GLOBAL__N_18offset_tEEE10hipError_tPvRmT1_PNSt15iterator_traitsISZ_E10value_typeET2_T3_PNS10_IS15_E10value_typeET4_jRbjT5_S1B_jjP12ihipStream_tbEUljE_ZNSN_ISO_Lb0ESQ_SR_SQ_SR_SV_EESW_SX_SY_SZ_S13_S14_S15_S18_S19_jS1A_jS1B_S1B_jjS1D_bEUljE0_EEESW_SX_SY_S15_S19_S1B_T6_T7_T9_mT8_S1D_bDpT10_ENKUlT_T0_E_clISt17integral_constantIbLb1EES1R_EEDaS1M_S1N_EUlS1M_E_NS1_11comp_targetILNS1_3genE0ELNS1_11target_archE4294967295ELNS1_3gpuE0ELNS1_3repE0EEENS1_30default_config_static_selectorELNS0_4arch9wavefront6targetE1EEEvSZ_
	.p2align	8
	.type	_ZN7rocprim17ROCPRIM_400000_NS6detail17trampoline_kernelINS0_13select_configILj256ELj13ELNS0_17block_load_methodE3ELS4_3ELS4_3ELNS0_20block_scan_algorithmE0ELj4294967295EEENS1_25partition_config_selectorILNS1_17partition_subalgoE4EjNS0_10empty_typeEbEEZZNS1_14partition_implILS8_4ELb0ES6_15HIP_vector_typeIjLj2EENS0_17counting_iteratorIjlEEPS9_SG_NS0_5tupleIJPjSI_NS0_16reverse_iteratorISI_EEEEENSH_IJSG_SG_SG_EEES9_SI_JZNS1_25segmented_radix_sort_implINS0_14default_configELb0EPKlPlSQ_SR_N2at6native12_GLOBAL__N_18offset_tEEE10hipError_tPvRmT1_PNSt15iterator_traitsISZ_E10value_typeET2_T3_PNS10_IS15_E10value_typeET4_jRbjT5_S1B_jjP12ihipStream_tbEUljE_ZNSN_ISO_Lb0ESQ_SR_SQ_SR_SV_EESW_SX_SY_SZ_S13_S14_S15_S18_S19_jS1A_jS1B_S1B_jjS1D_bEUljE0_EEESW_SX_SY_S15_S19_S1B_T6_T7_T9_mT8_S1D_bDpT10_ENKUlT_T0_E_clISt17integral_constantIbLb1EES1R_EEDaS1M_S1N_EUlS1M_E_NS1_11comp_targetILNS1_3genE0ELNS1_11target_archE4294967295ELNS1_3gpuE0ELNS1_3repE0EEENS1_30default_config_static_selectorELNS0_4arch9wavefront6targetE1EEEvSZ_,@function
_ZN7rocprim17ROCPRIM_400000_NS6detail17trampoline_kernelINS0_13select_configILj256ELj13ELNS0_17block_load_methodE3ELS4_3ELS4_3ELNS0_20block_scan_algorithmE0ELj4294967295EEENS1_25partition_config_selectorILNS1_17partition_subalgoE4EjNS0_10empty_typeEbEEZZNS1_14partition_implILS8_4ELb0ES6_15HIP_vector_typeIjLj2EENS0_17counting_iteratorIjlEEPS9_SG_NS0_5tupleIJPjSI_NS0_16reverse_iteratorISI_EEEEENSH_IJSG_SG_SG_EEES9_SI_JZNS1_25segmented_radix_sort_implINS0_14default_configELb0EPKlPlSQ_SR_N2at6native12_GLOBAL__N_18offset_tEEE10hipError_tPvRmT1_PNSt15iterator_traitsISZ_E10value_typeET2_T3_PNS10_IS15_E10value_typeET4_jRbjT5_S1B_jjP12ihipStream_tbEUljE_ZNSN_ISO_Lb0ESQ_SR_SQ_SR_SV_EESW_SX_SY_SZ_S13_S14_S15_S18_S19_jS1A_jS1B_S1B_jjS1D_bEUljE0_EEESW_SX_SY_S15_S19_S1B_T6_T7_T9_mT8_S1D_bDpT10_ENKUlT_T0_E_clISt17integral_constantIbLb1EES1R_EEDaS1M_S1N_EUlS1M_E_NS1_11comp_targetILNS1_3genE0ELNS1_11target_archE4294967295ELNS1_3gpuE0ELNS1_3repE0EEENS1_30default_config_static_selectorELNS0_4arch9wavefront6targetE1EEEvSZ_: ; @_ZN7rocprim17ROCPRIM_400000_NS6detail17trampoline_kernelINS0_13select_configILj256ELj13ELNS0_17block_load_methodE3ELS4_3ELS4_3ELNS0_20block_scan_algorithmE0ELj4294967295EEENS1_25partition_config_selectorILNS1_17partition_subalgoE4EjNS0_10empty_typeEbEEZZNS1_14partition_implILS8_4ELb0ES6_15HIP_vector_typeIjLj2EENS0_17counting_iteratorIjlEEPS9_SG_NS0_5tupleIJPjSI_NS0_16reverse_iteratorISI_EEEEENSH_IJSG_SG_SG_EEES9_SI_JZNS1_25segmented_radix_sort_implINS0_14default_configELb0EPKlPlSQ_SR_N2at6native12_GLOBAL__N_18offset_tEEE10hipError_tPvRmT1_PNSt15iterator_traitsISZ_E10value_typeET2_T3_PNS10_IS15_E10value_typeET4_jRbjT5_S1B_jjP12ihipStream_tbEUljE_ZNSN_ISO_Lb0ESQ_SR_SQ_SR_SV_EESW_SX_SY_SZ_S13_S14_S15_S18_S19_jS1A_jS1B_S1B_jjS1D_bEUljE0_EEESW_SX_SY_S15_S19_S1B_T6_T7_T9_mT8_S1D_bDpT10_ENKUlT_T0_E_clISt17integral_constantIbLb1EES1R_EEDaS1M_S1N_EUlS1M_E_NS1_11comp_targetILNS1_3genE0ELNS1_11target_archE4294967295ELNS1_3gpuE0ELNS1_3repE0EEENS1_30default_config_static_selectorELNS0_4arch9wavefront6targetE1EEEvSZ_
; %bb.0:
	.section	.rodata,"a",@progbits
	.p2align	6, 0x0
	.amdhsa_kernel _ZN7rocprim17ROCPRIM_400000_NS6detail17trampoline_kernelINS0_13select_configILj256ELj13ELNS0_17block_load_methodE3ELS4_3ELS4_3ELNS0_20block_scan_algorithmE0ELj4294967295EEENS1_25partition_config_selectorILNS1_17partition_subalgoE4EjNS0_10empty_typeEbEEZZNS1_14partition_implILS8_4ELb0ES6_15HIP_vector_typeIjLj2EENS0_17counting_iteratorIjlEEPS9_SG_NS0_5tupleIJPjSI_NS0_16reverse_iteratorISI_EEEEENSH_IJSG_SG_SG_EEES9_SI_JZNS1_25segmented_radix_sort_implINS0_14default_configELb0EPKlPlSQ_SR_N2at6native12_GLOBAL__N_18offset_tEEE10hipError_tPvRmT1_PNSt15iterator_traitsISZ_E10value_typeET2_T3_PNS10_IS15_E10value_typeET4_jRbjT5_S1B_jjP12ihipStream_tbEUljE_ZNSN_ISO_Lb0ESQ_SR_SQ_SR_SV_EESW_SX_SY_SZ_S13_S14_S15_S18_S19_jS1A_jS1B_S1B_jjS1D_bEUljE0_EEESW_SX_SY_S15_S19_S1B_T6_T7_T9_mT8_S1D_bDpT10_ENKUlT_T0_E_clISt17integral_constantIbLb1EES1R_EEDaS1M_S1N_EUlS1M_E_NS1_11comp_targetILNS1_3genE0ELNS1_11target_archE4294967295ELNS1_3gpuE0ELNS1_3repE0EEENS1_30default_config_static_selectorELNS0_4arch9wavefront6targetE1EEEvSZ_
		.amdhsa_group_segment_fixed_size 0
		.amdhsa_private_segment_fixed_size 0
		.amdhsa_kernarg_size 184
		.amdhsa_user_sgpr_count 6
		.amdhsa_user_sgpr_private_segment_buffer 1
		.amdhsa_user_sgpr_dispatch_ptr 0
		.amdhsa_user_sgpr_queue_ptr 0
		.amdhsa_user_sgpr_kernarg_segment_ptr 1
		.amdhsa_user_sgpr_dispatch_id 0
		.amdhsa_user_sgpr_flat_scratch_init 0
		.amdhsa_user_sgpr_kernarg_preload_length 0
		.amdhsa_user_sgpr_kernarg_preload_offset 0
		.amdhsa_user_sgpr_private_segment_size 0
		.amdhsa_uses_dynamic_stack 0
		.amdhsa_system_sgpr_private_segment_wavefront_offset 0
		.amdhsa_system_sgpr_workgroup_id_x 1
		.amdhsa_system_sgpr_workgroup_id_y 0
		.amdhsa_system_sgpr_workgroup_id_z 0
		.amdhsa_system_sgpr_workgroup_info 0
		.amdhsa_system_vgpr_workitem_id 0
		.amdhsa_next_free_vgpr 1
		.amdhsa_next_free_sgpr 0
		.amdhsa_accum_offset 4
		.amdhsa_reserve_vcc 0
		.amdhsa_reserve_flat_scratch 0
		.amdhsa_float_round_mode_32 0
		.amdhsa_float_round_mode_16_64 0
		.amdhsa_float_denorm_mode_32 3
		.amdhsa_float_denorm_mode_16_64 3
		.amdhsa_dx10_clamp 1
		.amdhsa_ieee_mode 1
		.amdhsa_fp16_overflow 0
		.amdhsa_tg_split 0
		.amdhsa_exception_fp_ieee_invalid_op 0
		.amdhsa_exception_fp_denorm_src 0
		.amdhsa_exception_fp_ieee_div_zero 0
		.amdhsa_exception_fp_ieee_overflow 0
		.amdhsa_exception_fp_ieee_underflow 0
		.amdhsa_exception_fp_ieee_inexact 0
		.amdhsa_exception_int_div_zero 0
	.end_amdhsa_kernel
	.section	.text._ZN7rocprim17ROCPRIM_400000_NS6detail17trampoline_kernelINS0_13select_configILj256ELj13ELNS0_17block_load_methodE3ELS4_3ELS4_3ELNS0_20block_scan_algorithmE0ELj4294967295EEENS1_25partition_config_selectorILNS1_17partition_subalgoE4EjNS0_10empty_typeEbEEZZNS1_14partition_implILS8_4ELb0ES6_15HIP_vector_typeIjLj2EENS0_17counting_iteratorIjlEEPS9_SG_NS0_5tupleIJPjSI_NS0_16reverse_iteratorISI_EEEEENSH_IJSG_SG_SG_EEES9_SI_JZNS1_25segmented_radix_sort_implINS0_14default_configELb0EPKlPlSQ_SR_N2at6native12_GLOBAL__N_18offset_tEEE10hipError_tPvRmT1_PNSt15iterator_traitsISZ_E10value_typeET2_T3_PNS10_IS15_E10value_typeET4_jRbjT5_S1B_jjP12ihipStream_tbEUljE_ZNSN_ISO_Lb0ESQ_SR_SQ_SR_SV_EESW_SX_SY_SZ_S13_S14_S15_S18_S19_jS1A_jS1B_S1B_jjS1D_bEUljE0_EEESW_SX_SY_S15_S19_S1B_T6_T7_T9_mT8_S1D_bDpT10_ENKUlT_T0_E_clISt17integral_constantIbLb1EES1R_EEDaS1M_S1N_EUlS1M_E_NS1_11comp_targetILNS1_3genE0ELNS1_11target_archE4294967295ELNS1_3gpuE0ELNS1_3repE0EEENS1_30default_config_static_selectorELNS0_4arch9wavefront6targetE1EEEvSZ_,"axG",@progbits,_ZN7rocprim17ROCPRIM_400000_NS6detail17trampoline_kernelINS0_13select_configILj256ELj13ELNS0_17block_load_methodE3ELS4_3ELS4_3ELNS0_20block_scan_algorithmE0ELj4294967295EEENS1_25partition_config_selectorILNS1_17partition_subalgoE4EjNS0_10empty_typeEbEEZZNS1_14partition_implILS8_4ELb0ES6_15HIP_vector_typeIjLj2EENS0_17counting_iteratorIjlEEPS9_SG_NS0_5tupleIJPjSI_NS0_16reverse_iteratorISI_EEEEENSH_IJSG_SG_SG_EEES9_SI_JZNS1_25segmented_radix_sort_implINS0_14default_configELb0EPKlPlSQ_SR_N2at6native12_GLOBAL__N_18offset_tEEE10hipError_tPvRmT1_PNSt15iterator_traitsISZ_E10value_typeET2_T3_PNS10_IS15_E10value_typeET4_jRbjT5_S1B_jjP12ihipStream_tbEUljE_ZNSN_ISO_Lb0ESQ_SR_SQ_SR_SV_EESW_SX_SY_SZ_S13_S14_S15_S18_S19_jS1A_jS1B_S1B_jjS1D_bEUljE0_EEESW_SX_SY_S15_S19_S1B_T6_T7_T9_mT8_S1D_bDpT10_ENKUlT_T0_E_clISt17integral_constantIbLb1EES1R_EEDaS1M_S1N_EUlS1M_E_NS1_11comp_targetILNS1_3genE0ELNS1_11target_archE4294967295ELNS1_3gpuE0ELNS1_3repE0EEENS1_30default_config_static_selectorELNS0_4arch9wavefront6targetE1EEEvSZ_,comdat
.Lfunc_end751:
	.size	_ZN7rocprim17ROCPRIM_400000_NS6detail17trampoline_kernelINS0_13select_configILj256ELj13ELNS0_17block_load_methodE3ELS4_3ELS4_3ELNS0_20block_scan_algorithmE0ELj4294967295EEENS1_25partition_config_selectorILNS1_17partition_subalgoE4EjNS0_10empty_typeEbEEZZNS1_14partition_implILS8_4ELb0ES6_15HIP_vector_typeIjLj2EENS0_17counting_iteratorIjlEEPS9_SG_NS0_5tupleIJPjSI_NS0_16reverse_iteratorISI_EEEEENSH_IJSG_SG_SG_EEES9_SI_JZNS1_25segmented_radix_sort_implINS0_14default_configELb0EPKlPlSQ_SR_N2at6native12_GLOBAL__N_18offset_tEEE10hipError_tPvRmT1_PNSt15iterator_traitsISZ_E10value_typeET2_T3_PNS10_IS15_E10value_typeET4_jRbjT5_S1B_jjP12ihipStream_tbEUljE_ZNSN_ISO_Lb0ESQ_SR_SQ_SR_SV_EESW_SX_SY_SZ_S13_S14_S15_S18_S19_jS1A_jS1B_S1B_jjS1D_bEUljE0_EEESW_SX_SY_S15_S19_S1B_T6_T7_T9_mT8_S1D_bDpT10_ENKUlT_T0_E_clISt17integral_constantIbLb1EES1R_EEDaS1M_S1N_EUlS1M_E_NS1_11comp_targetILNS1_3genE0ELNS1_11target_archE4294967295ELNS1_3gpuE0ELNS1_3repE0EEENS1_30default_config_static_selectorELNS0_4arch9wavefront6targetE1EEEvSZ_, .Lfunc_end751-_ZN7rocprim17ROCPRIM_400000_NS6detail17trampoline_kernelINS0_13select_configILj256ELj13ELNS0_17block_load_methodE3ELS4_3ELS4_3ELNS0_20block_scan_algorithmE0ELj4294967295EEENS1_25partition_config_selectorILNS1_17partition_subalgoE4EjNS0_10empty_typeEbEEZZNS1_14partition_implILS8_4ELb0ES6_15HIP_vector_typeIjLj2EENS0_17counting_iteratorIjlEEPS9_SG_NS0_5tupleIJPjSI_NS0_16reverse_iteratorISI_EEEEENSH_IJSG_SG_SG_EEES9_SI_JZNS1_25segmented_radix_sort_implINS0_14default_configELb0EPKlPlSQ_SR_N2at6native12_GLOBAL__N_18offset_tEEE10hipError_tPvRmT1_PNSt15iterator_traitsISZ_E10value_typeET2_T3_PNS10_IS15_E10value_typeET4_jRbjT5_S1B_jjP12ihipStream_tbEUljE_ZNSN_ISO_Lb0ESQ_SR_SQ_SR_SV_EESW_SX_SY_SZ_S13_S14_S15_S18_S19_jS1A_jS1B_S1B_jjS1D_bEUljE0_EEESW_SX_SY_S15_S19_S1B_T6_T7_T9_mT8_S1D_bDpT10_ENKUlT_T0_E_clISt17integral_constantIbLb1EES1R_EEDaS1M_S1N_EUlS1M_E_NS1_11comp_targetILNS1_3genE0ELNS1_11target_archE4294967295ELNS1_3gpuE0ELNS1_3repE0EEENS1_30default_config_static_selectorELNS0_4arch9wavefront6targetE1EEEvSZ_
                                        ; -- End function
	.section	.AMDGPU.csdata,"",@progbits
; Kernel info:
; codeLenInByte = 0
; NumSgprs: 4
; NumVgprs: 0
; NumAgprs: 0
; TotalNumVgprs: 0
; ScratchSize: 0
; MemoryBound: 0
; FloatMode: 240
; IeeeMode: 1
; LDSByteSize: 0 bytes/workgroup (compile time only)
; SGPRBlocks: 0
; VGPRBlocks: 0
; NumSGPRsForWavesPerEU: 4
; NumVGPRsForWavesPerEU: 1
; AccumOffset: 4
; Occupancy: 8
; WaveLimiterHint : 0
; COMPUTE_PGM_RSRC2:SCRATCH_EN: 0
; COMPUTE_PGM_RSRC2:USER_SGPR: 6
; COMPUTE_PGM_RSRC2:TRAP_HANDLER: 0
; COMPUTE_PGM_RSRC2:TGID_X_EN: 1
; COMPUTE_PGM_RSRC2:TGID_Y_EN: 0
; COMPUTE_PGM_RSRC2:TGID_Z_EN: 0
; COMPUTE_PGM_RSRC2:TIDIG_COMP_CNT: 0
; COMPUTE_PGM_RSRC3_GFX90A:ACCUM_OFFSET: 0
; COMPUTE_PGM_RSRC3_GFX90A:TG_SPLIT: 0
	.section	.text._ZN7rocprim17ROCPRIM_400000_NS6detail17trampoline_kernelINS0_13select_configILj256ELj13ELNS0_17block_load_methodE3ELS4_3ELS4_3ELNS0_20block_scan_algorithmE0ELj4294967295EEENS1_25partition_config_selectorILNS1_17partition_subalgoE4EjNS0_10empty_typeEbEEZZNS1_14partition_implILS8_4ELb0ES6_15HIP_vector_typeIjLj2EENS0_17counting_iteratorIjlEEPS9_SG_NS0_5tupleIJPjSI_NS0_16reverse_iteratorISI_EEEEENSH_IJSG_SG_SG_EEES9_SI_JZNS1_25segmented_radix_sort_implINS0_14default_configELb0EPKlPlSQ_SR_N2at6native12_GLOBAL__N_18offset_tEEE10hipError_tPvRmT1_PNSt15iterator_traitsISZ_E10value_typeET2_T3_PNS10_IS15_E10value_typeET4_jRbjT5_S1B_jjP12ihipStream_tbEUljE_ZNSN_ISO_Lb0ESQ_SR_SQ_SR_SV_EESW_SX_SY_SZ_S13_S14_S15_S18_S19_jS1A_jS1B_S1B_jjS1D_bEUljE0_EEESW_SX_SY_S15_S19_S1B_T6_T7_T9_mT8_S1D_bDpT10_ENKUlT_T0_E_clISt17integral_constantIbLb1EES1R_EEDaS1M_S1N_EUlS1M_E_NS1_11comp_targetILNS1_3genE5ELNS1_11target_archE942ELNS1_3gpuE9ELNS1_3repE0EEENS1_30default_config_static_selectorELNS0_4arch9wavefront6targetE1EEEvSZ_,"axG",@progbits,_ZN7rocprim17ROCPRIM_400000_NS6detail17trampoline_kernelINS0_13select_configILj256ELj13ELNS0_17block_load_methodE3ELS4_3ELS4_3ELNS0_20block_scan_algorithmE0ELj4294967295EEENS1_25partition_config_selectorILNS1_17partition_subalgoE4EjNS0_10empty_typeEbEEZZNS1_14partition_implILS8_4ELb0ES6_15HIP_vector_typeIjLj2EENS0_17counting_iteratorIjlEEPS9_SG_NS0_5tupleIJPjSI_NS0_16reverse_iteratorISI_EEEEENSH_IJSG_SG_SG_EEES9_SI_JZNS1_25segmented_radix_sort_implINS0_14default_configELb0EPKlPlSQ_SR_N2at6native12_GLOBAL__N_18offset_tEEE10hipError_tPvRmT1_PNSt15iterator_traitsISZ_E10value_typeET2_T3_PNS10_IS15_E10value_typeET4_jRbjT5_S1B_jjP12ihipStream_tbEUljE_ZNSN_ISO_Lb0ESQ_SR_SQ_SR_SV_EESW_SX_SY_SZ_S13_S14_S15_S18_S19_jS1A_jS1B_S1B_jjS1D_bEUljE0_EEESW_SX_SY_S15_S19_S1B_T6_T7_T9_mT8_S1D_bDpT10_ENKUlT_T0_E_clISt17integral_constantIbLb1EES1R_EEDaS1M_S1N_EUlS1M_E_NS1_11comp_targetILNS1_3genE5ELNS1_11target_archE942ELNS1_3gpuE9ELNS1_3repE0EEENS1_30default_config_static_selectorELNS0_4arch9wavefront6targetE1EEEvSZ_,comdat
	.globl	_ZN7rocprim17ROCPRIM_400000_NS6detail17trampoline_kernelINS0_13select_configILj256ELj13ELNS0_17block_load_methodE3ELS4_3ELS4_3ELNS0_20block_scan_algorithmE0ELj4294967295EEENS1_25partition_config_selectorILNS1_17partition_subalgoE4EjNS0_10empty_typeEbEEZZNS1_14partition_implILS8_4ELb0ES6_15HIP_vector_typeIjLj2EENS0_17counting_iteratorIjlEEPS9_SG_NS0_5tupleIJPjSI_NS0_16reverse_iteratorISI_EEEEENSH_IJSG_SG_SG_EEES9_SI_JZNS1_25segmented_radix_sort_implINS0_14default_configELb0EPKlPlSQ_SR_N2at6native12_GLOBAL__N_18offset_tEEE10hipError_tPvRmT1_PNSt15iterator_traitsISZ_E10value_typeET2_T3_PNS10_IS15_E10value_typeET4_jRbjT5_S1B_jjP12ihipStream_tbEUljE_ZNSN_ISO_Lb0ESQ_SR_SQ_SR_SV_EESW_SX_SY_SZ_S13_S14_S15_S18_S19_jS1A_jS1B_S1B_jjS1D_bEUljE0_EEESW_SX_SY_S15_S19_S1B_T6_T7_T9_mT8_S1D_bDpT10_ENKUlT_T0_E_clISt17integral_constantIbLb1EES1R_EEDaS1M_S1N_EUlS1M_E_NS1_11comp_targetILNS1_3genE5ELNS1_11target_archE942ELNS1_3gpuE9ELNS1_3repE0EEENS1_30default_config_static_selectorELNS0_4arch9wavefront6targetE1EEEvSZ_ ; -- Begin function _ZN7rocprim17ROCPRIM_400000_NS6detail17trampoline_kernelINS0_13select_configILj256ELj13ELNS0_17block_load_methodE3ELS4_3ELS4_3ELNS0_20block_scan_algorithmE0ELj4294967295EEENS1_25partition_config_selectorILNS1_17partition_subalgoE4EjNS0_10empty_typeEbEEZZNS1_14partition_implILS8_4ELb0ES6_15HIP_vector_typeIjLj2EENS0_17counting_iteratorIjlEEPS9_SG_NS0_5tupleIJPjSI_NS0_16reverse_iteratorISI_EEEEENSH_IJSG_SG_SG_EEES9_SI_JZNS1_25segmented_radix_sort_implINS0_14default_configELb0EPKlPlSQ_SR_N2at6native12_GLOBAL__N_18offset_tEEE10hipError_tPvRmT1_PNSt15iterator_traitsISZ_E10value_typeET2_T3_PNS10_IS15_E10value_typeET4_jRbjT5_S1B_jjP12ihipStream_tbEUljE_ZNSN_ISO_Lb0ESQ_SR_SQ_SR_SV_EESW_SX_SY_SZ_S13_S14_S15_S18_S19_jS1A_jS1B_S1B_jjS1D_bEUljE0_EEESW_SX_SY_S15_S19_S1B_T6_T7_T9_mT8_S1D_bDpT10_ENKUlT_T0_E_clISt17integral_constantIbLb1EES1R_EEDaS1M_S1N_EUlS1M_E_NS1_11comp_targetILNS1_3genE5ELNS1_11target_archE942ELNS1_3gpuE9ELNS1_3repE0EEENS1_30default_config_static_selectorELNS0_4arch9wavefront6targetE1EEEvSZ_
	.p2align	8
	.type	_ZN7rocprim17ROCPRIM_400000_NS6detail17trampoline_kernelINS0_13select_configILj256ELj13ELNS0_17block_load_methodE3ELS4_3ELS4_3ELNS0_20block_scan_algorithmE0ELj4294967295EEENS1_25partition_config_selectorILNS1_17partition_subalgoE4EjNS0_10empty_typeEbEEZZNS1_14partition_implILS8_4ELb0ES6_15HIP_vector_typeIjLj2EENS0_17counting_iteratorIjlEEPS9_SG_NS0_5tupleIJPjSI_NS0_16reverse_iteratorISI_EEEEENSH_IJSG_SG_SG_EEES9_SI_JZNS1_25segmented_radix_sort_implINS0_14default_configELb0EPKlPlSQ_SR_N2at6native12_GLOBAL__N_18offset_tEEE10hipError_tPvRmT1_PNSt15iterator_traitsISZ_E10value_typeET2_T3_PNS10_IS15_E10value_typeET4_jRbjT5_S1B_jjP12ihipStream_tbEUljE_ZNSN_ISO_Lb0ESQ_SR_SQ_SR_SV_EESW_SX_SY_SZ_S13_S14_S15_S18_S19_jS1A_jS1B_S1B_jjS1D_bEUljE0_EEESW_SX_SY_S15_S19_S1B_T6_T7_T9_mT8_S1D_bDpT10_ENKUlT_T0_E_clISt17integral_constantIbLb1EES1R_EEDaS1M_S1N_EUlS1M_E_NS1_11comp_targetILNS1_3genE5ELNS1_11target_archE942ELNS1_3gpuE9ELNS1_3repE0EEENS1_30default_config_static_selectorELNS0_4arch9wavefront6targetE1EEEvSZ_,@function
_ZN7rocprim17ROCPRIM_400000_NS6detail17trampoline_kernelINS0_13select_configILj256ELj13ELNS0_17block_load_methodE3ELS4_3ELS4_3ELNS0_20block_scan_algorithmE0ELj4294967295EEENS1_25partition_config_selectorILNS1_17partition_subalgoE4EjNS0_10empty_typeEbEEZZNS1_14partition_implILS8_4ELb0ES6_15HIP_vector_typeIjLj2EENS0_17counting_iteratorIjlEEPS9_SG_NS0_5tupleIJPjSI_NS0_16reverse_iteratorISI_EEEEENSH_IJSG_SG_SG_EEES9_SI_JZNS1_25segmented_radix_sort_implINS0_14default_configELb0EPKlPlSQ_SR_N2at6native12_GLOBAL__N_18offset_tEEE10hipError_tPvRmT1_PNSt15iterator_traitsISZ_E10value_typeET2_T3_PNS10_IS15_E10value_typeET4_jRbjT5_S1B_jjP12ihipStream_tbEUljE_ZNSN_ISO_Lb0ESQ_SR_SQ_SR_SV_EESW_SX_SY_SZ_S13_S14_S15_S18_S19_jS1A_jS1B_S1B_jjS1D_bEUljE0_EEESW_SX_SY_S15_S19_S1B_T6_T7_T9_mT8_S1D_bDpT10_ENKUlT_T0_E_clISt17integral_constantIbLb1EES1R_EEDaS1M_S1N_EUlS1M_E_NS1_11comp_targetILNS1_3genE5ELNS1_11target_archE942ELNS1_3gpuE9ELNS1_3repE0EEENS1_30default_config_static_selectorELNS0_4arch9wavefront6targetE1EEEvSZ_: ; @_ZN7rocprim17ROCPRIM_400000_NS6detail17trampoline_kernelINS0_13select_configILj256ELj13ELNS0_17block_load_methodE3ELS4_3ELS4_3ELNS0_20block_scan_algorithmE0ELj4294967295EEENS1_25partition_config_selectorILNS1_17partition_subalgoE4EjNS0_10empty_typeEbEEZZNS1_14partition_implILS8_4ELb0ES6_15HIP_vector_typeIjLj2EENS0_17counting_iteratorIjlEEPS9_SG_NS0_5tupleIJPjSI_NS0_16reverse_iteratorISI_EEEEENSH_IJSG_SG_SG_EEES9_SI_JZNS1_25segmented_radix_sort_implINS0_14default_configELb0EPKlPlSQ_SR_N2at6native12_GLOBAL__N_18offset_tEEE10hipError_tPvRmT1_PNSt15iterator_traitsISZ_E10value_typeET2_T3_PNS10_IS15_E10value_typeET4_jRbjT5_S1B_jjP12ihipStream_tbEUljE_ZNSN_ISO_Lb0ESQ_SR_SQ_SR_SV_EESW_SX_SY_SZ_S13_S14_S15_S18_S19_jS1A_jS1B_S1B_jjS1D_bEUljE0_EEESW_SX_SY_S15_S19_S1B_T6_T7_T9_mT8_S1D_bDpT10_ENKUlT_T0_E_clISt17integral_constantIbLb1EES1R_EEDaS1M_S1N_EUlS1M_E_NS1_11comp_targetILNS1_3genE5ELNS1_11target_archE942ELNS1_3gpuE9ELNS1_3repE0EEENS1_30default_config_static_selectorELNS0_4arch9wavefront6targetE1EEEvSZ_
; %bb.0:
	.section	.rodata,"a",@progbits
	.p2align	6, 0x0
	.amdhsa_kernel _ZN7rocprim17ROCPRIM_400000_NS6detail17trampoline_kernelINS0_13select_configILj256ELj13ELNS0_17block_load_methodE3ELS4_3ELS4_3ELNS0_20block_scan_algorithmE0ELj4294967295EEENS1_25partition_config_selectorILNS1_17partition_subalgoE4EjNS0_10empty_typeEbEEZZNS1_14partition_implILS8_4ELb0ES6_15HIP_vector_typeIjLj2EENS0_17counting_iteratorIjlEEPS9_SG_NS0_5tupleIJPjSI_NS0_16reverse_iteratorISI_EEEEENSH_IJSG_SG_SG_EEES9_SI_JZNS1_25segmented_radix_sort_implINS0_14default_configELb0EPKlPlSQ_SR_N2at6native12_GLOBAL__N_18offset_tEEE10hipError_tPvRmT1_PNSt15iterator_traitsISZ_E10value_typeET2_T3_PNS10_IS15_E10value_typeET4_jRbjT5_S1B_jjP12ihipStream_tbEUljE_ZNSN_ISO_Lb0ESQ_SR_SQ_SR_SV_EESW_SX_SY_SZ_S13_S14_S15_S18_S19_jS1A_jS1B_S1B_jjS1D_bEUljE0_EEESW_SX_SY_S15_S19_S1B_T6_T7_T9_mT8_S1D_bDpT10_ENKUlT_T0_E_clISt17integral_constantIbLb1EES1R_EEDaS1M_S1N_EUlS1M_E_NS1_11comp_targetILNS1_3genE5ELNS1_11target_archE942ELNS1_3gpuE9ELNS1_3repE0EEENS1_30default_config_static_selectorELNS0_4arch9wavefront6targetE1EEEvSZ_
		.amdhsa_group_segment_fixed_size 0
		.amdhsa_private_segment_fixed_size 0
		.amdhsa_kernarg_size 184
		.amdhsa_user_sgpr_count 6
		.amdhsa_user_sgpr_private_segment_buffer 1
		.amdhsa_user_sgpr_dispatch_ptr 0
		.amdhsa_user_sgpr_queue_ptr 0
		.amdhsa_user_sgpr_kernarg_segment_ptr 1
		.amdhsa_user_sgpr_dispatch_id 0
		.amdhsa_user_sgpr_flat_scratch_init 0
		.amdhsa_user_sgpr_kernarg_preload_length 0
		.amdhsa_user_sgpr_kernarg_preload_offset 0
		.amdhsa_user_sgpr_private_segment_size 0
		.amdhsa_uses_dynamic_stack 0
		.amdhsa_system_sgpr_private_segment_wavefront_offset 0
		.amdhsa_system_sgpr_workgroup_id_x 1
		.amdhsa_system_sgpr_workgroup_id_y 0
		.amdhsa_system_sgpr_workgroup_id_z 0
		.amdhsa_system_sgpr_workgroup_info 0
		.amdhsa_system_vgpr_workitem_id 0
		.amdhsa_next_free_vgpr 1
		.amdhsa_next_free_sgpr 0
		.amdhsa_accum_offset 4
		.amdhsa_reserve_vcc 0
		.amdhsa_reserve_flat_scratch 0
		.amdhsa_float_round_mode_32 0
		.amdhsa_float_round_mode_16_64 0
		.amdhsa_float_denorm_mode_32 3
		.amdhsa_float_denorm_mode_16_64 3
		.amdhsa_dx10_clamp 1
		.amdhsa_ieee_mode 1
		.amdhsa_fp16_overflow 0
		.amdhsa_tg_split 0
		.amdhsa_exception_fp_ieee_invalid_op 0
		.amdhsa_exception_fp_denorm_src 0
		.amdhsa_exception_fp_ieee_div_zero 0
		.amdhsa_exception_fp_ieee_overflow 0
		.amdhsa_exception_fp_ieee_underflow 0
		.amdhsa_exception_fp_ieee_inexact 0
		.amdhsa_exception_int_div_zero 0
	.end_amdhsa_kernel
	.section	.text._ZN7rocprim17ROCPRIM_400000_NS6detail17trampoline_kernelINS0_13select_configILj256ELj13ELNS0_17block_load_methodE3ELS4_3ELS4_3ELNS0_20block_scan_algorithmE0ELj4294967295EEENS1_25partition_config_selectorILNS1_17partition_subalgoE4EjNS0_10empty_typeEbEEZZNS1_14partition_implILS8_4ELb0ES6_15HIP_vector_typeIjLj2EENS0_17counting_iteratorIjlEEPS9_SG_NS0_5tupleIJPjSI_NS0_16reverse_iteratorISI_EEEEENSH_IJSG_SG_SG_EEES9_SI_JZNS1_25segmented_radix_sort_implINS0_14default_configELb0EPKlPlSQ_SR_N2at6native12_GLOBAL__N_18offset_tEEE10hipError_tPvRmT1_PNSt15iterator_traitsISZ_E10value_typeET2_T3_PNS10_IS15_E10value_typeET4_jRbjT5_S1B_jjP12ihipStream_tbEUljE_ZNSN_ISO_Lb0ESQ_SR_SQ_SR_SV_EESW_SX_SY_SZ_S13_S14_S15_S18_S19_jS1A_jS1B_S1B_jjS1D_bEUljE0_EEESW_SX_SY_S15_S19_S1B_T6_T7_T9_mT8_S1D_bDpT10_ENKUlT_T0_E_clISt17integral_constantIbLb1EES1R_EEDaS1M_S1N_EUlS1M_E_NS1_11comp_targetILNS1_3genE5ELNS1_11target_archE942ELNS1_3gpuE9ELNS1_3repE0EEENS1_30default_config_static_selectorELNS0_4arch9wavefront6targetE1EEEvSZ_,"axG",@progbits,_ZN7rocprim17ROCPRIM_400000_NS6detail17trampoline_kernelINS0_13select_configILj256ELj13ELNS0_17block_load_methodE3ELS4_3ELS4_3ELNS0_20block_scan_algorithmE0ELj4294967295EEENS1_25partition_config_selectorILNS1_17partition_subalgoE4EjNS0_10empty_typeEbEEZZNS1_14partition_implILS8_4ELb0ES6_15HIP_vector_typeIjLj2EENS0_17counting_iteratorIjlEEPS9_SG_NS0_5tupleIJPjSI_NS0_16reverse_iteratorISI_EEEEENSH_IJSG_SG_SG_EEES9_SI_JZNS1_25segmented_radix_sort_implINS0_14default_configELb0EPKlPlSQ_SR_N2at6native12_GLOBAL__N_18offset_tEEE10hipError_tPvRmT1_PNSt15iterator_traitsISZ_E10value_typeET2_T3_PNS10_IS15_E10value_typeET4_jRbjT5_S1B_jjP12ihipStream_tbEUljE_ZNSN_ISO_Lb0ESQ_SR_SQ_SR_SV_EESW_SX_SY_SZ_S13_S14_S15_S18_S19_jS1A_jS1B_S1B_jjS1D_bEUljE0_EEESW_SX_SY_S15_S19_S1B_T6_T7_T9_mT8_S1D_bDpT10_ENKUlT_T0_E_clISt17integral_constantIbLb1EES1R_EEDaS1M_S1N_EUlS1M_E_NS1_11comp_targetILNS1_3genE5ELNS1_11target_archE942ELNS1_3gpuE9ELNS1_3repE0EEENS1_30default_config_static_selectorELNS0_4arch9wavefront6targetE1EEEvSZ_,comdat
.Lfunc_end752:
	.size	_ZN7rocprim17ROCPRIM_400000_NS6detail17trampoline_kernelINS0_13select_configILj256ELj13ELNS0_17block_load_methodE3ELS4_3ELS4_3ELNS0_20block_scan_algorithmE0ELj4294967295EEENS1_25partition_config_selectorILNS1_17partition_subalgoE4EjNS0_10empty_typeEbEEZZNS1_14partition_implILS8_4ELb0ES6_15HIP_vector_typeIjLj2EENS0_17counting_iteratorIjlEEPS9_SG_NS0_5tupleIJPjSI_NS0_16reverse_iteratorISI_EEEEENSH_IJSG_SG_SG_EEES9_SI_JZNS1_25segmented_radix_sort_implINS0_14default_configELb0EPKlPlSQ_SR_N2at6native12_GLOBAL__N_18offset_tEEE10hipError_tPvRmT1_PNSt15iterator_traitsISZ_E10value_typeET2_T3_PNS10_IS15_E10value_typeET4_jRbjT5_S1B_jjP12ihipStream_tbEUljE_ZNSN_ISO_Lb0ESQ_SR_SQ_SR_SV_EESW_SX_SY_SZ_S13_S14_S15_S18_S19_jS1A_jS1B_S1B_jjS1D_bEUljE0_EEESW_SX_SY_S15_S19_S1B_T6_T7_T9_mT8_S1D_bDpT10_ENKUlT_T0_E_clISt17integral_constantIbLb1EES1R_EEDaS1M_S1N_EUlS1M_E_NS1_11comp_targetILNS1_3genE5ELNS1_11target_archE942ELNS1_3gpuE9ELNS1_3repE0EEENS1_30default_config_static_selectorELNS0_4arch9wavefront6targetE1EEEvSZ_, .Lfunc_end752-_ZN7rocprim17ROCPRIM_400000_NS6detail17trampoline_kernelINS0_13select_configILj256ELj13ELNS0_17block_load_methodE3ELS4_3ELS4_3ELNS0_20block_scan_algorithmE0ELj4294967295EEENS1_25partition_config_selectorILNS1_17partition_subalgoE4EjNS0_10empty_typeEbEEZZNS1_14partition_implILS8_4ELb0ES6_15HIP_vector_typeIjLj2EENS0_17counting_iteratorIjlEEPS9_SG_NS0_5tupleIJPjSI_NS0_16reverse_iteratorISI_EEEEENSH_IJSG_SG_SG_EEES9_SI_JZNS1_25segmented_radix_sort_implINS0_14default_configELb0EPKlPlSQ_SR_N2at6native12_GLOBAL__N_18offset_tEEE10hipError_tPvRmT1_PNSt15iterator_traitsISZ_E10value_typeET2_T3_PNS10_IS15_E10value_typeET4_jRbjT5_S1B_jjP12ihipStream_tbEUljE_ZNSN_ISO_Lb0ESQ_SR_SQ_SR_SV_EESW_SX_SY_SZ_S13_S14_S15_S18_S19_jS1A_jS1B_S1B_jjS1D_bEUljE0_EEESW_SX_SY_S15_S19_S1B_T6_T7_T9_mT8_S1D_bDpT10_ENKUlT_T0_E_clISt17integral_constantIbLb1EES1R_EEDaS1M_S1N_EUlS1M_E_NS1_11comp_targetILNS1_3genE5ELNS1_11target_archE942ELNS1_3gpuE9ELNS1_3repE0EEENS1_30default_config_static_selectorELNS0_4arch9wavefront6targetE1EEEvSZ_
                                        ; -- End function
	.section	.AMDGPU.csdata,"",@progbits
; Kernel info:
; codeLenInByte = 0
; NumSgprs: 4
; NumVgprs: 0
; NumAgprs: 0
; TotalNumVgprs: 0
; ScratchSize: 0
; MemoryBound: 0
; FloatMode: 240
; IeeeMode: 1
; LDSByteSize: 0 bytes/workgroup (compile time only)
; SGPRBlocks: 0
; VGPRBlocks: 0
; NumSGPRsForWavesPerEU: 4
; NumVGPRsForWavesPerEU: 1
; AccumOffset: 4
; Occupancy: 8
; WaveLimiterHint : 0
; COMPUTE_PGM_RSRC2:SCRATCH_EN: 0
; COMPUTE_PGM_RSRC2:USER_SGPR: 6
; COMPUTE_PGM_RSRC2:TRAP_HANDLER: 0
; COMPUTE_PGM_RSRC2:TGID_X_EN: 1
; COMPUTE_PGM_RSRC2:TGID_Y_EN: 0
; COMPUTE_PGM_RSRC2:TGID_Z_EN: 0
; COMPUTE_PGM_RSRC2:TIDIG_COMP_CNT: 0
; COMPUTE_PGM_RSRC3_GFX90A:ACCUM_OFFSET: 0
; COMPUTE_PGM_RSRC3_GFX90A:TG_SPLIT: 0
	.section	.text._ZN7rocprim17ROCPRIM_400000_NS6detail17trampoline_kernelINS0_13select_configILj256ELj13ELNS0_17block_load_methodE3ELS4_3ELS4_3ELNS0_20block_scan_algorithmE0ELj4294967295EEENS1_25partition_config_selectorILNS1_17partition_subalgoE4EjNS0_10empty_typeEbEEZZNS1_14partition_implILS8_4ELb0ES6_15HIP_vector_typeIjLj2EENS0_17counting_iteratorIjlEEPS9_SG_NS0_5tupleIJPjSI_NS0_16reverse_iteratorISI_EEEEENSH_IJSG_SG_SG_EEES9_SI_JZNS1_25segmented_radix_sort_implINS0_14default_configELb0EPKlPlSQ_SR_N2at6native12_GLOBAL__N_18offset_tEEE10hipError_tPvRmT1_PNSt15iterator_traitsISZ_E10value_typeET2_T3_PNS10_IS15_E10value_typeET4_jRbjT5_S1B_jjP12ihipStream_tbEUljE_ZNSN_ISO_Lb0ESQ_SR_SQ_SR_SV_EESW_SX_SY_SZ_S13_S14_S15_S18_S19_jS1A_jS1B_S1B_jjS1D_bEUljE0_EEESW_SX_SY_S15_S19_S1B_T6_T7_T9_mT8_S1D_bDpT10_ENKUlT_T0_E_clISt17integral_constantIbLb1EES1R_EEDaS1M_S1N_EUlS1M_E_NS1_11comp_targetILNS1_3genE4ELNS1_11target_archE910ELNS1_3gpuE8ELNS1_3repE0EEENS1_30default_config_static_selectorELNS0_4arch9wavefront6targetE1EEEvSZ_,"axG",@progbits,_ZN7rocprim17ROCPRIM_400000_NS6detail17trampoline_kernelINS0_13select_configILj256ELj13ELNS0_17block_load_methodE3ELS4_3ELS4_3ELNS0_20block_scan_algorithmE0ELj4294967295EEENS1_25partition_config_selectorILNS1_17partition_subalgoE4EjNS0_10empty_typeEbEEZZNS1_14partition_implILS8_4ELb0ES6_15HIP_vector_typeIjLj2EENS0_17counting_iteratorIjlEEPS9_SG_NS0_5tupleIJPjSI_NS0_16reverse_iteratorISI_EEEEENSH_IJSG_SG_SG_EEES9_SI_JZNS1_25segmented_radix_sort_implINS0_14default_configELb0EPKlPlSQ_SR_N2at6native12_GLOBAL__N_18offset_tEEE10hipError_tPvRmT1_PNSt15iterator_traitsISZ_E10value_typeET2_T3_PNS10_IS15_E10value_typeET4_jRbjT5_S1B_jjP12ihipStream_tbEUljE_ZNSN_ISO_Lb0ESQ_SR_SQ_SR_SV_EESW_SX_SY_SZ_S13_S14_S15_S18_S19_jS1A_jS1B_S1B_jjS1D_bEUljE0_EEESW_SX_SY_S15_S19_S1B_T6_T7_T9_mT8_S1D_bDpT10_ENKUlT_T0_E_clISt17integral_constantIbLb1EES1R_EEDaS1M_S1N_EUlS1M_E_NS1_11comp_targetILNS1_3genE4ELNS1_11target_archE910ELNS1_3gpuE8ELNS1_3repE0EEENS1_30default_config_static_selectorELNS0_4arch9wavefront6targetE1EEEvSZ_,comdat
	.globl	_ZN7rocprim17ROCPRIM_400000_NS6detail17trampoline_kernelINS0_13select_configILj256ELj13ELNS0_17block_load_methodE3ELS4_3ELS4_3ELNS0_20block_scan_algorithmE0ELj4294967295EEENS1_25partition_config_selectorILNS1_17partition_subalgoE4EjNS0_10empty_typeEbEEZZNS1_14partition_implILS8_4ELb0ES6_15HIP_vector_typeIjLj2EENS0_17counting_iteratorIjlEEPS9_SG_NS0_5tupleIJPjSI_NS0_16reverse_iteratorISI_EEEEENSH_IJSG_SG_SG_EEES9_SI_JZNS1_25segmented_radix_sort_implINS0_14default_configELb0EPKlPlSQ_SR_N2at6native12_GLOBAL__N_18offset_tEEE10hipError_tPvRmT1_PNSt15iterator_traitsISZ_E10value_typeET2_T3_PNS10_IS15_E10value_typeET4_jRbjT5_S1B_jjP12ihipStream_tbEUljE_ZNSN_ISO_Lb0ESQ_SR_SQ_SR_SV_EESW_SX_SY_SZ_S13_S14_S15_S18_S19_jS1A_jS1B_S1B_jjS1D_bEUljE0_EEESW_SX_SY_S15_S19_S1B_T6_T7_T9_mT8_S1D_bDpT10_ENKUlT_T0_E_clISt17integral_constantIbLb1EES1R_EEDaS1M_S1N_EUlS1M_E_NS1_11comp_targetILNS1_3genE4ELNS1_11target_archE910ELNS1_3gpuE8ELNS1_3repE0EEENS1_30default_config_static_selectorELNS0_4arch9wavefront6targetE1EEEvSZ_ ; -- Begin function _ZN7rocprim17ROCPRIM_400000_NS6detail17trampoline_kernelINS0_13select_configILj256ELj13ELNS0_17block_load_methodE3ELS4_3ELS4_3ELNS0_20block_scan_algorithmE0ELj4294967295EEENS1_25partition_config_selectorILNS1_17partition_subalgoE4EjNS0_10empty_typeEbEEZZNS1_14partition_implILS8_4ELb0ES6_15HIP_vector_typeIjLj2EENS0_17counting_iteratorIjlEEPS9_SG_NS0_5tupleIJPjSI_NS0_16reverse_iteratorISI_EEEEENSH_IJSG_SG_SG_EEES9_SI_JZNS1_25segmented_radix_sort_implINS0_14default_configELb0EPKlPlSQ_SR_N2at6native12_GLOBAL__N_18offset_tEEE10hipError_tPvRmT1_PNSt15iterator_traitsISZ_E10value_typeET2_T3_PNS10_IS15_E10value_typeET4_jRbjT5_S1B_jjP12ihipStream_tbEUljE_ZNSN_ISO_Lb0ESQ_SR_SQ_SR_SV_EESW_SX_SY_SZ_S13_S14_S15_S18_S19_jS1A_jS1B_S1B_jjS1D_bEUljE0_EEESW_SX_SY_S15_S19_S1B_T6_T7_T9_mT8_S1D_bDpT10_ENKUlT_T0_E_clISt17integral_constantIbLb1EES1R_EEDaS1M_S1N_EUlS1M_E_NS1_11comp_targetILNS1_3genE4ELNS1_11target_archE910ELNS1_3gpuE8ELNS1_3repE0EEENS1_30default_config_static_selectorELNS0_4arch9wavefront6targetE1EEEvSZ_
	.p2align	8
	.type	_ZN7rocprim17ROCPRIM_400000_NS6detail17trampoline_kernelINS0_13select_configILj256ELj13ELNS0_17block_load_methodE3ELS4_3ELS4_3ELNS0_20block_scan_algorithmE0ELj4294967295EEENS1_25partition_config_selectorILNS1_17partition_subalgoE4EjNS0_10empty_typeEbEEZZNS1_14partition_implILS8_4ELb0ES6_15HIP_vector_typeIjLj2EENS0_17counting_iteratorIjlEEPS9_SG_NS0_5tupleIJPjSI_NS0_16reverse_iteratorISI_EEEEENSH_IJSG_SG_SG_EEES9_SI_JZNS1_25segmented_radix_sort_implINS0_14default_configELb0EPKlPlSQ_SR_N2at6native12_GLOBAL__N_18offset_tEEE10hipError_tPvRmT1_PNSt15iterator_traitsISZ_E10value_typeET2_T3_PNS10_IS15_E10value_typeET4_jRbjT5_S1B_jjP12ihipStream_tbEUljE_ZNSN_ISO_Lb0ESQ_SR_SQ_SR_SV_EESW_SX_SY_SZ_S13_S14_S15_S18_S19_jS1A_jS1B_S1B_jjS1D_bEUljE0_EEESW_SX_SY_S15_S19_S1B_T6_T7_T9_mT8_S1D_bDpT10_ENKUlT_T0_E_clISt17integral_constantIbLb1EES1R_EEDaS1M_S1N_EUlS1M_E_NS1_11comp_targetILNS1_3genE4ELNS1_11target_archE910ELNS1_3gpuE8ELNS1_3repE0EEENS1_30default_config_static_selectorELNS0_4arch9wavefront6targetE1EEEvSZ_,@function
_ZN7rocprim17ROCPRIM_400000_NS6detail17trampoline_kernelINS0_13select_configILj256ELj13ELNS0_17block_load_methodE3ELS4_3ELS4_3ELNS0_20block_scan_algorithmE0ELj4294967295EEENS1_25partition_config_selectorILNS1_17partition_subalgoE4EjNS0_10empty_typeEbEEZZNS1_14partition_implILS8_4ELb0ES6_15HIP_vector_typeIjLj2EENS0_17counting_iteratorIjlEEPS9_SG_NS0_5tupleIJPjSI_NS0_16reverse_iteratorISI_EEEEENSH_IJSG_SG_SG_EEES9_SI_JZNS1_25segmented_radix_sort_implINS0_14default_configELb0EPKlPlSQ_SR_N2at6native12_GLOBAL__N_18offset_tEEE10hipError_tPvRmT1_PNSt15iterator_traitsISZ_E10value_typeET2_T3_PNS10_IS15_E10value_typeET4_jRbjT5_S1B_jjP12ihipStream_tbEUljE_ZNSN_ISO_Lb0ESQ_SR_SQ_SR_SV_EESW_SX_SY_SZ_S13_S14_S15_S18_S19_jS1A_jS1B_S1B_jjS1D_bEUljE0_EEESW_SX_SY_S15_S19_S1B_T6_T7_T9_mT8_S1D_bDpT10_ENKUlT_T0_E_clISt17integral_constantIbLb1EES1R_EEDaS1M_S1N_EUlS1M_E_NS1_11comp_targetILNS1_3genE4ELNS1_11target_archE910ELNS1_3gpuE8ELNS1_3repE0EEENS1_30default_config_static_selectorELNS0_4arch9wavefront6targetE1EEEvSZ_: ; @_ZN7rocprim17ROCPRIM_400000_NS6detail17trampoline_kernelINS0_13select_configILj256ELj13ELNS0_17block_load_methodE3ELS4_3ELS4_3ELNS0_20block_scan_algorithmE0ELj4294967295EEENS1_25partition_config_selectorILNS1_17partition_subalgoE4EjNS0_10empty_typeEbEEZZNS1_14partition_implILS8_4ELb0ES6_15HIP_vector_typeIjLj2EENS0_17counting_iteratorIjlEEPS9_SG_NS0_5tupleIJPjSI_NS0_16reverse_iteratorISI_EEEEENSH_IJSG_SG_SG_EEES9_SI_JZNS1_25segmented_radix_sort_implINS0_14default_configELb0EPKlPlSQ_SR_N2at6native12_GLOBAL__N_18offset_tEEE10hipError_tPvRmT1_PNSt15iterator_traitsISZ_E10value_typeET2_T3_PNS10_IS15_E10value_typeET4_jRbjT5_S1B_jjP12ihipStream_tbEUljE_ZNSN_ISO_Lb0ESQ_SR_SQ_SR_SV_EESW_SX_SY_SZ_S13_S14_S15_S18_S19_jS1A_jS1B_S1B_jjS1D_bEUljE0_EEESW_SX_SY_S15_S19_S1B_T6_T7_T9_mT8_S1D_bDpT10_ENKUlT_T0_E_clISt17integral_constantIbLb1EES1R_EEDaS1M_S1N_EUlS1M_E_NS1_11comp_targetILNS1_3genE4ELNS1_11target_archE910ELNS1_3gpuE8ELNS1_3repE0EEENS1_30default_config_static_selectorELNS0_4arch9wavefront6targetE1EEEvSZ_
; %bb.0:
	s_load_dwordx2 s[48:49], s[4:5], 0x10
	s_load_dwordx4 s[44:47], s[4:5], 0x28
	s_load_dwordx2 s[34:35], s[4:5], 0x38
	s_load_dwordx4 s[28:31], s[4:5], 0x58
	s_load_dwordx2 s[2:3], s[4:5], 0x68
	s_load_dwordx2 s[50:51], s[4:5], 0x78
	s_load_dwordx2 s[56:57], s[4:5], 0xb0
	s_load_dwordx8 s[36:43], s[4:5], 0x90
	v_cmp_eq_u32_e64 s[0:1], 0, v0
	s_and_saveexec_b64 s[6:7], s[0:1]
	s_cbranch_execz .LBB753_4
; %bb.1:
	s_mov_b64 s[10:11], exec
	v_mbcnt_lo_u32_b32 v1, s10, 0
	v_mbcnt_hi_u32_b32 v1, s11, v1
	v_cmp_eq_u32_e32 vcc, 0, v1
                                        ; implicit-def: $vgpr2
	s_and_saveexec_b64 s[8:9], vcc
	s_cbranch_execz .LBB753_3
; %bb.2:
	s_load_dwordx2 s[12:13], s[4:5], 0x88
	s_bcnt1_i32_b64 s10, s[10:11]
	v_mov_b32_e32 v2, 0
	v_mov_b32_e32 v3, s10
	s_waitcnt lgkmcnt(0)
	global_atomic_add v2, v2, v3, s[12:13] glc
.LBB753_3:
	s_or_b64 exec, exec, s[8:9]
	s_waitcnt vmcnt(0)
	v_readfirstlane_b32 s8, v2
	v_add_u32_e32 v1, s8, v1
	v_mov_b32_e32 v2, 0
	ds_write_b32 v2, v1
.LBB753_4:
	s_or_b64 exec, exec, s[6:7]
	v_mov_b32_e32 v1, 0
	s_load_dword s7, s[4:5], 0x8
	s_load_dword s6, s[4:5], 0x80
	s_waitcnt lgkmcnt(0)
	s_barrier
	ds_read_b32 v8, v1
	s_waitcnt lgkmcnt(0)
	s_barrier
	global_load_dwordx4 v[2:5], v1, s[30:31]
	v_mov_b32_e32 v7, s3
	s_movk_i32 s3, 0xd00
	s_add_i32 s8, s7, s48
	v_mul_lo_u32 v34, v8, s3
	s_add_i32 s7, s6, -1
	s_mul_i32 s3, s6, 0xd00
	s_add_u32 s4, s48, s3
	v_readfirstlane_b32 s33, v8
	s_addc_u32 s5, s49, 0
	s_cmp_eq_u32 s33, s7
	v_mov_b32_e32 v6, s2
	s_cselect_b64 s[30:31], -1, 0
	s_cmp_lg_u32 s33, s7
	v_cmp_lt_u64_e32 vcc, s[4:5], v[6:7]
	s_cselect_b64 s[4:5], -1, 0
	s_or_b64 s[4:5], vcc, s[4:5]
	v_add_u32_e32 v1, s8, v34
	s_mov_b64 s[6:7], -1
	s_and_b64 vcc, exec, s[4:5]
	v_add_u32_e32 v1, v1, v0
	s_cbranch_vccz .LBB753_6
; %bb.5:
	v_add_u32_e32 v6, 0x100, v1
	v_lshlrev_b32_e32 v18, 2, v0
	v_add_u32_e32 v7, 0x200, v1
	v_add_u32_e32 v8, 0x300, v1
	;; [unrolled: 1-line block ×11, first 2 shown]
	ds_write2st64_b32 v18, v1, v6 offset1:4
	ds_write2st64_b32 v18, v7, v8 offset0:8 offset1:12
	ds_write2st64_b32 v18, v9, v10 offset0:16 offset1:20
	;; [unrolled: 1-line block ×5, first 2 shown]
	ds_write_b32 v18, v17 offset:12288
	s_waitcnt lgkmcnt(0)
	s_barrier
	s_mov_b64 s[6:7], 0
.LBB753_6:
	s_andn2_b64 vcc, exec, s[6:7]
	s_add_i32 s3, s3, s48
	s_cbranch_vccnz .LBB753_8
; %bb.7:
	v_add_u32_e32 v6, 0x100, v1
	v_lshlrev_b32_e32 v18, 2, v0
	v_add_u32_e32 v7, 0x200, v1
	v_add_u32_e32 v8, 0x300, v1
	;; [unrolled: 1-line block ×11, first 2 shown]
	ds_write2st64_b32 v18, v1, v6 offset1:4
	ds_write2st64_b32 v18, v7, v8 offset0:8 offset1:12
	ds_write2st64_b32 v18, v9, v10 offset0:16 offset1:20
	;; [unrolled: 1-line block ×5, first 2 shown]
	ds_write_b32 v18, v17 offset:12288
	s_waitcnt lgkmcnt(0)
	s_barrier
.LBB753_8:
	v_mul_u32_u24_e32 v36, 13, v0
	v_lshlrev_b32_e32 v1, 2, v36
	ds_read2_b32 v[22:23], v1 offset1:1
	ds_read2_b32 v[20:21], v1 offset0:2 offset1:3
	ds_read2_b32 v[18:19], v1 offset0:4 offset1:5
	;; [unrolled: 1-line block ×5, first 2 shown]
	ds_read_b32 v35, v1 offset:48
	v_cndmask_b32_e64 v1, 0, 1, s[4:5]
	s_sub_i32 s86, s2, s3
	v_cmp_ne_u32_e64 s[2:3], 1, v1
	s_andn2_b64 vcc, exec, s[4:5]
	s_waitcnt lgkmcnt(0)
	s_barrier
	s_cbranch_vccnz .LBB753_36
; %bb.9:
	v_add_u32_e32 v1, s37, v22
	v_add_u32_e32 v6, s39, v22
	v_mul_lo_u32 v1, v1, s36
	v_mul_lo_u32 v6, v6, s38
	v_sub_u32_e32 v1, v1, v6
	v_cmp_lt_u32_e32 vcc, s40, v1
	v_cmp_ge_u32_e64 s[4:5], s40, v1
	s_mov_b64 s[60:61], 0
	s_mov_b64 s[58:59], 0
	s_and_saveexec_b64 s[6:7], s[4:5]
; %bb.10:
	v_add_u32_e32 v1, s42, v22
	v_add_u32_e32 v6, s56, v22
	v_mul_lo_u32 v1, v1, s41
	v_mul_lo_u32 v6, v6, s43
	v_sub_u32_e32 v1, v1, v6
	v_cmp_lt_u32_e64 s[4:5], s57, v1
	s_and_b64 s[58:59], s[4:5], exec
; %bb.11:
	s_or_b64 exec, exec, s[6:7]
	v_add_u32_e32 v1, s37, v23
	v_add_u32_e32 v6, s39, v23
	v_mul_lo_u32 v1, v1, s36
	v_mul_lo_u32 v6, v6, s38
	v_sub_u32_e32 v1, v1, v6
	v_cmp_lt_u32_e64 s[4:5], s40, v1
	v_cmp_ge_u32_e64 s[6:7], s40, v1
	s_and_saveexec_b64 s[8:9], s[6:7]
; %bb.12:
	v_add_u32_e32 v1, s42, v23
	v_add_u32_e32 v6, s56, v23
	v_mul_lo_u32 v1, v1, s41
	v_mul_lo_u32 v6, v6, s43
	v_sub_u32_e32 v1, v1, v6
	v_cmp_lt_u32_e64 s[6:7], s57, v1
	s_and_b64 s[60:61], s[6:7], exec
; %bb.13:
	s_or_b64 exec, exec, s[8:9]
	v_add_u32_e32 v1, s37, v20
	v_add_u32_e32 v6, s39, v20
	v_mul_lo_u32 v1, v1, s36
	v_mul_lo_u32 v6, v6, s38
	v_sub_u32_e32 v1, v1, v6
	v_cmp_lt_u32_e64 s[6:7], s40, v1
	v_cmp_ge_u32_e64 s[8:9], s40, v1
	s_mov_b64 s[64:65], 0
	s_mov_b64 s[62:63], 0
	s_and_saveexec_b64 s[10:11], s[8:9]
; %bb.14:
	v_add_u32_e32 v1, s42, v20
	v_add_u32_e32 v6, s56, v20
	v_mul_lo_u32 v1, v1, s41
	v_mul_lo_u32 v6, v6, s43
	v_sub_u32_e32 v1, v1, v6
	v_cmp_lt_u32_e64 s[8:9], s57, v1
	s_and_b64 s[62:63], s[8:9], exec
; %bb.15:
	s_or_b64 exec, exec, s[10:11]
	v_add_u32_e32 v1, s37, v21
	v_add_u32_e32 v6, s39, v21
	v_mul_lo_u32 v1, v1, s36
	v_mul_lo_u32 v6, v6, s38
	v_sub_u32_e32 v1, v1, v6
	v_cmp_lt_u32_e64 s[8:9], s40, v1
	v_cmp_ge_u32_e64 s[10:11], s40, v1
	s_and_saveexec_b64 s[12:13], s[10:11]
; %bb.16:
	v_add_u32_e32 v1, s42, v21
	v_add_u32_e32 v6, s56, v21
	v_mul_lo_u32 v1, v1, s41
	v_mul_lo_u32 v6, v6, s43
	v_sub_u32_e32 v1, v1, v6
	v_cmp_lt_u32_e64 s[10:11], s57, v1
	s_and_b64 s[64:65], s[10:11], exec
; %bb.17:
	s_or_b64 exec, exec, s[12:13]
	v_add_u32_e32 v1, s37, v18
	v_add_u32_e32 v6, s39, v18
	v_mul_lo_u32 v1, v1, s36
	v_mul_lo_u32 v6, v6, s38
	v_sub_u32_e32 v1, v1, v6
	v_cmp_lt_u32_e64 s[10:11], s40, v1
	;; [unrolled: 38-line block ×5, first 2 shown]
	v_cmp_ge_u32_e64 s[24:25], s40, v1
	s_mov_b64 s[80:81], 0
	s_mov_b64 s[82:83], 0
	s_and_saveexec_b64 s[26:27], s[24:25]
; %bb.30:
	v_add_u32_e32 v1, s42, v12
	v_add_u32_e32 v6, s56, v12
	v_mul_lo_u32 v1, v1, s41
	v_mul_lo_u32 v6, v6, s43
	v_sub_u32_e32 v1, v1, v6
	v_cmp_lt_u32_e64 s[24:25], s57, v1
	s_and_b64 s[82:83], s[24:25], exec
; %bb.31:
	s_or_b64 exec, exec, s[26:27]
	v_add_u32_e32 v1, s37, v13
	v_add_u32_e32 v6, s39, v13
	v_mul_lo_u32 v1, v1, s36
	v_mul_lo_u32 v6, v6, s38
	v_sub_u32_e32 v1, v1, v6
	v_cmp_lt_u32_e64 s[24:25], s40, v1
	v_cmp_ge_u32_e64 s[26:27], s40, v1
	s_and_saveexec_b64 s[52:53], s[26:27]
; %bb.32:
	v_add_u32_e32 v1, s42, v13
	v_add_u32_e32 v6, s56, v13
	v_mul_lo_u32 v1, v1, s41
	v_mul_lo_u32 v6, v6, s43
	v_sub_u32_e32 v1, v1, v6
	v_cmp_lt_u32_e64 s[26:27], s57, v1
	s_and_b64 s[80:81], s[26:27], exec
; %bb.33:
	s_or_b64 exec, exec, s[52:53]
	v_add_u32_e32 v1, s37, v35
	v_add_u32_e32 v6, s39, v35
	v_mul_lo_u32 v1, v1, s36
	v_mul_lo_u32 v6, v6, s38
	v_sub_u32_e32 v1, v1, v6
	v_cmp_ge_u32_e64 s[26:27], s40, v1
	s_mov_b64 s[52:53], -1
	s_mov_b64 s[74:75], 0
	s_mov_b64 s[54:55], 0
	s_and_saveexec_b64 s[84:85], s[26:27]
; %bb.34:
	v_add_u32_e32 v1, s42, v35
	v_add_u32_e32 v6, s56, v35
	v_mul_lo_u32 v1, v1, s41
	v_mul_lo_u32 v6, v6, s43
	v_sub_u32_e32 v1, v1, v6
	v_cmp_lt_u32_e64 s[26:27], s57, v1
	s_and_b64 s[54:55], s[26:27], exec
	s_xor_b64 s[52:53], exec, -1
; %bb.35:
	s_or_b64 exec, exec, s[84:85]
	v_cndmask_b32_e64 v57, 0, 1, s[82:83]
	v_cndmask_b32_e64 v60, 0, 1, s[24:25]
	;; [unrolled: 1-line block ×22, first 2 shown]
	v_cndmask_b32_e64 v37, 0, 1, vcc
	v_cndmask_b32_e64 v59, 0, 1, s[80:81]
	s_add_i32 s16, s86, 0xd00
	s_and_b64 vcc, exec, s[74:75]
	s_cbranch_vccnz .LBB753_37
	s_branch .LBB753_90
.LBB753_36:
                                        ; implicit-def: $sgpr52_sgpr53
                                        ; implicit-def: $sgpr54_sgpr55
                                        ; implicit-def: $vgpr59
                                        ; implicit-def: $vgpr57
                                        ; implicit-def: $vgpr55
                                        ; implicit-def: $vgpr53
                                        ; implicit-def: $vgpr51
                                        ; implicit-def: $vgpr49
                                        ; implicit-def: $vgpr47
                                        ; implicit-def: $vgpr45
                                        ; implicit-def: $vgpr43
                                        ; implicit-def: $vgpr37
                                        ; implicit-def: $vgpr39
                                        ; implicit-def: $vgpr41
                                        ; implicit-def: $vgpr44
                                        ; implicit-def: $vgpr46
                                        ; implicit-def: $vgpr48
                                        ; implicit-def: $vgpr50
                                        ; implicit-def: $vgpr52
                                        ; implicit-def: $vgpr54
                                        ; implicit-def: $vgpr56
                                        ; implicit-def: $vgpr58
                                        ; implicit-def: $vgpr60
                                        ; implicit-def: $vgpr38
                                        ; implicit-def: $vgpr40
                                        ; implicit-def: $vgpr42
	s_add_i32 s16, s86, 0xd00
	s_cbranch_execz .LBB753_90
.LBB753_37:
	v_cmp_gt_u32_e32 vcc, s16, v36
	v_mov_b32_e32 v38, 0
	v_mov_b32_e32 v37, 0
	s_and_saveexec_b64 s[6:7], vcc
	s_cbranch_execz .LBB753_41
; %bb.38:
	v_add_u32_e32 v1, s37, v22
	v_add_u32_e32 v6, s39, v22
	v_mul_lo_u32 v1, v1, s36
	v_mul_lo_u32 v6, v6, s38
	v_sub_u32_e32 v1, v1, v6
	v_cmp_lt_u32_e32 vcc, s40, v1
	v_cmp_ge_u32_e64 s[4:5], s40, v1
	s_mov_b64 s[10:11], 0
	s_and_saveexec_b64 s[8:9], s[4:5]
; %bb.39:
	v_add_u32_e32 v1, s42, v22
	v_add_u32_e32 v6, s56, v22
	v_mul_lo_u32 v1, v1, s41
	v_mul_lo_u32 v6, v6, s43
	v_sub_u32_e32 v1, v1, v6
	v_cmp_lt_u32_e64 s[4:5], s57, v1
	s_and_b64 s[10:11], s[4:5], exec
; %bb.40:
	s_or_b64 exec, exec, s[8:9]
	v_cndmask_b32_e64 v37, 0, 1, vcc
	v_cndmask_b32_e64 v38, 0, 1, s[10:11]
.LBB753_41:
	s_or_b64 exec, exec, s[6:7]
	v_add_u32_e32 v1, 1, v36
	v_cmp_gt_u32_e32 vcc, s16, v1
	v_mov_b32_e32 v39, 0
	v_mov_b32_e32 v40, 0
	s_and_saveexec_b64 s[6:7], vcc
	s_cbranch_execz .LBB753_45
; %bb.42:
	v_add_u32_e32 v1, s37, v23
	v_add_u32_e32 v6, s39, v23
	v_mul_lo_u32 v1, v1, s36
	v_mul_lo_u32 v6, v6, s38
	v_sub_u32_e32 v1, v1, v6
	v_cmp_lt_u32_e32 vcc, s40, v1
	v_cmp_ge_u32_e64 s[4:5], s40, v1
	s_mov_b64 s[10:11], 0
	s_and_saveexec_b64 s[8:9], s[4:5]
; %bb.43:
	v_add_u32_e32 v1, s42, v23
	v_add_u32_e32 v6, s56, v23
	v_mul_lo_u32 v1, v1, s41
	v_mul_lo_u32 v6, v6, s43
	v_sub_u32_e32 v1, v1, v6
	v_cmp_lt_u32_e64 s[4:5], s57, v1
	s_and_b64 s[10:11], s[4:5], exec
; %bb.44:
	s_or_b64 exec, exec, s[8:9]
	v_cndmask_b32_e64 v39, 0, 1, vcc
	v_cndmask_b32_e64 v40, 0, 1, s[10:11]
.LBB753_45:
	s_or_b64 exec, exec, s[6:7]
	v_add_u32_e32 v1, 2, v36
	;; [unrolled: 30-line block ×12, first 2 shown]
	v_cmp_gt_u32_e32 vcc, s16, v1
	s_mov_b64 s[52:53], 0
	s_mov_b64 s[54:55], 0
	s_and_saveexec_b64 s[4:5], vcc
	s_cbranch_execz .LBB753_89
; %bb.86:
	v_add_u32_e32 v1, s37, v35
	v_add_u32_e32 v6, s39, v35
	v_mul_lo_u32 v1, v1, s36
	v_mul_lo_u32 v6, v6, s38
	v_sub_u32_e32 v1, v1, v6
	v_cmp_ge_u32_e32 vcc, s40, v1
	s_mov_b64 s[8:9], -1
	s_mov_b64 s[10:11], 0
	s_and_saveexec_b64 s[6:7], vcc
; %bb.87:
	v_add_u32_e32 v1, s42, v35
	v_add_u32_e32 v6, s56, v35
	v_mul_lo_u32 v1, v1, s41
	v_mul_lo_u32 v6, v6, s43
	v_sub_u32_e32 v1, v1, v6
	v_cmp_lt_u32_e32 vcc, s57, v1
	s_and_b64 s[10:11], vcc, exec
	s_xor_b64 s[8:9], exec, -1
; %bb.88:
	s_or_b64 exec, exec, s[6:7]
	s_and_b64 s[54:55], s[10:11], exec
	s_and_b64 s[52:53], s[8:9], exec
.LBB753_89:
	s_or_b64 exec, exec, s[4:5]
.LBB753_90:
	v_and_b32_e32 v68, 0xff, v38
	v_and_b32_e32 v79, 0xff, v40
	;; [unrolled: 1-line block ×5, first 2 shown]
	v_add3_u32 v6, v79, v70, v68
	v_and_b32_e32 v81, 0xff, v47
	v_and_b32_e32 v74, 0xff, v49
	v_add3_u32 v6, v6, v80, v72
	v_and_b32_e32 v67, 0xff, v37
	v_and_b32_e32 v61, 0xff, v39
	;; [unrolled: 1-line block ×5, first 2 shown]
	v_add3_u32 v6, v6, v81, v74
	v_and_b32_e32 v62, 0xff, v44
	v_and_b32_e32 v71, 0xff, v46
	;; [unrolled: 1-line block ×4, first 2 shown]
	v_add3_u32 v7, v61, v69, v67
	v_add3_u32 v6, v6, v82, v76
	v_and_b32_e32 v63, 0xff, v48
	v_and_b32_e32 v73, 0xff, v50
	;; [unrolled: 1-line block ×3, first 2 shown]
	v_cndmask_b32_e64 v1, 0, 1, s[54:55]
	v_add3_u32 v7, v7, v62, v71
	v_add3_u32 v6, v6, v83, v78
	v_and_b32_e32 v64, 0xff, v52
	v_and_b32_e32 v75, 0xff, v54
	v_add3_u32 v7, v7, v63, v73
	v_add3_u32 v91, v6, v84, v1
	v_mbcnt_lo_u32_b32 v1, -1, 0
	v_and_b32_e32 v65, 0xff, v56
	v_and_b32_e32 v77, 0xff, v58
	v_add3_u32 v7, v7, v64, v75
	v_mbcnt_hi_u32_b32 v85, -1, v1
	v_and_b32_e32 v66, 0xff, v60
	v_add3_u32 v7, v7, v65, v77
	v_cndmask_b32_e64 v8, 0, 1, s[52:53]
	v_and_b32_e32 v89, 15, v85
	s_cmp_lg_u32 s33, 0
	v_add3_u32 v90, v7, v66, v8
	v_cmp_eq_u32_e64 s[6:7], 0, v89
	v_cmp_lt_u32_e64 s[4:5], 1, v89
	v_cmp_lt_u32_e64 s[10:11], 3, v89
	;; [unrolled: 1-line block ×3, first 2 shown]
	v_and_b32_e32 v88, 16, v85
	v_cmp_lt_u32_e32 vcc, 31, v85
	v_lshrrev_b32_e32 v86, 6, v0
	v_or_b32_e32 v87, 63, v0
	s_cbranch_scc0 .LBB753_123
; %bb.91:
	v_mov_b32_dpp v1, v90 row_shr:1 row_mask:0xf bank_mask:0xf
	v_mov_b32_dpp v6, v91 row_shr:1 row_mask:0xf bank_mask:0xf
	v_add_u32_e32 v1, v1, v90
	v_add_u32_e32 v6, v6, v91
	v_cndmask_b32_e64 v6, v6, v91, s[6:7]
	v_cndmask_b32_e64 v1, v1, v90, s[6:7]
	s_nop 0
	v_mov_b32_dpp v8, v6 row_shr:2 row_mask:0xf bank_mask:0xf
	v_mov_b32_dpp v7, v1 row_shr:2 row_mask:0xf bank_mask:0xf
	v_add_u32_e32 v7, v1, v7
	v_add_u32_e32 v8, v6, v8
	v_cndmask_b32_e64 v6, v6, v8, s[4:5]
	v_cndmask_b32_e64 v1, v1, v7, s[4:5]
	s_nop 0
	;; [unrolled: 7-line block ×3, first 2 shown]
	v_mov_b32_dpp v8, v6 row_shr:8 row_mask:0xf bank_mask:0xf
	v_mov_b32_dpp v7, v1 row_shr:8 row_mask:0xf bank_mask:0xf
	v_add_u32_e32 v7, v1, v7
	v_add_u32_e32 v8, v6, v8
	v_cndmask_b32_e64 v6, v6, v8, s[8:9]
	v_cndmask_b32_e64 v1, v1, v7, s[8:9]
	v_cmp_eq_u32_e64 s[8:9], 0, v88
	v_mov_b32_dpp v8, v6 row_bcast:15 row_mask:0xf bank_mask:0xf
	v_mov_b32_dpp v7, v1 row_bcast:15 row_mask:0xf bank_mask:0xf
	v_add_u32_e32 v7, v1, v7
	v_add_u32_e32 v8, v6, v8
	v_cndmask_b32_e64 v6, v8, v6, s[8:9]
	v_cndmask_b32_e64 v1, v7, v1, s[8:9]
	s_nop 0
	v_mov_b32_dpp v8, v6 row_bcast:31 row_mask:0xf bank_mask:0xf
	v_mov_b32_dpp v7, v1 row_bcast:31 row_mask:0xf bank_mask:0xf
	v_add_u32_e32 v8, v6, v8
	v_add_u32_e32 v9, v1, v7
	v_cndmask_b32_e32 v7, v6, v8, vcc
	v_cndmask_b32_e32 v6, v1, v9, vcc
	v_cmp_eq_u32_e32 vcc, v87, v0
	s_and_saveexec_b64 s[8:9], vcc
	s_cbranch_execz .LBB753_93
; %bb.92:
	v_lshlrev_b32_e32 v1, 3, v86
	ds_write_b64 v1, v[6:7]
.LBB753_93:
	s_or_b64 exec, exec, s[8:9]
	v_cmp_gt_u32_e32 vcc, 4, v0
	s_waitcnt lgkmcnt(0)
	s_barrier
	s_and_saveexec_b64 s[8:9], vcc
	s_cbranch_execz .LBB753_95
; %bb.94:
	v_lshlrev_b32_e32 v1, 3, v0
	ds_read_b64 v[8:9], v1
	v_and_b32_e32 v10, 3, v85
	v_cmp_eq_u32_e32 vcc, 0, v10
	s_waitcnt lgkmcnt(0)
	v_mov_b32_dpp v11, v8 row_shr:1 row_mask:0xf bank_mask:0xf
	v_mov_b32_dpp v24, v9 row_shr:1 row_mask:0xf bank_mask:0xf
	v_add_u32_e32 v11, v11, v8
	v_add_u32_e32 v24, v24, v9
	v_cndmask_b32_e32 v9, v24, v9, vcc
	v_cndmask_b32_e32 v8, v11, v8, vcc
	v_cmp_lt_u32_e32 vcc, 1, v10
	v_mov_b32_dpp v24, v9 row_shr:2 row_mask:0xf bank_mask:0xf
	v_mov_b32_dpp v11, v8 row_shr:2 row_mask:0xf bank_mask:0xf
	v_cndmask_b32_e32 v10, 0, v11, vcc
	v_cndmask_b32_e32 v11, 0, v24, vcc
	v_add_u32_e32 v9, v11, v9
	v_add_u32_e32 v8, v10, v8
	ds_write_b64 v1, v[8:9]
.LBB753_95:
	s_or_b64 exec, exec, s[8:9]
	v_cmp_gt_u32_e32 vcc, 64, v0
	v_cmp_lt_u32_e64 s[8:9], 63, v0
	s_waitcnt lgkmcnt(0)
	s_barrier
	s_waitcnt lgkmcnt(0)
                                        ; implicit-def: $vgpr25
	s_and_saveexec_b64 s[10:11], s[8:9]
	s_xor_b64 s[8:9], exec, s[10:11]
	s_cbranch_execz .LBB753_97
; %bb.96:
	v_lshl_add_u32 v1, v86, 3, -8
	ds_read_b64 v[24:25], v1
	s_waitcnt lgkmcnt(0)
	v_add_u32_e32 v7, v25, v7
	v_add_u32_e32 v6, v24, v6
.LBB753_97:
	s_andn2_saveexec_b64 s[8:9], s[8:9]
; %bb.98:
                                        ; implicit-def: $vgpr24
; %bb.99:
	s_or_b64 exec, exec, s[8:9]
	v_add_u32_e32 v1, -1, v85
	v_and_b32_e32 v8, 64, v85
	v_cmp_lt_i32_e64 s[8:9], v1, v8
	v_cndmask_b32_e64 v1, v1, v85, s[8:9]
	v_lshlrev_b32_e32 v8, 2, v1
	ds_bpermute_b32 v1, v8, v6
	ds_bpermute_b32 v92, v8, v7
	v_cmp_eq_u32_e64 s[8:9], 0, v85
	s_and_saveexec_b64 s[10:11], vcc
	s_cbranch_execz .LBB753_122
; %bb.100:
	v_mov_b32_e32 v11, 0
	ds_read_b64 v[26:27], v11 offset:24
	s_and_saveexec_b64 s[12:13], s[8:9]
	s_cbranch_execz .LBB753_102
; %bb.101:
	s_add_i32 s14, s33, 64
	s_mov_b32 s15, 0
	s_lshl_b64 s[14:15], s[14:15], 4
	s_waitcnt lgkmcnt(0)
	v_and_b32_e32 v6, 0xff000000, v27
	v_and_b32_e32 v7, 0xff0000, v27
	s_add_u32 s14, s50, s14
	v_or_b32_e32 v6, v7, v6
	v_and_b32_e32 v7, 0xff00, v27
	s_addc_u32 s15, s51, s15
	v_or_b32_e32 v6, v6, v7
	v_or_b32_sdwa v9, v6, v27 dst_sel:DWORD dst_unused:UNUSED_PAD src0_sel:DWORD src1_sel:BYTE_0
	v_mov_b32_e32 v10, 1
	v_mov_b32_e32 v8, v26
	v_pk_mov_b32 v[6:7], s[14:15], s[14:15] op_sel:[0,1]
	;;#ASMSTART
	global_store_dwordx4 v[6:7], v[8:11] off	
s_waitcnt vmcnt(0)
	;;#ASMEND
.LBB753_102:
	s_or_b64 exec, exec, s[12:13]
	v_xad_u32 v28, v85, -1, s33
	v_add_u32_e32 v10, 64, v28
	v_lshlrev_b64 v[6:7], 4, v[10:11]
	v_mov_b32_e32 v8, s51
	v_add_co_u32_e32 v30, vcc, s50, v6
	v_addc_co_u32_e32 v31, vcc, v8, v7, vcc
	;;#ASMSTART
	global_load_dwordx4 v[6:9], v[30:31] off glc	
s_waitcnt vmcnt(0)
	;;#ASMEND
	v_and_b32_e32 v9, 0xff, v7
	v_and_b32_e32 v10, 0xff00, v7
	v_or3_b32 v9, 0, v9, v10
	v_or3_b32 v6, v6, 0, 0
	v_and_b32_e32 v10, 0xff000000, v7
	v_and_b32_e32 v7, 0xff0000, v7
	v_or3_b32 v7, v9, v7, v10
	v_or3_b32 v6, v6, 0, 0
	v_cmp_eq_u16_sdwa s[14:15], v8, v11 src0_sel:BYTE_0 src1_sel:DWORD
	s_and_saveexec_b64 s[12:13], s[14:15]
	s_cbranch_execz .LBB753_108
; %bb.103:
	s_mov_b32 s17, 1
	s_mov_b64 s[14:15], 0
	v_mov_b32_e32 v10, 0
.LBB753_104:                            ; =>This Loop Header: Depth=1
                                        ;     Child Loop BB753_105 Depth 2
	s_max_u32 s18, s17, 1
.LBB753_105:                            ;   Parent Loop BB753_104 Depth=1
                                        ; =>  This Inner Loop Header: Depth=2
	s_add_i32 s18, s18, -1
	s_cmp_eq_u32 s18, 0
	s_sleep 1
	s_cbranch_scc0 .LBB753_105
; %bb.106:                              ;   in Loop: Header=BB753_104 Depth=1
	s_cmp_lt_u32 s17, 32
	s_cselect_b64 s[18:19], -1, 0
	s_cmp_lg_u64 s[18:19], 0
	s_addc_u32 s17, s17, 0
	;;#ASMSTART
	global_load_dwordx4 v[6:9], v[30:31] off glc	
s_waitcnt vmcnt(0)
	;;#ASMEND
	v_cmp_ne_u16_sdwa s[18:19], v8, v10 src0_sel:BYTE_0 src1_sel:DWORD
	s_or_b64 s[14:15], s[18:19], s[14:15]
	s_andn2_b64 exec, exec, s[14:15]
	s_cbranch_execnz .LBB753_104
; %bb.107:
	s_or_b64 exec, exec, s[14:15]
.LBB753_108:
	s_or_b64 exec, exec, s[12:13]
	v_and_b32_e32 v94, 63, v85
	v_cmp_ne_u32_e32 vcc, 63, v94
	v_mov_b32_e32 v93, 2
	v_addc_co_u32_e32 v30, vcc, 0, v85, vcc
	v_cmp_eq_u16_sdwa s[12:13], v8, v93 src0_sel:BYTE_0 src1_sel:DWORD
	v_lshlrev_b64 v[10:11], v85, -1
	v_lshlrev_b32_e32 v95, 2, v30
	v_and_b32_e32 v9, s13, v11
	ds_bpermute_b32 v30, v95, v6
	ds_bpermute_b32 v31, v95, v7
	v_or_b32_e32 v9, 0x80000000, v9
	v_and_b32_e32 v29, s12, v10
	v_ffbl_b32_e32 v9, v9
	v_add_u32_e32 v9, 32, v9
	v_ffbl_b32_e32 v29, v29
	v_min_u32_e32 v9, v29, v9
	s_waitcnt lgkmcnt(1)
	v_add_u32_e32 v29, v30, v6
	s_waitcnt lgkmcnt(0)
	v_add_u32_e32 v30, v31, v7
	v_cmp_lt_u32_e32 vcc, v94, v9
	v_cndmask_b32_e32 v7, v7, v30, vcc
	v_cndmask_b32_e32 v6, v6, v29, vcc
	v_cmp_gt_u32_e32 vcc, 62, v94
	v_cndmask_b32_e64 v29, 0, 1, vcc
	v_lshlrev_b32_e32 v29, 1, v29
	v_add_lshl_u32 v96, v29, v85, 2
	ds_bpermute_b32 v29, v96, v6
	ds_bpermute_b32 v30, v96, v7
	v_add_u32_e32 v97, 2, v94
	v_cmp_gt_u32_e32 vcc, v97, v9
	v_add_u32_e32 v99, 4, v94
	s_waitcnt lgkmcnt(1)
	v_add_u32_e32 v29, v6, v29
	s_waitcnt lgkmcnt(0)
	v_add_u32_e32 v30, v7, v30
	v_cndmask_b32_e32 v7, v30, v7, vcc
	v_cndmask_b32_e32 v6, v29, v6, vcc
	v_cmp_gt_u32_e32 vcc, 60, v94
	v_cndmask_b32_e64 v29, 0, 1, vcc
	v_lshlrev_b32_e32 v29, 2, v29
	v_add_lshl_u32 v98, v29, v85, 2
	ds_bpermute_b32 v29, v98, v6
	ds_bpermute_b32 v30, v98, v7
	v_cmp_gt_u32_e32 vcc, v99, v9
	v_add_u32_e32 v101, 8, v94
	v_add_u32_e32 v103, 16, v94
	s_waitcnt lgkmcnt(1)
	v_add_u32_e32 v29, v6, v29
	s_waitcnt lgkmcnt(0)
	v_add_u32_e32 v30, v7, v30
	v_cndmask_b32_e32 v7, v30, v7, vcc
	v_cndmask_b32_e32 v6, v29, v6, vcc
	v_cmp_gt_u32_e32 vcc, 56, v94
	v_cndmask_b32_e64 v29, 0, 1, vcc
	v_lshlrev_b32_e32 v29, 3, v29
	v_add_lshl_u32 v100, v29, v85, 2
	ds_bpermute_b32 v29, v100, v6
	ds_bpermute_b32 v30, v100, v7
	v_cmp_gt_u32_e32 vcc, v101, v9
	v_add_u32_e32 v105, 32, v94
	s_waitcnt lgkmcnt(1)
	v_add_u32_e32 v29, v6, v29
	s_waitcnt lgkmcnt(0)
	v_add_u32_e32 v30, v7, v30
	v_cndmask_b32_e32 v7, v30, v7, vcc
	v_cndmask_b32_e32 v6, v29, v6, vcc
	v_cmp_gt_u32_e32 vcc, 48, v94
	v_cndmask_b32_e64 v29, 0, 1, vcc
	v_lshlrev_b32_e32 v29, 4, v29
	v_add_lshl_u32 v102, v29, v85, 2
	ds_bpermute_b32 v29, v102, v6
	ds_bpermute_b32 v30, v102, v7
	v_cmp_gt_u32_e32 vcc, v103, v9
	s_waitcnt lgkmcnt(1)
	v_add_u32_e32 v29, v6, v29
	s_waitcnt lgkmcnt(0)
	v_add_u32_e32 v30, v7, v30
	v_cndmask_b32_e32 v7, v30, v7, vcc
	v_cndmask_b32_e32 v6, v29, v6, vcc
	v_cmp_gt_u32_e32 vcc, 32, v94
	v_cndmask_b32_e64 v29, 0, 1, vcc
	v_lshlrev_b32_e32 v29, 5, v29
	v_add_lshl_u32 v104, v29, v85, 2
	ds_bpermute_b32 v29, v104, v6
	ds_bpermute_b32 v30, v104, v7
	v_cmp_le_u32_e32 vcc, v105, v9
	s_waitcnt lgkmcnt(1)
	v_cndmask_b32_e32 v9, 0, v29, vcc
	s_waitcnt lgkmcnt(0)
	v_cndmask_b32_e32 v29, 0, v30, vcc
	v_add_u32_e32 v7, v7, v29
	v_add_u32_e32 v6, v6, v9
	v_mov_b32_e32 v29, 0
	s_branch .LBB753_110
.LBB753_109:                            ;   in Loop: Header=BB753_110 Depth=1
	s_or_b64 exec, exec, s[12:13]
	v_cmp_eq_u16_sdwa s[12:13], v8, v93 src0_sel:BYTE_0 src1_sel:DWORD
	v_and_b32_e32 v9, s13, v11
	ds_bpermute_b32 v33, v95, v6
	ds_bpermute_b32 v106, v95, v7
	v_or_b32_e32 v9, 0x80000000, v9
	v_and_b32_e32 v32, s12, v10
	v_ffbl_b32_e32 v9, v9
	v_add_u32_e32 v9, 32, v9
	v_ffbl_b32_e32 v32, v32
	v_min_u32_e32 v9, v32, v9
	s_waitcnt lgkmcnt(1)
	v_add_u32_e32 v32, v33, v6
	s_waitcnt lgkmcnt(0)
	v_add_u32_e32 v33, v106, v7
	v_cmp_lt_u32_e32 vcc, v94, v9
	v_cndmask_b32_e32 v7, v7, v33, vcc
	v_cndmask_b32_e32 v6, v6, v32, vcc
	ds_bpermute_b32 v32, v96, v6
	ds_bpermute_b32 v33, v96, v7
	v_cmp_gt_u32_e32 vcc, v97, v9
	v_subrev_u32_e32 v28, 64, v28
	s_waitcnt lgkmcnt(1)
	v_add_u32_e32 v32, v6, v32
	s_waitcnt lgkmcnt(0)
	v_add_u32_e32 v33, v7, v33
	v_cndmask_b32_e32 v7, v33, v7, vcc
	v_cndmask_b32_e32 v6, v32, v6, vcc
	ds_bpermute_b32 v32, v98, v6
	ds_bpermute_b32 v33, v98, v7
	v_cmp_gt_u32_e32 vcc, v99, v9
	s_waitcnt lgkmcnt(1)
	v_add_u32_e32 v32, v6, v32
	s_waitcnt lgkmcnt(0)
	v_add_u32_e32 v33, v7, v33
	v_cndmask_b32_e32 v7, v33, v7, vcc
	v_cndmask_b32_e32 v6, v32, v6, vcc
	ds_bpermute_b32 v32, v100, v6
	ds_bpermute_b32 v33, v100, v7
	v_cmp_gt_u32_e32 vcc, v101, v9
	;; [unrolled: 9-line block ×3, first 2 shown]
	s_waitcnt lgkmcnt(1)
	v_add_u32_e32 v32, v6, v32
	s_waitcnt lgkmcnt(0)
	v_add_u32_e32 v33, v7, v33
	v_cndmask_b32_e32 v7, v33, v7, vcc
	v_cndmask_b32_e32 v6, v32, v6, vcc
	ds_bpermute_b32 v32, v104, v6
	ds_bpermute_b32 v33, v104, v7
	v_cmp_le_u32_e32 vcc, v105, v9
	s_waitcnt lgkmcnt(1)
	v_cndmask_b32_e32 v9, 0, v32, vcc
	s_waitcnt lgkmcnt(0)
	v_cndmask_b32_e32 v32, 0, v33, vcc
	v_add3_u32 v7, v32, v31, v7
	v_add3_u32 v6, v9, v30, v6
.LBB753_110:                            ; =>This Loop Header: Depth=1
                                        ;     Child Loop BB753_113 Depth 2
                                        ;       Child Loop BB753_114 Depth 3
	v_cmp_ne_u16_sdwa s[12:13], v8, v93 src0_sel:BYTE_0 src1_sel:DWORD
	v_cndmask_b32_e64 v8, 0, 1, s[12:13]
	;;#ASMSTART
	;;#ASMEND
	v_cmp_ne_u32_e32 vcc, 0, v8
	s_cmp_lg_u64 vcc, exec
	v_pk_mov_b32 v[30:31], v[6:7], v[6:7] op_sel:[0,1]
	s_cbranch_scc1 .LBB753_117
; %bb.111:                              ;   in Loop: Header=BB753_110 Depth=1
	v_lshlrev_b64 v[6:7], 4, v[28:29]
	v_mov_b32_e32 v8, s51
	v_add_co_u32_e32 v32, vcc, s50, v6
	v_addc_co_u32_e32 v33, vcc, v8, v7, vcc
	;;#ASMSTART
	global_load_dwordx4 v[6:9], v[32:33] off glc	
s_waitcnt vmcnt(0)
	;;#ASMEND
	v_and_b32_e32 v9, 0xff, v7
	v_and_b32_e32 v106, 0xff00, v7
	v_or3_b32 v9, 0, v9, v106
	v_or3_b32 v6, v6, 0, 0
	v_and_b32_e32 v106, 0xff000000, v7
	v_and_b32_e32 v7, 0xff0000, v7
	v_or3_b32 v7, v9, v7, v106
	v_or3_b32 v6, v6, 0, 0
	v_cmp_eq_u16_sdwa s[14:15], v8, v29 src0_sel:BYTE_0 src1_sel:DWORD
	s_and_saveexec_b64 s[12:13], s[14:15]
	s_cbranch_execz .LBB753_109
; %bb.112:                              ;   in Loop: Header=BB753_110 Depth=1
	s_mov_b32 s17, 1
	s_mov_b64 s[14:15], 0
.LBB753_113:                            ;   Parent Loop BB753_110 Depth=1
                                        ; =>  This Loop Header: Depth=2
                                        ;       Child Loop BB753_114 Depth 3
	s_max_u32 s18, s17, 1
.LBB753_114:                            ;   Parent Loop BB753_110 Depth=1
                                        ;     Parent Loop BB753_113 Depth=2
                                        ; =>    This Inner Loop Header: Depth=3
	s_add_i32 s18, s18, -1
	s_cmp_eq_u32 s18, 0
	s_sleep 1
	s_cbranch_scc0 .LBB753_114
; %bb.115:                              ;   in Loop: Header=BB753_113 Depth=2
	s_cmp_lt_u32 s17, 32
	s_cselect_b64 s[18:19], -1, 0
	s_cmp_lg_u64 s[18:19], 0
	s_addc_u32 s17, s17, 0
	;;#ASMSTART
	global_load_dwordx4 v[6:9], v[32:33] off glc	
s_waitcnt vmcnt(0)
	;;#ASMEND
	v_cmp_ne_u16_sdwa s[18:19], v8, v29 src0_sel:BYTE_0 src1_sel:DWORD
	s_or_b64 s[14:15], s[18:19], s[14:15]
	s_andn2_b64 exec, exec, s[14:15]
	s_cbranch_execnz .LBB753_113
; %bb.116:                              ;   in Loop: Header=BB753_110 Depth=1
	s_or_b64 exec, exec, s[14:15]
	s_branch .LBB753_109
.LBB753_117:                            ;   in Loop: Header=BB753_110 Depth=1
                                        ; implicit-def: $vgpr8
                                        ; implicit-def: $vgpr6_vgpr7
	s_cbranch_execz .LBB753_110
; %bb.118:
	s_and_saveexec_b64 s[12:13], s[8:9]
	s_cbranch_execz .LBB753_120
; %bb.119:
	s_add_i32 s14, s33, 64
	s_mov_b32 s15, 0
	v_add_u32_e32 v7, v31, v27
	s_lshl_b64 s[14:15], s[14:15], 4
	s_add_u32 s14, s50, s14
	v_and_b32_e32 v8, 0xff000000, v7
	v_and_b32_e32 v10, 0xff0000, v7
	s_addc_u32 s15, s51, s15
	v_or_b32_e32 v8, v10, v8
	v_and_b32_e32 v10, 0xff00, v7
	v_and_b32_e32 v7, 0xff, v7
	v_add_u32_e32 v6, v30, v26
	v_mov_b32_e32 v9, 0
	v_or3_b32 v7, v8, v10, v7
	v_mov_b32_e32 v8, 2
	v_pk_mov_b32 v[10:11], s[14:15], s[14:15] op_sel:[0,1]
	;;#ASMSTART
	global_store_dwordx4 v[10:11], v[6:9] off	
s_waitcnt vmcnt(0)
	;;#ASMEND
	s_movk_i32 s14, 0x3400
	v_add_u32_e64 v6, s14, 0
	ds_write2_b32 v6, v26, v27 offset1:2
	ds_write2_b32 v6, v30, v31 offset0:4 offset1:6
.LBB753_120:
	s_or_b64 exec, exec, s[12:13]
	s_and_b64 exec, exec, s[0:1]
	s_cbranch_execz .LBB753_122
; %bb.121:
	v_mov_b32_e32 v6, 0
	ds_write_b64 v6, v[30:31] offset:24
.LBB753_122:
	s_or_b64 exec, exec, s[10:11]
	v_mov_b32_e32 v6, 0
	s_waitcnt lgkmcnt(0)
	s_barrier
	ds_read_b64 v[10:11], v6 offset:24
	v_cndmask_b32_e64 v25, v92, v25, s[8:9]
	v_cndmask_b32_e64 v1, v1, v24, s[8:9]
	s_movk_i32 s8, 0x3400
	s_waitcnt lgkmcnt(0)
	v_add_u32_e32 v24, v10, v1
	v_add_u32_e64 v1, s8, 0
	s_barrier
	ds_read2_b32 v[6:7], v1 offset1:2
	ds_read2_b32 v[8:9], v1 offset0:4 offset1:6
	v_add_u32_e32 v1, v11, v25
	v_cndmask_b32_e64 v1, v1, v11, s[0:1]
	v_cndmask_b32_e64 v10, v24, v10, s[0:1]
	s_branch .LBB753_133
.LBB753_123:
                                        ; implicit-def: $vgpr1
                                        ; implicit-def: $vgpr8
                                        ; implicit-def: $vgpr6
                                        ; implicit-def: $vgpr10_vgpr11
	s_cbranch_execz .LBB753_133
; %bb.124:
	s_nop 0
	v_mov_b32_dpp v1, v90 row_shr:1 row_mask:0xf bank_mask:0xf
	s_waitcnt lgkmcnt(1)
	v_mov_b32_dpp v6, v91 row_shr:1 row_mask:0xf bank_mask:0xf
	v_add_u32_e32 v1, v1, v90
	v_add_u32_e32 v6, v6, v91
	v_cndmask_b32_e64 v6, v6, v91, s[6:7]
	v_cndmask_b32_e64 v1, v1, v90, s[6:7]
	v_cmp_lt_u32_e32 vcc, 3, v89
	s_waitcnt lgkmcnt(0)
	v_mov_b32_dpp v8, v6 row_shr:2 row_mask:0xf bank_mask:0xf
	v_mov_b32_dpp v7, v1 row_shr:2 row_mask:0xf bank_mask:0xf
	v_add_u32_e32 v7, v1, v7
	v_add_u32_e32 v8, v6, v8
	v_cndmask_b32_e64 v6, v6, v8, s[4:5]
	v_cndmask_b32_e64 v1, v1, v7, s[4:5]
	s_nop 0
	v_mov_b32_dpp v8, v6 row_shr:4 row_mask:0xf bank_mask:0xf
	v_mov_b32_dpp v7, v1 row_shr:4 row_mask:0xf bank_mask:0xf
	v_add_u32_e32 v7, v1, v7
	v_add_u32_e32 v8, v6, v8
	v_cndmask_b32_e32 v6, v6, v8, vcc
	v_cndmask_b32_e32 v1, v1, v7, vcc
	v_cmp_lt_u32_e32 vcc, 7, v89
	v_mov_b32_dpp v8, v6 row_shr:8 row_mask:0xf bank_mask:0xf
	v_mov_b32_dpp v7, v1 row_shr:8 row_mask:0xf bank_mask:0xf
	v_add_u32_e32 v7, v1, v7
	v_add_u32_e32 v8, v6, v8
	v_cndmask_b32_e32 v6, v6, v8, vcc
	v_cndmask_b32_e32 v1, v1, v7, vcc
	v_cmp_eq_u32_e32 vcc, 0, v88
	v_mov_b32_dpp v8, v6 row_bcast:15 row_mask:0xf bank_mask:0xf
	v_mov_b32_dpp v7, v1 row_bcast:15 row_mask:0xf bank_mask:0xf
	v_add_u32_e32 v7, v1, v7
	v_add_u32_e32 v8, v6, v8
	v_cndmask_b32_e32 v6, v8, v6, vcc
	v_cndmask_b32_e32 v1, v7, v1, vcc
	v_cmp_lt_u32_e32 vcc, 31, v85
	v_mov_b32_dpp v8, v6 row_bcast:31 row_mask:0xf bank_mask:0xf
	v_mov_b32_dpp v7, v1 row_bcast:31 row_mask:0xf bank_mask:0xf
	v_add_u32_e32 v8, v6, v8
	v_add_u32_e32 v9, v1, v7
	v_cndmask_b32_e32 v7, v6, v8, vcc
	v_cndmask_b32_e32 v6, v1, v9, vcc
	v_cmp_eq_u32_e32 vcc, v87, v0
	s_and_saveexec_b64 s[4:5], vcc
	s_cbranch_execz .LBB753_126
; %bb.125:
	v_lshlrev_b32_e32 v1, 3, v86
	ds_write_b64 v1, v[6:7]
.LBB753_126:
	s_or_b64 exec, exec, s[4:5]
	v_cmp_gt_u32_e32 vcc, 4, v0
	s_waitcnt lgkmcnt(0)
	s_barrier
	s_and_saveexec_b64 s[4:5], vcc
	s_cbranch_execz .LBB753_128
; %bb.127:
	v_lshlrev_b32_e32 v1, 3, v0
	ds_read_b64 v[8:9], v1
	v_and_b32_e32 v10, 3, v85
	v_cmp_eq_u32_e32 vcc, 0, v10
	s_waitcnt lgkmcnt(0)
	v_mov_b32_dpp v11, v8 row_shr:1 row_mask:0xf bank_mask:0xf
	v_mov_b32_dpp v24, v9 row_shr:1 row_mask:0xf bank_mask:0xf
	v_add_u32_e32 v11, v11, v8
	v_add_u32_e32 v24, v24, v9
	v_cndmask_b32_e32 v9, v24, v9, vcc
	v_cndmask_b32_e32 v8, v11, v8, vcc
	v_cmp_lt_u32_e32 vcc, 1, v10
	v_mov_b32_dpp v24, v9 row_shr:2 row_mask:0xf bank_mask:0xf
	v_mov_b32_dpp v11, v8 row_shr:2 row_mask:0xf bank_mask:0xf
	v_cndmask_b32_e32 v10, 0, v11, vcc
	v_cndmask_b32_e32 v11, 0, v24, vcc
	v_add_u32_e32 v9, v11, v9
	v_add_u32_e32 v8, v10, v8
	ds_write_b64 v1, v[8:9]
.LBB753_128:
	s_or_b64 exec, exec, s[4:5]
	v_cmp_lt_u32_e32 vcc, 63, v0
	v_mov_b32_e32 v8, 0
	v_mov_b32_e32 v10, 0
	v_mov_b32_e32 v11, 0
	s_waitcnt lgkmcnt(0)
	s_barrier
	s_and_saveexec_b64 s[4:5], vcc
	s_cbranch_execz .LBB753_130
; %bb.129:
	v_lshl_add_u32 v1, v86, 3, -8
	ds_read_b64 v[10:11], v1
.LBB753_130:
	s_or_b64 exec, exec, s[4:5]
	s_waitcnt lgkmcnt(0)
	v_add_u32_e32 v9, v11, v7
	v_add_u32_e32 v1, v10, v6
	v_add_u32_e32 v6, -1, v85
	v_and_b32_e32 v7, 64, v85
	v_cmp_lt_i32_e32 vcc, v6, v7
	v_cndmask_b32_e32 v6, v6, v85, vcc
	v_lshlrev_b32_e32 v24, 2, v6
	ds_read_b64 v[6:7], v8 offset:24
	ds_bpermute_b32 v1, v24, v1
	ds_bpermute_b32 v24, v24, v9
	s_waitcnt lgkmcnt(2)
	v_readfirstlane_b32 s6, v7
	s_and_saveexec_b64 s[4:5], s[0:1]
	s_cbranch_execz .LBB753_132
; %bb.131:
	s_add_u32 s8, s50, 0x400
	s_mov_b32 s10, 0
	s_addc_u32 s9, s51, 0
	s_and_b32 s11, s6, 0xff000000
	s_and_b32 s13, s6, 0xff0000
	s_mov_b32 s12, s10
	s_or_b64 s[12:13], s[12:13], s[10:11]
	s_and_b32 s11, s6, 0xff00
	s_or_b64 s[12:13], s[12:13], s[10:11]
	s_and_b32 s11, s6, 0xff
	s_or_b64 s[10:11], s[12:13], s[10:11]
	v_mov_b32_e32 v7, s11
	v_mov_b32_e32 v8, 2
	;; [unrolled: 1-line block ×3, first 2 shown]
	v_pk_mov_b32 v[26:27], s[8:9], s[8:9] op_sel:[0,1]
	;;#ASMSTART
	global_store_dwordx4 v[26:27], v[6:9] off	
s_waitcnt vmcnt(0)
	;;#ASMEND
.LBB753_132:
	s_or_b64 exec, exec, s[4:5]
	v_cmp_eq_u32_e32 vcc, 0, v85
	s_waitcnt lgkmcnt(1)
	v_cndmask_b32_e32 v7, v1, v10, vcc
	s_waitcnt lgkmcnt(0)
	v_cndmask_b32_e32 v1, v24, v11, vcc
	v_mov_b32_e32 v8, 0
	v_cndmask_b32_e64 v1, v1, 0, s[0:1]
	v_cndmask_b32_e64 v10, v7, 0, s[0:1]
	s_barrier
	v_mov_b32_e32 v7, s6
	v_mov_b32_e32 v9, 0
.LBB753_133:
	v_add_u32_e32 v11, v10, v67
	v_add_u32_e32 v26, v1, v68
	;; [unrolled: 1-line block ×13, first 2 shown]
	s_waitcnt vmcnt(0) lgkmcnt(0)
	v_add_co_u32_e32 v2, vcc, v2, v8
	v_add_u32_e32 v68, v62, v74
	v_add_u32_e32 v64, v67, v64
	v_addc_co_u32_e32 v3, vcc, 0, v3, vcc
	v_add_u32_e32 v69, v68, v82
	v_add_u32_e32 v70, v64, v75
	v_sub_co_u32_e32 v24, vcc, v4, v6
	v_add_u32_e32 v71, v69, v76
	v_add_u32_e32 v65, v70, v65
	v_subbrev_co_u32_e32 v25, vcc, 0, v5, vcc
	v_lshlrev_b32_e32 v76, 1, v6
	v_sub_u32_e32 v1, v1, v9
	v_add_u32_e32 v73, v65, v77
	v_add_co_u32_e32 v24, vcc, v24, v9
	v_add_u32_e32 v77, v76, v7
	v_sub_u32_e32 v10, v10, v8
	v_add_u32_e32 v1, v1, v6
	v_addc_co_u32_e32 v25, vcc, 0, v25, vcc
	v_add_u32_e32 v36, v77, v36
	v_and_b32_e32 v38, 1, v38
	v_add_u32_e32 v77, v10, v1
	v_and_b32_e32 v37, 1, v37
	v_sub_u32_e32 v77, v36, v77
	v_cmp_eq_u32_e32 vcc, 1, v38
	v_cndmask_b32_e32 v1, v77, v1, vcc
	v_cmp_eq_u32_e32 vcc, 1, v37
	v_cndmask_b32_e32 v1, v1, v10, vcc
	v_lshlrev_b32_e32 v1, 2, v1
	ds_write_b32 v1, v22
	v_sub_u32_e32 v1, v11, v8
	v_sub_u32_e32 v11, v26, v9
	v_add_u32_e32 v11, v11, v6
	v_add_u32_e32 v26, v11, v1
	v_and_b32_e32 v22, 1, v40
	v_sub_u32_e32 v26, v36, v26
	v_and_b32_e32 v10, 1, v39
	v_add_u32_e32 v26, 1, v26
	v_cmp_eq_u32_e32 vcc, 1, v22
	v_cndmask_b32_e32 v11, v26, v11, vcc
	v_cmp_eq_u32_e32 vcc, 1, v10
	v_cndmask_b32_e32 v1, v11, v1, vcc
	v_lshlrev_b32_e32 v1, 2, v1
	v_sub_u32_e32 v11, v27, v9
	ds_write_b32 v1, v23
	v_sub_u32_e32 v1, v28, v8
	v_add_u32_e32 v11, v11, v6
	v_add_u32_e32 v23, v11, v1
	v_and_b32_e32 v22, 1, v42
	v_sub_u32_e32 v23, v36, v23
	v_and_b32_e32 v10, 1, v41
	v_add_u32_e32 v23, 2, v23
	v_cmp_eq_u32_e32 vcc, 1, v22
	v_cndmask_b32_e32 v11, v23, v11, vcc
	v_cmp_eq_u32_e32 vcc, 1, v10
	v_cndmask_b32_e32 v1, v11, v1, vcc
	v_lshlrev_b32_e32 v1, 2, v1
	v_sub_u32_e32 v11, v30, v9
	ds_write_b32 v1, v20
	v_sub_u32_e32 v1, v29, v8
	v_add_u32_e32 v11, v11, v6
	v_add_u32_e32 v22, v1, v11
	v_and_b32_e32 v20, 1, v43
	v_sub_u32_e32 v22, v36, v22
	v_and_b32_e32 v10, 1, v44
	v_add_u32_e32 v22, 3, v22
	v_cmp_eq_u32_e32 vcc, 1, v20
	v_cndmask_b32_e32 v11, v22, v11, vcc
	v_cmp_eq_u32_e32 vcc, 1, v10
	v_cndmask_b32_e32 v1, v11, v1, vcc
	v_lshlrev_b32_e32 v1, 2, v1
	v_sub_u32_e32 v11, v31, v9
	ds_write_b32 v1, v21
	v_sub_u32_e32 v1, v32, v8
	v_add_u32_e32 v11, v11, v6
	v_add_u32_e32 v21, v1, v11
	v_and_b32_e32 v20, 1, v45
	v_sub_u32_e32 v21, v36, v21
	v_and_b32_e32 v10, 1, v46
	v_add_u32_e32 v21, 4, v21
	v_cmp_eq_u32_e32 vcc, 1, v20
	v_cndmask_b32_e32 v11, v21, v11, vcc
	v_cmp_eq_u32_e32 vcc, 1, v10
	v_cndmask_b32_e32 v1, v11, v1, vcc
	v_lshlrev_b32_e32 v1, 2, v1
	v_sub_u32_e32 v11, v61, v9
	ds_write_b32 v1, v18
	v_sub_u32_e32 v1, v33, v8
	v_add_u32_e32 v11, v11, v6
	v_add_u32_e32 v20, v1, v11
	v_and_b32_e32 v18, 1, v47
	v_sub_u32_e32 v20, v36, v20
	v_and_b32_e32 v10, 1, v48
	v_add_u32_e32 v20, 5, v20
	v_cmp_eq_u32_e32 vcc, 1, v18
	v_cndmask_b32_e32 v11, v20, v11, vcc
	v_cmp_eq_u32_e32 vcc, 1, v10
	v_cndmask_b32_e32 v1, v11, v1, vcc
	v_lshlrev_b32_e32 v1, 2, v1
	v_sub_u32_e32 v11, v62, v9
	ds_write_b32 v1, v19
	v_sub_u32_e32 v1, v63, v8
	v_add_u32_e32 v11, v11, v6
	v_add_u32_e32 v19, v1, v11
	v_and_b32_e32 v18, 1, v49
	v_sub_u32_e32 v19, v36, v19
	v_and_b32_e32 v10, 1, v50
	v_add_u32_e32 v19, 6, v19
	v_cmp_eq_u32_e32 vcc, 1, v18
	v_cndmask_b32_e32 v11, v19, v11, vcc
	v_cmp_eq_u32_e32 vcc, 1, v10
	v_cndmask_b32_e32 v1, v11, v1, vcc
	v_lshlrev_b32_e32 v1, 2, v1
	v_sub_u32_e32 v11, v68, v9
	ds_write_b32 v1, v16
	v_sub_u32_e32 v1, v67, v8
	v_add_u32_e32 v11, v11, v6
	v_add_u32_e32 v18, v1, v11
	v_and_b32_e32 v16, 1, v51
	v_sub_u32_e32 v18, v36, v18
	v_and_b32_e32 v10, 1, v52
	v_add_u32_e32 v18, 7, v18
	v_cmp_eq_u32_e32 vcc, 1, v16
	v_cndmask_b32_e32 v11, v18, v11, vcc
	v_cmp_eq_u32_e32 vcc, 1, v10
	v_cndmask_b32_e32 v1, v11, v1, vcc
	v_lshlrev_b32_e32 v1, 2, v1
	v_sub_u32_e32 v11, v69, v9
	ds_write_b32 v1, v17
	v_sub_u32_e32 v1, v64, v8
	v_add_u32_e32 v11, v11, v6
	v_add_u32_e32 v17, v1, v11
	v_and_b32_e32 v16, 1, v53
	v_sub_u32_e32 v17, v36, v17
	v_and_b32_e32 v10, 1, v54
	v_add_u32_e32 v17, 8, v17
	v_cmp_eq_u32_e32 vcc, 1, v16
	v_cndmask_b32_e32 v11, v17, v11, vcc
	v_cmp_eq_u32_e32 vcc, 1, v10
	v_cndmask_b32_e32 v1, v11, v1, vcc
	v_lshlrev_b32_e32 v1, 2, v1
	v_sub_u32_e32 v11, v71, v9
	ds_write_b32 v1, v14
	v_sub_u32_e32 v1, v70, v8
	v_add_u32_e32 v11, v11, v6
	v_add_u32_e32 v16, v1, v11
	v_and_b32_e32 v14, 1, v55
	v_sub_u32_e32 v16, v36, v16
	v_and_b32_e32 v10, 1, v56
	v_add_u32_e32 v16, 9, v16
	v_cmp_eq_u32_e32 vcc, 1, v14
	v_cndmask_b32_e32 v11, v16, v11, vcc
	v_cmp_eq_u32_e32 vcc, 1, v10
	v_add_u32_e32 v72, v71, v83
	v_cndmask_b32_e32 v1, v11, v1, vcc
	v_lshlrev_b32_e32 v1, 2, v1
	v_sub_u32_e32 v11, v72, v9
	ds_write_b32 v1, v15
	v_sub_u32_e32 v1, v65, v8
	v_add_u32_e32 v11, v11, v6
	v_add_u32_e32 v15, v1, v11
	v_and_b32_e32 v14, 1, v57
	v_sub_u32_e32 v15, v36, v15
	v_and_b32_e32 v10, 1, v58
	v_add_u32_e32 v15, 10, v15
	v_cmp_eq_u32_e32 vcc, 1, v14
	v_cndmask_b32_e32 v11, v15, v11, vcc
	v_cmp_eq_u32_e32 vcc, 1, v10
	v_add_u32_e32 v74, v72, v78
	v_cndmask_b32_e32 v1, v11, v1, vcc
	v_lshlrev_b32_e32 v1, 2, v1
	v_sub_u32_e32 v11, v74, v9
	ds_write_b32 v1, v12
	v_sub_u32_e32 v1, v73, v8
	v_add_u32_e32 v11, v11, v6
	v_add_u32_e32 v14, v1, v11
	v_and_b32_e32 v12, 1, v59
	v_sub_u32_e32 v14, v36, v14
	v_and_b32_e32 v10, 1, v60
	v_add_u32_e32 v14, 11, v14
	v_cmp_eq_u32_e32 vcc, 1, v12
	v_cndmask_b32_e32 v11, v14, v11, vcc
	v_cmp_eq_u32_e32 vcc, 1, v10
	v_cndmask_b32_e32 v1, v11, v1, vcc
	v_add_u32_e32 v75, v74, v84
	v_add_u32_e32 v66, v73, v66
	v_lshlrev_b32_e32 v1, 2, v1
	ds_write_b32 v1, v13
	v_sub_u32_e32 v1, v66, v8
	v_sub_u32_e32 v8, v75, v9
	v_add_u32_e32 v8, v8, v6
	v_add_u32_e32 v10, v1, v8
	v_sub_u32_e32 v10, v36, v10
	v_add_u32_e32 v10, 12, v10
	v_cndmask_b32_e64 v8, v10, v8, s[54:55]
	v_cndmask_b32_e64 v1, v8, v1, s[52:53]
	v_lshlrev_b32_e32 v1, 2, v1
	ds_write_b32 v1, v35
	v_mov_b32_e32 v1, s49
	v_add_co_u32_e32 v8, vcc, s48, v34
	v_addc_co_u32_e32 v10, vcc, 0, v1, vcc
	v_add_co_u32_e32 v1, vcc, v7, v76
	v_addc_co_u32_e64 v11, s[4:5], 0, 0, vcc
	v_add_co_u32_e32 v1, vcc, v1, v24
	v_addc_co_u32_e32 v11, vcc, v11, v25, vcc
	v_add_co_u32_e32 v1, vcc, v1, v2
	v_addc_co_u32_e32 v11, vcc, v11, v3, vcc
	v_sub_co_u32_e32 v1, vcc, v8, v1
	v_subb_co_u32_e32 v8, vcc, v10, v11, vcc
	v_lshlrev_b64 v[10:11], 2, v[24:25]
	v_mov_b32_e32 v12, s47
	v_add_co_u32_e32 v10, vcc, s46, v10
	v_addc_co_u32_e32 v11, vcc, v12, v11, vcc
	v_lshlrev_b64 v[12:13], 2, v[2:3]
	v_mov_b32_e32 v15, s45
	v_add_co_u32_e32 v12, vcc, s44, v12
	s_add_u32 s8, s34, -4
	v_addc_co_u32_e32 v13, vcc, v15, v13, vcc
	s_addc_u32 s9, s35, -1
	v_add_u32_e32 v14, v6, v7
	s_and_b64 vcc, exec, s[2:3]
	s_mov_b64 s[2:3], -1
	s_waitcnt lgkmcnt(0)
	s_barrier
	s_cbranch_vccz .LBB753_137
; %bb.134:
	s_and_b64 vcc, exec, s[2:3]
	s_cbranch_vccnz .LBB753_242
.LBB753_135:
	s_and_b64 s[0:1], s[0:1], s[30:31]
	s_and_saveexec_b64 s[2:3], s[0:1]
	s_cbranch_execnz .LBB753_360
.LBB753_136:
	s_endpgm
.LBB753_137:
	v_cmp_le_u32_e32 vcc, v6, v0
	s_and_saveexec_b64 s[2:3], vcc
	s_xor_b64 s[2:3], exec, s[2:3]
	s_cbranch_execz .LBB753_143
; %bb.138:
	v_cmp_le_u32_e32 vcc, v14, v0
	s_and_saveexec_b64 s[4:5], vcc
	s_xor_b64 s[4:5], exec, s[4:5]
	s_cbranch_execz .LBB753_140
; %bb.139:
	v_lshlrev_b32_e32 v15, 2, v0
	v_add_co_u32_e32 v16, vcc, v1, v0
	ds_read_b32 v15, v15
	v_addc_co_u32_e32 v17, vcc, 0, v8, vcc
	v_lshlrev_b64 v[16:17], 2, v[16:17]
	v_mov_b32_e32 v18, s35
	v_sub_co_u32_e32 v16, vcc, s34, v16
	v_subb_co_u32_e32 v17, vcc, v18, v17, vcc
	s_waitcnt lgkmcnt(0)
	global_store_dword v[16:17], v15, off offset:-4
.LBB753_140:
	s_andn2_saveexec_b64 s[4:5], s[4:5]
	s_cbranch_execz .LBB753_142
; %bb.141:
	v_lshlrev_b32_e32 v15, 2, v0
	ds_read_b32 v16, v15
	v_readfirstlane_b32 s6, v10
	v_readfirstlane_b32 s7, v11
	s_waitcnt lgkmcnt(0)
	s_nop 3
	global_store_dword v15, v16, s[6:7]
.LBB753_142:
	s_or_b64 exec, exec, s[4:5]
.LBB753_143:
	s_andn2_saveexec_b64 s[2:3], s[2:3]
	s_cbranch_execz .LBB753_145
; %bb.144:
	v_lshlrev_b32_e32 v15, 2, v0
	ds_read_b32 v16, v15
	v_readfirstlane_b32 s4, v12
	v_readfirstlane_b32 s5, v13
	s_waitcnt lgkmcnt(0)
	s_nop 3
	global_store_dword v15, v16, s[4:5]
.LBB753_145:
	s_or_b64 exec, exec, s[2:3]
	v_or_b32_e32 v15, 0x100, v0
	v_cmp_le_u32_e32 vcc, v6, v15
	s_and_saveexec_b64 s[2:3], vcc
	s_xor_b64 s[2:3], exec, s[2:3]
	s_cbranch_execz .LBB753_151
; %bb.146:
	v_cmp_le_u32_e32 vcc, v14, v15
	s_and_saveexec_b64 s[4:5], vcc
	s_xor_b64 s[4:5], exec, s[4:5]
	s_cbranch_execz .LBB753_148
; %bb.147:
	v_lshlrev_b32_e32 v15, 2, v0
	ds_read_b32 v15, v15 offset:1024
	v_add_co_u32_e32 v16, vcc, v1, v0
	v_addc_co_u32_e32 v17, vcc, 0, v8, vcc
	v_lshlrev_b64 v[16:17], 2, v[16:17]
	v_mov_b32_e32 v18, s9
	v_sub_co_u32_e32 v16, vcc, s8, v16
	v_subb_co_u32_e32 v17, vcc, v18, v17, vcc
	s_waitcnt lgkmcnt(0)
	global_store_dword v[16:17], v15, off offset:-1024
.LBB753_148:
	s_andn2_saveexec_b64 s[4:5], s[4:5]
	s_cbranch_execz .LBB753_150
; %bb.149:
	v_lshlrev_b32_e32 v15, 2, v0
	ds_read_b32 v16, v15 offset:1024
	v_readfirstlane_b32 s6, v10
	v_readfirstlane_b32 s7, v11
	s_waitcnt lgkmcnt(0)
	s_nop 3
	global_store_dword v15, v16, s[6:7] offset:1024
.LBB753_150:
	s_or_b64 exec, exec, s[4:5]
.LBB753_151:
	s_andn2_saveexec_b64 s[2:3], s[2:3]
	s_cbranch_execz .LBB753_153
; %bb.152:
	v_lshlrev_b32_e32 v15, 2, v0
	ds_read_b32 v16, v15 offset:1024
	v_readfirstlane_b32 s4, v12
	v_readfirstlane_b32 s5, v13
	s_waitcnt lgkmcnt(0)
	s_nop 3
	global_store_dword v15, v16, s[4:5] offset:1024
.LBB753_153:
	s_or_b64 exec, exec, s[2:3]
	v_or_b32_e32 v15, 0x200, v0
	v_cmp_le_u32_e32 vcc, v6, v15
	s_and_saveexec_b64 s[2:3], vcc
	s_xor_b64 s[2:3], exec, s[2:3]
	s_cbranch_execz .LBB753_159
; %bb.154:
	v_cmp_le_u32_e32 vcc, v14, v15
	s_and_saveexec_b64 s[4:5], vcc
	s_xor_b64 s[4:5], exec, s[4:5]
	s_cbranch_execz .LBB753_156
; %bb.155:
	v_lshlrev_b32_e32 v15, 2, v0
	ds_read_b32 v15, v15 offset:2048
	v_add_co_u32_e32 v16, vcc, v1, v0
	v_addc_co_u32_e32 v17, vcc, 0, v8, vcc
	v_lshlrev_b64 v[16:17], 2, v[16:17]
	v_mov_b32_e32 v18, s9
	v_sub_co_u32_e32 v16, vcc, s8, v16
	v_subb_co_u32_e32 v17, vcc, v18, v17, vcc
	s_waitcnt lgkmcnt(0)
	global_store_dword v[16:17], v15, off offset:-2048
.LBB753_156:
	s_andn2_saveexec_b64 s[4:5], s[4:5]
	s_cbranch_execz .LBB753_158
; %bb.157:
	v_lshlrev_b32_e32 v15, 2, v0
	ds_read_b32 v16, v15 offset:2048
	v_readfirstlane_b32 s6, v10
	v_readfirstlane_b32 s7, v11
	s_waitcnt lgkmcnt(0)
	s_nop 3
	global_store_dword v15, v16, s[6:7] offset:2048
.LBB753_158:
	s_or_b64 exec, exec, s[4:5]
.LBB753_159:
	s_andn2_saveexec_b64 s[2:3], s[2:3]
	s_cbranch_execz .LBB753_161
; %bb.160:
	v_lshlrev_b32_e32 v15, 2, v0
	ds_read_b32 v16, v15 offset:2048
	v_readfirstlane_b32 s4, v12
	v_readfirstlane_b32 s5, v13
	s_waitcnt lgkmcnt(0)
	s_nop 3
	global_store_dword v15, v16, s[4:5] offset:2048
.LBB753_161:
	;; [unrolled: 47-line block ×3, first 2 shown]
	s_or_b64 exec, exec, s[2:3]
	v_or_b32_e32 v15, 0x400, v0
	v_cmp_le_u32_e32 vcc, v6, v15
	s_and_saveexec_b64 s[2:3], vcc
	s_xor_b64 s[2:3], exec, s[2:3]
	s_cbranch_execz .LBB753_175
; %bb.170:
	v_cmp_le_u32_e32 vcc, v14, v15
	s_and_saveexec_b64 s[4:5], vcc
	s_xor_b64 s[4:5], exec, s[4:5]
	s_cbranch_execz .LBB753_172
; %bb.171:
	v_lshlrev_b32_e32 v15, 2, v0
	ds_read_b32 v15, v15 offset:4096
	v_add_co_u32_e32 v16, vcc, v1, v0
	v_addc_co_u32_e32 v17, vcc, 0, v8, vcc
	v_lshlrev_b64 v[16:17], 2, v[16:17]
	v_mov_b32_e32 v18, s9
	v_sub_co_u32_e32 v16, vcc, s8, v16
	v_subb_co_u32_e32 v17, vcc, v18, v17, vcc
	s_waitcnt lgkmcnt(0)
	global_store_dword v[16:17], v15, off offset:-4096
                                        ; implicit-def: $vgpr15
.LBB753_172:
	s_andn2_saveexec_b64 s[4:5], s[4:5]
	s_cbranch_execz .LBB753_174
; %bb.173:
	v_lshlrev_b32_e32 v16, 2, v0
	ds_read_b32 v16, v16 offset:4096
	v_lshlrev_b32_e32 v15, 2, v15
	v_readfirstlane_b32 s6, v10
	v_readfirstlane_b32 s7, v11
	s_waitcnt lgkmcnt(0)
	s_nop 3
	global_store_dword v15, v16, s[6:7]
.LBB753_174:
	s_or_b64 exec, exec, s[4:5]
                                        ; implicit-def: $vgpr15
.LBB753_175:
	s_andn2_saveexec_b64 s[2:3], s[2:3]
	s_cbranch_execz .LBB753_177
; %bb.176:
	v_lshlrev_b32_e32 v16, 2, v0
	ds_read_b32 v16, v16 offset:4096
	v_lshlrev_b32_e32 v15, 2, v15
	v_readfirstlane_b32 s4, v12
	v_readfirstlane_b32 s5, v13
	s_waitcnt lgkmcnt(0)
	s_nop 3
	global_store_dword v15, v16, s[4:5]
.LBB753_177:
	s_or_b64 exec, exec, s[2:3]
	v_or_b32_e32 v15, 0x500, v0
	v_cmp_le_u32_e32 vcc, v6, v15
	s_and_saveexec_b64 s[2:3], vcc
	s_xor_b64 s[2:3], exec, s[2:3]
	s_cbranch_execz .LBB753_183
; %bb.178:
	v_cmp_le_u32_e32 vcc, v14, v15
	s_and_saveexec_b64 s[4:5], vcc
	s_xor_b64 s[4:5], exec, s[4:5]
	s_cbranch_execz .LBB753_180
; %bb.179:
	v_add_co_u32_e32 v16, vcc, v1, v15
	v_lshlrev_b32_e32 v15, 2, v0
	ds_read_b32 v15, v15 offset:5120
	v_addc_co_u32_e32 v17, vcc, 0, v8, vcc
	v_lshlrev_b64 v[16:17], 2, v[16:17]
	v_mov_b32_e32 v18, s9
	v_sub_co_u32_e32 v16, vcc, s8, v16
	v_subb_co_u32_e32 v17, vcc, v18, v17, vcc
	s_waitcnt lgkmcnt(0)
	global_store_dword v[16:17], v15, off
                                        ; implicit-def: $vgpr15
.LBB753_180:
	s_andn2_saveexec_b64 s[4:5], s[4:5]
	s_cbranch_execz .LBB753_182
; %bb.181:
	v_lshlrev_b32_e32 v16, 2, v0
	ds_read_b32 v16, v16 offset:5120
	v_lshlrev_b32_e32 v15, 2, v15
	v_readfirstlane_b32 s6, v10
	v_readfirstlane_b32 s7, v11
	s_waitcnt lgkmcnt(0)
	s_nop 3
	global_store_dword v15, v16, s[6:7]
.LBB753_182:
	s_or_b64 exec, exec, s[4:5]
                                        ; implicit-def: $vgpr15
.LBB753_183:
	s_andn2_saveexec_b64 s[2:3], s[2:3]
	s_cbranch_execz .LBB753_185
; %bb.184:
	v_lshlrev_b32_e32 v16, 2, v0
	ds_read_b32 v16, v16 offset:5120
	v_lshlrev_b32_e32 v15, 2, v15
	v_readfirstlane_b32 s4, v12
	v_readfirstlane_b32 s5, v13
	s_waitcnt lgkmcnt(0)
	s_nop 3
	global_store_dword v15, v16, s[4:5]
.LBB753_185:
	s_or_b64 exec, exec, s[2:3]
	v_or_b32_e32 v15, 0x600, v0
	v_cmp_le_u32_e32 vcc, v6, v15
	s_and_saveexec_b64 s[2:3], vcc
	s_xor_b64 s[2:3], exec, s[2:3]
	s_cbranch_execz .LBB753_191
; %bb.186:
	v_cmp_le_u32_e32 vcc, v14, v15
	s_and_saveexec_b64 s[4:5], vcc
	s_xor_b64 s[4:5], exec, s[4:5]
	s_cbranch_execz .LBB753_188
; %bb.187:
	v_add_co_u32_e32 v16, vcc, v1, v15
	v_lshlrev_b32_e32 v15, 2, v0
	ds_read_b32 v15, v15 offset:6144
	v_addc_co_u32_e32 v17, vcc, 0, v8, vcc
	v_lshlrev_b64 v[16:17], 2, v[16:17]
	v_mov_b32_e32 v18, s9
	v_sub_co_u32_e32 v16, vcc, s8, v16
	v_subb_co_u32_e32 v17, vcc, v18, v17, vcc
	s_waitcnt lgkmcnt(0)
	global_store_dword v[16:17], v15, off
                                        ; implicit-def: $vgpr15
.LBB753_188:
	s_andn2_saveexec_b64 s[4:5], s[4:5]
	s_cbranch_execz .LBB753_190
; %bb.189:
	v_lshlrev_b32_e32 v16, 2, v0
	ds_read_b32 v16, v16 offset:6144
	v_lshlrev_b32_e32 v15, 2, v15
	v_readfirstlane_b32 s6, v10
	v_readfirstlane_b32 s7, v11
	s_waitcnt lgkmcnt(0)
	s_nop 3
	global_store_dword v15, v16, s[6:7]
.LBB753_190:
	s_or_b64 exec, exec, s[4:5]
                                        ; implicit-def: $vgpr15
.LBB753_191:
	;; [unrolled: 51-line block ×8, first 2 shown]
	s_andn2_saveexec_b64 s[2:3], s[2:3]
	s_cbranch_execz .LBB753_241
; %bb.240:
	v_lshlrev_b32_e32 v16, 2, v0
	ds_read_b32 v16, v16 offset:12288
	v_lshlrev_b32_e32 v15, 2, v15
	v_readfirstlane_b32 s4, v12
	v_readfirstlane_b32 s5, v13
	s_waitcnt lgkmcnt(0)
	s_nop 3
	global_store_dword v15, v16, s[4:5]
.LBB753_241:
	s_or_b64 exec, exec, s[2:3]
	s_branch .LBB753_135
.LBB753_242:
	v_cmp_gt_u32_e32 vcc, s16, v0
	s_and_saveexec_b64 s[2:3], vcc
	s_cbranch_execz .LBB753_251
; %bb.243:
	v_cmp_le_u32_e32 vcc, v6, v0
	s_and_saveexec_b64 s[4:5], vcc
	s_xor_b64 s[4:5], exec, s[4:5]
	s_cbranch_execz .LBB753_249
; %bb.244:
	v_cmp_le_u32_e32 vcc, v14, v0
	s_and_saveexec_b64 s[6:7], vcc
	s_xor_b64 s[6:7], exec, s[6:7]
	s_cbranch_execz .LBB753_246
; %bb.245:
	v_lshlrev_b32_e32 v15, 2, v0
	v_add_co_u32_e32 v16, vcc, v1, v0
	ds_read_b32 v15, v15
	v_addc_co_u32_e32 v17, vcc, 0, v8, vcc
	v_lshlrev_b64 v[16:17], 2, v[16:17]
	v_mov_b32_e32 v18, s35
	v_sub_co_u32_e32 v16, vcc, s34, v16
	v_subb_co_u32_e32 v17, vcc, v18, v17, vcc
	s_waitcnt lgkmcnt(0)
	global_store_dword v[16:17], v15, off offset:-4
.LBB753_246:
	s_andn2_saveexec_b64 s[6:7], s[6:7]
	s_cbranch_execz .LBB753_248
; %bb.247:
	v_lshlrev_b32_e32 v15, 2, v0
	ds_read_b32 v16, v15
	v_readfirstlane_b32 s10, v10
	v_readfirstlane_b32 s11, v11
	s_waitcnt lgkmcnt(0)
	s_nop 3
	global_store_dword v15, v16, s[10:11]
.LBB753_248:
	s_or_b64 exec, exec, s[6:7]
.LBB753_249:
	s_andn2_saveexec_b64 s[4:5], s[4:5]
	s_cbranch_execz .LBB753_251
; %bb.250:
	v_lshlrev_b32_e32 v15, 2, v0
	ds_read_b32 v16, v15
	v_readfirstlane_b32 s4, v12
	v_readfirstlane_b32 s5, v13
	s_waitcnt lgkmcnt(0)
	s_nop 3
	global_store_dword v15, v16, s[4:5]
.LBB753_251:
	s_or_b64 exec, exec, s[2:3]
	v_or_b32_e32 v15, 0x100, v0
	v_cmp_gt_u32_e32 vcc, s16, v15
	s_and_saveexec_b64 s[2:3], vcc
	s_cbranch_execz .LBB753_260
; %bb.252:
	v_cmp_le_u32_e32 vcc, v6, v15
	s_and_saveexec_b64 s[4:5], vcc
	s_xor_b64 s[4:5], exec, s[4:5]
	s_cbranch_execz .LBB753_258
; %bb.253:
	v_cmp_le_u32_e32 vcc, v14, v15
	s_and_saveexec_b64 s[6:7], vcc
	s_xor_b64 s[6:7], exec, s[6:7]
	s_cbranch_execz .LBB753_255
; %bb.254:
	v_lshlrev_b32_e32 v15, 2, v0
	ds_read_b32 v15, v15 offset:1024
	v_add_co_u32_e32 v16, vcc, v1, v0
	v_addc_co_u32_e32 v17, vcc, 0, v8, vcc
	v_lshlrev_b64 v[16:17], 2, v[16:17]
	v_mov_b32_e32 v18, s9
	v_sub_co_u32_e32 v16, vcc, s8, v16
	v_subb_co_u32_e32 v17, vcc, v18, v17, vcc
	s_waitcnt lgkmcnt(0)
	global_store_dword v[16:17], v15, off offset:-1024
.LBB753_255:
	s_andn2_saveexec_b64 s[6:7], s[6:7]
	s_cbranch_execz .LBB753_257
; %bb.256:
	v_lshlrev_b32_e32 v15, 2, v0
	ds_read_b32 v16, v15 offset:1024
	v_readfirstlane_b32 s10, v10
	v_readfirstlane_b32 s11, v11
	s_waitcnt lgkmcnt(0)
	s_nop 3
	global_store_dword v15, v16, s[10:11] offset:1024
.LBB753_257:
	s_or_b64 exec, exec, s[6:7]
.LBB753_258:
	s_andn2_saveexec_b64 s[4:5], s[4:5]
	s_cbranch_execz .LBB753_260
; %bb.259:
	v_lshlrev_b32_e32 v15, 2, v0
	ds_read_b32 v16, v15 offset:1024
	v_readfirstlane_b32 s4, v12
	v_readfirstlane_b32 s5, v13
	s_waitcnt lgkmcnt(0)
	s_nop 3
	global_store_dword v15, v16, s[4:5] offset:1024
.LBB753_260:
	s_or_b64 exec, exec, s[2:3]
	v_or_b32_e32 v15, 0x200, v0
	v_cmp_gt_u32_e32 vcc, s16, v15
	s_and_saveexec_b64 s[2:3], vcc
	s_cbranch_execz .LBB753_269
; %bb.261:
	v_cmp_le_u32_e32 vcc, v6, v15
	s_and_saveexec_b64 s[4:5], vcc
	s_xor_b64 s[4:5], exec, s[4:5]
	s_cbranch_execz .LBB753_267
; %bb.262:
	v_cmp_le_u32_e32 vcc, v14, v15
	s_and_saveexec_b64 s[6:7], vcc
	s_xor_b64 s[6:7], exec, s[6:7]
	s_cbranch_execz .LBB753_264
; %bb.263:
	v_lshlrev_b32_e32 v15, 2, v0
	ds_read_b32 v15, v15 offset:2048
	v_add_co_u32_e32 v16, vcc, v1, v0
	v_addc_co_u32_e32 v17, vcc, 0, v8, vcc
	v_lshlrev_b64 v[16:17], 2, v[16:17]
	v_mov_b32_e32 v18, s9
	v_sub_co_u32_e32 v16, vcc, s8, v16
	v_subb_co_u32_e32 v17, vcc, v18, v17, vcc
	s_waitcnt lgkmcnt(0)
	global_store_dword v[16:17], v15, off offset:-2048
.LBB753_264:
	s_andn2_saveexec_b64 s[6:7], s[6:7]
	s_cbranch_execz .LBB753_266
; %bb.265:
	v_lshlrev_b32_e32 v15, 2, v0
	ds_read_b32 v16, v15 offset:2048
	v_readfirstlane_b32 s10, v10
	v_readfirstlane_b32 s11, v11
	s_waitcnt lgkmcnt(0)
	s_nop 3
	global_store_dword v15, v16, s[10:11] offset:2048
.LBB753_266:
	s_or_b64 exec, exec, s[6:7]
.LBB753_267:
	s_andn2_saveexec_b64 s[4:5], s[4:5]
	s_cbranch_execz .LBB753_269
; %bb.268:
	v_lshlrev_b32_e32 v15, 2, v0
	ds_read_b32 v16, v15 offset:2048
	v_readfirstlane_b32 s4, v12
	v_readfirstlane_b32 s5, v13
	s_waitcnt lgkmcnt(0)
	s_nop 3
	global_store_dword v15, v16, s[4:5] offset:2048
.LBB753_269:
	;; [unrolled: 51-line block ×3, first 2 shown]
	s_or_b64 exec, exec, s[2:3]
	v_or_b32_e32 v15, 0x400, v0
	v_cmp_gt_u32_e32 vcc, s16, v15
	s_and_saveexec_b64 s[2:3], vcc
	s_cbranch_execz .LBB753_287
; %bb.279:
	v_cmp_le_u32_e32 vcc, v6, v15
	s_and_saveexec_b64 s[4:5], vcc
	s_xor_b64 s[4:5], exec, s[4:5]
	s_cbranch_execz .LBB753_285
; %bb.280:
	v_cmp_le_u32_e32 vcc, v14, v15
	s_and_saveexec_b64 s[6:7], vcc
	s_xor_b64 s[6:7], exec, s[6:7]
	s_cbranch_execz .LBB753_282
; %bb.281:
	v_lshlrev_b32_e32 v15, 2, v0
	ds_read_b32 v15, v15 offset:4096
	v_add_co_u32_e32 v16, vcc, v1, v0
	v_addc_co_u32_e32 v17, vcc, 0, v8, vcc
	v_lshlrev_b64 v[16:17], 2, v[16:17]
	v_mov_b32_e32 v18, s9
	v_sub_co_u32_e32 v16, vcc, s8, v16
	v_subb_co_u32_e32 v17, vcc, v18, v17, vcc
	s_waitcnt lgkmcnt(0)
	global_store_dword v[16:17], v15, off offset:-4096
                                        ; implicit-def: $vgpr15
.LBB753_282:
	s_andn2_saveexec_b64 s[6:7], s[6:7]
	s_cbranch_execz .LBB753_284
; %bb.283:
	v_lshlrev_b32_e32 v16, 2, v0
	ds_read_b32 v16, v16 offset:4096
	v_lshlrev_b32_e32 v15, 2, v15
	v_readfirstlane_b32 s10, v10
	v_readfirstlane_b32 s11, v11
	s_waitcnt lgkmcnt(0)
	s_nop 3
	global_store_dword v15, v16, s[10:11]
.LBB753_284:
	s_or_b64 exec, exec, s[6:7]
                                        ; implicit-def: $vgpr15
.LBB753_285:
	s_andn2_saveexec_b64 s[4:5], s[4:5]
	s_cbranch_execz .LBB753_287
; %bb.286:
	v_lshlrev_b32_e32 v16, 2, v0
	ds_read_b32 v16, v16 offset:4096
	v_lshlrev_b32_e32 v15, 2, v15
	v_readfirstlane_b32 s4, v12
	v_readfirstlane_b32 s5, v13
	s_waitcnt lgkmcnt(0)
	s_nop 3
	global_store_dword v15, v16, s[4:5]
.LBB753_287:
	s_or_b64 exec, exec, s[2:3]
	v_or_b32_e32 v15, 0x500, v0
	v_cmp_gt_u32_e32 vcc, s16, v15
	s_and_saveexec_b64 s[2:3], vcc
	s_cbranch_execz .LBB753_296
; %bb.288:
	v_cmp_le_u32_e32 vcc, v6, v15
	s_and_saveexec_b64 s[4:5], vcc
	s_xor_b64 s[4:5], exec, s[4:5]
	s_cbranch_execz .LBB753_294
; %bb.289:
	v_cmp_le_u32_e32 vcc, v14, v15
	s_and_saveexec_b64 s[6:7], vcc
	s_xor_b64 s[6:7], exec, s[6:7]
	s_cbranch_execz .LBB753_291
; %bb.290:
	v_add_co_u32_e32 v16, vcc, v1, v15
	v_lshlrev_b32_e32 v15, 2, v0
	ds_read_b32 v15, v15 offset:5120
	v_addc_co_u32_e32 v17, vcc, 0, v8, vcc
	v_lshlrev_b64 v[16:17], 2, v[16:17]
	v_mov_b32_e32 v18, s9
	v_sub_co_u32_e32 v16, vcc, s8, v16
	v_subb_co_u32_e32 v17, vcc, v18, v17, vcc
	s_waitcnt lgkmcnt(0)
	global_store_dword v[16:17], v15, off
                                        ; implicit-def: $vgpr15
.LBB753_291:
	s_andn2_saveexec_b64 s[6:7], s[6:7]
	s_cbranch_execz .LBB753_293
; %bb.292:
	v_lshlrev_b32_e32 v16, 2, v0
	ds_read_b32 v16, v16 offset:5120
	v_lshlrev_b32_e32 v15, 2, v15
	v_readfirstlane_b32 s10, v10
	v_readfirstlane_b32 s11, v11
	s_waitcnt lgkmcnt(0)
	s_nop 3
	global_store_dword v15, v16, s[10:11]
.LBB753_293:
	s_or_b64 exec, exec, s[6:7]
                                        ; implicit-def: $vgpr15
.LBB753_294:
	s_andn2_saveexec_b64 s[4:5], s[4:5]
	s_cbranch_execz .LBB753_296
; %bb.295:
	v_lshlrev_b32_e32 v16, 2, v0
	ds_read_b32 v16, v16 offset:5120
	v_lshlrev_b32_e32 v15, 2, v15
	v_readfirstlane_b32 s4, v12
	v_readfirstlane_b32 s5, v13
	s_waitcnt lgkmcnt(0)
	s_nop 3
	global_store_dword v15, v16, s[4:5]
.LBB753_296:
	s_or_b64 exec, exec, s[2:3]
	v_or_b32_e32 v15, 0x600, v0
	v_cmp_gt_u32_e32 vcc, s16, v15
	s_and_saveexec_b64 s[2:3], vcc
	s_cbranch_execz .LBB753_305
; %bb.297:
	v_cmp_le_u32_e32 vcc, v6, v15
	s_and_saveexec_b64 s[4:5], vcc
	s_xor_b64 s[4:5], exec, s[4:5]
	s_cbranch_execz .LBB753_303
; %bb.298:
	v_cmp_le_u32_e32 vcc, v14, v15
	s_and_saveexec_b64 s[6:7], vcc
	s_xor_b64 s[6:7], exec, s[6:7]
	s_cbranch_execz .LBB753_300
; %bb.299:
	v_add_co_u32_e32 v16, vcc, v1, v15
	v_lshlrev_b32_e32 v15, 2, v0
	ds_read_b32 v15, v15 offset:6144
	v_addc_co_u32_e32 v17, vcc, 0, v8, vcc
	v_lshlrev_b64 v[16:17], 2, v[16:17]
	v_mov_b32_e32 v18, s9
	v_sub_co_u32_e32 v16, vcc, s8, v16
	v_subb_co_u32_e32 v17, vcc, v18, v17, vcc
	s_waitcnt lgkmcnt(0)
	global_store_dword v[16:17], v15, off
                                        ; implicit-def: $vgpr15
.LBB753_300:
	s_andn2_saveexec_b64 s[6:7], s[6:7]
	s_cbranch_execz .LBB753_302
; %bb.301:
	v_lshlrev_b32_e32 v16, 2, v0
	ds_read_b32 v16, v16 offset:6144
	v_lshlrev_b32_e32 v15, 2, v15
	v_readfirstlane_b32 s10, v10
	v_readfirstlane_b32 s11, v11
	s_waitcnt lgkmcnt(0)
	s_nop 3
	global_store_dword v15, v16, s[10:11]
.LBB753_302:
	s_or_b64 exec, exec, s[6:7]
                                        ; implicit-def: $vgpr15
.LBB753_303:
	s_andn2_saveexec_b64 s[4:5], s[4:5]
	s_cbranch_execz .LBB753_305
; %bb.304:
	v_lshlrev_b32_e32 v16, 2, v0
	ds_read_b32 v16, v16 offset:6144
	v_lshlrev_b32_e32 v15, 2, v15
	v_readfirstlane_b32 s4, v12
	v_readfirstlane_b32 s5, v13
	s_waitcnt lgkmcnt(0)
	s_nop 3
	global_store_dword v15, v16, s[4:5]
.LBB753_305:
	;; [unrolled: 55-line block ×7, first 2 shown]
	s_or_b64 exec, exec, s[2:3]
	v_or_b32_e32 v15, 0xc00, v0
	v_cmp_gt_u32_e32 vcc, s16, v15
	s_and_saveexec_b64 s[2:3], vcc
	s_cbranch_execz .LBB753_359
; %bb.351:
	v_cmp_le_u32_e32 vcc, v6, v15
	s_and_saveexec_b64 s[4:5], vcc
	s_xor_b64 s[4:5], exec, s[4:5]
	s_cbranch_execz .LBB753_357
; %bb.352:
	v_cmp_le_u32_e32 vcc, v14, v15
	s_and_saveexec_b64 s[6:7], vcc
	s_xor_b64 s[6:7], exec, s[6:7]
	s_cbranch_execz .LBB753_354
; %bb.353:
	v_add_co_u32_e32 v10, vcc, v1, v15
	v_lshlrev_b32_e32 v0, 2, v0
	v_addc_co_u32_e32 v11, vcc, 0, v8, vcc
	ds_read_b32 v8, v0 offset:12288
	v_lshlrev_b64 v[0:1], 2, v[10:11]
	v_mov_b32_e32 v10, s9
	v_sub_co_u32_e32 v0, vcc, s8, v0
	v_subb_co_u32_e32 v1, vcc, v10, v1, vcc
	s_waitcnt lgkmcnt(0)
	global_store_dword v[0:1], v8, off
                                        ; implicit-def: $vgpr0
                                        ; implicit-def: $vgpr15
                                        ; implicit-def: $vgpr10_vgpr11
.LBB753_354:
	s_andn2_saveexec_b64 s[6:7], s[6:7]
	s_cbranch_execz .LBB753_356
; %bb.355:
	v_lshlrev_b32_e32 v0, 2, v0
	ds_read_b32 v0, v0 offset:12288
	v_lshlrev_b32_e32 v1, 2, v15
	v_readfirstlane_b32 s8, v10
	v_readfirstlane_b32 s9, v11
	s_waitcnt lgkmcnt(0)
	s_nop 3
	global_store_dword v1, v0, s[8:9]
.LBB753_356:
	s_or_b64 exec, exec, s[6:7]
                                        ; implicit-def: $vgpr0
                                        ; implicit-def: $vgpr15
                                        ; implicit-def: $vgpr12_vgpr13
.LBB753_357:
	s_andn2_saveexec_b64 s[4:5], s[4:5]
	s_cbranch_execz .LBB753_359
; %bb.358:
	v_lshlrev_b32_e32 v0, 2, v0
	ds_read_b32 v0, v0 offset:12288
	v_lshlrev_b32_e32 v1, 2, v15
	v_readfirstlane_b32 s4, v12
	v_readfirstlane_b32 s5, v13
	s_waitcnt lgkmcnt(0)
	s_nop 3
	global_store_dword v1, v0, s[4:5]
.LBB753_359:
	s_or_b64 exec, exec, s[2:3]
	s_and_b64 s[0:1], s[0:1], s[30:31]
	s_and_saveexec_b64 s[2:3], s[0:1]
	s_cbranch_execz .LBB753_136
.LBB753_360:
	v_add_co_u32_e32 v0, vcc, v2, v6
	v_addc_co_u32_e32 v1, vcc, 0, v3, vcc
	v_add_co_u32_e32 v2, vcc, v4, v7
	v_addc_co_u32_e32 v3, vcc, 0, v5, vcc
	v_add_co_u32_e32 v2, vcc, v2, v9
	v_mov_b32_e32 v8, 0
	v_addc_co_u32_e32 v3, vcc, 0, v3, vcc
	global_store_dwordx4 v8, v[0:3], s[28:29]
	s_endpgm
	.section	.rodata,"a",@progbits
	.p2align	6, 0x0
	.amdhsa_kernel _ZN7rocprim17ROCPRIM_400000_NS6detail17trampoline_kernelINS0_13select_configILj256ELj13ELNS0_17block_load_methodE3ELS4_3ELS4_3ELNS0_20block_scan_algorithmE0ELj4294967295EEENS1_25partition_config_selectorILNS1_17partition_subalgoE4EjNS0_10empty_typeEbEEZZNS1_14partition_implILS8_4ELb0ES6_15HIP_vector_typeIjLj2EENS0_17counting_iteratorIjlEEPS9_SG_NS0_5tupleIJPjSI_NS0_16reverse_iteratorISI_EEEEENSH_IJSG_SG_SG_EEES9_SI_JZNS1_25segmented_radix_sort_implINS0_14default_configELb0EPKlPlSQ_SR_N2at6native12_GLOBAL__N_18offset_tEEE10hipError_tPvRmT1_PNSt15iterator_traitsISZ_E10value_typeET2_T3_PNS10_IS15_E10value_typeET4_jRbjT5_S1B_jjP12ihipStream_tbEUljE_ZNSN_ISO_Lb0ESQ_SR_SQ_SR_SV_EESW_SX_SY_SZ_S13_S14_S15_S18_S19_jS1A_jS1B_S1B_jjS1D_bEUljE0_EEESW_SX_SY_S15_S19_S1B_T6_T7_T9_mT8_S1D_bDpT10_ENKUlT_T0_E_clISt17integral_constantIbLb1EES1R_EEDaS1M_S1N_EUlS1M_E_NS1_11comp_targetILNS1_3genE4ELNS1_11target_archE910ELNS1_3gpuE8ELNS1_3repE0EEENS1_30default_config_static_selectorELNS0_4arch9wavefront6targetE1EEEvSZ_
		.amdhsa_group_segment_fixed_size 13340
		.amdhsa_private_segment_fixed_size 0
		.amdhsa_kernarg_size 184
		.amdhsa_user_sgpr_count 6
		.amdhsa_user_sgpr_private_segment_buffer 1
		.amdhsa_user_sgpr_dispatch_ptr 0
		.amdhsa_user_sgpr_queue_ptr 0
		.amdhsa_user_sgpr_kernarg_segment_ptr 1
		.amdhsa_user_sgpr_dispatch_id 0
		.amdhsa_user_sgpr_flat_scratch_init 0
		.amdhsa_user_sgpr_kernarg_preload_length 0
		.amdhsa_user_sgpr_kernarg_preload_offset 0
		.amdhsa_user_sgpr_private_segment_size 0
		.amdhsa_uses_dynamic_stack 0
		.amdhsa_system_sgpr_private_segment_wavefront_offset 0
		.amdhsa_system_sgpr_workgroup_id_x 1
		.amdhsa_system_sgpr_workgroup_id_y 0
		.amdhsa_system_sgpr_workgroup_id_z 0
		.amdhsa_system_sgpr_workgroup_info 0
		.amdhsa_system_vgpr_workitem_id 0
		.amdhsa_next_free_vgpr 107
		.amdhsa_next_free_sgpr 87
		.amdhsa_accum_offset 108
		.amdhsa_reserve_vcc 1
		.amdhsa_reserve_flat_scratch 0
		.amdhsa_float_round_mode_32 0
		.amdhsa_float_round_mode_16_64 0
		.amdhsa_float_denorm_mode_32 3
		.amdhsa_float_denorm_mode_16_64 3
		.amdhsa_dx10_clamp 1
		.amdhsa_ieee_mode 1
		.amdhsa_fp16_overflow 0
		.amdhsa_tg_split 0
		.amdhsa_exception_fp_ieee_invalid_op 0
		.amdhsa_exception_fp_denorm_src 0
		.amdhsa_exception_fp_ieee_div_zero 0
		.amdhsa_exception_fp_ieee_overflow 0
		.amdhsa_exception_fp_ieee_underflow 0
		.amdhsa_exception_fp_ieee_inexact 0
		.amdhsa_exception_int_div_zero 0
	.end_amdhsa_kernel
	.section	.text._ZN7rocprim17ROCPRIM_400000_NS6detail17trampoline_kernelINS0_13select_configILj256ELj13ELNS0_17block_load_methodE3ELS4_3ELS4_3ELNS0_20block_scan_algorithmE0ELj4294967295EEENS1_25partition_config_selectorILNS1_17partition_subalgoE4EjNS0_10empty_typeEbEEZZNS1_14partition_implILS8_4ELb0ES6_15HIP_vector_typeIjLj2EENS0_17counting_iteratorIjlEEPS9_SG_NS0_5tupleIJPjSI_NS0_16reverse_iteratorISI_EEEEENSH_IJSG_SG_SG_EEES9_SI_JZNS1_25segmented_radix_sort_implINS0_14default_configELb0EPKlPlSQ_SR_N2at6native12_GLOBAL__N_18offset_tEEE10hipError_tPvRmT1_PNSt15iterator_traitsISZ_E10value_typeET2_T3_PNS10_IS15_E10value_typeET4_jRbjT5_S1B_jjP12ihipStream_tbEUljE_ZNSN_ISO_Lb0ESQ_SR_SQ_SR_SV_EESW_SX_SY_SZ_S13_S14_S15_S18_S19_jS1A_jS1B_S1B_jjS1D_bEUljE0_EEESW_SX_SY_S15_S19_S1B_T6_T7_T9_mT8_S1D_bDpT10_ENKUlT_T0_E_clISt17integral_constantIbLb1EES1R_EEDaS1M_S1N_EUlS1M_E_NS1_11comp_targetILNS1_3genE4ELNS1_11target_archE910ELNS1_3gpuE8ELNS1_3repE0EEENS1_30default_config_static_selectorELNS0_4arch9wavefront6targetE1EEEvSZ_,"axG",@progbits,_ZN7rocprim17ROCPRIM_400000_NS6detail17trampoline_kernelINS0_13select_configILj256ELj13ELNS0_17block_load_methodE3ELS4_3ELS4_3ELNS0_20block_scan_algorithmE0ELj4294967295EEENS1_25partition_config_selectorILNS1_17partition_subalgoE4EjNS0_10empty_typeEbEEZZNS1_14partition_implILS8_4ELb0ES6_15HIP_vector_typeIjLj2EENS0_17counting_iteratorIjlEEPS9_SG_NS0_5tupleIJPjSI_NS0_16reverse_iteratorISI_EEEEENSH_IJSG_SG_SG_EEES9_SI_JZNS1_25segmented_radix_sort_implINS0_14default_configELb0EPKlPlSQ_SR_N2at6native12_GLOBAL__N_18offset_tEEE10hipError_tPvRmT1_PNSt15iterator_traitsISZ_E10value_typeET2_T3_PNS10_IS15_E10value_typeET4_jRbjT5_S1B_jjP12ihipStream_tbEUljE_ZNSN_ISO_Lb0ESQ_SR_SQ_SR_SV_EESW_SX_SY_SZ_S13_S14_S15_S18_S19_jS1A_jS1B_S1B_jjS1D_bEUljE0_EEESW_SX_SY_S15_S19_S1B_T6_T7_T9_mT8_S1D_bDpT10_ENKUlT_T0_E_clISt17integral_constantIbLb1EES1R_EEDaS1M_S1N_EUlS1M_E_NS1_11comp_targetILNS1_3genE4ELNS1_11target_archE910ELNS1_3gpuE8ELNS1_3repE0EEENS1_30default_config_static_selectorELNS0_4arch9wavefront6targetE1EEEvSZ_,comdat
.Lfunc_end753:
	.size	_ZN7rocprim17ROCPRIM_400000_NS6detail17trampoline_kernelINS0_13select_configILj256ELj13ELNS0_17block_load_methodE3ELS4_3ELS4_3ELNS0_20block_scan_algorithmE0ELj4294967295EEENS1_25partition_config_selectorILNS1_17partition_subalgoE4EjNS0_10empty_typeEbEEZZNS1_14partition_implILS8_4ELb0ES6_15HIP_vector_typeIjLj2EENS0_17counting_iteratorIjlEEPS9_SG_NS0_5tupleIJPjSI_NS0_16reverse_iteratorISI_EEEEENSH_IJSG_SG_SG_EEES9_SI_JZNS1_25segmented_radix_sort_implINS0_14default_configELb0EPKlPlSQ_SR_N2at6native12_GLOBAL__N_18offset_tEEE10hipError_tPvRmT1_PNSt15iterator_traitsISZ_E10value_typeET2_T3_PNS10_IS15_E10value_typeET4_jRbjT5_S1B_jjP12ihipStream_tbEUljE_ZNSN_ISO_Lb0ESQ_SR_SQ_SR_SV_EESW_SX_SY_SZ_S13_S14_S15_S18_S19_jS1A_jS1B_S1B_jjS1D_bEUljE0_EEESW_SX_SY_S15_S19_S1B_T6_T7_T9_mT8_S1D_bDpT10_ENKUlT_T0_E_clISt17integral_constantIbLb1EES1R_EEDaS1M_S1N_EUlS1M_E_NS1_11comp_targetILNS1_3genE4ELNS1_11target_archE910ELNS1_3gpuE8ELNS1_3repE0EEENS1_30default_config_static_selectorELNS0_4arch9wavefront6targetE1EEEvSZ_, .Lfunc_end753-_ZN7rocprim17ROCPRIM_400000_NS6detail17trampoline_kernelINS0_13select_configILj256ELj13ELNS0_17block_load_methodE3ELS4_3ELS4_3ELNS0_20block_scan_algorithmE0ELj4294967295EEENS1_25partition_config_selectorILNS1_17partition_subalgoE4EjNS0_10empty_typeEbEEZZNS1_14partition_implILS8_4ELb0ES6_15HIP_vector_typeIjLj2EENS0_17counting_iteratorIjlEEPS9_SG_NS0_5tupleIJPjSI_NS0_16reverse_iteratorISI_EEEEENSH_IJSG_SG_SG_EEES9_SI_JZNS1_25segmented_radix_sort_implINS0_14default_configELb0EPKlPlSQ_SR_N2at6native12_GLOBAL__N_18offset_tEEE10hipError_tPvRmT1_PNSt15iterator_traitsISZ_E10value_typeET2_T3_PNS10_IS15_E10value_typeET4_jRbjT5_S1B_jjP12ihipStream_tbEUljE_ZNSN_ISO_Lb0ESQ_SR_SQ_SR_SV_EESW_SX_SY_SZ_S13_S14_S15_S18_S19_jS1A_jS1B_S1B_jjS1D_bEUljE0_EEESW_SX_SY_S15_S19_S1B_T6_T7_T9_mT8_S1D_bDpT10_ENKUlT_T0_E_clISt17integral_constantIbLb1EES1R_EEDaS1M_S1N_EUlS1M_E_NS1_11comp_targetILNS1_3genE4ELNS1_11target_archE910ELNS1_3gpuE8ELNS1_3repE0EEENS1_30default_config_static_selectorELNS0_4arch9wavefront6targetE1EEEvSZ_
                                        ; -- End function
	.section	.AMDGPU.csdata,"",@progbits
; Kernel info:
; codeLenInByte = 13512
; NumSgprs: 91
; NumVgprs: 107
; NumAgprs: 0
; TotalNumVgprs: 107
; ScratchSize: 0
; MemoryBound: 0
; FloatMode: 240
; IeeeMode: 1
; LDSByteSize: 13340 bytes/workgroup (compile time only)
; SGPRBlocks: 11
; VGPRBlocks: 13
; NumSGPRsForWavesPerEU: 91
; NumVGPRsForWavesPerEU: 107
; AccumOffset: 108
; Occupancy: 4
; WaveLimiterHint : 1
; COMPUTE_PGM_RSRC2:SCRATCH_EN: 0
; COMPUTE_PGM_RSRC2:USER_SGPR: 6
; COMPUTE_PGM_RSRC2:TRAP_HANDLER: 0
; COMPUTE_PGM_RSRC2:TGID_X_EN: 1
; COMPUTE_PGM_RSRC2:TGID_Y_EN: 0
; COMPUTE_PGM_RSRC2:TGID_Z_EN: 0
; COMPUTE_PGM_RSRC2:TIDIG_COMP_CNT: 0
; COMPUTE_PGM_RSRC3_GFX90A:ACCUM_OFFSET: 26
; COMPUTE_PGM_RSRC3_GFX90A:TG_SPLIT: 0
	.section	.text._ZN7rocprim17ROCPRIM_400000_NS6detail17trampoline_kernelINS0_13select_configILj256ELj13ELNS0_17block_load_methodE3ELS4_3ELS4_3ELNS0_20block_scan_algorithmE0ELj4294967295EEENS1_25partition_config_selectorILNS1_17partition_subalgoE4EjNS0_10empty_typeEbEEZZNS1_14partition_implILS8_4ELb0ES6_15HIP_vector_typeIjLj2EENS0_17counting_iteratorIjlEEPS9_SG_NS0_5tupleIJPjSI_NS0_16reverse_iteratorISI_EEEEENSH_IJSG_SG_SG_EEES9_SI_JZNS1_25segmented_radix_sort_implINS0_14default_configELb0EPKlPlSQ_SR_N2at6native12_GLOBAL__N_18offset_tEEE10hipError_tPvRmT1_PNSt15iterator_traitsISZ_E10value_typeET2_T3_PNS10_IS15_E10value_typeET4_jRbjT5_S1B_jjP12ihipStream_tbEUljE_ZNSN_ISO_Lb0ESQ_SR_SQ_SR_SV_EESW_SX_SY_SZ_S13_S14_S15_S18_S19_jS1A_jS1B_S1B_jjS1D_bEUljE0_EEESW_SX_SY_S15_S19_S1B_T6_T7_T9_mT8_S1D_bDpT10_ENKUlT_T0_E_clISt17integral_constantIbLb1EES1R_EEDaS1M_S1N_EUlS1M_E_NS1_11comp_targetILNS1_3genE3ELNS1_11target_archE908ELNS1_3gpuE7ELNS1_3repE0EEENS1_30default_config_static_selectorELNS0_4arch9wavefront6targetE1EEEvSZ_,"axG",@progbits,_ZN7rocprim17ROCPRIM_400000_NS6detail17trampoline_kernelINS0_13select_configILj256ELj13ELNS0_17block_load_methodE3ELS4_3ELS4_3ELNS0_20block_scan_algorithmE0ELj4294967295EEENS1_25partition_config_selectorILNS1_17partition_subalgoE4EjNS0_10empty_typeEbEEZZNS1_14partition_implILS8_4ELb0ES6_15HIP_vector_typeIjLj2EENS0_17counting_iteratorIjlEEPS9_SG_NS0_5tupleIJPjSI_NS0_16reverse_iteratorISI_EEEEENSH_IJSG_SG_SG_EEES9_SI_JZNS1_25segmented_radix_sort_implINS0_14default_configELb0EPKlPlSQ_SR_N2at6native12_GLOBAL__N_18offset_tEEE10hipError_tPvRmT1_PNSt15iterator_traitsISZ_E10value_typeET2_T3_PNS10_IS15_E10value_typeET4_jRbjT5_S1B_jjP12ihipStream_tbEUljE_ZNSN_ISO_Lb0ESQ_SR_SQ_SR_SV_EESW_SX_SY_SZ_S13_S14_S15_S18_S19_jS1A_jS1B_S1B_jjS1D_bEUljE0_EEESW_SX_SY_S15_S19_S1B_T6_T7_T9_mT8_S1D_bDpT10_ENKUlT_T0_E_clISt17integral_constantIbLb1EES1R_EEDaS1M_S1N_EUlS1M_E_NS1_11comp_targetILNS1_3genE3ELNS1_11target_archE908ELNS1_3gpuE7ELNS1_3repE0EEENS1_30default_config_static_selectorELNS0_4arch9wavefront6targetE1EEEvSZ_,comdat
	.globl	_ZN7rocprim17ROCPRIM_400000_NS6detail17trampoline_kernelINS0_13select_configILj256ELj13ELNS0_17block_load_methodE3ELS4_3ELS4_3ELNS0_20block_scan_algorithmE0ELj4294967295EEENS1_25partition_config_selectorILNS1_17partition_subalgoE4EjNS0_10empty_typeEbEEZZNS1_14partition_implILS8_4ELb0ES6_15HIP_vector_typeIjLj2EENS0_17counting_iteratorIjlEEPS9_SG_NS0_5tupleIJPjSI_NS0_16reverse_iteratorISI_EEEEENSH_IJSG_SG_SG_EEES9_SI_JZNS1_25segmented_radix_sort_implINS0_14default_configELb0EPKlPlSQ_SR_N2at6native12_GLOBAL__N_18offset_tEEE10hipError_tPvRmT1_PNSt15iterator_traitsISZ_E10value_typeET2_T3_PNS10_IS15_E10value_typeET4_jRbjT5_S1B_jjP12ihipStream_tbEUljE_ZNSN_ISO_Lb0ESQ_SR_SQ_SR_SV_EESW_SX_SY_SZ_S13_S14_S15_S18_S19_jS1A_jS1B_S1B_jjS1D_bEUljE0_EEESW_SX_SY_S15_S19_S1B_T6_T7_T9_mT8_S1D_bDpT10_ENKUlT_T0_E_clISt17integral_constantIbLb1EES1R_EEDaS1M_S1N_EUlS1M_E_NS1_11comp_targetILNS1_3genE3ELNS1_11target_archE908ELNS1_3gpuE7ELNS1_3repE0EEENS1_30default_config_static_selectorELNS0_4arch9wavefront6targetE1EEEvSZ_ ; -- Begin function _ZN7rocprim17ROCPRIM_400000_NS6detail17trampoline_kernelINS0_13select_configILj256ELj13ELNS0_17block_load_methodE3ELS4_3ELS4_3ELNS0_20block_scan_algorithmE0ELj4294967295EEENS1_25partition_config_selectorILNS1_17partition_subalgoE4EjNS0_10empty_typeEbEEZZNS1_14partition_implILS8_4ELb0ES6_15HIP_vector_typeIjLj2EENS0_17counting_iteratorIjlEEPS9_SG_NS0_5tupleIJPjSI_NS0_16reverse_iteratorISI_EEEEENSH_IJSG_SG_SG_EEES9_SI_JZNS1_25segmented_radix_sort_implINS0_14default_configELb0EPKlPlSQ_SR_N2at6native12_GLOBAL__N_18offset_tEEE10hipError_tPvRmT1_PNSt15iterator_traitsISZ_E10value_typeET2_T3_PNS10_IS15_E10value_typeET4_jRbjT5_S1B_jjP12ihipStream_tbEUljE_ZNSN_ISO_Lb0ESQ_SR_SQ_SR_SV_EESW_SX_SY_SZ_S13_S14_S15_S18_S19_jS1A_jS1B_S1B_jjS1D_bEUljE0_EEESW_SX_SY_S15_S19_S1B_T6_T7_T9_mT8_S1D_bDpT10_ENKUlT_T0_E_clISt17integral_constantIbLb1EES1R_EEDaS1M_S1N_EUlS1M_E_NS1_11comp_targetILNS1_3genE3ELNS1_11target_archE908ELNS1_3gpuE7ELNS1_3repE0EEENS1_30default_config_static_selectorELNS0_4arch9wavefront6targetE1EEEvSZ_
	.p2align	8
	.type	_ZN7rocprim17ROCPRIM_400000_NS6detail17trampoline_kernelINS0_13select_configILj256ELj13ELNS0_17block_load_methodE3ELS4_3ELS4_3ELNS0_20block_scan_algorithmE0ELj4294967295EEENS1_25partition_config_selectorILNS1_17partition_subalgoE4EjNS0_10empty_typeEbEEZZNS1_14partition_implILS8_4ELb0ES6_15HIP_vector_typeIjLj2EENS0_17counting_iteratorIjlEEPS9_SG_NS0_5tupleIJPjSI_NS0_16reverse_iteratorISI_EEEEENSH_IJSG_SG_SG_EEES9_SI_JZNS1_25segmented_radix_sort_implINS0_14default_configELb0EPKlPlSQ_SR_N2at6native12_GLOBAL__N_18offset_tEEE10hipError_tPvRmT1_PNSt15iterator_traitsISZ_E10value_typeET2_T3_PNS10_IS15_E10value_typeET4_jRbjT5_S1B_jjP12ihipStream_tbEUljE_ZNSN_ISO_Lb0ESQ_SR_SQ_SR_SV_EESW_SX_SY_SZ_S13_S14_S15_S18_S19_jS1A_jS1B_S1B_jjS1D_bEUljE0_EEESW_SX_SY_S15_S19_S1B_T6_T7_T9_mT8_S1D_bDpT10_ENKUlT_T0_E_clISt17integral_constantIbLb1EES1R_EEDaS1M_S1N_EUlS1M_E_NS1_11comp_targetILNS1_3genE3ELNS1_11target_archE908ELNS1_3gpuE7ELNS1_3repE0EEENS1_30default_config_static_selectorELNS0_4arch9wavefront6targetE1EEEvSZ_,@function
_ZN7rocprim17ROCPRIM_400000_NS6detail17trampoline_kernelINS0_13select_configILj256ELj13ELNS0_17block_load_methodE3ELS4_3ELS4_3ELNS0_20block_scan_algorithmE0ELj4294967295EEENS1_25partition_config_selectorILNS1_17partition_subalgoE4EjNS0_10empty_typeEbEEZZNS1_14partition_implILS8_4ELb0ES6_15HIP_vector_typeIjLj2EENS0_17counting_iteratorIjlEEPS9_SG_NS0_5tupleIJPjSI_NS0_16reverse_iteratorISI_EEEEENSH_IJSG_SG_SG_EEES9_SI_JZNS1_25segmented_radix_sort_implINS0_14default_configELb0EPKlPlSQ_SR_N2at6native12_GLOBAL__N_18offset_tEEE10hipError_tPvRmT1_PNSt15iterator_traitsISZ_E10value_typeET2_T3_PNS10_IS15_E10value_typeET4_jRbjT5_S1B_jjP12ihipStream_tbEUljE_ZNSN_ISO_Lb0ESQ_SR_SQ_SR_SV_EESW_SX_SY_SZ_S13_S14_S15_S18_S19_jS1A_jS1B_S1B_jjS1D_bEUljE0_EEESW_SX_SY_S15_S19_S1B_T6_T7_T9_mT8_S1D_bDpT10_ENKUlT_T0_E_clISt17integral_constantIbLb1EES1R_EEDaS1M_S1N_EUlS1M_E_NS1_11comp_targetILNS1_3genE3ELNS1_11target_archE908ELNS1_3gpuE7ELNS1_3repE0EEENS1_30default_config_static_selectorELNS0_4arch9wavefront6targetE1EEEvSZ_: ; @_ZN7rocprim17ROCPRIM_400000_NS6detail17trampoline_kernelINS0_13select_configILj256ELj13ELNS0_17block_load_methodE3ELS4_3ELS4_3ELNS0_20block_scan_algorithmE0ELj4294967295EEENS1_25partition_config_selectorILNS1_17partition_subalgoE4EjNS0_10empty_typeEbEEZZNS1_14partition_implILS8_4ELb0ES6_15HIP_vector_typeIjLj2EENS0_17counting_iteratorIjlEEPS9_SG_NS0_5tupleIJPjSI_NS0_16reverse_iteratorISI_EEEEENSH_IJSG_SG_SG_EEES9_SI_JZNS1_25segmented_radix_sort_implINS0_14default_configELb0EPKlPlSQ_SR_N2at6native12_GLOBAL__N_18offset_tEEE10hipError_tPvRmT1_PNSt15iterator_traitsISZ_E10value_typeET2_T3_PNS10_IS15_E10value_typeET4_jRbjT5_S1B_jjP12ihipStream_tbEUljE_ZNSN_ISO_Lb0ESQ_SR_SQ_SR_SV_EESW_SX_SY_SZ_S13_S14_S15_S18_S19_jS1A_jS1B_S1B_jjS1D_bEUljE0_EEESW_SX_SY_S15_S19_S1B_T6_T7_T9_mT8_S1D_bDpT10_ENKUlT_T0_E_clISt17integral_constantIbLb1EES1R_EEDaS1M_S1N_EUlS1M_E_NS1_11comp_targetILNS1_3genE3ELNS1_11target_archE908ELNS1_3gpuE7ELNS1_3repE0EEENS1_30default_config_static_selectorELNS0_4arch9wavefront6targetE1EEEvSZ_
; %bb.0:
	.section	.rodata,"a",@progbits
	.p2align	6, 0x0
	.amdhsa_kernel _ZN7rocprim17ROCPRIM_400000_NS6detail17trampoline_kernelINS0_13select_configILj256ELj13ELNS0_17block_load_methodE3ELS4_3ELS4_3ELNS0_20block_scan_algorithmE0ELj4294967295EEENS1_25partition_config_selectorILNS1_17partition_subalgoE4EjNS0_10empty_typeEbEEZZNS1_14partition_implILS8_4ELb0ES6_15HIP_vector_typeIjLj2EENS0_17counting_iteratorIjlEEPS9_SG_NS0_5tupleIJPjSI_NS0_16reverse_iteratorISI_EEEEENSH_IJSG_SG_SG_EEES9_SI_JZNS1_25segmented_radix_sort_implINS0_14default_configELb0EPKlPlSQ_SR_N2at6native12_GLOBAL__N_18offset_tEEE10hipError_tPvRmT1_PNSt15iterator_traitsISZ_E10value_typeET2_T3_PNS10_IS15_E10value_typeET4_jRbjT5_S1B_jjP12ihipStream_tbEUljE_ZNSN_ISO_Lb0ESQ_SR_SQ_SR_SV_EESW_SX_SY_SZ_S13_S14_S15_S18_S19_jS1A_jS1B_S1B_jjS1D_bEUljE0_EEESW_SX_SY_S15_S19_S1B_T6_T7_T9_mT8_S1D_bDpT10_ENKUlT_T0_E_clISt17integral_constantIbLb1EES1R_EEDaS1M_S1N_EUlS1M_E_NS1_11comp_targetILNS1_3genE3ELNS1_11target_archE908ELNS1_3gpuE7ELNS1_3repE0EEENS1_30default_config_static_selectorELNS0_4arch9wavefront6targetE1EEEvSZ_
		.amdhsa_group_segment_fixed_size 0
		.amdhsa_private_segment_fixed_size 0
		.amdhsa_kernarg_size 184
		.amdhsa_user_sgpr_count 6
		.amdhsa_user_sgpr_private_segment_buffer 1
		.amdhsa_user_sgpr_dispatch_ptr 0
		.amdhsa_user_sgpr_queue_ptr 0
		.amdhsa_user_sgpr_kernarg_segment_ptr 1
		.amdhsa_user_sgpr_dispatch_id 0
		.amdhsa_user_sgpr_flat_scratch_init 0
		.amdhsa_user_sgpr_kernarg_preload_length 0
		.amdhsa_user_sgpr_kernarg_preload_offset 0
		.amdhsa_user_sgpr_private_segment_size 0
		.amdhsa_uses_dynamic_stack 0
		.amdhsa_system_sgpr_private_segment_wavefront_offset 0
		.amdhsa_system_sgpr_workgroup_id_x 1
		.amdhsa_system_sgpr_workgroup_id_y 0
		.amdhsa_system_sgpr_workgroup_id_z 0
		.amdhsa_system_sgpr_workgroup_info 0
		.amdhsa_system_vgpr_workitem_id 0
		.amdhsa_next_free_vgpr 1
		.amdhsa_next_free_sgpr 0
		.amdhsa_accum_offset 4
		.amdhsa_reserve_vcc 0
		.amdhsa_reserve_flat_scratch 0
		.amdhsa_float_round_mode_32 0
		.amdhsa_float_round_mode_16_64 0
		.amdhsa_float_denorm_mode_32 3
		.amdhsa_float_denorm_mode_16_64 3
		.amdhsa_dx10_clamp 1
		.amdhsa_ieee_mode 1
		.amdhsa_fp16_overflow 0
		.amdhsa_tg_split 0
		.amdhsa_exception_fp_ieee_invalid_op 0
		.amdhsa_exception_fp_denorm_src 0
		.amdhsa_exception_fp_ieee_div_zero 0
		.amdhsa_exception_fp_ieee_overflow 0
		.amdhsa_exception_fp_ieee_underflow 0
		.amdhsa_exception_fp_ieee_inexact 0
		.amdhsa_exception_int_div_zero 0
	.end_amdhsa_kernel
	.section	.text._ZN7rocprim17ROCPRIM_400000_NS6detail17trampoline_kernelINS0_13select_configILj256ELj13ELNS0_17block_load_methodE3ELS4_3ELS4_3ELNS0_20block_scan_algorithmE0ELj4294967295EEENS1_25partition_config_selectorILNS1_17partition_subalgoE4EjNS0_10empty_typeEbEEZZNS1_14partition_implILS8_4ELb0ES6_15HIP_vector_typeIjLj2EENS0_17counting_iteratorIjlEEPS9_SG_NS0_5tupleIJPjSI_NS0_16reverse_iteratorISI_EEEEENSH_IJSG_SG_SG_EEES9_SI_JZNS1_25segmented_radix_sort_implINS0_14default_configELb0EPKlPlSQ_SR_N2at6native12_GLOBAL__N_18offset_tEEE10hipError_tPvRmT1_PNSt15iterator_traitsISZ_E10value_typeET2_T3_PNS10_IS15_E10value_typeET4_jRbjT5_S1B_jjP12ihipStream_tbEUljE_ZNSN_ISO_Lb0ESQ_SR_SQ_SR_SV_EESW_SX_SY_SZ_S13_S14_S15_S18_S19_jS1A_jS1B_S1B_jjS1D_bEUljE0_EEESW_SX_SY_S15_S19_S1B_T6_T7_T9_mT8_S1D_bDpT10_ENKUlT_T0_E_clISt17integral_constantIbLb1EES1R_EEDaS1M_S1N_EUlS1M_E_NS1_11comp_targetILNS1_3genE3ELNS1_11target_archE908ELNS1_3gpuE7ELNS1_3repE0EEENS1_30default_config_static_selectorELNS0_4arch9wavefront6targetE1EEEvSZ_,"axG",@progbits,_ZN7rocprim17ROCPRIM_400000_NS6detail17trampoline_kernelINS0_13select_configILj256ELj13ELNS0_17block_load_methodE3ELS4_3ELS4_3ELNS0_20block_scan_algorithmE0ELj4294967295EEENS1_25partition_config_selectorILNS1_17partition_subalgoE4EjNS0_10empty_typeEbEEZZNS1_14partition_implILS8_4ELb0ES6_15HIP_vector_typeIjLj2EENS0_17counting_iteratorIjlEEPS9_SG_NS0_5tupleIJPjSI_NS0_16reverse_iteratorISI_EEEEENSH_IJSG_SG_SG_EEES9_SI_JZNS1_25segmented_radix_sort_implINS0_14default_configELb0EPKlPlSQ_SR_N2at6native12_GLOBAL__N_18offset_tEEE10hipError_tPvRmT1_PNSt15iterator_traitsISZ_E10value_typeET2_T3_PNS10_IS15_E10value_typeET4_jRbjT5_S1B_jjP12ihipStream_tbEUljE_ZNSN_ISO_Lb0ESQ_SR_SQ_SR_SV_EESW_SX_SY_SZ_S13_S14_S15_S18_S19_jS1A_jS1B_S1B_jjS1D_bEUljE0_EEESW_SX_SY_S15_S19_S1B_T6_T7_T9_mT8_S1D_bDpT10_ENKUlT_T0_E_clISt17integral_constantIbLb1EES1R_EEDaS1M_S1N_EUlS1M_E_NS1_11comp_targetILNS1_3genE3ELNS1_11target_archE908ELNS1_3gpuE7ELNS1_3repE0EEENS1_30default_config_static_selectorELNS0_4arch9wavefront6targetE1EEEvSZ_,comdat
.Lfunc_end754:
	.size	_ZN7rocprim17ROCPRIM_400000_NS6detail17trampoline_kernelINS0_13select_configILj256ELj13ELNS0_17block_load_methodE3ELS4_3ELS4_3ELNS0_20block_scan_algorithmE0ELj4294967295EEENS1_25partition_config_selectorILNS1_17partition_subalgoE4EjNS0_10empty_typeEbEEZZNS1_14partition_implILS8_4ELb0ES6_15HIP_vector_typeIjLj2EENS0_17counting_iteratorIjlEEPS9_SG_NS0_5tupleIJPjSI_NS0_16reverse_iteratorISI_EEEEENSH_IJSG_SG_SG_EEES9_SI_JZNS1_25segmented_radix_sort_implINS0_14default_configELb0EPKlPlSQ_SR_N2at6native12_GLOBAL__N_18offset_tEEE10hipError_tPvRmT1_PNSt15iterator_traitsISZ_E10value_typeET2_T3_PNS10_IS15_E10value_typeET4_jRbjT5_S1B_jjP12ihipStream_tbEUljE_ZNSN_ISO_Lb0ESQ_SR_SQ_SR_SV_EESW_SX_SY_SZ_S13_S14_S15_S18_S19_jS1A_jS1B_S1B_jjS1D_bEUljE0_EEESW_SX_SY_S15_S19_S1B_T6_T7_T9_mT8_S1D_bDpT10_ENKUlT_T0_E_clISt17integral_constantIbLb1EES1R_EEDaS1M_S1N_EUlS1M_E_NS1_11comp_targetILNS1_3genE3ELNS1_11target_archE908ELNS1_3gpuE7ELNS1_3repE0EEENS1_30default_config_static_selectorELNS0_4arch9wavefront6targetE1EEEvSZ_, .Lfunc_end754-_ZN7rocprim17ROCPRIM_400000_NS6detail17trampoline_kernelINS0_13select_configILj256ELj13ELNS0_17block_load_methodE3ELS4_3ELS4_3ELNS0_20block_scan_algorithmE0ELj4294967295EEENS1_25partition_config_selectorILNS1_17partition_subalgoE4EjNS0_10empty_typeEbEEZZNS1_14partition_implILS8_4ELb0ES6_15HIP_vector_typeIjLj2EENS0_17counting_iteratorIjlEEPS9_SG_NS0_5tupleIJPjSI_NS0_16reverse_iteratorISI_EEEEENSH_IJSG_SG_SG_EEES9_SI_JZNS1_25segmented_radix_sort_implINS0_14default_configELb0EPKlPlSQ_SR_N2at6native12_GLOBAL__N_18offset_tEEE10hipError_tPvRmT1_PNSt15iterator_traitsISZ_E10value_typeET2_T3_PNS10_IS15_E10value_typeET4_jRbjT5_S1B_jjP12ihipStream_tbEUljE_ZNSN_ISO_Lb0ESQ_SR_SQ_SR_SV_EESW_SX_SY_SZ_S13_S14_S15_S18_S19_jS1A_jS1B_S1B_jjS1D_bEUljE0_EEESW_SX_SY_S15_S19_S1B_T6_T7_T9_mT8_S1D_bDpT10_ENKUlT_T0_E_clISt17integral_constantIbLb1EES1R_EEDaS1M_S1N_EUlS1M_E_NS1_11comp_targetILNS1_3genE3ELNS1_11target_archE908ELNS1_3gpuE7ELNS1_3repE0EEENS1_30default_config_static_selectorELNS0_4arch9wavefront6targetE1EEEvSZ_
                                        ; -- End function
	.section	.AMDGPU.csdata,"",@progbits
; Kernel info:
; codeLenInByte = 0
; NumSgprs: 4
; NumVgprs: 0
; NumAgprs: 0
; TotalNumVgprs: 0
; ScratchSize: 0
; MemoryBound: 0
; FloatMode: 240
; IeeeMode: 1
; LDSByteSize: 0 bytes/workgroup (compile time only)
; SGPRBlocks: 0
; VGPRBlocks: 0
; NumSGPRsForWavesPerEU: 4
; NumVGPRsForWavesPerEU: 1
; AccumOffset: 4
; Occupancy: 8
; WaveLimiterHint : 0
; COMPUTE_PGM_RSRC2:SCRATCH_EN: 0
; COMPUTE_PGM_RSRC2:USER_SGPR: 6
; COMPUTE_PGM_RSRC2:TRAP_HANDLER: 0
; COMPUTE_PGM_RSRC2:TGID_X_EN: 1
; COMPUTE_PGM_RSRC2:TGID_Y_EN: 0
; COMPUTE_PGM_RSRC2:TGID_Z_EN: 0
; COMPUTE_PGM_RSRC2:TIDIG_COMP_CNT: 0
; COMPUTE_PGM_RSRC3_GFX90A:ACCUM_OFFSET: 0
; COMPUTE_PGM_RSRC3_GFX90A:TG_SPLIT: 0
	.section	.text._ZN7rocprim17ROCPRIM_400000_NS6detail17trampoline_kernelINS0_13select_configILj256ELj13ELNS0_17block_load_methodE3ELS4_3ELS4_3ELNS0_20block_scan_algorithmE0ELj4294967295EEENS1_25partition_config_selectorILNS1_17partition_subalgoE4EjNS0_10empty_typeEbEEZZNS1_14partition_implILS8_4ELb0ES6_15HIP_vector_typeIjLj2EENS0_17counting_iteratorIjlEEPS9_SG_NS0_5tupleIJPjSI_NS0_16reverse_iteratorISI_EEEEENSH_IJSG_SG_SG_EEES9_SI_JZNS1_25segmented_radix_sort_implINS0_14default_configELb0EPKlPlSQ_SR_N2at6native12_GLOBAL__N_18offset_tEEE10hipError_tPvRmT1_PNSt15iterator_traitsISZ_E10value_typeET2_T3_PNS10_IS15_E10value_typeET4_jRbjT5_S1B_jjP12ihipStream_tbEUljE_ZNSN_ISO_Lb0ESQ_SR_SQ_SR_SV_EESW_SX_SY_SZ_S13_S14_S15_S18_S19_jS1A_jS1B_S1B_jjS1D_bEUljE0_EEESW_SX_SY_S15_S19_S1B_T6_T7_T9_mT8_S1D_bDpT10_ENKUlT_T0_E_clISt17integral_constantIbLb1EES1R_EEDaS1M_S1N_EUlS1M_E_NS1_11comp_targetILNS1_3genE2ELNS1_11target_archE906ELNS1_3gpuE6ELNS1_3repE0EEENS1_30default_config_static_selectorELNS0_4arch9wavefront6targetE1EEEvSZ_,"axG",@progbits,_ZN7rocprim17ROCPRIM_400000_NS6detail17trampoline_kernelINS0_13select_configILj256ELj13ELNS0_17block_load_methodE3ELS4_3ELS4_3ELNS0_20block_scan_algorithmE0ELj4294967295EEENS1_25partition_config_selectorILNS1_17partition_subalgoE4EjNS0_10empty_typeEbEEZZNS1_14partition_implILS8_4ELb0ES6_15HIP_vector_typeIjLj2EENS0_17counting_iteratorIjlEEPS9_SG_NS0_5tupleIJPjSI_NS0_16reverse_iteratorISI_EEEEENSH_IJSG_SG_SG_EEES9_SI_JZNS1_25segmented_radix_sort_implINS0_14default_configELb0EPKlPlSQ_SR_N2at6native12_GLOBAL__N_18offset_tEEE10hipError_tPvRmT1_PNSt15iterator_traitsISZ_E10value_typeET2_T3_PNS10_IS15_E10value_typeET4_jRbjT5_S1B_jjP12ihipStream_tbEUljE_ZNSN_ISO_Lb0ESQ_SR_SQ_SR_SV_EESW_SX_SY_SZ_S13_S14_S15_S18_S19_jS1A_jS1B_S1B_jjS1D_bEUljE0_EEESW_SX_SY_S15_S19_S1B_T6_T7_T9_mT8_S1D_bDpT10_ENKUlT_T0_E_clISt17integral_constantIbLb1EES1R_EEDaS1M_S1N_EUlS1M_E_NS1_11comp_targetILNS1_3genE2ELNS1_11target_archE906ELNS1_3gpuE6ELNS1_3repE0EEENS1_30default_config_static_selectorELNS0_4arch9wavefront6targetE1EEEvSZ_,comdat
	.globl	_ZN7rocprim17ROCPRIM_400000_NS6detail17trampoline_kernelINS0_13select_configILj256ELj13ELNS0_17block_load_methodE3ELS4_3ELS4_3ELNS0_20block_scan_algorithmE0ELj4294967295EEENS1_25partition_config_selectorILNS1_17partition_subalgoE4EjNS0_10empty_typeEbEEZZNS1_14partition_implILS8_4ELb0ES6_15HIP_vector_typeIjLj2EENS0_17counting_iteratorIjlEEPS9_SG_NS0_5tupleIJPjSI_NS0_16reverse_iteratorISI_EEEEENSH_IJSG_SG_SG_EEES9_SI_JZNS1_25segmented_radix_sort_implINS0_14default_configELb0EPKlPlSQ_SR_N2at6native12_GLOBAL__N_18offset_tEEE10hipError_tPvRmT1_PNSt15iterator_traitsISZ_E10value_typeET2_T3_PNS10_IS15_E10value_typeET4_jRbjT5_S1B_jjP12ihipStream_tbEUljE_ZNSN_ISO_Lb0ESQ_SR_SQ_SR_SV_EESW_SX_SY_SZ_S13_S14_S15_S18_S19_jS1A_jS1B_S1B_jjS1D_bEUljE0_EEESW_SX_SY_S15_S19_S1B_T6_T7_T9_mT8_S1D_bDpT10_ENKUlT_T0_E_clISt17integral_constantIbLb1EES1R_EEDaS1M_S1N_EUlS1M_E_NS1_11comp_targetILNS1_3genE2ELNS1_11target_archE906ELNS1_3gpuE6ELNS1_3repE0EEENS1_30default_config_static_selectorELNS0_4arch9wavefront6targetE1EEEvSZ_ ; -- Begin function _ZN7rocprim17ROCPRIM_400000_NS6detail17trampoline_kernelINS0_13select_configILj256ELj13ELNS0_17block_load_methodE3ELS4_3ELS4_3ELNS0_20block_scan_algorithmE0ELj4294967295EEENS1_25partition_config_selectorILNS1_17partition_subalgoE4EjNS0_10empty_typeEbEEZZNS1_14partition_implILS8_4ELb0ES6_15HIP_vector_typeIjLj2EENS0_17counting_iteratorIjlEEPS9_SG_NS0_5tupleIJPjSI_NS0_16reverse_iteratorISI_EEEEENSH_IJSG_SG_SG_EEES9_SI_JZNS1_25segmented_radix_sort_implINS0_14default_configELb0EPKlPlSQ_SR_N2at6native12_GLOBAL__N_18offset_tEEE10hipError_tPvRmT1_PNSt15iterator_traitsISZ_E10value_typeET2_T3_PNS10_IS15_E10value_typeET4_jRbjT5_S1B_jjP12ihipStream_tbEUljE_ZNSN_ISO_Lb0ESQ_SR_SQ_SR_SV_EESW_SX_SY_SZ_S13_S14_S15_S18_S19_jS1A_jS1B_S1B_jjS1D_bEUljE0_EEESW_SX_SY_S15_S19_S1B_T6_T7_T9_mT8_S1D_bDpT10_ENKUlT_T0_E_clISt17integral_constantIbLb1EES1R_EEDaS1M_S1N_EUlS1M_E_NS1_11comp_targetILNS1_3genE2ELNS1_11target_archE906ELNS1_3gpuE6ELNS1_3repE0EEENS1_30default_config_static_selectorELNS0_4arch9wavefront6targetE1EEEvSZ_
	.p2align	8
	.type	_ZN7rocprim17ROCPRIM_400000_NS6detail17trampoline_kernelINS0_13select_configILj256ELj13ELNS0_17block_load_methodE3ELS4_3ELS4_3ELNS0_20block_scan_algorithmE0ELj4294967295EEENS1_25partition_config_selectorILNS1_17partition_subalgoE4EjNS0_10empty_typeEbEEZZNS1_14partition_implILS8_4ELb0ES6_15HIP_vector_typeIjLj2EENS0_17counting_iteratorIjlEEPS9_SG_NS0_5tupleIJPjSI_NS0_16reverse_iteratorISI_EEEEENSH_IJSG_SG_SG_EEES9_SI_JZNS1_25segmented_radix_sort_implINS0_14default_configELb0EPKlPlSQ_SR_N2at6native12_GLOBAL__N_18offset_tEEE10hipError_tPvRmT1_PNSt15iterator_traitsISZ_E10value_typeET2_T3_PNS10_IS15_E10value_typeET4_jRbjT5_S1B_jjP12ihipStream_tbEUljE_ZNSN_ISO_Lb0ESQ_SR_SQ_SR_SV_EESW_SX_SY_SZ_S13_S14_S15_S18_S19_jS1A_jS1B_S1B_jjS1D_bEUljE0_EEESW_SX_SY_S15_S19_S1B_T6_T7_T9_mT8_S1D_bDpT10_ENKUlT_T0_E_clISt17integral_constantIbLb1EES1R_EEDaS1M_S1N_EUlS1M_E_NS1_11comp_targetILNS1_3genE2ELNS1_11target_archE906ELNS1_3gpuE6ELNS1_3repE0EEENS1_30default_config_static_selectorELNS0_4arch9wavefront6targetE1EEEvSZ_,@function
_ZN7rocprim17ROCPRIM_400000_NS6detail17trampoline_kernelINS0_13select_configILj256ELj13ELNS0_17block_load_methodE3ELS4_3ELS4_3ELNS0_20block_scan_algorithmE0ELj4294967295EEENS1_25partition_config_selectorILNS1_17partition_subalgoE4EjNS0_10empty_typeEbEEZZNS1_14partition_implILS8_4ELb0ES6_15HIP_vector_typeIjLj2EENS0_17counting_iteratorIjlEEPS9_SG_NS0_5tupleIJPjSI_NS0_16reverse_iteratorISI_EEEEENSH_IJSG_SG_SG_EEES9_SI_JZNS1_25segmented_radix_sort_implINS0_14default_configELb0EPKlPlSQ_SR_N2at6native12_GLOBAL__N_18offset_tEEE10hipError_tPvRmT1_PNSt15iterator_traitsISZ_E10value_typeET2_T3_PNS10_IS15_E10value_typeET4_jRbjT5_S1B_jjP12ihipStream_tbEUljE_ZNSN_ISO_Lb0ESQ_SR_SQ_SR_SV_EESW_SX_SY_SZ_S13_S14_S15_S18_S19_jS1A_jS1B_S1B_jjS1D_bEUljE0_EEESW_SX_SY_S15_S19_S1B_T6_T7_T9_mT8_S1D_bDpT10_ENKUlT_T0_E_clISt17integral_constantIbLb1EES1R_EEDaS1M_S1N_EUlS1M_E_NS1_11comp_targetILNS1_3genE2ELNS1_11target_archE906ELNS1_3gpuE6ELNS1_3repE0EEENS1_30default_config_static_selectorELNS0_4arch9wavefront6targetE1EEEvSZ_: ; @_ZN7rocprim17ROCPRIM_400000_NS6detail17trampoline_kernelINS0_13select_configILj256ELj13ELNS0_17block_load_methodE3ELS4_3ELS4_3ELNS0_20block_scan_algorithmE0ELj4294967295EEENS1_25partition_config_selectorILNS1_17partition_subalgoE4EjNS0_10empty_typeEbEEZZNS1_14partition_implILS8_4ELb0ES6_15HIP_vector_typeIjLj2EENS0_17counting_iteratorIjlEEPS9_SG_NS0_5tupleIJPjSI_NS0_16reverse_iteratorISI_EEEEENSH_IJSG_SG_SG_EEES9_SI_JZNS1_25segmented_radix_sort_implINS0_14default_configELb0EPKlPlSQ_SR_N2at6native12_GLOBAL__N_18offset_tEEE10hipError_tPvRmT1_PNSt15iterator_traitsISZ_E10value_typeET2_T3_PNS10_IS15_E10value_typeET4_jRbjT5_S1B_jjP12ihipStream_tbEUljE_ZNSN_ISO_Lb0ESQ_SR_SQ_SR_SV_EESW_SX_SY_SZ_S13_S14_S15_S18_S19_jS1A_jS1B_S1B_jjS1D_bEUljE0_EEESW_SX_SY_S15_S19_S1B_T6_T7_T9_mT8_S1D_bDpT10_ENKUlT_T0_E_clISt17integral_constantIbLb1EES1R_EEDaS1M_S1N_EUlS1M_E_NS1_11comp_targetILNS1_3genE2ELNS1_11target_archE906ELNS1_3gpuE6ELNS1_3repE0EEENS1_30default_config_static_selectorELNS0_4arch9wavefront6targetE1EEEvSZ_
; %bb.0:
	.section	.rodata,"a",@progbits
	.p2align	6, 0x0
	.amdhsa_kernel _ZN7rocprim17ROCPRIM_400000_NS6detail17trampoline_kernelINS0_13select_configILj256ELj13ELNS0_17block_load_methodE3ELS4_3ELS4_3ELNS0_20block_scan_algorithmE0ELj4294967295EEENS1_25partition_config_selectorILNS1_17partition_subalgoE4EjNS0_10empty_typeEbEEZZNS1_14partition_implILS8_4ELb0ES6_15HIP_vector_typeIjLj2EENS0_17counting_iteratorIjlEEPS9_SG_NS0_5tupleIJPjSI_NS0_16reverse_iteratorISI_EEEEENSH_IJSG_SG_SG_EEES9_SI_JZNS1_25segmented_radix_sort_implINS0_14default_configELb0EPKlPlSQ_SR_N2at6native12_GLOBAL__N_18offset_tEEE10hipError_tPvRmT1_PNSt15iterator_traitsISZ_E10value_typeET2_T3_PNS10_IS15_E10value_typeET4_jRbjT5_S1B_jjP12ihipStream_tbEUljE_ZNSN_ISO_Lb0ESQ_SR_SQ_SR_SV_EESW_SX_SY_SZ_S13_S14_S15_S18_S19_jS1A_jS1B_S1B_jjS1D_bEUljE0_EEESW_SX_SY_S15_S19_S1B_T6_T7_T9_mT8_S1D_bDpT10_ENKUlT_T0_E_clISt17integral_constantIbLb1EES1R_EEDaS1M_S1N_EUlS1M_E_NS1_11comp_targetILNS1_3genE2ELNS1_11target_archE906ELNS1_3gpuE6ELNS1_3repE0EEENS1_30default_config_static_selectorELNS0_4arch9wavefront6targetE1EEEvSZ_
		.amdhsa_group_segment_fixed_size 0
		.amdhsa_private_segment_fixed_size 0
		.amdhsa_kernarg_size 184
		.amdhsa_user_sgpr_count 6
		.amdhsa_user_sgpr_private_segment_buffer 1
		.amdhsa_user_sgpr_dispatch_ptr 0
		.amdhsa_user_sgpr_queue_ptr 0
		.amdhsa_user_sgpr_kernarg_segment_ptr 1
		.amdhsa_user_sgpr_dispatch_id 0
		.amdhsa_user_sgpr_flat_scratch_init 0
		.amdhsa_user_sgpr_kernarg_preload_length 0
		.amdhsa_user_sgpr_kernarg_preload_offset 0
		.amdhsa_user_sgpr_private_segment_size 0
		.amdhsa_uses_dynamic_stack 0
		.amdhsa_system_sgpr_private_segment_wavefront_offset 0
		.amdhsa_system_sgpr_workgroup_id_x 1
		.amdhsa_system_sgpr_workgroup_id_y 0
		.amdhsa_system_sgpr_workgroup_id_z 0
		.amdhsa_system_sgpr_workgroup_info 0
		.amdhsa_system_vgpr_workitem_id 0
		.amdhsa_next_free_vgpr 1
		.amdhsa_next_free_sgpr 0
		.amdhsa_accum_offset 4
		.amdhsa_reserve_vcc 0
		.amdhsa_reserve_flat_scratch 0
		.amdhsa_float_round_mode_32 0
		.amdhsa_float_round_mode_16_64 0
		.amdhsa_float_denorm_mode_32 3
		.amdhsa_float_denorm_mode_16_64 3
		.amdhsa_dx10_clamp 1
		.amdhsa_ieee_mode 1
		.amdhsa_fp16_overflow 0
		.amdhsa_tg_split 0
		.amdhsa_exception_fp_ieee_invalid_op 0
		.amdhsa_exception_fp_denorm_src 0
		.amdhsa_exception_fp_ieee_div_zero 0
		.amdhsa_exception_fp_ieee_overflow 0
		.amdhsa_exception_fp_ieee_underflow 0
		.amdhsa_exception_fp_ieee_inexact 0
		.amdhsa_exception_int_div_zero 0
	.end_amdhsa_kernel
	.section	.text._ZN7rocprim17ROCPRIM_400000_NS6detail17trampoline_kernelINS0_13select_configILj256ELj13ELNS0_17block_load_methodE3ELS4_3ELS4_3ELNS0_20block_scan_algorithmE0ELj4294967295EEENS1_25partition_config_selectorILNS1_17partition_subalgoE4EjNS0_10empty_typeEbEEZZNS1_14partition_implILS8_4ELb0ES6_15HIP_vector_typeIjLj2EENS0_17counting_iteratorIjlEEPS9_SG_NS0_5tupleIJPjSI_NS0_16reverse_iteratorISI_EEEEENSH_IJSG_SG_SG_EEES9_SI_JZNS1_25segmented_radix_sort_implINS0_14default_configELb0EPKlPlSQ_SR_N2at6native12_GLOBAL__N_18offset_tEEE10hipError_tPvRmT1_PNSt15iterator_traitsISZ_E10value_typeET2_T3_PNS10_IS15_E10value_typeET4_jRbjT5_S1B_jjP12ihipStream_tbEUljE_ZNSN_ISO_Lb0ESQ_SR_SQ_SR_SV_EESW_SX_SY_SZ_S13_S14_S15_S18_S19_jS1A_jS1B_S1B_jjS1D_bEUljE0_EEESW_SX_SY_S15_S19_S1B_T6_T7_T9_mT8_S1D_bDpT10_ENKUlT_T0_E_clISt17integral_constantIbLb1EES1R_EEDaS1M_S1N_EUlS1M_E_NS1_11comp_targetILNS1_3genE2ELNS1_11target_archE906ELNS1_3gpuE6ELNS1_3repE0EEENS1_30default_config_static_selectorELNS0_4arch9wavefront6targetE1EEEvSZ_,"axG",@progbits,_ZN7rocprim17ROCPRIM_400000_NS6detail17trampoline_kernelINS0_13select_configILj256ELj13ELNS0_17block_load_methodE3ELS4_3ELS4_3ELNS0_20block_scan_algorithmE0ELj4294967295EEENS1_25partition_config_selectorILNS1_17partition_subalgoE4EjNS0_10empty_typeEbEEZZNS1_14partition_implILS8_4ELb0ES6_15HIP_vector_typeIjLj2EENS0_17counting_iteratorIjlEEPS9_SG_NS0_5tupleIJPjSI_NS0_16reverse_iteratorISI_EEEEENSH_IJSG_SG_SG_EEES9_SI_JZNS1_25segmented_radix_sort_implINS0_14default_configELb0EPKlPlSQ_SR_N2at6native12_GLOBAL__N_18offset_tEEE10hipError_tPvRmT1_PNSt15iterator_traitsISZ_E10value_typeET2_T3_PNS10_IS15_E10value_typeET4_jRbjT5_S1B_jjP12ihipStream_tbEUljE_ZNSN_ISO_Lb0ESQ_SR_SQ_SR_SV_EESW_SX_SY_SZ_S13_S14_S15_S18_S19_jS1A_jS1B_S1B_jjS1D_bEUljE0_EEESW_SX_SY_S15_S19_S1B_T6_T7_T9_mT8_S1D_bDpT10_ENKUlT_T0_E_clISt17integral_constantIbLb1EES1R_EEDaS1M_S1N_EUlS1M_E_NS1_11comp_targetILNS1_3genE2ELNS1_11target_archE906ELNS1_3gpuE6ELNS1_3repE0EEENS1_30default_config_static_selectorELNS0_4arch9wavefront6targetE1EEEvSZ_,comdat
.Lfunc_end755:
	.size	_ZN7rocprim17ROCPRIM_400000_NS6detail17trampoline_kernelINS0_13select_configILj256ELj13ELNS0_17block_load_methodE3ELS4_3ELS4_3ELNS0_20block_scan_algorithmE0ELj4294967295EEENS1_25partition_config_selectorILNS1_17partition_subalgoE4EjNS0_10empty_typeEbEEZZNS1_14partition_implILS8_4ELb0ES6_15HIP_vector_typeIjLj2EENS0_17counting_iteratorIjlEEPS9_SG_NS0_5tupleIJPjSI_NS0_16reverse_iteratorISI_EEEEENSH_IJSG_SG_SG_EEES9_SI_JZNS1_25segmented_radix_sort_implINS0_14default_configELb0EPKlPlSQ_SR_N2at6native12_GLOBAL__N_18offset_tEEE10hipError_tPvRmT1_PNSt15iterator_traitsISZ_E10value_typeET2_T3_PNS10_IS15_E10value_typeET4_jRbjT5_S1B_jjP12ihipStream_tbEUljE_ZNSN_ISO_Lb0ESQ_SR_SQ_SR_SV_EESW_SX_SY_SZ_S13_S14_S15_S18_S19_jS1A_jS1B_S1B_jjS1D_bEUljE0_EEESW_SX_SY_S15_S19_S1B_T6_T7_T9_mT8_S1D_bDpT10_ENKUlT_T0_E_clISt17integral_constantIbLb1EES1R_EEDaS1M_S1N_EUlS1M_E_NS1_11comp_targetILNS1_3genE2ELNS1_11target_archE906ELNS1_3gpuE6ELNS1_3repE0EEENS1_30default_config_static_selectorELNS0_4arch9wavefront6targetE1EEEvSZ_, .Lfunc_end755-_ZN7rocprim17ROCPRIM_400000_NS6detail17trampoline_kernelINS0_13select_configILj256ELj13ELNS0_17block_load_methodE3ELS4_3ELS4_3ELNS0_20block_scan_algorithmE0ELj4294967295EEENS1_25partition_config_selectorILNS1_17partition_subalgoE4EjNS0_10empty_typeEbEEZZNS1_14partition_implILS8_4ELb0ES6_15HIP_vector_typeIjLj2EENS0_17counting_iteratorIjlEEPS9_SG_NS0_5tupleIJPjSI_NS0_16reverse_iteratorISI_EEEEENSH_IJSG_SG_SG_EEES9_SI_JZNS1_25segmented_radix_sort_implINS0_14default_configELb0EPKlPlSQ_SR_N2at6native12_GLOBAL__N_18offset_tEEE10hipError_tPvRmT1_PNSt15iterator_traitsISZ_E10value_typeET2_T3_PNS10_IS15_E10value_typeET4_jRbjT5_S1B_jjP12ihipStream_tbEUljE_ZNSN_ISO_Lb0ESQ_SR_SQ_SR_SV_EESW_SX_SY_SZ_S13_S14_S15_S18_S19_jS1A_jS1B_S1B_jjS1D_bEUljE0_EEESW_SX_SY_S15_S19_S1B_T6_T7_T9_mT8_S1D_bDpT10_ENKUlT_T0_E_clISt17integral_constantIbLb1EES1R_EEDaS1M_S1N_EUlS1M_E_NS1_11comp_targetILNS1_3genE2ELNS1_11target_archE906ELNS1_3gpuE6ELNS1_3repE0EEENS1_30default_config_static_selectorELNS0_4arch9wavefront6targetE1EEEvSZ_
                                        ; -- End function
	.section	.AMDGPU.csdata,"",@progbits
; Kernel info:
; codeLenInByte = 0
; NumSgprs: 4
; NumVgprs: 0
; NumAgprs: 0
; TotalNumVgprs: 0
; ScratchSize: 0
; MemoryBound: 0
; FloatMode: 240
; IeeeMode: 1
; LDSByteSize: 0 bytes/workgroup (compile time only)
; SGPRBlocks: 0
; VGPRBlocks: 0
; NumSGPRsForWavesPerEU: 4
; NumVGPRsForWavesPerEU: 1
; AccumOffset: 4
; Occupancy: 8
; WaveLimiterHint : 0
; COMPUTE_PGM_RSRC2:SCRATCH_EN: 0
; COMPUTE_PGM_RSRC2:USER_SGPR: 6
; COMPUTE_PGM_RSRC2:TRAP_HANDLER: 0
; COMPUTE_PGM_RSRC2:TGID_X_EN: 1
; COMPUTE_PGM_RSRC2:TGID_Y_EN: 0
; COMPUTE_PGM_RSRC2:TGID_Z_EN: 0
; COMPUTE_PGM_RSRC2:TIDIG_COMP_CNT: 0
; COMPUTE_PGM_RSRC3_GFX90A:ACCUM_OFFSET: 0
; COMPUTE_PGM_RSRC3_GFX90A:TG_SPLIT: 0
	.section	.text._ZN7rocprim17ROCPRIM_400000_NS6detail17trampoline_kernelINS0_13select_configILj256ELj13ELNS0_17block_load_methodE3ELS4_3ELS4_3ELNS0_20block_scan_algorithmE0ELj4294967295EEENS1_25partition_config_selectorILNS1_17partition_subalgoE4EjNS0_10empty_typeEbEEZZNS1_14partition_implILS8_4ELb0ES6_15HIP_vector_typeIjLj2EENS0_17counting_iteratorIjlEEPS9_SG_NS0_5tupleIJPjSI_NS0_16reverse_iteratorISI_EEEEENSH_IJSG_SG_SG_EEES9_SI_JZNS1_25segmented_radix_sort_implINS0_14default_configELb0EPKlPlSQ_SR_N2at6native12_GLOBAL__N_18offset_tEEE10hipError_tPvRmT1_PNSt15iterator_traitsISZ_E10value_typeET2_T3_PNS10_IS15_E10value_typeET4_jRbjT5_S1B_jjP12ihipStream_tbEUljE_ZNSN_ISO_Lb0ESQ_SR_SQ_SR_SV_EESW_SX_SY_SZ_S13_S14_S15_S18_S19_jS1A_jS1B_S1B_jjS1D_bEUljE0_EEESW_SX_SY_S15_S19_S1B_T6_T7_T9_mT8_S1D_bDpT10_ENKUlT_T0_E_clISt17integral_constantIbLb1EES1R_EEDaS1M_S1N_EUlS1M_E_NS1_11comp_targetILNS1_3genE10ELNS1_11target_archE1200ELNS1_3gpuE4ELNS1_3repE0EEENS1_30default_config_static_selectorELNS0_4arch9wavefront6targetE1EEEvSZ_,"axG",@progbits,_ZN7rocprim17ROCPRIM_400000_NS6detail17trampoline_kernelINS0_13select_configILj256ELj13ELNS0_17block_load_methodE3ELS4_3ELS4_3ELNS0_20block_scan_algorithmE0ELj4294967295EEENS1_25partition_config_selectorILNS1_17partition_subalgoE4EjNS0_10empty_typeEbEEZZNS1_14partition_implILS8_4ELb0ES6_15HIP_vector_typeIjLj2EENS0_17counting_iteratorIjlEEPS9_SG_NS0_5tupleIJPjSI_NS0_16reverse_iteratorISI_EEEEENSH_IJSG_SG_SG_EEES9_SI_JZNS1_25segmented_radix_sort_implINS0_14default_configELb0EPKlPlSQ_SR_N2at6native12_GLOBAL__N_18offset_tEEE10hipError_tPvRmT1_PNSt15iterator_traitsISZ_E10value_typeET2_T3_PNS10_IS15_E10value_typeET4_jRbjT5_S1B_jjP12ihipStream_tbEUljE_ZNSN_ISO_Lb0ESQ_SR_SQ_SR_SV_EESW_SX_SY_SZ_S13_S14_S15_S18_S19_jS1A_jS1B_S1B_jjS1D_bEUljE0_EEESW_SX_SY_S15_S19_S1B_T6_T7_T9_mT8_S1D_bDpT10_ENKUlT_T0_E_clISt17integral_constantIbLb1EES1R_EEDaS1M_S1N_EUlS1M_E_NS1_11comp_targetILNS1_3genE10ELNS1_11target_archE1200ELNS1_3gpuE4ELNS1_3repE0EEENS1_30default_config_static_selectorELNS0_4arch9wavefront6targetE1EEEvSZ_,comdat
	.globl	_ZN7rocprim17ROCPRIM_400000_NS6detail17trampoline_kernelINS0_13select_configILj256ELj13ELNS0_17block_load_methodE3ELS4_3ELS4_3ELNS0_20block_scan_algorithmE0ELj4294967295EEENS1_25partition_config_selectorILNS1_17partition_subalgoE4EjNS0_10empty_typeEbEEZZNS1_14partition_implILS8_4ELb0ES6_15HIP_vector_typeIjLj2EENS0_17counting_iteratorIjlEEPS9_SG_NS0_5tupleIJPjSI_NS0_16reverse_iteratorISI_EEEEENSH_IJSG_SG_SG_EEES9_SI_JZNS1_25segmented_radix_sort_implINS0_14default_configELb0EPKlPlSQ_SR_N2at6native12_GLOBAL__N_18offset_tEEE10hipError_tPvRmT1_PNSt15iterator_traitsISZ_E10value_typeET2_T3_PNS10_IS15_E10value_typeET4_jRbjT5_S1B_jjP12ihipStream_tbEUljE_ZNSN_ISO_Lb0ESQ_SR_SQ_SR_SV_EESW_SX_SY_SZ_S13_S14_S15_S18_S19_jS1A_jS1B_S1B_jjS1D_bEUljE0_EEESW_SX_SY_S15_S19_S1B_T6_T7_T9_mT8_S1D_bDpT10_ENKUlT_T0_E_clISt17integral_constantIbLb1EES1R_EEDaS1M_S1N_EUlS1M_E_NS1_11comp_targetILNS1_3genE10ELNS1_11target_archE1200ELNS1_3gpuE4ELNS1_3repE0EEENS1_30default_config_static_selectorELNS0_4arch9wavefront6targetE1EEEvSZ_ ; -- Begin function _ZN7rocprim17ROCPRIM_400000_NS6detail17trampoline_kernelINS0_13select_configILj256ELj13ELNS0_17block_load_methodE3ELS4_3ELS4_3ELNS0_20block_scan_algorithmE0ELj4294967295EEENS1_25partition_config_selectorILNS1_17partition_subalgoE4EjNS0_10empty_typeEbEEZZNS1_14partition_implILS8_4ELb0ES6_15HIP_vector_typeIjLj2EENS0_17counting_iteratorIjlEEPS9_SG_NS0_5tupleIJPjSI_NS0_16reverse_iteratorISI_EEEEENSH_IJSG_SG_SG_EEES9_SI_JZNS1_25segmented_radix_sort_implINS0_14default_configELb0EPKlPlSQ_SR_N2at6native12_GLOBAL__N_18offset_tEEE10hipError_tPvRmT1_PNSt15iterator_traitsISZ_E10value_typeET2_T3_PNS10_IS15_E10value_typeET4_jRbjT5_S1B_jjP12ihipStream_tbEUljE_ZNSN_ISO_Lb0ESQ_SR_SQ_SR_SV_EESW_SX_SY_SZ_S13_S14_S15_S18_S19_jS1A_jS1B_S1B_jjS1D_bEUljE0_EEESW_SX_SY_S15_S19_S1B_T6_T7_T9_mT8_S1D_bDpT10_ENKUlT_T0_E_clISt17integral_constantIbLb1EES1R_EEDaS1M_S1N_EUlS1M_E_NS1_11comp_targetILNS1_3genE10ELNS1_11target_archE1200ELNS1_3gpuE4ELNS1_3repE0EEENS1_30default_config_static_selectorELNS0_4arch9wavefront6targetE1EEEvSZ_
	.p2align	8
	.type	_ZN7rocprim17ROCPRIM_400000_NS6detail17trampoline_kernelINS0_13select_configILj256ELj13ELNS0_17block_load_methodE3ELS4_3ELS4_3ELNS0_20block_scan_algorithmE0ELj4294967295EEENS1_25partition_config_selectorILNS1_17partition_subalgoE4EjNS0_10empty_typeEbEEZZNS1_14partition_implILS8_4ELb0ES6_15HIP_vector_typeIjLj2EENS0_17counting_iteratorIjlEEPS9_SG_NS0_5tupleIJPjSI_NS0_16reverse_iteratorISI_EEEEENSH_IJSG_SG_SG_EEES9_SI_JZNS1_25segmented_radix_sort_implINS0_14default_configELb0EPKlPlSQ_SR_N2at6native12_GLOBAL__N_18offset_tEEE10hipError_tPvRmT1_PNSt15iterator_traitsISZ_E10value_typeET2_T3_PNS10_IS15_E10value_typeET4_jRbjT5_S1B_jjP12ihipStream_tbEUljE_ZNSN_ISO_Lb0ESQ_SR_SQ_SR_SV_EESW_SX_SY_SZ_S13_S14_S15_S18_S19_jS1A_jS1B_S1B_jjS1D_bEUljE0_EEESW_SX_SY_S15_S19_S1B_T6_T7_T9_mT8_S1D_bDpT10_ENKUlT_T0_E_clISt17integral_constantIbLb1EES1R_EEDaS1M_S1N_EUlS1M_E_NS1_11comp_targetILNS1_3genE10ELNS1_11target_archE1200ELNS1_3gpuE4ELNS1_3repE0EEENS1_30default_config_static_selectorELNS0_4arch9wavefront6targetE1EEEvSZ_,@function
_ZN7rocprim17ROCPRIM_400000_NS6detail17trampoline_kernelINS0_13select_configILj256ELj13ELNS0_17block_load_methodE3ELS4_3ELS4_3ELNS0_20block_scan_algorithmE0ELj4294967295EEENS1_25partition_config_selectorILNS1_17partition_subalgoE4EjNS0_10empty_typeEbEEZZNS1_14partition_implILS8_4ELb0ES6_15HIP_vector_typeIjLj2EENS0_17counting_iteratorIjlEEPS9_SG_NS0_5tupleIJPjSI_NS0_16reverse_iteratorISI_EEEEENSH_IJSG_SG_SG_EEES9_SI_JZNS1_25segmented_radix_sort_implINS0_14default_configELb0EPKlPlSQ_SR_N2at6native12_GLOBAL__N_18offset_tEEE10hipError_tPvRmT1_PNSt15iterator_traitsISZ_E10value_typeET2_T3_PNS10_IS15_E10value_typeET4_jRbjT5_S1B_jjP12ihipStream_tbEUljE_ZNSN_ISO_Lb0ESQ_SR_SQ_SR_SV_EESW_SX_SY_SZ_S13_S14_S15_S18_S19_jS1A_jS1B_S1B_jjS1D_bEUljE0_EEESW_SX_SY_S15_S19_S1B_T6_T7_T9_mT8_S1D_bDpT10_ENKUlT_T0_E_clISt17integral_constantIbLb1EES1R_EEDaS1M_S1N_EUlS1M_E_NS1_11comp_targetILNS1_3genE10ELNS1_11target_archE1200ELNS1_3gpuE4ELNS1_3repE0EEENS1_30default_config_static_selectorELNS0_4arch9wavefront6targetE1EEEvSZ_: ; @_ZN7rocprim17ROCPRIM_400000_NS6detail17trampoline_kernelINS0_13select_configILj256ELj13ELNS0_17block_load_methodE3ELS4_3ELS4_3ELNS0_20block_scan_algorithmE0ELj4294967295EEENS1_25partition_config_selectorILNS1_17partition_subalgoE4EjNS0_10empty_typeEbEEZZNS1_14partition_implILS8_4ELb0ES6_15HIP_vector_typeIjLj2EENS0_17counting_iteratorIjlEEPS9_SG_NS0_5tupleIJPjSI_NS0_16reverse_iteratorISI_EEEEENSH_IJSG_SG_SG_EEES9_SI_JZNS1_25segmented_radix_sort_implINS0_14default_configELb0EPKlPlSQ_SR_N2at6native12_GLOBAL__N_18offset_tEEE10hipError_tPvRmT1_PNSt15iterator_traitsISZ_E10value_typeET2_T3_PNS10_IS15_E10value_typeET4_jRbjT5_S1B_jjP12ihipStream_tbEUljE_ZNSN_ISO_Lb0ESQ_SR_SQ_SR_SV_EESW_SX_SY_SZ_S13_S14_S15_S18_S19_jS1A_jS1B_S1B_jjS1D_bEUljE0_EEESW_SX_SY_S15_S19_S1B_T6_T7_T9_mT8_S1D_bDpT10_ENKUlT_T0_E_clISt17integral_constantIbLb1EES1R_EEDaS1M_S1N_EUlS1M_E_NS1_11comp_targetILNS1_3genE10ELNS1_11target_archE1200ELNS1_3gpuE4ELNS1_3repE0EEENS1_30default_config_static_selectorELNS0_4arch9wavefront6targetE1EEEvSZ_
; %bb.0:
	.section	.rodata,"a",@progbits
	.p2align	6, 0x0
	.amdhsa_kernel _ZN7rocprim17ROCPRIM_400000_NS6detail17trampoline_kernelINS0_13select_configILj256ELj13ELNS0_17block_load_methodE3ELS4_3ELS4_3ELNS0_20block_scan_algorithmE0ELj4294967295EEENS1_25partition_config_selectorILNS1_17partition_subalgoE4EjNS0_10empty_typeEbEEZZNS1_14partition_implILS8_4ELb0ES6_15HIP_vector_typeIjLj2EENS0_17counting_iteratorIjlEEPS9_SG_NS0_5tupleIJPjSI_NS0_16reverse_iteratorISI_EEEEENSH_IJSG_SG_SG_EEES9_SI_JZNS1_25segmented_radix_sort_implINS0_14default_configELb0EPKlPlSQ_SR_N2at6native12_GLOBAL__N_18offset_tEEE10hipError_tPvRmT1_PNSt15iterator_traitsISZ_E10value_typeET2_T3_PNS10_IS15_E10value_typeET4_jRbjT5_S1B_jjP12ihipStream_tbEUljE_ZNSN_ISO_Lb0ESQ_SR_SQ_SR_SV_EESW_SX_SY_SZ_S13_S14_S15_S18_S19_jS1A_jS1B_S1B_jjS1D_bEUljE0_EEESW_SX_SY_S15_S19_S1B_T6_T7_T9_mT8_S1D_bDpT10_ENKUlT_T0_E_clISt17integral_constantIbLb1EES1R_EEDaS1M_S1N_EUlS1M_E_NS1_11comp_targetILNS1_3genE10ELNS1_11target_archE1200ELNS1_3gpuE4ELNS1_3repE0EEENS1_30default_config_static_selectorELNS0_4arch9wavefront6targetE1EEEvSZ_
		.amdhsa_group_segment_fixed_size 0
		.amdhsa_private_segment_fixed_size 0
		.amdhsa_kernarg_size 184
		.amdhsa_user_sgpr_count 6
		.amdhsa_user_sgpr_private_segment_buffer 1
		.amdhsa_user_sgpr_dispatch_ptr 0
		.amdhsa_user_sgpr_queue_ptr 0
		.amdhsa_user_sgpr_kernarg_segment_ptr 1
		.amdhsa_user_sgpr_dispatch_id 0
		.amdhsa_user_sgpr_flat_scratch_init 0
		.amdhsa_user_sgpr_kernarg_preload_length 0
		.amdhsa_user_sgpr_kernarg_preload_offset 0
		.amdhsa_user_sgpr_private_segment_size 0
		.amdhsa_uses_dynamic_stack 0
		.amdhsa_system_sgpr_private_segment_wavefront_offset 0
		.amdhsa_system_sgpr_workgroup_id_x 1
		.amdhsa_system_sgpr_workgroup_id_y 0
		.amdhsa_system_sgpr_workgroup_id_z 0
		.amdhsa_system_sgpr_workgroup_info 0
		.amdhsa_system_vgpr_workitem_id 0
		.amdhsa_next_free_vgpr 1
		.amdhsa_next_free_sgpr 0
		.amdhsa_accum_offset 4
		.amdhsa_reserve_vcc 0
		.amdhsa_reserve_flat_scratch 0
		.amdhsa_float_round_mode_32 0
		.amdhsa_float_round_mode_16_64 0
		.amdhsa_float_denorm_mode_32 3
		.amdhsa_float_denorm_mode_16_64 3
		.amdhsa_dx10_clamp 1
		.amdhsa_ieee_mode 1
		.amdhsa_fp16_overflow 0
		.amdhsa_tg_split 0
		.amdhsa_exception_fp_ieee_invalid_op 0
		.amdhsa_exception_fp_denorm_src 0
		.amdhsa_exception_fp_ieee_div_zero 0
		.amdhsa_exception_fp_ieee_overflow 0
		.amdhsa_exception_fp_ieee_underflow 0
		.amdhsa_exception_fp_ieee_inexact 0
		.amdhsa_exception_int_div_zero 0
	.end_amdhsa_kernel
	.section	.text._ZN7rocprim17ROCPRIM_400000_NS6detail17trampoline_kernelINS0_13select_configILj256ELj13ELNS0_17block_load_methodE3ELS4_3ELS4_3ELNS0_20block_scan_algorithmE0ELj4294967295EEENS1_25partition_config_selectorILNS1_17partition_subalgoE4EjNS0_10empty_typeEbEEZZNS1_14partition_implILS8_4ELb0ES6_15HIP_vector_typeIjLj2EENS0_17counting_iteratorIjlEEPS9_SG_NS0_5tupleIJPjSI_NS0_16reverse_iteratorISI_EEEEENSH_IJSG_SG_SG_EEES9_SI_JZNS1_25segmented_radix_sort_implINS0_14default_configELb0EPKlPlSQ_SR_N2at6native12_GLOBAL__N_18offset_tEEE10hipError_tPvRmT1_PNSt15iterator_traitsISZ_E10value_typeET2_T3_PNS10_IS15_E10value_typeET4_jRbjT5_S1B_jjP12ihipStream_tbEUljE_ZNSN_ISO_Lb0ESQ_SR_SQ_SR_SV_EESW_SX_SY_SZ_S13_S14_S15_S18_S19_jS1A_jS1B_S1B_jjS1D_bEUljE0_EEESW_SX_SY_S15_S19_S1B_T6_T7_T9_mT8_S1D_bDpT10_ENKUlT_T0_E_clISt17integral_constantIbLb1EES1R_EEDaS1M_S1N_EUlS1M_E_NS1_11comp_targetILNS1_3genE10ELNS1_11target_archE1200ELNS1_3gpuE4ELNS1_3repE0EEENS1_30default_config_static_selectorELNS0_4arch9wavefront6targetE1EEEvSZ_,"axG",@progbits,_ZN7rocprim17ROCPRIM_400000_NS6detail17trampoline_kernelINS0_13select_configILj256ELj13ELNS0_17block_load_methodE3ELS4_3ELS4_3ELNS0_20block_scan_algorithmE0ELj4294967295EEENS1_25partition_config_selectorILNS1_17partition_subalgoE4EjNS0_10empty_typeEbEEZZNS1_14partition_implILS8_4ELb0ES6_15HIP_vector_typeIjLj2EENS0_17counting_iteratorIjlEEPS9_SG_NS0_5tupleIJPjSI_NS0_16reverse_iteratorISI_EEEEENSH_IJSG_SG_SG_EEES9_SI_JZNS1_25segmented_radix_sort_implINS0_14default_configELb0EPKlPlSQ_SR_N2at6native12_GLOBAL__N_18offset_tEEE10hipError_tPvRmT1_PNSt15iterator_traitsISZ_E10value_typeET2_T3_PNS10_IS15_E10value_typeET4_jRbjT5_S1B_jjP12ihipStream_tbEUljE_ZNSN_ISO_Lb0ESQ_SR_SQ_SR_SV_EESW_SX_SY_SZ_S13_S14_S15_S18_S19_jS1A_jS1B_S1B_jjS1D_bEUljE0_EEESW_SX_SY_S15_S19_S1B_T6_T7_T9_mT8_S1D_bDpT10_ENKUlT_T0_E_clISt17integral_constantIbLb1EES1R_EEDaS1M_S1N_EUlS1M_E_NS1_11comp_targetILNS1_3genE10ELNS1_11target_archE1200ELNS1_3gpuE4ELNS1_3repE0EEENS1_30default_config_static_selectorELNS0_4arch9wavefront6targetE1EEEvSZ_,comdat
.Lfunc_end756:
	.size	_ZN7rocprim17ROCPRIM_400000_NS6detail17trampoline_kernelINS0_13select_configILj256ELj13ELNS0_17block_load_methodE3ELS4_3ELS4_3ELNS0_20block_scan_algorithmE0ELj4294967295EEENS1_25partition_config_selectorILNS1_17partition_subalgoE4EjNS0_10empty_typeEbEEZZNS1_14partition_implILS8_4ELb0ES6_15HIP_vector_typeIjLj2EENS0_17counting_iteratorIjlEEPS9_SG_NS0_5tupleIJPjSI_NS0_16reverse_iteratorISI_EEEEENSH_IJSG_SG_SG_EEES9_SI_JZNS1_25segmented_radix_sort_implINS0_14default_configELb0EPKlPlSQ_SR_N2at6native12_GLOBAL__N_18offset_tEEE10hipError_tPvRmT1_PNSt15iterator_traitsISZ_E10value_typeET2_T3_PNS10_IS15_E10value_typeET4_jRbjT5_S1B_jjP12ihipStream_tbEUljE_ZNSN_ISO_Lb0ESQ_SR_SQ_SR_SV_EESW_SX_SY_SZ_S13_S14_S15_S18_S19_jS1A_jS1B_S1B_jjS1D_bEUljE0_EEESW_SX_SY_S15_S19_S1B_T6_T7_T9_mT8_S1D_bDpT10_ENKUlT_T0_E_clISt17integral_constantIbLb1EES1R_EEDaS1M_S1N_EUlS1M_E_NS1_11comp_targetILNS1_3genE10ELNS1_11target_archE1200ELNS1_3gpuE4ELNS1_3repE0EEENS1_30default_config_static_selectorELNS0_4arch9wavefront6targetE1EEEvSZ_, .Lfunc_end756-_ZN7rocprim17ROCPRIM_400000_NS6detail17trampoline_kernelINS0_13select_configILj256ELj13ELNS0_17block_load_methodE3ELS4_3ELS4_3ELNS0_20block_scan_algorithmE0ELj4294967295EEENS1_25partition_config_selectorILNS1_17partition_subalgoE4EjNS0_10empty_typeEbEEZZNS1_14partition_implILS8_4ELb0ES6_15HIP_vector_typeIjLj2EENS0_17counting_iteratorIjlEEPS9_SG_NS0_5tupleIJPjSI_NS0_16reverse_iteratorISI_EEEEENSH_IJSG_SG_SG_EEES9_SI_JZNS1_25segmented_radix_sort_implINS0_14default_configELb0EPKlPlSQ_SR_N2at6native12_GLOBAL__N_18offset_tEEE10hipError_tPvRmT1_PNSt15iterator_traitsISZ_E10value_typeET2_T3_PNS10_IS15_E10value_typeET4_jRbjT5_S1B_jjP12ihipStream_tbEUljE_ZNSN_ISO_Lb0ESQ_SR_SQ_SR_SV_EESW_SX_SY_SZ_S13_S14_S15_S18_S19_jS1A_jS1B_S1B_jjS1D_bEUljE0_EEESW_SX_SY_S15_S19_S1B_T6_T7_T9_mT8_S1D_bDpT10_ENKUlT_T0_E_clISt17integral_constantIbLb1EES1R_EEDaS1M_S1N_EUlS1M_E_NS1_11comp_targetILNS1_3genE10ELNS1_11target_archE1200ELNS1_3gpuE4ELNS1_3repE0EEENS1_30default_config_static_selectorELNS0_4arch9wavefront6targetE1EEEvSZ_
                                        ; -- End function
	.section	.AMDGPU.csdata,"",@progbits
; Kernel info:
; codeLenInByte = 0
; NumSgprs: 4
; NumVgprs: 0
; NumAgprs: 0
; TotalNumVgprs: 0
; ScratchSize: 0
; MemoryBound: 0
; FloatMode: 240
; IeeeMode: 1
; LDSByteSize: 0 bytes/workgroup (compile time only)
; SGPRBlocks: 0
; VGPRBlocks: 0
; NumSGPRsForWavesPerEU: 4
; NumVGPRsForWavesPerEU: 1
; AccumOffset: 4
; Occupancy: 8
; WaveLimiterHint : 0
; COMPUTE_PGM_RSRC2:SCRATCH_EN: 0
; COMPUTE_PGM_RSRC2:USER_SGPR: 6
; COMPUTE_PGM_RSRC2:TRAP_HANDLER: 0
; COMPUTE_PGM_RSRC2:TGID_X_EN: 1
; COMPUTE_PGM_RSRC2:TGID_Y_EN: 0
; COMPUTE_PGM_RSRC2:TGID_Z_EN: 0
; COMPUTE_PGM_RSRC2:TIDIG_COMP_CNT: 0
; COMPUTE_PGM_RSRC3_GFX90A:ACCUM_OFFSET: 0
; COMPUTE_PGM_RSRC3_GFX90A:TG_SPLIT: 0
	.section	.text._ZN7rocprim17ROCPRIM_400000_NS6detail17trampoline_kernelINS0_13select_configILj256ELj13ELNS0_17block_load_methodE3ELS4_3ELS4_3ELNS0_20block_scan_algorithmE0ELj4294967295EEENS1_25partition_config_selectorILNS1_17partition_subalgoE4EjNS0_10empty_typeEbEEZZNS1_14partition_implILS8_4ELb0ES6_15HIP_vector_typeIjLj2EENS0_17counting_iteratorIjlEEPS9_SG_NS0_5tupleIJPjSI_NS0_16reverse_iteratorISI_EEEEENSH_IJSG_SG_SG_EEES9_SI_JZNS1_25segmented_radix_sort_implINS0_14default_configELb0EPKlPlSQ_SR_N2at6native12_GLOBAL__N_18offset_tEEE10hipError_tPvRmT1_PNSt15iterator_traitsISZ_E10value_typeET2_T3_PNS10_IS15_E10value_typeET4_jRbjT5_S1B_jjP12ihipStream_tbEUljE_ZNSN_ISO_Lb0ESQ_SR_SQ_SR_SV_EESW_SX_SY_SZ_S13_S14_S15_S18_S19_jS1A_jS1B_S1B_jjS1D_bEUljE0_EEESW_SX_SY_S15_S19_S1B_T6_T7_T9_mT8_S1D_bDpT10_ENKUlT_T0_E_clISt17integral_constantIbLb1EES1R_EEDaS1M_S1N_EUlS1M_E_NS1_11comp_targetILNS1_3genE9ELNS1_11target_archE1100ELNS1_3gpuE3ELNS1_3repE0EEENS1_30default_config_static_selectorELNS0_4arch9wavefront6targetE1EEEvSZ_,"axG",@progbits,_ZN7rocprim17ROCPRIM_400000_NS6detail17trampoline_kernelINS0_13select_configILj256ELj13ELNS0_17block_load_methodE3ELS4_3ELS4_3ELNS0_20block_scan_algorithmE0ELj4294967295EEENS1_25partition_config_selectorILNS1_17partition_subalgoE4EjNS0_10empty_typeEbEEZZNS1_14partition_implILS8_4ELb0ES6_15HIP_vector_typeIjLj2EENS0_17counting_iteratorIjlEEPS9_SG_NS0_5tupleIJPjSI_NS0_16reverse_iteratorISI_EEEEENSH_IJSG_SG_SG_EEES9_SI_JZNS1_25segmented_radix_sort_implINS0_14default_configELb0EPKlPlSQ_SR_N2at6native12_GLOBAL__N_18offset_tEEE10hipError_tPvRmT1_PNSt15iterator_traitsISZ_E10value_typeET2_T3_PNS10_IS15_E10value_typeET4_jRbjT5_S1B_jjP12ihipStream_tbEUljE_ZNSN_ISO_Lb0ESQ_SR_SQ_SR_SV_EESW_SX_SY_SZ_S13_S14_S15_S18_S19_jS1A_jS1B_S1B_jjS1D_bEUljE0_EEESW_SX_SY_S15_S19_S1B_T6_T7_T9_mT8_S1D_bDpT10_ENKUlT_T0_E_clISt17integral_constantIbLb1EES1R_EEDaS1M_S1N_EUlS1M_E_NS1_11comp_targetILNS1_3genE9ELNS1_11target_archE1100ELNS1_3gpuE3ELNS1_3repE0EEENS1_30default_config_static_selectorELNS0_4arch9wavefront6targetE1EEEvSZ_,comdat
	.globl	_ZN7rocprim17ROCPRIM_400000_NS6detail17trampoline_kernelINS0_13select_configILj256ELj13ELNS0_17block_load_methodE3ELS4_3ELS4_3ELNS0_20block_scan_algorithmE0ELj4294967295EEENS1_25partition_config_selectorILNS1_17partition_subalgoE4EjNS0_10empty_typeEbEEZZNS1_14partition_implILS8_4ELb0ES6_15HIP_vector_typeIjLj2EENS0_17counting_iteratorIjlEEPS9_SG_NS0_5tupleIJPjSI_NS0_16reverse_iteratorISI_EEEEENSH_IJSG_SG_SG_EEES9_SI_JZNS1_25segmented_radix_sort_implINS0_14default_configELb0EPKlPlSQ_SR_N2at6native12_GLOBAL__N_18offset_tEEE10hipError_tPvRmT1_PNSt15iterator_traitsISZ_E10value_typeET2_T3_PNS10_IS15_E10value_typeET4_jRbjT5_S1B_jjP12ihipStream_tbEUljE_ZNSN_ISO_Lb0ESQ_SR_SQ_SR_SV_EESW_SX_SY_SZ_S13_S14_S15_S18_S19_jS1A_jS1B_S1B_jjS1D_bEUljE0_EEESW_SX_SY_S15_S19_S1B_T6_T7_T9_mT8_S1D_bDpT10_ENKUlT_T0_E_clISt17integral_constantIbLb1EES1R_EEDaS1M_S1N_EUlS1M_E_NS1_11comp_targetILNS1_3genE9ELNS1_11target_archE1100ELNS1_3gpuE3ELNS1_3repE0EEENS1_30default_config_static_selectorELNS0_4arch9wavefront6targetE1EEEvSZ_ ; -- Begin function _ZN7rocprim17ROCPRIM_400000_NS6detail17trampoline_kernelINS0_13select_configILj256ELj13ELNS0_17block_load_methodE3ELS4_3ELS4_3ELNS0_20block_scan_algorithmE0ELj4294967295EEENS1_25partition_config_selectorILNS1_17partition_subalgoE4EjNS0_10empty_typeEbEEZZNS1_14partition_implILS8_4ELb0ES6_15HIP_vector_typeIjLj2EENS0_17counting_iteratorIjlEEPS9_SG_NS0_5tupleIJPjSI_NS0_16reverse_iteratorISI_EEEEENSH_IJSG_SG_SG_EEES9_SI_JZNS1_25segmented_radix_sort_implINS0_14default_configELb0EPKlPlSQ_SR_N2at6native12_GLOBAL__N_18offset_tEEE10hipError_tPvRmT1_PNSt15iterator_traitsISZ_E10value_typeET2_T3_PNS10_IS15_E10value_typeET4_jRbjT5_S1B_jjP12ihipStream_tbEUljE_ZNSN_ISO_Lb0ESQ_SR_SQ_SR_SV_EESW_SX_SY_SZ_S13_S14_S15_S18_S19_jS1A_jS1B_S1B_jjS1D_bEUljE0_EEESW_SX_SY_S15_S19_S1B_T6_T7_T9_mT8_S1D_bDpT10_ENKUlT_T0_E_clISt17integral_constantIbLb1EES1R_EEDaS1M_S1N_EUlS1M_E_NS1_11comp_targetILNS1_3genE9ELNS1_11target_archE1100ELNS1_3gpuE3ELNS1_3repE0EEENS1_30default_config_static_selectorELNS0_4arch9wavefront6targetE1EEEvSZ_
	.p2align	8
	.type	_ZN7rocprim17ROCPRIM_400000_NS6detail17trampoline_kernelINS0_13select_configILj256ELj13ELNS0_17block_load_methodE3ELS4_3ELS4_3ELNS0_20block_scan_algorithmE0ELj4294967295EEENS1_25partition_config_selectorILNS1_17partition_subalgoE4EjNS0_10empty_typeEbEEZZNS1_14partition_implILS8_4ELb0ES6_15HIP_vector_typeIjLj2EENS0_17counting_iteratorIjlEEPS9_SG_NS0_5tupleIJPjSI_NS0_16reverse_iteratorISI_EEEEENSH_IJSG_SG_SG_EEES9_SI_JZNS1_25segmented_radix_sort_implINS0_14default_configELb0EPKlPlSQ_SR_N2at6native12_GLOBAL__N_18offset_tEEE10hipError_tPvRmT1_PNSt15iterator_traitsISZ_E10value_typeET2_T3_PNS10_IS15_E10value_typeET4_jRbjT5_S1B_jjP12ihipStream_tbEUljE_ZNSN_ISO_Lb0ESQ_SR_SQ_SR_SV_EESW_SX_SY_SZ_S13_S14_S15_S18_S19_jS1A_jS1B_S1B_jjS1D_bEUljE0_EEESW_SX_SY_S15_S19_S1B_T6_T7_T9_mT8_S1D_bDpT10_ENKUlT_T0_E_clISt17integral_constantIbLb1EES1R_EEDaS1M_S1N_EUlS1M_E_NS1_11comp_targetILNS1_3genE9ELNS1_11target_archE1100ELNS1_3gpuE3ELNS1_3repE0EEENS1_30default_config_static_selectorELNS0_4arch9wavefront6targetE1EEEvSZ_,@function
_ZN7rocprim17ROCPRIM_400000_NS6detail17trampoline_kernelINS0_13select_configILj256ELj13ELNS0_17block_load_methodE3ELS4_3ELS4_3ELNS0_20block_scan_algorithmE0ELj4294967295EEENS1_25partition_config_selectorILNS1_17partition_subalgoE4EjNS0_10empty_typeEbEEZZNS1_14partition_implILS8_4ELb0ES6_15HIP_vector_typeIjLj2EENS0_17counting_iteratorIjlEEPS9_SG_NS0_5tupleIJPjSI_NS0_16reverse_iteratorISI_EEEEENSH_IJSG_SG_SG_EEES9_SI_JZNS1_25segmented_radix_sort_implINS0_14default_configELb0EPKlPlSQ_SR_N2at6native12_GLOBAL__N_18offset_tEEE10hipError_tPvRmT1_PNSt15iterator_traitsISZ_E10value_typeET2_T3_PNS10_IS15_E10value_typeET4_jRbjT5_S1B_jjP12ihipStream_tbEUljE_ZNSN_ISO_Lb0ESQ_SR_SQ_SR_SV_EESW_SX_SY_SZ_S13_S14_S15_S18_S19_jS1A_jS1B_S1B_jjS1D_bEUljE0_EEESW_SX_SY_S15_S19_S1B_T6_T7_T9_mT8_S1D_bDpT10_ENKUlT_T0_E_clISt17integral_constantIbLb1EES1R_EEDaS1M_S1N_EUlS1M_E_NS1_11comp_targetILNS1_3genE9ELNS1_11target_archE1100ELNS1_3gpuE3ELNS1_3repE0EEENS1_30default_config_static_selectorELNS0_4arch9wavefront6targetE1EEEvSZ_: ; @_ZN7rocprim17ROCPRIM_400000_NS6detail17trampoline_kernelINS0_13select_configILj256ELj13ELNS0_17block_load_methodE3ELS4_3ELS4_3ELNS0_20block_scan_algorithmE0ELj4294967295EEENS1_25partition_config_selectorILNS1_17partition_subalgoE4EjNS0_10empty_typeEbEEZZNS1_14partition_implILS8_4ELb0ES6_15HIP_vector_typeIjLj2EENS0_17counting_iteratorIjlEEPS9_SG_NS0_5tupleIJPjSI_NS0_16reverse_iteratorISI_EEEEENSH_IJSG_SG_SG_EEES9_SI_JZNS1_25segmented_radix_sort_implINS0_14default_configELb0EPKlPlSQ_SR_N2at6native12_GLOBAL__N_18offset_tEEE10hipError_tPvRmT1_PNSt15iterator_traitsISZ_E10value_typeET2_T3_PNS10_IS15_E10value_typeET4_jRbjT5_S1B_jjP12ihipStream_tbEUljE_ZNSN_ISO_Lb0ESQ_SR_SQ_SR_SV_EESW_SX_SY_SZ_S13_S14_S15_S18_S19_jS1A_jS1B_S1B_jjS1D_bEUljE0_EEESW_SX_SY_S15_S19_S1B_T6_T7_T9_mT8_S1D_bDpT10_ENKUlT_T0_E_clISt17integral_constantIbLb1EES1R_EEDaS1M_S1N_EUlS1M_E_NS1_11comp_targetILNS1_3genE9ELNS1_11target_archE1100ELNS1_3gpuE3ELNS1_3repE0EEENS1_30default_config_static_selectorELNS0_4arch9wavefront6targetE1EEEvSZ_
; %bb.0:
	.section	.rodata,"a",@progbits
	.p2align	6, 0x0
	.amdhsa_kernel _ZN7rocprim17ROCPRIM_400000_NS6detail17trampoline_kernelINS0_13select_configILj256ELj13ELNS0_17block_load_methodE3ELS4_3ELS4_3ELNS0_20block_scan_algorithmE0ELj4294967295EEENS1_25partition_config_selectorILNS1_17partition_subalgoE4EjNS0_10empty_typeEbEEZZNS1_14partition_implILS8_4ELb0ES6_15HIP_vector_typeIjLj2EENS0_17counting_iteratorIjlEEPS9_SG_NS0_5tupleIJPjSI_NS0_16reverse_iteratorISI_EEEEENSH_IJSG_SG_SG_EEES9_SI_JZNS1_25segmented_radix_sort_implINS0_14default_configELb0EPKlPlSQ_SR_N2at6native12_GLOBAL__N_18offset_tEEE10hipError_tPvRmT1_PNSt15iterator_traitsISZ_E10value_typeET2_T3_PNS10_IS15_E10value_typeET4_jRbjT5_S1B_jjP12ihipStream_tbEUljE_ZNSN_ISO_Lb0ESQ_SR_SQ_SR_SV_EESW_SX_SY_SZ_S13_S14_S15_S18_S19_jS1A_jS1B_S1B_jjS1D_bEUljE0_EEESW_SX_SY_S15_S19_S1B_T6_T7_T9_mT8_S1D_bDpT10_ENKUlT_T0_E_clISt17integral_constantIbLb1EES1R_EEDaS1M_S1N_EUlS1M_E_NS1_11comp_targetILNS1_3genE9ELNS1_11target_archE1100ELNS1_3gpuE3ELNS1_3repE0EEENS1_30default_config_static_selectorELNS0_4arch9wavefront6targetE1EEEvSZ_
		.amdhsa_group_segment_fixed_size 0
		.amdhsa_private_segment_fixed_size 0
		.amdhsa_kernarg_size 184
		.amdhsa_user_sgpr_count 6
		.amdhsa_user_sgpr_private_segment_buffer 1
		.amdhsa_user_sgpr_dispatch_ptr 0
		.amdhsa_user_sgpr_queue_ptr 0
		.amdhsa_user_sgpr_kernarg_segment_ptr 1
		.amdhsa_user_sgpr_dispatch_id 0
		.amdhsa_user_sgpr_flat_scratch_init 0
		.amdhsa_user_sgpr_kernarg_preload_length 0
		.amdhsa_user_sgpr_kernarg_preload_offset 0
		.amdhsa_user_sgpr_private_segment_size 0
		.amdhsa_uses_dynamic_stack 0
		.amdhsa_system_sgpr_private_segment_wavefront_offset 0
		.amdhsa_system_sgpr_workgroup_id_x 1
		.amdhsa_system_sgpr_workgroup_id_y 0
		.amdhsa_system_sgpr_workgroup_id_z 0
		.amdhsa_system_sgpr_workgroup_info 0
		.amdhsa_system_vgpr_workitem_id 0
		.amdhsa_next_free_vgpr 1
		.amdhsa_next_free_sgpr 0
		.amdhsa_accum_offset 4
		.amdhsa_reserve_vcc 0
		.amdhsa_reserve_flat_scratch 0
		.amdhsa_float_round_mode_32 0
		.amdhsa_float_round_mode_16_64 0
		.amdhsa_float_denorm_mode_32 3
		.amdhsa_float_denorm_mode_16_64 3
		.amdhsa_dx10_clamp 1
		.amdhsa_ieee_mode 1
		.amdhsa_fp16_overflow 0
		.amdhsa_tg_split 0
		.amdhsa_exception_fp_ieee_invalid_op 0
		.amdhsa_exception_fp_denorm_src 0
		.amdhsa_exception_fp_ieee_div_zero 0
		.amdhsa_exception_fp_ieee_overflow 0
		.amdhsa_exception_fp_ieee_underflow 0
		.amdhsa_exception_fp_ieee_inexact 0
		.amdhsa_exception_int_div_zero 0
	.end_amdhsa_kernel
	.section	.text._ZN7rocprim17ROCPRIM_400000_NS6detail17trampoline_kernelINS0_13select_configILj256ELj13ELNS0_17block_load_methodE3ELS4_3ELS4_3ELNS0_20block_scan_algorithmE0ELj4294967295EEENS1_25partition_config_selectorILNS1_17partition_subalgoE4EjNS0_10empty_typeEbEEZZNS1_14partition_implILS8_4ELb0ES6_15HIP_vector_typeIjLj2EENS0_17counting_iteratorIjlEEPS9_SG_NS0_5tupleIJPjSI_NS0_16reverse_iteratorISI_EEEEENSH_IJSG_SG_SG_EEES9_SI_JZNS1_25segmented_radix_sort_implINS0_14default_configELb0EPKlPlSQ_SR_N2at6native12_GLOBAL__N_18offset_tEEE10hipError_tPvRmT1_PNSt15iterator_traitsISZ_E10value_typeET2_T3_PNS10_IS15_E10value_typeET4_jRbjT5_S1B_jjP12ihipStream_tbEUljE_ZNSN_ISO_Lb0ESQ_SR_SQ_SR_SV_EESW_SX_SY_SZ_S13_S14_S15_S18_S19_jS1A_jS1B_S1B_jjS1D_bEUljE0_EEESW_SX_SY_S15_S19_S1B_T6_T7_T9_mT8_S1D_bDpT10_ENKUlT_T0_E_clISt17integral_constantIbLb1EES1R_EEDaS1M_S1N_EUlS1M_E_NS1_11comp_targetILNS1_3genE9ELNS1_11target_archE1100ELNS1_3gpuE3ELNS1_3repE0EEENS1_30default_config_static_selectorELNS0_4arch9wavefront6targetE1EEEvSZ_,"axG",@progbits,_ZN7rocprim17ROCPRIM_400000_NS6detail17trampoline_kernelINS0_13select_configILj256ELj13ELNS0_17block_load_methodE3ELS4_3ELS4_3ELNS0_20block_scan_algorithmE0ELj4294967295EEENS1_25partition_config_selectorILNS1_17partition_subalgoE4EjNS0_10empty_typeEbEEZZNS1_14partition_implILS8_4ELb0ES6_15HIP_vector_typeIjLj2EENS0_17counting_iteratorIjlEEPS9_SG_NS0_5tupleIJPjSI_NS0_16reverse_iteratorISI_EEEEENSH_IJSG_SG_SG_EEES9_SI_JZNS1_25segmented_radix_sort_implINS0_14default_configELb0EPKlPlSQ_SR_N2at6native12_GLOBAL__N_18offset_tEEE10hipError_tPvRmT1_PNSt15iterator_traitsISZ_E10value_typeET2_T3_PNS10_IS15_E10value_typeET4_jRbjT5_S1B_jjP12ihipStream_tbEUljE_ZNSN_ISO_Lb0ESQ_SR_SQ_SR_SV_EESW_SX_SY_SZ_S13_S14_S15_S18_S19_jS1A_jS1B_S1B_jjS1D_bEUljE0_EEESW_SX_SY_S15_S19_S1B_T6_T7_T9_mT8_S1D_bDpT10_ENKUlT_T0_E_clISt17integral_constantIbLb1EES1R_EEDaS1M_S1N_EUlS1M_E_NS1_11comp_targetILNS1_3genE9ELNS1_11target_archE1100ELNS1_3gpuE3ELNS1_3repE0EEENS1_30default_config_static_selectorELNS0_4arch9wavefront6targetE1EEEvSZ_,comdat
.Lfunc_end757:
	.size	_ZN7rocprim17ROCPRIM_400000_NS6detail17trampoline_kernelINS0_13select_configILj256ELj13ELNS0_17block_load_methodE3ELS4_3ELS4_3ELNS0_20block_scan_algorithmE0ELj4294967295EEENS1_25partition_config_selectorILNS1_17partition_subalgoE4EjNS0_10empty_typeEbEEZZNS1_14partition_implILS8_4ELb0ES6_15HIP_vector_typeIjLj2EENS0_17counting_iteratorIjlEEPS9_SG_NS0_5tupleIJPjSI_NS0_16reverse_iteratorISI_EEEEENSH_IJSG_SG_SG_EEES9_SI_JZNS1_25segmented_radix_sort_implINS0_14default_configELb0EPKlPlSQ_SR_N2at6native12_GLOBAL__N_18offset_tEEE10hipError_tPvRmT1_PNSt15iterator_traitsISZ_E10value_typeET2_T3_PNS10_IS15_E10value_typeET4_jRbjT5_S1B_jjP12ihipStream_tbEUljE_ZNSN_ISO_Lb0ESQ_SR_SQ_SR_SV_EESW_SX_SY_SZ_S13_S14_S15_S18_S19_jS1A_jS1B_S1B_jjS1D_bEUljE0_EEESW_SX_SY_S15_S19_S1B_T6_T7_T9_mT8_S1D_bDpT10_ENKUlT_T0_E_clISt17integral_constantIbLb1EES1R_EEDaS1M_S1N_EUlS1M_E_NS1_11comp_targetILNS1_3genE9ELNS1_11target_archE1100ELNS1_3gpuE3ELNS1_3repE0EEENS1_30default_config_static_selectorELNS0_4arch9wavefront6targetE1EEEvSZ_, .Lfunc_end757-_ZN7rocprim17ROCPRIM_400000_NS6detail17trampoline_kernelINS0_13select_configILj256ELj13ELNS0_17block_load_methodE3ELS4_3ELS4_3ELNS0_20block_scan_algorithmE0ELj4294967295EEENS1_25partition_config_selectorILNS1_17partition_subalgoE4EjNS0_10empty_typeEbEEZZNS1_14partition_implILS8_4ELb0ES6_15HIP_vector_typeIjLj2EENS0_17counting_iteratorIjlEEPS9_SG_NS0_5tupleIJPjSI_NS0_16reverse_iteratorISI_EEEEENSH_IJSG_SG_SG_EEES9_SI_JZNS1_25segmented_radix_sort_implINS0_14default_configELb0EPKlPlSQ_SR_N2at6native12_GLOBAL__N_18offset_tEEE10hipError_tPvRmT1_PNSt15iterator_traitsISZ_E10value_typeET2_T3_PNS10_IS15_E10value_typeET4_jRbjT5_S1B_jjP12ihipStream_tbEUljE_ZNSN_ISO_Lb0ESQ_SR_SQ_SR_SV_EESW_SX_SY_SZ_S13_S14_S15_S18_S19_jS1A_jS1B_S1B_jjS1D_bEUljE0_EEESW_SX_SY_S15_S19_S1B_T6_T7_T9_mT8_S1D_bDpT10_ENKUlT_T0_E_clISt17integral_constantIbLb1EES1R_EEDaS1M_S1N_EUlS1M_E_NS1_11comp_targetILNS1_3genE9ELNS1_11target_archE1100ELNS1_3gpuE3ELNS1_3repE0EEENS1_30default_config_static_selectorELNS0_4arch9wavefront6targetE1EEEvSZ_
                                        ; -- End function
	.section	.AMDGPU.csdata,"",@progbits
; Kernel info:
; codeLenInByte = 0
; NumSgprs: 4
; NumVgprs: 0
; NumAgprs: 0
; TotalNumVgprs: 0
; ScratchSize: 0
; MemoryBound: 0
; FloatMode: 240
; IeeeMode: 1
; LDSByteSize: 0 bytes/workgroup (compile time only)
; SGPRBlocks: 0
; VGPRBlocks: 0
; NumSGPRsForWavesPerEU: 4
; NumVGPRsForWavesPerEU: 1
; AccumOffset: 4
; Occupancy: 8
; WaveLimiterHint : 0
; COMPUTE_PGM_RSRC2:SCRATCH_EN: 0
; COMPUTE_PGM_RSRC2:USER_SGPR: 6
; COMPUTE_PGM_RSRC2:TRAP_HANDLER: 0
; COMPUTE_PGM_RSRC2:TGID_X_EN: 1
; COMPUTE_PGM_RSRC2:TGID_Y_EN: 0
; COMPUTE_PGM_RSRC2:TGID_Z_EN: 0
; COMPUTE_PGM_RSRC2:TIDIG_COMP_CNT: 0
; COMPUTE_PGM_RSRC3_GFX90A:ACCUM_OFFSET: 0
; COMPUTE_PGM_RSRC3_GFX90A:TG_SPLIT: 0
	.section	.text._ZN7rocprim17ROCPRIM_400000_NS6detail17trampoline_kernelINS0_13select_configILj256ELj13ELNS0_17block_load_methodE3ELS4_3ELS4_3ELNS0_20block_scan_algorithmE0ELj4294967295EEENS1_25partition_config_selectorILNS1_17partition_subalgoE4EjNS0_10empty_typeEbEEZZNS1_14partition_implILS8_4ELb0ES6_15HIP_vector_typeIjLj2EENS0_17counting_iteratorIjlEEPS9_SG_NS0_5tupleIJPjSI_NS0_16reverse_iteratorISI_EEEEENSH_IJSG_SG_SG_EEES9_SI_JZNS1_25segmented_radix_sort_implINS0_14default_configELb0EPKlPlSQ_SR_N2at6native12_GLOBAL__N_18offset_tEEE10hipError_tPvRmT1_PNSt15iterator_traitsISZ_E10value_typeET2_T3_PNS10_IS15_E10value_typeET4_jRbjT5_S1B_jjP12ihipStream_tbEUljE_ZNSN_ISO_Lb0ESQ_SR_SQ_SR_SV_EESW_SX_SY_SZ_S13_S14_S15_S18_S19_jS1A_jS1B_S1B_jjS1D_bEUljE0_EEESW_SX_SY_S15_S19_S1B_T6_T7_T9_mT8_S1D_bDpT10_ENKUlT_T0_E_clISt17integral_constantIbLb1EES1R_EEDaS1M_S1N_EUlS1M_E_NS1_11comp_targetILNS1_3genE8ELNS1_11target_archE1030ELNS1_3gpuE2ELNS1_3repE0EEENS1_30default_config_static_selectorELNS0_4arch9wavefront6targetE1EEEvSZ_,"axG",@progbits,_ZN7rocprim17ROCPRIM_400000_NS6detail17trampoline_kernelINS0_13select_configILj256ELj13ELNS0_17block_load_methodE3ELS4_3ELS4_3ELNS0_20block_scan_algorithmE0ELj4294967295EEENS1_25partition_config_selectorILNS1_17partition_subalgoE4EjNS0_10empty_typeEbEEZZNS1_14partition_implILS8_4ELb0ES6_15HIP_vector_typeIjLj2EENS0_17counting_iteratorIjlEEPS9_SG_NS0_5tupleIJPjSI_NS0_16reverse_iteratorISI_EEEEENSH_IJSG_SG_SG_EEES9_SI_JZNS1_25segmented_radix_sort_implINS0_14default_configELb0EPKlPlSQ_SR_N2at6native12_GLOBAL__N_18offset_tEEE10hipError_tPvRmT1_PNSt15iterator_traitsISZ_E10value_typeET2_T3_PNS10_IS15_E10value_typeET4_jRbjT5_S1B_jjP12ihipStream_tbEUljE_ZNSN_ISO_Lb0ESQ_SR_SQ_SR_SV_EESW_SX_SY_SZ_S13_S14_S15_S18_S19_jS1A_jS1B_S1B_jjS1D_bEUljE0_EEESW_SX_SY_S15_S19_S1B_T6_T7_T9_mT8_S1D_bDpT10_ENKUlT_T0_E_clISt17integral_constantIbLb1EES1R_EEDaS1M_S1N_EUlS1M_E_NS1_11comp_targetILNS1_3genE8ELNS1_11target_archE1030ELNS1_3gpuE2ELNS1_3repE0EEENS1_30default_config_static_selectorELNS0_4arch9wavefront6targetE1EEEvSZ_,comdat
	.globl	_ZN7rocprim17ROCPRIM_400000_NS6detail17trampoline_kernelINS0_13select_configILj256ELj13ELNS0_17block_load_methodE3ELS4_3ELS4_3ELNS0_20block_scan_algorithmE0ELj4294967295EEENS1_25partition_config_selectorILNS1_17partition_subalgoE4EjNS0_10empty_typeEbEEZZNS1_14partition_implILS8_4ELb0ES6_15HIP_vector_typeIjLj2EENS0_17counting_iteratorIjlEEPS9_SG_NS0_5tupleIJPjSI_NS0_16reverse_iteratorISI_EEEEENSH_IJSG_SG_SG_EEES9_SI_JZNS1_25segmented_radix_sort_implINS0_14default_configELb0EPKlPlSQ_SR_N2at6native12_GLOBAL__N_18offset_tEEE10hipError_tPvRmT1_PNSt15iterator_traitsISZ_E10value_typeET2_T3_PNS10_IS15_E10value_typeET4_jRbjT5_S1B_jjP12ihipStream_tbEUljE_ZNSN_ISO_Lb0ESQ_SR_SQ_SR_SV_EESW_SX_SY_SZ_S13_S14_S15_S18_S19_jS1A_jS1B_S1B_jjS1D_bEUljE0_EEESW_SX_SY_S15_S19_S1B_T6_T7_T9_mT8_S1D_bDpT10_ENKUlT_T0_E_clISt17integral_constantIbLb1EES1R_EEDaS1M_S1N_EUlS1M_E_NS1_11comp_targetILNS1_3genE8ELNS1_11target_archE1030ELNS1_3gpuE2ELNS1_3repE0EEENS1_30default_config_static_selectorELNS0_4arch9wavefront6targetE1EEEvSZ_ ; -- Begin function _ZN7rocprim17ROCPRIM_400000_NS6detail17trampoline_kernelINS0_13select_configILj256ELj13ELNS0_17block_load_methodE3ELS4_3ELS4_3ELNS0_20block_scan_algorithmE0ELj4294967295EEENS1_25partition_config_selectorILNS1_17partition_subalgoE4EjNS0_10empty_typeEbEEZZNS1_14partition_implILS8_4ELb0ES6_15HIP_vector_typeIjLj2EENS0_17counting_iteratorIjlEEPS9_SG_NS0_5tupleIJPjSI_NS0_16reverse_iteratorISI_EEEEENSH_IJSG_SG_SG_EEES9_SI_JZNS1_25segmented_radix_sort_implINS0_14default_configELb0EPKlPlSQ_SR_N2at6native12_GLOBAL__N_18offset_tEEE10hipError_tPvRmT1_PNSt15iterator_traitsISZ_E10value_typeET2_T3_PNS10_IS15_E10value_typeET4_jRbjT5_S1B_jjP12ihipStream_tbEUljE_ZNSN_ISO_Lb0ESQ_SR_SQ_SR_SV_EESW_SX_SY_SZ_S13_S14_S15_S18_S19_jS1A_jS1B_S1B_jjS1D_bEUljE0_EEESW_SX_SY_S15_S19_S1B_T6_T7_T9_mT8_S1D_bDpT10_ENKUlT_T0_E_clISt17integral_constantIbLb1EES1R_EEDaS1M_S1N_EUlS1M_E_NS1_11comp_targetILNS1_3genE8ELNS1_11target_archE1030ELNS1_3gpuE2ELNS1_3repE0EEENS1_30default_config_static_selectorELNS0_4arch9wavefront6targetE1EEEvSZ_
	.p2align	8
	.type	_ZN7rocprim17ROCPRIM_400000_NS6detail17trampoline_kernelINS0_13select_configILj256ELj13ELNS0_17block_load_methodE3ELS4_3ELS4_3ELNS0_20block_scan_algorithmE0ELj4294967295EEENS1_25partition_config_selectorILNS1_17partition_subalgoE4EjNS0_10empty_typeEbEEZZNS1_14partition_implILS8_4ELb0ES6_15HIP_vector_typeIjLj2EENS0_17counting_iteratorIjlEEPS9_SG_NS0_5tupleIJPjSI_NS0_16reverse_iteratorISI_EEEEENSH_IJSG_SG_SG_EEES9_SI_JZNS1_25segmented_radix_sort_implINS0_14default_configELb0EPKlPlSQ_SR_N2at6native12_GLOBAL__N_18offset_tEEE10hipError_tPvRmT1_PNSt15iterator_traitsISZ_E10value_typeET2_T3_PNS10_IS15_E10value_typeET4_jRbjT5_S1B_jjP12ihipStream_tbEUljE_ZNSN_ISO_Lb0ESQ_SR_SQ_SR_SV_EESW_SX_SY_SZ_S13_S14_S15_S18_S19_jS1A_jS1B_S1B_jjS1D_bEUljE0_EEESW_SX_SY_S15_S19_S1B_T6_T7_T9_mT8_S1D_bDpT10_ENKUlT_T0_E_clISt17integral_constantIbLb1EES1R_EEDaS1M_S1N_EUlS1M_E_NS1_11comp_targetILNS1_3genE8ELNS1_11target_archE1030ELNS1_3gpuE2ELNS1_3repE0EEENS1_30default_config_static_selectorELNS0_4arch9wavefront6targetE1EEEvSZ_,@function
_ZN7rocprim17ROCPRIM_400000_NS6detail17trampoline_kernelINS0_13select_configILj256ELj13ELNS0_17block_load_methodE3ELS4_3ELS4_3ELNS0_20block_scan_algorithmE0ELj4294967295EEENS1_25partition_config_selectorILNS1_17partition_subalgoE4EjNS0_10empty_typeEbEEZZNS1_14partition_implILS8_4ELb0ES6_15HIP_vector_typeIjLj2EENS0_17counting_iteratorIjlEEPS9_SG_NS0_5tupleIJPjSI_NS0_16reverse_iteratorISI_EEEEENSH_IJSG_SG_SG_EEES9_SI_JZNS1_25segmented_radix_sort_implINS0_14default_configELb0EPKlPlSQ_SR_N2at6native12_GLOBAL__N_18offset_tEEE10hipError_tPvRmT1_PNSt15iterator_traitsISZ_E10value_typeET2_T3_PNS10_IS15_E10value_typeET4_jRbjT5_S1B_jjP12ihipStream_tbEUljE_ZNSN_ISO_Lb0ESQ_SR_SQ_SR_SV_EESW_SX_SY_SZ_S13_S14_S15_S18_S19_jS1A_jS1B_S1B_jjS1D_bEUljE0_EEESW_SX_SY_S15_S19_S1B_T6_T7_T9_mT8_S1D_bDpT10_ENKUlT_T0_E_clISt17integral_constantIbLb1EES1R_EEDaS1M_S1N_EUlS1M_E_NS1_11comp_targetILNS1_3genE8ELNS1_11target_archE1030ELNS1_3gpuE2ELNS1_3repE0EEENS1_30default_config_static_selectorELNS0_4arch9wavefront6targetE1EEEvSZ_: ; @_ZN7rocprim17ROCPRIM_400000_NS6detail17trampoline_kernelINS0_13select_configILj256ELj13ELNS0_17block_load_methodE3ELS4_3ELS4_3ELNS0_20block_scan_algorithmE0ELj4294967295EEENS1_25partition_config_selectorILNS1_17partition_subalgoE4EjNS0_10empty_typeEbEEZZNS1_14partition_implILS8_4ELb0ES6_15HIP_vector_typeIjLj2EENS0_17counting_iteratorIjlEEPS9_SG_NS0_5tupleIJPjSI_NS0_16reverse_iteratorISI_EEEEENSH_IJSG_SG_SG_EEES9_SI_JZNS1_25segmented_radix_sort_implINS0_14default_configELb0EPKlPlSQ_SR_N2at6native12_GLOBAL__N_18offset_tEEE10hipError_tPvRmT1_PNSt15iterator_traitsISZ_E10value_typeET2_T3_PNS10_IS15_E10value_typeET4_jRbjT5_S1B_jjP12ihipStream_tbEUljE_ZNSN_ISO_Lb0ESQ_SR_SQ_SR_SV_EESW_SX_SY_SZ_S13_S14_S15_S18_S19_jS1A_jS1B_S1B_jjS1D_bEUljE0_EEESW_SX_SY_S15_S19_S1B_T6_T7_T9_mT8_S1D_bDpT10_ENKUlT_T0_E_clISt17integral_constantIbLb1EES1R_EEDaS1M_S1N_EUlS1M_E_NS1_11comp_targetILNS1_3genE8ELNS1_11target_archE1030ELNS1_3gpuE2ELNS1_3repE0EEENS1_30default_config_static_selectorELNS0_4arch9wavefront6targetE1EEEvSZ_
; %bb.0:
	.section	.rodata,"a",@progbits
	.p2align	6, 0x0
	.amdhsa_kernel _ZN7rocprim17ROCPRIM_400000_NS6detail17trampoline_kernelINS0_13select_configILj256ELj13ELNS0_17block_load_methodE3ELS4_3ELS4_3ELNS0_20block_scan_algorithmE0ELj4294967295EEENS1_25partition_config_selectorILNS1_17partition_subalgoE4EjNS0_10empty_typeEbEEZZNS1_14partition_implILS8_4ELb0ES6_15HIP_vector_typeIjLj2EENS0_17counting_iteratorIjlEEPS9_SG_NS0_5tupleIJPjSI_NS0_16reverse_iteratorISI_EEEEENSH_IJSG_SG_SG_EEES9_SI_JZNS1_25segmented_radix_sort_implINS0_14default_configELb0EPKlPlSQ_SR_N2at6native12_GLOBAL__N_18offset_tEEE10hipError_tPvRmT1_PNSt15iterator_traitsISZ_E10value_typeET2_T3_PNS10_IS15_E10value_typeET4_jRbjT5_S1B_jjP12ihipStream_tbEUljE_ZNSN_ISO_Lb0ESQ_SR_SQ_SR_SV_EESW_SX_SY_SZ_S13_S14_S15_S18_S19_jS1A_jS1B_S1B_jjS1D_bEUljE0_EEESW_SX_SY_S15_S19_S1B_T6_T7_T9_mT8_S1D_bDpT10_ENKUlT_T0_E_clISt17integral_constantIbLb1EES1R_EEDaS1M_S1N_EUlS1M_E_NS1_11comp_targetILNS1_3genE8ELNS1_11target_archE1030ELNS1_3gpuE2ELNS1_3repE0EEENS1_30default_config_static_selectorELNS0_4arch9wavefront6targetE1EEEvSZ_
		.amdhsa_group_segment_fixed_size 0
		.amdhsa_private_segment_fixed_size 0
		.amdhsa_kernarg_size 184
		.amdhsa_user_sgpr_count 6
		.amdhsa_user_sgpr_private_segment_buffer 1
		.amdhsa_user_sgpr_dispatch_ptr 0
		.amdhsa_user_sgpr_queue_ptr 0
		.amdhsa_user_sgpr_kernarg_segment_ptr 1
		.amdhsa_user_sgpr_dispatch_id 0
		.amdhsa_user_sgpr_flat_scratch_init 0
		.amdhsa_user_sgpr_kernarg_preload_length 0
		.amdhsa_user_sgpr_kernarg_preload_offset 0
		.amdhsa_user_sgpr_private_segment_size 0
		.amdhsa_uses_dynamic_stack 0
		.amdhsa_system_sgpr_private_segment_wavefront_offset 0
		.amdhsa_system_sgpr_workgroup_id_x 1
		.amdhsa_system_sgpr_workgroup_id_y 0
		.amdhsa_system_sgpr_workgroup_id_z 0
		.amdhsa_system_sgpr_workgroup_info 0
		.amdhsa_system_vgpr_workitem_id 0
		.amdhsa_next_free_vgpr 1
		.amdhsa_next_free_sgpr 0
		.amdhsa_accum_offset 4
		.amdhsa_reserve_vcc 0
		.amdhsa_reserve_flat_scratch 0
		.amdhsa_float_round_mode_32 0
		.amdhsa_float_round_mode_16_64 0
		.amdhsa_float_denorm_mode_32 3
		.amdhsa_float_denorm_mode_16_64 3
		.amdhsa_dx10_clamp 1
		.amdhsa_ieee_mode 1
		.amdhsa_fp16_overflow 0
		.amdhsa_tg_split 0
		.amdhsa_exception_fp_ieee_invalid_op 0
		.amdhsa_exception_fp_denorm_src 0
		.amdhsa_exception_fp_ieee_div_zero 0
		.amdhsa_exception_fp_ieee_overflow 0
		.amdhsa_exception_fp_ieee_underflow 0
		.amdhsa_exception_fp_ieee_inexact 0
		.amdhsa_exception_int_div_zero 0
	.end_amdhsa_kernel
	.section	.text._ZN7rocprim17ROCPRIM_400000_NS6detail17trampoline_kernelINS0_13select_configILj256ELj13ELNS0_17block_load_methodE3ELS4_3ELS4_3ELNS0_20block_scan_algorithmE0ELj4294967295EEENS1_25partition_config_selectorILNS1_17partition_subalgoE4EjNS0_10empty_typeEbEEZZNS1_14partition_implILS8_4ELb0ES6_15HIP_vector_typeIjLj2EENS0_17counting_iteratorIjlEEPS9_SG_NS0_5tupleIJPjSI_NS0_16reverse_iteratorISI_EEEEENSH_IJSG_SG_SG_EEES9_SI_JZNS1_25segmented_radix_sort_implINS0_14default_configELb0EPKlPlSQ_SR_N2at6native12_GLOBAL__N_18offset_tEEE10hipError_tPvRmT1_PNSt15iterator_traitsISZ_E10value_typeET2_T3_PNS10_IS15_E10value_typeET4_jRbjT5_S1B_jjP12ihipStream_tbEUljE_ZNSN_ISO_Lb0ESQ_SR_SQ_SR_SV_EESW_SX_SY_SZ_S13_S14_S15_S18_S19_jS1A_jS1B_S1B_jjS1D_bEUljE0_EEESW_SX_SY_S15_S19_S1B_T6_T7_T9_mT8_S1D_bDpT10_ENKUlT_T0_E_clISt17integral_constantIbLb1EES1R_EEDaS1M_S1N_EUlS1M_E_NS1_11comp_targetILNS1_3genE8ELNS1_11target_archE1030ELNS1_3gpuE2ELNS1_3repE0EEENS1_30default_config_static_selectorELNS0_4arch9wavefront6targetE1EEEvSZ_,"axG",@progbits,_ZN7rocprim17ROCPRIM_400000_NS6detail17trampoline_kernelINS0_13select_configILj256ELj13ELNS0_17block_load_methodE3ELS4_3ELS4_3ELNS0_20block_scan_algorithmE0ELj4294967295EEENS1_25partition_config_selectorILNS1_17partition_subalgoE4EjNS0_10empty_typeEbEEZZNS1_14partition_implILS8_4ELb0ES6_15HIP_vector_typeIjLj2EENS0_17counting_iteratorIjlEEPS9_SG_NS0_5tupleIJPjSI_NS0_16reverse_iteratorISI_EEEEENSH_IJSG_SG_SG_EEES9_SI_JZNS1_25segmented_radix_sort_implINS0_14default_configELb0EPKlPlSQ_SR_N2at6native12_GLOBAL__N_18offset_tEEE10hipError_tPvRmT1_PNSt15iterator_traitsISZ_E10value_typeET2_T3_PNS10_IS15_E10value_typeET4_jRbjT5_S1B_jjP12ihipStream_tbEUljE_ZNSN_ISO_Lb0ESQ_SR_SQ_SR_SV_EESW_SX_SY_SZ_S13_S14_S15_S18_S19_jS1A_jS1B_S1B_jjS1D_bEUljE0_EEESW_SX_SY_S15_S19_S1B_T6_T7_T9_mT8_S1D_bDpT10_ENKUlT_T0_E_clISt17integral_constantIbLb1EES1R_EEDaS1M_S1N_EUlS1M_E_NS1_11comp_targetILNS1_3genE8ELNS1_11target_archE1030ELNS1_3gpuE2ELNS1_3repE0EEENS1_30default_config_static_selectorELNS0_4arch9wavefront6targetE1EEEvSZ_,comdat
.Lfunc_end758:
	.size	_ZN7rocprim17ROCPRIM_400000_NS6detail17trampoline_kernelINS0_13select_configILj256ELj13ELNS0_17block_load_methodE3ELS4_3ELS4_3ELNS0_20block_scan_algorithmE0ELj4294967295EEENS1_25partition_config_selectorILNS1_17partition_subalgoE4EjNS0_10empty_typeEbEEZZNS1_14partition_implILS8_4ELb0ES6_15HIP_vector_typeIjLj2EENS0_17counting_iteratorIjlEEPS9_SG_NS0_5tupleIJPjSI_NS0_16reverse_iteratorISI_EEEEENSH_IJSG_SG_SG_EEES9_SI_JZNS1_25segmented_radix_sort_implINS0_14default_configELb0EPKlPlSQ_SR_N2at6native12_GLOBAL__N_18offset_tEEE10hipError_tPvRmT1_PNSt15iterator_traitsISZ_E10value_typeET2_T3_PNS10_IS15_E10value_typeET4_jRbjT5_S1B_jjP12ihipStream_tbEUljE_ZNSN_ISO_Lb0ESQ_SR_SQ_SR_SV_EESW_SX_SY_SZ_S13_S14_S15_S18_S19_jS1A_jS1B_S1B_jjS1D_bEUljE0_EEESW_SX_SY_S15_S19_S1B_T6_T7_T9_mT8_S1D_bDpT10_ENKUlT_T0_E_clISt17integral_constantIbLb1EES1R_EEDaS1M_S1N_EUlS1M_E_NS1_11comp_targetILNS1_3genE8ELNS1_11target_archE1030ELNS1_3gpuE2ELNS1_3repE0EEENS1_30default_config_static_selectorELNS0_4arch9wavefront6targetE1EEEvSZ_, .Lfunc_end758-_ZN7rocprim17ROCPRIM_400000_NS6detail17trampoline_kernelINS0_13select_configILj256ELj13ELNS0_17block_load_methodE3ELS4_3ELS4_3ELNS0_20block_scan_algorithmE0ELj4294967295EEENS1_25partition_config_selectorILNS1_17partition_subalgoE4EjNS0_10empty_typeEbEEZZNS1_14partition_implILS8_4ELb0ES6_15HIP_vector_typeIjLj2EENS0_17counting_iteratorIjlEEPS9_SG_NS0_5tupleIJPjSI_NS0_16reverse_iteratorISI_EEEEENSH_IJSG_SG_SG_EEES9_SI_JZNS1_25segmented_radix_sort_implINS0_14default_configELb0EPKlPlSQ_SR_N2at6native12_GLOBAL__N_18offset_tEEE10hipError_tPvRmT1_PNSt15iterator_traitsISZ_E10value_typeET2_T3_PNS10_IS15_E10value_typeET4_jRbjT5_S1B_jjP12ihipStream_tbEUljE_ZNSN_ISO_Lb0ESQ_SR_SQ_SR_SV_EESW_SX_SY_SZ_S13_S14_S15_S18_S19_jS1A_jS1B_S1B_jjS1D_bEUljE0_EEESW_SX_SY_S15_S19_S1B_T6_T7_T9_mT8_S1D_bDpT10_ENKUlT_T0_E_clISt17integral_constantIbLb1EES1R_EEDaS1M_S1N_EUlS1M_E_NS1_11comp_targetILNS1_3genE8ELNS1_11target_archE1030ELNS1_3gpuE2ELNS1_3repE0EEENS1_30default_config_static_selectorELNS0_4arch9wavefront6targetE1EEEvSZ_
                                        ; -- End function
	.section	.AMDGPU.csdata,"",@progbits
; Kernel info:
; codeLenInByte = 0
; NumSgprs: 4
; NumVgprs: 0
; NumAgprs: 0
; TotalNumVgprs: 0
; ScratchSize: 0
; MemoryBound: 0
; FloatMode: 240
; IeeeMode: 1
; LDSByteSize: 0 bytes/workgroup (compile time only)
; SGPRBlocks: 0
; VGPRBlocks: 0
; NumSGPRsForWavesPerEU: 4
; NumVGPRsForWavesPerEU: 1
; AccumOffset: 4
; Occupancy: 8
; WaveLimiterHint : 0
; COMPUTE_PGM_RSRC2:SCRATCH_EN: 0
; COMPUTE_PGM_RSRC2:USER_SGPR: 6
; COMPUTE_PGM_RSRC2:TRAP_HANDLER: 0
; COMPUTE_PGM_RSRC2:TGID_X_EN: 1
; COMPUTE_PGM_RSRC2:TGID_Y_EN: 0
; COMPUTE_PGM_RSRC2:TGID_Z_EN: 0
; COMPUTE_PGM_RSRC2:TIDIG_COMP_CNT: 0
; COMPUTE_PGM_RSRC3_GFX90A:ACCUM_OFFSET: 0
; COMPUTE_PGM_RSRC3_GFX90A:TG_SPLIT: 0
	.section	.text._ZN7rocprim17ROCPRIM_400000_NS6detail17trampoline_kernelINS0_13select_configILj256ELj13ELNS0_17block_load_methodE3ELS4_3ELS4_3ELNS0_20block_scan_algorithmE0ELj4294967295EEENS1_25partition_config_selectorILNS1_17partition_subalgoE4EjNS0_10empty_typeEbEEZZNS1_14partition_implILS8_4ELb0ES6_15HIP_vector_typeIjLj2EENS0_17counting_iteratorIjlEEPS9_SG_NS0_5tupleIJPjSI_NS0_16reverse_iteratorISI_EEEEENSH_IJSG_SG_SG_EEES9_SI_JZNS1_25segmented_radix_sort_implINS0_14default_configELb0EPKlPlSQ_SR_N2at6native12_GLOBAL__N_18offset_tEEE10hipError_tPvRmT1_PNSt15iterator_traitsISZ_E10value_typeET2_T3_PNS10_IS15_E10value_typeET4_jRbjT5_S1B_jjP12ihipStream_tbEUljE_ZNSN_ISO_Lb0ESQ_SR_SQ_SR_SV_EESW_SX_SY_SZ_S13_S14_S15_S18_S19_jS1A_jS1B_S1B_jjS1D_bEUljE0_EEESW_SX_SY_S15_S19_S1B_T6_T7_T9_mT8_S1D_bDpT10_ENKUlT_T0_E_clISt17integral_constantIbLb1EES1Q_IbLb0EEEEDaS1M_S1N_EUlS1M_E_NS1_11comp_targetILNS1_3genE0ELNS1_11target_archE4294967295ELNS1_3gpuE0ELNS1_3repE0EEENS1_30default_config_static_selectorELNS0_4arch9wavefront6targetE1EEEvSZ_,"axG",@progbits,_ZN7rocprim17ROCPRIM_400000_NS6detail17trampoline_kernelINS0_13select_configILj256ELj13ELNS0_17block_load_methodE3ELS4_3ELS4_3ELNS0_20block_scan_algorithmE0ELj4294967295EEENS1_25partition_config_selectorILNS1_17partition_subalgoE4EjNS0_10empty_typeEbEEZZNS1_14partition_implILS8_4ELb0ES6_15HIP_vector_typeIjLj2EENS0_17counting_iteratorIjlEEPS9_SG_NS0_5tupleIJPjSI_NS0_16reverse_iteratorISI_EEEEENSH_IJSG_SG_SG_EEES9_SI_JZNS1_25segmented_radix_sort_implINS0_14default_configELb0EPKlPlSQ_SR_N2at6native12_GLOBAL__N_18offset_tEEE10hipError_tPvRmT1_PNSt15iterator_traitsISZ_E10value_typeET2_T3_PNS10_IS15_E10value_typeET4_jRbjT5_S1B_jjP12ihipStream_tbEUljE_ZNSN_ISO_Lb0ESQ_SR_SQ_SR_SV_EESW_SX_SY_SZ_S13_S14_S15_S18_S19_jS1A_jS1B_S1B_jjS1D_bEUljE0_EEESW_SX_SY_S15_S19_S1B_T6_T7_T9_mT8_S1D_bDpT10_ENKUlT_T0_E_clISt17integral_constantIbLb1EES1Q_IbLb0EEEEDaS1M_S1N_EUlS1M_E_NS1_11comp_targetILNS1_3genE0ELNS1_11target_archE4294967295ELNS1_3gpuE0ELNS1_3repE0EEENS1_30default_config_static_selectorELNS0_4arch9wavefront6targetE1EEEvSZ_,comdat
	.globl	_ZN7rocprim17ROCPRIM_400000_NS6detail17trampoline_kernelINS0_13select_configILj256ELj13ELNS0_17block_load_methodE3ELS4_3ELS4_3ELNS0_20block_scan_algorithmE0ELj4294967295EEENS1_25partition_config_selectorILNS1_17partition_subalgoE4EjNS0_10empty_typeEbEEZZNS1_14partition_implILS8_4ELb0ES6_15HIP_vector_typeIjLj2EENS0_17counting_iteratorIjlEEPS9_SG_NS0_5tupleIJPjSI_NS0_16reverse_iteratorISI_EEEEENSH_IJSG_SG_SG_EEES9_SI_JZNS1_25segmented_radix_sort_implINS0_14default_configELb0EPKlPlSQ_SR_N2at6native12_GLOBAL__N_18offset_tEEE10hipError_tPvRmT1_PNSt15iterator_traitsISZ_E10value_typeET2_T3_PNS10_IS15_E10value_typeET4_jRbjT5_S1B_jjP12ihipStream_tbEUljE_ZNSN_ISO_Lb0ESQ_SR_SQ_SR_SV_EESW_SX_SY_SZ_S13_S14_S15_S18_S19_jS1A_jS1B_S1B_jjS1D_bEUljE0_EEESW_SX_SY_S15_S19_S1B_T6_T7_T9_mT8_S1D_bDpT10_ENKUlT_T0_E_clISt17integral_constantIbLb1EES1Q_IbLb0EEEEDaS1M_S1N_EUlS1M_E_NS1_11comp_targetILNS1_3genE0ELNS1_11target_archE4294967295ELNS1_3gpuE0ELNS1_3repE0EEENS1_30default_config_static_selectorELNS0_4arch9wavefront6targetE1EEEvSZ_ ; -- Begin function _ZN7rocprim17ROCPRIM_400000_NS6detail17trampoline_kernelINS0_13select_configILj256ELj13ELNS0_17block_load_methodE3ELS4_3ELS4_3ELNS0_20block_scan_algorithmE0ELj4294967295EEENS1_25partition_config_selectorILNS1_17partition_subalgoE4EjNS0_10empty_typeEbEEZZNS1_14partition_implILS8_4ELb0ES6_15HIP_vector_typeIjLj2EENS0_17counting_iteratorIjlEEPS9_SG_NS0_5tupleIJPjSI_NS0_16reverse_iteratorISI_EEEEENSH_IJSG_SG_SG_EEES9_SI_JZNS1_25segmented_radix_sort_implINS0_14default_configELb0EPKlPlSQ_SR_N2at6native12_GLOBAL__N_18offset_tEEE10hipError_tPvRmT1_PNSt15iterator_traitsISZ_E10value_typeET2_T3_PNS10_IS15_E10value_typeET4_jRbjT5_S1B_jjP12ihipStream_tbEUljE_ZNSN_ISO_Lb0ESQ_SR_SQ_SR_SV_EESW_SX_SY_SZ_S13_S14_S15_S18_S19_jS1A_jS1B_S1B_jjS1D_bEUljE0_EEESW_SX_SY_S15_S19_S1B_T6_T7_T9_mT8_S1D_bDpT10_ENKUlT_T0_E_clISt17integral_constantIbLb1EES1Q_IbLb0EEEEDaS1M_S1N_EUlS1M_E_NS1_11comp_targetILNS1_3genE0ELNS1_11target_archE4294967295ELNS1_3gpuE0ELNS1_3repE0EEENS1_30default_config_static_selectorELNS0_4arch9wavefront6targetE1EEEvSZ_
	.p2align	8
	.type	_ZN7rocprim17ROCPRIM_400000_NS6detail17trampoline_kernelINS0_13select_configILj256ELj13ELNS0_17block_load_methodE3ELS4_3ELS4_3ELNS0_20block_scan_algorithmE0ELj4294967295EEENS1_25partition_config_selectorILNS1_17partition_subalgoE4EjNS0_10empty_typeEbEEZZNS1_14partition_implILS8_4ELb0ES6_15HIP_vector_typeIjLj2EENS0_17counting_iteratorIjlEEPS9_SG_NS0_5tupleIJPjSI_NS0_16reverse_iteratorISI_EEEEENSH_IJSG_SG_SG_EEES9_SI_JZNS1_25segmented_radix_sort_implINS0_14default_configELb0EPKlPlSQ_SR_N2at6native12_GLOBAL__N_18offset_tEEE10hipError_tPvRmT1_PNSt15iterator_traitsISZ_E10value_typeET2_T3_PNS10_IS15_E10value_typeET4_jRbjT5_S1B_jjP12ihipStream_tbEUljE_ZNSN_ISO_Lb0ESQ_SR_SQ_SR_SV_EESW_SX_SY_SZ_S13_S14_S15_S18_S19_jS1A_jS1B_S1B_jjS1D_bEUljE0_EEESW_SX_SY_S15_S19_S1B_T6_T7_T9_mT8_S1D_bDpT10_ENKUlT_T0_E_clISt17integral_constantIbLb1EES1Q_IbLb0EEEEDaS1M_S1N_EUlS1M_E_NS1_11comp_targetILNS1_3genE0ELNS1_11target_archE4294967295ELNS1_3gpuE0ELNS1_3repE0EEENS1_30default_config_static_selectorELNS0_4arch9wavefront6targetE1EEEvSZ_,@function
_ZN7rocprim17ROCPRIM_400000_NS6detail17trampoline_kernelINS0_13select_configILj256ELj13ELNS0_17block_load_methodE3ELS4_3ELS4_3ELNS0_20block_scan_algorithmE0ELj4294967295EEENS1_25partition_config_selectorILNS1_17partition_subalgoE4EjNS0_10empty_typeEbEEZZNS1_14partition_implILS8_4ELb0ES6_15HIP_vector_typeIjLj2EENS0_17counting_iteratorIjlEEPS9_SG_NS0_5tupleIJPjSI_NS0_16reverse_iteratorISI_EEEEENSH_IJSG_SG_SG_EEES9_SI_JZNS1_25segmented_radix_sort_implINS0_14default_configELb0EPKlPlSQ_SR_N2at6native12_GLOBAL__N_18offset_tEEE10hipError_tPvRmT1_PNSt15iterator_traitsISZ_E10value_typeET2_T3_PNS10_IS15_E10value_typeET4_jRbjT5_S1B_jjP12ihipStream_tbEUljE_ZNSN_ISO_Lb0ESQ_SR_SQ_SR_SV_EESW_SX_SY_SZ_S13_S14_S15_S18_S19_jS1A_jS1B_S1B_jjS1D_bEUljE0_EEESW_SX_SY_S15_S19_S1B_T6_T7_T9_mT8_S1D_bDpT10_ENKUlT_T0_E_clISt17integral_constantIbLb1EES1Q_IbLb0EEEEDaS1M_S1N_EUlS1M_E_NS1_11comp_targetILNS1_3genE0ELNS1_11target_archE4294967295ELNS1_3gpuE0ELNS1_3repE0EEENS1_30default_config_static_selectorELNS0_4arch9wavefront6targetE1EEEvSZ_: ; @_ZN7rocprim17ROCPRIM_400000_NS6detail17trampoline_kernelINS0_13select_configILj256ELj13ELNS0_17block_load_methodE3ELS4_3ELS4_3ELNS0_20block_scan_algorithmE0ELj4294967295EEENS1_25partition_config_selectorILNS1_17partition_subalgoE4EjNS0_10empty_typeEbEEZZNS1_14partition_implILS8_4ELb0ES6_15HIP_vector_typeIjLj2EENS0_17counting_iteratorIjlEEPS9_SG_NS0_5tupleIJPjSI_NS0_16reverse_iteratorISI_EEEEENSH_IJSG_SG_SG_EEES9_SI_JZNS1_25segmented_radix_sort_implINS0_14default_configELb0EPKlPlSQ_SR_N2at6native12_GLOBAL__N_18offset_tEEE10hipError_tPvRmT1_PNSt15iterator_traitsISZ_E10value_typeET2_T3_PNS10_IS15_E10value_typeET4_jRbjT5_S1B_jjP12ihipStream_tbEUljE_ZNSN_ISO_Lb0ESQ_SR_SQ_SR_SV_EESW_SX_SY_SZ_S13_S14_S15_S18_S19_jS1A_jS1B_S1B_jjS1D_bEUljE0_EEESW_SX_SY_S15_S19_S1B_T6_T7_T9_mT8_S1D_bDpT10_ENKUlT_T0_E_clISt17integral_constantIbLb1EES1Q_IbLb0EEEEDaS1M_S1N_EUlS1M_E_NS1_11comp_targetILNS1_3genE0ELNS1_11target_archE4294967295ELNS1_3gpuE0ELNS1_3repE0EEENS1_30default_config_static_selectorELNS0_4arch9wavefront6targetE1EEEvSZ_
; %bb.0:
	.section	.rodata,"a",@progbits
	.p2align	6, 0x0
	.amdhsa_kernel _ZN7rocprim17ROCPRIM_400000_NS6detail17trampoline_kernelINS0_13select_configILj256ELj13ELNS0_17block_load_methodE3ELS4_3ELS4_3ELNS0_20block_scan_algorithmE0ELj4294967295EEENS1_25partition_config_selectorILNS1_17partition_subalgoE4EjNS0_10empty_typeEbEEZZNS1_14partition_implILS8_4ELb0ES6_15HIP_vector_typeIjLj2EENS0_17counting_iteratorIjlEEPS9_SG_NS0_5tupleIJPjSI_NS0_16reverse_iteratorISI_EEEEENSH_IJSG_SG_SG_EEES9_SI_JZNS1_25segmented_radix_sort_implINS0_14default_configELb0EPKlPlSQ_SR_N2at6native12_GLOBAL__N_18offset_tEEE10hipError_tPvRmT1_PNSt15iterator_traitsISZ_E10value_typeET2_T3_PNS10_IS15_E10value_typeET4_jRbjT5_S1B_jjP12ihipStream_tbEUljE_ZNSN_ISO_Lb0ESQ_SR_SQ_SR_SV_EESW_SX_SY_SZ_S13_S14_S15_S18_S19_jS1A_jS1B_S1B_jjS1D_bEUljE0_EEESW_SX_SY_S15_S19_S1B_T6_T7_T9_mT8_S1D_bDpT10_ENKUlT_T0_E_clISt17integral_constantIbLb1EES1Q_IbLb0EEEEDaS1M_S1N_EUlS1M_E_NS1_11comp_targetILNS1_3genE0ELNS1_11target_archE4294967295ELNS1_3gpuE0ELNS1_3repE0EEENS1_30default_config_static_selectorELNS0_4arch9wavefront6targetE1EEEvSZ_
		.amdhsa_group_segment_fixed_size 0
		.amdhsa_private_segment_fixed_size 0
		.amdhsa_kernarg_size 176
		.amdhsa_user_sgpr_count 6
		.amdhsa_user_sgpr_private_segment_buffer 1
		.amdhsa_user_sgpr_dispatch_ptr 0
		.amdhsa_user_sgpr_queue_ptr 0
		.amdhsa_user_sgpr_kernarg_segment_ptr 1
		.amdhsa_user_sgpr_dispatch_id 0
		.amdhsa_user_sgpr_flat_scratch_init 0
		.amdhsa_user_sgpr_kernarg_preload_length 0
		.amdhsa_user_sgpr_kernarg_preload_offset 0
		.amdhsa_user_sgpr_private_segment_size 0
		.amdhsa_uses_dynamic_stack 0
		.amdhsa_system_sgpr_private_segment_wavefront_offset 0
		.amdhsa_system_sgpr_workgroup_id_x 1
		.amdhsa_system_sgpr_workgroup_id_y 0
		.amdhsa_system_sgpr_workgroup_id_z 0
		.amdhsa_system_sgpr_workgroup_info 0
		.amdhsa_system_vgpr_workitem_id 0
		.amdhsa_next_free_vgpr 1
		.amdhsa_next_free_sgpr 0
		.amdhsa_accum_offset 4
		.amdhsa_reserve_vcc 0
		.amdhsa_reserve_flat_scratch 0
		.amdhsa_float_round_mode_32 0
		.amdhsa_float_round_mode_16_64 0
		.amdhsa_float_denorm_mode_32 3
		.amdhsa_float_denorm_mode_16_64 3
		.amdhsa_dx10_clamp 1
		.amdhsa_ieee_mode 1
		.amdhsa_fp16_overflow 0
		.amdhsa_tg_split 0
		.amdhsa_exception_fp_ieee_invalid_op 0
		.amdhsa_exception_fp_denorm_src 0
		.amdhsa_exception_fp_ieee_div_zero 0
		.amdhsa_exception_fp_ieee_overflow 0
		.amdhsa_exception_fp_ieee_underflow 0
		.amdhsa_exception_fp_ieee_inexact 0
		.amdhsa_exception_int_div_zero 0
	.end_amdhsa_kernel
	.section	.text._ZN7rocprim17ROCPRIM_400000_NS6detail17trampoline_kernelINS0_13select_configILj256ELj13ELNS0_17block_load_methodE3ELS4_3ELS4_3ELNS0_20block_scan_algorithmE0ELj4294967295EEENS1_25partition_config_selectorILNS1_17partition_subalgoE4EjNS0_10empty_typeEbEEZZNS1_14partition_implILS8_4ELb0ES6_15HIP_vector_typeIjLj2EENS0_17counting_iteratorIjlEEPS9_SG_NS0_5tupleIJPjSI_NS0_16reverse_iteratorISI_EEEEENSH_IJSG_SG_SG_EEES9_SI_JZNS1_25segmented_radix_sort_implINS0_14default_configELb0EPKlPlSQ_SR_N2at6native12_GLOBAL__N_18offset_tEEE10hipError_tPvRmT1_PNSt15iterator_traitsISZ_E10value_typeET2_T3_PNS10_IS15_E10value_typeET4_jRbjT5_S1B_jjP12ihipStream_tbEUljE_ZNSN_ISO_Lb0ESQ_SR_SQ_SR_SV_EESW_SX_SY_SZ_S13_S14_S15_S18_S19_jS1A_jS1B_S1B_jjS1D_bEUljE0_EEESW_SX_SY_S15_S19_S1B_T6_T7_T9_mT8_S1D_bDpT10_ENKUlT_T0_E_clISt17integral_constantIbLb1EES1Q_IbLb0EEEEDaS1M_S1N_EUlS1M_E_NS1_11comp_targetILNS1_3genE0ELNS1_11target_archE4294967295ELNS1_3gpuE0ELNS1_3repE0EEENS1_30default_config_static_selectorELNS0_4arch9wavefront6targetE1EEEvSZ_,"axG",@progbits,_ZN7rocprim17ROCPRIM_400000_NS6detail17trampoline_kernelINS0_13select_configILj256ELj13ELNS0_17block_load_methodE3ELS4_3ELS4_3ELNS0_20block_scan_algorithmE0ELj4294967295EEENS1_25partition_config_selectorILNS1_17partition_subalgoE4EjNS0_10empty_typeEbEEZZNS1_14partition_implILS8_4ELb0ES6_15HIP_vector_typeIjLj2EENS0_17counting_iteratorIjlEEPS9_SG_NS0_5tupleIJPjSI_NS0_16reverse_iteratorISI_EEEEENSH_IJSG_SG_SG_EEES9_SI_JZNS1_25segmented_radix_sort_implINS0_14default_configELb0EPKlPlSQ_SR_N2at6native12_GLOBAL__N_18offset_tEEE10hipError_tPvRmT1_PNSt15iterator_traitsISZ_E10value_typeET2_T3_PNS10_IS15_E10value_typeET4_jRbjT5_S1B_jjP12ihipStream_tbEUljE_ZNSN_ISO_Lb0ESQ_SR_SQ_SR_SV_EESW_SX_SY_SZ_S13_S14_S15_S18_S19_jS1A_jS1B_S1B_jjS1D_bEUljE0_EEESW_SX_SY_S15_S19_S1B_T6_T7_T9_mT8_S1D_bDpT10_ENKUlT_T0_E_clISt17integral_constantIbLb1EES1Q_IbLb0EEEEDaS1M_S1N_EUlS1M_E_NS1_11comp_targetILNS1_3genE0ELNS1_11target_archE4294967295ELNS1_3gpuE0ELNS1_3repE0EEENS1_30default_config_static_selectorELNS0_4arch9wavefront6targetE1EEEvSZ_,comdat
.Lfunc_end759:
	.size	_ZN7rocprim17ROCPRIM_400000_NS6detail17trampoline_kernelINS0_13select_configILj256ELj13ELNS0_17block_load_methodE3ELS4_3ELS4_3ELNS0_20block_scan_algorithmE0ELj4294967295EEENS1_25partition_config_selectorILNS1_17partition_subalgoE4EjNS0_10empty_typeEbEEZZNS1_14partition_implILS8_4ELb0ES6_15HIP_vector_typeIjLj2EENS0_17counting_iteratorIjlEEPS9_SG_NS0_5tupleIJPjSI_NS0_16reverse_iteratorISI_EEEEENSH_IJSG_SG_SG_EEES9_SI_JZNS1_25segmented_radix_sort_implINS0_14default_configELb0EPKlPlSQ_SR_N2at6native12_GLOBAL__N_18offset_tEEE10hipError_tPvRmT1_PNSt15iterator_traitsISZ_E10value_typeET2_T3_PNS10_IS15_E10value_typeET4_jRbjT5_S1B_jjP12ihipStream_tbEUljE_ZNSN_ISO_Lb0ESQ_SR_SQ_SR_SV_EESW_SX_SY_SZ_S13_S14_S15_S18_S19_jS1A_jS1B_S1B_jjS1D_bEUljE0_EEESW_SX_SY_S15_S19_S1B_T6_T7_T9_mT8_S1D_bDpT10_ENKUlT_T0_E_clISt17integral_constantIbLb1EES1Q_IbLb0EEEEDaS1M_S1N_EUlS1M_E_NS1_11comp_targetILNS1_3genE0ELNS1_11target_archE4294967295ELNS1_3gpuE0ELNS1_3repE0EEENS1_30default_config_static_selectorELNS0_4arch9wavefront6targetE1EEEvSZ_, .Lfunc_end759-_ZN7rocprim17ROCPRIM_400000_NS6detail17trampoline_kernelINS0_13select_configILj256ELj13ELNS0_17block_load_methodE3ELS4_3ELS4_3ELNS0_20block_scan_algorithmE0ELj4294967295EEENS1_25partition_config_selectorILNS1_17partition_subalgoE4EjNS0_10empty_typeEbEEZZNS1_14partition_implILS8_4ELb0ES6_15HIP_vector_typeIjLj2EENS0_17counting_iteratorIjlEEPS9_SG_NS0_5tupleIJPjSI_NS0_16reverse_iteratorISI_EEEEENSH_IJSG_SG_SG_EEES9_SI_JZNS1_25segmented_radix_sort_implINS0_14default_configELb0EPKlPlSQ_SR_N2at6native12_GLOBAL__N_18offset_tEEE10hipError_tPvRmT1_PNSt15iterator_traitsISZ_E10value_typeET2_T3_PNS10_IS15_E10value_typeET4_jRbjT5_S1B_jjP12ihipStream_tbEUljE_ZNSN_ISO_Lb0ESQ_SR_SQ_SR_SV_EESW_SX_SY_SZ_S13_S14_S15_S18_S19_jS1A_jS1B_S1B_jjS1D_bEUljE0_EEESW_SX_SY_S15_S19_S1B_T6_T7_T9_mT8_S1D_bDpT10_ENKUlT_T0_E_clISt17integral_constantIbLb1EES1Q_IbLb0EEEEDaS1M_S1N_EUlS1M_E_NS1_11comp_targetILNS1_3genE0ELNS1_11target_archE4294967295ELNS1_3gpuE0ELNS1_3repE0EEENS1_30default_config_static_selectorELNS0_4arch9wavefront6targetE1EEEvSZ_
                                        ; -- End function
	.section	.AMDGPU.csdata,"",@progbits
; Kernel info:
; codeLenInByte = 0
; NumSgprs: 4
; NumVgprs: 0
; NumAgprs: 0
; TotalNumVgprs: 0
; ScratchSize: 0
; MemoryBound: 0
; FloatMode: 240
; IeeeMode: 1
; LDSByteSize: 0 bytes/workgroup (compile time only)
; SGPRBlocks: 0
; VGPRBlocks: 0
; NumSGPRsForWavesPerEU: 4
; NumVGPRsForWavesPerEU: 1
; AccumOffset: 4
; Occupancy: 8
; WaveLimiterHint : 0
; COMPUTE_PGM_RSRC2:SCRATCH_EN: 0
; COMPUTE_PGM_RSRC2:USER_SGPR: 6
; COMPUTE_PGM_RSRC2:TRAP_HANDLER: 0
; COMPUTE_PGM_RSRC2:TGID_X_EN: 1
; COMPUTE_PGM_RSRC2:TGID_Y_EN: 0
; COMPUTE_PGM_RSRC2:TGID_Z_EN: 0
; COMPUTE_PGM_RSRC2:TIDIG_COMP_CNT: 0
; COMPUTE_PGM_RSRC3_GFX90A:ACCUM_OFFSET: 0
; COMPUTE_PGM_RSRC3_GFX90A:TG_SPLIT: 0
	.section	.text._ZN7rocprim17ROCPRIM_400000_NS6detail17trampoline_kernelINS0_13select_configILj256ELj13ELNS0_17block_load_methodE3ELS4_3ELS4_3ELNS0_20block_scan_algorithmE0ELj4294967295EEENS1_25partition_config_selectorILNS1_17partition_subalgoE4EjNS0_10empty_typeEbEEZZNS1_14partition_implILS8_4ELb0ES6_15HIP_vector_typeIjLj2EENS0_17counting_iteratorIjlEEPS9_SG_NS0_5tupleIJPjSI_NS0_16reverse_iteratorISI_EEEEENSH_IJSG_SG_SG_EEES9_SI_JZNS1_25segmented_radix_sort_implINS0_14default_configELb0EPKlPlSQ_SR_N2at6native12_GLOBAL__N_18offset_tEEE10hipError_tPvRmT1_PNSt15iterator_traitsISZ_E10value_typeET2_T3_PNS10_IS15_E10value_typeET4_jRbjT5_S1B_jjP12ihipStream_tbEUljE_ZNSN_ISO_Lb0ESQ_SR_SQ_SR_SV_EESW_SX_SY_SZ_S13_S14_S15_S18_S19_jS1A_jS1B_S1B_jjS1D_bEUljE0_EEESW_SX_SY_S15_S19_S1B_T6_T7_T9_mT8_S1D_bDpT10_ENKUlT_T0_E_clISt17integral_constantIbLb1EES1Q_IbLb0EEEEDaS1M_S1N_EUlS1M_E_NS1_11comp_targetILNS1_3genE5ELNS1_11target_archE942ELNS1_3gpuE9ELNS1_3repE0EEENS1_30default_config_static_selectorELNS0_4arch9wavefront6targetE1EEEvSZ_,"axG",@progbits,_ZN7rocprim17ROCPRIM_400000_NS6detail17trampoline_kernelINS0_13select_configILj256ELj13ELNS0_17block_load_methodE3ELS4_3ELS4_3ELNS0_20block_scan_algorithmE0ELj4294967295EEENS1_25partition_config_selectorILNS1_17partition_subalgoE4EjNS0_10empty_typeEbEEZZNS1_14partition_implILS8_4ELb0ES6_15HIP_vector_typeIjLj2EENS0_17counting_iteratorIjlEEPS9_SG_NS0_5tupleIJPjSI_NS0_16reverse_iteratorISI_EEEEENSH_IJSG_SG_SG_EEES9_SI_JZNS1_25segmented_radix_sort_implINS0_14default_configELb0EPKlPlSQ_SR_N2at6native12_GLOBAL__N_18offset_tEEE10hipError_tPvRmT1_PNSt15iterator_traitsISZ_E10value_typeET2_T3_PNS10_IS15_E10value_typeET4_jRbjT5_S1B_jjP12ihipStream_tbEUljE_ZNSN_ISO_Lb0ESQ_SR_SQ_SR_SV_EESW_SX_SY_SZ_S13_S14_S15_S18_S19_jS1A_jS1B_S1B_jjS1D_bEUljE0_EEESW_SX_SY_S15_S19_S1B_T6_T7_T9_mT8_S1D_bDpT10_ENKUlT_T0_E_clISt17integral_constantIbLb1EES1Q_IbLb0EEEEDaS1M_S1N_EUlS1M_E_NS1_11comp_targetILNS1_3genE5ELNS1_11target_archE942ELNS1_3gpuE9ELNS1_3repE0EEENS1_30default_config_static_selectorELNS0_4arch9wavefront6targetE1EEEvSZ_,comdat
	.globl	_ZN7rocprim17ROCPRIM_400000_NS6detail17trampoline_kernelINS0_13select_configILj256ELj13ELNS0_17block_load_methodE3ELS4_3ELS4_3ELNS0_20block_scan_algorithmE0ELj4294967295EEENS1_25partition_config_selectorILNS1_17partition_subalgoE4EjNS0_10empty_typeEbEEZZNS1_14partition_implILS8_4ELb0ES6_15HIP_vector_typeIjLj2EENS0_17counting_iteratorIjlEEPS9_SG_NS0_5tupleIJPjSI_NS0_16reverse_iteratorISI_EEEEENSH_IJSG_SG_SG_EEES9_SI_JZNS1_25segmented_radix_sort_implINS0_14default_configELb0EPKlPlSQ_SR_N2at6native12_GLOBAL__N_18offset_tEEE10hipError_tPvRmT1_PNSt15iterator_traitsISZ_E10value_typeET2_T3_PNS10_IS15_E10value_typeET4_jRbjT5_S1B_jjP12ihipStream_tbEUljE_ZNSN_ISO_Lb0ESQ_SR_SQ_SR_SV_EESW_SX_SY_SZ_S13_S14_S15_S18_S19_jS1A_jS1B_S1B_jjS1D_bEUljE0_EEESW_SX_SY_S15_S19_S1B_T6_T7_T9_mT8_S1D_bDpT10_ENKUlT_T0_E_clISt17integral_constantIbLb1EES1Q_IbLb0EEEEDaS1M_S1N_EUlS1M_E_NS1_11comp_targetILNS1_3genE5ELNS1_11target_archE942ELNS1_3gpuE9ELNS1_3repE0EEENS1_30default_config_static_selectorELNS0_4arch9wavefront6targetE1EEEvSZ_ ; -- Begin function _ZN7rocprim17ROCPRIM_400000_NS6detail17trampoline_kernelINS0_13select_configILj256ELj13ELNS0_17block_load_methodE3ELS4_3ELS4_3ELNS0_20block_scan_algorithmE0ELj4294967295EEENS1_25partition_config_selectorILNS1_17partition_subalgoE4EjNS0_10empty_typeEbEEZZNS1_14partition_implILS8_4ELb0ES6_15HIP_vector_typeIjLj2EENS0_17counting_iteratorIjlEEPS9_SG_NS0_5tupleIJPjSI_NS0_16reverse_iteratorISI_EEEEENSH_IJSG_SG_SG_EEES9_SI_JZNS1_25segmented_radix_sort_implINS0_14default_configELb0EPKlPlSQ_SR_N2at6native12_GLOBAL__N_18offset_tEEE10hipError_tPvRmT1_PNSt15iterator_traitsISZ_E10value_typeET2_T3_PNS10_IS15_E10value_typeET4_jRbjT5_S1B_jjP12ihipStream_tbEUljE_ZNSN_ISO_Lb0ESQ_SR_SQ_SR_SV_EESW_SX_SY_SZ_S13_S14_S15_S18_S19_jS1A_jS1B_S1B_jjS1D_bEUljE0_EEESW_SX_SY_S15_S19_S1B_T6_T7_T9_mT8_S1D_bDpT10_ENKUlT_T0_E_clISt17integral_constantIbLb1EES1Q_IbLb0EEEEDaS1M_S1N_EUlS1M_E_NS1_11comp_targetILNS1_3genE5ELNS1_11target_archE942ELNS1_3gpuE9ELNS1_3repE0EEENS1_30default_config_static_selectorELNS0_4arch9wavefront6targetE1EEEvSZ_
	.p2align	8
	.type	_ZN7rocprim17ROCPRIM_400000_NS6detail17trampoline_kernelINS0_13select_configILj256ELj13ELNS0_17block_load_methodE3ELS4_3ELS4_3ELNS0_20block_scan_algorithmE0ELj4294967295EEENS1_25partition_config_selectorILNS1_17partition_subalgoE4EjNS0_10empty_typeEbEEZZNS1_14partition_implILS8_4ELb0ES6_15HIP_vector_typeIjLj2EENS0_17counting_iteratorIjlEEPS9_SG_NS0_5tupleIJPjSI_NS0_16reverse_iteratorISI_EEEEENSH_IJSG_SG_SG_EEES9_SI_JZNS1_25segmented_radix_sort_implINS0_14default_configELb0EPKlPlSQ_SR_N2at6native12_GLOBAL__N_18offset_tEEE10hipError_tPvRmT1_PNSt15iterator_traitsISZ_E10value_typeET2_T3_PNS10_IS15_E10value_typeET4_jRbjT5_S1B_jjP12ihipStream_tbEUljE_ZNSN_ISO_Lb0ESQ_SR_SQ_SR_SV_EESW_SX_SY_SZ_S13_S14_S15_S18_S19_jS1A_jS1B_S1B_jjS1D_bEUljE0_EEESW_SX_SY_S15_S19_S1B_T6_T7_T9_mT8_S1D_bDpT10_ENKUlT_T0_E_clISt17integral_constantIbLb1EES1Q_IbLb0EEEEDaS1M_S1N_EUlS1M_E_NS1_11comp_targetILNS1_3genE5ELNS1_11target_archE942ELNS1_3gpuE9ELNS1_3repE0EEENS1_30default_config_static_selectorELNS0_4arch9wavefront6targetE1EEEvSZ_,@function
_ZN7rocprim17ROCPRIM_400000_NS6detail17trampoline_kernelINS0_13select_configILj256ELj13ELNS0_17block_load_methodE3ELS4_3ELS4_3ELNS0_20block_scan_algorithmE0ELj4294967295EEENS1_25partition_config_selectorILNS1_17partition_subalgoE4EjNS0_10empty_typeEbEEZZNS1_14partition_implILS8_4ELb0ES6_15HIP_vector_typeIjLj2EENS0_17counting_iteratorIjlEEPS9_SG_NS0_5tupleIJPjSI_NS0_16reverse_iteratorISI_EEEEENSH_IJSG_SG_SG_EEES9_SI_JZNS1_25segmented_radix_sort_implINS0_14default_configELb0EPKlPlSQ_SR_N2at6native12_GLOBAL__N_18offset_tEEE10hipError_tPvRmT1_PNSt15iterator_traitsISZ_E10value_typeET2_T3_PNS10_IS15_E10value_typeET4_jRbjT5_S1B_jjP12ihipStream_tbEUljE_ZNSN_ISO_Lb0ESQ_SR_SQ_SR_SV_EESW_SX_SY_SZ_S13_S14_S15_S18_S19_jS1A_jS1B_S1B_jjS1D_bEUljE0_EEESW_SX_SY_S15_S19_S1B_T6_T7_T9_mT8_S1D_bDpT10_ENKUlT_T0_E_clISt17integral_constantIbLb1EES1Q_IbLb0EEEEDaS1M_S1N_EUlS1M_E_NS1_11comp_targetILNS1_3genE5ELNS1_11target_archE942ELNS1_3gpuE9ELNS1_3repE0EEENS1_30default_config_static_selectorELNS0_4arch9wavefront6targetE1EEEvSZ_: ; @_ZN7rocprim17ROCPRIM_400000_NS6detail17trampoline_kernelINS0_13select_configILj256ELj13ELNS0_17block_load_methodE3ELS4_3ELS4_3ELNS0_20block_scan_algorithmE0ELj4294967295EEENS1_25partition_config_selectorILNS1_17partition_subalgoE4EjNS0_10empty_typeEbEEZZNS1_14partition_implILS8_4ELb0ES6_15HIP_vector_typeIjLj2EENS0_17counting_iteratorIjlEEPS9_SG_NS0_5tupleIJPjSI_NS0_16reverse_iteratorISI_EEEEENSH_IJSG_SG_SG_EEES9_SI_JZNS1_25segmented_radix_sort_implINS0_14default_configELb0EPKlPlSQ_SR_N2at6native12_GLOBAL__N_18offset_tEEE10hipError_tPvRmT1_PNSt15iterator_traitsISZ_E10value_typeET2_T3_PNS10_IS15_E10value_typeET4_jRbjT5_S1B_jjP12ihipStream_tbEUljE_ZNSN_ISO_Lb0ESQ_SR_SQ_SR_SV_EESW_SX_SY_SZ_S13_S14_S15_S18_S19_jS1A_jS1B_S1B_jjS1D_bEUljE0_EEESW_SX_SY_S15_S19_S1B_T6_T7_T9_mT8_S1D_bDpT10_ENKUlT_T0_E_clISt17integral_constantIbLb1EES1Q_IbLb0EEEEDaS1M_S1N_EUlS1M_E_NS1_11comp_targetILNS1_3genE5ELNS1_11target_archE942ELNS1_3gpuE9ELNS1_3repE0EEENS1_30default_config_static_selectorELNS0_4arch9wavefront6targetE1EEEvSZ_
; %bb.0:
	.section	.rodata,"a",@progbits
	.p2align	6, 0x0
	.amdhsa_kernel _ZN7rocprim17ROCPRIM_400000_NS6detail17trampoline_kernelINS0_13select_configILj256ELj13ELNS0_17block_load_methodE3ELS4_3ELS4_3ELNS0_20block_scan_algorithmE0ELj4294967295EEENS1_25partition_config_selectorILNS1_17partition_subalgoE4EjNS0_10empty_typeEbEEZZNS1_14partition_implILS8_4ELb0ES6_15HIP_vector_typeIjLj2EENS0_17counting_iteratorIjlEEPS9_SG_NS0_5tupleIJPjSI_NS0_16reverse_iteratorISI_EEEEENSH_IJSG_SG_SG_EEES9_SI_JZNS1_25segmented_radix_sort_implINS0_14default_configELb0EPKlPlSQ_SR_N2at6native12_GLOBAL__N_18offset_tEEE10hipError_tPvRmT1_PNSt15iterator_traitsISZ_E10value_typeET2_T3_PNS10_IS15_E10value_typeET4_jRbjT5_S1B_jjP12ihipStream_tbEUljE_ZNSN_ISO_Lb0ESQ_SR_SQ_SR_SV_EESW_SX_SY_SZ_S13_S14_S15_S18_S19_jS1A_jS1B_S1B_jjS1D_bEUljE0_EEESW_SX_SY_S15_S19_S1B_T6_T7_T9_mT8_S1D_bDpT10_ENKUlT_T0_E_clISt17integral_constantIbLb1EES1Q_IbLb0EEEEDaS1M_S1N_EUlS1M_E_NS1_11comp_targetILNS1_3genE5ELNS1_11target_archE942ELNS1_3gpuE9ELNS1_3repE0EEENS1_30default_config_static_selectorELNS0_4arch9wavefront6targetE1EEEvSZ_
		.amdhsa_group_segment_fixed_size 0
		.amdhsa_private_segment_fixed_size 0
		.amdhsa_kernarg_size 176
		.amdhsa_user_sgpr_count 6
		.amdhsa_user_sgpr_private_segment_buffer 1
		.amdhsa_user_sgpr_dispatch_ptr 0
		.amdhsa_user_sgpr_queue_ptr 0
		.amdhsa_user_sgpr_kernarg_segment_ptr 1
		.amdhsa_user_sgpr_dispatch_id 0
		.amdhsa_user_sgpr_flat_scratch_init 0
		.amdhsa_user_sgpr_kernarg_preload_length 0
		.amdhsa_user_sgpr_kernarg_preload_offset 0
		.amdhsa_user_sgpr_private_segment_size 0
		.amdhsa_uses_dynamic_stack 0
		.amdhsa_system_sgpr_private_segment_wavefront_offset 0
		.amdhsa_system_sgpr_workgroup_id_x 1
		.amdhsa_system_sgpr_workgroup_id_y 0
		.amdhsa_system_sgpr_workgroup_id_z 0
		.amdhsa_system_sgpr_workgroup_info 0
		.amdhsa_system_vgpr_workitem_id 0
		.amdhsa_next_free_vgpr 1
		.amdhsa_next_free_sgpr 0
		.amdhsa_accum_offset 4
		.amdhsa_reserve_vcc 0
		.amdhsa_reserve_flat_scratch 0
		.amdhsa_float_round_mode_32 0
		.amdhsa_float_round_mode_16_64 0
		.amdhsa_float_denorm_mode_32 3
		.amdhsa_float_denorm_mode_16_64 3
		.amdhsa_dx10_clamp 1
		.amdhsa_ieee_mode 1
		.amdhsa_fp16_overflow 0
		.amdhsa_tg_split 0
		.amdhsa_exception_fp_ieee_invalid_op 0
		.amdhsa_exception_fp_denorm_src 0
		.amdhsa_exception_fp_ieee_div_zero 0
		.amdhsa_exception_fp_ieee_overflow 0
		.amdhsa_exception_fp_ieee_underflow 0
		.amdhsa_exception_fp_ieee_inexact 0
		.amdhsa_exception_int_div_zero 0
	.end_amdhsa_kernel
	.section	.text._ZN7rocprim17ROCPRIM_400000_NS6detail17trampoline_kernelINS0_13select_configILj256ELj13ELNS0_17block_load_methodE3ELS4_3ELS4_3ELNS0_20block_scan_algorithmE0ELj4294967295EEENS1_25partition_config_selectorILNS1_17partition_subalgoE4EjNS0_10empty_typeEbEEZZNS1_14partition_implILS8_4ELb0ES6_15HIP_vector_typeIjLj2EENS0_17counting_iteratorIjlEEPS9_SG_NS0_5tupleIJPjSI_NS0_16reverse_iteratorISI_EEEEENSH_IJSG_SG_SG_EEES9_SI_JZNS1_25segmented_radix_sort_implINS0_14default_configELb0EPKlPlSQ_SR_N2at6native12_GLOBAL__N_18offset_tEEE10hipError_tPvRmT1_PNSt15iterator_traitsISZ_E10value_typeET2_T3_PNS10_IS15_E10value_typeET4_jRbjT5_S1B_jjP12ihipStream_tbEUljE_ZNSN_ISO_Lb0ESQ_SR_SQ_SR_SV_EESW_SX_SY_SZ_S13_S14_S15_S18_S19_jS1A_jS1B_S1B_jjS1D_bEUljE0_EEESW_SX_SY_S15_S19_S1B_T6_T7_T9_mT8_S1D_bDpT10_ENKUlT_T0_E_clISt17integral_constantIbLb1EES1Q_IbLb0EEEEDaS1M_S1N_EUlS1M_E_NS1_11comp_targetILNS1_3genE5ELNS1_11target_archE942ELNS1_3gpuE9ELNS1_3repE0EEENS1_30default_config_static_selectorELNS0_4arch9wavefront6targetE1EEEvSZ_,"axG",@progbits,_ZN7rocprim17ROCPRIM_400000_NS6detail17trampoline_kernelINS0_13select_configILj256ELj13ELNS0_17block_load_methodE3ELS4_3ELS4_3ELNS0_20block_scan_algorithmE0ELj4294967295EEENS1_25partition_config_selectorILNS1_17partition_subalgoE4EjNS0_10empty_typeEbEEZZNS1_14partition_implILS8_4ELb0ES6_15HIP_vector_typeIjLj2EENS0_17counting_iteratorIjlEEPS9_SG_NS0_5tupleIJPjSI_NS0_16reverse_iteratorISI_EEEEENSH_IJSG_SG_SG_EEES9_SI_JZNS1_25segmented_radix_sort_implINS0_14default_configELb0EPKlPlSQ_SR_N2at6native12_GLOBAL__N_18offset_tEEE10hipError_tPvRmT1_PNSt15iterator_traitsISZ_E10value_typeET2_T3_PNS10_IS15_E10value_typeET4_jRbjT5_S1B_jjP12ihipStream_tbEUljE_ZNSN_ISO_Lb0ESQ_SR_SQ_SR_SV_EESW_SX_SY_SZ_S13_S14_S15_S18_S19_jS1A_jS1B_S1B_jjS1D_bEUljE0_EEESW_SX_SY_S15_S19_S1B_T6_T7_T9_mT8_S1D_bDpT10_ENKUlT_T0_E_clISt17integral_constantIbLb1EES1Q_IbLb0EEEEDaS1M_S1N_EUlS1M_E_NS1_11comp_targetILNS1_3genE5ELNS1_11target_archE942ELNS1_3gpuE9ELNS1_3repE0EEENS1_30default_config_static_selectorELNS0_4arch9wavefront6targetE1EEEvSZ_,comdat
.Lfunc_end760:
	.size	_ZN7rocprim17ROCPRIM_400000_NS6detail17trampoline_kernelINS0_13select_configILj256ELj13ELNS0_17block_load_methodE3ELS4_3ELS4_3ELNS0_20block_scan_algorithmE0ELj4294967295EEENS1_25partition_config_selectorILNS1_17partition_subalgoE4EjNS0_10empty_typeEbEEZZNS1_14partition_implILS8_4ELb0ES6_15HIP_vector_typeIjLj2EENS0_17counting_iteratorIjlEEPS9_SG_NS0_5tupleIJPjSI_NS0_16reverse_iteratorISI_EEEEENSH_IJSG_SG_SG_EEES9_SI_JZNS1_25segmented_radix_sort_implINS0_14default_configELb0EPKlPlSQ_SR_N2at6native12_GLOBAL__N_18offset_tEEE10hipError_tPvRmT1_PNSt15iterator_traitsISZ_E10value_typeET2_T3_PNS10_IS15_E10value_typeET4_jRbjT5_S1B_jjP12ihipStream_tbEUljE_ZNSN_ISO_Lb0ESQ_SR_SQ_SR_SV_EESW_SX_SY_SZ_S13_S14_S15_S18_S19_jS1A_jS1B_S1B_jjS1D_bEUljE0_EEESW_SX_SY_S15_S19_S1B_T6_T7_T9_mT8_S1D_bDpT10_ENKUlT_T0_E_clISt17integral_constantIbLb1EES1Q_IbLb0EEEEDaS1M_S1N_EUlS1M_E_NS1_11comp_targetILNS1_3genE5ELNS1_11target_archE942ELNS1_3gpuE9ELNS1_3repE0EEENS1_30default_config_static_selectorELNS0_4arch9wavefront6targetE1EEEvSZ_, .Lfunc_end760-_ZN7rocprim17ROCPRIM_400000_NS6detail17trampoline_kernelINS0_13select_configILj256ELj13ELNS0_17block_load_methodE3ELS4_3ELS4_3ELNS0_20block_scan_algorithmE0ELj4294967295EEENS1_25partition_config_selectorILNS1_17partition_subalgoE4EjNS0_10empty_typeEbEEZZNS1_14partition_implILS8_4ELb0ES6_15HIP_vector_typeIjLj2EENS0_17counting_iteratorIjlEEPS9_SG_NS0_5tupleIJPjSI_NS0_16reverse_iteratorISI_EEEEENSH_IJSG_SG_SG_EEES9_SI_JZNS1_25segmented_radix_sort_implINS0_14default_configELb0EPKlPlSQ_SR_N2at6native12_GLOBAL__N_18offset_tEEE10hipError_tPvRmT1_PNSt15iterator_traitsISZ_E10value_typeET2_T3_PNS10_IS15_E10value_typeET4_jRbjT5_S1B_jjP12ihipStream_tbEUljE_ZNSN_ISO_Lb0ESQ_SR_SQ_SR_SV_EESW_SX_SY_SZ_S13_S14_S15_S18_S19_jS1A_jS1B_S1B_jjS1D_bEUljE0_EEESW_SX_SY_S15_S19_S1B_T6_T7_T9_mT8_S1D_bDpT10_ENKUlT_T0_E_clISt17integral_constantIbLb1EES1Q_IbLb0EEEEDaS1M_S1N_EUlS1M_E_NS1_11comp_targetILNS1_3genE5ELNS1_11target_archE942ELNS1_3gpuE9ELNS1_3repE0EEENS1_30default_config_static_selectorELNS0_4arch9wavefront6targetE1EEEvSZ_
                                        ; -- End function
	.section	.AMDGPU.csdata,"",@progbits
; Kernel info:
; codeLenInByte = 0
; NumSgprs: 4
; NumVgprs: 0
; NumAgprs: 0
; TotalNumVgprs: 0
; ScratchSize: 0
; MemoryBound: 0
; FloatMode: 240
; IeeeMode: 1
; LDSByteSize: 0 bytes/workgroup (compile time only)
; SGPRBlocks: 0
; VGPRBlocks: 0
; NumSGPRsForWavesPerEU: 4
; NumVGPRsForWavesPerEU: 1
; AccumOffset: 4
; Occupancy: 8
; WaveLimiterHint : 0
; COMPUTE_PGM_RSRC2:SCRATCH_EN: 0
; COMPUTE_PGM_RSRC2:USER_SGPR: 6
; COMPUTE_PGM_RSRC2:TRAP_HANDLER: 0
; COMPUTE_PGM_RSRC2:TGID_X_EN: 1
; COMPUTE_PGM_RSRC2:TGID_Y_EN: 0
; COMPUTE_PGM_RSRC2:TGID_Z_EN: 0
; COMPUTE_PGM_RSRC2:TIDIG_COMP_CNT: 0
; COMPUTE_PGM_RSRC3_GFX90A:ACCUM_OFFSET: 0
; COMPUTE_PGM_RSRC3_GFX90A:TG_SPLIT: 0
	.section	.text._ZN7rocprim17ROCPRIM_400000_NS6detail17trampoline_kernelINS0_13select_configILj256ELj13ELNS0_17block_load_methodE3ELS4_3ELS4_3ELNS0_20block_scan_algorithmE0ELj4294967295EEENS1_25partition_config_selectorILNS1_17partition_subalgoE4EjNS0_10empty_typeEbEEZZNS1_14partition_implILS8_4ELb0ES6_15HIP_vector_typeIjLj2EENS0_17counting_iteratorIjlEEPS9_SG_NS0_5tupleIJPjSI_NS0_16reverse_iteratorISI_EEEEENSH_IJSG_SG_SG_EEES9_SI_JZNS1_25segmented_radix_sort_implINS0_14default_configELb0EPKlPlSQ_SR_N2at6native12_GLOBAL__N_18offset_tEEE10hipError_tPvRmT1_PNSt15iterator_traitsISZ_E10value_typeET2_T3_PNS10_IS15_E10value_typeET4_jRbjT5_S1B_jjP12ihipStream_tbEUljE_ZNSN_ISO_Lb0ESQ_SR_SQ_SR_SV_EESW_SX_SY_SZ_S13_S14_S15_S18_S19_jS1A_jS1B_S1B_jjS1D_bEUljE0_EEESW_SX_SY_S15_S19_S1B_T6_T7_T9_mT8_S1D_bDpT10_ENKUlT_T0_E_clISt17integral_constantIbLb1EES1Q_IbLb0EEEEDaS1M_S1N_EUlS1M_E_NS1_11comp_targetILNS1_3genE4ELNS1_11target_archE910ELNS1_3gpuE8ELNS1_3repE0EEENS1_30default_config_static_selectorELNS0_4arch9wavefront6targetE1EEEvSZ_,"axG",@progbits,_ZN7rocprim17ROCPRIM_400000_NS6detail17trampoline_kernelINS0_13select_configILj256ELj13ELNS0_17block_load_methodE3ELS4_3ELS4_3ELNS0_20block_scan_algorithmE0ELj4294967295EEENS1_25partition_config_selectorILNS1_17partition_subalgoE4EjNS0_10empty_typeEbEEZZNS1_14partition_implILS8_4ELb0ES6_15HIP_vector_typeIjLj2EENS0_17counting_iteratorIjlEEPS9_SG_NS0_5tupleIJPjSI_NS0_16reverse_iteratorISI_EEEEENSH_IJSG_SG_SG_EEES9_SI_JZNS1_25segmented_radix_sort_implINS0_14default_configELb0EPKlPlSQ_SR_N2at6native12_GLOBAL__N_18offset_tEEE10hipError_tPvRmT1_PNSt15iterator_traitsISZ_E10value_typeET2_T3_PNS10_IS15_E10value_typeET4_jRbjT5_S1B_jjP12ihipStream_tbEUljE_ZNSN_ISO_Lb0ESQ_SR_SQ_SR_SV_EESW_SX_SY_SZ_S13_S14_S15_S18_S19_jS1A_jS1B_S1B_jjS1D_bEUljE0_EEESW_SX_SY_S15_S19_S1B_T6_T7_T9_mT8_S1D_bDpT10_ENKUlT_T0_E_clISt17integral_constantIbLb1EES1Q_IbLb0EEEEDaS1M_S1N_EUlS1M_E_NS1_11comp_targetILNS1_3genE4ELNS1_11target_archE910ELNS1_3gpuE8ELNS1_3repE0EEENS1_30default_config_static_selectorELNS0_4arch9wavefront6targetE1EEEvSZ_,comdat
	.globl	_ZN7rocprim17ROCPRIM_400000_NS6detail17trampoline_kernelINS0_13select_configILj256ELj13ELNS0_17block_load_methodE3ELS4_3ELS4_3ELNS0_20block_scan_algorithmE0ELj4294967295EEENS1_25partition_config_selectorILNS1_17partition_subalgoE4EjNS0_10empty_typeEbEEZZNS1_14partition_implILS8_4ELb0ES6_15HIP_vector_typeIjLj2EENS0_17counting_iteratorIjlEEPS9_SG_NS0_5tupleIJPjSI_NS0_16reverse_iteratorISI_EEEEENSH_IJSG_SG_SG_EEES9_SI_JZNS1_25segmented_radix_sort_implINS0_14default_configELb0EPKlPlSQ_SR_N2at6native12_GLOBAL__N_18offset_tEEE10hipError_tPvRmT1_PNSt15iterator_traitsISZ_E10value_typeET2_T3_PNS10_IS15_E10value_typeET4_jRbjT5_S1B_jjP12ihipStream_tbEUljE_ZNSN_ISO_Lb0ESQ_SR_SQ_SR_SV_EESW_SX_SY_SZ_S13_S14_S15_S18_S19_jS1A_jS1B_S1B_jjS1D_bEUljE0_EEESW_SX_SY_S15_S19_S1B_T6_T7_T9_mT8_S1D_bDpT10_ENKUlT_T0_E_clISt17integral_constantIbLb1EES1Q_IbLb0EEEEDaS1M_S1N_EUlS1M_E_NS1_11comp_targetILNS1_3genE4ELNS1_11target_archE910ELNS1_3gpuE8ELNS1_3repE0EEENS1_30default_config_static_selectorELNS0_4arch9wavefront6targetE1EEEvSZ_ ; -- Begin function _ZN7rocprim17ROCPRIM_400000_NS6detail17trampoline_kernelINS0_13select_configILj256ELj13ELNS0_17block_load_methodE3ELS4_3ELS4_3ELNS0_20block_scan_algorithmE0ELj4294967295EEENS1_25partition_config_selectorILNS1_17partition_subalgoE4EjNS0_10empty_typeEbEEZZNS1_14partition_implILS8_4ELb0ES6_15HIP_vector_typeIjLj2EENS0_17counting_iteratorIjlEEPS9_SG_NS0_5tupleIJPjSI_NS0_16reverse_iteratorISI_EEEEENSH_IJSG_SG_SG_EEES9_SI_JZNS1_25segmented_radix_sort_implINS0_14default_configELb0EPKlPlSQ_SR_N2at6native12_GLOBAL__N_18offset_tEEE10hipError_tPvRmT1_PNSt15iterator_traitsISZ_E10value_typeET2_T3_PNS10_IS15_E10value_typeET4_jRbjT5_S1B_jjP12ihipStream_tbEUljE_ZNSN_ISO_Lb0ESQ_SR_SQ_SR_SV_EESW_SX_SY_SZ_S13_S14_S15_S18_S19_jS1A_jS1B_S1B_jjS1D_bEUljE0_EEESW_SX_SY_S15_S19_S1B_T6_T7_T9_mT8_S1D_bDpT10_ENKUlT_T0_E_clISt17integral_constantIbLb1EES1Q_IbLb0EEEEDaS1M_S1N_EUlS1M_E_NS1_11comp_targetILNS1_3genE4ELNS1_11target_archE910ELNS1_3gpuE8ELNS1_3repE0EEENS1_30default_config_static_selectorELNS0_4arch9wavefront6targetE1EEEvSZ_
	.p2align	8
	.type	_ZN7rocprim17ROCPRIM_400000_NS6detail17trampoline_kernelINS0_13select_configILj256ELj13ELNS0_17block_load_methodE3ELS4_3ELS4_3ELNS0_20block_scan_algorithmE0ELj4294967295EEENS1_25partition_config_selectorILNS1_17partition_subalgoE4EjNS0_10empty_typeEbEEZZNS1_14partition_implILS8_4ELb0ES6_15HIP_vector_typeIjLj2EENS0_17counting_iteratorIjlEEPS9_SG_NS0_5tupleIJPjSI_NS0_16reverse_iteratorISI_EEEEENSH_IJSG_SG_SG_EEES9_SI_JZNS1_25segmented_radix_sort_implINS0_14default_configELb0EPKlPlSQ_SR_N2at6native12_GLOBAL__N_18offset_tEEE10hipError_tPvRmT1_PNSt15iterator_traitsISZ_E10value_typeET2_T3_PNS10_IS15_E10value_typeET4_jRbjT5_S1B_jjP12ihipStream_tbEUljE_ZNSN_ISO_Lb0ESQ_SR_SQ_SR_SV_EESW_SX_SY_SZ_S13_S14_S15_S18_S19_jS1A_jS1B_S1B_jjS1D_bEUljE0_EEESW_SX_SY_S15_S19_S1B_T6_T7_T9_mT8_S1D_bDpT10_ENKUlT_T0_E_clISt17integral_constantIbLb1EES1Q_IbLb0EEEEDaS1M_S1N_EUlS1M_E_NS1_11comp_targetILNS1_3genE4ELNS1_11target_archE910ELNS1_3gpuE8ELNS1_3repE0EEENS1_30default_config_static_selectorELNS0_4arch9wavefront6targetE1EEEvSZ_,@function
_ZN7rocprim17ROCPRIM_400000_NS6detail17trampoline_kernelINS0_13select_configILj256ELj13ELNS0_17block_load_methodE3ELS4_3ELS4_3ELNS0_20block_scan_algorithmE0ELj4294967295EEENS1_25partition_config_selectorILNS1_17partition_subalgoE4EjNS0_10empty_typeEbEEZZNS1_14partition_implILS8_4ELb0ES6_15HIP_vector_typeIjLj2EENS0_17counting_iteratorIjlEEPS9_SG_NS0_5tupleIJPjSI_NS0_16reverse_iteratorISI_EEEEENSH_IJSG_SG_SG_EEES9_SI_JZNS1_25segmented_radix_sort_implINS0_14default_configELb0EPKlPlSQ_SR_N2at6native12_GLOBAL__N_18offset_tEEE10hipError_tPvRmT1_PNSt15iterator_traitsISZ_E10value_typeET2_T3_PNS10_IS15_E10value_typeET4_jRbjT5_S1B_jjP12ihipStream_tbEUljE_ZNSN_ISO_Lb0ESQ_SR_SQ_SR_SV_EESW_SX_SY_SZ_S13_S14_S15_S18_S19_jS1A_jS1B_S1B_jjS1D_bEUljE0_EEESW_SX_SY_S15_S19_S1B_T6_T7_T9_mT8_S1D_bDpT10_ENKUlT_T0_E_clISt17integral_constantIbLb1EES1Q_IbLb0EEEEDaS1M_S1N_EUlS1M_E_NS1_11comp_targetILNS1_3genE4ELNS1_11target_archE910ELNS1_3gpuE8ELNS1_3repE0EEENS1_30default_config_static_selectorELNS0_4arch9wavefront6targetE1EEEvSZ_: ; @_ZN7rocprim17ROCPRIM_400000_NS6detail17trampoline_kernelINS0_13select_configILj256ELj13ELNS0_17block_load_methodE3ELS4_3ELS4_3ELNS0_20block_scan_algorithmE0ELj4294967295EEENS1_25partition_config_selectorILNS1_17partition_subalgoE4EjNS0_10empty_typeEbEEZZNS1_14partition_implILS8_4ELb0ES6_15HIP_vector_typeIjLj2EENS0_17counting_iteratorIjlEEPS9_SG_NS0_5tupleIJPjSI_NS0_16reverse_iteratorISI_EEEEENSH_IJSG_SG_SG_EEES9_SI_JZNS1_25segmented_radix_sort_implINS0_14default_configELb0EPKlPlSQ_SR_N2at6native12_GLOBAL__N_18offset_tEEE10hipError_tPvRmT1_PNSt15iterator_traitsISZ_E10value_typeET2_T3_PNS10_IS15_E10value_typeET4_jRbjT5_S1B_jjP12ihipStream_tbEUljE_ZNSN_ISO_Lb0ESQ_SR_SQ_SR_SV_EESW_SX_SY_SZ_S13_S14_S15_S18_S19_jS1A_jS1B_S1B_jjS1D_bEUljE0_EEESW_SX_SY_S15_S19_S1B_T6_T7_T9_mT8_S1D_bDpT10_ENKUlT_T0_E_clISt17integral_constantIbLb1EES1Q_IbLb0EEEEDaS1M_S1N_EUlS1M_E_NS1_11comp_targetILNS1_3genE4ELNS1_11target_archE910ELNS1_3gpuE8ELNS1_3repE0EEENS1_30default_config_static_selectorELNS0_4arch9wavefront6targetE1EEEvSZ_
; %bb.0:
	s_load_dwordx2 s[0:1], s[4:5], 0x68
	s_load_dword s7, s[4:5], 0x8
	s_load_dwordx2 s[56:57], s[4:5], 0x10
	s_load_dwordx4 s[44:47], s[4:5], 0x58
	s_mul_i32 s33, s6, 0xd00
	s_waitcnt lgkmcnt(0)
	v_mov_b32_e32 v3, s1
	v_mov_b32_e32 v2, s0
	s_load_dword s1, s[4:5], 0x80
	s_load_dwordx2 s[60:61], s[4:5], 0xa8
	s_load_dwordx8 s[36:43], s[4:5], 0x88
	s_load_dwordx4 s[48:51], s[46:47], 0x0
	s_waitcnt lgkmcnt(0)
	s_add_i32 s8, s1, -1
	s_mulk_i32 s1, 0xd00
	s_add_u32 s2, s56, s1
	s_addc_u32 s3, s57, 0
	s_cmp_eq_u32 s6, s8
	s_cselect_b64 s[30:31], -1, 0
	s_cmp_lg_u32 s6, s8
	v_cmp_lt_u64_e32 vcc, s[2:3], v[2:3]
	s_cselect_b64 s[2:3], -1, 0
	s_add_i32 s7, s7, s33
	s_or_b64 s[2:3], s[2:3], vcc
	s_add_i32 s7, s7, s56
	v_add_u32_e32 v1, s7, v0
	s_mov_b64 s[8:9], -1
	s_and_b64 vcc, exec, s[2:3]
	s_cbranch_vccz .LBB761_2
; %bb.1:
	v_add_u32_e32 v2, 0x100, v1
	v_lshlrev_b32_e32 v14, 2, v0
	v_add_u32_e32 v3, 0x200, v1
	v_add_u32_e32 v4, 0x300, v1
	v_add_u32_e32 v5, 0x400, v1
	v_add_u32_e32 v6, 0x500, v1
	v_add_u32_e32 v7, 0x600, v1
	v_add_u32_e32 v8, 0x700, v1
	v_add_u32_e32 v9, 0x800, v1
	v_add_u32_e32 v10, 0x900, v1
	v_add_u32_e32 v11, 0xa00, v1
	v_add_u32_e32 v12, 0xb00, v1
	v_add_u32_e32 v13, 0xc00, v1
	ds_write2st64_b32 v14, v1, v2 offset1:4
	ds_write2st64_b32 v14, v3, v4 offset0:8 offset1:12
	ds_write2st64_b32 v14, v5, v6 offset0:16 offset1:20
	;; [unrolled: 1-line block ×5, first 2 shown]
	ds_write_b32 v14, v13 offset:12288
	s_waitcnt lgkmcnt(0)
	s_barrier
	s_mov_b64 s[8:9], 0
.LBB761_2:
	s_andn2_b64 vcc, exec, s[8:9]
	s_add_i32 s1, s1, s56
	s_cbranch_vccnz .LBB761_4
; %bb.3:
	v_add_u32_e32 v2, 0x100, v1
	v_lshlrev_b32_e32 v14, 2, v0
	v_add_u32_e32 v3, 0x200, v1
	v_add_u32_e32 v4, 0x300, v1
	v_add_u32_e32 v5, 0x400, v1
	v_add_u32_e32 v6, 0x500, v1
	v_add_u32_e32 v7, 0x600, v1
	v_add_u32_e32 v8, 0x700, v1
	v_add_u32_e32 v9, 0x800, v1
	v_add_u32_e32 v10, 0x900, v1
	v_add_u32_e32 v11, 0xa00, v1
	v_add_u32_e32 v12, 0xb00, v1
	v_add_u32_e32 v13, 0xc00, v1
	ds_write2st64_b32 v14, v1, v2 offset1:4
	ds_write2st64_b32 v14, v3, v4 offset0:8 offset1:12
	ds_write2st64_b32 v14, v5, v6 offset0:16 offset1:20
	;; [unrolled: 1-line block ×5, first 2 shown]
	ds_write_b32 v14, v13 offset:12288
	s_waitcnt lgkmcnt(0)
	s_barrier
.LBB761_4:
	v_mul_u32_u24_e32 v31, 13, v0
	v_lshlrev_b32_e32 v1, 2, v31
	s_load_dwordx4 s[52:55], s[4:5], 0x28
	s_load_dwordx2 s[34:35], s[4:5], 0x38
	s_waitcnt lgkmcnt(0)
	ds_read2_b32 v[18:19], v1 offset1:1
	ds_read2_b32 v[16:17], v1 offset0:2 offset1:3
	ds_read2_b32 v[14:15], v1 offset0:4 offset1:5
	;; [unrolled: 1-line block ×5, first 2 shown]
	ds_read_b32 v30, v1 offset:48
	v_cndmask_b32_e64 v1, 0, 1, s[2:3]
	s_sub_i32 s7, s0, s1
	v_cmp_ne_u32_e64 s[0:1], 1, v1
	s_andn2_b64 vcc, exec, s[2:3]
	s_waitcnt lgkmcnt(0)
	s_barrier
	s_cbranch_vccnz .LBB761_32
; %bb.5:
	v_add_u32_e32 v1, s37, v18
	v_add_u32_e32 v2, s39, v18
	v_mul_lo_u32 v1, v1, s36
	v_mul_lo_u32 v2, v2, s38
	v_sub_u32_e32 v1, v1, v2
	v_cmp_lt_u32_e32 vcc, s40, v1
	v_cmp_ge_u32_e64 s[2:3], s40, v1
	s_mov_b64 s[64:65], 0
	s_mov_b64 s[62:63], 0
	s_and_saveexec_b64 s[8:9], s[2:3]
; %bb.6:
	v_add_u32_e32 v1, s42, v18
	v_add_u32_e32 v2, s60, v18
	v_mul_lo_u32 v1, v1, s41
	v_mul_lo_u32 v2, v2, s43
	v_sub_u32_e32 v1, v1, v2
	v_cmp_lt_u32_e64 s[2:3], s61, v1
	s_and_b64 s[62:63], s[2:3], exec
; %bb.7:
	s_or_b64 exec, exec, s[8:9]
	v_add_u32_e32 v1, s37, v19
	v_add_u32_e32 v2, s39, v19
	v_mul_lo_u32 v1, v1, s36
	v_mul_lo_u32 v2, v2, s38
	v_sub_u32_e32 v1, v1, v2
	v_cmp_lt_u32_e64 s[2:3], s40, v1
	v_cmp_ge_u32_e64 s[8:9], s40, v1
	s_and_saveexec_b64 s[10:11], s[8:9]
; %bb.8:
	v_add_u32_e32 v1, s42, v19
	v_add_u32_e32 v2, s60, v19
	v_mul_lo_u32 v1, v1, s41
	v_mul_lo_u32 v2, v2, s43
	v_sub_u32_e32 v1, v1, v2
	v_cmp_lt_u32_e64 s[8:9], s61, v1
	s_and_b64 s[64:65], s[8:9], exec
; %bb.9:
	s_or_b64 exec, exec, s[10:11]
	v_add_u32_e32 v1, s37, v16
	v_add_u32_e32 v2, s39, v16
	v_mul_lo_u32 v1, v1, s36
	v_mul_lo_u32 v2, v2, s38
	v_sub_u32_e32 v1, v1, v2
	v_cmp_lt_u32_e64 s[26:27], s40, v1
	v_cmp_ge_u32_e64 s[8:9], s40, v1
	s_mov_b64 s[68:69], 0
	s_mov_b64 s[66:67], 0
	s_and_saveexec_b64 s[10:11], s[8:9]
; %bb.10:
	v_add_u32_e32 v1, s42, v16
	v_add_u32_e32 v2, s60, v16
	v_mul_lo_u32 v1, v1, s41
	v_mul_lo_u32 v2, v2, s43
	v_sub_u32_e32 v1, v1, v2
	v_cmp_lt_u32_e64 s[8:9], s61, v1
	s_and_b64 s[66:67], s[8:9], exec
; %bb.11:
	s_or_b64 exec, exec, s[10:11]
	v_add_u32_e32 v1, s37, v17
	v_add_u32_e32 v2, s39, v17
	v_mul_lo_u32 v1, v1, s36
	v_mul_lo_u32 v2, v2, s38
	v_sub_u32_e32 v1, v1, v2
	v_cmp_lt_u32_e64 s[8:9], s40, v1
	v_cmp_ge_u32_e64 s[10:11], s40, v1
	s_and_saveexec_b64 s[12:13], s[10:11]
; %bb.12:
	v_add_u32_e32 v1, s42, v17
	v_add_u32_e32 v2, s60, v17
	v_mul_lo_u32 v1, v1, s41
	v_mul_lo_u32 v2, v2, s43
	v_sub_u32_e32 v1, v1, v2
	v_cmp_lt_u32_e64 s[10:11], s61, v1
	s_and_b64 s[68:69], s[10:11], exec
; %bb.13:
	s_or_b64 exec, exec, s[12:13]
	v_add_u32_e32 v1, s37, v14
	v_add_u32_e32 v2, s39, v14
	v_mul_lo_u32 v1, v1, s36
	v_mul_lo_u32 v2, v2, s38
	v_sub_u32_e32 v1, v1, v2
	v_cmp_lt_u32_e64 s[10:11], s40, v1
	;; [unrolled: 38-line block ×5, first 2 shown]
	v_cmp_ge_u32_e64 s[24:25], s40, v1
	s_mov_b64 s[84:85], 0
	s_mov_b64 s[86:87], 0
	s_and_saveexec_b64 s[28:29], s[24:25]
; %bb.26:
	v_add_u32_e32 v1, s42, v8
	v_add_u32_e32 v2, s60, v8
	v_mul_lo_u32 v1, v1, s41
	v_mul_lo_u32 v2, v2, s43
	v_sub_u32_e32 v1, v1, v2
	v_cmp_lt_u32_e64 s[24:25], s61, v1
	s_and_b64 s[86:87], s[24:25], exec
; %bb.27:
	s_or_b64 exec, exec, s[28:29]
	v_add_u32_e32 v1, s37, v9
	v_add_u32_e32 v2, s39, v9
	v_mul_lo_u32 v1, v1, s36
	v_mul_lo_u32 v2, v2, s38
	v_sub_u32_e32 v1, v1, v2
	v_cmp_lt_u32_e64 s[24:25], s40, v1
	v_cmp_ge_u32_e64 s[28:29], s40, v1
	s_and_saveexec_b64 s[46:47], s[28:29]
; %bb.28:
	v_add_u32_e32 v1, s42, v9
	v_add_u32_e32 v2, s60, v9
	v_mul_lo_u32 v1, v1, s41
	v_mul_lo_u32 v2, v2, s43
	v_sub_u32_e32 v1, v1, v2
	v_cmp_lt_u32_e64 s[28:29], s61, v1
	s_and_b64 s[84:85], s[28:29], exec
; %bb.29:
	s_or_b64 exec, exec, s[46:47]
	v_add_u32_e32 v1, s37, v30
	v_add_u32_e32 v2, s39, v30
	v_mul_lo_u32 v1, v1, s36
	v_mul_lo_u32 v2, v2, s38
	v_sub_u32_e32 v1, v1, v2
	v_cmp_ge_u32_e64 s[28:29], s40, v1
	s_mov_b64 s[46:47], -1
	s_mov_b64 s[78:79], 0
	s_mov_b64 s[58:59], 0
	s_and_saveexec_b64 s[88:89], s[28:29]
; %bb.30:
	v_add_u32_e32 v1, s42, v30
	v_add_u32_e32 v2, s60, v30
	v_mul_lo_u32 v1, v1, s41
	v_mul_lo_u32 v2, v2, s43
	v_sub_u32_e32 v1, v1, v2
	v_cmp_lt_u32_e64 s[28:29], s61, v1
	s_and_b64 s[58:59], s[28:29], exec
	s_xor_b64 s[46:47], exec, -1
; %bb.31:
	s_or_b64 exec, exec, s[88:89]
	v_cndmask_b32_e64 v52, 0, 1, s[86:87]
	v_cndmask_b32_e64 v55, 0, 1, s[24:25]
	;; [unrolled: 1-line block ×22, first 2 shown]
	v_cndmask_b32_e64 v32, 0, 1, vcc
	v_cndmask_b32_e64 v54, 0, 1, s[84:85]
	s_load_dwordx2 s[12:13], s[4:5], 0x78
	s_add_i32 s18, s7, 0xd00
	s_and_b64 vcc, exec, s[78:79]
	s_cbranch_vccnz .LBB761_33
	s_branch .LBB761_86
.LBB761_32:
                                        ; implicit-def: $sgpr46_sgpr47
                                        ; implicit-def: $sgpr58_sgpr59
                                        ; implicit-def: $vgpr54
                                        ; implicit-def: $vgpr52
                                        ; implicit-def: $vgpr50
                                        ; implicit-def: $vgpr48
                                        ; implicit-def: $vgpr46
                                        ; implicit-def: $vgpr44
                                        ; implicit-def: $vgpr42
                                        ; implicit-def: $vgpr40
                                        ; implicit-def: $vgpr38
                                        ; implicit-def: $vgpr32
                                        ; implicit-def: $vgpr34
                                        ; implicit-def: $vgpr36
                                        ; implicit-def: $vgpr39
                                        ; implicit-def: $vgpr41
                                        ; implicit-def: $vgpr43
                                        ; implicit-def: $vgpr45
                                        ; implicit-def: $vgpr47
                                        ; implicit-def: $vgpr49
                                        ; implicit-def: $vgpr51
                                        ; implicit-def: $vgpr53
                                        ; implicit-def: $vgpr55
                                        ; implicit-def: $vgpr33
                                        ; implicit-def: $vgpr35
                                        ; implicit-def: $vgpr37
	s_load_dwordx2 s[12:13], s[4:5], 0x78
	s_add_i32 s18, s7, 0xd00
	s_cbranch_execz .LBB761_86
.LBB761_33:
	v_cmp_gt_u32_e32 vcc, s18, v31
	v_mov_b32_e32 v33, 0
	v_mov_b32_e32 v32, 0
	s_and_saveexec_b64 s[4:5], vcc
	s_cbranch_execz .LBB761_37
; %bb.34:
	v_add_u32_e32 v1, s37, v18
	v_add_u32_e32 v2, s39, v18
	v_mul_lo_u32 v1, v1, s36
	v_mul_lo_u32 v2, v2, s38
	v_sub_u32_e32 v1, v1, v2
	v_cmp_lt_u32_e32 vcc, s40, v1
	v_cmp_ge_u32_e64 s[2:3], s40, v1
	s_mov_b64 s[10:11], 0
	s_and_saveexec_b64 s[8:9], s[2:3]
; %bb.35:
	v_add_u32_e32 v1, s42, v18
	v_add_u32_e32 v2, s60, v18
	v_mul_lo_u32 v1, v1, s41
	v_mul_lo_u32 v2, v2, s43
	v_sub_u32_e32 v1, v1, v2
	v_cmp_lt_u32_e64 s[2:3], s61, v1
	s_and_b64 s[10:11], s[2:3], exec
; %bb.36:
	s_or_b64 exec, exec, s[8:9]
	v_cndmask_b32_e64 v32, 0, 1, vcc
	v_cndmask_b32_e64 v33, 0, 1, s[10:11]
.LBB761_37:
	s_or_b64 exec, exec, s[4:5]
	v_add_u32_e32 v1, 1, v31
	v_cmp_gt_u32_e32 vcc, s18, v1
	v_mov_b32_e32 v34, 0
	v_mov_b32_e32 v35, 0
	s_and_saveexec_b64 s[4:5], vcc
	s_cbranch_execz .LBB761_41
; %bb.38:
	v_add_u32_e32 v1, s37, v19
	v_add_u32_e32 v2, s39, v19
	v_mul_lo_u32 v1, v1, s36
	v_mul_lo_u32 v2, v2, s38
	v_sub_u32_e32 v1, v1, v2
	v_cmp_lt_u32_e32 vcc, s40, v1
	v_cmp_ge_u32_e64 s[2:3], s40, v1
	s_mov_b64 s[10:11], 0
	s_and_saveexec_b64 s[8:9], s[2:3]
; %bb.39:
	v_add_u32_e32 v1, s42, v19
	v_add_u32_e32 v2, s60, v19
	v_mul_lo_u32 v1, v1, s41
	v_mul_lo_u32 v2, v2, s43
	v_sub_u32_e32 v1, v1, v2
	v_cmp_lt_u32_e64 s[2:3], s61, v1
	s_and_b64 s[10:11], s[2:3], exec
; %bb.40:
	s_or_b64 exec, exec, s[8:9]
	v_cndmask_b32_e64 v34, 0, 1, vcc
	v_cndmask_b32_e64 v35, 0, 1, s[10:11]
.LBB761_41:
	s_or_b64 exec, exec, s[4:5]
	v_add_u32_e32 v1, 2, v31
	;; [unrolled: 30-line block ×12, first 2 shown]
	v_cmp_gt_u32_e32 vcc, s18, v1
	s_mov_b64 s[46:47], 0
	s_mov_b64 s[58:59], 0
	s_and_saveexec_b64 s[2:3], vcc
	s_cbranch_execz .LBB761_85
; %bb.82:
	v_add_u32_e32 v1, s37, v30
	v_add_u32_e32 v2, s39, v30
	v_mul_lo_u32 v1, v1, s36
	v_mul_lo_u32 v2, v2, s38
	v_sub_u32_e32 v1, v1, v2
	v_cmp_ge_u32_e32 vcc, s40, v1
	s_mov_b64 s[8:9], -1
	s_mov_b64 s[10:11], 0
	s_and_saveexec_b64 s[4:5], vcc
; %bb.83:
	v_add_u32_e32 v1, s42, v30
	v_add_u32_e32 v2, s60, v30
	v_mul_lo_u32 v1, v1, s41
	v_mul_lo_u32 v2, v2, s43
	v_sub_u32_e32 v1, v1, v2
	v_cmp_lt_u32_e32 vcc, s61, v1
	s_and_b64 s[10:11], vcc, exec
	s_xor_b64 s[8:9], exec, -1
; %bb.84:
	s_or_b64 exec, exec, s[4:5]
	s_and_b64 s[58:59], s[10:11], exec
	s_and_b64 s[46:47], s[8:9], exec
.LBB761_85:
	s_or_b64 exec, exec, s[2:3]
.LBB761_86:
	v_and_b32_e32 v63, 0xff, v33
	v_and_b32_e32 v74, 0xff, v35
	;; [unrolled: 1-line block ×5, first 2 shown]
	v_add3_u32 v2, v74, v65, v63
	v_and_b32_e32 v76, 0xff, v42
	v_and_b32_e32 v69, 0xff, v44
	v_add3_u32 v2, v2, v75, v67
	v_and_b32_e32 v62, 0xff, v32
	v_and_b32_e32 v56, 0xff, v34
	;; [unrolled: 1-line block ×5, first 2 shown]
	v_add3_u32 v2, v2, v76, v69
	v_and_b32_e32 v57, 0xff, v39
	v_and_b32_e32 v66, 0xff, v41
	;; [unrolled: 1-line block ×4, first 2 shown]
	v_add3_u32 v3, v56, v64, v62
	v_add3_u32 v2, v2, v77, v71
	v_and_b32_e32 v58, 0xff, v43
	v_and_b32_e32 v68, 0xff, v45
	;; [unrolled: 1-line block ×3, first 2 shown]
	v_cndmask_b32_e64 v1, 0, 1, s[58:59]
	v_add3_u32 v3, v3, v57, v66
	v_add3_u32 v2, v2, v78, v73
	v_and_b32_e32 v59, 0xff, v47
	v_and_b32_e32 v70, 0xff, v49
	v_add3_u32 v3, v3, v58, v68
	v_add3_u32 v86, v2, v79, v1
	v_mbcnt_lo_u32_b32 v1, -1, 0
	v_and_b32_e32 v60, 0xff, v51
	v_and_b32_e32 v72, 0xff, v53
	v_add3_u32 v3, v3, v59, v70
	v_mbcnt_hi_u32_b32 v80, -1, v1
	v_and_b32_e32 v61, 0xff, v55
	v_add3_u32 v3, v3, v60, v72
	v_cndmask_b32_e64 v4, 0, 1, s[46:47]
	v_and_b32_e32 v84, 15, v80
	s_cmp_lg_u32 s6, 0
	v_add3_u32 v85, v3, v61, v4
	v_cmp_eq_u32_e64 s[4:5], 0, v84
	v_cmp_lt_u32_e64 s[2:3], 1, v84
	v_cmp_lt_u32_e64 s[8:9], 3, v84
	;; [unrolled: 1-line block ×3, first 2 shown]
	v_and_b32_e32 v83, 16, v80
	v_cmp_lt_u32_e32 vcc, 31, v80
	v_lshrrev_b32_e32 v81, 6, v0
	v_or_b32_e32 v82, 63, v0
	s_cbranch_scc0 .LBB761_119
; %bb.87:
	v_mov_b32_dpp v1, v85 row_shr:1 row_mask:0xf bank_mask:0xf
	v_mov_b32_dpp v2, v86 row_shr:1 row_mask:0xf bank_mask:0xf
	v_add_u32_e32 v1, v1, v85
	v_add_u32_e32 v2, v2, v86
	v_cndmask_b32_e64 v2, v2, v86, s[4:5]
	v_cndmask_b32_e64 v1, v1, v85, s[4:5]
	s_nop 0
	v_mov_b32_dpp v4, v2 row_shr:2 row_mask:0xf bank_mask:0xf
	v_mov_b32_dpp v3, v1 row_shr:2 row_mask:0xf bank_mask:0xf
	v_add_u32_e32 v3, v1, v3
	v_add_u32_e32 v4, v2, v4
	v_cndmask_b32_e64 v2, v2, v4, s[2:3]
	v_cndmask_b32_e64 v1, v1, v3, s[2:3]
	s_nop 0
	v_mov_b32_dpp v4, v2 row_shr:4 row_mask:0xf bank_mask:0xf
	v_mov_b32_dpp v3, v1 row_shr:4 row_mask:0xf bank_mask:0xf
	v_add_u32_e32 v3, v1, v3
	v_add_u32_e32 v4, v2, v4
	v_cndmask_b32_e64 v2, v2, v4, s[8:9]
	v_cndmask_b32_e64 v1, v1, v3, s[8:9]
	v_cmp_eq_u32_e64 s[8:9], 0, v83
	v_mov_b32_dpp v4, v2 row_shr:8 row_mask:0xf bank_mask:0xf
	v_mov_b32_dpp v3, v1 row_shr:8 row_mask:0xf bank_mask:0xf
	v_add_u32_e32 v3, v1, v3
	v_add_u32_e32 v4, v2, v4
	v_cndmask_b32_e64 v2, v2, v4, s[10:11]
	v_cndmask_b32_e64 v1, v1, v3, s[10:11]
	s_nop 0
	v_mov_b32_dpp v4, v2 row_bcast:15 row_mask:0xf bank_mask:0xf
	v_mov_b32_dpp v3, v1 row_bcast:15 row_mask:0xf bank_mask:0xf
	v_add_u32_e32 v3, v1, v3
	v_add_u32_e32 v4, v2, v4
	v_cndmask_b32_e64 v2, v4, v2, s[8:9]
	v_cndmask_b32_e64 v1, v3, v1, s[8:9]
	s_nop 0
	v_mov_b32_dpp v4, v2 row_bcast:31 row_mask:0xf bank_mask:0xf
	v_mov_b32_dpp v3, v1 row_bcast:31 row_mask:0xf bank_mask:0xf
	v_add_u32_e32 v4, v2, v4
	v_add_u32_e32 v5, v1, v3
	v_cndmask_b32_e32 v3, v2, v4, vcc
	v_cndmask_b32_e32 v2, v1, v5, vcc
	v_cmp_eq_u32_e32 vcc, v82, v0
	s_and_saveexec_b64 s[8:9], vcc
	s_cbranch_execz .LBB761_89
; %bb.88:
	v_lshlrev_b32_e32 v1, 3, v81
	ds_write_b64 v1, v[2:3]
.LBB761_89:
	s_or_b64 exec, exec, s[8:9]
	v_cmp_gt_u32_e32 vcc, 4, v0
	s_waitcnt lgkmcnt(0)
	s_barrier
	s_and_saveexec_b64 s[8:9], vcc
	s_cbranch_execz .LBB761_91
; %bb.90:
	v_lshlrev_b32_e32 v1, 3, v0
	ds_read_b64 v[4:5], v1
	v_and_b32_e32 v6, 3, v80
	v_cmp_eq_u32_e32 vcc, 0, v6
	s_waitcnt lgkmcnt(0)
	v_mov_b32_dpp v7, v4 row_shr:1 row_mask:0xf bank_mask:0xf
	v_mov_b32_dpp v20, v5 row_shr:1 row_mask:0xf bank_mask:0xf
	v_add_u32_e32 v7, v7, v4
	v_add_u32_e32 v20, v20, v5
	v_cndmask_b32_e32 v5, v20, v5, vcc
	v_cndmask_b32_e32 v4, v7, v4, vcc
	v_cmp_lt_u32_e32 vcc, 1, v6
	v_mov_b32_dpp v20, v5 row_shr:2 row_mask:0xf bank_mask:0xf
	v_mov_b32_dpp v7, v4 row_shr:2 row_mask:0xf bank_mask:0xf
	v_cndmask_b32_e32 v6, 0, v7, vcc
	v_cndmask_b32_e32 v7, 0, v20, vcc
	v_add_u32_e32 v5, v7, v5
	v_add_u32_e32 v4, v6, v4
	ds_write_b64 v1, v[4:5]
.LBB761_91:
	s_or_b64 exec, exec, s[8:9]
	v_cmp_gt_u32_e32 vcc, 64, v0
	v_cmp_lt_u32_e64 s[8:9], 63, v0
	s_waitcnt lgkmcnt(0)
	s_barrier
	s_waitcnt lgkmcnt(0)
                                        ; implicit-def: $vgpr21
	s_and_saveexec_b64 s[10:11], s[8:9]
	s_xor_b64 s[8:9], exec, s[10:11]
	s_cbranch_execz .LBB761_93
; %bb.92:
	v_lshl_add_u32 v1, v81, 3, -8
	ds_read_b64 v[20:21], v1
	s_waitcnt lgkmcnt(0)
	v_add_u32_e32 v3, v21, v3
	v_add_u32_e32 v2, v20, v2
.LBB761_93:
	s_andn2_saveexec_b64 s[8:9], s[8:9]
; %bb.94:
                                        ; implicit-def: $vgpr20
; %bb.95:
	s_or_b64 exec, exec, s[8:9]
	v_add_u32_e32 v1, -1, v80
	v_and_b32_e32 v4, 64, v80
	v_cmp_lt_i32_e64 s[8:9], v1, v4
	v_cndmask_b32_e64 v1, v1, v80, s[8:9]
	v_lshlrev_b32_e32 v4, 2, v1
	ds_bpermute_b32 v1, v4, v2
	ds_bpermute_b32 v87, v4, v3
	v_cmp_eq_u32_e64 s[8:9], 0, v80
	s_and_saveexec_b64 s[10:11], vcc
	s_cbranch_execz .LBB761_118
; %bb.96:
	v_mov_b32_e32 v7, 0
	ds_read_b64 v[22:23], v7 offset:24
	s_and_saveexec_b64 s[14:15], s[8:9]
	s_cbranch_execz .LBB761_98
; %bb.97:
	s_add_i32 s16, s6, 64
	s_mov_b32 s17, 0
	s_lshl_b64 s[16:17], s[16:17], 4
	s_waitcnt lgkmcnt(0)
	v_and_b32_e32 v2, 0xff000000, v23
	v_and_b32_e32 v3, 0xff0000, v23
	s_add_u32 s16, s12, s16
	v_or_b32_e32 v2, v3, v2
	v_and_b32_e32 v3, 0xff00, v23
	s_addc_u32 s17, s13, s17
	v_or_b32_e32 v2, v2, v3
	v_or_b32_sdwa v5, v2, v23 dst_sel:DWORD dst_unused:UNUSED_PAD src0_sel:DWORD src1_sel:BYTE_0
	v_mov_b32_e32 v6, 1
	v_mov_b32_e32 v4, v22
	v_pk_mov_b32 v[2:3], s[16:17], s[16:17] op_sel:[0,1]
	;;#ASMSTART
	global_store_dwordx4 v[2:3], v[4:7] off	
s_waitcnt vmcnt(0)
	;;#ASMEND
.LBB761_98:
	s_or_b64 exec, exec, s[14:15]
	v_xad_u32 v24, v80, -1, s6
	v_add_u32_e32 v6, 64, v24
	v_lshlrev_b64 v[2:3], 4, v[6:7]
	v_mov_b32_e32 v4, s13
	v_add_co_u32_e32 v26, vcc, s12, v2
	v_addc_co_u32_e32 v27, vcc, v4, v3, vcc
	;;#ASMSTART
	global_load_dwordx4 v[2:5], v[26:27] off glc	
s_waitcnt vmcnt(0)
	;;#ASMEND
	v_and_b32_e32 v5, 0xff, v3
	v_and_b32_e32 v6, 0xff00, v3
	v_or3_b32 v5, 0, v5, v6
	v_or3_b32 v2, v2, 0, 0
	v_and_b32_e32 v6, 0xff000000, v3
	v_and_b32_e32 v3, 0xff0000, v3
	v_or3_b32 v3, v5, v3, v6
	v_or3_b32 v2, v2, 0, 0
	v_cmp_eq_u16_sdwa s[16:17], v4, v7 src0_sel:BYTE_0 src1_sel:DWORD
	s_and_saveexec_b64 s[14:15], s[16:17]
	s_cbranch_execz .LBB761_104
; %bb.99:
	s_mov_b32 s7, 1
	s_mov_b64 s[16:17], 0
	v_mov_b32_e32 v6, 0
.LBB761_100:                            ; =>This Loop Header: Depth=1
                                        ;     Child Loop BB761_101 Depth 2
	s_max_u32 s19, s7, 1
.LBB761_101:                            ;   Parent Loop BB761_100 Depth=1
                                        ; =>  This Inner Loop Header: Depth=2
	s_add_i32 s19, s19, -1
	s_cmp_eq_u32 s19, 0
	s_sleep 1
	s_cbranch_scc0 .LBB761_101
; %bb.102:                              ;   in Loop: Header=BB761_100 Depth=1
	s_cmp_lt_u32 s7, 32
	s_cselect_b64 s[20:21], -1, 0
	s_cmp_lg_u64 s[20:21], 0
	s_addc_u32 s7, s7, 0
	;;#ASMSTART
	global_load_dwordx4 v[2:5], v[26:27] off glc	
s_waitcnt vmcnt(0)
	;;#ASMEND
	v_cmp_ne_u16_sdwa s[20:21], v4, v6 src0_sel:BYTE_0 src1_sel:DWORD
	s_or_b64 s[16:17], s[20:21], s[16:17]
	s_andn2_b64 exec, exec, s[16:17]
	s_cbranch_execnz .LBB761_100
; %bb.103:
	s_or_b64 exec, exec, s[16:17]
.LBB761_104:
	s_or_b64 exec, exec, s[14:15]
	v_and_b32_e32 v89, 63, v80
	v_cmp_ne_u32_e32 vcc, 63, v89
	v_mov_b32_e32 v88, 2
	v_addc_co_u32_e32 v26, vcc, 0, v80, vcc
	v_cmp_eq_u16_sdwa s[14:15], v4, v88 src0_sel:BYTE_0 src1_sel:DWORD
	v_lshlrev_b64 v[6:7], v80, -1
	v_lshlrev_b32_e32 v90, 2, v26
	v_and_b32_e32 v5, s15, v7
	ds_bpermute_b32 v26, v90, v2
	ds_bpermute_b32 v27, v90, v3
	v_or_b32_e32 v5, 0x80000000, v5
	v_and_b32_e32 v25, s14, v6
	v_ffbl_b32_e32 v5, v5
	v_add_u32_e32 v5, 32, v5
	v_ffbl_b32_e32 v25, v25
	v_min_u32_e32 v5, v25, v5
	s_waitcnt lgkmcnt(1)
	v_add_u32_e32 v25, v26, v2
	s_waitcnt lgkmcnt(0)
	v_add_u32_e32 v26, v27, v3
	v_cmp_lt_u32_e32 vcc, v89, v5
	v_cndmask_b32_e32 v3, v3, v26, vcc
	v_cndmask_b32_e32 v2, v2, v25, vcc
	v_cmp_gt_u32_e32 vcc, 62, v89
	v_cndmask_b32_e64 v25, 0, 1, vcc
	v_lshlrev_b32_e32 v25, 1, v25
	v_add_lshl_u32 v91, v25, v80, 2
	ds_bpermute_b32 v25, v91, v2
	ds_bpermute_b32 v26, v91, v3
	v_add_u32_e32 v92, 2, v89
	v_cmp_gt_u32_e32 vcc, v92, v5
	v_add_u32_e32 v94, 4, v89
	s_waitcnt lgkmcnt(1)
	v_add_u32_e32 v25, v2, v25
	s_waitcnt lgkmcnt(0)
	v_add_u32_e32 v26, v3, v26
	v_cndmask_b32_e32 v3, v26, v3, vcc
	v_cndmask_b32_e32 v2, v25, v2, vcc
	v_cmp_gt_u32_e32 vcc, 60, v89
	v_cndmask_b32_e64 v25, 0, 1, vcc
	v_lshlrev_b32_e32 v25, 2, v25
	v_add_lshl_u32 v93, v25, v80, 2
	ds_bpermute_b32 v25, v93, v2
	ds_bpermute_b32 v26, v93, v3
	v_cmp_gt_u32_e32 vcc, v94, v5
	v_add_u32_e32 v96, 8, v89
	v_add_u32_e32 v98, 16, v89
	s_waitcnt lgkmcnt(1)
	v_add_u32_e32 v25, v2, v25
	s_waitcnt lgkmcnt(0)
	v_add_u32_e32 v26, v3, v26
	v_cndmask_b32_e32 v3, v26, v3, vcc
	v_cndmask_b32_e32 v2, v25, v2, vcc
	v_cmp_gt_u32_e32 vcc, 56, v89
	v_cndmask_b32_e64 v25, 0, 1, vcc
	v_lshlrev_b32_e32 v25, 3, v25
	v_add_lshl_u32 v95, v25, v80, 2
	ds_bpermute_b32 v25, v95, v2
	ds_bpermute_b32 v26, v95, v3
	v_cmp_gt_u32_e32 vcc, v96, v5
	v_add_u32_e32 v100, 32, v89
	s_waitcnt lgkmcnt(1)
	v_add_u32_e32 v25, v2, v25
	s_waitcnt lgkmcnt(0)
	v_add_u32_e32 v26, v3, v26
	v_cndmask_b32_e32 v3, v26, v3, vcc
	v_cndmask_b32_e32 v2, v25, v2, vcc
	v_cmp_gt_u32_e32 vcc, 48, v89
	v_cndmask_b32_e64 v25, 0, 1, vcc
	v_lshlrev_b32_e32 v25, 4, v25
	v_add_lshl_u32 v97, v25, v80, 2
	ds_bpermute_b32 v25, v97, v2
	ds_bpermute_b32 v26, v97, v3
	v_cmp_gt_u32_e32 vcc, v98, v5
	s_waitcnt lgkmcnt(1)
	v_add_u32_e32 v25, v2, v25
	s_waitcnt lgkmcnt(0)
	v_add_u32_e32 v26, v3, v26
	v_cndmask_b32_e32 v3, v26, v3, vcc
	v_cndmask_b32_e32 v2, v25, v2, vcc
	v_cmp_gt_u32_e32 vcc, 32, v89
	v_cndmask_b32_e64 v25, 0, 1, vcc
	v_lshlrev_b32_e32 v25, 5, v25
	v_add_lshl_u32 v99, v25, v80, 2
	ds_bpermute_b32 v25, v99, v2
	ds_bpermute_b32 v26, v99, v3
	v_cmp_le_u32_e32 vcc, v100, v5
	s_waitcnt lgkmcnt(1)
	v_cndmask_b32_e32 v5, 0, v25, vcc
	s_waitcnt lgkmcnt(0)
	v_cndmask_b32_e32 v25, 0, v26, vcc
	v_add_u32_e32 v3, v3, v25
	v_add_u32_e32 v2, v2, v5
	v_mov_b32_e32 v25, 0
	s_branch .LBB761_106
.LBB761_105:                            ;   in Loop: Header=BB761_106 Depth=1
	s_or_b64 exec, exec, s[14:15]
	v_cmp_eq_u16_sdwa s[14:15], v4, v88 src0_sel:BYTE_0 src1_sel:DWORD
	v_and_b32_e32 v5, s15, v7
	ds_bpermute_b32 v29, v90, v2
	ds_bpermute_b32 v101, v90, v3
	v_or_b32_e32 v5, 0x80000000, v5
	v_and_b32_e32 v28, s14, v6
	v_ffbl_b32_e32 v5, v5
	v_add_u32_e32 v5, 32, v5
	v_ffbl_b32_e32 v28, v28
	v_min_u32_e32 v5, v28, v5
	s_waitcnt lgkmcnt(1)
	v_add_u32_e32 v28, v29, v2
	s_waitcnt lgkmcnt(0)
	v_add_u32_e32 v29, v101, v3
	v_cmp_lt_u32_e32 vcc, v89, v5
	v_cndmask_b32_e32 v3, v3, v29, vcc
	v_cndmask_b32_e32 v2, v2, v28, vcc
	ds_bpermute_b32 v28, v91, v2
	ds_bpermute_b32 v29, v91, v3
	v_cmp_gt_u32_e32 vcc, v92, v5
	v_subrev_u32_e32 v24, 64, v24
	s_waitcnt lgkmcnt(1)
	v_add_u32_e32 v28, v2, v28
	s_waitcnt lgkmcnt(0)
	v_add_u32_e32 v29, v3, v29
	v_cndmask_b32_e32 v3, v29, v3, vcc
	v_cndmask_b32_e32 v2, v28, v2, vcc
	ds_bpermute_b32 v28, v93, v2
	ds_bpermute_b32 v29, v93, v3
	v_cmp_gt_u32_e32 vcc, v94, v5
	s_waitcnt lgkmcnt(1)
	v_add_u32_e32 v28, v2, v28
	s_waitcnt lgkmcnt(0)
	v_add_u32_e32 v29, v3, v29
	v_cndmask_b32_e32 v3, v29, v3, vcc
	v_cndmask_b32_e32 v2, v28, v2, vcc
	ds_bpermute_b32 v28, v95, v2
	ds_bpermute_b32 v29, v95, v3
	v_cmp_gt_u32_e32 vcc, v96, v5
	;; [unrolled: 9-line block ×3, first 2 shown]
	s_waitcnt lgkmcnt(1)
	v_add_u32_e32 v28, v2, v28
	s_waitcnt lgkmcnt(0)
	v_add_u32_e32 v29, v3, v29
	v_cndmask_b32_e32 v3, v29, v3, vcc
	v_cndmask_b32_e32 v2, v28, v2, vcc
	ds_bpermute_b32 v28, v99, v2
	ds_bpermute_b32 v29, v99, v3
	v_cmp_le_u32_e32 vcc, v100, v5
	s_waitcnt lgkmcnt(1)
	v_cndmask_b32_e32 v5, 0, v28, vcc
	s_waitcnt lgkmcnt(0)
	v_cndmask_b32_e32 v28, 0, v29, vcc
	v_add3_u32 v3, v28, v27, v3
	v_add3_u32 v2, v5, v26, v2
.LBB761_106:                            ; =>This Loop Header: Depth=1
                                        ;     Child Loop BB761_109 Depth 2
                                        ;       Child Loop BB761_110 Depth 3
	v_cmp_ne_u16_sdwa s[14:15], v4, v88 src0_sel:BYTE_0 src1_sel:DWORD
	v_cndmask_b32_e64 v4, 0, 1, s[14:15]
	;;#ASMSTART
	;;#ASMEND
	v_cmp_ne_u32_e32 vcc, 0, v4
	s_cmp_lg_u64 vcc, exec
	v_pk_mov_b32 v[26:27], v[2:3], v[2:3] op_sel:[0,1]
	s_cbranch_scc1 .LBB761_113
; %bb.107:                              ;   in Loop: Header=BB761_106 Depth=1
	v_lshlrev_b64 v[2:3], 4, v[24:25]
	v_mov_b32_e32 v4, s13
	v_add_co_u32_e32 v28, vcc, s12, v2
	v_addc_co_u32_e32 v29, vcc, v4, v3, vcc
	;;#ASMSTART
	global_load_dwordx4 v[2:5], v[28:29] off glc	
s_waitcnt vmcnt(0)
	;;#ASMEND
	v_and_b32_e32 v5, 0xff, v3
	v_and_b32_e32 v101, 0xff00, v3
	v_or3_b32 v5, 0, v5, v101
	v_or3_b32 v2, v2, 0, 0
	v_and_b32_e32 v101, 0xff000000, v3
	v_and_b32_e32 v3, 0xff0000, v3
	v_or3_b32 v3, v5, v3, v101
	v_or3_b32 v2, v2, 0, 0
	v_cmp_eq_u16_sdwa s[16:17], v4, v25 src0_sel:BYTE_0 src1_sel:DWORD
	s_and_saveexec_b64 s[14:15], s[16:17]
	s_cbranch_execz .LBB761_105
; %bb.108:                              ;   in Loop: Header=BB761_106 Depth=1
	s_mov_b32 s7, 1
	s_mov_b64 s[16:17], 0
.LBB761_109:                            ;   Parent Loop BB761_106 Depth=1
                                        ; =>  This Loop Header: Depth=2
                                        ;       Child Loop BB761_110 Depth 3
	s_max_u32 s19, s7, 1
.LBB761_110:                            ;   Parent Loop BB761_106 Depth=1
                                        ;     Parent Loop BB761_109 Depth=2
                                        ; =>    This Inner Loop Header: Depth=3
	s_add_i32 s19, s19, -1
	s_cmp_eq_u32 s19, 0
	s_sleep 1
	s_cbranch_scc0 .LBB761_110
; %bb.111:                              ;   in Loop: Header=BB761_109 Depth=2
	s_cmp_lt_u32 s7, 32
	s_cselect_b64 s[20:21], -1, 0
	s_cmp_lg_u64 s[20:21], 0
	s_addc_u32 s7, s7, 0
	;;#ASMSTART
	global_load_dwordx4 v[2:5], v[28:29] off glc	
s_waitcnt vmcnt(0)
	;;#ASMEND
	v_cmp_ne_u16_sdwa s[20:21], v4, v25 src0_sel:BYTE_0 src1_sel:DWORD
	s_or_b64 s[16:17], s[20:21], s[16:17]
	s_andn2_b64 exec, exec, s[16:17]
	s_cbranch_execnz .LBB761_109
; %bb.112:                              ;   in Loop: Header=BB761_106 Depth=1
	s_or_b64 exec, exec, s[16:17]
	s_branch .LBB761_105
.LBB761_113:                            ;   in Loop: Header=BB761_106 Depth=1
                                        ; implicit-def: $vgpr4
                                        ; implicit-def: $vgpr2_vgpr3
	s_cbranch_execz .LBB761_106
; %bb.114:
	s_and_saveexec_b64 s[14:15], s[8:9]
	s_cbranch_execz .LBB761_116
; %bb.115:
	s_add_i32 s6, s6, 64
	s_mov_b32 s7, 0
	v_add_u32_e32 v3, v27, v23
	s_lshl_b64 s[6:7], s[6:7], 4
	s_add_u32 s6, s12, s6
	v_and_b32_e32 v4, 0xff000000, v3
	v_and_b32_e32 v6, 0xff0000, v3
	s_addc_u32 s7, s13, s7
	v_or_b32_e32 v4, v6, v4
	v_and_b32_e32 v6, 0xff00, v3
	v_and_b32_e32 v3, 0xff, v3
	v_add_u32_e32 v2, v26, v22
	v_mov_b32_e32 v5, 0
	v_or3_b32 v3, v4, v6, v3
	v_mov_b32_e32 v4, 2
	v_pk_mov_b32 v[6:7], s[6:7], s[6:7] op_sel:[0,1]
	;;#ASMSTART
	global_store_dwordx4 v[6:7], v[2:5] off	
s_waitcnt vmcnt(0)
	;;#ASMEND
	s_movk_i32 s6, 0x3400
	v_add_u32_e64 v2, s6, 0
	ds_write2_b32 v2, v22, v23 offset1:2
	ds_write2_b32 v2, v26, v27 offset0:4 offset1:6
.LBB761_116:
	s_or_b64 exec, exec, s[14:15]
	v_cmp_eq_u32_e32 vcc, 0, v0
	s_and_b64 exec, exec, vcc
	s_cbranch_execz .LBB761_118
; %bb.117:
	v_mov_b32_e32 v2, 0
	ds_write_b64 v2, v[26:27] offset:24
.LBB761_118:
	s_or_b64 exec, exec, s[10:11]
	v_mov_b32_e32 v2, 0
	s_waitcnt lgkmcnt(0)
	s_barrier
	ds_read_b64 v[6:7], v2 offset:24
	s_movk_i32 s6, 0x3400
	v_cndmask_b32_e64 v2, v87, v21, s[8:9]
	v_cndmask_b32_e64 v1, v1, v20, s[8:9]
	v_add_u32_e64 v4, s6, 0
	s_waitcnt lgkmcnt(0)
	v_add_u32_e32 v20, v6, v1
	v_add_u32_e32 v1, v7, v2
	s_barrier
	ds_read2_b32 v[2:3], v4 offset1:2
	ds_read2_b32 v[4:5], v4 offset0:4 offset1:6
	v_cmp_eq_u32_e32 vcc, 0, v0
	v_cndmask_b32_e32 v1, v1, v7, vcc
	v_cndmask_b32_e32 v20, v20, v6, vcc
	s_branch .LBB761_129
.LBB761_119:
                                        ; implicit-def: $vgpr1
                                        ; implicit-def: $vgpr4
                                        ; implicit-def: $vgpr2
                                        ; implicit-def: $vgpr20_vgpr21
	s_cbranch_execz .LBB761_129
; %bb.120:
	s_nop 0
	v_mov_b32_dpp v1, v85 row_shr:1 row_mask:0xf bank_mask:0xf
	s_waitcnt lgkmcnt(0)
	v_mov_b32_dpp v2, v86 row_shr:1 row_mask:0xf bank_mask:0xf
	v_add_u32_e32 v1, v1, v85
	v_add_u32_e32 v2, v2, v86
	v_cndmask_b32_e64 v2, v2, v86, s[4:5]
	v_cndmask_b32_e64 v1, v1, v85, s[4:5]
	v_cmp_lt_u32_e32 vcc, 3, v84
	v_mov_b32_dpp v4, v2 row_shr:2 row_mask:0xf bank_mask:0xf
	v_mov_b32_dpp v3, v1 row_shr:2 row_mask:0xf bank_mask:0xf
	v_add_u32_e32 v3, v1, v3
	v_add_u32_e32 v4, v2, v4
	v_cndmask_b32_e64 v2, v2, v4, s[2:3]
	v_cndmask_b32_e64 v1, v1, v3, s[2:3]
	s_nop 0
	v_mov_b32_dpp v4, v2 row_shr:4 row_mask:0xf bank_mask:0xf
	v_mov_b32_dpp v3, v1 row_shr:4 row_mask:0xf bank_mask:0xf
	v_add_u32_e32 v3, v1, v3
	v_add_u32_e32 v4, v2, v4
	v_cndmask_b32_e32 v2, v2, v4, vcc
	v_cndmask_b32_e32 v1, v1, v3, vcc
	v_cmp_lt_u32_e32 vcc, 7, v84
	v_mov_b32_dpp v4, v2 row_shr:8 row_mask:0xf bank_mask:0xf
	v_mov_b32_dpp v3, v1 row_shr:8 row_mask:0xf bank_mask:0xf
	v_add_u32_e32 v3, v1, v3
	v_add_u32_e32 v4, v2, v4
	v_cndmask_b32_e32 v2, v2, v4, vcc
	v_cndmask_b32_e32 v1, v1, v3, vcc
	v_cmp_eq_u32_e32 vcc, 0, v83
	v_mov_b32_dpp v4, v2 row_bcast:15 row_mask:0xf bank_mask:0xf
	v_mov_b32_dpp v3, v1 row_bcast:15 row_mask:0xf bank_mask:0xf
	v_add_u32_e32 v3, v1, v3
	v_add_u32_e32 v4, v2, v4
	v_cndmask_b32_e32 v2, v4, v2, vcc
	v_cndmask_b32_e32 v1, v3, v1, vcc
	v_cmp_lt_u32_e32 vcc, 31, v80
	v_mov_b32_dpp v4, v2 row_bcast:31 row_mask:0xf bank_mask:0xf
	v_mov_b32_dpp v3, v1 row_bcast:31 row_mask:0xf bank_mask:0xf
	v_add_u32_e32 v4, v2, v4
	v_add_u32_e32 v5, v1, v3
	v_cndmask_b32_e32 v3, v2, v4, vcc
	v_cndmask_b32_e32 v2, v1, v5, vcc
	v_cmp_eq_u32_e32 vcc, v82, v0
	s_and_saveexec_b64 s[2:3], vcc
	s_cbranch_execz .LBB761_122
; %bb.121:
	v_lshlrev_b32_e32 v1, 3, v81
	ds_write_b64 v1, v[2:3]
.LBB761_122:
	s_or_b64 exec, exec, s[2:3]
	v_cmp_gt_u32_e32 vcc, 4, v0
	s_waitcnt lgkmcnt(0)
	s_barrier
	s_and_saveexec_b64 s[2:3], vcc
	s_cbranch_execz .LBB761_124
; %bb.123:
	v_lshlrev_b32_e32 v1, 3, v0
	ds_read_b64 v[4:5], v1
	v_and_b32_e32 v6, 3, v80
	v_cmp_eq_u32_e32 vcc, 0, v6
	s_waitcnt lgkmcnt(0)
	v_mov_b32_dpp v7, v4 row_shr:1 row_mask:0xf bank_mask:0xf
	v_mov_b32_dpp v20, v5 row_shr:1 row_mask:0xf bank_mask:0xf
	v_add_u32_e32 v7, v7, v4
	v_add_u32_e32 v20, v20, v5
	v_cndmask_b32_e32 v5, v20, v5, vcc
	v_cndmask_b32_e32 v4, v7, v4, vcc
	v_cmp_lt_u32_e32 vcc, 1, v6
	v_mov_b32_dpp v20, v5 row_shr:2 row_mask:0xf bank_mask:0xf
	v_mov_b32_dpp v7, v4 row_shr:2 row_mask:0xf bank_mask:0xf
	v_cndmask_b32_e32 v6, 0, v7, vcc
	v_cndmask_b32_e32 v7, 0, v20, vcc
	v_add_u32_e32 v5, v7, v5
	v_add_u32_e32 v4, v6, v4
	ds_write_b64 v1, v[4:5]
.LBB761_124:
	s_or_b64 exec, exec, s[2:3]
	v_cmp_lt_u32_e32 vcc, 63, v0
	v_mov_b32_e32 v4, 0
	v_mov_b32_e32 v6, 0
	;; [unrolled: 1-line block ×3, first 2 shown]
	s_waitcnt lgkmcnt(0)
	s_barrier
	s_and_saveexec_b64 s[2:3], vcc
	s_cbranch_execz .LBB761_126
; %bb.125:
	v_lshl_add_u32 v1, v81, 3, -8
	ds_read_b64 v[6:7], v1
.LBB761_126:
	s_or_b64 exec, exec, s[2:3]
	s_waitcnt lgkmcnt(0)
	v_add_u32_e32 v5, v7, v3
	v_add_u32_e32 v1, v6, v2
	v_add_u32_e32 v2, -1, v80
	v_and_b32_e32 v3, 64, v80
	v_cmp_lt_i32_e32 vcc, v2, v3
	v_cndmask_b32_e32 v2, v2, v80, vcc
	v_lshlrev_b32_e32 v20, 2, v2
	ds_read_b64 v[2:3], v4 offset:24
	ds_bpermute_b32 v1, v20, v1
	ds_bpermute_b32 v20, v20, v5
	v_cmp_eq_u32_e32 vcc, 0, v0
	s_waitcnt lgkmcnt(2)
	v_readfirstlane_b32 s4, v3
	s_and_saveexec_b64 s[2:3], vcc
	s_cbranch_execz .LBB761_128
; %bb.127:
	s_add_u32 s6, s12, 0x400
	s_mov_b32 s8, 0
	s_addc_u32 s7, s13, 0
	s_and_b32 s9, s4, 0xff000000
	s_and_b32 s11, s4, 0xff0000
	s_mov_b32 s10, s8
	s_or_b64 s[10:11], s[10:11], s[8:9]
	s_and_b32 s9, s4, 0xff00
	s_or_b64 s[10:11], s[10:11], s[8:9]
	s_and_b32 s9, s4, 0xff
	s_or_b64 s[8:9], s[10:11], s[8:9]
	v_mov_b32_e32 v3, s9
	v_mov_b32_e32 v4, 2
	;; [unrolled: 1-line block ×3, first 2 shown]
	v_pk_mov_b32 v[22:23], s[6:7], s[6:7] op_sel:[0,1]
	;;#ASMSTART
	global_store_dwordx4 v[22:23], v[2:5] off	
s_waitcnt vmcnt(0)
	;;#ASMEND
.LBB761_128:
	s_or_b64 exec, exec, s[2:3]
	v_cmp_eq_u32_e64 s[2:3], 0, v80
	s_waitcnt lgkmcnt(1)
	v_cndmask_b32_e64 v3, v1, v6, s[2:3]
	s_waitcnt lgkmcnt(0)
	v_cndmask_b32_e64 v1, v20, v7, s[2:3]
	v_mov_b32_e32 v4, 0
	v_cndmask_b32_e64 v1, v1, 0, vcc
	v_cndmask_b32_e64 v20, v3, 0, vcc
	s_barrier
	v_mov_b32_e32 v3, s4
	v_mov_b32_e32 v5, 0
.LBB761_129:
	v_add_u32_e32 v24, v1, v63
	v_add_u32_e32 v25, v24, v74
	;; [unrolled: 1-line block ×14, first 2 shown]
	v_mov_b32_e32 v7, s49
	s_waitcnt lgkmcnt(0)
	v_add_co_u32_e32 v6, vcc, s48, v4
	v_add_u32_e32 v64, v58, v68
	v_add_u32_e32 v68, v66, v71
	v_addc_co_u32_e32 v7, vcc, 0, v7, vcc
	v_add_u32_e32 v69, v68, v78
	v_mov_b32_e32 v22, s51
	v_sub_co_u32_e32 v23, vcc, s50, v2
	v_add_u32_e32 v71, v69, v73
	v_subbrev_co_u32_e32 v73, vcc, 0, v22, vcc
	v_add_co_u32_e32 v22, vcc, v23, v5
	v_addc_co_u32_e32 v23, vcc, 0, v73, vcc
	v_lshlrev_b32_e32 v73, 1, v2
	v_sub_u32_e32 v1, v1, v5
	v_add_u32_e32 v74, v73, v3
	v_sub_u32_e32 v20, v20, v4
	v_add_u32_e32 v1, v1, v2
	v_add_u32_e32 v31, v74, v31
	v_and_b32_e32 v33, 1, v33
	v_add_u32_e32 v74, v20, v1
	v_and_b32_e32 v32, 1, v32
	v_sub_u32_e32 v74, v31, v74
	v_cmp_eq_u32_e32 vcc, 1, v33
	v_cndmask_b32_e32 v1, v74, v1, vcc
	v_cmp_eq_u32_e32 vcc, 1, v32
	v_cndmask_b32_e32 v1, v1, v20, vcc
	v_lshlrev_b32_e32 v1, 2, v1
	v_sub_u32_e32 v20, v24, v5
	ds_write_b32 v1, v18
	v_sub_u32_e32 v1, v21, v4
	v_add_u32_e32 v20, v20, v2
	v_add_u32_e32 v24, v20, v1
	v_and_b32_e32 v21, 1, v35
	v_sub_u32_e32 v24, v31, v24
	v_and_b32_e32 v18, 1, v34
	v_add_u32_e32 v24, 1, v24
	v_cmp_eq_u32_e32 vcc, 1, v21
	v_cndmask_b32_e32 v20, v24, v20, vcc
	v_cmp_eq_u32_e32 vcc, 1, v18
	v_cndmask_b32_e32 v1, v20, v1, vcc
	v_lshlrev_b32_e32 v1, 2, v1
	ds_write_b32 v1, v19
	v_sub_u32_e32 v19, v25, v5
	v_sub_u32_e32 v1, v26, v4
	v_add_u32_e32 v19, v19, v2
	v_add_u32_e32 v21, v19, v1
	v_and_b32_e32 v20, 1, v37
	v_sub_u32_e32 v21, v31, v21
	v_and_b32_e32 v18, 1, v36
	v_add_u32_e32 v21, 2, v21
	v_cmp_eq_u32_e32 vcc, 1, v20
	v_cndmask_b32_e32 v19, v21, v19, vcc
	v_cmp_eq_u32_e32 vcc, 1, v18
	v_cndmask_b32_e32 v1, v19, v1, vcc
	v_lshlrev_b32_e32 v1, 2, v1
	v_sub_u32_e32 v18, v28, v5
	ds_write_b32 v1, v16
	v_sub_u32_e32 v1, v27, v4
	v_add_u32_e32 v18, v18, v2
	v_add_u32_e32 v20, v1, v18
	v_and_b32_e32 v19, 1, v38
	v_sub_u32_e32 v20, v31, v20
	v_and_b32_e32 v16, 1, v39
	v_add_u32_e32 v20, 3, v20
	v_cmp_eq_u32_e32 vcc, 1, v19
	v_cndmask_b32_e32 v18, v20, v18, vcc
	v_cmp_eq_u32_e32 vcc, 1, v16
	v_cndmask_b32_e32 v1, v18, v1, vcc
	v_lshlrev_b32_e32 v1, 2, v1
	ds_write_b32 v1, v17
	v_sub_u32_e32 v17, v29, v5
	v_sub_u32_e32 v1, v56, v4
	v_add_u32_e32 v17, v17, v2
	v_add_u32_e32 v19, v1, v17
	v_and_b32_e32 v18, 1, v40
	v_sub_u32_e32 v19, v31, v19
	v_and_b32_e32 v16, 1, v41
	v_add_u32_e32 v19, 4, v19
	;; [unrolled: 28-line block ×3, first 2 shown]
	v_cmp_eq_u32_e32 vcc, 1, v16
	v_cndmask_b32_e32 v15, v17, v15, vcc
	v_cmp_eq_u32_e32 vcc, 1, v14
	v_cndmask_b32_e32 v1, v15, v1, vcc
	v_lshlrev_b32_e32 v1, 2, v1
	v_sub_u32_e32 v14, v65, v5
	ds_write_b32 v1, v12
	v_sub_u32_e32 v1, v64, v4
	v_add_u32_e32 v14, v14, v2
	v_add_u32_e32 v16, v1, v14
	v_and_b32_e32 v15, 1, v46
	v_sub_u32_e32 v16, v31, v16
	v_and_b32_e32 v12, 1, v47
	v_add_u32_e32 v16, 7, v16
	v_cmp_eq_u32_e32 vcc, 1, v15
	v_cndmask_b32_e32 v14, v16, v14, vcc
	v_cmp_eq_u32_e32 vcc, 1, v12
	v_cndmask_b32_e32 v1, v14, v1, vcc
	v_lshlrev_b32_e32 v1, 2, v1
	v_add_u32_e32 v59, v64, v59
	ds_write_b32 v1, v13
	v_sub_u32_e32 v13, v66, v5
	v_sub_u32_e32 v1, v59, v4
	v_add_u32_e32 v13, v13, v2
	v_add_u32_e32 v15, v1, v13
	v_and_b32_e32 v14, 1, v48
	v_sub_u32_e32 v15, v31, v15
	v_and_b32_e32 v12, 1, v49
	v_add_u32_e32 v15, 8, v15
	v_cmp_eq_u32_e32 vcc, 1, v14
	v_cndmask_b32_e32 v13, v15, v13, vcc
	v_cmp_eq_u32_e32 vcc, 1, v12
	v_cndmask_b32_e32 v1, v13, v1, vcc
	v_add_u32_e32 v67, v59, v70
	v_lshlrev_b32_e32 v1, 2, v1
	v_sub_u32_e32 v12, v68, v5
	ds_write_b32 v1, v10
	v_sub_u32_e32 v1, v67, v4
	v_add_u32_e32 v12, v12, v2
	v_add_u32_e32 v14, v1, v12
	v_and_b32_e32 v13, 1, v50
	v_sub_u32_e32 v14, v31, v14
	v_and_b32_e32 v10, 1, v51
	v_add_u32_e32 v14, 9, v14
	v_cmp_eq_u32_e32 vcc, 1, v13
	v_cndmask_b32_e32 v12, v14, v12, vcc
	v_cmp_eq_u32_e32 vcc, 1, v10
	v_cndmask_b32_e32 v1, v12, v1, vcc
	v_lshlrev_b32_e32 v1, 2, v1
	v_add_u32_e32 v60, v67, v60
	ds_write_b32 v1, v11
	v_sub_u32_e32 v11, v69, v5
	v_sub_u32_e32 v1, v60, v4
	v_add_u32_e32 v11, v11, v2
	v_add_u32_e32 v13, v1, v11
	v_and_b32_e32 v12, 1, v52
	v_sub_u32_e32 v13, v31, v13
	v_and_b32_e32 v10, 1, v53
	v_add_u32_e32 v13, 10, v13
	v_cmp_eq_u32_e32 vcc, 1, v12
	v_cndmask_b32_e32 v11, v13, v11, vcc
	v_cmp_eq_u32_e32 vcc, 1, v10
	v_cndmask_b32_e32 v1, v11, v1, vcc
	v_add_u32_e32 v70, v60, v72
	v_lshlrev_b32_e32 v1, 2, v1
	v_sub_u32_e32 v10, v71, v5
	ds_write_b32 v1, v8
	v_sub_u32_e32 v1, v70, v4
	v_add_u32_e32 v10, v10, v2
	v_add_u32_e32 v12, v1, v10
	v_and_b32_e32 v11, 1, v54
	v_sub_u32_e32 v12, v31, v12
	v_and_b32_e32 v8, 1, v55
	v_add_u32_e32 v12, 11, v12
	v_cmp_eq_u32_e32 vcc, 1, v11
	v_cndmask_b32_e32 v10, v12, v10, vcc
	v_cmp_eq_u32_e32 vcc, 1, v8
	v_cndmask_b32_e32 v1, v10, v1, vcc
	v_add_u32_e32 v72, v71, v79
	v_add_u32_e32 v61, v70, v61
	v_lshlrev_b32_e32 v1, 2, v1
	ds_write_b32 v1, v9
	v_sub_u32_e32 v1, v61, v4
	v_sub_u32_e32 v4, v72, v5
	v_add_u32_e32 v4, v4, v2
	v_add_u32_e32 v8, v1, v4
	v_sub_u32_e32 v8, v31, v8
	v_add_u32_e32 v8, 12, v8
	v_cndmask_b32_e64 v4, v8, v4, s[58:59]
	v_cndmask_b32_e64 v1, v4, v1, s[46:47]
	v_lshlrev_b32_e32 v1, 2, v1
	ds_write_b32 v1, v30
	v_add_co_u32_e32 v1, vcc, v3, v73
	v_addc_co_u32_e64 v4, s[2:3], 0, 0, vcc
	v_add_co_u32_e32 v1, vcc, v1, v22
	v_addc_co_u32_e32 v4, vcc, v4, v23, vcc
	s_add_u32 s4, s56, s33
	v_add_co_u32_e32 v1, vcc, v1, v6
	s_addc_u32 s5, s57, 0
	v_addc_co_u32_e32 v4, vcc, v4, v7, vcc
	v_mov_b32_e32 v8, s5
	v_sub_co_u32_e32 v1, vcc, s4, v1
	v_subb_co_u32_e32 v4, vcc, v8, v4, vcc
	v_lshlrev_b64 v[8:9], 2, v[22:23]
	v_mov_b32_e32 v10, s55
	v_add_co_u32_e32 v8, vcc, s54, v8
	v_addc_co_u32_e32 v9, vcc, v10, v9, vcc
	v_lshlrev_b64 v[10:11], 2, v[6:7]
	v_mov_b32_e32 v13, s53
	v_add_co_u32_e32 v10, vcc, s52, v10
	s_add_u32 s6, s34, -4
	v_addc_co_u32_e32 v11, vcc, v13, v11, vcc
	s_addc_u32 s7, s35, -1
	v_add_u32_e32 v12, v2, v3
	s_and_b64 vcc, exec, s[0:1]
	s_mov_b64 s[0:1], -1
	s_waitcnt lgkmcnt(0)
	s_barrier
	s_cbranch_vccz .LBB761_133
; %bb.130:
	s_and_b64 vcc, exec, s[0:1]
	s_cbranch_vccnz .LBB761_238
.LBB761_131:
	v_cmp_eq_u32_e32 vcc, 0, v0
	s_and_b64 s[0:1], vcc, s[30:31]
	s_and_saveexec_b64 s[2:3], s[0:1]
	s_cbranch_execnz .LBB761_356
.LBB761_132:
	s_endpgm
.LBB761_133:
	v_cmp_le_u32_e32 vcc, v2, v0
	s_and_saveexec_b64 s[0:1], vcc
	s_xor_b64 s[0:1], exec, s[0:1]
	s_cbranch_execz .LBB761_139
; %bb.134:
	v_cmp_le_u32_e32 vcc, v12, v0
	s_and_saveexec_b64 s[2:3], vcc
	s_xor_b64 s[2:3], exec, s[2:3]
	s_cbranch_execz .LBB761_136
; %bb.135:
	v_lshlrev_b32_e32 v13, 2, v0
	v_add_co_u32_e32 v14, vcc, v1, v0
	ds_read_b32 v13, v13
	v_addc_co_u32_e32 v15, vcc, 0, v4, vcc
	v_lshlrev_b64 v[14:15], 2, v[14:15]
	v_mov_b32_e32 v16, s35
	v_sub_co_u32_e32 v14, vcc, s34, v14
	v_subb_co_u32_e32 v15, vcc, v16, v15, vcc
	s_waitcnt lgkmcnt(0)
	global_store_dword v[14:15], v13, off offset:-4
.LBB761_136:
	s_andn2_saveexec_b64 s[2:3], s[2:3]
	s_cbranch_execz .LBB761_138
; %bb.137:
	v_lshlrev_b32_e32 v13, 2, v0
	ds_read_b32 v14, v13
	v_readfirstlane_b32 s4, v8
	v_readfirstlane_b32 s5, v9
	s_waitcnt lgkmcnt(0)
	s_nop 3
	global_store_dword v13, v14, s[4:5]
.LBB761_138:
	s_or_b64 exec, exec, s[2:3]
.LBB761_139:
	s_andn2_saveexec_b64 s[0:1], s[0:1]
	s_cbranch_execz .LBB761_141
; %bb.140:
	v_lshlrev_b32_e32 v13, 2, v0
	ds_read_b32 v14, v13
	v_readfirstlane_b32 s2, v10
	v_readfirstlane_b32 s3, v11
	s_waitcnt lgkmcnt(0)
	s_nop 3
	global_store_dword v13, v14, s[2:3]
.LBB761_141:
	s_or_b64 exec, exec, s[0:1]
	v_or_b32_e32 v13, 0x100, v0
	v_cmp_le_u32_e32 vcc, v2, v13
	s_and_saveexec_b64 s[0:1], vcc
	s_xor_b64 s[0:1], exec, s[0:1]
	s_cbranch_execz .LBB761_147
; %bb.142:
	v_cmp_le_u32_e32 vcc, v12, v13
	s_and_saveexec_b64 s[2:3], vcc
	s_xor_b64 s[2:3], exec, s[2:3]
	s_cbranch_execz .LBB761_144
; %bb.143:
	v_lshlrev_b32_e32 v13, 2, v0
	ds_read_b32 v13, v13 offset:1024
	v_add_co_u32_e32 v14, vcc, v1, v0
	v_addc_co_u32_e32 v15, vcc, 0, v4, vcc
	v_lshlrev_b64 v[14:15], 2, v[14:15]
	v_mov_b32_e32 v16, s7
	v_sub_co_u32_e32 v14, vcc, s6, v14
	v_subb_co_u32_e32 v15, vcc, v16, v15, vcc
	s_waitcnt lgkmcnt(0)
	global_store_dword v[14:15], v13, off offset:-1024
.LBB761_144:
	s_andn2_saveexec_b64 s[2:3], s[2:3]
	s_cbranch_execz .LBB761_146
; %bb.145:
	v_lshlrev_b32_e32 v13, 2, v0
	ds_read_b32 v14, v13 offset:1024
	v_readfirstlane_b32 s4, v8
	v_readfirstlane_b32 s5, v9
	s_waitcnt lgkmcnt(0)
	s_nop 3
	global_store_dword v13, v14, s[4:5] offset:1024
.LBB761_146:
	s_or_b64 exec, exec, s[2:3]
.LBB761_147:
	s_andn2_saveexec_b64 s[0:1], s[0:1]
	s_cbranch_execz .LBB761_149
; %bb.148:
	v_lshlrev_b32_e32 v13, 2, v0
	ds_read_b32 v14, v13 offset:1024
	v_readfirstlane_b32 s2, v10
	v_readfirstlane_b32 s3, v11
	s_waitcnt lgkmcnt(0)
	s_nop 3
	global_store_dword v13, v14, s[2:3] offset:1024
.LBB761_149:
	s_or_b64 exec, exec, s[0:1]
	v_or_b32_e32 v13, 0x200, v0
	v_cmp_le_u32_e32 vcc, v2, v13
	s_and_saveexec_b64 s[0:1], vcc
	s_xor_b64 s[0:1], exec, s[0:1]
	s_cbranch_execz .LBB761_155
; %bb.150:
	v_cmp_le_u32_e32 vcc, v12, v13
	s_and_saveexec_b64 s[2:3], vcc
	s_xor_b64 s[2:3], exec, s[2:3]
	s_cbranch_execz .LBB761_152
; %bb.151:
	v_lshlrev_b32_e32 v13, 2, v0
	ds_read_b32 v13, v13 offset:2048
	v_add_co_u32_e32 v14, vcc, v1, v0
	v_addc_co_u32_e32 v15, vcc, 0, v4, vcc
	v_lshlrev_b64 v[14:15], 2, v[14:15]
	v_mov_b32_e32 v16, s7
	v_sub_co_u32_e32 v14, vcc, s6, v14
	v_subb_co_u32_e32 v15, vcc, v16, v15, vcc
	s_waitcnt lgkmcnt(0)
	global_store_dword v[14:15], v13, off offset:-2048
.LBB761_152:
	s_andn2_saveexec_b64 s[2:3], s[2:3]
	s_cbranch_execz .LBB761_154
; %bb.153:
	v_lshlrev_b32_e32 v13, 2, v0
	ds_read_b32 v14, v13 offset:2048
	v_readfirstlane_b32 s4, v8
	v_readfirstlane_b32 s5, v9
	s_waitcnt lgkmcnt(0)
	s_nop 3
	global_store_dword v13, v14, s[4:5] offset:2048
.LBB761_154:
	s_or_b64 exec, exec, s[2:3]
.LBB761_155:
	s_andn2_saveexec_b64 s[0:1], s[0:1]
	s_cbranch_execz .LBB761_157
; %bb.156:
	v_lshlrev_b32_e32 v13, 2, v0
	ds_read_b32 v14, v13 offset:2048
	v_readfirstlane_b32 s2, v10
	v_readfirstlane_b32 s3, v11
	s_waitcnt lgkmcnt(0)
	s_nop 3
	global_store_dword v13, v14, s[2:3] offset:2048
.LBB761_157:
	;; [unrolled: 47-line block ×3, first 2 shown]
	s_or_b64 exec, exec, s[0:1]
	v_or_b32_e32 v13, 0x400, v0
	v_cmp_le_u32_e32 vcc, v2, v13
	s_and_saveexec_b64 s[0:1], vcc
	s_xor_b64 s[0:1], exec, s[0:1]
	s_cbranch_execz .LBB761_171
; %bb.166:
	v_cmp_le_u32_e32 vcc, v12, v13
	s_and_saveexec_b64 s[2:3], vcc
	s_xor_b64 s[2:3], exec, s[2:3]
	s_cbranch_execz .LBB761_168
; %bb.167:
	v_lshlrev_b32_e32 v13, 2, v0
	ds_read_b32 v13, v13 offset:4096
	v_add_co_u32_e32 v14, vcc, v1, v0
	v_addc_co_u32_e32 v15, vcc, 0, v4, vcc
	v_lshlrev_b64 v[14:15], 2, v[14:15]
	v_mov_b32_e32 v16, s7
	v_sub_co_u32_e32 v14, vcc, s6, v14
	v_subb_co_u32_e32 v15, vcc, v16, v15, vcc
	s_waitcnt lgkmcnt(0)
	global_store_dword v[14:15], v13, off offset:-4096
                                        ; implicit-def: $vgpr13
.LBB761_168:
	s_andn2_saveexec_b64 s[2:3], s[2:3]
	s_cbranch_execz .LBB761_170
; %bb.169:
	v_lshlrev_b32_e32 v14, 2, v0
	ds_read_b32 v14, v14 offset:4096
	v_lshlrev_b32_e32 v13, 2, v13
	v_readfirstlane_b32 s4, v8
	v_readfirstlane_b32 s5, v9
	s_waitcnt lgkmcnt(0)
	s_nop 3
	global_store_dword v13, v14, s[4:5]
.LBB761_170:
	s_or_b64 exec, exec, s[2:3]
                                        ; implicit-def: $vgpr13
.LBB761_171:
	s_andn2_saveexec_b64 s[0:1], s[0:1]
	s_cbranch_execz .LBB761_173
; %bb.172:
	v_lshlrev_b32_e32 v14, 2, v0
	ds_read_b32 v14, v14 offset:4096
	v_lshlrev_b32_e32 v13, 2, v13
	v_readfirstlane_b32 s2, v10
	v_readfirstlane_b32 s3, v11
	s_waitcnt lgkmcnt(0)
	s_nop 3
	global_store_dword v13, v14, s[2:3]
.LBB761_173:
	s_or_b64 exec, exec, s[0:1]
	v_or_b32_e32 v13, 0x500, v0
	v_cmp_le_u32_e32 vcc, v2, v13
	s_and_saveexec_b64 s[0:1], vcc
	s_xor_b64 s[0:1], exec, s[0:1]
	s_cbranch_execz .LBB761_179
; %bb.174:
	v_cmp_le_u32_e32 vcc, v12, v13
	s_and_saveexec_b64 s[2:3], vcc
	s_xor_b64 s[2:3], exec, s[2:3]
	s_cbranch_execz .LBB761_176
; %bb.175:
	v_add_co_u32_e32 v14, vcc, v1, v13
	v_lshlrev_b32_e32 v13, 2, v0
	ds_read_b32 v13, v13 offset:5120
	v_addc_co_u32_e32 v15, vcc, 0, v4, vcc
	v_lshlrev_b64 v[14:15], 2, v[14:15]
	v_mov_b32_e32 v16, s7
	v_sub_co_u32_e32 v14, vcc, s6, v14
	v_subb_co_u32_e32 v15, vcc, v16, v15, vcc
	s_waitcnt lgkmcnt(0)
	global_store_dword v[14:15], v13, off
                                        ; implicit-def: $vgpr13
.LBB761_176:
	s_andn2_saveexec_b64 s[2:3], s[2:3]
	s_cbranch_execz .LBB761_178
; %bb.177:
	v_lshlrev_b32_e32 v14, 2, v0
	ds_read_b32 v14, v14 offset:5120
	v_lshlrev_b32_e32 v13, 2, v13
	v_readfirstlane_b32 s4, v8
	v_readfirstlane_b32 s5, v9
	s_waitcnt lgkmcnt(0)
	s_nop 3
	global_store_dword v13, v14, s[4:5]
.LBB761_178:
	s_or_b64 exec, exec, s[2:3]
                                        ; implicit-def: $vgpr13
.LBB761_179:
	s_andn2_saveexec_b64 s[0:1], s[0:1]
	s_cbranch_execz .LBB761_181
; %bb.180:
	v_lshlrev_b32_e32 v14, 2, v0
	ds_read_b32 v14, v14 offset:5120
	v_lshlrev_b32_e32 v13, 2, v13
	v_readfirstlane_b32 s2, v10
	v_readfirstlane_b32 s3, v11
	s_waitcnt lgkmcnt(0)
	s_nop 3
	global_store_dword v13, v14, s[2:3]
.LBB761_181:
	s_or_b64 exec, exec, s[0:1]
	v_or_b32_e32 v13, 0x600, v0
	v_cmp_le_u32_e32 vcc, v2, v13
	s_and_saveexec_b64 s[0:1], vcc
	s_xor_b64 s[0:1], exec, s[0:1]
	s_cbranch_execz .LBB761_187
; %bb.182:
	v_cmp_le_u32_e32 vcc, v12, v13
	s_and_saveexec_b64 s[2:3], vcc
	s_xor_b64 s[2:3], exec, s[2:3]
	s_cbranch_execz .LBB761_184
; %bb.183:
	v_add_co_u32_e32 v14, vcc, v1, v13
	v_lshlrev_b32_e32 v13, 2, v0
	ds_read_b32 v13, v13 offset:6144
	v_addc_co_u32_e32 v15, vcc, 0, v4, vcc
	v_lshlrev_b64 v[14:15], 2, v[14:15]
	v_mov_b32_e32 v16, s7
	v_sub_co_u32_e32 v14, vcc, s6, v14
	v_subb_co_u32_e32 v15, vcc, v16, v15, vcc
	s_waitcnt lgkmcnt(0)
	global_store_dword v[14:15], v13, off
                                        ; implicit-def: $vgpr13
.LBB761_184:
	s_andn2_saveexec_b64 s[2:3], s[2:3]
	s_cbranch_execz .LBB761_186
; %bb.185:
	v_lshlrev_b32_e32 v14, 2, v0
	ds_read_b32 v14, v14 offset:6144
	v_lshlrev_b32_e32 v13, 2, v13
	v_readfirstlane_b32 s4, v8
	v_readfirstlane_b32 s5, v9
	s_waitcnt lgkmcnt(0)
	s_nop 3
	global_store_dword v13, v14, s[4:5]
.LBB761_186:
	s_or_b64 exec, exec, s[2:3]
                                        ; implicit-def: $vgpr13
.LBB761_187:
	;; [unrolled: 51-line block ×8, first 2 shown]
	s_andn2_saveexec_b64 s[0:1], s[0:1]
	s_cbranch_execz .LBB761_237
; %bb.236:
	v_lshlrev_b32_e32 v14, 2, v0
	ds_read_b32 v14, v14 offset:12288
	v_lshlrev_b32_e32 v13, 2, v13
	v_readfirstlane_b32 s2, v10
	v_readfirstlane_b32 s3, v11
	s_waitcnt lgkmcnt(0)
	s_nop 3
	global_store_dword v13, v14, s[2:3]
.LBB761_237:
	s_or_b64 exec, exec, s[0:1]
	s_branch .LBB761_131
.LBB761_238:
	v_cmp_gt_u32_e32 vcc, s18, v0
	s_and_saveexec_b64 s[0:1], vcc
	s_cbranch_execz .LBB761_247
; %bb.239:
	v_cmp_le_u32_e32 vcc, v2, v0
	s_and_saveexec_b64 s[2:3], vcc
	s_xor_b64 s[2:3], exec, s[2:3]
	s_cbranch_execz .LBB761_245
; %bb.240:
	v_cmp_le_u32_e32 vcc, v12, v0
	s_and_saveexec_b64 s[4:5], vcc
	s_xor_b64 s[4:5], exec, s[4:5]
	s_cbranch_execz .LBB761_242
; %bb.241:
	v_lshlrev_b32_e32 v13, 2, v0
	v_add_co_u32_e32 v14, vcc, v1, v0
	ds_read_b32 v13, v13
	v_addc_co_u32_e32 v15, vcc, 0, v4, vcc
	v_lshlrev_b64 v[14:15], 2, v[14:15]
	v_mov_b32_e32 v16, s35
	v_sub_co_u32_e32 v14, vcc, s34, v14
	v_subb_co_u32_e32 v15, vcc, v16, v15, vcc
	s_waitcnt lgkmcnt(0)
	global_store_dword v[14:15], v13, off offset:-4
.LBB761_242:
	s_andn2_saveexec_b64 s[4:5], s[4:5]
	s_cbranch_execz .LBB761_244
; %bb.243:
	v_lshlrev_b32_e32 v13, 2, v0
	ds_read_b32 v14, v13
	v_readfirstlane_b32 s8, v8
	v_readfirstlane_b32 s9, v9
	s_waitcnt lgkmcnt(0)
	s_nop 3
	global_store_dword v13, v14, s[8:9]
.LBB761_244:
	s_or_b64 exec, exec, s[4:5]
.LBB761_245:
	s_andn2_saveexec_b64 s[2:3], s[2:3]
	s_cbranch_execz .LBB761_247
; %bb.246:
	v_lshlrev_b32_e32 v13, 2, v0
	ds_read_b32 v14, v13
	v_readfirstlane_b32 s2, v10
	v_readfirstlane_b32 s3, v11
	s_waitcnt lgkmcnt(0)
	s_nop 3
	global_store_dword v13, v14, s[2:3]
.LBB761_247:
	s_or_b64 exec, exec, s[0:1]
	v_or_b32_e32 v13, 0x100, v0
	v_cmp_gt_u32_e32 vcc, s18, v13
	s_and_saveexec_b64 s[0:1], vcc
	s_cbranch_execz .LBB761_256
; %bb.248:
	v_cmp_le_u32_e32 vcc, v2, v13
	s_and_saveexec_b64 s[2:3], vcc
	s_xor_b64 s[2:3], exec, s[2:3]
	s_cbranch_execz .LBB761_254
; %bb.249:
	v_cmp_le_u32_e32 vcc, v12, v13
	s_and_saveexec_b64 s[4:5], vcc
	s_xor_b64 s[4:5], exec, s[4:5]
	s_cbranch_execz .LBB761_251
; %bb.250:
	v_lshlrev_b32_e32 v13, 2, v0
	ds_read_b32 v13, v13 offset:1024
	v_add_co_u32_e32 v14, vcc, v1, v0
	v_addc_co_u32_e32 v15, vcc, 0, v4, vcc
	v_lshlrev_b64 v[14:15], 2, v[14:15]
	v_mov_b32_e32 v16, s7
	v_sub_co_u32_e32 v14, vcc, s6, v14
	v_subb_co_u32_e32 v15, vcc, v16, v15, vcc
	s_waitcnt lgkmcnt(0)
	global_store_dword v[14:15], v13, off offset:-1024
.LBB761_251:
	s_andn2_saveexec_b64 s[4:5], s[4:5]
	s_cbranch_execz .LBB761_253
; %bb.252:
	v_lshlrev_b32_e32 v13, 2, v0
	ds_read_b32 v14, v13 offset:1024
	v_readfirstlane_b32 s8, v8
	v_readfirstlane_b32 s9, v9
	s_waitcnt lgkmcnt(0)
	s_nop 3
	global_store_dword v13, v14, s[8:9] offset:1024
.LBB761_253:
	s_or_b64 exec, exec, s[4:5]
.LBB761_254:
	s_andn2_saveexec_b64 s[2:3], s[2:3]
	s_cbranch_execz .LBB761_256
; %bb.255:
	v_lshlrev_b32_e32 v13, 2, v0
	ds_read_b32 v14, v13 offset:1024
	v_readfirstlane_b32 s2, v10
	v_readfirstlane_b32 s3, v11
	s_waitcnt lgkmcnt(0)
	s_nop 3
	global_store_dword v13, v14, s[2:3] offset:1024
.LBB761_256:
	s_or_b64 exec, exec, s[0:1]
	v_or_b32_e32 v13, 0x200, v0
	v_cmp_gt_u32_e32 vcc, s18, v13
	s_and_saveexec_b64 s[0:1], vcc
	s_cbranch_execz .LBB761_265
; %bb.257:
	v_cmp_le_u32_e32 vcc, v2, v13
	s_and_saveexec_b64 s[2:3], vcc
	s_xor_b64 s[2:3], exec, s[2:3]
	s_cbranch_execz .LBB761_263
; %bb.258:
	v_cmp_le_u32_e32 vcc, v12, v13
	s_and_saveexec_b64 s[4:5], vcc
	s_xor_b64 s[4:5], exec, s[4:5]
	s_cbranch_execz .LBB761_260
; %bb.259:
	v_lshlrev_b32_e32 v13, 2, v0
	ds_read_b32 v13, v13 offset:2048
	v_add_co_u32_e32 v14, vcc, v1, v0
	v_addc_co_u32_e32 v15, vcc, 0, v4, vcc
	v_lshlrev_b64 v[14:15], 2, v[14:15]
	v_mov_b32_e32 v16, s7
	v_sub_co_u32_e32 v14, vcc, s6, v14
	v_subb_co_u32_e32 v15, vcc, v16, v15, vcc
	s_waitcnt lgkmcnt(0)
	global_store_dword v[14:15], v13, off offset:-2048
.LBB761_260:
	s_andn2_saveexec_b64 s[4:5], s[4:5]
	s_cbranch_execz .LBB761_262
; %bb.261:
	v_lshlrev_b32_e32 v13, 2, v0
	ds_read_b32 v14, v13 offset:2048
	v_readfirstlane_b32 s8, v8
	v_readfirstlane_b32 s9, v9
	s_waitcnt lgkmcnt(0)
	s_nop 3
	global_store_dword v13, v14, s[8:9] offset:2048
.LBB761_262:
	s_or_b64 exec, exec, s[4:5]
.LBB761_263:
	s_andn2_saveexec_b64 s[2:3], s[2:3]
	s_cbranch_execz .LBB761_265
; %bb.264:
	v_lshlrev_b32_e32 v13, 2, v0
	ds_read_b32 v14, v13 offset:2048
	v_readfirstlane_b32 s2, v10
	v_readfirstlane_b32 s3, v11
	s_waitcnt lgkmcnt(0)
	s_nop 3
	global_store_dword v13, v14, s[2:3] offset:2048
.LBB761_265:
	s_or_b64 exec, exec, s[0:1]
	v_or_b32_e32 v13, 0x300, v0
	v_cmp_gt_u32_e32 vcc, s18, v13
	s_and_saveexec_b64 s[0:1], vcc
	s_cbranch_execz .LBB761_274
; %bb.266:
	v_cmp_le_u32_e32 vcc, v2, v13
	s_and_saveexec_b64 s[2:3], vcc
	s_xor_b64 s[2:3], exec, s[2:3]
	s_cbranch_execz .LBB761_272
; %bb.267:
	v_cmp_le_u32_e32 vcc, v12, v13
	s_and_saveexec_b64 s[4:5], vcc
	s_xor_b64 s[4:5], exec, s[4:5]
	s_cbranch_execz .LBB761_269
; %bb.268:
	v_lshlrev_b32_e32 v13, 2, v0
	ds_read_b32 v13, v13 offset:3072
	v_add_co_u32_e32 v14, vcc, v1, v0
	v_addc_co_u32_e32 v15, vcc, 0, v4, vcc
	v_lshlrev_b64 v[14:15], 2, v[14:15]
	v_mov_b32_e32 v16, s7
	v_sub_co_u32_e32 v14, vcc, s6, v14
	v_subb_co_u32_e32 v15, vcc, v16, v15, vcc
	s_waitcnt lgkmcnt(0)
	global_store_dword v[14:15], v13, off offset:-3072
.LBB761_269:
	s_andn2_saveexec_b64 s[4:5], s[4:5]
	s_cbranch_execz .LBB761_271
; %bb.270:
	v_lshlrev_b32_e32 v13, 2, v0
	ds_read_b32 v14, v13 offset:3072
	v_readfirstlane_b32 s8, v8
	v_readfirstlane_b32 s9, v9
	s_waitcnt lgkmcnt(0)
	s_nop 3
	global_store_dword v13, v14, s[8:9] offset:3072
.LBB761_271:
	s_or_b64 exec, exec, s[4:5]
.LBB761_272:
	s_andn2_saveexec_b64 s[2:3], s[2:3]
	s_cbranch_execz .LBB761_274
; %bb.273:
	v_lshlrev_b32_e32 v13, 2, v0
	ds_read_b32 v14, v13 offset:3072
	v_readfirstlane_b32 s2, v10
	v_readfirstlane_b32 s3, v11
	s_waitcnt lgkmcnt(0)
	s_nop 3
	global_store_dword v13, v14, s[2:3] offset:3072
.LBB761_274:
	s_or_b64 exec, exec, s[0:1]
	v_or_b32_e32 v13, 0x400, v0
	v_cmp_gt_u32_e32 vcc, s18, v13
	s_and_saveexec_b64 s[0:1], vcc
	s_cbranch_execz .LBB761_283
; %bb.275:
	v_cmp_le_u32_e32 vcc, v2, v13
	s_and_saveexec_b64 s[2:3], vcc
	s_xor_b64 s[2:3], exec, s[2:3]
	s_cbranch_execz .LBB761_281
; %bb.276:
	v_cmp_le_u32_e32 vcc, v12, v13
	s_and_saveexec_b64 s[4:5], vcc
	s_xor_b64 s[4:5], exec, s[4:5]
	s_cbranch_execz .LBB761_278
; %bb.277:
	v_lshlrev_b32_e32 v13, 2, v0
	ds_read_b32 v13, v13 offset:4096
	v_add_co_u32_e32 v14, vcc, v1, v0
	v_addc_co_u32_e32 v15, vcc, 0, v4, vcc
	v_lshlrev_b64 v[14:15], 2, v[14:15]
	v_mov_b32_e32 v16, s7
	v_sub_co_u32_e32 v14, vcc, s6, v14
	v_subb_co_u32_e32 v15, vcc, v16, v15, vcc
	s_waitcnt lgkmcnt(0)
	global_store_dword v[14:15], v13, off offset:-4096
                                        ; implicit-def: $vgpr13
.LBB761_278:
	s_andn2_saveexec_b64 s[4:5], s[4:5]
	s_cbranch_execz .LBB761_280
; %bb.279:
	v_lshlrev_b32_e32 v14, 2, v0
	ds_read_b32 v14, v14 offset:4096
	v_lshlrev_b32_e32 v13, 2, v13
	v_readfirstlane_b32 s8, v8
	v_readfirstlane_b32 s9, v9
	s_waitcnt lgkmcnt(0)
	s_nop 3
	global_store_dword v13, v14, s[8:9]
.LBB761_280:
	s_or_b64 exec, exec, s[4:5]
                                        ; implicit-def: $vgpr13
.LBB761_281:
	s_andn2_saveexec_b64 s[2:3], s[2:3]
	s_cbranch_execz .LBB761_283
; %bb.282:
	v_lshlrev_b32_e32 v14, 2, v0
	ds_read_b32 v14, v14 offset:4096
	v_lshlrev_b32_e32 v13, 2, v13
	v_readfirstlane_b32 s2, v10
	v_readfirstlane_b32 s3, v11
	s_waitcnt lgkmcnt(0)
	s_nop 3
	global_store_dword v13, v14, s[2:3]
.LBB761_283:
	s_or_b64 exec, exec, s[0:1]
	v_or_b32_e32 v13, 0x500, v0
	v_cmp_gt_u32_e32 vcc, s18, v13
	s_and_saveexec_b64 s[0:1], vcc
	s_cbranch_execz .LBB761_292
; %bb.284:
	v_cmp_le_u32_e32 vcc, v2, v13
	s_and_saveexec_b64 s[2:3], vcc
	s_xor_b64 s[2:3], exec, s[2:3]
	s_cbranch_execz .LBB761_290
; %bb.285:
	v_cmp_le_u32_e32 vcc, v12, v13
	s_and_saveexec_b64 s[4:5], vcc
	s_xor_b64 s[4:5], exec, s[4:5]
	s_cbranch_execz .LBB761_287
; %bb.286:
	v_add_co_u32_e32 v14, vcc, v1, v13
	v_lshlrev_b32_e32 v13, 2, v0
	ds_read_b32 v13, v13 offset:5120
	v_addc_co_u32_e32 v15, vcc, 0, v4, vcc
	v_lshlrev_b64 v[14:15], 2, v[14:15]
	v_mov_b32_e32 v16, s7
	v_sub_co_u32_e32 v14, vcc, s6, v14
	v_subb_co_u32_e32 v15, vcc, v16, v15, vcc
	s_waitcnt lgkmcnt(0)
	global_store_dword v[14:15], v13, off
                                        ; implicit-def: $vgpr13
.LBB761_287:
	s_andn2_saveexec_b64 s[4:5], s[4:5]
	s_cbranch_execz .LBB761_289
; %bb.288:
	v_lshlrev_b32_e32 v14, 2, v0
	ds_read_b32 v14, v14 offset:5120
	v_lshlrev_b32_e32 v13, 2, v13
	v_readfirstlane_b32 s8, v8
	v_readfirstlane_b32 s9, v9
	s_waitcnt lgkmcnt(0)
	s_nop 3
	global_store_dword v13, v14, s[8:9]
.LBB761_289:
	s_or_b64 exec, exec, s[4:5]
                                        ; implicit-def: $vgpr13
.LBB761_290:
	s_andn2_saveexec_b64 s[2:3], s[2:3]
	s_cbranch_execz .LBB761_292
; %bb.291:
	v_lshlrev_b32_e32 v14, 2, v0
	ds_read_b32 v14, v14 offset:5120
	v_lshlrev_b32_e32 v13, 2, v13
	v_readfirstlane_b32 s2, v10
	v_readfirstlane_b32 s3, v11
	s_waitcnt lgkmcnt(0)
	s_nop 3
	global_store_dword v13, v14, s[2:3]
.LBB761_292:
	s_or_b64 exec, exec, s[0:1]
	v_or_b32_e32 v13, 0x600, v0
	v_cmp_gt_u32_e32 vcc, s18, v13
	s_and_saveexec_b64 s[0:1], vcc
	s_cbranch_execz .LBB761_301
; %bb.293:
	v_cmp_le_u32_e32 vcc, v2, v13
	s_and_saveexec_b64 s[2:3], vcc
	s_xor_b64 s[2:3], exec, s[2:3]
	s_cbranch_execz .LBB761_299
; %bb.294:
	v_cmp_le_u32_e32 vcc, v12, v13
	s_and_saveexec_b64 s[4:5], vcc
	s_xor_b64 s[4:5], exec, s[4:5]
	s_cbranch_execz .LBB761_296
; %bb.295:
	v_add_co_u32_e32 v14, vcc, v1, v13
	v_lshlrev_b32_e32 v13, 2, v0
	ds_read_b32 v13, v13 offset:6144
	v_addc_co_u32_e32 v15, vcc, 0, v4, vcc
	v_lshlrev_b64 v[14:15], 2, v[14:15]
	v_mov_b32_e32 v16, s7
	v_sub_co_u32_e32 v14, vcc, s6, v14
	v_subb_co_u32_e32 v15, vcc, v16, v15, vcc
	s_waitcnt lgkmcnt(0)
	global_store_dword v[14:15], v13, off
                                        ; implicit-def: $vgpr13
.LBB761_296:
	s_andn2_saveexec_b64 s[4:5], s[4:5]
	s_cbranch_execz .LBB761_298
; %bb.297:
	v_lshlrev_b32_e32 v14, 2, v0
	ds_read_b32 v14, v14 offset:6144
	v_lshlrev_b32_e32 v13, 2, v13
	v_readfirstlane_b32 s8, v8
	v_readfirstlane_b32 s9, v9
	s_waitcnt lgkmcnt(0)
	s_nop 3
	global_store_dword v13, v14, s[8:9]
.LBB761_298:
	s_or_b64 exec, exec, s[4:5]
                                        ; implicit-def: $vgpr13
.LBB761_299:
	s_andn2_saveexec_b64 s[2:3], s[2:3]
	s_cbranch_execz .LBB761_301
; %bb.300:
	v_lshlrev_b32_e32 v14, 2, v0
	ds_read_b32 v14, v14 offset:6144
	v_lshlrev_b32_e32 v13, 2, v13
	v_readfirstlane_b32 s2, v10
	v_readfirstlane_b32 s3, v11
	s_waitcnt lgkmcnt(0)
	s_nop 3
	global_store_dword v13, v14, s[2:3]
.LBB761_301:
	;; [unrolled: 55-line block ×7, first 2 shown]
	s_or_b64 exec, exec, s[0:1]
	v_or_b32_e32 v13, 0xc00, v0
	v_cmp_gt_u32_e32 vcc, s18, v13
	s_and_saveexec_b64 s[0:1], vcc
	s_cbranch_execz .LBB761_355
; %bb.347:
	v_cmp_le_u32_e32 vcc, v2, v13
	s_and_saveexec_b64 s[2:3], vcc
	s_xor_b64 s[2:3], exec, s[2:3]
	s_cbranch_execz .LBB761_353
; %bb.348:
	v_cmp_le_u32_e32 vcc, v12, v13
	s_and_saveexec_b64 s[4:5], vcc
	s_xor_b64 s[4:5], exec, s[4:5]
	s_cbranch_execz .LBB761_350
; %bb.349:
	v_add_co_u32_e32 v8, vcc, v1, v13
	v_lshlrev_b32_e32 v1, 2, v0
	ds_read_b32 v1, v1 offset:12288
	v_addc_co_u32_e32 v9, vcc, 0, v4, vcc
	v_lshlrev_b64 v[8:9], 2, v[8:9]
	v_mov_b32_e32 v4, s7
	v_sub_co_u32_e32 v8, vcc, s6, v8
	v_subb_co_u32_e32 v9, vcc, v4, v9, vcc
	s_waitcnt lgkmcnt(0)
	global_store_dword v[8:9], v1, off
                                        ; implicit-def: $vgpr13
                                        ; implicit-def: $vgpr8_vgpr9
.LBB761_350:
	s_andn2_saveexec_b64 s[4:5], s[4:5]
	s_cbranch_execz .LBB761_352
; %bb.351:
	v_lshlrev_b32_e32 v1, 2, v0
	ds_read_b32 v1, v1 offset:12288
	v_lshlrev_b32_e32 v4, 2, v13
	v_readfirstlane_b32 s6, v8
	v_readfirstlane_b32 s7, v9
	s_waitcnt lgkmcnt(0)
	s_nop 3
	global_store_dword v4, v1, s[6:7]
.LBB761_352:
	s_or_b64 exec, exec, s[4:5]
                                        ; implicit-def: $vgpr13
                                        ; implicit-def: $vgpr10_vgpr11
.LBB761_353:
	s_andn2_saveexec_b64 s[2:3], s[2:3]
	s_cbranch_execz .LBB761_355
; %bb.354:
	v_lshlrev_b32_e32 v1, 2, v0
	ds_read_b32 v1, v1 offset:12288
	v_lshlrev_b32_e32 v4, 2, v13
	v_readfirstlane_b32 s2, v10
	v_readfirstlane_b32 s3, v11
	s_waitcnt lgkmcnt(0)
	s_nop 3
	global_store_dword v4, v1, s[2:3]
.LBB761_355:
	s_or_b64 exec, exec, s[0:1]
	v_cmp_eq_u32_e32 vcc, 0, v0
	s_and_b64 s[0:1], vcc, s[30:31]
	s_and_saveexec_b64 s[2:3], s[0:1]
	s_cbranch_execz .LBB761_132
.LBB761_356:
	v_add_co_u32_e32 v0, vcc, v6, v2
	v_addc_co_u32_e32 v1, vcc, 0, v7, vcc
	v_mov_b32_e32 v2, s51
	v_add_co_u32_e32 v3, vcc, s50, v3
	v_addc_co_u32_e32 v6, vcc, 0, v2, vcc
	v_add_co_u32_e32 v2, vcc, v3, v5
	v_mov_b32_e32 v4, 0
	v_addc_co_u32_e32 v3, vcc, 0, v6, vcc
	global_store_dwordx4 v4, v[0:3], s[44:45]
	s_endpgm
	.section	.rodata,"a",@progbits
	.p2align	6, 0x0
	.amdhsa_kernel _ZN7rocprim17ROCPRIM_400000_NS6detail17trampoline_kernelINS0_13select_configILj256ELj13ELNS0_17block_load_methodE3ELS4_3ELS4_3ELNS0_20block_scan_algorithmE0ELj4294967295EEENS1_25partition_config_selectorILNS1_17partition_subalgoE4EjNS0_10empty_typeEbEEZZNS1_14partition_implILS8_4ELb0ES6_15HIP_vector_typeIjLj2EENS0_17counting_iteratorIjlEEPS9_SG_NS0_5tupleIJPjSI_NS0_16reverse_iteratorISI_EEEEENSH_IJSG_SG_SG_EEES9_SI_JZNS1_25segmented_radix_sort_implINS0_14default_configELb0EPKlPlSQ_SR_N2at6native12_GLOBAL__N_18offset_tEEE10hipError_tPvRmT1_PNSt15iterator_traitsISZ_E10value_typeET2_T3_PNS10_IS15_E10value_typeET4_jRbjT5_S1B_jjP12ihipStream_tbEUljE_ZNSN_ISO_Lb0ESQ_SR_SQ_SR_SV_EESW_SX_SY_SZ_S13_S14_S15_S18_S19_jS1A_jS1B_S1B_jjS1D_bEUljE0_EEESW_SX_SY_S15_S19_S1B_T6_T7_T9_mT8_S1D_bDpT10_ENKUlT_T0_E_clISt17integral_constantIbLb1EES1Q_IbLb0EEEEDaS1M_S1N_EUlS1M_E_NS1_11comp_targetILNS1_3genE4ELNS1_11target_archE910ELNS1_3gpuE8ELNS1_3repE0EEENS1_30default_config_static_selectorELNS0_4arch9wavefront6targetE1EEEvSZ_
		.amdhsa_group_segment_fixed_size 13340
		.amdhsa_private_segment_fixed_size 0
		.amdhsa_kernarg_size 176
		.amdhsa_user_sgpr_count 6
		.amdhsa_user_sgpr_private_segment_buffer 1
		.amdhsa_user_sgpr_dispatch_ptr 0
		.amdhsa_user_sgpr_queue_ptr 0
		.amdhsa_user_sgpr_kernarg_segment_ptr 1
		.amdhsa_user_sgpr_dispatch_id 0
		.amdhsa_user_sgpr_flat_scratch_init 0
		.amdhsa_user_sgpr_kernarg_preload_length 0
		.amdhsa_user_sgpr_kernarg_preload_offset 0
		.amdhsa_user_sgpr_private_segment_size 0
		.amdhsa_uses_dynamic_stack 0
		.amdhsa_system_sgpr_private_segment_wavefront_offset 0
		.amdhsa_system_sgpr_workgroup_id_x 1
		.amdhsa_system_sgpr_workgroup_id_y 0
		.amdhsa_system_sgpr_workgroup_id_z 0
		.amdhsa_system_sgpr_workgroup_info 0
		.amdhsa_system_vgpr_workitem_id 0
		.amdhsa_next_free_vgpr 102
		.amdhsa_next_free_sgpr 90
		.amdhsa_accum_offset 104
		.amdhsa_reserve_vcc 1
		.amdhsa_reserve_flat_scratch 0
		.amdhsa_float_round_mode_32 0
		.amdhsa_float_round_mode_16_64 0
		.amdhsa_float_denorm_mode_32 3
		.amdhsa_float_denorm_mode_16_64 3
		.amdhsa_dx10_clamp 1
		.amdhsa_ieee_mode 1
		.amdhsa_fp16_overflow 0
		.amdhsa_tg_split 0
		.amdhsa_exception_fp_ieee_invalid_op 0
		.amdhsa_exception_fp_denorm_src 0
		.amdhsa_exception_fp_ieee_div_zero 0
		.amdhsa_exception_fp_ieee_overflow 0
		.amdhsa_exception_fp_ieee_underflow 0
		.amdhsa_exception_fp_ieee_inexact 0
		.amdhsa_exception_int_div_zero 0
	.end_amdhsa_kernel
	.section	.text._ZN7rocprim17ROCPRIM_400000_NS6detail17trampoline_kernelINS0_13select_configILj256ELj13ELNS0_17block_load_methodE3ELS4_3ELS4_3ELNS0_20block_scan_algorithmE0ELj4294967295EEENS1_25partition_config_selectorILNS1_17partition_subalgoE4EjNS0_10empty_typeEbEEZZNS1_14partition_implILS8_4ELb0ES6_15HIP_vector_typeIjLj2EENS0_17counting_iteratorIjlEEPS9_SG_NS0_5tupleIJPjSI_NS0_16reverse_iteratorISI_EEEEENSH_IJSG_SG_SG_EEES9_SI_JZNS1_25segmented_radix_sort_implINS0_14default_configELb0EPKlPlSQ_SR_N2at6native12_GLOBAL__N_18offset_tEEE10hipError_tPvRmT1_PNSt15iterator_traitsISZ_E10value_typeET2_T3_PNS10_IS15_E10value_typeET4_jRbjT5_S1B_jjP12ihipStream_tbEUljE_ZNSN_ISO_Lb0ESQ_SR_SQ_SR_SV_EESW_SX_SY_SZ_S13_S14_S15_S18_S19_jS1A_jS1B_S1B_jjS1D_bEUljE0_EEESW_SX_SY_S15_S19_S1B_T6_T7_T9_mT8_S1D_bDpT10_ENKUlT_T0_E_clISt17integral_constantIbLb1EES1Q_IbLb0EEEEDaS1M_S1N_EUlS1M_E_NS1_11comp_targetILNS1_3genE4ELNS1_11target_archE910ELNS1_3gpuE8ELNS1_3repE0EEENS1_30default_config_static_selectorELNS0_4arch9wavefront6targetE1EEEvSZ_,"axG",@progbits,_ZN7rocprim17ROCPRIM_400000_NS6detail17trampoline_kernelINS0_13select_configILj256ELj13ELNS0_17block_load_methodE3ELS4_3ELS4_3ELNS0_20block_scan_algorithmE0ELj4294967295EEENS1_25partition_config_selectorILNS1_17partition_subalgoE4EjNS0_10empty_typeEbEEZZNS1_14partition_implILS8_4ELb0ES6_15HIP_vector_typeIjLj2EENS0_17counting_iteratorIjlEEPS9_SG_NS0_5tupleIJPjSI_NS0_16reverse_iteratorISI_EEEEENSH_IJSG_SG_SG_EEES9_SI_JZNS1_25segmented_radix_sort_implINS0_14default_configELb0EPKlPlSQ_SR_N2at6native12_GLOBAL__N_18offset_tEEE10hipError_tPvRmT1_PNSt15iterator_traitsISZ_E10value_typeET2_T3_PNS10_IS15_E10value_typeET4_jRbjT5_S1B_jjP12ihipStream_tbEUljE_ZNSN_ISO_Lb0ESQ_SR_SQ_SR_SV_EESW_SX_SY_SZ_S13_S14_S15_S18_S19_jS1A_jS1B_S1B_jjS1D_bEUljE0_EEESW_SX_SY_S15_S19_S1B_T6_T7_T9_mT8_S1D_bDpT10_ENKUlT_T0_E_clISt17integral_constantIbLb1EES1Q_IbLb0EEEEDaS1M_S1N_EUlS1M_E_NS1_11comp_targetILNS1_3genE4ELNS1_11target_archE910ELNS1_3gpuE8ELNS1_3repE0EEENS1_30default_config_static_selectorELNS0_4arch9wavefront6targetE1EEEvSZ_,comdat
.Lfunc_end761:
	.size	_ZN7rocprim17ROCPRIM_400000_NS6detail17trampoline_kernelINS0_13select_configILj256ELj13ELNS0_17block_load_methodE3ELS4_3ELS4_3ELNS0_20block_scan_algorithmE0ELj4294967295EEENS1_25partition_config_selectorILNS1_17partition_subalgoE4EjNS0_10empty_typeEbEEZZNS1_14partition_implILS8_4ELb0ES6_15HIP_vector_typeIjLj2EENS0_17counting_iteratorIjlEEPS9_SG_NS0_5tupleIJPjSI_NS0_16reverse_iteratorISI_EEEEENSH_IJSG_SG_SG_EEES9_SI_JZNS1_25segmented_radix_sort_implINS0_14default_configELb0EPKlPlSQ_SR_N2at6native12_GLOBAL__N_18offset_tEEE10hipError_tPvRmT1_PNSt15iterator_traitsISZ_E10value_typeET2_T3_PNS10_IS15_E10value_typeET4_jRbjT5_S1B_jjP12ihipStream_tbEUljE_ZNSN_ISO_Lb0ESQ_SR_SQ_SR_SV_EESW_SX_SY_SZ_S13_S14_S15_S18_S19_jS1A_jS1B_S1B_jjS1D_bEUljE0_EEESW_SX_SY_S15_S19_S1B_T6_T7_T9_mT8_S1D_bDpT10_ENKUlT_T0_E_clISt17integral_constantIbLb1EES1Q_IbLb0EEEEDaS1M_S1N_EUlS1M_E_NS1_11comp_targetILNS1_3genE4ELNS1_11target_archE910ELNS1_3gpuE8ELNS1_3repE0EEENS1_30default_config_static_selectorELNS0_4arch9wavefront6targetE1EEEvSZ_, .Lfunc_end761-_ZN7rocprim17ROCPRIM_400000_NS6detail17trampoline_kernelINS0_13select_configILj256ELj13ELNS0_17block_load_methodE3ELS4_3ELS4_3ELNS0_20block_scan_algorithmE0ELj4294967295EEENS1_25partition_config_selectorILNS1_17partition_subalgoE4EjNS0_10empty_typeEbEEZZNS1_14partition_implILS8_4ELb0ES6_15HIP_vector_typeIjLj2EENS0_17counting_iteratorIjlEEPS9_SG_NS0_5tupleIJPjSI_NS0_16reverse_iteratorISI_EEEEENSH_IJSG_SG_SG_EEES9_SI_JZNS1_25segmented_radix_sort_implINS0_14default_configELb0EPKlPlSQ_SR_N2at6native12_GLOBAL__N_18offset_tEEE10hipError_tPvRmT1_PNSt15iterator_traitsISZ_E10value_typeET2_T3_PNS10_IS15_E10value_typeET4_jRbjT5_S1B_jjP12ihipStream_tbEUljE_ZNSN_ISO_Lb0ESQ_SR_SQ_SR_SV_EESW_SX_SY_SZ_S13_S14_S15_S18_S19_jS1A_jS1B_S1B_jjS1D_bEUljE0_EEESW_SX_SY_S15_S19_S1B_T6_T7_T9_mT8_S1D_bDpT10_ENKUlT_T0_E_clISt17integral_constantIbLb1EES1Q_IbLb0EEEEDaS1M_S1N_EUlS1M_E_NS1_11comp_targetILNS1_3genE4ELNS1_11target_archE910ELNS1_3gpuE8ELNS1_3repE0EEENS1_30default_config_static_selectorELNS0_4arch9wavefront6targetE1EEEvSZ_
                                        ; -- End function
	.section	.AMDGPU.csdata,"",@progbits
; Kernel info:
; codeLenInByte = 13412
; NumSgprs: 94
; NumVgprs: 102
; NumAgprs: 0
; TotalNumVgprs: 102
; ScratchSize: 0
; MemoryBound: 0
; FloatMode: 240
; IeeeMode: 1
; LDSByteSize: 13340 bytes/workgroup (compile time only)
; SGPRBlocks: 11
; VGPRBlocks: 12
; NumSGPRsForWavesPerEU: 94
; NumVGPRsForWavesPerEU: 102
; AccumOffset: 104
; Occupancy: 4
; WaveLimiterHint : 1
; COMPUTE_PGM_RSRC2:SCRATCH_EN: 0
; COMPUTE_PGM_RSRC2:USER_SGPR: 6
; COMPUTE_PGM_RSRC2:TRAP_HANDLER: 0
; COMPUTE_PGM_RSRC2:TGID_X_EN: 1
; COMPUTE_PGM_RSRC2:TGID_Y_EN: 0
; COMPUTE_PGM_RSRC2:TGID_Z_EN: 0
; COMPUTE_PGM_RSRC2:TIDIG_COMP_CNT: 0
; COMPUTE_PGM_RSRC3_GFX90A:ACCUM_OFFSET: 25
; COMPUTE_PGM_RSRC3_GFX90A:TG_SPLIT: 0
	.section	.text._ZN7rocprim17ROCPRIM_400000_NS6detail17trampoline_kernelINS0_13select_configILj256ELj13ELNS0_17block_load_methodE3ELS4_3ELS4_3ELNS0_20block_scan_algorithmE0ELj4294967295EEENS1_25partition_config_selectorILNS1_17partition_subalgoE4EjNS0_10empty_typeEbEEZZNS1_14partition_implILS8_4ELb0ES6_15HIP_vector_typeIjLj2EENS0_17counting_iteratorIjlEEPS9_SG_NS0_5tupleIJPjSI_NS0_16reverse_iteratorISI_EEEEENSH_IJSG_SG_SG_EEES9_SI_JZNS1_25segmented_radix_sort_implINS0_14default_configELb0EPKlPlSQ_SR_N2at6native12_GLOBAL__N_18offset_tEEE10hipError_tPvRmT1_PNSt15iterator_traitsISZ_E10value_typeET2_T3_PNS10_IS15_E10value_typeET4_jRbjT5_S1B_jjP12ihipStream_tbEUljE_ZNSN_ISO_Lb0ESQ_SR_SQ_SR_SV_EESW_SX_SY_SZ_S13_S14_S15_S18_S19_jS1A_jS1B_S1B_jjS1D_bEUljE0_EEESW_SX_SY_S15_S19_S1B_T6_T7_T9_mT8_S1D_bDpT10_ENKUlT_T0_E_clISt17integral_constantIbLb1EES1Q_IbLb0EEEEDaS1M_S1N_EUlS1M_E_NS1_11comp_targetILNS1_3genE3ELNS1_11target_archE908ELNS1_3gpuE7ELNS1_3repE0EEENS1_30default_config_static_selectorELNS0_4arch9wavefront6targetE1EEEvSZ_,"axG",@progbits,_ZN7rocprim17ROCPRIM_400000_NS6detail17trampoline_kernelINS0_13select_configILj256ELj13ELNS0_17block_load_methodE3ELS4_3ELS4_3ELNS0_20block_scan_algorithmE0ELj4294967295EEENS1_25partition_config_selectorILNS1_17partition_subalgoE4EjNS0_10empty_typeEbEEZZNS1_14partition_implILS8_4ELb0ES6_15HIP_vector_typeIjLj2EENS0_17counting_iteratorIjlEEPS9_SG_NS0_5tupleIJPjSI_NS0_16reverse_iteratorISI_EEEEENSH_IJSG_SG_SG_EEES9_SI_JZNS1_25segmented_radix_sort_implINS0_14default_configELb0EPKlPlSQ_SR_N2at6native12_GLOBAL__N_18offset_tEEE10hipError_tPvRmT1_PNSt15iterator_traitsISZ_E10value_typeET2_T3_PNS10_IS15_E10value_typeET4_jRbjT5_S1B_jjP12ihipStream_tbEUljE_ZNSN_ISO_Lb0ESQ_SR_SQ_SR_SV_EESW_SX_SY_SZ_S13_S14_S15_S18_S19_jS1A_jS1B_S1B_jjS1D_bEUljE0_EEESW_SX_SY_S15_S19_S1B_T6_T7_T9_mT8_S1D_bDpT10_ENKUlT_T0_E_clISt17integral_constantIbLb1EES1Q_IbLb0EEEEDaS1M_S1N_EUlS1M_E_NS1_11comp_targetILNS1_3genE3ELNS1_11target_archE908ELNS1_3gpuE7ELNS1_3repE0EEENS1_30default_config_static_selectorELNS0_4arch9wavefront6targetE1EEEvSZ_,comdat
	.globl	_ZN7rocprim17ROCPRIM_400000_NS6detail17trampoline_kernelINS0_13select_configILj256ELj13ELNS0_17block_load_methodE3ELS4_3ELS4_3ELNS0_20block_scan_algorithmE0ELj4294967295EEENS1_25partition_config_selectorILNS1_17partition_subalgoE4EjNS0_10empty_typeEbEEZZNS1_14partition_implILS8_4ELb0ES6_15HIP_vector_typeIjLj2EENS0_17counting_iteratorIjlEEPS9_SG_NS0_5tupleIJPjSI_NS0_16reverse_iteratorISI_EEEEENSH_IJSG_SG_SG_EEES9_SI_JZNS1_25segmented_radix_sort_implINS0_14default_configELb0EPKlPlSQ_SR_N2at6native12_GLOBAL__N_18offset_tEEE10hipError_tPvRmT1_PNSt15iterator_traitsISZ_E10value_typeET2_T3_PNS10_IS15_E10value_typeET4_jRbjT5_S1B_jjP12ihipStream_tbEUljE_ZNSN_ISO_Lb0ESQ_SR_SQ_SR_SV_EESW_SX_SY_SZ_S13_S14_S15_S18_S19_jS1A_jS1B_S1B_jjS1D_bEUljE0_EEESW_SX_SY_S15_S19_S1B_T6_T7_T9_mT8_S1D_bDpT10_ENKUlT_T0_E_clISt17integral_constantIbLb1EES1Q_IbLb0EEEEDaS1M_S1N_EUlS1M_E_NS1_11comp_targetILNS1_3genE3ELNS1_11target_archE908ELNS1_3gpuE7ELNS1_3repE0EEENS1_30default_config_static_selectorELNS0_4arch9wavefront6targetE1EEEvSZ_ ; -- Begin function _ZN7rocprim17ROCPRIM_400000_NS6detail17trampoline_kernelINS0_13select_configILj256ELj13ELNS0_17block_load_methodE3ELS4_3ELS4_3ELNS0_20block_scan_algorithmE0ELj4294967295EEENS1_25partition_config_selectorILNS1_17partition_subalgoE4EjNS0_10empty_typeEbEEZZNS1_14partition_implILS8_4ELb0ES6_15HIP_vector_typeIjLj2EENS0_17counting_iteratorIjlEEPS9_SG_NS0_5tupleIJPjSI_NS0_16reverse_iteratorISI_EEEEENSH_IJSG_SG_SG_EEES9_SI_JZNS1_25segmented_radix_sort_implINS0_14default_configELb0EPKlPlSQ_SR_N2at6native12_GLOBAL__N_18offset_tEEE10hipError_tPvRmT1_PNSt15iterator_traitsISZ_E10value_typeET2_T3_PNS10_IS15_E10value_typeET4_jRbjT5_S1B_jjP12ihipStream_tbEUljE_ZNSN_ISO_Lb0ESQ_SR_SQ_SR_SV_EESW_SX_SY_SZ_S13_S14_S15_S18_S19_jS1A_jS1B_S1B_jjS1D_bEUljE0_EEESW_SX_SY_S15_S19_S1B_T6_T7_T9_mT8_S1D_bDpT10_ENKUlT_T0_E_clISt17integral_constantIbLb1EES1Q_IbLb0EEEEDaS1M_S1N_EUlS1M_E_NS1_11comp_targetILNS1_3genE3ELNS1_11target_archE908ELNS1_3gpuE7ELNS1_3repE0EEENS1_30default_config_static_selectorELNS0_4arch9wavefront6targetE1EEEvSZ_
	.p2align	8
	.type	_ZN7rocprim17ROCPRIM_400000_NS6detail17trampoline_kernelINS0_13select_configILj256ELj13ELNS0_17block_load_methodE3ELS4_3ELS4_3ELNS0_20block_scan_algorithmE0ELj4294967295EEENS1_25partition_config_selectorILNS1_17partition_subalgoE4EjNS0_10empty_typeEbEEZZNS1_14partition_implILS8_4ELb0ES6_15HIP_vector_typeIjLj2EENS0_17counting_iteratorIjlEEPS9_SG_NS0_5tupleIJPjSI_NS0_16reverse_iteratorISI_EEEEENSH_IJSG_SG_SG_EEES9_SI_JZNS1_25segmented_radix_sort_implINS0_14default_configELb0EPKlPlSQ_SR_N2at6native12_GLOBAL__N_18offset_tEEE10hipError_tPvRmT1_PNSt15iterator_traitsISZ_E10value_typeET2_T3_PNS10_IS15_E10value_typeET4_jRbjT5_S1B_jjP12ihipStream_tbEUljE_ZNSN_ISO_Lb0ESQ_SR_SQ_SR_SV_EESW_SX_SY_SZ_S13_S14_S15_S18_S19_jS1A_jS1B_S1B_jjS1D_bEUljE0_EEESW_SX_SY_S15_S19_S1B_T6_T7_T9_mT8_S1D_bDpT10_ENKUlT_T0_E_clISt17integral_constantIbLb1EES1Q_IbLb0EEEEDaS1M_S1N_EUlS1M_E_NS1_11comp_targetILNS1_3genE3ELNS1_11target_archE908ELNS1_3gpuE7ELNS1_3repE0EEENS1_30default_config_static_selectorELNS0_4arch9wavefront6targetE1EEEvSZ_,@function
_ZN7rocprim17ROCPRIM_400000_NS6detail17trampoline_kernelINS0_13select_configILj256ELj13ELNS0_17block_load_methodE3ELS4_3ELS4_3ELNS0_20block_scan_algorithmE0ELj4294967295EEENS1_25partition_config_selectorILNS1_17partition_subalgoE4EjNS0_10empty_typeEbEEZZNS1_14partition_implILS8_4ELb0ES6_15HIP_vector_typeIjLj2EENS0_17counting_iteratorIjlEEPS9_SG_NS0_5tupleIJPjSI_NS0_16reverse_iteratorISI_EEEEENSH_IJSG_SG_SG_EEES9_SI_JZNS1_25segmented_radix_sort_implINS0_14default_configELb0EPKlPlSQ_SR_N2at6native12_GLOBAL__N_18offset_tEEE10hipError_tPvRmT1_PNSt15iterator_traitsISZ_E10value_typeET2_T3_PNS10_IS15_E10value_typeET4_jRbjT5_S1B_jjP12ihipStream_tbEUljE_ZNSN_ISO_Lb0ESQ_SR_SQ_SR_SV_EESW_SX_SY_SZ_S13_S14_S15_S18_S19_jS1A_jS1B_S1B_jjS1D_bEUljE0_EEESW_SX_SY_S15_S19_S1B_T6_T7_T9_mT8_S1D_bDpT10_ENKUlT_T0_E_clISt17integral_constantIbLb1EES1Q_IbLb0EEEEDaS1M_S1N_EUlS1M_E_NS1_11comp_targetILNS1_3genE3ELNS1_11target_archE908ELNS1_3gpuE7ELNS1_3repE0EEENS1_30default_config_static_selectorELNS0_4arch9wavefront6targetE1EEEvSZ_: ; @_ZN7rocprim17ROCPRIM_400000_NS6detail17trampoline_kernelINS0_13select_configILj256ELj13ELNS0_17block_load_methodE3ELS4_3ELS4_3ELNS0_20block_scan_algorithmE0ELj4294967295EEENS1_25partition_config_selectorILNS1_17partition_subalgoE4EjNS0_10empty_typeEbEEZZNS1_14partition_implILS8_4ELb0ES6_15HIP_vector_typeIjLj2EENS0_17counting_iteratorIjlEEPS9_SG_NS0_5tupleIJPjSI_NS0_16reverse_iteratorISI_EEEEENSH_IJSG_SG_SG_EEES9_SI_JZNS1_25segmented_radix_sort_implINS0_14default_configELb0EPKlPlSQ_SR_N2at6native12_GLOBAL__N_18offset_tEEE10hipError_tPvRmT1_PNSt15iterator_traitsISZ_E10value_typeET2_T3_PNS10_IS15_E10value_typeET4_jRbjT5_S1B_jjP12ihipStream_tbEUljE_ZNSN_ISO_Lb0ESQ_SR_SQ_SR_SV_EESW_SX_SY_SZ_S13_S14_S15_S18_S19_jS1A_jS1B_S1B_jjS1D_bEUljE0_EEESW_SX_SY_S15_S19_S1B_T6_T7_T9_mT8_S1D_bDpT10_ENKUlT_T0_E_clISt17integral_constantIbLb1EES1Q_IbLb0EEEEDaS1M_S1N_EUlS1M_E_NS1_11comp_targetILNS1_3genE3ELNS1_11target_archE908ELNS1_3gpuE7ELNS1_3repE0EEENS1_30default_config_static_selectorELNS0_4arch9wavefront6targetE1EEEvSZ_
; %bb.0:
	.section	.rodata,"a",@progbits
	.p2align	6, 0x0
	.amdhsa_kernel _ZN7rocprim17ROCPRIM_400000_NS6detail17trampoline_kernelINS0_13select_configILj256ELj13ELNS0_17block_load_methodE3ELS4_3ELS4_3ELNS0_20block_scan_algorithmE0ELj4294967295EEENS1_25partition_config_selectorILNS1_17partition_subalgoE4EjNS0_10empty_typeEbEEZZNS1_14partition_implILS8_4ELb0ES6_15HIP_vector_typeIjLj2EENS0_17counting_iteratorIjlEEPS9_SG_NS0_5tupleIJPjSI_NS0_16reverse_iteratorISI_EEEEENSH_IJSG_SG_SG_EEES9_SI_JZNS1_25segmented_radix_sort_implINS0_14default_configELb0EPKlPlSQ_SR_N2at6native12_GLOBAL__N_18offset_tEEE10hipError_tPvRmT1_PNSt15iterator_traitsISZ_E10value_typeET2_T3_PNS10_IS15_E10value_typeET4_jRbjT5_S1B_jjP12ihipStream_tbEUljE_ZNSN_ISO_Lb0ESQ_SR_SQ_SR_SV_EESW_SX_SY_SZ_S13_S14_S15_S18_S19_jS1A_jS1B_S1B_jjS1D_bEUljE0_EEESW_SX_SY_S15_S19_S1B_T6_T7_T9_mT8_S1D_bDpT10_ENKUlT_T0_E_clISt17integral_constantIbLb1EES1Q_IbLb0EEEEDaS1M_S1N_EUlS1M_E_NS1_11comp_targetILNS1_3genE3ELNS1_11target_archE908ELNS1_3gpuE7ELNS1_3repE0EEENS1_30default_config_static_selectorELNS0_4arch9wavefront6targetE1EEEvSZ_
		.amdhsa_group_segment_fixed_size 0
		.amdhsa_private_segment_fixed_size 0
		.amdhsa_kernarg_size 176
		.amdhsa_user_sgpr_count 6
		.amdhsa_user_sgpr_private_segment_buffer 1
		.amdhsa_user_sgpr_dispatch_ptr 0
		.amdhsa_user_sgpr_queue_ptr 0
		.amdhsa_user_sgpr_kernarg_segment_ptr 1
		.amdhsa_user_sgpr_dispatch_id 0
		.amdhsa_user_sgpr_flat_scratch_init 0
		.amdhsa_user_sgpr_kernarg_preload_length 0
		.amdhsa_user_sgpr_kernarg_preload_offset 0
		.amdhsa_user_sgpr_private_segment_size 0
		.amdhsa_uses_dynamic_stack 0
		.amdhsa_system_sgpr_private_segment_wavefront_offset 0
		.amdhsa_system_sgpr_workgroup_id_x 1
		.amdhsa_system_sgpr_workgroup_id_y 0
		.amdhsa_system_sgpr_workgroup_id_z 0
		.amdhsa_system_sgpr_workgroup_info 0
		.amdhsa_system_vgpr_workitem_id 0
		.amdhsa_next_free_vgpr 1
		.amdhsa_next_free_sgpr 0
		.amdhsa_accum_offset 4
		.amdhsa_reserve_vcc 0
		.amdhsa_reserve_flat_scratch 0
		.amdhsa_float_round_mode_32 0
		.amdhsa_float_round_mode_16_64 0
		.amdhsa_float_denorm_mode_32 3
		.amdhsa_float_denorm_mode_16_64 3
		.amdhsa_dx10_clamp 1
		.amdhsa_ieee_mode 1
		.amdhsa_fp16_overflow 0
		.amdhsa_tg_split 0
		.amdhsa_exception_fp_ieee_invalid_op 0
		.amdhsa_exception_fp_denorm_src 0
		.amdhsa_exception_fp_ieee_div_zero 0
		.amdhsa_exception_fp_ieee_overflow 0
		.amdhsa_exception_fp_ieee_underflow 0
		.amdhsa_exception_fp_ieee_inexact 0
		.amdhsa_exception_int_div_zero 0
	.end_amdhsa_kernel
	.section	.text._ZN7rocprim17ROCPRIM_400000_NS6detail17trampoline_kernelINS0_13select_configILj256ELj13ELNS0_17block_load_methodE3ELS4_3ELS4_3ELNS0_20block_scan_algorithmE0ELj4294967295EEENS1_25partition_config_selectorILNS1_17partition_subalgoE4EjNS0_10empty_typeEbEEZZNS1_14partition_implILS8_4ELb0ES6_15HIP_vector_typeIjLj2EENS0_17counting_iteratorIjlEEPS9_SG_NS0_5tupleIJPjSI_NS0_16reverse_iteratorISI_EEEEENSH_IJSG_SG_SG_EEES9_SI_JZNS1_25segmented_radix_sort_implINS0_14default_configELb0EPKlPlSQ_SR_N2at6native12_GLOBAL__N_18offset_tEEE10hipError_tPvRmT1_PNSt15iterator_traitsISZ_E10value_typeET2_T3_PNS10_IS15_E10value_typeET4_jRbjT5_S1B_jjP12ihipStream_tbEUljE_ZNSN_ISO_Lb0ESQ_SR_SQ_SR_SV_EESW_SX_SY_SZ_S13_S14_S15_S18_S19_jS1A_jS1B_S1B_jjS1D_bEUljE0_EEESW_SX_SY_S15_S19_S1B_T6_T7_T9_mT8_S1D_bDpT10_ENKUlT_T0_E_clISt17integral_constantIbLb1EES1Q_IbLb0EEEEDaS1M_S1N_EUlS1M_E_NS1_11comp_targetILNS1_3genE3ELNS1_11target_archE908ELNS1_3gpuE7ELNS1_3repE0EEENS1_30default_config_static_selectorELNS0_4arch9wavefront6targetE1EEEvSZ_,"axG",@progbits,_ZN7rocprim17ROCPRIM_400000_NS6detail17trampoline_kernelINS0_13select_configILj256ELj13ELNS0_17block_load_methodE3ELS4_3ELS4_3ELNS0_20block_scan_algorithmE0ELj4294967295EEENS1_25partition_config_selectorILNS1_17partition_subalgoE4EjNS0_10empty_typeEbEEZZNS1_14partition_implILS8_4ELb0ES6_15HIP_vector_typeIjLj2EENS0_17counting_iteratorIjlEEPS9_SG_NS0_5tupleIJPjSI_NS0_16reverse_iteratorISI_EEEEENSH_IJSG_SG_SG_EEES9_SI_JZNS1_25segmented_radix_sort_implINS0_14default_configELb0EPKlPlSQ_SR_N2at6native12_GLOBAL__N_18offset_tEEE10hipError_tPvRmT1_PNSt15iterator_traitsISZ_E10value_typeET2_T3_PNS10_IS15_E10value_typeET4_jRbjT5_S1B_jjP12ihipStream_tbEUljE_ZNSN_ISO_Lb0ESQ_SR_SQ_SR_SV_EESW_SX_SY_SZ_S13_S14_S15_S18_S19_jS1A_jS1B_S1B_jjS1D_bEUljE0_EEESW_SX_SY_S15_S19_S1B_T6_T7_T9_mT8_S1D_bDpT10_ENKUlT_T0_E_clISt17integral_constantIbLb1EES1Q_IbLb0EEEEDaS1M_S1N_EUlS1M_E_NS1_11comp_targetILNS1_3genE3ELNS1_11target_archE908ELNS1_3gpuE7ELNS1_3repE0EEENS1_30default_config_static_selectorELNS0_4arch9wavefront6targetE1EEEvSZ_,comdat
.Lfunc_end762:
	.size	_ZN7rocprim17ROCPRIM_400000_NS6detail17trampoline_kernelINS0_13select_configILj256ELj13ELNS0_17block_load_methodE3ELS4_3ELS4_3ELNS0_20block_scan_algorithmE0ELj4294967295EEENS1_25partition_config_selectorILNS1_17partition_subalgoE4EjNS0_10empty_typeEbEEZZNS1_14partition_implILS8_4ELb0ES6_15HIP_vector_typeIjLj2EENS0_17counting_iteratorIjlEEPS9_SG_NS0_5tupleIJPjSI_NS0_16reverse_iteratorISI_EEEEENSH_IJSG_SG_SG_EEES9_SI_JZNS1_25segmented_radix_sort_implINS0_14default_configELb0EPKlPlSQ_SR_N2at6native12_GLOBAL__N_18offset_tEEE10hipError_tPvRmT1_PNSt15iterator_traitsISZ_E10value_typeET2_T3_PNS10_IS15_E10value_typeET4_jRbjT5_S1B_jjP12ihipStream_tbEUljE_ZNSN_ISO_Lb0ESQ_SR_SQ_SR_SV_EESW_SX_SY_SZ_S13_S14_S15_S18_S19_jS1A_jS1B_S1B_jjS1D_bEUljE0_EEESW_SX_SY_S15_S19_S1B_T6_T7_T9_mT8_S1D_bDpT10_ENKUlT_T0_E_clISt17integral_constantIbLb1EES1Q_IbLb0EEEEDaS1M_S1N_EUlS1M_E_NS1_11comp_targetILNS1_3genE3ELNS1_11target_archE908ELNS1_3gpuE7ELNS1_3repE0EEENS1_30default_config_static_selectorELNS0_4arch9wavefront6targetE1EEEvSZ_, .Lfunc_end762-_ZN7rocprim17ROCPRIM_400000_NS6detail17trampoline_kernelINS0_13select_configILj256ELj13ELNS0_17block_load_methodE3ELS4_3ELS4_3ELNS0_20block_scan_algorithmE0ELj4294967295EEENS1_25partition_config_selectorILNS1_17partition_subalgoE4EjNS0_10empty_typeEbEEZZNS1_14partition_implILS8_4ELb0ES6_15HIP_vector_typeIjLj2EENS0_17counting_iteratorIjlEEPS9_SG_NS0_5tupleIJPjSI_NS0_16reverse_iteratorISI_EEEEENSH_IJSG_SG_SG_EEES9_SI_JZNS1_25segmented_radix_sort_implINS0_14default_configELb0EPKlPlSQ_SR_N2at6native12_GLOBAL__N_18offset_tEEE10hipError_tPvRmT1_PNSt15iterator_traitsISZ_E10value_typeET2_T3_PNS10_IS15_E10value_typeET4_jRbjT5_S1B_jjP12ihipStream_tbEUljE_ZNSN_ISO_Lb0ESQ_SR_SQ_SR_SV_EESW_SX_SY_SZ_S13_S14_S15_S18_S19_jS1A_jS1B_S1B_jjS1D_bEUljE0_EEESW_SX_SY_S15_S19_S1B_T6_T7_T9_mT8_S1D_bDpT10_ENKUlT_T0_E_clISt17integral_constantIbLb1EES1Q_IbLb0EEEEDaS1M_S1N_EUlS1M_E_NS1_11comp_targetILNS1_3genE3ELNS1_11target_archE908ELNS1_3gpuE7ELNS1_3repE0EEENS1_30default_config_static_selectorELNS0_4arch9wavefront6targetE1EEEvSZ_
                                        ; -- End function
	.section	.AMDGPU.csdata,"",@progbits
; Kernel info:
; codeLenInByte = 0
; NumSgprs: 4
; NumVgprs: 0
; NumAgprs: 0
; TotalNumVgprs: 0
; ScratchSize: 0
; MemoryBound: 0
; FloatMode: 240
; IeeeMode: 1
; LDSByteSize: 0 bytes/workgroup (compile time only)
; SGPRBlocks: 0
; VGPRBlocks: 0
; NumSGPRsForWavesPerEU: 4
; NumVGPRsForWavesPerEU: 1
; AccumOffset: 4
; Occupancy: 8
; WaveLimiterHint : 0
; COMPUTE_PGM_RSRC2:SCRATCH_EN: 0
; COMPUTE_PGM_RSRC2:USER_SGPR: 6
; COMPUTE_PGM_RSRC2:TRAP_HANDLER: 0
; COMPUTE_PGM_RSRC2:TGID_X_EN: 1
; COMPUTE_PGM_RSRC2:TGID_Y_EN: 0
; COMPUTE_PGM_RSRC2:TGID_Z_EN: 0
; COMPUTE_PGM_RSRC2:TIDIG_COMP_CNT: 0
; COMPUTE_PGM_RSRC3_GFX90A:ACCUM_OFFSET: 0
; COMPUTE_PGM_RSRC3_GFX90A:TG_SPLIT: 0
	.section	.text._ZN7rocprim17ROCPRIM_400000_NS6detail17trampoline_kernelINS0_13select_configILj256ELj13ELNS0_17block_load_methodE3ELS4_3ELS4_3ELNS0_20block_scan_algorithmE0ELj4294967295EEENS1_25partition_config_selectorILNS1_17partition_subalgoE4EjNS0_10empty_typeEbEEZZNS1_14partition_implILS8_4ELb0ES6_15HIP_vector_typeIjLj2EENS0_17counting_iteratorIjlEEPS9_SG_NS0_5tupleIJPjSI_NS0_16reverse_iteratorISI_EEEEENSH_IJSG_SG_SG_EEES9_SI_JZNS1_25segmented_radix_sort_implINS0_14default_configELb0EPKlPlSQ_SR_N2at6native12_GLOBAL__N_18offset_tEEE10hipError_tPvRmT1_PNSt15iterator_traitsISZ_E10value_typeET2_T3_PNS10_IS15_E10value_typeET4_jRbjT5_S1B_jjP12ihipStream_tbEUljE_ZNSN_ISO_Lb0ESQ_SR_SQ_SR_SV_EESW_SX_SY_SZ_S13_S14_S15_S18_S19_jS1A_jS1B_S1B_jjS1D_bEUljE0_EEESW_SX_SY_S15_S19_S1B_T6_T7_T9_mT8_S1D_bDpT10_ENKUlT_T0_E_clISt17integral_constantIbLb1EES1Q_IbLb0EEEEDaS1M_S1N_EUlS1M_E_NS1_11comp_targetILNS1_3genE2ELNS1_11target_archE906ELNS1_3gpuE6ELNS1_3repE0EEENS1_30default_config_static_selectorELNS0_4arch9wavefront6targetE1EEEvSZ_,"axG",@progbits,_ZN7rocprim17ROCPRIM_400000_NS6detail17trampoline_kernelINS0_13select_configILj256ELj13ELNS0_17block_load_methodE3ELS4_3ELS4_3ELNS0_20block_scan_algorithmE0ELj4294967295EEENS1_25partition_config_selectorILNS1_17partition_subalgoE4EjNS0_10empty_typeEbEEZZNS1_14partition_implILS8_4ELb0ES6_15HIP_vector_typeIjLj2EENS0_17counting_iteratorIjlEEPS9_SG_NS0_5tupleIJPjSI_NS0_16reverse_iteratorISI_EEEEENSH_IJSG_SG_SG_EEES9_SI_JZNS1_25segmented_radix_sort_implINS0_14default_configELb0EPKlPlSQ_SR_N2at6native12_GLOBAL__N_18offset_tEEE10hipError_tPvRmT1_PNSt15iterator_traitsISZ_E10value_typeET2_T3_PNS10_IS15_E10value_typeET4_jRbjT5_S1B_jjP12ihipStream_tbEUljE_ZNSN_ISO_Lb0ESQ_SR_SQ_SR_SV_EESW_SX_SY_SZ_S13_S14_S15_S18_S19_jS1A_jS1B_S1B_jjS1D_bEUljE0_EEESW_SX_SY_S15_S19_S1B_T6_T7_T9_mT8_S1D_bDpT10_ENKUlT_T0_E_clISt17integral_constantIbLb1EES1Q_IbLb0EEEEDaS1M_S1N_EUlS1M_E_NS1_11comp_targetILNS1_3genE2ELNS1_11target_archE906ELNS1_3gpuE6ELNS1_3repE0EEENS1_30default_config_static_selectorELNS0_4arch9wavefront6targetE1EEEvSZ_,comdat
	.globl	_ZN7rocprim17ROCPRIM_400000_NS6detail17trampoline_kernelINS0_13select_configILj256ELj13ELNS0_17block_load_methodE3ELS4_3ELS4_3ELNS0_20block_scan_algorithmE0ELj4294967295EEENS1_25partition_config_selectorILNS1_17partition_subalgoE4EjNS0_10empty_typeEbEEZZNS1_14partition_implILS8_4ELb0ES6_15HIP_vector_typeIjLj2EENS0_17counting_iteratorIjlEEPS9_SG_NS0_5tupleIJPjSI_NS0_16reverse_iteratorISI_EEEEENSH_IJSG_SG_SG_EEES9_SI_JZNS1_25segmented_radix_sort_implINS0_14default_configELb0EPKlPlSQ_SR_N2at6native12_GLOBAL__N_18offset_tEEE10hipError_tPvRmT1_PNSt15iterator_traitsISZ_E10value_typeET2_T3_PNS10_IS15_E10value_typeET4_jRbjT5_S1B_jjP12ihipStream_tbEUljE_ZNSN_ISO_Lb0ESQ_SR_SQ_SR_SV_EESW_SX_SY_SZ_S13_S14_S15_S18_S19_jS1A_jS1B_S1B_jjS1D_bEUljE0_EEESW_SX_SY_S15_S19_S1B_T6_T7_T9_mT8_S1D_bDpT10_ENKUlT_T0_E_clISt17integral_constantIbLb1EES1Q_IbLb0EEEEDaS1M_S1N_EUlS1M_E_NS1_11comp_targetILNS1_3genE2ELNS1_11target_archE906ELNS1_3gpuE6ELNS1_3repE0EEENS1_30default_config_static_selectorELNS0_4arch9wavefront6targetE1EEEvSZ_ ; -- Begin function _ZN7rocprim17ROCPRIM_400000_NS6detail17trampoline_kernelINS0_13select_configILj256ELj13ELNS0_17block_load_methodE3ELS4_3ELS4_3ELNS0_20block_scan_algorithmE0ELj4294967295EEENS1_25partition_config_selectorILNS1_17partition_subalgoE4EjNS0_10empty_typeEbEEZZNS1_14partition_implILS8_4ELb0ES6_15HIP_vector_typeIjLj2EENS0_17counting_iteratorIjlEEPS9_SG_NS0_5tupleIJPjSI_NS0_16reverse_iteratorISI_EEEEENSH_IJSG_SG_SG_EEES9_SI_JZNS1_25segmented_radix_sort_implINS0_14default_configELb0EPKlPlSQ_SR_N2at6native12_GLOBAL__N_18offset_tEEE10hipError_tPvRmT1_PNSt15iterator_traitsISZ_E10value_typeET2_T3_PNS10_IS15_E10value_typeET4_jRbjT5_S1B_jjP12ihipStream_tbEUljE_ZNSN_ISO_Lb0ESQ_SR_SQ_SR_SV_EESW_SX_SY_SZ_S13_S14_S15_S18_S19_jS1A_jS1B_S1B_jjS1D_bEUljE0_EEESW_SX_SY_S15_S19_S1B_T6_T7_T9_mT8_S1D_bDpT10_ENKUlT_T0_E_clISt17integral_constantIbLb1EES1Q_IbLb0EEEEDaS1M_S1N_EUlS1M_E_NS1_11comp_targetILNS1_3genE2ELNS1_11target_archE906ELNS1_3gpuE6ELNS1_3repE0EEENS1_30default_config_static_selectorELNS0_4arch9wavefront6targetE1EEEvSZ_
	.p2align	8
	.type	_ZN7rocprim17ROCPRIM_400000_NS6detail17trampoline_kernelINS0_13select_configILj256ELj13ELNS0_17block_load_methodE3ELS4_3ELS4_3ELNS0_20block_scan_algorithmE0ELj4294967295EEENS1_25partition_config_selectorILNS1_17partition_subalgoE4EjNS0_10empty_typeEbEEZZNS1_14partition_implILS8_4ELb0ES6_15HIP_vector_typeIjLj2EENS0_17counting_iteratorIjlEEPS9_SG_NS0_5tupleIJPjSI_NS0_16reverse_iteratorISI_EEEEENSH_IJSG_SG_SG_EEES9_SI_JZNS1_25segmented_radix_sort_implINS0_14default_configELb0EPKlPlSQ_SR_N2at6native12_GLOBAL__N_18offset_tEEE10hipError_tPvRmT1_PNSt15iterator_traitsISZ_E10value_typeET2_T3_PNS10_IS15_E10value_typeET4_jRbjT5_S1B_jjP12ihipStream_tbEUljE_ZNSN_ISO_Lb0ESQ_SR_SQ_SR_SV_EESW_SX_SY_SZ_S13_S14_S15_S18_S19_jS1A_jS1B_S1B_jjS1D_bEUljE0_EEESW_SX_SY_S15_S19_S1B_T6_T7_T9_mT8_S1D_bDpT10_ENKUlT_T0_E_clISt17integral_constantIbLb1EES1Q_IbLb0EEEEDaS1M_S1N_EUlS1M_E_NS1_11comp_targetILNS1_3genE2ELNS1_11target_archE906ELNS1_3gpuE6ELNS1_3repE0EEENS1_30default_config_static_selectorELNS0_4arch9wavefront6targetE1EEEvSZ_,@function
_ZN7rocprim17ROCPRIM_400000_NS6detail17trampoline_kernelINS0_13select_configILj256ELj13ELNS0_17block_load_methodE3ELS4_3ELS4_3ELNS0_20block_scan_algorithmE0ELj4294967295EEENS1_25partition_config_selectorILNS1_17partition_subalgoE4EjNS0_10empty_typeEbEEZZNS1_14partition_implILS8_4ELb0ES6_15HIP_vector_typeIjLj2EENS0_17counting_iteratorIjlEEPS9_SG_NS0_5tupleIJPjSI_NS0_16reverse_iteratorISI_EEEEENSH_IJSG_SG_SG_EEES9_SI_JZNS1_25segmented_radix_sort_implINS0_14default_configELb0EPKlPlSQ_SR_N2at6native12_GLOBAL__N_18offset_tEEE10hipError_tPvRmT1_PNSt15iterator_traitsISZ_E10value_typeET2_T3_PNS10_IS15_E10value_typeET4_jRbjT5_S1B_jjP12ihipStream_tbEUljE_ZNSN_ISO_Lb0ESQ_SR_SQ_SR_SV_EESW_SX_SY_SZ_S13_S14_S15_S18_S19_jS1A_jS1B_S1B_jjS1D_bEUljE0_EEESW_SX_SY_S15_S19_S1B_T6_T7_T9_mT8_S1D_bDpT10_ENKUlT_T0_E_clISt17integral_constantIbLb1EES1Q_IbLb0EEEEDaS1M_S1N_EUlS1M_E_NS1_11comp_targetILNS1_3genE2ELNS1_11target_archE906ELNS1_3gpuE6ELNS1_3repE0EEENS1_30default_config_static_selectorELNS0_4arch9wavefront6targetE1EEEvSZ_: ; @_ZN7rocprim17ROCPRIM_400000_NS6detail17trampoline_kernelINS0_13select_configILj256ELj13ELNS0_17block_load_methodE3ELS4_3ELS4_3ELNS0_20block_scan_algorithmE0ELj4294967295EEENS1_25partition_config_selectorILNS1_17partition_subalgoE4EjNS0_10empty_typeEbEEZZNS1_14partition_implILS8_4ELb0ES6_15HIP_vector_typeIjLj2EENS0_17counting_iteratorIjlEEPS9_SG_NS0_5tupleIJPjSI_NS0_16reverse_iteratorISI_EEEEENSH_IJSG_SG_SG_EEES9_SI_JZNS1_25segmented_radix_sort_implINS0_14default_configELb0EPKlPlSQ_SR_N2at6native12_GLOBAL__N_18offset_tEEE10hipError_tPvRmT1_PNSt15iterator_traitsISZ_E10value_typeET2_T3_PNS10_IS15_E10value_typeET4_jRbjT5_S1B_jjP12ihipStream_tbEUljE_ZNSN_ISO_Lb0ESQ_SR_SQ_SR_SV_EESW_SX_SY_SZ_S13_S14_S15_S18_S19_jS1A_jS1B_S1B_jjS1D_bEUljE0_EEESW_SX_SY_S15_S19_S1B_T6_T7_T9_mT8_S1D_bDpT10_ENKUlT_T0_E_clISt17integral_constantIbLb1EES1Q_IbLb0EEEEDaS1M_S1N_EUlS1M_E_NS1_11comp_targetILNS1_3genE2ELNS1_11target_archE906ELNS1_3gpuE6ELNS1_3repE0EEENS1_30default_config_static_selectorELNS0_4arch9wavefront6targetE1EEEvSZ_
; %bb.0:
	.section	.rodata,"a",@progbits
	.p2align	6, 0x0
	.amdhsa_kernel _ZN7rocprim17ROCPRIM_400000_NS6detail17trampoline_kernelINS0_13select_configILj256ELj13ELNS0_17block_load_methodE3ELS4_3ELS4_3ELNS0_20block_scan_algorithmE0ELj4294967295EEENS1_25partition_config_selectorILNS1_17partition_subalgoE4EjNS0_10empty_typeEbEEZZNS1_14partition_implILS8_4ELb0ES6_15HIP_vector_typeIjLj2EENS0_17counting_iteratorIjlEEPS9_SG_NS0_5tupleIJPjSI_NS0_16reverse_iteratorISI_EEEEENSH_IJSG_SG_SG_EEES9_SI_JZNS1_25segmented_radix_sort_implINS0_14default_configELb0EPKlPlSQ_SR_N2at6native12_GLOBAL__N_18offset_tEEE10hipError_tPvRmT1_PNSt15iterator_traitsISZ_E10value_typeET2_T3_PNS10_IS15_E10value_typeET4_jRbjT5_S1B_jjP12ihipStream_tbEUljE_ZNSN_ISO_Lb0ESQ_SR_SQ_SR_SV_EESW_SX_SY_SZ_S13_S14_S15_S18_S19_jS1A_jS1B_S1B_jjS1D_bEUljE0_EEESW_SX_SY_S15_S19_S1B_T6_T7_T9_mT8_S1D_bDpT10_ENKUlT_T0_E_clISt17integral_constantIbLb1EES1Q_IbLb0EEEEDaS1M_S1N_EUlS1M_E_NS1_11comp_targetILNS1_3genE2ELNS1_11target_archE906ELNS1_3gpuE6ELNS1_3repE0EEENS1_30default_config_static_selectorELNS0_4arch9wavefront6targetE1EEEvSZ_
		.amdhsa_group_segment_fixed_size 0
		.amdhsa_private_segment_fixed_size 0
		.amdhsa_kernarg_size 176
		.amdhsa_user_sgpr_count 6
		.amdhsa_user_sgpr_private_segment_buffer 1
		.amdhsa_user_sgpr_dispatch_ptr 0
		.amdhsa_user_sgpr_queue_ptr 0
		.amdhsa_user_sgpr_kernarg_segment_ptr 1
		.amdhsa_user_sgpr_dispatch_id 0
		.amdhsa_user_sgpr_flat_scratch_init 0
		.amdhsa_user_sgpr_kernarg_preload_length 0
		.amdhsa_user_sgpr_kernarg_preload_offset 0
		.amdhsa_user_sgpr_private_segment_size 0
		.amdhsa_uses_dynamic_stack 0
		.amdhsa_system_sgpr_private_segment_wavefront_offset 0
		.amdhsa_system_sgpr_workgroup_id_x 1
		.amdhsa_system_sgpr_workgroup_id_y 0
		.amdhsa_system_sgpr_workgroup_id_z 0
		.amdhsa_system_sgpr_workgroup_info 0
		.amdhsa_system_vgpr_workitem_id 0
		.amdhsa_next_free_vgpr 1
		.amdhsa_next_free_sgpr 0
		.amdhsa_accum_offset 4
		.amdhsa_reserve_vcc 0
		.amdhsa_reserve_flat_scratch 0
		.amdhsa_float_round_mode_32 0
		.amdhsa_float_round_mode_16_64 0
		.amdhsa_float_denorm_mode_32 3
		.amdhsa_float_denorm_mode_16_64 3
		.amdhsa_dx10_clamp 1
		.amdhsa_ieee_mode 1
		.amdhsa_fp16_overflow 0
		.amdhsa_tg_split 0
		.amdhsa_exception_fp_ieee_invalid_op 0
		.amdhsa_exception_fp_denorm_src 0
		.amdhsa_exception_fp_ieee_div_zero 0
		.amdhsa_exception_fp_ieee_overflow 0
		.amdhsa_exception_fp_ieee_underflow 0
		.amdhsa_exception_fp_ieee_inexact 0
		.amdhsa_exception_int_div_zero 0
	.end_amdhsa_kernel
	.section	.text._ZN7rocprim17ROCPRIM_400000_NS6detail17trampoline_kernelINS0_13select_configILj256ELj13ELNS0_17block_load_methodE3ELS4_3ELS4_3ELNS0_20block_scan_algorithmE0ELj4294967295EEENS1_25partition_config_selectorILNS1_17partition_subalgoE4EjNS0_10empty_typeEbEEZZNS1_14partition_implILS8_4ELb0ES6_15HIP_vector_typeIjLj2EENS0_17counting_iteratorIjlEEPS9_SG_NS0_5tupleIJPjSI_NS0_16reverse_iteratorISI_EEEEENSH_IJSG_SG_SG_EEES9_SI_JZNS1_25segmented_radix_sort_implINS0_14default_configELb0EPKlPlSQ_SR_N2at6native12_GLOBAL__N_18offset_tEEE10hipError_tPvRmT1_PNSt15iterator_traitsISZ_E10value_typeET2_T3_PNS10_IS15_E10value_typeET4_jRbjT5_S1B_jjP12ihipStream_tbEUljE_ZNSN_ISO_Lb0ESQ_SR_SQ_SR_SV_EESW_SX_SY_SZ_S13_S14_S15_S18_S19_jS1A_jS1B_S1B_jjS1D_bEUljE0_EEESW_SX_SY_S15_S19_S1B_T6_T7_T9_mT8_S1D_bDpT10_ENKUlT_T0_E_clISt17integral_constantIbLb1EES1Q_IbLb0EEEEDaS1M_S1N_EUlS1M_E_NS1_11comp_targetILNS1_3genE2ELNS1_11target_archE906ELNS1_3gpuE6ELNS1_3repE0EEENS1_30default_config_static_selectorELNS0_4arch9wavefront6targetE1EEEvSZ_,"axG",@progbits,_ZN7rocprim17ROCPRIM_400000_NS6detail17trampoline_kernelINS0_13select_configILj256ELj13ELNS0_17block_load_methodE3ELS4_3ELS4_3ELNS0_20block_scan_algorithmE0ELj4294967295EEENS1_25partition_config_selectorILNS1_17partition_subalgoE4EjNS0_10empty_typeEbEEZZNS1_14partition_implILS8_4ELb0ES6_15HIP_vector_typeIjLj2EENS0_17counting_iteratorIjlEEPS9_SG_NS0_5tupleIJPjSI_NS0_16reverse_iteratorISI_EEEEENSH_IJSG_SG_SG_EEES9_SI_JZNS1_25segmented_radix_sort_implINS0_14default_configELb0EPKlPlSQ_SR_N2at6native12_GLOBAL__N_18offset_tEEE10hipError_tPvRmT1_PNSt15iterator_traitsISZ_E10value_typeET2_T3_PNS10_IS15_E10value_typeET4_jRbjT5_S1B_jjP12ihipStream_tbEUljE_ZNSN_ISO_Lb0ESQ_SR_SQ_SR_SV_EESW_SX_SY_SZ_S13_S14_S15_S18_S19_jS1A_jS1B_S1B_jjS1D_bEUljE0_EEESW_SX_SY_S15_S19_S1B_T6_T7_T9_mT8_S1D_bDpT10_ENKUlT_T0_E_clISt17integral_constantIbLb1EES1Q_IbLb0EEEEDaS1M_S1N_EUlS1M_E_NS1_11comp_targetILNS1_3genE2ELNS1_11target_archE906ELNS1_3gpuE6ELNS1_3repE0EEENS1_30default_config_static_selectorELNS0_4arch9wavefront6targetE1EEEvSZ_,comdat
.Lfunc_end763:
	.size	_ZN7rocprim17ROCPRIM_400000_NS6detail17trampoline_kernelINS0_13select_configILj256ELj13ELNS0_17block_load_methodE3ELS4_3ELS4_3ELNS0_20block_scan_algorithmE0ELj4294967295EEENS1_25partition_config_selectorILNS1_17partition_subalgoE4EjNS0_10empty_typeEbEEZZNS1_14partition_implILS8_4ELb0ES6_15HIP_vector_typeIjLj2EENS0_17counting_iteratorIjlEEPS9_SG_NS0_5tupleIJPjSI_NS0_16reverse_iteratorISI_EEEEENSH_IJSG_SG_SG_EEES9_SI_JZNS1_25segmented_radix_sort_implINS0_14default_configELb0EPKlPlSQ_SR_N2at6native12_GLOBAL__N_18offset_tEEE10hipError_tPvRmT1_PNSt15iterator_traitsISZ_E10value_typeET2_T3_PNS10_IS15_E10value_typeET4_jRbjT5_S1B_jjP12ihipStream_tbEUljE_ZNSN_ISO_Lb0ESQ_SR_SQ_SR_SV_EESW_SX_SY_SZ_S13_S14_S15_S18_S19_jS1A_jS1B_S1B_jjS1D_bEUljE0_EEESW_SX_SY_S15_S19_S1B_T6_T7_T9_mT8_S1D_bDpT10_ENKUlT_T0_E_clISt17integral_constantIbLb1EES1Q_IbLb0EEEEDaS1M_S1N_EUlS1M_E_NS1_11comp_targetILNS1_3genE2ELNS1_11target_archE906ELNS1_3gpuE6ELNS1_3repE0EEENS1_30default_config_static_selectorELNS0_4arch9wavefront6targetE1EEEvSZ_, .Lfunc_end763-_ZN7rocprim17ROCPRIM_400000_NS6detail17trampoline_kernelINS0_13select_configILj256ELj13ELNS0_17block_load_methodE3ELS4_3ELS4_3ELNS0_20block_scan_algorithmE0ELj4294967295EEENS1_25partition_config_selectorILNS1_17partition_subalgoE4EjNS0_10empty_typeEbEEZZNS1_14partition_implILS8_4ELb0ES6_15HIP_vector_typeIjLj2EENS0_17counting_iteratorIjlEEPS9_SG_NS0_5tupleIJPjSI_NS0_16reverse_iteratorISI_EEEEENSH_IJSG_SG_SG_EEES9_SI_JZNS1_25segmented_radix_sort_implINS0_14default_configELb0EPKlPlSQ_SR_N2at6native12_GLOBAL__N_18offset_tEEE10hipError_tPvRmT1_PNSt15iterator_traitsISZ_E10value_typeET2_T3_PNS10_IS15_E10value_typeET4_jRbjT5_S1B_jjP12ihipStream_tbEUljE_ZNSN_ISO_Lb0ESQ_SR_SQ_SR_SV_EESW_SX_SY_SZ_S13_S14_S15_S18_S19_jS1A_jS1B_S1B_jjS1D_bEUljE0_EEESW_SX_SY_S15_S19_S1B_T6_T7_T9_mT8_S1D_bDpT10_ENKUlT_T0_E_clISt17integral_constantIbLb1EES1Q_IbLb0EEEEDaS1M_S1N_EUlS1M_E_NS1_11comp_targetILNS1_3genE2ELNS1_11target_archE906ELNS1_3gpuE6ELNS1_3repE0EEENS1_30default_config_static_selectorELNS0_4arch9wavefront6targetE1EEEvSZ_
                                        ; -- End function
	.section	.AMDGPU.csdata,"",@progbits
; Kernel info:
; codeLenInByte = 0
; NumSgprs: 4
; NumVgprs: 0
; NumAgprs: 0
; TotalNumVgprs: 0
; ScratchSize: 0
; MemoryBound: 0
; FloatMode: 240
; IeeeMode: 1
; LDSByteSize: 0 bytes/workgroup (compile time only)
; SGPRBlocks: 0
; VGPRBlocks: 0
; NumSGPRsForWavesPerEU: 4
; NumVGPRsForWavesPerEU: 1
; AccumOffset: 4
; Occupancy: 8
; WaveLimiterHint : 0
; COMPUTE_PGM_RSRC2:SCRATCH_EN: 0
; COMPUTE_PGM_RSRC2:USER_SGPR: 6
; COMPUTE_PGM_RSRC2:TRAP_HANDLER: 0
; COMPUTE_PGM_RSRC2:TGID_X_EN: 1
; COMPUTE_PGM_RSRC2:TGID_Y_EN: 0
; COMPUTE_PGM_RSRC2:TGID_Z_EN: 0
; COMPUTE_PGM_RSRC2:TIDIG_COMP_CNT: 0
; COMPUTE_PGM_RSRC3_GFX90A:ACCUM_OFFSET: 0
; COMPUTE_PGM_RSRC3_GFX90A:TG_SPLIT: 0
	.section	.text._ZN7rocprim17ROCPRIM_400000_NS6detail17trampoline_kernelINS0_13select_configILj256ELj13ELNS0_17block_load_methodE3ELS4_3ELS4_3ELNS0_20block_scan_algorithmE0ELj4294967295EEENS1_25partition_config_selectorILNS1_17partition_subalgoE4EjNS0_10empty_typeEbEEZZNS1_14partition_implILS8_4ELb0ES6_15HIP_vector_typeIjLj2EENS0_17counting_iteratorIjlEEPS9_SG_NS0_5tupleIJPjSI_NS0_16reverse_iteratorISI_EEEEENSH_IJSG_SG_SG_EEES9_SI_JZNS1_25segmented_radix_sort_implINS0_14default_configELb0EPKlPlSQ_SR_N2at6native12_GLOBAL__N_18offset_tEEE10hipError_tPvRmT1_PNSt15iterator_traitsISZ_E10value_typeET2_T3_PNS10_IS15_E10value_typeET4_jRbjT5_S1B_jjP12ihipStream_tbEUljE_ZNSN_ISO_Lb0ESQ_SR_SQ_SR_SV_EESW_SX_SY_SZ_S13_S14_S15_S18_S19_jS1A_jS1B_S1B_jjS1D_bEUljE0_EEESW_SX_SY_S15_S19_S1B_T6_T7_T9_mT8_S1D_bDpT10_ENKUlT_T0_E_clISt17integral_constantIbLb1EES1Q_IbLb0EEEEDaS1M_S1N_EUlS1M_E_NS1_11comp_targetILNS1_3genE10ELNS1_11target_archE1200ELNS1_3gpuE4ELNS1_3repE0EEENS1_30default_config_static_selectorELNS0_4arch9wavefront6targetE1EEEvSZ_,"axG",@progbits,_ZN7rocprim17ROCPRIM_400000_NS6detail17trampoline_kernelINS0_13select_configILj256ELj13ELNS0_17block_load_methodE3ELS4_3ELS4_3ELNS0_20block_scan_algorithmE0ELj4294967295EEENS1_25partition_config_selectorILNS1_17partition_subalgoE4EjNS0_10empty_typeEbEEZZNS1_14partition_implILS8_4ELb0ES6_15HIP_vector_typeIjLj2EENS0_17counting_iteratorIjlEEPS9_SG_NS0_5tupleIJPjSI_NS0_16reverse_iteratorISI_EEEEENSH_IJSG_SG_SG_EEES9_SI_JZNS1_25segmented_radix_sort_implINS0_14default_configELb0EPKlPlSQ_SR_N2at6native12_GLOBAL__N_18offset_tEEE10hipError_tPvRmT1_PNSt15iterator_traitsISZ_E10value_typeET2_T3_PNS10_IS15_E10value_typeET4_jRbjT5_S1B_jjP12ihipStream_tbEUljE_ZNSN_ISO_Lb0ESQ_SR_SQ_SR_SV_EESW_SX_SY_SZ_S13_S14_S15_S18_S19_jS1A_jS1B_S1B_jjS1D_bEUljE0_EEESW_SX_SY_S15_S19_S1B_T6_T7_T9_mT8_S1D_bDpT10_ENKUlT_T0_E_clISt17integral_constantIbLb1EES1Q_IbLb0EEEEDaS1M_S1N_EUlS1M_E_NS1_11comp_targetILNS1_3genE10ELNS1_11target_archE1200ELNS1_3gpuE4ELNS1_3repE0EEENS1_30default_config_static_selectorELNS0_4arch9wavefront6targetE1EEEvSZ_,comdat
	.globl	_ZN7rocprim17ROCPRIM_400000_NS6detail17trampoline_kernelINS0_13select_configILj256ELj13ELNS0_17block_load_methodE3ELS4_3ELS4_3ELNS0_20block_scan_algorithmE0ELj4294967295EEENS1_25partition_config_selectorILNS1_17partition_subalgoE4EjNS0_10empty_typeEbEEZZNS1_14partition_implILS8_4ELb0ES6_15HIP_vector_typeIjLj2EENS0_17counting_iteratorIjlEEPS9_SG_NS0_5tupleIJPjSI_NS0_16reverse_iteratorISI_EEEEENSH_IJSG_SG_SG_EEES9_SI_JZNS1_25segmented_radix_sort_implINS0_14default_configELb0EPKlPlSQ_SR_N2at6native12_GLOBAL__N_18offset_tEEE10hipError_tPvRmT1_PNSt15iterator_traitsISZ_E10value_typeET2_T3_PNS10_IS15_E10value_typeET4_jRbjT5_S1B_jjP12ihipStream_tbEUljE_ZNSN_ISO_Lb0ESQ_SR_SQ_SR_SV_EESW_SX_SY_SZ_S13_S14_S15_S18_S19_jS1A_jS1B_S1B_jjS1D_bEUljE0_EEESW_SX_SY_S15_S19_S1B_T6_T7_T9_mT8_S1D_bDpT10_ENKUlT_T0_E_clISt17integral_constantIbLb1EES1Q_IbLb0EEEEDaS1M_S1N_EUlS1M_E_NS1_11comp_targetILNS1_3genE10ELNS1_11target_archE1200ELNS1_3gpuE4ELNS1_3repE0EEENS1_30default_config_static_selectorELNS0_4arch9wavefront6targetE1EEEvSZ_ ; -- Begin function _ZN7rocprim17ROCPRIM_400000_NS6detail17trampoline_kernelINS0_13select_configILj256ELj13ELNS0_17block_load_methodE3ELS4_3ELS4_3ELNS0_20block_scan_algorithmE0ELj4294967295EEENS1_25partition_config_selectorILNS1_17partition_subalgoE4EjNS0_10empty_typeEbEEZZNS1_14partition_implILS8_4ELb0ES6_15HIP_vector_typeIjLj2EENS0_17counting_iteratorIjlEEPS9_SG_NS0_5tupleIJPjSI_NS0_16reverse_iteratorISI_EEEEENSH_IJSG_SG_SG_EEES9_SI_JZNS1_25segmented_radix_sort_implINS0_14default_configELb0EPKlPlSQ_SR_N2at6native12_GLOBAL__N_18offset_tEEE10hipError_tPvRmT1_PNSt15iterator_traitsISZ_E10value_typeET2_T3_PNS10_IS15_E10value_typeET4_jRbjT5_S1B_jjP12ihipStream_tbEUljE_ZNSN_ISO_Lb0ESQ_SR_SQ_SR_SV_EESW_SX_SY_SZ_S13_S14_S15_S18_S19_jS1A_jS1B_S1B_jjS1D_bEUljE0_EEESW_SX_SY_S15_S19_S1B_T6_T7_T9_mT8_S1D_bDpT10_ENKUlT_T0_E_clISt17integral_constantIbLb1EES1Q_IbLb0EEEEDaS1M_S1N_EUlS1M_E_NS1_11comp_targetILNS1_3genE10ELNS1_11target_archE1200ELNS1_3gpuE4ELNS1_3repE0EEENS1_30default_config_static_selectorELNS0_4arch9wavefront6targetE1EEEvSZ_
	.p2align	8
	.type	_ZN7rocprim17ROCPRIM_400000_NS6detail17trampoline_kernelINS0_13select_configILj256ELj13ELNS0_17block_load_methodE3ELS4_3ELS4_3ELNS0_20block_scan_algorithmE0ELj4294967295EEENS1_25partition_config_selectorILNS1_17partition_subalgoE4EjNS0_10empty_typeEbEEZZNS1_14partition_implILS8_4ELb0ES6_15HIP_vector_typeIjLj2EENS0_17counting_iteratorIjlEEPS9_SG_NS0_5tupleIJPjSI_NS0_16reverse_iteratorISI_EEEEENSH_IJSG_SG_SG_EEES9_SI_JZNS1_25segmented_radix_sort_implINS0_14default_configELb0EPKlPlSQ_SR_N2at6native12_GLOBAL__N_18offset_tEEE10hipError_tPvRmT1_PNSt15iterator_traitsISZ_E10value_typeET2_T3_PNS10_IS15_E10value_typeET4_jRbjT5_S1B_jjP12ihipStream_tbEUljE_ZNSN_ISO_Lb0ESQ_SR_SQ_SR_SV_EESW_SX_SY_SZ_S13_S14_S15_S18_S19_jS1A_jS1B_S1B_jjS1D_bEUljE0_EEESW_SX_SY_S15_S19_S1B_T6_T7_T9_mT8_S1D_bDpT10_ENKUlT_T0_E_clISt17integral_constantIbLb1EES1Q_IbLb0EEEEDaS1M_S1N_EUlS1M_E_NS1_11comp_targetILNS1_3genE10ELNS1_11target_archE1200ELNS1_3gpuE4ELNS1_3repE0EEENS1_30default_config_static_selectorELNS0_4arch9wavefront6targetE1EEEvSZ_,@function
_ZN7rocprim17ROCPRIM_400000_NS6detail17trampoline_kernelINS0_13select_configILj256ELj13ELNS0_17block_load_methodE3ELS4_3ELS4_3ELNS0_20block_scan_algorithmE0ELj4294967295EEENS1_25partition_config_selectorILNS1_17partition_subalgoE4EjNS0_10empty_typeEbEEZZNS1_14partition_implILS8_4ELb0ES6_15HIP_vector_typeIjLj2EENS0_17counting_iteratorIjlEEPS9_SG_NS0_5tupleIJPjSI_NS0_16reverse_iteratorISI_EEEEENSH_IJSG_SG_SG_EEES9_SI_JZNS1_25segmented_radix_sort_implINS0_14default_configELb0EPKlPlSQ_SR_N2at6native12_GLOBAL__N_18offset_tEEE10hipError_tPvRmT1_PNSt15iterator_traitsISZ_E10value_typeET2_T3_PNS10_IS15_E10value_typeET4_jRbjT5_S1B_jjP12ihipStream_tbEUljE_ZNSN_ISO_Lb0ESQ_SR_SQ_SR_SV_EESW_SX_SY_SZ_S13_S14_S15_S18_S19_jS1A_jS1B_S1B_jjS1D_bEUljE0_EEESW_SX_SY_S15_S19_S1B_T6_T7_T9_mT8_S1D_bDpT10_ENKUlT_T0_E_clISt17integral_constantIbLb1EES1Q_IbLb0EEEEDaS1M_S1N_EUlS1M_E_NS1_11comp_targetILNS1_3genE10ELNS1_11target_archE1200ELNS1_3gpuE4ELNS1_3repE0EEENS1_30default_config_static_selectorELNS0_4arch9wavefront6targetE1EEEvSZ_: ; @_ZN7rocprim17ROCPRIM_400000_NS6detail17trampoline_kernelINS0_13select_configILj256ELj13ELNS0_17block_load_methodE3ELS4_3ELS4_3ELNS0_20block_scan_algorithmE0ELj4294967295EEENS1_25partition_config_selectorILNS1_17partition_subalgoE4EjNS0_10empty_typeEbEEZZNS1_14partition_implILS8_4ELb0ES6_15HIP_vector_typeIjLj2EENS0_17counting_iteratorIjlEEPS9_SG_NS0_5tupleIJPjSI_NS0_16reverse_iteratorISI_EEEEENSH_IJSG_SG_SG_EEES9_SI_JZNS1_25segmented_radix_sort_implINS0_14default_configELb0EPKlPlSQ_SR_N2at6native12_GLOBAL__N_18offset_tEEE10hipError_tPvRmT1_PNSt15iterator_traitsISZ_E10value_typeET2_T3_PNS10_IS15_E10value_typeET4_jRbjT5_S1B_jjP12ihipStream_tbEUljE_ZNSN_ISO_Lb0ESQ_SR_SQ_SR_SV_EESW_SX_SY_SZ_S13_S14_S15_S18_S19_jS1A_jS1B_S1B_jjS1D_bEUljE0_EEESW_SX_SY_S15_S19_S1B_T6_T7_T9_mT8_S1D_bDpT10_ENKUlT_T0_E_clISt17integral_constantIbLb1EES1Q_IbLb0EEEEDaS1M_S1N_EUlS1M_E_NS1_11comp_targetILNS1_3genE10ELNS1_11target_archE1200ELNS1_3gpuE4ELNS1_3repE0EEENS1_30default_config_static_selectorELNS0_4arch9wavefront6targetE1EEEvSZ_
; %bb.0:
	.section	.rodata,"a",@progbits
	.p2align	6, 0x0
	.amdhsa_kernel _ZN7rocprim17ROCPRIM_400000_NS6detail17trampoline_kernelINS0_13select_configILj256ELj13ELNS0_17block_load_methodE3ELS4_3ELS4_3ELNS0_20block_scan_algorithmE0ELj4294967295EEENS1_25partition_config_selectorILNS1_17partition_subalgoE4EjNS0_10empty_typeEbEEZZNS1_14partition_implILS8_4ELb0ES6_15HIP_vector_typeIjLj2EENS0_17counting_iteratorIjlEEPS9_SG_NS0_5tupleIJPjSI_NS0_16reverse_iteratorISI_EEEEENSH_IJSG_SG_SG_EEES9_SI_JZNS1_25segmented_radix_sort_implINS0_14default_configELb0EPKlPlSQ_SR_N2at6native12_GLOBAL__N_18offset_tEEE10hipError_tPvRmT1_PNSt15iterator_traitsISZ_E10value_typeET2_T3_PNS10_IS15_E10value_typeET4_jRbjT5_S1B_jjP12ihipStream_tbEUljE_ZNSN_ISO_Lb0ESQ_SR_SQ_SR_SV_EESW_SX_SY_SZ_S13_S14_S15_S18_S19_jS1A_jS1B_S1B_jjS1D_bEUljE0_EEESW_SX_SY_S15_S19_S1B_T6_T7_T9_mT8_S1D_bDpT10_ENKUlT_T0_E_clISt17integral_constantIbLb1EES1Q_IbLb0EEEEDaS1M_S1N_EUlS1M_E_NS1_11comp_targetILNS1_3genE10ELNS1_11target_archE1200ELNS1_3gpuE4ELNS1_3repE0EEENS1_30default_config_static_selectorELNS0_4arch9wavefront6targetE1EEEvSZ_
		.amdhsa_group_segment_fixed_size 0
		.amdhsa_private_segment_fixed_size 0
		.amdhsa_kernarg_size 176
		.amdhsa_user_sgpr_count 6
		.amdhsa_user_sgpr_private_segment_buffer 1
		.amdhsa_user_sgpr_dispatch_ptr 0
		.amdhsa_user_sgpr_queue_ptr 0
		.amdhsa_user_sgpr_kernarg_segment_ptr 1
		.amdhsa_user_sgpr_dispatch_id 0
		.amdhsa_user_sgpr_flat_scratch_init 0
		.amdhsa_user_sgpr_kernarg_preload_length 0
		.amdhsa_user_sgpr_kernarg_preload_offset 0
		.amdhsa_user_sgpr_private_segment_size 0
		.amdhsa_uses_dynamic_stack 0
		.amdhsa_system_sgpr_private_segment_wavefront_offset 0
		.amdhsa_system_sgpr_workgroup_id_x 1
		.amdhsa_system_sgpr_workgroup_id_y 0
		.amdhsa_system_sgpr_workgroup_id_z 0
		.amdhsa_system_sgpr_workgroup_info 0
		.amdhsa_system_vgpr_workitem_id 0
		.amdhsa_next_free_vgpr 1
		.amdhsa_next_free_sgpr 0
		.amdhsa_accum_offset 4
		.amdhsa_reserve_vcc 0
		.amdhsa_reserve_flat_scratch 0
		.amdhsa_float_round_mode_32 0
		.amdhsa_float_round_mode_16_64 0
		.amdhsa_float_denorm_mode_32 3
		.amdhsa_float_denorm_mode_16_64 3
		.amdhsa_dx10_clamp 1
		.amdhsa_ieee_mode 1
		.amdhsa_fp16_overflow 0
		.amdhsa_tg_split 0
		.amdhsa_exception_fp_ieee_invalid_op 0
		.amdhsa_exception_fp_denorm_src 0
		.amdhsa_exception_fp_ieee_div_zero 0
		.amdhsa_exception_fp_ieee_overflow 0
		.amdhsa_exception_fp_ieee_underflow 0
		.amdhsa_exception_fp_ieee_inexact 0
		.amdhsa_exception_int_div_zero 0
	.end_amdhsa_kernel
	.section	.text._ZN7rocprim17ROCPRIM_400000_NS6detail17trampoline_kernelINS0_13select_configILj256ELj13ELNS0_17block_load_methodE3ELS4_3ELS4_3ELNS0_20block_scan_algorithmE0ELj4294967295EEENS1_25partition_config_selectorILNS1_17partition_subalgoE4EjNS0_10empty_typeEbEEZZNS1_14partition_implILS8_4ELb0ES6_15HIP_vector_typeIjLj2EENS0_17counting_iteratorIjlEEPS9_SG_NS0_5tupleIJPjSI_NS0_16reverse_iteratorISI_EEEEENSH_IJSG_SG_SG_EEES9_SI_JZNS1_25segmented_radix_sort_implINS0_14default_configELb0EPKlPlSQ_SR_N2at6native12_GLOBAL__N_18offset_tEEE10hipError_tPvRmT1_PNSt15iterator_traitsISZ_E10value_typeET2_T3_PNS10_IS15_E10value_typeET4_jRbjT5_S1B_jjP12ihipStream_tbEUljE_ZNSN_ISO_Lb0ESQ_SR_SQ_SR_SV_EESW_SX_SY_SZ_S13_S14_S15_S18_S19_jS1A_jS1B_S1B_jjS1D_bEUljE0_EEESW_SX_SY_S15_S19_S1B_T6_T7_T9_mT8_S1D_bDpT10_ENKUlT_T0_E_clISt17integral_constantIbLb1EES1Q_IbLb0EEEEDaS1M_S1N_EUlS1M_E_NS1_11comp_targetILNS1_3genE10ELNS1_11target_archE1200ELNS1_3gpuE4ELNS1_3repE0EEENS1_30default_config_static_selectorELNS0_4arch9wavefront6targetE1EEEvSZ_,"axG",@progbits,_ZN7rocprim17ROCPRIM_400000_NS6detail17trampoline_kernelINS0_13select_configILj256ELj13ELNS0_17block_load_methodE3ELS4_3ELS4_3ELNS0_20block_scan_algorithmE0ELj4294967295EEENS1_25partition_config_selectorILNS1_17partition_subalgoE4EjNS0_10empty_typeEbEEZZNS1_14partition_implILS8_4ELb0ES6_15HIP_vector_typeIjLj2EENS0_17counting_iteratorIjlEEPS9_SG_NS0_5tupleIJPjSI_NS0_16reverse_iteratorISI_EEEEENSH_IJSG_SG_SG_EEES9_SI_JZNS1_25segmented_radix_sort_implINS0_14default_configELb0EPKlPlSQ_SR_N2at6native12_GLOBAL__N_18offset_tEEE10hipError_tPvRmT1_PNSt15iterator_traitsISZ_E10value_typeET2_T3_PNS10_IS15_E10value_typeET4_jRbjT5_S1B_jjP12ihipStream_tbEUljE_ZNSN_ISO_Lb0ESQ_SR_SQ_SR_SV_EESW_SX_SY_SZ_S13_S14_S15_S18_S19_jS1A_jS1B_S1B_jjS1D_bEUljE0_EEESW_SX_SY_S15_S19_S1B_T6_T7_T9_mT8_S1D_bDpT10_ENKUlT_T0_E_clISt17integral_constantIbLb1EES1Q_IbLb0EEEEDaS1M_S1N_EUlS1M_E_NS1_11comp_targetILNS1_3genE10ELNS1_11target_archE1200ELNS1_3gpuE4ELNS1_3repE0EEENS1_30default_config_static_selectorELNS0_4arch9wavefront6targetE1EEEvSZ_,comdat
.Lfunc_end764:
	.size	_ZN7rocprim17ROCPRIM_400000_NS6detail17trampoline_kernelINS0_13select_configILj256ELj13ELNS0_17block_load_methodE3ELS4_3ELS4_3ELNS0_20block_scan_algorithmE0ELj4294967295EEENS1_25partition_config_selectorILNS1_17partition_subalgoE4EjNS0_10empty_typeEbEEZZNS1_14partition_implILS8_4ELb0ES6_15HIP_vector_typeIjLj2EENS0_17counting_iteratorIjlEEPS9_SG_NS0_5tupleIJPjSI_NS0_16reverse_iteratorISI_EEEEENSH_IJSG_SG_SG_EEES9_SI_JZNS1_25segmented_radix_sort_implINS0_14default_configELb0EPKlPlSQ_SR_N2at6native12_GLOBAL__N_18offset_tEEE10hipError_tPvRmT1_PNSt15iterator_traitsISZ_E10value_typeET2_T3_PNS10_IS15_E10value_typeET4_jRbjT5_S1B_jjP12ihipStream_tbEUljE_ZNSN_ISO_Lb0ESQ_SR_SQ_SR_SV_EESW_SX_SY_SZ_S13_S14_S15_S18_S19_jS1A_jS1B_S1B_jjS1D_bEUljE0_EEESW_SX_SY_S15_S19_S1B_T6_T7_T9_mT8_S1D_bDpT10_ENKUlT_T0_E_clISt17integral_constantIbLb1EES1Q_IbLb0EEEEDaS1M_S1N_EUlS1M_E_NS1_11comp_targetILNS1_3genE10ELNS1_11target_archE1200ELNS1_3gpuE4ELNS1_3repE0EEENS1_30default_config_static_selectorELNS0_4arch9wavefront6targetE1EEEvSZ_, .Lfunc_end764-_ZN7rocprim17ROCPRIM_400000_NS6detail17trampoline_kernelINS0_13select_configILj256ELj13ELNS0_17block_load_methodE3ELS4_3ELS4_3ELNS0_20block_scan_algorithmE0ELj4294967295EEENS1_25partition_config_selectorILNS1_17partition_subalgoE4EjNS0_10empty_typeEbEEZZNS1_14partition_implILS8_4ELb0ES6_15HIP_vector_typeIjLj2EENS0_17counting_iteratorIjlEEPS9_SG_NS0_5tupleIJPjSI_NS0_16reverse_iteratorISI_EEEEENSH_IJSG_SG_SG_EEES9_SI_JZNS1_25segmented_radix_sort_implINS0_14default_configELb0EPKlPlSQ_SR_N2at6native12_GLOBAL__N_18offset_tEEE10hipError_tPvRmT1_PNSt15iterator_traitsISZ_E10value_typeET2_T3_PNS10_IS15_E10value_typeET4_jRbjT5_S1B_jjP12ihipStream_tbEUljE_ZNSN_ISO_Lb0ESQ_SR_SQ_SR_SV_EESW_SX_SY_SZ_S13_S14_S15_S18_S19_jS1A_jS1B_S1B_jjS1D_bEUljE0_EEESW_SX_SY_S15_S19_S1B_T6_T7_T9_mT8_S1D_bDpT10_ENKUlT_T0_E_clISt17integral_constantIbLb1EES1Q_IbLb0EEEEDaS1M_S1N_EUlS1M_E_NS1_11comp_targetILNS1_3genE10ELNS1_11target_archE1200ELNS1_3gpuE4ELNS1_3repE0EEENS1_30default_config_static_selectorELNS0_4arch9wavefront6targetE1EEEvSZ_
                                        ; -- End function
	.section	.AMDGPU.csdata,"",@progbits
; Kernel info:
; codeLenInByte = 0
; NumSgprs: 4
; NumVgprs: 0
; NumAgprs: 0
; TotalNumVgprs: 0
; ScratchSize: 0
; MemoryBound: 0
; FloatMode: 240
; IeeeMode: 1
; LDSByteSize: 0 bytes/workgroup (compile time only)
; SGPRBlocks: 0
; VGPRBlocks: 0
; NumSGPRsForWavesPerEU: 4
; NumVGPRsForWavesPerEU: 1
; AccumOffset: 4
; Occupancy: 8
; WaveLimiterHint : 0
; COMPUTE_PGM_RSRC2:SCRATCH_EN: 0
; COMPUTE_PGM_RSRC2:USER_SGPR: 6
; COMPUTE_PGM_RSRC2:TRAP_HANDLER: 0
; COMPUTE_PGM_RSRC2:TGID_X_EN: 1
; COMPUTE_PGM_RSRC2:TGID_Y_EN: 0
; COMPUTE_PGM_RSRC2:TGID_Z_EN: 0
; COMPUTE_PGM_RSRC2:TIDIG_COMP_CNT: 0
; COMPUTE_PGM_RSRC3_GFX90A:ACCUM_OFFSET: 0
; COMPUTE_PGM_RSRC3_GFX90A:TG_SPLIT: 0
	.section	.text._ZN7rocprim17ROCPRIM_400000_NS6detail17trampoline_kernelINS0_13select_configILj256ELj13ELNS0_17block_load_methodE3ELS4_3ELS4_3ELNS0_20block_scan_algorithmE0ELj4294967295EEENS1_25partition_config_selectorILNS1_17partition_subalgoE4EjNS0_10empty_typeEbEEZZNS1_14partition_implILS8_4ELb0ES6_15HIP_vector_typeIjLj2EENS0_17counting_iteratorIjlEEPS9_SG_NS0_5tupleIJPjSI_NS0_16reverse_iteratorISI_EEEEENSH_IJSG_SG_SG_EEES9_SI_JZNS1_25segmented_radix_sort_implINS0_14default_configELb0EPKlPlSQ_SR_N2at6native12_GLOBAL__N_18offset_tEEE10hipError_tPvRmT1_PNSt15iterator_traitsISZ_E10value_typeET2_T3_PNS10_IS15_E10value_typeET4_jRbjT5_S1B_jjP12ihipStream_tbEUljE_ZNSN_ISO_Lb0ESQ_SR_SQ_SR_SV_EESW_SX_SY_SZ_S13_S14_S15_S18_S19_jS1A_jS1B_S1B_jjS1D_bEUljE0_EEESW_SX_SY_S15_S19_S1B_T6_T7_T9_mT8_S1D_bDpT10_ENKUlT_T0_E_clISt17integral_constantIbLb1EES1Q_IbLb0EEEEDaS1M_S1N_EUlS1M_E_NS1_11comp_targetILNS1_3genE9ELNS1_11target_archE1100ELNS1_3gpuE3ELNS1_3repE0EEENS1_30default_config_static_selectorELNS0_4arch9wavefront6targetE1EEEvSZ_,"axG",@progbits,_ZN7rocprim17ROCPRIM_400000_NS6detail17trampoline_kernelINS0_13select_configILj256ELj13ELNS0_17block_load_methodE3ELS4_3ELS4_3ELNS0_20block_scan_algorithmE0ELj4294967295EEENS1_25partition_config_selectorILNS1_17partition_subalgoE4EjNS0_10empty_typeEbEEZZNS1_14partition_implILS8_4ELb0ES6_15HIP_vector_typeIjLj2EENS0_17counting_iteratorIjlEEPS9_SG_NS0_5tupleIJPjSI_NS0_16reverse_iteratorISI_EEEEENSH_IJSG_SG_SG_EEES9_SI_JZNS1_25segmented_radix_sort_implINS0_14default_configELb0EPKlPlSQ_SR_N2at6native12_GLOBAL__N_18offset_tEEE10hipError_tPvRmT1_PNSt15iterator_traitsISZ_E10value_typeET2_T3_PNS10_IS15_E10value_typeET4_jRbjT5_S1B_jjP12ihipStream_tbEUljE_ZNSN_ISO_Lb0ESQ_SR_SQ_SR_SV_EESW_SX_SY_SZ_S13_S14_S15_S18_S19_jS1A_jS1B_S1B_jjS1D_bEUljE0_EEESW_SX_SY_S15_S19_S1B_T6_T7_T9_mT8_S1D_bDpT10_ENKUlT_T0_E_clISt17integral_constantIbLb1EES1Q_IbLb0EEEEDaS1M_S1N_EUlS1M_E_NS1_11comp_targetILNS1_3genE9ELNS1_11target_archE1100ELNS1_3gpuE3ELNS1_3repE0EEENS1_30default_config_static_selectorELNS0_4arch9wavefront6targetE1EEEvSZ_,comdat
	.globl	_ZN7rocprim17ROCPRIM_400000_NS6detail17trampoline_kernelINS0_13select_configILj256ELj13ELNS0_17block_load_methodE3ELS4_3ELS4_3ELNS0_20block_scan_algorithmE0ELj4294967295EEENS1_25partition_config_selectorILNS1_17partition_subalgoE4EjNS0_10empty_typeEbEEZZNS1_14partition_implILS8_4ELb0ES6_15HIP_vector_typeIjLj2EENS0_17counting_iteratorIjlEEPS9_SG_NS0_5tupleIJPjSI_NS0_16reverse_iteratorISI_EEEEENSH_IJSG_SG_SG_EEES9_SI_JZNS1_25segmented_radix_sort_implINS0_14default_configELb0EPKlPlSQ_SR_N2at6native12_GLOBAL__N_18offset_tEEE10hipError_tPvRmT1_PNSt15iterator_traitsISZ_E10value_typeET2_T3_PNS10_IS15_E10value_typeET4_jRbjT5_S1B_jjP12ihipStream_tbEUljE_ZNSN_ISO_Lb0ESQ_SR_SQ_SR_SV_EESW_SX_SY_SZ_S13_S14_S15_S18_S19_jS1A_jS1B_S1B_jjS1D_bEUljE0_EEESW_SX_SY_S15_S19_S1B_T6_T7_T9_mT8_S1D_bDpT10_ENKUlT_T0_E_clISt17integral_constantIbLb1EES1Q_IbLb0EEEEDaS1M_S1N_EUlS1M_E_NS1_11comp_targetILNS1_3genE9ELNS1_11target_archE1100ELNS1_3gpuE3ELNS1_3repE0EEENS1_30default_config_static_selectorELNS0_4arch9wavefront6targetE1EEEvSZ_ ; -- Begin function _ZN7rocprim17ROCPRIM_400000_NS6detail17trampoline_kernelINS0_13select_configILj256ELj13ELNS0_17block_load_methodE3ELS4_3ELS4_3ELNS0_20block_scan_algorithmE0ELj4294967295EEENS1_25partition_config_selectorILNS1_17partition_subalgoE4EjNS0_10empty_typeEbEEZZNS1_14partition_implILS8_4ELb0ES6_15HIP_vector_typeIjLj2EENS0_17counting_iteratorIjlEEPS9_SG_NS0_5tupleIJPjSI_NS0_16reverse_iteratorISI_EEEEENSH_IJSG_SG_SG_EEES9_SI_JZNS1_25segmented_radix_sort_implINS0_14default_configELb0EPKlPlSQ_SR_N2at6native12_GLOBAL__N_18offset_tEEE10hipError_tPvRmT1_PNSt15iterator_traitsISZ_E10value_typeET2_T3_PNS10_IS15_E10value_typeET4_jRbjT5_S1B_jjP12ihipStream_tbEUljE_ZNSN_ISO_Lb0ESQ_SR_SQ_SR_SV_EESW_SX_SY_SZ_S13_S14_S15_S18_S19_jS1A_jS1B_S1B_jjS1D_bEUljE0_EEESW_SX_SY_S15_S19_S1B_T6_T7_T9_mT8_S1D_bDpT10_ENKUlT_T0_E_clISt17integral_constantIbLb1EES1Q_IbLb0EEEEDaS1M_S1N_EUlS1M_E_NS1_11comp_targetILNS1_3genE9ELNS1_11target_archE1100ELNS1_3gpuE3ELNS1_3repE0EEENS1_30default_config_static_selectorELNS0_4arch9wavefront6targetE1EEEvSZ_
	.p2align	8
	.type	_ZN7rocprim17ROCPRIM_400000_NS6detail17trampoline_kernelINS0_13select_configILj256ELj13ELNS0_17block_load_methodE3ELS4_3ELS4_3ELNS0_20block_scan_algorithmE0ELj4294967295EEENS1_25partition_config_selectorILNS1_17partition_subalgoE4EjNS0_10empty_typeEbEEZZNS1_14partition_implILS8_4ELb0ES6_15HIP_vector_typeIjLj2EENS0_17counting_iteratorIjlEEPS9_SG_NS0_5tupleIJPjSI_NS0_16reverse_iteratorISI_EEEEENSH_IJSG_SG_SG_EEES9_SI_JZNS1_25segmented_radix_sort_implINS0_14default_configELb0EPKlPlSQ_SR_N2at6native12_GLOBAL__N_18offset_tEEE10hipError_tPvRmT1_PNSt15iterator_traitsISZ_E10value_typeET2_T3_PNS10_IS15_E10value_typeET4_jRbjT5_S1B_jjP12ihipStream_tbEUljE_ZNSN_ISO_Lb0ESQ_SR_SQ_SR_SV_EESW_SX_SY_SZ_S13_S14_S15_S18_S19_jS1A_jS1B_S1B_jjS1D_bEUljE0_EEESW_SX_SY_S15_S19_S1B_T6_T7_T9_mT8_S1D_bDpT10_ENKUlT_T0_E_clISt17integral_constantIbLb1EES1Q_IbLb0EEEEDaS1M_S1N_EUlS1M_E_NS1_11comp_targetILNS1_3genE9ELNS1_11target_archE1100ELNS1_3gpuE3ELNS1_3repE0EEENS1_30default_config_static_selectorELNS0_4arch9wavefront6targetE1EEEvSZ_,@function
_ZN7rocprim17ROCPRIM_400000_NS6detail17trampoline_kernelINS0_13select_configILj256ELj13ELNS0_17block_load_methodE3ELS4_3ELS4_3ELNS0_20block_scan_algorithmE0ELj4294967295EEENS1_25partition_config_selectorILNS1_17partition_subalgoE4EjNS0_10empty_typeEbEEZZNS1_14partition_implILS8_4ELb0ES6_15HIP_vector_typeIjLj2EENS0_17counting_iteratorIjlEEPS9_SG_NS0_5tupleIJPjSI_NS0_16reverse_iteratorISI_EEEEENSH_IJSG_SG_SG_EEES9_SI_JZNS1_25segmented_radix_sort_implINS0_14default_configELb0EPKlPlSQ_SR_N2at6native12_GLOBAL__N_18offset_tEEE10hipError_tPvRmT1_PNSt15iterator_traitsISZ_E10value_typeET2_T3_PNS10_IS15_E10value_typeET4_jRbjT5_S1B_jjP12ihipStream_tbEUljE_ZNSN_ISO_Lb0ESQ_SR_SQ_SR_SV_EESW_SX_SY_SZ_S13_S14_S15_S18_S19_jS1A_jS1B_S1B_jjS1D_bEUljE0_EEESW_SX_SY_S15_S19_S1B_T6_T7_T9_mT8_S1D_bDpT10_ENKUlT_T0_E_clISt17integral_constantIbLb1EES1Q_IbLb0EEEEDaS1M_S1N_EUlS1M_E_NS1_11comp_targetILNS1_3genE9ELNS1_11target_archE1100ELNS1_3gpuE3ELNS1_3repE0EEENS1_30default_config_static_selectorELNS0_4arch9wavefront6targetE1EEEvSZ_: ; @_ZN7rocprim17ROCPRIM_400000_NS6detail17trampoline_kernelINS0_13select_configILj256ELj13ELNS0_17block_load_methodE3ELS4_3ELS4_3ELNS0_20block_scan_algorithmE0ELj4294967295EEENS1_25partition_config_selectorILNS1_17partition_subalgoE4EjNS0_10empty_typeEbEEZZNS1_14partition_implILS8_4ELb0ES6_15HIP_vector_typeIjLj2EENS0_17counting_iteratorIjlEEPS9_SG_NS0_5tupleIJPjSI_NS0_16reverse_iteratorISI_EEEEENSH_IJSG_SG_SG_EEES9_SI_JZNS1_25segmented_radix_sort_implINS0_14default_configELb0EPKlPlSQ_SR_N2at6native12_GLOBAL__N_18offset_tEEE10hipError_tPvRmT1_PNSt15iterator_traitsISZ_E10value_typeET2_T3_PNS10_IS15_E10value_typeET4_jRbjT5_S1B_jjP12ihipStream_tbEUljE_ZNSN_ISO_Lb0ESQ_SR_SQ_SR_SV_EESW_SX_SY_SZ_S13_S14_S15_S18_S19_jS1A_jS1B_S1B_jjS1D_bEUljE0_EEESW_SX_SY_S15_S19_S1B_T6_T7_T9_mT8_S1D_bDpT10_ENKUlT_T0_E_clISt17integral_constantIbLb1EES1Q_IbLb0EEEEDaS1M_S1N_EUlS1M_E_NS1_11comp_targetILNS1_3genE9ELNS1_11target_archE1100ELNS1_3gpuE3ELNS1_3repE0EEENS1_30default_config_static_selectorELNS0_4arch9wavefront6targetE1EEEvSZ_
; %bb.0:
	.section	.rodata,"a",@progbits
	.p2align	6, 0x0
	.amdhsa_kernel _ZN7rocprim17ROCPRIM_400000_NS6detail17trampoline_kernelINS0_13select_configILj256ELj13ELNS0_17block_load_methodE3ELS4_3ELS4_3ELNS0_20block_scan_algorithmE0ELj4294967295EEENS1_25partition_config_selectorILNS1_17partition_subalgoE4EjNS0_10empty_typeEbEEZZNS1_14partition_implILS8_4ELb0ES6_15HIP_vector_typeIjLj2EENS0_17counting_iteratorIjlEEPS9_SG_NS0_5tupleIJPjSI_NS0_16reverse_iteratorISI_EEEEENSH_IJSG_SG_SG_EEES9_SI_JZNS1_25segmented_radix_sort_implINS0_14default_configELb0EPKlPlSQ_SR_N2at6native12_GLOBAL__N_18offset_tEEE10hipError_tPvRmT1_PNSt15iterator_traitsISZ_E10value_typeET2_T3_PNS10_IS15_E10value_typeET4_jRbjT5_S1B_jjP12ihipStream_tbEUljE_ZNSN_ISO_Lb0ESQ_SR_SQ_SR_SV_EESW_SX_SY_SZ_S13_S14_S15_S18_S19_jS1A_jS1B_S1B_jjS1D_bEUljE0_EEESW_SX_SY_S15_S19_S1B_T6_T7_T9_mT8_S1D_bDpT10_ENKUlT_T0_E_clISt17integral_constantIbLb1EES1Q_IbLb0EEEEDaS1M_S1N_EUlS1M_E_NS1_11comp_targetILNS1_3genE9ELNS1_11target_archE1100ELNS1_3gpuE3ELNS1_3repE0EEENS1_30default_config_static_selectorELNS0_4arch9wavefront6targetE1EEEvSZ_
		.amdhsa_group_segment_fixed_size 0
		.amdhsa_private_segment_fixed_size 0
		.amdhsa_kernarg_size 176
		.amdhsa_user_sgpr_count 6
		.amdhsa_user_sgpr_private_segment_buffer 1
		.amdhsa_user_sgpr_dispatch_ptr 0
		.amdhsa_user_sgpr_queue_ptr 0
		.amdhsa_user_sgpr_kernarg_segment_ptr 1
		.amdhsa_user_sgpr_dispatch_id 0
		.amdhsa_user_sgpr_flat_scratch_init 0
		.amdhsa_user_sgpr_kernarg_preload_length 0
		.amdhsa_user_sgpr_kernarg_preload_offset 0
		.amdhsa_user_sgpr_private_segment_size 0
		.amdhsa_uses_dynamic_stack 0
		.amdhsa_system_sgpr_private_segment_wavefront_offset 0
		.amdhsa_system_sgpr_workgroup_id_x 1
		.amdhsa_system_sgpr_workgroup_id_y 0
		.amdhsa_system_sgpr_workgroup_id_z 0
		.amdhsa_system_sgpr_workgroup_info 0
		.amdhsa_system_vgpr_workitem_id 0
		.amdhsa_next_free_vgpr 1
		.amdhsa_next_free_sgpr 0
		.amdhsa_accum_offset 4
		.amdhsa_reserve_vcc 0
		.amdhsa_reserve_flat_scratch 0
		.amdhsa_float_round_mode_32 0
		.amdhsa_float_round_mode_16_64 0
		.amdhsa_float_denorm_mode_32 3
		.amdhsa_float_denorm_mode_16_64 3
		.amdhsa_dx10_clamp 1
		.amdhsa_ieee_mode 1
		.amdhsa_fp16_overflow 0
		.amdhsa_tg_split 0
		.amdhsa_exception_fp_ieee_invalid_op 0
		.amdhsa_exception_fp_denorm_src 0
		.amdhsa_exception_fp_ieee_div_zero 0
		.amdhsa_exception_fp_ieee_overflow 0
		.amdhsa_exception_fp_ieee_underflow 0
		.amdhsa_exception_fp_ieee_inexact 0
		.amdhsa_exception_int_div_zero 0
	.end_amdhsa_kernel
	.section	.text._ZN7rocprim17ROCPRIM_400000_NS6detail17trampoline_kernelINS0_13select_configILj256ELj13ELNS0_17block_load_methodE3ELS4_3ELS4_3ELNS0_20block_scan_algorithmE0ELj4294967295EEENS1_25partition_config_selectorILNS1_17partition_subalgoE4EjNS0_10empty_typeEbEEZZNS1_14partition_implILS8_4ELb0ES6_15HIP_vector_typeIjLj2EENS0_17counting_iteratorIjlEEPS9_SG_NS0_5tupleIJPjSI_NS0_16reverse_iteratorISI_EEEEENSH_IJSG_SG_SG_EEES9_SI_JZNS1_25segmented_radix_sort_implINS0_14default_configELb0EPKlPlSQ_SR_N2at6native12_GLOBAL__N_18offset_tEEE10hipError_tPvRmT1_PNSt15iterator_traitsISZ_E10value_typeET2_T3_PNS10_IS15_E10value_typeET4_jRbjT5_S1B_jjP12ihipStream_tbEUljE_ZNSN_ISO_Lb0ESQ_SR_SQ_SR_SV_EESW_SX_SY_SZ_S13_S14_S15_S18_S19_jS1A_jS1B_S1B_jjS1D_bEUljE0_EEESW_SX_SY_S15_S19_S1B_T6_T7_T9_mT8_S1D_bDpT10_ENKUlT_T0_E_clISt17integral_constantIbLb1EES1Q_IbLb0EEEEDaS1M_S1N_EUlS1M_E_NS1_11comp_targetILNS1_3genE9ELNS1_11target_archE1100ELNS1_3gpuE3ELNS1_3repE0EEENS1_30default_config_static_selectorELNS0_4arch9wavefront6targetE1EEEvSZ_,"axG",@progbits,_ZN7rocprim17ROCPRIM_400000_NS6detail17trampoline_kernelINS0_13select_configILj256ELj13ELNS0_17block_load_methodE3ELS4_3ELS4_3ELNS0_20block_scan_algorithmE0ELj4294967295EEENS1_25partition_config_selectorILNS1_17partition_subalgoE4EjNS0_10empty_typeEbEEZZNS1_14partition_implILS8_4ELb0ES6_15HIP_vector_typeIjLj2EENS0_17counting_iteratorIjlEEPS9_SG_NS0_5tupleIJPjSI_NS0_16reverse_iteratorISI_EEEEENSH_IJSG_SG_SG_EEES9_SI_JZNS1_25segmented_radix_sort_implINS0_14default_configELb0EPKlPlSQ_SR_N2at6native12_GLOBAL__N_18offset_tEEE10hipError_tPvRmT1_PNSt15iterator_traitsISZ_E10value_typeET2_T3_PNS10_IS15_E10value_typeET4_jRbjT5_S1B_jjP12ihipStream_tbEUljE_ZNSN_ISO_Lb0ESQ_SR_SQ_SR_SV_EESW_SX_SY_SZ_S13_S14_S15_S18_S19_jS1A_jS1B_S1B_jjS1D_bEUljE0_EEESW_SX_SY_S15_S19_S1B_T6_T7_T9_mT8_S1D_bDpT10_ENKUlT_T0_E_clISt17integral_constantIbLb1EES1Q_IbLb0EEEEDaS1M_S1N_EUlS1M_E_NS1_11comp_targetILNS1_3genE9ELNS1_11target_archE1100ELNS1_3gpuE3ELNS1_3repE0EEENS1_30default_config_static_selectorELNS0_4arch9wavefront6targetE1EEEvSZ_,comdat
.Lfunc_end765:
	.size	_ZN7rocprim17ROCPRIM_400000_NS6detail17trampoline_kernelINS0_13select_configILj256ELj13ELNS0_17block_load_methodE3ELS4_3ELS4_3ELNS0_20block_scan_algorithmE0ELj4294967295EEENS1_25partition_config_selectorILNS1_17partition_subalgoE4EjNS0_10empty_typeEbEEZZNS1_14partition_implILS8_4ELb0ES6_15HIP_vector_typeIjLj2EENS0_17counting_iteratorIjlEEPS9_SG_NS0_5tupleIJPjSI_NS0_16reverse_iteratorISI_EEEEENSH_IJSG_SG_SG_EEES9_SI_JZNS1_25segmented_radix_sort_implINS0_14default_configELb0EPKlPlSQ_SR_N2at6native12_GLOBAL__N_18offset_tEEE10hipError_tPvRmT1_PNSt15iterator_traitsISZ_E10value_typeET2_T3_PNS10_IS15_E10value_typeET4_jRbjT5_S1B_jjP12ihipStream_tbEUljE_ZNSN_ISO_Lb0ESQ_SR_SQ_SR_SV_EESW_SX_SY_SZ_S13_S14_S15_S18_S19_jS1A_jS1B_S1B_jjS1D_bEUljE0_EEESW_SX_SY_S15_S19_S1B_T6_T7_T9_mT8_S1D_bDpT10_ENKUlT_T0_E_clISt17integral_constantIbLb1EES1Q_IbLb0EEEEDaS1M_S1N_EUlS1M_E_NS1_11comp_targetILNS1_3genE9ELNS1_11target_archE1100ELNS1_3gpuE3ELNS1_3repE0EEENS1_30default_config_static_selectorELNS0_4arch9wavefront6targetE1EEEvSZ_, .Lfunc_end765-_ZN7rocprim17ROCPRIM_400000_NS6detail17trampoline_kernelINS0_13select_configILj256ELj13ELNS0_17block_load_methodE3ELS4_3ELS4_3ELNS0_20block_scan_algorithmE0ELj4294967295EEENS1_25partition_config_selectorILNS1_17partition_subalgoE4EjNS0_10empty_typeEbEEZZNS1_14partition_implILS8_4ELb0ES6_15HIP_vector_typeIjLj2EENS0_17counting_iteratorIjlEEPS9_SG_NS0_5tupleIJPjSI_NS0_16reverse_iteratorISI_EEEEENSH_IJSG_SG_SG_EEES9_SI_JZNS1_25segmented_radix_sort_implINS0_14default_configELb0EPKlPlSQ_SR_N2at6native12_GLOBAL__N_18offset_tEEE10hipError_tPvRmT1_PNSt15iterator_traitsISZ_E10value_typeET2_T3_PNS10_IS15_E10value_typeET4_jRbjT5_S1B_jjP12ihipStream_tbEUljE_ZNSN_ISO_Lb0ESQ_SR_SQ_SR_SV_EESW_SX_SY_SZ_S13_S14_S15_S18_S19_jS1A_jS1B_S1B_jjS1D_bEUljE0_EEESW_SX_SY_S15_S19_S1B_T6_T7_T9_mT8_S1D_bDpT10_ENKUlT_T0_E_clISt17integral_constantIbLb1EES1Q_IbLb0EEEEDaS1M_S1N_EUlS1M_E_NS1_11comp_targetILNS1_3genE9ELNS1_11target_archE1100ELNS1_3gpuE3ELNS1_3repE0EEENS1_30default_config_static_selectorELNS0_4arch9wavefront6targetE1EEEvSZ_
                                        ; -- End function
	.section	.AMDGPU.csdata,"",@progbits
; Kernel info:
; codeLenInByte = 0
; NumSgprs: 4
; NumVgprs: 0
; NumAgprs: 0
; TotalNumVgprs: 0
; ScratchSize: 0
; MemoryBound: 0
; FloatMode: 240
; IeeeMode: 1
; LDSByteSize: 0 bytes/workgroup (compile time only)
; SGPRBlocks: 0
; VGPRBlocks: 0
; NumSGPRsForWavesPerEU: 4
; NumVGPRsForWavesPerEU: 1
; AccumOffset: 4
; Occupancy: 8
; WaveLimiterHint : 0
; COMPUTE_PGM_RSRC2:SCRATCH_EN: 0
; COMPUTE_PGM_RSRC2:USER_SGPR: 6
; COMPUTE_PGM_RSRC2:TRAP_HANDLER: 0
; COMPUTE_PGM_RSRC2:TGID_X_EN: 1
; COMPUTE_PGM_RSRC2:TGID_Y_EN: 0
; COMPUTE_PGM_RSRC2:TGID_Z_EN: 0
; COMPUTE_PGM_RSRC2:TIDIG_COMP_CNT: 0
; COMPUTE_PGM_RSRC3_GFX90A:ACCUM_OFFSET: 0
; COMPUTE_PGM_RSRC3_GFX90A:TG_SPLIT: 0
	.section	.text._ZN7rocprim17ROCPRIM_400000_NS6detail17trampoline_kernelINS0_13select_configILj256ELj13ELNS0_17block_load_methodE3ELS4_3ELS4_3ELNS0_20block_scan_algorithmE0ELj4294967295EEENS1_25partition_config_selectorILNS1_17partition_subalgoE4EjNS0_10empty_typeEbEEZZNS1_14partition_implILS8_4ELb0ES6_15HIP_vector_typeIjLj2EENS0_17counting_iteratorIjlEEPS9_SG_NS0_5tupleIJPjSI_NS0_16reverse_iteratorISI_EEEEENSH_IJSG_SG_SG_EEES9_SI_JZNS1_25segmented_radix_sort_implINS0_14default_configELb0EPKlPlSQ_SR_N2at6native12_GLOBAL__N_18offset_tEEE10hipError_tPvRmT1_PNSt15iterator_traitsISZ_E10value_typeET2_T3_PNS10_IS15_E10value_typeET4_jRbjT5_S1B_jjP12ihipStream_tbEUljE_ZNSN_ISO_Lb0ESQ_SR_SQ_SR_SV_EESW_SX_SY_SZ_S13_S14_S15_S18_S19_jS1A_jS1B_S1B_jjS1D_bEUljE0_EEESW_SX_SY_S15_S19_S1B_T6_T7_T9_mT8_S1D_bDpT10_ENKUlT_T0_E_clISt17integral_constantIbLb1EES1Q_IbLb0EEEEDaS1M_S1N_EUlS1M_E_NS1_11comp_targetILNS1_3genE8ELNS1_11target_archE1030ELNS1_3gpuE2ELNS1_3repE0EEENS1_30default_config_static_selectorELNS0_4arch9wavefront6targetE1EEEvSZ_,"axG",@progbits,_ZN7rocprim17ROCPRIM_400000_NS6detail17trampoline_kernelINS0_13select_configILj256ELj13ELNS0_17block_load_methodE3ELS4_3ELS4_3ELNS0_20block_scan_algorithmE0ELj4294967295EEENS1_25partition_config_selectorILNS1_17partition_subalgoE4EjNS0_10empty_typeEbEEZZNS1_14partition_implILS8_4ELb0ES6_15HIP_vector_typeIjLj2EENS0_17counting_iteratorIjlEEPS9_SG_NS0_5tupleIJPjSI_NS0_16reverse_iteratorISI_EEEEENSH_IJSG_SG_SG_EEES9_SI_JZNS1_25segmented_radix_sort_implINS0_14default_configELb0EPKlPlSQ_SR_N2at6native12_GLOBAL__N_18offset_tEEE10hipError_tPvRmT1_PNSt15iterator_traitsISZ_E10value_typeET2_T3_PNS10_IS15_E10value_typeET4_jRbjT5_S1B_jjP12ihipStream_tbEUljE_ZNSN_ISO_Lb0ESQ_SR_SQ_SR_SV_EESW_SX_SY_SZ_S13_S14_S15_S18_S19_jS1A_jS1B_S1B_jjS1D_bEUljE0_EEESW_SX_SY_S15_S19_S1B_T6_T7_T9_mT8_S1D_bDpT10_ENKUlT_T0_E_clISt17integral_constantIbLb1EES1Q_IbLb0EEEEDaS1M_S1N_EUlS1M_E_NS1_11comp_targetILNS1_3genE8ELNS1_11target_archE1030ELNS1_3gpuE2ELNS1_3repE0EEENS1_30default_config_static_selectorELNS0_4arch9wavefront6targetE1EEEvSZ_,comdat
	.globl	_ZN7rocprim17ROCPRIM_400000_NS6detail17trampoline_kernelINS0_13select_configILj256ELj13ELNS0_17block_load_methodE3ELS4_3ELS4_3ELNS0_20block_scan_algorithmE0ELj4294967295EEENS1_25partition_config_selectorILNS1_17partition_subalgoE4EjNS0_10empty_typeEbEEZZNS1_14partition_implILS8_4ELb0ES6_15HIP_vector_typeIjLj2EENS0_17counting_iteratorIjlEEPS9_SG_NS0_5tupleIJPjSI_NS0_16reverse_iteratorISI_EEEEENSH_IJSG_SG_SG_EEES9_SI_JZNS1_25segmented_radix_sort_implINS0_14default_configELb0EPKlPlSQ_SR_N2at6native12_GLOBAL__N_18offset_tEEE10hipError_tPvRmT1_PNSt15iterator_traitsISZ_E10value_typeET2_T3_PNS10_IS15_E10value_typeET4_jRbjT5_S1B_jjP12ihipStream_tbEUljE_ZNSN_ISO_Lb0ESQ_SR_SQ_SR_SV_EESW_SX_SY_SZ_S13_S14_S15_S18_S19_jS1A_jS1B_S1B_jjS1D_bEUljE0_EEESW_SX_SY_S15_S19_S1B_T6_T7_T9_mT8_S1D_bDpT10_ENKUlT_T0_E_clISt17integral_constantIbLb1EES1Q_IbLb0EEEEDaS1M_S1N_EUlS1M_E_NS1_11comp_targetILNS1_3genE8ELNS1_11target_archE1030ELNS1_3gpuE2ELNS1_3repE0EEENS1_30default_config_static_selectorELNS0_4arch9wavefront6targetE1EEEvSZ_ ; -- Begin function _ZN7rocprim17ROCPRIM_400000_NS6detail17trampoline_kernelINS0_13select_configILj256ELj13ELNS0_17block_load_methodE3ELS4_3ELS4_3ELNS0_20block_scan_algorithmE0ELj4294967295EEENS1_25partition_config_selectorILNS1_17partition_subalgoE4EjNS0_10empty_typeEbEEZZNS1_14partition_implILS8_4ELb0ES6_15HIP_vector_typeIjLj2EENS0_17counting_iteratorIjlEEPS9_SG_NS0_5tupleIJPjSI_NS0_16reverse_iteratorISI_EEEEENSH_IJSG_SG_SG_EEES9_SI_JZNS1_25segmented_radix_sort_implINS0_14default_configELb0EPKlPlSQ_SR_N2at6native12_GLOBAL__N_18offset_tEEE10hipError_tPvRmT1_PNSt15iterator_traitsISZ_E10value_typeET2_T3_PNS10_IS15_E10value_typeET4_jRbjT5_S1B_jjP12ihipStream_tbEUljE_ZNSN_ISO_Lb0ESQ_SR_SQ_SR_SV_EESW_SX_SY_SZ_S13_S14_S15_S18_S19_jS1A_jS1B_S1B_jjS1D_bEUljE0_EEESW_SX_SY_S15_S19_S1B_T6_T7_T9_mT8_S1D_bDpT10_ENKUlT_T0_E_clISt17integral_constantIbLb1EES1Q_IbLb0EEEEDaS1M_S1N_EUlS1M_E_NS1_11comp_targetILNS1_3genE8ELNS1_11target_archE1030ELNS1_3gpuE2ELNS1_3repE0EEENS1_30default_config_static_selectorELNS0_4arch9wavefront6targetE1EEEvSZ_
	.p2align	8
	.type	_ZN7rocprim17ROCPRIM_400000_NS6detail17trampoline_kernelINS0_13select_configILj256ELj13ELNS0_17block_load_methodE3ELS4_3ELS4_3ELNS0_20block_scan_algorithmE0ELj4294967295EEENS1_25partition_config_selectorILNS1_17partition_subalgoE4EjNS0_10empty_typeEbEEZZNS1_14partition_implILS8_4ELb0ES6_15HIP_vector_typeIjLj2EENS0_17counting_iteratorIjlEEPS9_SG_NS0_5tupleIJPjSI_NS0_16reverse_iteratorISI_EEEEENSH_IJSG_SG_SG_EEES9_SI_JZNS1_25segmented_radix_sort_implINS0_14default_configELb0EPKlPlSQ_SR_N2at6native12_GLOBAL__N_18offset_tEEE10hipError_tPvRmT1_PNSt15iterator_traitsISZ_E10value_typeET2_T3_PNS10_IS15_E10value_typeET4_jRbjT5_S1B_jjP12ihipStream_tbEUljE_ZNSN_ISO_Lb0ESQ_SR_SQ_SR_SV_EESW_SX_SY_SZ_S13_S14_S15_S18_S19_jS1A_jS1B_S1B_jjS1D_bEUljE0_EEESW_SX_SY_S15_S19_S1B_T6_T7_T9_mT8_S1D_bDpT10_ENKUlT_T0_E_clISt17integral_constantIbLb1EES1Q_IbLb0EEEEDaS1M_S1N_EUlS1M_E_NS1_11comp_targetILNS1_3genE8ELNS1_11target_archE1030ELNS1_3gpuE2ELNS1_3repE0EEENS1_30default_config_static_selectorELNS0_4arch9wavefront6targetE1EEEvSZ_,@function
_ZN7rocprim17ROCPRIM_400000_NS6detail17trampoline_kernelINS0_13select_configILj256ELj13ELNS0_17block_load_methodE3ELS4_3ELS4_3ELNS0_20block_scan_algorithmE0ELj4294967295EEENS1_25partition_config_selectorILNS1_17partition_subalgoE4EjNS0_10empty_typeEbEEZZNS1_14partition_implILS8_4ELb0ES6_15HIP_vector_typeIjLj2EENS0_17counting_iteratorIjlEEPS9_SG_NS0_5tupleIJPjSI_NS0_16reverse_iteratorISI_EEEEENSH_IJSG_SG_SG_EEES9_SI_JZNS1_25segmented_radix_sort_implINS0_14default_configELb0EPKlPlSQ_SR_N2at6native12_GLOBAL__N_18offset_tEEE10hipError_tPvRmT1_PNSt15iterator_traitsISZ_E10value_typeET2_T3_PNS10_IS15_E10value_typeET4_jRbjT5_S1B_jjP12ihipStream_tbEUljE_ZNSN_ISO_Lb0ESQ_SR_SQ_SR_SV_EESW_SX_SY_SZ_S13_S14_S15_S18_S19_jS1A_jS1B_S1B_jjS1D_bEUljE0_EEESW_SX_SY_S15_S19_S1B_T6_T7_T9_mT8_S1D_bDpT10_ENKUlT_T0_E_clISt17integral_constantIbLb1EES1Q_IbLb0EEEEDaS1M_S1N_EUlS1M_E_NS1_11comp_targetILNS1_3genE8ELNS1_11target_archE1030ELNS1_3gpuE2ELNS1_3repE0EEENS1_30default_config_static_selectorELNS0_4arch9wavefront6targetE1EEEvSZ_: ; @_ZN7rocprim17ROCPRIM_400000_NS6detail17trampoline_kernelINS0_13select_configILj256ELj13ELNS0_17block_load_methodE3ELS4_3ELS4_3ELNS0_20block_scan_algorithmE0ELj4294967295EEENS1_25partition_config_selectorILNS1_17partition_subalgoE4EjNS0_10empty_typeEbEEZZNS1_14partition_implILS8_4ELb0ES6_15HIP_vector_typeIjLj2EENS0_17counting_iteratorIjlEEPS9_SG_NS0_5tupleIJPjSI_NS0_16reverse_iteratorISI_EEEEENSH_IJSG_SG_SG_EEES9_SI_JZNS1_25segmented_radix_sort_implINS0_14default_configELb0EPKlPlSQ_SR_N2at6native12_GLOBAL__N_18offset_tEEE10hipError_tPvRmT1_PNSt15iterator_traitsISZ_E10value_typeET2_T3_PNS10_IS15_E10value_typeET4_jRbjT5_S1B_jjP12ihipStream_tbEUljE_ZNSN_ISO_Lb0ESQ_SR_SQ_SR_SV_EESW_SX_SY_SZ_S13_S14_S15_S18_S19_jS1A_jS1B_S1B_jjS1D_bEUljE0_EEESW_SX_SY_S15_S19_S1B_T6_T7_T9_mT8_S1D_bDpT10_ENKUlT_T0_E_clISt17integral_constantIbLb1EES1Q_IbLb0EEEEDaS1M_S1N_EUlS1M_E_NS1_11comp_targetILNS1_3genE8ELNS1_11target_archE1030ELNS1_3gpuE2ELNS1_3repE0EEENS1_30default_config_static_selectorELNS0_4arch9wavefront6targetE1EEEvSZ_
; %bb.0:
	.section	.rodata,"a",@progbits
	.p2align	6, 0x0
	.amdhsa_kernel _ZN7rocprim17ROCPRIM_400000_NS6detail17trampoline_kernelINS0_13select_configILj256ELj13ELNS0_17block_load_methodE3ELS4_3ELS4_3ELNS0_20block_scan_algorithmE0ELj4294967295EEENS1_25partition_config_selectorILNS1_17partition_subalgoE4EjNS0_10empty_typeEbEEZZNS1_14partition_implILS8_4ELb0ES6_15HIP_vector_typeIjLj2EENS0_17counting_iteratorIjlEEPS9_SG_NS0_5tupleIJPjSI_NS0_16reverse_iteratorISI_EEEEENSH_IJSG_SG_SG_EEES9_SI_JZNS1_25segmented_radix_sort_implINS0_14default_configELb0EPKlPlSQ_SR_N2at6native12_GLOBAL__N_18offset_tEEE10hipError_tPvRmT1_PNSt15iterator_traitsISZ_E10value_typeET2_T3_PNS10_IS15_E10value_typeET4_jRbjT5_S1B_jjP12ihipStream_tbEUljE_ZNSN_ISO_Lb0ESQ_SR_SQ_SR_SV_EESW_SX_SY_SZ_S13_S14_S15_S18_S19_jS1A_jS1B_S1B_jjS1D_bEUljE0_EEESW_SX_SY_S15_S19_S1B_T6_T7_T9_mT8_S1D_bDpT10_ENKUlT_T0_E_clISt17integral_constantIbLb1EES1Q_IbLb0EEEEDaS1M_S1N_EUlS1M_E_NS1_11comp_targetILNS1_3genE8ELNS1_11target_archE1030ELNS1_3gpuE2ELNS1_3repE0EEENS1_30default_config_static_selectorELNS0_4arch9wavefront6targetE1EEEvSZ_
		.amdhsa_group_segment_fixed_size 0
		.amdhsa_private_segment_fixed_size 0
		.amdhsa_kernarg_size 176
		.amdhsa_user_sgpr_count 6
		.amdhsa_user_sgpr_private_segment_buffer 1
		.amdhsa_user_sgpr_dispatch_ptr 0
		.amdhsa_user_sgpr_queue_ptr 0
		.amdhsa_user_sgpr_kernarg_segment_ptr 1
		.amdhsa_user_sgpr_dispatch_id 0
		.amdhsa_user_sgpr_flat_scratch_init 0
		.amdhsa_user_sgpr_kernarg_preload_length 0
		.amdhsa_user_sgpr_kernarg_preload_offset 0
		.amdhsa_user_sgpr_private_segment_size 0
		.amdhsa_uses_dynamic_stack 0
		.amdhsa_system_sgpr_private_segment_wavefront_offset 0
		.amdhsa_system_sgpr_workgroup_id_x 1
		.amdhsa_system_sgpr_workgroup_id_y 0
		.amdhsa_system_sgpr_workgroup_id_z 0
		.amdhsa_system_sgpr_workgroup_info 0
		.amdhsa_system_vgpr_workitem_id 0
		.amdhsa_next_free_vgpr 1
		.amdhsa_next_free_sgpr 0
		.amdhsa_accum_offset 4
		.amdhsa_reserve_vcc 0
		.amdhsa_reserve_flat_scratch 0
		.amdhsa_float_round_mode_32 0
		.amdhsa_float_round_mode_16_64 0
		.amdhsa_float_denorm_mode_32 3
		.amdhsa_float_denorm_mode_16_64 3
		.amdhsa_dx10_clamp 1
		.amdhsa_ieee_mode 1
		.amdhsa_fp16_overflow 0
		.amdhsa_tg_split 0
		.amdhsa_exception_fp_ieee_invalid_op 0
		.amdhsa_exception_fp_denorm_src 0
		.amdhsa_exception_fp_ieee_div_zero 0
		.amdhsa_exception_fp_ieee_overflow 0
		.amdhsa_exception_fp_ieee_underflow 0
		.amdhsa_exception_fp_ieee_inexact 0
		.amdhsa_exception_int_div_zero 0
	.end_amdhsa_kernel
	.section	.text._ZN7rocprim17ROCPRIM_400000_NS6detail17trampoline_kernelINS0_13select_configILj256ELj13ELNS0_17block_load_methodE3ELS4_3ELS4_3ELNS0_20block_scan_algorithmE0ELj4294967295EEENS1_25partition_config_selectorILNS1_17partition_subalgoE4EjNS0_10empty_typeEbEEZZNS1_14partition_implILS8_4ELb0ES6_15HIP_vector_typeIjLj2EENS0_17counting_iteratorIjlEEPS9_SG_NS0_5tupleIJPjSI_NS0_16reverse_iteratorISI_EEEEENSH_IJSG_SG_SG_EEES9_SI_JZNS1_25segmented_radix_sort_implINS0_14default_configELb0EPKlPlSQ_SR_N2at6native12_GLOBAL__N_18offset_tEEE10hipError_tPvRmT1_PNSt15iterator_traitsISZ_E10value_typeET2_T3_PNS10_IS15_E10value_typeET4_jRbjT5_S1B_jjP12ihipStream_tbEUljE_ZNSN_ISO_Lb0ESQ_SR_SQ_SR_SV_EESW_SX_SY_SZ_S13_S14_S15_S18_S19_jS1A_jS1B_S1B_jjS1D_bEUljE0_EEESW_SX_SY_S15_S19_S1B_T6_T7_T9_mT8_S1D_bDpT10_ENKUlT_T0_E_clISt17integral_constantIbLb1EES1Q_IbLb0EEEEDaS1M_S1N_EUlS1M_E_NS1_11comp_targetILNS1_3genE8ELNS1_11target_archE1030ELNS1_3gpuE2ELNS1_3repE0EEENS1_30default_config_static_selectorELNS0_4arch9wavefront6targetE1EEEvSZ_,"axG",@progbits,_ZN7rocprim17ROCPRIM_400000_NS6detail17trampoline_kernelINS0_13select_configILj256ELj13ELNS0_17block_load_methodE3ELS4_3ELS4_3ELNS0_20block_scan_algorithmE0ELj4294967295EEENS1_25partition_config_selectorILNS1_17partition_subalgoE4EjNS0_10empty_typeEbEEZZNS1_14partition_implILS8_4ELb0ES6_15HIP_vector_typeIjLj2EENS0_17counting_iteratorIjlEEPS9_SG_NS0_5tupleIJPjSI_NS0_16reverse_iteratorISI_EEEEENSH_IJSG_SG_SG_EEES9_SI_JZNS1_25segmented_radix_sort_implINS0_14default_configELb0EPKlPlSQ_SR_N2at6native12_GLOBAL__N_18offset_tEEE10hipError_tPvRmT1_PNSt15iterator_traitsISZ_E10value_typeET2_T3_PNS10_IS15_E10value_typeET4_jRbjT5_S1B_jjP12ihipStream_tbEUljE_ZNSN_ISO_Lb0ESQ_SR_SQ_SR_SV_EESW_SX_SY_SZ_S13_S14_S15_S18_S19_jS1A_jS1B_S1B_jjS1D_bEUljE0_EEESW_SX_SY_S15_S19_S1B_T6_T7_T9_mT8_S1D_bDpT10_ENKUlT_T0_E_clISt17integral_constantIbLb1EES1Q_IbLb0EEEEDaS1M_S1N_EUlS1M_E_NS1_11comp_targetILNS1_3genE8ELNS1_11target_archE1030ELNS1_3gpuE2ELNS1_3repE0EEENS1_30default_config_static_selectorELNS0_4arch9wavefront6targetE1EEEvSZ_,comdat
.Lfunc_end766:
	.size	_ZN7rocprim17ROCPRIM_400000_NS6detail17trampoline_kernelINS0_13select_configILj256ELj13ELNS0_17block_load_methodE3ELS4_3ELS4_3ELNS0_20block_scan_algorithmE0ELj4294967295EEENS1_25partition_config_selectorILNS1_17partition_subalgoE4EjNS0_10empty_typeEbEEZZNS1_14partition_implILS8_4ELb0ES6_15HIP_vector_typeIjLj2EENS0_17counting_iteratorIjlEEPS9_SG_NS0_5tupleIJPjSI_NS0_16reverse_iteratorISI_EEEEENSH_IJSG_SG_SG_EEES9_SI_JZNS1_25segmented_radix_sort_implINS0_14default_configELb0EPKlPlSQ_SR_N2at6native12_GLOBAL__N_18offset_tEEE10hipError_tPvRmT1_PNSt15iterator_traitsISZ_E10value_typeET2_T3_PNS10_IS15_E10value_typeET4_jRbjT5_S1B_jjP12ihipStream_tbEUljE_ZNSN_ISO_Lb0ESQ_SR_SQ_SR_SV_EESW_SX_SY_SZ_S13_S14_S15_S18_S19_jS1A_jS1B_S1B_jjS1D_bEUljE0_EEESW_SX_SY_S15_S19_S1B_T6_T7_T9_mT8_S1D_bDpT10_ENKUlT_T0_E_clISt17integral_constantIbLb1EES1Q_IbLb0EEEEDaS1M_S1N_EUlS1M_E_NS1_11comp_targetILNS1_3genE8ELNS1_11target_archE1030ELNS1_3gpuE2ELNS1_3repE0EEENS1_30default_config_static_selectorELNS0_4arch9wavefront6targetE1EEEvSZ_, .Lfunc_end766-_ZN7rocprim17ROCPRIM_400000_NS6detail17trampoline_kernelINS0_13select_configILj256ELj13ELNS0_17block_load_methodE3ELS4_3ELS4_3ELNS0_20block_scan_algorithmE0ELj4294967295EEENS1_25partition_config_selectorILNS1_17partition_subalgoE4EjNS0_10empty_typeEbEEZZNS1_14partition_implILS8_4ELb0ES6_15HIP_vector_typeIjLj2EENS0_17counting_iteratorIjlEEPS9_SG_NS0_5tupleIJPjSI_NS0_16reverse_iteratorISI_EEEEENSH_IJSG_SG_SG_EEES9_SI_JZNS1_25segmented_radix_sort_implINS0_14default_configELb0EPKlPlSQ_SR_N2at6native12_GLOBAL__N_18offset_tEEE10hipError_tPvRmT1_PNSt15iterator_traitsISZ_E10value_typeET2_T3_PNS10_IS15_E10value_typeET4_jRbjT5_S1B_jjP12ihipStream_tbEUljE_ZNSN_ISO_Lb0ESQ_SR_SQ_SR_SV_EESW_SX_SY_SZ_S13_S14_S15_S18_S19_jS1A_jS1B_S1B_jjS1D_bEUljE0_EEESW_SX_SY_S15_S19_S1B_T6_T7_T9_mT8_S1D_bDpT10_ENKUlT_T0_E_clISt17integral_constantIbLb1EES1Q_IbLb0EEEEDaS1M_S1N_EUlS1M_E_NS1_11comp_targetILNS1_3genE8ELNS1_11target_archE1030ELNS1_3gpuE2ELNS1_3repE0EEENS1_30default_config_static_selectorELNS0_4arch9wavefront6targetE1EEEvSZ_
                                        ; -- End function
	.section	.AMDGPU.csdata,"",@progbits
; Kernel info:
; codeLenInByte = 0
; NumSgprs: 4
; NumVgprs: 0
; NumAgprs: 0
; TotalNumVgprs: 0
; ScratchSize: 0
; MemoryBound: 0
; FloatMode: 240
; IeeeMode: 1
; LDSByteSize: 0 bytes/workgroup (compile time only)
; SGPRBlocks: 0
; VGPRBlocks: 0
; NumSGPRsForWavesPerEU: 4
; NumVGPRsForWavesPerEU: 1
; AccumOffset: 4
; Occupancy: 8
; WaveLimiterHint : 0
; COMPUTE_PGM_RSRC2:SCRATCH_EN: 0
; COMPUTE_PGM_RSRC2:USER_SGPR: 6
; COMPUTE_PGM_RSRC2:TRAP_HANDLER: 0
; COMPUTE_PGM_RSRC2:TGID_X_EN: 1
; COMPUTE_PGM_RSRC2:TGID_Y_EN: 0
; COMPUTE_PGM_RSRC2:TGID_Z_EN: 0
; COMPUTE_PGM_RSRC2:TIDIG_COMP_CNT: 0
; COMPUTE_PGM_RSRC3_GFX90A:ACCUM_OFFSET: 0
; COMPUTE_PGM_RSRC3_GFX90A:TG_SPLIT: 0
	.section	.text._ZN7rocprim17ROCPRIM_400000_NS6detail17trampoline_kernelINS0_13select_configILj256ELj13ELNS0_17block_load_methodE3ELS4_3ELS4_3ELNS0_20block_scan_algorithmE0ELj4294967295EEENS1_25partition_config_selectorILNS1_17partition_subalgoE4EjNS0_10empty_typeEbEEZZNS1_14partition_implILS8_4ELb0ES6_15HIP_vector_typeIjLj2EENS0_17counting_iteratorIjlEEPS9_SG_NS0_5tupleIJPjSI_NS0_16reverse_iteratorISI_EEEEENSH_IJSG_SG_SG_EEES9_SI_JZNS1_25segmented_radix_sort_implINS0_14default_configELb0EPKlPlSQ_SR_N2at6native12_GLOBAL__N_18offset_tEEE10hipError_tPvRmT1_PNSt15iterator_traitsISZ_E10value_typeET2_T3_PNS10_IS15_E10value_typeET4_jRbjT5_S1B_jjP12ihipStream_tbEUljE_ZNSN_ISO_Lb0ESQ_SR_SQ_SR_SV_EESW_SX_SY_SZ_S13_S14_S15_S18_S19_jS1A_jS1B_S1B_jjS1D_bEUljE0_EEESW_SX_SY_S15_S19_S1B_T6_T7_T9_mT8_S1D_bDpT10_ENKUlT_T0_E_clISt17integral_constantIbLb0EES1Q_IbLb1EEEEDaS1M_S1N_EUlS1M_E_NS1_11comp_targetILNS1_3genE0ELNS1_11target_archE4294967295ELNS1_3gpuE0ELNS1_3repE0EEENS1_30default_config_static_selectorELNS0_4arch9wavefront6targetE1EEEvSZ_,"axG",@progbits,_ZN7rocprim17ROCPRIM_400000_NS6detail17trampoline_kernelINS0_13select_configILj256ELj13ELNS0_17block_load_methodE3ELS4_3ELS4_3ELNS0_20block_scan_algorithmE0ELj4294967295EEENS1_25partition_config_selectorILNS1_17partition_subalgoE4EjNS0_10empty_typeEbEEZZNS1_14partition_implILS8_4ELb0ES6_15HIP_vector_typeIjLj2EENS0_17counting_iteratorIjlEEPS9_SG_NS0_5tupleIJPjSI_NS0_16reverse_iteratorISI_EEEEENSH_IJSG_SG_SG_EEES9_SI_JZNS1_25segmented_radix_sort_implINS0_14default_configELb0EPKlPlSQ_SR_N2at6native12_GLOBAL__N_18offset_tEEE10hipError_tPvRmT1_PNSt15iterator_traitsISZ_E10value_typeET2_T3_PNS10_IS15_E10value_typeET4_jRbjT5_S1B_jjP12ihipStream_tbEUljE_ZNSN_ISO_Lb0ESQ_SR_SQ_SR_SV_EESW_SX_SY_SZ_S13_S14_S15_S18_S19_jS1A_jS1B_S1B_jjS1D_bEUljE0_EEESW_SX_SY_S15_S19_S1B_T6_T7_T9_mT8_S1D_bDpT10_ENKUlT_T0_E_clISt17integral_constantIbLb0EES1Q_IbLb1EEEEDaS1M_S1N_EUlS1M_E_NS1_11comp_targetILNS1_3genE0ELNS1_11target_archE4294967295ELNS1_3gpuE0ELNS1_3repE0EEENS1_30default_config_static_selectorELNS0_4arch9wavefront6targetE1EEEvSZ_,comdat
	.globl	_ZN7rocprim17ROCPRIM_400000_NS6detail17trampoline_kernelINS0_13select_configILj256ELj13ELNS0_17block_load_methodE3ELS4_3ELS4_3ELNS0_20block_scan_algorithmE0ELj4294967295EEENS1_25partition_config_selectorILNS1_17partition_subalgoE4EjNS0_10empty_typeEbEEZZNS1_14partition_implILS8_4ELb0ES6_15HIP_vector_typeIjLj2EENS0_17counting_iteratorIjlEEPS9_SG_NS0_5tupleIJPjSI_NS0_16reverse_iteratorISI_EEEEENSH_IJSG_SG_SG_EEES9_SI_JZNS1_25segmented_radix_sort_implINS0_14default_configELb0EPKlPlSQ_SR_N2at6native12_GLOBAL__N_18offset_tEEE10hipError_tPvRmT1_PNSt15iterator_traitsISZ_E10value_typeET2_T3_PNS10_IS15_E10value_typeET4_jRbjT5_S1B_jjP12ihipStream_tbEUljE_ZNSN_ISO_Lb0ESQ_SR_SQ_SR_SV_EESW_SX_SY_SZ_S13_S14_S15_S18_S19_jS1A_jS1B_S1B_jjS1D_bEUljE0_EEESW_SX_SY_S15_S19_S1B_T6_T7_T9_mT8_S1D_bDpT10_ENKUlT_T0_E_clISt17integral_constantIbLb0EES1Q_IbLb1EEEEDaS1M_S1N_EUlS1M_E_NS1_11comp_targetILNS1_3genE0ELNS1_11target_archE4294967295ELNS1_3gpuE0ELNS1_3repE0EEENS1_30default_config_static_selectorELNS0_4arch9wavefront6targetE1EEEvSZ_ ; -- Begin function _ZN7rocprim17ROCPRIM_400000_NS6detail17trampoline_kernelINS0_13select_configILj256ELj13ELNS0_17block_load_methodE3ELS4_3ELS4_3ELNS0_20block_scan_algorithmE0ELj4294967295EEENS1_25partition_config_selectorILNS1_17partition_subalgoE4EjNS0_10empty_typeEbEEZZNS1_14partition_implILS8_4ELb0ES6_15HIP_vector_typeIjLj2EENS0_17counting_iteratorIjlEEPS9_SG_NS0_5tupleIJPjSI_NS0_16reverse_iteratorISI_EEEEENSH_IJSG_SG_SG_EEES9_SI_JZNS1_25segmented_radix_sort_implINS0_14default_configELb0EPKlPlSQ_SR_N2at6native12_GLOBAL__N_18offset_tEEE10hipError_tPvRmT1_PNSt15iterator_traitsISZ_E10value_typeET2_T3_PNS10_IS15_E10value_typeET4_jRbjT5_S1B_jjP12ihipStream_tbEUljE_ZNSN_ISO_Lb0ESQ_SR_SQ_SR_SV_EESW_SX_SY_SZ_S13_S14_S15_S18_S19_jS1A_jS1B_S1B_jjS1D_bEUljE0_EEESW_SX_SY_S15_S19_S1B_T6_T7_T9_mT8_S1D_bDpT10_ENKUlT_T0_E_clISt17integral_constantIbLb0EES1Q_IbLb1EEEEDaS1M_S1N_EUlS1M_E_NS1_11comp_targetILNS1_3genE0ELNS1_11target_archE4294967295ELNS1_3gpuE0ELNS1_3repE0EEENS1_30default_config_static_selectorELNS0_4arch9wavefront6targetE1EEEvSZ_
	.p2align	8
	.type	_ZN7rocprim17ROCPRIM_400000_NS6detail17trampoline_kernelINS0_13select_configILj256ELj13ELNS0_17block_load_methodE3ELS4_3ELS4_3ELNS0_20block_scan_algorithmE0ELj4294967295EEENS1_25partition_config_selectorILNS1_17partition_subalgoE4EjNS0_10empty_typeEbEEZZNS1_14partition_implILS8_4ELb0ES6_15HIP_vector_typeIjLj2EENS0_17counting_iteratorIjlEEPS9_SG_NS0_5tupleIJPjSI_NS0_16reverse_iteratorISI_EEEEENSH_IJSG_SG_SG_EEES9_SI_JZNS1_25segmented_radix_sort_implINS0_14default_configELb0EPKlPlSQ_SR_N2at6native12_GLOBAL__N_18offset_tEEE10hipError_tPvRmT1_PNSt15iterator_traitsISZ_E10value_typeET2_T3_PNS10_IS15_E10value_typeET4_jRbjT5_S1B_jjP12ihipStream_tbEUljE_ZNSN_ISO_Lb0ESQ_SR_SQ_SR_SV_EESW_SX_SY_SZ_S13_S14_S15_S18_S19_jS1A_jS1B_S1B_jjS1D_bEUljE0_EEESW_SX_SY_S15_S19_S1B_T6_T7_T9_mT8_S1D_bDpT10_ENKUlT_T0_E_clISt17integral_constantIbLb0EES1Q_IbLb1EEEEDaS1M_S1N_EUlS1M_E_NS1_11comp_targetILNS1_3genE0ELNS1_11target_archE4294967295ELNS1_3gpuE0ELNS1_3repE0EEENS1_30default_config_static_selectorELNS0_4arch9wavefront6targetE1EEEvSZ_,@function
_ZN7rocprim17ROCPRIM_400000_NS6detail17trampoline_kernelINS0_13select_configILj256ELj13ELNS0_17block_load_methodE3ELS4_3ELS4_3ELNS0_20block_scan_algorithmE0ELj4294967295EEENS1_25partition_config_selectorILNS1_17partition_subalgoE4EjNS0_10empty_typeEbEEZZNS1_14partition_implILS8_4ELb0ES6_15HIP_vector_typeIjLj2EENS0_17counting_iteratorIjlEEPS9_SG_NS0_5tupleIJPjSI_NS0_16reverse_iteratorISI_EEEEENSH_IJSG_SG_SG_EEES9_SI_JZNS1_25segmented_radix_sort_implINS0_14default_configELb0EPKlPlSQ_SR_N2at6native12_GLOBAL__N_18offset_tEEE10hipError_tPvRmT1_PNSt15iterator_traitsISZ_E10value_typeET2_T3_PNS10_IS15_E10value_typeET4_jRbjT5_S1B_jjP12ihipStream_tbEUljE_ZNSN_ISO_Lb0ESQ_SR_SQ_SR_SV_EESW_SX_SY_SZ_S13_S14_S15_S18_S19_jS1A_jS1B_S1B_jjS1D_bEUljE0_EEESW_SX_SY_S15_S19_S1B_T6_T7_T9_mT8_S1D_bDpT10_ENKUlT_T0_E_clISt17integral_constantIbLb0EES1Q_IbLb1EEEEDaS1M_S1N_EUlS1M_E_NS1_11comp_targetILNS1_3genE0ELNS1_11target_archE4294967295ELNS1_3gpuE0ELNS1_3repE0EEENS1_30default_config_static_selectorELNS0_4arch9wavefront6targetE1EEEvSZ_: ; @_ZN7rocprim17ROCPRIM_400000_NS6detail17trampoline_kernelINS0_13select_configILj256ELj13ELNS0_17block_load_methodE3ELS4_3ELS4_3ELNS0_20block_scan_algorithmE0ELj4294967295EEENS1_25partition_config_selectorILNS1_17partition_subalgoE4EjNS0_10empty_typeEbEEZZNS1_14partition_implILS8_4ELb0ES6_15HIP_vector_typeIjLj2EENS0_17counting_iteratorIjlEEPS9_SG_NS0_5tupleIJPjSI_NS0_16reverse_iteratorISI_EEEEENSH_IJSG_SG_SG_EEES9_SI_JZNS1_25segmented_radix_sort_implINS0_14default_configELb0EPKlPlSQ_SR_N2at6native12_GLOBAL__N_18offset_tEEE10hipError_tPvRmT1_PNSt15iterator_traitsISZ_E10value_typeET2_T3_PNS10_IS15_E10value_typeET4_jRbjT5_S1B_jjP12ihipStream_tbEUljE_ZNSN_ISO_Lb0ESQ_SR_SQ_SR_SV_EESW_SX_SY_SZ_S13_S14_S15_S18_S19_jS1A_jS1B_S1B_jjS1D_bEUljE0_EEESW_SX_SY_S15_S19_S1B_T6_T7_T9_mT8_S1D_bDpT10_ENKUlT_T0_E_clISt17integral_constantIbLb0EES1Q_IbLb1EEEEDaS1M_S1N_EUlS1M_E_NS1_11comp_targetILNS1_3genE0ELNS1_11target_archE4294967295ELNS1_3gpuE0ELNS1_3repE0EEENS1_30default_config_static_selectorELNS0_4arch9wavefront6targetE1EEEvSZ_
; %bb.0:
	.section	.rodata,"a",@progbits
	.p2align	6, 0x0
	.amdhsa_kernel _ZN7rocprim17ROCPRIM_400000_NS6detail17trampoline_kernelINS0_13select_configILj256ELj13ELNS0_17block_load_methodE3ELS4_3ELS4_3ELNS0_20block_scan_algorithmE0ELj4294967295EEENS1_25partition_config_selectorILNS1_17partition_subalgoE4EjNS0_10empty_typeEbEEZZNS1_14partition_implILS8_4ELb0ES6_15HIP_vector_typeIjLj2EENS0_17counting_iteratorIjlEEPS9_SG_NS0_5tupleIJPjSI_NS0_16reverse_iteratorISI_EEEEENSH_IJSG_SG_SG_EEES9_SI_JZNS1_25segmented_radix_sort_implINS0_14default_configELb0EPKlPlSQ_SR_N2at6native12_GLOBAL__N_18offset_tEEE10hipError_tPvRmT1_PNSt15iterator_traitsISZ_E10value_typeET2_T3_PNS10_IS15_E10value_typeET4_jRbjT5_S1B_jjP12ihipStream_tbEUljE_ZNSN_ISO_Lb0ESQ_SR_SQ_SR_SV_EESW_SX_SY_SZ_S13_S14_S15_S18_S19_jS1A_jS1B_S1B_jjS1D_bEUljE0_EEESW_SX_SY_S15_S19_S1B_T6_T7_T9_mT8_S1D_bDpT10_ENKUlT_T0_E_clISt17integral_constantIbLb0EES1Q_IbLb1EEEEDaS1M_S1N_EUlS1M_E_NS1_11comp_targetILNS1_3genE0ELNS1_11target_archE4294967295ELNS1_3gpuE0ELNS1_3repE0EEENS1_30default_config_static_selectorELNS0_4arch9wavefront6targetE1EEEvSZ_
		.amdhsa_group_segment_fixed_size 0
		.amdhsa_private_segment_fixed_size 0
		.amdhsa_kernarg_size 184
		.amdhsa_user_sgpr_count 6
		.amdhsa_user_sgpr_private_segment_buffer 1
		.amdhsa_user_sgpr_dispatch_ptr 0
		.amdhsa_user_sgpr_queue_ptr 0
		.amdhsa_user_sgpr_kernarg_segment_ptr 1
		.amdhsa_user_sgpr_dispatch_id 0
		.amdhsa_user_sgpr_flat_scratch_init 0
		.amdhsa_user_sgpr_kernarg_preload_length 0
		.amdhsa_user_sgpr_kernarg_preload_offset 0
		.amdhsa_user_sgpr_private_segment_size 0
		.amdhsa_uses_dynamic_stack 0
		.amdhsa_system_sgpr_private_segment_wavefront_offset 0
		.amdhsa_system_sgpr_workgroup_id_x 1
		.amdhsa_system_sgpr_workgroup_id_y 0
		.amdhsa_system_sgpr_workgroup_id_z 0
		.amdhsa_system_sgpr_workgroup_info 0
		.amdhsa_system_vgpr_workitem_id 0
		.amdhsa_next_free_vgpr 1
		.amdhsa_next_free_sgpr 0
		.amdhsa_accum_offset 4
		.amdhsa_reserve_vcc 0
		.amdhsa_reserve_flat_scratch 0
		.amdhsa_float_round_mode_32 0
		.amdhsa_float_round_mode_16_64 0
		.amdhsa_float_denorm_mode_32 3
		.amdhsa_float_denorm_mode_16_64 3
		.amdhsa_dx10_clamp 1
		.amdhsa_ieee_mode 1
		.amdhsa_fp16_overflow 0
		.amdhsa_tg_split 0
		.amdhsa_exception_fp_ieee_invalid_op 0
		.amdhsa_exception_fp_denorm_src 0
		.amdhsa_exception_fp_ieee_div_zero 0
		.amdhsa_exception_fp_ieee_overflow 0
		.amdhsa_exception_fp_ieee_underflow 0
		.amdhsa_exception_fp_ieee_inexact 0
		.amdhsa_exception_int_div_zero 0
	.end_amdhsa_kernel
	.section	.text._ZN7rocprim17ROCPRIM_400000_NS6detail17trampoline_kernelINS0_13select_configILj256ELj13ELNS0_17block_load_methodE3ELS4_3ELS4_3ELNS0_20block_scan_algorithmE0ELj4294967295EEENS1_25partition_config_selectorILNS1_17partition_subalgoE4EjNS0_10empty_typeEbEEZZNS1_14partition_implILS8_4ELb0ES6_15HIP_vector_typeIjLj2EENS0_17counting_iteratorIjlEEPS9_SG_NS0_5tupleIJPjSI_NS0_16reverse_iteratorISI_EEEEENSH_IJSG_SG_SG_EEES9_SI_JZNS1_25segmented_radix_sort_implINS0_14default_configELb0EPKlPlSQ_SR_N2at6native12_GLOBAL__N_18offset_tEEE10hipError_tPvRmT1_PNSt15iterator_traitsISZ_E10value_typeET2_T3_PNS10_IS15_E10value_typeET4_jRbjT5_S1B_jjP12ihipStream_tbEUljE_ZNSN_ISO_Lb0ESQ_SR_SQ_SR_SV_EESW_SX_SY_SZ_S13_S14_S15_S18_S19_jS1A_jS1B_S1B_jjS1D_bEUljE0_EEESW_SX_SY_S15_S19_S1B_T6_T7_T9_mT8_S1D_bDpT10_ENKUlT_T0_E_clISt17integral_constantIbLb0EES1Q_IbLb1EEEEDaS1M_S1N_EUlS1M_E_NS1_11comp_targetILNS1_3genE0ELNS1_11target_archE4294967295ELNS1_3gpuE0ELNS1_3repE0EEENS1_30default_config_static_selectorELNS0_4arch9wavefront6targetE1EEEvSZ_,"axG",@progbits,_ZN7rocprim17ROCPRIM_400000_NS6detail17trampoline_kernelINS0_13select_configILj256ELj13ELNS0_17block_load_methodE3ELS4_3ELS4_3ELNS0_20block_scan_algorithmE0ELj4294967295EEENS1_25partition_config_selectorILNS1_17partition_subalgoE4EjNS0_10empty_typeEbEEZZNS1_14partition_implILS8_4ELb0ES6_15HIP_vector_typeIjLj2EENS0_17counting_iteratorIjlEEPS9_SG_NS0_5tupleIJPjSI_NS0_16reverse_iteratorISI_EEEEENSH_IJSG_SG_SG_EEES9_SI_JZNS1_25segmented_radix_sort_implINS0_14default_configELb0EPKlPlSQ_SR_N2at6native12_GLOBAL__N_18offset_tEEE10hipError_tPvRmT1_PNSt15iterator_traitsISZ_E10value_typeET2_T3_PNS10_IS15_E10value_typeET4_jRbjT5_S1B_jjP12ihipStream_tbEUljE_ZNSN_ISO_Lb0ESQ_SR_SQ_SR_SV_EESW_SX_SY_SZ_S13_S14_S15_S18_S19_jS1A_jS1B_S1B_jjS1D_bEUljE0_EEESW_SX_SY_S15_S19_S1B_T6_T7_T9_mT8_S1D_bDpT10_ENKUlT_T0_E_clISt17integral_constantIbLb0EES1Q_IbLb1EEEEDaS1M_S1N_EUlS1M_E_NS1_11comp_targetILNS1_3genE0ELNS1_11target_archE4294967295ELNS1_3gpuE0ELNS1_3repE0EEENS1_30default_config_static_selectorELNS0_4arch9wavefront6targetE1EEEvSZ_,comdat
.Lfunc_end767:
	.size	_ZN7rocprim17ROCPRIM_400000_NS6detail17trampoline_kernelINS0_13select_configILj256ELj13ELNS0_17block_load_methodE3ELS4_3ELS4_3ELNS0_20block_scan_algorithmE0ELj4294967295EEENS1_25partition_config_selectorILNS1_17partition_subalgoE4EjNS0_10empty_typeEbEEZZNS1_14partition_implILS8_4ELb0ES6_15HIP_vector_typeIjLj2EENS0_17counting_iteratorIjlEEPS9_SG_NS0_5tupleIJPjSI_NS0_16reverse_iteratorISI_EEEEENSH_IJSG_SG_SG_EEES9_SI_JZNS1_25segmented_radix_sort_implINS0_14default_configELb0EPKlPlSQ_SR_N2at6native12_GLOBAL__N_18offset_tEEE10hipError_tPvRmT1_PNSt15iterator_traitsISZ_E10value_typeET2_T3_PNS10_IS15_E10value_typeET4_jRbjT5_S1B_jjP12ihipStream_tbEUljE_ZNSN_ISO_Lb0ESQ_SR_SQ_SR_SV_EESW_SX_SY_SZ_S13_S14_S15_S18_S19_jS1A_jS1B_S1B_jjS1D_bEUljE0_EEESW_SX_SY_S15_S19_S1B_T6_T7_T9_mT8_S1D_bDpT10_ENKUlT_T0_E_clISt17integral_constantIbLb0EES1Q_IbLb1EEEEDaS1M_S1N_EUlS1M_E_NS1_11comp_targetILNS1_3genE0ELNS1_11target_archE4294967295ELNS1_3gpuE0ELNS1_3repE0EEENS1_30default_config_static_selectorELNS0_4arch9wavefront6targetE1EEEvSZ_, .Lfunc_end767-_ZN7rocprim17ROCPRIM_400000_NS6detail17trampoline_kernelINS0_13select_configILj256ELj13ELNS0_17block_load_methodE3ELS4_3ELS4_3ELNS0_20block_scan_algorithmE0ELj4294967295EEENS1_25partition_config_selectorILNS1_17partition_subalgoE4EjNS0_10empty_typeEbEEZZNS1_14partition_implILS8_4ELb0ES6_15HIP_vector_typeIjLj2EENS0_17counting_iteratorIjlEEPS9_SG_NS0_5tupleIJPjSI_NS0_16reverse_iteratorISI_EEEEENSH_IJSG_SG_SG_EEES9_SI_JZNS1_25segmented_radix_sort_implINS0_14default_configELb0EPKlPlSQ_SR_N2at6native12_GLOBAL__N_18offset_tEEE10hipError_tPvRmT1_PNSt15iterator_traitsISZ_E10value_typeET2_T3_PNS10_IS15_E10value_typeET4_jRbjT5_S1B_jjP12ihipStream_tbEUljE_ZNSN_ISO_Lb0ESQ_SR_SQ_SR_SV_EESW_SX_SY_SZ_S13_S14_S15_S18_S19_jS1A_jS1B_S1B_jjS1D_bEUljE0_EEESW_SX_SY_S15_S19_S1B_T6_T7_T9_mT8_S1D_bDpT10_ENKUlT_T0_E_clISt17integral_constantIbLb0EES1Q_IbLb1EEEEDaS1M_S1N_EUlS1M_E_NS1_11comp_targetILNS1_3genE0ELNS1_11target_archE4294967295ELNS1_3gpuE0ELNS1_3repE0EEENS1_30default_config_static_selectorELNS0_4arch9wavefront6targetE1EEEvSZ_
                                        ; -- End function
	.section	.AMDGPU.csdata,"",@progbits
; Kernel info:
; codeLenInByte = 0
; NumSgprs: 4
; NumVgprs: 0
; NumAgprs: 0
; TotalNumVgprs: 0
; ScratchSize: 0
; MemoryBound: 0
; FloatMode: 240
; IeeeMode: 1
; LDSByteSize: 0 bytes/workgroup (compile time only)
; SGPRBlocks: 0
; VGPRBlocks: 0
; NumSGPRsForWavesPerEU: 4
; NumVGPRsForWavesPerEU: 1
; AccumOffset: 4
; Occupancy: 8
; WaveLimiterHint : 0
; COMPUTE_PGM_RSRC2:SCRATCH_EN: 0
; COMPUTE_PGM_RSRC2:USER_SGPR: 6
; COMPUTE_PGM_RSRC2:TRAP_HANDLER: 0
; COMPUTE_PGM_RSRC2:TGID_X_EN: 1
; COMPUTE_PGM_RSRC2:TGID_Y_EN: 0
; COMPUTE_PGM_RSRC2:TGID_Z_EN: 0
; COMPUTE_PGM_RSRC2:TIDIG_COMP_CNT: 0
; COMPUTE_PGM_RSRC3_GFX90A:ACCUM_OFFSET: 0
; COMPUTE_PGM_RSRC3_GFX90A:TG_SPLIT: 0
	.section	.text._ZN7rocprim17ROCPRIM_400000_NS6detail17trampoline_kernelINS0_13select_configILj256ELj13ELNS0_17block_load_methodE3ELS4_3ELS4_3ELNS0_20block_scan_algorithmE0ELj4294967295EEENS1_25partition_config_selectorILNS1_17partition_subalgoE4EjNS0_10empty_typeEbEEZZNS1_14partition_implILS8_4ELb0ES6_15HIP_vector_typeIjLj2EENS0_17counting_iteratorIjlEEPS9_SG_NS0_5tupleIJPjSI_NS0_16reverse_iteratorISI_EEEEENSH_IJSG_SG_SG_EEES9_SI_JZNS1_25segmented_radix_sort_implINS0_14default_configELb0EPKlPlSQ_SR_N2at6native12_GLOBAL__N_18offset_tEEE10hipError_tPvRmT1_PNSt15iterator_traitsISZ_E10value_typeET2_T3_PNS10_IS15_E10value_typeET4_jRbjT5_S1B_jjP12ihipStream_tbEUljE_ZNSN_ISO_Lb0ESQ_SR_SQ_SR_SV_EESW_SX_SY_SZ_S13_S14_S15_S18_S19_jS1A_jS1B_S1B_jjS1D_bEUljE0_EEESW_SX_SY_S15_S19_S1B_T6_T7_T9_mT8_S1D_bDpT10_ENKUlT_T0_E_clISt17integral_constantIbLb0EES1Q_IbLb1EEEEDaS1M_S1N_EUlS1M_E_NS1_11comp_targetILNS1_3genE5ELNS1_11target_archE942ELNS1_3gpuE9ELNS1_3repE0EEENS1_30default_config_static_selectorELNS0_4arch9wavefront6targetE1EEEvSZ_,"axG",@progbits,_ZN7rocprim17ROCPRIM_400000_NS6detail17trampoline_kernelINS0_13select_configILj256ELj13ELNS0_17block_load_methodE3ELS4_3ELS4_3ELNS0_20block_scan_algorithmE0ELj4294967295EEENS1_25partition_config_selectorILNS1_17partition_subalgoE4EjNS0_10empty_typeEbEEZZNS1_14partition_implILS8_4ELb0ES6_15HIP_vector_typeIjLj2EENS0_17counting_iteratorIjlEEPS9_SG_NS0_5tupleIJPjSI_NS0_16reverse_iteratorISI_EEEEENSH_IJSG_SG_SG_EEES9_SI_JZNS1_25segmented_radix_sort_implINS0_14default_configELb0EPKlPlSQ_SR_N2at6native12_GLOBAL__N_18offset_tEEE10hipError_tPvRmT1_PNSt15iterator_traitsISZ_E10value_typeET2_T3_PNS10_IS15_E10value_typeET4_jRbjT5_S1B_jjP12ihipStream_tbEUljE_ZNSN_ISO_Lb0ESQ_SR_SQ_SR_SV_EESW_SX_SY_SZ_S13_S14_S15_S18_S19_jS1A_jS1B_S1B_jjS1D_bEUljE0_EEESW_SX_SY_S15_S19_S1B_T6_T7_T9_mT8_S1D_bDpT10_ENKUlT_T0_E_clISt17integral_constantIbLb0EES1Q_IbLb1EEEEDaS1M_S1N_EUlS1M_E_NS1_11comp_targetILNS1_3genE5ELNS1_11target_archE942ELNS1_3gpuE9ELNS1_3repE0EEENS1_30default_config_static_selectorELNS0_4arch9wavefront6targetE1EEEvSZ_,comdat
	.globl	_ZN7rocprim17ROCPRIM_400000_NS6detail17trampoline_kernelINS0_13select_configILj256ELj13ELNS0_17block_load_methodE3ELS4_3ELS4_3ELNS0_20block_scan_algorithmE0ELj4294967295EEENS1_25partition_config_selectorILNS1_17partition_subalgoE4EjNS0_10empty_typeEbEEZZNS1_14partition_implILS8_4ELb0ES6_15HIP_vector_typeIjLj2EENS0_17counting_iteratorIjlEEPS9_SG_NS0_5tupleIJPjSI_NS0_16reverse_iteratorISI_EEEEENSH_IJSG_SG_SG_EEES9_SI_JZNS1_25segmented_radix_sort_implINS0_14default_configELb0EPKlPlSQ_SR_N2at6native12_GLOBAL__N_18offset_tEEE10hipError_tPvRmT1_PNSt15iterator_traitsISZ_E10value_typeET2_T3_PNS10_IS15_E10value_typeET4_jRbjT5_S1B_jjP12ihipStream_tbEUljE_ZNSN_ISO_Lb0ESQ_SR_SQ_SR_SV_EESW_SX_SY_SZ_S13_S14_S15_S18_S19_jS1A_jS1B_S1B_jjS1D_bEUljE0_EEESW_SX_SY_S15_S19_S1B_T6_T7_T9_mT8_S1D_bDpT10_ENKUlT_T0_E_clISt17integral_constantIbLb0EES1Q_IbLb1EEEEDaS1M_S1N_EUlS1M_E_NS1_11comp_targetILNS1_3genE5ELNS1_11target_archE942ELNS1_3gpuE9ELNS1_3repE0EEENS1_30default_config_static_selectorELNS0_4arch9wavefront6targetE1EEEvSZ_ ; -- Begin function _ZN7rocprim17ROCPRIM_400000_NS6detail17trampoline_kernelINS0_13select_configILj256ELj13ELNS0_17block_load_methodE3ELS4_3ELS4_3ELNS0_20block_scan_algorithmE0ELj4294967295EEENS1_25partition_config_selectorILNS1_17partition_subalgoE4EjNS0_10empty_typeEbEEZZNS1_14partition_implILS8_4ELb0ES6_15HIP_vector_typeIjLj2EENS0_17counting_iteratorIjlEEPS9_SG_NS0_5tupleIJPjSI_NS0_16reverse_iteratorISI_EEEEENSH_IJSG_SG_SG_EEES9_SI_JZNS1_25segmented_radix_sort_implINS0_14default_configELb0EPKlPlSQ_SR_N2at6native12_GLOBAL__N_18offset_tEEE10hipError_tPvRmT1_PNSt15iterator_traitsISZ_E10value_typeET2_T3_PNS10_IS15_E10value_typeET4_jRbjT5_S1B_jjP12ihipStream_tbEUljE_ZNSN_ISO_Lb0ESQ_SR_SQ_SR_SV_EESW_SX_SY_SZ_S13_S14_S15_S18_S19_jS1A_jS1B_S1B_jjS1D_bEUljE0_EEESW_SX_SY_S15_S19_S1B_T6_T7_T9_mT8_S1D_bDpT10_ENKUlT_T0_E_clISt17integral_constantIbLb0EES1Q_IbLb1EEEEDaS1M_S1N_EUlS1M_E_NS1_11comp_targetILNS1_3genE5ELNS1_11target_archE942ELNS1_3gpuE9ELNS1_3repE0EEENS1_30default_config_static_selectorELNS0_4arch9wavefront6targetE1EEEvSZ_
	.p2align	8
	.type	_ZN7rocprim17ROCPRIM_400000_NS6detail17trampoline_kernelINS0_13select_configILj256ELj13ELNS0_17block_load_methodE3ELS4_3ELS4_3ELNS0_20block_scan_algorithmE0ELj4294967295EEENS1_25partition_config_selectorILNS1_17partition_subalgoE4EjNS0_10empty_typeEbEEZZNS1_14partition_implILS8_4ELb0ES6_15HIP_vector_typeIjLj2EENS0_17counting_iteratorIjlEEPS9_SG_NS0_5tupleIJPjSI_NS0_16reverse_iteratorISI_EEEEENSH_IJSG_SG_SG_EEES9_SI_JZNS1_25segmented_radix_sort_implINS0_14default_configELb0EPKlPlSQ_SR_N2at6native12_GLOBAL__N_18offset_tEEE10hipError_tPvRmT1_PNSt15iterator_traitsISZ_E10value_typeET2_T3_PNS10_IS15_E10value_typeET4_jRbjT5_S1B_jjP12ihipStream_tbEUljE_ZNSN_ISO_Lb0ESQ_SR_SQ_SR_SV_EESW_SX_SY_SZ_S13_S14_S15_S18_S19_jS1A_jS1B_S1B_jjS1D_bEUljE0_EEESW_SX_SY_S15_S19_S1B_T6_T7_T9_mT8_S1D_bDpT10_ENKUlT_T0_E_clISt17integral_constantIbLb0EES1Q_IbLb1EEEEDaS1M_S1N_EUlS1M_E_NS1_11comp_targetILNS1_3genE5ELNS1_11target_archE942ELNS1_3gpuE9ELNS1_3repE0EEENS1_30default_config_static_selectorELNS0_4arch9wavefront6targetE1EEEvSZ_,@function
_ZN7rocprim17ROCPRIM_400000_NS6detail17trampoline_kernelINS0_13select_configILj256ELj13ELNS0_17block_load_methodE3ELS4_3ELS4_3ELNS0_20block_scan_algorithmE0ELj4294967295EEENS1_25partition_config_selectorILNS1_17partition_subalgoE4EjNS0_10empty_typeEbEEZZNS1_14partition_implILS8_4ELb0ES6_15HIP_vector_typeIjLj2EENS0_17counting_iteratorIjlEEPS9_SG_NS0_5tupleIJPjSI_NS0_16reverse_iteratorISI_EEEEENSH_IJSG_SG_SG_EEES9_SI_JZNS1_25segmented_radix_sort_implINS0_14default_configELb0EPKlPlSQ_SR_N2at6native12_GLOBAL__N_18offset_tEEE10hipError_tPvRmT1_PNSt15iterator_traitsISZ_E10value_typeET2_T3_PNS10_IS15_E10value_typeET4_jRbjT5_S1B_jjP12ihipStream_tbEUljE_ZNSN_ISO_Lb0ESQ_SR_SQ_SR_SV_EESW_SX_SY_SZ_S13_S14_S15_S18_S19_jS1A_jS1B_S1B_jjS1D_bEUljE0_EEESW_SX_SY_S15_S19_S1B_T6_T7_T9_mT8_S1D_bDpT10_ENKUlT_T0_E_clISt17integral_constantIbLb0EES1Q_IbLb1EEEEDaS1M_S1N_EUlS1M_E_NS1_11comp_targetILNS1_3genE5ELNS1_11target_archE942ELNS1_3gpuE9ELNS1_3repE0EEENS1_30default_config_static_selectorELNS0_4arch9wavefront6targetE1EEEvSZ_: ; @_ZN7rocprim17ROCPRIM_400000_NS6detail17trampoline_kernelINS0_13select_configILj256ELj13ELNS0_17block_load_methodE3ELS4_3ELS4_3ELNS0_20block_scan_algorithmE0ELj4294967295EEENS1_25partition_config_selectorILNS1_17partition_subalgoE4EjNS0_10empty_typeEbEEZZNS1_14partition_implILS8_4ELb0ES6_15HIP_vector_typeIjLj2EENS0_17counting_iteratorIjlEEPS9_SG_NS0_5tupleIJPjSI_NS0_16reverse_iteratorISI_EEEEENSH_IJSG_SG_SG_EEES9_SI_JZNS1_25segmented_radix_sort_implINS0_14default_configELb0EPKlPlSQ_SR_N2at6native12_GLOBAL__N_18offset_tEEE10hipError_tPvRmT1_PNSt15iterator_traitsISZ_E10value_typeET2_T3_PNS10_IS15_E10value_typeET4_jRbjT5_S1B_jjP12ihipStream_tbEUljE_ZNSN_ISO_Lb0ESQ_SR_SQ_SR_SV_EESW_SX_SY_SZ_S13_S14_S15_S18_S19_jS1A_jS1B_S1B_jjS1D_bEUljE0_EEESW_SX_SY_S15_S19_S1B_T6_T7_T9_mT8_S1D_bDpT10_ENKUlT_T0_E_clISt17integral_constantIbLb0EES1Q_IbLb1EEEEDaS1M_S1N_EUlS1M_E_NS1_11comp_targetILNS1_3genE5ELNS1_11target_archE942ELNS1_3gpuE9ELNS1_3repE0EEENS1_30default_config_static_selectorELNS0_4arch9wavefront6targetE1EEEvSZ_
; %bb.0:
	.section	.rodata,"a",@progbits
	.p2align	6, 0x0
	.amdhsa_kernel _ZN7rocprim17ROCPRIM_400000_NS6detail17trampoline_kernelINS0_13select_configILj256ELj13ELNS0_17block_load_methodE3ELS4_3ELS4_3ELNS0_20block_scan_algorithmE0ELj4294967295EEENS1_25partition_config_selectorILNS1_17partition_subalgoE4EjNS0_10empty_typeEbEEZZNS1_14partition_implILS8_4ELb0ES6_15HIP_vector_typeIjLj2EENS0_17counting_iteratorIjlEEPS9_SG_NS0_5tupleIJPjSI_NS0_16reverse_iteratorISI_EEEEENSH_IJSG_SG_SG_EEES9_SI_JZNS1_25segmented_radix_sort_implINS0_14default_configELb0EPKlPlSQ_SR_N2at6native12_GLOBAL__N_18offset_tEEE10hipError_tPvRmT1_PNSt15iterator_traitsISZ_E10value_typeET2_T3_PNS10_IS15_E10value_typeET4_jRbjT5_S1B_jjP12ihipStream_tbEUljE_ZNSN_ISO_Lb0ESQ_SR_SQ_SR_SV_EESW_SX_SY_SZ_S13_S14_S15_S18_S19_jS1A_jS1B_S1B_jjS1D_bEUljE0_EEESW_SX_SY_S15_S19_S1B_T6_T7_T9_mT8_S1D_bDpT10_ENKUlT_T0_E_clISt17integral_constantIbLb0EES1Q_IbLb1EEEEDaS1M_S1N_EUlS1M_E_NS1_11comp_targetILNS1_3genE5ELNS1_11target_archE942ELNS1_3gpuE9ELNS1_3repE0EEENS1_30default_config_static_selectorELNS0_4arch9wavefront6targetE1EEEvSZ_
		.amdhsa_group_segment_fixed_size 0
		.amdhsa_private_segment_fixed_size 0
		.amdhsa_kernarg_size 184
		.amdhsa_user_sgpr_count 6
		.amdhsa_user_sgpr_private_segment_buffer 1
		.amdhsa_user_sgpr_dispatch_ptr 0
		.amdhsa_user_sgpr_queue_ptr 0
		.amdhsa_user_sgpr_kernarg_segment_ptr 1
		.amdhsa_user_sgpr_dispatch_id 0
		.amdhsa_user_sgpr_flat_scratch_init 0
		.amdhsa_user_sgpr_kernarg_preload_length 0
		.amdhsa_user_sgpr_kernarg_preload_offset 0
		.amdhsa_user_sgpr_private_segment_size 0
		.amdhsa_uses_dynamic_stack 0
		.amdhsa_system_sgpr_private_segment_wavefront_offset 0
		.amdhsa_system_sgpr_workgroup_id_x 1
		.amdhsa_system_sgpr_workgroup_id_y 0
		.amdhsa_system_sgpr_workgroup_id_z 0
		.amdhsa_system_sgpr_workgroup_info 0
		.amdhsa_system_vgpr_workitem_id 0
		.amdhsa_next_free_vgpr 1
		.amdhsa_next_free_sgpr 0
		.amdhsa_accum_offset 4
		.amdhsa_reserve_vcc 0
		.amdhsa_reserve_flat_scratch 0
		.amdhsa_float_round_mode_32 0
		.amdhsa_float_round_mode_16_64 0
		.amdhsa_float_denorm_mode_32 3
		.amdhsa_float_denorm_mode_16_64 3
		.amdhsa_dx10_clamp 1
		.amdhsa_ieee_mode 1
		.amdhsa_fp16_overflow 0
		.amdhsa_tg_split 0
		.amdhsa_exception_fp_ieee_invalid_op 0
		.amdhsa_exception_fp_denorm_src 0
		.amdhsa_exception_fp_ieee_div_zero 0
		.amdhsa_exception_fp_ieee_overflow 0
		.amdhsa_exception_fp_ieee_underflow 0
		.amdhsa_exception_fp_ieee_inexact 0
		.amdhsa_exception_int_div_zero 0
	.end_amdhsa_kernel
	.section	.text._ZN7rocprim17ROCPRIM_400000_NS6detail17trampoline_kernelINS0_13select_configILj256ELj13ELNS0_17block_load_methodE3ELS4_3ELS4_3ELNS0_20block_scan_algorithmE0ELj4294967295EEENS1_25partition_config_selectorILNS1_17partition_subalgoE4EjNS0_10empty_typeEbEEZZNS1_14partition_implILS8_4ELb0ES6_15HIP_vector_typeIjLj2EENS0_17counting_iteratorIjlEEPS9_SG_NS0_5tupleIJPjSI_NS0_16reverse_iteratorISI_EEEEENSH_IJSG_SG_SG_EEES9_SI_JZNS1_25segmented_radix_sort_implINS0_14default_configELb0EPKlPlSQ_SR_N2at6native12_GLOBAL__N_18offset_tEEE10hipError_tPvRmT1_PNSt15iterator_traitsISZ_E10value_typeET2_T3_PNS10_IS15_E10value_typeET4_jRbjT5_S1B_jjP12ihipStream_tbEUljE_ZNSN_ISO_Lb0ESQ_SR_SQ_SR_SV_EESW_SX_SY_SZ_S13_S14_S15_S18_S19_jS1A_jS1B_S1B_jjS1D_bEUljE0_EEESW_SX_SY_S15_S19_S1B_T6_T7_T9_mT8_S1D_bDpT10_ENKUlT_T0_E_clISt17integral_constantIbLb0EES1Q_IbLb1EEEEDaS1M_S1N_EUlS1M_E_NS1_11comp_targetILNS1_3genE5ELNS1_11target_archE942ELNS1_3gpuE9ELNS1_3repE0EEENS1_30default_config_static_selectorELNS0_4arch9wavefront6targetE1EEEvSZ_,"axG",@progbits,_ZN7rocprim17ROCPRIM_400000_NS6detail17trampoline_kernelINS0_13select_configILj256ELj13ELNS0_17block_load_methodE3ELS4_3ELS4_3ELNS0_20block_scan_algorithmE0ELj4294967295EEENS1_25partition_config_selectorILNS1_17partition_subalgoE4EjNS0_10empty_typeEbEEZZNS1_14partition_implILS8_4ELb0ES6_15HIP_vector_typeIjLj2EENS0_17counting_iteratorIjlEEPS9_SG_NS0_5tupleIJPjSI_NS0_16reverse_iteratorISI_EEEEENSH_IJSG_SG_SG_EEES9_SI_JZNS1_25segmented_radix_sort_implINS0_14default_configELb0EPKlPlSQ_SR_N2at6native12_GLOBAL__N_18offset_tEEE10hipError_tPvRmT1_PNSt15iterator_traitsISZ_E10value_typeET2_T3_PNS10_IS15_E10value_typeET4_jRbjT5_S1B_jjP12ihipStream_tbEUljE_ZNSN_ISO_Lb0ESQ_SR_SQ_SR_SV_EESW_SX_SY_SZ_S13_S14_S15_S18_S19_jS1A_jS1B_S1B_jjS1D_bEUljE0_EEESW_SX_SY_S15_S19_S1B_T6_T7_T9_mT8_S1D_bDpT10_ENKUlT_T0_E_clISt17integral_constantIbLb0EES1Q_IbLb1EEEEDaS1M_S1N_EUlS1M_E_NS1_11comp_targetILNS1_3genE5ELNS1_11target_archE942ELNS1_3gpuE9ELNS1_3repE0EEENS1_30default_config_static_selectorELNS0_4arch9wavefront6targetE1EEEvSZ_,comdat
.Lfunc_end768:
	.size	_ZN7rocprim17ROCPRIM_400000_NS6detail17trampoline_kernelINS0_13select_configILj256ELj13ELNS0_17block_load_methodE3ELS4_3ELS4_3ELNS0_20block_scan_algorithmE0ELj4294967295EEENS1_25partition_config_selectorILNS1_17partition_subalgoE4EjNS0_10empty_typeEbEEZZNS1_14partition_implILS8_4ELb0ES6_15HIP_vector_typeIjLj2EENS0_17counting_iteratorIjlEEPS9_SG_NS0_5tupleIJPjSI_NS0_16reverse_iteratorISI_EEEEENSH_IJSG_SG_SG_EEES9_SI_JZNS1_25segmented_radix_sort_implINS0_14default_configELb0EPKlPlSQ_SR_N2at6native12_GLOBAL__N_18offset_tEEE10hipError_tPvRmT1_PNSt15iterator_traitsISZ_E10value_typeET2_T3_PNS10_IS15_E10value_typeET4_jRbjT5_S1B_jjP12ihipStream_tbEUljE_ZNSN_ISO_Lb0ESQ_SR_SQ_SR_SV_EESW_SX_SY_SZ_S13_S14_S15_S18_S19_jS1A_jS1B_S1B_jjS1D_bEUljE0_EEESW_SX_SY_S15_S19_S1B_T6_T7_T9_mT8_S1D_bDpT10_ENKUlT_T0_E_clISt17integral_constantIbLb0EES1Q_IbLb1EEEEDaS1M_S1N_EUlS1M_E_NS1_11comp_targetILNS1_3genE5ELNS1_11target_archE942ELNS1_3gpuE9ELNS1_3repE0EEENS1_30default_config_static_selectorELNS0_4arch9wavefront6targetE1EEEvSZ_, .Lfunc_end768-_ZN7rocprim17ROCPRIM_400000_NS6detail17trampoline_kernelINS0_13select_configILj256ELj13ELNS0_17block_load_methodE3ELS4_3ELS4_3ELNS0_20block_scan_algorithmE0ELj4294967295EEENS1_25partition_config_selectorILNS1_17partition_subalgoE4EjNS0_10empty_typeEbEEZZNS1_14partition_implILS8_4ELb0ES6_15HIP_vector_typeIjLj2EENS0_17counting_iteratorIjlEEPS9_SG_NS0_5tupleIJPjSI_NS0_16reverse_iteratorISI_EEEEENSH_IJSG_SG_SG_EEES9_SI_JZNS1_25segmented_radix_sort_implINS0_14default_configELb0EPKlPlSQ_SR_N2at6native12_GLOBAL__N_18offset_tEEE10hipError_tPvRmT1_PNSt15iterator_traitsISZ_E10value_typeET2_T3_PNS10_IS15_E10value_typeET4_jRbjT5_S1B_jjP12ihipStream_tbEUljE_ZNSN_ISO_Lb0ESQ_SR_SQ_SR_SV_EESW_SX_SY_SZ_S13_S14_S15_S18_S19_jS1A_jS1B_S1B_jjS1D_bEUljE0_EEESW_SX_SY_S15_S19_S1B_T6_T7_T9_mT8_S1D_bDpT10_ENKUlT_T0_E_clISt17integral_constantIbLb0EES1Q_IbLb1EEEEDaS1M_S1N_EUlS1M_E_NS1_11comp_targetILNS1_3genE5ELNS1_11target_archE942ELNS1_3gpuE9ELNS1_3repE0EEENS1_30default_config_static_selectorELNS0_4arch9wavefront6targetE1EEEvSZ_
                                        ; -- End function
	.section	.AMDGPU.csdata,"",@progbits
; Kernel info:
; codeLenInByte = 0
; NumSgprs: 4
; NumVgprs: 0
; NumAgprs: 0
; TotalNumVgprs: 0
; ScratchSize: 0
; MemoryBound: 0
; FloatMode: 240
; IeeeMode: 1
; LDSByteSize: 0 bytes/workgroup (compile time only)
; SGPRBlocks: 0
; VGPRBlocks: 0
; NumSGPRsForWavesPerEU: 4
; NumVGPRsForWavesPerEU: 1
; AccumOffset: 4
; Occupancy: 8
; WaveLimiterHint : 0
; COMPUTE_PGM_RSRC2:SCRATCH_EN: 0
; COMPUTE_PGM_RSRC2:USER_SGPR: 6
; COMPUTE_PGM_RSRC2:TRAP_HANDLER: 0
; COMPUTE_PGM_RSRC2:TGID_X_EN: 1
; COMPUTE_PGM_RSRC2:TGID_Y_EN: 0
; COMPUTE_PGM_RSRC2:TGID_Z_EN: 0
; COMPUTE_PGM_RSRC2:TIDIG_COMP_CNT: 0
; COMPUTE_PGM_RSRC3_GFX90A:ACCUM_OFFSET: 0
; COMPUTE_PGM_RSRC3_GFX90A:TG_SPLIT: 0
	.section	.text._ZN7rocprim17ROCPRIM_400000_NS6detail17trampoline_kernelINS0_13select_configILj256ELj13ELNS0_17block_load_methodE3ELS4_3ELS4_3ELNS0_20block_scan_algorithmE0ELj4294967295EEENS1_25partition_config_selectorILNS1_17partition_subalgoE4EjNS0_10empty_typeEbEEZZNS1_14partition_implILS8_4ELb0ES6_15HIP_vector_typeIjLj2EENS0_17counting_iteratorIjlEEPS9_SG_NS0_5tupleIJPjSI_NS0_16reverse_iteratorISI_EEEEENSH_IJSG_SG_SG_EEES9_SI_JZNS1_25segmented_radix_sort_implINS0_14default_configELb0EPKlPlSQ_SR_N2at6native12_GLOBAL__N_18offset_tEEE10hipError_tPvRmT1_PNSt15iterator_traitsISZ_E10value_typeET2_T3_PNS10_IS15_E10value_typeET4_jRbjT5_S1B_jjP12ihipStream_tbEUljE_ZNSN_ISO_Lb0ESQ_SR_SQ_SR_SV_EESW_SX_SY_SZ_S13_S14_S15_S18_S19_jS1A_jS1B_S1B_jjS1D_bEUljE0_EEESW_SX_SY_S15_S19_S1B_T6_T7_T9_mT8_S1D_bDpT10_ENKUlT_T0_E_clISt17integral_constantIbLb0EES1Q_IbLb1EEEEDaS1M_S1N_EUlS1M_E_NS1_11comp_targetILNS1_3genE4ELNS1_11target_archE910ELNS1_3gpuE8ELNS1_3repE0EEENS1_30default_config_static_selectorELNS0_4arch9wavefront6targetE1EEEvSZ_,"axG",@progbits,_ZN7rocprim17ROCPRIM_400000_NS6detail17trampoline_kernelINS0_13select_configILj256ELj13ELNS0_17block_load_methodE3ELS4_3ELS4_3ELNS0_20block_scan_algorithmE0ELj4294967295EEENS1_25partition_config_selectorILNS1_17partition_subalgoE4EjNS0_10empty_typeEbEEZZNS1_14partition_implILS8_4ELb0ES6_15HIP_vector_typeIjLj2EENS0_17counting_iteratorIjlEEPS9_SG_NS0_5tupleIJPjSI_NS0_16reverse_iteratorISI_EEEEENSH_IJSG_SG_SG_EEES9_SI_JZNS1_25segmented_radix_sort_implINS0_14default_configELb0EPKlPlSQ_SR_N2at6native12_GLOBAL__N_18offset_tEEE10hipError_tPvRmT1_PNSt15iterator_traitsISZ_E10value_typeET2_T3_PNS10_IS15_E10value_typeET4_jRbjT5_S1B_jjP12ihipStream_tbEUljE_ZNSN_ISO_Lb0ESQ_SR_SQ_SR_SV_EESW_SX_SY_SZ_S13_S14_S15_S18_S19_jS1A_jS1B_S1B_jjS1D_bEUljE0_EEESW_SX_SY_S15_S19_S1B_T6_T7_T9_mT8_S1D_bDpT10_ENKUlT_T0_E_clISt17integral_constantIbLb0EES1Q_IbLb1EEEEDaS1M_S1N_EUlS1M_E_NS1_11comp_targetILNS1_3genE4ELNS1_11target_archE910ELNS1_3gpuE8ELNS1_3repE0EEENS1_30default_config_static_selectorELNS0_4arch9wavefront6targetE1EEEvSZ_,comdat
	.globl	_ZN7rocprim17ROCPRIM_400000_NS6detail17trampoline_kernelINS0_13select_configILj256ELj13ELNS0_17block_load_methodE3ELS4_3ELS4_3ELNS0_20block_scan_algorithmE0ELj4294967295EEENS1_25partition_config_selectorILNS1_17partition_subalgoE4EjNS0_10empty_typeEbEEZZNS1_14partition_implILS8_4ELb0ES6_15HIP_vector_typeIjLj2EENS0_17counting_iteratorIjlEEPS9_SG_NS0_5tupleIJPjSI_NS0_16reverse_iteratorISI_EEEEENSH_IJSG_SG_SG_EEES9_SI_JZNS1_25segmented_radix_sort_implINS0_14default_configELb0EPKlPlSQ_SR_N2at6native12_GLOBAL__N_18offset_tEEE10hipError_tPvRmT1_PNSt15iterator_traitsISZ_E10value_typeET2_T3_PNS10_IS15_E10value_typeET4_jRbjT5_S1B_jjP12ihipStream_tbEUljE_ZNSN_ISO_Lb0ESQ_SR_SQ_SR_SV_EESW_SX_SY_SZ_S13_S14_S15_S18_S19_jS1A_jS1B_S1B_jjS1D_bEUljE0_EEESW_SX_SY_S15_S19_S1B_T6_T7_T9_mT8_S1D_bDpT10_ENKUlT_T0_E_clISt17integral_constantIbLb0EES1Q_IbLb1EEEEDaS1M_S1N_EUlS1M_E_NS1_11comp_targetILNS1_3genE4ELNS1_11target_archE910ELNS1_3gpuE8ELNS1_3repE0EEENS1_30default_config_static_selectorELNS0_4arch9wavefront6targetE1EEEvSZ_ ; -- Begin function _ZN7rocprim17ROCPRIM_400000_NS6detail17trampoline_kernelINS0_13select_configILj256ELj13ELNS0_17block_load_methodE3ELS4_3ELS4_3ELNS0_20block_scan_algorithmE0ELj4294967295EEENS1_25partition_config_selectorILNS1_17partition_subalgoE4EjNS0_10empty_typeEbEEZZNS1_14partition_implILS8_4ELb0ES6_15HIP_vector_typeIjLj2EENS0_17counting_iteratorIjlEEPS9_SG_NS0_5tupleIJPjSI_NS0_16reverse_iteratorISI_EEEEENSH_IJSG_SG_SG_EEES9_SI_JZNS1_25segmented_radix_sort_implINS0_14default_configELb0EPKlPlSQ_SR_N2at6native12_GLOBAL__N_18offset_tEEE10hipError_tPvRmT1_PNSt15iterator_traitsISZ_E10value_typeET2_T3_PNS10_IS15_E10value_typeET4_jRbjT5_S1B_jjP12ihipStream_tbEUljE_ZNSN_ISO_Lb0ESQ_SR_SQ_SR_SV_EESW_SX_SY_SZ_S13_S14_S15_S18_S19_jS1A_jS1B_S1B_jjS1D_bEUljE0_EEESW_SX_SY_S15_S19_S1B_T6_T7_T9_mT8_S1D_bDpT10_ENKUlT_T0_E_clISt17integral_constantIbLb0EES1Q_IbLb1EEEEDaS1M_S1N_EUlS1M_E_NS1_11comp_targetILNS1_3genE4ELNS1_11target_archE910ELNS1_3gpuE8ELNS1_3repE0EEENS1_30default_config_static_selectorELNS0_4arch9wavefront6targetE1EEEvSZ_
	.p2align	8
	.type	_ZN7rocprim17ROCPRIM_400000_NS6detail17trampoline_kernelINS0_13select_configILj256ELj13ELNS0_17block_load_methodE3ELS4_3ELS4_3ELNS0_20block_scan_algorithmE0ELj4294967295EEENS1_25partition_config_selectorILNS1_17partition_subalgoE4EjNS0_10empty_typeEbEEZZNS1_14partition_implILS8_4ELb0ES6_15HIP_vector_typeIjLj2EENS0_17counting_iteratorIjlEEPS9_SG_NS0_5tupleIJPjSI_NS0_16reverse_iteratorISI_EEEEENSH_IJSG_SG_SG_EEES9_SI_JZNS1_25segmented_radix_sort_implINS0_14default_configELb0EPKlPlSQ_SR_N2at6native12_GLOBAL__N_18offset_tEEE10hipError_tPvRmT1_PNSt15iterator_traitsISZ_E10value_typeET2_T3_PNS10_IS15_E10value_typeET4_jRbjT5_S1B_jjP12ihipStream_tbEUljE_ZNSN_ISO_Lb0ESQ_SR_SQ_SR_SV_EESW_SX_SY_SZ_S13_S14_S15_S18_S19_jS1A_jS1B_S1B_jjS1D_bEUljE0_EEESW_SX_SY_S15_S19_S1B_T6_T7_T9_mT8_S1D_bDpT10_ENKUlT_T0_E_clISt17integral_constantIbLb0EES1Q_IbLb1EEEEDaS1M_S1N_EUlS1M_E_NS1_11comp_targetILNS1_3genE4ELNS1_11target_archE910ELNS1_3gpuE8ELNS1_3repE0EEENS1_30default_config_static_selectorELNS0_4arch9wavefront6targetE1EEEvSZ_,@function
_ZN7rocprim17ROCPRIM_400000_NS6detail17trampoline_kernelINS0_13select_configILj256ELj13ELNS0_17block_load_methodE3ELS4_3ELS4_3ELNS0_20block_scan_algorithmE0ELj4294967295EEENS1_25partition_config_selectorILNS1_17partition_subalgoE4EjNS0_10empty_typeEbEEZZNS1_14partition_implILS8_4ELb0ES6_15HIP_vector_typeIjLj2EENS0_17counting_iteratorIjlEEPS9_SG_NS0_5tupleIJPjSI_NS0_16reverse_iteratorISI_EEEEENSH_IJSG_SG_SG_EEES9_SI_JZNS1_25segmented_radix_sort_implINS0_14default_configELb0EPKlPlSQ_SR_N2at6native12_GLOBAL__N_18offset_tEEE10hipError_tPvRmT1_PNSt15iterator_traitsISZ_E10value_typeET2_T3_PNS10_IS15_E10value_typeET4_jRbjT5_S1B_jjP12ihipStream_tbEUljE_ZNSN_ISO_Lb0ESQ_SR_SQ_SR_SV_EESW_SX_SY_SZ_S13_S14_S15_S18_S19_jS1A_jS1B_S1B_jjS1D_bEUljE0_EEESW_SX_SY_S15_S19_S1B_T6_T7_T9_mT8_S1D_bDpT10_ENKUlT_T0_E_clISt17integral_constantIbLb0EES1Q_IbLb1EEEEDaS1M_S1N_EUlS1M_E_NS1_11comp_targetILNS1_3genE4ELNS1_11target_archE910ELNS1_3gpuE8ELNS1_3repE0EEENS1_30default_config_static_selectorELNS0_4arch9wavefront6targetE1EEEvSZ_: ; @_ZN7rocprim17ROCPRIM_400000_NS6detail17trampoline_kernelINS0_13select_configILj256ELj13ELNS0_17block_load_methodE3ELS4_3ELS4_3ELNS0_20block_scan_algorithmE0ELj4294967295EEENS1_25partition_config_selectorILNS1_17partition_subalgoE4EjNS0_10empty_typeEbEEZZNS1_14partition_implILS8_4ELb0ES6_15HIP_vector_typeIjLj2EENS0_17counting_iteratorIjlEEPS9_SG_NS0_5tupleIJPjSI_NS0_16reverse_iteratorISI_EEEEENSH_IJSG_SG_SG_EEES9_SI_JZNS1_25segmented_radix_sort_implINS0_14default_configELb0EPKlPlSQ_SR_N2at6native12_GLOBAL__N_18offset_tEEE10hipError_tPvRmT1_PNSt15iterator_traitsISZ_E10value_typeET2_T3_PNS10_IS15_E10value_typeET4_jRbjT5_S1B_jjP12ihipStream_tbEUljE_ZNSN_ISO_Lb0ESQ_SR_SQ_SR_SV_EESW_SX_SY_SZ_S13_S14_S15_S18_S19_jS1A_jS1B_S1B_jjS1D_bEUljE0_EEESW_SX_SY_S15_S19_S1B_T6_T7_T9_mT8_S1D_bDpT10_ENKUlT_T0_E_clISt17integral_constantIbLb0EES1Q_IbLb1EEEEDaS1M_S1N_EUlS1M_E_NS1_11comp_targetILNS1_3genE4ELNS1_11target_archE910ELNS1_3gpuE8ELNS1_3repE0EEENS1_30default_config_static_selectorELNS0_4arch9wavefront6targetE1EEEvSZ_
; %bb.0:
	s_load_dwordx2 s[48:49], s[4:5], 0x10
	s_load_dwordx4 s[44:47], s[4:5], 0x28
	s_load_dwordx2 s[34:35], s[4:5], 0x38
	s_load_dwordx4 s[28:31], s[4:5], 0x58
	s_load_dwordx2 s[2:3], s[4:5], 0x68
	s_load_dwordx2 s[50:51], s[4:5], 0x78
	;; [unrolled: 1-line block ×3, first 2 shown]
	s_load_dwordx8 s[36:43], s[4:5], 0x90
	v_cmp_eq_u32_e64 s[0:1], 0, v0
	s_and_saveexec_b64 s[6:7], s[0:1]
	s_cbranch_execz .LBB769_4
; %bb.1:
	s_mov_b64 s[10:11], exec
	v_mbcnt_lo_u32_b32 v1, s10, 0
	v_mbcnt_hi_u32_b32 v1, s11, v1
	v_cmp_eq_u32_e32 vcc, 0, v1
                                        ; implicit-def: $vgpr2
	s_and_saveexec_b64 s[8:9], vcc
	s_cbranch_execz .LBB769_3
; %bb.2:
	s_load_dwordx2 s[12:13], s[4:5], 0x88
	s_bcnt1_i32_b64 s10, s[10:11]
	v_mov_b32_e32 v2, 0
	v_mov_b32_e32 v3, s10
	s_waitcnt lgkmcnt(0)
	global_atomic_add v2, v2, v3, s[12:13] glc
.LBB769_3:
	s_or_b64 exec, exec, s[8:9]
	s_waitcnt vmcnt(0)
	v_readfirstlane_b32 s8, v2
	v_add_u32_e32 v1, s8, v1
	v_mov_b32_e32 v2, 0
	ds_write_b32 v2, v1
.LBB769_4:
	s_or_b64 exec, exec, s[6:7]
	v_mov_b32_e32 v1, 0
	s_load_dword s7, s[4:5], 0x8
	s_load_dword s6, s[4:5], 0x80
	s_waitcnt lgkmcnt(0)
	s_barrier
	ds_read_b32 v8, v1
	s_waitcnt lgkmcnt(0)
	s_barrier
	global_load_dwordx4 v[2:5], v1, s[30:31]
	v_mov_b32_e32 v7, s3
	s_movk_i32 s3, 0xd00
	s_add_i32 s8, s7, s48
	v_mul_lo_u32 v34, v8, s3
	s_add_i32 s7, s6, -1
	s_mul_i32 s3, s6, 0xd00
	s_add_u32 s4, s48, s3
	v_readfirstlane_b32 s33, v8
	s_addc_u32 s5, s49, 0
	s_cmp_eq_u32 s33, s7
	v_mov_b32_e32 v6, s2
	s_cselect_b64 s[30:31], -1, 0
	s_cmp_lg_u32 s33, s7
	v_cmp_lt_u64_e32 vcc, s[4:5], v[6:7]
	s_cselect_b64 s[4:5], -1, 0
	s_or_b64 s[4:5], vcc, s[4:5]
	v_add_u32_e32 v1, s8, v34
	s_mov_b64 s[6:7], -1
	s_and_b64 vcc, exec, s[4:5]
	v_add_u32_e32 v1, v1, v0
	s_cbranch_vccz .LBB769_6
; %bb.5:
	v_add_u32_e32 v6, 0x100, v1
	v_lshlrev_b32_e32 v18, 2, v0
	v_add_u32_e32 v7, 0x200, v1
	v_add_u32_e32 v8, 0x300, v1
	;; [unrolled: 1-line block ×11, first 2 shown]
	ds_write2st64_b32 v18, v1, v6 offset1:4
	ds_write2st64_b32 v18, v7, v8 offset0:8 offset1:12
	ds_write2st64_b32 v18, v9, v10 offset0:16 offset1:20
	;; [unrolled: 1-line block ×5, first 2 shown]
	ds_write_b32 v18, v17 offset:12288
	s_waitcnt lgkmcnt(0)
	s_barrier
	s_mov_b64 s[6:7], 0
.LBB769_6:
	s_andn2_b64 vcc, exec, s[6:7]
	s_add_i32 s3, s3, s48
	s_cbranch_vccnz .LBB769_8
; %bb.7:
	v_add_u32_e32 v6, 0x100, v1
	v_lshlrev_b32_e32 v18, 2, v0
	v_add_u32_e32 v7, 0x200, v1
	v_add_u32_e32 v8, 0x300, v1
	;; [unrolled: 1-line block ×11, first 2 shown]
	ds_write2st64_b32 v18, v1, v6 offset1:4
	ds_write2st64_b32 v18, v7, v8 offset0:8 offset1:12
	ds_write2st64_b32 v18, v9, v10 offset0:16 offset1:20
	;; [unrolled: 1-line block ×5, first 2 shown]
	ds_write_b32 v18, v17 offset:12288
	s_waitcnt lgkmcnt(0)
	s_barrier
.LBB769_8:
	v_mul_u32_u24_e32 v36, 13, v0
	v_lshlrev_b32_e32 v1, 2, v36
	ds_read2_b32 v[22:23], v1 offset1:1
	ds_read2_b32 v[20:21], v1 offset0:2 offset1:3
	ds_read2_b32 v[18:19], v1 offset0:4 offset1:5
	;; [unrolled: 1-line block ×5, first 2 shown]
	ds_read_b32 v35, v1 offset:48
	v_cndmask_b32_e64 v1, 0, 1, s[4:5]
	s_sub_i32 s86, s2, s3
	v_cmp_ne_u32_e64 s[2:3], 1, v1
	s_andn2_b64 vcc, exec, s[4:5]
	s_waitcnt lgkmcnt(0)
	s_barrier
	s_cbranch_vccnz .LBB769_36
; %bb.9:
	v_add_u32_e32 v1, s37, v22
	v_add_u32_e32 v6, s39, v22
	v_mul_lo_u32 v1, v1, s36
	v_mul_lo_u32 v6, v6, s38
	v_sub_u32_e32 v1, v1, v6
	v_cmp_lt_u32_e32 vcc, s40, v1
	v_cmp_ge_u32_e64 s[4:5], s40, v1
	s_mov_b64 s[60:61], 0
	s_mov_b64 s[58:59], 0
	s_and_saveexec_b64 s[6:7], s[4:5]
; %bb.10:
	v_add_u32_e32 v1, s42, v22
	v_add_u32_e32 v6, s56, v22
	v_mul_lo_u32 v1, v1, s41
	v_mul_lo_u32 v6, v6, s43
	v_sub_u32_e32 v1, v1, v6
	v_cmp_lt_u32_e64 s[4:5], s57, v1
	s_and_b64 s[58:59], s[4:5], exec
; %bb.11:
	s_or_b64 exec, exec, s[6:7]
	v_add_u32_e32 v1, s37, v23
	v_add_u32_e32 v6, s39, v23
	v_mul_lo_u32 v1, v1, s36
	v_mul_lo_u32 v6, v6, s38
	v_sub_u32_e32 v1, v1, v6
	v_cmp_lt_u32_e64 s[4:5], s40, v1
	v_cmp_ge_u32_e64 s[6:7], s40, v1
	s_and_saveexec_b64 s[8:9], s[6:7]
; %bb.12:
	v_add_u32_e32 v1, s42, v23
	v_add_u32_e32 v6, s56, v23
	v_mul_lo_u32 v1, v1, s41
	v_mul_lo_u32 v6, v6, s43
	v_sub_u32_e32 v1, v1, v6
	v_cmp_lt_u32_e64 s[6:7], s57, v1
	s_and_b64 s[60:61], s[6:7], exec
; %bb.13:
	s_or_b64 exec, exec, s[8:9]
	v_add_u32_e32 v1, s37, v20
	v_add_u32_e32 v6, s39, v20
	v_mul_lo_u32 v1, v1, s36
	v_mul_lo_u32 v6, v6, s38
	v_sub_u32_e32 v1, v1, v6
	v_cmp_lt_u32_e64 s[6:7], s40, v1
	v_cmp_ge_u32_e64 s[8:9], s40, v1
	s_mov_b64 s[64:65], 0
	s_mov_b64 s[62:63], 0
	s_and_saveexec_b64 s[10:11], s[8:9]
; %bb.14:
	v_add_u32_e32 v1, s42, v20
	v_add_u32_e32 v6, s56, v20
	v_mul_lo_u32 v1, v1, s41
	v_mul_lo_u32 v6, v6, s43
	v_sub_u32_e32 v1, v1, v6
	v_cmp_lt_u32_e64 s[8:9], s57, v1
	s_and_b64 s[62:63], s[8:9], exec
; %bb.15:
	s_or_b64 exec, exec, s[10:11]
	v_add_u32_e32 v1, s37, v21
	v_add_u32_e32 v6, s39, v21
	v_mul_lo_u32 v1, v1, s36
	v_mul_lo_u32 v6, v6, s38
	v_sub_u32_e32 v1, v1, v6
	v_cmp_lt_u32_e64 s[8:9], s40, v1
	v_cmp_ge_u32_e64 s[10:11], s40, v1
	s_and_saveexec_b64 s[12:13], s[10:11]
; %bb.16:
	v_add_u32_e32 v1, s42, v21
	v_add_u32_e32 v6, s56, v21
	v_mul_lo_u32 v1, v1, s41
	v_mul_lo_u32 v6, v6, s43
	v_sub_u32_e32 v1, v1, v6
	v_cmp_lt_u32_e64 s[10:11], s57, v1
	s_and_b64 s[64:65], s[10:11], exec
; %bb.17:
	s_or_b64 exec, exec, s[12:13]
	v_add_u32_e32 v1, s37, v18
	v_add_u32_e32 v6, s39, v18
	v_mul_lo_u32 v1, v1, s36
	v_mul_lo_u32 v6, v6, s38
	v_sub_u32_e32 v1, v1, v6
	v_cmp_lt_u32_e64 s[10:11], s40, v1
	;; [unrolled: 38-line block ×5, first 2 shown]
	v_cmp_ge_u32_e64 s[24:25], s40, v1
	s_mov_b64 s[80:81], 0
	s_mov_b64 s[82:83], 0
	s_and_saveexec_b64 s[26:27], s[24:25]
; %bb.30:
	v_add_u32_e32 v1, s42, v12
	v_add_u32_e32 v6, s56, v12
	v_mul_lo_u32 v1, v1, s41
	v_mul_lo_u32 v6, v6, s43
	v_sub_u32_e32 v1, v1, v6
	v_cmp_lt_u32_e64 s[24:25], s57, v1
	s_and_b64 s[82:83], s[24:25], exec
; %bb.31:
	s_or_b64 exec, exec, s[26:27]
	v_add_u32_e32 v1, s37, v13
	v_add_u32_e32 v6, s39, v13
	v_mul_lo_u32 v1, v1, s36
	v_mul_lo_u32 v6, v6, s38
	v_sub_u32_e32 v1, v1, v6
	v_cmp_lt_u32_e64 s[24:25], s40, v1
	v_cmp_ge_u32_e64 s[26:27], s40, v1
	s_and_saveexec_b64 s[52:53], s[26:27]
; %bb.32:
	v_add_u32_e32 v1, s42, v13
	v_add_u32_e32 v6, s56, v13
	v_mul_lo_u32 v1, v1, s41
	v_mul_lo_u32 v6, v6, s43
	v_sub_u32_e32 v1, v1, v6
	v_cmp_lt_u32_e64 s[26:27], s57, v1
	s_and_b64 s[80:81], s[26:27], exec
; %bb.33:
	s_or_b64 exec, exec, s[52:53]
	v_add_u32_e32 v1, s37, v35
	v_add_u32_e32 v6, s39, v35
	v_mul_lo_u32 v1, v1, s36
	v_mul_lo_u32 v6, v6, s38
	v_sub_u32_e32 v1, v1, v6
	v_cmp_ge_u32_e64 s[26:27], s40, v1
	s_mov_b64 s[52:53], -1
	s_mov_b64 s[74:75], 0
	s_mov_b64 s[54:55], 0
	s_and_saveexec_b64 s[84:85], s[26:27]
; %bb.34:
	v_add_u32_e32 v1, s42, v35
	v_add_u32_e32 v6, s56, v35
	v_mul_lo_u32 v1, v1, s41
	v_mul_lo_u32 v6, v6, s43
	v_sub_u32_e32 v1, v1, v6
	v_cmp_lt_u32_e64 s[26:27], s57, v1
	s_and_b64 s[54:55], s[26:27], exec
	s_xor_b64 s[52:53], exec, -1
; %bb.35:
	s_or_b64 exec, exec, s[84:85]
	v_cndmask_b32_e64 v57, 0, 1, s[82:83]
	v_cndmask_b32_e64 v60, 0, 1, s[24:25]
	;; [unrolled: 1-line block ×22, first 2 shown]
	v_cndmask_b32_e64 v37, 0, 1, vcc
	v_cndmask_b32_e64 v59, 0, 1, s[80:81]
	s_add_i32 s16, s86, 0xd00
	s_and_b64 vcc, exec, s[74:75]
	s_cbranch_vccnz .LBB769_37
	s_branch .LBB769_90
.LBB769_36:
                                        ; implicit-def: $sgpr52_sgpr53
                                        ; implicit-def: $sgpr54_sgpr55
                                        ; implicit-def: $vgpr59
                                        ; implicit-def: $vgpr57
                                        ; implicit-def: $vgpr55
                                        ; implicit-def: $vgpr53
                                        ; implicit-def: $vgpr51
                                        ; implicit-def: $vgpr49
                                        ; implicit-def: $vgpr47
                                        ; implicit-def: $vgpr45
                                        ; implicit-def: $vgpr43
                                        ; implicit-def: $vgpr37
                                        ; implicit-def: $vgpr39
                                        ; implicit-def: $vgpr41
                                        ; implicit-def: $vgpr44
                                        ; implicit-def: $vgpr46
                                        ; implicit-def: $vgpr48
                                        ; implicit-def: $vgpr50
                                        ; implicit-def: $vgpr52
                                        ; implicit-def: $vgpr54
                                        ; implicit-def: $vgpr56
                                        ; implicit-def: $vgpr58
                                        ; implicit-def: $vgpr60
                                        ; implicit-def: $vgpr38
                                        ; implicit-def: $vgpr40
                                        ; implicit-def: $vgpr42
	s_add_i32 s16, s86, 0xd00
	s_cbranch_execz .LBB769_90
.LBB769_37:
	v_cmp_gt_u32_e32 vcc, s16, v36
	v_mov_b32_e32 v38, 0
	v_mov_b32_e32 v37, 0
	s_and_saveexec_b64 s[6:7], vcc
	s_cbranch_execz .LBB769_41
; %bb.38:
	v_add_u32_e32 v1, s37, v22
	v_add_u32_e32 v6, s39, v22
	v_mul_lo_u32 v1, v1, s36
	v_mul_lo_u32 v6, v6, s38
	v_sub_u32_e32 v1, v1, v6
	v_cmp_lt_u32_e32 vcc, s40, v1
	v_cmp_ge_u32_e64 s[4:5], s40, v1
	s_mov_b64 s[10:11], 0
	s_and_saveexec_b64 s[8:9], s[4:5]
; %bb.39:
	v_add_u32_e32 v1, s42, v22
	v_add_u32_e32 v6, s56, v22
	v_mul_lo_u32 v1, v1, s41
	v_mul_lo_u32 v6, v6, s43
	v_sub_u32_e32 v1, v1, v6
	v_cmp_lt_u32_e64 s[4:5], s57, v1
	s_and_b64 s[10:11], s[4:5], exec
; %bb.40:
	s_or_b64 exec, exec, s[8:9]
	v_cndmask_b32_e64 v37, 0, 1, vcc
	v_cndmask_b32_e64 v38, 0, 1, s[10:11]
.LBB769_41:
	s_or_b64 exec, exec, s[6:7]
	v_add_u32_e32 v1, 1, v36
	v_cmp_gt_u32_e32 vcc, s16, v1
	v_mov_b32_e32 v39, 0
	v_mov_b32_e32 v40, 0
	s_and_saveexec_b64 s[6:7], vcc
	s_cbranch_execz .LBB769_45
; %bb.42:
	v_add_u32_e32 v1, s37, v23
	v_add_u32_e32 v6, s39, v23
	v_mul_lo_u32 v1, v1, s36
	v_mul_lo_u32 v6, v6, s38
	v_sub_u32_e32 v1, v1, v6
	v_cmp_lt_u32_e32 vcc, s40, v1
	v_cmp_ge_u32_e64 s[4:5], s40, v1
	s_mov_b64 s[10:11], 0
	s_and_saveexec_b64 s[8:9], s[4:5]
; %bb.43:
	v_add_u32_e32 v1, s42, v23
	v_add_u32_e32 v6, s56, v23
	v_mul_lo_u32 v1, v1, s41
	v_mul_lo_u32 v6, v6, s43
	v_sub_u32_e32 v1, v1, v6
	v_cmp_lt_u32_e64 s[4:5], s57, v1
	s_and_b64 s[10:11], s[4:5], exec
; %bb.44:
	s_or_b64 exec, exec, s[8:9]
	v_cndmask_b32_e64 v39, 0, 1, vcc
	v_cndmask_b32_e64 v40, 0, 1, s[10:11]
.LBB769_45:
	s_or_b64 exec, exec, s[6:7]
	v_add_u32_e32 v1, 2, v36
	;; [unrolled: 30-line block ×12, first 2 shown]
	v_cmp_gt_u32_e32 vcc, s16, v1
	s_mov_b64 s[52:53], 0
	s_mov_b64 s[54:55], 0
	s_and_saveexec_b64 s[4:5], vcc
	s_cbranch_execz .LBB769_89
; %bb.86:
	v_add_u32_e32 v1, s37, v35
	v_add_u32_e32 v6, s39, v35
	v_mul_lo_u32 v1, v1, s36
	v_mul_lo_u32 v6, v6, s38
	v_sub_u32_e32 v1, v1, v6
	v_cmp_ge_u32_e32 vcc, s40, v1
	s_mov_b64 s[8:9], -1
	s_mov_b64 s[10:11], 0
	s_and_saveexec_b64 s[6:7], vcc
; %bb.87:
	v_add_u32_e32 v1, s42, v35
	v_add_u32_e32 v6, s56, v35
	v_mul_lo_u32 v1, v1, s41
	v_mul_lo_u32 v6, v6, s43
	v_sub_u32_e32 v1, v1, v6
	v_cmp_lt_u32_e32 vcc, s57, v1
	s_and_b64 s[10:11], vcc, exec
	s_xor_b64 s[8:9], exec, -1
; %bb.88:
	s_or_b64 exec, exec, s[6:7]
	s_and_b64 s[54:55], s[10:11], exec
	s_and_b64 s[52:53], s[8:9], exec
.LBB769_89:
	s_or_b64 exec, exec, s[4:5]
.LBB769_90:
	v_and_b32_e32 v68, 0xff, v38
	v_and_b32_e32 v79, 0xff, v40
	;; [unrolled: 1-line block ×5, first 2 shown]
	v_add3_u32 v6, v79, v70, v68
	v_and_b32_e32 v81, 0xff, v47
	v_and_b32_e32 v74, 0xff, v49
	v_add3_u32 v6, v6, v80, v72
	v_and_b32_e32 v67, 0xff, v37
	v_and_b32_e32 v61, 0xff, v39
	;; [unrolled: 1-line block ×5, first 2 shown]
	v_add3_u32 v6, v6, v81, v74
	v_and_b32_e32 v62, 0xff, v44
	v_and_b32_e32 v71, 0xff, v46
	v_and_b32_e32 v83, 0xff, v55
	v_and_b32_e32 v78, 0xff, v57
	v_add3_u32 v7, v61, v69, v67
	v_add3_u32 v6, v6, v82, v76
	v_and_b32_e32 v63, 0xff, v48
	v_and_b32_e32 v73, 0xff, v50
	;; [unrolled: 1-line block ×3, first 2 shown]
	v_cndmask_b32_e64 v1, 0, 1, s[54:55]
	v_add3_u32 v7, v7, v62, v71
	v_add3_u32 v6, v6, v83, v78
	v_and_b32_e32 v64, 0xff, v52
	v_and_b32_e32 v75, 0xff, v54
	v_add3_u32 v7, v7, v63, v73
	v_add3_u32 v91, v6, v84, v1
	v_mbcnt_lo_u32_b32 v1, -1, 0
	v_and_b32_e32 v65, 0xff, v56
	v_and_b32_e32 v77, 0xff, v58
	v_add3_u32 v7, v7, v64, v75
	v_mbcnt_hi_u32_b32 v85, -1, v1
	v_and_b32_e32 v66, 0xff, v60
	v_add3_u32 v7, v7, v65, v77
	v_cndmask_b32_e64 v8, 0, 1, s[52:53]
	v_and_b32_e32 v89, 15, v85
	s_cmp_lg_u32 s33, 0
	v_add3_u32 v90, v7, v66, v8
	v_cmp_eq_u32_e64 s[6:7], 0, v89
	v_cmp_lt_u32_e64 s[4:5], 1, v89
	v_cmp_lt_u32_e64 s[10:11], 3, v89
	;; [unrolled: 1-line block ×3, first 2 shown]
	v_and_b32_e32 v88, 16, v85
	v_cmp_lt_u32_e32 vcc, 31, v85
	v_lshrrev_b32_e32 v86, 6, v0
	v_or_b32_e32 v87, 63, v0
	s_cbranch_scc0 .LBB769_119
; %bb.91:
	v_mov_b32_dpp v1, v90 row_shr:1 row_mask:0xf bank_mask:0xf
	v_mov_b32_dpp v6, v91 row_shr:1 row_mask:0xf bank_mask:0xf
	v_add_u32_e32 v1, v1, v90
	v_add_u32_e32 v6, v6, v91
	v_cndmask_b32_e64 v6, v6, v91, s[6:7]
	v_cndmask_b32_e64 v1, v1, v90, s[6:7]
	s_nop 0
	v_mov_b32_dpp v8, v6 row_shr:2 row_mask:0xf bank_mask:0xf
	v_mov_b32_dpp v7, v1 row_shr:2 row_mask:0xf bank_mask:0xf
	v_add_u32_e32 v7, v1, v7
	v_add_u32_e32 v8, v6, v8
	v_cndmask_b32_e64 v6, v6, v8, s[4:5]
	v_cndmask_b32_e64 v1, v1, v7, s[4:5]
	s_nop 0
	;; [unrolled: 7-line block ×3, first 2 shown]
	v_mov_b32_dpp v8, v6 row_shr:8 row_mask:0xf bank_mask:0xf
	v_mov_b32_dpp v7, v1 row_shr:8 row_mask:0xf bank_mask:0xf
	v_add_u32_e32 v7, v1, v7
	v_add_u32_e32 v8, v6, v8
	v_cndmask_b32_e64 v6, v6, v8, s[8:9]
	v_cndmask_b32_e64 v1, v1, v7, s[8:9]
	v_cmp_eq_u32_e64 s[8:9], 0, v88
	v_mov_b32_dpp v8, v6 row_bcast:15 row_mask:0xf bank_mask:0xf
	v_mov_b32_dpp v7, v1 row_bcast:15 row_mask:0xf bank_mask:0xf
	v_add_u32_e32 v7, v1, v7
	v_add_u32_e32 v8, v6, v8
	v_cndmask_b32_e64 v6, v8, v6, s[8:9]
	v_cndmask_b32_e64 v1, v7, v1, s[8:9]
	s_nop 0
	v_mov_b32_dpp v8, v6 row_bcast:31 row_mask:0xf bank_mask:0xf
	v_mov_b32_dpp v7, v1 row_bcast:31 row_mask:0xf bank_mask:0xf
	v_add_u32_e32 v8, v6, v8
	v_add_u32_e32 v9, v1, v7
	v_cndmask_b32_e32 v7, v6, v8, vcc
	v_cndmask_b32_e32 v6, v1, v9, vcc
	v_cmp_eq_u32_e32 vcc, v87, v0
	s_and_saveexec_b64 s[8:9], vcc
	s_cbranch_execz .LBB769_93
; %bb.92:
	v_lshlrev_b32_e32 v1, 3, v86
	ds_write_b64 v1, v[6:7]
.LBB769_93:
	s_or_b64 exec, exec, s[8:9]
	v_cmp_gt_u32_e32 vcc, 4, v0
	s_waitcnt lgkmcnt(0)
	s_barrier
	s_and_saveexec_b64 s[8:9], vcc
	s_cbranch_execz .LBB769_95
; %bb.94:
	v_lshlrev_b32_e32 v1, 3, v0
	ds_read_b64 v[8:9], v1
	v_and_b32_e32 v10, 3, v85
	v_cmp_eq_u32_e32 vcc, 0, v10
	s_waitcnt lgkmcnt(0)
	v_mov_b32_dpp v11, v8 row_shr:1 row_mask:0xf bank_mask:0xf
	v_mov_b32_dpp v24, v9 row_shr:1 row_mask:0xf bank_mask:0xf
	v_add_u32_e32 v11, v11, v8
	v_add_u32_e32 v24, v24, v9
	v_cndmask_b32_e32 v9, v24, v9, vcc
	v_cndmask_b32_e32 v8, v11, v8, vcc
	v_cmp_lt_u32_e32 vcc, 1, v10
	v_mov_b32_dpp v24, v9 row_shr:2 row_mask:0xf bank_mask:0xf
	v_mov_b32_dpp v11, v8 row_shr:2 row_mask:0xf bank_mask:0xf
	v_cndmask_b32_e32 v10, 0, v11, vcc
	v_cndmask_b32_e32 v11, 0, v24, vcc
	v_add_u32_e32 v9, v11, v9
	v_add_u32_e32 v8, v10, v8
	ds_write_b64 v1, v[8:9]
.LBB769_95:
	s_or_b64 exec, exec, s[8:9]
	v_cmp_gt_u32_e32 vcc, 64, v0
	v_cmp_lt_u32_e64 s[8:9], 63, v0
	s_waitcnt lgkmcnt(0)
	s_barrier
	s_waitcnt lgkmcnt(0)
                                        ; implicit-def: $vgpr25
	s_and_saveexec_b64 s[10:11], s[8:9]
	s_xor_b64 s[8:9], exec, s[10:11]
	s_cbranch_execz .LBB769_97
; %bb.96:
	v_lshl_add_u32 v1, v86, 3, -8
	ds_read_b64 v[24:25], v1
	s_waitcnt lgkmcnt(0)
	v_add_u32_e32 v7, v25, v7
	v_add_u32_e32 v6, v24, v6
.LBB769_97:
	s_andn2_saveexec_b64 s[8:9], s[8:9]
; %bb.98:
                                        ; implicit-def: $vgpr24
; %bb.99:
	s_or_b64 exec, exec, s[8:9]
	v_add_u32_e32 v1, -1, v85
	v_and_b32_e32 v8, 64, v85
	v_cmp_lt_i32_e64 s[8:9], v1, v8
	v_cndmask_b32_e64 v1, v1, v85, s[8:9]
	v_lshlrev_b32_e32 v8, 2, v1
	ds_bpermute_b32 v1, v8, v6
	ds_bpermute_b32 v92, v8, v7
	v_cmp_eq_u32_e64 s[8:9], 0, v85
	s_and_saveexec_b64 s[10:11], vcc
	s_cbranch_execz .LBB769_118
; %bb.100:
	v_mov_b32_e32 v11, 0
	ds_read_b64 v[26:27], v11 offset:24
	s_and_saveexec_b64 s[12:13], s[8:9]
	s_cbranch_execz .LBB769_102
; %bb.101:
	s_add_i32 s14, s33, 64
	s_mov_b32 s15, 0
	s_lshl_b64 s[14:15], s[14:15], 4
	s_waitcnt lgkmcnt(0)
	v_and_b32_e32 v6, 0xff000000, v27
	v_and_b32_e32 v7, 0xff0000, v27
	s_add_u32 s14, s50, s14
	v_or_b32_e32 v6, v7, v6
	v_and_b32_e32 v7, 0xff00, v27
	s_addc_u32 s15, s51, s15
	v_or_b32_e32 v6, v6, v7
	v_or_b32_sdwa v9, v6, v27 dst_sel:DWORD dst_unused:UNUSED_PAD src0_sel:DWORD src1_sel:BYTE_0
	v_mov_b32_e32 v10, 1
	v_mov_b32_e32 v8, v26
	v_pk_mov_b32 v[6:7], s[14:15], s[14:15] op_sel:[0,1]
	;;#ASMSTART
	global_store_dwordx4 v[6:7], v[8:11] off	
s_waitcnt vmcnt(0)
	;;#ASMEND
.LBB769_102:
	s_or_b64 exec, exec, s[12:13]
	v_xad_u32 v28, v85, -1, s33
	v_add_u32_e32 v10, 64, v28
	v_lshlrev_b64 v[6:7], 4, v[10:11]
	v_mov_b32_e32 v8, s51
	v_add_co_u32_e32 v30, vcc, s50, v6
	v_addc_co_u32_e32 v31, vcc, v8, v7, vcc
	;;#ASMSTART
	global_load_dwordx4 v[6:9], v[30:31] off glc	
s_waitcnt vmcnt(0)
	;;#ASMEND
	v_and_b32_e32 v9, 0xff, v7
	v_and_b32_e32 v10, 0xff00, v7
	v_or3_b32 v9, 0, v9, v10
	v_or3_b32 v6, v6, 0, 0
	v_and_b32_e32 v10, 0xff000000, v7
	v_and_b32_e32 v7, 0xff0000, v7
	v_or3_b32 v7, v9, v7, v10
	v_or3_b32 v6, v6, 0, 0
	v_cmp_eq_u16_sdwa s[14:15], v8, v11 src0_sel:BYTE_0 src1_sel:DWORD
	s_and_saveexec_b64 s[12:13], s[14:15]
	s_cbranch_execz .LBB769_106
; %bb.103:
	s_mov_b64 s[14:15], 0
	v_mov_b32_e32 v10, 0
.LBB769_104:                            ; =>This Inner Loop Header: Depth=1
	;;#ASMSTART
	global_load_dwordx4 v[6:9], v[30:31] off glc	
s_waitcnt vmcnt(0)
	;;#ASMEND
	v_cmp_ne_u16_sdwa s[18:19], v8, v10 src0_sel:BYTE_0 src1_sel:DWORD
	s_or_b64 s[14:15], s[18:19], s[14:15]
	s_andn2_b64 exec, exec, s[14:15]
	s_cbranch_execnz .LBB769_104
; %bb.105:
	s_or_b64 exec, exec, s[14:15]
.LBB769_106:
	s_or_b64 exec, exec, s[12:13]
	v_and_b32_e32 v94, 63, v85
	v_cmp_ne_u32_e32 vcc, 63, v94
	v_mov_b32_e32 v93, 2
	v_addc_co_u32_e32 v30, vcc, 0, v85, vcc
	v_cmp_eq_u16_sdwa s[12:13], v8, v93 src0_sel:BYTE_0 src1_sel:DWORD
	v_lshlrev_b64 v[10:11], v85, -1
	v_lshlrev_b32_e32 v95, 2, v30
	v_and_b32_e32 v9, s13, v11
	ds_bpermute_b32 v30, v95, v6
	ds_bpermute_b32 v31, v95, v7
	v_or_b32_e32 v9, 0x80000000, v9
	v_and_b32_e32 v29, s12, v10
	v_ffbl_b32_e32 v9, v9
	v_add_u32_e32 v9, 32, v9
	v_ffbl_b32_e32 v29, v29
	v_min_u32_e32 v9, v29, v9
	s_waitcnt lgkmcnt(1)
	v_add_u32_e32 v29, v30, v6
	s_waitcnt lgkmcnt(0)
	v_add_u32_e32 v30, v31, v7
	v_cmp_lt_u32_e32 vcc, v94, v9
	v_cndmask_b32_e32 v7, v7, v30, vcc
	v_cndmask_b32_e32 v6, v6, v29, vcc
	v_cmp_gt_u32_e32 vcc, 62, v94
	v_cndmask_b32_e64 v29, 0, 1, vcc
	v_lshlrev_b32_e32 v29, 1, v29
	v_add_lshl_u32 v96, v29, v85, 2
	ds_bpermute_b32 v29, v96, v6
	ds_bpermute_b32 v30, v96, v7
	v_add_u32_e32 v97, 2, v94
	v_cmp_gt_u32_e32 vcc, v97, v9
	v_add_u32_e32 v99, 4, v94
	s_waitcnt lgkmcnt(1)
	v_add_u32_e32 v29, v6, v29
	s_waitcnt lgkmcnt(0)
	v_add_u32_e32 v30, v7, v30
	v_cndmask_b32_e32 v7, v30, v7, vcc
	v_cndmask_b32_e32 v6, v29, v6, vcc
	v_cmp_gt_u32_e32 vcc, 60, v94
	v_cndmask_b32_e64 v29, 0, 1, vcc
	v_lshlrev_b32_e32 v29, 2, v29
	v_add_lshl_u32 v98, v29, v85, 2
	ds_bpermute_b32 v29, v98, v6
	ds_bpermute_b32 v30, v98, v7
	v_cmp_gt_u32_e32 vcc, v99, v9
	v_add_u32_e32 v101, 8, v94
	v_add_u32_e32 v103, 16, v94
	s_waitcnt lgkmcnt(1)
	v_add_u32_e32 v29, v6, v29
	s_waitcnt lgkmcnt(0)
	v_add_u32_e32 v30, v7, v30
	v_cndmask_b32_e32 v7, v30, v7, vcc
	v_cndmask_b32_e32 v6, v29, v6, vcc
	v_cmp_gt_u32_e32 vcc, 56, v94
	v_cndmask_b32_e64 v29, 0, 1, vcc
	v_lshlrev_b32_e32 v29, 3, v29
	v_add_lshl_u32 v100, v29, v85, 2
	ds_bpermute_b32 v29, v100, v6
	ds_bpermute_b32 v30, v100, v7
	v_cmp_gt_u32_e32 vcc, v101, v9
	v_add_u32_e32 v105, 32, v94
	s_waitcnt lgkmcnt(1)
	v_add_u32_e32 v29, v6, v29
	s_waitcnt lgkmcnt(0)
	v_add_u32_e32 v30, v7, v30
	v_cndmask_b32_e32 v7, v30, v7, vcc
	v_cndmask_b32_e32 v6, v29, v6, vcc
	v_cmp_gt_u32_e32 vcc, 48, v94
	v_cndmask_b32_e64 v29, 0, 1, vcc
	v_lshlrev_b32_e32 v29, 4, v29
	v_add_lshl_u32 v102, v29, v85, 2
	ds_bpermute_b32 v29, v102, v6
	ds_bpermute_b32 v30, v102, v7
	v_cmp_gt_u32_e32 vcc, v103, v9
	s_waitcnt lgkmcnt(1)
	v_add_u32_e32 v29, v6, v29
	s_waitcnt lgkmcnt(0)
	v_add_u32_e32 v30, v7, v30
	v_cndmask_b32_e32 v7, v30, v7, vcc
	v_cndmask_b32_e32 v6, v29, v6, vcc
	v_cmp_gt_u32_e32 vcc, 32, v94
	v_cndmask_b32_e64 v29, 0, 1, vcc
	v_lshlrev_b32_e32 v29, 5, v29
	v_add_lshl_u32 v104, v29, v85, 2
	ds_bpermute_b32 v29, v104, v6
	ds_bpermute_b32 v30, v104, v7
	v_cmp_le_u32_e32 vcc, v105, v9
	s_waitcnt lgkmcnt(1)
	v_cndmask_b32_e32 v9, 0, v29, vcc
	s_waitcnt lgkmcnt(0)
	v_cndmask_b32_e32 v29, 0, v30, vcc
	v_add_u32_e32 v7, v7, v29
	v_add_u32_e32 v6, v6, v9
	v_mov_b32_e32 v29, 0
	s_branch .LBB769_108
.LBB769_107:                            ;   in Loop: Header=BB769_108 Depth=1
	s_or_b64 exec, exec, s[12:13]
	v_cmp_eq_u16_sdwa s[12:13], v8, v93 src0_sel:BYTE_0 src1_sel:DWORD
	v_and_b32_e32 v9, s13, v11
	ds_bpermute_b32 v33, v95, v6
	ds_bpermute_b32 v106, v95, v7
	v_or_b32_e32 v9, 0x80000000, v9
	v_and_b32_e32 v32, s12, v10
	v_ffbl_b32_e32 v9, v9
	v_add_u32_e32 v9, 32, v9
	v_ffbl_b32_e32 v32, v32
	v_min_u32_e32 v9, v32, v9
	s_waitcnt lgkmcnt(1)
	v_add_u32_e32 v32, v33, v6
	s_waitcnt lgkmcnt(0)
	v_add_u32_e32 v33, v106, v7
	v_cmp_lt_u32_e32 vcc, v94, v9
	v_cndmask_b32_e32 v7, v7, v33, vcc
	v_cndmask_b32_e32 v6, v6, v32, vcc
	ds_bpermute_b32 v32, v96, v6
	ds_bpermute_b32 v33, v96, v7
	v_cmp_gt_u32_e32 vcc, v97, v9
	v_subrev_u32_e32 v28, 64, v28
	s_waitcnt lgkmcnt(1)
	v_add_u32_e32 v32, v6, v32
	s_waitcnt lgkmcnt(0)
	v_add_u32_e32 v33, v7, v33
	v_cndmask_b32_e32 v7, v33, v7, vcc
	v_cndmask_b32_e32 v6, v32, v6, vcc
	ds_bpermute_b32 v32, v98, v6
	ds_bpermute_b32 v33, v98, v7
	v_cmp_gt_u32_e32 vcc, v99, v9
	s_waitcnt lgkmcnt(1)
	v_add_u32_e32 v32, v6, v32
	s_waitcnt lgkmcnt(0)
	v_add_u32_e32 v33, v7, v33
	v_cndmask_b32_e32 v7, v33, v7, vcc
	v_cndmask_b32_e32 v6, v32, v6, vcc
	ds_bpermute_b32 v32, v100, v6
	ds_bpermute_b32 v33, v100, v7
	v_cmp_gt_u32_e32 vcc, v101, v9
	;; [unrolled: 9-line block ×3, first 2 shown]
	s_waitcnt lgkmcnt(1)
	v_add_u32_e32 v32, v6, v32
	s_waitcnt lgkmcnt(0)
	v_add_u32_e32 v33, v7, v33
	v_cndmask_b32_e32 v7, v33, v7, vcc
	v_cndmask_b32_e32 v6, v32, v6, vcc
	ds_bpermute_b32 v32, v104, v6
	ds_bpermute_b32 v33, v104, v7
	v_cmp_le_u32_e32 vcc, v105, v9
	s_waitcnt lgkmcnt(1)
	v_cndmask_b32_e32 v9, 0, v32, vcc
	s_waitcnt lgkmcnt(0)
	v_cndmask_b32_e32 v32, 0, v33, vcc
	v_add3_u32 v7, v32, v31, v7
	v_add3_u32 v6, v9, v30, v6
.LBB769_108:                            ; =>This Loop Header: Depth=1
                                        ;     Child Loop BB769_111 Depth 2
	v_cmp_ne_u16_sdwa s[12:13], v8, v93 src0_sel:BYTE_0 src1_sel:DWORD
	v_cndmask_b32_e64 v8, 0, 1, s[12:13]
	;;#ASMSTART
	;;#ASMEND
	v_cmp_ne_u32_e32 vcc, 0, v8
	s_cmp_lg_u64 vcc, exec
	v_pk_mov_b32 v[30:31], v[6:7], v[6:7] op_sel:[0,1]
	s_cbranch_scc1 .LBB769_113
; %bb.109:                              ;   in Loop: Header=BB769_108 Depth=1
	v_lshlrev_b64 v[6:7], 4, v[28:29]
	v_mov_b32_e32 v8, s51
	v_add_co_u32_e32 v32, vcc, s50, v6
	v_addc_co_u32_e32 v33, vcc, v8, v7, vcc
	;;#ASMSTART
	global_load_dwordx4 v[6:9], v[32:33] off glc	
s_waitcnt vmcnt(0)
	;;#ASMEND
	v_and_b32_e32 v9, 0xff, v7
	v_and_b32_e32 v106, 0xff00, v7
	v_or3_b32 v9, 0, v9, v106
	v_or3_b32 v6, v6, 0, 0
	v_and_b32_e32 v106, 0xff000000, v7
	v_and_b32_e32 v7, 0xff0000, v7
	v_or3_b32 v7, v9, v7, v106
	v_or3_b32 v6, v6, 0, 0
	v_cmp_eq_u16_sdwa s[14:15], v8, v29 src0_sel:BYTE_0 src1_sel:DWORD
	s_and_saveexec_b64 s[12:13], s[14:15]
	s_cbranch_execz .LBB769_107
; %bb.110:                              ;   in Loop: Header=BB769_108 Depth=1
	s_mov_b64 s[14:15], 0
.LBB769_111:                            ;   Parent Loop BB769_108 Depth=1
                                        ; =>  This Inner Loop Header: Depth=2
	;;#ASMSTART
	global_load_dwordx4 v[6:9], v[32:33] off glc	
s_waitcnt vmcnt(0)
	;;#ASMEND
	v_cmp_ne_u16_sdwa s[18:19], v8, v29 src0_sel:BYTE_0 src1_sel:DWORD
	s_or_b64 s[14:15], s[18:19], s[14:15]
	s_andn2_b64 exec, exec, s[14:15]
	s_cbranch_execnz .LBB769_111
; %bb.112:                              ;   in Loop: Header=BB769_108 Depth=1
	s_or_b64 exec, exec, s[14:15]
	s_branch .LBB769_107
.LBB769_113:                            ;   in Loop: Header=BB769_108 Depth=1
                                        ; implicit-def: $vgpr8
                                        ; implicit-def: $vgpr6_vgpr7
	s_cbranch_execz .LBB769_108
; %bb.114:
	s_and_saveexec_b64 s[12:13], s[8:9]
	s_cbranch_execz .LBB769_116
; %bb.115:
	s_add_i32 s14, s33, 64
	s_mov_b32 s15, 0
	v_add_u32_e32 v7, v31, v27
	s_lshl_b64 s[14:15], s[14:15], 4
	s_add_u32 s14, s50, s14
	v_and_b32_e32 v8, 0xff000000, v7
	v_and_b32_e32 v10, 0xff0000, v7
	s_addc_u32 s15, s51, s15
	v_or_b32_e32 v8, v10, v8
	v_and_b32_e32 v10, 0xff00, v7
	v_and_b32_e32 v7, 0xff, v7
	v_add_u32_e32 v6, v30, v26
	v_mov_b32_e32 v9, 0
	v_or3_b32 v7, v8, v10, v7
	v_mov_b32_e32 v8, 2
	v_pk_mov_b32 v[10:11], s[14:15], s[14:15] op_sel:[0,1]
	;;#ASMSTART
	global_store_dwordx4 v[10:11], v[6:9] off	
s_waitcnt vmcnt(0)
	;;#ASMEND
	s_movk_i32 s14, 0x3400
	v_add_u32_e64 v6, s14, 0
	ds_write2_b32 v6, v26, v27 offset1:2
	ds_write2_b32 v6, v30, v31 offset0:4 offset1:6
.LBB769_116:
	s_or_b64 exec, exec, s[12:13]
	s_and_b64 exec, exec, s[0:1]
	s_cbranch_execz .LBB769_118
; %bb.117:
	v_mov_b32_e32 v6, 0
	ds_write_b64 v6, v[30:31] offset:24
.LBB769_118:
	s_or_b64 exec, exec, s[10:11]
	v_mov_b32_e32 v6, 0
	s_waitcnt lgkmcnt(0)
	s_barrier
	ds_read_b64 v[10:11], v6 offset:24
	v_cndmask_b32_e64 v25, v92, v25, s[8:9]
	v_cndmask_b32_e64 v1, v1, v24, s[8:9]
	s_movk_i32 s8, 0x3400
	s_waitcnt lgkmcnt(0)
	v_add_u32_e32 v24, v10, v1
	v_add_u32_e64 v1, s8, 0
	s_barrier
	ds_read2_b32 v[6:7], v1 offset1:2
	ds_read2_b32 v[8:9], v1 offset0:4 offset1:6
	v_add_u32_e32 v1, v11, v25
	v_cndmask_b32_e64 v1, v1, v11, s[0:1]
	v_cndmask_b32_e64 v10, v24, v10, s[0:1]
	s_branch .LBB769_129
.LBB769_119:
                                        ; implicit-def: $vgpr1
                                        ; implicit-def: $vgpr8
                                        ; implicit-def: $vgpr6
                                        ; implicit-def: $vgpr10_vgpr11
	s_cbranch_execz .LBB769_129
; %bb.120:
	s_nop 0
	v_mov_b32_dpp v1, v90 row_shr:1 row_mask:0xf bank_mask:0xf
	s_waitcnt lgkmcnt(1)
	v_mov_b32_dpp v6, v91 row_shr:1 row_mask:0xf bank_mask:0xf
	v_add_u32_e32 v1, v1, v90
	v_add_u32_e32 v6, v6, v91
	v_cndmask_b32_e64 v6, v6, v91, s[6:7]
	v_cndmask_b32_e64 v1, v1, v90, s[6:7]
	v_cmp_lt_u32_e32 vcc, 3, v89
	s_waitcnt lgkmcnt(0)
	v_mov_b32_dpp v8, v6 row_shr:2 row_mask:0xf bank_mask:0xf
	v_mov_b32_dpp v7, v1 row_shr:2 row_mask:0xf bank_mask:0xf
	v_add_u32_e32 v7, v1, v7
	v_add_u32_e32 v8, v6, v8
	v_cndmask_b32_e64 v6, v6, v8, s[4:5]
	v_cndmask_b32_e64 v1, v1, v7, s[4:5]
	s_nop 0
	v_mov_b32_dpp v8, v6 row_shr:4 row_mask:0xf bank_mask:0xf
	v_mov_b32_dpp v7, v1 row_shr:4 row_mask:0xf bank_mask:0xf
	v_add_u32_e32 v7, v1, v7
	v_add_u32_e32 v8, v6, v8
	v_cndmask_b32_e32 v6, v6, v8, vcc
	v_cndmask_b32_e32 v1, v1, v7, vcc
	v_cmp_lt_u32_e32 vcc, 7, v89
	v_mov_b32_dpp v8, v6 row_shr:8 row_mask:0xf bank_mask:0xf
	v_mov_b32_dpp v7, v1 row_shr:8 row_mask:0xf bank_mask:0xf
	v_add_u32_e32 v7, v1, v7
	v_add_u32_e32 v8, v6, v8
	v_cndmask_b32_e32 v6, v6, v8, vcc
	v_cndmask_b32_e32 v1, v1, v7, vcc
	v_cmp_eq_u32_e32 vcc, 0, v88
	v_mov_b32_dpp v8, v6 row_bcast:15 row_mask:0xf bank_mask:0xf
	v_mov_b32_dpp v7, v1 row_bcast:15 row_mask:0xf bank_mask:0xf
	v_add_u32_e32 v7, v1, v7
	v_add_u32_e32 v8, v6, v8
	v_cndmask_b32_e32 v6, v8, v6, vcc
	v_cndmask_b32_e32 v1, v7, v1, vcc
	v_cmp_lt_u32_e32 vcc, 31, v85
	v_mov_b32_dpp v8, v6 row_bcast:31 row_mask:0xf bank_mask:0xf
	v_mov_b32_dpp v7, v1 row_bcast:31 row_mask:0xf bank_mask:0xf
	v_add_u32_e32 v8, v6, v8
	v_add_u32_e32 v9, v1, v7
	v_cndmask_b32_e32 v7, v6, v8, vcc
	v_cndmask_b32_e32 v6, v1, v9, vcc
	v_cmp_eq_u32_e32 vcc, v87, v0
	s_and_saveexec_b64 s[4:5], vcc
	s_cbranch_execz .LBB769_122
; %bb.121:
	v_lshlrev_b32_e32 v1, 3, v86
	ds_write_b64 v1, v[6:7]
.LBB769_122:
	s_or_b64 exec, exec, s[4:5]
	v_cmp_gt_u32_e32 vcc, 4, v0
	s_waitcnt lgkmcnt(0)
	s_barrier
	s_and_saveexec_b64 s[4:5], vcc
	s_cbranch_execz .LBB769_124
; %bb.123:
	v_lshlrev_b32_e32 v1, 3, v0
	ds_read_b64 v[8:9], v1
	v_and_b32_e32 v10, 3, v85
	v_cmp_eq_u32_e32 vcc, 0, v10
	s_waitcnt lgkmcnt(0)
	v_mov_b32_dpp v11, v8 row_shr:1 row_mask:0xf bank_mask:0xf
	v_mov_b32_dpp v24, v9 row_shr:1 row_mask:0xf bank_mask:0xf
	v_add_u32_e32 v11, v11, v8
	v_add_u32_e32 v24, v24, v9
	v_cndmask_b32_e32 v9, v24, v9, vcc
	v_cndmask_b32_e32 v8, v11, v8, vcc
	v_cmp_lt_u32_e32 vcc, 1, v10
	v_mov_b32_dpp v24, v9 row_shr:2 row_mask:0xf bank_mask:0xf
	v_mov_b32_dpp v11, v8 row_shr:2 row_mask:0xf bank_mask:0xf
	v_cndmask_b32_e32 v10, 0, v11, vcc
	v_cndmask_b32_e32 v11, 0, v24, vcc
	v_add_u32_e32 v9, v11, v9
	v_add_u32_e32 v8, v10, v8
	ds_write_b64 v1, v[8:9]
.LBB769_124:
	s_or_b64 exec, exec, s[4:5]
	v_cmp_lt_u32_e32 vcc, 63, v0
	v_mov_b32_e32 v8, 0
	v_mov_b32_e32 v10, 0
	;; [unrolled: 1-line block ×3, first 2 shown]
	s_waitcnt lgkmcnt(0)
	s_barrier
	s_and_saveexec_b64 s[4:5], vcc
	s_cbranch_execz .LBB769_126
; %bb.125:
	v_lshl_add_u32 v1, v86, 3, -8
	ds_read_b64 v[10:11], v1
.LBB769_126:
	s_or_b64 exec, exec, s[4:5]
	s_waitcnt lgkmcnt(0)
	v_add_u32_e32 v9, v11, v7
	v_add_u32_e32 v1, v10, v6
	v_add_u32_e32 v6, -1, v85
	v_and_b32_e32 v7, 64, v85
	v_cmp_lt_i32_e32 vcc, v6, v7
	v_cndmask_b32_e32 v6, v6, v85, vcc
	v_lshlrev_b32_e32 v24, 2, v6
	ds_read_b64 v[6:7], v8 offset:24
	ds_bpermute_b32 v1, v24, v1
	ds_bpermute_b32 v24, v24, v9
	s_waitcnt lgkmcnt(2)
	v_readfirstlane_b32 s6, v7
	s_and_saveexec_b64 s[4:5], s[0:1]
	s_cbranch_execz .LBB769_128
; %bb.127:
	s_add_u32 s8, s50, 0x400
	s_mov_b32 s10, 0
	s_addc_u32 s9, s51, 0
	s_and_b32 s11, s6, 0xff000000
	s_and_b32 s13, s6, 0xff0000
	s_mov_b32 s12, s10
	s_or_b64 s[12:13], s[12:13], s[10:11]
	s_and_b32 s11, s6, 0xff00
	s_or_b64 s[12:13], s[12:13], s[10:11]
	s_and_b32 s11, s6, 0xff
	s_or_b64 s[10:11], s[12:13], s[10:11]
	v_mov_b32_e32 v7, s11
	v_mov_b32_e32 v8, 2
	;; [unrolled: 1-line block ×3, first 2 shown]
	v_pk_mov_b32 v[26:27], s[8:9], s[8:9] op_sel:[0,1]
	;;#ASMSTART
	global_store_dwordx4 v[26:27], v[6:9] off	
s_waitcnt vmcnt(0)
	;;#ASMEND
.LBB769_128:
	s_or_b64 exec, exec, s[4:5]
	v_cmp_eq_u32_e32 vcc, 0, v85
	s_waitcnt lgkmcnt(1)
	v_cndmask_b32_e32 v7, v1, v10, vcc
	s_waitcnt lgkmcnt(0)
	v_cndmask_b32_e32 v1, v24, v11, vcc
	v_mov_b32_e32 v8, 0
	v_cndmask_b32_e64 v1, v1, 0, s[0:1]
	v_cndmask_b32_e64 v10, v7, 0, s[0:1]
	s_barrier
	v_mov_b32_e32 v7, s6
	v_mov_b32_e32 v9, 0
.LBB769_129:
	v_add_u32_e32 v11, v10, v67
	v_add_u32_e32 v26, v1, v68
	;; [unrolled: 1-line block ×13, first 2 shown]
	s_waitcnt vmcnt(0) lgkmcnt(0)
	v_add_co_u32_e32 v2, vcc, v2, v8
	v_add_u32_e32 v68, v62, v74
	v_add_u32_e32 v64, v67, v64
	v_addc_co_u32_e32 v3, vcc, 0, v3, vcc
	v_add_u32_e32 v69, v68, v82
	v_add_u32_e32 v70, v64, v75
	v_sub_co_u32_e32 v24, vcc, v4, v6
	v_add_u32_e32 v71, v69, v76
	v_add_u32_e32 v65, v70, v65
	v_subbrev_co_u32_e32 v25, vcc, 0, v5, vcc
	v_lshlrev_b32_e32 v76, 1, v6
	v_sub_u32_e32 v1, v1, v9
	v_add_u32_e32 v73, v65, v77
	v_add_co_u32_e32 v24, vcc, v24, v9
	v_add_u32_e32 v77, v76, v7
	v_sub_u32_e32 v10, v10, v8
	v_add_u32_e32 v1, v1, v6
	v_addc_co_u32_e32 v25, vcc, 0, v25, vcc
	v_add_u32_e32 v36, v77, v36
	v_and_b32_e32 v38, 1, v38
	v_add_u32_e32 v77, v10, v1
	v_and_b32_e32 v37, 1, v37
	v_sub_u32_e32 v77, v36, v77
	v_cmp_eq_u32_e32 vcc, 1, v38
	v_cndmask_b32_e32 v1, v77, v1, vcc
	v_cmp_eq_u32_e32 vcc, 1, v37
	v_cndmask_b32_e32 v1, v1, v10, vcc
	v_lshlrev_b32_e32 v1, 2, v1
	ds_write_b32 v1, v22
	v_sub_u32_e32 v1, v11, v8
	v_sub_u32_e32 v11, v26, v9
	v_add_u32_e32 v11, v11, v6
	v_add_u32_e32 v26, v11, v1
	v_and_b32_e32 v22, 1, v40
	v_sub_u32_e32 v26, v36, v26
	v_and_b32_e32 v10, 1, v39
	v_add_u32_e32 v26, 1, v26
	v_cmp_eq_u32_e32 vcc, 1, v22
	v_cndmask_b32_e32 v11, v26, v11, vcc
	v_cmp_eq_u32_e32 vcc, 1, v10
	v_cndmask_b32_e32 v1, v11, v1, vcc
	v_lshlrev_b32_e32 v1, 2, v1
	v_sub_u32_e32 v11, v27, v9
	ds_write_b32 v1, v23
	v_sub_u32_e32 v1, v28, v8
	v_add_u32_e32 v11, v11, v6
	v_add_u32_e32 v23, v11, v1
	v_and_b32_e32 v22, 1, v42
	v_sub_u32_e32 v23, v36, v23
	v_and_b32_e32 v10, 1, v41
	v_add_u32_e32 v23, 2, v23
	v_cmp_eq_u32_e32 vcc, 1, v22
	v_cndmask_b32_e32 v11, v23, v11, vcc
	v_cmp_eq_u32_e32 vcc, 1, v10
	v_cndmask_b32_e32 v1, v11, v1, vcc
	v_lshlrev_b32_e32 v1, 2, v1
	v_sub_u32_e32 v11, v30, v9
	ds_write_b32 v1, v20
	;; [unrolled: 14-line block ×8, first 2 shown]
	v_sub_u32_e32 v1, v70, v8
	v_add_u32_e32 v11, v11, v6
	v_add_u32_e32 v16, v1, v11
	v_and_b32_e32 v14, 1, v55
	v_sub_u32_e32 v16, v36, v16
	v_and_b32_e32 v10, 1, v56
	v_add_u32_e32 v16, 9, v16
	v_cmp_eq_u32_e32 vcc, 1, v14
	v_cndmask_b32_e32 v11, v16, v11, vcc
	v_cmp_eq_u32_e32 vcc, 1, v10
	v_add_u32_e32 v72, v71, v83
	v_cndmask_b32_e32 v1, v11, v1, vcc
	v_lshlrev_b32_e32 v1, 2, v1
	v_sub_u32_e32 v11, v72, v9
	ds_write_b32 v1, v15
	v_sub_u32_e32 v1, v65, v8
	v_add_u32_e32 v11, v11, v6
	v_add_u32_e32 v15, v1, v11
	v_and_b32_e32 v14, 1, v57
	v_sub_u32_e32 v15, v36, v15
	v_and_b32_e32 v10, 1, v58
	v_add_u32_e32 v15, 10, v15
	v_cmp_eq_u32_e32 vcc, 1, v14
	v_cndmask_b32_e32 v11, v15, v11, vcc
	v_cmp_eq_u32_e32 vcc, 1, v10
	v_add_u32_e32 v74, v72, v78
	v_cndmask_b32_e32 v1, v11, v1, vcc
	v_lshlrev_b32_e32 v1, 2, v1
	v_sub_u32_e32 v11, v74, v9
	ds_write_b32 v1, v12
	v_sub_u32_e32 v1, v73, v8
	v_add_u32_e32 v11, v11, v6
	v_add_u32_e32 v14, v1, v11
	v_and_b32_e32 v12, 1, v59
	v_sub_u32_e32 v14, v36, v14
	v_and_b32_e32 v10, 1, v60
	v_add_u32_e32 v14, 11, v14
	v_cmp_eq_u32_e32 vcc, 1, v12
	v_cndmask_b32_e32 v11, v14, v11, vcc
	v_cmp_eq_u32_e32 vcc, 1, v10
	v_cndmask_b32_e32 v1, v11, v1, vcc
	v_add_u32_e32 v75, v74, v84
	v_add_u32_e32 v66, v73, v66
	v_lshlrev_b32_e32 v1, 2, v1
	ds_write_b32 v1, v13
	v_sub_u32_e32 v1, v66, v8
	v_sub_u32_e32 v8, v75, v9
	v_add_u32_e32 v8, v8, v6
	v_add_u32_e32 v10, v1, v8
	v_sub_u32_e32 v10, v36, v10
	v_add_u32_e32 v10, 12, v10
	v_cndmask_b32_e64 v8, v10, v8, s[54:55]
	v_cndmask_b32_e64 v1, v8, v1, s[52:53]
	v_lshlrev_b32_e32 v1, 2, v1
	ds_write_b32 v1, v35
	v_mov_b32_e32 v1, s49
	v_add_co_u32_e32 v8, vcc, s48, v34
	v_addc_co_u32_e32 v10, vcc, 0, v1, vcc
	v_add_co_u32_e32 v1, vcc, v7, v76
	v_addc_co_u32_e64 v11, s[4:5], 0, 0, vcc
	v_add_co_u32_e32 v1, vcc, v1, v24
	v_addc_co_u32_e32 v11, vcc, v11, v25, vcc
	v_add_co_u32_e32 v1, vcc, v1, v2
	v_addc_co_u32_e32 v11, vcc, v11, v3, vcc
	v_sub_co_u32_e32 v1, vcc, v8, v1
	v_subb_co_u32_e32 v8, vcc, v10, v11, vcc
	v_lshlrev_b64 v[10:11], 2, v[24:25]
	v_mov_b32_e32 v12, s47
	v_add_co_u32_e32 v10, vcc, s46, v10
	v_addc_co_u32_e32 v11, vcc, v12, v11, vcc
	v_lshlrev_b64 v[12:13], 2, v[2:3]
	v_mov_b32_e32 v15, s45
	v_add_co_u32_e32 v12, vcc, s44, v12
	s_add_u32 s8, s34, -4
	v_addc_co_u32_e32 v13, vcc, v15, v13, vcc
	s_addc_u32 s9, s35, -1
	v_add_u32_e32 v14, v6, v7
	s_and_b64 vcc, exec, s[2:3]
	s_mov_b64 s[2:3], -1
	s_waitcnt lgkmcnt(0)
	s_barrier
	s_cbranch_vccz .LBB769_133
; %bb.130:
	s_and_b64 vcc, exec, s[2:3]
	s_cbranch_vccnz .LBB769_238
.LBB769_131:
	s_and_b64 s[0:1], s[0:1], s[30:31]
	s_and_saveexec_b64 s[2:3], s[0:1]
	s_cbranch_execnz .LBB769_356
.LBB769_132:
	s_endpgm
.LBB769_133:
	v_cmp_le_u32_e32 vcc, v6, v0
	s_and_saveexec_b64 s[2:3], vcc
	s_xor_b64 s[2:3], exec, s[2:3]
	s_cbranch_execz .LBB769_139
; %bb.134:
	v_cmp_le_u32_e32 vcc, v14, v0
	s_and_saveexec_b64 s[4:5], vcc
	s_xor_b64 s[4:5], exec, s[4:5]
	s_cbranch_execz .LBB769_136
; %bb.135:
	v_lshlrev_b32_e32 v15, 2, v0
	v_add_co_u32_e32 v16, vcc, v1, v0
	ds_read_b32 v15, v15
	v_addc_co_u32_e32 v17, vcc, 0, v8, vcc
	v_lshlrev_b64 v[16:17], 2, v[16:17]
	v_mov_b32_e32 v18, s35
	v_sub_co_u32_e32 v16, vcc, s34, v16
	v_subb_co_u32_e32 v17, vcc, v18, v17, vcc
	s_waitcnt lgkmcnt(0)
	global_store_dword v[16:17], v15, off offset:-4
.LBB769_136:
	s_andn2_saveexec_b64 s[4:5], s[4:5]
	s_cbranch_execz .LBB769_138
; %bb.137:
	v_lshlrev_b32_e32 v15, 2, v0
	ds_read_b32 v16, v15
	v_readfirstlane_b32 s6, v10
	v_readfirstlane_b32 s7, v11
	s_waitcnt lgkmcnt(0)
	s_nop 3
	global_store_dword v15, v16, s[6:7]
.LBB769_138:
	s_or_b64 exec, exec, s[4:5]
.LBB769_139:
	s_andn2_saveexec_b64 s[2:3], s[2:3]
	s_cbranch_execz .LBB769_141
; %bb.140:
	v_lshlrev_b32_e32 v15, 2, v0
	ds_read_b32 v16, v15
	v_readfirstlane_b32 s4, v12
	v_readfirstlane_b32 s5, v13
	s_waitcnt lgkmcnt(0)
	s_nop 3
	global_store_dword v15, v16, s[4:5]
.LBB769_141:
	s_or_b64 exec, exec, s[2:3]
	v_or_b32_e32 v15, 0x100, v0
	v_cmp_le_u32_e32 vcc, v6, v15
	s_and_saveexec_b64 s[2:3], vcc
	s_xor_b64 s[2:3], exec, s[2:3]
	s_cbranch_execz .LBB769_147
; %bb.142:
	v_cmp_le_u32_e32 vcc, v14, v15
	s_and_saveexec_b64 s[4:5], vcc
	s_xor_b64 s[4:5], exec, s[4:5]
	s_cbranch_execz .LBB769_144
; %bb.143:
	v_lshlrev_b32_e32 v15, 2, v0
	ds_read_b32 v15, v15 offset:1024
	v_add_co_u32_e32 v16, vcc, v1, v0
	v_addc_co_u32_e32 v17, vcc, 0, v8, vcc
	v_lshlrev_b64 v[16:17], 2, v[16:17]
	v_mov_b32_e32 v18, s9
	v_sub_co_u32_e32 v16, vcc, s8, v16
	v_subb_co_u32_e32 v17, vcc, v18, v17, vcc
	s_waitcnt lgkmcnt(0)
	global_store_dword v[16:17], v15, off offset:-1024
.LBB769_144:
	s_andn2_saveexec_b64 s[4:5], s[4:5]
	s_cbranch_execz .LBB769_146
; %bb.145:
	v_lshlrev_b32_e32 v15, 2, v0
	ds_read_b32 v16, v15 offset:1024
	v_readfirstlane_b32 s6, v10
	v_readfirstlane_b32 s7, v11
	s_waitcnt lgkmcnt(0)
	s_nop 3
	global_store_dword v15, v16, s[6:7] offset:1024
.LBB769_146:
	s_or_b64 exec, exec, s[4:5]
.LBB769_147:
	s_andn2_saveexec_b64 s[2:3], s[2:3]
	s_cbranch_execz .LBB769_149
; %bb.148:
	v_lshlrev_b32_e32 v15, 2, v0
	ds_read_b32 v16, v15 offset:1024
	v_readfirstlane_b32 s4, v12
	v_readfirstlane_b32 s5, v13
	s_waitcnt lgkmcnt(0)
	s_nop 3
	global_store_dword v15, v16, s[4:5] offset:1024
.LBB769_149:
	s_or_b64 exec, exec, s[2:3]
	v_or_b32_e32 v15, 0x200, v0
	v_cmp_le_u32_e32 vcc, v6, v15
	s_and_saveexec_b64 s[2:3], vcc
	s_xor_b64 s[2:3], exec, s[2:3]
	s_cbranch_execz .LBB769_155
; %bb.150:
	v_cmp_le_u32_e32 vcc, v14, v15
	s_and_saveexec_b64 s[4:5], vcc
	s_xor_b64 s[4:5], exec, s[4:5]
	s_cbranch_execz .LBB769_152
; %bb.151:
	v_lshlrev_b32_e32 v15, 2, v0
	ds_read_b32 v15, v15 offset:2048
	v_add_co_u32_e32 v16, vcc, v1, v0
	v_addc_co_u32_e32 v17, vcc, 0, v8, vcc
	v_lshlrev_b64 v[16:17], 2, v[16:17]
	v_mov_b32_e32 v18, s9
	v_sub_co_u32_e32 v16, vcc, s8, v16
	v_subb_co_u32_e32 v17, vcc, v18, v17, vcc
	s_waitcnt lgkmcnt(0)
	global_store_dword v[16:17], v15, off offset:-2048
.LBB769_152:
	s_andn2_saveexec_b64 s[4:5], s[4:5]
	s_cbranch_execz .LBB769_154
; %bb.153:
	v_lshlrev_b32_e32 v15, 2, v0
	ds_read_b32 v16, v15 offset:2048
	v_readfirstlane_b32 s6, v10
	v_readfirstlane_b32 s7, v11
	s_waitcnt lgkmcnt(0)
	s_nop 3
	global_store_dword v15, v16, s[6:7] offset:2048
.LBB769_154:
	s_or_b64 exec, exec, s[4:5]
.LBB769_155:
	s_andn2_saveexec_b64 s[2:3], s[2:3]
	s_cbranch_execz .LBB769_157
; %bb.156:
	v_lshlrev_b32_e32 v15, 2, v0
	ds_read_b32 v16, v15 offset:2048
	v_readfirstlane_b32 s4, v12
	v_readfirstlane_b32 s5, v13
	s_waitcnt lgkmcnt(0)
	s_nop 3
	global_store_dword v15, v16, s[4:5] offset:2048
.LBB769_157:
	;; [unrolled: 47-line block ×3, first 2 shown]
	s_or_b64 exec, exec, s[2:3]
	v_or_b32_e32 v15, 0x400, v0
	v_cmp_le_u32_e32 vcc, v6, v15
	s_and_saveexec_b64 s[2:3], vcc
	s_xor_b64 s[2:3], exec, s[2:3]
	s_cbranch_execz .LBB769_171
; %bb.166:
	v_cmp_le_u32_e32 vcc, v14, v15
	s_and_saveexec_b64 s[4:5], vcc
	s_xor_b64 s[4:5], exec, s[4:5]
	s_cbranch_execz .LBB769_168
; %bb.167:
	v_lshlrev_b32_e32 v15, 2, v0
	ds_read_b32 v15, v15 offset:4096
	v_add_co_u32_e32 v16, vcc, v1, v0
	v_addc_co_u32_e32 v17, vcc, 0, v8, vcc
	v_lshlrev_b64 v[16:17], 2, v[16:17]
	v_mov_b32_e32 v18, s9
	v_sub_co_u32_e32 v16, vcc, s8, v16
	v_subb_co_u32_e32 v17, vcc, v18, v17, vcc
	s_waitcnt lgkmcnt(0)
	global_store_dword v[16:17], v15, off offset:-4096
                                        ; implicit-def: $vgpr15
.LBB769_168:
	s_andn2_saveexec_b64 s[4:5], s[4:5]
	s_cbranch_execz .LBB769_170
; %bb.169:
	v_lshlrev_b32_e32 v16, 2, v0
	ds_read_b32 v16, v16 offset:4096
	v_lshlrev_b32_e32 v15, 2, v15
	v_readfirstlane_b32 s6, v10
	v_readfirstlane_b32 s7, v11
	s_waitcnt lgkmcnt(0)
	s_nop 3
	global_store_dword v15, v16, s[6:7]
.LBB769_170:
	s_or_b64 exec, exec, s[4:5]
                                        ; implicit-def: $vgpr15
.LBB769_171:
	s_andn2_saveexec_b64 s[2:3], s[2:3]
	s_cbranch_execz .LBB769_173
; %bb.172:
	v_lshlrev_b32_e32 v16, 2, v0
	ds_read_b32 v16, v16 offset:4096
	v_lshlrev_b32_e32 v15, 2, v15
	v_readfirstlane_b32 s4, v12
	v_readfirstlane_b32 s5, v13
	s_waitcnt lgkmcnt(0)
	s_nop 3
	global_store_dword v15, v16, s[4:5]
.LBB769_173:
	s_or_b64 exec, exec, s[2:3]
	v_or_b32_e32 v15, 0x500, v0
	v_cmp_le_u32_e32 vcc, v6, v15
	s_and_saveexec_b64 s[2:3], vcc
	s_xor_b64 s[2:3], exec, s[2:3]
	s_cbranch_execz .LBB769_179
; %bb.174:
	v_cmp_le_u32_e32 vcc, v14, v15
	s_and_saveexec_b64 s[4:5], vcc
	s_xor_b64 s[4:5], exec, s[4:5]
	s_cbranch_execz .LBB769_176
; %bb.175:
	v_add_co_u32_e32 v16, vcc, v1, v15
	v_lshlrev_b32_e32 v15, 2, v0
	ds_read_b32 v15, v15 offset:5120
	v_addc_co_u32_e32 v17, vcc, 0, v8, vcc
	v_lshlrev_b64 v[16:17], 2, v[16:17]
	v_mov_b32_e32 v18, s9
	v_sub_co_u32_e32 v16, vcc, s8, v16
	v_subb_co_u32_e32 v17, vcc, v18, v17, vcc
	s_waitcnt lgkmcnt(0)
	global_store_dword v[16:17], v15, off
                                        ; implicit-def: $vgpr15
.LBB769_176:
	s_andn2_saveexec_b64 s[4:5], s[4:5]
	s_cbranch_execz .LBB769_178
; %bb.177:
	v_lshlrev_b32_e32 v16, 2, v0
	ds_read_b32 v16, v16 offset:5120
	v_lshlrev_b32_e32 v15, 2, v15
	v_readfirstlane_b32 s6, v10
	v_readfirstlane_b32 s7, v11
	s_waitcnt lgkmcnt(0)
	s_nop 3
	global_store_dword v15, v16, s[6:7]
.LBB769_178:
	s_or_b64 exec, exec, s[4:5]
                                        ; implicit-def: $vgpr15
.LBB769_179:
	s_andn2_saveexec_b64 s[2:3], s[2:3]
	s_cbranch_execz .LBB769_181
; %bb.180:
	v_lshlrev_b32_e32 v16, 2, v0
	ds_read_b32 v16, v16 offset:5120
	v_lshlrev_b32_e32 v15, 2, v15
	v_readfirstlane_b32 s4, v12
	v_readfirstlane_b32 s5, v13
	s_waitcnt lgkmcnt(0)
	s_nop 3
	global_store_dword v15, v16, s[4:5]
.LBB769_181:
	s_or_b64 exec, exec, s[2:3]
	v_or_b32_e32 v15, 0x600, v0
	v_cmp_le_u32_e32 vcc, v6, v15
	s_and_saveexec_b64 s[2:3], vcc
	s_xor_b64 s[2:3], exec, s[2:3]
	s_cbranch_execz .LBB769_187
; %bb.182:
	v_cmp_le_u32_e32 vcc, v14, v15
	s_and_saveexec_b64 s[4:5], vcc
	s_xor_b64 s[4:5], exec, s[4:5]
	s_cbranch_execz .LBB769_184
; %bb.183:
	v_add_co_u32_e32 v16, vcc, v1, v15
	v_lshlrev_b32_e32 v15, 2, v0
	ds_read_b32 v15, v15 offset:6144
	v_addc_co_u32_e32 v17, vcc, 0, v8, vcc
	v_lshlrev_b64 v[16:17], 2, v[16:17]
	v_mov_b32_e32 v18, s9
	v_sub_co_u32_e32 v16, vcc, s8, v16
	v_subb_co_u32_e32 v17, vcc, v18, v17, vcc
	s_waitcnt lgkmcnt(0)
	global_store_dword v[16:17], v15, off
                                        ; implicit-def: $vgpr15
.LBB769_184:
	s_andn2_saveexec_b64 s[4:5], s[4:5]
	s_cbranch_execz .LBB769_186
; %bb.185:
	v_lshlrev_b32_e32 v16, 2, v0
	ds_read_b32 v16, v16 offset:6144
	v_lshlrev_b32_e32 v15, 2, v15
	v_readfirstlane_b32 s6, v10
	v_readfirstlane_b32 s7, v11
	s_waitcnt lgkmcnt(0)
	s_nop 3
	global_store_dword v15, v16, s[6:7]
.LBB769_186:
	s_or_b64 exec, exec, s[4:5]
                                        ; implicit-def: $vgpr15
.LBB769_187:
	;; [unrolled: 51-line block ×8, first 2 shown]
	s_andn2_saveexec_b64 s[2:3], s[2:3]
	s_cbranch_execz .LBB769_237
; %bb.236:
	v_lshlrev_b32_e32 v16, 2, v0
	ds_read_b32 v16, v16 offset:12288
	v_lshlrev_b32_e32 v15, 2, v15
	v_readfirstlane_b32 s4, v12
	v_readfirstlane_b32 s5, v13
	s_waitcnt lgkmcnt(0)
	s_nop 3
	global_store_dword v15, v16, s[4:5]
.LBB769_237:
	s_or_b64 exec, exec, s[2:3]
	s_branch .LBB769_131
.LBB769_238:
	v_cmp_gt_u32_e32 vcc, s16, v0
	s_and_saveexec_b64 s[2:3], vcc
	s_cbranch_execz .LBB769_247
; %bb.239:
	v_cmp_le_u32_e32 vcc, v6, v0
	s_and_saveexec_b64 s[4:5], vcc
	s_xor_b64 s[4:5], exec, s[4:5]
	s_cbranch_execz .LBB769_245
; %bb.240:
	v_cmp_le_u32_e32 vcc, v14, v0
	s_and_saveexec_b64 s[6:7], vcc
	s_xor_b64 s[6:7], exec, s[6:7]
	s_cbranch_execz .LBB769_242
; %bb.241:
	v_lshlrev_b32_e32 v15, 2, v0
	v_add_co_u32_e32 v16, vcc, v1, v0
	ds_read_b32 v15, v15
	v_addc_co_u32_e32 v17, vcc, 0, v8, vcc
	v_lshlrev_b64 v[16:17], 2, v[16:17]
	v_mov_b32_e32 v18, s35
	v_sub_co_u32_e32 v16, vcc, s34, v16
	v_subb_co_u32_e32 v17, vcc, v18, v17, vcc
	s_waitcnt lgkmcnt(0)
	global_store_dword v[16:17], v15, off offset:-4
.LBB769_242:
	s_andn2_saveexec_b64 s[6:7], s[6:7]
	s_cbranch_execz .LBB769_244
; %bb.243:
	v_lshlrev_b32_e32 v15, 2, v0
	ds_read_b32 v16, v15
	v_readfirstlane_b32 s10, v10
	v_readfirstlane_b32 s11, v11
	s_waitcnt lgkmcnt(0)
	s_nop 3
	global_store_dword v15, v16, s[10:11]
.LBB769_244:
	s_or_b64 exec, exec, s[6:7]
.LBB769_245:
	s_andn2_saveexec_b64 s[4:5], s[4:5]
	s_cbranch_execz .LBB769_247
; %bb.246:
	v_lshlrev_b32_e32 v15, 2, v0
	ds_read_b32 v16, v15
	v_readfirstlane_b32 s4, v12
	v_readfirstlane_b32 s5, v13
	s_waitcnt lgkmcnt(0)
	s_nop 3
	global_store_dword v15, v16, s[4:5]
.LBB769_247:
	s_or_b64 exec, exec, s[2:3]
	v_or_b32_e32 v15, 0x100, v0
	v_cmp_gt_u32_e32 vcc, s16, v15
	s_and_saveexec_b64 s[2:3], vcc
	s_cbranch_execz .LBB769_256
; %bb.248:
	v_cmp_le_u32_e32 vcc, v6, v15
	s_and_saveexec_b64 s[4:5], vcc
	s_xor_b64 s[4:5], exec, s[4:5]
	s_cbranch_execz .LBB769_254
; %bb.249:
	v_cmp_le_u32_e32 vcc, v14, v15
	s_and_saveexec_b64 s[6:7], vcc
	s_xor_b64 s[6:7], exec, s[6:7]
	s_cbranch_execz .LBB769_251
; %bb.250:
	v_lshlrev_b32_e32 v15, 2, v0
	ds_read_b32 v15, v15 offset:1024
	v_add_co_u32_e32 v16, vcc, v1, v0
	v_addc_co_u32_e32 v17, vcc, 0, v8, vcc
	v_lshlrev_b64 v[16:17], 2, v[16:17]
	v_mov_b32_e32 v18, s9
	v_sub_co_u32_e32 v16, vcc, s8, v16
	v_subb_co_u32_e32 v17, vcc, v18, v17, vcc
	s_waitcnt lgkmcnt(0)
	global_store_dword v[16:17], v15, off offset:-1024
.LBB769_251:
	s_andn2_saveexec_b64 s[6:7], s[6:7]
	s_cbranch_execz .LBB769_253
; %bb.252:
	v_lshlrev_b32_e32 v15, 2, v0
	ds_read_b32 v16, v15 offset:1024
	v_readfirstlane_b32 s10, v10
	v_readfirstlane_b32 s11, v11
	s_waitcnt lgkmcnt(0)
	s_nop 3
	global_store_dword v15, v16, s[10:11] offset:1024
.LBB769_253:
	s_or_b64 exec, exec, s[6:7]
.LBB769_254:
	s_andn2_saveexec_b64 s[4:5], s[4:5]
	s_cbranch_execz .LBB769_256
; %bb.255:
	v_lshlrev_b32_e32 v15, 2, v0
	ds_read_b32 v16, v15 offset:1024
	v_readfirstlane_b32 s4, v12
	v_readfirstlane_b32 s5, v13
	s_waitcnt lgkmcnt(0)
	s_nop 3
	global_store_dword v15, v16, s[4:5] offset:1024
.LBB769_256:
	s_or_b64 exec, exec, s[2:3]
	v_or_b32_e32 v15, 0x200, v0
	v_cmp_gt_u32_e32 vcc, s16, v15
	s_and_saveexec_b64 s[2:3], vcc
	s_cbranch_execz .LBB769_265
; %bb.257:
	v_cmp_le_u32_e32 vcc, v6, v15
	s_and_saveexec_b64 s[4:5], vcc
	s_xor_b64 s[4:5], exec, s[4:5]
	s_cbranch_execz .LBB769_263
; %bb.258:
	v_cmp_le_u32_e32 vcc, v14, v15
	s_and_saveexec_b64 s[6:7], vcc
	s_xor_b64 s[6:7], exec, s[6:7]
	s_cbranch_execz .LBB769_260
; %bb.259:
	v_lshlrev_b32_e32 v15, 2, v0
	ds_read_b32 v15, v15 offset:2048
	v_add_co_u32_e32 v16, vcc, v1, v0
	v_addc_co_u32_e32 v17, vcc, 0, v8, vcc
	v_lshlrev_b64 v[16:17], 2, v[16:17]
	v_mov_b32_e32 v18, s9
	v_sub_co_u32_e32 v16, vcc, s8, v16
	v_subb_co_u32_e32 v17, vcc, v18, v17, vcc
	s_waitcnt lgkmcnt(0)
	global_store_dword v[16:17], v15, off offset:-2048
.LBB769_260:
	s_andn2_saveexec_b64 s[6:7], s[6:7]
	s_cbranch_execz .LBB769_262
; %bb.261:
	v_lshlrev_b32_e32 v15, 2, v0
	ds_read_b32 v16, v15 offset:2048
	v_readfirstlane_b32 s10, v10
	v_readfirstlane_b32 s11, v11
	s_waitcnt lgkmcnt(0)
	s_nop 3
	global_store_dword v15, v16, s[10:11] offset:2048
.LBB769_262:
	s_or_b64 exec, exec, s[6:7]
.LBB769_263:
	s_andn2_saveexec_b64 s[4:5], s[4:5]
	s_cbranch_execz .LBB769_265
; %bb.264:
	v_lshlrev_b32_e32 v15, 2, v0
	ds_read_b32 v16, v15 offset:2048
	v_readfirstlane_b32 s4, v12
	v_readfirstlane_b32 s5, v13
	s_waitcnt lgkmcnt(0)
	s_nop 3
	global_store_dword v15, v16, s[4:5] offset:2048
.LBB769_265:
	;; [unrolled: 51-line block ×3, first 2 shown]
	s_or_b64 exec, exec, s[2:3]
	v_or_b32_e32 v15, 0x400, v0
	v_cmp_gt_u32_e32 vcc, s16, v15
	s_and_saveexec_b64 s[2:3], vcc
	s_cbranch_execz .LBB769_283
; %bb.275:
	v_cmp_le_u32_e32 vcc, v6, v15
	s_and_saveexec_b64 s[4:5], vcc
	s_xor_b64 s[4:5], exec, s[4:5]
	s_cbranch_execz .LBB769_281
; %bb.276:
	v_cmp_le_u32_e32 vcc, v14, v15
	s_and_saveexec_b64 s[6:7], vcc
	s_xor_b64 s[6:7], exec, s[6:7]
	s_cbranch_execz .LBB769_278
; %bb.277:
	v_lshlrev_b32_e32 v15, 2, v0
	ds_read_b32 v15, v15 offset:4096
	v_add_co_u32_e32 v16, vcc, v1, v0
	v_addc_co_u32_e32 v17, vcc, 0, v8, vcc
	v_lshlrev_b64 v[16:17], 2, v[16:17]
	v_mov_b32_e32 v18, s9
	v_sub_co_u32_e32 v16, vcc, s8, v16
	v_subb_co_u32_e32 v17, vcc, v18, v17, vcc
	s_waitcnt lgkmcnt(0)
	global_store_dword v[16:17], v15, off offset:-4096
                                        ; implicit-def: $vgpr15
.LBB769_278:
	s_andn2_saveexec_b64 s[6:7], s[6:7]
	s_cbranch_execz .LBB769_280
; %bb.279:
	v_lshlrev_b32_e32 v16, 2, v0
	ds_read_b32 v16, v16 offset:4096
	v_lshlrev_b32_e32 v15, 2, v15
	v_readfirstlane_b32 s10, v10
	v_readfirstlane_b32 s11, v11
	s_waitcnt lgkmcnt(0)
	s_nop 3
	global_store_dword v15, v16, s[10:11]
.LBB769_280:
	s_or_b64 exec, exec, s[6:7]
                                        ; implicit-def: $vgpr15
.LBB769_281:
	s_andn2_saveexec_b64 s[4:5], s[4:5]
	s_cbranch_execz .LBB769_283
; %bb.282:
	v_lshlrev_b32_e32 v16, 2, v0
	ds_read_b32 v16, v16 offset:4096
	v_lshlrev_b32_e32 v15, 2, v15
	v_readfirstlane_b32 s4, v12
	v_readfirstlane_b32 s5, v13
	s_waitcnt lgkmcnt(0)
	s_nop 3
	global_store_dword v15, v16, s[4:5]
.LBB769_283:
	s_or_b64 exec, exec, s[2:3]
	v_or_b32_e32 v15, 0x500, v0
	v_cmp_gt_u32_e32 vcc, s16, v15
	s_and_saveexec_b64 s[2:3], vcc
	s_cbranch_execz .LBB769_292
; %bb.284:
	v_cmp_le_u32_e32 vcc, v6, v15
	s_and_saveexec_b64 s[4:5], vcc
	s_xor_b64 s[4:5], exec, s[4:5]
	s_cbranch_execz .LBB769_290
; %bb.285:
	v_cmp_le_u32_e32 vcc, v14, v15
	s_and_saveexec_b64 s[6:7], vcc
	s_xor_b64 s[6:7], exec, s[6:7]
	s_cbranch_execz .LBB769_287
; %bb.286:
	v_add_co_u32_e32 v16, vcc, v1, v15
	v_lshlrev_b32_e32 v15, 2, v0
	ds_read_b32 v15, v15 offset:5120
	v_addc_co_u32_e32 v17, vcc, 0, v8, vcc
	v_lshlrev_b64 v[16:17], 2, v[16:17]
	v_mov_b32_e32 v18, s9
	v_sub_co_u32_e32 v16, vcc, s8, v16
	v_subb_co_u32_e32 v17, vcc, v18, v17, vcc
	s_waitcnt lgkmcnt(0)
	global_store_dword v[16:17], v15, off
                                        ; implicit-def: $vgpr15
.LBB769_287:
	s_andn2_saveexec_b64 s[6:7], s[6:7]
	s_cbranch_execz .LBB769_289
; %bb.288:
	v_lshlrev_b32_e32 v16, 2, v0
	ds_read_b32 v16, v16 offset:5120
	v_lshlrev_b32_e32 v15, 2, v15
	v_readfirstlane_b32 s10, v10
	v_readfirstlane_b32 s11, v11
	s_waitcnt lgkmcnt(0)
	s_nop 3
	global_store_dword v15, v16, s[10:11]
.LBB769_289:
	s_or_b64 exec, exec, s[6:7]
                                        ; implicit-def: $vgpr15
.LBB769_290:
	s_andn2_saveexec_b64 s[4:5], s[4:5]
	s_cbranch_execz .LBB769_292
; %bb.291:
	v_lshlrev_b32_e32 v16, 2, v0
	ds_read_b32 v16, v16 offset:5120
	v_lshlrev_b32_e32 v15, 2, v15
	v_readfirstlane_b32 s4, v12
	v_readfirstlane_b32 s5, v13
	s_waitcnt lgkmcnt(0)
	s_nop 3
	global_store_dword v15, v16, s[4:5]
.LBB769_292:
	s_or_b64 exec, exec, s[2:3]
	v_or_b32_e32 v15, 0x600, v0
	v_cmp_gt_u32_e32 vcc, s16, v15
	s_and_saveexec_b64 s[2:3], vcc
	s_cbranch_execz .LBB769_301
; %bb.293:
	v_cmp_le_u32_e32 vcc, v6, v15
	s_and_saveexec_b64 s[4:5], vcc
	s_xor_b64 s[4:5], exec, s[4:5]
	s_cbranch_execz .LBB769_299
; %bb.294:
	v_cmp_le_u32_e32 vcc, v14, v15
	s_and_saveexec_b64 s[6:7], vcc
	s_xor_b64 s[6:7], exec, s[6:7]
	s_cbranch_execz .LBB769_296
; %bb.295:
	v_add_co_u32_e32 v16, vcc, v1, v15
	v_lshlrev_b32_e32 v15, 2, v0
	ds_read_b32 v15, v15 offset:6144
	v_addc_co_u32_e32 v17, vcc, 0, v8, vcc
	v_lshlrev_b64 v[16:17], 2, v[16:17]
	v_mov_b32_e32 v18, s9
	v_sub_co_u32_e32 v16, vcc, s8, v16
	v_subb_co_u32_e32 v17, vcc, v18, v17, vcc
	s_waitcnt lgkmcnt(0)
	global_store_dword v[16:17], v15, off
                                        ; implicit-def: $vgpr15
.LBB769_296:
	s_andn2_saveexec_b64 s[6:7], s[6:7]
	s_cbranch_execz .LBB769_298
; %bb.297:
	v_lshlrev_b32_e32 v16, 2, v0
	ds_read_b32 v16, v16 offset:6144
	v_lshlrev_b32_e32 v15, 2, v15
	v_readfirstlane_b32 s10, v10
	v_readfirstlane_b32 s11, v11
	s_waitcnt lgkmcnt(0)
	s_nop 3
	global_store_dword v15, v16, s[10:11]
.LBB769_298:
	s_or_b64 exec, exec, s[6:7]
                                        ; implicit-def: $vgpr15
.LBB769_299:
	s_andn2_saveexec_b64 s[4:5], s[4:5]
	s_cbranch_execz .LBB769_301
; %bb.300:
	v_lshlrev_b32_e32 v16, 2, v0
	ds_read_b32 v16, v16 offset:6144
	v_lshlrev_b32_e32 v15, 2, v15
	v_readfirstlane_b32 s4, v12
	v_readfirstlane_b32 s5, v13
	s_waitcnt lgkmcnt(0)
	s_nop 3
	global_store_dword v15, v16, s[4:5]
.LBB769_301:
	;; [unrolled: 55-line block ×7, first 2 shown]
	s_or_b64 exec, exec, s[2:3]
	v_or_b32_e32 v15, 0xc00, v0
	v_cmp_gt_u32_e32 vcc, s16, v15
	s_and_saveexec_b64 s[2:3], vcc
	s_cbranch_execz .LBB769_355
; %bb.347:
	v_cmp_le_u32_e32 vcc, v6, v15
	s_and_saveexec_b64 s[4:5], vcc
	s_xor_b64 s[4:5], exec, s[4:5]
	s_cbranch_execz .LBB769_353
; %bb.348:
	v_cmp_le_u32_e32 vcc, v14, v15
	s_and_saveexec_b64 s[6:7], vcc
	s_xor_b64 s[6:7], exec, s[6:7]
	s_cbranch_execz .LBB769_350
; %bb.349:
	v_add_co_u32_e32 v10, vcc, v1, v15
	v_lshlrev_b32_e32 v0, 2, v0
	v_addc_co_u32_e32 v11, vcc, 0, v8, vcc
	ds_read_b32 v8, v0 offset:12288
	v_lshlrev_b64 v[0:1], 2, v[10:11]
	v_mov_b32_e32 v10, s9
	v_sub_co_u32_e32 v0, vcc, s8, v0
	v_subb_co_u32_e32 v1, vcc, v10, v1, vcc
	s_waitcnt lgkmcnt(0)
	global_store_dword v[0:1], v8, off
                                        ; implicit-def: $vgpr0
                                        ; implicit-def: $vgpr15
                                        ; implicit-def: $vgpr10_vgpr11
.LBB769_350:
	s_andn2_saveexec_b64 s[6:7], s[6:7]
	s_cbranch_execz .LBB769_352
; %bb.351:
	v_lshlrev_b32_e32 v0, 2, v0
	ds_read_b32 v0, v0 offset:12288
	v_lshlrev_b32_e32 v1, 2, v15
	v_readfirstlane_b32 s8, v10
	v_readfirstlane_b32 s9, v11
	s_waitcnt lgkmcnt(0)
	s_nop 3
	global_store_dword v1, v0, s[8:9]
.LBB769_352:
	s_or_b64 exec, exec, s[6:7]
                                        ; implicit-def: $vgpr0
                                        ; implicit-def: $vgpr15
                                        ; implicit-def: $vgpr12_vgpr13
.LBB769_353:
	s_andn2_saveexec_b64 s[4:5], s[4:5]
	s_cbranch_execz .LBB769_355
; %bb.354:
	v_lshlrev_b32_e32 v0, 2, v0
	ds_read_b32 v0, v0 offset:12288
	v_lshlrev_b32_e32 v1, 2, v15
	v_readfirstlane_b32 s4, v12
	v_readfirstlane_b32 s5, v13
	s_waitcnt lgkmcnt(0)
	s_nop 3
	global_store_dword v1, v0, s[4:5]
.LBB769_355:
	s_or_b64 exec, exec, s[2:3]
	s_and_b64 s[0:1], s[0:1], s[30:31]
	s_and_saveexec_b64 s[2:3], s[0:1]
	s_cbranch_execz .LBB769_132
.LBB769_356:
	v_add_co_u32_e32 v0, vcc, v2, v6
	v_addc_co_u32_e32 v1, vcc, 0, v3, vcc
	v_add_co_u32_e32 v2, vcc, v4, v7
	v_addc_co_u32_e32 v3, vcc, 0, v5, vcc
	v_add_co_u32_e32 v2, vcc, v2, v9
	v_mov_b32_e32 v8, 0
	v_addc_co_u32_e32 v3, vcc, 0, v3, vcc
	global_store_dwordx4 v8, v[0:3], s[28:29]
	s_endpgm
	.section	.rodata,"a",@progbits
	.p2align	6, 0x0
	.amdhsa_kernel _ZN7rocprim17ROCPRIM_400000_NS6detail17trampoline_kernelINS0_13select_configILj256ELj13ELNS0_17block_load_methodE3ELS4_3ELS4_3ELNS0_20block_scan_algorithmE0ELj4294967295EEENS1_25partition_config_selectorILNS1_17partition_subalgoE4EjNS0_10empty_typeEbEEZZNS1_14partition_implILS8_4ELb0ES6_15HIP_vector_typeIjLj2EENS0_17counting_iteratorIjlEEPS9_SG_NS0_5tupleIJPjSI_NS0_16reverse_iteratorISI_EEEEENSH_IJSG_SG_SG_EEES9_SI_JZNS1_25segmented_radix_sort_implINS0_14default_configELb0EPKlPlSQ_SR_N2at6native12_GLOBAL__N_18offset_tEEE10hipError_tPvRmT1_PNSt15iterator_traitsISZ_E10value_typeET2_T3_PNS10_IS15_E10value_typeET4_jRbjT5_S1B_jjP12ihipStream_tbEUljE_ZNSN_ISO_Lb0ESQ_SR_SQ_SR_SV_EESW_SX_SY_SZ_S13_S14_S15_S18_S19_jS1A_jS1B_S1B_jjS1D_bEUljE0_EEESW_SX_SY_S15_S19_S1B_T6_T7_T9_mT8_S1D_bDpT10_ENKUlT_T0_E_clISt17integral_constantIbLb0EES1Q_IbLb1EEEEDaS1M_S1N_EUlS1M_E_NS1_11comp_targetILNS1_3genE4ELNS1_11target_archE910ELNS1_3gpuE8ELNS1_3repE0EEENS1_30default_config_static_selectorELNS0_4arch9wavefront6targetE1EEEvSZ_
		.amdhsa_group_segment_fixed_size 13340
		.amdhsa_private_segment_fixed_size 0
		.amdhsa_kernarg_size 184
		.amdhsa_user_sgpr_count 6
		.amdhsa_user_sgpr_private_segment_buffer 1
		.amdhsa_user_sgpr_dispatch_ptr 0
		.amdhsa_user_sgpr_queue_ptr 0
		.amdhsa_user_sgpr_kernarg_segment_ptr 1
		.amdhsa_user_sgpr_dispatch_id 0
		.amdhsa_user_sgpr_flat_scratch_init 0
		.amdhsa_user_sgpr_kernarg_preload_length 0
		.amdhsa_user_sgpr_kernarg_preload_offset 0
		.amdhsa_user_sgpr_private_segment_size 0
		.amdhsa_uses_dynamic_stack 0
		.amdhsa_system_sgpr_private_segment_wavefront_offset 0
		.amdhsa_system_sgpr_workgroup_id_x 1
		.amdhsa_system_sgpr_workgroup_id_y 0
		.amdhsa_system_sgpr_workgroup_id_z 0
		.amdhsa_system_sgpr_workgroup_info 0
		.amdhsa_system_vgpr_workitem_id 0
		.amdhsa_next_free_vgpr 107
		.amdhsa_next_free_sgpr 87
		.amdhsa_accum_offset 108
		.amdhsa_reserve_vcc 1
		.amdhsa_reserve_flat_scratch 0
		.amdhsa_float_round_mode_32 0
		.amdhsa_float_round_mode_16_64 0
		.amdhsa_float_denorm_mode_32 3
		.amdhsa_float_denorm_mode_16_64 3
		.amdhsa_dx10_clamp 1
		.amdhsa_ieee_mode 1
		.amdhsa_fp16_overflow 0
		.amdhsa_tg_split 0
		.amdhsa_exception_fp_ieee_invalid_op 0
		.amdhsa_exception_fp_denorm_src 0
		.amdhsa_exception_fp_ieee_div_zero 0
		.amdhsa_exception_fp_ieee_overflow 0
		.amdhsa_exception_fp_ieee_underflow 0
		.amdhsa_exception_fp_ieee_inexact 0
		.amdhsa_exception_int_div_zero 0
	.end_amdhsa_kernel
	.section	.text._ZN7rocprim17ROCPRIM_400000_NS6detail17trampoline_kernelINS0_13select_configILj256ELj13ELNS0_17block_load_methodE3ELS4_3ELS4_3ELNS0_20block_scan_algorithmE0ELj4294967295EEENS1_25partition_config_selectorILNS1_17partition_subalgoE4EjNS0_10empty_typeEbEEZZNS1_14partition_implILS8_4ELb0ES6_15HIP_vector_typeIjLj2EENS0_17counting_iteratorIjlEEPS9_SG_NS0_5tupleIJPjSI_NS0_16reverse_iteratorISI_EEEEENSH_IJSG_SG_SG_EEES9_SI_JZNS1_25segmented_radix_sort_implINS0_14default_configELb0EPKlPlSQ_SR_N2at6native12_GLOBAL__N_18offset_tEEE10hipError_tPvRmT1_PNSt15iterator_traitsISZ_E10value_typeET2_T3_PNS10_IS15_E10value_typeET4_jRbjT5_S1B_jjP12ihipStream_tbEUljE_ZNSN_ISO_Lb0ESQ_SR_SQ_SR_SV_EESW_SX_SY_SZ_S13_S14_S15_S18_S19_jS1A_jS1B_S1B_jjS1D_bEUljE0_EEESW_SX_SY_S15_S19_S1B_T6_T7_T9_mT8_S1D_bDpT10_ENKUlT_T0_E_clISt17integral_constantIbLb0EES1Q_IbLb1EEEEDaS1M_S1N_EUlS1M_E_NS1_11comp_targetILNS1_3genE4ELNS1_11target_archE910ELNS1_3gpuE8ELNS1_3repE0EEENS1_30default_config_static_selectorELNS0_4arch9wavefront6targetE1EEEvSZ_,"axG",@progbits,_ZN7rocprim17ROCPRIM_400000_NS6detail17trampoline_kernelINS0_13select_configILj256ELj13ELNS0_17block_load_methodE3ELS4_3ELS4_3ELNS0_20block_scan_algorithmE0ELj4294967295EEENS1_25partition_config_selectorILNS1_17partition_subalgoE4EjNS0_10empty_typeEbEEZZNS1_14partition_implILS8_4ELb0ES6_15HIP_vector_typeIjLj2EENS0_17counting_iteratorIjlEEPS9_SG_NS0_5tupleIJPjSI_NS0_16reverse_iteratorISI_EEEEENSH_IJSG_SG_SG_EEES9_SI_JZNS1_25segmented_radix_sort_implINS0_14default_configELb0EPKlPlSQ_SR_N2at6native12_GLOBAL__N_18offset_tEEE10hipError_tPvRmT1_PNSt15iterator_traitsISZ_E10value_typeET2_T3_PNS10_IS15_E10value_typeET4_jRbjT5_S1B_jjP12ihipStream_tbEUljE_ZNSN_ISO_Lb0ESQ_SR_SQ_SR_SV_EESW_SX_SY_SZ_S13_S14_S15_S18_S19_jS1A_jS1B_S1B_jjS1D_bEUljE0_EEESW_SX_SY_S15_S19_S1B_T6_T7_T9_mT8_S1D_bDpT10_ENKUlT_T0_E_clISt17integral_constantIbLb0EES1Q_IbLb1EEEEDaS1M_S1N_EUlS1M_E_NS1_11comp_targetILNS1_3genE4ELNS1_11target_archE910ELNS1_3gpuE8ELNS1_3repE0EEENS1_30default_config_static_selectorELNS0_4arch9wavefront6targetE1EEEvSZ_,comdat
.Lfunc_end769:
	.size	_ZN7rocprim17ROCPRIM_400000_NS6detail17trampoline_kernelINS0_13select_configILj256ELj13ELNS0_17block_load_methodE3ELS4_3ELS4_3ELNS0_20block_scan_algorithmE0ELj4294967295EEENS1_25partition_config_selectorILNS1_17partition_subalgoE4EjNS0_10empty_typeEbEEZZNS1_14partition_implILS8_4ELb0ES6_15HIP_vector_typeIjLj2EENS0_17counting_iteratorIjlEEPS9_SG_NS0_5tupleIJPjSI_NS0_16reverse_iteratorISI_EEEEENSH_IJSG_SG_SG_EEES9_SI_JZNS1_25segmented_radix_sort_implINS0_14default_configELb0EPKlPlSQ_SR_N2at6native12_GLOBAL__N_18offset_tEEE10hipError_tPvRmT1_PNSt15iterator_traitsISZ_E10value_typeET2_T3_PNS10_IS15_E10value_typeET4_jRbjT5_S1B_jjP12ihipStream_tbEUljE_ZNSN_ISO_Lb0ESQ_SR_SQ_SR_SV_EESW_SX_SY_SZ_S13_S14_S15_S18_S19_jS1A_jS1B_S1B_jjS1D_bEUljE0_EEESW_SX_SY_S15_S19_S1B_T6_T7_T9_mT8_S1D_bDpT10_ENKUlT_T0_E_clISt17integral_constantIbLb0EES1Q_IbLb1EEEEDaS1M_S1N_EUlS1M_E_NS1_11comp_targetILNS1_3genE4ELNS1_11target_archE910ELNS1_3gpuE8ELNS1_3repE0EEENS1_30default_config_static_selectorELNS0_4arch9wavefront6targetE1EEEvSZ_, .Lfunc_end769-_ZN7rocprim17ROCPRIM_400000_NS6detail17trampoline_kernelINS0_13select_configILj256ELj13ELNS0_17block_load_methodE3ELS4_3ELS4_3ELNS0_20block_scan_algorithmE0ELj4294967295EEENS1_25partition_config_selectorILNS1_17partition_subalgoE4EjNS0_10empty_typeEbEEZZNS1_14partition_implILS8_4ELb0ES6_15HIP_vector_typeIjLj2EENS0_17counting_iteratorIjlEEPS9_SG_NS0_5tupleIJPjSI_NS0_16reverse_iteratorISI_EEEEENSH_IJSG_SG_SG_EEES9_SI_JZNS1_25segmented_radix_sort_implINS0_14default_configELb0EPKlPlSQ_SR_N2at6native12_GLOBAL__N_18offset_tEEE10hipError_tPvRmT1_PNSt15iterator_traitsISZ_E10value_typeET2_T3_PNS10_IS15_E10value_typeET4_jRbjT5_S1B_jjP12ihipStream_tbEUljE_ZNSN_ISO_Lb0ESQ_SR_SQ_SR_SV_EESW_SX_SY_SZ_S13_S14_S15_S18_S19_jS1A_jS1B_S1B_jjS1D_bEUljE0_EEESW_SX_SY_S15_S19_S1B_T6_T7_T9_mT8_S1D_bDpT10_ENKUlT_T0_E_clISt17integral_constantIbLb0EES1Q_IbLb1EEEEDaS1M_S1N_EUlS1M_E_NS1_11comp_targetILNS1_3genE4ELNS1_11target_archE910ELNS1_3gpuE8ELNS1_3repE0EEENS1_30default_config_static_selectorELNS0_4arch9wavefront6targetE1EEEvSZ_
                                        ; -- End function
	.section	.AMDGPU.csdata,"",@progbits
; Kernel info:
; codeLenInByte = 13432
; NumSgprs: 91
; NumVgprs: 107
; NumAgprs: 0
; TotalNumVgprs: 107
; ScratchSize: 0
; MemoryBound: 0
; FloatMode: 240
; IeeeMode: 1
; LDSByteSize: 13340 bytes/workgroup (compile time only)
; SGPRBlocks: 11
; VGPRBlocks: 13
; NumSGPRsForWavesPerEU: 91
; NumVGPRsForWavesPerEU: 107
; AccumOffset: 108
; Occupancy: 4
; WaveLimiterHint : 1
; COMPUTE_PGM_RSRC2:SCRATCH_EN: 0
; COMPUTE_PGM_RSRC2:USER_SGPR: 6
; COMPUTE_PGM_RSRC2:TRAP_HANDLER: 0
; COMPUTE_PGM_RSRC2:TGID_X_EN: 1
; COMPUTE_PGM_RSRC2:TGID_Y_EN: 0
; COMPUTE_PGM_RSRC2:TGID_Z_EN: 0
; COMPUTE_PGM_RSRC2:TIDIG_COMP_CNT: 0
; COMPUTE_PGM_RSRC3_GFX90A:ACCUM_OFFSET: 26
; COMPUTE_PGM_RSRC3_GFX90A:TG_SPLIT: 0
	.section	.text._ZN7rocprim17ROCPRIM_400000_NS6detail17trampoline_kernelINS0_13select_configILj256ELj13ELNS0_17block_load_methodE3ELS4_3ELS4_3ELNS0_20block_scan_algorithmE0ELj4294967295EEENS1_25partition_config_selectorILNS1_17partition_subalgoE4EjNS0_10empty_typeEbEEZZNS1_14partition_implILS8_4ELb0ES6_15HIP_vector_typeIjLj2EENS0_17counting_iteratorIjlEEPS9_SG_NS0_5tupleIJPjSI_NS0_16reverse_iteratorISI_EEEEENSH_IJSG_SG_SG_EEES9_SI_JZNS1_25segmented_radix_sort_implINS0_14default_configELb0EPKlPlSQ_SR_N2at6native12_GLOBAL__N_18offset_tEEE10hipError_tPvRmT1_PNSt15iterator_traitsISZ_E10value_typeET2_T3_PNS10_IS15_E10value_typeET4_jRbjT5_S1B_jjP12ihipStream_tbEUljE_ZNSN_ISO_Lb0ESQ_SR_SQ_SR_SV_EESW_SX_SY_SZ_S13_S14_S15_S18_S19_jS1A_jS1B_S1B_jjS1D_bEUljE0_EEESW_SX_SY_S15_S19_S1B_T6_T7_T9_mT8_S1D_bDpT10_ENKUlT_T0_E_clISt17integral_constantIbLb0EES1Q_IbLb1EEEEDaS1M_S1N_EUlS1M_E_NS1_11comp_targetILNS1_3genE3ELNS1_11target_archE908ELNS1_3gpuE7ELNS1_3repE0EEENS1_30default_config_static_selectorELNS0_4arch9wavefront6targetE1EEEvSZ_,"axG",@progbits,_ZN7rocprim17ROCPRIM_400000_NS6detail17trampoline_kernelINS0_13select_configILj256ELj13ELNS0_17block_load_methodE3ELS4_3ELS4_3ELNS0_20block_scan_algorithmE0ELj4294967295EEENS1_25partition_config_selectorILNS1_17partition_subalgoE4EjNS0_10empty_typeEbEEZZNS1_14partition_implILS8_4ELb0ES6_15HIP_vector_typeIjLj2EENS0_17counting_iteratorIjlEEPS9_SG_NS0_5tupleIJPjSI_NS0_16reverse_iteratorISI_EEEEENSH_IJSG_SG_SG_EEES9_SI_JZNS1_25segmented_radix_sort_implINS0_14default_configELb0EPKlPlSQ_SR_N2at6native12_GLOBAL__N_18offset_tEEE10hipError_tPvRmT1_PNSt15iterator_traitsISZ_E10value_typeET2_T3_PNS10_IS15_E10value_typeET4_jRbjT5_S1B_jjP12ihipStream_tbEUljE_ZNSN_ISO_Lb0ESQ_SR_SQ_SR_SV_EESW_SX_SY_SZ_S13_S14_S15_S18_S19_jS1A_jS1B_S1B_jjS1D_bEUljE0_EEESW_SX_SY_S15_S19_S1B_T6_T7_T9_mT8_S1D_bDpT10_ENKUlT_T0_E_clISt17integral_constantIbLb0EES1Q_IbLb1EEEEDaS1M_S1N_EUlS1M_E_NS1_11comp_targetILNS1_3genE3ELNS1_11target_archE908ELNS1_3gpuE7ELNS1_3repE0EEENS1_30default_config_static_selectorELNS0_4arch9wavefront6targetE1EEEvSZ_,comdat
	.globl	_ZN7rocprim17ROCPRIM_400000_NS6detail17trampoline_kernelINS0_13select_configILj256ELj13ELNS0_17block_load_methodE3ELS4_3ELS4_3ELNS0_20block_scan_algorithmE0ELj4294967295EEENS1_25partition_config_selectorILNS1_17partition_subalgoE4EjNS0_10empty_typeEbEEZZNS1_14partition_implILS8_4ELb0ES6_15HIP_vector_typeIjLj2EENS0_17counting_iteratorIjlEEPS9_SG_NS0_5tupleIJPjSI_NS0_16reverse_iteratorISI_EEEEENSH_IJSG_SG_SG_EEES9_SI_JZNS1_25segmented_radix_sort_implINS0_14default_configELb0EPKlPlSQ_SR_N2at6native12_GLOBAL__N_18offset_tEEE10hipError_tPvRmT1_PNSt15iterator_traitsISZ_E10value_typeET2_T3_PNS10_IS15_E10value_typeET4_jRbjT5_S1B_jjP12ihipStream_tbEUljE_ZNSN_ISO_Lb0ESQ_SR_SQ_SR_SV_EESW_SX_SY_SZ_S13_S14_S15_S18_S19_jS1A_jS1B_S1B_jjS1D_bEUljE0_EEESW_SX_SY_S15_S19_S1B_T6_T7_T9_mT8_S1D_bDpT10_ENKUlT_T0_E_clISt17integral_constantIbLb0EES1Q_IbLb1EEEEDaS1M_S1N_EUlS1M_E_NS1_11comp_targetILNS1_3genE3ELNS1_11target_archE908ELNS1_3gpuE7ELNS1_3repE0EEENS1_30default_config_static_selectorELNS0_4arch9wavefront6targetE1EEEvSZ_ ; -- Begin function _ZN7rocprim17ROCPRIM_400000_NS6detail17trampoline_kernelINS0_13select_configILj256ELj13ELNS0_17block_load_methodE3ELS4_3ELS4_3ELNS0_20block_scan_algorithmE0ELj4294967295EEENS1_25partition_config_selectorILNS1_17partition_subalgoE4EjNS0_10empty_typeEbEEZZNS1_14partition_implILS8_4ELb0ES6_15HIP_vector_typeIjLj2EENS0_17counting_iteratorIjlEEPS9_SG_NS0_5tupleIJPjSI_NS0_16reverse_iteratorISI_EEEEENSH_IJSG_SG_SG_EEES9_SI_JZNS1_25segmented_radix_sort_implINS0_14default_configELb0EPKlPlSQ_SR_N2at6native12_GLOBAL__N_18offset_tEEE10hipError_tPvRmT1_PNSt15iterator_traitsISZ_E10value_typeET2_T3_PNS10_IS15_E10value_typeET4_jRbjT5_S1B_jjP12ihipStream_tbEUljE_ZNSN_ISO_Lb0ESQ_SR_SQ_SR_SV_EESW_SX_SY_SZ_S13_S14_S15_S18_S19_jS1A_jS1B_S1B_jjS1D_bEUljE0_EEESW_SX_SY_S15_S19_S1B_T6_T7_T9_mT8_S1D_bDpT10_ENKUlT_T0_E_clISt17integral_constantIbLb0EES1Q_IbLb1EEEEDaS1M_S1N_EUlS1M_E_NS1_11comp_targetILNS1_3genE3ELNS1_11target_archE908ELNS1_3gpuE7ELNS1_3repE0EEENS1_30default_config_static_selectorELNS0_4arch9wavefront6targetE1EEEvSZ_
	.p2align	8
	.type	_ZN7rocprim17ROCPRIM_400000_NS6detail17trampoline_kernelINS0_13select_configILj256ELj13ELNS0_17block_load_methodE3ELS4_3ELS4_3ELNS0_20block_scan_algorithmE0ELj4294967295EEENS1_25partition_config_selectorILNS1_17partition_subalgoE4EjNS0_10empty_typeEbEEZZNS1_14partition_implILS8_4ELb0ES6_15HIP_vector_typeIjLj2EENS0_17counting_iteratorIjlEEPS9_SG_NS0_5tupleIJPjSI_NS0_16reverse_iteratorISI_EEEEENSH_IJSG_SG_SG_EEES9_SI_JZNS1_25segmented_radix_sort_implINS0_14default_configELb0EPKlPlSQ_SR_N2at6native12_GLOBAL__N_18offset_tEEE10hipError_tPvRmT1_PNSt15iterator_traitsISZ_E10value_typeET2_T3_PNS10_IS15_E10value_typeET4_jRbjT5_S1B_jjP12ihipStream_tbEUljE_ZNSN_ISO_Lb0ESQ_SR_SQ_SR_SV_EESW_SX_SY_SZ_S13_S14_S15_S18_S19_jS1A_jS1B_S1B_jjS1D_bEUljE0_EEESW_SX_SY_S15_S19_S1B_T6_T7_T9_mT8_S1D_bDpT10_ENKUlT_T0_E_clISt17integral_constantIbLb0EES1Q_IbLb1EEEEDaS1M_S1N_EUlS1M_E_NS1_11comp_targetILNS1_3genE3ELNS1_11target_archE908ELNS1_3gpuE7ELNS1_3repE0EEENS1_30default_config_static_selectorELNS0_4arch9wavefront6targetE1EEEvSZ_,@function
_ZN7rocprim17ROCPRIM_400000_NS6detail17trampoline_kernelINS0_13select_configILj256ELj13ELNS0_17block_load_methodE3ELS4_3ELS4_3ELNS0_20block_scan_algorithmE0ELj4294967295EEENS1_25partition_config_selectorILNS1_17partition_subalgoE4EjNS0_10empty_typeEbEEZZNS1_14partition_implILS8_4ELb0ES6_15HIP_vector_typeIjLj2EENS0_17counting_iteratorIjlEEPS9_SG_NS0_5tupleIJPjSI_NS0_16reverse_iteratorISI_EEEEENSH_IJSG_SG_SG_EEES9_SI_JZNS1_25segmented_radix_sort_implINS0_14default_configELb0EPKlPlSQ_SR_N2at6native12_GLOBAL__N_18offset_tEEE10hipError_tPvRmT1_PNSt15iterator_traitsISZ_E10value_typeET2_T3_PNS10_IS15_E10value_typeET4_jRbjT5_S1B_jjP12ihipStream_tbEUljE_ZNSN_ISO_Lb0ESQ_SR_SQ_SR_SV_EESW_SX_SY_SZ_S13_S14_S15_S18_S19_jS1A_jS1B_S1B_jjS1D_bEUljE0_EEESW_SX_SY_S15_S19_S1B_T6_T7_T9_mT8_S1D_bDpT10_ENKUlT_T0_E_clISt17integral_constantIbLb0EES1Q_IbLb1EEEEDaS1M_S1N_EUlS1M_E_NS1_11comp_targetILNS1_3genE3ELNS1_11target_archE908ELNS1_3gpuE7ELNS1_3repE0EEENS1_30default_config_static_selectorELNS0_4arch9wavefront6targetE1EEEvSZ_: ; @_ZN7rocprim17ROCPRIM_400000_NS6detail17trampoline_kernelINS0_13select_configILj256ELj13ELNS0_17block_load_methodE3ELS4_3ELS4_3ELNS0_20block_scan_algorithmE0ELj4294967295EEENS1_25partition_config_selectorILNS1_17partition_subalgoE4EjNS0_10empty_typeEbEEZZNS1_14partition_implILS8_4ELb0ES6_15HIP_vector_typeIjLj2EENS0_17counting_iteratorIjlEEPS9_SG_NS0_5tupleIJPjSI_NS0_16reverse_iteratorISI_EEEEENSH_IJSG_SG_SG_EEES9_SI_JZNS1_25segmented_radix_sort_implINS0_14default_configELb0EPKlPlSQ_SR_N2at6native12_GLOBAL__N_18offset_tEEE10hipError_tPvRmT1_PNSt15iterator_traitsISZ_E10value_typeET2_T3_PNS10_IS15_E10value_typeET4_jRbjT5_S1B_jjP12ihipStream_tbEUljE_ZNSN_ISO_Lb0ESQ_SR_SQ_SR_SV_EESW_SX_SY_SZ_S13_S14_S15_S18_S19_jS1A_jS1B_S1B_jjS1D_bEUljE0_EEESW_SX_SY_S15_S19_S1B_T6_T7_T9_mT8_S1D_bDpT10_ENKUlT_T0_E_clISt17integral_constantIbLb0EES1Q_IbLb1EEEEDaS1M_S1N_EUlS1M_E_NS1_11comp_targetILNS1_3genE3ELNS1_11target_archE908ELNS1_3gpuE7ELNS1_3repE0EEENS1_30default_config_static_selectorELNS0_4arch9wavefront6targetE1EEEvSZ_
; %bb.0:
	.section	.rodata,"a",@progbits
	.p2align	6, 0x0
	.amdhsa_kernel _ZN7rocprim17ROCPRIM_400000_NS6detail17trampoline_kernelINS0_13select_configILj256ELj13ELNS0_17block_load_methodE3ELS4_3ELS4_3ELNS0_20block_scan_algorithmE0ELj4294967295EEENS1_25partition_config_selectorILNS1_17partition_subalgoE4EjNS0_10empty_typeEbEEZZNS1_14partition_implILS8_4ELb0ES6_15HIP_vector_typeIjLj2EENS0_17counting_iteratorIjlEEPS9_SG_NS0_5tupleIJPjSI_NS0_16reverse_iteratorISI_EEEEENSH_IJSG_SG_SG_EEES9_SI_JZNS1_25segmented_radix_sort_implINS0_14default_configELb0EPKlPlSQ_SR_N2at6native12_GLOBAL__N_18offset_tEEE10hipError_tPvRmT1_PNSt15iterator_traitsISZ_E10value_typeET2_T3_PNS10_IS15_E10value_typeET4_jRbjT5_S1B_jjP12ihipStream_tbEUljE_ZNSN_ISO_Lb0ESQ_SR_SQ_SR_SV_EESW_SX_SY_SZ_S13_S14_S15_S18_S19_jS1A_jS1B_S1B_jjS1D_bEUljE0_EEESW_SX_SY_S15_S19_S1B_T6_T7_T9_mT8_S1D_bDpT10_ENKUlT_T0_E_clISt17integral_constantIbLb0EES1Q_IbLb1EEEEDaS1M_S1N_EUlS1M_E_NS1_11comp_targetILNS1_3genE3ELNS1_11target_archE908ELNS1_3gpuE7ELNS1_3repE0EEENS1_30default_config_static_selectorELNS0_4arch9wavefront6targetE1EEEvSZ_
		.amdhsa_group_segment_fixed_size 0
		.amdhsa_private_segment_fixed_size 0
		.amdhsa_kernarg_size 184
		.amdhsa_user_sgpr_count 6
		.amdhsa_user_sgpr_private_segment_buffer 1
		.amdhsa_user_sgpr_dispatch_ptr 0
		.amdhsa_user_sgpr_queue_ptr 0
		.amdhsa_user_sgpr_kernarg_segment_ptr 1
		.amdhsa_user_sgpr_dispatch_id 0
		.amdhsa_user_sgpr_flat_scratch_init 0
		.amdhsa_user_sgpr_kernarg_preload_length 0
		.amdhsa_user_sgpr_kernarg_preload_offset 0
		.amdhsa_user_sgpr_private_segment_size 0
		.amdhsa_uses_dynamic_stack 0
		.amdhsa_system_sgpr_private_segment_wavefront_offset 0
		.amdhsa_system_sgpr_workgroup_id_x 1
		.amdhsa_system_sgpr_workgroup_id_y 0
		.amdhsa_system_sgpr_workgroup_id_z 0
		.amdhsa_system_sgpr_workgroup_info 0
		.amdhsa_system_vgpr_workitem_id 0
		.amdhsa_next_free_vgpr 1
		.amdhsa_next_free_sgpr 0
		.amdhsa_accum_offset 4
		.amdhsa_reserve_vcc 0
		.amdhsa_reserve_flat_scratch 0
		.amdhsa_float_round_mode_32 0
		.amdhsa_float_round_mode_16_64 0
		.amdhsa_float_denorm_mode_32 3
		.amdhsa_float_denorm_mode_16_64 3
		.amdhsa_dx10_clamp 1
		.amdhsa_ieee_mode 1
		.amdhsa_fp16_overflow 0
		.amdhsa_tg_split 0
		.amdhsa_exception_fp_ieee_invalid_op 0
		.amdhsa_exception_fp_denorm_src 0
		.amdhsa_exception_fp_ieee_div_zero 0
		.amdhsa_exception_fp_ieee_overflow 0
		.amdhsa_exception_fp_ieee_underflow 0
		.amdhsa_exception_fp_ieee_inexact 0
		.amdhsa_exception_int_div_zero 0
	.end_amdhsa_kernel
	.section	.text._ZN7rocprim17ROCPRIM_400000_NS6detail17trampoline_kernelINS0_13select_configILj256ELj13ELNS0_17block_load_methodE3ELS4_3ELS4_3ELNS0_20block_scan_algorithmE0ELj4294967295EEENS1_25partition_config_selectorILNS1_17partition_subalgoE4EjNS0_10empty_typeEbEEZZNS1_14partition_implILS8_4ELb0ES6_15HIP_vector_typeIjLj2EENS0_17counting_iteratorIjlEEPS9_SG_NS0_5tupleIJPjSI_NS0_16reverse_iteratorISI_EEEEENSH_IJSG_SG_SG_EEES9_SI_JZNS1_25segmented_radix_sort_implINS0_14default_configELb0EPKlPlSQ_SR_N2at6native12_GLOBAL__N_18offset_tEEE10hipError_tPvRmT1_PNSt15iterator_traitsISZ_E10value_typeET2_T3_PNS10_IS15_E10value_typeET4_jRbjT5_S1B_jjP12ihipStream_tbEUljE_ZNSN_ISO_Lb0ESQ_SR_SQ_SR_SV_EESW_SX_SY_SZ_S13_S14_S15_S18_S19_jS1A_jS1B_S1B_jjS1D_bEUljE0_EEESW_SX_SY_S15_S19_S1B_T6_T7_T9_mT8_S1D_bDpT10_ENKUlT_T0_E_clISt17integral_constantIbLb0EES1Q_IbLb1EEEEDaS1M_S1N_EUlS1M_E_NS1_11comp_targetILNS1_3genE3ELNS1_11target_archE908ELNS1_3gpuE7ELNS1_3repE0EEENS1_30default_config_static_selectorELNS0_4arch9wavefront6targetE1EEEvSZ_,"axG",@progbits,_ZN7rocprim17ROCPRIM_400000_NS6detail17trampoline_kernelINS0_13select_configILj256ELj13ELNS0_17block_load_methodE3ELS4_3ELS4_3ELNS0_20block_scan_algorithmE0ELj4294967295EEENS1_25partition_config_selectorILNS1_17partition_subalgoE4EjNS0_10empty_typeEbEEZZNS1_14partition_implILS8_4ELb0ES6_15HIP_vector_typeIjLj2EENS0_17counting_iteratorIjlEEPS9_SG_NS0_5tupleIJPjSI_NS0_16reverse_iteratorISI_EEEEENSH_IJSG_SG_SG_EEES9_SI_JZNS1_25segmented_radix_sort_implINS0_14default_configELb0EPKlPlSQ_SR_N2at6native12_GLOBAL__N_18offset_tEEE10hipError_tPvRmT1_PNSt15iterator_traitsISZ_E10value_typeET2_T3_PNS10_IS15_E10value_typeET4_jRbjT5_S1B_jjP12ihipStream_tbEUljE_ZNSN_ISO_Lb0ESQ_SR_SQ_SR_SV_EESW_SX_SY_SZ_S13_S14_S15_S18_S19_jS1A_jS1B_S1B_jjS1D_bEUljE0_EEESW_SX_SY_S15_S19_S1B_T6_T7_T9_mT8_S1D_bDpT10_ENKUlT_T0_E_clISt17integral_constantIbLb0EES1Q_IbLb1EEEEDaS1M_S1N_EUlS1M_E_NS1_11comp_targetILNS1_3genE3ELNS1_11target_archE908ELNS1_3gpuE7ELNS1_3repE0EEENS1_30default_config_static_selectorELNS0_4arch9wavefront6targetE1EEEvSZ_,comdat
.Lfunc_end770:
	.size	_ZN7rocprim17ROCPRIM_400000_NS6detail17trampoline_kernelINS0_13select_configILj256ELj13ELNS0_17block_load_methodE3ELS4_3ELS4_3ELNS0_20block_scan_algorithmE0ELj4294967295EEENS1_25partition_config_selectorILNS1_17partition_subalgoE4EjNS0_10empty_typeEbEEZZNS1_14partition_implILS8_4ELb0ES6_15HIP_vector_typeIjLj2EENS0_17counting_iteratorIjlEEPS9_SG_NS0_5tupleIJPjSI_NS0_16reverse_iteratorISI_EEEEENSH_IJSG_SG_SG_EEES9_SI_JZNS1_25segmented_radix_sort_implINS0_14default_configELb0EPKlPlSQ_SR_N2at6native12_GLOBAL__N_18offset_tEEE10hipError_tPvRmT1_PNSt15iterator_traitsISZ_E10value_typeET2_T3_PNS10_IS15_E10value_typeET4_jRbjT5_S1B_jjP12ihipStream_tbEUljE_ZNSN_ISO_Lb0ESQ_SR_SQ_SR_SV_EESW_SX_SY_SZ_S13_S14_S15_S18_S19_jS1A_jS1B_S1B_jjS1D_bEUljE0_EEESW_SX_SY_S15_S19_S1B_T6_T7_T9_mT8_S1D_bDpT10_ENKUlT_T0_E_clISt17integral_constantIbLb0EES1Q_IbLb1EEEEDaS1M_S1N_EUlS1M_E_NS1_11comp_targetILNS1_3genE3ELNS1_11target_archE908ELNS1_3gpuE7ELNS1_3repE0EEENS1_30default_config_static_selectorELNS0_4arch9wavefront6targetE1EEEvSZ_, .Lfunc_end770-_ZN7rocprim17ROCPRIM_400000_NS6detail17trampoline_kernelINS0_13select_configILj256ELj13ELNS0_17block_load_methodE3ELS4_3ELS4_3ELNS0_20block_scan_algorithmE0ELj4294967295EEENS1_25partition_config_selectorILNS1_17partition_subalgoE4EjNS0_10empty_typeEbEEZZNS1_14partition_implILS8_4ELb0ES6_15HIP_vector_typeIjLj2EENS0_17counting_iteratorIjlEEPS9_SG_NS0_5tupleIJPjSI_NS0_16reverse_iteratorISI_EEEEENSH_IJSG_SG_SG_EEES9_SI_JZNS1_25segmented_radix_sort_implINS0_14default_configELb0EPKlPlSQ_SR_N2at6native12_GLOBAL__N_18offset_tEEE10hipError_tPvRmT1_PNSt15iterator_traitsISZ_E10value_typeET2_T3_PNS10_IS15_E10value_typeET4_jRbjT5_S1B_jjP12ihipStream_tbEUljE_ZNSN_ISO_Lb0ESQ_SR_SQ_SR_SV_EESW_SX_SY_SZ_S13_S14_S15_S18_S19_jS1A_jS1B_S1B_jjS1D_bEUljE0_EEESW_SX_SY_S15_S19_S1B_T6_T7_T9_mT8_S1D_bDpT10_ENKUlT_T0_E_clISt17integral_constantIbLb0EES1Q_IbLb1EEEEDaS1M_S1N_EUlS1M_E_NS1_11comp_targetILNS1_3genE3ELNS1_11target_archE908ELNS1_3gpuE7ELNS1_3repE0EEENS1_30default_config_static_selectorELNS0_4arch9wavefront6targetE1EEEvSZ_
                                        ; -- End function
	.section	.AMDGPU.csdata,"",@progbits
; Kernel info:
; codeLenInByte = 0
; NumSgprs: 4
; NumVgprs: 0
; NumAgprs: 0
; TotalNumVgprs: 0
; ScratchSize: 0
; MemoryBound: 0
; FloatMode: 240
; IeeeMode: 1
; LDSByteSize: 0 bytes/workgroup (compile time only)
; SGPRBlocks: 0
; VGPRBlocks: 0
; NumSGPRsForWavesPerEU: 4
; NumVGPRsForWavesPerEU: 1
; AccumOffset: 4
; Occupancy: 8
; WaveLimiterHint : 0
; COMPUTE_PGM_RSRC2:SCRATCH_EN: 0
; COMPUTE_PGM_RSRC2:USER_SGPR: 6
; COMPUTE_PGM_RSRC2:TRAP_HANDLER: 0
; COMPUTE_PGM_RSRC2:TGID_X_EN: 1
; COMPUTE_PGM_RSRC2:TGID_Y_EN: 0
; COMPUTE_PGM_RSRC2:TGID_Z_EN: 0
; COMPUTE_PGM_RSRC2:TIDIG_COMP_CNT: 0
; COMPUTE_PGM_RSRC3_GFX90A:ACCUM_OFFSET: 0
; COMPUTE_PGM_RSRC3_GFX90A:TG_SPLIT: 0
	.section	.text._ZN7rocprim17ROCPRIM_400000_NS6detail17trampoline_kernelINS0_13select_configILj256ELj13ELNS0_17block_load_methodE3ELS4_3ELS4_3ELNS0_20block_scan_algorithmE0ELj4294967295EEENS1_25partition_config_selectorILNS1_17partition_subalgoE4EjNS0_10empty_typeEbEEZZNS1_14partition_implILS8_4ELb0ES6_15HIP_vector_typeIjLj2EENS0_17counting_iteratorIjlEEPS9_SG_NS0_5tupleIJPjSI_NS0_16reverse_iteratorISI_EEEEENSH_IJSG_SG_SG_EEES9_SI_JZNS1_25segmented_radix_sort_implINS0_14default_configELb0EPKlPlSQ_SR_N2at6native12_GLOBAL__N_18offset_tEEE10hipError_tPvRmT1_PNSt15iterator_traitsISZ_E10value_typeET2_T3_PNS10_IS15_E10value_typeET4_jRbjT5_S1B_jjP12ihipStream_tbEUljE_ZNSN_ISO_Lb0ESQ_SR_SQ_SR_SV_EESW_SX_SY_SZ_S13_S14_S15_S18_S19_jS1A_jS1B_S1B_jjS1D_bEUljE0_EEESW_SX_SY_S15_S19_S1B_T6_T7_T9_mT8_S1D_bDpT10_ENKUlT_T0_E_clISt17integral_constantIbLb0EES1Q_IbLb1EEEEDaS1M_S1N_EUlS1M_E_NS1_11comp_targetILNS1_3genE2ELNS1_11target_archE906ELNS1_3gpuE6ELNS1_3repE0EEENS1_30default_config_static_selectorELNS0_4arch9wavefront6targetE1EEEvSZ_,"axG",@progbits,_ZN7rocprim17ROCPRIM_400000_NS6detail17trampoline_kernelINS0_13select_configILj256ELj13ELNS0_17block_load_methodE3ELS4_3ELS4_3ELNS0_20block_scan_algorithmE0ELj4294967295EEENS1_25partition_config_selectorILNS1_17partition_subalgoE4EjNS0_10empty_typeEbEEZZNS1_14partition_implILS8_4ELb0ES6_15HIP_vector_typeIjLj2EENS0_17counting_iteratorIjlEEPS9_SG_NS0_5tupleIJPjSI_NS0_16reverse_iteratorISI_EEEEENSH_IJSG_SG_SG_EEES9_SI_JZNS1_25segmented_radix_sort_implINS0_14default_configELb0EPKlPlSQ_SR_N2at6native12_GLOBAL__N_18offset_tEEE10hipError_tPvRmT1_PNSt15iterator_traitsISZ_E10value_typeET2_T3_PNS10_IS15_E10value_typeET4_jRbjT5_S1B_jjP12ihipStream_tbEUljE_ZNSN_ISO_Lb0ESQ_SR_SQ_SR_SV_EESW_SX_SY_SZ_S13_S14_S15_S18_S19_jS1A_jS1B_S1B_jjS1D_bEUljE0_EEESW_SX_SY_S15_S19_S1B_T6_T7_T9_mT8_S1D_bDpT10_ENKUlT_T0_E_clISt17integral_constantIbLb0EES1Q_IbLb1EEEEDaS1M_S1N_EUlS1M_E_NS1_11comp_targetILNS1_3genE2ELNS1_11target_archE906ELNS1_3gpuE6ELNS1_3repE0EEENS1_30default_config_static_selectorELNS0_4arch9wavefront6targetE1EEEvSZ_,comdat
	.globl	_ZN7rocprim17ROCPRIM_400000_NS6detail17trampoline_kernelINS0_13select_configILj256ELj13ELNS0_17block_load_methodE3ELS4_3ELS4_3ELNS0_20block_scan_algorithmE0ELj4294967295EEENS1_25partition_config_selectorILNS1_17partition_subalgoE4EjNS0_10empty_typeEbEEZZNS1_14partition_implILS8_4ELb0ES6_15HIP_vector_typeIjLj2EENS0_17counting_iteratorIjlEEPS9_SG_NS0_5tupleIJPjSI_NS0_16reverse_iteratorISI_EEEEENSH_IJSG_SG_SG_EEES9_SI_JZNS1_25segmented_radix_sort_implINS0_14default_configELb0EPKlPlSQ_SR_N2at6native12_GLOBAL__N_18offset_tEEE10hipError_tPvRmT1_PNSt15iterator_traitsISZ_E10value_typeET2_T3_PNS10_IS15_E10value_typeET4_jRbjT5_S1B_jjP12ihipStream_tbEUljE_ZNSN_ISO_Lb0ESQ_SR_SQ_SR_SV_EESW_SX_SY_SZ_S13_S14_S15_S18_S19_jS1A_jS1B_S1B_jjS1D_bEUljE0_EEESW_SX_SY_S15_S19_S1B_T6_T7_T9_mT8_S1D_bDpT10_ENKUlT_T0_E_clISt17integral_constantIbLb0EES1Q_IbLb1EEEEDaS1M_S1N_EUlS1M_E_NS1_11comp_targetILNS1_3genE2ELNS1_11target_archE906ELNS1_3gpuE6ELNS1_3repE0EEENS1_30default_config_static_selectorELNS0_4arch9wavefront6targetE1EEEvSZ_ ; -- Begin function _ZN7rocprim17ROCPRIM_400000_NS6detail17trampoline_kernelINS0_13select_configILj256ELj13ELNS0_17block_load_methodE3ELS4_3ELS4_3ELNS0_20block_scan_algorithmE0ELj4294967295EEENS1_25partition_config_selectorILNS1_17partition_subalgoE4EjNS0_10empty_typeEbEEZZNS1_14partition_implILS8_4ELb0ES6_15HIP_vector_typeIjLj2EENS0_17counting_iteratorIjlEEPS9_SG_NS0_5tupleIJPjSI_NS0_16reverse_iteratorISI_EEEEENSH_IJSG_SG_SG_EEES9_SI_JZNS1_25segmented_radix_sort_implINS0_14default_configELb0EPKlPlSQ_SR_N2at6native12_GLOBAL__N_18offset_tEEE10hipError_tPvRmT1_PNSt15iterator_traitsISZ_E10value_typeET2_T3_PNS10_IS15_E10value_typeET4_jRbjT5_S1B_jjP12ihipStream_tbEUljE_ZNSN_ISO_Lb0ESQ_SR_SQ_SR_SV_EESW_SX_SY_SZ_S13_S14_S15_S18_S19_jS1A_jS1B_S1B_jjS1D_bEUljE0_EEESW_SX_SY_S15_S19_S1B_T6_T7_T9_mT8_S1D_bDpT10_ENKUlT_T0_E_clISt17integral_constantIbLb0EES1Q_IbLb1EEEEDaS1M_S1N_EUlS1M_E_NS1_11comp_targetILNS1_3genE2ELNS1_11target_archE906ELNS1_3gpuE6ELNS1_3repE0EEENS1_30default_config_static_selectorELNS0_4arch9wavefront6targetE1EEEvSZ_
	.p2align	8
	.type	_ZN7rocprim17ROCPRIM_400000_NS6detail17trampoline_kernelINS0_13select_configILj256ELj13ELNS0_17block_load_methodE3ELS4_3ELS4_3ELNS0_20block_scan_algorithmE0ELj4294967295EEENS1_25partition_config_selectorILNS1_17partition_subalgoE4EjNS0_10empty_typeEbEEZZNS1_14partition_implILS8_4ELb0ES6_15HIP_vector_typeIjLj2EENS0_17counting_iteratorIjlEEPS9_SG_NS0_5tupleIJPjSI_NS0_16reverse_iteratorISI_EEEEENSH_IJSG_SG_SG_EEES9_SI_JZNS1_25segmented_radix_sort_implINS0_14default_configELb0EPKlPlSQ_SR_N2at6native12_GLOBAL__N_18offset_tEEE10hipError_tPvRmT1_PNSt15iterator_traitsISZ_E10value_typeET2_T3_PNS10_IS15_E10value_typeET4_jRbjT5_S1B_jjP12ihipStream_tbEUljE_ZNSN_ISO_Lb0ESQ_SR_SQ_SR_SV_EESW_SX_SY_SZ_S13_S14_S15_S18_S19_jS1A_jS1B_S1B_jjS1D_bEUljE0_EEESW_SX_SY_S15_S19_S1B_T6_T7_T9_mT8_S1D_bDpT10_ENKUlT_T0_E_clISt17integral_constantIbLb0EES1Q_IbLb1EEEEDaS1M_S1N_EUlS1M_E_NS1_11comp_targetILNS1_3genE2ELNS1_11target_archE906ELNS1_3gpuE6ELNS1_3repE0EEENS1_30default_config_static_selectorELNS0_4arch9wavefront6targetE1EEEvSZ_,@function
_ZN7rocprim17ROCPRIM_400000_NS6detail17trampoline_kernelINS0_13select_configILj256ELj13ELNS0_17block_load_methodE3ELS4_3ELS4_3ELNS0_20block_scan_algorithmE0ELj4294967295EEENS1_25partition_config_selectorILNS1_17partition_subalgoE4EjNS0_10empty_typeEbEEZZNS1_14partition_implILS8_4ELb0ES6_15HIP_vector_typeIjLj2EENS0_17counting_iteratorIjlEEPS9_SG_NS0_5tupleIJPjSI_NS0_16reverse_iteratorISI_EEEEENSH_IJSG_SG_SG_EEES9_SI_JZNS1_25segmented_radix_sort_implINS0_14default_configELb0EPKlPlSQ_SR_N2at6native12_GLOBAL__N_18offset_tEEE10hipError_tPvRmT1_PNSt15iterator_traitsISZ_E10value_typeET2_T3_PNS10_IS15_E10value_typeET4_jRbjT5_S1B_jjP12ihipStream_tbEUljE_ZNSN_ISO_Lb0ESQ_SR_SQ_SR_SV_EESW_SX_SY_SZ_S13_S14_S15_S18_S19_jS1A_jS1B_S1B_jjS1D_bEUljE0_EEESW_SX_SY_S15_S19_S1B_T6_T7_T9_mT8_S1D_bDpT10_ENKUlT_T0_E_clISt17integral_constantIbLb0EES1Q_IbLb1EEEEDaS1M_S1N_EUlS1M_E_NS1_11comp_targetILNS1_3genE2ELNS1_11target_archE906ELNS1_3gpuE6ELNS1_3repE0EEENS1_30default_config_static_selectorELNS0_4arch9wavefront6targetE1EEEvSZ_: ; @_ZN7rocprim17ROCPRIM_400000_NS6detail17trampoline_kernelINS0_13select_configILj256ELj13ELNS0_17block_load_methodE3ELS4_3ELS4_3ELNS0_20block_scan_algorithmE0ELj4294967295EEENS1_25partition_config_selectorILNS1_17partition_subalgoE4EjNS0_10empty_typeEbEEZZNS1_14partition_implILS8_4ELb0ES6_15HIP_vector_typeIjLj2EENS0_17counting_iteratorIjlEEPS9_SG_NS0_5tupleIJPjSI_NS0_16reverse_iteratorISI_EEEEENSH_IJSG_SG_SG_EEES9_SI_JZNS1_25segmented_radix_sort_implINS0_14default_configELb0EPKlPlSQ_SR_N2at6native12_GLOBAL__N_18offset_tEEE10hipError_tPvRmT1_PNSt15iterator_traitsISZ_E10value_typeET2_T3_PNS10_IS15_E10value_typeET4_jRbjT5_S1B_jjP12ihipStream_tbEUljE_ZNSN_ISO_Lb0ESQ_SR_SQ_SR_SV_EESW_SX_SY_SZ_S13_S14_S15_S18_S19_jS1A_jS1B_S1B_jjS1D_bEUljE0_EEESW_SX_SY_S15_S19_S1B_T6_T7_T9_mT8_S1D_bDpT10_ENKUlT_T0_E_clISt17integral_constantIbLb0EES1Q_IbLb1EEEEDaS1M_S1N_EUlS1M_E_NS1_11comp_targetILNS1_3genE2ELNS1_11target_archE906ELNS1_3gpuE6ELNS1_3repE0EEENS1_30default_config_static_selectorELNS0_4arch9wavefront6targetE1EEEvSZ_
; %bb.0:
	.section	.rodata,"a",@progbits
	.p2align	6, 0x0
	.amdhsa_kernel _ZN7rocprim17ROCPRIM_400000_NS6detail17trampoline_kernelINS0_13select_configILj256ELj13ELNS0_17block_load_methodE3ELS4_3ELS4_3ELNS0_20block_scan_algorithmE0ELj4294967295EEENS1_25partition_config_selectorILNS1_17partition_subalgoE4EjNS0_10empty_typeEbEEZZNS1_14partition_implILS8_4ELb0ES6_15HIP_vector_typeIjLj2EENS0_17counting_iteratorIjlEEPS9_SG_NS0_5tupleIJPjSI_NS0_16reverse_iteratorISI_EEEEENSH_IJSG_SG_SG_EEES9_SI_JZNS1_25segmented_radix_sort_implINS0_14default_configELb0EPKlPlSQ_SR_N2at6native12_GLOBAL__N_18offset_tEEE10hipError_tPvRmT1_PNSt15iterator_traitsISZ_E10value_typeET2_T3_PNS10_IS15_E10value_typeET4_jRbjT5_S1B_jjP12ihipStream_tbEUljE_ZNSN_ISO_Lb0ESQ_SR_SQ_SR_SV_EESW_SX_SY_SZ_S13_S14_S15_S18_S19_jS1A_jS1B_S1B_jjS1D_bEUljE0_EEESW_SX_SY_S15_S19_S1B_T6_T7_T9_mT8_S1D_bDpT10_ENKUlT_T0_E_clISt17integral_constantIbLb0EES1Q_IbLb1EEEEDaS1M_S1N_EUlS1M_E_NS1_11comp_targetILNS1_3genE2ELNS1_11target_archE906ELNS1_3gpuE6ELNS1_3repE0EEENS1_30default_config_static_selectorELNS0_4arch9wavefront6targetE1EEEvSZ_
		.amdhsa_group_segment_fixed_size 0
		.amdhsa_private_segment_fixed_size 0
		.amdhsa_kernarg_size 184
		.amdhsa_user_sgpr_count 6
		.amdhsa_user_sgpr_private_segment_buffer 1
		.amdhsa_user_sgpr_dispatch_ptr 0
		.amdhsa_user_sgpr_queue_ptr 0
		.amdhsa_user_sgpr_kernarg_segment_ptr 1
		.amdhsa_user_sgpr_dispatch_id 0
		.amdhsa_user_sgpr_flat_scratch_init 0
		.amdhsa_user_sgpr_kernarg_preload_length 0
		.amdhsa_user_sgpr_kernarg_preload_offset 0
		.amdhsa_user_sgpr_private_segment_size 0
		.amdhsa_uses_dynamic_stack 0
		.amdhsa_system_sgpr_private_segment_wavefront_offset 0
		.amdhsa_system_sgpr_workgroup_id_x 1
		.amdhsa_system_sgpr_workgroup_id_y 0
		.amdhsa_system_sgpr_workgroup_id_z 0
		.amdhsa_system_sgpr_workgroup_info 0
		.amdhsa_system_vgpr_workitem_id 0
		.amdhsa_next_free_vgpr 1
		.amdhsa_next_free_sgpr 0
		.amdhsa_accum_offset 4
		.amdhsa_reserve_vcc 0
		.amdhsa_reserve_flat_scratch 0
		.amdhsa_float_round_mode_32 0
		.amdhsa_float_round_mode_16_64 0
		.amdhsa_float_denorm_mode_32 3
		.amdhsa_float_denorm_mode_16_64 3
		.amdhsa_dx10_clamp 1
		.amdhsa_ieee_mode 1
		.amdhsa_fp16_overflow 0
		.amdhsa_tg_split 0
		.amdhsa_exception_fp_ieee_invalid_op 0
		.amdhsa_exception_fp_denorm_src 0
		.amdhsa_exception_fp_ieee_div_zero 0
		.amdhsa_exception_fp_ieee_overflow 0
		.amdhsa_exception_fp_ieee_underflow 0
		.amdhsa_exception_fp_ieee_inexact 0
		.amdhsa_exception_int_div_zero 0
	.end_amdhsa_kernel
	.section	.text._ZN7rocprim17ROCPRIM_400000_NS6detail17trampoline_kernelINS0_13select_configILj256ELj13ELNS0_17block_load_methodE3ELS4_3ELS4_3ELNS0_20block_scan_algorithmE0ELj4294967295EEENS1_25partition_config_selectorILNS1_17partition_subalgoE4EjNS0_10empty_typeEbEEZZNS1_14partition_implILS8_4ELb0ES6_15HIP_vector_typeIjLj2EENS0_17counting_iteratorIjlEEPS9_SG_NS0_5tupleIJPjSI_NS0_16reverse_iteratorISI_EEEEENSH_IJSG_SG_SG_EEES9_SI_JZNS1_25segmented_radix_sort_implINS0_14default_configELb0EPKlPlSQ_SR_N2at6native12_GLOBAL__N_18offset_tEEE10hipError_tPvRmT1_PNSt15iterator_traitsISZ_E10value_typeET2_T3_PNS10_IS15_E10value_typeET4_jRbjT5_S1B_jjP12ihipStream_tbEUljE_ZNSN_ISO_Lb0ESQ_SR_SQ_SR_SV_EESW_SX_SY_SZ_S13_S14_S15_S18_S19_jS1A_jS1B_S1B_jjS1D_bEUljE0_EEESW_SX_SY_S15_S19_S1B_T6_T7_T9_mT8_S1D_bDpT10_ENKUlT_T0_E_clISt17integral_constantIbLb0EES1Q_IbLb1EEEEDaS1M_S1N_EUlS1M_E_NS1_11comp_targetILNS1_3genE2ELNS1_11target_archE906ELNS1_3gpuE6ELNS1_3repE0EEENS1_30default_config_static_selectorELNS0_4arch9wavefront6targetE1EEEvSZ_,"axG",@progbits,_ZN7rocprim17ROCPRIM_400000_NS6detail17trampoline_kernelINS0_13select_configILj256ELj13ELNS0_17block_load_methodE3ELS4_3ELS4_3ELNS0_20block_scan_algorithmE0ELj4294967295EEENS1_25partition_config_selectorILNS1_17partition_subalgoE4EjNS0_10empty_typeEbEEZZNS1_14partition_implILS8_4ELb0ES6_15HIP_vector_typeIjLj2EENS0_17counting_iteratorIjlEEPS9_SG_NS0_5tupleIJPjSI_NS0_16reverse_iteratorISI_EEEEENSH_IJSG_SG_SG_EEES9_SI_JZNS1_25segmented_radix_sort_implINS0_14default_configELb0EPKlPlSQ_SR_N2at6native12_GLOBAL__N_18offset_tEEE10hipError_tPvRmT1_PNSt15iterator_traitsISZ_E10value_typeET2_T3_PNS10_IS15_E10value_typeET4_jRbjT5_S1B_jjP12ihipStream_tbEUljE_ZNSN_ISO_Lb0ESQ_SR_SQ_SR_SV_EESW_SX_SY_SZ_S13_S14_S15_S18_S19_jS1A_jS1B_S1B_jjS1D_bEUljE0_EEESW_SX_SY_S15_S19_S1B_T6_T7_T9_mT8_S1D_bDpT10_ENKUlT_T0_E_clISt17integral_constantIbLb0EES1Q_IbLb1EEEEDaS1M_S1N_EUlS1M_E_NS1_11comp_targetILNS1_3genE2ELNS1_11target_archE906ELNS1_3gpuE6ELNS1_3repE0EEENS1_30default_config_static_selectorELNS0_4arch9wavefront6targetE1EEEvSZ_,comdat
.Lfunc_end771:
	.size	_ZN7rocprim17ROCPRIM_400000_NS6detail17trampoline_kernelINS0_13select_configILj256ELj13ELNS0_17block_load_methodE3ELS4_3ELS4_3ELNS0_20block_scan_algorithmE0ELj4294967295EEENS1_25partition_config_selectorILNS1_17partition_subalgoE4EjNS0_10empty_typeEbEEZZNS1_14partition_implILS8_4ELb0ES6_15HIP_vector_typeIjLj2EENS0_17counting_iteratorIjlEEPS9_SG_NS0_5tupleIJPjSI_NS0_16reverse_iteratorISI_EEEEENSH_IJSG_SG_SG_EEES9_SI_JZNS1_25segmented_radix_sort_implINS0_14default_configELb0EPKlPlSQ_SR_N2at6native12_GLOBAL__N_18offset_tEEE10hipError_tPvRmT1_PNSt15iterator_traitsISZ_E10value_typeET2_T3_PNS10_IS15_E10value_typeET4_jRbjT5_S1B_jjP12ihipStream_tbEUljE_ZNSN_ISO_Lb0ESQ_SR_SQ_SR_SV_EESW_SX_SY_SZ_S13_S14_S15_S18_S19_jS1A_jS1B_S1B_jjS1D_bEUljE0_EEESW_SX_SY_S15_S19_S1B_T6_T7_T9_mT8_S1D_bDpT10_ENKUlT_T0_E_clISt17integral_constantIbLb0EES1Q_IbLb1EEEEDaS1M_S1N_EUlS1M_E_NS1_11comp_targetILNS1_3genE2ELNS1_11target_archE906ELNS1_3gpuE6ELNS1_3repE0EEENS1_30default_config_static_selectorELNS0_4arch9wavefront6targetE1EEEvSZ_, .Lfunc_end771-_ZN7rocprim17ROCPRIM_400000_NS6detail17trampoline_kernelINS0_13select_configILj256ELj13ELNS0_17block_load_methodE3ELS4_3ELS4_3ELNS0_20block_scan_algorithmE0ELj4294967295EEENS1_25partition_config_selectorILNS1_17partition_subalgoE4EjNS0_10empty_typeEbEEZZNS1_14partition_implILS8_4ELb0ES6_15HIP_vector_typeIjLj2EENS0_17counting_iteratorIjlEEPS9_SG_NS0_5tupleIJPjSI_NS0_16reverse_iteratorISI_EEEEENSH_IJSG_SG_SG_EEES9_SI_JZNS1_25segmented_radix_sort_implINS0_14default_configELb0EPKlPlSQ_SR_N2at6native12_GLOBAL__N_18offset_tEEE10hipError_tPvRmT1_PNSt15iterator_traitsISZ_E10value_typeET2_T3_PNS10_IS15_E10value_typeET4_jRbjT5_S1B_jjP12ihipStream_tbEUljE_ZNSN_ISO_Lb0ESQ_SR_SQ_SR_SV_EESW_SX_SY_SZ_S13_S14_S15_S18_S19_jS1A_jS1B_S1B_jjS1D_bEUljE0_EEESW_SX_SY_S15_S19_S1B_T6_T7_T9_mT8_S1D_bDpT10_ENKUlT_T0_E_clISt17integral_constantIbLb0EES1Q_IbLb1EEEEDaS1M_S1N_EUlS1M_E_NS1_11comp_targetILNS1_3genE2ELNS1_11target_archE906ELNS1_3gpuE6ELNS1_3repE0EEENS1_30default_config_static_selectorELNS0_4arch9wavefront6targetE1EEEvSZ_
                                        ; -- End function
	.section	.AMDGPU.csdata,"",@progbits
; Kernel info:
; codeLenInByte = 0
; NumSgprs: 4
; NumVgprs: 0
; NumAgprs: 0
; TotalNumVgprs: 0
; ScratchSize: 0
; MemoryBound: 0
; FloatMode: 240
; IeeeMode: 1
; LDSByteSize: 0 bytes/workgroup (compile time only)
; SGPRBlocks: 0
; VGPRBlocks: 0
; NumSGPRsForWavesPerEU: 4
; NumVGPRsForWavesPerEU: 1
; AccumOffset: 4
; Occupancy: 8
; WaveLimiterHint : 0
; COMPUTE_PGM_RSRC2:SCRATCH_EN: 0
; COMPUTE_PGM_RSRC2:USER_SGPR: 6
; COMPUTE_PGM_RSRC2:TRAP_HANDLER: 0
; COMPUTE_PGM_RSRC2:TGID_X_EN: 1
; COMPUTE_PGM_RSRC2:TGID_Y_EN: 0
; COMPUTE_PGM_RSRC2:TGID_Z_EN: 0
; COMPUTE_PGM_RSRC2:TIDIG_COMP_CNT: 0
; COMPUTE_PGM_RSRC3_GFX90A:ACCUM_OFFSET: 0
; COMPUTE_PGM_RSRC3_GFX90A:TG_SPLIT: 0
	.section	.text._ZN7rocprim17ROCPRIM_400000_NS6detail17trampoline_kernelINS0_13select_configILj256ELj13ELNS0_17block_load_methodE3ELS4_3ELS4_3ELNS0_20block_scan_algorithmE0ELj4294967295EEENS1_25partition_config_selectorILNS1_17partition_subalgoE4EjNS0_10empty_typeEbEEZZNS1_14partition_implILS8_4ELb0ES6_15HIP_vector_typeIjLj2EENS0_17counting_iteratorIjlEEPS9_SG_NS0_5tupleIJPjSI_NS0_16reverse_iteratorISI_EEEEENSH_IJSG_SG_SG_EEES9_SI_JZNS1_25segmented_radix_sort_implINS0_14default_configELb0EPKlPlSQ_SR_N2at6native12_GLOBAL__N_18offset_tEEE10hipError_tPvRmT1_PNSt15iterator_traitsISZ_E10value_typeET2_T3_PNS10_IS15_E10value_typeET4_jRbjT5_S1B_jjP12ihipStream_tbEUljE_ZNSN_ISO_Lb0ESQ_SR_SQ_SR_SV_EESW_SX_SY_SZ_S13_S14_S15_S18_S19_jS1A_jS1B_S1B_jjS1D_bEUljE0_EEESW_SX_SY_S15_S19_S1B_T6_T7_T9_mT8_S1D_bDpT10_ENKUlT_T0_E_clISt17integral_constantIbLb0EES1Q_IbLb1EEEEDaS1M_S1N_EUlS1M_E_NS1_11comp_targetILNS1_3genE10ELNS1_11target_archE1200ELNS1_3gpuE4ELNS1_3repE0EEENS1_30default_config_static_selectorELNS0_4arch9wavefront6targetE1EEEvSZ_,"axG",@progbits,_ZN7rocprim17ROCPRIM_400000_NS6detail17trampoline_kernelINS0_13select_configILj256ELj13ELNS0_17block_load_methodE3ELS4_3ELS4_3ELNS0_20block_scan_algorithmE0ELj4294967295EEENS1_25partition_config_selectorILNS1_17partition_subalgoE4EjNS0_10empty_typeEbEEZZNS1_14partition_implILS8_4ELb0ES6_15HIP_vector_typeIjLj2EENS0_17counting_iteratorIjlEEPS9_SG_NS0_5tupleIJPjSI_NS0_16reverse_iteratorISI_EEEEENSH_IJSG_SG_SG_EEES9_SI_JZNS1_25segmented_radix_sort_implINS0_14default_configELb0EPKlPlSQ_SR_N2at6native12_GLOBAL__N_18offset_tEEE10hipError_tPvRmT1_PNSt15iterator_traitsISZ_E10value_typeET2_T3_PNS10_IS15_E10value_typeET4_jRbjT5_S1B_jjP12ihipStream_tbEUljE_ZNSN_ISO_Lb0ESQ_SR_SQ_SR_SV_EESW_SX_SY_SZ_S13_S14_S15_S18_S19_jS1A_jS1B_S1B_jjS1D_bEUljE0_EEESW_SX_SY_S15_S19_S1B_T6_T7_T9_mT8_S1D_bDpT10_ENKUlT_T0_E_clISt17integral_constantIbLb0EES1Q_IbLb1EEEEDaS1M_S1N_EUlS1M_E_NS1_11comp_targetILNS1_3genE10ELNS1_11target_archE1200ELNS1_3gpuE4ELNS1_3repE0EEENS1_30default_config_static_selectorELNS0_4arch9wavefront6targetE1EEEvSZ_,comdat
	.globl	_ZN7rocprim17ROCPRIM_400000_NS6detail17trampoline_kernelINS0_13select_configILj256ELj13ELNS0_17block_load_methodE3ELS4_3ELS4_3ELNS0_20block_scan_algorithmE0ELj4294967295EEENS1_25partition_config_selectorILNS1_17partition_subalgoE4EjNS0_10empty_typeEbEEZZNS1_14partition_implILS8_4ELb0ES6_15HIP_vector_typeIjLj2EENS0_17counting_iteratorIjlEEPS9_SG_NS0_5tupleIJPjSI_NS0_16reverse_iteratorISI_EEEEENSH_IJSG_SG_SG_EEES9_SI_JZNS1_25segmented_radix_sort_implINS0_14default_configELb0EPKlPlSQ_SR_N2at6native12_GLOBAL__N_18offset_tEEE10hipError_tPvRmT1_PNSt15iterator_traitsISZ_E10value_typeET2_T3_PNS10_IS15_E10value_typeET4_jRbjT5_S1B_jjP12ihipStream_tbEUljE_ZNSN_ISO_Lb0ESQ_SR_SQ_SR_SV_EESW_SX_SY_SZ_S13_S14_S15_S18_S19_jS1A_jS1B_S1B_jjS1D_bEUljE0_EEESW_SX_SY_S15_S19_S1B_T6_T7_T9_mT8_S1D_bDpT10_ENKUlT_T0_E_clISt17integral_constantIbLb0EES1Q_IbLb1EEEEDaS1M_S1N_EUlS1M_E_NS1_11comp_targetILNS1_3genE10ELNS1_11target_archE1200ELNS1_3gpuE4ELNS1_3repE0EEENS1_30default_config_static_selectorELNS0_4arch9wavefront6targetE1EEEvSZ_ ; -- Begin function _ZN7rocprim17ROCPRIM_400000_NS6detail17trampoline_kernelINS0_13select_configILj256ELj13ELNS0_17block_load_methodE3ELS4_3ELS4_3ELNS0_20block_scan_algorithmE0ELj4294967295EEENS1_25partition_config_selectorILNS1_17partition_subalgoE4EjNS0_10empty_typeEbEEZZNS1_14partition_implILS8_4ELb0ES6_15HIP_vector_typeIjLj2EENS0_17counting_iteratorIjlEEPS9_SG_NS0_5tupleIJPjSI_NS0_16reverse_iteratorISI_EEEEENSH_IJSG_SG_SG_EEES9_SI_JZNS1_25segmented_radix_sort_implINS0_14default_configELb0EPKlPlSQ_SR_N2at6native12_GLOBAL__N_18offset_tEEE10hipError_tPvRmT1_PNSt15iterator_traitsISZ_E10value_typeET2_T3_PNS10_IS15_E10value_typeET4_jRbjT5_S1B_jjP12ihipStream_tbEUljE_ZNSN_ISO_Lb0ESQ_SR_SQ_SR_SV_EESW_SX_SY_SZ_S13_S14_S15_S18_S19_jS1A_jS1B_S1B_jjS1D_bEUljE0_EEESW_SX_SY_S15_S19_S1B_T6_T7_T9_mT8_S1D_bDpT10_ENKUlT_T0_E_clISt17integral_constantIbLb0EES1Q_IbLb1EEEEDaS1M_S1N_EUlS1M_E_NS1_11comp_targetILNS1_3genE10ELNS1_11target_archE1200ELNS1_3gpuE4ELNS1_3repE0EEENS1_30default_config_static_selectorELNS0_4arch9wavefront6targetE1EEEvSZ_
	.p2align	8
	.type	_ZN7rocprim17ROCPRIM_400000_NS6detail17trampoline_kernelINS0_13select_configILj256ELj13ELNS0_17block_load_methodE3ELS4_3ELS4_3ELNS0_20block_scan_algorithmE0ELj4294967295EEENS1_25partition_config_selectorILNS1_17partition_subalgoE4EjNS0_10empty_typeEbEEZZNS1_14partition_implILS8_4ELb0ES6_15HIP_vector_typeIjLj2EENS0_17counting_iteratorIjlEEPS9_SG_NS0_5tupleIJPjSI_NS0_16reverse_iteratorISI_EEEEENSH_IJSG_SG_SG_EEES9_SI_JZNS1_25segmented_radix_sort_implINS0_14default_configELb0EPKlPlSQ_SR_N2at6native12_GLOBAL__N_18offset_tEEE10hipError_tPvRmT1_PNSt15iterator_traitsISZ_E10value_typeET2_T3_PNS10_IS15_E10value_typeET4_jRbjT5_S1B_jjP12ihipStream_tbEUljE_ZNSN_ISO_Lb0ESQ_SR_SQ_SR_SV_EESW_SX_SY_SZ_S13_S14_S15_S18_S19_jS1A_jS1B_S1B_jjS1D_bEUljE0_EEESW_SX_SY_S15_S19_S1B_T6_T7_T9_mT8_S1D_bDpT10_ENKUlT_T0_E_clISt17integral_constantIbLb0EES1Q_IbLb1EEEEDaS1M_S1N_EUlS1M_E_NS1_11comp_targetILNS1_3genE10ELNS1_11target_archE1200ELNS1_3gpuE4ELNS1_3repE0EEENS1_30default_config_static_selectorELNS0_4arch9wavefront6targetE1EEEvSZ_,@function
_ZN7rocprim17ROCPRIM_400000_NS6detail17trampoline_kernelINS0_13select_configILj256ELj13ELNS0_17block_load_methodE3ELS4_3ELS4_3ELNS0_20block_scan_algorithmE0ELj4294967295EEENS1_25partition_config_selectorILNS1_17partition_subalgoE4EjNS0_10empty_typeEbEEZZNS1_14partition_implILS8_4ELb0ES6_15HIP_vector_typeIjLj2EENS0_17counting_iteratorIjlEEPS9_SG_NS0_5tupleIJPjSI_NS0_16reverse_iteratorISI_EEEEENSH_IJSG_SG_SG_EEES9_SI_JZNS1_25segmented_radix_sort_implINS0_14default_configELb0EPKlPlSQ_SR_N2at6native12_GLOBAL__N_18offset_tEEE10hipError_tPvRmT1_PNSt15iterator_traitsISZ_E10value_typeET2_T3_PNS10_IS15_E10value_typeET4_jRbjT5_S1B_jjP12ihipStream_tbEUljE_ZNSN_ISO_Lb0ESQ_SR_SQ_SR_SV_EESW_SX_SY_SZ_S13_S14_S15_S18_S19_jS1A_jS1B_S1B_jjS1D_bEUljE0_EEESW_SX_SY_S15_S19_S1B_T6_T7_T9_mT8_S1D_bDpT10_ENKUlT_T0_E_clISt17integral_constantIbLb0EES1Q_IbLb1EEEEDaS1M_S1N_EUlS1M_E_NS1_11comp_targetILNS1_3genE10ELNS1_11target_archE1200ELNS1_3gpuE4ELNS1_3repE0EEENS1_30default_config_static_selectorELNS0_4arch9wavefront6targetE1EEEvSZ_: ; @_ZN7rocprim17ROCPRIM_400000_NS6detail17trampoline_kernelINS0_13select_configILj256ELj13ELNS0_17block_load_methodE3ELS4_3ELS4_3ELNS0_20block_scan_algorithmE0ELj4294967295EEENS1_25partition_config_selectorILNS1_17partition_subalgoE4EjNS0_10empty_typeEbEEZZNS1_14partition_implILS8_4ELb0ES6_15HIP_vector_typeIjLj2EENS0_17counting_iteratorIjlEEPS9_SG_NS0_5tupleIJPjSI_NS0_16reverse_iteratorISI_EEEEENSH_IJSG_SG_SG_EEES9_SI_JZNS1_25segmented_radix_sort_implINS0_14default_configELb0EPKlPlSQ_SR_N2at6native12_GLOBAL__N_18offset_tEEE10hipError_tPvRmT1_PNSt15iterator_traitsISZ_E10value_typeET2_T3_PNS10_IS15_E10value_typeET4_jRbjT5_S1B_jjP12ihipStream_tbEUljE_ZNSN_ISO_Lb0ESQ_SR_SQ_SR_SV_EESW_SX_SY_SZ_S13_S14_S15_S18_S19_jS1A_jS1B_S1B_jjS1D_bEUljE0_EEESW_SX_SY_S15_S19_S1B_T6_T7_T9_mT8_S1D_bDpT10_ENKUlT_T0_E_clISt17integral_constantIbLb0EES1Q_IbLb1EEEEDaS1M_S1N_EUlS1M_E_NS1_11comp_targetILNS1_3genE10ELNS1_11target_archE1200ELNS1_3gpuE4ELNS1_3repE0EEENS1_30default_config_static_selectorELNS0_4arch9wavefront6targetE1EEEvSZ_
; %bb.0:
	.section	.rodata,"a",@progbits
	.p2align	6, 0x0
	.amdhsa_kernel _ZN7rocprim17ROCPRIM_400000_NS6detail17trampoline_kernelINS0_13select_configILj256ELj13ELNS0_17block_load_methodE3ELS4_3ELS4_3ELNS0_20block_scan_algorithmE0ELj4294967295EEENS1_25partition_config_selectorILNS1_17partition_subalgoE4EjNS0_10empty_typeEbEEZZNS1_14partition_implILS8_4ELb0ES6_15HIP_vector_typeIjLj2EENS0_17counting_iteratorIjlEEPS9_SG_NS0_5tupleIJPjSI_NS0_16reverse_iteratorISI_EEEEENSH_IJSG_SG_SG_EEES9_SI_JZNS1_25segmented_radix_sort_implINS0_14default_configELb0EPKlPlSQ_SR_N2at6native12_GLOBAL__N_18offset_tEEE10hipError_tPvRmT1_PNSt15iterator_traitsISZ_E10value_typeET2_T3_PNS10_IS15_E10value_typeET4_jRbjT5_S1B_jjP12ihipStream_tbEUljE_ZNSN_ISO_Lb0ESQ_SR_SQ_SR_SV_EESW_SX_SY_SZ_S13_S14_S15_S18_S19_jS1A_jS1B_S1B_jjS1D_bEUljE0_EEESW_SX_SY_S15_S19_S1B_T6_T7_T9_mT8_S1D_bDpT10_ENKUlT_T0_E_clISt17integral_constantIbLb0EES1Q_IbLb1EEEEDaS1M_S1N_EUlS1M_E_NS1_11comp_targetILNS1_3genE10ELNS1_11target_archE1200ELNS1_3gpuE4ELNS1_3repE0EEENS1_30default_config_static_selectorELNS0_4arch9wavefront6targetE1EEEvSZ_
		.amdhsa_group_segment_fixed_size 0
		.amdhsa_private_segment_fixed_size 0
		.amdhsa_kernarg_size 184
		.amdhsa_user_sgpr_count 6
		.amdhsa_user_sgpr_private_segment_buffer 1
		.amdhsa_user_sgpr_dispatch_ptr 0
		.amdhsa_user_sgpr_queue_ptr 0
		.amdhsa_user_sgpr_kernarg_segment_ptr 1
		.amdhsa_user_sgpr_dispatch_id 0
		.amdhsa_user_sgpr_flat_scratch_init 0
		.amdhsa_user_sgpr_kernarg_preload_length 0
		.amdhsa_user_sgpr_kernarg_preload_offset 0
		.amdhsa_user_sgpr_private_segment_size 0
		.amdhsa_uses_dynamic_stack 0
		.amdhsa_system_sgpr_private_segment_wavefront_offset 0
		.amdhsa_system_sgpr_workgroup_id_x 1
		.amdhsa_system_sgpr_workgroup_id_y 0
		.amdhsa_system_sgpr_workgroup_id_z 0
		.amdhsa_system_sgpr_workgroup_info 0
		.amdhsa_system_vgpr_workitem_id 0
		.amdhsa_next_free_vgpr 1
		.amdhsa_next_free_sgpr 0
		.amdhsa_accum_offset 4
		.amdhsa_reserve_vcc 0
		.amdhsa_reserve_flat_scratch 0
		.amdhsa_float_round_mode_32 0
		.amdhsa_float_round_mode_16_64 0
		.amdhsa_float_denorm_mode_32 3
		.amdhsa_float_denorm_mode_16_64 3
		.amdhsa_dx10_clamp 1
		.amdhsa_ieee_mode 1
		.amdhsa_fp16_overflow 0
		.amdhsa_tg_split 0
		.amdhsa_exception_fp_ieee_invalid_op 0
		.amdhsa_exception_fp_denorm_src 0
		.amdhsa_exception_fp_ieee_div_zero 0
		.amdhsa_exception_fp_ieee_overflow 0
		.amdhsa_exception_fp_ieee_underflow 0
		.amdhsa_exception_fp_ieee_inexact 0
		.amdhsa_exception_int_div_zero 0
	.end_amdhsa_kernel
	.section	.text._ZN7rocprim17ROCPRIM_400000_NS6detail17trampoline_kernelINS0_13select_configILj256ELj13ELNS0_17block_load_methodE3ELS4_3ELS4_3ELNS0_20block_scan_algorithmE0ELj4294967295EEENS1_25partition_config_selectorILNS1_17partition_subalgoE4EjNS0_10empty_typeEbEEZZNS1_14partition_implILS8_4ELb0ES6_15HIP_vector_typeIjLj2EENS0_17counting_iteratorIjlEEPS9_SG_NS0_5tupleIJPjSI_NS0_16reverse_iteratorISI_EEEEENSH_IJSG_SG_SG_EEES9_SI_JZNS1_25segmented_radix_sort_implINS0_14default_configELb0EPKlPlSQ_SR_N2at6native12_GLOBAL__N_18offset_tEEE10hipError_tPvRmT1_PNSt15iterator_traitsISZ_E10value_typeET2_T3_PNS10_IS15_E10value_typeET4_jRbjT5_S1B_jjP12ihipStream_tbEUljE_ZNSN_ISO_Lb0ESQ_SR_SQ_SR_SV_EESW_SX_SY_SZ_S13_S14_S15_S18_S19_jS1A_jS1B_S1B_jjS1D_bEUljE0_EEESW_SX_SY_S15_S19_S1B_T6_T7_T9_mT8_S1D_bDpT10_ENKUlT_T0_E_clISt17integral_constantIbLb0EES1Q_IbLb1EEEEDaS1M_S1N_EUlS1M_E_NS1_11comp_targetILNS1_3genE10ELNS1_11target_archE1200ELNS1_3gpuE4ELNS1_3repE0EEENS1_30default_config_static_selectorELNS0_4arch9wavefront6targetE1EEEvSZ_,"axG",@progbits,_ZN7rocprim17ROCPRIM_400000_NS6detail17trampoline_kernelINS0_13select_configILj256ELj13ELNS0_17block_load_methodE3ELS4_3ELS4_3ELNS0_20block_scan_algorithmE0ELj4294967295EEENS1_25partition_config_selectorILNS1_17partition_subalgoE4EjNS0_10empty_typeEbEEZZNS1_14partition_implILS8_4ELb0ES6_15HIP_vector_typeIjLj2EENS0_17counting_iteratorIjlEEPS9_SG_NS0_5tupleIJPjSI_NS0_16reverse_iteratorISI_EEEEENSH_IJSG_SG_SG_EEES9_SI_JZNS1_25segmented_radix_sort_implINS0_14default_configELb0EPKlPlSQ_SR_N2at6native12_GLOBAL__N_18offset_tEEE10hipError_tPvRmT1_PNSt15iterator_traitsISZ_E10value_typeET2_T3_PNS10_IS15_E10value_typeET4_jRbjT5_S1B_jjP12ihipStream_tbEUljE_ZNSN_ISO_Lb0ESQ_SR_SQ_SR_SV_EESW_SX_SY_SZ_S13_S14_S15_S18_S19_jS1A_jS1B_S1B_jjS1D_bEUljE0_EEESW_SX_SY_S15_S19_S1B_T6_T7_T9_mT8_S1D_bDpT10_ENKUlT_T0_E_clISt17integral_constantIbLb0EES1Q_IbLb1EEEEDaS1M_S1N_EUlS1M_E_NS1_11comp_targetILNS1_3genE10ELNS1_11target_archE1200ELNS1_3gpuE4ELNS1_3repE0EEENS1_30default_config_static_selectorELNS0_4arch9wavefront6targetE1EEEvSZ_,comdat
.Lfunc_end772:
	.size	_ZN7rocprim17ROCPRIM_400000_NS6detail17trampoline_kernelINS0_13select_configILj256ELj13ELNS0_17block_load_methodE3ELS4_3ELS4_3ELNS0_20block_scan_algorithmE0ELj4294967295EEENS1_25partition_config_selectorILNS1_17partition_subalgoE4EjNS0_10empty_typeEbEEZZNS1_14partition_implILS8_4ELb0ES6_15HIP_vector_typeIjLj2EENS0_17counting_iteratorIjlEEPS9_SG_NS0_5tupleIJPjSI_NS0_16reverse_iteratorISI_EEEEENSH_IJSG_SG_SG_EEES9_SI_JZNS1_25segmented_radix_sort_implINS0_14default_configELb0EPKlPlSQ_SR_N2at6native12_GLOBAL__N_18offset_tEEE10hipError_tPvRmT1_PNSt15iterator_traitsISZ_E10value_typeET2_T3_PNS10_IS15_E10value_typeET4_jRbjT5_S1B_jjP12ihipStream_tbEUljE_ZNSN_ISO_Lb0ESQ_SR_SQ_SR_SV_EESW_SX_SY_SZ_S13_S14_S15_S18_S19_jS1A_jS1B_S1B_jjS1D_bEUljE0_EEESW_SX_SY_S15_S19_S1B_T6_T7_T9_mT8_S1D_bDpT10_ENKUlT_T0_E_clISt17integral_constantIbLb0EES1Q_IbLb1EEEEDaS1M_S1N_EUlS1M_E_NS1_11comp_targetILNS1_3genE10ELNS1_11target_archE1200ELNS1_3gpuE4ELNS1_3repE0EEENS1_30default_config_static_selectorELNS0_4arch9wavefront6targetE1EEEvSZ_, .Lfunc_end772-_ZN7rocprim17ROCPRIM_400000_NS6detail17trampoline_kernelINS0_13select_configILj256ELj13ELNS0_17block_load_methodE3ELS4_3ELS4_3ELNS0_20block_scan_algorithmE0ELj4294967295EEENS1_25partition_config_selectorILNS1_17partition_subalgoE4EjNS0_10empty_typeEbEEZZNS1_14partition_implILS8_4ELb0ES6_15HIP_vector_typeIjLj2EENS0_17counting_iteratorIjlEEPS9_SG_NS0_5tupleIJPjSI_NS0_16reverse_iteratorISI_EEEEENSH_IJSG_SG_SG_EEES9_SI_JZNS1_25segmented_radix_sort_implINS0_14default_configELb0EPKlPlSQ_SR_N2at6native12_GLOBAL__N_18offset_tEEE10hipError_tPvRmT1_PNSt15iterator_traitsISZ_E10value_typeET2_T3_PNS10_IS15_E10value_typeET4_jRbjT5_S1B_jjP12ihipStream_tbEUljE_ZNSN_ISO_Lb0ESQ_SR_SQ_SR_SV_EESW_SX_SY_SZ_S13_S14_S15_S18_S19_jS1A_jS1B_S1B_jjS1D_bEUljE0_EEESW_SX_SY_S15_S19_S1B_T6_T7_T9_mT8_S1D_bDpT10_ENKUlT_T0_E_clISt17integral_constantIbLb0EES1Q_IbLb1EEEEDaS1M_S1N_EUlS1M_E_NS1_11comp_targetILNS1_3genE10ELNS1_11target_archE1200ELNS1_3gpuE4ELNS1_3repE0EEENS1_30default_config_static_selectorELNS0_4arch9wavefront6targetE1EEEvSZ_
                                        ; -- End function
	.section	.AMDGPU.csdata,"",@progbits
; Kernel info:
; codeLenInByte = 0
; NumSgprs: 4
; NumVgprs: 0
; NumAgprs: 0
; TotalNumVgprs: 0
; ScratchSize: 0
; MemoryBound: 0
; FloatMode: 240
; IeeeMode: 1
; LDSByteSize: 0 bytes/workgroup (compile time only)
; SGPRBlocks: 0
; VGPRBlocks: 0
; NumSGPRsForWavesPerEU: 4
; NumVGPRsForWavesPerEU: 1
; AccumOffset: 4
; Occupancy: 8
; WaveLimiterHint : 0
; COMPUTE_PGM_RSRC2:SCRATCH_EN: 0
; COMPUTE_PGM_RSRC2:USER_SGPR: 6
; COMPUTE_PGM_RSRC2:TRAP_HANDLER: 0
; COMPUTE_PGM_RSRC2:TGID_X_EN: 1
; COMPUTE_PGM_RSRC2:TGID_Y_EN: 0
; COMPUTE_PGM_RSRC2:TGID_Z_EN: 0
; COMPUTE_PGM_RSRC2:TIDIG_COMP_CNT: 0
; COMPUTE_PGM_RSRC3_GFX90A:ACCUM_OFFSET: 0
; COMPUTE_PGM_RSRC3_GFX90A:TG_SPLIT: 0
	.section	.text._ZN7rocprim17ROCPRIM_400000_NS6detail17trampoline_kernelINS0_13select_configILj256ELj13ELNS0_17block_load_methodE3ELS4_3ELS4_3ELNS0_20block_scan_algorithmE0ELj4294967295EEENS1_25partition_config_selectorILNS1_17partition_subalgoE4EjNS0_10empty_typeEbEEZZNS1_14partition_implILS8_4ELb0ES6_15HIP_vector_typeIjLj2EENS0_17counting_iteratorIjlEEPS9_SG_NS0_5tupleIJPjSI_NS0_16reverse_iteratorISI_EEEEENSH_IJSG_SG_SG_EEES9_SI_JZNS1_25segmented_radix_sort_implINS0_14default_configELb0EPKlPlSQ_SR_N2at6native12_GLOBAL__N_18offset_tEEE10hipError_tPvRmT1_PNSt15iterator_traitsISZ_E10value_typeET2_T3_PNS10_IS15_E10value_typeET4_jRbjT5_S1B_jjP12ihipStream_tbEUljE_ZNSN_ISO_Lb0ESQ_SR_SQ_SR_SV_EESW_SX_SY_SZ_S13_S14_S15_S18_S19_jS1A_jS1B_S1B_jjS1D_bEUljE0_EEESW_SX_SY_S15_S19_S1B_T6_T7_T9_mT8_S1D_bDpT10_ENKUlT_T0_E_clISt17integral_constantIbLb0EES1Q_IbLb1EEEEDaS1M_S1N_EUlS1M_E_NS1_11comp_targetILNS1_3genE9ELNS1_11target_archE1100ELNS1_3gpuE3ELNS1_3repE0EEENS1_30default_config_static_selectorELNS0_4arch9wavefront6targetE1EEEvSZ_,"axG",@progbits,_ZN7rocprim17ROCPRIM_400000_NS6detail17trampoline_kernelINS0_13select_configILj256ELj13ELNS0_17block_load_methodE3ELS4_3ELS4_3ELNS0_20block_scan_algorithmE0ELj4294967295EEENS1_25partition_config_selectorILNS1_17partition_subalgoE4EjNS0_10empty_typeEbEEZZNS1_14partition_implILS8_4ELb0ES6_15HIP_vector_typeIjLj2EENS0_17counting_iteratorIjlEEPS9_SG_NS0_5tupleIJPjSI_NS0_16reverse_iteratorISI_EEEEENSH_IJSG_SG_SG_EEES9_SI_JZNS1_25segmented_radix_sort_implINS0_14default_configELb0EPKlPlSQ_SR_N2at6native12_GLOBAL__N_18offset_tEEE10hipError_tPvRmT1_PNSt15iterator_traitsISZ_E10value_typeET2_T3_PNS10_IS15_E10value_typeET4_jRbjT5_S1B_jjP12ihipStream_tbEUljE_ZNSN_ISO_Lb0ESQ_SR_SQ_SR_SV_EESW_SX_SY_SZ_S13_S14_S15_S18_S19_jS1A_jS1B_S1B_jjS1D_bEUljE0_EEESW_SX_SY_S15_S19_S1B_T6_T7_T9_mT8_S1D_bDpT10_ENKUlT_T0_E_clISt17integral_constantIbLb0EES1Q_IbLb1EEEEDaS1M_S1N_EUlS1M_E_NS1_11comp_targetILNS1_3genE9ELNS1_11target_archE1100ELNS1_3gpuE3ELNS1_3repE0EEENS1_30default_config_static_selectorELNS0_4arch9wavefront6targetE1EEEvSZ_,comdat
	.globl	_ZN7rocprim17ROCPRIM_400000_NS6detail17trampoline_kernelINS0_13select_configILj256ELj13ELNS0_17block_load_methodE3ELS4_3ELS4_3ELNS0_20block_scan_algorithmE0ELj4294967295EEENS1_25partition_config_selectorILNS1_17partition_subalgoE4EjNS0_10empty_typeEbEEZZNS1_14partition_implILS8_4ELb0ES6_15HIP_vector_typeIjLj2EENS0_17counting_iteratorIjlEEPS9_SG_NS0_5tupleIJPjSI_NS0_16reverse_iteratorISI_EEEEENSH_IJSG_SG_SG_EEES9_SI_JZNS1_25segmented_radix_sort_implINS0_14default_configELb0EPKlPlSQ_SR_N2at6native12_GLOBAL__N_18offset_tEEE10hipError_tPvRmT1_PNSt15iterator_traitsISZ_E10value_typeET2_T3_PNS10_IS15_E10value_typeET4_jRbjT5_S1B_jjP12ihipStream_tbEUljE_ZNSN_ISO_Lb0ESQ_SR_SQ_SR_SV_EESW_SX_SY_SZ_S13_S14_S15_S18_S19_jS1A_jS1B_S1B_jjS1D_bEUljE0_EEESW_SX_SY_S15_S19_S1B_T6_T7_T9_mT8_S1D_bDpT10_ENKUlT_T0_E_clISt17integral_constantIbLb0EES1Q_IbLb1EEEEDaS1M_S1N_EUlS1M_E_NS1_11comp_targetILNS1_3genE9ELNS1_11target_archE1100ELNS1_3gpuE3ELNS1_3repE0EEENS1_30default_config_static_selectorELNS0_4arch9wavefront6targetE1EEEvSZ_ ; -- Begin function _ZN7rocprim17ROCPRIM_400000_NS6detail17trampoline_kernelINS0_13select_configILj256ELj13ELNS0_17block_load_methodE3ELS4_3ELS4_3ELNS0_20block_scan_algorithmE0ELj4294967295EEENS1_25partition_config_selectorILNS1_17partition_subalgoE4EjNS0_10empty_typeEbEEZZNS1_14partition_implILS8_4ELb0ES6_15HIP_vector_typeIjLj2EENS0_17counting_iteratorIjlEEPS9_SG_NS0_5tupleIJPjSI_NS0_16reverse_iteratorISI_EEEEENSH_IJSG_SG_SG_EEES9_SI_JZNS1_25segmented_radix_sort_implINS0_14default_configELb0EPKlPlSQ_SR_N2at6native12_GLOBAL__N_18offset_tEEE10hipError_tPvRmT1_PNSt15iterator_traitsISZ_E10value_typeET2_T3_PNS10_IS15_E10value_typeET4_jRbjT5_S1B_jjP12ihipStream_tbEUljE_ZNSN_ISO_Lb0ESQ_SR_SQ_SR_SV_EESW_SX_SY_SZ_S13_S14_S15_S18_S19_jS1A_jS1B_S1B_jjS1D_bEUljE0_EEESW_SX_SY_S15_S19_S1B_T6_T7_T9_mT8_S1D_bDpT10_ENKUlT_T0_E_clISt17integral_constantIbLb0EES1Q_IbLb1EEEEDaS1M_S1N_EUlS1M_E_NS1_11comp_targetILNS1_3genE9ELNS1_11target_archE1100ELNS1_3gpuE3ELNS1_3repE0EEENS1_30default_config_static_selectorELNS0_4arch9wavefront6targetE1EEEvSZ_
	.p2align	8
	.type	_ZN7rocprim17ROCPRIM_400000_NS6detail17trampoline_kernelINS0_13select_configILj256ELj13ELNS0_17block_load_methodE3ELS4_3ELS4_3ELNS0_20block_scan_algorithmE0ELj4294967295EEENS1_25partition_config_selectorILNS1_17partition_subalgoE4EjNS0_10empty_typeEbEEZZNS1_14partition_implILS8_4ELb0ES6_15HIP_vector_typeIjLj2EENS0_17counting_iteratorIjlEEPS9_SG_NS0_5tupleIJPjSI_NS0_16reverse_iteratorISI_EEEEENSH_IJSG_SG_SG_EEES9_SI_JZNS1_25segmented_radix_sort_implINS0_14default_configELb0EPKlPlSQ_SR_N2at6native12_GLOBAL__N_18offset_tEEE10hipError_tPvRmT1_PNSt15iterator_traitsISZ_E10value_typeET2_T3_PNS10_IS15_E10value_typeET4_jRbjT5_S1B_jjP12ihipStream_tbEUljE_ZNSN_ISO_Lb0ESQ_SR_SQ_SR_SV_EESW_SX_SY_SZ_S13_S14_S15_S18_S19_jS1A_jS1B_S1B_jjS1D_bEUljE0_EEESW_SX_SY_S15_S19_S1B_T6_T7_T9_mT8_S1D_bDpT10_ENKUlT_T0_E_clISt17integral_constantIbLb0EES1Q_IbLb1EEEEDaS1M_S1N_EUlS1M_E_NS1_11comp_targetILNS1_3genE9ELNS1_11target_archE1100ELNS1_3gpuE3ELNS1_3repE0EEENS1_30default_config_static_selectorELNS0_4arch9wavefront6targetE1EEEvSZ_,@function
_ZN7rocprim17ROCPRIM_400000_NS6detail17trampoline_kernelINS0_13select_configILj256ELj13ELNS0_17block_load_methodE3ELS4_3ELS4_3ELNS0_20block_scan_algorithmE0ELj4294967295EEENS1_25partition_config_selectorILNS1_17partition_subalgoE4EjNS0_10empty_typeEbEEZZNS1_14partition_implILS8_4ELb0ES6_15HIP_vector_typeIjLj2EENS0_17counting_iteratorIjlEEPS9_SG_NS0_5tupleIJPjSI_NS0_16reverse_iteratorISI_EEEEENSH_IJSG_SG_SG_EEES9_SI_JZNS1_25segmented_radix_sort_implINS0_14default_configELb0EPKlPlSQ_SR_N2at6native12_GLOBAL__N_18offset_tEEE10hipError_tPvRmT1_PNSt15iterator_traitsISZ_E10value_typeET2_T3_PNS10_IS15_E10value_typeET4_jRbjT5_S1B_jjP12ihipStream_tbEUljE_ZNSN_ISO_Lb0ESQ_SR_SQ_SR_SV_EESW_SX_SY_SZ_S13_S14_S15_S18_S19_jS1A_jS1B_S1B_jjS1D_bEUljE0_EEESW_SX_SY_S15_S19_S1B_T6_T7_T9_mT8_S1D_bDpT10_ENKUlT_T0_E_clISt17integral_constantIbLb0EES1Q_IbLb1EEEEDaS1M_S1N_EUlS1M_E_NS1_11comp_targetILNS1_3genE9ELNS1_11target_archE1100ELNS1_3gpuE3ELNS1_3repE0EEENS1_30default_config_static_selectorELNS0_4arch9wavefront6targetE1EEEvSZ_: ; @_ZN7rocprim17ROCPRIM_400000_NS6detail17trampoline_kernelINS0_13select_configILj256ELj13ELNS0_17block_load_methodE3ELS4_3ELS4_3ELNS0_20block_scan_algorithmE0ELj4294967295EEENS1_25partition_config_selectorILNS1_17partition_subalgoE4EjNS0_10empty_typeEbEEZZNS1_14partition_implILS8_4ELb0ES6_15HIP_vector_typeIjLj2EENS0_17counting_iteratorIjlEEPS9_SG_NS0_5tupleIJPjSI_NS0_16reverse_iteratorISI_EEEEENSH_IJSG_SG_SG_EEES9_SI_JZNS1_25segmented_radix_sort_implINS0_14default_configELb0EPKlPlSQ_SR_N2at6native12_GLOBAL__N_18offset_tEEE10hipError_tPvRmT1_PNSt15iterator_traitsISZ_E10value_typeET2_T3_PNS10_IS15_E10value_typeET4_jRbjT5_S1B_jjP12ihipStream_tbEUljE_ZNSN_ISO_Lb0ESQ_SR_SQ_SR_SV_EESW_SX_SY_SZ_S13_S14_S15_S18_S19_jS1A_jS1B_S1B_jjS1D_bEUljE0_EEESW_SX_SY_S15_S19_S1B_T6_T7_T9_mT8_S1D_bDpT10_ENKUlT_T0_E_clISt17integral_constantIbLb0EES1Q_IbLb1EEEEDaS1M_S1N_EUlS1M_E_NS1_11comp_targetILNS1_3genE9ELNS1_11target_archE1100ELNS1_3gpuE3ELNS1_3repE0EEENS1_30default_config_static_selectorELNS0_4arch9wavefront6targetE1EEEvSZ_
; %bb.0:
	.section	.rodata,"a",@progbits
	.p2align	6, 0x0
	.amdhsa_kernel _ZN7rocprim17ROCPRIM_400000_NS6detail17trampoline_kernelINS0_13select_configILj256ELj13ELNS0_17block_load_methodE3ELS4_3ELS4_3ELNS0_20block_scan_algorithmE0ELj4294967295EEENS1_25partition_config_selectorILNS1_17partition_subalgoE4EjNS0_10empty_typeEbEEZZNS1_14partition_implILS8_4ELb0ES6_15HIP_vector_typeIjLj2EENS0_17counting_iteratorIjlEEPS9_SG_NS0_5tupleIJPjSI_NS0_16reverse_iteratorISI_EEEEENSH_IJSG_SG_SG_EEES9_SI_JZNS1_25segmented_radix_sort_implINS0_14default_configELb0EPKlPlSQ_SR_N2at6native12_GLOBAL__N_18offset_tEEE10hipError_tPvRmT1_PNSt15iterator_traitsISZ_E10value_typeET2_T3_PNS10_IS15_E10value_typeET4_jRbjT5_S1B_jjP12ihipStream_tbEUljE_ZNSN_ISO_Lb0ESQ_SR_SQ_SR_SV_EESW_SX_SY_SZ_S13_S14_S15_S18_S19_jS1A_jS1B_S1B_jjS1D_bEUljE0_EEESW_SX_SY_S15_S19_S1B_T6_T7_T9_mT8_S1D_bDpT10_ENKUlT_T0_E_clISt17integral_constantIbLb0EES1Q_IbLb1EEEEDaS1M_S1N_EUlS1M_E_NS1_11comp_targetILNS1_3genE9ELNS1_11target_archE1100ELNS1_3gpuE3ELNS1_3repE0EEENS1_30default_config_static_selectorELNS0_4arch9wavefront6targetE1EEEvSZ_
		.amdhsa_group_segment_fixed_size 0
		.amdhsa_private_segment_fixed_size 0
		.amdhsa_kernarg_size 184
		.amdhsa_user_sgpr_count 6
		.amdhsa_user_sgpr_private_segment_buffer 1
		.amdhsa_user_sgpr_dispatch_ptr 0
		.amdhsa_user_sgpr_queue_ptr 0
		.amdhsa_user_sgpr_kernarg_segment_ptr 1
		.amdhsa_user_sgpr_dispatch_id 0
		.amdhsa_user_sgpr_flat_scratch_init 0
		.amdhsa_user_sgpr_kernarg_preload_length 0
		.amdhsa_user_sgpr_kernarg_preload_offset 0
		.amdhsa_user_sgpr_private_segment_size 0
		.amdhsa_uses_dynamic_stack 0
		.amdhsa_system_sgpr_private_segment_wavefront_offset 0
		.amdhsa_system_sgpr_workgroup_id_x 1
		.amdhsa_system_sgpr_workgroup_id_y 0
		.amdhsa_system_sgpr_workgroup_id_z 0
		.amdhsa_system_sgpr_workgroup_info 0
		.amdhsa_system_vgpr_workitem_id 0
		.amdhsa_next_free_vgpr 1
		.amdhsa_next_free_sgpr 0
		.amdhsa_accum_offset 4
		.amdhsa_reserve_vcc 0
		.amdhsa_reserve_flat_scratch 0
		.amdhsa_float_round_mode_32 0
		.amdhsa_float_round_mode_16_64 0
		.amdhsa_float_denorm_mode_32 3
		.amdhsa_float_denorm_mode_16_64 3
		.amdhsa_dx10_clamp 1
		.amdhsa_ieee_mode 1
		.amdhsa_fp16_overflow 0
		.amdhsa_tg_split 0
		.amdhsa_exception_fp_ieee_invalid_op 0
		.amdhsa_exception_fp_denorm_src 0
		.amdhsa_exception_fp_ieee_div_zero 0
		.amdhsa_exception_fp_ieee_overflow 0
		.amdhsa_exception_fp_ieee_underflow 0
		.amdhsa_exception_fp_ieee_inexact 0
		.amdhsa_exception_int_div_zero 0
	.end_amdhsa_kernel
	.section	.text._ZN7rocprim17ROCPRIM_400000_NS6detail17trampoline_kernelINS0_13select_configILj256ELj13ELNS0_17block_load_methodE3ELS4_3ELS4_3ELNS0_20block_scan_algorithmE0ELj4294967295EEENS1_25partition_config_selectorILNS1_17partition_subalgoE4EjNS0_10empty_typeEbEEZZNS1_14partition_implILS8_4ELb0ES6_15HIP_vector_typeIjLj2EENS0_17counting_iteratorIjlEEPS9_SG_NS0_5tupleIJPjSI_NS0_16reverse_iteratorISI_EEEEENSH_IJSG_SG_SG_EEES9_SI_JZNS1_25segmented_radix_sort_implINS0_14default_configELb0EPKlPlSQ_SR_N2at6native12_GLOBAL__N_18offset_tEEE10hipError_tPvRmT1_PNSt15iterator_traitsISZ_E10value_typeET2_T3_PNS10_IS15_E10value_typeET4_jRbjT5_S1B_jjP12ihipStream_tbEUljE_ZNSN_ISO_Lb0ESQ_SR_SQ_SR_SV_EESW_SX_SY_SZ_S13_S14_S15_S18_S19_jS1A_jS1B_S1B_jjS1D_bEUljE0_EEESW_SX_SY_S15_S19_S1B_T6_T7_T9_mT8_S1D_bDpT10_ENKUlT_T0_E_clISt17integral_constantIbLb0EES1Q_IbLb1EEEEDaS1M_S1N_EUlS1M_E_NS1_11comp_targetILNS1_3genE9ELNS1_11target_archE1100ELNS1_3gpuE3ELNS1_3repE0EEENS1_30default_config_static_selectorELNS0_4arch9wavefront6targetE1EEEvSZ_,"axG",@progbits,_ZN7rocprim17ROCPRIM_400000_NS6detail17trampoline_kernelINS0_13select_configILj256ELj13ELNS0_17block_load_methodE3ELS4_3ELS4_3ELNS0_20block_scan_algorithmE0ELj4294967295EEENS1_25partition_config_selectorILNS1_17partition_subalgoE4EjNS0_10empty_typeEbEEZZNS1_14partition_implILS8_4ELb0ES6_15HIP_vector_typeIjLj2EENS0_17counting_iteratorIjlEEPS9_SG_NS0_5tupleIJPjSI_NS0_16reverse_iteratorISI_EEEEENSH_IJSG_SG_SG_EEES9_SI_JZNS1_25segmented_radix_sort_implINS0_14default_configELb0EPKlPlSQ_SR_N2at6native12_GLOBAL__N_18offset_tEEE10hipError_tPvRmT1_PNSt15iterator_traitsISZ_E10value_typeET2_T3_PNS10_IS15_E10value_typeET4_jRbjT5_S1B_jjP12ihipStream_tbEUljE_ZNSN_ISO_Lb0ESQ_SR_SQ_SR_SV_EESW_SX_SY_SZ_S13_S14_S15_S18_S19_jS1A_jS1B_S1B_jjS1D_bEUljE0_EEESW_SX_SY_S15_S19_S1B_T6_T7_T9_mT8_S1D_bDpT10_ENKUlT_T0_E_clISt17integral_constantIbLb0EES1Q_IbLb1EEEEDaS1M_S1N_EUlS1M_E_NS1_11comp_targetILNS1_3genE9ELNS1_11target_archE1100ELNS1_3gpuE3ELNS1_3repE0EEENS1_30default_config_static_selectorELNS0_4arch9wavefront6targetE1EEEvSZ_,comdat
.Lfunc_end773:
	.size	_ZN7rocprim17ROCPRIM_400000_NS6detail17trampoline_kernelINS0_13select_configILj256ELj13ELNS0_17block_load_methodE3ELS4_3ELS4_3ELNS0_20block_scan_algorithmE0ELj4294967295EEENS1_25partition_config_selectorILNS1_17partition_subalgoE4EjNS0_10empty_typeEbEEZZNS1_14partition_implILS8_4ELb0ES6_15HIP_vector_typeIjLj2EENS0_17counting_iteratorIjlEEPS9_SG_NS0_5tupleIJPjSI_NS0_16reverse_iteratorISI_EEEEENSH_IJSG_SG_SG_EEES9_SI_JZNS1_25segmented_radix_sort_implINS0_14default_configELb0EPKlPlSQ_SR_N2at6native12_GLOBAL__N_18offset_tEEE10hipError_tPvRmT1_PNSt15iterator_traitsISZ_E10value_typeET2_T3_PNS10_IS15_E10value_typeET4_jRbjT5_S1B_jjP12ihipStream_tbEUljE_ZNSN_ISO_Lb0ESQ_SR_SQ_SR_SV_EESW_SX_SY_SZ_S13_S14_S15_S18_S19_jS1A_jS1B_S1B_jjS1D_bEUljE0_EEESW_SX_SY_S15_S19_S1B_T6_T7_T9_mT8_S1D_bDpT10_ENKUlT_T0_E_clISt17integral_constantIbLb0EES1Q_IbLb1EEEEDaS1M_S1N_EUlS1M_E_NS1_11comp_targetILNS1_3genE9ELNS1_11target_archE1100ELNS1_3gpuE3ELNS1_3repE0EEENS1_30default_config_static_selectorELNS0_4arch9wavefront6targetE1EEEvSZ_, .Lfunc_end773-_ZN7rocprim17ROCPRIM_400000_NS6detail17trampoline_kernelINS0_13select_configILj256ELj13ELNS0_17block_load_methodE3ELS4_3ELS4_3ELNS0_20block_scan_algorithmE0ELj4294967295EEENS1_25partition_config_selectorILNS1_17partition_subalgoE4EjNS0_10empty_typeEbEEZZNS1_14partition_implILS8_4ELb0ES6_15HIP_vector_typeIjLj2EENS0_17counting_iteratorIjlEEPS9_SG_NS0_5tupleIJPjSI_NS0_16reverse_iteratorISI_EEEEENSH_IJSG_SG_SG_EEES9_SI_JZNS1_25segmented_radix_sort_implINS0_14default_configELb0EPKlPlSQ_SR_N2at6native12_GLOBAL__N_18offset_tEEE10hipError_tPvRmT1_PNSt15iterator_traitsISZ_E10value_typeET2_T3_PNS10_IS15_E10value_typeET4_jRbjT5_S1B_jjP12ihipStream_tbEUljE_ZNSN_ISO_Lb0ESQ_SR_SQ_SR_SV_EESW_SX_SY_SZ_S13_S14_S15_S18_S19_jS1A_jS1B_S1B_jjS1D_bEUljE0_EEESW_SX_SY_S15_S19_S1B_T6_T7_T9_mT8_S1D_bDpT10_ENKUlT_T0_E_clISt17integral_constantIbLb0EES1Q_IbLb1EEEEDaS1M_S1N_EUlS1M_E_NS1_11comp_targetILNS1_3genE9ELNS1_11target_archE1100ELNS1_3gpuE3ELNS1_3repE0EEENS1_30default_config_static_selectorELNS0_4arch9wavefront6targetE1EEEvSZ_
                                        ; -- End function
	.section	.AMDGPU.csdata,"",@progbits
; Kernel info:
; codeLenInByte = 0
; NumSgprs: 4
; NumVgprs: 0
; NumAgprs: 0
; TotalNumVgprs: 0
; ScratchSize: 0
; MemoryBound: 0
; FloatMode: 240
; IeeeMode: 1
; LDSByteSize: 0 bytes/workgroup (compile time only)
; SGPRBlocks: 0
; VGPRBlocks: 0
; NumSGPRsForWavesPerEU: 4
; NumVGPRsForWavesPerEU: 1
; AccumOffset: 4
; Occupancy: 8
; WaveLimiterHint : 0
; COMPUTE_PGM_RSRC2:SCRATCH_EN: 0
; COMPUTE_PGM_RSRC2:USER_SGPR: 6
; COMPUTE_PGM_RSRC2:TRAP_HANDLER: 0
; COMPUTE_PGM_RSRC2:TGID_X_EN: 1
; COMPUTE_PGM_RSRC2:TGID_Y_EN: 0
; COMPUTE_PGM_RSRC2:TGID_Z_EN: 0
; COMPUTE_PGM_RSRC2:TIDIG_COMP_CNT: 0
; COMPUTE_PGM_RSRC3_GFX90A:ACCUM_OFFSET: 0
; COMPUTE_PGM_RSRC3_GFX90A:TG_SPLIT: 0
	.section	.text._ZN7rocprim17ROCPRIM_400000_NS6detail17trampoline_kernelINS0_13select_configILj256ELj13ELNS0_17block_load_methodE3ELS4_3ELS4_3ELNS0_20block_scan_algorithmE0ELj4294967295EEENS1_25partition_config_selectorILNS1_17partition_subalgoE4EjNS0_10empty_typeEbEEZZNS1_14partition_implILS8_4ELb0ES6_15HIP_vector_typeIjLj2EENS0_17counting_iteratorIjlEEPS9_SG_NS0_5tupleIJPjSI_NS0_16reverse_iteratorISI_EEEEENSH_IJSG_SG_SG_EEES9_SI_JZNS1_25segmented_radix_sort_implINS0_14default_configELb0EPKlPlSQ_SR_N2at6native12_GLOBAL__N_18offset_tEEE10hipError_tPvRmT1_PNSt15iterator_traitsISZ_E10value_typeET2_T3_PNS10_IS15_E10value_typeET4_jRbjT5_S1B_jjP12ihipStream_tbEUljE_ZNSN_ISO_Lb0ESQ_SR_SQ_SR_SV_EESW_SX_SY_SZ_S13_S14_S15_S18_S19_jS1A_jS1B_S1B_jjS1D_bEUljE0_EEESW_SX_SY_S15_S19_S1B_T6_T7_T9_mT8_S1D_bDpT10_ENKUlT_T0_E_clISt17integral_constantIbLb0EES1Q_IbLb1EEEEDaS1M_S1N_EUlS1M_E_NS1_11comp_targetILNS1_3genE8ELNS1_11target_archE1030ELNS1_3gpuE2ELNS1_3repE0EEENS1_30default_config_static_selectorELNS0_4arch9wavefront6targetE1EEEvSZ_,"axG",@progbits,_ZN7rocprim17ROCPRIM_400000_NS6detail17trampoline_kernelINS0_13select_configILj256ELj13ELNS0_17block_load_methodE3ELS4_3ELS4_3ELNS0_20block_scan_algorithmE0ELj4294967295EEENS1_25partition_config_selectorILNS1_17partition_subalgoE4EjNS0_10empty_typeEbEEZZNS1_14partition_implILS8_4ELb0ES6_15HIP_vector_typeIjLj2EENS0_17counting_iteratorIjlEEPS9_SG_NS0_5tupleIJPjSI_NS0_16reverse_iteratorISI_EEEEENSH_IJSG_SG_SG_EEES9_SI_JZNS1_25segmented_radix_sort_implINS0_14default_configELb0EPKlPlSQ_SR_N2at6native12_GLOBAL__N_18offset_tEEE10hipError_tPvRmT1_PNSt15iterator_traitsISZ_E10value_typeET2_T3_PNS10_IS15_E10value_typeET4_jRbjT5_S1B_jjP12ihipStream_tbEUljE_ZNSN_ISO_Lb0ESQ_SR_SQ_SR_SV_EESW_SX_SY_SZ_S13_S14_S15_S18_S19_jS1A_jS1B_S1B_jjS1D_bEUljE0_EEESW_SX_SY_S15_S19_S1B_T6_T7_T9_mT8_S1D_bDpT10_ENKUlT_T0_E_clISt17integral_constantIbLb0EES1Q_IbLb1EEEEDaS1M_S1N_EUlS1M_E_NS1_11comp_targetILNS1_3genE8ELNS1_11target_archE1030ELNS1_3gpuE2ELNS1_3repE0EEENS1_30default_config_static_selectorELNS0_4arch9wavefront6targetE1EEEvSZ_,comdat
	.globl	_ZN7rocprim17ROCPRIM_400000_NS6detail17trampoline_kernelINS0_13select_configILj256ELj13ELNS0_17block_load_methodE3ELS4_3ELS4_3ELNS0_20block_scan_algorithmE0ELj4294967295EEENS1_25partition_config_selectorILNS1_17partition_subalgoE4EjNS0_10empty_typeEbEEZZNS1_14partition_implILS8_4ELb0ES6_15HIP_vector_typeIjLj2EENS0_17counting_iteratorIjlEEPS9_SG_NS0_5tupleIJPjSI_NS0_16reverse_iteratorISI_EEEEENSH_IJSG_SG_SG_EEES9_SI_JZNS1_25segmented_radix_sort_implINS0_14default_configELb0EPKlPlSQ_SR_N2at6native12_GLOBAL__N_18offset_tEEE10hipError_tPvRmT1_PNSt15iterator_traitsISZ_E10value_typeET2_T3_PNS10_IS15_E10value_typeET4_jRbjT5_S1B_jjP12ihipStream_tbEUljE_ZNSN_ISO_Lb0ESQ_SR_SQ_SR_SV_EESW_SX_SY_SZ_S13_S14_S15_S18_S19_jS1A_jS1B_S1B_jjS1D_bEUljE0_EEESW_SX_SY_S15_S19_S1B_T6_T7_T9_mT8_S1D_bDpT10_ENKUlT_T0_E_clISt17integral_constantIbLb0EES1Q_IbLb1EEEEDaS1M_S1N_EUlS1M_E_NS1_11comp_targetILNS1_3genE8ELNS1_11target_archE1030ELNS1_3gpuE2ELNS1_3repE0EEENS1_30default_config_static_selectorELNS0_4arch9wavefront6targetE1EEEvSZ_ ; -- Begin function _ZN7rocprim17ROCPRIM_400000_NS6detail17trampoline_kernelINS0_13select_configILj256ELj13ELNS0_17block_load_methodE3ELS4_3ELS4_3ELNS0_20block_scan_algorithmE0ELj4294967295EEENS1_25partition_config_selectorILNS1_17partition_subalgoE4EjNS0_10empty_typeEbEEZZNS1_14partition_implILS8_4ELb0ES6_15HIP_vector_typeIjLj2EENS0_17counting_iteratorIjlEEPS9_SG_NS0_5tupleIJPjSI_NS0_16reverse_iteratorISI_EEEEENSH_IJSG_SG_SG_EEES9_SI_JZNS1_25segmented_radix_sort_implINS0_14default_configELb0EPKlPlSQ_SR_N2at6native12_GLOBAL__N_18offset_tEEE10hipError_tPvRmT1_PNSt15iterator_traitsISZ_E10value_typeET2_T3_PNS10_IS15_E10value_typeET4_jRbjT5_S1B_jjP12ihipStream_tbEUljE_ZNSN_ISO_Lb0ESQ_SR_SQ_SR_SV_EESW_SX_SY_SZ_S13_S14_S15_S18_S19_jS1A_jS1B_S1B_jjS1D_bEUljE0_EEESW_SX_SY_S15_S19_S1B_T6_T7_T9_mT8_S1D_bDpT10_ENKUlT_T0_E_clISt17integral_constantIbLb0EES1Q_IbLb1EEEEDaS1M_S1N_EUlS1M_E_NS1_11comp_targetILNS1_3genE8ELNS1_11target_archE1030ELNS1_3gpuE2ELNS1_3repE0EEENS1_30default_config_static_selectorELNS0_4arch9wavefront6targetE1EEEvSZ_
	.p2align	8
	.type	_ZN7rocprim17ROCPRIM_400000_NS6detail17trampoline_kernelINS0_13select_configILj256ELj13ELNS0_17block_load_methodE3ELS4_3ELS4_3ELNS0_20block_scan_algorithmE0ELj4294967295EEENS1_25partition_config_selectorILNS1_17partition_subalgoE4EjNS0_10empty_typeEbEEZZNS1_14partition_implILS8_4ELb0ES6_15HIP_vector_typeIjLj2EENS0_17counting_iteratorIjlEEPS9_SG_NS0_5tupleIJPjSI_NS0_16reverse_iteratorISI_EEEEENSH_IJSG_SG_SG_EEES9_SI_JZNS1_25segmented_radix_sort_implINS0_14default_configELb0EPKlPlSQ_SR_N2at6native12_GLOBAL__N_18offset_tEEE10hipError_tPvRmT1_PNSt15iterator_traitsISZ_E10value_typeET2_T3_PNS10_IS15_E10value_typeET4_jRbjT5_S1B_jjP12ihipStream_tbEUljE_ZNSN_ISO_Lb0ESQ_SR_SQ_SR_SV_EESW_SX_SY_SZ_S13_S14_S15_S18_S19_jS1A_jS1B_S1B_jjS1D_bEUljE0_EEESW_SX_SY_S15_S19_S1B_T6_T7_T9_mT8_S1D_bDpT10_ENKUlT_T0_E_clISt17integral_constantIbLb0EES1Q_IbLb1EEEEDaS1M_S1N_EUlS1M_E_NS1_11comp_targetILNS1_3genE8ELNS1_11target_archE1030ELNS1_3gpuE2ELNS1_3repE0EEENS1_30default_config_static_selectorELNS0_4arch9wavefront6targetE1EEEvSZ_,@function
_ZN7rocprim17ROCPRIM_400000_NS6detail17trampoline_kernelINS0_13select_configILj256ELj13ELNS0_17block_load_methodE3ELS4_3ELS4_3ELNS0_20block_scan_algorithmE0ELj4294967295EEENS1_25partition_config_selectorILNS1_17partition_subalgoE4EjNS0_10empty_typeEbEEZZNS1_14partition_implILS8_4ELb0ES6_15HIP_vector_typeIjLj2EENS0_17counting_iteratorIjlEEPS9_SG_NS0_5tupleIJPjSI_NS0_16reverse_iteratorISI_EEEEENSH_IJSG_SG_SG_EEES9_SI_JZNS1_25segmented_radix_sort_implINS0_14default_configELb0EPKlPlSQ_SR_N2at6native12_GLOBAL__N_18offset_tEEE10hipError_tPvRmT1_PNSt15iterator_traitsISZ_E10value_typeET2_T3_PNS10_IS15_E10value_typeET4_jRbjT5_S1B_jjP12ihipStream_tbEUljE_ZNSN_ISO_Lb0ESQ_SR_SQ_SR_SV_EESW_SX_SY_SZ_S13_S14_S15_S18_S19_jS1A_jS1B_S1B_jjS1D_bEUljE0_EEESW_SX_SY_S15_S19_S1B_T6_T7_T9_mT8_S1D_bDpT10_ENKUlT_T0_E_clISt17integral_constantIbLb0EES1Q_IbLb1EEEEDaS1M_S1N_EUlS1M_E_NS1_11comp_targetILNS1_3genE8ELNS1_11target_archE1030ELNS1_3gpuE2ELNS1_3repE0EEENS1_30default_config_static_selectorELNS0_4arch9wavefront6targetE1EEEvSZ_: ; @_ZN7rocprim17ROCPRIM_400000_NS6detail17trampoline_kernelINS0_13select_configILj256ELj13ELNS0_17block_load_methodE3ELS4_3ELS4_3ELNS0_20block_scan_algorithmE0ELj4294967295EEENS1_25partition_config_selectorILNS1_17partition_subalgoE4EjNS0_10empty_typeEbEEZZNS1_14partition_implILS8_4ELb0ES6_15HIP_vector_typeIjLj2EENS0_17counting_iteratorIjlEEPS9_SG_NS0_5tupleIJPjSI_NS0_16reverse_iteratorISI_EEEEENSH_IJSG_SG_SG_EEES9_SI_JZNS1_25segmented_radix_sort_implINS0_14default_configELb0EPKlPlSQ_SR_N2at6native12_GLOBAL__N_18offset_tEEE10hipError_tPvRmT1_PNSt15iterator_traitsISZ_E10value_typeET2_T3_PNS10_IS15_E10value_typeET4_jRbjT5_S1B_jjP12ihipStream_tbEUljE_ZNSN_ISO_Lb0ESQ_SR_SQ_SR_SV_EESW_SX_SY_SZ_S13_S14_S15_S18_S19_jS1A_jS1B_S1B_jjS1D_bEUljE0_EEESW_SX_SY_S15_S19_S1B_T6_T7_T9_mT8_S1D_bDpT10_ENKUlT_T0_E_clISt17integral_constantIbLb0EES1Q_IbLb1EEEEDaS1M_S1N_EUlS1M_E_NS1_11comp_targetILNS1_3genE8ELNS1_11target_archE1030ELNS1_3gpuE2ELNS1_3repE0EEENS1_30default_config_static_selectorELNS0_4arch9wavefront6targetE1EEEvSZ_
; %bb.0:
	.section	.rodata,"a",@progbits
	.p2align	6, 0x0
	.amdhsa_kernel _ZN7rocprim17ROCPRIM_400000_NS6detail17trampoline_kernelINS0_13select_configILj256ELj13ELNS0_17block_load_methodE3ELS4_3ELS4_3ELNS0_20block_scan_algorithmE0ELj4294967295EEENS1_25partition_config_selectorILNS1_17partition_subalgoE4EjNS0_10empty_typeEbEEZZNS1_14partition_implILS8_4ELb0ES6_15HIP_vector_typeIjLj2EENS0_17counting_iteratorIjlEEPS9_SG_NS0_5tupleIJPjSI_NS0_16reverse_iteratorISI_EEEEENSH_IJSG_SG_SG_EEES9_SI_JZNS1_25segmented_radix_sort_implINS0_14default_configELb0EPKlPlSQ_SR_N2at6native12_GLOBAL__N_18offset_tEEE10hipError_tPvRmT1_PNSt15iterator_traitsISZ_E10value_typeET2_T3_PNS10_IS15_E10value_typeET4_jRbjT5_S1B_jjP12ihipStream_tbEUljE_ZNSN_ISO_Lb0ESQ_SR_SQ_SR_SV_EESW_SX_SY_SZ_S13_S14_S15_S18_S19_jS1A_jS1B_S1B_jjS1D_bEUljE0_EEESW_SX_SY_S15_S19_S1B_T6_T7_T9_mT8_S1D_bDpT10_ENKUlT_T0_E_clISt17integral_constantIbLb0EES1Q_IbLb1EEEEDaS1M_S1N_EUlS1M_E_NS1_11comp_targetILNS1_3genE8ELNS1_11target_archE1030ELNS1_3gpuE2ELNS1_3repE0EEENS1_30default_config_static_selectorELNS0_4arch9wavefront6targetE1EEEvSZ_
		.amdhsa_group_segment_fixed_size 0
		.amdhsa_private_segment_fixed_size 0
		.amdhsa_kernarg_size 184
		.amdhsa_user_sgpr_count 6
		.amdhsa_user_sgpr_private_segment_buffer 1
		.amdhsa_user_sgpr_dispatch_ptr 0
		.amdhsa_user_sgpr_queue_ptr 0
		.amdhsa_user_sgpr_kernarg_segment_ptr 1
		.amdhsa_user_sgpr_dispatch_id 0
		.amdhsa_user_sgpr_flat_scratch_init 0
		.amdhsa_user_sgpr_kernarg_preload_length 0
		.amdhsa_user_sgpr_kernarg_preload_offset 0
		.amdhsa_user_sgpr_private_segment_size 0
		.amdhsa_uses_dynamic_stack 0
		.amdhsa_system_sgpr_private_segment_wavefront_offset 0
		.amdhsa_system_sgpr_workgroup_id_x 1
		.amdhsa_system_sgpr_workgroup_id_y 0
		.amdhsa_system_sgpr_workgroup_id_z 0
		.amdhsa_system_sgpr_workgroup_info 0
		.amdhsa_system_vgpr_workitem_id 0
		.amdhsa_next_free_vgpr 1
		.amdhsa_next_free_sgpr 0
		.amdhsa_accum_offset 4
		.amdhsa_reserve_vcc 0
		.amdhsa_reserve_flat_scratch 0
		.amdhsa_float_round_mode_32 0
		.amdhsa_float_round_mode_16_64 0
		.amdhsa_float_denorm_mode_32 3
		.amdhsa_float_denorm_mode_16_64 3
		.amdhsa_dx10_clamp 1
		.amdhsa_ieee_mode 1
		.amdhsa_fp16_overflow 0
		.amdhsa_tg_split 0
		.amdhsa_exception_fp_ieee_invalid_op 0
		.amdhsa_exception_fp_denorm_src 0
		.amdhsa_exception_fp_ieee_div_zero 0
		.amdhsa_exception_fp_ieee_overflow 0
		.amdhsa_exception_fp_ieee_underflow 0
		.amdhsa_exception_fp_ieee_inexact 0
		.amdhsa_exception_int_div_zero 0
	.end_amdhsa_kernel
	.section	.text._ZN7rocprim17ROCPRIM_400000_NS6detail17trampoline_kernelINS0_13select_configILj256ELj13ELNS0_17block_load_methodE3ELS4_3ELS4_3ELNS0_20block_scan_algorithmE0ELj4294967295EEENS1_25partition_config_selectorILNS1_17partition_subalgoE4EjNS0_10empty_typeEbEEZZNS1_14partition_implILS8_4ELb0ES6_15HIP_vector_typeIjLj2EENS0_17counting_iteratorIjlEEPS9_SG_NS0_5tupleIJPjSI_NS0_16reverse_iteratorISI_EEEEENSH_IJSG_SG_SG_EEES9_SI_JZNS1_25segmented_radix_sort_implINS0_14default_configELb0EPKlPlSQ_SR_N2at6native12_GLOBAL__N_18offset_tEEE10hipError_tPvRmT1_PNSt15iterator_traitsISZ_E10value_typeET2_T3_PNS10_IS15_E10value_typeET4_jRbjT5_S1B_jjP12ihipStream_tbEUljE_ZNSN_ISO_Lb0ESQ_SR_SQ_SR_SV_EESW_SX_SY_SZ_S13_S14_S15_S18_S19_jS1A_jS1B_S1B_jjS1D_bEUljE0_EEESW_SX_SY_S15_S19_S1B_T6_T7_T9_mT8_S1D_bDpT10_ENKUlT_T0_E_clISt17integral_constantIbLb0EES1Q_IbLb1EEEEDaS1M_S1N_EUlS1M_E_NS1_11comp_targetILNS1_3genE8ELNS1_11target_archE1030ELNS1_3gpuE2ELNS1_3repE0EEENS1_30default_config_static_selectorELNS0_4arch9wavefront6targetE1EEEvSZ_,"axG",@progbits,_ZN7rocprim17ROCPRIM_400000_NS6detail17trampoline_kernelINS0_13select_configILj256ELj13ELNS0_17block_load_methodE3ELS4_3ELS4_3ELNS0_20block_scan_algorithmE0ELj4294967295EEENS1_25partition_config_selectorILNS1_17partition_subalgoE4EjNS0_10empty_typeEbEEZZNS1_14partition_implILS8_4ELb0ES6_15HIP_vector_typeIjLj2EENS0_17counting_iteratorIjlEEPS9_SG_NS0_5tupleIJPjSI_NS0_16reverse_iteratorISI_EEEEENSH_IJSG_SG_SG_EEES9_SI_JZNS1_25segmented_radix_sort_implINS0_14default_configELb0EPKlPlSQ_SR_N2at6native12_GLOBAL__N_18offset_tEEE10hipError_tPvRmT1_PNSt15iterator_traitsISZ_E10value_typeET2_T3_PNS10_IS15_E10value_typeET4_jRbjT5_S1B_jjP12ihipStream_tbEUljE_ZNSN_ISO_Lb0ESQ_SR_SQ_SR_SV_EESW_SX_SY_SZ_S13_S14_S15_S18_S19_jS1A_jS1B_S1B_jjS1D_bEUljE0_EEESW_SX_SY_S15_S19_S1B_T6_T7_T9_mT8_S1D_bDpT10_ENKUlT_T0_E_clISt17integral_constantIbLb0EES1Q_IbLb1EEEEDaS1M_S1N_EUlS1M_E_NS1_11comp_targetILNS1_3genE8ELNS1_11target_archE1030ELNS1_3gpuE2ELNS1_3repE0EEENS1_30default_config_static_selectorELNS0_4arch9wavefront6targetE1EEEvSZ_,comdat
.Lfunc_end774:
	.size	_ZN7rocprim17ROCPRIM_400000_NS6detail17trampoline_kernelINS0_13select_configILj256ELj13ELNS0_17block_load_methodE3ELS4_3ELS4_3ELNS0_20block_scan_algorithmE0ELj4294967295EEENS1_25partition_config_selectorILNS1_17partition_subalgoE4EjNS0_10empty_typeEbEEZZNS1_14partition_implILS8_4ELb0ES6_15HIP_vector_typeIjLj2EENS0_17counting_iteratorIjlEEPS9_SG_NS0_5tupleIJPjSI_NS0_16reverse_iteratorISI_EEEEENSH_IJSG_SG_SG_EEES9_SI_JZNS1_25segmented_radix_sort_implINS0_14default_configELb0EPKlPlSQ_SR_N2at6native12_GLOBAL__N_18offset_tEEE10hipError_tPvRmT1_PNSt15iterator_traitsISZ_E10value_typeET2_T3_PNS10_IS15_E10value_typeET4_jRbjT5_S1B_jjP12ihipStream_tbEUljE_ZNSN_ISO_Lb0ESQ_SR_SQ_SR_SV_EESW_SX_SY_SZ_S13_S14_S15_S18_S19_jS1A_jS1B_S1B_jjS1D_bEUljE0_EEESW_SX_SY_S15_S19_S1B_T6_T7_T9_mT8_S1D_bDpT10_ENKUlT_T0_E_clISt17integral_constantIbLb0EES1Q_IbLb1EEEEDaS1M_S1N_EUlS1M_E_NS1_11comp_targetILNS1_3genE8ELNS1_11target_archE1030ELNS1_3gpuE2ELNS1_3repE0EEENS1_30default_config_static_selectorELNS0_4arch9wavefront6targetE1EEEvSZ_, .Lfunc_end774-_ZN7rocprim17ROCPRIM_400000_NS6detail17trampoline_kernelINS0_13select_configILj256ELj13ELNS0_17block_load_methodE3ELS4_3ELS4_3ELNS0_20block_scan_algorithmE0ELj4294967295EEENS1_25partition_config_selectorILNS1_17partition_subalgoE4EjNS0_10empty_typeEbEEZZNS1_14partition_implILS8_4ELb0ES6_15HIP_vector_typeIjLj2EENS0_17counting_iteratorIjlEEPS9_SG_NS0_5tupleIJPjSI_NS0_16reverse_iteratorISI_EEEEENSH_IJSG_SG_SG_EEES9_SI_JZNS1_25segmented_radix_sort_implINS0_14default_configELb0EPKlPlSQ_SR_N2at6native12_GLOBAL__N_18offset_tEEE10hipError_tPvRmT1_PNSt15iterator_traitsISZ_E10value_typeET2_T3_PNS10_IS15_E10value_typeET4_jRbjT5_S1B_jjP12ihipStream_tbEUljE_ZNSN_ISO_Lb0ESQ_SR_SQ_SR_SV_EESW_SX_SY_SZ_S13_S14_S15_S18_S19_jS1A_jS1B_S1B_jjS1D_bEUljE0_EEESW_SX_SY_S15_S19_S1B_T6_T7_T9_mT8_S1D_bDpT10_ENKUlT_T0_E_clISt17integral_constantIbLb0EES1Q_IbLb1EEEEDaS1M_S1N_EUlS1M_E_NS1_11comp_targetILNS1_3genE8ELNS1_11target_archE1030ELNS1_3gpuE2ELNS1_3repE0EEENS1_30default_config_static_selectorELNS0_4arch9wavefront6targetE1EEEvSZ_
                                        ; -- End function
	.section	.AMDGPU.csdata,"",@progbits
; Kernel info:
; codeLenInByte = 0
; NumSgprs: 4
; NumVgprs: 0
; NumAgprs: 0
; TotalNumVgprs: 0
; ScratchSize: 0
; MemoryBound: 0
; FloatMode: 240
; IeeeMode: 1
; LDSByteSize: 0 bytes/workgroup (compile time only)
; SGPRBlocks: 0
; VGPRBlocks: 0
; NumSGPRsForWavesPerEU: 4
; NumVGPRsForWavesPerEU: 1
; AccumOffset: 4
; Occupancy: 8
; WaveLimiterHint : 0
; COMPUTE_PGM_RSRC2:SCRATCH_EN: 0
; COMPUTE_PGM_RSRC2:USER_SGPR: 6
; COMPUTE_PGM_RSRC2:TRAP_HANDLER: 0
; COMPUTE_PGM_RSRC2:TGID_X_EN: 1
; COMPUTE_PGM_RSRC2:TGID_Y_EN: 0
; COMPUTE_PGM_RSRC2:TGID_Z_EN: 0
; COMPUTE_PGM_RSRC2:TIDIG_COMP_CNT: 0
; COMPUTE_PGM_RSRC3_GFX90A:ACCUM_OFFSET: 0
; COMPUTE_PGM_RSRC3_GFX90A:TG_SPLIT: 0
	.section	.text._ZN7rocprim17ROCPRIM_400000_NS6detail17trampoline_kernelINS0_13select_configILj256ELj13ELNS0_17block_load_methodE3ELS4_3ELS4_3ELNS0_20block_scan_algorithmE0ELj4294967295EEENS1_25partition_config_selectorILNS1_17partition_subalgoE3EjNS0_10empty_typeEbEEZZNS1_14partition_implILS8_3ELb0ES6_jNS0_17counting_iteratorIjlEEPS9_SE_NS0_5tupleIJPjSE_EEENSF_IJSE_SE_EEES9_SG_JZNS1_25segmented_radix_sort_implINS0_14default_configELb0EPKlPlSM_SN_N2at6native12_GLOBAL__N_18offset_tEEE10hipError_tPvRmT1_PNSt15iterator_traitsISV_E10value_typeET2_T3_PNSW_IS11_E10value_typeET4_jRbjT5_S17_jjP12ihipStream_tbEUljE_EEESS_ST_SU_S11_S15_S17_T6_T7_T9_mT8_S19_bDpT10_ENKUlT_T0_E_clISt17integral_constantIbLb0EES1M_EEDaS1H_S1I_EUlS1H_E_NS1_11comp_targetILNS1_3genE0ELNS1_11target_archE4294967295ELNS1_3gpuE0ELNS1_3repE0EEENS1_30default_config_static_selectorELNS0_4arch9wavefront6targetE1EEEvSV_,"axG",@progbits,_ZN7rocprim17ROCPRIM_400000_NS6detail17trampoline_kernelINS0_13select_configILj256ELj13ELNS0_17block_load_methodE3ELS4_3ELS4_3ELNS0_20block_scan_algorithmE0ELj4294967295EEENS1_25partition_config_selectorILNS1_17partition_subalgoE3EjNS0_10empty_typeEbEEZZNS1_14partition_implILS8_3ELb0ES6_jNS0_17counting_iteratorIjlEEPS9_SE_NS0_5tupleIJPjSE_EEENSF_IJSE_SE_EEES9_SG_JZNS1_25segmented_radix_sort_implINS0_14default_configELb0EPKlPlSM_SN_N2at6native12_GLOBAL__N_18offset_tEEE10hipError_tPvRmT1_PNSt15iterator_traitsISV_E10value_typeET2_T3_PNSW_IS11_E10value_typeET4_jRbjT5_S17_jjP12ihipStream_tbEUljE_EEESS_ST_SU_S11_S15_S17_T6_T7_T9_mT8_S19_bDpT10_ENKUlT_T0_E_clISt17integral_constantIbLb0EES1M_EEDaS1H_S1I_EUlS1H_E_NS1_11comp_targetILNS1_3genE0ELNS1_11target_archE4294967295ELNS1_3gpuE0ELNS1_3repE0EEENS1_30default_config_static_selectorELNS0_4arch9wavefront6targetE1EEEvSV_,comdat
	.globl	_ZN7rocprim17ROCPRIM_400000_NS6detail17trampoline_kernelINS0_13select_configILj256ELj13ELNS0_17block_load_methodE3ELS4_3ELS4_3ELNS0_20block_scan_algorithmE0ELj4294967295EEENS1_25partition_config_selectorILNS1_17partition_subalgoE3EjNS0_10empty_typeEbEEZZNS1_14partition_implILS8_3ELb0ES6_jNS0_17counting_iteratorIjlEEPS9_SE_NS0_5tupleIJPjSE_EEENSF_IJSE_SE_EEES9_SG_JZNS1_25segmented_radix_sort_implINS0_14default_configELb0EPKlPlSM_SN_N2at6native12_GLOBAL__N_18offset_tEEE10hipError_tPvRmT1_PNSt15iterator_traitsISV_E10value_typeET2_T3_PNSW_IS11_E10value_typeET4_jRbjT5_S17_jjP12ihipStream_tbEUljE_EEESS_ST_SU_S11_S15_S17_T6_T7_T9_mT8_S19_bDpT10_ENKUlT_T0_E_clISt17integral_constantIbLb0EES1M_EEDaS1H_S1I_EUlS1H_E_NS1_11comp_targetILNS1_3genE0ELNS1_11target_archE4294967295ELNS1_3gpuE0ELNS1_3repE0EEENS1_30default_config_static_selectorELNS0_4arch9wavefront6targetE1EEEvSV_ ; -- Begin function _ZN7rocprim17ROCPRIM_400000_NS6detail17trampoline_kernelINS0_13select_configILj256ELj13ELNS0_17block_load_methodE3ELS4_3ELS4_3ELNS0_20block_scan_algorithmE0ELj4294967295EEENS1_25partition_config_selectorILNS1_17partition_subalgoE3EjNS0_10empty_typeEbEEZZNS1_14partition_implILS8_3ELb0ES6_jNS0_17counting_iteratorIjlEEPS9_SE_NS0_5tupleIJPjSE_EEENSF_IJSE_SE_EEES9_SG_JZNS1_25segmented_radix_sort_implINS0_14default_configELb0EPKlPlSM_SN_N2at6native12_GLOBAL__N_18offset_tEEE10hipError_tPvRmT1_PNSt15iterator_traitsISV_E10value_typeET2_T3_PNSW_IS11_E10value_typeET4_jRbjT5_S17_jjP12ihipStream_tbEUljE_EEESS_ST_SU_S11_S15_S17_T6_T7_T9_mT8_S19_bDpT10_ENKUlT_T0_E_clISt17integral_constantIbLb0EES1M_EEDaS1H_S1I_EUlS1H_E_NS1_11comp_targetILNS1_3genE0ELNS1_11target_archE4294967295ELNS1_3gpuE0ELNS1_3repE0EEENS1_30default_config_static_selectorELNS0_4arch9wavefront6targetE1EEEvSV_
	.p2align	8
	.type	_ZN7rocprim17ROCPRIM_400000_NS6detail17trampoline_kernelINS0_13select_configILj256ELj13ELNS0_17block_load_methodE3ELS4_3ELS4_3ELNS0_20block_scan_algorithmE0ELj4294967295EEENS1_25partition_config_selectorILNS1_17partition_subalgoE3EjNS0_10empty_typeEbEEZZNS1_14partition_implILS8_3ELb0ES6_jNS0_17counting_iteratorIjlEEPS9_SE_NS0_5tupleIJPjSE_EEENSF_IJSE_SE_EEES9_SG_JZNS1_25segmented_radix_sort_implINS0_14default_configELb0EPKlPlSM_SN_N2at6native12_GLOBAL__N_18offset_tEEE10hipError_tPvRmT1_PNSt15iterator_traitsISV_E10value_typeET2_T3_PNSW_IS11_E10value_typeET4_jRbjT5_S17_jjP12ihipStream_tbEUljE_EEESS_ST_SU_S11_S15_S17_T6_T7_T9_mT8_S19_bDpT10_ENKUlT_T0_E_clISt17integral_constantIbLb0EES1M_EEDaS1H_S1I_EUlS1H_E_NS1_11comp_targetILNS1_3genE0ELNS1_11target_archE4294967295ELNS1_3gpuE0ELNS1_3repE0EEENS1_30default_config_static_selectorELNS0_4arch9wavefront6targetE1EEEvSV_,@function
_ZN7rocprim17ROCPRIM_400000_NS6detail17trampoline_kernelINS0_13select_configILj256ELj13ELNS0_17block_load_methodE3ELS4_3ELS4_3ELNS0_20block_scan_algorithmE0ELj4294967295EEENS1_25partition_config_selectorILNS1_17partition_subalgoE3EjNS0_10empty_typeEbEEZZNS1_14partition_implILS8_3ELb0ES6_jNS0_17counting_iteratorIjlEEPS9_SE_NS0_5tupleIJPjSE_EEENSF_IJSE_SE_EEES9_SG_JZNS1_25segmented_radix_sort_implINS0_14default_configELb0EPKlPlSM_SN_N2at6native12_GLOBAL__N_18offset_tEEE10hipError_tPvRmT1_PNSt15iterator_traitsISV_E10value_typeET2_T3_PNSW_IS11_E10value_typeET4_jRbjT5_S17_jjP12ihipStream_tbEUljE_EEESS_ST_SU_S11_S15_S17_T6_T7_T9_mT8_S19_bDpT10_ENKUlT_T0_E_clISt17integral_constantIbLb0EES1M_EEDaS1H_S1I_EUlS1H_E_NS1_11comp_targetILNS1_3genE0ELNS1_11target_archE4294967295ELNS1_3gpuE0ELNS1_3repE0EEENS1_30default_config_static_selectorELNS0_4arch9wavefront6targetE1EEEvSV_: ; @_ZN7rocprim17ROCPRIM_400000_NS6detail17trampoline_kernelINS0_13select_configILj256ELj13ELNS0_17block_load_methodE3ELS4_3ELS4_3ELNS0_20block_scan_algorithmE0ELj4294967295EEENS1_25partition_config_selectorILNS1_17partition_subalgoE3EjNS0_10empty_typeEbEEZZNS1_14partition_implILS8_3ELb0ES6_jNS0_17counting_iteratorIjlEEPS9_SE_NS0_5tupleIJPjSE_EEENSF_IJSE_SE_EEES9_SG_JZNS1_25segmented_radix_sort_implINS0_14default_configELb0EPKlPlSM_SN_N2at6native12_GLOBAL__N_18offset_tEEE10hipError_tPvRmT1_PNSt15iterator_traitsISV_E10value_typeET2_T3_PNSW_IS11_E10value_typeET4_jRbjT5_S17_jjP12ihipStream_tbEUljE_EEESS_ST_SU_S11_S15_S17_T6_T7_T9_mT8_S19_bDpT10_ENKUlT_T0_E_clISt17integral_constantIbLb0EES1M_EEDaS1H_S1I_EUlS1H_E_NS1_11comp_targetILNS1_3genE0ELNS1_11target_archE4294967295ELNS1_3gpuE0ELNS1_3repE0EEENS1_30default_config_static_selectorELNS0_4arch9wavefront6targetE1EEEvSV_
; %bb.0:
	.section	.rodata,"a",@progbits
	.p2align	6, 0x0
	.amdhsa_kernel _ZN7rocprim17ROCPRIM_400000_NS6detail17trampoline_kernelINS0_13select_configILj256ELj13ELNS0_17block_load_methodE3ELS4_3ELS4_3ELNS0_20block_scan_algorithmE0ELj4294967295EEENS1_25partition_config_selectorILNS1_17partition_subalgoE3EjNS0_10empty_typeEbEEZZNS1_14partition_implILS8_3ELb0ES6_jNS0_17counting_iteratorIjlEEPS9_SE_NS0_5tupleIJPjSE_EEENSF_IJSE_SE_EEES9_SG_JZNS1_25segmented_radix_sort_implINS0_14default_configELb0EPKlPlSM_SN_N2at6native12_GLOBAL__N_18offset_tEEE10hipError_tPvRmT1_PNSt15iterator_traitsISV_E10value_typeET2_T3_PNSW_IS11_E10value_typeET4_jRbjT5_S17_jjP12ihipStream_tbEUljE_EEESS_ST_SU_S11_S15_S17_T6_T7_T9_mT8_S19_bDpT10_ENKUlT_T0_E_clISt17integral_constantIbLb0EES1M_EEDaS1H_S1I_EUlS1H_E_NS1_11comp_targetILNS1_3genE0ELNS1_11target_archE4294967295ELNS1_3gpuE0ELNS1_3repE0EEENS1_30default_config_static_selectorELNS0_4arch9wavefront6targetE1EEEvSV_
		.amdhsa_group_segment_fixed_size 0
		.amdhsa_private_segment_fixed_size 0
		.amdhsa_kernarg_size 144
		.amdhsa_user_sgpr_count 6
		.amdhsa_user_sgpr_private_segment_buffer 1
		.amdhsa_user_sgpr_dispatch_ptr 0
		.amdhsa_user_sgpr_queue_ptr 0
		.amdhsa_user_sgpr_kernarg_segment_ptr 1
		.amdhsa_user_sgpr_dispatch_id 0
		.amdhsa_user_sgpr_flat_scratch_init 0
		.amdhsa_user_sgpr_kernarg_preload_length 0
		.amdhsa_user_sgpr_kernarg_preload_offset 0
		.amdhsa_user_sgpr_private_segment_size 0
		.amdhsa_uses_dynamic_stack 0
		.amdhsa_system_sgpr_private_segment_wavefront_offset 0
		.amdhsa_system_sgpr_workgroup_id_x 1
		.amdhsa_system_sgpr_workgroup_id_y 0
		.amdhsa_system_sgpr_workgroup_id_z 0
		.amdhsa_system_sgpr_workgroup_info 0
		.amdhsa_system_vgpr_workitem_id 0
		.amdhsa_next_free_vgpr 1
		.amdhsa_next_free_sgpr 0
		.amdhsa_accum_offset 4
		.amdhsa_reserve_vcc 0
		.amdhsa_reserve_flat_scratch 0
		.amdhsa_float_round_mode_32 0
		.amdhsa_float_round_mode_16_64 0
		.amdhsa_float_denorm_mode_32 3
		.amdhsa_float_denorm_mode_16_64 3
		.amdhsa_dx10_clamp 1
		.amdhsa_ieee_mode 1
		.amdhsa_fp16_overflow 0
		.amdhsa_tg_split 0
		.amdhsa_exception_fp_ieee_invalid_op 0
		.amdhsa_exception_fp_denorm_src 0
		.amdhsa_exception_fp_ieee_div_zero 0
		.amdhsa_exception_fp_ieee_overflow 0
		.amdhsa_exception_fp_ieee_underflow 0
		.amdhsa_exception_fp_ieee_inexact 0
		.amdhsa_exception_int_div_zero 0
	.end_amdhsa_kernel
	.section	.text._ZN7rocprim17ROCPRIM_400000_NS6detail17trampoline_kernelINS0_13select_configILj256ELj13ELNS0_17block_load_methodE3ELS4_3ELS4_3ELNS0_20block_scan_algorithmE0ELj4294967295EEENS1_25partition_config_selectorILNS1_17partition_subalgoE3EjNS0_10empty_typeEbEEZZNS1_14partition_implILS8_3ELb0ES6_jNS0_17counting_iteratorIjlEEPS9_SE_NS0_5tupleIJPjSE_EEENSF_IJSE_SE_EEES9_SG_JZNS1_25segmented_radix_sort_implINS0_14default_configELb0EPKlPlSM_SN_N2at6native12_GLOBAL__N_18offset_tEEE10hipError_tPvRmT1_PNSt15iterator_traitsISV_E10value_typeET2_T3_PNSW_IS11_E10value_typeET4_jRbjT5_S17_jjP12ihipStream_tbEUljE_EEESS_ST_SU_S11_S15_S17_T6_T7_T9_mT8_S19_bDpT10_ENKUlT_T0_E_clISt17integral_constantIbLb0EES1M_EEDaS1H_S1I_EUlS1H_E_NS1_11comp_targetILNS1_3genE0ELNS1_11target_archE4294967295ELNS1_3gpuE0ELNS1_3repE0EEENS1_30default_config_static_selectorELNS0_4arch9wavefront6targetE1EEEvSV_,"axG",@progbits,_ZN7rocprim17ROCPRIM_400000_NS6detail17trampoline_kernelINS0_13select_configILj256ELj13ELNS0_17block_load_methodE3ELS4_3ELS4_3ELNS0_20block_scan_algorithmE0ELj4294967295EEENS1_25partition_config_selectorILNS1_17partition_subalgoE3EjNS0_10empty_typeEbEEZZNS1_14partition_implILS8_3ELb0ES6_jNS0_17counting_iteratorIjlEEPS9_SE_NS0_5tupleIJPjSE_EEENSF_IJSE_SE_EEES9_SG_JZNS1_25segmented_radix_sort_implINS0_14default_configELb0EPKlPlSM_SN_N2at6native12_GLOBAL__N_18offset_tEEE10hipError_tPvRmT1_PNSt15iterator_traitsISV_E10value_typeET2_T3_PNSW_IS11_E10value_typeET4_jRbjT5_S17_jjP12ihipStream_tbEUljE_EEESS_ST_SU_S11_S15_S17_T6_T7_T9_mT8_S19_bDpT10_ENKUlT_T0_E_clISt17integral_constantIbLb0EES1M_EEDaS1H_S1I_EUlS1H_E_NS1_11comp_targetILNS1_3genE0ELNS1_11target_archE4294967295ELNS1_3gpuE0ELNS1_3repE0EEENS1_30default_config_static_selectorELNS0_4arch9wavefront6targetE1EEEvSV_,comdat
.Lfunc_end775:
	.size	_ZN7rocprim17ROCPRIM_400000_NS6detail17trampoline_kernelINS0_13select_configILj256ELj13ELNS0_17block_load_methodE3ELS4_3ELS4_3ELNS0_20block_scan_algorithmE0ELj4294967295EEENS1_25partition_config_selectorILNS1_17partition_subalgoE3EjNS0_10empty_typeEbEEZZNS1_14partition_implILS8_3ELb0ES6_jNS0_17counting_iteratorIjlEEPS9_SE_NS0_5tupleIJPjSE_EEENSF_IJSE_SE_EEES9_SG_JZNS1_25segmented_radix_sort_implINS0_14default_configELb0EPKlPlSM_SN_N2at6native12_GLOBAL__N_18offset_tEEE10hipError_tPvRmT1_PNSt15iterator_traitsISV_E10value_typeET2_T3_PNSW_IS11_E10value_typeET4_jRbjT5_S17_jjP12ihipStream_tbEUljE_EEESS_ST_SU_S11_S15_S17_T6_T7_T9_mT8_S19_bDpT10_ENKUlT_T0_E_clISt17integral_constantIbLb0EES1M_EEDaS1H_S1I_EUlS1H_E_NS1_11comp_targetILNS1_3genE0ELNS1_11target_archE4294967295ELNS1_3gpuE0ELNS1_3repE0EEENS1_30default_config_static_selectorELNS0_4arch9wavefront6targetE1EEEvSV_, .Lfunc_end775-_ZN7rocprim17ROCPRIM_400000_NS6detail17trampoline_kernelINS0_13select_configILj256ELj13ELNS0_17block_load_methodE3ELS4_3ELS4_3ELNS0_20block_scan_algorithmE0ELj4294967295EEENS1_25partition_config_selectorILNS1_17partition_subalgoE3EjNS0_10empty_typeEbEEZZNS1_14partition_implILS8_3ELb0ES6_jNS0_17counting_iteratorIjlEEPS9_SE_NS0_5tupleIJPjSE_EEENSF_IJSE_SE_EEES9_SG_JZNS1_25segmented_radix_sort_implINS0_14default_configELb0EPKlPlSM_SN_N2at6native12_GLOBAL__N_18offset_tEEE10hipError_tPvRmT1_PNSt15iterator_traitsISV_E10value_typeET2_T3_PNSW_IS11_E10value_typeET4_jRbjT5_S17_jjP12ihipStream_tbEUljE_EEESS_ST_SU_S11_S15_S17_T6_T7_T9_mT8_S19_bDpT10_ENKUlT_T0_E_clISt17integral_constantIbLb0EES1M_EEDaS1H_S1I_EUlS1H_E_NS1_11comp_targetILNS1_3genE0ELNS1_11target_archE4294967295ELNS1_3gpuE0ELNS1_3repE0EEENS1_30default_config_static_selectorELNS0_4arch9wavefront6targetE1EEEvSV_
                                        ; -- End function
	.section	.AMDGPU.csdata,"",@progbits
; Kernel info:
; codeLenInByte = 0
; NumSgprs: 4
; NumVgprs: 0
; NumAgprs: 0
; TotalNumVgprs: 0
; ScratchSize: 0
; MemoryBound: 0
; FloatMode: 240
; IeeeMode: 1
; LDSByteSize: 0 bytes/workgroup (compile time only)
; SGPRBlocks: 0
; VGPRBlocks: 0
; NumSGPRsForWavesPerEU: 4
; NumVGPRsForWavesPerEU: 1
; AccumOffset: 4
; Occupancy: 8
; WaveLimiterHint : 0
; COMPUTE_PGM_RSRC2:SCRATCH_EN: 0
; COMPUTE_PGM_RSRC2:USER_SGPR: 6
; COMPUTE_PGM_RSRC2:TRAP_HANDLER: 0
; COMPUTE_PGM_RSRC2:TGID_X_EN: 1
; COMPUTE_PGM_RSRC2:TGID_Y_EN: 0
; COMPUTE_PGM_RSRC2:TGID_Z_EN: 0
; COMPUTE_PGM_RSRC2:TIDIG_COMP_CNT: 0
; COMPUTE_PGM_RSRC3_GFX90A:ACCUM_OFFSET: 0
; COMPUTE_PGM_RSRC3_GFX90A:TG_SPLIT: 0
	.section	.text._ZN7rocprim17ROCPRIM_400000_NS6detail17trampoline_kernelINS0_13select_configILj256ELj13ELNS0_17block_load_methodE3ELS4_3ELS4_3ELNS0_20block_scan_algorithmE0ELj4294967295EEENS1_25partition_config_selectorILNS1_17partition_subalgoE3EjNS0_10empty_typeEbEEZZNS1_14partition_implILS8_3ELb0ES6_jNS0_17counting_iteratorIjlEEPS9_SE_NS0_5tupleIJPjSE_EEENSF_IJSE_SE_EEES9_SG_JZNS1_25segmented_radix_sort_implINS0_14default_configELb0EPKlPlSM_SN_N2at6native12_GLOBAL__N_18offset_tEEE10hipError_tPvRmT1_PNSt15iterator_traitsISV_E10value_typeET2_T3_PNSW_IS11_E10value_typeET4_jRbjT5_S17_jjP12ihipStream_tbEUljE_EEESS_ST_SU_S11_S15_S17_T6_T7_T9_mT8_S19_bDpT10_ENKUlT_T0_E_clISt17integral_constantIbLb0EES1M_EEDaS1H_S1I_EUlS1H_E_NS1_11comp_targetILNS1_3genE5ELNS1_11target_archE942ELNS1_3gpuE9ELNS1_3repE0EEENS1_30default_config_static_selectorELNS0_4arch9wavefront6targetE1EEEvSV_,"axG",@progbits,_ZN7rocprim17ROCPRIM_400000_NS6detail17trampoline_kernelINS0_13select_configILj256ELj13ELNS0_17block_load_methodE3ELS4_3ELS4_3ELNS0_20block_scan_algorithmE0ELj4294967295EEENS1_25partition_config_selectorILNS1_17partition_subalgoE3EjNS0_10empty_typeEbEEZZNS1_14partition_implILS8_3ELb0ES6_jNS0_17counting_iteratorIjlEEPS9_SE_NS0_5tupleIJPjSE_EEENSF_IJSE_SE_EEES9_SG_JZNS1_25segmented_radix_sort_implINS0_14default_configELb0EPKlPlSM_SN_N2at6native12_GLOBAL__N_18offset_tEEE10hipError_tPvRmT1_PNSt15iterator_traitsISV_E10value_typeET2_T3_PNSW_IS11_E10value_typeET4_jRbjT5_S17_jjP12ihipStream_tbEUljE_EEESS_ST_SU_S11_S15_S17_T6_T7_T9_mT8_S19_bDpT10_ENKUlT_T0_E_clISt17integral_constantIbLb0EES1M_EEDaS1H_S1I_EUlS1H_E_NS1_11comp_targetILNS1_3genE5ELNS1_11target_archE942ELNS1_3gpuE9ELNS1_3repE0EEENS1_30default_config_static_selectorELNS0_4arch9wavefront6targetE1EEEvSV_,comdat
	.globl	_ZN7rocprim17ROCPRIM_400000_NS6detail17trampoline_kernelINS0_13select_configILj256ELj13ELNS0_17block_load_methodE3ELS4_3ELS4_3ELNS0_20block_scan_algorithmE0ELj4294967295EEENS1_25partition_config_selectorILNS1_17partition_subalgoE3EjNS0_10empty_typeEbEEZZNS1_14partition_implILS8_3ELb0ES6_jNS0_17counting_iteratorIjlEEPS9_SE_NS0_5tupleIJPjSE_EEENSF_IJSE_SE_EEES9_SG_JZNS1_25segmented_radix_sort_implINS0_14default_configELb0EPKlPlSM_SN_N2at6native12_GLOBAL__N_18offset_tEEE10hipError_tPvRmT1_PNSt15iterator_traitsISV_E10value_typeET2_T3_PNSW_IS11_E10value_typeET4_jRbjT5_S17_jjP12ihipStream_tbEUljE_EEESS_ST_SU_S11_S15_S17_T6_T7_T9_mT8_S19_bDpT10_ENKUlT_T0_E_clISt17integral_constantIbLb0EES1M_EEDaS1H_S1I_EUlS1H_E_NS1_11comp_targetILNS1_3genE5ELNS1_11target_archE942ELNS1_3gpuE9ELNS1_3repE0EEENS1_30default_config_static_selectorELNS0_4arch9wavefront6targetE1EEEvSV_ ; -- Begin function _ZN7rocprim17ROCPRIM_400000_NS6detail17trampoline_kernelINS0_13select_configILj256ELj13ELNS0_17block_load_methodE3ELS4_3ELS4_3ELNS0_20block_scan_algorithmE0ELj4294967295EEENS1_25partition_config_selectorILNS1_17partition_subalgoE3EjNS0_10empty_typeEbEEZZNS1_14partition_implILS8_3ELb0ES6_jNS0_17counting_iteratorIjlEEPS9_SE_NS0_5tupleIJPjSE_EEENSF_IJSE_SE_EEES9_SG_JZNS1_25segmented_radix_sort_implINS0_14default_configELb0EPKlPlSM_SN_N2at6native12_GLOBAL__N_18offset_tEEE10hipError_tPvRmT1_PNSt15iterator_traitsISV_E10value_typeET2_T3_PNSW_IS11_E10value_typeET4_jRbjT5_S17_jjP12ihipStream_tbEUljE_EEESS_ST_SU_S11_S15_S17_T6_T7_T9_mT8_S19_bDpT10_ENKUlT_T0_E_clISt17integral_constantIbLb0EES1M_EEDaS1H_S1I_EUlS1H_E_NS1_11comp_targetILNS1_3genE5ELNS1_11target_archE942ELNS1_3gpuE9ELNS1_3repE0EEENS1_30default_config_static_selectorELNS0_4arch9wavefront6targetE1EEEvSV_
	.p2align	8
	.type	_ZN7rocprim17ROCPRIM_400000_NS6detail17trampoline_kernelINS0_13select_configILj256ELj13ELNS0_17block_load_methodE3ELS4_3ELS4_3ELNS0_20block_scan_algorithmE0ELj4294967295EEENS1_25partition_config_selectorILNS1_17partition_subalgoE3EjNS0_10empty_typeEbEEZZNS1_14partition_implILS8_3ELb0ES6_jNS0_17counting_iteratorIjlEEPS9_SE_NS0_5tupleIJPjSE_EEENSF_IJSE_SE_EEES9_SG_JZNS1_25segmented_radix_sort_implINS0_14default_configELb0EPKlPlSM_SN_N2at6native12_GLOBAL__N_18offset_tEEE10hipError_tPvRmT1_PNSt15iterator_traitsISV_E10value_typeET2_T3_PNSW_IS11_E10value_typeET4_jRbjT5_S17_jjP12ihipStream_tbEUljE_EEESS_ST_SU_S11_S15_S17_T6_T7_T9_mT8_S19_bDpT10_ENKUlT_T0_E_clISt17integral_constantIbLb0EES1M_EEDaS1H_S1I_EUlS1H_E_NS1_11comp_targetILNS1_3genE5ELNS1_11target_archE942ELNS1_3gpuE9ELNS1_3repE0EEENS1_30default_config_static_selectorELNS0_4arch9wavefront6targetE1EEEvSV_,@function
_ZN7rocprim17ROCPRIM_400000_NS6detail17trampoline_kernelINS0_13select_configILj256ELj13ELNS0_17block_load_methodE3ELS4_3ELS4_3ELNS0_20block_scan_algorithmE0ELj4294967295EEENS1_25partition_config_selectorILNS1_17partition_subalgoE3EjNS0_10empty_typeEbEEZZNS1_14partition_implILS8_3ELb0ES6_jNS0_17counting_iteratorIjlEEPS9_SE_NS0_5tupleIJPjSE_EEENSF_IJSE_SE_EEES9_SG_JZNS1_25segmented_radix_sort_implINS0_14default_configELb0EPKlPlSM_SN_N2at6native12_GLOBAL__N_18offset_tEEE10hipError_tPvRmT1_PNSt15iterator_traitsISV_E10value_typeET2_T3_PNSW_IS11_E10value_typeET4_jRbjT5_S17_jjP12ihipStream_tbEUljE_EEESS_ST_SU_S11_S15_S17_T6_T7_T9_mT8_S19_bDpT10_ENKUlT_T0_E_clISt17integral_constantIbLb0EES1M_EEDaS1H_S1I_EUlS1H_E_NS1_11comp_targetILNS1_3genE5ELNS1_11target_archE942ELNS1_3gpuE9ELNS1_3repE0EEENS1_30default_config_static_selectorELNS0_4arch9wavefront6targetE1EEEvSV_: ; @_ZN7rocprim17ROCPRIM_400000_NS6detail17trampoline_kernelINS0_13select_configILj256ELj13ELNS0_17block_load_methodE3ELS4_3ELS4_3ELNS0_20block_scan_algorithmE0ELj4294967295EEENS1_25partition_config_selectorILNS1_17partition_subalgoE3EjNS0_10empty_typeEbEEZZNS1_14partition_implILS8_3ELb0ES6_jNS0_17counting_iteratorIjlEEPS9_SE_NS0_5tupleIJPjSE_EEENSF_IJSE_SE_EEES9_SG_JZNS1_25segmented_radix_sort_implINS0_14default_configELb0EPKlPlSM_SN_N2at6native12_GLOBAL__N_18offset_tEEE10hipError_tPvRmT1_PNSt15iterator_traitsISV_E10value_typeET2_T3_PNSW_IS11_E10value_typeET4_jRbjT5_S17_jjP12ihipStream_tbEUljE_EEESS_ST_SU_S11_S15_S17_T6_T7_T9_mT8_S19_bDpT10_ENKUlT_T0_E_clISt17integral_constantIbLb0EES1M_EEDaS1H_S1I_EUlS1H_E_NS1_11comp_targetILNS1_3genE5ELNS1_11target_archE942ELNS1_3gpuE9ELNS1_3repE0EEENS1_30default_config_static_selectorELNS0_4arch9wavefront6targetE1EEEvSV_
; %bb.0:
	.section	.rodata,"a",@progbits
	.p2align	6, 0x0
	.amdhsa_kernel _ZN7rocprim17ROCPRIM_400000_NS6detail17trampoline_kernelINS0_13select_configILj256ELj13ELNS0_17block_load_methodE3ELS4_3ELS4_3ELNS0_20block_scan_algorithmE0ELj4294967295EEENS1_25partition_config_selectorILNS1_17partition_subalgoE3EjNS0_10empty_typeEbEEZZNS1_14partition_implILS8_3ELb0ES6_jNS0_17counting_iteratorIjlEEPS9_SE_NS0_5tupleIJPjSE_EEENSF_IJSE_SE_EEES9_SG_JZNS1_25segmented_radix_sort_implINS0_14default_configELb0EPKlPlSM_SN_N2at6native12_GLOBAL__N_18offset_tEEE10hipError_tPvRmT1_PNSt15iterator_traitsISV_E10value_typeET2_T3_PNSW_IS11_E10value_typeET4_jRbjT5_S17_jjP12ihipStream_tbEUljE_EEESS_ST_SU_S11_S15_S17_T6_T7_T9_mT8_S19_bDpT10_ENKUlT_T0_E_clISt17integral_constantIbLb0EES1M_EEDaS1H_S1I_EUlS1H_E_NS1_11comp_targetILNS1_3genE5ELNS1_11target_archE942ELNS1_3gpuE9ELNS1_3repE0EEENS1_30default_config_static_selectorELNS0_4arch9wavefront6targetE1EEEvSV_
		.amdhsa_group_segment_fixed_size 0
		.amdhsa_private_segment_fixed_size 0
		.amdhsa_kernarg_size 144
		.amdhsa_user_sgpr_count 6
		.amdhsa_user_sgpr_private_segment_buffer 1
		.amdhsa_user_sgpr_dispatch_ptr 0
		.amdhsa_user_sgpr_queue_ptr 0
		.amdhsa_user_sgpr_kernarg_segment_ptr 1
		.amdhsa_user_sgpr_dispatch_id 0
		.amdhsa_user_sgpr_flat_scratch_init 0
		.amdhsa_user_sgpr_kernarg_preload_length 0
		.amdhsa_user_sgpr_kernarg_preload_offset 0
		.amdhsa_user_sgpr_private_segment_size 0
		.amdhsa_uses_dynamic_stack 0
		.amdhsa_system_sgpr_private_segment_wavefront_offset 0
		.amdhsa_system_sgpr_workgroup_id_x 1
		.amdhsa_system_sgpr_workgroup_id_y 0
		.amdhsa_system_sgpr_workgroup_id_z 0
		.amdhsa_system_sgpr_workgroup_info 0
		.amdhsa_system_vgpr_workitem_id 0
		.amdhsa_next_free_vgpr 1
		.amdhsa_next_free_sgpr 0
		.amdhsa_accum_offset 4
		.amdhsa_reserve_vcc 0
		.amdhsa_reserve_flat_scratch 0
		.amdhsa_float_round_mode_32 0
		.amdhsa_float_round_mode_16_64 0
		.amdhsa_float_denorm_mode_32 3
		.amdhsa_float_denorm_mode_16_64 3
		.amdhsa_dx10_clamp 1
		.amdhsa_ieee_mode 1
		.amdhsa_fp16_overflow 0
		.amdhsa_tg_split 0
		.amdhsa_exception_fp_ieee_invalid_op 0
		.amdhsa_exception_fp_denorm_src 0
		.amdhsa_exception_fp_ieee_div_zero 0
		.amdhsa_exception_fp_ieee_overflow 0
		.amdhsa_exception_fp_ieee_underflow 0
		.amdhsa_exception_fp_ieee_inexact 0
		.amdhsa_exception_int_div_zero 0
	.end_amdhsa_kernel
	.section	.text._ZN7rocprim17ROCPRIM_400000_NS6detail17trampoline_kernelINS0_13select_configILj256ELj13ELNS0_17block_load_methodE3ELS4_3ELS4_3ELNS0_20block_scan_algorithmE0ELj4294967295EEENS1_25partition_config_selectorILNS1_17partition_subalgoE3EjNS0_10empty_typeEbEEZZNS1_14partition_implILS8_3ELb0ES6_jNS0_17counting_iteratorIjlEEPS9_SE_NS0_5tupleIJPjSE_EEENSF_IJSE_SE_EEES9_SG_JZNS1_25segmented_radix_sort_implINS0_14default_configELb0EPKlPlSM_SN_N2at6native12_GLOBAL__N_18offset_tEEE10hipError_tPvRmT1_PNSt15iterator_traitsISV_E10value_typeET2_T3_PNSW_IS11_E10value_typeET4_jRbjT5_S17_jjP12ihipStream_tbEUljE_EEESS_ST_SU_S11_S15_S17_T6_T7_T9_mT8_S19_bDpT10_ENKUlT_T0_E_clISt17integral_constantIbLb0EES1M_EEDaS1H_S1I_EUlS1H_E_NS1_11comp_targetILNS1_3genE5ELNS1_11target_archE942ELNS1_3gpuE9ELNS1_3repE0EEENS1_30default_config_static_selectorELNS0_4arch9wavefront6targetE1EEEvSV_,"axG",@progbits,_ZN7rocprim17ROCPRIM_400000_NS6detail17trampoline_kernelINS0_13select_configILj256ELj13ELNS0_17block_load_methodE3ELS4_3ELS4_3ELNS0_20block_scan_algorithmE0ELj4294967295EEENS1_25partition_config_selectorILNS1_17partition_subalgoE3EjNS0_10empty_typeEbEEZZNS1_14partition_implILS8_3ELb0ES6_jNS0_17counting_iteratorIjlEEPS9_SE_NS0_5tupleIJPjSE_EEENSF_IJSE_SE_EEES9_SG_JZNS1_25segmented_radix_sort_implINS0_14default_configELb0EPKlPlSM_SN_N2at6native12_GLOBAL__N_18offset_tEEE10hipError_tPvRmT1_PNSt15iterator_traitsISV_E10value_typeET2_T3_PNSW_IS11_E10value_typeET4_jRbjT5_S17_jjP12ihipStream_tbEUljE_EEESS_ST_SU_S11_S15_S17_T6_T7_T9_mT8_S19_bDpT10_ENKUlT_T0_E_clISt17integral_constantIbLb0EES1M_EEDaS1H_S1I_EUlS1H_E_NS1_11comp_targetILNS1_3genE5ELNS1_11target_archE942ELNS1_3gpuE9ELNS1_3repE0EEENS1_30default_config_static_selectorELNS0_4arch9wavefront6targetE1EEEvSV_,comdat
.Lfunc_end776:
	.size	_ZN7rocprim17ROCPRIM_400000_NS6detail17trampoline_kernelINS0_13select_configILj256ELj13ELNS0_17block_load_methodE3ELS4_3ELS4_3ELNS0_20block_scan_algorithmE0ELj4294967295EEENS1_25partition_config_selectorILNS1_17partition_subalgoE3EjNS0_10empty_typeEbEEZZNS1_14partition_implILS8_3ELb0ES6_jNS0_17counting_iteratorIjlEEPS9_SE_NS0_5tupleIJPjSE_EEENSF_IJSE_SE_EEES9_SG_JZNS1_25segmented_radix_sort_implINS0_14default_configELb0EPKlPlSM_SN_N2at6native12_GLOBAL__N_18offset_tEEE10hipError_tPvRmT1_PNSt15iterator_traitsISV_E10value_typeET2_T3_PNSW_IS11_E10value_typeET4_jRbjT5_S17_jjP12ihipStream_tbEUljE_EEESS_ST_SU_S11_S15_S17_T6_T7_T9_mT8_S19_bDpT10_ENKUlT_T0_E_clISt17integral_constantIbLb0EES1M_EEDaS1H_S1I_EUlS1H_E_NS1_11comp_targetILNS1_3genE5ELNS1_11target_archE942ELNS1_3gpuE9ELNS1_3repE0EEENS1_30default_config_static_selectorELNS0_4arch9wavefront6targetE1EEEvSV_, .Lfunc_end776-_ZN7rocprim17ROCPRIM_400000_NS6detail17trampoline_kernelINS0_13select_configILj256ELj13ELNS0_17block_load_methodE3ELS4_3ELS4_3ELNS0_20block_scan_algorithmE0ELj4294967295EEENS1_25partition_config_selectorILNS1_17partition_subalgoE3EjNS0_10empty_typeEbEEZZNS1_14partition_implILS8_3ELb0ES6_jNS0_17counting_iteratorIjlEEPS9_SE_NS0_5tupleIJPjSE_EEENSF_IJSE_SE_EEES9_SG_JZNS1_25segmented_radix_sort_implINS0_14default_configELb0EPKlPlSM_SN_N2at6native12_GLOBAL__N_18offset_tEEE10hipError_tPvRmT1_PNSt15iterator_traitsISV_E10value_typeET2_T3_PNSW_IS11_E10value_typeET4_jRbjT5_S17_jjP12ihipStream_tbEUljE_EEESS_ST_SU_S11_S15_S17_T6_T7_T9_mT8_S19_bDpT10_ENKUlT_T0_E_clISt17integral_constantIbLb0EES1M_EEDaS1H_S1I_EUlS1H_E_NS1_11comp_targetILNS1_3genE5ELNS1_11target_archE942ELNS1_3gpuE9ELNS1_3repE0EEENS1_30default_config_static_selectorELNS0_4arch9wavefront6targetE1EEEvSV_
                                        ; -- End function
	.section	.AMDGPU.csdata,"",@progbits
; Kernel info:
; codeLenInByte = 0
; NumSgprs: 4
; NumVgprs: 0
; NumAgprs: 0
; TotalNumVgprs: 0
; ScratchSize: 0
; MemoryBound: 0
; FloatMode: 240
; IeeeMode: 1
; LDSByteSize: 0 bytes/workgroup (compile time only)
; SGPRBlocks: 0
; VGPRBlocks: 0
; NumSGPRsForWavesPerEU: 4
; NumVGPRsForWavesPerEU: 1
; AccumOffset: 4
; Occupancy: 8
; WaveLimiterHint : 0
; COMPUTE_PGM_RSRC2:SCRATCH_EN: 0
; COMPUTE_PGM_RSRC2:USER_SGPR: 6
; COMPUTE_PGM_RSRC2:TRAP_HANDLER: 0
; COMPUTE_PGM_RSRC2:TGID_X_EN: 1
; COMPUTE_PGM_RSRC2:TGID_Y_EN: 0
; COMPUTE_PGM_RSRC2:TGID_Z_EN: 0
; COMPUTE_PGM_RSRC2:TIDIG_COMP_CNT: 0
; COMPUTE_PGM_RSRC3_GFX90A:ACCUM_OFFSET: 0
; COMPUTE_PGM_RSRC3_GFX90A:TG_SPLIT: 0
	.section	.text._ZN7rocprim17ROCPRIM_400000_NS6detail17trampoline_kernelINS0_13select_configILj256ELj13ELNS0_17block_load_methodE3ELS4_3ELS4_3ELNS0_20block_scan_algorithmE0ELj4294967295EEENS1_25partition_config_selectorILNS1_17partition_subalgoE3EjNS0_10empty_typeEbEEZZNS1_14partition_implILS8_3ELb0ES6_jNS0_17counting_iteratorIjlEEPS9_SE_NS0_5tupleIJPjSE_EEENSF_IJSE_SE_EEES9_SG_JZNS1_25segmented_radix_sort_implINS0_14default_configELb0EPKlPlSM_SN_N2at6native12_GLOBAL__N_18offset_tEEE10hipError_tPvRmT1_PNSt15iterator_traitsISV_E10value_typeET2_T3_PNSW_IS11_E10value_typeET4_jRbjT5_S17_jjP12ihipStream_tbEUljE_EEESS_ST_SU_S11_S15_S17_T6_T7_T9_mT8_S19_bDpT10_ENKUlT_T0_E_clISt17integral_constantIbLb0EES1M_EEDaS1H_S1I_EUlS1H_E_NS1_11comp_targetILNS1_3genE4ELNS1_11target_archE910ELNS1_3gpuE8ELNS1_3repE0EEENS1_30default_config_static_selectorELNS0_4arch9wavefront6targetE1EEEvSV_,"axG",@progbits,_ZN7rocprim17ROCPRIM_400000_NS6detail17trampoline_kernelINS0_13select_configILj256ELj13ELNS0_17block_load_methodE3ELS4_3ELS4_3ELNS0_20block_scan_algorithmE0ELj4294967295EEENS1_25partition_config_selectorILNS1_17partition_subalgoE3EjNS0_10empty_typeEbEEZZNS1_14partition_implILS8_3ELb0ES6_jNS0_17counting_iteratorIjlEEPS9_SE_NS0_5tupleIJPjSE_EEENSF_IJSE_SE_EEES9_SG_JZNS1_25segmented_radix_sort_implINS0_14default_configELb0EPKlPlSM_SN_N2at6native12_GLOBAL__N_18offset_tEEE10hipError_tPvRmT1_PNSt15iterator_traitsISV_E10value_typeET2_T3_PNSW_IS11_E10value_typeET4_jRbjT5_S17_jjP12ihipStream_tbEUljE_EEESS_ST_SU_S11_S15_S17_T6_T7_T9_mT8_S19_bDpT10_ENKUlT_T0_E_clISt17integral_constantIbLb0EES1M_EEDaS1H_S1I_EUlS1H_E_NS1_11comp_targetILNS1_3genE4ELNS1_11target_archE910ELNS1_3gpuE8ELNS1_3repE0EEENS1_30default_config_static_selectorELNS0_4arch9wavefront6targetE1EEEvSV_,comdat
	.globl	_ZN7rocprim17ROCPRIM_400000_NS6detail17trampoline_kernelINS0_13select_configILj256ELj13ELNS0_17block_load_methodE3ELS4_3ELS4_3ELNS0_20block_scan_algorithmE0ELj4294967295EEENS1_25partition_config_selectorILNS1_17partition_subalgoE3EjNS0_10empty_typeEbEEZZNS1_14partition_implILS8_3ELb0ES6_jNS0_17counting_iteratorIjlEEPS9_SE_NS0_5tupleIJPjSE_EEENSF_IJSE_SE_EEES9_SG_JZNS1_25segmented_radix_sort_implINS0_14default_configELb0EPKlPlSM_SN_N2at6native12_GLOBAL__N_18offset_tEEE10hipError_tPvRmT1_PNSt15iterator_traitsISV_E10value_typeET2_T3_PNSW_IS11_E10value_typeET4_jRbjT5_S17_jjP12ihipStream_tbEUljE_EEESS_ST_SU_S11_S15_S17_T6_T7_T9_mT8_S19_bDpT10_ENKUlT_T0_E_clISt17integral_constantIbLb0EES1M_EEDaS1H_S1I_EUlS1H_E_NS1_11comp_targetILNS1_3genE4ELNS1_11target_archE910ELNS1_3gpuE8ELNS1_3repE0EEENS1_30default_config_static_selectorELNS0_4arch9wavefront6targetE1EEEvSV_ ; -- Begin function _ZN7rocprim17ROCPRIM_400000_NS6detail17trampoline_kernelINS0_13select_configILj256ELj13ELNS0_17block_load_methodE3ELS4_3ELS4_3ELNS0_20block_scan_algorithmE0ELj4294967295EEENS1_25partition_config_selectorILNS1_17partition_subalgoE3EjNS0_10empty_typeEbEEZZNS1_14partition_implILS8_3ELb0ES6_jNS0_17counting_iteratorIjlEEPS9_SE_NS0_5tupleIJPjSE_EEENSF_IJSE_SE_EEES9_SG_JZNS1_25segmented_radix_sort_implINS0_14default_configELb0EPKlPlSM_SN_N2at6native12_GLOBAL__N_18offset_tEEE10hipError_tPvRmT1_PNSt15iterator_traitsISV_E10value_typeET2_T3_PNSW_IS11_E10value_typeET4_jRbjT5_S17_jjP12ihipStream_tbEUljE_EEESS_ST_SU_S11_S15_S17_T6_T7_T9_mT8_S19_bDpT10_ENKUlT_T0_E_clISt17integral_constantIbLb0EES1M_EEDaS1H_S1I_EUlS1H_E_NS1_11comp_targetILNS1_3genE4ELNS1_11target_archE910ELNS1_3gpuE8ELNS1_3repE0EEENS1_30default_config_static_selectorELNS0_4arch9wavefront6targetE1EEEvSV_
	.p2align	8
	.type	_ZN7rocprim17ROCPRIM_400000_NS6detail17trampoline_kernelINS0_13select_configILj256ELj13ELNS0_17block_load_methodE3ELS4_3ELS4_3ELNS0_20block_scan_algorithmE0ELj4294967295EEENS1_25partition_config_selectorILNS1_17partition_subalgoE3EjNS0_10empty_typeEbEEZZNS1_14partition_implILS8_3ELb0ES6_jNS0_17counting_iteratorIjlEEPS9_SE_NS0_5tupleIJPjSE_EEENSF_IJSE_SE_EEES9_SG_JZNS1_25segmented_radix_sort_implINS0_14default_configELb0EPKlPlSM_SN_N2at6native12_GLOBAL__N_18offset_tEEE10hipError_tPvRmT1_PNSt15iterator_traitsISV_E10value_typeET2_T3_PNSW_IS11_E10value_typeET4_jRbjT5_S17_jjP12ihipStream_tbEUljE_EEESS_ST_SU_S11_S15_S17_T6_T7_T9_mT8_S19_bDpT10_ENKUlT_T0_E_clISt17integral_constantIbLb0EES1M_EEDaS1H_S1I_EUlS1H_E_NS1_11comp_targetILNS1_3genE4ELNS1_11target_archE910ELNS1_3gpuE8ELNS1_3repE0EEENS1_30default_config_static_selectorELNS0_4arch9wavefront6targetE1EEEvSV_,@function
_ZN7rocprim17ROCPRIM_400000_NS6detail17trampoline_kernelINS0_13select_configILj256ELj13ELNS0_17block_load_methodE3ELS4_3ELS4_3ELNS0_20block_scan_algorithmE0ELj4294967295EEENS1_25partition_config_selectorILNS1_17partition_subalgoE3EjNS0_10empty_typeEbEEZZNS1_14partition_implILS8_3ELb0ES6_jNS0_17counting_iteratorIjlEEPS9_SE_NS0_5tupleIJPjSE_EEENSF_IJSE_SE_EEES9_SG_JZNS1_25segmented_radix_sort_implINS0_14default_configELb0EPKlPlSM_SN_N2at6native12_GLOBAL__N_18offset_tEEE10hipError_tPvRmT1_PNSt15iterator_traitsISV_E10value_typeET2_T3_PNSW_IS11_E10value_typeET4_jRbjT5_S17_jjP12ihipStream_tbEUljE_EEESS_ST_SU_S11_S15_S17_T6_T7_T9_mT8_S19_bDpT10_ENKUlT_T0_E_clISt17integral_constantIbLb0EES1M_EEDaS1H_S1I_EUlS1H_E_NS1_11comp_targetILNS1_3genE4ELNS1_11target_archE910ELNS1_3gpuE8ELNS1_3repE0EEENS1_30default_config_static_selectorELNS0_4arch9wavefront6targetE1EEEvSV_: ; @_ZN7rocprim17ROCPRIM_400000_NS6detail17trampoline_kernelINS0_13select_configILj256ELj13ELNS0_17block_load_methodE3ELS4_3ELS4_3ELNS0_20block_scan_algorithmE0ELj4294967295EEENS1_25partition_config_selectorILNS1_17partition_subalgoE3EjNS0_10empty_typeEbEEZZNS1_14partition_implILS8_3ELb0ES6_jNS0_17counting_iteratorIjlEEPS9_SE_NS0_5tupleIJPjSE_EEENSF_IJSE_SE_EEES9_SG_JZNS1_25segmented_radix_sort_implINS0_14default_configELb0EPKlPlSM_SN_N2at6native12_GLOBAL__N_18offset_tEEE10hipError_tPvRmT1_PNSt15iterator_traitsISV_E10value_typeET2_T3_PNSW_IS11_E10value_typeET4_jRbjT5_S17_jjP12ihipStream_tbEUljE_EEESS_ST_SU_S11_S15_S17_T6_T7_T9_mT8_S19_bDpT10_ENKUlT_T0_E_clISt17integral_constantIbLb0EES1M_EEDaS1H_S1I_EUlS1H_E_NS1_11comp_targetILNS1_3genE4ELNS1_11target_archE910ELNS1_3gpuE8ELNS1_3repE0EEENS1_30default_config_static_selectorELNS0_4arch9wavefront6targetE1EEEvSV_
; %bb.0:
	s_load_dwordx2 s[26:27], s[4:5], 0x58
	s_load_dwordx4 s[20:23], s[4:5], 0x48
	s_load_dword s13, s[4:5], 0x8
	s_load_dwordx2 s[28:29], s[4:5], 0x10
	s_load_dword s12, s[4:5], 0x70
	s_load_dword s7, s[4:5], 0x88
	s_load_dwordx4 s[8:11], s[4:5], 0x78
	s_waitcnt lgkmcnt(0)
	s_load_dwordx2 s[30:31], s[22:23], 0x0
	v_pk_mov_b32 v[2:3], s[26:27], s[26:27] op_sel:[0,1]
	s_add_i32 s2, s12, -1
	s_mulk_i32 s12, 0xd00
	s_add_u32 s0, s28, s12
	s_addc_u32 s1, s29, 0
	s_cmp_eq_u32 s6, s2
	s_cselect_b64 s[22:23], -1, 0
	s_cmp_lg_u32 s6, s2
	s_mul_i32 s42, s6, 0xd00
	v_cmp_lt_u64_e32 vcc, s[0:1], v[2:3]
	s_cselect_b64 s[0:1], -1, 0
	s_or_b64 s[2:3], s[0:1], vcc
	s_add_i32 s0, s13, s42
	s_add_i32 s0, s0, s28
	v_add_u32_e32 v2, s0, v0
	s_mov_b64 s[0:1], -1
	s_and_b64 vcc, exec, s[2:3]
	v_lshlrev_b32_e32 v1, 2, v0
	s_cbranch_vccz .LBB777_2
; %bb.1:
	v_add_u32_e32 v3, 0x100, v2
	v_add_u32_e32 v4, 0x200, v2
	;; [unrolled: 1-line block ×12, first 2 shown]
	ds_write2st64_b32 v1, v2, v3 offset1:4
	ds_write2st64_b32 v1, v4, v5 offset0:8 offset1:12
	ds_write2st64_b32 v1, v6, v7 offset0:16 offset1:20
	;; [unrolled: 1-line block ×5, first 2 shown]
	ds_write_b32 v1, v14 offset:12288
	s_waitcnt lgkmcnt(0)
	s_barrier
	s_mov_b64 s[0:1], 0
.LBB777_2:
	s_andn2_b64 vcc, exec, s[0:1]
	s_add_i32 s12, s12, s28
	s_cbranch_vccnz .LBB777_4
; %bb.3:
	v_add_u32_e32 v3, 0x100, v2
	v_add_u32_e32 v4, 0x200, v2
	;; [unrolled: 1-line block ×12, first 2 shown]
	ds_write2st64_b32 v1, v2, v3 offset1:4
	ds_write2st64_b32 v1, v4, v5 offset0:8 offset1:12
	ds_write2st64_b32 v1, v6, v7 offset0:16 offset1:20
	;; [unrolled: 1-line block ×5, first 2 shown]
	ds_write_b32 v1, v14 offset:12288
	s_waitcnt lgkmcnt(0)
	s_barrier
.LBB777_4:
	v_mul_u32_u24_e32 v33, 13, v0
	v_lshlrev_b32_e32 v2, 2, v33
	s_waitcnt lgkmcnt(0)
	ds_read2_b32 v[30:31], v2 offset1:1
	ds_read2_b32 v[28:29], v2 offset0:2 offset1:3
	ds_read2_b32 v[26:27], v2 offset0:4 offset1:5
	ds_read2_b32 v[24:25], v2 offset0:6 offset1:7
	ds_read2_b32 v[22:23], v2 offset0:8 offset1:9
	ds_read2_b32 v[20:21], v2 offset0:10 offset1:11
	ds_read_b32 v32, v2 offset:48
	v_cndmask_b32_e64 v2, 0, 1, s[2:3]
	s_sub_i32 s33, s26, s12
	v_cmp_ne_u32_e64 s[0:1], 1, v2
	s_andn2_b64 vcc, exec, s[2:3]
	s_waitcnt lgkmcnt(0)
	s_barrier
	s_cbranch_vccnz .LBB777_6
; %bb.5:
	v_add_u32_e32 v2, s9, v30
	v_add_u32_e32 v3, s11, v30
	v_mul_lo_u32 v2, v2, s8
	v_mul_lo_u32 v3, v3, s10
	v_sub_u32_e32 v2, v2, v3
	v_add_u32_e32 v3, s9, v31
	v_add_u32_e32 v4, s11, v31
	v_mul_lo_u32 v3, v3, s8
	v_mul_lo_u32 v4, v4, s10
	v_sub_u32_e32 v3, v3, v4
	;; [unrolled: 5-line block ×6, first 2 shown]
	v_add_u32_e32 v8, s9, v24
	v_add_u32_e32 v9, s11, v24
	v_mul_lo_u32 v8, v8, s8
	v_mul_lo_u32 v9, v9, s10
	v_cmp_lt_u32_e32 vcc, s7, v2
	v_sub_u32_e32 v8, v8, v9
	v_add_u32_e32 v9, s9, v25
	v_add_u32_e32 v10, s11, v25
	v_cndmask_b32_e64 v2, 0, 1, vcc
	v_cmp_lt_u32_e32 vcc, s7, v3
	v_mul_lo_u32 v9, v9, s8
	v_mul_lo_u32 v10, v10, s10
	v_cndmask_b32_e64 v3, 0, 1, vcc
	v_cmp_lt_u32_e32 vcc, s7, v4
	v_sub_u32_e32 v9, v9, v10
	v_add_u32_e32 v10, s9, v22
	v_add_u32_e32 v11, s11, v22
	v_cndmask_b32_e64 v4, 0, 1, vcc
	v_cmp_lt_u32_e32 vcc, s7, v5
	v_mul_lo_u32 v10, v10, s8
	v_mul_lo_u32 v11, v11, s10
	v_cndmask_b32_e64 v5, 0, 1, vcc
	v_cmp_lt_u32_e32 vcc, s7, v6
	v_sub_u32_e32 v10, v10, v11
	v_add_u32_e32 v11, s9, v23
	v_add_u32_e32 v12, s11, v23
	v_cndmask_b32_e64 v6, 0, 1, vcc
	v_cmp_lt_u32_e32 vcc, s7, v7
	v_mul_lo_u32 v11, v11, s8
	v_mul_lo_u32 v12, v12, s10
	v_cndmask_b32_e64 v7, 0, 1, vcc
	v_cmp_lt_u32_e32 vcc, s7, v8
	v_sub_u32_e32 v11, v11, v12
	v_add_u32_e32 v12, s9, v20
	v_add_u32_e32 v13, s11, v20
	v_cndmask_b32_e64 v8, 0, 1, vcc
	v_cmp_lt_u32_e32 vcc, s7, v9
	v_mul_lo_u32 v12, v12, s8
	v_mul_lo_u32 v13, v13, s10
	v_cndmask_b32_e64 v9, 0, 1, vcc
	v_cmp_lt_u32_e32 vcc, s7, v10
	v_sub_u32_e32 v12, v12, v13
	v_add_u32_e32 v13, s9, v21
	v_add_u32_e32 v14, s11, v21
	v_lshlrev_b16_e32 v3, 8, v3
	v_cndmask_b32_e64 v10, 0, 1, vcc
	v_cmp_lt_u32_e32 vcc, s7, v11
	v_mul_lo_u32 v13, v13, s8
	v_mul_lo_u32 v14, v14, s10
	v_or_b32_e32 v2, v2, v3
	v_lshlrev_b16_e32 v3, 8, v5
	v_cndmask_b32_e64 v11, 0, 1, vcc
	v_cmp_lt_u32_e32 vcc, s7, v12
	v_sub_u32_e32 v13, v13, v14
	v_or_b32_sdwa v3, v4, v3 dst_sel:WORD_1 dst_unused:UNUSED_PAD src0_sel:DWORD src1_sel:DWORD
	v_cndmask_b32_e64 v12, 0, 1, vcc
	v_cmp_lt_u32_e32 vcc, s7, v13
	v_add_u32_e32 v14, s9, v32
	v_add_u32_e32 v15, s11, v32
	v_or_b32_sdwa v37, v2, v3 dst_sel:DWORD dst_unused:UNUSED_PAD src0_sel:WORD_0 src1_sel:DWORD
	v_lshlrev_b16_e32 v2, 8, v7
	v_lshlrev_b16_e32 v3, 8, v9
	v_cndmask_b32_e64 v13, 0, 1, vcc
	v_mul_lo_u32 v14, v14, s8
	v_mul_lo_u32 v15, v15, s10
	v_or_b32_e32 v2, v6, v2
	v_or_b32_sdwa v3, v8, v3 dst_sel:WORD_1 dst_unused:UNUSED_PAD src0_sel:DWORD src1_sel:DWORD
	v_sub_u32_e32 v14, v14, v15
	v_or_b32_sdwa v36, v2, v3 dst_sel:DWORD dst_unused:UNUSED_PAD src0_sel:WORD_0 src1_sel:DWORD
	v_lshlrev_b16_e32 v2, 8, v11
	v_lshlrev_b16_e32 v3, 8, v13
	v_cmp_lt_u32_e32 vcc, s7, v14
	v_or_b32_e32 v2, v10, v2
	v_or_b32_sdwa v3, v12, v3 dst_sel:WORD_1 dst_unused:UNUSED_PAD src0_sel:DWORD src1_sel:DWORD
	v_cndmask_b32_e64 v34, 0, 1, vcc
	v_or_b32_sdwa v35, v2, v3 dst_sel:DWORD dst_unused:UNUSED_PAD src0_sel:WORD_0 src1_sel:DWORD
	s_mov_b64 s[2:3], 0
	s_branch .LBB777_7
.LBB777_6:
	s_mov_b64 s[2:3], -1
                                        ; implicit-def: $vgpr34
                                        ; implicit-def: $vgpr35
                                        ; implicit-def: $vgpr36
                                        ; implicit-def: $vgpr37
.LBB777_7:
	s_load_dwordx2 s[24:25], s[4:5], 0x28
	s_load_dwordx2 s[34:35], s[4:5], 0x68
	s_andn2_b64 vcc, exec, s[2:3]
	s_addk_i32 s33, 0xd00
	s_cbranch_vccnz .LBB777_35
; %bb.8:
	v_cmp_gt_u32_e32 vcc, s33, v33
	v_mov_b32_e32 v3, 0
	v_mov_b32_e32 v2, 0
	s_and_saveexec_b64 s[2:3], vcc
; %bb.9:
	v_add_u32_e32 v2, s9, v30
	v_add_u32_e32 v4, s11, v30
	v_mul_lo_u32 v2, v2, s8
	v_mul_lo_u32 v4, v4, s10
	v_sub_u32_e32 v2, v2, v4
	v_cmp_lt_u32_e32 vcc, s7, v2
	v_cndmask_b32_e64 v2, 0, 1, vcc
; %bb.10:
	s_or_b64 exec, exec, s[2:3]
	v_add_u32_e32 v4, 1, v33
	v_cmp_gt_u32_e32 vcc, s33, v4
	s_and_saveexec_b64 s[2:3], vcc
; %bb.11:
	v_add_u32_e32 v3, s9, v31
	v_add_u32_e32 v4, s11, v31
	v_mul_lo_u32 v3, v3, s8
	v_mul_lo_u32 v4, v4, s10
	v_sub_u32_e32 v3, v3, v4
	v_cmp_lt_u32_e32 vcc, s7, v3
	v_cndmask_b32_e64 v3, 0, 1, vcc
; %bb.12:
	s_or_b64 exec, exec, s[2:3]
	v_add_u32_e32 v4, 2, v33
	v_cmp_gt_u32_e32 vcc, s33, v4
	v_mov_b32_e32 v5, 0
	v_mov_b32_e32 v4, 0
	s_and_saveexec_b64 s[2:3], vcc
; %bb.13:
	v_add_u32_e32 v4, s9, v28
	v_add_u32_e32 v6, s11, v28
	v_mul_lo_u32 v4, v4, s8
	v_mul_lo_u32 v6, v6, s10
	v_sub_u32_e32 v4, v4, v6
	v_cmp_lt_u32_e32 vcc, s7, v4
	v_cndmask_b32_e64 v4, 0, 1, vcc
; %bb.14:
	s_or_b64 exec, exec, s[2:3]
	v_add_u32_e32 v6, 3, v33
	v_cmp_gt_u32_e32 vcc, s33, v6
	s_and_saveexec_b64 s[2:3], vcc
; %bb.15:
	v_add_u32_e32 v5, s9, v29
	v_add_u32_e32 v6, s11, v29
	v_mul_lo_u32 v5, v5, s8
	v_mul_lo_u32 v6, v6, s10
	v_sub_u32_e32 v5, v5, v6
	v_cmp_lt_u32_e32 vcc, s7, v5
	v_cndmask_b32_e64 v5, 0, 1, vcc
; %bb.16:
	s_or_b64 exec, exec, s[2:3]
	v_add_u32_e32 v6, 4, v33
	;; [unrolled: 28-line block ×6, first 2 shown]
	v_cmp_gt_u32_e32 vcc, s33, v14
	v_mov_b32_e32 v34, 0
	s_and_saveexec_b64 s[2:3], vcc
; %bb.33:
	v_add_u32_e32 v14, s9, v32
	v_add_u32_e32 v15, s11, v32
	v_mul_lo_u32 v14, v14, s8
	v_mul_lo_u32 v15, v15, s10
	v_sub_u32_e32 v14, v14, v15
	v_cmp_lt_u32_e32 vcc, s7, v14
	v_cndmask_b32_e64 v34, 0, 1, vcc
; %bb.34:
	s_or_b64 exec, exec, s[2:3]
	v_lshlrev_b16_e32 v3, 8, v3
	v_or_b32_e32 v2, v2, v3
	v_lshlrev_b16_e32 v3, 8, v5
	v_or_b32_sdwa v3, v4, v3 dst_sel:WORD_1 dst_unused:UNUSED_PAD src0_sel:DWORD src1_sel:DWORD
	v_or_b32_sdwa v37, v2, v3 dst_sel:DWORD dst_unused:UNUSED_PAD src0_sel:WORD_0 src1_sel:DWORD
	v_lshlrev_b16_e32 v2, 8, v7
	v_lshlrev_b16_e32 v3, 8, v9
	v_or_b32_e32 v2, v6, v2
	v_or_b32_sdwa v3, v8, v3 dst_sel:WORD_1 dst_unused:UNUSED_PAD src0_sel:DWORD src1_sel:DWORD
	v_or_b32_sdwa v36, v2, v3 dst_sel:DWORD dst_unused:UNUSED_PAD src0_sel:WORD_0 src1_sel:DWORD
	v_lshlrev_b16_e32 v2, 8, v11
	v_lshlrev_b16_e32 v3, 8, v13
	v_or_b32_e32 v2, v10, v2
	v_or_b32_sdwa v3, v12, v3 dst_sel:WORD_1 dst_unused:UNUSED_PAD src0_sel:DWORD src1_sel:DWORD
	v_or_b32_sdwa v35, v2, v3 dst_sel:DWORD dst_unused:UNUSED_PAD src0_sel:WORD_0 src1_sel:DWORD
.LBB777_35:
	v_and_b32_e32 v41, 0xff, v37
	v_bfe_u32 v42, v37, 8, 8
	v_bfe_u32 v43, v37, 16, 8
	v_lshrrev_b32_e32 v40, 24, v37
	v_and_b32_e32 v44, 0xff, v36
	v_add3_u32 v3, v42, v41, v43
	v_bfe_u32 v45, v36, 8, 8
	v_bfe_u32 v46, v36, 16, 8
	v_add3_u32 v3, v3, v40, v44
	v_lshrrev_b32_e32 v39, 24, v36
	v_and_b32_e32 v47, 0xff, v35
	v_add3_u32 v3, v3, v45, v46
	v_bfe_u32 v48, v35, 8, 8
	v_bfe_u32 v49, v35, 16, 8
	v_add3_u32 v3, v3, v39, v47
	v_lshrrev_b32_e32 v38, 24, v35
	v_and_b32_e32 v2, 0xff, v34
	v_add3_u32 v3, v3, v48, v49
	v_add3_u32 v52, v3, v38, v2
	v_mbcnt_lo_u32_b32 v2, -1, 0
	v_mbcnt_hi_u32_b32 v50, -1, v2
	v_and_b32_e32 v2, 15, v50
	v_cmp_eq_u32_e64 s[14:15], 0, v2
	v_cmp_lt_u32_e64 s[12:13], 1, v2
	v_cmp_lt_u32_e64 s[10:11], 3, v2
	;; [unrolled: 1-line block ×3, first 2 shown]
	v_and_b32_e32 v2, 16, v50
	v_cmp_eq_u32_e64 s[18:19], 0, v2
	v_or_b32_e32 v2, 63, v0
	s_cmp_lg_u32 s6, 0
	v_cmp_lt_u32_e64 s[2:3], 31, v50
	v_lshrrev_b32_e32 v51, 6, v0
	v_cmp_eq_u32_e64 s[4:5], v2, v0
	s_cbranch_scc0 .LBB777_62
; %bb.36:
	v_mov_b32_dpp v2, v52 row_shr:1 row_mask:0xf bank_mask:0xf
	v_cndmask_b32_e64 v2, v2, 0, s[14:15]
	v_add_u32_e32 v2, v2, v52
	s_nop 1
	v_mov_b32_dpp v3, v2 row_shr:2 row_mask:0xf bank_mask:0xf
	v_cndmask_b32_e64 v3, 0, v3, s[12:13]
	v_add_u32_e32 v2, v2, v3
	s_nop 1
	;; [unrolled: 4-line block ×4, first 2 shown]
	v_mov_b32_dpp v3, v2 row_bcast:15 row_mask:0xf bank_mask:0xf
	v_cndmask_b32_e64 v3, v3, 0, s[18:19]
	v_add_u32_e32 v2, v2, v3
	s_nop 1
	v_mov_b32_dpp v3, v2 row_bcast:31 row_mask:0xf bank_mask:0xf
	v_cndmask_b32_e64 v3, 0, v3, s[2:3]
	v_add_u32_e32 v2, v2, v3
	s_and_saveexec_b64 s[16:17], s[4:5]
	s_cbranch_execz .LBB777_38
; %bb.37:
	v_lshlrev_b32_e32 v3, 2, v51
	ds_write_b32 v3, v2
.LBB777_38:
	s_or_b64 exec, exec, s[16:17]
	v_cmp_gt_u32_e32 vcc, 4, v0
	s_waitcnt lgkmcnt(0)
	s_barrier
	s_and_saveexec_b64 s[16:17], vcc
	s_cbranch_execz .LBB777_40
; %bb.39:
	ds_read_b32 v3, v1
	v_and_b32_e32 v4, 3, v50
	v_cmp_ne_u32_e32 vcc, 0, v4
	s_waitcnt lgkmcnt(0)
	v_mov_b32_dpp v5, v3 row_shr:1 row_mask:0xf bank_mask:0xf
	v_cndmask_b32_e32 v5, 0, v5, vcc
	v_add_u32_e32 v3, v5, v3
	v_cmp_lt_u32_e32 vcc, 1, v4
	s_nop 0
	v_mov_b32_dpp v5, v3 row_shr:2 row_mask:0xf bank_mask:0xf
	v_cndmask_b32_e32 v4, 0, v5, vcc
	v_add_u32_e32 v3, v3, v4
	ds_write_b32 v1, v3
.LBB777_40:
	s_or_b64 exec, exec, s[16:17]
	v_cmp_gt_u32_e32 vcc, 64, v0
	v_cmp_lt_u32_e64 s[16:17], 63, v0
	s_waitcnt lgkmcnt(0)
	s_barrier
	s_waitcnt lgkmcnt(0)
                                        ; implicit-def: $vgpr12
	s_and_saveexec_b64 s[36:37], s[16:17]
	s_cbranch_execz .LBB777_42
; %bb.41:
	v_lshl_add_u32 v3, v51, 2, -4
	ds_read_b32 v12, v3
	s_waitcnt lgkmcnt(0)
	v_add_u32_e32 v2, v12, v2
.LBB777_42:
	s_or_b64 exec, exec, s[36:37]
	v_add_u32_e32 v3, -1, v50
	v_and_b32_e32 v4, 64, v50
	v_cmp_lt_i32_e64 s[16:17], v3, v4
	v_cndmask_b32_e64 v3, v3, v50, s[16:17]
	v_lshlrev_b32_e32 v3, 2, v3
	ds_bpermute_b32 v13, v3, v2
	v_cmp_eq_u32_e64 s[16:17], 0, v50
	s_and_saveexec_b64 s[36:37], vcc
	s_cbranch_execz .LBB777_61
; %bb.43:
	v_mov_b32_e32 v9, 0
	ds_read_b32 v2, v9 offset:12
	s_and_saveexec_b64 s[38:39], s[16:17]
	s_cbranch_execz .LBB777_45
; %bb.44:
	s_add_i32 s40, s6, 64
	s_mov_b32 s41, 0
	s_lshl_b64 s[40:41], s[40:41], 3
	s_add_u32 s40, s34, s40
	v_mov_b32_e32 v3, 1
	s_addc_u32 s41, s35, s41
	s_waitcnt lgkmcnt(0)
	global_store_dwordx2 v9, v[2:3], s[40:41]
.LBB777_45:
	s_or_b64 exec, exec, s[38:39]
	v_xad_u32 v4, v50, -1, s6
	v_add_u32_e32 v8, 64, v4
	v_lshlrev_b64 v[6:7], 3, v[8:9]
	v_mov_b32_e32 v3, s35
	v_add_co_u32_e32 v10, vcc, s34, v6
	v_addc_co_u32_e32 v11, vcc, v3, v7, vcc
	global_load_dwordx2 v[6:7], v[10:11], off glc
	s_waitcnt vmcnt(0)
	v_cmp_eq_u16_sdwa s[40:41], v7, v9 src0_sel:BYTE_0 src1_sel:DWORD
	s_and_saveexec_b64 s[38:39], s[40:41]
	s_cbranch_execz .LBB777_49
; %bb.46:
	s_mov_b64 s[40:41], 0
	v_mov_b32_e32 v3, 0
.LBB777_47:                             ; =>This Inner Loop Header: Depth=1
	global_load_dwordx2 v[6:7], v[10:11], off glc
	s_waitcnt vmcnt(0)
	v_cmp_ne_u16_sdwa s[44:45], v7, v3 src0_sel:BYTE_0 src1_sel:DWORD
	s_or_b64 s[40:41], s[44:45], s[40:41]
	s_andn2_b64 exec, exec, s[40:41]
	s_cbranch_execnz .LBB777_47
; %bb.48:
	s_or_b64 exec, exec, s[40:41]
.LBB777_49:
	s_or_b64 exec, exec, s[38:39]
	v_and_b32_e32 v14, 63, v50
	v_mov_b32_e32 v3, 2
	v_cmp_ne_u32_e32 vcc, 63, v14
	v_cmp_eq_u16_sdwa s[38:39], v7, v3 src0_sel:BYTE_0 src1_sel:DWORD
	v_lshlrev_b64 v[8:9], v50, -1
	v_addc_co_u32_e32 v11, vcc, 0, v50, vcc
	v_and_b32_e32 v5, s39, v9
	v_lshlrev_b32_e32 v15, 2, v11
	v_or_b32_e32 v5, 0x80000000, v5
	ds_bpermute_b32 v11, v15, v6
	v_and_b32_e32 v10, s38, v8
	v_ffbl_b32_e32 v5, v5
	v_add_u32_e32 v5, 32, v5
	v_ffbl_b32_e32 v10, v10
	v_min_u32_e32 v5, v10, v5
	v_cmp_lt_u32_e32 vcc, v14, v5
	s_waitcnt lgkmcnt(0)
	v_cndmask_b32_e32 v10, 0, v11, vcc
	v_cmp_gt_u32_e32 vcc, 62, v14
	v_add_u32_e32 v6, v10, v6
	v_cndmask_b32_e64 v10, 0, 1, vcc
	v_lshlrev_b32_e32 v10, 1, v10
	v_add_lshl_u32 v16, v10, v50, 2
	ds_bpermute_b32 v10, v16, v6
	v_add_u32_e32 v17, 2, v14
	v_cmp_le_u32_e32 vcc, v17, v5
	v_add_u32_e32 v19, 4, v14
	v_add_u32_e32 v54, 8, v14
	s_waitcnt lgkmcnt(0)
	v_cndmask_b32_e32 v10, 0, v10, vcc
	v_cmp_gt_u32_e32 vcc, 60, v14
	v_add_u32_e32 v6, v6, v10
	v_cndmask_b32_e64 v10, 0, 1, vcc
	v_lshlrev_b32_e32 v10, 2, v10
	v_add_lshl_u32 v18, v10, v50, 2
	ds_bpermute_b32 v10, v18, v6
	v_cmp_le_u32_e32 vcc, v19, v5
	v_add_u32_e32 v57, 16, v14
	v_add_u32_e32 v59, 32, v14
	s_waitcnt lgkmcnt(0)
	v_cndmask_b32_e32 v10, 0, v10, vcc
	v_cmp_gt_u32_e32 vcc, 56, v14
	v_add_u32_e32 v6, v6, v10
	v_cndmask_b32_e64 v10, 0, 1, vcc
	v_lshlrev_b32_e32 v10, 3, v10
	v_add_lshl_u32 v53, v10, v50, 2
	ds_bpermute_b32 v10, v53, v6
	v_cmp_le_u32_e32 vcc, v54, v5
	s_waitcnt lgkmcnt(0)
	v_cndmask_b32_e32 v10, 0, v10, vcc
	v_cmp_gt_u32_e32 vcc, 48, v14
	v_add_u32_e32 v6, v6, v10
	v_cndmask_b32_e64 v10, 0, 1, vcc
	v_lshlrev_b32_e32 v10, 4, v10
	v_add_lshl_u32 v56, v10, v50, 2
	ds_bpermute_b32 v10, v56, v6
	v_cmp_le_u32_e32 vcc, v57, v5
	;; [unrolled: 9-line block ×3, first 2 shown]
	s_waitcnt lgkmcnt(0)
	v_cndmask_b32_e32 v5, 0, v10, vcc
	v_add_u32_e32 v6, v6, v5
	v_mov_b32_e32 v5, 0
	s_branch .LBB777_51
.LBB777_50:                             ;   in Loop: Header=BB777_51 Depth=1
	s_or_b64 exec, exec, s[38:39]
	v_cmp_eq_u16_sdwa s[38:39], v7, v3 src0_sel:BYTE_0 src1_sel:DWORD
	v_and_b32_e32 v10, s39, v9
	v_or_b32_e32 v10, 0x80000000, v10
	ds_bpermute_b32 v60, v15, v6
	v_and_b32_e32 v11, s38, v8
	v_ffbl_b32_e32 v10, v10
	v_add_u32_e32 v10, 32, v10
	v_ffbl_b32_e32 v11, v11
	v_min_u32_e32 v10, v11, v10
	v_cmp_lt_u32_e32 vcc, v14, v10
	s_waitcnt lgkmcnt(0)
	v_cndmask_b32_e32 v11, 0, v60, vcc
	v_add_u32_e32 v6, v11, v6
	ds_bpermute_b32 v11, v16, v6
	v_cmp_le_u32_e32 vcc, v17, v10
	v_subrev_u32_e32 v4, 64, v4
	s_waitcnt lgkmcnt(0)
	v_cndmask_b32_e32 v11, 0, v11, vcc
	v_add_u32_e32 v6, v6, v11
	ds_bpermute_b32 v11, v18, v6
	v_cmp_le_u32_e32 vcc, v19, v10
	s_waitcnt lgkmcnt(0)
	v_cndmask_b32_e32 v11, 0, v11, vcc
	v_add_u32_e32 v6, v6, v11
	ds_bpermute_b32 v11, v53, v6
	v_cmp_le_u32_e32 vcc, v54, v10
	;; [unrolled: 5-line block ×4, first 2 shown]
	s_waitcnt lgkmcnt(0)
	v_cndmask_b32_e32 v10, 0, v11, vcc
	v_add3_u32 v6, v10, v55, v6
.LBB777_51:                             ; =>This Loop Header: Depth=1
                                        ;     Child Loop BB777_54 Depth 2
	v_cmp_ne_u16_sdwa s[38:39], v7, v3 src0_sel:BYTE_0 src1_sel:DWORD
	v_cndmask_b32_e64 v7, 0, 1, s[38:39]
	;;#ASMSTART
	;;#ASMEND
	v_cmp_ne_u32_e32 vcc, 0, v7
	s_cmp_lg_u64 vcc, exec
	v_mov_b32_e32 v55, v6
	s_cbranch_scc1 .LBB777_56
; %bb.52:                               ;   in Loop: Header=BB777_51 Depth=1
	v_lshlrev_b64 v[6:7], 3, v[4:5]
	v_mov_b32_e32 v11, s35
	v_add_co_u32_e32 v10, vcc, s34, v6
	v_addc_co_u32_e32 v11, vcc, v11, v7, vcc
	global_load_dwordx2 v[6:7], v[10:11], off glc
	s_waitcnt vmcnt(0)
	v_cmp_eq_u16_sdwa s[40:41], v7, v5 src0_sel:BYTE_0 src1_sel:DWORD
	s_and_saveexec_b64 s[38:39], s[40:41]
	s_cbranch_execz .LBB777_50
; %bb.53:                               ;   in Loop: Header=BB777_51 Depth=1
	s_mov_b64 s[40:41], 0
.LBB777_54:                             ;   Parent Loop BB777_51 Depth=1
                                        ; =>  This Inner Loop Header: Depth=2
	global_load_dwordx2 v[6:7], v[10:11], off glc
	s_waitcnt vmcnt(0)
	v_cmp_ne_u16_sdwa s[44:45], v7, v5 src0_sel:BYTE_0 src1_sel:DWORD
	s_or_b64 s[40:41], s[44:45], s[40:41]
	s_andn2_b64 exec, exec, s[40:41]
	s_cbranch_execnz .LBB777_54
; %bb.55:                               ;   in Loop: Header=BB777_51 Depth=1
	s_or_b64 exec, exec, s[40:41]
	s_branch .LBB777_50
.LBB777_56:                             ;   in Loop: Header=BB777_51 Depth=1
                                        ; implicit-def: $vgpr6
                                        ; implicit-def: $vgpr7
	s_cbranch_execz .LBB777_51
; %bb.57:
	s_and_saveexec_b64 s[38:39], s[16:17]
	s_cbranch_execz .LBB777_59
; %bb.58:
	s_add_i32 s6, s6, 64
	s_mov_b32 s7, 0
	s_lshl_b64 s[6:7], s[6:7], 3
	s_add_u32 s6, s34, s6
	v_add_u32_e32 v4, v55, v2
	v_mov_b32_e32 v5, 2
	s_addc_u32 s7, s35, s7
	v_mov_b32_e32 v3, 0
	global_store_dwordx2 v3, v[4:5], s[6:7]
	s_movk_i32 s6, 0x3400
	v_add_u32_e64 v3, s6, 0
	ds_write2_b32 v3, v2, v55 offset1:2
.LBB777_59:
	s_or_b64 exec, exec, s[38:39]
	v_cmp_eq_u32_e32 vcc, 0, v0
	s_and_b64 exec, exec, vcc
	s_cbranch_execz .LBB777_61
; %bb.60:
	v_mov_b32_e32 v2, 0
	ds_write_b32 v2, v55 offset:12
.LBB777_61:
	s_or_b64 exec, exec, s[36:37]
	v_mov_b32_e32 v2, 0
	s_waitcnt lgkmcnt(0)
	s_barrier
	ds_read_b32 v2, v2 offset:12
	v_cndmask_b32_e64 v3, v13, v12, s[16:17]
	v_cmp_ne_u32_e32 vcc, 0, v0
	v_cndmask_b32_e32 v3, 0, v3, vcc
	s_movk_i32 s6, 0x3400
	s_waitcnt lgkmcnt(0)
	v_add_u32_e32 v2, v2, v3
	v_add_u32_e32 v3, v2, v41
	;; [unrolled: 1-line block ×8, first 2 shown]
	v_add_u32_e64 v12, s6, 0
	v_add_u32_e32 v10, v9, v39
	s_barrier
	ds_read2_b32 v[18:19], v12 offset1:2
	v_add_u32_e32 v11, v10, v47
	v_add_u32_e32 v12, v11, v48
	;; [unrolled: 1-line block ×4, first 2 shown]
	s_branch .LBB777_72
.LBB777_62:
                                        ; implicit-def: $vgpr19
                                        ; implicit-def: $vgpr2_vgpr3_vgpr4_vgpr5_vgpr6_vgpr7_vgpr8_vgpr9_vgpr10_vgpr11_vgpr12_vgpr13_vgpr14_vgpr15_vgpr16_vgpr17
	s_cbranch_execz .LBB777_72
; %bb.63:
	s_nop 0
	v_mov_b32_dpp v2, v52 row_shr:1 row_mask:0xf bank_mask:0xf
	v_cndmask_b32_e64 v2, v2, 0, s[14:15]
	v_add_u32_e32 v2, v2, v52
	s_nop 1
	v_mov_b32_dpp v3, v2 row_shr:2 row_mask:0xf bank_mask:0xf
	v_cndmask_b32_e64 v3, 0, v3, s[12:13]
	v_add_u32_e32 v2, v2, v3
	;; [unrolled: 4-line block ×4, first 2 shown]
	s_nop 1
	v_mov_b32_dpp v3, v2 row_bcast:15 row_mask:0xf bank_mask:0xf
	v_cndmask_b32_e64 v3, v3, 0, s[18:19]
	v_add_u32_e32 v2, v2, v3
	s_nop 1
	v_mov_b32_dpp v3, v2 row_bcast:31 row_mask:0xf bank_mask:0xf
	v_cndmask_b32_e64 v3, 0, v3, s[2:3]
	v_add_u32_e32 v2, v2, v3
	s_and_saveexec_b64 s[2:3], s[4:5]
	s_cbranch_execz .LBB777_65
; %bb.64:
	v_lshlrev_b32_e32 v3, 2, v51
	ds_write_b32 v3, v2
.LBB777_65:
	s_or_b64 exec, exec, s[2:3]
	v_cmp_gt_u32_e32 vcc, 4, v0
	s_waitcnt lgkmcnt(0)
	s_barrier
	s_and_saveexec_b64 s[2:3], vcc
	s_cbranch_execz .LBB777_67
; %bb.66:
	ds_read_b32 v3, v1
	v_and_b32_e32 v4, 3, v50
	v_cmp_ne_u32_e32 vcc, 0, v4
	s_waitcnt lgkmcnt(0)
	v_mov_b32_dpp v5, v3 row_shr:1 row_mask:0xf bank_mask:0xf
	v_cndmask_b32_e32 v5, 0, v5, vcc
	v_add_u32_e32 v3, v5, v3
	v_cmp_lt_u32_e32 vcc, 1, v4
	s_nop 0
	v_mov_b32_dpp v5, v3 row_shr:2 row_mask:0xf bank_mask:0xf
	v_cndmask_b32_e32 v4, 0, v5, vcc
	v_add_u32_e32 v3, v3, v4
	ds_write_b32 v1, v3
.LBB777_67:
	s_or_b64 exec, exec, s[2:3]
	v_cmp_lt_u32_e32 vcc, 63, v0
	v_mov_b32_e32 v4, 0
	v_mov_b32_e32 v3, 0
	s_waitcnt lgkmcnt(0)
	s_barrier
	s_and_saveexec_b64 s[2:3], vcc
	s_cbranch_execz .LBB777_69
; %bb.68:
	v_lshl_add_u32 v3, v51, 2, -4
	ds_read_b32 v3, v3
.LBB777_69:
	s_or_b64 exec, exec, s[2:3]
	v_add_u32_e32 v5, -1, v50
	v_and_b32_e32 v6, 64, v50
	v_cmp_lt_i32_e32 vcc, v5, v6
	v_cndmask_b32_e32 v5, v5, v50, vcc
	s_waitcnt lgkmcnt(0)
	v_add_u32_e32 v2, v3, v2
	v_lshlrev_b32_e32 v5, 2, v5
	ds_bpermute_b32 v2, v5, v2
	ds_read_b32 v18, v4 offset:12
	v_cmp_eq_u32_e32 vcc, 0, v0
	s_and_saveexec_b64 s[2:3], vcc
	s_cbranch_execz .LBB777_71
; %bb.70:
	v_mov_b32_e32 v4, 0
	v_mov_b32_e32 v19, 2
	s_waitcnt lgkmcnt(0)
	global_store_dwordx2 v4, v[18:19], s[34:35] offset:512
.LBB777_71:
	s_or_b64 exec, exec, s[2:3]
	v_cmp_eq_u32_e64 s[2:3], 0, v50
	s_waitcnt lgkmcnt(1)
	v_cndmask_b32_e64 v2, v2, v3, s[2:3]
	v_cndmask_b32_e64 v2, v2, 0, vcc
	v_add_u32_e32 v3, v2, v41
	v_add_u32_e32 v4, v3, v42
	;; [unrolled: 1-line block ×11, first 2 shown]
	v_mov_b32_e32 v19, 0
	v_add_u32_e32 v14, v13, v38
	s_waitcnt lgkmcnt(0)
	s_barrier
.LBB777_72:
	s_waitcnt lgkmcnt(0)
	v_add_u32_e32 v33, v18, v33
	v_sub_u32_e32 v2, v2, v19
	v_and_b32_e32 v42, 1, v37
	v_sub_u32_e32 v41, v33, v2
	v_cmp_eq_u32_e32 vcc, 1, v42
	v_cndmask_b32_e32 v2, v41, v2, vcc
	v_lshlrev_b32_e32 v2, 2, v2
	v_lshrrev_b32_e32 v17, 8, v37
	ds_write_b32 v2, v30
	v_sub_u32_e32 v2, v3, v19
	v_sub_u32_e32 v3, v33, v2
	v_and_b32_e32 v17, 1, v17
	v_add_u32_e32 v3, 1, v3
	v_cmp_eq_u32_e32 vcc, 1, v17
	v_cndmask_b32_e32 v2, v3, v2, vcc
	v_lshlrev_b32_e32 v2, 2, v2
	ds_write_b32 v2, v31
	v_sub_u32_e32 v2, v4, v19
	v_mov_b32_e32 v4, 1
	v_sub_u32_e32 v3, v33, v2
	v_and_b32_sdwa v17, v4, v37 dst_sel:DWORD dst_unused:UNUSED_PAD src0_sel:DWORD src1_sel:WORD_1
	v_add_u32_e32 v3, 2, v3
	v_cmp_eq_u32_e32 vcc, 1, v17
	v_cndmask_b32_e32 v2, v3, v2, vcc
	v_lshlrev_b32_e32 v2, 2, v2
	ds_write_b32 v2, v28
	v_sub_u32_e32 v2, v5, v19
	v_sub_u32_e32 v3, v33, v2
	v_and_b32_e32 v5, 1, v40
	v_add_u32_e32 v3, 3, v3
	v_cmp_eq_u32_e32 vcc, 1, v5
	v_cndmask_b32_e32 v2, v3, v2, vcc
	v_lshlrev_b32_e32 v2, 2, v2
	ds_write_b32 v2, v29
	v_sub_u32_e32 v2, v6, v19
	v_sub_u32_e32 v3, v33, v2
	v_and_b32_e32 v5, 1, v36
	v_add_u32_e32 v3, 4, v3
	v_cmp_eq_u32_e32 vcc, 1, v5
	v_cndmask_b32_e32 v2, v3, v2, vcc
	v_lshlrev_b32_e32 v2, 2, v2
	v_lshrrev_b32_e32 v16, 8, v36
	ds_write_b32 v2, v26
	v_sub_u32_e32 v2, v7, v19
	v_sub_u32_e32 v3, v33, v2
	v_and_b32_e32 v5, 1, v16
	v_add_u32_e32 v3, 5, v3
	v_cmp_eq_u32_e32 vcc, 1, v5
	v_cndmask_b32_e32 v2, v3, v2, vcc
	v_lshlrev_b32_e32 v2, 2, v2
	ds_write_b32 v2, v27
	v_sub_u32_e32 v2, v8, v19
	v_sub_u32_e32 v3, v33, v2
	v_and_b32_sdwa v5, v4, v36 dst_sel:DWORD dst_unused:UNUSED_PAD src0_sel:DWORD src1_sel:WORD_1
	v_add_u32_e32 v3, 6, v3
	v_cmp_eq_u32_e32 vcc, 1, v5
	v_cndmask_b32_e32 v2, v3, v2, vcc
	v_lshlrev_b32_e32 v2, 2, v2
	ds_write_b32 v2, v24
	v_sub_u32_e32 v2, v9, v19
	v_sub_u32_e32 v3, v33, v2
	v_and_b32_e32 v5, 1, v39
	v_add_u32_e32 v3, 7, v3
	v_cmp_eq_u32_e32 vcc, 1, v5
	v_cndmask_b32_e32 v2, v3, v2, vcc
	v_lshlrev_b32_e32 v2, 2, v2
	ds_write_b32 v2, v25
	v_sub_u32_e32 v2, v10, v19
	v_sub_u32_e32 v3, v33, v2
	v_and_b32_e32 v5, 1, v35
	v_add_u32_e32 v3, 8, v3
	v_cmp_eq_u32_e32 vcc, 1, v5
	v_cndmask_b32_e32 v2, v3, v2, vcc
	v_lshlrev_b32_e32 v2, 2, v2
	v_lshrrev_b32_e32 v15, 8, v35
	ds_write_b32 v2, v22
	v_sub_u32_e32 v2, v11, v19
	v_sub_u32_e32 v3, v33, v2
	v_and_b32_e32 v5, 1, v15
	v_add_u32_e32 v3, 9, v3
	v_cmp_eq_u32_e32 vcc, 1, v5
	v_cndmask_b32_e32 v2, v3, v2, vcc
	v_lshlrev_b32_e32 v2, 2, v2
	ds_write_b32 v2, v23
	v_sub_u32_e32 v2, v12, v19
	v_sub_u32_e32 v3, v33, v2
	v_and_b32_sdwa v4, v4, v35 dst_sel:DWORD dst_unused:UNUSED_PAD src0_sel:DWORD src1_sel:WORD_1
	v_add_u32_e32 v3, 10, v3
	v_cmp_eq_u32_e32 vcc, 1, v4
	v_cndmask_b32_e32 v2, v3, v2, vcc
	v_lshlrev_b32_e32 v2, 2, v2
	ds_write_b32 v2, v20
	v_sub_u32_e32 v2, v13, v19
	v_sub_u32_e32 v3, v33, v2
	v_and_b32_e32 v4, 1, v38
	v_add_u32_e32 v3, 11, v3
	v_cmp_eq_u32_e32 vcc, 1, v4
	v_cndmask_b32_e32 v2, v3, v2, vcc
	v_lshlrev_b32_e32 v2, 2, v2
	ds_write_b32 v2, v21
	v_sub_u32_e32 v2, v14, v19
	v_sub_u32_e32 v3, v33, v2
	v_and_b32_e32 v4, 1, v34
	v_add_u32_e32 v3, 12, v3
	v_cmp_eq_u32_e32 vcc, 1, v4
	v_cndmask_b32_e32 v2, v3, v2, vcc
	s_add_u32 s2, s28, s42
	v_lshlrev_b32_e32 v2, 2, v2
	s_addc_u32 s3, s29, 0
	ds_write_b32 v2, v32
	s_waitcnt lgkmcnt(0)
	s_barrier
	ds_read2st64_b32 v[12:13], v1 offset1:4
	ds_read2st64_b32 v[10:11], v1 offset0:8 offset1:12
	ds_read2st64_b32 v[8:9], v1 offset0:16 offset1:20
	;; [unrolled: 1-line block ×5, first 2 shown]
	ds_read_b32 v17, v1 offset:12288
	v_mov_b32_e32 v14, s31
	v_add_co_u32_e32 v1, vcc, s30, v19
	s_sub_u32 s2, s26, s2
	v_addc_co_u32_e32 v16, vcc, 0, v14, vcc
	s_subb_u32 s3, s27, s3
	v_mov_b32_e32 v14, s3
	v_add_co_u32_e32 v15, vcc, s2, v18
	v_addc_co_u32_e32 v14, vcc, 0, v14, vcc
	s_and_b64 vcc, exec, s[0:1]
	v_add_co_u32_e64 v19, s[0:1], v15, v1
	v_or_b32_e32 v32, 0x100, v0
	v_or_b32_e32 v31, 0x200, v0
	v_or_b32_e32 v30, 0x300, v0
	v_or_b32_e32 v29, 0x400, v0
	v_or_b32_e32 v28, 0x500, v0
	v_or_b32_e32 v27, 0x600, v0
	v_or_b32_e32 v26, 0x700, v0
	v_or_b32_e32 v25, 0x800, v0
	v_or_b32_e32 v24, 0x900, v0
	v_or_b32_e32 v23, 0xa00, v0
	v_or_b32_e32 v22, 0xb00, v0
	v_or_b32_e32 v20, 0xc00, v0
	v_addc_co_u32_e64 v21, s[0:1], v14, v16, s[0:1]
	s_cbranch_vccnz .LBB777_126
; %bb.73:
	v_cmp_ge_u32_e32 vcc, v0, v18
                                        ; implicit-def: $vgpr14_vgpr15
	s_and_saveexec_b64 s[0:1], vcc
	s_xor_b64 s[0:1], exec, s[0:1]
; %bb.74:
	v_not_b32_e32 v14, v0
	v_ashrrev_i32_e32 v15, 31, v14
	v_add_co_u32_e32 v14, vcc, v19, v14
	v_addc_co_u32_e32 v15, vcc, v21, v15, vcc
; %bb.75:
	s_andn2_saveexec_b64 s[0:1], s[0:1]
; %bb.76:
	v_add_co_u32_e32 v14, vcc, v1, v0
	v_addc_co_u32_e32 v15, vcc, 0, v16, vcc
; %bb.77:
	s_or_b64 exec, exec, s[0:1]
	v_lshlrev_b64 v[14:15], 2, v[14:15]
	v_mov_b32_e32 v33, s25
	v_add_co_u32_e32 v14, vcc, s24, v14
	v_addc_co_u32_e32 v15, vcc, v33, v15, vcc
	v_cmp_ge_u32_e32 vcc, v32, v18
	s_waitcnt lgkmcnt(6)
	global_store_dword v[14:15], v12, off
                                        ; implicit-def: $vgpr14_vgpr15
	s_and_saveexec_b64 s[0:1], vcc
	s_xor_b64 s[0:1], exec, s[0:1]
; %bb.78:
	v_xor_b32_e32 v14, 0xfffffeff, v0
	v_ashrrev_i32_e32 v15, 31, v14
	v_add_co_u32_e32 v14, vcc, v19, v14
	v_addc_co_u32_e32 v15, vcc, v21, v15, vcc
; %bb.79:
	s_andn2_saveexec_b64 s[0:1], s[0:1]
; %bb.80:
	v_add_co_u32_e32 v14, vcc, v1, v32
	v_addc_co_u32_e32 v15, vcc, 0, v16, vcc
; %bb.81:
	s_or_b64 exec, exec, s[0:1]
	v_lshlrev_b64 v[14:15], 2, v[14:15]
	v_mov_b32_e32 v33, s25
	v_add_co_u32_e32 v14, vcc, s24, v14
	v_addc_co_u32_e32 v15, vcc, v33, v15, vcc
	v_cmp_ge_u32_e32 vcc, v31, v18
	global_store_dword v[14:15], v13, off
                                        ; implicit-def: $vgpr14_vgpr15
	s_and_saveexec_b64 s[0:1], vcc
	s_xor_b64 s[0:1], exec, s[0:1]
; %bb.82:
	v_xor_b32_e32 v14, 0xfffffdff, v0
	v_ashrrev_i32_e32 v15, 31, v14
	v_add_co_u32_e32 v14, vcc, v19, v14
	v_addc_co_u32_e32 v15, vcc, v21, v15, vcc
; %bb.83:
	s_andn2_saveexec_b64 s[0:1], s[0:1]
; %bb.84:
	v_add_co_u32_e32 v14, vcc, v1, v31
	v_addc_co_u32_e32 v15, vcc, 0, v16, vcc
; %bb.85:
	s_or_b64 exec, exec, s[0:1]
	v_lshlrev_b64 v[14:15], 2, v[14:15]
	v_mov_b32_e32 v33, s25
	v_add_co_u32_e32 v14, vcc, s24, v14
	v_addc_co_u32_e32 v15, vcc, v33, v15, vcc
	v_cmp_ge_u32_e32 vcc, v30, v18
	s_waitcnt lgkmcnt(5)
	global_store_dword v[14:15], v10, off
                                        ; implicit-def: $vgpr14_vgpr15
	s_and_saveexec_b64 s[0:1], vcc
	s_xor_b64 s[0:1], exec, s[0:1]
; %bb.86:
	v_xor_b32_e32 v14, 0xfffffcff, v0
	v_ashrrev_i32_e32 v15, 31, v14
	v_add_co_u32_e32 v14, vcc, v19, v14
	v_addc_co_u32_e32 v15, vcc, v21, v15, vcc
; %bb.87:
	s_andn2_saveexec_b64 s[0:1], s[0:1]
; %bb.88:
	v_add_co_u32_e32 v14, vcc, v1, v30
	v_addc_co_u32_e32 v15, vcc, 0, v16, vcc
; %bb.89:
	s_or_b64 exec, exec, s[0:1]
	v_lshlrev_b64 v[14:15], 2, v[14:15]
	v_mov_b32_e32 v33, s25
	v_add_co_u32_e32 v14, vcc, s24, v14
	v_addc_co_u32_e32 v15, vcc, v33, v15, vcc
	v_cmp_ge_u32_e32 vcc, v29, v18
	global_store_dword v[14:15], v11, off
                                        ; implicit-def: $vgpr14_vgpr15
	s_and_saveexec_b64 s[0:1], vcc
	s_xor_b64 s[0:1], exec, s[0:1]
; %bb.90:
	v_xor_b32_e32 v14, 0xfffffbff, v0
	;; [unrolled: 43-line block ×6, first 2 shown]
	v_ashrrev_i32_e32 v15, 31, v14
	v_add_co_u32_e32 v14, vcc, v19, v14
	v_addc_co_u32_e32 v15, vcc, v21, v15, vcc
; %bb.123:
	s_andn2_saveexec_b64 s[0:1], s[0:1]
; %bb.124:
	v_add_co_u32_e32 v14, vcc, v1, v20
	v_addc_co_u32_e32 v15, vcc, 0, v16, vcc
; %bb.125:
	s_or_b64 exec, exec, s[0:1]
	s_mov_b64 s[0:1], -1
	s_branch .LBB777_206
.LBB777_126:
	s_mov_b64 s[0:1], 0
                                        ; implicit-def: $vgpr14_vgpr15
	s_cbranch_execz .LBB777_206
; %bb.127:
	v_cmp_gt_u32_e32 vcc, s33, v0
	s_and_saveexec_b64 s[2:3], vcc
	s_cbranch_execz .LBB777_163
; %bb.128:
	v_cmp_ge_u32_e32 vcc, v0, v18
                                        ; implicit-def: $vgpr14_vgpr15
	s_and_saveexec_b64 s[4:5], vcc
	s_xor_b64 s[4:5], exec, s[4:5]
; %bb.129:
	v_not_b32_e32 v14, v0
	v_ashrrev_i32_e32 v15, 31, v14
	v_add_co_u32_e32 v14, vcc, v19, v14
	v_addc_co_u32_e32 v15, vcc, v21, v15, vcc
; %bb.130:
	s_andn2_saveexec_b64 s[4:5], s[4:5]
; %bb.131:
	v_add_co_u32_e32 v14, vcc, v1, v0
	v_addc_co_u32_e32 v15, vcc, 0, v16, vcc
; %bb.132:
	s_or_b64 exec, exec, s[4:5]
	v_lshlrev_b64 v[14:15], 2, v[14:15]
	v_mov_b32_e32 v33, s25
	v_add_co_u32_e32 v14, vcc, s24, v14
	v_addc_co_u32_e32 v15, vcc, v33, v15, vcc
	s_waitcnt lgkmcnt(6)
	global_store_dword v[14:15], v12, off
	s_or_b64 exec, exec, s[2:3]
	v_cmp_gt_u32_e32 vcc, s33, v32
	s_and_saveexec_b64 s[2:3], vcc
	s_cbranch_execnz .LBB777_164
.LBB777_133:
	s_or_b64 exec, exec, s[2:3]
	v_cmp_gt_u32_e32 vcc, s33, v31
	s_and_saveexec_b64 s[2:3], vcc
	s_cbranch_execz .LBB777_169
.LBB777_134:
	v_cmp_ge_u32_e32 vcc, v31, v18
                                        ; implicit-def: $vgpr12_vgpr13
	s_and_saveexec_b64 s[4:5], vcc
	s_xor_b64 s[4:5], exec, s[4:5]
	s_cbranch_execz .LBB777_136
; %bb.135:
	s_waitcnt lgkmcnt(6)
	v_xor_b32_e32 v12, 0xfffffdff, v0
	v_ashrrev_i32_e32 v13, 31, v12
	v_add_co_u32_e32 v12, vcc, v19, v12
	v_addc_co_u32_e32 v13, vcc, v21, v13, vcc
                                        ; implicit-def: $vgpr31
.LBB777_136:
	s_andn2_saveexec_b64 s[4:5], s[4:5]
	s_cbranch_execz .LBB777_138
; %bb.137:
	s_waitcnt lgkmcnt(6)
	v_add_co_u32_e32 v12, vcc, v1, v31
	v_addc_co_u32_e32 v13, vcc, 0, v16, vcc
.LBB777_138:
	s_or_b64 exec, exec, s[4:5]
	s_waitcnt lgkmcnt(6)
	v_lshlrev_b64 v[12:13], 2, v[12:13]
	v_mov_b32_e32 v14, s25
	v_add_co_u32_e32 v12, vcc, s24, v12
	v_addc_co_u32_e32 v13, vcc, v14, v13, vcc
	s_waitcnt lgkmcnt(5)
	global_store_dword v[12:13], v10, off
	s_or_b64 exec, exec, s[2:3]
	v_cmp_gt_u32_e32 vcc, s33, v30
	s_and_saveexec_b64 s[2:3], vcc
	s_cbranch_execnz .LBB777_170
.LBB777_139:
	s_or_b64 exec, exec, s[2:3]
	v_cmp_gt_u32_e32 vcc, s33, v29
	s_and_saveexec_b64 s[2:3], vcc
	s_cbranch_execz .LBB777_175
.LBB777_140:
	v_cmp_ge_u32_e32 vcc, v29, v18
                                        ; implicit-def: $vgpr10_vgpr11
	s_and_saveexec_b64 s[4:5], vcc
	s_xor_b64 s[4:5], exec, s[4:5]
	s_cbranch_execz .LBB777_142
; %bb.141:
	s_waitcnt lgkmcnt(5)
	v_xor_b32_e32 v10, 0xfffffbff, v0
	v_ashrrev_i32_e32 v11, 31, v10
	v_add_co_u32_e32 v10, vcc, v19, v10
	v_addc_co_u32_e32 v11, vcc, v21, v11, vcc
                                        ; implicit-def: $vgpr29
.LBB777_142:
	s_andn2_saveexec_b64 s[4:5], s[4:5]
	s_cbranch_execz .LBB777_144
; %bb.143:
	s_waitcnt lgkmcnt(5)
	v_add_co_u32_e32 v10, vcc, v1, v29
	v_addc_co_u32_e32 v11, vcc, 0, v16, vcc
.LBB777_144:
	s_or_b64 exec, exec, s[4:5]
	s_waitcnt lgkmcnt(5)
	v_lshlrev_b64 v[10:11], 2, v[10:11]
	v_mov_b32_e32 v12, s25
	v_add_co_u32_e32 v10, vcc, s24, v10
	v_addc_co_u32_e32 v11, vcc, v12, v11, vcc
	s_waitcnt lgkmcnt(4)
	global_store_dword v[10:11], v8, off
	s_or_b64 exec, exec, s[2:3]
	v_cmp_gt_u32_e32 vcc, s33, v28
	s_and_saveexec_b64 s[2:3], vcc
	s_cbranch_execnz .LBB777_176
.LBB777_145:
	s_or_b64 exec, exec, s[2:3]
	v_cmp_gt_u32_e32 vcc, s33, v27
	s_and_saveexec_b64 s[2:3], vcc
	s_cbranch_execz .LBB777_181
.LBB777_146:
	v_cmp_ge_u32_e32 vcc, v27, v18
                                        ; implicit-def: $vgpr8_vgpr9
	s_and_saveexec_b64 s[4:5], vcc
	s_xor_b64 s[4:5], exec, s[4:5]
	s_cbranch_execz .LBB777_148
; %bb.147:
	s_waitcnt lgkmcnt(4)
	v_xor_b32_e32 v8, 0xfffff9ff, v0
	v_ashrrev_i32_e32 v9, 31, v8
	v_add_co_u32_e32 v8, vcc, v19, v8
	v_addc_co_u32_e32 v9, vcc, v21, v9, vcc
                                        ; implicit-def: $vgpr27
.LBB777_148:
	s_andn2_saveexec_b64 s[4:5], s[4:5]
	s_cbranch_execz .LBB777_150
; %bb.149:
	s_waitcnt lgkmcnt(4)
	v_add_co_u32_e32 v8, vcc, v1, v27
	v_addc_co_u32_e32 v9, vcc, 0, v16, vcc
.LBB777_150:
	s_or_b64 exec, exec, s[4:5]
	s_waitcnt lgkmcnt(4)
	v_lshlrev_b64 v[8:9], 2, v[8:9]
	v_mov_b32_e32 v10, s25
	v_add_co_u32_e32 v8, vcc, s24, v8
	v_addc_co_u32_e32 v9, vcc, v10, v9, vcc
	s_waitcnt lgkmcnt(3)
	global_store_dword v[8:9], v6, off
	s_or_b64 exec, exec, s[2:3]
	v_cmp_gt_u32_e32 vcc, s33, v26
	s_and_saveexec_b64 s[2:3], vcc
	s_cbranch_execnz .LBB777_182
.LBB777_151:
	s_or_b64 exec, exec, s[2:3]
	v_cmp_gt_u32_e32 vcc, s33, v25
	s_and_saveexec_b64 s[2:3], vcc
	s_cbranch_execz .LBB777_187
.LBB777_152:
	v_cmp_ge_u32_e32 vcc, v25, v18
                                        ; implicit-def: $vgpr6_vgpr7
	s_and_saveexec_b64 s[4:5], vcc
	s_xor_b64 s[4:5], exec, s[4:5]
	s_cbranch_execz .LBB777_154
; %bb.153:
	s_waitcnt lgkmcnt(3)
	v_xor_b32_e32 v6, 0xfffff7ff, v0
	v_ashrrev_i32_e32 v7, 31, v6
	v_add_co_u32_e32 v6, vcc, v19, v6
	v_addc_co_u32_e32 v7, vcc, v21, v7, vcc
                                        ; implicit-def: $vgpr25
.LBB777_154:
	s_andn2_saveexec_b64 s[4:5], s[4:5]
	s_cbranch_execz .LBB777_156
; %bb.155:
	s_waitcnt lgkmcnt(3)
	v_add_co_u32_e32 v6, vcc, v1, v25
	v_addc_co_u32_e32 v7, vcc, 0, v16, vcc
.LBB777_156:
	s_or_b64 exec, exec, s[4:5]
	s_waitcnt lgkmcnt(3)
	v_lshlrev_b64 v[6:7], 2, v[6:7]
	v_mov_b32_e32 v8, s25
	v_add_co_u32_e32 v6, vcc, s24, v6
	v_addc_co_u32_e32 v7, vcc, v8, v7, vcc
	s_waitcnt lgkmcnt(2)
	global_store_dword v[6:7], v4, off
	s_or_b64 exec, exec, s[2:3]
	v_cmp_gt_u32_e32 vcc, s33, v24
	s_and_saveexec_b64 s[2:3], vcc
	s_cbranch_execnz .LBB777_188
.LBB777_157:
	s_or_b64 exec, exec, s[2:3]
	v_cmp_gt_u32_e32 vcc, s33, v23
	s_and_saveexec_b64 s[2:3], vcc
	s_cbranch_execz .LBB777_193
.LBB777_158:
	v_cmp_ge_u32_e32 vcc, v23, v18
                                        ; implicit-def: $vgpr4_vgpr5
	s_and_saveexec_b64 s[4:5], vcc
	s_xor_b64 s[4:5], exec, s[4:5]
	s_cbranch_execz .LBB777_160
; %bb.159:
	s_waitcnt lgkmcnt(2)
	v_xor_b32_e32 v4, 0xfffff5ff, v0
	v_ashrrev_i32_e32 v5, 31, v4
	v_add_co_u32_e32 v4, vcc, v19, v4
	v_addc_co_u32_e32 v5, vcc, v21, v5, vcc
                                        ; implicit-def: $vgpr23
.LBB777_160:
	s_andn2_saveexec_b64 s[4:5], s[4:5]
	s_cbranch_execz .LBB777_162
; %bb.161:
	s_waitcnt lgkmcnt(2)
	v_add_co_u32_e32 v4, vcc, v1, v23
	v_addc_co_u32_e32 v5, vcc, 0, v16, vcc
.LBB777_162:
	s_or_b64 exec, exec, s[4:5]
	s_waitcnt lgkmcnt(2)
	v_lshlrev_b64 v[4:5], 2, v[4:5]
	v_mov_b32_e32 v6, s25
	v_add_co_u32_e32 v4, vcc, s24, v4
	v_addc_co_u32_e32 v5, vcc, v6, v5, vcc
	s_waitcnt lgkmcnt(1)
	global_store_dword v[4:5], v2, off
	s_or_b64 exec, exec, s[2:3]
	v_cmp_gt_u32_e32 vcc, s33, v22
	s_and_saveexec_b64 s[2:3], vcc
	s_cbranch_execz .LBB777_199
	s_branch .LBB777_194
.LBB777_163:
	s_or_b64 exec, exec, s[2:3]
	v_cmp_gt_u32_e32 vcc, s33, v32
	s_and_saveexec_b64 s[2:3], vcc
	s_cbranch_execz .LBB777_133
.LBB777_164:
	v_cmp_ge_u32_e32 vcc, v32, v18
                                        ; implicit-def: $vgpr14_vgpr15
	s_and_saveexec_b64 s[4:5], vcc
	s_xor_b64 s[4:5], exec, s[4:5]
	s_cbranch_execz .LBB777_166
; %bb.165:
	s_waitcnt lgkmcnt(6)
	v_xor_b32_e32 v12, 0xfffffeff, v0
	v_ashrrev_i32_e32 v15, 31, v12
	v_add_co_u32_e32 v14, vcc, v19, v12
	v_addc_co_u32_e32 v15, vcc, v21, v15, vcc
                                        ; implicit-def: $vgpr32
.LBB777_166:
	s_andn2_saveexec_b64 s[4:5], s[4:5]
; %bb.167:
	v_add_co_u32_e32 v14, vcc, v1, v32
	v_addc_co_u32_e32 v15, vcc, 0, v16, vcc
; %bb.168:
	s_or_b64 exec, exec, s[4:5]
	v_lshlrev_b64 v[14:15], 2, v[14:15]
	s_waitcnt lgkmcnt(6)
	v_mov_b32_e32 v12, s25
	v_add_co_u32_e32 v14, vcc, s24, v14
	v_addc_co_u32_e32 v15, vcc, v12, v15, vcc
	global_store_dword v[14:15], v13, off
	s_or_b64 exec, exec, s[2:3]
	v_cmp_gt_u32_e32 vcc, s33, v31
	s_and_saveexec_b64 s[2:3], vcc
	s_cbranch_execnz .LBB777_134
.LBB777_169:
	s_or_b64 exec, exec, s[2:3]
	v_cmp_gt_u32_e32 vcc, s33, v30
	s_and_saveexec_b64 s[2:3], vcc
	s_cbranch_execz .LBB777_139
.LBB777_170:
	v_cmp_ge_u32_e32 vcc, v30, v18
                                        ; implicit-def: $vgpr12_vgpr13
	s_and_saveexec_b64 s[4:5], vcc
	s_xor_b64 s[4:5], exec, s[4:5]
	s_cbranch_execz .LBB777_172
; %bb.171:
	s_waitcnt lgkmcnt(5)
	v_xor_b32_e32 v10, 0xfffffcff, v0
	v_ashrrev_i32_e32 v13, 31, v10
	v_add_co_u32_e32 v12, vcc, v19, v10
	v_addc_co_u32_e32 v13, vcc, v21, v13, vcc
                                        ; implicit-def: $vgpr30
.LBB777_172:
	s_andn2_saveexec_b64 s[4:5], s[4:5]
	s_cbranch_execz .LBB777_174
; %bb.173:
	s_waitcnt lgkmcnt(6)
	v_add_co_u32_e32 v12, vcc, v1, v30
	v_addc_co_u32_e32 v13, vcc, 0, v16, vcc
.LBB777_174:
	s_or_b64 exec, exec, s[4:5]
	s_waitcnt lgkmcnt(6)
	v_lshlrev_b64 v[12:13], 2, v[12:13]
	s_waitcnt lgkmcnt(5)
	v_mov_b32_e32 v10, s25
	v_add_co_u32_e32 v12, vcc, s24, v12
	v_addc_co_u32_e32 v13, vcc, v10, v13, vcc
	global_store_dword v[12:13], v11, off
	s_or_b64 exec, exec, s[2:3]
	v_cmp_gt_u32_e32 vcc, s33, v29
	s_and_saveexec_b64 s[2:3], vcc
	s_cbranch_execnz .LBB777_140
.LBB777_175:
	s_or_b64 exec, exec, s[2:3]
	v_cmp_gt_u32_e32 vcc, s33, v28
	s_and_saveexec_b64 s[2:3], vcc
	s_cbranch_execz .LBB777_145
.LBB777_176:
	v_cmp_ge_u32_e32 vcc, v28, v18
                                        ; implicit-def: $vgpr10_vgpr11
	s_and_saveexec_b64 s[4:5], vcc
	s_xor_b64 s[4:5], exec, s[4:5]
	s_cbranch_execz .LBB777_178
; %bb.177:
	s_waitcnt lgkmcnt(4)
	v_xor_b32_e32 v8, 0xfffffaff, v0
	v_ashrrev_i32_e32 v11, 31, v8
	v_add_co_u32_e32 v10, vcc, v19, v8
	v_addc_co_u32_e32 v11, vcc, v21, v11, vcc
                                        ; implicit-def: $vgpr28
.LBB777_178:
	s_andn2_saveexec_b64 s[4:5], s[4:5]
	s_cbranch_execz .LBB777_180
; %bb.179:
	s_waitcnt lgkmcnt(5)
	v_add_co_u32_e32 v10, vcc, v1, v28
	v_addc_co_u32_e32 v11, vcc, 0, v16, vcc
.LBB777_180:
	s_or_b64 exec, exec, s[4:5]
	s_waitcnt lgkmcnt(5)
	v_lshlrev_b64 v[10:11], 2, v[10:11]
	s_waitcnt lgkmcnt(4)
	v_mov_b32_e32 v8, s25
	v_add_co_u32_e32 v10, vcc, s24, v10
	v_addc_co_u32_e32 v11, vcc, v8, v11, vcc
	global_store_dword v[10:11], v9, off
	s_or_b64 exec, exec, s[2:3]
	v_cmp_gt_u32_e32 vcc, s33, v27
	s_and_saveexec_b64 s[2:3], vcc
	s_cbranch_execnz .LBB777_146
.LBB777_181:
	s_or_b64 exec, exec, s[2:3]
	v_cmp_gt_u32_e32 vcc, s33, v26
	s_and_saveexec_b64 s[2:3], vcc
	s_cbranch_execz .LBB777_151
.LBB777_182:
	v_cmp_ge_u32_e32 vcc, v26, v18
                                        ; implicit-def: $vgpr8_vgpr9
	s_and_saveexec_b64 s[4:5], vcc
	s_xor_b64 s[4:5], exec, s[4:5]
	s_cbranch_execz .LBB777_184
; %bb.183:
	s_waitcnt lgkmcnt(3)
	v_xor_b32_e32 v6, 0xfffff8ff, v0
	v_ashrrev_i32_e32 v9, 31, v6
	v_add_co_u32_e32 v8, vcc, v19, v6
	v_addc_co_u32_e32 v9, vcc, v21, v9, vcc
                                        ; implicit-def: $vgpr26
.LBB777_184:
	s_andn2_saveexec_b64 s[4:5], s[4:5]
	s_cbranch_execz .LBB777_186
; %bb.185:
	s_waitcnt lgkmcnt(4)
	v_add_co_u32_e32 v8, vcc, v1, v26
	v_addc_co_u32_e32 v9, vcc, 0, v16, vcc
.LBB777_186:
	s_or_b64 exec, exec, s[4:5]
	s_waitcnt lgkmcnt(4)
	v_lshlrev_b64 v[8:9], 2, v[8:9]
	s_waitcnt lgkmcnt(3)
	v_mov_b32_e32 v6, s25
	v_add_co_u32_e32 v8, vcc, s24, v8
	v_addc_co_u32_e32 v9, vcc, v6, v9, vcc
	global_store_dword v[8:9], v7, off
	s_or_b64 exec, exec, s[2:3]
	v_cmp_gt_u32_e32 vcc, s33, v25
	s_and_saveexec_b64 s[2:3], vcc
	s_cbranch_execnz .LBB777_152
.LBB777_187:
	s_or_b64 exec, exec, s[2:3]
	v_cmp_gt_u32_e32 vcc, s33, v24
	s_and_saveexec_b64 s[2:3], vcc
	s_cbranch_execz .LBB777_157
.LBB777_188:
	v_cmp_ge_u32_e32 vcc, v24, v18
                                        ; implicit-def: $vgpr6_vgpr7
	s_and_saveexec_b64 s[4:5], vcc
	s_xor_b64 s[4:5], exec, s[4:5]
	s_cbranch_execz .LBB777_190
; %bb.189:
	s_waitcnt lgkmcnt(2)
	v_xor_b32_e32 v4, 0xfffff6ff, v0
	v_ashrrev_i32_e32 v7, 31, v4
	v_add_co_u32_e32 v6, vcc, v19, v4
	v_addc_co_u32_e32 v7, vcc, v21, v7, vcc
                                        ; implicit-def: $vgpr24
.LBB777_190:
	s_andn2_saveexec_b64 s[4:5], s[4:5]
	s_cbranch_execz .LBB777_192
; %bb.191:
	s_waitcnt lgkmcnt(3)
	v_add_co_u32_e32 v6, vcc, v1, v24
	v_addc_co_u32_e32 v7, vcc, 0, v16, vcc
.LBB777_192:
	s_or_b64 exec, exec, s[4:5]
	s_waitcnt lgkmcnt(3)
	v_lshlrev_b64 v[6:7], 2, v[6:7]
	s_waitcnt lgkmcnt(2)
	v_mov_b32_e32 v4, s25
	v_add_co_u32_e32 v6, vcc, s24, v6
	v_addc_co_u32_e32 v7, vcc, v4, v7, vcc
	global_store_dword v[6:7], v5, off
	s_or_b64 exec, exec, s[2:3]
	v_cmp_gt_u32_e32 vcc, s33, v23
	s_and_saveexec_b64 s[2:3], vcc
	s_cbranch_execnz .LBB777_158
.LBB777_193:
	s_or_b64 exec, exec, s[2:3]
	v_cmp_gt_u32_e32 vcc, s33, v22
	s_and_saveexec_b64 s[2:3], vcc
	s_cbranch_execz .LBB777_199
.LBB777_194:
	v_cmp_ge_u32_e32 vcc, v22, v18
                                        ; implicit-def: $vgpr4_vgpr5
	s_and_saveexec_b64 s[4:5], vcc
	s_xor_b64 s[4:5], exec, s[4:5]
	s_cbranch_execz .LBB777_196
; %bb.195:
	s_waitcnt lgkmcnt(1)
	v_xor_b32_e32 v2, 0xfffff4ff, v0
	v_ashrrev_i32_e32 v5, 31, v2
	v_add_co_u32_e32 v4, vcc, v19, v2
	v_addc_co_u32_e32 v5, vcc, v21, v5, vcc
                                        ; implicit-def: $vgpr22
.LBB777_196:
	s_andn2_saveexec_b64 s[4:5], s[4:5]
	s_cbranch_execz .LBB777_198
; %bb.197:
	s_waitcnt lgkmcnt(2)
	v_add_co_u32_e32 v4, vcc, v1, v22
	v_addc_co_u32_e32 v5, vcc, 0, v16, vcc
.LBB777_198:
	s_or_b64 exec, exec, s[4:5]
	s_waitcnt lgkmcnt(2)
	v_lshlrev_b64 v[4:5], 2, v[4:5]
	s_waitcnt lgkmcnt(1)
	v_mov_b32_e32 v2, s25
	v_add_co_u32_e32 v4, vcc, s24, v4
	v_addc_co_u32_e32 v5, vcc, v2, v5, vcc
	global_store_dword v[4:5], v3, off
.LBB777_199:
	s_or_b64 exec, exec, s[2:3]
	v_cmp_gt_u32_e32 vcc, s33, v20
                                        ; implicit-def: $vgpr14_vgpr15
	s_and_saveexec_b64 s[2:3], vcc
	s_cbranch_execz .LBB777_205
; %bb.200:
	v_cmp_ge_u32_e32 vcc, v20, v18
                                        ; implicit-def: $vgpr14_vgpr15
	s_and_saveexec_b64 s[4:5], vcc
	s_xor_b64 s[4:5], exec, s[4:5]
	s_cbranch_execz .LBB777_202
; %bb.201:
	s_waitcnt lgkmcnt(1)
	v_xor_b32_e32 v2, 0xfffff3ff, v0
	v_ashrrev_i32_e32 v3, 31, v2
	v_add_co_u32_e32 v14, vcc, v19, v2
	v_addc_co_u32_e32 v15, vcc, v21, v3, vcc
                                        ; implicit-def: $vgpr20
.LBB777_202:
	s_andn2_saveexec_b64 s[4:5], s[4:5]
; %bb.203:
	v_add_co_u32_e32 v14, vcc, v1, v20
	v_addc_co_u32_e32 v15, vcc, 0, v16, vcc
; %bb.204:
	s_or_b64 exec, exec, s[4:5]
	s_or_b64 s[0:1], s[0:1], exec
.LBB777_205:
	s_or_b64 exec, exec, s[2:3]
.LBB777_206:
	s_and_saveexec_b64 s[2:3], s[0:1]
	s_cbranch_execz .LBB777_208
; %bb.207:
	s_waitcnt lgkmcnt(1)
	v_lshlrev_b64 v[2:3], 2, v[14:15]
	v_mov_b32_e32 v4, s25
	v_add_co_u32_e32 v2, vcc, s24, v2
	v_addc_co_u32_e32 v3, vcc, v4, v3, vcc
	s_waitcnt lgkmcnt(0)
	global_store_dword v[2:3], v17, off
.LBB777_208:
	s_or_b64 exec, exec, s[2:3]
	v_cmp_eq_u32_e32 vcc, 0, v0
	s_and_b64 s[0:1], vcc, s[22:23]
	s_and_saveexec_b64 s[2:3], s[0:1]
	s_cbranch_execz .LBB777_210
; %bb.209:
	v_add_co_u32_e32 v0, vcc, v1, v18
	s_waitcnt lgkmcnt(1)
	v_mov_b32_e32 v2, 0
	v_addc_co_u32_e32 v1, vcc, 0, v16, vcc
	global_store_dwordx2 v2, v[0:1], s[20:21]
.LBB777_210:
	s_endpgm
	.section	.rodata,"a",@progbits
	.p2align	6, 0x0
	.amdhsa_kernel _ZN7rocprim17ROCPRIM_400000_NS6detail17trampoline_kernelINS0_13select_configILj256ELj13ELNS0_17block_load_methodE3ELS4_3ELS4_3ELNS0_20block_scan_algorithmE0ELj4294967295EEENS1_25partition_config_selectorILNS1_17partition_subalgoE3EjNS0_10empty_typeEbEEZZNS1_14partition_implILS8_3ELb0ES6_jNS0_17counting_iteratorIjlEEPS9_SE_NS0_5tupleIJPjSE_EEENSF_IJSE_SE_EEES9_SG_JZNS1_25segmented_radix_sort_implINS0_14default_configELb0EPKlPlSM_SN_N2at6native12_GLOBAL__N_18offset_tEEE10hipError_tPvRmT1_PNSt15iterator_traitsISV_E10value_typeET2_T3_PNSW_IS11_E10value_typeET4_jRbjT5_S17_jjP12ihipStream_tbEUljE_EEESS_ST_SU_S11_S15_S17_T6_T7_T9_mT8_S19_bDpT10_ENKUlT_T0_E_clISt17integral_constantIbLb0EES1M_EEDaS1H_S1I_EUlS1H_E_NS1_11comp_targetILNS1_3genE4ELNS1_11target_archE910ELNS1_3gpuE8ELNS1_3repE0EEENS1_30default_config_static_selectorELNS0_4arch9wavefront6targetE1EEEvSV_
		.amdhsa_group_segment_fixed_size 13324
		.amdhsa_private_segment_fixed_size 0
		.amdhsa_kernarg_size 144
		.amdhsa_user_sgpr_count 6
		.amdhsa_user_sgpr_private_segment_buffer 1
		.amdhsa_user_sgpr_dispatch_ptr 0
		.amdhsa_user_sgpr_queue_ptr 0
		.amdhsa_user_sgpr_kernarg_segment_ptr 1
		.amdhsa_user_sgpr_dispatch_id 0
		.amdhsa_user_sgpr_flat_scratch_init 0
		.amdhsa_user_sgpr_kernarg_preload_length 0
		.amdhsa_user_sgpr_kernarg_preload_offset 0
		.amdhsa_user_sgpr_private_segment_size 0
		.amdhsa_uses_dynamic_stack 0
		.amdhsa_system_sgpr_private_segment_wavefront_offset 0
		.amdhsa_system_sgpr_workgroup_id_x 1
		.amdhsa_system_sgpr_workgroup_id_y 0
		.amdhsa_system_sgpr_workgroup_id_z 0
		.amdhsa_system_sgpr_workgroup_info 0
		.amdhsa_system_vgpr_workitem_id 0
		.amdhsa_next_free_vgpr 61
		.amdhsa_next_free_sgpr 46
		.amdhsa_accum_offset 64
		.amdhsa_reserve_vcc 1
		.amdhsa_reserve_flat_scratch 0
		.amdhsa_float_round_mode_32 0
		.amdhsa_float_round_mode_16_64 0
		.amdhsa_float_denorm_mode_32 3
		.amdhsa_float_denorm_mode_16_64 3
		.amdhsa_dx10_clamp 1
		.amdhsa_ieee_mode 1
		.amdhsa_fp16_overflow 0
		.amdhsa_tg_split 0
		.amdhsa_exception_fp_ieee_invalid_op 0
		.amdhsa_exception_fp_denorm_src 0
		.amdhsa_exception_fp_ieee_div_zero 0
		.amdhsa_exception_fp_ieee_overflow 0
		.amdhsa_exception_fp_ieee_underflow 0
		.amdhsa_exception_fp_ieee_inexact 0
		.amdhsa_exception_int_div_zero 0
	.end_amdhsa_kernel
	.section	.text._ZN7rocprim17ROCPRIM_400000_NS6detail17trampoline_kernelINS0_13select_configILj256ELj13ELNS0_17block_load_methodE3ELS4_3ELS4_3ELNS0_20block_scan_algorithmE0ELj4294967295EEENS1_25partition_config_selectorILNS1_17partition_subalgoE3EjNS0_10empty_typeEbEEZZNS1_14partition_implILS8_3ELb0ES6_jNS0_17counting_iteratorIjlEEPS9_SE_NS0_5tupleIJPjSE_EEENSF_IJSE_SE_EEES9_SG_JZNS1_25segmented_radix_sort_implINS0_14default_configELb0EPKlPlSM_SN_N2at6native12_GLOBAL__N_18offset_tEEE10hipError_tPvRmT1_PNSt15iterator_traitsISV_E10value_typeET2_T3_PNSW_IS11_E10value_typeET4_jRbjT5_S17_jjP12ihipStream_tbEUljE_EEESS_ST_SU_S11_S15_S17_T6_T7_T9_mT8_S19_bDpT10_ENKUlT_T0_E_clISt17integral_constantIbLb0EES1M_EEDaS1H_S1I_EUlS1H_E_NS1_11comp_targetILNS1_3genE4ELNS1_11target_archE910ELNS1_3gpuE8ELNS1_3repE0EEENS1_30default_config_static_selectorELNS0_4arch9wavefront6targetE1EEEvSV_,"axG",@progbits,_ZN7rocprim17ROCPRIM_400000_NS6detail17trampoline_kernelINS0_13select_configILj256ELj13ELNS0_17block_load_methodE3ELS4_3ELS4_3ELNS0_20block_scan_algorithmE0ELj4294967295EEENS1_25partition_config_selectorILNS1_17partition_subalgoE3EjNS0_10empty_typeEbEEZZNS1_14partition_implILS8_3ELb0ES6_jNS0_17counting_iteratorIjlEEPS9_SE_NS0_5tupleIJPjSE_EEENSF_IJSE_SE_EEES9_SG_JZNS1_25segmented_radix_sort_implINS0_14default_configELb0EPKlPlSM_SN_N2at6native12_GLOBAL__N_18offset_tEEE10hipError_tPvRmT1_PNSt15iterator_traitsISV_E10value_typeET2_T3_PNSW_IS11_E10value_typeET4_jRbjT5_S17_jjP12ihipStream_tbEUljE_EEESS_ST_SU_S11_S15_S17_T6_T7_T9_mT8_S19_bDpT10_ENKUlT_T0_E_clISt17integral_constantIbLb0EES1M_EEDaS1H_S1I_EUlS1H_E_NS1_11comp_targetILNS1_3genE4ELNS1_11target_archE910ELNS1_3gpuE8ELNS1_3repE0EEENS1_30default_config_static_selectorELNS0_4arch9wavefront6targetE1EEEvSV_,comdat
.Lfunc_end777:
	.size	_ZN7rocprim17ROCPRIM_400000_NS6detail17trampoline_kernelINS0_13select_configILj256ELj13ELNS0_17block_load_methodE3ELS4_3ELS4_3ELNS0_20block_scan_algorithmE0ELj4294967295EEENS1_25partition_config_selectorILNS1_17partition_subalgoE3EjNS0_10empty_typeEbEEZZNS1_14partition_implILS8_3ELb0ES6_jNS0_17counting_iteratorIjlEEPS9_SE_NS0_5tupleIJPjSE_EEENSF_IJSE_SE_EEES9_SG_JZNS1_25segmented_radix_sort_implINS0_14default_configELb0EPKlPlSM_SN_N2at6native12_GLOBAL__N_18offset_tEEE10hipError_tPvRmT1_PNSt15iterator_traitsISV_E10value_typeET2_T3_PNSW_IS11_E10value_typeET4_jRbjT5_S17_jjP12ihipStream_tbEUljE_EEESS_ST_SU_S11_S15_S17_T6_T7_T9_mT8_S19_bDpT10_ENKUlT_T0_E_clISt17integral_constantIbLb0EES1M_EEDaS1H_S1I_EUlS1H_E_NS1_11comp_targetILNS1_3genE4ELNS1_11target_archE910ELNS1_3gpuE8ELNS1_3repE0EEENS1_30default_config_static_selectorELNS0_4arch9wavefront6targetE1EEEvSV_, .Lfunc_end777-_ZN7rocprim17ROCPRIM_400000_NS6detail17trampoline_kernelINS0_13select_configILj256ELj13ELNS0_17block_load_methodE3ELS4_3ELS4_3ELNS0_20block_scan_algorithmE0ELj4294967295EEENS1_25partition_config_selectorILNS1_17partition_subalgoE3EjNS0_10empty_typeEbEEZZNS1_14partition_implILS8_3ELb0ES6_jNS0_17counting_iteratorIjlEEPS9_SE_NS0_5tupleIJPjSE_EEENSF_IJSE_SE_EEES9_SG_JZNS1_25segmented_radix_sort_implINS0_14default_configELb0EPKlPlSM_SN_N2at6native12_GLOBAL__N_18offset_tEEE10hipError_tPvRmT1_PNSt15iterator_traitsISV_E10value_typeET2_T3_PNSW_IS11_E10value_typeET4_jRbjT5_S17_jjP12ihipStream_tbEUljE_EEESS_ST_SU_S11_S15_S17_T6_T7_T9_mT8_S19_bDpT10_ENKUlT_T0_E_clISt17integral_constantIbLb0EES1M_EEDaS1H_S1I_EUlS1H_E_NS1_11comp_targetILNS1_3genE4ELNS1_11target_archE910ELNS1_3gpuE8ELNS1_3repE0EEENS1_30default_config_static_selectorELNS0_4arch9wavefront6targetE1EEEvSV_
                                        ; -- End function
	.section	.AMDGPU.csdata,"",@progbits
; Kernel info:
; codeLenInByte = 7676
; NumSgprs: 50
; NumVgprs: 61
; NumAgprs: 0
; TotalNumVgprs: 61
; ScratchSize: 0
; MemoryBound: 0
; FloatMode: 240
; IeeeMode: 1
; LDSByteSize: 13324 bytes/workgroup (compile time only)
; SGPRBlocks: 6
; VGPRBlocks: 7
; NumSGPRsForWavesPerEU: 50
; NumVGPRsForWavesPerEU: 61
; AccumOffset: 64
; Occupancy: 4
; WaveLimiterHint : 0
; COMPUTE_PGM_RSRC2:SCRATCH_EN: 0
; COMPUTE_PGM_RSRC2:USER_SGPR: 6
; COMPUTE_PGM_RSRC2:TRAP_HANDLER: 0
; COMPUTE_PGM_RSRC2:TGID_X_EN: 1
; COMPUTE_PGM_RSRC2:TGID_Y_EN: 0
; COMPUTE_PGM_RSRC2:TGID_Z_EN: 0
; COMPUTE_PGM_RSRC2:TIDIG_COMP_CNT: 0
; COMPUTE_PGM_RSRC3_GFX90A:ACCUM_OFFSET: 15
; COMPUTE_PGM_RSRC3_GFX90A:TG_SPLIT: 0
	.section	.text._ZN7rocprim17ROCPRIM_400000_NS6detail17trampoline_kernelINS0_13select_configILj256ELj13ELNS0_17block_load_methodE3ELS4_3ELS4_3ELNS0_20block_scan_algorithmE0ELj4294967295EEENS1_25partition_config_selectorILNS1_17partition_subalgoE3EjNS0_10empty_typeEbEEZZNS1_14partition_implILS8_3ELb0ES6_jNS0_17counting_iteratorIjlEEPS9_SE_NS0_5tupleIJPjSE_EEENSF_IJSE_SE_EEES9_SG_JZNS1_25segmented_radix_sort_implINS0_14default_configELb0EPKlPlSM_SN_N2at6native12_GLOBAL__N_18offset_tEEE10hipError_tPvRmT1_PNSt15iterator_traitsISV_E10value_typeET2_T3_PNSW_IS11_E10value_typeET4_jRbjT5_S17_jjP12ihipStream_tbEUljE_EEESS_ST_SU_S11_S15_S17_T6_T7_T9_mT8_S19_bDpT10_ENKUlT_T0_E_clISt17integral_constantIbLb0EES1M_EEDaS1H_S1I_EUlS1H_E_NS1_11comp_targetILNS1_3genE3ELNS1_11target_archE908ELNS1_3gpuE7ELNS1_3repE0EEENS1_30default_config_static_selectorELNS0_4arch9wavefront6targetE1EEEvSV_,"axG",@progbits,_ZN7rocprim17ROCPRIM_400000_NS6detail17trampoline_kernelINS0_13select_configILj256ELj13ELNS0_17block_load_methodE3ELS4_3ELS4_3ELNS0_20block_scan_algorithmE0ELj4294967295EEENS1_25partition_config_selectorILNS1_17partition_subalgoE3EjNS0_10empty_typeEbEEZZNS1_14partition_implILS8_3ELb0ES6_jNS0_17counting_iteratorIjlEEPS9_SE_NS0_5tupleIJPjSE_EEENSF_IJSE_SE_EEES9_SG_JZNS1_25segmented_radix_sort_implINS0_14default_configELb0EPKlPlSM_SN_N2at6native12_GLOBAL__N_18offset_tEEE10hipError_tPvRmT1_PNSt15iterator_traitsISV_E10value_typeET2_T3_PNSW_IS11_E10value_typeET4_jRbjT5_S17_jjP12ihipStream_tbEUljE_EEESS_ST_SU_S11_S15_S17_T6_T7_T9_mT8_S19_bDpT10_ENKUlT_T0_E_clISt17integral_constantIbLb0EES1M_EEDaS1H_S1I_EUlS1H_E_NS1_11comp_targetILNS1_3genE3ELNS1_11target_archE908ELNS1_3gpuE7ELNS1_3repE0EEENS1_30default_config_static_selectorELNS0_4arch9wavefront6targetE1EEEvSV_,comdat
	.globl	_ZN7rocprim17ROCPRIM_400000_NS6detail17trampoline_kernelINS0_13select_configILj256ELj13ELNS0_17block_load_methodE3ELS4_3ELS4_3ELNS0_20block_scan_algorithmE0ELj4294967295EEENS1_25partition_config_selectorILNS1_17partition_subalgoE3EjNS0_10empty_typeEbEEZZNS1_14partition_implILS8_3ELb0ES6_jNS0_17counting_iteratorIjlEEPS9_SE_NS0_5tupleIJPjSE_EEENSF_IJSE_SE_EEES9_SG_JZNS1_25segmented_radix_sort_implINS0_14default_configELb0EPKlPlSM_SN_N2at6native12_GLOBAL__N_18offset_tEEE10hipError_tPvRmT1_PNSt15iterator_traitsISV_E10value_typeET2_T3_PNSW_IS11_E10value_typeET4_jRbjT5_S17_jjP12ihipStream_tbEUljE_EEESS_ST_SU_S11_S15_S17_T6_T7_T9_mT8_S19_bDpT10_ENKUlT_T0_E_clISt17integral_constantIbLb0EES1M_EEDaS1H_S1I_EUlS1H_E_NS1_11comp_targetILNS1_3genE3ELNS1_11target_archE908ELNS1_3gpuE7ELNS1_3repE0EEENS1_30default_config_static_selectorELNS0_4arch9wavefront6targetE1EEEvSV_ ; -- Begin function _ZN7rocprim17ROCPRIM_400000_NS6detail17trampoline_kernelINS0_13select_configILj256ELj13ELNS0_17block_load_methodE3ELS4_3ELS4_3ELNS0_20block_scan_algorithmE0ELj4294967295EEENS1_25partition_config_selectorILNS1_17partition_subalgoE3EjNS0_10empty_typeEbEEZZNS1_14partition_implILS8_3ELb0ES6_jNS0_17counting_iteratorIjlEEPS9_SE_NS0_5tupleIJPjSE_EEENSF_IJSE_SE_EEES9_SG_JZNS1_25segmented_radix_sort_implINS0_14default_configELb0EPKlPlSM_SN_N2at6native12_GLOBAL__N_18offset_tEEE10hipError_tPvRmT1_PNSt15iterator_traitsISV_E10value_typeET2_T3_PNSW_IS11_E10value_typeET4_jRbjT5_S17_jjP12ihipStream_tbEUljE_EEESS_ST_SU_S11_S15_S17_T6_T7_T9_mT8_S19_bDpT10_ENKUlT_T0_E_clISt17integral_constantIbLb0EES1M_EEDaS1H_S1I_EUlS1H_E_NS1_11comp_targetILNS1_3genE3ELNS1_11target_archE908ELNS1_3gpuE7ELNS1_3repE0EEENS1_30default_config_static_selectorELNS0_4arch9wavefront6targetE1EEEvSV_
	.p2align	8
	.type	_ZN7rocprim17ROCPRIM_400000_NS6detail17trampoline_kernelINS0_13select_configILj256ELj13ELNS0_17block_load_methodE3ELS4_3ELS4_3ELNS0_20block_scan_algorithmE0ELj4294967295EEENS1_25partition_config_selectorILNS1_17partition_subalgoE3EjNS0_10empty_typeEbEEZZNS1_14partition_implILS8_3ELb0ES6_jNS0_17counting_iteratorIjlEEPS9_SE_NS0_5tupleIJPjSE_EEENSF_IJSE_SE_EEES9_SG_JZNS1_25segmented_radix_sort_implINS0_14default_configELb0EPKlPlSM_SN_N2at6native12_GLOBAL__N_18offset_tEEE10hipError_tPvRmT1_PNSt15iterator_traitsISV_E10value_typeET2_T3_PNSW_IS11_E10value_typeET4_jRbjT5_S17_jjP12ihipStream_tbEUljE_EEESS_ST_SU_S11_S15_S17_T6_T7_T9_mT8_S19_bDpT10_ENKUlT_T0_E_clISt17integral_constantIbLb0EES1M_EEDaS1H_S1I_EUlS1H_E_NS1_11comp_targetILNS1_3genE3ELNS1_11target_archE908ELNS1_3gpuE7ELNS1_3repE0EEENS1_30default_config_static_selectorELNS0_4arch9wavefront6targetE1EEEvSV_,@function
_ZN7rocprim17ROCPRIM_400000_NS6detail17trampoline_kernelINS0_13select_configILj256ELj13ELNS0_17block_load_methodE3ELS4_3ELS4_3ELNS0_20block_scan_algorithmE0ELj4294967295EEENS1_25partition_config_selectorILNS1_17partition_subalgoE3EjNS0_10empty_typeEbEEZZNS1_14partition_implILS8_3ELb0ES6_jNS0_17counting_iteratorIjlEEPS9_SE_NS0_5tupleIJPjSE_EEENSF_IJSE_SE_EEES9_SG_JZNS1_25segmented_radix_sort_implINS0_14default_configELb0EPKlPlSM_SN_N2at6native12_GLOBAL__N_18offset_tEEE10hipError_tPvRmT1_PNSt15iterator_traitsISV_E10value_typeET2_T3_PNSW_IS11_E10value_typeET4_jRbjT5_S17_jjP12ihipStream_tbEUljE_EEESS_ST_SU_S11_S15_S17_T6_T7_T9_mT8_S19_bDpT10_ENKUlT_T0_E_clISt17integral_constantIbLb0EES1M_EEDaS1H_S1I_EUlS1H_E_NS1_11comp_targetILNS1_3genE3ELNS1_11target_archE908ELNS1_3gpuE7ELNS1_3repE0EEENS1_30default_config_static_selectorELNS0_4arch9wavefront6targetE1EEEvSV_: ; @_ZN7rocprim17ROCPRIM_400000_NS6detail17trampoline_kernelINS0_13select_configILj256ELj13ELNS0_17block_load_methodE3ELS4_3ELS4_3ELNS0_20block_scan_algorithmE0ELj4294967295EEENS1_25partition_config_selectorILNS1_17partition_subalgoE3EjNS0_10empty_typeEbEEZZNS1_14partition_implILS8_3ELb0ES6_jNS0_17counting_iteratorIjlEEPS9_SE_NS0_5tupleIJPjSE_EEENSF_IJSE_SE_EEES9_SG_JZNS1_25segmented_radix_sort_implINS0_14default_configELb0EPKlPlSM_SN_N2at6native12_GLOBAL__N_18offset_tEEE10hipError_tPvRmT1_PNSt15iterator_traitsISV_E10value_typeET2_T3_PNSW_IS11_E10value_typeET4_jRbjT5_S17_jjP12ihipStream_tbEUljE_EEESS_ST_SU_S11_S15_S17_T6_T7_T9_mT8_S19_bDpT10_ENKUlT_T0_E_clISt17integral_constantIbLb0EES1M_EEDaS1H_S1I_EUlS1H_E_NS1_11comp_targetILNS1_3genE3ELNS1_11target_archE908ELNS1_3gpuE7ELNS1_3repE0EEENS1_30default_config_static_selectorELNS0_4arch9wavefront6targetE1EEEvSV_
; %bb.0:
	.section	.rodata,"a",@progbits
	.p2align	6, 0x0
	.amdhsa_kernel _ZN7rocprim17ROCPRIM_400000_NS6detail17trampoline_kernelINS0_13select_configILj256ELj13ELNS0_17block_load_methodE3ELS4_3ELS4_3ELNS0_20block_scan_algorithmE0ELj4294967295EEENS1_25partition_config_selectorILNS1_17partition_subalgoE3EjNS0_10empty_typeEbEEZZNS1_14partition_implILS8_3ELb0ES6_jNS0_17counting_iteratorIjlEEPS9_SE_NS0_5tupleIJPjSE_EEENSF_IJSE_SE_EEES9_SG_JZNS1_25segmented_radix_sort_implINS0_14default_configELb0EPKlPlSM_SN_N2at6native12_GLOBAL__N_18offset_tEEE10hipError_tPvRmT1_PNSt15iterator_traitsISV_E10value_typeET2_T3_PNSW_IS11_E10value_typeET4_jRbjT5_S17_jjP12ihipStream_tbEUljE_EEESS_ST_SU_S11_S15_S17_T6_T7_T9_mT8_S19_bDpT10_ENKUlT_T0_E_clISt17integral_constantIbLb0EES1M_EEDaS1H_S1I_EUlS1H_E_NS1_11comp_targetILNS1_3genE3ELNS1_11target_archE908ELNS1_3gpuE7ELNS1_3repE0EEENS1_30default_config_static_selectorELNS0_4arch9wavefront6targetE1EEEvSV_
		.amdhsa_group_segment_fixed_size 0
		.amdhsa_private_segment_fixed_size 0
		.amdhsa_kernarg_size 144
		.amdhsa_user_sgpr_count 6
		.amdhsa_user_sgpr_private_segment_buffer 1
		.amdhsa_user_sgpr_dispatch_ptr 0
		.amdhsa_user_sgpr_queue_ptr 0
		.amdhsa_user_sgpr_kernarg_segment_ptr 1
		.amdhsa_user_sgpr_dispatch_id 0
		.amdhsa_user_sgpr_flat_scratch_init 0
		.amdhsa_user_sgpr_kernarg_preload_length 0
		.amdhsa_user_sgpr_kernarg_preload_offset 0
		.amdhsa_user_sgpr_private_segment_size 0
		.amdhsa_uses_dynamic_stack 0
		.amdhsa_system_sgpr_private_segment_wavefront_offset 0
		.amdhsa_system_sgpr_workgroup_id_x 1
		.amdhsa_system_sgpr_workgroup_id_y 0
		.amdhsa_system_sgpr_workgroup_id_z 0
		.amdhsa_system_sgpr_workgroup_info 0
		.amdhsa_system_vgpr_workitem_id 0
		.amdhsa_next_free_vgpr 1
		.amdhsa_next_free_sgpr 0
		.amdhsa_accum_offset 4
		.amdhsa_reserve_vcc 0
		.amdhsa_reserve_flat_scratch 0
		.amdhsa_float_round_mode_32 0
		.amdhsa_float_round_mode_16_64 0
		.amdhsa_float_denorm_mode_32 3
		.amdhsa_float_denorm_mode_16_64 3
		.amdhsa_dx10_clamp 1
		.amdhsa_ieee_mode 1
		.amdhsa_fp16_overflow 0
		.amdhsa_tg_split 0
		.amdhsa_exception_fp_ieee_invalid_op 0
		.amdhsa_exception_fp_denorm_src 0
		.amdhsa_exception_fp_ieee_div_zero 0
		.amdhsa_exception_fp_ieee_overflow 0
		.amdhsa_exception_fp_ieee_underflow 0
		.amdhsa_exception_fp_ieee_inexact 0
		.amdhsa_exception_int_div_zero 0
	.end_amdhsa_kernel
	.section	.text._ZN7rocprim17ROCPRIM_400000_NS6detail17trampoline_kernelINS0_13select_configILj256ELj13ELNS0_17block_load_methodE3ELS4_3ELS4_3ELNS0_20block_scan_algorithmE0ELj4294967295EEENS1_25partition_config_selectorILNS1_17partition_subalgoE3EjNS0_10empty_typeEbEEZZNS1_14partition_implILS8_3ELb0ES6_jNS0_17counting_iteratorIjlEEPS9_SE_NS0_5tupleIJPjSE_EEENSF_IJSE_SE_EEES9_SG_JZNS1_25segmented_radix_sort_implINS0_14default_configELb0EPKlPlSM_SN_N2at6native12_GLOBAL__N_18offset_tEEE10hipError_tPvRmT1_PNSt15iterator_traitsISV_E10value_typeET2_T3_PNSW_IS11_E10value_typeET4_jRbjT5_S17_jjP12ihipStream_tbEUljE_EEESS_ST_SU_S11_S15_S17_T6_T7_T9_mT8_S19_bDpT10_ENKUlT_T0_E_clISt17integral_constantIbLb0EES1M_EEDaS1H_S1I_EUlS1H_E_NS1_11comp_targetILNS1_3genE3ELNS1_11target_archE908ELNS1_3gpuE7ELNS1_3repE0EEENS1_30default_config_static_selectorELNS0_4arch9wavefront6targetE1EEEvSV_,"axG",@progbits,_ZN7rocprim17ROCPRIM_400000_NS6detail17trampoline_kernelINS0_13select_configILj256ELj13ELNS0_17block_load_methodE3ELS4_3ELS4_3ELNS0_20block_scan_algorithmE0ELj4294967295EEENS1_25partition_config_selectorILNS1_17partition_subalgoE3EjNS0_10empty_typeEbEEZZNS1_14partition_implILS8_3ELb0ES6_jNS0_17counting_iteratorIjlEEPS9_SE_NS0_5tupleIJPjSE_EEENSF_IJSE_SE_EEES9_SG_JZNS1_25segmented_radix_sort_implINS0_14default_configELb0EPKlPlSM_SN_N2at6native12_GLOBAL__N_18offset_tEEE10hipError_tPvRmT1_PNSt15iterator_traitsISV_E10value_typeET2_T3_PNSW_IS11_E10value_typeET4_jRbjT5_S17_jjP12ihipStream_tbEUljE_EEESS_ST_SU_S11_S15_S17_T6_T7_T9_mT8_S19_bDpT10_ENKUlT_T0_E_clISt17integral_constantIbLb0EES1M_EEDaS1H_S1I_EUlS1H_E_NS1_11comp_targetILNS1_3genE3ELNS1_11target_archE908ELNS1_3gpuE7ELNS1_3repE0EEENS1_30default_config_static_selectorELNS0_4arch9wavefront6targetE1EEEvSV_,comdat
.Lfunc_end778:
	.size	_ZN7rocprim17ROCPRIM_400000_NS6detail17trampoline_kernelINS0_13select_configILj256ELj13ELNS0_17block_load_methodE3ELS4_3ELS4_3ELNS0_20block_scan_algorithmE0ELj4294967295EEENS1_25partition_config_selectorILNS1_17partition_subalgoE3EjNS0_10empty_typeEbEEZZNS1_14partition_implILS8_3ELb0ES6_jNS0_17counting_iteratorIjlEEPS9_SE_NS0_5tupleIJPjSE_EEENSF_IJSE_SE_EEES9_SG_JZNS1_25segmented_radix_sort_implINS0_14default_configELb0EPKlPlSM_SN_N2at6native12_GLOBAL__N_18offset_tEEE10hipError_tPvRmT1_PNSt15iterator_traitsISV_E10value_typeET2_T3_PNSW_IS11_E10value_typeET4_jRbjT5_S17_jjP12ihipStream_tbEUljE_EEESS_ST_SU_S11_S15_S17_T6_T7_T9_mT8_S19_bDpT10_ENKUlT_T0_E_clISt17integral_constantIbLb0EES1M_EEDaS1H_S1I_EUlS1H_E_NS1_11comp_targetILNS1_3genE3ELNS1_11target_archE908ELNS1_3gpuE7ELNS1_3repE0EEENS1_30default_config_static_selectorELNS0_4arch9wavefront6targetE1EEEvSV_, .Lfunc_end778-_ZN7rocprim17ROCPRIM_400000_NS6detail17trampoline_kernelINS0_13select_configILj256ELj13ELNS0_17block_load_methodE3ELS4_3ELS4_3ELNS0_20block_scan_algorithmE0ELj4294967295EEENS1_25partition_config_selectorILNS1_17partition_subalgoE3EjNS0_10empty_typeEbEEZZNS1_14partition_implILS8_3ELb0ES6_jNS0_17counting_iteratorIjlEEPS9_SE_NS0_5tupleIJPjSE_EEENSF_IJSE_SE_EEES9_SG_JZNS1_25segmented_radix_sort_implINS0_14default_configELb0EPKlPlSM_SN_N2at6native12_GLOBAL__N_18offset_tEEE10hipError_tPvRmT1_PNSt15iterator_traitsISV_E10value_typeET2_T3_PNSW_IS11_E10value_typeET4_jRbjT5_S17_jjP12ihipStream_tbEUljE_EEESS_ST_SU_S11_S15_S17_T6_T7_T9_mT8_S19_bDpT10_ENKUlT_T0_E_clISt17integral_constantIbLb0EES1M_EEDaS1H_S1I_EUlS1H_E_NS1_11comp_targetILNS1_3genE3ELNS1_11target_archE908ELNS1_3gpuE7ELNS1_3repE0EEENS1_30default_config_static_selectorELNS0_4arch9wavefront6targetE1EEEvSV_
                                        ; -- End function
	.section	.AMDGPU.csdata,"",@progbits
; Kernel info:
; codeLenInByte = 0
; NumSgprs: 4
; NumVgprs: 0
; NumAgprs: 0
; TotalNumVgprs: 0
; ScratchSize: 0
; MemoryBound: 0
; FloatMode: 240
; IeeeMode: 1
; LDSByteSize: 0 bytes/workgroup (compile time only)
; SGPRBlocks: 0
; VGPRBlocks: 0
; NumSGPRsForWavesPerEU: 4
; NumVGPRsForWavesPerEU: 1
; AccumOffset: 4
; Occupancy: 8
; WaveLimiterHint : 0
; COMPUTE_PGM_RSRC2:SCRATCH_EN: 0
; COMPUTE_PGM_RSRC2:USER_SGPR: 6
; COMPUTE_PGM_RSRC2:TRAP_HANDLER: 0
; COMPUTE_PGM_RSRC2:TGID_X_EN: 1
; COMPUTE_PGM_RSRC2:TGID_Y_EN: 0
; COMPUTE_PGM_RSRC2:TGID_Z_EN: 0
; COMPUTE_PGM_RSRC2:TIDIG_COMP_CNT: 0
; COMPUTE_PGM_RSRC3_GFX90A:ACCUM_OFFSET: 0
; COMPUTE_PGM_RSRC3_GFX90A:TG_SPLIT: 0
	.section	.text._ZN7rocprim17ROCPRIM_400000_NS6detail17trampoline_kernelINS0_13select_configILj256ELj13ELNS0_17block_load_methodE3ELS4_3ELS4_3ELNS0_20block_scan_algorithmE0ELj4294967295EEENS1_25partition_config_selectorILNS1_17partition_subalgoE3EjNS0_10empty_typeEbEEZZNS1_14partition_implILS8_3ELb0ES6_jNS0_17counting_iteratorIjlEEPS9_SE_NS0_5tupleIJPjSE_EEENSF_IJSE_SE_EEES9_SG_JZNS1_25segmented_radix_sort_implINS0_14default_configELb0EPKlPlSM_SN_N2at6native12_GLOBAL__N_18offset_tEEE10hipError_tPvRmT1_PNSt15iterator_traitsISV_E10value_typeET2_T3_PNSW_IS11_E10value_typeET4_jRbjT5_S17_jjP12ihipStream_tbEUljE_EEESS_ST_SU_S11_S15_S17_T6_T7_T9_mT8_S19_bDpT10_ENKUlT_T0_E_clISt17integral_constantIbLb0EES1M_EEDaS1H_S1I_EUlS1H_E_NS1_11comp_targetILNS1_3genE2ELNS1_11target_archE906ELNS1_3gpuE6ELNS1_3repE0EEENS1_30default_config_static_selectorELNS0_4arch9wavefront6targetE1EEEvSV_,"axG",@progbits,_ZN7rocprim17ROCPRIM_400000_NS6detail17trampoline_kernelINS0_13select_configILj256ELj13ELNS0_17block_load_methodE3ELS4_3ELS4_3ELNS0_20block_scan_algorithmE0ELj4294967295EEENS1_25partition_config_selectorILNS1_17partition_subalgoE3EjNS0_10empty_typeEbEEZZNS1_14partition_implILS8_3ELb0ES6_jNS0_17counting_iteratorIjlEEPS9_SE_NS0_5tupleIJPjSE_EEENSF_IJSE_SE_EEES9_SG_JZNS1_25segmented_radix_sort_implINS0_14default_configELb0EPKlPlSM_SN_N2at6native12_GLOBAL__N_18offset_tEEE10hipError_tPvRmT1_PNSt15iterator_traitsISV_E10value_typeET2_T3_PNSW_IS11_E10value_typeET4_jRbjT5_S17_jjP12ihipStream_tbEUljE_EEESS_ST_SU_S11_S15_S17_T6_T7_T9_mT8_S19_bDpT10_ENKUlT_T0_E_clISt17integral_constantIbLb0EES1M_EEDaS1H_S1I_EUlS1H_E_NS1_11comp_targetILNS1_3genE2ELNS1_11target_archE906ELNS1_3gpuE6ELNS1_3repE0EEENS1_30default_config_static_selectorELNS0_4arch9wavefront6targetE1EEEvSV_,comdat
	.globl	_ZN7rocprim17ROCPRIM_400000_NS6detail17trampoline_kernelINS0_13select_configILj256ELj13ELNS0_17block_load_methodE3ELS4_3ELS4_3ELNS0_20block_scan_algorithmE0ELj4294967295EEENS1_25partition_config_selectorILNS1_17partition_subalgoE3EjNS0_10empty_typeEbEEZZNS1_14partition_implILS8_3ELb0ES6_jNS0_17counting_iteratorIjlEEPS9_SE_NS0_5tupleIJPjSE_EEENSF_IJSE_SE_EEES9_SG_JZNS1_25segmented_radix_sort_implINS0_14default_configELb0EPKlPlSM_SN_N2at6native12_GLOBAL__N_18offset_tEEE10hipError_tPvRmT1_PNSt15iterator_traitsISV_E10value_typeET2_T3_PNSW_IS11_E10value_typeET4_jRbjT5_S17_jjP12ihipStream_tbEUljE_EEESS_ST_SU_S11_S15_S17_T6_T7_T9_mT8_S19_bDpT10_ENKUlT_T0_E_clISt17integral_constantIbLb0EES1M_EEDaS1H_S1I_EUlS1H_E_NS1_11comp_targetILNS1_3genE2ELNS1_11target_archE906ELNS1_3gpuE6ELNS1_3repE0EEENS1_30default_config_static_selectorELNS0_4arch9wavefront6targetE1EEEvSV_ ; -- Begin function _ZN7rocprim17ROCPRIM_400000_NS6detail17trampoline_kernelINS0_13select_configILj256ELj13ELNS0_17block_load_methodE3ELS4_3ELS4_3ELNS0_20block_scan_algorithmE0ELj4294967295EEENS1_25partition_config_selectorILNS1_17partition_subalgoE3EjNS0_10empty_typeEbEEZZNS1_14partition_implILS8_3ELb0ES6_jNS0_17counting_iteratorIjlEEPS9_SE_NS0_5tupleIJPjSE_EEENSF_IJSE_SE_EEES9_SG_JZNS1_25segmented_radix_sort_implINS0_14default_configELb0EPKlPlSM_SN_N2at6native12_GLOBAL__N_18offset_tEEE10hipError_tPvRmT1_PNSt15iterator_traitsISV_E10value_typeET2_T3_PNSW_IS11_E10value_typeET4_jRbjT5_S17_jjP12ihipStream_tbEUljE_EEESS_ST_SU_S11_S15_S17_T6_T7_T9_mT8_S19_bDpT10_ENKUlT_T0_E_clISt17integral_constantIbLb0EES1M_EEDaS1H_S1I_EUlS1H_E_NS1_11comp_targetILNS1_3genE2ELNS1_11target_archE906ELNS1_3gpuE6ELNS1_3repE0EEENS1_30default_config_static_selectorELNS0_4arch9wavefront6targetE1EEEvSV_
	.p2align	8
	.type	_ZN7rocprim17ROCPRIM_400000_NS6detail17trampoline_kernelINS0_13select_configILj256ELj13ELNS0_17block_load_methodE3ELS4_3ELS4_3ELNS0_20block_scan_algorithmE0ELj4294967295EEENS1_25partition_config_selectorILNS1_17partition_subalgoE3EjNS0_10empty_typeEbEEZZNS1_14partition_implILS8_3ELb0ES6_jNS0_17counting_iteratorIjlEEPS9_SE_NS0_5tupleIJPjSE_EEENSF_IJSE_SE_EEES9_SG_JZNS1_25segmented_radix_sort_implINS0_14default_configELb0EPKlPlSM_SN_N2at6native12_GLOBAL__N_18offset_tEEE10hipError_tPvRmT1_PNSt15iterator_traitsISV_E10value_typeET2_T3_PNSW_IS11_E10value_typeET4_jRbjT5_S17_jjP12ihipStream_tbEUljE_EEESS_ST_SU_S11_S15_S17_T6_T7_T9_mT8_S19_bDpT10_ENKUlT_T0_E_clISt17integral_constantIbLb0EES1M_EEDaS1H_S1I_EUlS1H_E_NS1_11comp_targetILNS1_3genE2ELNS1_11target_archE906ELNS1_3gpuE6ELNS1_3repE0EEENS1_30default_config_static_selectorELNS0_4arch9wavefront6targetE1EEEvSV_,@function
_ZN7rocprim17ROCPRIM_400000_NS6detail17trampoline_kernelINS0_13select_configILj256ELj13ELNS0_17block_load_methodE3ELS4_3ELS4_3ELNS0_20block_scan_algorithmE0ELj4294967295EEENS1_25partition_config_selectorILNS1_17partition_subalgoE3EjNS0_10empty_typeEbEEZZNS1_14partition_implILS8_3ELb0ES6_jNS0_17counting_iteratorIjlEEPS9_SE_NS0_5tupleIJPjSE_EEENSF_IJSE_SE_EEES9_SG_JZNS1_25segmented_radix_sort_implINS0_14default_configELb0EPKlPlSM_SN_N2at6native12_GLOBAL__N_18offset_tEEE10hipError_tPvRmT1_PNSt15iterator_traitsISV_E10value_typeET2_T3_PNSW_IS11_E10value_typeET4_jRbjT5_S17_jjP12ihipStream_tbEUljE_EEESS_ST_SU_S11_S15_S17_T6_T7_T9_mT8_S19_bDpT10_ENKUlT_T0_E_clISt17integral_constantIbLb0EES1M_EEDaS1H_S1I_EUlS1H_E_NS1_11comp_targetILNS1_3genE2ELNS1_11target_archE906ELNS1_3gpuE6ELNS1_3repE0EEENS1_30default_config_static_selectorELNS0_4arch9wavefront6targetE1EEEvSV_: ; @_ZN7rocprim17ROCPRIM_400000_NS6detail17trampoline_kernelINS0_13select_configILj256ELj13ELNS0_17block_load_methodE3ELS4_3ELS4_3ELNS0_20block_scan_algorithmE0ELj4294967295EEENS1_25partition_config_selectorILNS1_17partition_subalgoE3EjNS0_10empty_typeEbEEZZNS1_14partition_implILS8_3ELb0ES6_jNS0_17counting_iteratorIjlEEPS9_SE_NS0_5tupleIJPjSE_EEENSF_IJSE_SE_EEES9_SG_JZNS1_25segmented_radix_sort_implINS0_14default_configELb0EPKlPlSM_SN_N2at6native12_GLOBAL__N_18offset_tEEE10hipError_tPvRmT1_PNSt15iterator_traitsISV_E10value_typeET2_T3_PNSW_IS11_E10value_typeET4_jRbjT5_S17_jjP12ihipStream_tbEUljE_EEESS_ST_SU_S11_S15_S17_T6_T7_T9_mT8_S19_bDpT10_ENKUlT_T0_E_clISt17integral_constantIbLb0EES1M_EEDaS1H_S1I_EUlS1H_E_NS1_11comp_targetILNS1_3genE2ELNS1_11target_archE906ELNS1_3gpuE6ELNS1_3repE0EEENS1_30default_config_static_selectorELNS0_4arch9wavefront6targetE1EEEvSV_
; %bb.0:
	.section	.rodata,"a",@progbits
	.p2align	6, 0x0
	.amdhsa_kernel _ZN7rocprim17ROCPRIM_400000_NS6detail17trampoline_kernelINS0_13select_configILj256ELj13ELNS0_17block_load_methodE3ELS4_3ELS4_3ELNS0_20block_scan_algorithmE0ELj4294967295EEENS1_25partition_config_selectorILNS1_17partition_subalgoE3EjNS0_10empty_typeEbEEZZNS1_14partition_implILS8_3ELb0ES6_jNS0_17counting_iteratorIjlEEPS9_SE_NS0_5tupleIJPjSE_EEENSF_IJSE_SE_EEES9_SG_JZNS1_25segmented_radix_sort_implINS0_14default_configELb0EPKlPlSM_SN_N2at6native12_GLOBAL__N_18offset_tEEE10hipError_tPvRmT1_PNSt15iterator_traitsISV_E10value_typeET2_T3_PNSW_IS11_E10value_typeET4_jRbjT5_S17_jjP12ihipStream_tbEUljE_EEESS_ST_SU_S11_S15_S17_T6_T7_T9_mT8_S19_bDpT10_ENKUlT_T0_E_clISt17integral_constantIbLb0EES1M_EEDaS1H_S1I_EUlS1H_E_NS1_11comp_targetILNS1_3genE2ELNS1_11target_archE906ELNS1_3gpuE6ELNS1_3repE0EEENS1_30default_config_static_selectorELNS0_4arch9wavefront6targetE1EEEvSV_
		.amdhsa_group_segment_fixed_size 0
		.amdhsa_private_segment_fixed_size 0
		.amdhsa_kernarg_size 144
		.amdhsa_user_sgpr_count 6
		.amdhsa_user_sgpr_private_segment_buffer 1
		.amdhsa_user_sgpr_dispatch_ptr 0
		.amdhsa_user_sgpr_queue_ptr 0
		.amdhsa_user_sgpr_kernarg_segment_ptr 1
		.amdhsa_user_sgpr_dispatch_id 0
		.amdhsa_user_sgpr_flat_scratch_init 0
		.amdhsa_user_sgpr_kernarg_preload_length 0
		.amdhsa_user_sgpr_kernarg_preload_offset 0
		.amdhsa_user_sgpr_private_segment_size 0
		.amdhsa_uses_dynamic_stack 0
		.amdhsa_system_sgpr_private_segment_wavefront_offset 0
		.amdhsa_system_sgpr_workgroup_id_x 1
		.amdhsa_system_sgpr_workgroup_id_y 0
		.amdhsa_system_sgpr_workgroup_id_z 0
		.amdhsa_system_sgpr_workgroup_info 0
		.amdhsa_system_vgpr_workitem_id 0
		.amdhsa_next_free_vgpr 1
		.amdhsa_next_free_sgpr 0
		.amdhsa_accum_offset 4
		.amdhsa_reserve_vcc 0
		.amdhsa_reserve_flat_scratch 0
		.amdhsa_float_round_mode_32 0
		.amdhsa_float_round_mode_16_64 0
		.amdhsa_float_denorm_mode_32 3
		.amdhsa_float_denorm_mode_16_64 3
		.amdhsa_dx10_clamp 1
		.amdhsa_ieee_mode 1
		.amdhsa_fp16_overflow 0
		.amdhsa_tg_split 0
		.amdhsa_exception_fp_ieee_invalid_op 0
		.amdhsa_exception_fp_denorm_src 0
		.amdhsa_exception_fp_ieee_div_zero 0
		.amdhsa_exception_fp_ieee_overflow 0
		.amdhsa_exception_fp_ieee_underflow 0
		.amdhsa_exception_fp_ieee_inexact 0
		.amdhsa_exception_int_div_zero 0
	.end_amdhsa_kernel
	.section	.text._ZN7rocprim17ROCPRIM_400000_NS6detail17trampoline_kernelINS0_13select_configILj256ELj13ELNS0_17block_load_methodE3ELS4_3ELS4_3ELNS0_20block_scan_algorithmE0ELj4294967295EEENS1_25partition_config_selectorILNS1_17partition_subalgoE3EjNS0_10empty_typeEbEEZZNS1_14partition_implILS8_3ELb0ES6_jNS0_17counting_iteratorIjlEEPS9_SE_NS0_5tupleIJPjSE_EEENSF_IJSE_SE_EEES9_SG_JZNS1_25segmented_radix_sort_implINS0_14default_configELb0EPKlPlSM_SN_N2at6native12_GLOBAL__N_18offset_tEEE10hipError_tPvRmT1_PNSt15iterator_traitsISV_E10value_typeET2_T3_PNSW_IS11_E10value_typeET4_jRbjT5_S17_jjP12ihipStream_tbEUljE_EEESS_ST_SU_S11_S15_S17_T6_T7_T9_mT8_S19_bDpT10_ENKUlT_T0_E_clISt17integral_constantIbLb0EES1M_EEDaS1H_S1I_EUlS1H_E_NS1_11comp_targetILNS1_3genE2ELNS1_11target_archE906ELNS1_3gpuE6ELNS1_3repE0EEENS1_30default_config_static_selectorELNS0_4arch9wavefront6targetE1EEEvSV_,"axG",@progbits,_ZN7rocprim17ROCPRIM_400000_NS6detail17trampoline_kernelINS0_13select_configILj256ELj13ELNS0_17block_load_methodE3ELS4_3ELS4_3ELNS0_20block_scan_algorithmE0ELj4294967295EEENS1_25partition_config_selectorILNS1_17partition_subalgoE3EjNS0_10empty_typeEbEEZZNS1_14partition_implILS8_3ELb0ES6_jNS0_17counting_iteratorIjlEEPS9_SE_NS0_5tupleIJPjSE_EEENSF_IJSE_SE_EEES9_SG_JZNS1_25segmented_radix_sort_implINS0_14default_configELb0EPKlPlSM_SN_N2at6native12_GLOBAL__N_18offset_tEEE10hipError_tPvRmT1_PNSt15iterator_traitsISV_E10value_typeET2_T3_PNSW_IS11_E10value_typeET4_jRbjT5_S17_jjP12ihipStream_tbEUljE_EEESS_ST_SU_S11_S15_S17_T6_T7_T9_mT8_S19_bDpT10_ENKUlT_T0_E_clISt17integral_constantIbLb0EES1M_EEDaS1H_S1I_EUlS1H_E_NS1_11comp_targetILNS1_3genE2ELNS1_11target_archE906ELNS1_3gpuE6ELNS1_3repE0EEENS1_30default_config_static_selectorELNS0_4arch9wavefront6targetE1EEEvSV_,comdat
.Lfunc_end779:
	.size	_ZN7rocprim17ROCPRIM_400000_NS6detail17trampoline_kernelINS0_13select_configILj256ELj13ELNS0_17block_load_methodE3ELS4_3ELS4_3ELNS0_20block_scan_algorithmE0ELj4294967295EEENS1_25partition_config_selectorILNS1_17partition_subalgoE3EjNS0_10empty_typeEbEEZZNS1_14partition_implILS8_3ELb0ES6_jNS0_17counting_iteratorIjlEEPS9_SE_NS0_5tupleIJPjSE_EEENSF_IJSE_SE_EEES9_SG_JZNS1_25segmented_radix_sort_implINS0_14default_configELb0EPKlPlSM_SN_N2at6native12_GLOBAL__N_18offset_tEEE10hipError_tPvRmT1_PNSt15iterator_traitsISV_E10value_typeET2_T3_PNSW_IS11_E10value_typeET4_jRbjT5_S17_jjP12ihipStream_tbEUljE_EEESS_ST_SU_S11_S15_S17_T6_T7_T9_mT8_S19_bDpT10_ENKUlT_T0_E_clISt17integral_constantIbLb0EES1M_EEDaS1H_S1I_EUlS1H_E_NS1_11comp_targetILNS1_3genE2ELNS1_11target_archE906ELNS1_3gpuE6ELNS1_3repE0EEENS1_30default_config_static_selectorELNS0_4arch9wavefront6targetE1EEEvSV_, .Lfunc_end779-_ZN7rocprim17ROCPRIM_400000_NS6detail17trampoline_kernelINS0_13select_configILj256ELj13ELNS0_17block_load_methodE3ELS4_3ELS4_3ELNS0_20block_scan_algorithmE0ELj4294967295EEENS1_25partition_config_selectorILNS1_17partition_subalgoE3EjNS0_10empty_typeEbEEZZNS1_14partition_implILS8_3ELb0ES6_jNS0_17counting_iteratorIjlEEPS9_SE_NS0_5tupleIJPjSE_EEENSF_IJSE_SE_EEES9_SG_JZNS1_25segmented_radix_sort_implINS0_14default_configELb0EPKlPlSM_SN_N2at6native12_GLOBAL__N_18offset_tEEE10hipError_tPvRmT1_PNSt15iterator_traitsISV_E10value_typeET2_T3_PNSW_IS11_E10value_typeET4_jRbjT5_S17_jjP12ihipStream_tbEUljE_EEESS_ST_SU_S11_S15_S17_T6_T7_T9_mT8_S19_bDpT10_ENKUlT_T0_E_clISt17integral_constantIbLb0EES1M_EEDaS1H_S1I_EUlS1H_E_NS1_11comp_targetILNS1_3genE2ELNS1_11target_archE906ELNS1_3gpuE6ELNS1_3repE0EEENS1_30default_config_static_selectorELNS0_4arch9wavefront6targetE1EEEvSV_
                                        ; -- End function
	.section	.AMDGPU.csdata,"",@progbits
; Kernel info:
; codeLenInByte = 0
; NumSgprs: 4
; NumVgprs: 0
; NumAgprs: 0
; TotalNumVgprs: 0
; ScratchSize: 0
; MemoryBound: 0
; FloatMode: 240
; IeeeMode: 1
; LDSByteSize: 0 bytes/workgroup (compile time only)
; SGPRBlocks: 0
; VGPRBlocks: 0
; NumSGPRsForWavesPerEU: 4
; NumVGPRsForWavesPerEU: 1
; AccumOffset: 4
; Occupancy: 8
; WaveLimiterHint : 0
; COMPUTE_PGM_RSRC2:SCRATCH_EN: 0
; COMPUTE_PGM_RSRC2:USER_SGPR: 6
; COMPUTE_PGM_RSRC2:TRAP_HANDLER: 0
; COMPUTE_PGM_RSRC2:TGID_X_EN: 1
; COMPUTE_PGM_RSRC2:TGID_Y_EN: 0
; COMPUTE_PGM_RSRC2:TGID_Z_EN: 0
; COMPUTE_PGM_RSRC2:TIDIG_COMP_CNT: 0
; COMPUTE_PGM_RSRC3_GFX90A:ACCUM_OFFSET: 0
; COMPUTE_PGM_RSRC3_GFX90A:TG_SPLIT: 0
	.section	.text._ZN7rocprim17ROCPRIM_400000_NS6detail17trampoline_kernelINS0_13select_configILj256ELj13ELNS0_17block_load_methodE3ELS4_3ELS4_3ELNS0_20block_scan_algorithmE0ELj4294967295EEENS1_25partition_config_selectorILNS1_17partition_subalgoE3EjNS0_10empty_typeEbEEZZNS1_14partition_implILS8_3ELb0ES6_jNS0_17counting_iteratorIjlEEPS9_SE_NS0_5tupleIJPjSE_EEENSF_IJSE_SE_EEES9_SG_JZNS1_25segmented_radix_sort_implINS0_14default_configELb0EPKlPlSM_SN_N2at6native12_GLOBAL__N_18offset_tEEE10hipError_tPvRmT1_PNSt15iterator_traitsISV_E10value_typeET2_T3_PNSW_IS11_E10value_typeET4_jRbjT5_S17_jjP12ihipStream_tbEUljE_EEESS_ST_SU_S11_S15_S17_T6_T7_T9_mT8_S19_bDpT10_ENKUlT_T0_E_clISt17integral_constantIbLb0EES1M_EEDaS1H_S1I_EUlS1H_E_NS1_11comp_targetILNS1_3genE10ELNS1_11target_archE1200ELNS1_3gpuE4ELNS1_3repE0EEENS1_30default_config_static_selectorELNS0_4arch9wavefront6targetE1EEEvSV_,"axG",@progbits,_ZN7rocprim17ROCPRIM_400000_NS6detail17trampoline_kernelINS0_13select_configILj256ELj13ELNS0_17block_load_methodE3ELS4_3ELS4_3ELNS0_20block_scan_algorithmE0ELj4294967295EEENS1_25partition_config_selectorILNS1_17partition_subalgoE3EjNS0_10empty_typeEbEEZZNS1_14partition_implILS8_3ELb0ES6_jNS0_17counting_iteratorIjlEEPS9_SE_NS0_5tupleIJPjSE_EEENSF_IJSE_SE_EEES9_SG_JZNS1_25segmented_radix_sort_implINS0_14default_configELb0EPKlPlSM_SN_N2at6native12_GLOBAL__N_18offset_tEEE10hipError_tPvRmT1_PNSt15iterator_traitsISV_E10value_typeET2_T3_PNSW_IS11_E10value_typeET4_jRbjT5_S17_jjP12ihipStream_tbEUljE_EEESS_ST_SU_S11_S15_S17_T6_T7_T9_mT8_S19_bDpT10_ENKUlT_T0_E_clISt17integral_constantIbLb0EES1M_EEDaS1H_S1I_EUlS1H_E_NS1_11comp_targetILNS1_3genE10ELNS1_11target_archE1200ELNS1_3gpuE4ELNS1_3repE0EEENS1_30default_config_static_selectorELNS0_4arch9wavefront6targetE1EEEvSV_,comdat
	.globl	_ZN7rocprim17ROCPRIM_400000_NS6detail17trampoline_kernelINS0_13select_configILj256ELj13ELNS0_17block_load_methodE3ELS4_3ELS4_3ELNS0_20block_scan_algorithmE0ELj4294967295EEENS1_25partition_config_selectorILNS1_17partition_subalgoE3EjNS0_10empty_typeEbEEZZNS1_14partition_implILS8_3ELb0ES6_jNS0_17counting_iteratorIjlEEPS9_SE_NS0_5tupleIJPjSE_EEENSF_IJSE_SE_EEES9_SG_JZNS1_25segmented_radix_sort_implINS0_14default_configELb0EPKlPlSM_SN_N2at6native12_GLOBAL__N_18offset_tEEE10hipError_tPvRmT1_PNSt15iterator_traitsISV_E10value_typeET2_T3_PNSW_IS11_E10value_typeET4_jRbjT5_S17_jjP12ihipStream_tbEUljE_EEESS_ST_SU_S11_S15_S17_T6_T7_T9_mT8_S19_bDpT10_ENKUlT_T0_E_clISt17integral_constantIbLb0EES1M_EEDaS1H_S1I_EUlS1H_E_NS1_11comp_targetILNS1_3genE10ELNS1_11target_archE1200ELNS1_3gpuE4ELNS1_3repE0EEENS1_30default_config_static_selectorELNS0_4arch9wavefront6targetE1EEEvSV_ ; -- Begin function _ZN7rocprim17ROCPRIM_400000_NS6detail17trampoline_kernelINS0_13select_configILj256ELj13ELNS0_17block_load_methodE3ELS4_3ELS4_3ELNS0_20block_scan_algorithmE0ELj4294967295EEENS1_25partition_config_selectorILNS1_17partition_subalgoE3EjNS0_10empty_typeEbEEZZNS1_14partition_implILS8_3ELb0ES6_jNS0_17counting_iteratorIjlEEPS9_SE_NS0_5tupleIJPjSE_EEENSF_IJSE_SE_EEES9_SG_JZNS1_25segmented_radix_sort_implINS0_14default_configELb0EPKlPlSM_SN_N2at6native12_GLOBAL__N_18offset_tEEE10hipError_tPvRmT1_PNSt15iterator_traitsISV_E10value_typeET2_T3_PNSW_IS11_E10value_typeET4_jRbjT5_S17_jjP12ihipStream_tbEUljE_EEESS_ST_SU_S11_S15_S17_T6_T7_T9_mT8_S19_bDpT10_ENKUlT_T0_E_clISt17integral_constantIbLb0EES1M_EEDaS1H_S1I_EUlS1H_E_NS1_11comp_targetILNS1_3genE10ELNS1_11target_archE1200ELNS1_3gpuE4ELNS1_3repE0EEENS1_30default_config_static_selectorELNS0_4arch9wavefront6targetE1EEEvSV_
	.p2align	8
	.type	_ZN7rocprim17ROCPRIM_400000_NS6detail17trampoline_kernelINS0_13select_configILj256ELj13ELNS0_17block_load_methodE3ELS4_3ELS4_3ELNS0_20block_scan_algorithmE0ELj4294967295EEENS1_25partition_config_selectorILNS1_17partition_subalgoE3EjNS0_10empty_typeEbEEZZNS1_14partition_implILS8_3ELb0ES6_jNS0_17counting_iteratorIjlEEPS9_SE_NS0_5tupleIJPjSE_EEENSF_IJSE_SE_EEES9_SG_JZNS1_25segmented_radix_sort_implINS0_14default_configELb0EPKlPlSM_SN_N2at6native12_GLOBAL__N_18offset_tEEE10hipError_tPvRmT1_PNSt15iterator_traitsISV_E10value_typeET2_T3_PNSW_IS11_E10value_typeET4_jRbjT5_S17_jjP12ihipStream_tbEUljE_EEESS_ST_SU_S11_S15_S17_T6_T7_T9_mT8_S19_bDpT10_ENKUlT_T0_E_clISt17integral_constantIbLb0EES1M_EEDaS1H_S1I_EUlS1H_E_NS1_11comp_targetILNS1_3genE10ELNS1_11target_archE1200ELNS1_3gpuE4ELNS1_3repE0EEENS1_30default_config_static_selectorELNS0_4arch9wavefront6targetE1EEEvSV_,@function
_ZN7rocprim17ROCPRIM_400000_NS6detail17trampoline_kernelINS0_13select_configILj256ELj13ELNS0_17block_load_methodE3ELS4_3ELS4_3ELNS0_20block_scan_algorithmE0ELj4294967295EEENS1_25partition_config_selectorILNS1_17partition_subalgoE3EjNS0_10empty_typeEbEEZZNS1_14partition_implILS8_3ELb0ES6_jNS0_17counting_iteratorIjlEEPS9_SE_NS0_5tupleIJPjSE_EEENSF_IJSE_SE_EEES9_SG_JZNS1_25segmented_radix_sort_implINS0_14default_configELb0EPKlPlSM_SN_N2at6native12_GLOBAL__N_18offset_tEEE10hipError_tPvRmT1_PNSt15iterator_traitsISV_E10value_typeET2_T3_PNSW_IS11_E10value_typeET4_jRbjT5_S17_jjP12ihipStream_tbEUljE_EEESS_ST_SU_S11_S15_S17_T6_T7_T9_mT8_S19_bDpT10_ENKUlT_T0_E_clISt17integral_constantIbLb0EES1M_EEDaS1H_S1I_EUlS1H_E_NS1_11comp_targetILNS1_3genE10ELNS1_11target_archE1200ELNS1_3gpuE4ELNS1_3repE0EEENS1_30default_config_static_selectorELNS0_4arch9wavefront6targetE1EEEvSV_: ; @_ZN7rocprim17ROCPRIM_400000_NS6detail17trampoline_kernelINS0_13select_configILj256ELj13ELNS0_17block_load_methodE3ELS4_3ELS4_3ELNS0_20block_scan_algorithmE0ELj4294967295EEENS1_25partition_config_selectorILNS1_17partition_subalgoE3EjNS0_10empty_typeEbEEZZNS1_14partition_implILS8_3ELb0ES6_jNS0_17counting_iteratorIjlEEPS9_SE_NS0_5tupleIJPjSE_EEENSF_IJSE_SE_EEES9_SG_JZNS1_25segmented_radix_sort_implINS0_14default_configELb0EPKlPlSM_SN_N2at6native12_GLOBAL__N_18offset_tEEE10hipError_tPvRmT1_PNSt15iterator_traitsISV_E10value_typeET2_T3_PNSW_IS11_E10value_typeET4_jRbjT5_S17_jjP12ihipStream_tbEUljE_EEESS_ST_SU_S11_S15_S17_T6_T7_T9_mT8_S19_bDpT10_ENKUlT_T0_E_clISt17integral_constantIbLb0EES1M_EEDaS1H_S1I_EUlS1H_E_NS1_11comp_targetILNS1_3genE10ELNS1_11target_archE1200ELNS1_3gpuE4ELNS1_3repE0EEENS1_30default_config_static_selectorELNS0_4arch9wavefront6targetE1EEEvSV_
; %bb.0:
	.section	.rodata,"a",@progbits
	.p2align	6, 0x0
	.amdhsa_kernel _ZN7rocprim17ROCPRIM_400000_NS6detail17trampoline_kernelINS0_13select_configILj256ELj13ELNS0_17block_load_methodE3ELS4_3ELS4_3ELNS0_20block_scan_algorithmE0ELj4294967295EEENS1_25partition_config_selectorILNS1_17partition_subalgoE3EjNS0_10empty_typeEbEEZZNS1_14partition_implILS8_3ELb0ES6_jNS0_17counting_iteratorIjlEEPS9_SE_NS0_5tupleIJPjSE_EEENSF_IJSE_SE_EEES9_SG_JZNS1_25segmented_radix_sort_implINS0_14default_configELb0EPKlPlSM_SN_N2at6native12_GLOBAL__N_18offset_tEEE10hipError_tPvRmT1_PNSt15iterator_traitsISV_E10value_typeET2_T3_PNSW_IS11_E10value_typeET4_jRbjT5_S17_jjP12ihipStream_tbEUljE_EEESS_ST_SU_S11_S15_S17_T6_T7_T9_mT8_S19_bDpT10_ENKUlT_T0_E_clISt17integral_constantIbLb0EES1M_EEDaS1H_S1I_EUlS1H_E_NS1_11comp_targetILNS1_3genE10ELNS1_11target_archE1200ELNS1_3gpuE4ELNS1_3repE0EEENS1_30default_config_static_selectorELNS0_4arch9wavefront6targetE1EEEvSV_
		.amdhsa_group_segment_fixed_size 0
		.amdhsa_private_segment_fixed_size 0
		.amdhsa_kernarg_size 144
		.amdhsa_user_sgpr_count 6
		.amdhsa_user_sgpr_private_segment_buffer 1
		.amdhsa_user_sgpr_dispatch_ptr 0
		.amdhsa_user_sgpr_queue_ptr 0
		.amdhsa_user_sgpr_kernarg_segment_ptr 1
		.amdhsa_user_sgpr_dispatch_id 0
		.amdhsa_user_sgpr_flat_scratch_init 0
		.amdhsa_user_sgpr_kernarg_preload_length 0
		.amdhsa_user_sgpr_kernarg_preload_offset 0
		.amdhsa_user_sgpr_private_segment_size 0
		.amdhsa_uses_dynamic_stack 0
		.amdhsa_system_sgpr_private_segment_wavefront_offset 0
		.amdhsa_system_sgpr_workgroup_id_x 1
		.amdhsa_system_sgpr_workgroup_id_y 0
		.amdhsa_system_sgpr_workgroup_id_z 0
		.amdhsa_system_sgpr_workgroup_info 0
		.amdhsa_system_vgpr_workitem_id 0
		.amdhsa_next_free_vgpr 1
		.amdhsa_next_free_sgpr 0
		.amdhsa_accum_offset 4
		.amdhsa_reserve_vcc 0
		.amdhsa_reserve_flat_scratch 0
		.amdhsa_float_round_mode_32 0
		.amdhsa_float_round_mode_16_64 0
		.amdhsa_float_denorm_mode_32 3
		.amdhsa_float_denorm_mode_16_64 3
		.amdhsa_dx10_clamp 1
		.amdhsa_ieee_mode 1
		.amdhsa_fp16_overflow 0
		.amdhsa_tg_split 0
		.amdhsa_exception_fp_ieee_invalid_op 0
		.amdhsa_exception_fp_denorm_src 0
		.amdhsa_exception_fp_ieee_div_zero 0
		.amdhsa_exception_fp_ieee_overflow 0
		.amdhsa_exception_fp_ieee_underflow 0
		.amdhsa_exception_fp_ieee_inexact 0
		.amdhsa_exception_int_div_zero 0
	.end_amdhsa_kernel
	.section	.text._ZN7rocprim17ROCPRIM_400000_NS6detail17trampoline_kernelINS0_13select_configILj256ELj13ELNS0_17block_load_methodE3ELS4_3ELS4_3ELNS0_20block_scan_algorithmE0ELj4294967295EEENS1_25partition_config_selectorILNS1_17partition_subalgoE3EjNS0_10empty_typeEbEEZZNS1_14partition_implILS8_3ELb0ES6_jNS0_17counting_iteratorIjlEEPS9_SE_NS0_5tupleIJPjSE_EEENSF_IJSE_SE_EEES9_SG_JZNS1_25segmented_radix_sort_implINS0_14default_configELb0EPKlPlSM_SN_N2at6native12_GLOBAL__N_18offset_tEEE10hipError_tPvRmT1_PNSt15iterator_traitsISV_E10value_typeET2_T3_PNSW_IS11_E10value_typeET4_jRbjT5_S17_jjP12ihipStream_tbEUljE_EEESS_ST_SU_S11_S15_S17_T6_T7_T9_mT8_S19_bDpT10_ENKUlT_T0_E_clISt17integral_constantIbLb0EES1M_EEDaS1H_S1I_EUlS1H_E_NS1_11comp_targetILNS1_3genE10ELNS1_11target_archE1200ELNS1_3gpuE4ELNS1_3repE0EEENS1_30default_config_static_selectorELNS0_4arch9wavefront6targetE1EEEvSV_,"axG",@progbits,_ZN7rocprim17ROCPRIM_400000_NS6detail17trampoline_kernelINS0_13select_configILj256ELj13ELNS0_17block_load_methodE3ELS4_3ELS4_3ELNS0_20block_scan_algorithmE0ELj4294967295EEENS1_25partition_config_selectorILNS1_17partition_subalgoE3EjNS0_10empty_typeEbEEZZNS1_14partition_implILS8_3ELb0ES6_jNS0_17counting_iteratorIjlEEPS9_SE_NS0_5tupleIJPjSE_EEENSF_IJSE_SE_EEES9_SG_JZNS1_25segmented_radix_sort_implINS0_14default_configELb0EPKlPlSM_SN_N2at6native12_GLOBAL__N_18offset_tEEE10hipError_tPvRmT1_PNSt15iterator_traitsISV_E10value_typeET2_T3_PNSW_IS11_E10value_typeET4_jRbjT5_S17_jjP12ihipStream_tbEUljE_EEESS_ST_SU_S11_S15_S17_T6_T7_T9_mT8_S19_bDpT10_ENKUlT_T0_E_clISt17integral_constantIbLb0EES1M_EEDaS1H_S1I_EUlS1H_E_NS1_11comp_targetILNS1_3genE10ELNS1_11target_archE1200ELNS1_3gpuE4ELNS1_3repE0EEENS1_30default_config_static_selectorELNS0_4arch9wavefront6targetE1EEEvSV_,comdat
.Lfunc_end780:
	.size	_ZN7rocprim17ROCPRIM_400000_NS6detail17trampoline_kernelINS0_13select_configILj256ELj13ELNS0_17block_load_methodE3ELS4_3ELS4_3ELNS0_20block_scan_algorithmE0ELj4294967295EEENS1_25partition_config_selectorILNS1_17partition_subalgoE3EjNS0_10empty_typeEbEEZZNS1_14partition_implILS8_3ELb0ES6_jNS0_17counting_iteratorIjlEEPS9_SE_NS0_5tupleIJPjSE_EEENSF_IJSE_SE_EEES9_SG_JZNS1_25segmented_radix_sort_implINS0_14default_configELb0EPKlPlSM_SN_N2at6native12_GLOBAL__N_18offset_tEEE10hipError_tPvRmT1_PNSt15iterator_traitsISV_E10value_typeET2_T3_PNSW_IS11_E10value_typeET4_jRbjT5_S17_jjP12ihipStream_tbEUljE_EEESS_ST_SU_S11_S15_S17_T6_T7_T9_mT8_S19_bDpT10_ENKUlT_T0_E_clISt17integral_constantIbLb0EES1M_EEDaS1H_S1I_EUlS1H_E_NS1_11comp_targetILNS1_3genE10ELNS1_11target_archE1200ELNS1_3gpuE4ELNS1_3repE0EEENS1_30default_config_static_selectorELNS0_4arch9wavefront6targetE1EEEvSV_, .Lfunc_end780-_ZN7rocprim17ROCPRIM_400000_NS6detail17trampoline_kernelINS0_13select_configILj256ELj13ELNS0_17block_load_methodE3ELS4_3ELS4_3ELNS0_20block_scan_algorithmE0ELj4294967295EEENS1_25partition_config_selectorILNS1_17partition_subalgoE3EjNS0_10empty_typeEbEEZZNS1_14partition_implILS8_3ELb0ES6_jNS0_17counting_iteratorIjlEEPS9_SE_NS0_5tupleIJPjSE_EEENSF_IJSE_SE_EEES9_SG_JZNS1_25segmented_radix_sort_implINS0_14default_configELb0EPKlPlSM_SN_N2at6native12_GLOBAL__N_18offset_tEEE10hipError_tPvRmT1_PNSt15iterator_traitsISV_E10value_typeET2_T3_PNSW_IS11_E10value_typeET4_jRbjT5_S17_jjP12ihipStream_tbEUljE_EEESS_ST_SU_S11_S15_S17_T6_T7_T9_mT8_S19_bDpT10_ENKUlT_T0_E_clISt17integral_constantIbLb0EES1M_EEDaS1H_S1I_EUlS1H_E_NS1_11comp_targetILNS1_3genE10ELNS1_11target_archE1200ELNS1_3gpuE4ELNS1_3repE0EEENS1_30default_config_static_selectorELNS0_4arch9wavefront6targetE1EEEvSV_
                                        ; -- End function
	.section	.AMDGPU.csdata,"",@progbits
; Kernel info:
; codeLenInByte = 0
; NumSgprs: 4
; NumVgprs: 0
; NumAgprs: 0
; TotalNumVgprs: 0
; ScratchSize: 0
; MemoryBound: 0
; FloatMode: 240
; IeeeMode: 1
; LDSByteSize: 0 bytes/workgroup (compile time only)
; SGPRBlocks: 0
; VGPRBlocks: 0
; NumSGPRsForWavesPerEU: 4
; NumVGPRsForWavesPerEU: 1
; AccumOffset: 4
; Occupancy: 8
; WaveLimiterHint : 0
; COMPUTE_PGM_RSRC2:SCRATCH_EN: 0
; COMPUTE_PGM_RSRC2:USER_SGPR: 6
; COMPUTE_PGM_RSRC2:TRAP_HANDLER: 0
; COMPUTE_PGM_RSRC2:TGID_X_EN: 1
; COMPUTE_PGM_RSRC2:TGID_Y_EN: 0
; COMPUTE_PGM_RSRC2:TGID_Z_EN: 0
; COMPUTE_PGM_RSRC2:TIDIG_COMP_CNT: 0
; COMPUTE_PGM_RSRC3_GFX90A:ACCUM_OFFSET: 0
; COMPUTE_PGM_RSRC3_GFX90A:TG_SPLIT: 0
	.section	.text._ZN7rocprim17ROCPRIM_400000_NS6detail17trampoline_kernelINS0_13select_configILj256ELj13ELNS0_17block_load_methodE3ELS4_3ELS4_3ELNS0_20block_scan_algorithmE0ELj4294967295EEENS1_25partition_config_selectorILNS1_17partition_subalgoE3EjNS0_10empty_typeEbEEZZNS1_14partition_implILS8_3ELb0ES6_jNS0_17counting_iteratorIjlEEPS9_SE_NS0_5tupleIJPjSE_EEENSF_IJSE_SE_EEES9_SG_JZNS1_25segmented_radix_sort_implINS0_14default_configELb0EPKlPlSM_SN_N2at6native12_GLOBAL__N_18offset_tEEE10hipError_tPvRmT1_PNSt15iterator_traitsISV_E10value_typeET2_T3_PNSW_IS11_E10value_typeET4_jRbjT5_S17_jjP12ihipStream_tbEUljE_EEESS_ST_SU_S11_S15_S17_T6_T7_T9_mT8_S19_bDpT10_ENKUlT_T0_E_clISt17integral_constantIbLb0EES1M_EEDaS1H_S1I_EUlS1H_E_NS1_11comp_targetILNS1_3genE9ELNS1_11target_archE1100ELNS1_3gpuE3ELNS1_3repE0EEENS1_30default_config_static_selectorELNS0_4arch9wavefront6targetE1EEEvSV_,"axG",@progbits,_ZN7rocprim17ROCPRIM_400000_NS6detail17trampoline_kernelINS0_13select_configILj256ELj13ELNS0_17block_load_methodE3ELS4_3ELS4_3ELNS0_20block_scan_algorithmE0ELj4294967295EEENS1_25partition_config_selectorILNS1_17partition_subalgoE3EjNS0_10empty_typeEbEEZZNS1_14partition_implILS8_3ELb0ES6_jNS0_17counting_iteratorIjlEEPS9_SE_NS0_5tupleIJPjSE_EEENSF_IJSE_SE_EEES9_SG_JZNS1_25segmented_radix_sort_implINS0_14default_configELb0EPKlPlSM_SN_N2at6native12_GLOBAL__N_18offset_tEEE10hipError_tPvRmT1_PNSt15iterator_traitsISV_E10value_typeET2_T3_PNSW_IS11_E10value_typeET4_jRbjT5_S17_jjP12ihipStream_tbEUljE_EEESS_ST_SU_S11_S15_S17_T6_T7_T9_mT8_S19_bDpT10_ENKUlT_T0_E_clISt17integral_constantIbLb0EES1M_EEDaS1H_S1I_EUlS1H_E_NS1_11comp_targetILNS1_3genE9ELNS1_11target_archE1100ELNS1_3gpuE3ELNS1_3repE0EEENS1_30default_config_static_selectorELNS0_4arch9wavefront6targetE1EEEvSV_,comdat
	.globl	_ZN7rocprim17ROCPRIM_400000_NS6detail17trampoline_kernelINS0_13select_configILj256ELj13ELNS0_17block_load_methodE3ELS4_3ELS4_3ELNS0_20block_scan_algorithmE0ELj4294967295EEENS1_25partition_config_selectorILNS1_17partition_subalgoE3EjNS0_10empty_typeEbEEZZNS1_14partition_implILS8_3ELb0ES6_jNS0_17counting_iteratorIjlEEPS9_SE_NS0_5tupleIJPjSE_EEENSF_IJSE_SE_EEES9_SG_JZNS1_25segmented_radix_sort_implINS0_14default_configELb0EPKlPlSM_SN_N2at6native12_GLOBAL__N_18offset_tEEE10hipError_tPvRmT1_PNSt15iterator_traitsISV_E10value_typeET2_T3_PNSW_IS11_E10value_typeET4_jRbjT5_S17_jjP12ihipStream_tbEUljE_EEESS_ST_SU_S11_S15_S17_T6_T7_T9_mT8_S19_bDpT10_ENKUlT_T0_E_clISt17integral_constantIbLb0EES1M_EEDaS1H_S1I_EUlS1H_E_NS1_11comp_targetILNS1_3genE9ELNS1_11target_archE1100ELNS1_3gpuE3ELNS1_3repE0EEENS1_30default_config_static_selectorELNS0_4arch9wavefront6targetE1EEEvSV_ ; -- Begin function _ZN7rocprim17ROCPRIM_400000_NS6detail17trampoline_kernelINS0_13select_configILj256ELj13ELNS0_17block_load_methodE3ELS4_3ELS4_3ELNS0_20block_scan_algorithmE0ELj4294967295EEENS1_25partition_config_selectorILNS1_17partition_subalgoE3EjNS0_10empty_typeEbEEZZNS1_14partition_implILS8_3ELb0ES6_jNS0_17counting_iteratorIjlEEPS9_SE_NS0_5tupleIJPjSE_EEENSF_IJSE_SE_EEES9_SG_JZNS1_25segmented_radix_sort_implINS0_14default_configELb0EPKlPlSM_SN_N2at6native12_GLOBAL__N_18offset_tEEE10hipError_tPvRmT1_PNSt15iterator_traitsISV_E10value_typeET2_T3_PNSW_IS11_E10value_typeET4_jRbjT5_S17_jjP12ihipStream_tbEUljE_EEESS_ST_SU_S11_S15_S17_T6_T7_T9_mT8_S19_bDpT10_ENKUlT_T0_E_clISt17integral_constantIbLb0EES1M_EEDaS1H_S1I_EUlS1H_E_NS1_11comp_targetILNS1_3genE9ELNS1_11target_archE1100ELNS1_3gpuE3ELNS1_3repE0EEENS1_30default_config_static_selectorELNS0_4arch9wavefront6targetE1EEEvSV_
	.p2align	8
	.type	_ZN7rocprim17ROCPRIM_400000_NS6detail17trampoline_kernelINS0_13select_configILj256ELj13ELNS0_17block_load_methodE3ELS4_3ELS4_3ELNS0_20block_scan_algorithmE0ELj4294967295EEENS1_25partition_config_selectorILNS1_17partition_subalgoE3EjNS0_10empty_typeEbEEZZNS1_14partition_implILS8_3ELb0ES6_jNS0_17counting_iteratorIjlEEPS9_SE_NS0_5tupleIJPjSE_EEENSF_IJSE_SE_EEES9_SG_JZNS1_25segmented_radix_sort_implINS0_14default_configELb0EPKlPlSM_SN_N2at6native12_GLOBAL__N_18offset_tEEE10hipError_tPvRmT1_PNSt15iterator_traitsISV_E10value_typeET2_T3_PNSW_IS11_E10value_typeET4_jRbjT5_S17_jjP12ihipStream_tbEUljE_EEESS_ST_SU_S11_S15_S17_T6_T7_T9_mT8_S19_bDpT10_ENKUlT_T0_E_clISt17integral_constantIbLb0EES1M_EEDaS1H_S1I_EUlS1H_E_NS1_11comp_targetILNS1_3genE9ELNS1_11target_archE1100ELNS1_3gpuE3ELNS1_3repE0EEENS1_30default_config_static_selectorELNS0_4arch9wavefront6targetE1EEEvSV_,@function
_ZN7rocprim17ROCPRIM_400000_NS6detail17trampoline_kernelINS0_13select_configILj256ELj13ELNS0_17block_load_methodE3ELS4_3ELS4_3ELNS0_20block_scan_algorithmE0ELj4294967295EEENS1_25partition_config_selectorILNS1_17partition_subalgoE3EjNS0_10empty_typeEbEEZZNS1_14partition_implILS8_3ELb0ES6_jNS0_17counting_iteratorIjlEEPS9_SE_NS0_5tupleIJPjSE_EEENSF_IJSE_SE_EEES9_SG_JZNS1_25segmented_radix_sort_implINS0_14default_configELb0EPKlPlSM_SN_N2at6native12_GLOBAL__N_18offset_tEEE10hipError_tPvRmT1_PNSt15iterator_traitsISV_E10value_typeET2_T3_PNSW_IS11_E10value_typeET4_jRbjT5_S17_jjP12ihipStream_tbEUljE_EEESS_ST_SU_S11_S15_S17_T6_T7_T9_mT8_S19_bDpT10_ENKUlT_T0_E_clISt17integral_constantIbLb0EES1M_EEDaS1H_S1I_EUlS1H_E_NS1_11comp_targetILNS1_3genE9ELNS1_11target_archE1100ELNS1_3gpuE3ELNS1_3repE0EEENS1_30default_config_static_selectorELNS0_4arch9wavefront6targetE1EEEvSV_: ; @_ZN7rocprim17ROCPRIM_400000_NS6detail17trampoline_kernelINS0_13select_configILj256ELj13ELNS0_17block_load_methodE3ELS4_3ELS4_3ELNS0_20block_scan_algorithmE0ELj4294967295EEENS1_25partition_config_selectorILNS1_17partition_subalgoE3EjNS0_10empty_typeEbEEZZNS1_14partition_implILS8_3ELb0ES6_jNS0_17counting_iteratorIjlEEPS9_SE_NS0_5tupleIJPjSE_EEENSF_IJSE_SE_EEES9_SG_JZNS1_25segmented_radix_sort_implINS0_14default_configELb0EPKlPlSM_SN_N2at6native12_GLOBAL__N_18offset_tEEE10hipError_tPvRmT1_PNSt15iterator_traitsISV_E10value_typeET2_T3_PNSW_IS11_E10value_typeET4_jRbjT5_S17_jjP12ihipStream_tbEUljE_EEESS_ST_SU_S11_S15_S17_T6_T7_T9_mT8_S19_bDpT10_ENKUlT_T0_E_clISt17integral_constantIbLb0EES1M_EEDaS1H_S1I_EUlS1H_E_NS1_11comp_targetILNS1_3genE9ELNS1_11target_archE1100ELNS1_3gpuE3ELNS1_3repE0EEENS1_30default_config_static_selectorELNS0_4arch9wavefront6targetE1EEEvSV_
; %bb.0:
	.section	.rodata,"a",@progbits
	.p2align	6, 0x0
	.amdhsa_kernel _ZN7rocprim17ROCPRIM_400000_NS6detail17trampoline_kernelINS0_13select_configILj256ELj13ELNS0_17block_load_methodE3ELS4_3ELS4_3ELNS0_20block_scan_algorithmE0ELj4294967295EEENS1_25partition_config_selectorILNS1_17partition_subalgoE3EjNS0_10empty_typeEbEEZZNS1_14partition_implILS8_3ELb0ES6_jNS0_17counting_iteratorIjlEEPS9_SE_NS0_5tupleIJPjSE_EEENSF_IJSE_SE_EEES9_SG_JZNS1_25segmented_radix_sort_implINS0_14default_configELb0EPKlPlSM_SN_N2at6native12_GLOBAL__N_18offset_tEEE10hipError_tPvRmT1_PNSt15iterator_traitsISV_E10value_typeET2_T3_PNSW_IS11_E10value_typeET4_jRbjT5_S17_jjP12ihipStream_tbEUljE_EEESS_ST_SU_S11_S15_S17_T6_T7_T9_mT8_S19_bDpT10_ENKUlT_T0_E_clISt17integral_constantIbLb0EES1M_EEDaS1H_S1I_EUlS1H_E_NS1_11comp_targetILNS1_3genE9ELNS1_11target_archE1100ELNS1_3gpuE3ELNS1_3repE0EEENS1_30default_config_static_selectorELNS0_4arch9wavefront6targetE1EEEvSV_
		.amdhsa_group_segment_fixed_size 0
		.amdhsa_private_segment_fixed_size 0
		.amdhsa_kernarg_size 144
		.amdhsa_user_sgpr_count 6
		.amdhsa_user_sgpr_private_segment_buffer 1
		.amdhsa_user_sgpr_dispatch_ptr 0
		.amdhsa_user_sgpr_queue_ptr 0
		.amdhsa_user_sgpr_kernarg_segment_ptr 1
		.amdhsa_user_sgpr_dispatch_id 0
		.amdhsa_user_sgpr_flat_scratch_init 0
		.amdhsa_user_sgpr_kernarg_preload_length 0
		.amdhsa_user_sgpr_kernarg_preload_offset 0
		.amdhsa_user_sgpr_private_segment_size 0
		.amdhsa_uses_dynamic_stack 0
		.amdhsa_system_sgpr_private_segment_wavefront_offset 0
		.amdhsa_system_sgpr_workgroup_id_x 1
		.amdhsa_system_sgpr_workgroup_id_y 0
		.amdhsa_system_sgpr_workgroup_id_z 0
		.amdhsa_system_sgpr_workgroup_info 0
		.amdhsa_system_vgpr_workitem_id 0
		.amdhsa_next_free_vgpr 1
		.amdhsa_next_free_sgpr 0
		.amdhsa_accum_offset 4
		.amdhsa_reserve_vcc 0
		.amdhsa_reserve_flat_scratch 0
		.amdhsa_float_round_mode_32 0
		.amdhsa_float_round_mode_16_64 0
		.amdhsa_float_denorm_mode_32 3
		.amdhsa_float_denorm_mode_16_64 3
		.amdhsa_dx10_clamp 1
		.amdhsa_ieee_mode 1
		.amdhsa_fp16_overflow 0
		.amdhsa_tg_split 0
		.amdhsa_exception_fp_ieee_invalid_op 0
		.amdhsa_exception_fp_denorm_src 0
		.amdhsa_exception_fp_ieee_div_zero 0
		.amdhsa_exception_fp_ieee_overflow 0
		.amdhsa_exception_fp_ieee_underflow 0
		.amdhsa_exception_fp_ieee_inexact 0
		.amdhsa_exception_int_div_zero 0
	.end_amdhsa_kernel
	.section	.text._ZN7rocprim17ROCPRIM_400000_NS6detail17trampoline_kernelINS0_13select_configILj256ELj13ELNS0_17block_load_methodE3ELS4_3ELS4_3ELNS0_20block_scan_algorithmE0ELj4294967295EEENS1_25partition_config_selectorILNS1_17partition_subalgoE3EjNS0_10empty_typeEbEEZZNS1_14partition_implILS8_3ELb0ES6_jNS0_17counting_iteratorIjlEEPS9_SE_NS0_5tupleIJPjSE_EEENSF_IJSE_SE_EEES9_SG_JZNS1_25segmented_radix_sort_implINS0_14default_configELb0EPKlPlSM_SN_N2at6native12_GLOBAL__N_18offset_tEEE10hipError_tPvRmT1_PNSt15iterator_traitsISV_E10value_typeET2_T3_PNSW_IS11_E10value_typeET4_jRbjT5_S17_jjP12ihipStream_tbEUljE_EEESS_ST_SU_S11_S15_S17_T6_T7_T9_mT8_S19_bDpT10_ENKUlT_T0_E_clISt17integral_constantIbLb0EES1M_EEDaS1H_S1I_EUlS1H_E_NS1_11comp_targetILNS1_3genE9ELNS1_11target_archE1100ELNS1_3gpuE3ELNS1_3repE0EEENS1_30default_config_static_selectorELNS0_4arch9wavefront6targetE1EEEvSV_,"axG",@progbits,_ZN7rocprim17ROCPRIM_400000_NS6detail17trampoline_kernelINS0_13select_configILj256ELj13ELNS0_17block_load_methodE3ELS4_3ELS4_3ELNS0_20block_scan_algorithmE0ELj4294967295EEENS1_25partition_config_selectorILNS1_17partition_subalgoE3EjNS0_10empty_typeEbEEZZNS1_14partition_implILS8_3ELb0ES6_jNS0_17counting_iteratorIjlEEPS9_SE_NS0_5tupleIJPjSE_EEENSF_IJSE_SE_EEES9_SG_JZNS1_25segmented_radix_sort_implINS0_14default_configELb0EPKlPlSM_SN_N2at6native12_GLOBAL__N_18offset_tEEE10hipError_tPvRmT1_PNSt15iterator_traitsISV_E10value_typeET2_T3_PNSW_IS11_E10value_typeET4_jRbjT5_S17_jjP12ihipStream_tbEUljE_EEESS_ST_SU_S11_S15_S17_T6_T7_T9_mT8_S19_bDpT10_ENKUlT_T0_E_clISt17integral_constantIbLb0EES1M_EEDaS1H_S1I_EUlS1H_E_NS1_11comp_targetILNS1_3genE9ELNS1_11target_archE1100ELNS1_3gpuE3ELNS1_3repE0EEENS1_30default_config_static_selectorELNS0_4arch9wavefront6targetE1EEEvSV_,comdat
.Lfunc_end781:
	.size	_ZN7rocprim17ROCPRIM_400000_NS6detail17trampoline_kernelINS0_13select_configILj256ELj13ELNS0_17block_load_methodE3ELS4_3ELS4_3ELNS0_20block_scan_algorithmE0ELj4294967295EEENS1_25partition_config_selectorILNS1_17partition_subalgoE3EjNS0_10empty_typeEbEEZZNS1_14partition_implILS8_3ELb0ES6_jNS0_17counting_iteratorIjlEEPS9_SE_NS0_5tupleIJPjSE_EEENSF_IJSE_SE_EEES9_SG_JZNS1_25segmented_radix_sort_implINS0_14default_configELb0EPKlPlSM_SN_N2at6native12_GLOBAL__N_18offset_tEEE10hipError_tPvRmT1_PNSt15iterator_traitsISV_E10value_typeET2_T3_PNSW_IS11_E10value_typeET4_jRbjT5_S17_jjP12ihipStream_tbEUljE_EEESS_ST_SU_S11_S15_S17_T6_T7_T9_mT8_S19_bDpT10_ENKUlT_T0_E_clISt17integral_constantIbLb0EES1M_EEDaS1H_S1I_EUlS1H_E_NS1_11comp_targetILNS1_3genE9ELNS1_11target_archE1100ELNS1_3gpuE3ELNS1_3repE0EEENS1_30default_config_static_selectorELNS0_4arch9wavefront6targetE1EEEvSV_, .Lfunc_end781-_ZN7rocprim17ROCPRIM_400000_NS6detail17trampoline_kernelINS0_13select_configILj256ELj13ELNS0_17block_load_methodE3ELS4_3ELS4_3ELNS0_20block_scan_algorithmE0ELj4294967295EEENS1_25partition_config_selectorILNS1_17partition_subalgoE3EjNS0_10empty_typeEbEEZZNS1_14partition_implILS8_3ELb0ES6_jNS0_17counting_iteratorIjlEEPS9_SE_NS0_5tupleIJPjSE_EEENSF_IJSE_SE_EEES9_SG_JZNS1_25segmented_radix_sort_implINS0_14default_configELb0EPKlPlSM_SN_N2at6native12_GLOBAL__N_18offset_tEEE10hipError_tPvRmT1_PNSt15iterator_traitsISV_E10value_typeET2_T3_PNSW_IS11_E10value_typeET4_jRbjT5_S17_jjP12ihipStream_tbEUljE_EEESS_ST_SU_S11_S15_S17_T6_T7_T9_mT8_S19_bDpT10_ENKUlT_T0_E_clISt17integral_constantIbLb0EES1M_EEDaS1H_S1I_EUlS1H_E_NS1_11comp_targetILNS1_3genE9ELNS1_11target_archE1100ELNS1_3gpuE3ELNS1_3repE0EEENS1_30default_config_static_selectorELNS0_4arch9wavefront6targetE1EEEvSV_
                                        ; -- End function
	.section	.AMDGPU.csdata,"",@progbits
; Kernel info:
; codeLenInByte = 0
; NumSgprs: 4
; NumVgprs: 0
; NumAgprs: 0
; TotalNumVgprs: 0
; ScratchSize: 0
; MemoryBound: 0
; FloatMode: 240
; IeeeMode: 1
; LDSByteSize: 0 bytes/workgroup (compile time only)
; SGPRBlocks: 0
; VGPRBlocks: 0
; NumSGPRsForWavesPerEU: 4
; NumVGPRsForWavesPerEU: 1
; AccumOffset: 4
; Occupancy: 8
; WaveLimiterHint : 0
; COMPUTE_PGM_RSRC2:SCRATCH_EN: 0
; COMPUTE_PGM_RSRC2:USER_SGPR: 6
; COMPUTE_PGM_RSRC2:TRAP_HANDLER: 0
; COMPUTE_PGM_RSRC2:TGID_X_EN: 1
; COMPUTE_PGM_RSRC2:TGID_Y_EN: 0
; COMPUTE_PGM_RSRC2:TGID_Z_EN: 0
; COMPUTE_PGM_RSRC2:TIDIG_COMP_CNT: 0
; COMPUTE_PGM_RSRC3_GFX90A:ACCUM_OFFSET: 0
; COMPUTE_PGM_RSRC3_GFX90A:TG_SPLIT: 0
	.section	.text._ZN7rocprim17ROCPRIM_400000_NS6detail17trampoline_kernelINS0_13select_configILj256ELj13ELNS0_17block_load_methodE3ELS4_3ELS4_3ELNS0_20block_scan_algorithmE0ELj4294967295EEENS1_25partition_config_selectorILNS1_17partition_subalgoE3EjNS0_10empty_typeEbEEZZNS1_14partition_implILS8_3ELb0ES6_jNS0_17counting_iteratorIjlEEPS9_SE_NS0_5tupleIJPjSE_EEENSF_IJSE_SE_EEES9_SG_JZNS1_25segmented_radix_sort_implINS0_14default_configELb0EPKlPlSM_SN_N2at6native12_GLOBAL__N_18offset_tEEE10hipError_tPvRmT1_PNSt15iterator_traitsISV_E10value_typeET2_T3_PNSW_IS11_E10value_typeET4_jRbjT5_S17_jjP12ihipStream_tbEUljE_EEESS_ST_SU_S11_S15_S17_T6_T7_T9_mT8_S19_bDpT10_ENKUlT_T0_E_clISt17integral_constantIbLb0EES1M_EEDaS1H_S1I_EUlS1H_E_NS1_11comp_targetILNS1_3genE8ELNS1_11target_archE1030ELNS1_3gpuE2ELNS1_3repE0EEENS1_30default_config_static_selectorELNS0_4arch9wavefront6targetE1EEEvSV_,"axG",@progbits,_ZN7rocprim17ROCPRIM_400000_NS6detail17trampoline_kernelINS0_13select_configILj256ELj13ELNS0_17block_load_methodE3ELS4_3ELS4_3ELNS0_20block_scan_algorithmE0ELj4294967295EEENS1_25partition_config_selectorILNS1_17partition_subalgoE3EjNS0_10empty_typeEbEEZZNS1_14partition_implILS8_3ELb0ES6_jNS0_17counting_iteratorIjlEEPS9_SE_NS0_5tupleIJPjSE_EEENSF_IJSE_SE_EEES9_SG_JZNS1_25segmented_radix_sort_implINS0_14default_configELb0EPKlPlSM_SN_N2at6native12_GLOBAL__N_18offset_tEEE10hipError_tPvRmT1_PNSt15iterator_traitsISV_E10value_typeET2_T3_PNSW_IS11_E10value_typeET4_jRbjT5_S17_jjP12ihipStream_tbEUljE_EEESS_ST_SU_S11_S15_S17_T6_T7_T9_mT8_S19_bDpT10_ENKUlT_T0_E_clISt17integral_constantIbLb0EES1M_EEDaS1H_S1I_EUlS1H_E_NS1_11comp_targetILNS1_3genE8ELNS1_11target_archE1030ELNS1_3gpuE2ELNS1_3repE0EEENS1_30default_config_static_selectorELNS0_4arch9wavefront6targetE1EEEvSV_,comdat
	.globl	_ZN7rocprim17ROCPRIM_400000_NS6detail17trampoline_kernelINS0_13select_configILj256ELj13ELNS0_17block_load_methodE3ELS4_3ELS4_3ELNS0_20block_scan_algorithmE0ELj4294967295EEENS1_25partition_config_selectorILNS1_17partition_subalgoE3EjNS0_10empty_typeEbEEZZNS1_14partition_implILS8_3ELb0ES6_jNS0_17counting_iteratorIjlEEPS9_SE_NS0_5tupleIJPjSE_EEENSF_IJSE_SE_EEES9_SG_JZNS1_25segmented_radix_sort_implINS0_14default_configELb0EPKlPlSM_SN_N2at6native12_GLOBAL__N_18offset_tEEE10hipError_tPvRmT1_PNSt15iterator_traitsISV_E10value_typeET2_T3_PNSW_IS11_E10value_typeET4_jRbjT5_S17_jjP12ihipStream_tbEUljE_EEESS_ST_SU_S11_S15_S17_T6_T7_T9_mT8_S19_bDpT10_ENKUlT_T0_E_clISt17integral_constantIbLb0EES1M_EEDaS1H_S1I_EUlS1H_E_NS1_11comp_targetILNS1_3genE8ELNS1_11target_archE1030ELNS1_3gpuE2ELNS1_3repE0EEENS1_30default_config_static_selectorELNS0_4arch9wavefront6targetE1EEEvSV_ ; -- Begin function _ZN7rocprim17ROCPRIM_400000_NS6detail17trampoline_kernelINS0_13select_configILj256ELj13ELNS0_17block_load_methodE3ELS4_3ELS4_3ELNS0_20block_scan_algorithmE0ELj4294967295EEENS1_25partition_config_selectorILNS1_17partition_subalgoE3EjNS0_10empty_typeEbEEZZNS1_14partition_implILS8_3ELb0ES6_jNS0_17counting_iteratorIjlEEPS9_SE_NS0_5tupleIJPjSE_EEENSF_IJSE_SE_EEES9_SG_JZNS1_25segmented_radix_sort_implINS0_14default_configELb0EPKlPlSM_SN_N2at6native12_GLOBAL__N_18offset_tEEE10hipError_tPvRmT1_PNSt15iterator_traitsISV_E10value_typeET2_T3_PNSW_IS11_E10value_typeET4_jRbjT5_S17_jjP12ihipStream_tbEUljE_EEESS_ST_SU_S11_S15_S17_T6_T7_T9_mT8_S19_bDpT10_ENKUlT_T0_E_clISt17integral_constantIbLb0EES1M_EEDaS1H_S1I_EUlS1H_E_NS1_11comp_targetILNS1_3genE8ELNS1_11target_archE1030ELNS1_3gpuE2ELNS1_3repE0EEENS1_30default_config_static_selectorELNS0_4arch9wavefront6targetE1EEEvSV_
	.p2align	8
	.type	_ZN7rocprim17ROCPRIM_400000_NS6detail17trampoline_kernelINS0_13select_configILj256ELj13ELNS0_17block_load_methodE3ELS4_3ELS4_3ELNS0_20block_scan_algorithmE0ELj4294967295EEENS1_25partition_config_selectorILNS1_17partition_subalgoE3EjNS0_10empty_typeEbEEZZNS1_14partition_implILS8_3ELb0ES6_jNS0_17counting_iteratorIjlEEPS9_SE_NS0_5tupleIJPjSE_EEENSF_IJSE_SE_EEES9_SG_JZNS1_25segmented_radix_sort_implINS0_14default_configELb0EPKlPlSM_SN_N2at6native12_GLOBAL__N_18offset_tEEE10hipError_tPvRmT1_PNSt15iterator_traitsISV_E10value_typeET2_T3_PNSW_IS11_E10value_typeET4_jRbjT5_S17_jjP12ihipStream_tbEUljE_EEESS_ST_SU_S11_S15_S17_T6_T7_T9_mT8_S19_bDpT10_ENKUlT_T0_E_clISt17integral_constantIbLb0EES1M_EEDaS1H_S1I_EUlS1H_E_NS1_11comp_targetILNS1_3genE8ELNS1_11target_archE1030ELNS1_3gpuE2ELNS1_3repE0EEENS1_30default_config_static_selectorELNS0_4arch9wavefront6targetE1EEEvSV_,@function
_ZN7rocprim17ROCPRIM_400000_NS6detail17trampoline_kernelINS0_13select_configILj256ELj13ELNS0_17block_load_methodE3ELS4_3ELS4_3ELNS0_20block_scan_algorithmE0ELj4294967295EEENS1_25partition_config_selectorILNS1_17partition_subalgoE3EjNS0_10empty_typeEbEEZZNS1_14partition_implILS8_3ELb0ES6_jNS0_17counting_iteratorIjlEEPS9_SE_NS0_5tupleIJPjSE_EEENSF_IJSE_SE_EEES9_SG_JZNS1_25segmented_radix_sort_implINS0_14default_configELb0EPKlPlSM_SN_N2at6native12_GLOBAL__N_18offset_tEEE10hipError_tPvRmT1_PNSt15iterator_traitsISV_E10value_typeET2_T3_PNSW_IS11_E10value_typeET4_jRbjT5_S17_jjP12ihipStream_tbEUljE_EEESS_ST_SU_S11_S15_S17_T6_T7_T9_mT8_S19_bDpT10_ENKUlT_T0_E_clISt17integral_constantIbLb0EES1M_EEDaS1H_S1I_EUlS1H_E_NS1_11comp_targetILNS1_3genE8ELNS1_11target_archE1030ELNS1_3gpuE2ELNS1_3repE0EEENS1_30default_config_static_selectorELNS0_4arch9wavefront6targetE1EEEvSV_: ; @_ZN7rocprim17ROCPRIM_400000_NS6detail17trampoline_kernelINS0_13select_configILj256ELj13ELNS0_17block_load_methodE3ELS4_3ELS4_3ELNS0_20block_scan_algorithmE0ELj4294967295EEENS1_25partition_config_selectorILNS1_17partition_subalgoE3EjNS0_10empty_typeEbEEZZNS1_14partition_implILS8_3ELb0ES6_jNS0_17counting_iteratorIjlEEPS9_SE_NS0_5tupleIJPjSE_EEENSF_IJSE_SE_EEES9_SG_JZNS1_25segmented_radix_sort_implINS0_14default_configELb0EPKlPlSM_SN_N2at6native12_GLOBAL__N_18offset_tEEE10hipError_tPvRmT1_PNSt15iterator_traitsISV_E10value_typeET2_T3_PNSW_IS11_E10value_typeET4_jRbjT5_S17_jjP12ihipStream_tbEUljE_EEESS_ST_SU_S11_S15_S17_T6_T7_T9_mT8_S19_bDpT10_ENKUlT_T0_E_clISt17integral_constantIbLb0EES1M_EEDaS1H_S1I_EUlS1H_E_NS1_11comp_targetILNS1_3genE8ELNS1_11target_archE1030ELNS1_3gpuE2ELNS1_3repE0EEENS1_30default_config_static_selectorELNS0_4arch9wavefront6targetE1EEEvSV_
; %bb.0:
	.section	.rodata,"a",@progbits
	.p2align	6, 0x0
	.amdhsa_kernel _ZN7rocprim17ROCPRIM_400000_NS6detail17trampoline_kernelINS0_13select_configILj256ELj13ELNS0_17block_load_methodE3ELS4_3ELS4_3ELNS0_20block_scan_algorithmE0ELj4294967295EEENS1_25partition_config_selectorILNS1_17partition_subalgoE3EjNS0_10empty_typeEbEEZZNS1_14partition_implILS8_3ELb0ES6_jNS0_17counting_iteratorIjlEEPS9_SE_NS0_5tupleIJPjSE_EEENSF_IJSE_SE_EEES9_SG_JZNS1_25segmented_radix_sort_implINS0_14default_configELb0EPKlPlSM_SN_N2at6native12_GLOBAL__N_18offset_tEEE10hipError_tPvRmT1_PNSt15iterator_traitsISV_E10value_typeET2_T3_PNSW_IS11_E10value_typeET4_jRbjT5_S17_jjP12ihipStream_tbEUljE_EEESS_ST_SU_S11_S15_S17_T6_T7_T9_mT8_S19_bDpT10_ENKUlT_T0_E_clISt17integral_constantIbLb0EES1M_EEDaS1H_S1I_EUlS1H_E_NS1_11comp_targetILNS1_3genE8ELNS1_11target_archE1030ELNS1_3gpuE2ELNS1_3repE0EEENS1_30default_config_static_selectorELNS0_4arch9wavefront6targetE1EEEvSV_
		.amdhsa_group_segment_fixed_size 0
		.amdhsa_private_segment_fixed_size 0
		.amdhsa_kernarg_size 144
		.amdhsa_user_sgpr_count 6
		.amdhsa_user_sgpr_private_segment_buffer 1
		.amdhsa_user_sgpr_dispatch_ptr 0
		.amdhsa_user_sgpr_queue_ptr 0
		.amdhsa_user_sgpr_kernarg_segment_ptr 1
		.amdhsa_user_sgpr_dispatch_id 0
		.amdhsa_user_sgpr_flat_scratch_init 0
		.amdhsa_user_sgpr_kernarg_preload_length 0
		.amdhsa_user_sgpr_kernarg_preload_offset 0
		.amdhsa_user_sgpr_private_segment_size 0
		.amdhsa_uses_dynamic_stack 0
		.amdhsa_system_sgpr_private_segment_wavefront_offset 0
		.amdhsa_system_sgpr_workgroup_id_x 1
		.amdhsa_system_sgpr_workgroup_id_y 0
		.amdhsa_system_sgpr_workgroup_id_z 0
		.amdhsa_system_sgpr_workgroup_info 0
		.amdhsa_system_vgpr_workitem_id 0
		.amdhsa_next_free_vgpr 1
		.amdhsa_next_free_sgpr 0
		.amdhsa_accum_offset 4
		.amdhsa_reserve_vcc 0
		.amdhsa_reserve_flat_scratch 0
		.amdhsa_float_round_mode_32 0
		.amdhsa_float_round_mode_16_64 0
		.amdhsa_float_denorm_mode_32 3
		.amdhsa_float_denorm_mode_16_64 3
		.amdhsa_dx10_clamp 1
		.amdhsa_ieee_mode 1
		.amdhsa_fp16_overflow 0
		.amdhsa_tg_split 0
		.amdhsa_exception_fp_ieee_invalid_op 0
		.amdhsa_exception_fp_denorm_src 0
		.amdhsa_exception_fp_ieee_div_zero 0
		.amdhsa_exception_fp_ieee_overflow 0
		.amdhsa_exception_fp_ieee_underflow 0
		.amdhsa_exception_fp_ieee_inexact 0
		.amdhsa_exception_int_div_zero 0
	.end_amdhsa_kernel
	.section	.text._ZN7rocprim17ROCPRIM_400000_NS6detail17trampoline_kernelINS0_13select_configILj256ELj13ELNS0_17block_load_methodE3ELS4_3ELS4_3ELNS0_20block_scan_algorithmE0ELj4294967295EEENS1_25partition_config_selectorILNS1_17partition_subalgoE3EjNS0_10empty_typeEbEEZZNS1_14partition_implILS8_3ELb0ES6_jNS0_17counting_iteratorIjlEEPS9_SE_NS0_5tupleIJPjSE_EEENSF_IJSE_SE_EEES9_SG_JZNS1_25segmented_radix_sort_implINS0_14default_configELb0EPKlPlSM_SN_N2at6native12_GLOBAL__N_18offset_tEEE10hipError_tPvRmT1_PNSt15iterator_traitsISV_E10value_typeET2_T3_PNSW_IS11_E10value_typeET4_jRbjT5_S17_jjP12ihipStream_tbEUljE_EEESS_ST_SU_S11_S15_S17_T6_T7_T9_mT8_S19_bDpT10_ENKUlT_T0_E_clISt17integral_constantIbLb0EES1M_EEDaS1H_S1I_EUlS1H_E_NS1_11comp_targetILNS1_3genE8ELNS1_11target_archE1030ELNS1_3gpuE2ELNS1_3repE0EEENS1_30default_config_static_selectorELNS0_4arch9wavefront6targetE1EEEvSV_,"axG",@progbits,_ZN7rocprim17ROCPRIM_400000_NS6detail17trampoline_kernelINS0_13select_configILj256ELj13ELNS0_17block_load_methodE3ELS4_3ELS4_3ELNS0_20block_scan_algorithmE0ELj4294967295EEENS1_25partition_config_selectorILNS1_17partition_subalgoE3EjNS0_10empty_typeEbEEZZNS1_14partition_implILS8_3ELb0ES6_jNS0_17counting_iteratorIjlEEPS9_SE_NS0_5tupleIJPjSE_EEENSF_IJSE_SE_EEES9_SG_JZNS1_25segmented_radix_sort_implINS0_14default_configELb0EPKlPlSM_SN_N2at6native12_GLOBAL__N_18offset_tEEE10hipError_tPvRmT1_PNSt15iterator_traitsISV_E10value_typeET2_T3_PNSW_IS11_E10value_typeET4_jRbjT5_S17_jjP12ihipStream_tbEUljE_EEESS_ST_SU_S11_S15_S17_T6_T7_T9_mT8_S19_bDpT10_ENKUlT_T0_E_clISt17integral_constantIbLb0EES1M_EEDaS1H_S1I_EUlS1H_E_NS1_11comp_targetILNS1_3genE8ELNS1_11target_archE1030ELNS1_3gpuE2ELNS1_3repE0EEENS1_30default_config_static_selectorELNS0_4arch9wavefront6targetE1EEEvSV_,comdat
.Lfunc_end782:
	.size	_ZN7rocprim17ROCPRIM_400000_NS6detail17trampoline_kernelINS0_13select_configILj256ELj13ELNS0_17block_load_methodE3ELS4_3ELS4_3ELNS0_20block_scan_algorithmE0ELj4294967295EEENS1_25partition_config_selectorILNS1_17partition_subalgoE3EjNS0_10empty_typeEbEEZZNS1_14partition_implILS8_3ELb0ES6_jNS0_17counting_iteratorIjlEEPS9_SE_NS0_5tupleIJPjSE_EEENSF_IJSE_SE_EEES9_SG_JZNS1_25segmented_radix_sort_implINS0_14default_configELb0EPKlPlSM_SN_N2at6native12_GLOBAL__N_18offset_tEEE10hipError_tPvRmT1_PNSt15iterator_traitsISV_E10value_typeET2_T3_PNSW_IS11_E10value_typeET4_jRbjT5_S17_jjP12ihipStream_tbEUljE_EEESS_ST_SU_S11_S15_S17_T6_T7_T9_mT8_S19_bDpT10_ENKUlT_T0_E_clISt17integral_constantIbLb0EES1M_EEDaS1H_S1I_EUlS1H_E_NS1_11comp_targetILNS1_3genE8ELNS1_11target_archE1030ELNS1_3gpuE2ELNS1_3repE0EEENS1_30default_config_static_selectorELNS0_4arch9wavefront6targetE1EEEvSV_, .Lfunc_end782-_ZN7rocprim17ROCPRIM_400000_NS6detail17trampoline_kernelINS0_13select_configILj256ELj13ELNS0_17block_load_methodE3ELS4_3ELS4_3ELNS0_20block_scan_algorithmE0ELj4294967295EEENS1_25partition_config_selectorILNS1_17partition_subalgoE3EjNS0_10empty_typeEbEEZZNS1_14partition_implILS8_3ELb0ES6_jNS0_17counting_iteratorIjlEEPS9_SE_NS0_5tupleIJPjSE_EEENSF_IJSE_SE_EEES9_SG_JZNS1_25segmented_radix_sort_implINS0_14default_configELb0EPKlPlSM_SN_N2at6native12_GLOBAL__N_18offset_tEEE10hipError_tPvRmT1_PNSt15iterator_traitsISV_E10value_typeET2_T3_PNSW_IS11_E10value_typeET4_jRbjT5_S17_jjP12ihipStream_tbEUljE_EEESS_ST_SU_S11_S15_S17_T6_T7_T9_mT8_S19_bDpT10_ENKUlT_T0_E_clISt17integral_constantIbLb0EES1M_EEDaS1H_S1I_EUlS1H_E_NS1_11comp_targetILNS1_3genE8ELNS1_11target_archE1030ELNS1_3gpuE2ELNS1_3repE0EEENS1_30default_config_static_selectorELNS0_4arch9wavefront6targetE1EEEvSV_
                                        ; -- End function
	.section	.AMDGPU.csdata,"",@progbits
; Kernel info:
; codeLenInByte = 0
; NumSgprs: 4
; NumVgprs: 0
; NumAgprs: 0
; TotalNumVgprs: 0
; ScratchSize: 0
; MemoryBound: 0
; FloatMode: 240
; IeeeMode: 1
; LDSByteSize: 0 bytes/workgroup (compile time only)
; SGPRBlocks: 0
; VGPRBlocks: 0
; NumSGPRsForWavesPerEU: 4
; NumVGPRsForWavesPerEU: 1
; AccumOffset: 4
; Occupancy: 8
; WaveLimiterHint : 0
; COMPUTE_PGM_RSRC2:SCRATCH_EN: 0
; COMPUTE_PGM_RSRC2:USER_SGPR: 6
; COMPUTE_PGM_RSRC2:TRAP_HANDLER: 0
; COMPUTE_PGM_RSRC2:TGID_X_EN: 1
; COMPUTE_PGM_RSRC2:TGID_Y_EN: 0
; COMPUTE_PGM_RSRC2:TGID_Z_EN: 0
; COMPUTE_PGM_RSRC2:TIDIG_COMP_CNT: 0
; COMPUTE_PGM_RSRC3_GFX90A:ACCUM_OFFSET: 0
; COMPUTE_PGM_RSRC3_GFX90A:TG_SPLIT: 0
	.section	.text._ZN7rocprim17ROCPRIM_400000_NS6detail17trampoline_kernelINS0_13select_configILj256ELj13ELNS0_17block_load_methodE3ELS4_3ELS4_3ELNS0_20block_scan_algorithmE0ELj4294967295EEENS1_25partition_config_selectorILNS1_17partition_subalgoE3EjNS0_10empty_typeEbEEZZNS1_14partition_implILS8_3ELb0ES6_jNS0_17counting_iteratorIjlEEPS9_SE_NS0_5tupleIJPjSE_EEENSF_IJSE_SE_EEES9_SG_JZNS1_25segmented_radix_sort_implINS0_14default_configELb0EPKlPlSM_SN_N2at6native12_GLOBAL__N_18offset_tEEE10hipError_tPvRmT1_PNSt15iterator_traitsISV_E10value_typeET2_T3_PNSW_IS11_E10value_typeET4_jRbjT5_S17_jjP12ihipStream_tbEUljE_EEESS_ST_SU_S11_S15_S17_T6_T7_T9_mT8_S19_bDpT10_ENKUlT_T0_E_clISt17integral_constantIbLb1EES1M_EEDaS1H_S1I_EUlS1H_E_NS1_11comp_targetILNS1_3genE0ELNS1_11target_archE4294967295ELNS1_3gpuE0ELNS1_3repE0EEENS1_30default_config_static_selectorELNS0_4arch9wavefront6targetE1EEEvSV_,"axG",@progbits,_ZN7rocprim17ROCPRIM_400000_NS6detail17trampoline_kernelINS0_13select_configILj256ELj13ELNS0_17block_load_methodE3ELS4_3ELS4_3ELNS0_20block_scan_algorithmE0ELj4294967295EEENS1_25partition_config_selectorILNS1_17partition_subalgoE3EjNS0_10empty_typeEbEEZZNS1_14partition_implILS8_3ELb0ES6_jNS0_17counting_iteratorIjlEEPS9_SE_NS0_5tupleIJPjSE_EEENSF_IJSE_SE_EEES9_SG_JZNS1_25segmented_radix_sort_implINS0_14default_configELb0EPKlPlSM_SN_N2at6native12_GLOBAL__N_18offset_tEEE10hipError_tPvRmT1_PNSt15iterator_traitsISV_E10value_typeET2_T3_PNSW_IS11_E10value_typeET4_jRbjT5_S17_jjP12ihipStream_tbEUljE_EEESS_ST_SU_S11_S15_S17_T6_T7_T9_mT8_S19_bDpT10_ENKUlT_T0_E_clISt17integral_constantIbLb1EES1M_EEDaS1H_S1I_EUlS1H_E_NS1_11comp_targetILNS1_3genE0ELNS1_11target_archE4294967295ELNS1_3gpuE0ELNS1_3repE0EEENS1_30default_config_static_selectorELNS0_4arch9wavefront6targetE1EEEvSV_,comdat
	.globl	_ZN7rocprim17ROCPRIM_400000_NS6detail17trampoline_kernelINS0_13select_configILj256ELj13ELNS0_17block_load_methodE3ELS4_3ELS4_3ELNS0_20block_scan_algorithmE0ELj4294967295EEENS1_25partition_config_selectorILNS1_17partition_subalgoE3EjNS0_10empty_typeEbEEZZNS1_14partition_implILS8_3ELb0ES6_jNS0_17counting_iteratorIjlEEPS9_SE_NS0_5tupleIJPjSE_EEENSF_IJSE_SE_EEES9_SG_JZNS1_25segmented_radix_sort_implINS0_14default_configELb0EPKlPlSM_SN_N2at6native12_GLOBAL__N_18offset_tEEE10hipError_tPvRmT1_PNSt15iterator_traitsISV_E10value_typeET2_T3_PNSW_IS11_E10value_typeET4_jRbjT5_S17_jjP12ihipStream_tbEUljE_EEESS_ST_SU_S11_S15_S17_T6_T7_T9_mT8_S19_bDpT10_ENKUlT_T0_E_clISt17integral_constantIbLb1EES1M_EEDaS1H_S1I_EUlS1H_E_NS1_11comp_targetILNS1_3genE0ELNS1_11target_archE4294967295ELNS1_3gpuE0ELNS1_3repE0EEENS1_30default_config_static_selectorELNS0_4arch9wavefront6targetE1EEEvSV_ ; -- Begin function _ZN7rocprim17ROCPRIM_400000_NS6detail17trampoline_kernelINS0_13select_configILj256ELj13ELNS0_17block_load_methodE3ELS4_3ELS4_3ELNS0_20block_scan_algorithmE0ELj4294967295EEENS1_25partition_config_selectorILNS1_17partition_subalgoE3EjNS0_10empty_typeEbEEZZNS1_14partition_implILS8_3ELb0ES6_jNS0_17counting_iteratorIjlEEPS9_SE_NS0_5tupleIJPjSE_EEENSF_IJSE_SE_EEES9_SG_JZNS1_25segmented_radix_sort_implINS0_14default_configELb0EPKlPlSM_SN_N2at6native12_GLOBAL__N_18offset_tEEE10hipError_tPvRmT1_PNSt15iterator_traitsISV_E10value_typeET2_T3_PNSW_IS11_E10value_typeET4_jRbjT5_S17_jjP12ihipStream_tbEUljE_EEESS_ST_SU_S11_S15_S17_T6_T7_T9_mT8_S19_bDpT10_ENKUlT_T0_E_clISt17integral_constantIbLb1EES1M_EEDaS1H_S1I_EUlS1H_E_NS1_11comp_targetILNS1_3genE0ELNS1_11target_archE4294967295ELNS1_3gpuE0ELNS1_3repE0EEENS1_30default_config_static_selectorELNS0_4arch9wavefront6targetE1EEEvSV_
	.p2align	8
	.type	_ZN7rocprim17ROCPRIM_400000_NS6detail17trampoline_kernelINS0_13select_configILj256ELj13ELNS0_17block_load_methodE3ELS4_3ELS4_3ELNS0_20block_scan_algorithmE0ELj4294967295EEENS1_25partition_config_selectorILNS1_17partition_subalgoE3EjNS0_10empty_typeEbEEZZNS1_14partition_implILS8_3ELb0ES6_jNS0_17counting_iteratorIjlEEPS9_SE_NS0_5tupleIJPjSE_EEENSF_IJSE_SE_EEES9_SG_JZNS1_25segmented_radix_sort_implINS0_14default_configELb0EPKlPlSM_SN_N2at6native12_GLOBAL__N_18offset_tEEE10hipError_tPvRmT1_PNSt15iterator_traitsISV_E10value_typeET2_T3_PNSW_IS11_E10value_typeET4_jRbjT5_S17_jjP12ihipStream_tbEUljE_EEESS_ST_SU_S11_S15_S17_T6_T7_T9_mT8_S19_bDpT10_ENKUlT_T0_E_clISt17integral_constantIbLb1EES1M_EEDaS1H_S1I_EUlS1H_E_NS1_11comp_targetILNS1_3genE0ELNS1_11target_archE4294967295ELNS1_3gpuE0ELNS1_3repE0EEENS1_30default_config_static_selectorELNS0_4arch9wavefront6targetE1EEEvSV_,@function
_ZN7rocprim17ROCPRIM_400000_NS6detail17trampoline_kernelINS0_13select_configILj256ELj13ELNS0_17block_load_methodE3ELS4_3ELS4_3ELNS0_20block_scan_algorithmE0ELj4294967295EEENS1_25partition_config_selectorILNS1_17partition_subalgoE3EjNS0_10empty_typeEbEEZZNS1_14partition_implILS8_3ELb0ES6_jNS0_17counting_iteratorIjlEEPS9_SE_NS0_5tupleIJPjSE_EEENSF_IJSE_SE_EEES9_SG_JZNS1_25segmented_radix_sort_implINS0_14default_configELb0EPKlPlSM_SN_N2at6native12_GLOBAL__N_18offset_tEEE10hipError_tPvRmT1_PNSt15iterator_traitsISV_E10value_typeET2_T3_PNSW_IS11_E10value_typeET4_jRbjT5_S17_jjP12ihipStream_tbEUljE_EEESS_ST_SU_S11_S15_S17_T6_T7_T9_mT8_S19_bDpT10_ENKUlT_T0_E_clISt17integral_constantIbLb1EES1M_EEDaS1H_S1I_EUlS1H_E_NS1_11comp_targetILNS1_3genE0ELNS1_11target_archE4294967295ELNS1_3gpuE0ELNS1_3repE0EEENS1_30default_config_static_selectorELNS0_4arch9wavefront6targetE1EEEvSV_: ; @_ZN7rocprim17ROCPRIM_400000_NS6detail17trampoline_kernelINS0_13select_configILj256ELj13ELNS0_17block_load_methodE3ELS4_3ELS4_3ELNS0_20block_scan_algorithmE0ELj4294967295EEENS1_25partition_config_selectorILNS1_17partition_subalgoE3EjNS0_10empty_typeEbEEZZNS1_14partition_implILS8_3ELb0ES6_jNS0_17counting_iteratorIjlEEPS9_SE_NS0_5tupleIJPjSE_EEENSF_IJSE_SE_EEES9_SG_JZNS1_25segmented_radix_sort_implINS0_14default_configELb0EPKlPlSM_SN_N2at6native12_GLOBAL__N_18offset_tEEE10hipError_tPvRmT1_PNSt15iterator_traitsISV_E10value_typeET2_T3_PNSW_IS11_E10value_typeET4_jRbjT5_S17_jjP12ihipStream_tbEUljE_EEESS_ST_SU_S11_S15_S17_T6_T7_T9_mT8_S19_bDpT10_ENKUlT_T0_E_clISt17integral_constantIbLb1EES1M_EEDaS1H_S1I_EUlS1H_E_NS1_11comp_targetILNS1_3genE0ELNS1_11target_archE4294967295ELNS1_3gpuE0ELNS1_3repE0EEENS1_30default_config_static_selectorELNS0_4arch9wavefront6targetE1EEEvSV_
; %bb.0:
	.section	.rodata,"a",@progbits
	.p2align	6, 0x0
	.amdhsa_kernel _ZN7rocprim17ROCPRIM_400000_NS6detail17trampoline_kernelINS0_13select_configILj256ELj13ELNS0_17block_load_methodE3ELS4_3ELS4_3ELNS0_20block_scan_algorithmE0ELj4294967295EEENS1_25partition_config_selectorILNS1_17partition_subalgoE3EjNS0_10empty_typeEbEEZZNS1_14partition_implILS8_3ELb0ES6_jNS0_17counting_iteratorIjlEEPS9_SE_NS0_5tupleIJPjSE_EEENSF_IJSE_SE_EEES9_SG_JZNS1_25segmented_radix_sort_implINS0_14default_configELb0EPKlPlSM_SN_N2at6native12_GLOBAL__N_18offset_tEEE10hipError_tPvRmT1_PNSt15iterator_traitsISV_E10value_typeET2_T3_PNSW_IS11_E10value_typeET4_jRbjT5_S17_jjP12ihipStream_tbEUljE_EEESS_ST_SU_S11_S15_S17_T6_T7_T9_mT8_S19_bDpT10_ENKUlT_T0_E_clISt17integral_constantIbLb1EES1M_EEDaS1H_S1I_EUlS1H_E_NS1_11comp_targetILNS1_3genE0ELNS1_11target_archE4294967295ELNS1_3gpuE0ELNS1_3repE0EEENS1_30default_config_static_selectorELNS0_4arch9wavefront6targetE1EEEvSV_
		.amdhsa_group_segment_fixed_size 0
		.amdhsa_private_segment_fixed_size 0
		.amdhsa_kernarg_size 152
		.amdhsa_user_sgpr_count 6
		.amdhsa_user_sgpr_private_segment_buffer 1
		.amdhsa_user_sgpr_dispatch_ptr 0
		.amdhsa_user_sgpr_queue_ptr 0
		.amdhsa_user_sgpr_kernarg_segment_ptr 1
		.amdhsa_user_sgpr_dispatch_id 0
		.amdhsa_user_sgpr_flat_scratch_init 0
		.amdhsa_user_sgpr_kernarg_preload_length 0
		.amdhsa_user_sgpr_kernarg_preload_offset 0
		.amdhsa_user_sgpr_private_segment_size 0
		.amdhsa_uses_dynamic_stack 0
		.amdhsa_system_sgpr_private_segment_wavefront_offset 0
		.amdhsa_system_sgpr_workgroup_id_x 1
		.amdhsa_system_sgpr_workgroup_id_y 0
		.amdhsa_system_sgpr_workgroup_id_z 0
		.amdhsa_system_sgpr_workgroup_info 0
		.amdhsa_system_vgpr_workitem_id 0
		.amdhsa_next_free_vgpr 1
		.amdhsa_next_free_sgpr 0
		.amdhsa_accum_offset 4
		.amdhsa_reserve_vcc 0
		.amdhsa_reserve_flat_scratch 0
		.amdhsa_float_round_mode_32 0
		.amdhsa_float_round_mode_16_64 0
		.amdhsa_float_denorm_mode_32 3
		.amdhsa_float_denorm_mode_16_64 3
		.amdhsa_dx10_clamp 1
		.amdhsa_ieee_mode 1
		.amdhsa_fp16_overflow 0
		.amdhsa_tg_split 0
		.amdhsa_exception_fp_ieee_invalid_op 0
		.amdhsa_exception_fp_denorm_src 0
		.amdhsa_exception_fp_ieee_div_zero 0
		.amdhsa_exception_fp_ieee_overflow 0
		.amdhsa_exception_fp_ieee_underflow 0
		.amdhsa_exception_fp_ieee_inexact 0
		.amdhsa_exception_int_div_zero 0
	.end_amdhsa_kernel
	.section	.text._ZN7rocprim17ROCPRIM_400000_NS6detail17trampoline_kernelINS0_13select_configILj256ELj13ELNS0_17block_load_methodE3ELS4_3ELS4_3ELNS0_20block_scan_algorithmE0ELj4294967295EEENS1_25partition_config_selectorILNS1_17partition_subalgoE3EjNS0_10empty_typeEbEEZZNS1_14partition_implILS8_3ELb0ES6_jNS0_17counting_iteratorIjlEEPS9_SE_NS0_5tupleIJPjSE_EEENSF_IJSE_SE_EEES9_SG_JZNS1_25segmented_radix_sort_implINS0_14default_configELb0EPKlPlSM_SN_N2at6native12_GLOBAL__N_18offset_tEEE10hipError_tPvRmT1_PNSt15iterator_traitsISV_E10value_typeET2_T3_PNSW_IS11_E10value_typeET4_jRbjT5_S17_jjP12ihipStream_tbEUljE_EEESS_ST_SU_S11_S15_S17_T6_T7_T9_mT8_S19_bDpT10_ENKUlT_T0_E_clISt17integral_constantIbLb1EES1M_EEDaS1H_S1I_EUlS1H_E_NS1_11comp_targetILNS1_3genE0ELNS1_11target_archE4294967295ELNS1_3gpuE0ELNS1_3repE0EEENS1_30default_config_static_selectorELNS0_4arch9wavefront6targetE1EEEvSV_,"axG",@progbits,_ZN7rocprim17ROCPRIM_400000_NS6detail17trampoline_kernelINS0_13select_configILj256ELj13ELNS0_17block_load_methodE3ELS4_3ELS4_3ELNS0_20block_scan_algorithmE0ELj4294967295EEENS1_25partition_config_selectorILNS1_17partition_subalgoE3EjNS0_10empty_typeEbEEZZNS1_14partition_implILS8_3ELb0ES6_jNS0_17counting_iteratorIjlEEPS9_SE_NS0_5tupleIJPjSE_EEENSF_IJSE_SE_EEES9_SG_JZNS1_25segmented_radix_sort_implINS0_14default_configELb0EPKlPlSM_SN_N2at6native12_GLOBAL__N_18offset_tEEE10hipError_tPvRmT1_PNSt15iterator_traitsISV_E10value_typeET2_T3_PNSW_IS11_E10value_typeET4_jRbjT5_S17_jjP12ihipStream_tbEUljE_EEESS_ST_SU_S11_S15_S17_T6_T7_T9_mT8_S19_bDpT10_ENKUlT_T0_E_clISt17integral_constantIbLb1EES1M_EEDaS1H_S1I_EUlS1H_E_NS1_11comp_targetILNS1_3genE0ELNS1_11target_archE4294967295ELNS1_3gpuE0ELNS1_3repE0EEENS1_30default_config_static_selectorELNS0_4arch9wavefront6targetE1EEEvSV_,comdat
.Lfunc_end783:
	.size	_ZN7rocprim17ROCPRIM_400000_NS6detail17trampoline_kernelINS0_13select_configILj256ELj13ELNS0_17block_load_methodE3ELS4_3ELS4_3ELNS0_20block_scan_algorithmE0ELj4294967295EEENS1_25partition_config_selectorILNS1_17partition_subalgoE3EjNS0_10empty_typeEbEEZZNS1_14partition_implILS8_3ELb0ES6_jNS0_17counting_iteratorIjlEEPS9_SE_NS0_5tupleIJPjSE_EEENSF_IJSE_SE_EEES9_SG_JZNS1_25segmented_radix_sort_implINS0_14default_configELb0EPKlPlSM_SN_N2at6native12_GLOBAL__N_18offset_tEEE10hipError_tPvRmT1_PNSt15iterator_traitsISV_E10value_typeET2_T3_PNSW_IS11_E10value_typeET4_jRbjT5_S17_jjP12ihipStream_tbEUljE_EEESS_ST_SU_S11_S15_S17_T6_T7_T9_mT8_S19_bDpT10_ENKUlT_T0_E_clISt17integral_constantIbLb1EES1M_EEDaS1H_S1I_EUlS1H_E_NS1_11comp_targetILNS1_3genE0ELNS1_11target_archE4294967295ELNS1_3gpuE0ELNS1_3repE0EEENS1_30default_config_static_selectorELNS0_4arch9wavefront6targetE1EEEvSV_, .Lfunc_end783-_ZN7rocprim17ROCPRIM_400000_NS6detail17trampoline_kernelINS0_13select_configILj256ELj13ELNS0_17block_load_methodE3ELS4_3ELS4_3ELNS0_20block_scan_algorithmE0ELj4294967295EEENS1_25partition_config_selectorILNS1_17partition_subalgoE3EjNS0_10empty_typeEbEEZZNS1_14partition_implILS8_3ELb0ES6_jNS0_17counting_iteratorIjlEEPS9_SE_NS0_5tupleIJPjSE_EEENSF_IJSE_SE_EEES9_SG_JZNS1_25segmented_radix_sort_implINS0_14default_configELb0EPKlPlSM_SN_N2at6native12_GLOBAL__N_18offset_tEEE10hipError_tPvRmT1_PNSt15iterator_traitsISV_E10value_typeET2_T3_PNSW_IS11_E10value_typeET4_jRbjT5_S17_jjP12ihipStream_tbEUljE_EEESS_ST_SU_S11_S15_S17_T6_T7_T9_mT8_S19_bDpT10_ENKUlT_T0_E_clISt17integral_constantIbLb1EES1M_EEDaS1H_S1I_EUlS1H_E_NS1_11comp_targetILNS1_3genE0ELNS1_11target_archE4294967295ELNS1_3gpuE0ELNS1_3repE0EEENS1_30default_config_static_selectorELNS0_4arch9wavefront6targetE1EEEvSV_
                                        ; -- End function
	.section	.AMDGPU.csdata,"",@progbits
; Kernel info:
; codeLenInByte = 0
; NumSgprs: 4
; NumVgprs: 0
; NumAgprs: 0
; TotalNumVgprs: 0
; ScratchSize: 0
; MemoryBound: 0
; FloatMode: 240
; IeeeMode: 1
; LDSByteSize: 0 bytes/workgroup (compile time only)
; SGPRBlocks: 0
; VGPRBlocks: 0
; NumSGPRsForWavesPerEU: 4
; NumVGPRsForWavesPerEU: 1
; AccumOffset: 4
; Occupancy: 8
; WaveLimiterHint : 0
; COMPUTE_PGM_RSRC2:SCRATCH_EN: 0
; COMPUTE_PGM_RSRC2:USER_SGPR: 6
; COMPUTE_PGM_RSRC2:TRAP_HANDLER: 0
; COMPUTE_PGM_RSRC2:TGID_X_EN: 1
; COMPUTE_PGM_RSRC2:TGID_Y_EN: 0
; COMPUTE_PGM_RSRC2:TGID_Z_EN: 0
; COMPUTE_PGM_RSRC2:TIDIG_COMP_CNT: 0
; COMPUTE_PGM_RSRC3_GFX90A:ACCUM_OFFSET: 0
; COMPUTE_PGM_RSRC3_GFX90A:TG_SPLIT: 0
	.section	.text._ZN7rocprim17ROCPRIM_400000_NS6detail17trampoline_kernelINS0_13select_configILj256ELj13ELNS0_17block_load_methodE3ELS4_3ELS4_3ELNS0_20block_scan_algorithmE0ELj4294967295EEENS1_25partition_config_selectorILNS1_17partition_subalgoE3EjNS0_10empty_typeEbEEZZNS1_14partition_implILS8_3ELb0ES6_jNS0_17counting_iteratorIjlEEPS9_SE_NS0_5tupleIJPjSE_EEENSF_IJSE_SE_EEES9_SG_JZNS1_25segmented_radix_sort_implINS0_14default_configELb0EPKlPlSM_SN_N2at6native12_GLOBAL__N_18offset_tEEE10hipError_tPvRmT1_PNSt15iterator_traitsISV_E10value_typeET2_T3_PNSW_IS11_E10value_typeET4_jRbjT5_S17_jjP12ihipStream_tbEUljE_EEESS_ST_SU_S11_S15_S17_T6_T7_T9_mT8_S19_bDpT10_ENKUlT_T0_E_clISt17integral_constantIbLb1EES1M_EEDaS1H_S1I_EUlS1H_E_NS1_11comp_targetILNS1_3genE5ELNS1_11target_archE942ELNS1_3gpuE9ELNS1_3repE0EEENS1_30default_config_static_selectorELNS0_4arch9wavefront6targetE1EEEvSV_,"axG",@progbits,_ZN7rocprim17ROCPRIM_400000_NS6detail17trampoline_kernelINS0_13select_configILj256ELj13ELNS0_17block_load_methodE3ELS4_3ELS4_3ELNS0_20block_scan_algorithmE0ELj4294967295EEENS1_25partition_config_selectorILNS1_17partition_subalgoE3EjNS0_10empty_typeEbEEZZNS1_14partition_implILS8_3ELb0ES6_jNS0_17counting_iteratorIjlEEPS9_SE_NS0_5tupleIJPjSE_EEENSF_IJSE_SE_EEES9_SG_JZNS1_25segmented_radix_sort_implINS0_14default_configELb0EPKlPlSM_SN_N2at6native12_GLOBAL__N_18offset_tEEE10hipError_tPvRmT1_PNSt15iterator_traitsISV_E10value_typeET2_T3_PNSW_IS11_E10value_typeET4_jRbjT5_S17_jjP12ihipStream_tbEUljE_EEESS_ST_SU_S11_S15_S17_T6_T7_T9_mT8_S19_bDpT10_ENKUlT_T0_E_clISt17integral_constantIbLb1EES1M_EEDaS1H_S1I_EUlS1H_E_NS1_11comp_targetILNS1_3genE5ELNS1_11target_archE942ELNS1_3gpuE9ELNS1_3repE0EEENS1_30default_config_static_selectorELNS0_4arch9wavefront6targetE1EEEvSV_,comdat
	.globl	_ZN7rocprim17ROCPRIM_400000_NS6detail17trampoline_kernelINS0_13select_configILj256ELj13ELNS0_17block_load_methodE3ELS4_3ELS4_3ELNS0_20block_scan_algorithmE0ELj4294967295EEENS1_25partition_config_selectorILNS1_17partition_subalgoE3EjNS0_10empty_typeEbEEZZNS1_14partition_implILS8_3ELb0ES6_jNS0_17counting_iteratorIjlEEPS9_SE_NS0_5tupleIJPjSE_EEENSF_IJSE_SE_EEES9_SG_JZNS1_25segmented_radix_sort_implINS0_14default_configELb0EPKlPlSM_SN_N2at6native12_GLOBAL__N_18offset_tEEE10hipError_tPvRmT1_PNSt15iterator_traitsISV_E10value_typeET2_T3_PNSW_IS11_E10value_typeET4_jRbjT5_S17_jjP12ihipStream_tbEUljE_EEESS_ST_SU_S11_S15_S17_T6_T7_T9_mT8_S19_bDpT10_ENKUlT_T0_E_clISt17integral_constantIbLb1EES1M_EEDaS1H_S1I_EUlS1H_E_NS1_11comp_targetILNS1_3genE5ELNS1_11target_archE942ELNS1_3gpuE9ELNS1_3repE0EEENS1_30default_config_static_selectorELNS0_4arch9wavefront6targetE1EEEvSV_ ; -- Begin function _ZN7rocprim17ROCPRIM_400000_NS6detail17trampoline_kernelINS0_13select_configILj256ELj13ELNS0_17block_load_methodE3ELS4_3ELS4_3ELNS0_20block_scan_algorithmE0ELj4294967295EEENS1_25partition_config_selectorILNS1_17partition_subalgoE3EjNS0_10empty_typeEbEEZZNS1_14partition_implILS8_3ELb0ES6_jNS0_17counting_iteratorIjlEEPS9_SE_NS0_5tupleIJPjSE_EEENSF_IJSE_SE_EEES9_SG_JZNS1_25segmented_radix_sort_implINS0_14default_configELb0EPKlPlSM_SN_N2at6native12_GLOBAL__N_18offset_tEEE10hipError_tPvRmT1_PNSt15iterator_traitsISV_E10value_typeET2_T3_PNSW_IS11_E10value_typeET4_jRbjT5_S17_jjP12ihipStream_tbEUljE_EEESS_ST_SU_S11_S15_S17_T6_T7_T9_mT8_S19_bDpT10_ENKUlT_T0_E_clISt17integral_constantIbLb1EES1M_EEDaS1H_S1I_EUlS1H_E_NS1_11comp_targetILNS1_3genE5ELNS1_11target_archE942ELNS1_3gpuE9ELNS1_3repE0EEENS1_30default_config_static_selectorELNS0_4arch9wavefront6targetE1EEEvSV_
	.p2align	8
	.type	_ZN7rocprim17ROCPRIM_400000_NS6detail17trampoline_kernelINS0_13select_configILj256ELj13ELNS0_17block_load_methodE3ELS4_3ELS4_3ELNS0_20block_scan_algorithmE0ELj4294967295EEENS1_25partition_config_selectorILNS1_17partition_subalgoE3EjNS0_10empty_typeEbEEZZNS1_14partition_implILS8_3ELb0ES6_jNS0_17counting_iteratorIjlEEPS9_SE_NS0_5tupleIJPjSE_EEENSF_IJSE_SE_EEES9_SG_JZNS1_25segmented_radix_sort_implINS0_14default_configELb0EPKlPlSM_SN_N2at6native12_GLOBAL__N_18offset_tEEE10hipError_tPvRmT1_PNSt15iterator_traitsISV_E10value_typeET2_T3_PNSW_IS11_E10value_typeET4_jRbjT5_S17_jjP12ihipStream_tbEUljE_EEESS_ST_SU_S11_S15_S17_T6_T7_T9_mT8_S19_bDpT10_ENKUlT_T0_E_clISt17integral_constantIbLb1EES1M_EEDaS1H_S1I_EUlS1H_E_NS1_11comp_targetILNS1_3genE5ELNS1_11target_archE942ELNS1_3gpuE9ELNS1_3repE0EEENS1_30default_config_static_selectorELNS0_4arch9wavefront6targetE1EEEvSV_,@function
_ZN7rocprim17ROCPRIM_400000_NS6detail17trampoline_kernelINS0_13select_configILj256ELj13ELNS0_17block_load_methodE3ELS4_3ELS4_3ELNS0_20block_scan_algorithmE0ELj4294967295EEENS1_25partition_config_selectorILNS1_17partition_subalgoE3EjNS0_10empty_typeEbEEZZNS1_14partition_implILS8_3ELb0ES6_jNS0_17counting_iteratorIjlEEPS9_SE_NS0_5tupleIJPjSE_EEENSF_IJSE_SE_EEES9_SG_JZNS1_25segmented_radix_sort_implINS0_14default_configELb0EPKlPlSM_SN_N2at6native12_GLOBAL__N_18offset_tEEE10hipError_tPvRmT1_PNSt15iterator_traitsISV_E10value_typeET2_T3_PNSW_IS11_E10value_typeET4_jRbjT5_S17_jjP12ihipStream_tbEUljE_EEESS_ST_SU_S11_S15_S17_T6_T7_T9_mT8_S19_bDpT10_ENKUlT_T0_E_clISt17integral_constantIbLb1EES1M_EEDaS1H_S1I_EUlS1H_E_NS1_11comp_targetILNS1_3genE5ELNS1_11target_archE942ELNS1_3gpuE9ELNS1_3repE0EEENS1_30default_config_static_selectorELNS0_4arch9wavefront6targetE1EEEvSV_: ; @_ZN7rocprim17ROCPRIM_400000_NS6detail17trampoline_kernelINS0_13select_configILj256ELj13ELNS0_17block_load_methodE3ELS4_3ELS4_3ELNS0_20block_scan_algorithmE0ELj4294967295EEENS1_25partition_config_selectorILNS1_17partition_subalgoE3EjNS0_10empty_typeEbEEZZNS1_14partition_implILS8_3ELb0ES6_jNS0_17counting_iteratorIjlEEPS9_SE_NS0_5tupleIJPjSE_EEENSF_IJSE_SE_EEES9_SG_JZNS1_25segmented_radix_sort_implINS0_14default_configELb0EPKlPlSM_SN_N2at6native12_GLOBAL__N_18offset_tEEE10hipError_tPvRmT1_PNSt15iterator_traitsISV_E10value_typeET2_T3_PNSW_IS11_E10value_typeET4_jRbjT5_S17_jjP12ihipStream_tbEUljE_EEESS_ST_SU_S11_S15_S17_T6_T7_T9_mT8_S19_bDpT10_ENKUlT_T0_E_clISt17integral_constantIbLb1EES1M_EEDaS1H_S1I_EUlS1H_E_NS1_11comp_targetILNS1_3genE5ELNS1_11target_archE942ELNS1_3gpuE9ELNS1_3repE0EEENS1_30default_config_static_selectorELNS0_4arch9wavefront6targetE1EEEvSV_
; %bb.0:
	.section	.rodata,"a",@progbits
	.p2align	6, 0x0
	.amdhsa_kernel _ZN7rocprim17ROCPRIM_400000_NS6detail17trampoline_kernelINS0_13select_configILj256ELj13ELNS0_17block_load_methodE3ELS4_3ELS4_3ELNS0_20block_scan_algorithmE0ELj4294967295EEENS1_25partition_config_selectorILNS1_17partition_subalgoE3EjNS0_10empty_typeEbEEZZNS1_14partition_implILS8_3ELb0ES6_jNS0_17counting_iteratorIjlEEPS9_SE_NS0_5tupleIJPjSE_EEENSF_IJSE_SE_EEES9_SG_JZNS1_25segmented_radix_sort_implINS0_14default_configELb0EPKlPlSM_SN_N2at6native12_GLOBAL__N_18offset_tEEE10hipError_tPvRmT1_PNSt15iterator_traitsISV_E10value_typeET2_T3_PNSW_IS11_E10value_typeET4_jRbjT5_S17_jjP12ihipStream_tbEUljE_EEESS_ST_SU_S11_S15_S17_T6_T7_T9_mT8_S19_bDpT10_ENKUlT_T0_E_clISt17integral_constantIbLb1EES1M_EEDaS1H_S1I_EUlS1H_E_NS1_11comp_targetILNS1_3genE5ELNS1_11target_archE942ELNS1_3gpuE9ELNS1_3repE0EEENS1_30default_config_static_selectorELNS0_4arch9wavefront6targetE1EEEvSV_
		.amdhsa_group_segment_fixed_size 0
		.amdhsa_private_segment_fixed_size 0
		.amdhsa_kernarg_size 152
		.amdhsa_user_sgpr_count 6
		.amdhsa_user_sgpr_private_segment_buffer 1
		.amdhsa_user_sgpr_dispatch_ptr 0
		.amdhsa_user_sgpr_queue_ptr 0
		.amdhsa_user_sgpr_kernarg_segment_ptr 1
		.amdhsa_user_sgpr_dispatch_id 0
		.amdhsa_user_sgpr_flat_scratch_init 0
		.amdhsa_user_sgpr_kernarg_preload_length 0
		.amdhsa_user_sgpr_kernarg_preload_offset 0
		.amdhsa_user_sgpr_private_segment_size 0
		.amdhsa_uses_dynamic_stack 0
		.amdhsa_system_sgpr_private_segment_wavefront_offset 0
		.amdhsa_system_sgpr_workgroup_id_x 1
		.amdhsa_system_sgpr_workgroup_id_y 0
		.amdhsa_system_sgpr_workgroup_id_z 0
		.amdhsa_system_sgpr_workgroup_info 0
		.amdhsa_system_vgpr_workitem_id 0
		.amdhsa_next_free_vgpr 1
		.amdhsa_next_free_sgpr 0
		.amdhsa_accum_offset 4
		.amdhsa_reserve_vcc 0
		.amdhsa_reserve_flat_scratch 0
		.amdhsa_float_round_mode_32 0
		.amdhsa_float_round_mode_16_64 0
		.amdhsa_float_denorm_mode_32 3
		.amdhsa_float_denorm_mode_16_64 3
		.amdhsa_dx10_clamp 1
		.amdhsa_ieee_mode 1
		.amdhsa_fp16_overflow 0
		.amdhsa_tg_split 0
		.amdhsa_exception_fp_ieee_invalid_op 0
		.amdhsa_exception_fp_denorm_src 0
		.amdhsa_exception_fp_ieee_div_zero 0
		.amdhsa_exception_fp_ieee_overflow 0
		.amdhsa_exception_fp_ieee_underflow 0
		.amdhsa_exception_fp_ieee_inexact 0
		.amdhsa_exception_int_div_zero 0
	.end_amdhsa_kernel
	.section	.text._ZN7rocprim17ROCPRIM_400000_NS6detail17trampoline_kernelINS0_13select_configILj256ELj13ELNS0_17block_load_methodE3ELS4_3ELS4_3ELNS0_20block_scan_algorithmE0ELj4294967295EEENS1_25partition_config_selectorILNS1_17partition_subalgoE3EjNS0_10empty_typeEbEEZZNS1_14partition_implILS8_3ELb0ES6_jNS0_17counting_iteratorIjlEEPS9_SE_NS0_5tupleIJPjSE_EEENSF_IJSE_SE_EEES9_SG_JZNS1_25segmented_radix_sort_implINS0_14default_configELb0EPKlPlSM_SN_N2at6native12_GLOBAL__N_18offset_tEEE10hipError_tPvRmT1_PNSt15iterator_traitsISV_E10value_typeET2_T3_PNSW_IS11_E10value_typeET4_jRbjT5_S17_jjP12ihipStream_tbEUljE_EEESS_ST_SU_S11_S15_S17_T6_T7_T9_mT8_S19_bDpT10_ENKUlT_T0_E_clISt17integral_constantIbLb1EES1M_EEDaS1H_S1I_EUlS1H_E_NS1_11comp_targetILNS1_3genE5ELNS1_11target_archE942ELNS1_3gpuE9ELNS1_3repE0EEENS1_30default_config_static_selectorELNS0_4arch9wavefront6targetE1EEEvSV_,"axG",@progbits,_ZN7rocprim17ROCPRIM_400000_NS6detail17trampoline_kernelINS0_13select_configILj256ELj13ELNS0_17block_load_methodE3ELS4_3ELS4_3ELNS0_20block_scan_algorithmE0ELj4294967295EEENS1_25partition_config_selectorILNS1_17partition_subalgoE3EjNS0_10empty_typeEbEEZZNS1_14partition_implILS8_3ELb0ES6_jNS0_17counting_iteratorIjlEEPS9_SE_NS0_5tupleIJPjSE_EEENSF_IJSE_SE_EEES9_SG_JZNS1_25segmented_radix_sort_implINS0_14default_configELb0EPKlPlSM_SN_N2at6native12_GLOBAL__N_18offset_tEEE10hipError_tPvRmT1_PNSt15iterator_traitsISV_E10value_typeET2_T3_PNSW_IS11_E10value_typeET4_jRbjT5_S17_jjP12ihipStream_tbEUljE_EEESS_ST_SU_S11_S15_S17_T6_T7_T9_mT8_S19_bDpT10_ENKUlT_T0_E_clISt17integral_constantIbLb1EES1M_EEDaS1H_S1I_EUlS1H_E_NS1_11comp_targetILNS1_3genE5ELNS1_11target_archE942ELNS1_3gpuE9ELNS1_3repE0EEENS1_30default_config_static_selectorELNS0_4arch9wavefront6targetE1EEEvSV_,comdat
.Lfunc_end784:
	.size	_ZN7rocprim17ROCPRIM_400000_NS6detail17trampoline_kernelINS0_13select_configILj256ELj13ELNS0_17block_load_methodE3ELS4_3ELS4_3ELNS0_20block_scan_algorithmE0ELj4294967295EEENS1_25partition_config_selectorILNS1_17partition_subalgoE3EjNS0_10empty_typeEbEEZZNS1_14partition_implILS8_3ELb0ES6_jNS0_17counting_iteratorIjlEEPS9_SE_NS0_5tupleIJPjSE_EEENSF_IJSE_SE_EEES9_SG_JZNS1_25segmented_radix_sort_implINS0_14default_configELb0EPKlPlSM_SN_N2at6native12_GLOBAL__N_18offset_tEEE10hipError_tPvRmT1_PNSt15iterator_traitsISV_E10value_typeET2_T3_PNSW_IS11_E10value_typeET4_jRbjT5_S17_jjP12ihipStream_tbEUljE_EEESS_ST_SU_S11_S15_S17_T6_T7_T9_mT8_S19_bDpT10_ENKUlT_T0_E_clISt17integral_constantIbLb1EES1M_EEDaS1H_S1I_EUlS1H_E_NS1_11comp_targetILNS1_3genE5ELNS1_11target_archE942ELNS1_3gpuE9ELNS1_3repE0EEENS1_30default_config_static_selectorELNS0_4arch9wavefront6targetE1EEEvSV_, .Lfunc_end784-_ZN7rocprim17ROCPRIM_400000_NS6detail17trampoline_kernelINS0_13select_configILj256ELj13ELNS0_17block_load_methodE3ELS4_3ELS4_3ELNS0_20block_scan_algorithmE0ELj4294967295EEENS1_25partition_config_selectorILNS1_17partition_subalgoE3EjNS0_10empty_typeEbEEZZNS1_14partition_implILS8_3ELb0ES6_jNS0_17counting_iteratorIjlEEPS9_SE_NS0_5tupleIJPjSE_EEENSF_IJSE_SE_EEES9_SG_JZNS1_25segmented_radix_sort_implINS0_14default_configELb0EPKlPlSM_SN_N2at6native12_GLOBAL__N_18offset_tEEE10hipError_tPvRmT1_PNSt15iterator_traitsISV_E10value_typeET2_T3_PNSW_IS11_E10value_typeET4_jRbjT5_S17_jjP12ihipStream_tbEUljE_EEESS_ST_SU_S11_S15_S17_T6_T7_T9_mT8_S19_bDpT10_ENKUlT_T0_E_clISt17integral_constantIbLb1EES1M_EEDaS1H_S1I_EUlS1H_E_NS1_11comp_targetILNS1_3genE5ELNS1_11target_archE942ELNS1_3gpuE9ELNS1_3repE0EEENS1_30default_config_static_selectorELNS0_4arch9wavefront6targetE1EEEvSV_
                                        ; -- End function
	.section	.AMDGPU.csdata,"",@progbits
; Kernel info:
; codeLenInByte = 0
; NumSgprs: 4
; NumVgprs: 0
; NumAgprs: 0
; TotalNumVgprs: 0
; ScratchSize: 0
; MemoryBound: 0
; FloatMode: 240
; IeeeMode: 1
; LDSByteSize: 0 bytes/workgroup (compile time only)
; SGPRBlocks: 0
; VGPRBlocks: 0
; NumSGPRsForWavesPerEU: 4
; NumVGPRsForWavesPerEU: 1
; AccumOffset: 4
; Occupancy: 8
; WaveLimiterHint : 0
; COMPUTE_PGM_RSRC2:SCRATCH_EN: 0
; COMPUTE_PGM_RSRC2:USER_SGPR: 6
; COMPUTE_PGM_RSRC2:TRAP_HANDLER: 0
; COMPUTE_PGM_RSRC2:TGID_X_EN: 1
; COMPUTE_PGM_RSRC2:TGID_Y_EN: 0
; COMPUTE_PGM_RSRC2:TGID_Z_EN: 0
; COMPUTE_PGM_RSRC2:TIDIG_COMP_CNT: 0
; COMPUTE_PGM_RSRC3_GFX90A:ACCUM_OFFSET: 0
; COMPUTE_PGM_RSRC3_GFX90A:TG_SPLIT: 0
	.section	.text._ZN7rocprim17ROCPRIM_400000_NS6detail17trampoline_kernelINS0_13select_configILj256ELj13ELNS0_17block_load_methodE3ELS4_3ELS4_3ELNS0_20block_scan_algorithmE0ELj4294967295EEENS1_25partition_config_selectorILNS1_17partition_subalgoE3EjNS0_10empty_typeEbEEZZNS1_14partition_implILS8_3ELb0ES6_jNS0_17counting_iteratorIjlEEPS9_SE_NS0_5tupleIJPjSE_EEENSF_IJSE_SE_EEES9_SG_JZNS1_25segmented_radix_sort_implINS0_14default_configELb0EPKlPlSM_SN_N2at6native12_GLOBAL__N_18offset_tEEE10hipError_tPvRmT1_PNSt15iterator_traitsISV_E10value_typeET2_T3_PNSW_IS11_E10value_typeET4_jRbjT5_S17_jjP12ihipStream_tbEUljE_EEESS_ST_SU_S11_S15_S17_T6_T7_T9_mT8_S19_bDpT10_ENKUlT_T0_E_clISt17integral_constantIbLb1EES1M_EEDaS1H_S1I_EUlS1H_E_NS1_11comp_targetILNS1_3genE4ELNS1_11target_archE910ELNS1_3gpuE8ELNS1_3repE0EEENS1_30default_config_static_selectorELNS0_4arch9wavefront6targetE1EEEvSV_,"axG",@progbits,_ZN7rocprim17ROCPRIM_400000_NS6detail17trampoline_kernelINS0_13select_configILj256ELj13ELNS0_17block_load_methodE3ELS4_3ELS4_3ELNS0_20block_scan_algorithmE0ELj4294967295EEENS1_25partition_config_selectorILNS1_17partition_subalgoE3EjNS0_10empty_typeEbEEZZNS1_14partition_implILS8_3ELb0ES6_jNS0_17counting_iteratorIjlEEPS9_SE_NS0_5tupleIJPjSE_EEENSF_IJSE_SE_EEES9_SG_JZNS1_25segmented_radix_sort_implINS0_14default_configELb0EPKlPlSM_SN_N2at6native12_GLOBAL__N_18offset_tEEE10hipError_tPvRmT1_PNSt15iterator_traitsISV_E10value_typeET2_T3_PNSW_IS11_E10value_typeET4_jRbjT5_S17_jjP12ihipStream_tbEUljE_EEESS_ST_SU_S11_S15_S17_T6_T7_T9_mT8_S19_bDpT10_ENKUlT_T0_E_clISt17integral_constantIbLb1EES1M_EEDaS1H_S1I_EUlS1H_E_NS1_11comp_targetILNS1_3genE4ELNS1_11target_archE910ELNS1_3gpuE8ELNS1_3repE0EEENS1_30default_config_static_selectorELNS0_4arch9wavefront6targetE1EEEvSV_,comdat
	.globl	_ZN7rocprim17ROCPRIM_400000_NS6detail17trampoline_kernelINS0_13select_configILj256ELj13ELNS0_17block_load_methodE3ELS4_3ELS4_3ELNS0_20block_scan_algorithmE0ELj4294967295EEENS1_25partition_config_selectorILNS1_17partition_subalgoE3EjNS0_10empty_typeEbEEZZNS1_14partition_implILS8_3ELb0ES6_jNS0_17counting_iteratorIjlEEPS9_SE_NS0_5tupleIJPjSE_EEENSF_IJSE_SE_EEES9_SG_JZNS1_25segmented_radix_sort_implINS0_14default_configELb0EPKlPlSM_SN_N2at6native12_GLOBAL__N_18offset_tEEE10hipError_tPvRmT1_PNSt15iterator_traitsISV_E10value_typeET2_T3_PNSW_IS11_E10value_typeET4_jRbjT5_S17_jjP12ihipStream_tbEUljE_EEESS_ST_SU_S11_S15_S17_T6_T7_T9_mT8_S19_bDpT10_ENKUlT_T0_E_clISt17integral_constantIbLb1EES1M_EEDaS1H_S1I_EUlS1H_E_NS1_11comp_targetILNS1_3genE4ELNS1_11target_archE910ELNS1_3gpuE8ELNS1_3repE0EEENS1_30default_config_static_selectorELNS0_4arch9wavefront6targetE1EEEvSV_ ; -- Begin function _ZN7rocprim17ROCPRIM_400000_NS6detail17trampoline_kernelINS0_13select_configILj256ELj13ELNS0_17block_load_methodE3ELS4_3ELS4_3ELNS0_20block_scan_algorithmE0ELj4294967295EEENS1_25partition_config_selectorILNS1_17partition_subalgoE3EjNS0_10empty_typeEbEEZZNS1_14partition_implILS8_3ELb0ES6_jNS0_17counting_iteratorIjlEEPS9_SE_NS0_5tupleIJPjSE_EEENSF_IJSE_SE_EEES9_SG_JZNS1_25segmented_radix_sort_implINS0_14default_configELb0EPKlPlSM_SN_N2at6native12_GLOBAL__N_18offset_tEEE10hipError_tPvRmT1_PNSt15iterator_traitsISV_E10value_typeET2_T3_PNSW_IS11_E10value_typeET4_jRbjT5_S17_jjP12ihipStream_tbEUljE_EEESS_ST_SU_S11_S15_S17_T6_T7_T9_mT8_S19_bDpT10_ENKUlT_T0_E_clISt17integral_constantIbLb1EES1M_EEDaS1H_S1I_EUlS1H_E_NS1_11comp_targetILNS1_3genE4ELNS1_11target_archE910ELNS1_3gpuE8ELNS1_3repE0EEENS1_30default_config_static_selectorELNS0_4arch9wavefront6targetE1EEEvSV_
	.p2align	8
	.type	_ZN7rocprim17ROCPRIM_400000_NS6detail17trampoline_kernelINS0_13select_configILj256ELj13ELNS0_17block_load_methodE3ELS4_3ELS4_3ELNS0_20block_scan_algorithmE0ELj4294967295EEENS1_25partition_config_selectorILNS1_17partition_subalgoE3EjNS0_10empty_typeEbEEZZNS1_14partition_implILS8_3ELb0ES6_jNS0_17counting_iteratorIjlEEPS9_SE_NS0_5tupleIJPjSE_EEENSF_IJSE_SE_EEES9_SG_JZNS1_25segmented_radix_sort_implINS0_14default_configELb0EPKlPlSM_SN_N2at6native12_GLOBAL__N_18offset_tEEE10hipError_tPvRmT1_PNSt15iterator_traitsISV_E10value_typeET2_T3_PNSW_IS11_E10value_typeET4_jRbjT5_S17_jjP12ihipStream_tbEUljE_EEESS_ST_SU_S11_S15_S17_T6_T7_T9_mT8_S19_bDpT10_ENKUlT_T0_E_clISt17integral_constantIbLb1EES1M_EEDaS1H_S1I_EUlS1H_E_NS1_11comp_targetILNS1_3genE4ELNS1_11target_archE910ELNS1_3gpuE8ELNS1_3repE0EEENS1_30default_config_static_selectorELNS0_4arch9wavefront6targetE1EEEvSV_,@function
_ZN7rocprim17ROCPRIM_400000_NS6detail17trampoline_kernelINS0_13select_configILj256ELj13ELNS0_17block_load_methodE3ELS4_3ELS4_3ELNS0_20block_scan_algorithmE0ELj4294967295EEENS1_25partition_config_selectorILNS1_17partition_subalgoE3EjNS0_10empty_typeEbEEZZNS1_14partition_implILS8_3ELb0ES6_jNS0_17counting_iteratorIjlEEPS9_SE_NS0_5tupleIJPjSE_EEENSF_IJSE_SE_EEES9_SG_JZNS1_25segmented_radix_sort_implINS0_14default_configELb0EPKlPlSM_SN_N2at6native12_GLOBAL__N_18offset_tEEE10hipError_tPvRmT1_PNSt15iterator_traitsISV_E10value_typeET2_T3_PNSW_IS11_E10value_typeET4_jRbjT5_S17_jjP12ihipStream_tbEUljE_EEESS_ST_SU_S11_S15_S17_T6_T7_T9_mT8_S19_bDpT10_ENKUlT_T0_E_clISt17integral_constantIbLb1EES1M_EEDaS1H_S1I_EUlS1H_E_NS1_11comp_targetILNS1_3genE4ELNS1_11target_archE910ELNS1_3gpuE8ELNS1_3repE0EEENS1_30default_config_static_selectorELNS0_4arch9wavefront6targetE1EEEvSV_: ; @_ZN7rocprim17ROCPRIM_400000_NS6detail17trampoline_kernelINS0_13select_configILj256ELj13ELNS0_17block_load_methodE3ELS4_3ELS4_3ELNS0_20block_scan_algorithmE0ELj4294967295EEENS1_25partition_config_selectorILNS1_17partition_subalgoE3EjNS0_10empty_typeEbEEZZNS1_14partition_implILS8_3ELb0ES6_jNS0_17counting_iteratorIjlEEPS9_SE_NS0_5tupleIJPjSE_EEENSF_IJSE_SE_EEES9_SG_JZNS1_25segmented_radix_sort_implINS0_14default_configELb0EPKlPlSM_SN_N2at6native12_GLOBAL__N_18offset_tEEE10hipError_tPvRmT1_PNSt15iterator_traitsISV_E10value_typeET2_T3_PNSW_IS11_E10value_typeET4_jRbjT5_S17_jjP12ihipStream_tbEUljE_EEESS_ST_SU_S11_S15_S17_T6_T7_T9_mT8_S19_bDpT10_ENKUlT_T0_E_clISt17integral_constantIbLb1EES1M_EEDaS1H_S1I_EUlS1H_E_NS1_11comp_targetILNS1_3genE4ELNS1_11target_archE910ELNS1_3gpuE8ELNS1_3repE0EEENS1_30default_config_static_selectorELNS0_4arch9wavefront6targetE1EEEvSV_
; %bb.0:
	s_load_dwordx2 s[28:29], s[4:5], 0x10
	s_load_dwordx2 s[24:25], s[4:5], 0x28
	;; [unrolled: 1-line block ×3, first 2 shown]
	s_load_dwordx4 s[20:23], s[4:5], 0x48
	s_load_dword s14, s[4:5], 0x90
	s_load_dwordx2 s[30:31], s[4:5], 0x68
	s_load_dwordx4 s[8:11], s[4:5], 0x80
	v_cmp_eq_u32_e64 s[0:1], 0, v0
	s_and_saveexec_b64 s[2:3], s[0:1]
	s_cbranch_execz .LBB785_4
; %bb.1:
	s_mov_b64 s[12:13], exec
	v_mbcnt_lo_u32_b32 v1, s12, 0
	v_mbcnt_hi_u32_b32 v1, s13, v1
	v_cmp_eq_u32_e32 vcc, 0, v1
                                        ; implicit-def: $vgpr2
	s_and_saveexec_b64 s[6:7], vcc
	s_cbranch_execz .LBB785_3
; %bb.2:
	s_load_dwordx2 s[16:17], s[4:5], 0x78
	s_bcnt1_i32_b64 s12, s[12:13]
	v_mov_b32_e32 v2, 0
	v_mov_b32_e32 v3, s12
	s_waitcnt lgkmcnt(0)
	global_atomic_add v2, v2, v3, s[16:17] glc
.LBB785_3:
	s_or_b64 exec, exec, s[6:7]
	s_waitcnt vmcnt(0)
	v_readfirstlane_b32 s6, v2
	v_add_u32_e32 v1, s6, v1
	v_mov_b32_e32 v2, 0
	ds_write_b32 v2, v1
.LBB785_4:
	s_or_b64 exec, exec, s[2:3]
	v_mov_b32_e32 v1, 0
	s_load_dword s2, s[4:5], 0x8
	s_load_dword s6, s[4:5], 0x70
	s_waitcnt lgkmcnt(0)
	s_barrier
	ds_read_b32 v2, v1
	s_waitcnt lgkmcnt(0)
	s_barrier
	global_load_dwordx2 v[20:21], v1, s[22:23]
	s_add_i32 s7, s2, s28
	s_movk_i32 s2, 0xd00
	s_add_i32 s4, s6, -1
	s_mulk_i32 s6, 0xd00
	v_mul_lo_u32 v1, v2, s2
	s_add_u32 s2, s28, s6
	v_readfirstlane_b32 s40, v2
	s_addc_u32 s3, s29, 0
	s_cmp_eq_u32 s40, s4
	v_pk_mov_b32 v[2:3], s[26:27], s[26:27] op_sel:[0,1]
	s_cselect_b64 s[22:23], -1, 0
	s_cmp_lg_u32 s40, s4
	v_cmp_lt_u64_e32 vcc, s[2:3], v[2:3]
	s_cselect_b64 s[2:3], -1, 0
	s_or_b64 s[4:5], vcc, s[2:3]
	v_add_u32_e32 v2, s7, v1
	s_mov_b64 s[2:3], -1
	s_and_b64 vcc, exec, s[4:5]
	v_add_u32_e32 v2, v2, v0
	v_lshlrev_b32_e32 v34, 2, v0
	s_cbranch_vccz .LBB785_6
; %bb.5:
	v_add_u32_e32 v3, 0x100, v2
	v_add_u32_e32 v4, 0x200, v2
	;; [unrolled: 1-line block ×12, first 2 shown]
	ds_write2st64_b32 v34, v2, v3 offset1:4
	ds_write2st64_b32 v34, v4, v5 offset0:8 offset1:12
	ds_write2st64_b32 v34, v6, v7 offset0:16 offset1:20
	;; [unrolled: 1-line block ×5, first 2 shown]
	ds_write_b32 v34, v14 offset:12288
	s_waitcnt lgkmcnt(0)
	s_barrier
	s_mov_b64 s[2:3], 0
.LBB785_6:
	s_andn2_b64 vcc, exec, s[2:3]
	s_add_i32 s6, s6, s28
	s_cbranch_vccnz .LBB785_8
; %bb.7:
	v_add_u32_e32 v3, 0x100, v2
	v_add_u32_e32 v4, 0x200, v2
	;; [unrolled: 1-line block ×12, first 2 shown]
	ds_write2st64_b32 v34, v2, v3 offset1:4
	ds_write2st64_b32 v34, v4, v5 offset0:8 offset1:12
	ds_write2st64_b32 v34, v6, v7 offset0:16 offset1:20
	;; [unrolled: 1-line block ×5, first 2 shown]
	ds_write_b32 v34, v14 offset:12288
	s_waitcnt lgkmcnt(0)
	s_barrier
.LBB785_8:
	v_mul_u32_u24_e32 v36, 13, v0
	v_lshlrev_b32_e32 v2, 2, v36
	ds_read2_b32 v[32:33], v2 offset1:1
	ds_read2_b32 v[30:31], v2 offset0:2 offset1:3
	ds_read2_b32 v[28:29], v2 offset0:4 offset1:5
	;; [unrolled: 1-line block ×5, first 2 shown]
	ds_read_b32 v35, v2 offset:48
	v_cndmask_b32_e64 v2, 0, 1, s[4:5]
	s_sub_i32 s33, s26, s6
	v_cmp_ne_u32_e64 s[2:3], 1, v2
	s_andn2_b64 vcc, exec, s[4:5]
	s_waitcnt lgkmcnt(0)
	s_barrier
	s_cbranch_vccnz .LBB785_10
; %bb.9:
	v_add_u32_e32 v2, s9, v32
	v_add_u32_e32 v3, s11, v32
	v_mul_lo_u32 v2, v2, s8
	v_mul_lo_u32 v3, v3, s10
	v_sub_u32_e32 v2, v2, v3
	v_add_u32_e32 v3, s9, v33
	v_add_u32_e32 v4, s11, v33
	v_mul_lo_u32 v3, v3, s8
	v_mul_lo_u32 v4, v4, s10
	v_sub_u32_e32 v3, v3, v4
	;; [unrolled: 5-line block ×6, first 2 shown]
	v_add_u32_e32 v8, s9, v26
	v_add_u32_e32 v9, s11, v26
	v_mul_lo_u32 v8, v8, s8
	v_mul_lo_u32 v9, v9, s10
	v_cmp_lt_u32_e32 vcc, s14, v2
	v_sub_u32_e32 v8, v8, v9
	v_add_u32_e32 v9, s9, v27
	v_add_u32_e32 v10, s11, v27
	v_cndmask_b32_e64 v2, 0, 1, vcc
	v_cmp_lt_u32_e32 vcc, s14, v3
	v_mul_lo_u32 v9, v9, s8
	v_mul_lo_u32 v10, v10, s10
	v_cndmask_b32_e64 v3, 0, 1, vcc
	v_cmp_lt_u32_e32 vcc, s14, v4
	v_sub_u32_e32 v9, v9, v10
	v_add_u32_e32 v10, s9, v24
	v_add_u32_e32 v11, s11, v24
	v_cndmask_b32_e64 v4, 0, 1, vcc
	v_cmp_lt_u32_e32 vcc, s14, v5
	v_mul_lo_u32 v10, v10, s8
	v_mul_lo_u32 v11, v11, s10
	v_cndmask_b32_e64 v5, 0, 1, vcc
	;; [unrolled: 9-line block ×4, first 2 shown]
	v_cmp_lt_u32_e32 vcc, s14, v10
	v_sub_u32_e32 v12, v12, v13
	v_add_u32_e32 v13, s9, v23
	v_add_u32_e32 v14, s11, v23
	v_lshlrev_b16_e32 v3, 8, v3
	v_cndmask_b32_e64 v10, 0, 1, vcc
	v_cmp_lt_u32_e32 vcc, s14, v11
	v_mul_lo_u32 v13, v13, s8
	v_mul_lo_u32 v14, v14, s10
	v_or_b32_e32 v2, v2, v3
	v_lshlrev_b16_e32 v3, 8, v5
	v_cndmask_b32_e64 v11, 0, 1, vcc
	v_cmp_lt_u32_e32 vcc, s14, v12
	v_sub_u32_e32 v13, v13, v14
	v_or_b32_sdwa v3, v4, v3 dst_sel:WORD_1 dst_unused:UNUSED_PAD src0_sel:DWORD src1_sel:DWORD
	v_cndmask_b32_e64 v12, 0, 1, vcc
	v_cmp_lt_u32_e32 vcc, s14, v13
	v_add_u32_e32 v14, s9, v35
	v_add_u32_e32 v15, s11, v35
	v_or_b32_sdwa v40, v2, v3 dst_sel:DWORD dst_unused:UNUSED_PAD src0_sel:WORD_0 src1_sel:DWORD
	v_lshlrev_b16_e32 v2, 8, v7
	v_lshlrev_b16_e32 v3, 8, v9
	v_cndmask_b32_e64 v13, 0, 1, vcc
	v_mul_lo_u32 v14, v14, s8
	v_mul_lo_u32 v15, v15, s10
	v_or_b32_e32 v2, v6, v2
	v_or_b32_sdwa v3, v8, v3 dst_sel:WORD_1 dst_unused:UNUSED_PAD src0_sel:DWORD src1_sel:DWORD
	v_sub_u32_e32 v14, v14, v15
	v_or_b32_sdwa v39, v2, v3 dst_sel:DWORD dst_unused:UNUSED_PAD src0_sel:WORD_0 src1_sel:DWORD
	v_lshlrev_b16_e32 v2, 8, v11
	v_lshlrev_b16_e32 v3, 8, v13
	v_cmp_lt_u32_e32 vcc, s14, v14
	v_or_b32_e32 v2, v10, v2
	v_or_b32_sdwa v3, v12, v3 dst_sel:WORD_1 dst_unused:UNUSED_PAD src0_sel:DWORD src1_sel:DWORD
	v_cndmask_b32_e64 v37, 0, 1, vcc
	v_or_b32_sdwa v38, v2, v3 dst_sel:DWORD dst_unused:UNUSED_PAD src0_sel:WORD_0 src1_sel:DWORD
	s_addk_i32 s33, 0xd00
	s_cbranch_execz .LBB785_11
	s_branch .LBB785_38
.LBB785_10:
                                        ; implicit-def: $vgpr37
                                        ; implicit-def: $vgpr38
                                        ; implicit-def: $vgpr39
                                        ; implicit-def: $vgpr40
	s_addk_i32 s33, 0xd00
.LBB785_11:
	v_cmp_gt_u32_e32 vcc, s33, v36
	v_mov_b32_e32 v3, 0
	v_mov_b32_e32 v2, 0
	s_and_saveexec_b64 s[4:5], vcc
; %bb.12:
	v_add_u32_e32 v2, s9, v32
	v_add_u32_e32 v4, s11, v32
	v_mul_lo_u32 v2, v2, s8
	v_mul_lo_u32 v4, v4, s10
	v_sub_u32_e32 v2, v2, v4
	v_cmp_lt_u32_e32 vcc, s14, v2
	v_cndmask_b32_e64 v2, 0, 1, vcc
; %bb.13:
	s_or_b64 exec, exec, s[4:5]
	v_add_u32_e32 v4, 1, v36
	v_cmp_gt_u32_e32 vcc, s33, v4
	s_and_saveexec_b64 s[4:5], vcc
; %bb.14:
	v_add_u32_e32 v3, s9, v33
	v_add_u32_e32 v4, s11, v33
	v_mul_lo_u32 v3, v3, s8
	v_mul_lo_u32 v4, v4, s10
	v_sub_u32_e32 v3, v3, v4
	v_cmp_lt_u32_e32 vcc, s14, v3
	v_cndmask_b32_e64 v3, 0, 1, vcc
; %bb.15:
	s_or_b64 exec, exec, s[4:5]
	v_add_u32_e32 v4, 2, v36
	v_cmp_gt_u32_e32 vcc, s33, v4
	v_mov_b32_e32 v5, 0
	v_mov_b32_e32 v4, 0
	s_and_saveexec_b64 s[4:5], vcc
; %bb.16:
	v_add_u32_e32 v4, s9, v30
	v_add_u32_e32 v6, s11, v30
	v_mul_lo_u32 v4, v4, s8
	v_mul_lo_u32 v6, v6, s10
	v_sub_u32_e32 v4, v4, v6
	v_cmp_lt_u32_e32 vcc, s14, v4
	v_cndmask_b32_e64 v4, 0, 1, vcc
; %bb.17:
	s_or_b64 exec, exec, s[4:5]
	v_add_u32_e32 v6, 3, v36
	v_cmp_gt_u32_e32 vcc, s33, v6
	s_and_saveexec_b64 s[4:5], vcc
; %bb.18:
	v_add_u32_e32 v5, s9, v31
	v_add_u32_e32 v6, s11, v31
	v_mul_lo_u32 v5, v5, s8
	v_mul_lo_u32 v6, v6, s10
	v_sub_u32_e32 v5, v5, v6
	v_cmp_lt_u32_e32 vcc, s14, v5
	v_cndmask_b32_e64 v5, 0, 1, vcc
; %bb.19:
	s_or_b64 exec, exec, s[4:5]
	v_add_u32_e32 v6, 4, v36
	;; [unrolled: 28-line block ×6, first 2 shown]
	v_cmp_gt_u32_e32 vcc, s33, v14
	v_mov_b32_e32 v37, 0
	s_and_saveexec_b64 s[4:5], vcc
; %bb.36:
	v_add_u32_e32 v14, s9, v35
	v_add_u32_e32 v15, s11, v35
	v_mul_lo_u32 v14, v14, s8
	v_mul_lo_u32 v15, v15, s10
	v_sub_u32_e32 v14, v14, v15
	v_cmp_lt_u32_e32 vcc, s14, v14
	v_cndmask_b32_e64 v37, 0, 1, vcc
; %bb.37:
	s_or_b64 exec, exec, s[4:5]
	v_lshlrev_b16_e32 v3, 8, v3
	v_or_b32_e32 v2, v2, v3
	v_lshlrev_b16_e32 v3, 8, v5
	v_or_b32_sdwa v3, v4, v3 dst_sel:WORD_1 dst_unused:UNUSED_PAD src0_sel:DWORD src1_sel:DWORD
	v_or_b32_sdwa v40, v2, v3 dst_sel:DWORD dst_unused:UNUSED_PAD src0_sel:WORD_0 src1_sel:DWORD
	v_lshlrev_b16_e32 v2, 8, v7
	v_lshlrev_b16_e32 v3, 8, v9
	v_or_b32_e32 v2, v6, v2
	v_or_b32_sdwa v3, v8, v3 dst_sel:WORD_1 dst_unused:UNUSED_PAD src0_sel:DWORD src1_sel:DWORD
	v_or_b32_sdwa v39, v2, v3 dst_sel:DWORD dst_unused:UNUSED_PAD src0_sel:WORD_0 src1_sel:DWORD
	v_lshlrev_b16_e32 v2, 8, v11
	v_lshlrev_b16_e32 v3, 8, v13
	v_or_b32_e32 v2, v10, v2
	v_or_b32_sdwa v3, v12, v3 dst_sel:WORD_1 dst_unused:UNUSED_PAD src0_sel:DWORD src1_sel:DWORD
	v_or_b32_sdwa v38, v2, v3 dst_sel:DWORD dst_unused:UNUSED_PAD src0_sel:WORD_0 src1_sel:DWORD
.LBB785_38:
	v_and_b32_e32 v44, 0xff, v40
	v_bfe_u32 v45, v40, 8, 8
	v_bfe_u32 v46, v40, 16, 8
	v_lshrrev_b32_e32 v43, 24, v40
	v_and_b32_e32 v47, 0xff, v39
	v_add3_u32 v3, v45, v44, v46
	v_bfe_u32 v48, v39, 8, 8
	v_bfe_u32 v49, v39, 16, 8
	v_add3_u32 v3, v3, v43, v47
	v_lshrrev_b32_e32 v42, 24, v39
	v_and_b32_e32 v50, 0xff, v38
	v_add3_u32 v3, v3, v48, v49
	v_bfe_u32 v51, v38, 8, 8
	v_bfe_u32 v52, v38, 16, 8
	v_add3_u32 v3, v3, v42, v50
	v_lshrrev_b32_e32 v41, 24, v38
	v_and_b32_e32 v2, 0xff, v37
	v_add3_u32 v3, v3, v51, v52
	v_add3_u32 v55, v3, v41, v2
	v_mbcnt_lo_u32_b32 v2, -1, 0
	v_mbcnt_hi_u32_b32 v53, -1, v2
	v_and_b32_e32 v2, 15, v53
	v_cmp_eq_u32_e64 s[16:17], 0, v2
	v_cmp_lt_u32_e64 s[14:15], 1, v2
	v_cmp_lt_u32_e64 s[12:13], 3, v2
	;; [unrolled: 1-line block ×3, first 2 shown]
	v_and_b32_e32 v2, 16, v53
	v_cmp_eq_u32_e64 s[8:9], 0, v2
	v_or_b32_e32 v2, 63, v0
	s_cmp_lg_u32 s40, 0
	v_cmp_lt_u32_e64 s[4:5], 31, v53
	v_lshrrev_b32_e32 v54, 6, v0
	v_cmp_eq_u32_e64 s[6:7], v2, v0
	s_cbranch_scc0 .LBB785_69
; %bb.39:
	v_mov_b32_dpp v2, v55 row_shr:1 row_mask:0xf bank_mask:0xf
	v_cndmask_b32_e64 v2, v2, 0, s[16:17]
	v_add_u32_e32 v2, v2, v55
	s_nop 1
	v_mov_b32_dpp v3, v2 row_shr:2 row_mask:0xf bank_mask:0xf
	v_cndmask_b32_e64 v3, 0, v3, s[14:15]
	v_add_u32_e32 v2, v2, v3
	s_nop 1
	v_mov_b32_dpp v3, v2 row_shr:4 row_mask:0xf bank_mask:0xf
	v_cndmask_b32_e64 v3, 0, v3, s[12:13]
	v_add_u32_e32 v2, v2, v3
	s_nop 1
	v_mov_b32_dpp v3, v2 row_shr:8 row_mask:0xf bank_mask:0xf
	v_cndmask_b32_e64 v3, 0, v3, s[10:11]
	v_add_u32_e32 v2, v2, v3
	s_nop 1
	v_mov_b32_dpp v3, v2 row_bcast:15 row_mask:0xf bank_mask:0xf
	v_cndmask_b32_e64 v3, v3, 0, s[8:9]
	v_add_u32_e32 v2, v2, v3
	s_nop 1
	v_mov_b32_dpp v3, v2 row_bcast:31 row_mask:0xf bank_mask:0xf
	v_cndmask_b32_e64 v3, 0, v3, s[4:5]
	v_add_u32_e32 v2, v2, v3
	s_and_saveexec_b64 s[18:19], s[6:7]
	s_cbranch_execz .LBB785_41
; %bb.40:
	v_lshlrev_b32_e32 v3, 2, v54
	ds_write_b32 v3, v2
.LBB785_41:
	s_or_b64 exec, exec, s[18:19]
	v_cmp_gt_u32_e32 vcc, 4, v0
	s_waitcnt lgkmcnt(0)
	s_barrier
	s_and_saveexec_b64 s[18:19], vcc
	s_cbranch_execz .LBB785_43
; %bb.42:
	ds_read_b32 v3, v34
	v_and_b32_e32 v4, 3, v53
	v_cmp_ne_u32_e32 vcc, 0, v4
	s_waitcnt lgkmcnt(0)
	v_mov_b32_dpp v5, v3 row_shr:1 row_mask:0xf bank_mask:0xf
	v_cndmask_b32_e32 v5, 0, v5, vcc
	v_add_u32_e32 v3, v5, v3
	v_cmp_lt_u32_e32 vcc, 1, v4
	s_nop 0
	v_mov_b32_dpp v5, v3 row_shr:2 row_mask:0xf bank_mask:0xf
	v_cndmask_b32_e32 v4, 0, v5, vcc
	v_add_u32_e32 v3, v3, v4
	ds_write_b32 v34, v3
.LBB785_43:
	s_or_b64 exec, exec, s[18:19]
	v_cmp_gt_u32_e32 vcc, 64, v0
	v_cmp_lt_u32_e64 s[18:19], 63, v0
	s_waitcnt lgkmcnt(0)
	s_barrier
	s_waitcnt lgkmcnt(0)
                                        ; implicit-def: $vgpr12
	s_and_saveexec_b64 s[34:35], s[18:19]
	s_cbranch_execz .LBB785_45
; %bb.44:
	v_lshl_add_u32 v3, v54, 2, -4
	ds_read_b32 v12, v3
	s_waitcnt lgkmcnt(0)
	v_add_u32_e32 v2, v12, v2
.LBB785_45:
	s_or_b64 exec, exec, s[34:35]
	v_add_u32_e32 v3, -1, v53
	v_and_b32_e32 v4, 64, v53
	v_cmp_lt_i32_e64 s[18:19], v3, v4
	v_cndmask_b32_e64 v3, v3, v53, s[18:19]
	v_lshlrev_b32_e32 v3, 2, v3
	ds_bpermute_b32 v13, v3, v2
	v_cmp_eq_u32_e64 s[18:19], 0, v53
	s_and_saveexec_b64 s[34:35], vcc
	s_cbranch_execz .LBB785_68
; %bb.46:
	v_mov_b32_e32 v11, 0
	ds_read_b32 v2, v11 offset:12
	s_and_saveexec_b64 s[36:37], s[18:19]
	s_cbranch_execz .LBB785_48
; %bb.47:
	s_add_i32 s38, s40, 64
	s_mov_b32 s39, 0
	s_lshl_b64 s[38:39], s[38:39], 3
	s_add_u32 s38, s30, s38
	v_mov_b32_e32 v3, 1
	s_addc_u32 s39, s31, s39
	s_waitcnt lgkmcnt(0)
	global_store_dwordx2 v11, v[2:3], s[38:39]
.LBB785_48:
	s_or_b64 exec, exec, s[36:37]
	v_xad_u32 v4, v53, -1, s40
	v_add_u32_e32 v10, 64, v4
	v_lshlrev_b64 v[6:7], 3, v[10:11]
	v_mov_b32_e32 v3, s31
	v_add_co_u32_e32 v6, vcc, s30, v6
	v_addc_co_u32_e32 v7, vcc, v3, v7, vcc
	global_load_dwordx2 v[8:9], v[6:7], off glc
	s_waitcnt vmcnt(0)
	v_cmp_eq_u16_sdwa s[38:39], v9, v11 src0_sel:BYTE_0 src1_sel:DWORD
	s_and_saveexec_b64 s[36:37], s[38:39]
	s_cbranch_execz .LBB785_54
; %bb.49:
	s_mov_b32 s41, 1
	s_mov_b64 s[38:39], 0
	v_mov_b32_e32 v3, 0
.LBB785_50:                             ; =>This Loop Header: Depth=1
                                        ;     Child Loop BB785_51 Depth 2
	s_max_u32 s42, s41, 1
.LBB785_51:                             ;   Parent Loop BB785_50 Depth=1
                                        ; =>  This Inner Loop Header: Depth=2
	s_add_i32 s42, s42, -1
	s_cmp_eq_u32 s42, 0
	s_sleep 1
	s_cbranch_scc0 .LBB785_51
; %bb.52:                               ;   in Loop: Header=BB785_50 Depth=1
	global_load_dwordx2 v[8:9], v[6:7], off glc
	s_cmp_lt_u32 s41, 32
	s_cselect_b64 s[42:43], -1, 0
	s_cmp_lg_u64 s[42:43], 0
	s_addc_u32 s41, s41, 0
	s_waitcnt vmcnt(0)
	v_cmp_ne_u16_sdwa s[42:43], v9, v3 src0_sel:BYTE_0 src1_sel:DWORD
	s_or_b64 s[38:39], s[42:43], s[38:39]
	s_andn2_b64 exec, exec, s[38:39]
	s_cbranch_execnz .LBB785_50
; %bb.53:
	s_or_b64 exec, exec, s[38:39]
.LBB785_54:
	s_or_b64 exec, exec, s[36:37]
	v_and_b32_e32 v14, 63, v53
	v_mov_b32_e32 v3, 2
	v_cmp_ne_u32_e32 vcc, 63, v14
	v_cmp_eq_u16_sdwa s[36:37], v9, v3 src0_sel:BYTE_0 src1_sel:DWORD
	v_lshlrev_b64 v[6:7], v53, -1
	v_addc_co_u32_e32 v11, vcc, 0, v53, vcc
	v_and_b32_e32 v5, s37, v7
	v_lshlrev_b32_e32 v15, 2, v11
	v_or_b32_e32 v5, 0x80000000, v5
	ds_bpermute_b32 v11, v15, v8
	v_and_b32_e32 v10, s36, v6
	v_ffbl_b32_e32 v5, v5
	v_add_u32_e32 v5, 32, v5
	v_ffbl_b32_e32 v10, v10
	v_min_u32_e32 v5, v10, v5
	v_cmp_lt_u32_e32 vcc, v14, v5
	s_waitcnt lgkmcnt(0)
	v_cndmask_b32_e32 v10, 0, v11, vcc
	v_cmp_gt_u32_e32 vcc, 62, v14
	v_add_u32_e32 v8, v10, v8
	v_cndmask_b32_e64 v10, 0, 1, vcc
	v_lshlrev_b32_e32 v10, 1, v10
	v_add_lshl_u32 v16, v10, v53, 2
	ds_bpermute_b32 v10, v16, v8
	v_add_u32_e32 v17, 2, v14
	v_cmp_le_u32_e32 vcc, v17, v5
	v_add_u32_e32 v19, 4, v14
	v_add_u32_e32 v57, 8, v14
	s_waitcnt lgkmcnt(0)
	v_cndmask_b32_e32 v10, 0, v10, vcc
	v_cmp_gt_u32_e32 vcc, 60, v14
	v_add_u32_e32 v8, v8, v10
	v_cndmask_b32_e64 v10, 0, 1, vcc
	v_lshlrev_b32_e32 v10, 2, v10
	v_add_lshl_u32 v18, v10, v53, 2
	ds_bpermute_b32 v10, v18, v8
	v_cmp_le_u32_e32 vcc, v19, v5
	v_add_u32_e32 v60, 16, v14
	v_add_u32_e32 v62, 32, v14
	s_waitcnt lgkmcnt(0)
	v_cndmask_b32_e32 v10, 0, v10, vcc
	v_cmp_gt_u32_e32 vcc, 56, v14
	v_add_u32_e32 v8, v8, v10
	v_cndmask_b32_e64 v10, 0, 1, vcc
	v_lshlrev_b32_e32 v10, 3, v10
	v_add_lshl_u32 v56, v10, v53, 2
	ds_bpermute_b32 v10, v56, v8
	v_cmp_le_u32_e32 vcc, v57, v5
	s_waitcnt lgkmcnt(0)
	v_cndmask_b32_e32 v10, 0, v10, vcc
	v_cmp_gt_u32_e32 vcc, 48, v14
	v_add_u32_e32 v8, v8, v10
	v_cndmask_b32_e64 v10, 0, 1, vcc
	v_lshlrev_b32_e32 v10, 4, v10
	v_add_lshl_u32 v59, v10, v53, 2
	ds_bpermute_b32 v10, v59, v8
	v_cmp_le_u32_e32 vcc, v60, v5
	;; [unrolled: 9-line block ×3, first 2 shown]
	s_waitcnt lgkmcnt(0)
	v_cndmask_b32_e32 v5, 0, v10, vcc
	v_add_u32_e32 v8, v8, v5
	v_mov_b32_e32 v5, 0
	s_branch .LBB785_56
.LBB785_55:                             ;   in Loop: Header=BB785_56 Depth=1
	s_or_b64 exec, exec, s[36:37]
	v_cmp_eq_u16_sdwa s[36:37], v9, v3 src0_sel:BYTE_0 src1_sel:DWORD
	v_and_b32_e32 v10, s37, v7
	v_or_b32_e32 v10, 0x80000000, v10
	ds_bpermute_b32 v63, v15, v8
	v_and_b32_e32 v11, s36, v6
	v_ffbl_b32_e32 v10, v10
	v_add_u32_e32 v10, 32, v10
	v_ffbl_b32_e32 v11, v11
	v_min_u32_e32 v10, v11, v10
	v_cmp_lt_u32_e32 vcc, v14, v10
	s_waitcnt lgkmcnt(0)
	v_cndmask_b32_e32 v11, 0, v63, vcc
	v_add_u32_e32 v8, v11, v8
	ds_bpermute_b32 v11, v16, v8
	v_cmp_le_u32_e32 vcc, v17, v10
	v_subrev_u32_e32 v4, 64, v4
	s_waitcnt lgkmcnt(0)
	v_cndmask_b32_e32 v11, 0, v11, vcc
	v_add_u32_e32 v8, v8, v11
	ds_bpermute_b32 v11, v18, v8
	v_cmp_le_u32_e32 vcc, v19, v10
	s_waitcnt lgkmcnt(0)
	v_cndmask_b32_e32 v11, 0, v11, vcc
	v_add_u32_e32 v8, v8, v11
	ds_bpermute_b32 v11, v56, v8
	v_cmp_le_u32_e32 vcc, v57, v10
	;; [unrolled: 5-line block ×4, first 2 shown]
	s_waitcnt lgkmcnt(0)
	v_cndmask_b32_e32 v10, 0, v11, vcc
	v_add3_u32 v8, v10, v58, v8
.LBB785_56:                             ; =>This Loop Header: Depth=1
                                        ;     Child Loop BB785_59 Depth 2
                                        ;       Child Loop BB785_60 Depth 3
	v_cmp_ne_u16_sdwa s[36:37], v9, v3 src0_sel:BYTE_0 src1_sel:DWORD
	v_cndmask_b32_e64 v9, 0, 1, s[36:37]
	;;#ASMSTART
	;;#ASMEND
	v_cmp_ne_u32_e32 vcc, 0, v9
	s_cmp_lg_u64 vcc, exec
	v_mov_b32_e32 v58, v8
	s_cbranch_scc1 .LBB785_63
; %bb.57:                               ;   in Loop: Header=BB785_56 Depth=1
	v_lshlrev_b64 v[8:9], 3, v[4:5]
	v_mov_b32_e32 v11, s31
	v_add_co_u32_e32 v10, vcc, s30, v8
	v_addc_co_u32_e32 v11, vcc, v11, v9, vcc
	global_load_dwordx2 v[8:9], v[10:11], off glc
	s_waitcnt vmcnt(0)
	v_cmp_eq_u16_sdwa s[38:39], v9, v5 src0_sel:BYTE_0 src1_sel:DWORD
	s_and_saveexec_b64 s[36:37], s[38:39]
	s_cbranch_execz .LBB785_55
; %bb.58:                               ;   in Loop: Header=BB785_56 Depth=1
	s_mov_b32 s41, 1
	s_mov_b64 s[38:39], 0
.LBB785_59:                             ;   Parent Loop BB785_56 Depth=1
                                        ; =>  This Loop Header: Depth=2
                                        ;       Child Loop BB785_60 Depth 3
	s_max_u32 s42, s41, 1
.LBB785_60:                             ;   Parent Loop BB785_56 Depth=1
                                        ;     Parent Loop BB785_59 Depth=2
                                        ; =>    This Inner Loop Header: Depth=3
	s_add_i32 s42, s42, -1
	s_cmp_eq_u32 s42, 0
	s_sleep 1
	s_cbranch_scc0 .LBB785_60
; %bb.61:                               ;   in Loop: Header=BB785_59 Depth=2
	global_load_dwordx2 v[8:9], v[10:11], off glc
	s_cmp_lt_u32 s41, 32
	s_cselect_b64 s[42:43], -1, 0
	s_cmp_lg_u64 s[42:43], 0
	s_addc_u32 s41, s41, 0
	s_waitcnt vmcnt(0)
	v_cmp_ne_u16_sdwa s[42:43], v9, v5 src0_sel:BYTE_0 src1_sel:DWORD
	s_or_b64 s[38:39], s[42:43], s[38:39]
	s_andn2_b64 exec, exec, s[38:39]
	s_cbranch_execnz .LBB785_59
; %bb.62:                               ;   in Loop: Header=BB785_56 Depth=1
	s_or_b64 exec, exec, s[38:39]
	s_branch .LBB785_55
.LBB785_63:                             ;   in Loop: Header=BB785_56 Depth=1
                                        ; implicit-def: $vgpr8
                                        ; implicit-def: $vgpr9
	s_cbranch_execz .LBB785_56
; %bb.64:
	s_and_saveexec_b64 s[36:37], s[18:19]
	s_cbranch_execz .LBB785_66
; %bb.65:
	s_add_i32 s38, s40, 64
	s_mov_b32 s39, 0
	s_lshl_b64 s[38:39], s[38:39], 3
	s_add_u32 s38, s30, s38
	v_add_u32_e32 v4, v58, v2
	v_mov_b32_e32 v5, 2
	s_addc_u32 s39, s31, s39
	v_mov_b32_e32 v3, 0
	global_store_dwordx2 v3, v[4:5], s[38:39]
	s_movk_i32 s38, 0x3400
	v_add_u32_e64 v3, s38, 0
	ds_write2_b32 v3, v2, v58 offset1:2
.LBB785_66:
	s_or_b64 exec, exec, s[36:37]
	s_and_b64 exec, exec, s[0:1]
	s_cbranch_execz .LBB785_68
; %bb.67:
	v_mov_b32_e32 v2, 0
	ds_write_b32 v2, v58 offset:12
.LBB785_68:
	s_or_b64 exec, exec, s[34:35]
	v_mov_b32_e32 v2, 0
	s_waitcnt lgkmcnt(0)
	s_barrier
	ds_read_b32 v2, v2 offset:12
	v_cndmask_b32_e64 v3, v13, v12, s[18:19]
	v_cndmask_b32_e64 v3, v3, 0, s[0:1]
	s_movk_i32 s18, 0x3400
	v_add_u32_e64 v12, s18, 0
	s_waitcnt lgkmcnt(0)
	v_add_u32_e32 v2, v2, v3
	v_add_u32_e32 v3, v2, v44
	;; [unrolled: 1-line block ×9, first 2 shown]
	s_barrier
	ds_read2_b32 v[18:19], v12 offset1:2
	v_add_u32_e32 v11, v10, v50
	v_add_u32_e32 v12, v11, v51
	;; [unrolled: 1-line block ×4, first 2 shown]
	s_branch .LBB785_79
.LBB785_69:
                                        ; implicit-def: $vgpr19
                                        ; implicit-def: $vgpr2_vgpr3_vgpr4_vgpr5_vgpr6_vgpr7_vgpr8_vgpr9_vgpr10_vgpr11_vgpr12_vgpr13_vgpr14_vgpr15_vgpr16_vgpr17
	s_cbranch_execz .LBB785_79
; %bb.70:
	s_nop 0
	v_mov_b32_dpp v2, v55 row_shr:1 row_mask:0xf bank_mask:0xf
	v_cndmask_b32_e64 v2, v2, 0, s[16:17]
	v_add_u32_e32 v2, v2, v55
	s_nop 1
	v_mov_b32_dpp v3, v2 row_shr:2 row_mask:0xf bank_mask:0xf
	v_cndmask_b32_e64 v3, 0, v3, s[14:15]
	v_add_u32_e32 v2, v2, v3
	s_nop 1
	v_mov_b32_dpp v3, v2 row_shr:4 row_mask:0xf bank_mask:0xf
	v_cndmask_b32_e64 v3, 0, v3, s[12:13]
	v_add_u32_e32 v2, v2, v3
	s_nop 1
	v_mov_b32_dpp v3, v2 row_shr:8 row_mask:0xf bank_mask:0xf
	v_cndmask_b32_e64 v3, 0, v3, s[10:11]
	v_add_u32_e32 v2, v2, v3
	s_nop 1
	v_mov_b32_dpp v3, v2 row_bcast:15 row_mask:0xf bank_mask:0xf
	v_cndmask_b32_e64 v3, v3, 0, s[8:9]
	v_add_u32_e32 v2, v2, v3
	s_nop 1
	v_mov_b32_dpp v3, v2 row_bcast:31 row_mask:0xf bank_mask:0xf
	v_cndmask_b32_e64 v3, 0, v3, s[4:5]
	v_add_u32_e32 v2, v2, v3
	s_and_saveexec_b64 s[4:5], s[6:7]
	s_cbranch_execz .LBB785_72
; %bb.71:
	v_lshlrev_b32_e32 v3, 2, v54
	ds_write_b32 v3, v2
.LBB785_72:
	s_or_b64 exec, exec, s[4:5]
	v_cmp_gt_u32_e32 vcc, 4, v0
	s_waitcnt lgkmcnt(0)
	s_barrier
	s_and_saveexec_b64 s[4:5], vcc
	s_cbranch_execz .LBB785_74
; %bb.73:
	ds_read_b32 v3, v34
	v_and_b32_e32 v4, 3, v53
	v_cmp_ne_u32_e32 vcc, 0, v4
	s_waitcnt lgkmcnt(0)
	v_mov_b32_dpp v5, v3 row_shr:1 row_mask:0xf bank_mask:0xf
	v_cndmask_b32_e32 v5, 0, v5, vcc
	v_add_u32_e32 v3, v5, v3
	v_cmp_lt_u32_e32 vcc, 1, v4
	s_nop 0
	v_mov_b32_dpp v5, v3 row_shr:2 row_mask:0xf bank_mask:0xf
	v_cndmask_b32_e32 v4, 0, v5, vcc
	v_add_u32_e32 v3, v3, v4
	ds_write_b32 v34, v3
.LBB785_74:
	s_or_b64 exec, exec, s[4:5]
	v_cmp_lt_u32_e32 vcc, 63, v0
	v_mov_b32_e32 v4, 0
	v_mov_b32_e32 v3, 0
	s_waitcnt lgkmcnt(0)
	s_barrier
	s_and_saveexec_b64 s[4:5], vcc
	s_cbranch_execz .LBB785_76
; %bb.75:
	v_lshl_add_u32 v3, v54, 2, -4
	ds_read_b32 v3, v3
.LBB785_76:
	s_or_b64 exec, exec, s[4:5]
	v_add_u32_e32 v5, -1, v53
	v_and_b32_e32 v6, 64, v53
	v_cmp_lt_i32_e32 vcc, v5, v6
	v_cndmask_b32_e32 v5, v5, v53, vcc
	s_waitcnt lgkmcnt(0)
	v_add_u32_e32 v2, v3, v2
	v_lshlrev_b32_e32 v5, 2, v5
	ds_bpermute_b32 v2, v5, v2
	ds_read_b32 v18, v4 offset:12
	s_and_saveexec_b64 s[4:5], s[0:1]
	s_cbranch_execz .LBB785_78
; %bb.77:
	v_mov_b32_e32 v4, 0
	v_mov_b32_e32 v19, 2
	s_waitcnt lgkmcnt(0)
	global_store_dwordx2 v4, v[18:19], s[30:31] offset:512
.LBB785_78:
	s_or_b64 exec, exec, s[4:5]
	v_cmp_eq_u32_e32 vcc, 0, v53
	s_waitcnt lgkmcnt(1)
	v_cndmask_b32_e32 v2, v2, v3, vcc
	v_cndmask_b32_e64 v2, v2, 0, s[0:1]
	v_add_u32_e32 v3, v2, v44
	v_add_u32_e32 v4, v3, v45
	;; [unrolled: 1-line block ×11, first 2 shown]
	v_mov_b32_e32 v19, 0
	v_add_u32_e32 v14, v13, v41
	s_waitcnt lgkmcnt(0)
	s_barrier
.LBB785_79:
	s_waitcnt lgkmcnt(0)
	v_add_u32_e32 v36, v18, v36
	v_sub_u32_e32 v2, v2, v19
	v_and_b32_e32 v45, 1, v40
	v_sub_u32_e32 v44, v36, v2
	v_cmp_eq_u32_e32 vcc, 1, v45
	v_cndmask_b32_e32 v2, v44, v2, vcc
	v_lshlrev_b32_e32 v2, 2, v2
	v_lshrrev_b32_e32 v17, 8, v40
	ds_write_b32 v2, v32
	v_sub_u32_e32 v2, v3, v19
	v_sub_u32_e32 v3, v36, v2
	v_and_b32_e32 v17, 1, v17
	v_add_u32_e32 v3, 1, v3
	v_cmp_eq_u32_e32 vcc, 1, v17
	v_cndmask_b32_e32 v2, v3, v2, vcc
	v_lshlrev_b32_e32 v2, 2, v2
	ds_write_b32 v2, v33
	v_sub_u32_e32 v2, v4, v19
	v_mov_b32_e32 v4, 1
	v_sub_u32_e32 v3, v36, v2
	v_and_b32_sdwa v17, v4, v40 dst_sel:DWORD dst_unused:UNUSED_PAD src0_sel:DWORD src1_sel:WORD_1
	v_add_u32_e32 v3, 2, v3
	v_cmp_eq_u32_e32 vcc, 1, v17
	v_cndmask_b32_e32 v2, v3, v2, vcc
	v_lshlrev_b32_e32 v2, 2, v2
	ds_write_b32 v2, v30
	v_sub_u32_e32 v2, v5, v19
	v_sub_u32_e32 v3, v36, v2
	v_and_b32_e32 v5, 1, v43
	v_add_u32_e32 v3, 3, v3
	v_cmp_eq_u32_e32 vcc, 1, v5
	v_cndmask_b32_e32 v2, v3, v2, vcc
	v_lshlrev_b32_e32 v2, 2, v2
	ds_write_b32 v2, v31
	v_sub_u32_e32 v2, v6, v19
	v_sub_u32_e32 v3, v36, v2
	v_and_b32_e32 v5, 1, v39
	v_add_u32_e32 v3, 4, v3
	v_cmp_eq_u32_e32 vcc, 1, v5
	v_cndmask_b32_e32 v2, v3, v2, vcc
	v_lshlrev_b32_e32 v2, 2, v2
	v_lshrrev_b32_e32 v16, 8, v39
	ds_write_b32 v2, v28
	v_sub_u32_e32 v2, v7, v19
	v_sub_u32_e32 v3, v36, v2
	v_and_b32_e32 v5, 1, v16
	v_add_u32_e32 v3, 5, v3
	v_cmp_eq_u32_e32 vcc, 1, v5
	v_cndmask_b32_e32 v2, v3, v2, vcc
	v_lshlrev_b32_e32 v2, 2, v2
	ds_write_b32 v2, v29
	v_sub_u32_e32 v2, v8, v19
	v_sub_u32_e32 v3, v36, v2
	v_and_b32_sdwa v5, v4, v39 dst_sel:DWORD dst_unused:UNUSED_PAD src0_sel:DWORD src1_sel:WORD_1
	v_add_u32_e32 v3, 6, v3
	v_cmp_eq_u32_e32 vcc, 1, v5
	v_cndmask_b32_e32 v2, v3, v2, vcc
	v_lshlrev_b32_e32 v2, 2, v2
	ds_write_b32 v2, v26
	v_sub_u32_e32 v2, v9, v19
	v_sub_u32_e32 v3, v36, v2
	v_and_b32_e32 v5, 1, v42
	v_add_u32_e32 v3, 7, v3
	v_cmp_eq_u32_e32 vcc, 1, v5
	v_cndmask_b32_e32 v2, v3, v2, vcc
	v_lshlrev_b32_e32 v2, 2, v2
	ds_write_b32 v2, v27
	v_sub_u32_e32 v2, v10, v19
	v_sub_u32_e32 v3, v36, v2
	v_and_b32_e32 v5, 1, v38
	v_add_u32_e32 v3, 8, v3
	v_cmp_eq_u32_e32 vcc, 1, v5
	v_cndmask_b32_e32 v2, v3, v2, vcc
	v_lshlrev_b32_e32 v2, 2, v2
	v_lshrrev_b32_e32 v15, 8, v38
	ds_write_b32 v2, v24
	v_sub_u32_e32 v2, v11, v19
	v_sub_u32_e32 v3, v36, v2
	v_and_b32_e32 v5, 1, v15
	v_add_u32_e32 v3, 9, v3
	v_cmp_eq_u32_e32 vcc, 1, v5
	v_cndmask_b32_e32 v2, v3, v2, vcc
	v_lshlrev_b32_e32 v2, 2, v2
	ds_write_b32 v2, v25
	v_sub_u32_e32 v2, v12, v19
	v_sub_u32_e32 v3, v36, v2
	v_and_b32_sdwa v4, v4, v38 dst_sel:DWORD dst_unused:UNUSED_PAD src0_sel:DWORD src1_sel:WORD_1
	v_add_u32_e32 v3, 10, v3
	v_cmp_eq_u32_e32 vcc, 1, v4
	v_cndmask_b32_e32 v2, v3, v2, vcc
	v_lshlrev_b32_e32 v2, 2, v2
	ds_write_b32 v2, v22
	v_sub_u32_e32 v2, v13, v19
	v_sub_u32_e32 v3, v36, v2
	v_and_b32_e32 v4, 1, v41
	v_add_u32_e32 v3, 11, v3
	v_cmp_eq_u32_e32 vcc, 1, v4
	v_cndmask_b32_e32 v2, v3, v2, vcc
	v_lshlrev_b32_e32 v2, 2, v2
	ds_write_b32 v2, v23
	v_sub_u32_e32 v2, v14, v19
	v_sub_u32_e32 v3, v36, v2
	v_and_b32_e32 v4, 1, v37
	v_add_u32_e32 v3, 12, v3
	v_cmp_eq_u32_e32 vcc, 1, v4
	v_cndmask_b32_e32 v2, v3, v2, vcc
	s_waitcnt vmcnt(0)
	v_add_co_u32_e32 v16, vcc, v20, v19
	v_addc_co_u32_e32 v17, vcc, 0, v21, vcc
	v_mov_b32_e32 v14, s29
	v_add_co_u32_e32 v1, vcc, s28, v1
	v_addc_co_u32_e32 v14, vcc, 0, v14, vcc
	v_lshlrev_b32_e32 v2, 2, v2
	v_mov_b32_e32 v15, s27
	v_sub_co_u32_e32 v1, vcc, s26, v1
	ds_write_b32 v2, v35
	s_waitcnt lgkmcnt(0)
	s_barrier
	ds_read2st64_b32 v[12:13], v34 offset1:4
	ds_read2st64_b32 v[10:11], v34 offset0:8 offset1:12
	ds_read2st64_b32 v[8:9], v34 offset0:16 offset1:20
	;; [unrolled: 1-line block ×5, first 2 shown]
	ds_read_b32 v22, v34 offset:12288
	v_subb_co_u32_e32 v14, vcc, v15, v14, vcc
	v_add_co_u32_e32 v1, vcc, v1, v18
	v_addc_co_u32_e32 v14, vcc, 0, v14, vcc
	s_and_b64 vcc, exec, s[2:3]
	v_add_co_u32_e64 v1, s[2:3], v1, v16
	v_or_b32_e32 v35, 0x100, v0
	v_or_b32_e32 v33, 0x200, v0
	;; [unrolled: 1-line block ×12, first 2 shown]
	v_addc_co_u32_e64 v19, s[2:3], v14, v17, s[2:3]
	s_cbranch_vccnz .LBB785_136
; %bb.80:
	v_cmp_ge_u32_e32 vcc, v0, v18
                                        ; implicit-def: $vgpr14_vgpr15
	s_and_saveexec_b64 s[2:3], vcc
	s_xor_b64 s[2:3], exec, s[2:3]
; %bb.81:
	v_not_b32_e32 v14, v0
	v_ashrrev_i32_e32 v15, 31, v14
	v_add_co_u32_e32 v14, vcc, v1, v14
	v_addc_co_u32_e32 v15, vcc, v19, v15, vcc
; %bb.82:
	s_andn2_saveexec_b64 s[2:3], s[2:3]
; %bb.83:
	v_add_co_u32_e32 v14, vcc, v16, v0
	v_addc_co_u32_e32 v15, vcc, 0, v17, vcc
; %bb.84:
	s_or_b64 exec, exec, s[2:3]
	v_lshlrev_b64 v[14:15], 2, v[14:15]
	v_mov_b32_e32 v20, s25
	v_add_co_u32_e32 v14, vcc, s24, v14
	v_addc_co_u32_e32 v15, vcc, v20, v15, vcc
	v_cmp_ge_u32_e32 vcc, v35, v18
	s_waitcnt lgkmcnt(6)
	global_store_dword v[14:15], v12, off
                                        ; implicit-def: $vgpr14_vgpr15
	s_and_saveexec_b64 s[2:3], vcc
	s_xor_b64 s[2:3], exec, s[2:3]
; %bb.85:
	v_xor_b32_e32 v14, 0xfffffeff, v0
	v_ashrrev_i32_e32 v15, 31, v14
	v_add_co_u32_e32 v14, vcc, v1, v14
	v_addc_co_u32_e32 v15, vcc, v19, v15, vcc
; %bb.86:
	s_andn2_saveexec_b64 s[2:3], s[2:3]
; %bb.87:
	v_add_co_u32_e32 v14, vcc, v16, v35
	v_addc_co_u32_e32 v15, vcc, 0, v17, vcc
; %bb.88:
	s_or_b64 exec, exec, s[2:3]
	v_lshlrev_b64 v[14:15], 2, v[14:15]
	v_mov_b32_e32 v20, s25
	v_add_co_u32_e32 v14, vcc, s24, v14
	v_addc_co_u32_e32 v15, vcc, v20, v15, vcc
	v_cmp_ge_u32_e32 vcc, v33, v18
	global_store_dword v[14:15], v13, off
                                        ; implicit-def: $vgpr14_vgpr15
	s_and_saveexec_b64 s[2:3], vcc
	s_xor_b64 s[2:3], exec, s[2:3]
; %bb.89:
	v_xor_b32_e32 v14, 0xfffffdff, v0
	v_ashrrev_i32_e32 v15, 31, v14
	v_add_co_u32_e32 v14, vcc, v1, v14
	v_addc_co_u32_e32 v15, vcc, v19, v15, vcc
; %bb.90:
	s_andn2_saveexec_b64 s[2:3], s[2:3]
; %bb.91:
	v_add_co_u32_e32 v14, vcc, v16, v33
	v_addc_co_u32_e32 v15, vcc, 0, v17, vcc
; %bb.92:
	s_or_b64 exec, exec, s[2:3]
	v_lshlrev_b64 v[14:15], 2, v[14:15]
	v_mov_b32_e32 v20, s25
	v_add_co_u32_e32 v14, vcc, s24, v14
	v_addc_co_u32_e32 v15, vcc, v20, v15, vcc
	v_cmp_ge_u32_e32 vcc, v32, v18
	s_waitcnt lgkmcnt(5)
	global_store_dword v[14:15], v10, off
                                        ; implicit-def: $vgpr14_vgpr15
	s_and_saveexec_b64 s[2:3], vcc
	s_xor_b64 s[2:3], exec, s[2:3]
; %bb.93:
	v_xor_b32_e32 v14, 0xfffffcff, v0
	v_ashrrev_i32_e32 v15, 31, v14
	v_add_co_u32_e32 v14, vcc, v1, v14
	v_addc_co_u32_e32 v15, vcc, v19, v15, vcc
; %bb.94:
	s_andn2_saveexec_b64 s[2:3], s[2:3]
; %bb.95:
	v_add_co_u32_e32 v14, vcc, v16, v32
	v_addc_co_u32_e32 v15, vcc, 0, v17, vcc
; %bb.96:
	s_or_b64 exec, exec, s[2:3]
	v_lshlrev_b64 v[14:15], 2, v[14:15]
	v_mov_b32_e32 v20, s25
	v_add_co_u32_e32 v14, vcc, s24, v14
	v_addc_co_u32_e32 v15, vcc, v20, v15, vcc
	v_cmp_ge_u32_e32 vcc, v31, v18
	global_store_dword v[14:15], v11, off
                                        ; implicit-def: $vgpr14_vgpr15
	s_and_saveexec_b64 s[2:3], vcc
	s_xor_b64 s[2:3], exec, s[2:3]
; %bb.97:
	v_xor_b32_e32 v14, 0xfffffbff, v0
	;; [unrolled: 43-line block ×6, first 2 shown]
	v_ashrrev_i32_e32 v15, 31, v14
	v_add_co_u32_e32 v14, vcc, v1, v14
	v_addc_co_u32_e32 v15, vcc, v19, v15, vcc
; %bb.130:
	s_andn2_saveexec_b64 s[2:3], s[2:3]
; %bb.131:
	v_add_co_u32_e32 v14, vcc, v16, v23
	v_addc_co_u32_e32 v15, vcc, 0, v17, vcc
; %bb.132:
	s_or_b64 exec, exec, s[2:3]
	s_mov_b64 s[2:3], -1
.LBB785_133:
	s_and_saveexec_b64 s[4:5], s[2:3]
	s_cbranch_execz .LBB785_216
.LBB785_134:
	v_lshlrev_b64 v[0:1], 2, v[14:15]
	s_waitcnt lgkmcnt(1)
	v_mov_b32_e32 v2, s25
	v_add_co_u32_e32 v0, vcc, s24, v0
	v_addc_co_u32_e32 v1, vcc, v2, v1, vcc
	s_waitcnt lgkmcnt(0)
	global_store_dword v[0:1], v22, off
	s_or_b64 exec, exec, s[4:5]
	s_and_b64 s[0:1], s[0:1], s[22:23]
	s_and_saveexec_b64 s[2:3], s[0:1]
	s_cbranch_execnz .LBB785_217
.LBB785_135:
	s_endpgm
.LBB785_136:
	s_mov_b64 s[2:3], 0
                                        ; implicit-def: $vgpr14_vgpr15
	s_cbranch_execz .LBB785_133
; %bb.137:
	v_cmp_gt_u32_e32 vcc, s33, v0
	s_and_saveexec_b64 s[4:5], vcc
	s_cbranch_execz .LBB785_173
; %bb.138:
	v_cmp_ge_u32_e32 vcc, v0, v18
                                        ; implicit-def: $vgpr14_vgpr15
	s_and_saveexec_b64 s[6:7], vcc
	s_xor_b64 s[6:7], exec, s[6:7]
; %bb.139:
	v_not_b32_e32 v14, v0
	v_ashrrev_i32_e32 v15, 31, v14
	v_add_co_u32_e32 v14, vcc, v1, v14
	v_addc_co_u32_e32 v15, vcc, v19, v15, vcc
; %bb.140:
	s_andn2_saveexec_b64 s[6:7], s[6:7]
; %bb.141:
	v_add_co_u32_e32 v14, vcc, v16, v0
	v_addc_co_u32_e32 v15, vcc, 0, v17, vcc
; %bb.142:
	s_or_b64 exec, exec, s[6:7]
	v_lshlrev_b64 v[14:15], 2, v[14:15]
	v_mov_b32_e32 v20, s25
	v_add_co_u32_e32 v14, vcc, s24, v14
	v_addc_co_u32_e32 v15, vcc, v20, v15, vcc
	s_waitcnt lgkmcnt(6)
	global_store_dword v[14:15], v12, off
	s_or_b64 exec, exec, s[4:5]
	v_cmp_gt_u32_e32 vcc, s33, v35
	s_and_saveexec_b64 s[4:5], vcc
	s_cbranch_execnz .LBB785_174
.LBB785_143:
	s_or_b64 exec, exec, s[4:5]
	v_cmp_gt_u32_e32 vcc, s33, v33
	s_and_saveexec_b64 s[4:5], vcc
	s_cbranch_execz .LBB785_179
.LBB785_144:
	v_cmp_ge_u32_e32 vcc, v33, v18
                                        ; implicit-def: $vgpr12_vgpr13
	s_and_saveexec_b64 s[6:7], vcc
	s_xor_b64 s[6:7], exec, s[6:7]
	s_cbranch_execz .LBB785_146
; %bb.145:
	s_waitcnt lgkmcnt(6)
	v_xor_b32_e32 v12, 0xfffffdff, v0
	v_ashrrev_i32_e32 v13, 31, v12
	v_add_co_u32_e32 v12, vcc, v1, v12
	v_addc_co_u32_e32 v13, vcc, v19, v13, vcc
                                        ; implicit-def: $vgpr33
.LBB785_146:
	s_andn2_saveexec_b64 s[6:7], s[6:7]
	s_cbranch_execz .LBB785_148
; %bb.147:
	s_waitcnt lgkmcnt(6)
	v_add_co_u32_e32 v12, vcc, v16, v33
	v_addc_co_u32_e32 v13, vcc, 0, v17, vcc
.LBB785_148:
	s_or_b64 exec, exec, s[6:7]
	s_waitcnt lgkmcnt(6)
	v_lshlrev_b64 v[12:13], 2, v[12:13]
	v_mov_b32_e32 v14, s25
	v_add_co_u32_e32 v12, vcc, s24, v12
	v_addc_co_u32_e32 v13, vcc, v14, v13, vcc
	s_waitcnt lgkmcnt(5)
	global_store_dword v[12:13], v10, off
	s_or_b64 exec, exec, s[4:5]
	v_cmp_gt_u32_e32 vcc, s33, v32
	s_and_saveexec_b64 s[4:5], vcc
	s_cbranch_execnz .LBB785_180
.LBB785_149:
	s_or_b64 exec, exec, s[4:5]
	v_cmp_gt_u32_e32 vcc, s33, v31
	s_and_saveexec_b64 s[4:5], vcc
	s_cbranch_execz .LBB785_185
.LBB785_150:
	v_cmp_ge_u32_e32 vcc, v31, v18
                                        ; implicit-def: $vgpr10_vgpr11
	s_and_saveexec_b64 s[6:7], vcc
	s_xor_b64 s[6:7], exec, s[6:7]
	s_cbranch_execz .LBB785_152
; %bb.151:
	s_waitcnt lgkmcnt(5)
	v_xor_b32_e32 v10, 0xfffffbff, v0
	v_ashrrev_i32_e32 v11, 31, v10
	v_add_co_u32_e32 v10, vcc, v1, v10
	v_addc_co_u32_e32 v11, vcc, v19, v11, vcc
                                        ; implicit-def: $vgpr31
.LBB785_152:
	s_andn2_saveexec_b64 s[6:7], s[6:7]
	s_cbranch_execz .LBB785_154
; %bb.153:
	s_waitcnt lgkmcnt(5)
	v_add_co_u32_e32 v10, vcc, v16, v31
	v_addc_co_u32_e32 v11, vcc, 0, v17, vcc
.LBB785_154:
	s_or_b64 exec, exec, s[6:7]
	s_waitcnt lgkmcnt(5)
	v_lshlrev_b64 v[10:11], 2, v[10:11]
	v_mov_b32_e32 v12, s25
	v_add_co_u32_e32 v10, vcc, s24, v10
	v_addc_co_u32_e32 v11, vcc, v12, v11, vcc
	s_waitcnt lgkmcnt(4)
	global_store_dword v[10:11], v8, off
	s_or_b64 exec, exec, s[4:5]
	v_cmp_gt_u32_e32 vcc, s33, v30
	s_and_saveexec_b64 s[4:5], vcc
	s_cbranch_execnz .LBB785_186
.LBB785_155:
	s_or_b64 exec, exec, s[4:5]
	v_cmp_gt_u32_e32 vcc, s33, v29
	s_and_saveexec_b64 s[4:5], vcc
	s_cbranch_execz .LBB785_191
.LBB785_156:
	v_cmp_ge_u32_e32 vcc, v29, v18
                                        ; implicit-def: $vgpr8_vgpr9
	s_and_saveexec_b64 s[6:7], vcc
	s_xor_b64 s[6:7], exec, s[6:7]
	s_cbranch_execz .LBB785_158
; %bb.157:
	s_waitcnt lgkmcnt(4)
	v_xor_b32_e32 v8, 0xfffff9ff, v0
	v_ashrrev_i32_e32 v9, 31, v8
	v_add_co_u32_e32 v8, vcc, v1, v8
	v_addc_co_u32_e32 v9, vcc, v19, v9, vcc
                                        ; implicit-def: $vgpr29
.LBB785_158:
	s_andn2_saveexec_b64 s[6:7], s[6:7]
	s_cbranch_execz .LBB785_160
; %bb.159:
	s_waitcnt lgkmcnt(4)
	v_add_co_u32_e32 v8, vcc, v16, v29
	v_addc_co_u32_e32 v9, vcc, 0, v17, vcc
.LBB785_160:
	s_or_b64 exec, exec, s[6:7]
	s_waitcnt lgkmcnt(4)
	v_lshlrev_b64 v[8:9], 2, v[8:9]
	v_mov_b32_e32 v10, s25
	v_add_co_u32_e32 v8, vcc, s24, v8
	v_addc_co_u32_e32 v9, vcc, v10, v9, vcc
	s_waitcnt lgkmcnt(3)
	global_store_dword v[8:9], v6, off
	s_or_b64 exec, exec, s[4:5]
	v_cmp_gt_u32_e32 vcc, s33, v28
	s_and_saveexec_b64 s[4:5], vcc
	s_cbranch_execnz .LBB785_192
.LBB785_161:
	s_or_b64 exec, exec, s[4:5]
	v_cmp_gt_u32_e32 vcc, s33, v27
	s_and_saveexec_b64 s[4:5], vcc
	s_cbranch_execz .LBB785_197
.LBB785_162:
	v_cmp_ge_u32_e32 vcc, v27, v18
                                        ; implicit-def: $vgpr6_vgpr7
	s_and_saveexec_b64 s[6:7], vcc
	s_xor_b64 s[6:7], exec, s[6:7]
	s_cbranch_execz .LBB785_164
; %bb.163:
	s_waitcnt lgkmcnt(3)
	v_xor_b32_e32 v6, 0xfffff7ff, v0
	v_ashrrev_i32_e32 v7, 31, v6
	v_add_co_u32_e32 v6, vcc, v1, v6
	v_addc_co_u32_e32 v7, vcc, v19, v7, vcc
                                        ; implicit-def: $vgpr27
.LBB785_164:
	s_andn2_saveexec_b64 s[6:7], s[6:7]
	s_cbranch_execz .LBB785_166
; %bb.165:
	s_waitcnt lgkmcnt(3)
	v_add_co_u32_e32 v6, vcc, v16, v27
	v_addc_co_u32_e32 v7, vcc, 0, v17, vcc
.LBB785_166:
	s_or_b64 exec, exec, s[6:7]
	s_waitcnt lgkmcnt(3)
	v_lshlrev_b64 v[6:7], 2, v[6:7]
	v_mov_b32_e32 v8, s25
	v_add_co_u32_e32 v6, vcc, s24, v6
	v_addc_co_u32_e32 v7, vcc, v8, v7, vcc
	s_waitcnt lgkmcnt(2)
	global_store_dword v[6:7], v4, off
	s_or_b64 exec, exec, s[4:5]
	v_cmp_gt_u32_e32 vcc, s33, v26
	s_and_saveexec_b64 s[4:5], vcc
	s_cbranch_execnz .LBB785_198
.LBB785_167:
	s_or_b64 exec, exec, s[4:5]
	v_cmp_gt_u32_e32 vcc, s33, v25
	s_and_saveexec_b64 s[4:5], vcc
	s_cbranch_execz .LBB785_203
.LBB785_168:
	v_cmp_ge_u32_e32 vcc, v25, v18
                                        ; implicit-def: $vgpr4_vgpr5
	s_and_saveexec_b64 s[6:7], vcc
	s_xor_b64 s[6:7], exec, s[6:7]
	s_cbranch_execz .LBB785_170
; %bb.169:
	s_waitcnt lgkmcnt(2)
	v_xor_b32_e32 v4, 0xfffff5ff, v0
	v_ashrrev_i32_e32 v5, 31, v4
	v_add_co_u32_e32 v4, vcc, v1, v4
	v_addc_co_u32_e32 v5, vcc, v19, v5, vcc
                                        ; implicit-def: $vgpr25
.LBB785_170:
	s_andn2_saveexec_b64 s[6:7], s[6:7]
	s_cbranch_execz .LBB785_172
; %bb.171:
	s_waitcnt lgkmcnt(2)
	v_add_co_u32_e32 v4, vcc, v16, v25
	v_addc_co_u32_e32 v5, vcc, 0, v17, vcc
.LBB785_172:
	s_or_b64 exec, exec, s[6:7]
	s_waitcnt lgkmcnt(2)
	v_lshlrev_b64 v[4:5], 2, v[4:5]
	v_mov_b32_e32 v6, s25
	v_add_co_u32_e32 v4, vcc, s24, v4
	v_addc_co_u32_e32 v5, vcc, v6, v5, vcc
	s_waitcnt lgkmcnt(1)
	global_store_dword v[4:5], v2, off
	s_or_b64 exec, exec, s[4:5]
	v_cmp_gt_u32_e32 vcc, s33, v24
	s_and_saveexec_b64 s[4:5], vcc
	s_cbranch_execz .LBB785_209
	s_branch .LBB785_204
.LBB785_173:
	s_or_b64 exec, exec, s[4:5]
	v_cmp_gt_u32_e32 vcc, s33, v35
	s_and_saveexec_b64 s[4:5], vcc
	s_cbranch_execz .LBB785_143
.LBB785_174:
	v_cmp_ge_u32_e32 vcc, v35, v18
                                        ; implicit-def: $vgpr14_vgpr15
	s_and_saveexec_b64 s[6:7], vcc
	s_xor_b64 s[6:7], exec, s[6:7]
	s_cbranch_execz .LBB785_176
; %bb.175:
	s_waitcnt lgkmcnt(6)
	v_xor_b32_e32 v12, 0xfffffeff, v0
	v_ashrrev_i32_e32 v15, 31, v12
	v_add_co_u32_e32 v14, vcc, v1, v12
	v_addc_co_u32_e32 v15, vcc, v19, v15, vcc
                                        ; implicit-def: $vgpr35
.LBB785_176:
	s_andn2_saveexec_b64 s[6:7], s[6:7]
; %bb.177:
	v_add_co_u32_e32 v14, vcc, v16, v35
	v_addc_co_u32_e32 v15, vcc, 0, v17, vcc
; %bb.178:
	s_or_b64 exec, exec, s[6:7]
	v_lshlrev_b64 v[14:15], 2, v[14:15]
	s_waitcnt lgkmcnt(6)
	v_mov_b32_e32 v12, s25
	v_add_co_u32_e32 v14, vcc, s24, v14
	v_addc_co_u32_e32 v15, vcc, v12, v15, vcc
	global_store_dword v[14:15], v13, off
	s_or_b64 exec, exec, s[4:5]
	v_cmp_gt_u32_e32 vcc, s33, v33
	s_and_saveexec_b64 s[4:5], vcc
	s_cbranch_execnz .LBB785_144
.LBB785_179:
	s_or_b64 exec, exec, s[4:5]
	v_cmp_gt_u32_e32 vcc, s33, v32
	s_and_saveexec_b64 s[4:5], vcc
	s_cbranch_execz .LBB785_149
.LBB785_180:
	v_cmp_ge_u32_e32 vcc, v32, v18
                                        ; implicit-def: $vgpr12_vgpr13
	s_and_saveexec_b64 s[6:7], vcc
	s_xor_b64 s[6:7], exec, s[6:7]
	s_cbranch_execz .LBB785_182
; %bb.181:
	s_waitcnt lgkmcnt(5)
	v_xor_b32_e32 v10, 0xfffffcff, v0
	v_ashrrev_i32_e32 v13, 31, v10
	v_add_co_u32_e32 v12, vcc, v1, v10
	v_addc_co_u32_e32 v13, vcc, v19, v13, vcc
                                        ; implicit-def: $vgpr32
.LBB785_182:
	s_andn2_saveexec_b64 s[6:7], s[6:7]
	s_cbranch_execz .LBB785_184
; %bb.183:
	s_waitcnt lgkmcnt(6)
	v_add_co_u32_e32 v12, vcc, v16, v32
	v_addc_co_u32_e32 v13, vcc, 0, v17, vcc
.LBB785_184:
	s_or_b64 exec, exec, s[6:7]
	s_waitcnt lgkmcnt(6)
	v_lshlrev_b64 v[12:13], 2, v[12:13]
	s_waitcnt lgkmcnt(5)
	v_mov_b32_e32 v10, s25
	v_add_co_u32_e32 v12, vcc, s24, v12
	v_addc_co_u32_e32 v13, vcc, v10, v13, vcc
	global_store_dword v[12:13], v11, off
	s_or_b64 exec, exec, s[4:5]
	v_cmp_gt_u32_e32 vcc, s33, v31
	s_and_saveexec_b64 s[4:5], vcc
	s_cbranch_execnz .LBB785_150
.LBB785_185:
	s_or_b64 exec, exec, s[4:5]
	v_cmp_gt_u32_e32 vcc, s33, v30
	s_and_saveexec_b64 s[4:5], vcc
	s_cbranch_execz .LBB785_155
.LBB785_186:
	v_cmp_ge_u32_e32 vcc, v30, v18
                                        ; implicit-def: $vgpr10_vgpr11
	s_and_saveexec_b64 s[6:7], vcc
	s_xor_b64 s[6:7], exec, s[6:7]
	s_cbranch_execz .LBB785_188
; %bb.187:
	s_waitcnt lgkmcnt(4)
	v_xor_b32_e32 v8, 0xfffffaff, v0
	v_ashrrev_i32_e32 v11, 31, v8
	v_add_co_u32_e32 v10, vcc, v1, v8
	v_addc_co_u32_e32 v11, vcc, v19, v11, vcc
                                        ; implicit-def: $vgpr30
.LBB785_188:
	s_andn2_saveexec_b64 s[6:7], s[6:7]
	s_cbranch_execz .LBB785_190
; %bb.189:
	s_waitcnt lgkmcnt(5)
	v_add_co_u32_e32 v10, vcc, v16, v30
	v_addc_co_u32_e32 v11, vcc, 0, v17, vcc
.LBB785_190:
	s_or_b64 exec, exec, s[6:7]
	s_waitcnt lgkmcnt(5)
	v_lshlrev_b64 v[10:11], 2, v[10:11]
	s_waitcnt lgkmcnt(4)
	v_mov_b32_e32 v8, s25
	v_add_co_u32_e32 v10, vcc, s24, v10
	v_addc_co_u32_e32 v11, vcc, v8, v11, vcc
	global_store_dword v[10:11], v9, off
	s_or_b64 exec, exec, s[4:5]
	v_cmp_gt_u32_e32 vcc, s33, v29
	s_and_saveexec_b64 s[4:5], vcc
	s_cbranch_execnz .LBB785_156
.LBB785_191:
	s_or_b64 exec, exec, s[4:5]
	v_cmp_gt_u32_e32 vcc, s33, v28
	s_and_saveexec_b64 s[4:5], vcc
	s_cbranch_execz .LBB785_161
.LBB785_192:
	v_cmp_ge_u32_e32 vcc, v28, v18
                                        ; implicit-def: $vgpr8_vgpr9
	s_and_saveexec_b64 s[6:7], vcc
	s_xor_b64 s[6:7], exec, s[6:7]
	s_cbranch_execz .LBB785_194
; %bb.193:
	s_waitcnt lgkmcnt(3)
	v_xor_b32_e32 v6, 0xfffff8ff, v0
	v_ashrrev_i32_e32 v9, 31, v6
	v_add_co_u32_e32 v8, vcc, v1, v6
	v_addc_co_u32_e32 v9, vcc, v19, v9, vcc
                                        ; implicit-def: $vgpr28
.LBB785_194:
	s_andn2_saveexec_b64 s[6:7], s[6:7]
	s_cbranch_execz .LBB785_196
; %bb.195:
	s_waitcnt lgkmcnt(4)
	v_add_co_u32_e32 v8, vcc, v16, v28
	v_addc_co_u32_e32 v9, vcc, 0, v17, vcc
.LBB785_196:
	s_or_b64 exec, exec, s[6:7]
	s_waitcnt lgkmcnt(4)
	v_lshlrev_b64 v[8:9], 2, v[8:9]
	s_waitcnt lgkmcnt(3)
	v_mov_b32_e32 v6, s25
	v_add_co_u32_e32 v8, vcc, s24, v8
	v_addc_co_u32_e32 v9, vcc, v6, v9, vcc
	global_store_dword v[8:9], v7, off
	s_or_b64 exec, exec, s[4:5]
	v_cmp_gt_u32_e32 vcc, s33, v27
	s_and_saveexec_b64 s[4:5], vcc
	s_cbranch_execnz .LBB785_162
.LBB785_197:
	s_or_b64 exec, exec, s[4:5]
	v_cmp_gt_u32_e32 vcc, s33, v26
	s_and_saveexec_b64 s[4:5], vcc
	s_cbranch_execz .LBB785_167
.LBB785_198:
	v_cmp_ge_u32_e32 vcc, v26, v18
                                        ; implicit-def: $vgpr6_vgpr7
	s_and_saveexec_b64 s[6:7], vcc
	s_xor_b64 s[6:7], exec, s[6:7]
	s_cbranch_execz .LBB785_200
; %bb.199:
	s_waitcnt lgkmcnt(2)
	v_xor_b32_e32 v4, 0xfffff6ff, v0
	v_ashrrev_i32_e32 v7, 31, v4
	v_add_co_u32_e32 v6, vcc, v1, v4
	v_addc_co_u32_e32 v7, vcc, v19, v7, vcc
                                        ; implicit-def: $vgpr26
.LBB785_200:
	s_andn2_saveexec_b64 s[6:7], s[6:7]
	s_cbranch_execz .LBB785_202
; %bb.201:
	s_waitcnt lgkmcnt(3)
	v_add_co_u32_e32 v6, vcc, v16, v26
	v_addc_co_u32_e32 v7, vcc, 0, v17, vcc
.LBB785_202:
	s_or_b64 exec, exec, s[6:7]
	s_waitcnt lgkmcnt(3)
	v_lshlrev_b64 v[6:7], 2, v[6:7]
	s_waitcnt lgkmcnt(2)
	v_mov_b32_e32 v4, s25
	v_add_co_u32_e32 v6, vcc, s24, v6
	v_addc_co_u32_e32 v7, vcc, v4, v7, vcc
	global_store_dword v[6:7], v5, off
	s_or_b64 exec, exec, s[4:5]
	v_cmp_gt_u32_e32 vcc, s33, v25
	s_and_saveexec_b64 s[4:5], vcc
	s_cbranch_execnz .LBB785_168
.LBB785_203:
	s_or_b64 exec, exec, s[4:5]
	v_cmp_gt_u32_e32 vcc, s33, v24
	s_and_saveexec_b64 s[4:5], vcc
	s_cbranch_execz .LBB785_209
.LBB785_204:
	v_cmp_ge_u32_e32 vcc, v24, v18
                                        ; implicit-def: $vgpr4_vgpr5
	s_and_saveexec_b64 s[6:7], vcc
	s_xor_b64 s[6:7], exec, s[6:7]
	s_cbranch_execz .LBB785_206
; %bb.205:
	s_waitcnt lgkmcnt(1)
	v_xor_b32_e32 v2, 0xfffff4ff, v0
	v_ashrrev_i32_e32 v5, 31, v2
	v_add_co_u32_e32 v4, vcc, v1, v2
	v_addc_co_u32_e32 v5, vcc, v19, v5, vcc
                                        ; implicit-def: $vgpr24
.LBB785_206:
	s_andn2_saveexec_b64 s[6:7], s[6:7]
	s_cbranch_execz .LBB785_208
; %bb.207:
	s_waitcnt lgkmcnt(2)
	v_add_co_u32_e32 v4, vcc, v16, v24
	v_addc_co_u32_e32 v5, vcc, 0, v17, vcc
.LBB785_208:
	s_or_b64 exec, exec, s[6:7]
	s_waitcnt lgkmcnt(2)
	v_lshlrev_b64 v[4:5], 2, v[4:5]
	s_waitcnt lgkmcnt(1)
	v_mov_b32_e32 v2, s25
	v_add_co_u32_e32 v4, vcc, s24, v4
	v_addc_co_u32_e32 v5, vcc, v2, v5, vcc
	global_store_dword v[4:5], v3, off
.LBB785_209:
	s_or_b64 exec, exec, s[4:5]
	v_cmp_gt_u32_e32 vcc, s33, v23
                                        ; implicit-def: $vgpr14_vgpr15
	s_and_saveexec_b64 s[4:5], vcc
	s_cbranch_execz .LBB785_215
; %bb.210:
	v_cmp_ge_u32_e32 vcc, v23, v18
                                        ; implicit-def: $vgpr14_vgpr15
	s_and_saveexec_b64 s[6:7], vcc
	s_xor_b64 s[6:7], exec, s[6:7]
	s_cbranch_execz .LBB785_212
; %bb.211:
	v_xor_b32_e32 v0, 0xfffff3ff, v0
	s_waitcnt lgkmcnt(1)
	v_ashrrev_i32_e32 v2, 31, v0
	v_add_co_u32_e32 v14, vcc, v1, v0
	v_addc_co_u32_e32 v15, vcc, v19, v2, vcc
                                        ; implicit-def: $vgpr23
.LBB785_212:
	s_andn2_saveexec_b64 s[6:7], s[6:7]
; %bb.213:
	v_add_co_u32_e32 v14, vcc, v16, v23
	v_addc_co_u32_e32 v15, vcc, 0, v17, vcc
; %bb.214:
	s_or_b64 exec, exec, s[6:7]
	s_or_b64 s[2:3], s[2:3], exec
.LBB785_215:
	s_or_b64 exec, exec, s[4:5]
	s_and_saveexec_b64 s[4:5], s[2:3]
	s_cbranch_execnz .LBB785_134
.LBB785_216:
	s_or_b64 exec, exec, s[4:5]
	s_and_b64 s[0:1], s[0:1], s[22:23]
	s_and_saveexec_b64 s[2:3], s[0:1]
	s_cbranch_execz .LBB785_135
.LBB785_217:
	v_add_co_u32_e32 v0, vcc, v16, v18
	s_waitcnt lgkmcnt(1)
	v_mov_b32_e32 v2, 0
	v_addc_co_u32_e32 v1, vcc, 0, v17, vcc
	global_store_dwordx2 v2, v[0:1], s[20:21]
	s_endpgm
	.section	.rodata,"a",@progbits
	.p2align	6, 0x0
	.amdhsa_kernel _ZN7rocprim17ROCPRIM_400000_NS6detail17trampoline_kernelINS0_13select_configILj256ELj13ELNS0_17block_load_methodE3ELS4_3ELS4_3ELNS0_20block_scan_algorithmE0ELj4294967295EEENS1_25partition_config_selectorILNS1_17partition_subalgoE3EjNS0_10empty_typeEbEEZZNS1_14partition_implILS8_3ELb0ES6_jNS0_17counting_iteratorIjlEEPS9_SE_NS0_5tupleIJPjSE_EEENSF_IJSE_SE_EEES9_SG_JZNS1_25segmented_radix_sort_implINS0_14default_configELb0EPKlPlSM_SN_N2at6native12_GLOBAL__N_18offset_tEEE10hipError_tPvRmT1_PNSt15iterator_traitsISV_E10value_typeET2_T3_PNSW_IS11_E10value_typeET4_jRbjT5_S17_jjP12ihipStream_tbEUljE_EEESS_ST_SU_S11_S15_S17_T6_T7_T9_mT8_S19_bDpT10_ENKUlT_T0_E_clISt17integral_constantIbLb1EES1M_EEDaS1H_S1I_EUlS1H_E_NS1_11comp_targetILNS1_3genE4ELNS1_11target_archE910ELNS1_3gpuE8ELNS1_3repE0EEENS1_30default_config_static_selectorELNS0_4arch9wavefront6targetE1EEEvSV_
		.amdhsa_group_segment_fixed_size 13324
		.amdhsa_private_segment_fixed_size 0
		.amdhsa_kernarg_size 152
		.amdhsa_user_sgpr_count 6
		.amdhsa_user_sgpr_private_segment_buffer 1
		.amdhsa_user_sgpr_dispatch_ptr 0
		.amdhsa_user_sgpr_queue_ptr 0
		.amdhsa_user_sgpr_kernarg_segment_ptr 1
		.amdhsa_user_sgpr_dispatch_id 0
		.amdhsa_user_sgpr_flat_scratch_init 0
		.amdhsa_user_sgpr_kernarg_preload_length 0
		.amdhsa_user_sgpr_kernarg_preload_offset 0
		.amdhsa_user_sgpr_private_segment_size 0
		.amdhsa_uses_dynamic_stack 0
		.amdhsa_system_sgpr_private_segment_wavefront_offset 0
		.amdhsa_system_sgpr_workgroup_id_x 1
		.amdhsa_system_sgpr_workgroup_id_y 0
		.amdhsa_system_sgpr_workgroup_id_z 0
		.amdhsa_system_sgpr_workgroup_info 0
		.amdhsa_system_vgpr_workitem_id 0
		.amdhsa_next_free_vgpr 64
		.amdhsa_next_free_sgpr 44
		.amdhsa_accum_offset 64
		.amdhsa_reserve_vcc 1
		.amdhsa_reserve_flat_scratch 0
		.amdhsa_float_round_mode_32 0
		.amdhsa_float_round_mode_16_64 0
		.amdhsa_float_denorm_mode_32 3
		.amdhsa_float_denorm_mode_16_64 3
		.amdhsa_dx10_clamp 1
		.amdhsa_ieee_mode 1
		.amdhsa_fp16_overflow 0
		.amdhsa_tg_split 0
		.amdhsa_exception_fp_ieee_invalid_op 0
		.amdhsa_exception_fp_denorm_src 0
		.amdhsa_exception_fp_ieee_div_zero 0
		.amdhsa_exception_fp_ieee_overflow 0
		.amdhsa_exception_fp_ieee_underflow 0
		.amdhsa_exception_fp_ieee_inexact 0
		.amdhsa_exception_int_div_zero 0
	.end_amdhsa_kernel
	.section	.text._ZN7rocprim17ROCPRIM_400000_NS6detail17trampoline_kernelINS0_13select_configILj256ELj13ELNS0_17block_load_methodE3ELS4_3ELS4_3ELNS0_20block_scan_algorithmE0ELj4294967295EEENS1_25partition_config_selectorILNS1_17partition_subalgoE3EjNS0_10empty_typeEbEEZZNS1_14partition_implILS8_3ELb0ES6_jNS0_17counting_iteratorIjlEEPS9_SE_NS0_5tupleIJPjSE_EEENSF_IJSE_SE_EEES9_SG_JZNS1_25segmented_radix_sort_implINS0_14default_configELb0EPKlPlSM_SN_N2at6native12_GLOBAL__N_18offset_tEEE10hipError_tPvRmT1_PNSt15iterator_traitsISV_E10value_typeET2_T3_PNSW_IS11_E10value_typeET4_jRbjT5_S17_jjP12ihipStream_tbEUljE_EEESS_ST_SU_S11_S15_S17_T6_T7_T9_mT8_S19_bDpT10_ENKUlT_T0_E_clISt17integral_constantIbLb1EES1M_EEDaS1H_S1I_EUlS1H_E_NS1_11comp_targetILNS1_3genE4ELNS1_11target_archE910ELNS1_3gpuE8ELNS1_3repE0EEENS1_30default_config_static_selectorELNS0_4arch9wavefront6targetE1EEEvSV_,"axG",@progbits,_ZN7rocprim17ROCPRIM_400000_NS6detail17trampoline_kernelINS0_13select_configILj256ELj13ELNS0_17block_load_methodE3ELS4_3ELS4_3ELNS0_20block_scan_algorithmE0ELj4294967295EEENS1_25partition_config_selectorILNS1_17partition_subalgoE3EjNS0_10empty_typeEbEEZZNS1_14partition_implILS8_3ELb0ES6_jNS0_17counting_iteratorIjlEEPS9_SE_NS0_5tupleIJPjSE_EEENSF_IJSE_SE_EEES9_SG_JZNS1_25segmented_radix_sort_implINS0_14default_configELb0EPKlPlSM_SN_N2at6native12_GLOBAL__N_18offset_tEEE10hipError_tPvRmT1_PNSt15iterator_traitsISV_E10value_typeET2_T3_PNSW_IS11_E10value_typeET4_jRbjT5_S17_jjP12ihipStream_tbEUljE_EEESS_ST_SU_S11_S15_S17_T6_T7_T9_mT8_S19_bDpT10_ENKUlT_T0_E_clISt17integral_constantIbLb1EES1M_EEDaS1H_S1I_EUlS1H_E_NS1_11comp_targetILNS1_3genE4ELNS1_11target_archE910ELNS1_3gpuE8ELNS1_3repE0EEENS1_30default_config_static_selectorELNS0_4arch9wavefront6targetE1EEEvSV_,comdat
.Lfunc_end785:
	.size	_ZN7rocprim17ROCPRIM_400000_NS6detail17trampoline_kernelINS0_13select_configILj256ELj13ELNS0_17block_load_methodE3ELS4_3ELS4_3ELNS0_20block_scan_algorithmE0ELj4294967295EEENS1_25partition_config_selectorILNS1_17partition_subalgoE3EjNS0_10empty_typeEbEEZZNS1_14partition_implILS8_3ELb0ES6_jNS0_17counting_iteratorIjlEEPS9_SE_NS0_5tupleIJPjSE_EEENSF_IJSE_SE_EEES9_SG_JZNS1_25segmented_radix_sort_implINS0_14default_configELb0EPKlPlSM_SN_N2at6native12_GLOBAL__N_18offset_tEEE10hipError_tPvRmT1_PNSt15iterator_traitsISV_E10value_typeET2_T3_PNSW_IS11_E10value_typeET4_jRbjT5_S17_jjP12ihipStream_tbEUljE_EEESS_ST_SU_S11_S15_S17_T6_T7_T9_mT8_S19_bDpT10_ENKUlT_T0_E_clISt17integral_constantIbLb1EES1M_EEDaS1H_S1I_EUlS1H_E_NS1_11comp_targetILNS1_3genE4ELNS1_11target_archE910ELNS1_3gpuE8ELNS1_3repE0EEENS1_30default_config_static_selectorELNS0_4arch9wavefront6targetE1EEEvSV_, .Lfunc_end785-_ZN7rocprim17ROCPRIM_400000_NS6detail17trampoline_kernelINS0_13select_configILj256ELj13ELNS0_17block_load_methodE3ELS4_3ELS4_3ELNS0_20block_scan_algorithmE0ELj4294967295EEENS1_25partition_config_selectorILNS1_17partition_subalgoE3EjNS0_10empty_typeEbEEZZNS1_14partition_implILS8_3ELb0ES6_jNS0_17counting_iteratorIjlEEPS9_SE_NS0_5tupleIJPjSE_EEENSF_IJSE_SE_EEES9_SG_JZNS1_25segmented_radix_sort_implINS0_14default_configELb0EPKlPlSM_SN_N2at6native12_GLOBAL__N_18offset_tEEE10hipError_tPvRmT1_PNSt15iterator_traitsISV_E10value_typeET2_T3_PNSW_IS11_E10value_typeET4_jRbjT5_S17_jjP12ihipStream_tbEUljE_EEESS_ST_SU_S11_S15_S17_T6_T7_T9_mT8_S19_bDpT10_ENKUlT_T0_E_clISt17integral_constantIbLb1EES1M_EEDaS1H_S1I_EUlS1H_E_NS1_11comp_targetILNS1_3genE4ELNS1_11target_archE910ELNS1_3gpuE8ELNS1_3repE0EEENS1_30default_config_static_selectorELNS0_4arch9wavefront6targetE1EEEvSV_
                                        ; -- End function
	.section	.AMDGPU.csdata,"",@progbits
; Kernel info:
; codeLenInByte = 7896
; NumSgprs: 48
; NumVgprs: 64
; NumAgprs: 0
; TotalNumVgprs: 64
; ScratchSize: 0
; MemoryBound: 0
; FloatMode: 240
; IeeeMode: 1
; LDSByteSize: 13324 bytes/workgroup (compile time only)
; SGPRBlocks: 5
; VGPRBlocks: 7
; NumSGPRsForWavesPerEU: 48
; NumVGPRsForWavesPerEU: 64
; AccumOffset: 64
; Occupancy: 4
; WaveLimiterHint : 0
; COMPUTE_PGM_RSRC2:SCRATCH_EN: 0
; COMPUTE_PGM_RSRC2:USER_SGPR: 6
; COMPUTE_PGM_RSRC2:TRAP_HANDLER: 0
; COMPUTE_PGM_RSRC2:TGID_X_EN: 1
; COMPUTE_PGM_RSRC2:TGID_Y_EN: 0
; COMPUTE_PGM_RSRC2:TGID_Z_EN: 0
; COMPUTE_PGM_RSRC2:TIDIG_COMP_CNT: 0
; COMPUTE_PGM_RSRC3_GFX90A:ACCUM_OFFSET: 15
; COMPUTE_PGM_RSRC3_GFX90A:TG_SPLIT: 0
	.section	.text._ZN7rocprim17ROCPRIM_400000_NS6detail17trampoline_kernelINS0_13select_configILj256ELj13ELNS0_17block_load_methodE3ELS4_3ELS4_3ELNS0_20block_scan_algorithmE0ELj4294967295EEENS1_25partition_config_selectorILNS1_17partition_subalgoE3EjNS0_10empty_typeEbEEZZNS1_14partition_implILS8_3ELb0ES6_jNS0_17counting_iteratorIjlEEPS9_SE_NS0_5tupleIJPjSE_EEENSF_IJSE_SE_EEES9_SG_JZNS1_25segmented_radix_sort_implINS0_14default_configELb0EPKlPlSM_SN_N2at6native12_GLOBAL__N_18offset_tEEE10hipError_tPvRmT1_PNSt15iterator_traitsISV_E10value_typeET2_T3_PNSW_IS11_E10value_typeET4_jRbjT5_S17_jjP12ihipStream_tbEUljE_EEESS_ST_SU_S11_S15_S17_T6_T7_T9_mT8_S19_bDpT10_ENKUlT_T0_E_clISt17integral_constantIbLb1EES1M_EEDaS1H_S1I_EUlS1H_E_NS1_11comp_targetILNS1_3genE3ELNS1_11target_archE908ELNS1_3gpuE7ELNS1_3repE0EEENS1_30default_config_static_selectorELNS0_4arch9wavefront6targetE1EEEvSV_,"axG",@progbits,_ZN7rocprim17ROCPRIM_400000_NS6detail17trampoline_kernelINS0_13select_configILj256ELj13ELNS0_17block_load_methodE3ELS4_3ELS4_3ELNS0_20block_scan_algorithmE0ELj4294967295EEENS1_25partition_config_selectorILNS1_17partition_subalgoE3EjNS0_10empty_typeEbEEZZNS1_14partition_implILS8_3ELb0ES6_jNS0_17counting_iteratorIjlEEPS9_SE_NS0_5tupleIJPjSE_EEENSF_IJSE_SE_EEES9_SG_JZNS1_25segmented_radix_sort_implINS0_14default_configELb0EPKlPlSM_SN_N2at6native12_GLOBAL__N_18offset_tEEE10hipError_tPvRmT1_PNSt15iterator_traitsISV_E10value_typeET2_T3_PNSW_IS11_E10value_typeET4_jRbjT5_S17_jjP12ihipStream_tbEUljE_EEESS_ST_SU_S11_S15_S17_T6_T7_T9_mT8_S19_bDpT10_ENKUlT_T0_E_clISt17integral_constantIbLb1EES1M_EEDaS1H_S1I_EUlS1H_E_NS1_11comp_targetILNS1_3genE3ELNS1_11target_archE908ELNS1_3gpuE7ELNS1_3repE0EEENS1_30default_config_static_selectorELNS0_4arch9wavefront6targetE1EEEvSV_,comdat
	.globl	_ZN7rocprim17ROCPRIM_400000_NS6detail17trampoline_kernelINS0_13select_configILj256ELj13ELNS0_17block_load_methodE3ELS4_3ELS4_3ELNS0_20block_scan_algorithmE0ELj4294967295EEENS1_25partition_config_selectorILNS1_17partition_subalgoE3EjNS0_10empty_typeEbEEZZNS1_14partition_implILS8_3ELb0ES6_jNS0_17counting_iteratorIjlEEPS9_SE_NS0_5tupleIJPjSE_EEENSF_IJSE_SE_EEES9_SG_JZNS1_25segmented_radix_sort_implINS0_14default_configELb0EPKlPlSM_SN_N2at6native12_GLOBAL__N_18offset_tEEE10hipError_tPvRmT1_PNSt15iterator_traitsISV_E10value_typeET2_T3_PNSW_IS11_E10value_typeET4_jRbjT5_S17_jjP12ihipStream_tbEUljE_EEESS_ST_SU_S11_S15_S17_T6_T7_T9_mT8_S19_bDpT10_ENKUlT_T0_E_clISt17integral_constantIbLb1EES1M_EEDaS1H_S1I_EUlS1H_E_NS1_11comp_targetILNS1_3genE3ELNS1_11target_archE908ELNS1_3gpuE7ELNS1_3repE0EEENS1_30default_config_static_selectorELNS0_4arch9wavefront6targetE1EEEvSV_ ; -- Begin function _ZN7rocprim17ROCPRIM_400000_NS6detail17trampoline_kernelINS0_13select_configILj256ELj13ELNS0_17block_load_methodE3ELS4_3ELS4_3ELNS0_20block_scan_algorithmE0ELj4294967295EEENS1_25partition_config_selectorILNS1_17partition_subalgoE3EjNS0_10empty_typeEbEEZZNS1_14partition_implILS8_3ELb0ES6_jNS0_17counting_iteratorIjlEEPS9_SE_NS0_5tupleIJPjSE_EEENSF_IJSE_SE_EEES9_SG_JZNS1_25segmented_radix_sort_implINS0_14default_configELb0EPKlPlSM_SN_N2at6native12_GLOBAL__N_18offset_tEEE10hipError_tPvRmT1_PNSt15iterator_traitsISV_E10value_typeET2_T3_PNSW_IS11_E10value_typeET4_jRbjT5_S17_jjP12ihipStream_tbEUljE_EEESS_ST_SU_S11_S15_S17_T6_T7_T9_mT8_S19_bDpT10_ENKUlT_T0_E_clISt17integral_constantIbLb1EES1M_EEDaS1H_S1I_EUlS1H_E_NS1_11comp_targetILNS1_3genE3ELNS1_11target_archE908ELNS1_3gpuE7ELNS1_3repE0EEENS1_30default_config_static_selectorELNS0_4arch9wavefront6targetE1EEEvSV_
	.p2align	8
	.type	_ZN7rocprim17ROCPRIM_400000_NS6detail17trampoline_kernelINS0_13select_configILj256ELj13ELNS0_17block_load_methodE3ELS4_3ELS4_3ELNS0_20block_scan_algorithmE0ELj4294967295EEENS1_25partition_config_selectorILNS1_17partition_subalgoE3EjNS0_10empty_typeEbEEZZNS1_14partition_implILS8_3ELb0ES6_jNS0_17counting_iteratorIjlEEPS9_SE_NS0_5tupleIJPjSE_EEENSF_IJSE_SE_EEES9_SG_JZNS1_25segmented_radix_sort_implINS0_14default_configELb0EPKlPlSM_SN_N2at6native12_GLOBAL__N_18offset_tEEE10hipError_tPvRmT1_PNSt15iterator_traitsISV_E10value_typeET2_T3_PNSW_IS11_E10value_typeET4_jRbjT5_S17_jjP12ihipStream_tbEUljE_EEESS_ST_SU_S11_S15_S17_T6_T7_T9_mT8_S19_bDpT10_ENKUlT_T0_E_clISt17integral_constantIbLb1EES1M_EEDaS1H_S1I_EUlS1H_E_NS1_11comp_targetILNS1_3genE3ELNS1_11target_archE908ELNS1_3gpuE7ELNS1_3repE0EEENS1_30default_config_static_selectorELNS0_4arch9wavefront6targetE1EEEvSV_,@function
_ZN7rocprim17ROCPRIM_400000_NS6detail17trampoline_kernelINS0_13select_configILj256ELj13ELNS0_17block_load_methodE3ELS4_3ELS4_3ELNS0_20block_scan_algorithmE0ELj4294967295EEENS1_25partition_config_selectorILNS1_17partition_subalgoE3EjNS0_10empty_typeEbEEZZNS1_14partition_implILS8_3ELb0ES6_jNS0_17counting_iteratorIjlEEPS9_SE_NS0_5tupleIJPjSE_EEENSF_IJSE_SE_EEES9_SG_JZNS1_25segmented_radix_sort_implINS0_14default_configELb0EPKlPlSM_SN_N2at6native12_GLOBAL__N_18offset_tEEE10hipError_tPvRmT1_PNSt15iterator_traitsISV_E10value_typeET2_T3_PNSW_IS11_E10value_typeET4_jRbjT5_S17_jjP12ihipStream_tbEUljE_EEESS_ST_SU_S11_S15_S17_T6_T7_T9_mT8_S19_bDpT10_ENKUlT_T0_E_clISt17integral_constantIbLb1EES1M_EEDaS1H_S1I_EUlS1H_E_NS1_11comp_targetILNS1_3genE3ELNS1_11target_archE908ELNS1_3gpuE7ELNS1_3repE0EEENS1_30default_config_static_selectorELNS0_4arch9wavefront6targetE1EEEvSV_: ; @_ZN7rocprim17ROCPRIM_400000_NS6detail17trampoline_kernelINS0_13select_configILj256ELj13ELNS0_17block_load_methodE3ELS4_3ELS4_3ELNS0_20block_scan_algorithmE0ELj4294967295EEENS1_25partition_config_selectorILNS1_17partition_subalgoE3EjNS0_10empty_typeEbEEZZNS1_14partition_implILS8_3ELb0ES6_jNS0_17counting_iteratorIjlEEPS9_SE_NS0_5tupleIJPjSE_EEENSF_IJSE_SE_EEES9_SG_JZNS1_25segmented_radix_sort_implINS0_14default_configELb0EPKlPlSM_SN_N2at6native12_GLOBAL__N_18offset_tEEE10hipError_tPvRmT1_PNSt15iterator_traitsISV_E10value_typeET2_T3_PNSW_IS11_E10value_typeET4_jRbjT5_S17_jjP12ihipStream_tbEUljE_EEESS_ST_SU_S11_S15_S17_T6_T7_T9_mT8_S19_bDpT10_ENKUlT_T0_E_clISt17integral_constantIbLb1EES1M_EEDaS1H_S1I_EUlS1H_E_NS1_11comp_targetILNS1_3genE3ELNS1_11target_archE908ELNS1_3gpuE7ELNS1_3repE0EEENS1_30default_config_static_selectorELNS0_4arch9wavefront6targetE1EEEvSV_
; %bb.0:
	.section	.rodata,"a",@progbits
	.p2align	6, 0x0
	.amdhsa_kernel _ZN7rocprim17ROCPRIM_400000_NS6detail17trampoline_kernelINS0_13select_configILj256ELj13ELNS0_17block_load_methodE3ELS4_3ELS4_3ELNS0_20block_scan_algorithmE0ELj4294967295EEENS1_25partition_config_selectorILNS1_17partition_subalgoE3EjNS0_10empty_typeEbEEZZNS1_14partition_implILS8_3ELb0ES6_jNS0_17counting_iteratorIjlEEPS9_SE_NS0_5tupleIJPjSE_EEENSF_IJSE_SE_EEES9_SG_JZNS1_25segmented_radix_sort_implINS0_14default_configELb0EPKlPlSM_SN_N2at6native12_GLOBAL__N_18offset_tEEE10hipError_tPvRmT1_PNSt15iterator_traitsISV_E10value_typeET2_T3_PNSW_IS11_E10value_typeET4_jRbjT5_S17_jjP12ihipStream_tbEUljE_EEESS_ST_SU_S11_S15_S17_T6_T7_T9_mT8_S19_bDpT10_ENKUlT_T0_E_clISt17integral_constantIbLb1EES1M_EEDaS1H_S1I_EUlS1H_E_NS1_11comp_targetILNS1_3genE3ELNS1_11target_archE908ELNS1_3gpuE7ELNS1_3repE0EEENS1_30default_config_static_selectorELNS0_4arch9wavefront6targetE1EEEvSV_
		.amdhsa_group_segment_fixed_size 0
		.amdhsa_private_segment_fixed_size 0
		.amdhsa_kernarg_size 152
		.amdhsa_user_sgpr_count 6
		.amdhsa_user_sgpr_private_segment_buffer 1
		.amdhsa_user_sgpr_dispatch_ptr 0
		.amdhsa_user_sgpr_queue_ptr 0
		.amdhsa_user_sgpr_kernarg_segment_ptr 1
		.amdhsa_user_sgpr_dispatch_id 0
		.amdhsa_user_sgpr_flat_scratch_init 0
		.amdhsa_user_sgpr_kernarg_preload_length 0
		.amdhsa_user_sgpr_kernarg_preload_offset 0
		.amdhsa_user_sgpr_private_segment_size 0
		.amdhsa_uses_dynamic_stack 0
		.amdhsa_system_sgpr_private_segment_wavefront_offset 0
		.amdhsa_system_sgpr_workgroup_id_x 1
		.amdhsa_system_sgpr_workgroup_id_y 0
		.amdhsa_system_sgpr_workgroup_id_z 0
		.amdhsa_system_sgpr_workgroup_info 0
		.amdhsa_system_vgpr_workitem_id 0
		.amdhsa_next_free_vgpr 1
		.amdhsa_next_free_sgpr 0
		.amdhsa_accum_offset 4
		.amdhsa_reserve_vcc 0
		.amdhsa_reserve_flat_scratch 0
		.amdhsa_float_round_mode_32 0
		.amdhsa_float_round_mode_16_64 0
		.amdhsa_float_denorm_mode_32 3
		.amdhsa_float_denorm_mode_16_64 3
		.amdhsa_dx10_clamp 1
		.amdhsa_ieee_mode 1
		.amdhsa_fp16_overflow 0
		.amdhsa_tg_split 0
		.amdhsa_exception_fp_ieee_invalid_op 0
		.amdhsa_exception_fp_denorm_src 0
		.amdhsa_exception_fp_ieee_div_zero 0
		.amdhsa_exception_fp_ieee_overflow 0
		.amdhsa_exception_fp_ieee_underflow 0
		.amdhsa_exception_fp_ieee_inexact 0
		.amdhsa_exception_int_div_zero 0
	.end_amdhsa_kernel
	.section	.text._ZN7rocprim17ROCPRIM_400000_NS6detail17trampoline_kernelINS0_13select_configILj256ELj13ELNS0_17block_load_methodE3ELS4_3ELS4_3ELNS0_20block_scan_algorithmE0ELj4294967295EEENS1_25partition_config_selectorILNS1_17partition_subalgoE3EjNS0_10empty_typeEbEEZZNS1_14partition_implILS8_3ELb0ES6_jNS0_17counting_iteratorIjlEEPS9_SE_NS0_5tupleIJPjSE_EEENSF_IJSE_SE_EEES9_SG_JZNS1_25segmented_radix_sort_implINS0_14default_configELb0EPKlPlSM_SN_N2at6native12_GLOBAL__N_18offset_tEEE10hipError_tPvRmT1_PNSt15iterator_traitsISV_E10value_typeET2_T3_PNSW_IS11_E10value_typeET4_jRbjT5_S17_jjP12ihipStream_tbEUljE_EEESS_ST_SU_S11_S15_S17_T6_T7_T9_mT8_S19_bDpT10_ENKUlT_T0_E_clISt17integral_constantIbLb1EES1M_EEDaS1H_S1I_EUlS1H_E_NS1_11comp_targetILNS1_3genE3ELNS1_11target_archE908ELNS1_3gpuE7ELNS1_3repE0EEENS1_30default_config_static_selectorELNS0_4arch9wavefront6targetE1EEEvSV_,"axG",@progbits,_ZN7rocprim17ROCPRIM_400000_NS6detail17trampoline_kernelINS0_13select_configILj256ELj13ELNS0_17block_load_methodE3ELS4_3ELS4_3ELNS0_20block_scan_algorithmE0ELj4294967295EEENS1_25partition_config_selectorILNS1_17partition_subalgoE3EjNS0_10empty_typeEbEEZZNS1_14partition_implILS8_3ELb0ES6_jNS0_17counting_iteratorIjlEEPS9_SE_NS0_5tupleIJPjSE_EEENSF_IJSE_SE_EEES9_SG_JZNS1_25segmented_radix_sort_implINS0_14default_configELb0EPKlPlSM_SN_N2at6native12_GLOBAL__N_18offset_tEEE10hipError_tPvRmT1_PNSt15iterator_traitsISV_E10value_typeET2_T3_PNSW_IS11_E10value_typeET4_jRbjT5_S17_jjP12ihipStream_tbEUljE_EEESS_ST_SU_S11_S15_S17_T6_T7_T9_mT8_S19_bDpT10_ENKUlT_T0_E_clISt17integral_constantIbLb1EES1M_EEDaS1H_S1I_EUlS1H_E_NS1_11comp_targetILNS1_3genE3ELNS1_11target_archE908ELNS1_3gpuE7ELNS1_3repE0EEENS1_30default_config_static_selectorELNS0_4arch9wavefront6targetE1EEEvSV_,comdat
.Lfunc_end786:
	.size	_ZN7rocprim17ROCPRIM_400000_NS6detail17trampoline_kernelINS0_13select_configILj256ELj13ELNS0_17block_load_methodE3ELS4_3ELS4_3ELNS0_20block_scan_algorithmE0ELj4294967295EEENS1_25partition_config_selectorILNS1_17partition_subalgoE3EjNS0_10empty_typeEbEEZZNS1_14partition_implILS8_3ELb0ES6_jNS0_17counting_iteratorIjlEEPS9_SE_NS0_5tupleIJPjSE_EEENSF_IJSE_SE_EEES9_SG_JZNS1_25segmented_radix_sort_implINS0_14default_configELb0EPKlPlSM_SN_N2at6native12_GLOBAL__N_18offset_tEEE10hipError_tPvRmT1_PNSt15iterator_traitsISV_E10value_typeET2_T3_PNSW_IS11_E10value_typeET4_jRbjT5_S17_jjP12ihipStream_tbEUljE_EEESS_ST_SU_S11_S15_S17_T6_T7_T9_mT8_S19_bDpT10_ENKUlT_T0_E_clISt17integral_constantIbLb1EES1M_EEDaS1H_S1I_EUlS1H_E_NS1_11comp_targetILNS1_3genE3ELNS1_11target_archE908ELNS1_3gpuE7ELNS1_3repE0EEENS1_30default_config_static_selectorELNS0_4arch9wavefront6targetE1EEEvSV_, .Lfunc_end786-_ZN7rocprim17ROCPRIM_400000_NS6detail17trampoline_kernelINS0_13select_configILj256ELj13ELNS0_17block_load_methodE3ELS4_3ELS4_3ELNS0_20block_scan_algorithmE0ELj4294967295EEENS1_25partition_config_selectorILNS1_17partition_subalgoE3EjNS0_10empty_typeEbEEZZNS1_14partition_implILS8_3ELb0ES6_jNS0_17counting_iteratorIjlEEPS9_SE_NS0_5tupleIJPjSE_EEENSF_IJSE_SE_EEES9_SG_JZNS1_25segmented_radix_sort_implINS0_14default_configELb0EPKlPlSM_SN_N2at6native12_GLOBAL__N_18offset_tEEE10hipError_tPvRmT1_PNSt15iterator_traitsISV_E10value_typeET2_T3_PNSW_IS11_E10value_typeET4_jRbjT5_S17_jjP12ihipStream_tbEUljE_EEESS_ST_SU_S11_S15_S17_T6_T7_T9_mT8_S19_bDpT10_ENKUlT_T0_E_clISt17integral_constantIbLb1EES1M_EEDaS1H_S1I_EUlS1H_E_NS1_11comp_targetILNS1_3genE3ELNS1_11target_archE908ELNS1_3gpuE7ELNS1_3repE0EEENS1_30default_config_static_selectorELNS0_4arch9wavefront6targetE1EEEvSV_
                                        ; -- End function
	.section	.AMDGPU.csdata,"",@progbits
; Kernel info:
; codeLenInByte = 0
; NumSgprs: 4
; NumVgprs: 0
; NumAgprs: 0
; TotalNumVgprs: 0
; ScratchSize: 0
; MemoryBound: 0
; FloatMode: 240
; IeeeMode: 1
; LDSByteSize: 0 bytes/workgroup (compile time only)
; SGPRBlocks: 0
; VGPRBlocks: 0
; NumSGPRsForWavesPerEU: 4
; NumVGPRsForWavesPerEU: 1
; AccumOffset: 4
; Occupancy: 8
; WaveLimiterHint : 0
; COMPUTE_PGM_RSRC2:SCRATCH_EN: 0
; COMPUTE_PGM_RSRC2:USER_SGPR: 6
; COMPUTE_PGM_RSRC2:TRAP_HANDLER: 0
; COMPUTE_PGM_RSRC2:TGID_X_EN: 1
; COMPUTE_PGM_RSRC2:TGID_Y_EN: 0
; COMPUTE_PGM_RSRC2:TGID_Z_EN: 0
; COMPUTE_PGM_RSRC2:TIDIG_COMP_CNT: 0
; COMPUTE_PGM_RSRC3_GFX90A:ACCUM_OFFSET: 0
; COMPUTE_PGM_RSRC3_GFX90A:TG_SPLIT: 0
	.section	.text._ZN7rocprim17ROCPRIM_400000_NS6detail17trampoline_kernelINS0_13select_configILj256ELj13ELNS0_17block_load_methodE3ELS4_3ELS4_3ELNS0_20block_scan_algorithmE0ELj4294967295EEENS1_25partition_config_selectorILNS1_17partition_subalgoE3EjNS0_10empty_typeEbEEZZNS1_14partition_implILS8_3ELb0ES6_jNS0_17counting_iteratorIjlEEPS9_SE_NS0_5tupleIJPjSE_EEENSF_IJSE_SE_EEES9_SG_JZNS1_25segmented_radix_sort_implINS0_14default_configELb0EPKlPlSM_SN_N2at6native12_GLOBAL__N_18offset_tEEE10hipError_tPvRmT1_PNSt15iterator_traitsISV_E10value_typeET2_T3_PNSW_IS11_E10value_typeET4_jRbjT5_S17_jjP12ihipStream_tbEUljE_EEESS_ST_SU_S11_S15_S17_T6_T7_T9_mT8_S19_bDpT10_ENKUlT_T0_E_clISt17integral_constantIbLb1EES1M_EEDaS1H_S1I_EUlS1H_E_NS1_11comp_targetILNS1_3genE2ELNS1_11target_archE906ELNS1_3gpuE6ELNS1_3repE0EEENS1_30default_config_static_selectorELNS0_4arch9wavefront6targetE1EEEvSV_,"axG",@progbits,_ZN7rocprim17ROCPRIM_400000_NS6detail17trampoline_kernelINS0_13select_configILj256ELj13ELNS0_17block_load_methodE3ELS4_3ELS4_3ELNS0_20block_scan_algorithmE0ELj4294967295EEENS1_25partition_config_selectorILNS1_17partition_subalgoE3EjNS0_10empty_typeEbEEZZNS1_14partition_implILS8_3ELb0ES6_jNS0_17counting_iteratorIjlEEPS9_SE_NS0_5tupleIJPjSE_EEENSF_IJSE_SE_EEES9_SG_JZNS1_25segmented_radix_sort_implINS0_14default_configELb0EPKlPlSM_SN_N2at6native12_GLOBAL__N_18offset_tEEE10hipError_tPvRmT1_PNSt15iterator_traitsISV_E10value_typeET2_T3_PNSW_IS11_E10value_typeET4_jRbjT5_S17_jjP12ihipStream_tbEUljE_EEESS_ST_SU_S11_S15_S17_T6_T7_T9_mT8_S19_bDpT10_ENKUlT_T0_E_clISt17integral_constantIbLb1EES1M_EEDaS1H_S1I_EUlS1H_E_NS1_11comp_targetILNS1_3genE2ELNS1_11target_archE906ELNS1_3gpuE6ELNS1_3repE0EEENS1_30default_config_static_selectorELNS0_4arch9wavefront6targetE1EEEvSV_,comdat
	.globl	_ZN7rocprim17ROCPRIM_400000_NS6detail17trampoline_kernelINS0_13select_configILj256ELj13ELNS0_17block_load_methodE3ELS4_3ELS4_3ELNS0_20block_scan_algorithmE0ELj4294967295EEENS1_25partition_config_selectorILNS1_17partition_subalgoE3EjNS0_10empty_typeEbEEZZNS1_14partition_implILS8_3ELb0ES6_jNS0_17counting_iteratorIjlEEPS9_SE_NS0_5tupleIJPjSE_EEENSF_IJSE_SE_EEES9_SG_JZNS1_25segmented_radix_sort_implINS0_14default_configELb0EPKlPlSM_SN_N2at6native12_GLOBAL__N_18offset_tEEE10hipError_tPvRmT1_PNSt15iterator_traitsISV_E10value_typeET2_T3_PNSW_IS11_E10value_typeET4_jRbjT5_S17_jjP12ihipStream_tbEUljE_EEESS_ST_SU_S11_S15_S17_T6_T7_T9_mT8_S19_bDpT10_ENKUlT_T0_E_clISt17integral_constantIbLb1EES1M_EEDaS1H_S1I_EUlS1H_E_NS1_11comp_targetILNS1_3genE2ELNS1_11target_archE906ELNS1_3gpuE6ELNS1_3repE0EEENS1_30default_config_static_selectorELNS0_4arch9wavefront6targetE1EEEvSV_ ; -- Begin function _ZN7rocprim17ROCPRIM_400000_NS6detail17trampoline_kernelINS0_13select_configILj256ELj13ELNS0_17block_load_methodE3ELS4_3ELS4_3ELNS0_20block_scan_algorithmE0ELj4294967295EEENS1_25partition_config_selectorILNS1_17partition_subalgoE3EjNS0_10empty_typeEbEEZZNS1_14partition_implILS8_3ELb0ES6_jNS0_17counting_iteratorIjlEEPS9_SE_NS0_5tupleIJPjSE_EEENSF_IJSE_SE_EEES9_SG_JZNS1_25segmented_radix_sort_implINS0_14default_configELb0EPKlPlSM_SN_N2at6native12_GLOBAL__N_18offset_tEEE10hipError_tPvRmT1_PNSt15iterator_traitsISV_E10value_typeET2_T3_PNSW_IS11_E10value_typeET4_jRbjT5_S17_jjP12ihipStream_tbEUljE_EEESS_ST_SU_S11_S15_S17_T6_T7_T9_mT8_S19_bDpT10_ENKUlT_T0_E_clISt17integral_constantIbLb1EES1M_EEDaS1H_S1I_EUlS1H_E_NS1_11comp_targetILNS1_3genE2ELNS1_11target_archE906ELNS1_3gpuE6ELNS1_3repE0EEENS1_30default_config_static_selectorELNS0_4arch9wavefront6targetE1EEEvSV_
	.p2align	8
	.type	_ZN7rocprim17ROCPRIM_400000_NS6detail17trampoline_kernelINS0_13select_configILj256ELj13ELNS0_17block_load_methodE3ELS4_3ELS4_3ELNS0_20block_scan_algorithmE0ELj4294967295EEENS1_25partition_config_selectorILNS1_17partition_subalgoE3EjNS0_10empty_typeEbEEZZNS1_14partition_implILS8_3ELb0ES6_jNS0_17counting_iteratorIjlEEPS9_SE_NS0_5tupleIJPjSE_EEENSF_IJSE_SE_EEES9_SG_JZNS1_25segmented_radix_sort_implINS0_14default_configELb0EPKlPlSM_SN_N2at6native12_GLOBAL__N_18offset_tEEE10hipError_tPvRmT1_PNSt15iterator_traitsISV_E10value_typeET2_T3_PNSW_IS11_E10value_typeET4_jRbjT5_S17_jjP12ihipStream_tbEUljE_EEESS_ST_SU_S11_S15_S17_T6_T7_T9_mT8_S19_bDpT10_ENKUlT_T0_E_clISt17integral_constantIbLb1EES1M_EEDaS1H_S1I_EUlS1H_E_NS1_11comp_targetILNS1_3genE2ELNS1_11target_archE906ELNS1_3gpuE6ELNS1_3repE0EEENS1_30default_config_static_selectorELNS0_4arch9wavefront6targetE1EEEvSV_,@function
_ZN7rocprim17ROCPRIM_400000_NS6detail17trampoline_kernelINS0_13select_configILj256ELj13ELNS0_17block_load_methodE3ELS4_3ELS4_3ELNS0_20block_scan_algorithmE0ELj4294967295EEENS1_25partition_config_selectorILNS1_17partition_subalgoE3EjNS0_10empty_typeEbEEZZNS1_14partition_implILS8_3ELb0ES6_jNS0_17counting_iteratorIjlEEPS9_SE_NS0_5tupleIJPjSE_EEENSF_IJSE_SE_EEES9_SG_JZNS1_25segmented_radix_sort_implINS0_14default_configELb0EPKlPlSM_SN_N2at6native12_GLOBAL__N_18offset_tEEE10hipError_tPvRmT1_PNSt15iterator_traitsISV_E10value_typeET2_T3_PNSW_IS11_E10value_typeET4_jRbjT5_S17_jjP12ihipStream_tbEUljE_EEESS_ST_SU_S11_S15_S17_T6_T7_T9_mT8_S19_bDpT10_ENKUlT_T0_E_clISt17integral_constantIbLb1EES1M_EEDaS1H_S1I_EUlS1H_E_NS1_11comp_targetILNS1_3genE2ELNS1_11target_archE906ELNS1_3gpuE6ELNS1_3repE0EEENS1_30default_config_static_selectorELNS0_4arch9wavefront6targetE1EEEvSV_: ; @_ZN7rocprim17ROCPRIM_400000_NS6detail17trampoline_kernelINS0_13select_configILj256ELj13ELNS0_17block_load_methodE3ELS4_3ELS4_3ELNS0_20block_scan_algorithmE0ELj4294967295EEENS1_25partition_config_selectorILNS1_17partition_subalgoE3EjNS0_10empty_typeEbEEZZNS1_14partition_implILS8_3ELb0ES6_jNS0_17counting_iteratorIjlEEPS9_SE_NS0_5tupleIJPjSE_EEENSF_IJSE_SE_EEES9_SG_JZNS1_25segmented_radix_sort_implINS0_14default_configELb0EPKlPlSM_SN_N2at6native12_GLOBAL__N_18offset_tEEE10hipError_tPvRmT1_PNSt15iterator_traitsISV_E10value_typeET2_T3_PNSW_IS11_E10value_typeET4_jRbjT5_S17_jjP12ihipStream_tbEUljE_EEESS_ST_SU_S11_S15_S17_T6_T7_T9_mT8_S19_bDpT10_ENKUlT_T0_E_clISt17integral_constantIbLb1EES1M_EEDaS1H_S1I_EUlS1H_E_NS1_11comp_targetILNS1_3genE2ELNS1_11target_archE906ELNS1_3gpuE6ELNS1_3repE0EEENS1_30default_config_static_selectorELNS0_4arch9wavefront6targetE1EEEvSV_
; %bb.0:
	.section	.rodata,"a",@progbits
	.p2align	6, 0x0
	.amdhsa_kernel _ZN7rocprim17ROCPRIM_400000_NS6detail17trampoline_kernelINS0_13select_configILj256ELj13ELNS0_17block_load_methodE3ELS4_3ELS4_3ELNS0_20block_scan_algorithmE0ELj4294967295EEENS1_25partition_config_selectorILNS1_17partition_subalgoE3EjNS0_10empty_typeEbEEZZNS1_14partition_implILS8_3ELb0ES6_jNS0_17counting_iteratorIjlEEPS9_SE_NS0_5tupleIJPjSE_EEENSF_IJSE_SE_EEES9_SG_JZNS1_25segmented_radix_sort_implINS0_14default_configELb0EPKlPlSM_SN_N2at6native12_GLOBAL__N_18offset_tEEE10hipError_tPvRmT1_PNSt15iterator_traitsISV_E10value_typeET2_T3_PNSW_IS11_E10value_typeET4_jRbjT5_S17_jjP12ihipStream_tbEUljE_EEESS_ST_SU_S11_S15_S17_T6_T7_T9_mT8_S19_bDpT10_ENKUlT_T0_E_clISt17integral_constantIbLb1EES1M_EEDaS1H_S1I_EUlS1H_E_NS1_11comp_targetILNS1_3genE2ELNS1_11target_archE906ELNS1_3gpuE6ELNS1_3repE0EEENS1_30default_config_static_selectorELNS0_4arch9wavefront6targetE1EEEvSV_
		.amdhsa_group_segment_fixed_size 0
		.amdhsa_private_segment_fixed_size 0
		.amdhsa_kernarg_size 152
		.amdhsa_user_sgpr_count 6
		.amdhsa_user_sgpr_private_segment_buffer 1
		.amdhsa_user_sgpr_dispatch_ptr 0
		.amdhsa_user_sgpr_queue_ptr 0
		.amdhsa_user_sgpr_kernarg_segment_ptr 1
		.amdhsa_user_sgpr_dispatch_id 0
		.amdhsa_user_sgpr_flat_scratch_init 0
		.amdhsa_user_sgpr_kernarg_preload_length 0
		.amdhsa_user_sgpr_kernarg_preload_offset 0
		.amdhsa_user_sgpr_private_segment_size 0
		.amdhsa_uses_dynamic_stack 0
		.amdhsa_system_sgpr_private_segment_wavefront_offset 0
		.amdhsa_system_sgpr_workgroup_id_x 1
		.amdhsa_system_sgpr_workgroup_id_y 0
		.amdhsa_system_sgpr_workgroup_id_z 0
		.amdhsa_system_sgpr_workgroup_info 0
		.amdhsa_system_vgpr_workitem_id 0
		.amdhsa_next_free_vgpr 1
		.amdhsa_next_free_sgpr 0
		.amdhsa_accum_offset 4
		.amdhsa_reserve_vcc 0
		.amdhsa_reserve_flat_scratch 0
		.amdhsa_float_round_mode_32 0
		.amdhsa_float_round_mode_16_64 0
		.amdhsa_float_denorm_mode_32 3
		.amdhsa_float_denorm_mode_16_64 3
		.amdhsa_dx10_clamp 1
		.amdhsa_ieee_mode 1
		.amdhsa_fp16_overflow 0
		.amdhsa_tg_split 0
		.amdhsa_exception_fp_ieee_invalid_op 0
		.amdhsa_exception_fp_denorm_src 0
		.amdhsa_exception_fp_ieee_div_zero 0
		.amdhsa_exception_fp_ieee_overflow 0
		.amdhsa_exception_fp_ieee_underflow 0
		.amdhsa_exception_fp_ieee_inexact 0
		.amdhsa_exception_int_div_zero 0
	.end_amdhsa_kernel
	.section	.text._ZN7rocprim17ROCPRIM_400000_NS6detail17trampoline_kernelINS0_13select_configILj256ELj13ELNS0_17block_load_methodE3ELS4_3ELS4_3ELNS0_20block_scan_algorithmE0ELj4294967295EEENS1_25partition_config_selectorILNS1_17partition_subalgoE3EjNS0_10empty_typeEbEEZZNS1_14partition_implILS8_3ELb0ES6_jNS0_17counting_iteratorIjlEEPS9_SE_NS0_5tupleIJPjSE_EEENSF_IJSE_SE_EEES9_SG_JZNS1_25segmented_radix_sort_implINS0_14default_configELb0EPKlPlSM_SN_N2at6native12_GLOBAL__N_18offset_tEEE10hipError_tPvRmT1_PNSt15iterator_traitsISV_E10value_typeET2_T3_PNSW_IS11_E10value_typeET4_jRbjT5_S17_jjP12ihipStream_tbEUljE_EEESS_ST_SU_S11_S15_S17_T6_T7_T9_mT8_S19_bDpT10_ENKUlT_T0_E_clISt17integral_constantIbLb1EES1M_EEDaS1H_S1I_EUlS1H_E_NS1_11comp_targetILNS1_3genE2ELNS1_11target_archE906ELNS1_3gpuE6ELNS1_3repE0EEENS1_30default_config_static_selectorELNS0_4arch9wavefront6targetE1EEEvSV_,"axG",@progbits,_ZN7rocprim17ROCPRIM_400000_NS6detail17trampoline_kernelINS0_13select_configILj256ELj13ELNS0_17block_load_methodE3ELS4_3ELS4_3ELNS0_20block_scan_algorithmE0ELj4294967295EEENS1_25partition_config_selectorILNS1_17partition_subalgoE3EjNS0_10empty_typeEbEEZZNS1_14partition_implILS8_3ELb0ES6_jNS0_17counting_iteratorIjlEEPS9_SE_NS0_5tupleIJPjSE_EEENSF_IJSE_SE_EEES9_SG_JZNS1_25segmented_radix_sort_implINS0_14default_configELb0EPKlPlSM_SN_N2at6native12_GLOBAL__N_18offset_tEEE10hipError_tPvRmT1_PNSt15iterator_traitsISV_E10value_typeET2_T3_PNSW_IS11_E10value_typeET4_jRbjT5_S17_jjP12ihipStream_tbEUljE_EEESS_ST_SU_S11_S15_S17_T6_T7_T9_mT8_S19_bDpT10_ENKUlT_T0_E_clISt17integral_constantIbLb1EES1M_EEDaS1H_S1I_EUlS1H_E_NS1_11comp_targetILNS1_3genE2ELNS1_11target_archE906ELNS1_3gpuE6ELNS1_3repE0EEENS1_30default_config_static_selectorELNS0_4arch9wavefront6targetE1EEEvSV_,comdat
.Lfunc_end787:
	.size	_ZN7rocprim17ROCPRIM_400000_NS6detail17trampoline_kernelINS0_13select_configILj256ELj13ELNS0_17block_load_methodE3ELS4_3ELS4_3ELNS0_20block_scan_algorithmE0ELj4294967295EEENS1_25partition_config_selectorILNS1_17partition_subalgoE3EjNS0_10empty_typeEbEEZZNS1_14partition_implILS8_3ELb0ES6_jNS0_17counting_iteratorIjlEEPS9_SE_NS0_5tupleIJPjSE_EEENSF_IJSE_SE_EEES9_SG_JZNS1_25segmented_radix_sort_implINS0_14default_configELb0EPKlPlSM_SN_N2at6native12_GLOBAL__N_18offset_tEEE10hipError_tPvRmT1_PNSt15iterator_traitsISV_E10value_typeET2_T3_PNSW_IS11_E10value_typeET4_jRbjT5_S17_jjP12ihipStream_tbEUljE_EEESS_ST_SU_S11_S15_S17_T6_T7_T9_mT8_S19_bDpT10_ENKUlT_T0_E_clISt17integral_constantIbLb1EES1M_EEDaS1H_S1I_EUlS1H_E_NS1_11comp_targetILNS1_3genE2ELNS1_11target_archE906ELNS1_3gpuE6ELNS1_3repE0EEENS1_30default_config_static_selectorELNS0_4arch9wavefront6targetE1EEEvSV_, .Lfunc_end787-_ZN7rocprim17ROCPRIM_400000_NS6detail17trampoline_kernelINS0_13select_configILj256ELj13ELNS0_17block_load_methodE3ELS4_3ELS4_3ELNS0_20block_scan_algorithmE0ELj4294967295EEENS1_25partition_config_selectorILNS1_17partition_subalgoE3EjNS0_10empty_typeEbEEZZNS1_14partition_implILS8_3ELb0ES6_jNS0_17counting_iteratorIjlEEPS9_SE_NS0_5tupleIJPjSE_EEENSF_IJSE_SE_EEES9_SG_JZNS1_25segmented_radix_sort_implINS0_14default_configELb0EPKlPlSM_SN_N2at6native12_GLOBAL__N_18offset_tEEE10hipError_tPvRmT1_PNSt15iterator_traitsISV_E10value_typeET2_T3_PNSW_IS11_E10value_typeET4_jRbjT5_S17_jjP12ihipStream_tbEUljE_EEESS_ST_SU_S11_S15_S17_T6_T7_T9_mT8_S19_bDpT10_ENKUlT_T0_E_clISt17integral_constantIbLb1EES1M_EEDaS1H_S1I_EUlS1H_E_NS1_11comp_targetILNS1_3genE2ELNS1_11target_archE906ELNS1_3gpuE6ELNS1_3repE0EEENS1_30default_config_static_selectorELNS0_4arch9wavefront6targetE1EEEvSV_
                                        ; -- End function
	.section	.AMDGPU.csdata,"",@progbits
; Kernel info:
; codeLenInByte = 0
; NumSgprs: 4
; NumVgprs: 0
; NumAgprs: 0
; TotalNumVgprs: 0
; ScratchSize: 0
; MemoryBound: 0
; FloatMode: 240
; IeeeMode: 1
; LDSByteSize: 0 bytes/workgroup (compile time only)
; SGPRBlocks: 0
; VGPRBlocks: 0
; NumSGPRsForWavesPerEU: 4
; NumVGPRsForWavesPerEU: 1
; AccumOffset: 4
; Occupancy: 8
; WaveLimiterHint : 0
; COMPUTE_PGM_RSRC2:SCRATCH_EN: 0
; COMPUTE_PGM_RSRC2:USER_SGPR: 6
; COMPUTE_PGM_RSRC2:TRAP_HANDLER: 0
; COMPUTE_PGM_RSRC2:TGID_X_EN: 1
; COMPUTE_PGM_RSRC2:TGID_Y_EN: 0
; COMPUTE_PGM_RSRC2:TGID_Z_EN: 0
; COMPUTE_PGM_RSRC2:TIDIG_COMP_CNT: 0
; COMPUTE_PGM_RSRC3_GFX90A:ACCUM_OFFSET: 0
; COMPUTE_PGM_RSRC3_GFX90A:TG_SPLIT: 0
	.section	.text._ZN7rocprim17ROCPRIM_400000_NS6detail17trampoline_kernelINS0_13select_configILj256ELj13ELNS0_17block_load_methodE3ELS4_3ELS4_3ELNS0_20block_scan_algorithmE0ELj4294967295EEENS1_25partition_config_selectorILNS1_17partition_subalgoE3EjNS0_10empty_typeEbEEZZNS1_14partition_implILS8_3ELb0ES6_jNS0_17counting_iteratorIjlEEPS9_SE_NS0_5tupleIJPjSE_EEENSF_IJSE_SE_EEES9_SG_JZNS1_25segmented_radix_sort_implINS0_14default_configELb0EPKlPlSM_SN_N2at6native12_GLOBAL__N_18offset_tEEE10hipError_tPvRmT1_PNSt15iterator_traitsISV_E10value_typeET2_T3_PNSW_IS11_E10value_typeET4_jRbjT5_S17_jjP12ihipStream_tbEUljE_EEESS_ST_SU_S11_S15_S17_T6_T7_T9_mT8_S19_bDpT10_ENKUlT_T0_E_clISt17integral_constantIbLb1EES1M_EEDaS1H_S1I_EUlS1H_E_NS1_11comp_targetILNS1_3genE10ELNS1_11target_archE1200ELNS1_3gpuE4ELNS1_3repE0EEENS1_30default_config_static_selectorELNS0_4arch9wavefront6targetE1EEEvSV_,"axG",@progbits,_ZN7rocprim17ROCPRIM_400000_NS6detail17trampoline_kernelINS0_13select_configILj256ELj13ELNS0_17block_load_methodE3ELS4_3ELS4_3ELNS0_20block_scan_algorithmE0ELj4294967295EEENS1_25partition_config_selectorILNS1_17partition_subalgoE3EjNS0_10empty_typeEbEEZZNS1_14partition_implILS8_3ELb0ES6_jNS0_17counting_iteratorIjlEEPS9_SE_NS0_5tupleIJPjSE_EEENSF_IJSE_SE_EEES9_SG_JZNS1_25segmented_radix_sort_implINS0_14default_configELb0EPKlPlSM_SN_N2at6native12_GLOBAL__N_18offset_tEEE10hipError_tPvRmT1_PNSt15iterator_traitsISV_E10value_typeET2_T3_PNSW_IS11_E10value_typeET4_jRbjT5_S17_jjP12ihipStream_tbEUljE_EEESS_ST_SU_S11_S15_S17_T6_T7_T9_mT8_S19_bDpT10_ENKUlT_T0_E_clISt17integral_constantIbLb1EES1M_EEDaS1H_S1I_EUlS1H_E_NS1_11comp_targetILNS1_3genE10ELNS1_11target_archE1200ELNS1_3gpuE4ELNS1_3repE0EEENS1_30default_config_static_selectorELNS0_4arch9wavefront6targetE1EEEvSV_,comdat
	.globl	_ZN7rocprim17ROCPRIM_400000_NS6detail17trampoline_kernelINS0_13select_configILj256ELj13ELNS0_17block_load_methodE3ELS4_3ELS4_3ELNS0_20block_scan_algorithmE0ELj4294967295EEENS1_25partition_config_selectorILNS1_17partition_subalgoE3EjNS0_10empty_typeEbEEZZNS1_14partition_implILS8_3ELb0ES6_jNS0_17counting_iteratorIjlEEPS9_SE_NS0_5tupleIJPjSE_EEENSF_IJSE_SE_EEES9_SG_JZNS1_25segmented_radix_sort_implINS0_14default_configELb0EPKlPlSM_SN_N2at6native12_GLOBAL__N_18offset_tEEE10hipError_tPvRmT1_PNSt15iterator_traitsISV_E10value_typeET2_T3_PNSW_IS11_E10value_typeET4_jRbjT5_S17_jjP12ihipStream_tbEUljE_EEESS_ST_SU_S11_S15_S17_T6_T7_T9_mT8_S19_bDpT10_ENKUlT_T0_E_clISt17integral_constantIbLb1EES1M_EEDaS1H_S1I_EUlS1H_E_NS1_11comp_targetILNS1_3genE10ELNS1_11target_archE1200ELNS1_3gpuE4ELNS1_3repE0EEENS1_30default_config_static_selectorELNS0_4arch9wavefront6targetE1EEEvSV_ ; -- Begin function _ZN7rocprim17ROCPRIM_400000_NS6detail17trampoline_kernelINS0_13select_configILj256ELj13ELNS0_17block_load_methodE3ELS4_3ELS4_3ELNS0_20block_scan_algorithmE0ELj4294967295EEENS1_25partition_config_selectorILNS1_17partition_subalgoE3EjNS0_10empty_typeEbEEZZNS1_14partition_implILS8_3ELb0ES6_jNS0_17counting_iteratorIjlEEPS9_SE_NS0_5tupleIJPjSE_EEENSF_IJSE_SE_EEES9_SG_JZNS1_25segmented_radix_sort_implINS0_14default_configELb0EPKlPlSM_SN_N2at6native12_GLOBAL__N_18offset_tEEE10hipError_tPvRmT1_PNSt15iterator_traitsISV_E10value_typeET2_T3_PNSW_IS11_E10value_typeET4_jRbjT5_S17_jjP12ihipStream_tbEUljE_EEESS_ST_SU_S11_S15_S17_T6_T7_T9_mT8_S19_bDpT10_ENKUlT_T0_E_clISt17integral_constantIbLb1EES1M_EEDaS1H_S1I_EUlS1H_E_NS1_11comp_targetILNS1_3genE10ELNS1_11target_archE1200ELNS1_3gpuE4ELNS1_3repE0EEENS1_30default_config_static_selectorELNS0_4arch9wavefront6targetE1EEEvSV_
	.p2align	8
	.type	_ZN7rocprim17ROCPRIM_400000_NS6detail17trampoline_kernelINS0_13select_configILj256ELj13ELNS0_17block_load_methodE3ELS4_3ELS4_3ELNS0_20block_scan_algorithmE0ELj4294967295EEENS1_25partition_config_selectorILNS1_17partition_subalgoE3EjNS0_10empty_typeEbEEZZNS1_14partition_implILS8_3ELb0ES6_jNS0_17counting_iteratorIjlEEPS9_SE_NS0_5tupleIJPjSE_EEENSF_IJSE_SE_EEES9_SG_JZNS1_25segmented_radix_sort_implINS0_14default_configELb0EPKlPlSM_SN_N2at6native12_GLOBAL__N_18offset_tEEE10hipError_tPvRmT1_PNSt15iterator_traitsISV_E10value_typeET2_T3_PNSW_IS11_E10value_typeET4_jRbjT5_S17_jjP12ihipStream_tbEUljE_EEESS_ST_SU_S11_S15_S17_T6_T7_T9_mT8_S19_bDpT10_ENKUlT_T0_E_clISt17integral_constantIbLb1EES1M_EEDaS1H_S1I_EUlS1H_E_NS1_11comp_targetILNS1_3genE10ELNS1_11target_archE1200ELNS1_3gpuE4ELNS1_3repE0EEENS1_30default_config_static_selectorELNS0_4arch9wavefront6targetE1EEEvSV_,@function
_ZN7rocprim17ROCPRIM_400000_NS6detail17trampoline_kernelINS0_13select_configILj256ELj13ELNS0_17block_load_methodE3ELS4_3ELS4_3ELNS0_20block_scan_algorithmE0ELj4294967295EEENS1_25partition_config_selectorILNS1_17partition_subalgoE3EjNS0_10empty_typeEbEEZZNS1_14partition_implILS8_3ELb0ES6_jNS0_17counting_iteratorIjlEEPS9_SE_NS0_5tupleIJPjSE_EEENSF_IJSE_SE_EEES9_SG_JZNS1_25segmented_radix_sort_implINS0_14default_configELb0EPKlPlSM_SN_N2at6native12_GLOBAL__N_18offset_tEEE10hipError_tPvRmT1_PNSt15iterator_traitsISV_E10value_typeET2_T3_PNSW_IS11_E10value_typeET4_jRbjT5_S17_jjP12ihipStream_tbEUljE_EEESS_ST_SU_S11_S15_S17_T6_T7_T9_mT8_S19_bDpT10_ENKUlT_T0_E_clISt17integral_constantIbLb1EES1M_EEDaS1H_S1I_EUlS1H_E_NS1_11comp_targetILNS1_3genE10ELNS1_11target_archE1200ELNS1_3gpuE4ELNS1_3repE0EEENS1_30default_config_static_selectorELNS0_4arch9wavefront6targetE1EEEvSV_: ; @_ZN7rocprim17ROCPRIM_400000_NS6detail17trampoline_kernelINS0_13select_configILj256ELj13ELNS0_17block_load_methodE3ELS4_3ELS4_3ELNS0_20block_scan_algorithmE0ELj4294967295EEENS1_25partition_config_selectorILNS1_17partition_subalgoE3EjNS0_10empty_typeEbEEZZNS1_14partition_implILS8_3ELb0ES6_jNS0_17counting_iteratorIjlEEPS9_SE_NS0_5tupleIJPjSE_EEENSF_IJSE_SE_EEES9_SG_JZNS1_25segmented_radix_sort_implINS0_14default_configELb0EPKlPlSM_SN_N2at6native12_GLOBAL__N_18offset_tEEE10hipError_tPvRmT1_PNSt15iterator_traitsISV_E10value_typeET2_T3_PNSW_IS11_E10value_typeET4_jRbjT5_S17_jjP12ihipStream_tbEUljE_EEESS_ST_SU_S11_S15_S17_T6_T7_T9_mT8_S19_bDpT10_ENKUlT_T0_E_clISt17integral_constantIbLb1EES1M_EEDaS1H_S1I_EUlS1H_E_NS1_11comp_targetILNS1_3genE10ELNS1_11target_archE1200ELNS1_3gpuE4ELNS1_3repE0EEENS1_30default_config_static_selectorELNS0_4arch9wavefront6targetE1EEEvSV_
; %bb.0:
	.section	.rodata,"a",@progbits
	.p2align	6, 0x0
	.amdhsa_kernel _ZN7rocprim17ROCPRIM_400000_NS6detail17trampoline_kernelINS0_13select_configILj256ELj13ELNS0_17block_load_methodE3ELS4_3ELS4_3ELNS0_20block_scan_algorithmE0ELj4294967295EEENS1_25partition_config_selectorILNS1_17partition_subalgoE3EjNS0_10empty_typeEbEEZZNS1_14partition_implILS8_3ELb0ES6_jNS0_17counting_iteratorIjlEEPS9_SE_NS0_5tupleIJPjSE_EEENSF_IJSE_SE_EEES9_SG_JZNS1_25segmented_radix_sort_implINS0_14default_configELb0EPKlPlSM_SN_N2at6native12_GLOBAL__N_18offset_tEEE10hipError_tPvRmT1_PNSt15iterator_traitsISV_E10value_typeET2_T3_PNSW_IS11_E10value_typeET4_jRbjT5_S17_jjP12ihipStream_tbEUljE_EEESS_ST_SU_S11_S15_S17_T6_T7_T9_mT8_S19_bDpT10_ENKUlT_T0_E_clISt17integral_constantIbLb1EES1M_EEDaS1H_S1I_EUlS1H_E_NS1_11comp_targetILNS1_3genE10ELNS1_11target_archE1200ELNS1_3gpuE4ELNS1_3repE0EEENS1_30default_config_static_selectorELNS0_4arch9wavefront6targetE1EEEvSV_
		.amdhsa_group_segment_fixed_size 0
		.amdhsa_private_segment_fixed_size 0
		.amdhsa_kernarg_size 152
		.amdhsa_user_sgpr_count 6
		.amdhsa_user_sgpr_private_segment_buffer 1
		.amdhsa_user_sgpr_dispatch_ptr 0
		.amdhsa_user_sgpr_queue_ptr 0
		.amdhsa_user_sgpr_kernarg_segment_ptr 1
		.amdhsa_user_sgpr_dispatch_id 0
		.amdhsa_user_sgpr_flat_scratch_init 0
		.amdhsa_user_sgpr_kernarg_preload_length 0
		.amdhsa_user_sgpr_kernarg_preload_offset 0
		.amdhsa_user_sgpr_private_segment_size 0
		.amdhsa_uses_dynamic_stack 0
		.amdhsa_system_sgpr_private_segment_wavefront_offset 0
		.amdhsa_system_sgpr_workgroup_id_x 1
		.amdhsa_system_sgpr_workgroup_id_y 0
		.amdhsa_system_sgpr_workgroup_id_z 0
		.amdhsa_system_sgpr_workgroup_info 0
		.amdhsa_system_vgpr_workitem_id 0
		.amdhsa_next_free_vgpr 1
		.amdhsa_next_free_sgpr 0
		.amdhsa_accum_offset 4
		.amdhsa_reserve_vcc 0
		.amdhsa_reserve_flat_scratch 0
		.amdhsa_float_round_mode_32 0
		.amdhsa_float_round_mode_16_64 0
		.amdhsa_float_denorm_mode_32 3
		.amdhsa_float_denorm_mode_16_64 3
		.amdhsa_dx10_clamp 1
		.amdhsa_ieee_mode 1
		.amdhsa_fp16_overflow 0
		.amdhsa_tg_split 0
		.amdhsa_exception_fp_ieee_invalid_op 0
		.amdhsa_exception_fp_denorm_src 0
		.amdhsa_exception_fp_ieee_div_zero 0
		.amdhsa_exception_fp_ieee_overflow 0
		.amdhsa_exception_fp_ieee_underflow 0
		.amdhsa_exception_fp_ieee_inexact 0
		.amdhsa_exception_int_div_zero 0
	.end_amdhsa_kernel
	.section	.text._ZN7rocprim17ROCPRIM_400000_NS6detail17trampoline_kernelINS0_13select_configILj256ELj13ELNS0_17block_load_methodE3ELS4_3ELS4_3ELNS0_20block_scan_algorithmE0ELj4294967295EEENS1_25partition_config_selectorILNS1_17partition_subalgoE3EjNS0_10empty_typeEbEEZZNS1_14partition_implILS8_3ELb0ES6_jNS0_17counting_iteratorIjlEEPS9_SE_NS0_5tupleIJPjSE_EEENSF_IJSE_SE_EEES9_SG_JZNS1_25segmented_radix_sort_implINS0_14default_configELb0EPKlPlSM_SN_N2at6native12_GLOBAL__N_18offset_tEEE10hipError_tPvRmT1_PNSt15iterator_traitsISV_E10value_typeET2_T3_PNSW_IS11_E10value_typeET4_jRbjT5_S17_jjP12ihipStream_tbEUljE_EEESS_ST_SU_S11_S15_S17_T6_T7_T9_mT8_S19_bDpT10_ENKUlT_T0_E_clISt17integral_constantIbLb1EES1M_EEDaS1H_S1I_EUlS1H_E_NS1_11comp_targetILNS1_3genE10ELNS1_11target_archE1200ELNS1_3gpuE4ELNS1_3repE0EEENS1_30default_config_static_selectorELNS0_4arch9wavefront6targetE1EEEvSV_,"axG",@progbits,_ZN7rocprim17ROCPRIM_400000_NS6detail17trampoline_kernelINS0_13select_configILj256ELj13ELNS0_17block_load_methodE3ELS4_3ELS4_3ELNS0_20block_scan_algorithmE0ELj4294967295EEENS1_25partition_config_selectorILNS1_17partition_subalgoE3EjNS0_10empty_typeEbEEZZNS1_14partition_implILS8_3ELb0ES6_jNS0_17counting_iteratorIjlEEPS9_SE_NS0_5tupleIJPjSE_EEENSF_IJSE_SE_EEES9_SG_JZNS1_25segmented_radix_sort_implINS0_14default_configELb0EPKlPlSM_SN_N2at6native12_GLOBAL__N_18offset_tEEE10hipError_tPvRmT1_PNSt15iterator_traitsISV_E10value_typeET2_T3_PNSW_IS11_E10value_typeET4_jRbjT5_S17_jjP12ihipStream_tbEUljE_EEESS_ST_SU_S11_S15_S17_T6_T7_T9_mT8_S19_bDpT10_ENKUlT_T0_E_clISt17integral_constantIbLb1EES1M_EEDaS1H_S1I_EUlS1H_E_NS1_11comp_targetILNS1_3genE10ELNS1_11target_archE1200ELNS1_3gpuE4ELNS1_3repE0EEENS1_30default_config_static_selectorELNS0_4arch9wavefront6targetE1EEEvSV_,comdat
.Lfunc_end788:
	.size	_ZN7rocprim17ROCPRIM_400000_NS6detail17trampoline_kernelINS0_13select_configILj256ELj13ELNS0_17block_load_methodE3ELS4_3ELS4_3ELNS0_20block_scan_algorithmE0ELj4294967295EEENS1_25partition_config_selectorILNS1_17partition_subalgoE3EjNS0_10empty_typeEbEEZZNS1_14partition_implILS8_3ELb0ES6_jNS0_17counting_iteratorIjlEEPS9_SE_NS0_5tupleIJPjSE_EEENSF_IJSE_SE_EEES9_SG_JZNS1_25segmented_radix_sort_implINS0_14default_configELb0EPKlPlSM_SN_N2at6native12_GLOBAL__N_18offset_tEEE10hipError_tPvRmT1_PNSt15iterator_traitsISV_E10value_typeET2_T3_PNSW_IS11_E10value_typeET4_jRbjT5_S17_jjP12ihipStream_tbEUljE_EEESS_ST_SU_S11_S15_S17_T6_T7_T9_mT8_S19_bDpT10_ENKUlT_T0_E_clISt17integral_constantIbLb1EES1M_EEDaS1H_S1I_EUlS1H_E_NS1_11comp_targetILNS1_3genE10ELNS1_11target_archE1200ELNS1_3gpuE4ELNS1_3repE0EEENS1_30default_config_static_selectorELNS0_4arch9wavefront6targetE1EEEvSV_, .Lfunc_end788-_ZN7rocprim17ROCPRIM_400000_NS6detail17trampoline_kernelINS0_13select_configILj256ELj13ELNS0_17block_load_methodE3ELS4_3ELS4_3ELNS0_20block_scan_algorithmE0ELj4294967295EEENS1_25partition_config_selectorILNS1_17partition_subalgoE3EjNS0_10empty_typeEbEEZZNS1_14partition_implILS8_3ELb0ES6_jNS0_17counting_iteratorIjlEEPS9_SE_NS0_5tupleIJPjSE_EEENSF_IJSE_SE_EEES9_SG_JZNS1_25segmented_radix_sort_implINS0_14default_configELb0EPKlPlSM_SN_N2at6native12_GLOBAL__N_18offset_tEEE10hipError_tPvRmT1_PNSt15iterator_traitsISV_E10value_typeET2_T3_PNSW_IS11_E10value_typeET4_jRbjT5_S17_jjP12ihipStream_tbEUljE_EEESS_ST_SU_S11_S15_S17_T6_T7_T9_mT8_S19_bDpT10_ENKUlT_T0_E_clISt17integral_constantIbLb1EES1M_EEDaS1H_S1I_EUlS1H_E_NS1_11comp_targetILNS1_3genE10ELNS1_11target_archE1200ELNS1_3gpuE4ELNS1_3repE0EEENS1_30default_config_static_selectorELNS0_4arch9wavefront6targetE1EEEvSV_
                                        ; -- End function
	.section	.AMDGPU.csdata,"",@progbits
; Kernel info:
; codeLenInByte = 0
; NumSgprs: 4
; NumVgprs: 0
; NumAgprs: 0
; TotalNumVgprs: 0
; ScratchSize: 0
; MemoryBound: 0
; FloatMode: 240
; IeeeMode: 1
; LDSByteSize: 0 bytes/workgroup (compile time only)
; SGPRBlocks: 0
; VGPRBlocks: 0
; NumSGPRsForWavesPerEU: 4
; NumVGPRsForWavesPerEU: 1
; AccumOffset: 4
; Occupancy: 8
; WaveLimiterHint : 0
; COMPUTE_PGM_RSRC2:SCRATCH_EN: 0
; COMPUTE_PGM_RSRC2:USER_SGPR: 6
; COMPUTE_PGM_RSRC2:TRAP_HANDLER: 0
; COMPUTE_PGM_RSRC2:TGID_X_EN: 1
; COMPUTE_PGM_RSRC2:TGID_Y_EN: 0
; COMPUTE_PGM_RSRC2:TGID_Z_EN: 0
; COMPUTE_PGM_RSRC2:TIDIG_COMP_CNT: 0
; COMPUTE_PGM_RSRC3_GFX90A:ACCUM_OFFSET: 0
; COMPUTE_PGM_RSRC3_GFX90A:TG_SPLIT: 0
	.section	.text._ZN7rocprim17ROCPRIM_400000_NS6detail17trampoline_kernelINS0_13select_configILj256ELj13ELNS0_17block_load_methodE3ELS4_3ELS4_3ELNS0_20block_scan_algorithmE0ELj4294967295EEENS1_25partition_config_selectorILNS1_17partition_subalgoE3EjNS0_10empty_typeEbEEZZNS1_14partition_implILS8_3ELb0ES6_jNS0_17counting_iteratorIjlEEPS9_SE_NS0_5tupleIJPjSE_EEENSF_IJSE_SE_EEES9_SG_JZNS1_25segmented_radix_sort_implINS0_14default_configELb0EPKlPlSM_SN_N2at6native12_GLOBAL__N_18offset_tEEE10hipError_tPvRmT1_PNSt15iterator_traitsISV_E10value_typeET2_T3_PNSW_IS11_E10value_typeET4_jRbjT5_S17_jjP12ihipStream_tbEUljE_EEESS_ST_SU_S11_S15_S17_T6_T7_T9_mT8_S19_bDpT10_ENKUlT_T0_E_clISt17integral_constantIbLb1EES1M_EEDaS1H_S1I_EUlS1H_E_NS1_11comp_targetILNS1_3genE9ELNS1_11target_archE1100ELNS1_3gpuE3ELNS1_3repE0EEENS1_30default_config_static_selectorELNS0_4arch9wavefront6targetE1EEEvSV_,"axG",@progbits,_ZN7rocprim17ROCPRIM_400000_NS6detail17trampoline_kernelINS0_13select_configILj256ELj13ELNS0_17block_load_methodE3ELS4_3ELS4_3ELNS0_20block_scan_algorithmE0ELj4294967295EEENS1_25partition_config_selectorILNS1_17partition_subalgoE3EjNS0_10empty_typeEbEEZZNS1_14partition_implILS8_3ELb0ES6_jNS0_17counting_iteratorIjlEEPS9_SE_NS0_5tupleIJPjSE_EEENSF_IJSE_SE_EEES9_SG_JZNS1_25segmented_radix_sort_implINS0_14default_configELb0EPKlPlSM_SN_N2at6native12_GLOBAL__N_18offset_tEEE10hipError_tPvRmT1_PNSt15iterator_traitsISV_E10value_typeET2_T3_PNSW_IS11_E10value_typeET4_jRbjT5_S17_jjP12ihipStream_tbEUljE_EEESS_ST_SU_S11_S15_S17_T6_T7_T9_mT8_S19_bDpT10_ENKUlT_T0_E_clISt17integral_constantIbLb1EES1M_EEDaS1H_S1I_EUlS1H_E_NS1_11comp_targetILNS1_3genE9ELNS1_11target_archE1100ELNS1_3gpuE3ELNS1_3repE0EEENS1_30default_config_static_selectorELNS0_4arch9wavefront6targetE1EEEvSV_,comdat
	.globl	_ZN7rocprim17ROCPRIM_400000_NS6detail17trampoline_kernelINS0_13select_configILj256ELj13ELNS0_17block_load_methodE3ELS4_3ELS4_3ELNS0_20block_scan_algorithmE0ELj4294967295EEENS1_25partition_config_selectorILNS1_17partition_subalgoE3EjNS0_10empty_typeEbEEZZNS1_14partition_implILS8_3ELb0ES6_jNS0_17counting_iteratorIjlEEPS9_SE_NS0_5tupleIJPjSE_EEENSF_IJSE_SE_EEES9_SG_JZNS1_25segmented_radix_sort_implINS0_14default_configELb0EPKlPlSM_SN_N2at6native12_GLOBAL__N_18offset_tEEE10hipError_tPvRmT1_PNSt15iterator_traitsISV_E10value_typeET2_T3_PNSW_IS11_E10value_typeET4_jRbjT5_S17_jjP12ihipStream_tbEUljE_EEESS_ST_SU_S11_S15_S17_T6_T7_T9_mT8_S19_bDpT10_ENKUlT_T0_E_clISt17integral_constantIbLb1EES1M_EEDaS1H_S1I_EUlS1H_E_NS1_11comp_targetILNS1_3genE9ELNS1_11target_archE1100ELNS1_3gpuE3ELNS1_3repE0EEENS1_30default_config_static_selectorELNS0_4arch9wavefront6targetE1EEEvSV_ ; -- Begin function _ZN7rocprim17ROCPRIM_400000_NS6detail17trampoline_kernelINS0_13select_configILj256ELj13ELNS0_17block_load_methodE3ELS4_3ELS4_3ELNS0_20block_scan_algorithmE0ELj4294967295EEENS1_25partition_config_selectorILNS1_17partition_subalgoE3EjNS0_10empty_typeEbEEZZNS1_14partition_implILS8_3ELb0ES6_jNS0_17counting_iteratorIjlEEPS9_SE_NS0_5tupleIJPjSE_EEENSF_IJSE_SE_EEES9_SG_JZNS1_25segmented_radix_sort_implINS0_14default_configELb0EPKlPlSM_SN_N2at6native12_GLOBAL__N_18offset_tEEE10hipError_tPvRmT1_PNSt15iterator_traitsISV_E10value_typeET2_T3_PNSW_IS11_E10value_typeET4_jRbjT5_S17_jjP12ihipStream_tbEUljE_EEESS_ST_SU_S11_S15_S17_T6_T7_T9_mT8_S19_bDpT10_ENKUlT_T0_E_clISt17integral_constantIbLb1EES1M_EEDaS1H_S1I_EUlS1H_E_NS1_11comp_targetILNS1_3genE9ELNS1_11target_archE1100ELNS1_3gpuE3ELNS1_3repE0EEENS1_30default_config_static_selectorELNS0_4arch9wavefront6targetE1EEEvSV_
	.p2align	8
	.type	_ZN7rocprim17ROCPRIM_400000_NS6detail17trampoline_kernelINS0_13select_configILj256ELj13ELNS0_17block_load_methodE3ELS4_3ELS4_3ELNS0_20block_scan_algorithmE0ELj4294967295EEENS1_25partition_config_selectorILNS1_17partition_subalgoE3EjNS0_10empty_typeEbEEZZNS1_14partition_implILS8_3ELb0ES6_jNS0_17counting_iteratorIjlEEPS9_SE_NS0_5tupleIJPjSE_EEENSF_IJSE_SE_EEES9_SG_JZNS1_25segmented_radix_sort_implINS0_14default_configELb0EPKlPlSM_SN_N2at6native12_GLOBAL__N_18offset_tEEE10hipError_tPvRmT1_PNSt15iterator_traitsISV_E10value_typeET2_T3_PNSW_IS11_E10value_typeET4_jRbjT5_S17_jjP12ihipStream_tbEUljE_EEESS_ST_SU_S11_S15_S17_T6_T7_T9_mT8_S19_bDpT10_ENKUlT_T0_E_clISt17integral_constantIbLb1EES1M_EEDaS1H_S1I_EUlS1H_E_NS1_11comp_targetILNS1_3genE9ELNS1_11target_archE1100ELNS1_3gpuE3ELNS1_3repE0EEENS1_30default_config_static_selectorELNS0_4arch9wavefront6targetE1EEEvSV_,@function
_ZN7rocprim17ROCPRIM_400000_NS6detail17trampoline_kernelINS0_13select_configILj256ELj13ELNS0_17block_load_methodE3ELS4_3ELS4_3ELNS0_20block_scan_algorithmE0ELj4294967295EEENS1_25partition_config_selectorILNS1_17partition_subalgoE3EjNS0_10empty_typeEbEEZZNS1_14partition_implILS8_3ELb0ES6_jNS0_17counting_iteratorIjlEEPS9_SE_NS0_5tupleIJPjSE_EEENSF_IJSE_SE_EEES9_SG_JZNS1_25segmented_radix_sort_implINS0_14default_configELb0EPKlPlSM_SN_N2at6native12_GLOBAL__N_18offset_tEEE10hipError_tPvRmT1_PNSt15iterator_traitsISV_E10value_typeET2_T3_PNSW_IS11_E10value_typeET4_jRbjT5_S17_jjP12ihipStream_tbEUljE_EEESS_ST_SU_S11_S15_S17_T6_T7_T9_mT8_S19_bDpT10_ENKUlT_T0_E_clISt17integral_constantIbLb1EES1M_EEDaS1H_S1I_EUlS1H_E_NS1_11comp_targetILNS1_3genE9ELNS1_11target_archE1100ELNS1_3gpuE3ELNS1_3repE0EEENS1_30default_config_static_selectorELNS0_4arch9wavefront6targetE1EEEvSV_: ; @_ZN7rocprim17ROCPRIM_400000_NS6detail17trampoline_kernelINS0_13select_configILj256ELj13ELNS0_17block_load_methodE3ELS4_3ELS4_3ELNS0_20block_scan_algorithmE0ELj4294967295EEENS1_25partition_config_selectorILNS1_17partition_subalgoE3EjNS0_10empty_typeEbEEZZNS1_14partition_implILS8_3ELb0ES6_jNS0_17counting_iteratorIjlEEPS9_SE_NS0_5tupleIJPjSE_EEENSF_IJSE_SE_EEES9_SG_JZNS1_25segmented_radix_sort_implINS0_14default_configELb0EPKlPlSM_SN_N2at6native12_GLOBAL__N_18offset_tEEE10hipError_tPvRmT1_PNSt15iterator_traitsISV_E10value_typeET2_T3_PNSW_IS11_E10value_typeET4_jRbjT5_S17_jjP12ihipStream_tbEUljE_EEESS_ST_SU_S11_S15_S17_T6_T7_T9_mT8_S19_bDpT10_ENKUlT_T0_E_clISt17integral_constantIbLb1EES1M_EEDaS1H_S1I_EUlS1H_E_NS1_11comp_targetILNS1_3genE9ELNS1_11target_archE1100ELNS1_3gpuE3ELNS1_3repE0EEENS1_30default_config_static_selectorELNS0_4arch9wavefront6targetE1EEEvSV_
; %bb.0:
	.section	.rodata,"a",@progbits
	.p2align	6, 0x0
	.amdhsa_kernel _ZN7rocprim17ROCPRIM_400000_NS6detail17trampoline_kernelINS0_13select_configILj256ELj13ELNS0_17block_load_methodE3ELS4_3ELS4_3ELNS0_20block_scan_algorithmE0ELj4294967295EEENS1_25partition_config_selectorILNS1_17partition_subalgoE3EjNS0_10empty_typeEbEEZZNS1_14partition_implILS8_3ELb0ES6_jNS0_17counting_iteratorIjlEEPS9_SE_NS0_5tupleIJPjSE_EEENSF_IJSE_SE_EEES9_SG_JZNS1_25segmented_radix_sort_implINS0_14default_configELb0EPKlPlSM_SN_N2at6native12_GLOBAL__N_18offset_tEEE10hipError_tPvRmT1_PNSt15iterator_traitsISV_E10value_typeET2_T3_PNSW_IS11_E10value_typeET4_jRbjT5_S17_jjP12ihipStream_tbEUljE_EEESS_ST_SU_S11_S15_S17_T6_T7_T9_mT8_S19_bDpT10_ENKUlT_T0_E_clISt17integral_constantIbLb1EES1M_EEDaS1H_S1I_EUlS1H_E_NS1_11comp_targetILNS1_3genE9ELNS1_11target_archE1100ELNS1_3gpuE3ELNS1_3repE0EEENS1_30default_config_static_selectorELNS0_4arch9wavefront6targetE1EEEvSV_
		.amdhsa_group_segment_fixed_size 0
		.amdhsa_private_segment_fixed_size 0
		.amdhsa_kernarg_size 152
		.amdhsa_user_sgpr_count 6
		.amdhsa_user_sgpr_private_segment_buffer 1
		.amdhsa_user_sgpr_dispatch_ptr 0
		.amdhsa_user_sgpr_queue_ptr 0
		.amdhsa_user_sgpr_kernarg_segment_ptr 1
		.amdhsa_user_sgpr_dispatch_id 0
		.amdhsa_user_sgpr_flat_scratch_init 0
		.amdhsa_user_sgpr_kernarg_preload_length 0
		.amdhsa_user_sgpr_kernarg_preload_offset 0
		.amdhsa_user_sgpr_private_segment_size 0
		.amdhsa_uses_dynamic_stack 0
		.amdhsa_system_sgpr_private_segment_wavefront_offset 0
		.amdhsa_system_sgpr_workgroup_id_x 1
		.amdhsa_system_sgpr_workgroup_id_y 0
		.amdhsa_system_sgpr_workgroup_id_z 0
		.amdhsa_system_sgpr_workgroup_info 0
		.amdhsa_system_vgpr_workitem_id 0
		.amdhsa_next_free_vgpr 1
		.amdhsa_next_free_sgpr 0
		.amdhsa_accum_offset 4
		.amdhsa_reserve_vcc 0
		.amdhsa_reserve_flat_scratch 0
		.amdhsa_float_round_mode_32 0
		.amdhsa_float_round_mode_16_64 0
		.amdhsa_float_denorm_mode_32 3
		.amdhsa_float_denorm_mode_16_64 3
		.amdhsa_dx10_clamp 1
		.amdhsa_ieee_mode 1
		.amdhsa_fp16_overflow 0
		.amdhsa_tg_split 0
		.amdhsa_exception_fp_ieee_invalid_op 0
		.amdhsa_exception_fp_denorm_src 0
		.amdhsa_exception_fp_ieee_div_zero 0
		.amdhsa_exception_fp_ieee_overflow 0
		.amdhsa_exception_fp_ieee_underflow 0
		.amdhsa_exception_fp_ieee_inexact 0
		.amdhsa_exception_int_div_zero 0
	.end_amdhsa_kernel
	.section	.text._ZN7rocprim17ROCPRIM_400000_NS6detail17trampoline_kernelINS0_13select_configILj256ELj13ELNS0_17block_load_methodE3ELS4_3ELS4_3ELNS0_20block_scan_algorithmE0ELj4294967295EEENS1_25partition_config_selectorILNS1_17partition_subalgoE3EjNS0_10empty_typeEbEEZZNS1_14partition_implILS8_3ELb0ES6_jNS0_17counting_iteratorIjlEEPS9_SE_NS0_5tupleIJPjSE_EEENSF_IJSE_SE_EEES9_SG_JZNS1_25segmented_radix_sort_implINS0_14default_configELb0EPKlPlSM_SN_N2at6native12_GLOBAL__N_18offset_tEEE10hipError_tPvRmT1_PNSt15iterator_traitsISV_E10value_typeET2_T3_PNSW_IS11_E10value_typeET4_jRbjT5_S17_jjP12ihipStream_tbEUljE_EEESS_ST_SU_S11_S15_S17_T6_T7_T9_mT8_S19_bDpT10_ENKUlT_T0_E_clISt17integral_constantIbLb1EES1M_EEDaS1H_S1I_EUlS1H_E_NS1_11comp_targetILNS1_3genE9ELNS1_11target_archE1100ELNS1_3gpuE3ELNS1_3repE0EEENS1_30default_config_static_selectorELNS0_4arch9wavefront6targetE1EEEvSV_,"axG",@progbits,_ZN7rocprim17ROCPRIM_400000_NS6detail17trampoline_kernelINS0_13select_configILj256ELj13ELNS0_17block_load_methodE3ELS4_3ELS4_3ELNS0_20block_scan_algorithmE0ELj4294967295EEENS1_25partition_config_selectorILNS1_17partition_subalgoE3EjNS0_10empty_typeEbEEZZNS1_14partition_implILS8_3ELb0ES6_jNS0_17counting_iteratorIjlEEPS9_SE_NS0_5tupleIJPjSE_EEENSF_IJSE_SE_EEES9_SG_JZNS1_25segmented_radix_sort_implINS0_14default_configELb0EPKlPlSM_SN_N2at6native12_GLOBAL__N_18offset_tEEE10hipError_tPvRmT1_PNSt15iterator_traitsISV_E10value_typeET2_T3_PNSW_IS11_E10value_typeET4_jRbjT5_S17_jjP12ihipStream_tbEUljE_EEESS_ST_SU_S11_S15_S17_T6_T7_T9_mT8_S19_bDpT10_ENKUlT_T0_E_clISt17integral_constantIbLb1EES1M_EEDaS1H_S1I_EUlS1H_E_NS1_11comp_targetILNS1_3genE9ELNS1_11target_archE1100ELNS1_3gpuE3ELNS1_3repE0EEENS1_30default_config_static_selectorELNS0_4arch9wavefront6targetE1EEEvSV_,comdat
.Lfunc_end789:
	.size	_ZN7rocprim17ROCPRIM_400000_NS6detail17trampoline_kernelINS0_13select_configILj256ELj13ELNS0_17block_load_methodE3ELS4_3ELS4_3ELNS0_20block_scan_algorithmE0ELj4294967295EEENS1_25partition_config_selectorILNS1_17partition_subalgoE3EjNS0_10empty_typeEbEEZZNS1_14partition_implILS8_3ELb0ES6_jNS0_17counting_iteratorIjlEEPS9_SE_NS0_5tupleIJPjSE_EEENSF_IJSE_SE_EEES9_SG_JZNS1_25segmented_radix_sort_implINS0_14default_configELb0EPKlPlSM_SN_N2at6native12_GLOBAL__N_18offset_tEEE10hipError_tPvRmT1_PNSt15iterator_traitsISV_E10value_typeET2_T3_PNSW_IS11_E10value_typeET4_jRbjT5_S17_jjP12ihipStream_tbEUljE_EEESS_ST_SU_S11_S15_S17_T6_T7_T9_mT8_S19_bDpT10_ENKUlT_T0_E_clISt17integral_constantIbLb1EES1M_EEDaS1H_S1I_EUlS1H_E_NS1_11comp_targetILNS1_3genE9ELNS1_11target_archE1100ELNS1_3gpuE3ELNS1_3repE0EEENS1_30default_config_static_selectorELNS0_4arch9wavefront6targetE1EEEvSV_, .Lfunc_end789-_ZN7rocprim17ROCPRIM_400000_NS6detail17trampoline_kernelINS0_13select_configILj256ELj13ELNS0_17block_load_methodE3ELS4_3ELS4_3ELNS0_20block_scan_algorithmE0ELj4294967295EEENS1_25partition_config_selectorILNS1_17partition_subalgoE3EjNS0_10empty_typeEbEEZZNS1_14partition_implILS8_3ELb0ES6_jNS0_17counting_iteratorIjlEEPS9_SE_NS0_5tupleIJPjSE_EEENSF_IJSE_SE_EEES9_SG_JZNS1_25segmented_radix_sort_implINS0_14default_configELb0EPKlPlSM_SN_N2at6native12_GLOBAL__N_18offset_tEEE10hipError_tPvRmT1_PNSt15iterator_traitsISV_E10value_typeET2_T3_PNSW_IS11_E10value_typeET4_jRbjT5_S17_jjP12ihipStream_tbEUljE_EEESS_ST_SU_S11_S15_S17_T6_T7_T9_mT8_S19_bDpT10_ENKUlT_T0_E_clISt17integral_constantIbLb1EES1M_EEDaS1H_S1I_EUlS1H_E_NS1_11comp_targetILNS1_3genE9ELNS1_11target_archE1100ELNS1_3gpuE3ELNS1_3repE0EEENS1_30default_config_static_selectorELNS0_4arch9wavefront6targetE1EEEvSV_
                                        ; -- End function
	.section	.AMDGPU.csdata,"",@progbits
; Kernel info:
; codeLenInByte = 0
; NumSgprs: 4
; NumVgprs: 0
; NumAgprs: 0
; TotalNumVgprs: 0
; ScratchSize: 0
; MemoryBound: 0
; FloatMode: 240
; IeeeMode: 1
; LDSByteSize: 0 bytes/workgroup (compile time only)
; SGPRBlocks: 0
; VGPRBlocks: 0
; NumSGPRsForWavesPerEU: 4
; NumVGPRsForWavesPerEU: 1
; AccumOffset: 4
; Occupancy: 8
; WaveLimiterHint : 0
; COMPUTE_PGM_RSRC2:SCRATCH_EN: 0
; COMPUTE_PGM_RSRC2:USER_SGPR: 6
; COMPUTE_PGM_RSRC2:TRAP_HANDLER: 0
; COMPUTE_PGM_RSRC2:TGID_X_EN: 1
; COMPUTE_PGM_RSRC2:TGID_Y_EN: 0
; COMPUTE_PGM_RSRC2:TGID_Z_EN: 0
; COMPUTE_PGM_RSRC2:TIDIG_COMP_CNT: 0
; COMPUTE_PGM_RSRC3_GFX90A:ACCUM_OFFSET: 0
; COMPUTE_PGM_RSRC3_GFX90A:TG_SPLIT: 0
	.section	.text._ZN7rocprim17ROCPRIM_400000_NS6detail17trampoline_kernelINS0_13select_configILj256ELj13ELNS0_17block_load_methodE3ELS4_3ELS4_3ELNS0_20block_scan_algorithmE0ELj4294967295EEENS1_25partition_config_selectorILNS1_17partition_subalgoE3EjNS0_10empty_typeEbEEZZNS1_14partition_implILS8_3ELb0ES6_jNS0_17counting_iteratorIjlEEPS9_SE_NS0_5tupleIJPjSE_EEENSF_IJSE_SE_EEES9_SG_JZNS1_25segmented_radix_sort_implINS0_14default_configELb0EPKlPlSM_SN_N2at6native12_GLOBAL__N_18offset_tEEE10hipError_tPvRmT1_PNSt15iterator_traitsISV_E10value_typeET2_T3_PNSW_IS11_E10value_typeET4_jRbjT5_S17_jjP12ihipStream_tbEUljE_EEESS_ST_SU_S11_S15_S17_T6_T7_T9_mT8_S19_bDpT10_ENKUlT_T0_E_clISt17integral_constantIbLb1EES1M_EEDaS1H_S1I_EUlS1H_E_NS1_11comp_targetILNS1_3genE8ELNS1_11target_archE1030ELNS1_3gpuE2ELNS1_3repE0EEENS1_30default_config_static_selectorELNS0_4arch9wavefront6targetE1EEEvSV_,"axG",@progbits,_ZN7rocprim17ROCPRIM_400000_NS6detail17trampoline_kernelINS0_13select_configILj256ELj13ELNS0_17block_load_methodE3ELS4_3ELS4_3ELNS0_20block_scan_algorithmE0ELj4294967295EEENS1_25partition_config_selectorILNS1_17partition_subalgoE3EjNS0_10empty_typeEbEEZZNS1_14partition_implILS8_3ELb0ES6_jNS0_17counting_iteratorIjlEEPS9_SE_NS0_5tupleIJPjSE_EEENSF_IJSE_SE_EEES9_SG_JZNS1_25segmented_radix_sort_implINS0_14default_configELb0EPKlPlSM_SN_N2at6native12_GLOBAL__N_18offset_tEEE10hipError_tPvRmT1_PNSt15iterator_traitsISV_E10value_typeET2_T3_PNSW_IS11_E10value_typeET4_jRbjT5_S17_jjP12ihipStream_tbEUljE_EEESS_ST_SU_S11_S15_S17_T6_T7_T9_mT8_S19_bDpT10_ENKUlT_T0_E_clISt17integral_constantIbLb1EES1M_EEDaS1H_S1I_EUlS1H_E_NS1_11comp_targetILNS1_3genE8ELNS1_11target_archE1030ELNS1_3gpuE2ELNS1_3repE0EEENS1_30default_config_static_selectorELNS0_4arch9wavefront6targetE1EEEvSV_,comdat
	.globl	_ZN7rocprim17ROCPRIM_400000_NS6detail17trampoline_kernelINS0_13select_configILj256ELj13ELNS0_17block_load_methodE3ELS4_3ELS4_3ELNS0_20block_scan_algorithmE0ELj4294967295EEENS1_25partition_config_selectorILNS1_17partition_subalgoE3EjNS0_10empty_typeEbEEZZNS1_14partition_implILS8_3ELb0ES6_jNS0_17counting_iteratorIjlEEPS9_SE_NS0_5tupleIJPjSE_EEENSF_IJSE_SE_EEES9_SG_JZNS1_25segmented_radix_sort_implINS0_14default_configELb0EPKlPlSM_SN_N2at6native12_GLOBAL__N_18offset_tEEE10hipError_tPvRmT1_PNSt15iterator_traitsISV_E10value_typeET2_T3_PNSW_IS11_E10value_typeET4_jRbjT5_S17_jjP12ihipStream_tbEUljE_EEESS_ST_SU_S11_S15_S17_T6_T7_T9_mT8_S19_bDpT10_ENKUlT_T0_E_clISt17integral_constantIbLb1EES1M_EEDaS1H_S1I_EUlS1H_E_NS1_11comp_targetILNS1_3genE8ELNS1_11target_archE1030ELNS1_3gpuE2ELNS1_3repE0EEENS1_30default_config_static_selectorELNS0_4arch9wavefront6targetE1EEEvSV_ ; -- Begin function _ZN7rocprim17ROCPRIM_400000_NS6detail17trampoline_kernelINS0_13select_configILj256ELj13ELNS0_17block_load_methodE3ELS4_3ELS4_3ELNS0_20block_scan_algorithmE0ELj4294967295EEENS1_25partition_config_selectorILNS1_17partition_subalgoE3EjNS0_10empty_typeEbEEZZNS1_14partition_implILS8_3ELb0ES6_jNS0_17counting_iteratorIjlEEPS9_SE_NS0_5tupleIJPjSE_EEENSF_IJSE_SE_EEES9_SG_JZNS1_25segmented_radix_sort_implINS0_14default_configELb0EPKlPlSM_SN_N2at6native12_GLOBAL__N_18offset_tEEE10hipError_tPvRmT1_PNSt15iterator_traitsISV_E10value_typeET2_T3_PNSW_IS11_E10value_typeET4_jRbjT5_S17_jjP12ihipStream_tbEUljE_EEESS_ST_SU_S11_S15_S17_T6_T7_T9_mT8_S19_bDpT10_ENKUlT_T0_E_clISt17integral_constantIbLb1EES1M_EEDaS1H_S1I_EUlS1H_E_NS1_11comp_targetILNS1_3genE8ELNS1_11target_archE1030ELNS1_3gpuE2ELNS1_3repE0EEENS1_30default_config_static_selectorELNS0_4arch9wavefront6targetE1EEEvSV_
	.p2align	8
	.type	_ZN7rocprim17ROCPRIM_400000_NS6detail17trampoline_kernelINS0_13select_configILj256ELj13ELNS0_17block_load_methodE3ELS4_3ELS4_3ELNS0_20block_scan_algorithmE0ELj4294967295EEENS1_25partition_config_selectorILNS1_17partition_subalgoE3EjNS0_10empty_typeEbEEZZNS1_14partition_implILS8_3ELb0ES6_jNS0_17counting_iteratorIjlEEPS9_SE_NS0_5tupleIJPjSE_EEENSF_IJSE_SE_EEES9_SG_JZNS1_25segmented_radix_sort_implINS0_14default_configELb0EPKlPlSM_SN_N2at6native12_GLOBAL__N_18offset_tEEE10hipError_tPvRmT1_PNSt15iterator_traitsISV_E10value_typeET2_T3_PNSW_IS11_E10value_typeET4_jRbjT5_S17_jjP12ihipStream_tbEUljE_EEESS_ST_SU_S11_S15_S17_T6_T7_T9_mT8_S19_bDpT10_ENKUlT_T0_E_clISt17integral_constantIbLb1EES1M_EEDaS1H_S1I_EUlS1H_E_NS1_11comp_targetILNS1_3genE8ELNS1_11target_archE1030ELNS1_3gpuE2ELNS1_3repE0EEENS1_30default_config_static_selectorELNS0_4arch9wavefront6targetE1EEEvSV_,@function
_ZN7rocprim17ROCPRIM_400000_NS6detail17trampoline_kernelINS0_13select_configILj256ELj13ELNS0_17block_load_methodE3ELS4_3ELS4_3ELNS0_20block_scan_algorithmE0ELj4294967295EEENS1_25partition_config_selectorILNS1_17partition_subalgoE3EjNS0_10empty_typeEbEEZZNS1_14partition_implILS8_3ELb0ES6_jNS0_17counting_iteratorIjlEEPS9_SE_NS0_5tupleIJPjSE_EEENSF_IJSE_SE_EEES9_SG_JZNS1_25segmented_radix_sort_implINS0_14default_configELb0EPKlPlSM_SN_N2at6native12_GLOBAL__N_18offset_tEEE10hipError_tPvRmT1_PNSt15iterator_traitsISV_E10value_typeET2_T3_PNSW_IS11_E10value_typeET4_jRbjT5_S17_jjP12ihipStream_tbEUljE_EEESS_ST_SU_S11_S15_S17_T6_T7_T9_mT8_S19_bDpT10_ENKUlT_T0_E_clISt17integral_constantIbLb1EES1M_EEDaS1H_S1I_EUlS1H_E_NS1_11comp_targetILNS1_3genE8ELNS1_11target_archE1030ELNS1_3gpuE2ELNS1_3repE0EEENS1_30default_config_static_selectorELNS0_4arch9wavefront6targetE1EEEvSV_: ; @_ZN7rocprim17ROCPRIM_400000_NS6detail17trampoline_kernelINS0_13select_configILj256ELj13ELNS0_17block_load_methodE3ELS4_3ELS4_3ELNS0_20block_scan_algorithmE0ELj4294967295EEENS1_25partition_config_selectorILNS1_17partition_subalgoE3EjNS0_10empty_typeEbEEZZNS1_14partition_implILS8_3ELb0ES6_jNS0_17counting_iteratorIjlEEPS9_SE_NS0_5tupleIJPjSE_EEENSF_IJSE_SE_EEES9_SG_JZNS1_25segmented_radix_sort_implINS0_14default_configELb0EPKlPlSM_SN_N2at6native12_GLOBAL__N_18offset_tEEE10hipError_tPvRmT1_PNSt15iterator_traitsISV_E10value_typeET2_T3_PNSW_IS11_E10value_typeET4_jRbjT5_S17_jjP12ihipStream_tbEUljE_EEESS_ST_SU_S11_S15_S17_T6_T7_T9_mT8_S19_bDpT10_ENKUlT_T0_E_clISt17integral_constantIbLb1EES1M_EEDaS1H_S1I_EUlS1H_E_NS1_11comp_targetILNS1_3genE8ELNS1_11target_archE1030ELNS1_3gpuE2ELNS1_3repE0EEENS1_30default_config_static_selectorELNS0_4arch9wavefront6targetE1EEEvSV_
; %bb.0:
	.section	.rodata,"a",@progbits
	.p2align	6, 0x0
	.amdhsa_kernel _ZN7rocprim17ROCPRIM_400000_NS6detail17trampoline_kernelINS0_13select_configILj256ELj13ELNS0_17block_load_methodE3ELS4_3ELS4_3ELNS0_20block_scan_algorithmE0ELj4294967295EEENS1_25partition_config_selectorILNS1_17partition_subalgoE3EjNS0_10empty_typeEbEEZZNS1_14partition_implILS8_3ELb0ES6_jNS0_17counting_iteratorIjlEEPS9_SE_NS0_5tupleIJPjSE_EEENSF_IJSE_SE_EEES9_SG_JZNS1_25segmented_radix_sort_implINS0_14default_configELb0EPKlPlSM_SN_N2at6native12_GLOBAL__N_18offset_tEEE10hipError_tPvRmT1_PNSt15iterator_traitsISV_E10value_typeET2_T3_PNSW_IS11_E10value_typeET4_jRbjT5_S17_jjP12ihipStream_tbEUljE_EEESS_ST_SU_S11_S15_S17_T6_T7_T9_mT8_S19_bDpT10_ENKUlT_T0_E_clISt17integral_constantIbLb1EES1M_EEDaS1H_S1I_EUlS1H_E_NS1_11comp_targetILNS1_3genE8ELNS1_11target_archE1030ELNS1_3gpuE2ELNS1_3repE0EEENS1_30default_config_static_selectorELNS0_4arch9wavefront6targetE1EEEvSV_
		.amdhsa_group_segment_fixed_size 0
		.amdhsa_private_segment_fixed_size 0
		.amdhsa_kernarg_size 152
		.amdhsa_user_sgpr_count 6
		.amdhsa_user_sgpr_private_segment_buffer 1
		.amdhsa_user_sgpr_dispatch_ptr 0
		.amdhsa_user_sgpr_queue_ptr 0
		.amdhsa_user_sgpr_kernarg_segment_ptr 1
		.amdhsa_user_sgpr_dispatch_id 0
		.amdhsa_user_sgpr_flat_scratch_init 0
		.amdhsa_user_sgpr_kernarg_preload_length 0
		.amdhsa_user_sgpr_kernarg_preload_offset 0
		.amdhsa_user_sgpr_private_segment_size 0
		.amdhsa_uses_dynamic_stack 0
		.amdhsa_system_sgpr_private_segment_wavefront_offset 0
		.amdhsa_system_sgpr_workgroup_id_x 1
		.amdhsa_system_sgpr_workgroup_id_y 0
		.amdhsa_system_sgpr_workgroup_id_z 0
		.amdhsa_system_sgpr_workgroup_info 0
		.amdhsa_system_vgpr_workitem_id 0
		.amdhsa_next_free_vgpr 1
		.amdhsa_next_free_sgpr 0
		.amdhsa_accum_offset 4
		.amdhsa_reserve_vcc 0
		.amdhsa_reserve_flat_scratch 0
		.amdhsa_float_round_mode_32 0
		.amdhsa_float_round_mode_16_64 0
		.amdhsa_float_denorm_mode_32 3
		.amdhsa_float_denorm_mode_16_64 3
		.amdhsa_dx10_clamp 1
		.amdhsa_ieee_mode 1
		.amdhsa_fp16_overflow 0
		.amdhsa_tg_split 0
		.amdhsa_exception_fp_ieee_invalid_op 0
		.amdhsa_exception_fp_denorm_src 0
		.amdhsa_exception_fp_ieee_div_zero 0
		.amdhsa_exception_fp_ieee_overflow 0
		.amdhsa_exception_fp_ieee_underflow 0
		.amdhsa_exception_fp_ieee_inexact 0
		.amdhsa_exception_int_div_zero 0
	.end_amdhsa_kernel
	.section	.text._ZN7rocprim17ROCPRIM_400000_NS6detail17trampoline_kernelINS0_13select_configILj256ELj13ELNS0_17block_load_methodE3ELS4_3ELS4_3ELNS0_20block_scan_algorithmE0ELj4294967295EEENS1_25partition_config_selectorILNS1_17partition_subalgoE3EjNS0_10empty_typeEbEEZZNS1_14partition_implILS8_3ELb0ES6_jNS0_17counting_iteratorIjlEEPS9_SE_NS0_5tupleIJPjSE_EEENSF_IJSE_SE_EEES9_SG_JZNS1_25segmented_radix_sort_implINS0_14default_configELb0EPKlPlSM_SN_N2at6native12_GLOBAL__N_18offset_tEEE10hipError_tPvRmT1_PNSt15iterator_traitsISV_E10value_typeET2_T3_PNSW_IS11_E10value_typeET4_jRbjT5_S17_jjP12ihipStream_tbEUljE_EEESS_ST_SU_S11_S15_S17_T6_T7_T9_mT8_S19_bDpT10_ENKUlT_T0_E_clISt17integral_constantIbLb1EES1M_EEDaS1H_S1I_EUlS1H_E_NS1_11comp_targetILNS1_3genE8ELNS1_11target_archE1030ELNS1_3gpuE2ELNS1_3repE0EEENS1_30default_config_static_selectorELNS0_4arch9wavefront6targetE1EEEvSV_,"axG",@progbits,_ZN7rocprim17ROCPRIM_400000_NS6detail17trampoline_kernelINS0_13select_configILj256ELj13ELNS0_17block_load_methodE3ELS4_3ELS4_3ELNS0_20block_scan_algorithmE0ELj4294967295EEENS1_25partition_config_selectorILNS1_17partition_subalgoE3EjNS0_10empty_typeEbEEZZNS1_14partition_implILS8_3ELb0ES6_jNS0_17counting_iteratorIjlEEPS9_SE_NS0_5tupleIJPjSE_EEENSF_IJSE_SE_EEES9_SG_JZNS1_25segmented_radix_sort_implINS0_14default_configELb0EPKlPlSM_SN_N2at6native12_GLOBAL__N_18offset_tEEE10hipError_tPvRmT1_PNSt15iterator_traitsISV_E10value_typeET2_T3_PNSW_IS11_E10value_typeET4_jRbjT5_S17_jjP12ihipStream_tbEUljE_EEESS_ST_SU_S11_S15_S17_T6_T7_T9_mT8_S19_bDpT10_ENKUlT_T0_E_clISt17integral_constantIbLb1EES1M_EEDaS1H_S1I_EUlS1H_E_NS1_11comp_targetILNS1_3genE8ELNS1_11target_archE1030ELNS1_3gpuE2ELNS1_3repE0EEENS1_30default_config_static_selectorELNS0_4arch9wavefront6targetE1EEEvSV_,comdat
.Lfunc_end790:
	.size	_ZN7rocprim17ROCPRIM_400000_NS6detail17trampoline_kernelINS0_13select_configILj256ELj13ELNS0_17block_load_methodE3ELS4_3ELS4_3ELNS0_20block_scan_algorithmE0ELj4294967295EEENS1_25partition_config_selectorILNS1_17partition_subalgoE3EjNS0_10empty_typeEbEEZZNS1_14partition_implILS8_3ELb0ES6_jNS0_17counting_iteratorIjlEEPS9_SE_NS0_5tupleIJPjSE_EEENSF_IJSE_SE_EEES9_SG_JZNS1_25segmented_radix_sort_implINS0_14default_configELb0EPKlPlSM_SN_N2at6native12_GLOBAL__N_18offset_tEEE10hipError_tPvRmT1_PNSt15iterator_traitsISV_E10value_typeET2_T3_PNSW_IS11_E10value_typeET4_jRbjT5_S17_jjP12ihipStream_tbEUljE_EEESS_ST_SU_S11_S15_S17_T6_T7_T9_mT8_S19_bDpT10_ENKUlT_T0_E_clISt17integral_constantIbLb1EES1M_EEDaS1H_S1I_EUlS1H_E_NS1_11comp_targetILNS1_3genE8ELNS1_11target_archE1030ELNS1_3gpuE2ELNS1_3repE0EEENS1_30default_config_static_selectorELNS0_4arch9wavefront6targetE1EEEvSV_, .Lfunc_end790-_ZN7rocprim17ROCPRIM_400000_NS6detail17trampoline_kernelINS0_13select_configILj256ELj13ELNS0_17block_load_methodE3ELS4_3ELS4_3ELNS0_20block_scan_algorithmE0ELj4294967295EEENS1_25partition_config_selectorILNS1_17partition_subalgoE3EjNS0_10empty_typeEbEEZZNS1_14partition_implILS8_3ELb0ES6_jNS0_17counting_iteratorIjlEEPS9_SE_NS0_5tupleIJPjSE_EEENSF_IJSE_SE_EEES9_SG_JZNS1_25segmented_radix_sort_implINS0_14default_configELb0EPKlPlSM_SN_N2at6native12_GLOBAL__N_18offset_tEEE10hipError_tPvRmT1_PNSt15iterator_traitsISV_E10value_typeET2_T3_PNSW_IS11_E10value_typeET4_jRbjT5_S17_jjP12ihipStream_tbEUljE_EEESS_ST_SU_S11_S15_S17_T6_T7_T9_mT8_S19_bDpT10_ENKUlT_T0_E_clISt17integral_constantIbLb1EES1M_EEDaS1H_S1I_EUlS1H_E_NS1_11comp_targetILNS1_3genE8ELNS1_11target_archE1030ELNS1_3gpuE2ELNS1_3repE0EEENS1_30default_config_static_selectorELNS0_4arch9wavefront6targetE1EEEvSV_
                                        ; -- End function
	.section	.AMDGPU.csdata,"",@progbits
; Kernel info:
; codeLenInByte = 0
; NumSgprs: 4
; NumVgprs: 0
; NumAgprs: 0
; TotalNumVgprs: 0
; ScratchSize: 0
; MemoryBound: 0
; FloatMode: 240
; IeeeMode: 1
; LDSByteSize: 0 bytes/workgroup (compile time only)
; SGPRBlocks: 0
; VGPRBlocks: 0
; NumSGPRsForWavesPerEU: 4
; NumVGPRsForWavesPerEU: 1
; AccumOffset: 4
; Occupancy: 8
; WaveLimiterHint : 0
; COMPUTE_PGM_RSRC2:SCRATCH_EN: 0
; COMPUTE_PGM_RSRC2:USER_SGPR: 6
; COMPUTE_PGM_RSRC2:TRAP_HANDLER: 0
; COMPUTE_PGM_RSRC2:TGID_X_EN: 1
; COMPUTE_PGM_RSRC2:TGID_Y_EN: 0
; COMPUTE_PGM_RSRC2:TGID_Z_EN: 0
; COMPUTE_PGM_RSRC2:TIDIG_COMP_CNT: 0
; COMPUTE_PGM_RSRC3_GFX90A:ACCUM_OFFSET: 0
; COMPUTE_PGM_RSRC3_GFX90A:TG_SPLIT: 0
	.section	.text._ZN7rocprim17ROCPRIM_400000_NS6detail17trampoline_kernelINS0_13select_configILj256ELj13ELNS0_17block_load_methodE3ELS4_3ELS4_3ELNS0_20block_scan_algorithmE0ELj4294967295EEENS1_25partition_config_selectorILNS1_17partition_subalgoE3EjNS0_10empty_typeEbEEZZNS1_14partition_implILS8_3ELb0ES6_jNS0_17counting_iteratorIjlEEPS9_SE_NS0_5tupleIJPjSE_EEENSF_IJSE_SE_EEES9_SG_JZNS1_25segmented_radix_sort_implINS0_14default_configELb0EPKlPlSM_SN_N2at6native12_GLOBAL__N_18offset_tEEE10hipError_tPvRmT1_PNSt15iterator_traitsISV_E10value_typeET2_T3_PNSW_IS11_E10value_typeET4_jRbjT5_S17_jjP12ihipStream_tbEUljE_EEESS_ST_SU_S11_S15_S17_T6_T7_T9_mT8_S19_bDpT10_ENKUlT_T0_E_clISt17integral_constantIbLb1EES1L_IbLb0EEEEDaS1H_S1I_EUlS1H_E_NS1_11comp_targetILNS1_3genE0ELNS1_11target_archE4294967295ELNS1_3gpuE0ELNS1_3repE0EEENS1_30default_config_static_selectorELNS0_4arch9wavefront6targetE1EEEvSV_,"axG",@progbits,_ZN7rocprim17ROCPRIM_400000_NS6detail17trampoline_kernelINS0_13select_configILj256ELj13ELNS0_17block_load_methodE3ELS4_3ELS4_3ELNS0_20block_scan_algorithmE0ELj4294967295EEENS1_25partition_config_selectorILNS1_17partition_subalgoE3EjNS0_10empty_typeEbEEZZNS1_14partition_implILS8_3ELb0ES6_jNS0_17counting_iteratorIjlEEPS9_SE_NS0_5tupleIJPjSE_EEENSF_IJSE_SE_EEES9_SG_JZNS1_25segmented_radix_sort_implINS0_14default_configELb0EPKlPlSM_SN_N2at6native12_GLOBAL__N_18offset_tEEE10hipError_tPvRmT1_PNSt15iterator_traitsISV_E10value_typeET2_T3_PNSW_IS11_E10value_typeET4_jRbjT5_S17_jjP12ihipStream_tbEUljE_EEESS_ST_SU_S11_S15_S17_T6_T7_T9_mT8_S19_bDpT10_ENKUlT_T0_E_clISt17integral_constantIbLb1EES1L_IbLb0EEEEDaS1H_S1I_EUlS1H_E_NS1_11comp_targetILNS1_3genE0ELNS1_11target_archE4294967295ELNS1_3gpuE0ELNS1_3repE0EEENS1_30default_config_static_selectorELNS0_4arch9wavefront6targetE1EEEvSV_,comdat
	.globl	_ZN7rocprim17ROCPRIM_400000_NS6detail17trampoline_kernelINS0_13select_configILj256ELj13ELNS0_17block_load_methodE3ELS4_3ELS4_3ELNS0_20block_scan_algorithmE0ELj4294967295EEENS1_25partition_config_selectorILNS1_17partition_subalgoE3EjNS0_10empty_typeEbEEZZNS1_14partition_implILS8_3ELb0ES6_jNS0_17counting_iteratorIjlEEPS9_SE_NS0_5tupleIJPjSE_EEENSF_IJSE_SE_EEES9_SG_JZNS1_25segmented_radix_sort_implINS0_14default_configELb0EPKlPlSM_SN_N2at6native12_GLOBAL__N_18offset_tEEE10hipError_tPvRmT1_PNSt15iterator_traitsISV_E10value_typeET2_T3_PNSW_IS11_E10value_typeET4_jRbjT5_S17_jjP12ihipStream_tbEUljE_EEESS_ST_SU_S11_S15_S17_T6_T7_T9_mT8_S19_bDpT10_ENKUlT_T0_E_clISt17integral_constantIbLb1EES1L_IbLb0EEEEDaS1H_S1I_EUlS1H_E_NS1_11comp_targetILNS1_3genE0ELNS1_11target_archE4294967295ELNS1_3gpuE0ELNS1_3repE0EEENS1_30default_config_static_selectorELNS0_4arch9wavefront6targetE1EEEvSV_ ; -- Begin function _ZN7rocprim17ROCPRIM_400000_NS6detail17trampoline_kernelINS0_13select_configILj256ELj13ELNS0_17block_load_methodE3ELS4_3ELS4_3ELNS0_20block_scan_algorithmE0ELj4294967295EEENS1_25partition_config_selectorILNS1_17partition_subalgoE3EjNS0_10empty_typeEbEEZZNS1_14partition_implILS8_3ELb0ES6_jNS0_17counting_iteratorIjlEEPS9_SE_NS0_5tupleIJPjSE_EEENSF_IJSE_SE_EEES9_SG_JZNS1_25segmented_radix_sort_implINS0_14default_configELb0EPKlPlSM_SN_N2at6native12_GLOBAL__N_18offset_tEEE10hipError_tPvRmT1_PNSt15iterator_traitsISV_E10value_typeET2_T3_PNSW_IS11_E10value_typeET4_jRbjT5_S17_jjP12ihipStream_tbEUljE_EEESS_ST_SU_S11_S15_S17_T6_T7_T9_mT8_S19_bDpT10_ENKUlT_T0_E_clISt17integral_constantIbLb1EES1L_IbLb0EEEEDaS1H_S1I_EUlS1H_E_NS1_11comp_targetILNS1_3genE0ELNS1_11target_archE4294967295ELNS1_3gpuE0ELNS1_3repE0EEENS1_30default_config_static_selectorELNS0_4arch9wavefront6targetE1EEEvSV_
	.p2align	8
	.type	_ZN7rocprim17ROCPRIM_400000_NS6detail17trampoline_kernelINS0_13select_configILj256ELj13ELNS0_17block_load_methodE3ELS4_3ELS4_3ELNS0_20block_scan_algorithmE0ELj4294967295EEENS1_25partition_config_selectorILNS1_17partition_subalgoE3EjNS0_10empty_typeEbEEZZNS1_14partition_implILS8_3ELb0ES6_jNS0_17counting_iteratorIjlEEPS9_SE_NS0_5tupleIJPjSE_EEENSF_IJSE_SE_EEES9_SG_JZNS1_25segmented_radix_sort_implINS0_14default_configELb0EPKlPlSM_SN_N2at6native12_GLOBAL__N_18offset_tEEE10hipError_tPvRmT1_PNSt15iterator_traitsISV_E10value_typeET2_T3_PNSW_IS11_E10value_typeET4_jRbjT5_S17_jjP12ihipStream_tbEUljE_EEESS_ST_SU_S11_S15_S17_T6_T7_T9_mT8_S19_bDpT10_ENKUlT_T0_E_clISt17integral_constantIbLb1EES1L_IbLb0EEEEDaS1H_S1I_EUlS1H_E_NS1_11comp_targetILNS1_3genE0ELNS1_11target_archE4294967295ELNS1_3gpuE0ELNS1_3repE0EEENS1_30default_config_static_selectorELNS0_4arch9wavefront6targetE1EEEvSV_,@function
_ZN7rocprim17ROCPRIM_400000_NS6detail17trampoline_kernelINS0_13select_configILj256ELj13ELNS0_17block_load_methodE3ELS4_3ELS4_3ELNS0_20block_scan_algorithmE0ELj4294967295EEENS1_25partition_config_selectorILNS1_17partition_subalgoE3EjNS0_10empty_typeEbEEZZNS1_14partition_implILS8_3ELb0ES6_jNS0_17counting_iteratorIjlEEPS9_SE_NS0_5tupleIJPjSE_EEENSF_IJSE_SE_EEES9_SG_JZNS1_25segmented_radix_sort_implINS0_14default_configELb0EPKlPlSM_SN_N2at6native12_GLOBAL__N_18offset_tEEE10hipError_tPvRmT1_PNSt15iterator_traitsISV_E10value_typeET2_T3_PNSW_IS11_E10value_typeET4_jRbjT5_S17_jjP12ihipStream_tbEUljE_EEESS_ST_SU_S11_S15_S17_T6_T7_T9_mT8_S19_bDpT10_ENKUlT_T0_E_clISt17integral_constantIbLb1EES1L_IbLb0EEEEDaS1H_S1I_EUlS1H_E_NS1_11comp_targetILNS1_3genE0ELNS1_11target_archE4294967295ELNS1_3gpuE0ELNS1_3repE0EEENS1_30default_config_static_selectorELNS0_4arch9wavefront6targetE1EEEvSV_: ; @_ZN7rocprim17ROCPRIM_400000_NS6detail17trampoline_kernelINS0_13select_configILj256ELj13ELNS0_17block_load_methodE3ELS4_3ELS4_3ELNS0_20block_scan_algorithmE0ELj4294967295EEENS1_25partition_config_selectorILNS1_17partition_subalgoE3EjNS0_10empty_typeEbEEZZNS1_14partition_implILS8_3ELb0ES6_jNS0_17counting_iteratorIjlEEPS9_SE_NS0_5tupleIJPjSE_EEENSF_IJSE_SE_EEES9_SG_JZNS1_25segmented_radix_sort_implINS0_14default_configELb0EPKlPlSM_SN_N2at6native12_GLOBAL__N_18offset_tEEE10hipError_tPvRmT1_PNSt15iterator_traitsISV_E10value_typeET2_T3_PNSW_IS11_E10value_typeET4_jRbjT5_S17_jjP12ihipStream_tbEUljE_EEESS_ST_SU_S11_S15_S17_T6_T7_T9_mT8_S19_bDpT10_ENKUlT_T0_E_clISt17integral_constantIbLb1EES1L_IbLb0EEEEDaS1H_S1I_EUlS1H_E_NS1_11comp_targetILNS1_3genE0ELNS1_11target_archE4294967295ELNS1_3gpuE0ELNS1_3repE0EEENS1_30default_config_static_selectorELNS0_4arch9wavefront6targetE1EEEvSV_
; %bb.0:
	.section	.rodata,"a",@progbits
	.p2align	6, 0x0
	.amdhsa_kernel _ZN7rocprim17ROCPRIM_400000_NS6detail17trampoline_kernelINS0_13select_configILj256ELj13ELNS0_17block_load_methodE3ELS4_3ELS4_3ELNS0_20block_scan_algorithmE0ELj4294967295EEENS1_25partition_config_selectorILNS1_17partition_subalgoE3EjNS0_10empty_typeEbEEZZNS1_14partition_implILS8_3ELb0ES6_jNS0_17counting_iteratorIjlEEPS9_SE_NS0_5tupleIJPjSE_EEENSF_IJSE_SE_EEES9_SG_JZNS1_25segmented_radix_sort_implINS0_14default_configELb0EPKlPlSM_SN_N2at6native12_GLOBAL__N_18offset_tEEE10hipError_tPvRmT1_PNSt15iterator_traitsISV_E10value_typeET2_T3_PNSW_IS11_E10value_typeET4_jRbjT5_S17_jjP12ihipStream_tbEUljE_EEESS_ST_SU_S11_S15_S17_T6_T7_T9_mT8_S19_bDpT10_ENKUlT_T0_E_clISt17integral_constantIbLb1EES1L_IbLb0EEEEDaS1H_S1I_EUlS1H_E_NS1_11comp_targetILNS1_3genE0ELNS1_11target_archE4294967295ELNS1_3gpuE0ELNS1_3repE0EEENS1_30default_config_static_selectorELNS0_4arch9wavefront6targetE1EEEvSV_
		.amdhsa_group_segment_fixed_size 0
		.amdhsa_private_segment_fixed_size 0
		.amdhsa_kernarg_size 144
		.amdhsa_user_sgpr_count 6
		.amdhsa_user_sgpr_private_segment_buffer 1
		.amdhsa_user_sgpr_dispatch_ptr 0
		.amdhsa_user_sgpr_queue_ptr 0
		.amdhsa_user_sgpr_kernarg_segment_ptr 1
		.amdhsa_user_sgpr_dispatch_id 0
		.amdhsa_user_sgpr_flat_scratch_init 0
		.amdhsa_user_sgpr_kernarg_preload_length 0
		.amdhsa_user_sgpr_kernarg_preload_offset 0
		.amdhsa_user_sgpr_private_segment_size 0
		.amdhsa_uses_dynamic_stack 0
		.amdhsa_system_sgpr_private_segment_wavefront_offset 0
		.amdhsa_system_sgpr_workgroup_id_x 1
		.amdhsa_system_sgpr_workgroup_id_y 0
		.amdhsa_system_sgpr_workgroup_id_z 0
		.amdhsa_system_sgpr_workgroup_info 0
		.amdhsa_system_vgpr_workitem_id 0
		.amdhsa_next_free_vgpr 1
		.amdhsa_next_free_sgpr 0
		.amdhsa_accum_offset 4
		.amdhsa_reserve_vcc 0
		.amdhsa_reserve_flat_scratch 0
		.amdhsa_float_round_mode_32 0
		.amdhsa_float_round_mode_16_64 0
		.amdhsa_float_denorm_mode_32 3
		.amdhsa_float_denorm_mode_16_64 3
		.amdhsa_dx10_clamp 1
		.amdhsa_ieee_mode 1
		.amdhsa_fp16_overflow 0
		.amdhsa_tg_split 0
		.amdhsa_exception_fp_ieee_invalid_op 0
		.amdhsa_exception_fp_denorm_src 0
		.amdhsa_exception_fp_ieee_div_zero 0
		.amdhsa_exception_fp_ieee_overflow 0
		.amdhsa_exception_fp_ieee_underflow 0
		.amdhsa_exception_fp_ieee_inexact 0
		.amdhsa_exception_int_div_zero 0
	.end_amdhsa_kernel
	.section	.text._ZN7rocprim17ROCPRIM_400000_NS6detail17trampoline_kernelINS0_13select_configILj256ELj13ELNS0_17block_load_methodE3ELS4_3ELS4_3ELNS0_20block_scan_algorithmE0ELj4294967295EEENS1_25partition_config_selectorILNS1_17partition_subalgoE3EjNS0_10empty_typeEbEEZZNS1_14partition_implILS8_3ELb0ES6_jNS0_17counting_iteratorIjlEEPS9_SE_NS0_5tupleIJPjSE_EEENSF_IJSE_SE_EEES9_SG_JZNS1_25segmented_radix_sort_implINS0_14default_configELb0EPKlPlSM_SN_N2at6native12_GLOBAL__N_18offset_tEEE10hipError_tPvRmT1_PNSt15iterator_traitsISV_E10value_typeET2_T3_PNSW_IS11_E10value_typeET4_jRbjT5_S17_jjP12ihipStream_tbEUljE_EEESS_ST_SU_S11_S15_S17_T6_T7_T9_mT8_S19_bDpT10_ENKUlT_T0_E_clISt17integral_constantIbLb1EES1L_IbLb0EEEEDaS1H_S1I_EUlS1H_E_NS1_11comp_targetILNS1_3genE0ELNS1_11target_archE4294967295ELNS1_3gpuE0ELNS1_3repE0EEENS1_30default_config_static_selectorELNS0_4arch9wavefront6targetE1EEEvSV_,"axG",@progbits,_ZN7rocprim17ROCPRIM_400000_NS6detail17trampoline_kernelINS0_13select_configILj256ELj13ELNS0_17block_load_methodE3ELS4_3ELS4_3ELNS0_20block_scan_algorithmE0ELj4294967295EEENS1_25partition_config_selectorILNS1_17partition_subalgoE3EjNS0_10empty_typeEbEEZZNS1_14partition_implILS8_3ELb0ES6_jNS0_17counting_iteratorIjlEEPS9_SE_NS0_5tupleIJPjSE_EEENSF_IJSE_SE_EEES9_SG_JZNS1_25segmented_radix_sort_implINS0_14default_configELb0EPKlPlSM_SN_N2at6native12_GLOBAL__N_18offset_tEEE10hipError_tPvRmT1_PNSt15iterator_traitsISV_E10value_typeET2_T3_PNSW_IS11_E10value_typeET4_jRbjT5_S17_jjP12ihipStream_tbEUljE_EEESS_ST_SU_S11_S15_S17_T6_T7_T9_mT8_S19_bDpT10_ENKUlT_T0_E_clISt17integral_constantIbLb1EES1L_IbLb0EEEEDaS1H_S1I_EUlS1H_E_NS1_11comp_targetILNS1_3genE0ELNS1_11target_archE4294967295ELNS1_3gpuE0ELNS1_3repE0EEENS1_30default_config_static_selectorELNS0_4arch9wavefront6targetE1EEEvSV_,comdat
.Lfunc_end791:
	.size	_ZN7rocprim17ROCPRIM_400000_NS6detail17trampoline_kernelINS0_13select_configILj256ELj13ELNS0_17block_load_methodE3ELS4_3ELS4_3ELNS0_20block_scan_algorithmE0ELj4294967295EEENS1_25partition_config_selectorILNS1_17partition_subalgoE3EjNS0_10empty_typeEbEEZZNS1_14partition_implILS8_3ELb0ES6_jNS0_17counting_iteratorIjlEEPS9_SE_NS0_5tupleIJPjSE_EEENSF_IJSE_SE_EEES9_SG_JZNS1_25segmented_radix_sort_implINS0_14default_configELb0EPKlPlSM_SN_N2at6native12_GLOBAL__N_18offset_tEEE10hipError_tPvRmT1_PNSt15iterator_traitsISV_E10value_typeET2_T3_PNSW_IS11_E10value_typeET4_jRbjT5_S17_jjP12ihipStream_tbEUljE_EEESS_ST_SU_S11_S15_S17_T6_T7_T9_mT8_S19_bDpT10_ENKUlT_T0_E_clISt17integral_constantIbLb1EES1L_IbLb0EEEEDaS1H_S1I_EUlS1H_E_NS1_11comp_targetILNS1_3genE0ELNS1_11target_archE4294967295ELNS1_3gpuE0ELNS1_3repE0EEENS1_30default_config_static_selectorELNS0_4arch9wavefront6targetE1EEEvSV_, .Lfunc_end791-_ZN7rocprim17ROCPRIM_400000_NS6detail17trampoline_kernelINS0_13select_configILj256ELj13ELNS0_17block_load_methodE3ELS4_3ELS4_3ELNS0_20block_scan_algorithmE0ELj4294967295EEENS1_25partition_config_selectorILNS1_17partition_subalgoE3EjNS0_10empty_typeEbEEZZNS1_14partition_implILS8_3ELb0ES6_jNS0_17counting_iteratorIjlEEPS9_SE_NS0_5tupleIJPjSE_EEENSF_IJSE_SE_EEES9_SG_JZNS1_25segmented_radix_sort_implINS0_14default_configELb0EPKlPlSM_SN_N2at6native12_GLOBAL__N_18offset_tEEE10hipError_tPvRmT1_PNSt15iterator_traitsISV_E10value_typeET2_T3_PNSW_IS11_E10value_typeET4_jRbjT5_S17_jjP12ihipStream_tbEUljE_EEESS_ST_SU_S11_S15_S17_T6_T7_T9_mT8_S19_bDpT10_ENKUlT_T0_E_clISt17integral_constantIbLb1EES1L_IbLb0EEEEDaS1H_S1I_EUlS1H_E_NS1_11comp_targetILNS1_3genE0ELNS1_11target_archE4294967295ELNS1_3gpuE0ELNS1_3repE0EEENS1_30default_config_static_selectorELNS0_4arch9wavefront6targetE1EEEvSV_
                                        ; -- End function
	.section	.AMDGPU.csdata,"",@progbits
; Kernel info:
; codeLenInByte = 0
; NumSgprs: 4
; NumVgprs: 0
; NumAgprs: 0
; TotalNumVgprs: 0
; ScratchSize: 0
; MemoryBound: 0
; FloatMode: 240
; IeeeMode: 1
; LDSByteSize: 0 bytes/workgroup (compile time only)
; SGPRBlocks: 0
; VGPRBlocks: 0
; NumSGPRsForWavesPerEU: 4
; NumVGPRsForWavesPerEU: 1
; AccumOffset: 4
; Occupancy: 8
; WaveLimiterHint : 0
; COMPUTE_PGM_RSRC2:SCRATCH_EN: 0
; COMPUTE_PGM_RSRC2:USER_SGPR: 6
; COMPUTE_PGM_RSRC2:TRAP_HANDLER: 0
; COMPUTE_PGM_RSRC2:TGID_X_EN: 1
; COMPUTE_PGM_RSRC2:TGID_Y_EN: 0
; COMPUTE_PGM_RSRC2:TGID_Z_EN: 0
; COMPUTE_PGM_RSRC2:TIDIG_COMP_CNT: 0
; COMPUTE_PGM_RSRC3_GFX90A:ACCUM_OFFSET: 0
; COMPUTE_PGM_RSRC3_GFX90A:TG_SPLIT: 0
	.section	.text._ZN7rocprim17ROCPRIM_400000_NS6detail17trampoline_kernelINS0_13select_configILj256ELj13ELNS0_17block_load_methodE3ELS4_3ELS4_3ELNS0_20block_scan_algorithmE0ELj4294967295EEENS1_25partition_config_selectorILNS1_17partition_subalgoE3EjNS0_10empty_typeEbEEZZNS1_14partition_implILS8_3ELb0ES6_jNS0_17counting_iteratorIjlEEPS9_SE_NS0_5tupleIJPjSE_EEENSF_IJSE_SE_EEES9_SG_JZNS1_25segmented_radix_sort_implINS0_14default_configELb0EPKlPlSM_SN_N2at6native12_GLOBAL__N_18offset_tEEE10hipError_tPvRmT1_PNSt15iterator_traitsISV_E10value_typeET2_T3_PNSW_IS11_E10value_typeET4_jRbjT5_S17_jjP12ihipStream_tbEUljE_EEESS_ST_SU_S11_S15_S17_T6_T7_T9_mT8_S19_bDpT10_ENKUlT_T0_E_clISt17integral_constantIbLb1EES1L_IbLb0EEEEDaS1H_S1I_EUlS1H_E_NS1_11comp_targetILNS1_3genE5ELNS1_11target_archE942ELNS1_3gpuE9ELNS1_3repE0EEENS1_30default_config_static_selectorELNS0_4arch9wavefront6targetE1EEEvSV_,"axG",@progbits,_ZN7rocprim17ROCPRIM_400000_NS6detail17trampoline_kernelINS0_13select_configILj256ELj13ELNS0_17block_load_methodE3ELS4_3ELS4_3ELNS0_20block_scan_algorithmE0ELj4294967295EEENS1_25partition_config_selectorILNS1_17partition_subalgoE3EjNS0_10empty_typeEbEEZZNS1_14partition_implILS8_3ELb0ES6_jNS0_17counting_iteratorIjlEEPS9_SE_NS0_5tupleIJPjSE_EEENSF_IJSE_SE_EEES9_SG_JZNS1_25segmented_radix_sort_implINS0_14default_configELb0EPKlPlSM_SN_N2at6native12_GLOBAL__N_18offset_tEEE10hipError_tPvRmT1_PNSt15iterator_traitsISV_E10value_typeET2_T3_PNSW_IS11_E10value_typeET4_jRbjT5_S17_jjP12ihipStream_tbEUljE_EEESS_ST_SU_S11_S15_S17_T6_T7_T9_mT8_S19_bDpT10_ENKUlT_T0_E_clISt17integral_constantIbLb1EES1L_IbLb0EEEEDaS1H_S1I_EUlS1H_E_NS1_11comp_targetILNS1_3genE5ELNS1_11target_archE942ELNS1_3gpuE9ELNS1_3repE0EEENS1_30default_config_static_selectorELNS0_4arch9wavefront6targetE1EEEvSV_,comdat
	.globl	_ZN7rocprim17ROCPRIM_400000_NS6detail17trampoline_kernelINS0_13select_configILj256ELj13ELNS0_17block_load_methodE3ELS4_3ELS4_3ELNS0_20block_scan_algorithmE0ELj4294967295EEENS1_25partition_config_selectorILNS1_17partition_subalgoE3EjNS0_10empty_typeEbEEZZNS1_14partition_implILS8_3ELb0ES6_jNS0_17counting_iteratorIjlEEPS9_SE_NS0_5tupleIJPjSE_EEENSF_IJSE_SE_EEES9_SG_JZNS1_25segmented_radix_sort_implINS0_14default_configELb0EPKlPlSM_SN_N2at6native12_GLOBAL__N_18offset_tEEE10hipError_tPvRmT1_PNSt15iterator_traitsISV_E10value_typeET2_T3_PNSW_IS11_E10value_typeET4_jRbjT5_S17_jjP12ihipStream_tbEUljE_EEESS_ST_SU_S11_S15_S17_T6_T7_T9_mT8_S19_bDpT10_ENKUlT_T0_E_clISt17integral_constantIbLb1EES1L_IbLb0EEEEDaS1H_S1I_EUlS1H_E_NS1_11comp_targetILNS1_3genE5ELNS1_11target_archE942ELNS1_3gpuE9ELNS1_3repE0EEENS1_30default_config_static_selectorELNS0_4arch9wavefront6targetE1EEEvSV_ ; -- Begin function _ZN7rocprim17ROCPRIM_400000_NS6detail17trampoline_kernelINS0_13select_configILj256ELj13ELNS0_17block_load_methodE3ELS4_3ELS4_3ELNS0_20block_scan_algorithmE0ELj4294967295EEENS1_25partition_config_selectorILNS1_17partition_subalgoE3EjNS0_10empty_typeEbEEZZNS1_14partition_implILS8_3ELb0ES6_jNS0_17counting_iteratorIjlEEPS9_SE_NS0_5tupleIJPjSE_EEENSF_IJSE_SE_EEES9_SG_JZNS1_25segmented_radix_sort_implINS0_14default_configELb0EPKlPlSM_SN_N2at6native12_GLOBAL__N_18offset_tEEE10hipError_tPvRmT1_PNSt15iterator_traitsISV_E10value_typeET2_T3_PNSW_IS11_E10value_typeET4_jRbjT5_S17_jjP12ihipStream_tbEUljE_EEESS_ST_SU_S11_S15_S17_T6_T7_T9_mT8_S19_bDpT10_ENKUlT_T0_E_clISt17integral_constantIbLb1EES1L_IbLb0EEEEDaS1H_S1I_EUlS1H_E_NS1_11comp_targetILNS1_3genE5ELNS1_11target_archE942ELNS1_3gpuE9ELNS1_3repE0EEENS1_30default_config_static_selectorELNS0_4arch9wavefront6targetE1EEEvSV_
	.p2align	8
	.type	_ZN7rocprim17ROCPRIM_400000_NS6detail17trampoline_kernelINS0_13select_configILj256ELj13ELNS0_17block_load_methodE3ELS4_3ELS4_3ELNS0_20block_scan_algorithmE0ELj4294967295EEENS1_25partition_config_selectorILNS1_17partition_subalgoE3EjNS0_10empty_typeEbEEZZNS1_14partition_implILS8_3ELb0ES6_jNS0_17counting_iteratorIjlEEPS9_SE_NS0_5tupleIJPjSE_EEENSF_IJSE_SE_EEES9_SG_JZNS1_25segmented_radix_sort_implINS0_14default_configELb0EPKlPlSM_SN_N2at6native12_GLOBAL__N_18offset_tEEE10hipError_tPvRmT1_PNSt15iterator_traitsISV_E10value_typeET2_T3_PNSW_IS11_E10value_typeET4_jRbjT5_S17_jjP12ihipStream_tbEUljE_EEESS_ST_SU_S11_S15_S17_T6_T7_T9_mT8_S19_bDpT10_ENKUlT_T0_E_clISt17integral_constantIbLb1EES1L_IbLb0EEEEDaS1H_S1I_EUlS1H_E_NS1_11comp_targetILNS1_3genE5ELNS1_11target_archE942ELNS1_3gpuE9ELNS1_3repE0EEENS1_30default_config_static_selectorELNS0_4arch9wavefront6targetE1EEEvSV_,@function
_ZN7rocprim17ROCPRIM_400000_NS6detail17trampoline_kernelINS0_13select_configILj256ELj13ELNS0_17block_load_methodE3ELS4_3ELS4_3ELNS0_20block_scan_algorithmE0ELj4294967295EEENS1_25partition_config_selectorILNS1_17partition_subalgoE3EjNS0_10empty_typeEbEEZZNS1_14partition_implILS8_3ELb0ES6_jNS0_17counting_iteratorIjlEEPS9_SE_NS0_5tupleIJPjSE_EEENSF_IJSE_SE_EEES9_SG_JZNS1_25segmented_radix_sort_implINS0_14default_configELb0EPKlPlSM_SN_N2at6native12_GLOBAL__N_18offset_tEEE10hipError_tPvRmT1_PNSt15iterator_traitsISV_E10value_typeET2_T3_PNSW_IS11_E10value_typeET4_jRbjT5_S17_jjP12ihipStream_tbEUljE_EEESS_ST_SU_S11_S15_S17_T6_T7_T9_mT8_S19_bDpT10_ENKUlT_T0_E_clISt17integral_constantIbLb1EES1L_IbLb0EEEEDaS1H_S1I_EUlS1H_E_NS1_11comp_targetILNS1_3genE5ELNS1_11target_archE942ELNS1_3gpuE9ELNS1_3repE0EEENS1_30default_config_static_selectorELNS0_4arch9wavefront6targetE1EEEvSV_: ; @_ZN7rocprim17ROCPRIM_400000_NS6detail17trampoline_kernelINS0_13select_configILj256ELj13ELNS0_17block_load_methodE3ELS4_3ELS4_3ELNS0_20block_scan_algorithmE0ELj4294967295EEENS1_25partition_config_selectorILNS1_17partition_subalgoE3EjNS0_10empty_typeEbEEZZNS1_14partition_implILS8_3ELb0ES6_jNS0_17counting_iteratorIjlEEPS9_SE_NS0_5tupleIJPjSE_EEENSF_IJSE_SE_EEES9_SG_JZNS1_25segmented_radix_sort_implINS0_14default_configELb0EPKlPlSM_SN_N2at6native12_GLOBAL__N_18offset_tEEE10hipError_tPvRmT1_PNSt15iterator_traitsISV_E10value_typeET2_T3_PNSW_IS11_E10value_typeET4_jRbjT5_S17_jjP12ihipStream_tbEUljE_EEESS_ST_SU_S11_S15_S17_T6_T7_T9_mT8_S19_bDpT10_ENKUlT_T0_E_clISt17integral_constantIbLb1EES1L_IbLb0EEEEDaS1H_S1I_EUlS1H_E_NS1_11comp_targetILNS1_3genE5ELNS1_11target_archE942ELNS1_3gpuE9ELNS1_3repE0EEENS1_30default_config_static_selectorELNS0_4arch9wavefront6targetE1EEEvSV_
; %bb.0:
	.section	.rodata,"a",@progbits
	.p2align	6, 0x0
	.amdhsa_kernel _ZN7rocprim17ROCPRIM_400000_NS6detail17trampoline_kernelINS0_13select_configILj256ELj13ELNS0_17block_load_methodE3ELS4_3ELS4_3ELNS0_20block_scan_algorithmE0ELj4294967295EEENS1_25partition_config_selectorILNS1_17partition_subalgoE3EjNS0_10empty_typeEbEEZZNS1_14partition_implILS8_3ELb0ES6_jNS0_17counting_iteratorIjlEEPS9_SE_NS0_5tupleIJPjSE_EEENSF_IJSE_SE_EEES9_SG_JZNS1_25segmented_radix_sort_implINS0_14default_configELb0EPKlPlSM_SN_N2at6native12_GLOBAL__N_18offset_tEEE10hipError_tPvRmT1_PNSt15iterator_traitsISV_E10value_typeET2_T3_PNSW_IS11_E10value_typeET4_jRbjT5_S17_jjP12ihipStream_tbEUljE_EEESS_ST_SU_S11_S15_S17_T6_T7_T9_mT8_S19_bDpT10_ENKUlT_T0_E_clISt17integral_constantIbLb1EES1L_IbLb0EEEEDaS1H_S1I_EUlS1H_E_NS1_11comp_targetILNS1_3genE5ELNS1_11target_archE942ELNS1_3gpuE9ELNS1_3repE0EEENS1_30default_config_static_selectorELNS0_4arch9wavefront6targetE1EEEvSV_
		.amdhsa_group_segment_fixed_size 0
		.amdhsa_private_segment_fixed_size 0
		.amdhsa_kernarg_size 144
		.amdhsa_user_sgpr_count 6
		.amdhsa_user_sgpr_private_segment_buffer 1
		.amdhsa_user_sgpr_dispatch_ptr 0
		.amdhsa_user_sgpr_queue_ptr 0
		.amdhsa_user_sgpr_kernarg_segment_ptr 1
		.amdhsa_user_sgpr_dispatch_id 0
		.amdhsa_user_sgpr_flat_scratch_init 0
		.amdhsa_user_sgpr_kernarg_preload_length 0
		.amdhsa_user_sgpr_kernarg_preload_offset 0
		.amdhsa_user_sgpr_private_segment_size 0
		.amdhsa_uses_dynamic_stack 0
		.amdhsa_system_sgpr_private_segment_wavefront_offset 0
		.amdhsa_system_sgpr_workgroup_id_x 1
		.amdhsa_system_sgpr_workgroup_id_y 0
		.amdhsa_system_sgpr_workgroup_id_z 0
		.amdhsa_system_sgpr_workgroup_info 0
		.amdhsa_system_vgpr_workitem_id 0
		.amdhsa_next_free_vgpr 1
		.amdhsa_next_free_sgpr 0
		.amdhsa_accum_offset 4
		.amdhsa_reserve_vcc 0
		.amdhsa_reserve_flat_scratch 0
		.amdhsa_float_round_mode_32 0
		.amdhsa_float_round_mode_16_64 0
		.amdhsa_float_denorm_mode_32 3
		.amdhsa_float_denorm_mode_16_64 3
		.amdhsa_dx10_clamp 1
		.amdhsa_ieee_mode 1
		.amdhsa_fp16_overflow 0
		.amdhsa_tg_split 0
		.amdhsa_exception_fp_ieee_invalid_op 0
		.amdhsa_exception_fp_denorm_src 0
		.amdhsa_exception_fp_ieee_div_zero 0
		.amdhsa_exception_fp_ieee_overflow 0
		.amdhsa_exception_fp_ieee_underflow 0
		.amdhsa_exception_fp_ieee_inexact 0
		.amdhsa_exception_int_div_zero 0
	.end_amdhsa_kernel
	.section	.text._ZN7rocprim17ROCPRIM_400000_NS6detail17trampoline_kernelINS0_13select_configILj256ELj13ELNS0_17block_load_methodE3ELS4_3ELS4_3ELNS0_20block_scan_algorithmE0ELj4294967295EEENS1_25partition_config_selectorILNS1_17partition_subalgoE3EjNS0_10empty_typeEbEEZZNS1_14partition_implILS8_3ELb0ES6_jNS0_17counting_iteratorIjlEEPS9_SE_NS0_5tupleIJPjSE_EEENSF_IJSE_SE_EEES9_SG_JZNS1_25segmented_radix_sort_implINS0_14default_configELb0EPKlPlSM_SN_N2at6native12_GLOBAL__N_18offset_tEEE10hipError_tPvRmT1_PNSt15iterator_traitsISV_E10value_typeET2_T3_PNSW_IS11_E10value_typeET4_jRbjT5_S17_jjP12ihipStream_tbEUljE_EEESS_ST_SU_S11_S15_S17_T6_T7_T9_mT8_S19_bDpT10_ENKUlT_T0_E_clISt17integral_constantIbLb1EES1L_IbLb0EEEEDaS1H_S1I_EUlS1H_E_NS1_11comp_targetILNS1_3genE5ELNS1_11target_archE942ELNS1_3gpuE9ELNS1_3repE0EEENS1_30default_config_static_selectorELNS0_4arch9wavefront6targetE1EEEvSV_,"axG",@progbits,_ZN7rocprim17ROCPRIM_400000_NS6detail17trampoline_kernelINS0_13select_configILj256ELj13ELNS0_17block_load_methodE3ELS4_3ELS4_3ELNS0_20block_scan_algorithmE0ELj4294967295EEENS1_25partition_config_selectorILNS1_17partition_subalgoE3EjNS0_10empty_typeEbEEZZNS1_14partition_implILS8_3ELb0ES6_jNS0_17counting_iteratorIjlEEPS9_SE_NS0_5tupleIJPjSE_EEENSF_IJSE_SE_EEES9_SG_JZNS1_25segmented_radix_sort_implINS0_14default_configELb0EPKlPlSM_SN_N2at6native12_GLOBAL__N_18offset_tEEE10hipError_tPvRmT1_PNSt15iterator_traitsISV_E10value_typeET2_T3_PNSW_IS11_E10value_typeET4_jRbjT5_S17_jjP12ihipStream_tbEUljE_EEESS_ST_SU_S11_S15_S17_T6_T7_T9_mT8_S19_bDpT10_ENKUlT_T0_E_clISt17integral_constantIbLb1EES1L_IbLb0EEEEDaS1H_S1I_EUlS1H_E_NS1_11comp_targetILNS1_3genE5ELNS1_11target_archE942ELNS1_3gpuE9ELNS1_3repE0EEENS1_30default_config_static_selectorELNS0_4arch9wavefront6targetE1EEEvSV_,comdat
.Lfunc_end792:
	.size	_ZN7rocprim17ROCPRIM_400000_NS6detail17trampoline_kernelINS0_13select_configILj256ELj13ELNS0_17block_load_methodE3ELS4_3ELS4_3ELNS0_20block_scan_algorithmE0ELj4294967295EEENS1_25partition_config_selectorILNS1_17partition_subalgoE3EjNS0_10empty_typeEbEEZZNS1_14partition_implILS8_3ELb0ES6_jNS0_17counting_iteratorIjlEEPS9_SE_NS0_5tupleIJPjSE_EEENSF_IJSE_SE_EEES9_SG_JZNS1_25segmented_radix_sort_implINS0_14default_configELb0EPKlPlSM_SN_N2at6native12_GLOBAL__N_18offset_tEEE10hipError_tPvRmT1_PNSt15iterator_traitsISV_E10value_typeET2_T3_PNSW_IS11_E10value_typeET4_jRbjT5_S17_jjP12ihipStream_tbEUljE_EEESS_ST_SU_S11_S15_S17_T6_T7_T9_mT8_S19_bDpT10_ENKUlT_T0_E_clISt17integral_constantIbLb1EES1L_IbLb0EEEEDaS1H_S1I_EUlS1H_E_NS1_11comp_targetILNS1_3genE5ELNS1_11target_archE942ELNS1_3gpuE9ELNS1_3repE0EEENS1_30default_config_static_selectorELNS0_4arch9wavefront6targetE1EEEvSV_, .Lfunc_end792-_ZN7rocprim17ROCPRIM_400000_NS6detail17trampoline_kernelINS0_13select_configILj256ELj13ELNS0_17block_load_methodE3ELS4_3ELS4_3ELNS0_20block_scan_algorithmE0ELj4294967295EEENS1_25partition_config_selectorILNS1_17partition_subalgoE3EjNS0_10empty_typeEbEEZZNS1_14partition_implILS8_3ELb0ES6_jNS0_17counting_iteratorIjlEEPS9_SE_NS0_5tupleIJPjSE_EEENSF_IJSE_SE_EEES9_SG_JZNS1_25segmented_radix_sort_implINS0_14default_configELb0EPKlPlSM_SN_N2at6native12_GLOBAL__N_18offset_tEEE10hipError_tPvRmT1_PNSt15iterator_traitsISV_E10value_typeET2_T3_PNSW_IS11_E10value_typeET4_jRbjT5_S17_jjP12ihipStream_tbEUljE_EEESS_ST_SU_S11_S15_S17_T6_T7_T9_mT8_S19_bDpT10_ENKUlT_T0_E_clISt17integral_constantIbLb1EES1L_IbLb0EEEEDaS1H_S1I_EUlS1H_E_NS1_11comp_targetILNS1_3genE5ELNS1_11target_archE942ELNS1_3gpuE9ELNS1_3repE0EEENS1_30default_config_static_selectorELNS0_4arch9wavefront6targetE1EEEvSV_
                                        ; -- End function
	.section	.AMDGPU.csdata,"",@progbits
; Kernel info:
; codeLenInByte = 0
; NumSgprs: 4
; NumVgprs: 0
; NumAgprs: 0
; TotalNumVgprs: 0
; ScratchSize: 0
; MemoryBound: 0
; FloatMode: 240
; IeeeMode: 1
; LDSByteSize: 0 bytes/workgroup (compile time only)
; SGPRBlocks: 0
; VGPRBlocks: 0
; NumSGPRsForWavesPerEU: 4
; NumVGPRsForWavesPerEU: 1
; AccumOffset: 4
; Occupancy: 8
; WaveLimiterHint : 0
; COMPUTE_PGM_RSRC2:SCRATCH_EN: 0
; COMPUTE_PGM_RSRC2:USER_SGPR: 6
; COMPUTE_PGM_RSRC2:TRAP_HANDLER: 0
; COMPUTE_PGM_RSRC2:TGID_X_EN: 1
; COMPUTE_PGM_RSRC2:TGID_Y_EN: 0
; COMPUTE_PGM_RSRC2:TGID_Z_EN: 0
; COMPUTE_PGM_RSRC2:TIDIG_COMP_CNT: 0
; COMPUTE_PGM_RSRC3_GFX90A:ACCUM_OFFSET: 0
; COMPUTE_PGM_RSRC3_GFX90A:TG_SPLIT: 0
	.section	.text._ZN7rocprim17ROCPRIM_400000_NS6detail17trampoline_kernelINS0_13select_configILj256ELj13ELNS0_17block_load_methodE3ELS4_3ELS4_3ELNS0_20block_scan_algorithmE0ELj4294967295EEENS1_25partition_config_selectorILNS1_17partition_subalgoE3EjNS0_10empty_typeEbEEZZNS1_14partition_implILS8_3ELb0ES6_jNS0_17counting_iteratorIjlEEPS9_SE_NS0_5tupleIJPjSE_EEENSF_IJSE_SE_EEES9_SG_JZNS1_25segmented_radix_sort_implINS0_14default_configELb0EPKlPlSM_SN_N2at6native12_GLOBAL__N_18offset_tEEE10hipError_tPvRmT1_PNSt15iterator_traitsISV_E10value_typeET2_T3_PNSW_IS11_E10value_typeET4_jRbjT5_S17_jjP12ihipStream_tbEUljE_EEESS_ST_SU_S11_S15_S17_T6_T7_T9_mT8_S19_bDpT10_ENKUlT_T0_E_clISt17integral_constantIbLb1EES1L_IbLb0EEEEDaS1H_S1I_EUlS1H_E_NS1_11comp_targetILNS1_3genE4ELNS1_11target_archE910ELNS1_3gpuE8ELNS1_3repE0EEENS1_30default_config_static_selectorELNS0_4arch9wavefront6targetE1EEEvSV_,"axG",@progbits,_ZN7rocprim17ROCPRIM_400000_NS6detail17trampoline_kernelINS0_13select_configILj256ELj13ELNS0_17block_load_methodE3ELS4_3ELS4_3ELNS0_20block_scan_algorithmE0ELj4294967295EEENS1_25partition_config_selectorILNS1_17partition_subalgoE3EjNS0_10empty_typeEbEEZZNS1_14partition_implILS8_3ELb0ES6_jNS0_17counting_iteratorIjlEEPS9_SE_NS0_5tupleIJPjSE_EEENSF_IJSE_SE_EEES9_SG_JZNS1_25segmented_radix_sort_implINS0_14default_configELb0EPKlPlSM_SN_N2at6native12_GLOBAL__N_18offset_tEEE10hipError_tPvRmT1_PNSt15iterator_traitsISV_E10value_typeET2_T3_PNSW_IS11_E10value_typeET4_jRbjT5_S17_jjP12ihipStream_tbEUljE_EEESS_ST_SU_S11_S15_S17_T6_T7_T9_mT8_S19_bDpT10_ENKUlT_T0_E_clISt17integral_constantIbLb1EES1L_IbLb0EEEEDaS1H_S1I_EUlS1H_E_NS1_11comp_targetILNS1_3genE4ELNS1_11target_archE910ELNS1_3gpuE8ELNS1_3repE0EEENS1_30default_config_static_selectorELNS0_4arch9wavefront6targetE1EEEvSV_,comdat
	.globl	_ZN7rocprim17ROCPRIM_400000_NS6detail17trampoline_kernelINS0_13select_configILj256ELj13ELNS0_17block_load_methodE3ELS4_3ELS4_3ELNS0_20block_scan_algorithmE0ELj4294967295EEENS1_25partition_config_selectorILNS1_17partition_subalgoE3EjNS0_10empty_typeEbEEZZNS1_14partition_implILS8_3ELb0ES6_jNS0_17counting_iteratorIjlEEPS9_SE_NS0_5tupleIJPjSE_EEENSF_IJSE_SE_EEES9_SG_JZNS1_25segmented_radix_sort_implINS0_14default_configELb0EPKlPlSM_SN_N2at6native12_GLOBAL__N_18offset_tEEE10hipError_tPvRmT1_PNSt15iterator_traitsISV_E10value_typeET2_T3_PNSW_IS11_E10value_typeET4_jRbjT5_S17_jjP12ihipStream_tbEUljE_EEESS_ST_SU_S11_S15_S17_T6_T7_T9_mT8_S19_bDpT10_ENKUlT_T0_E_clISt17integral_constantIbLb1EES1L_IbLb0EEEEDaS1H_S1I_EUlS1H_E_NS1_11comp_targetILNS1_3genE4ELNS1_11target_archE910ELNS1_3gpuE8ELNS1_3repE0EEENS1_30default_config_static_selectorELNS0_4arch9wavefront6targetE1EEEvSV_ ; -- Begin function _ZN7rocprim17ROCPRIM_400000_NS6detail17trampoline_kernelINS0_13select_configILj256ELj13ELNS0_17block_load_methodE3ELS4_3ELS4_3ELNS0_20block_scan_algorithmE0ELj4294967295EEENS1_25partition_config_selectorILNS1_17partition_subalgoE3EjNS0_10empty_typeEbEEZZNS1_14partition_implILS8_3ELb0ES6_jNS0_17counting_iteratorIjlEEPS9_SE_NS0_5tupleIJPjSE_EEENSF_IJSE_SE_EEES9_SG_JZNS1_25segmented_radix_sort_implINS0_14default_configELb0EPKlPlSM_SN_N2at6native12_GLOBAL__N_18offset_tEEE10hipError_tPvRmT1_PNSt15iterator_traitsISV_E10value_typeET2_T3_PNSW_IS11_E10value_typeET4_jRbjT5_S17_jjP12ihipStream_tbEUljE_EEESS_ST_SU_S11_S15_S17_T6_T7_T9_mT8_S19_bDpT10_ENKUlT_T0_E_clISt17integral_constantIbLb1EES1L_IbLb0EEEEDaS1H_S1I_EUlS1H_E_NS1_11comp_targetILNS1_3genE4ELNS1_11target_archE910ELNS1_3gpuE8ELNS1_3repE0EEENS1_30default_config_static_selectorELNS0_4arch9wavefront6targetE1EEEvSV_
	.p2align	8
	.type	_ZN7rocprim17ROCPRIM_400000_NS6detail17trampoline_kernelINS0_13select_configILj256ELj13ELNS0_17block_load_methodE3ELS4_3ELS4_3ELNS0_20block_scan_algorithmE0ELj4294967295EEENS1_25partition_config_selectorILNS1_17partition_subalgoE3EjNS0_10empty_typeEbEEZZNS1_14partition_implILS8_3ELb0ES6_jNS0_17counting_iteratorIjlEEPS9_SE_NS0_5tupleIJPjSE_EEENSF_IJSE_SE_EEES9_SG_JZNS1_25segmented_radix_sort_implINS0_14default_configELb0EPKlPlSM_SN_N2at6native12_GLOBAL__N_18offset_tEEE10hipError_tPvRmT1_PNSt15iterator_traitsISV_E10value_typeET2_T3_PNSW_IS11_E10value_typeET4_jRbjT5_S17_jjP12ihipStream_tbEUljE_EEESS_ST_SU_S11_S15_S17_T6_T7_T9_mT8_S19_bDpT10_ENKUlT_T0_E_clISt17integral_constantIbLb1EES1L_IbLb0EEEEDaS1H_S1I_EUlS1H_E_NS1_11comp_targetILNS1_3genE4ELNS1_11target_archE910ELNS1_3gpuE8ELNS1_3repE0EEENS1_30default_config_static_selectorELNS0_4arch9wavefront6targetE1EEEvSV_,@function
_ZN7rocprim17ROCPRIM_400000_NS6detail17trampoline_kernelINS0_13select_configILj256ELj13ELNS0_17block_load_methodE3ELS4_3ELS4_3ELNS0_20block_scan_algorithmE0ELj4294967295EEENS1_25partition_config_selectorILNS1_17partition_subalgoE3EjNS0_10empty_typeEbEEZZNS1_14partition_implILS8_3ELb0ES6_jNS0_17counting_iteratorIjlEEPS9_SE_NS0_5tupleIJPjSE_EEENSF_IJSE_SE_EEES9_SG_JZNS1_25segmented_radix_sort_implINS0_14default_configELb0EPKlPlSM_SN_N2at6native12_GLOBAL__N_18offset_tEEE10hipError_tPvRmT1_PNSt15iterator_traitsISV_E10value_typeET2_T3_PNSW_IS11_E10value_typeET4_jRbjT5_S17_jjP12ihipStream_tbEUljE_EEESS_ST_SU_S11_S15_S17_T6_T7_T9_mT8_S19_bDpT10_ENKUlT_T0_E_clISt17integral_constantIbLb1EES1L_IbLb0EEEEDaS1H_S1I_EUlS1H_E_NS1_11comp_targetILNS1_3genE4ELNS1_11target_archE910ELNS1_3gpuE8ELNS1_3repE0EEENS1_30default_config_static_selectorELNS0_4arch9wavefront6targetE1EEEvSV_: ; @_ZN7rocprim17ROCPRIM_400000_NS6detail17trampoline_kernelINS0_13select_configILj256ELj13ELNS0_17block_load_methodE3ELS4_3ELS4_3ELNS0_20block_scan_algorithmE0ELj4294967295EEENS1_25partition_config_selectorILNS1_17partition_subalgoE3EjNS0_10empty_typeEbEEZZNS1_14partition_implILS8_3ELb0ES6_jNS0_17counting_iteratorIjlEEPS9_SE_NS0_5tupleIJPjSE_EEENSF_IJSE_SE_EEES9_SG_JZNS1_25segmented_radix_sort_implINS0_14default_configELb0EPKlPlSM_SN_N2at6native12_GLOBAL__N_18offset_tEEE10hipError_tPvRmT1_PNSt15iterator_traitsISV_E10value_typeET2_T3_PNSW_IS11_E10value_typeET4_jRbjT5_S17_jjP12ihipStream_tbEUljE_EEESS_ST_SU_S11_S15_S17_T6_T7_T9_mT8_S19_bDpT10_ENKUlT_T0_E_clISt17integral_constantIbLb1EES1L_IbLb0EEEEDaS1H_S1I_EUlS1H_E_NS1_11comp_targetILNS1_3genE4ELNS1_11target_archE910ELNS1_3gpuE8ELNS1_3repE0EEENS1_30default_config_static_selectorELNS0_4arch9wavefront6targetE1EEEvSV_
; %bb.0:
	s_load_dwordx2 s[26:27], s[4:5], 0x58
	s_load_dwordx4 s[20:23], s[4:5], 0x48
	s_load_dword s13, s[4:5], 0x8
	s_load_dwordx2 s[28:29], s[4:5], 0x10
	s_load_dword s12, s[4:5], 0x70
	s_load_dword s7, s[4:5], 0x88
	s_load_dwordx4 s[8:11], s[4:5], 0x78
	s_waitcnt lgkmcnt(0)
	s_load_dwordx2 s[30:31], s[22:23], 0x0
	v_pk_mov_b32 v[2:3], s[26:27], s[26:27] op_sel:[0,1]
	s_add_i32 s2, s12, -1
	s_mulk_i32 s12, 0xd00
	s_add_u32 s0, s28, s12
	s_addc_u32 s1, s29, 0
	s_cmp_eq_u32 s6, s2
	s_cselect_b64 s[22:23], -1, 0
	s_cmp_lg_u32 s6, s2
	s_mul_i32 s42, s6, 0xd00
	v_cmp_lt_u64_e32 vcc, s[0:1], v[2:3]
	s_cselect_b64 s[0:1], -1, 0
	s_or_b64 s[2:3], s[0:1], vcc
	s_add_i32 s0, s13, s42
	s_add_i32 s0, s0, s28
	v_add_u32_e32 v2, s0, v0
	s_mov_b64 s[0:1], -1
	s_and_b64 vcc, exec, s[2:3]
	v_lshlrev_b32_e32 v1, 2, v0
	s_cbranch_vccz .LBB793_2
; %bb.1:
	v_add_u32_e32 v3, 0x100, v2
	v_add_u32_e32 v4, 0x200, v2
	;; [unrolled: 1-line block ×12, first 2 shown]
	ds_write2st64_b32 v1, v2, v3 offset1:4
	ds_write2st64_b32 v1, v4, v5 offset0:8 offset1:12
	ds_write2st64_b32 v1, v6, v7 offset0:16 offset1:20
	;; [unrolled: 1-line block ×5, first 2 shown]
	ds_write_b32 v1, v14 offset:12288
	s_waitcnt lgkmcnt(0)
	s_barrier
	s_mov_b64 s[0:1], 0
.LBB793_2:
	s_andn2_b64 vcc, exec, s[0:1]
	s_add_i32 s12, s12, s28
	s_cbranch_vccnz .LBB793_4
; %bb.3:
	v_add_u32_e32 v3, 0x100, v2
	v_add_u32_e32 v4, 0x200, v2
	;; [unrolled: 1-line block ×12, first 2 shown]
	ds_write2st64_b32 v1, v2, v3 offset1:4
	ds_write2st64_b32 v1, v4, v5 offset0:8 offset1:12
	ds_write2st64_b32 v1, v6, v7 offset0:16 offset1:20
	;; [unrolled: 1-line block ×5, first 2 shown]
	ds_write_b32 v1, v14 offset:12288
	s_waitcnt lgkmcnt(0)
	s_barrier
.LBB793_4:
	v_mul_u32_u24_e32 v33, 13, v0
	v_lshlrev_b32_e32 v2, 2, v33
	s_waitcnt lgkmcnt(0)
	ds_read2_b32 v[30:31], v2 offset1:1
	ds_read2_b32 v[28:29], v2 offset0:2 offset1:3
	ds_read2_b32 v[26:27], v2 offset0:4 offset1:5
	;; [unrolled: 1-line block ×5, first 2 shown]
	ds_read_b32 v32, v2 offset:48
	v_cndmask_b32_e64 v2, 0, 1, s[2:3]
	s_sub_i32 s33, s26, s12
	v_cmp_ne_u32_e64 s[0:1], 1, v2
	s_andn2_b64 vcc, exec, s[2:3]
	s_waitcnt lgkmcnt(0)
	s_barrier
	s_cbranch_vccnz .LBB793_6
; %bb.5:
	v_add_u32_e32 v2, s9, v30
	v_add_u32_e32 v3, s11, v30
	v_mul_lo_u32 v2, v2, s8
	v_mul_lo_u32 v3, v3, s10
	v_sub_u32_e32 v2, v2, v3
	v_add_u32_e32 v3, s9, v31
	v_add_u32_e32 v4, s11, v31
	v_mul_lo_u32 v3, v3, s8
	v_mul_lo_u32 v4, v4, s10
	v_sub_u32_e32 v3, v3, v4
	;; [unrolled: 5-line block ×6, first 2 shown]
	v_add_u32_e32 v8, s9, v24
	v_add_u32_e32 v9, s11, v24
	v_mul_lo_u32 v8, v8, s8
	v_mul_lo_u32 v9, v9, s10
	v_cmp_lt_u32_e32 vcc, s7, v2
	v_sub_u32_e32 v8, v8, v9
	v_add_u32_e32 v9, s9, v25
	v_add_u32_e32 v10, s11, v25
	v_cndmask_b32_e64 v2, 0, 1, vcc
	v_cmp_lt_u32_e32 vcc, s7, v3
	v_mul_lo_u32 v9, v9, s8
	v_mul_lo_u32 v10, v10, s10
	v_cndmask_b32_e64 v3, 0, 1, vcc
	v_cmp_lt_u32_e32 vcc, s7, v4
	v_sub_u32_e32 v9, v9, v10
	v_add_u32_e32 v10, s9, v22
	v_add_u32_e32 v11, s11, v22
	v_cndmask_b32_e64 v4, 0, 1, vcc
	v_cmp_lt_u32_e32 vcc, s7, v5
	v_mul_lo_u32 v10, v10, s8
	v_mul_lo_u32 v11, v11, s10
	v_cndmask_b32_e64 v5, 0, 1, vcc
	;; [unrolled: 9-line block ×4, first 2 shown]
	v_cmp_lt_u32_e32 vcc, s7, v10
	v_sub_u32_e32 v12, v12, v13
	v_add_u32_e32 v13, s9, v21
	v_add_u32_e32 v14, s11, v21
	v_lshlrev_b16_e32 v3, 8, v3
	v_cndmask_b32_e64 v10, 0, 1, vcc
	v_cmp_lt_u32_e32 vcc, s7, v11
	v_mul_lo_u32 v13, v13, s8
	v_mul_lo_u32 v14, v14, s10
	v_or_b32_e32 v2, v2, v3
	v_lshlrev_b16_e32 v3, 8, v5
	v_cndmask_b32_e64 v11, 0, 1, vcc
	v_cmp_lt_u32_e32 vcc, s7, v12
	v_sub_u32_e32 v13, v13, v14
	v_or_b32_sdwa v3, v4, v3 dst_sel:WORD_1 dst_unused:UNUSED_PAD src0_sel:DWORD src1_sel:DWORD
	v_cndmask_b32_e64 v12, 0, 1, vcc
	v_cmp_lt_u32_e32 vcc, s7, v13
	v_add_u32_e32 v14, s9, v32
	v_add_u32_e32 v15, s11, v32
	v_or_b32_sdwa v37, v2, v3 dst_sel:DWORD dst_unused:UNUSED_PAD src0_sel:WORD_0 src1_sel:DWORD
	v_lshlrev_b16_e32 v2, 8, v7
	v_lshlrev_b16_e32 v3, 8, v9
	v_cndmask_b32_e64 v13, 0, 1, vcc
	v_mul_lo_u32 v14, v14, s8
	v_mul_lo_u32 v15, v15, s10
	v_or_b32_e32 v2, v6, v2
	v_or_b32_sdwa v3, v8, v3 dst_sel:WORD_1 dst_unused:UNUSED_PAD src0_sel:DWORD src1_sel:DWORD
	v_sub_u32_e32 v14, v14, v15
	v_or_b32_sdwa v36, v2, v3 dst_sel:DWORD dst_unused:UNUSED_PAD src0_sel:WORD_0 src1_sel:DWORD
	v_lshlrev_b16_e32 v2, 8, v11
	v_lshlrev_b16_e32 v3, 8, v13
	v_cmp_lt_u32_e32 vcc, s7, v14
	v_or_b32_e32 v2, v10, v2
	v_or_b32_sdwa v3, v12, v3 dst_sel:WORD_1 dst_unused:UNUSED_PAD src0_sel:DWORD src1_sel:DWORD
	v_cndmask_b32_e64 v34, 0, 1, vcc
	v_or_b32_sdwa v35, v2, v3 dst_sel:DWORD dst_unused:UNUSED_PAD src0_sel:WORD_0 src1_sel:DWORD
	s_mov_b64 s[2:3], 0
	s_branch .LBB793_7
.LBB793_6:
	s_mov_b64 s[2:3], -1
                                        ; implicit-def: $vgpr34
                                        ; implicit-def: $vgpr35
                                        ; implicit-def: $vgpr36
                                        ; implicit-def: $vgpr37
.LBB793_7:
	s_load_dwordx2 s[24:25], s[4:5], 0x28
	s_load_dwordx2 s[34:35], s[4:5], 0x68
	s_andn2_b64 vcc, exec, s[2:3]
	s_addk_i32 s33, 0xd00
	s_cbranch_vccnz .LBB793_35
; %bb.8:
	v_cmp_gt_u32_e32 vcc, s33, v33
	v_mov_b32_e32 v3, 0
	v_mov_b32_e32 v2, 0
	s_and_saveexec_b64 s[2:3], vcc
; %bb.9:
	v_add_u32_e32 v2, s9, v30
	v_add_u32_e32 v4, s11, v30
	v_mul_lo_u32 v2, v2, s8
	v_mul_lo_u32 v4, v4, s10
	v_sub_u32_e32 v2, v2, v4
	v_cmp_lt_u32_e32 vcc, s7, v2
	v_cndmask_b32_e64 v2, 0, 1, vcc
; %bb.10:
	s_or_b64 exec, exec, s[2:3]
	v_add_u32_e32 v4, 1, v33
	v_cmp_gt_u32_e32 vcc, s33, v4
	s_and_saveexec_b64 s[2:3], vcc
; %bb.11:
	v_add_u32_e32 v3, s9, v31
	v_add_u32_e32 v4, s11, v31
	v_mul_lo_u32 v3, v3, s8
	v_mul_lo_u32 v4, v4, s10
	v_sub_u32_e32 v3, v3, v4
	v_cmp_lt_u32_e32 vcc, s7, v3
	v_cndmask_b32_e64 v3, 0, 1, vcc
; %bb.12:
	s_or_b64 exec, exec, s[2:3]
	v_add_u32_e32 v4, 2, v33
	v_cmp_gt_u32_e32 vcc, s33, v4
	v_mov_b32_e32 v5, 0
	v_mov_b32_e32 v4, 0
	s_and_saveexec_b64 s[2:3], vcc
; %bb.13:
	v_add_u32_e32 v4, s9, v28
	v_add_u32_e32 v6, s11, v28
	v_mul_lo_u32 v4, v4, s8
	v_mul_lo_u32 v6, v6, s10
	v_sub_u32_e32 v4, v4, v6
	v_cmp_lt_u32_e32 vcc, s7, v4
	v_cndmask_b32_e64 v4, 0, 1, vcc
; %bb.14:
	s_or_b64 exec, exec, s[2:3]
	v_add_u32_e32 v6, 3, v33
	v_cmp_gt_u32_e32 vcc, s33, v6
	s_and_saveexec_b64 s[2:3], vcc
; %bb.15:
	v_add_u32_e32 v5, s9, v29
	v_add_u32_e32 v6, s11, v29
	v_mul_lo_u32 v5, v5, s8
	v_mul_lo_u32 v6, v6, s10
	v_sub_u32_e32 v5, v5, v6
	v_cmp_lt_u32_e32 vcc, s7, v5
	v_cndmask_b32_e64 v5, 0, 1, vcc
; %bb.16:
	s_or_b64 exec, exec, s[2:3]
	v_add_u32_e32 v6, 4, v33
	;; [unrolled: 28-line block ×6, first 2 shown]
	v_cmp_gt_u32_e32 vcc, s33, v14
	v_mov_b32_e32 v34, 0
	s_and_saveexec_b64 s[2:3], vcc
; %bb.33:
	v_add_u32_e32 v14, s9, v32
	v_add_u32_e32 v15, s11, v32
	v_mul_lo_u32 v14, v14, s8
	v_mul_lo_u32 v15, v15, s10
	v_sub_u32_e32 v14, v14, v15
	v_cmp_lt_u32_e32 vcc, s7, v14
	v_cndmask_b32_e64 v34, 0, 1, vcc
; %bb.34:
	s_or_b64 exec, exec, s[2:3]
	v_lshlrev_b16_e32 v3, 8, v3
	v_or_b32_e32 v2, v2, v3
	v_lshlrev_b16_e32 v3, 8, v5
	v_or_b32_sdwa v3, v4, v3 dst_sel:WORD_1 dst_unused:UNUSED_PAD src0_sel:DWORD src1_sel:DWORD
	v_or_b32_sdwa v37, v2, v3 dst_sel:DWORD dst_unused:UNUSED_PAD src0_sel:WORD_0 src1_sel:DWORD
	v_lshlrev_b16_e32 v2, 8, v7
	v_lshlrev_b16_e32 v3, 8, v9
	v_or_b32_e32 v2, v6, v2
	v_or_b32_sdwa v3, v8, v3 dst_sel:WORD_1 dst_unused:UNUSED_PAD src0_sel:DWORD src1_sel:DWORD
	v_or_b32_sdwa v36, v2, v3 dst_sel:DWORD dst_unused:UNUSED_PAD src0_sel:WORD_0 src1_sel:DWORD
	v_lshlrev_b16_e32 v2, 8, v11
	v_lshlrev_b16_e32 v3, 8, v13
	v_or_b32_e32 v2, v10, v2
	v_or_b32_sdwa v3, v12, v3 dst_sel:WORD_1 dst_unused:UNUSED_PAD src0_sel:DWORD src1_sel:DWORD
	v_or_b32_sdwa v35, v2, v3 dst_sel:DWORD dst_unused:UNUSED_PAD src0_sel:WORD_0 src1_sel:DWORD
.LBB793_35:
	v_and_b32_e32 v41, 0xff, v37
	v_bfe_u32 v42, v37, 8, 8
	v_bfe_u32 v43, v37, 16, 8
	v_lshrrev_b32_e32 v40, 24, v37
	v_and_b32_e32 v44, 0xff, v36
	v_add3_u32 v3, v42, v41, v43
	v_bfe_u32 v45, v36, 8, 8
	v_bfe_u32 v46, v36, 16, 8
	v_add3_u32 v3, v3, v40, v44
	v_lshrrev_b32_e32 v39, 24, v36
	v_and_b32_e32 v47, 0xff, v35
	v_add3_u32 v3, v3, v45, v46
	v_bfe_u32 v48, v35, 8, 8
	v_bfe_u32 v49, v35, 16, 8
	v_add3_u32 v3, v3, v39, v47
	v_lshrrev_b32_e32 v38, 24, v35
	v_and_b32_e32 v2, 0xff, v34
	v_add3_u32 v3, v3, v48, v49
	v_add3_u32 v52, v3, v38, v2
	v_mbcnt_lo_u32_b32 v2, -1, 0
	v_mbcnt_hi_u32_b32 v50, -1, v2
	v_and_b32_e32 v2, 15, v50
	v_cmp_eq_u32_e64 s[14:15], 0, v2
	v_cmp_lt_u32_e64 s[12:13], 1, v2
	v_cmp_lt_u32_e64 s[10:11], 3, v2
	;; [unrolled: 1-line block ×3, first 2 shown]
	v_and_b32_e32 v2, 16, v50
	v_cmp_eq_u32_e64 s[18:19], 0, v2
	v_or_b32_e32 v2, 63, v0
	s_cmp_lg_u32 s6, 0
	v_cmp_lt_u32_e64 s[2:3], 31, v50
	v_lshrrev_b32_e32 v51, 6, v0
	v_cmp_eq_u32_e64 s[4:5], v2, v0
	s_cbranch_scc0 .LBB793_66
; %bb.36:
	v_mov_b32_dpp v2, v52 row_shr:1 row_mask:0xf bank_mask:0xf
	v_cndmask_b32_e64 v2, v2, 0, s[14:15]
	v_add_u32_e32 v2, v2, v52
	s_nop 1
	v_mov_b32_dpp v3, v2 row_shr:2 row_mask:0xf bank_mask:0xf
	v_cndmask_b32_e64 v3, 0, v3, s[12:13]
	v_add_u32_e32 v2, v2, v3
	s_nop 1
	v_mov_b32_dpp v3, v2 row_shr:4 row_mask:0xf bank_mask:0xf
	v_cndmask_b32_e64 v3, 0, v3, s[10:11]
	v_add_u32_e32 v2, v2, v3
	s_nop 1
	v_mov_b32_dpp v3, v2 row_shr:8 row_mask:0xf bank_mask:0xf
	v_cndmask_b32_e64 v3, 0, v3, s[8:9]
	v_add_u32_e32 v2, v2, v3
	s_nop 1
	v_mov_b32_dpp v3, v2 row_bcast:15 row_mask:0xf bank_mask:0xf
	v_cndmask_b32_e64 v3, v3, 0, s[18:19]
	v_add_u32_e32 v2, v2, v3
	s_nop 1
	v_mov_b32_dpp v3, v2 row_bcast:31 row_mask:0xf bank_mask:0xf
	v_cndmask_b32_e64 v3, 0, v3, s[2:3]
	v_add_u32_e32 v2, v2, v3
	s_and_saveexec_b64 s[16:17], s[4:5]
	s_cbranch_execz .LBB793_38
; %bb.37:
	v_lshlrev_b32_e32 v3, 2, v51
	ds_write_b32 v3, v2
.LBB793_38:
	s_or_b64 exec, exec, s[16:17]
	v_cmp_gt_u32_e32 vcc, 4, v0
	s_waitcnt lgkmcnt(0)
	s_barrier
	s_and_saveexec_b64 s[16:17], vcc
	s_cbranch_execz .LBB793_40
; %bb.39:
	ds_read_b32 v3, v1
	v_and_b32_e32 v4, 3, v50
	v_cmp_ne_u32_e32 vcc, 0, v4
	s_waitcnt lgkmcnt(0)
	v_mov_b32_dpp v5, v3 row_shr:1 row_mask:0xf bank_mask:0xf
	v_cndmask_b32_e32 v5, 0, v5, vcc
	v_add_u32_e32 v3, v5, v3
	v_cmp_lt_u32_e32 vcc, 1, v4
	s_nop 0
	v_mov_b32_dpp v5, v3 row_shr:2 row_mask:0xf bank_mask:0xf
	v_cndmask_b32_e32 v4, 0, v5, vcc
	v_add_u32_e32 v3, v3, v4
	ds_write_b32 v1, v3
.LBB793_40:
	s_or_b64 exec, exec, s[16:17]
	v_cmp_gt_u32_e32 vcc, 64, v0
	v_cmp_lt_u32_e64 s[16:17], 63, v0
	s_waitcnt lgkmcnt(0)
	s_barrier
	s_waitcnt lgkmcnt(0)
                                        ; implicit-def: $vgpr12
	s_and_saveexec_b64 s[36:37], s[16:17]
	s_cbranch_execz .LBB793_42
; %bb.41:
	v_lshl_add_u32 v3, v51, 2, -4
	ds_read_b32 v12, v3
	s_waitcnt lgkmcnt(0)
	v_add_u32_e32 v2, v12, v2
.LBB793_42:
	s_or_b64 exec, exec, s[36:37]
	v_add_u32_e32 v3, -1, v50
	v_and_b32_e32 v4, 64, v50
	v_cmp_lt_i32_e64 s[16:17], v3, v4
	v_cndmask_b32_e64 v3, v3, v50, s[16:17]
	v_lshlrev_b32_e32 v3, 2, v3
	ds_bpermute_b32 v13, v3, v2
	v_cmp_eq_u32_e64 s[16:17], 0, v50
	s_and_saveexec_b64 s[36:37], vcc
	s_cbranch_execz .LBB793_65
; %bb.43:
	v_mov_b32_e32 v11, 0
	ds_read_b32 v2, v11 offset:12
	s_and_saveexec_b64 s[38:39], s[16:17]
	s_cbranch_execz .LBB793_45
; %bb.44:
	s_add_i32 s40, s6, 64
	s_mov_b32 s41, 0
	s_lshl_b64 s[40:41], s[40:41], 3
	s_add_u32 s40, s34, s40
	v_mov_b32_e32 v3, 1
	s_addc_u32 s41, s35, s41
	s_waitcnt lgkmcnt(0)
	global_store_dwordx2 v11, v[2:3], s[40:41]
.LBB793_45:
	s_or_b64 exec, exec, s[38:39]
	v_xad_u32 v4, v50, -1, s6
	v_add_u32_e32 v10, 64, v4
	v_lshlrev_b64 v[6:7], 3, v[10:11]
	v_mov_b32_e32 v3, s35
	v_add_co_u32_e32 v6, vcc, s34, v6
	v_addc_co_u32_e32 v7, vcc, v3, v7, vcc
	global_load_dwordx2 v[8:9], v[6:7], off glc
	s_waitcnt vmcnt(0)
	v_cmp_eq_u16_sdwa s[40:41], v9, v11 src0_sel:BYTE_0 src1_sel:DWORD
	s_and_saveexec_b64 s[38:39], s[40:41]
	s_cbranch_execz .LBB793_51
; %bb.46:
	s_mov_b32 s7, 1
	s_mov_b64 s[40:41], 0
	v_mov_b32_e32 v3, 0
.LBB793_47:                             ; =>This Loop Header: Depth=1
                                        ;     Child Loop BB793_48 Depth 2
	s_max_u32 s43, s7, 1
.LBB793_48:                             ;   Parent Loop BB793_47 Depth=1
                                        ; =>  This Inner Loop Header: Depth=2
	s_add_i32 s43, s43, -1
	s_cmp_eq_u32 s43, 0
	s_sleep 1
	s_cbranch_scc0 .LBB793_48
; %bb.49:                               ;   in Loop: Header=BB793_47 Depth=1
	global_load_dwordx2 v[8:9], v[6:7], off glc
	s_cmp_lt_u32 s7, 32
	s_cselect_b64 s[44:45], -1, 0
	s_cmp_lg_u64 s[44:45], 0
	s_addc_u32 s7, s7, 0
	s_waitcnt vmcnt(0)
	v_cmp_ne_u16_sdwa s[44:45], v9, v3 src0_sel:BYTE_0 src1_sel:DWORD
	s_or_b64 s[40:41], s[44:45], s[40:41]
	s_andn2_b64 exec, exec, s[40:41]
	s_cbranch_execnz .LBB793_47
; %bb.50:
	s_or_b64 exec, exec, s[40:41]
.LBB793_51:
	s_or_b64 exec, exec, s[38:39]
	v_and_b32_e32 v14, 63, v50
	v_mov_b32_e32 v3, 2
	v_cmp_ne_u32_e32 vcc, 63, v14
	v_cmp_eq_u16_sdwa s[38:39], v9, v3 src0_sel:BYTE_0 src1_sel:DWORD
	v_lshlrev_b64 v[6:7], v50, -1
	v_addc_co_u32_e32 v11, vcc, 0, v50, vcc
	v_and_b32_e32 v5, s39, v7
	v_lshlrev_b32_e32 v15, 2, v11
	v_or_b32_e32 v5, 0x80000000, v5
	ds_bpermute_b32 v11, v15, v8
	v_and_b32_e32 v10, s38, v6
	v_ffbl_b32_e32 v5, v5
	v_add_u32_e32 v5, 32, v5
	v_ffbl_b32_e32 v10, v10
	v_min_u32_e32 v5, v10, v5
	v_cmp_lt_u32_e32 vcc, v14, v5
	s_waitcnt lgkmcnt(0)
	v_cndmask_b32_e32 v10, 0, v11, vcc
	v_cmp_gt_u32_e32 vcc, 62, v14
	v_add_u32_e32 v8, v10, v8
	v_cndmask_b32_e64 v10, 0, 1, vcc
	v_lshlrev_b32_e32 v10, 1, v10
	v_add_lshl_u32 v16, v10, v50, 2
	ds_bpermute_b32 v10, v16, v8
	v_add_u32_e32 v17, 2, v14
	v_cmp_le_u32_e32 vcc, v17, v5
	v_add_u32_e32 v19, 4, v14
	v_add_u32_e32 v54, 8, v14
	s_waitcnt lgkmcnt(0)
	v_cndmask_b32_e32 v10, 0, v10, vcc
	v_cmp_gt_u32_e32 vcc, 60, v14
	v_add_u32_e32 v8, v8, v10
	v_cndmask_b32_e64 v10, 0, 1, vcc
	v_lshlrev_b32_e32 v10, 2, v10
	v_add_lshl_u32 v18, v10, v50, 2
	ds_bpermute_b32 v10, v18, v8
	v_cmp_le_u32_e32 vcc, v19, v5
	v_add_u32_e32 v57, 16, v14
	v_add_u32_e32 v59, 32, v14
	s_waitcnt lgkmcnt(0)
	v_cndmask_b32_e32 v10, 0, v10, vcc
	v_cmp_gt_u32_e32 vcc, 56, v14
	v_add_u32_e32 v8, v8, v10
	v_cndmask_b32_e64 v10, 0, 1, vcc
	v_lshlrev_b32_e32 v10, 3, v10
	v_add_lshl_u32 v53, v10, v50, 2
	ds_bpermute_b32 v10, v53, v8
	v_cmp_le_u32_e32 vcc, v54, v5
	s_waitcnt lgkmcnt(0)
	v_cndmask_b32_e32 v10, 0, v10, vcc
	v_cmp_gt_u32_e32 vcc, 48, v14
	v_add_u32_e32 v8, v8, v10
	v_cndmask_b32_e64 v10, 0, 1, vcc
	v_lshlrev_b32_e32 v10, 4, v10
	v_add_lshl_u32 v56, v10, v50, 2
	ds_bpermute_b32 v10, v56, v8
	v_cmp_le_u32_e32 vcc, v57, v5
	;; [unrolled: 9-line block ×3, first 2 shown]
	s_waitcnt lgkmcnt(0)
	v_cndmask_b32_e32 v5, 0, v10, vcc
	v_add_u32_e32 v8, v8, v5
	v_mov_b32_e32 v5, 0
	s_branch .LBB793_53
.LBB793_52:                             ;   in Loop: Header=BB793_53 Depth=1
	s_or_b64 exec, exec, s[38:39]
	v_cmp_eq_u16_sdwa s[38:39], v9, v3 src0_sel:BYTE_0 src1_sel:DWORD
	v_and_b32_e32 v10, s39, v7
	v_or_b32_e32 v10, 0x80000000, v10
	ds_bpermute_b32 v60, v15, v8
	v_and_b32_e32 v11, s38, v6
	v_ffbl_b32_e32 v10, v10
	v_add_u32_e32 v10, 32, v10
	v_ffbl_b32_e32 v11, v11
	v_min_u32_e32 v10, v11, v10
	v_cmp_lt_u32_e32 vcc, v14, v10
	s_waitcnt lgkmcnt(0)
	v_cndmask_b32_e32 v11, 0, v60, vcc
	v_add_u32_e32 v8, v11, v8
	ds_bpermute_b32 v11, v16, v8
	v_cmp_le_u32_e32 vcc, v17, v10
	v_subrev_u32_e32 v4, 64, v4
	s_waitcnt lgkmcnt(0)
	v_cndmask_b32_e32 v11, 0, v11, vcc
	v_add_u32_e32 v8, v8, v11
	ds_bpermute_b32 v11, v18, v8
	v_cmp_le_u32_e32 vcc, v19, v10
	s_waitcnt lgkmcnt(0)
	v_cndmask_b32_e32 v11, 0, v11, vcc
	v_add_u32_e32 v8, v8, v11
	ds_bpermute_b32 v11, v53, v8
	v_cmp_le_u32_e32 vcc, v54, v10
	;; [unrolled: 5-line block ×4, first 2 shown]
	s_waitcnt lgkmcnt(0)
	v_cndmask_b32_e32 v10, 0, v11, vcc
	v_add3_u32 v8, v10, v55, v8
.LBB793_53:                             ; =>This Loop Header: Depth=1
                                        ;     Child Loop BB793_56 Depth 2
                                        ;       Child Loop BB793_57 Depth 3
	v_cmp_ne_u16_sdwa s[38:39], v9, v3 src0_sel:BYTE_0 src1_sel:DWORD
	v_cndmask_b32_e64 v9, 0, 1, s[38:39]
	;;#ASMSTART
	;;#ASMEND
	v_cmp_ne_u32_e32 vcc, 0, v9
	s_cmp_lg_u64 vcc, exec
	v_mov_b32_e32 v55, v8
	s_cbranch_scc1 .LBB793_60
; %bb.54:                               ;   in Loop: Header=BB793_53 Depth=1
	v_lshlrev_b64 v[8:9], 3, v[4:5]
	v_mov_b32_e32 v11, s35
	v_add_co_u32_e32 v10, vcc, s34, v8
	v_addc_co_u32_e32 v11, vcc, v11, v9, vcc
	global_load_dwordx2 v[8:9], v[10:11], off glc
	s_waitcnt vmcnt(0)
	v_cmp_eq_u16_sdwa s[40:41], v9, v5 src0_sel:BYTE_0 src1_sel:DWORD
	s_and_saveexec_b64 s[38:39], s[40:41]
	s_cbranch_execz .LBB793_52
; %bb.55:                               ;   in Loop: Header=BB793_53 Depth=1
	s_mov_b32 s7, 1
	s_mov_b64 s[40:41], 0
.LBB793_56:                             ;   Parent Loop BB793_53 Depth=1
                                        ; =>  This Loop Header: Depth=2
                                        ;       Child Loop BB793_57 Depth 3
	s_max_u32 s43, s7, 1
.LBB793_57:                             ;   Parent Loop BB793_53 Depth=1
                                        ;     Parent Loop BB793_56 Depth=2
                                        ; =>    This Inner Loop Header: Depth=3
	s_add_i32 s43, s43, -1
	s_cmp_eq_u32 s43, 0
	s_sleep 1
	s_cbranch_scc0 .LBB793_57
; %bb.58:                               ;   in Loop: Header=BB793_56 Depth=2
	global_load_dwordx2 v[8:9], v[10:11], off glc
	s_cmp_lt_u32 s7, 32
	s_cselect_b64 s[44:45], -1, 0
	s_cmp_lg_u64 s[44:45], 0
	s_addc_u32 s7, s7, 0
	s_waitcnt vmcnt(0)
	v_cmp_ne_u16_sdwa s[44:45], v9, v5 src0_sel:BYTE_0 src1_sel:DWORD
	s_or_b64 s[40:41], s[44:45], s[40:41]
	s_andn2_b64 exec, exec, s[40:41]
	s_cbranch_execnz .LBB793_56
; %bb.59:                               ;   in Loop: Header=BB793_53 Depth=1
	s_or_b64 exec, exec, s[40:41]
	s_branch .LBB793_52
.LBB793_60:                             ;   in Loop: Header=BB793_53 Depth=1
                                        ; implicit-def: $vgpr8
                                        ; implicit-def: $vgpr9
	s_cbranch_execz .LBB793_53
; %bb.61:
	s_and_saveexec_b64 s[38:39], s[16:17]
	s_cbranch_execz .LBB793_63
; %bb.62:
	s_add_i32 s6, s6, 64
	s_mov_b32 s7, 0
	s_lshl_b64 s[6:7], s[6:7], 3
	s_add_u32 s6, s34, s6
	v_add_u32_e32 v4, v55, v2
	v_mov_b32_e32 v5, 2
	s_addc_u32 s7, s35, s7
	v_mov_b32_e32 v3, 0
	global_store_dwordx2 v3, v[4:5], s[6:7]
	s_movk_i32 s6, 0x3400
	v_add_u32_e64 v3, s6, 0
	ds_write2_b32 v3, v2, v55 offset1:2
.LBB793_63:
	s_or_b64 exec, exec, s[38:39]
	v_cmp_eq_u32_e32 vcc, 0, v0
	s_and_b64 exec, exec, vcc
	s_cbranch_execz .LBB793_65
; %bb.64:
	v_mov_b32_e32 v2, 0
	ds_write_b32 v2, v55 offset:12
.LBB793_65:
	s_or_b64 exec, exec, s[36:37]
	v_mov_b32_e32 v2, 0
	s_waitcnt lgkmcnt(0)
	s_barrier
	ds_read_b32 v2, v2 offset:12
	v_cndmask_b32_e64 v3, v13, v12, s[16:17]
	v_cmp_ne_u32_e32 vcc, 0, v0
	v_cndmask_b32_e32 v3, 0, v3, vcc
	s_movk_i32 s6, 0x3400
	s_waitcnt lgkmcnt(0)
	v_add_u32_e32 v2, v2, v3
	v_add_u32_e32 v3, v2, v41
	;; [unrolled: 1-line block ×8, first 2 shown]
	v_add_u32_e64 v12, s6, 0
	v_add_u32_e32 v10, v9, v39
	s_barrier
	ds_read2_b32 v[18:19], v12 offset1:2
	v_add_u32_e32 v11, v10, v47
	v_add_u32_e32 v12, v11, v48
	;; [unrolled: 1-line block ×4, first 2 shown]
	s_branch .LBB793_76
.LBB793_66:
                                        ; implicit-def: $vgpr19
                                        ; implicit-def: $vgpr2_vgpr3_vgpr4_vgpr5_vgpr6_vgpr7_vgpr8_vgpr9_vgpr10_vgpr11_vgpr12_vgpr13_vgpr14_vgpr15_vgpr16_vgpr17
	s_cbranch_execz .LBB793_76
; %bb.67:
	s_nop 0
	v_mov_b32_dpp v2, v52 row_shr:1 row_mask:0xf bank_mask:0xf
	v_cndmask_b32_e64 v2, v2, 0, s[14:15]
	v_add_u32_e32 v2, v2, v52
	s_nop 1
	v_mov_b32_dpp v3, v2 row_shr:2 row_mask:0xf bank_mask:0xf
	v_cndmask_b32_e64 v3, 0, v3, s[12:13]
	v_add_u32_e32 v2, v2, v3
	;; [unrolled: 4-line block ×4, first 2 shown]
	s_nop 1
	v_mov_b32_dpp v3, v2 row_bcast:15 row_mask:0xf bank_mask:0xf
	v_cndmask_b32_e64 v3, v3, 0, s[18:19]
	v_add_u32_e32 v2, v2, v3
	s_nop 1
	v_mov_b32_dpp v3, v2 row_bcast:31 row_mask:0xf bank_mask:0xf
	v_cndmask_b32_e64 v3, 0, v3, s[2:3]
	v_add_u32_e32 v2, v2, v3
	s_and_saveexec_b64 s[2:3], s[4:5]
	s_cbranch_execz .LBB793_69
; %bb.68:
	v_lshlrev_b32_e32 v3, 2, v51
	ds_write_b32 v3, v2
.LBB793_69:
	s_or_b64 exec, exec, s[2:3]
	v_cmp_gt_u32_e32 vcc, 4, v0
	s_waitcnt lgkmcnt(0)
	s_barrier
	s_and_saveexec_b64 s[2:3], vcc
	s_cbranch_execz .LBB793_71
; %bb.70:
	ds_read_b32 v3, v1
	v_and_b32_e32 v4, 3, v50
	v_cmp_ne_u32_e32 vcc, 0, v4
	s_waitcnt lgkmcnt(0)
	v_mov_b32_dpp v5, v3 row_shr:1 row_mask:0xf bank_mask:0xf
	v_cndmask_b32_e32 v5, 0, v5, vcc
	v_add_u32_e32 v3, v5, v3
	v_cmp_lt_u32_e32 vcc, 1, v4
	s_nop 0
	v_mov_b32_dpp v5, v3 row_shr:2 row_mask:0xf bank_mask:0xf
	v_cndmask_b32_e32 v4, 0, v5, vcc
	v_add_u32_e32 v3, v3, v4
	ds_write_b32 v1, v3
.LBB793_71:
	s_or_b64 exec, exec, s[2:3]
	v_cmp_lt_u32_e32 vcc, 63, v0
	v_mov_b32_e32 v4, 0
	v_mov_b32_e32 v3, 0
	s_waitcnt lgkmcnt(0)
	s_barrier
	s_and_saveexec_b64 s[2:3], vcc
	s_cbranch_execz .LBB793_73
; %bb.72:
	v_lshl_add_u32 v3, v51, 2, -4
	ds_read_b32 v3, v3
.LBB793_73:
	s_or_b64 exec, exec, s[2:3]
	v_add_u32_e32 v5, -1, v50
	v_and_b32_e32 v6, 64, v50
	v_cmp_lt_i32_e32 vcc, v5, v6
	v_cndmask_b32_e32 v5, v5, v50, vcc
	s_waitcnt lgkmcnt(0)
	v_add_u32_e32 v2, v3, v2
	v_lshlrev_b32_e32 v5, 2, v5
	ds_bpermute_b32 v2, v5, v2
	ds_read_b32 v18, v4 offset:12
	v_cmp_eq_u32_e32 vcc, 0, v0
	s_and_saveexec_b64 s[2:3], vcc
	s_cbranch_execz .LBB793_75
; %bb.74:
	v_mov_b32_e32 v4, 0
	v_mov_b32_e32 v19, 2
	s_waitcnt lgkmcnt(0)
	global_store_dwordx2 v4, v[18:19], s[34:35] offset:512
.LBB793_75:
	s_or_b64 exec, exec, s[2:3]
	v_cmp_eq_u32_e64 s[2:3], 0, v50
	s_waitcnt lgkmcnt(1)
	v_cndmask_b32_e64 v2, v2, v3, s[2:3]
	v_cndmask_b32_e64 v2, v2, 0, vcc
	v_add_u32_e32 v3, v2, v41
	v_add_u32_e32 v4, v3, v42
	;; [unrolled: 1-line block ×11, first 2 shown]
	v_mov_b32_e32 v19, 0
	v_add_u32_e32 v14, v13, v38
	s_waitcnt lgkmcnt(0)
	s_barrier
.LBB793_76:
	s_waitcnt lgkmcnt(0)
	v_add_u32_e32 v33, v18, v33
	v_sub_u32_e32 v2, v2, v19
	v_and_b32_e32 v42, 1, v37
	v_sub_u32_e32 v41, v33, v2
	v_cmp_eq_u32_e32 vcc, 1, v42
	v_cndmask_b32_e32 v2, v41, v2, vcc
	v_lshlrev_b32_e32 v2, 2, v2
	v_lshrrev_b32_e32 v17, 8, v37
	ds_write_b32 v2, v30
	v_sub_u32_e32 v2, v3, v19
	v_sub_u32_e32 v3, v33, v2
	v_and_b32_e32 v17, 1, v17
	v_add_u32_e32 v3, 1, v3
	v_cmp_eq_u32_e32 vcc, 1, v17
	v_cndmask_b32_e32 v2, v3, v2, vcc
	v_lshlrev_b32_e32 v2, 2, v2
	ds_write_b32 v2, v31
	v_sub_u32_e32 v2, v4, v19
	v_mov_b32_e32 v4, 1
	v_sub_u32_e32 v3, v33, v2
	v_and_b32_sdwa v17, v4, v37 dst_sel:DWORD dst_unused:UNUSED_PAD src0_sel:DWORD src1_sel:WORD_1
	v_add_u32_e32 v3, 2, v3
	v_cmp_eq_u32_e32 vcc, 1, v17
	v_cndmask_b32_e32 v2, v3, v2, vcc
	v_lshlrev_b32_e32 v2, 2, v2
	ds_write_b32 v2, v28
	v_sub_u32_e32 v2, v5, v19
	v_sub_u32_e32 v3, v33, v2
	v_and_b32_e32 v5, 1, v40
	v_add_u32_e32 v3, 3, v3
	v_cmp_eq_u32_e32 vcc, 1, v5
	v_cndmask_b32_e32 v2, v3, v2, vcc
	v_lshlrev_b32_e32 v2, 2, v2
	ds_write_b32 v2, v29
	v_sub_u32_e32 v2, v6, v19
	v_sub_u32_e32 v3, v33, v2
	v_and_b32_e32 v5, 1, v36
	v_add_u32_e32 v3, 4, v3
	v_cmp_eq_u32_e32 vcc, 1, v5
	v_cndmask_b32_e32 v2, v3, v2, vcc
	v_lshlrev_b32_e32 v2, 2, v2
	v_lshrrev_b32_e32 v16, 8, v36
	ds_write_b32 v2, v26
	v_sub_u32_e32 v2, v7, v19
	v_sub_u32_e32 v3, v33, v2
	v_and_b32_e32 v5, 1, v16
	v_add_u32_e32 v3, 5, v3
	v_cmp_eq_u32_e32 vcc, 1, v5
	v_cndmask_b32_e32 v2, v3, v2, vcc
	v_lshlrev_b32_e32 v2, 2, v2
	ds_write_b32 v2, v27
	v_sub_u32_e32 v2, v8, v19
	v_sub_u32_e32 v3, v33, v2
	v_and_b32_sdwa v5, v4, v36 dst_sel:DWORD dst_unused:UNUSED_PAD src0_sel:DWORD src1_sel:WORD_1
	v_add_u32_e32 v3, 6, v3
	v_cmp_eq_u32_e32 vcc, 1, v5
	v_cndmask_b32_e32 v2, v3, v2, vcc
	v_lshlrev_b32_e32 v2, 2, v2
	ds_write_b32 v2, v24
	v_sub_u32_e32 v2, v9, v19
	v_sub_u32_e32 v3, v33, v2
	v_and_b32_e32 v5, 1, v39
	v_add_u32_e32 v3, 7, v3
	v_cmp_eq_u32_e32 vcc, 1, v5
	v_cndmask_b32_e32 v2, v3, v2, vcc
	v_lshlrev_b32_e32 v2, 2, v2
	ds_write_b32 v2, v25
	v_sub_u32_e32 v2, v10, v19
	v_sub_u32_e32 v3, v33, v2
	v_and_b32_e32 v5, 1, v35
	v_add_u32_e32 v3, 8, v3
	v_cmp_eq_u32_e32 vcc, 1, v5
	v_cndmask_b32_e32 v2, v3, v2, vcc
	v_lshlrev_b32_e32 v2, 2, v2
	v_lshrrev_b32_e32 v15, 8, v35
	ds_write_b32 v2, v22
	v_sub_u32_e32 v2, v11, v19
	v_sub_u32_e32 v3, v33, v2
	v_and_b32_e32 v5, 1, v15
	v_add_u32_e32 v3, 9, v3
	v_cmp_eq_u32_e32 vcc, 1, v5
	v_cndmask_b32_e32 v2, v3, v2, vcc
	v_lshlrev_b32_e32 v2, 2, v2
	ds_write_b32 v2, v23
	v_sub_u32_e32 v2, v12, v19
	v_sub_u32_e32 v3, v33, v2
	v_and_b32_sdwa v4, v4, v35 dst_sel:DWORD dst_unused:UNUSED_PAD src0_sel:DWORD src1_sel:WORD_1
	v_add_u32_e32 v3, 10, v3
	v_cmp_eq_u32_e32 vcc, 1, v4
	v_cndmask_b32_e32 v2, v3, v2, vcc
	v_lshlrev_b32_e32 v2, 2, v2
	ds_write_b32 v2, v20
	v_sub_u32_e32 v2, v13, v19
	v_sub_u32_e32 v3, v33, v2
	v_and_b32_e32 v4, 1, v38
	v_add_u32_e32 v3, 11, v3
	v_cmp_eq_u32_e32 vcc, 1, v4
	v_cndmask_b32_e32 v2, v3, v2, vcc
	v_lshlrev_b32_e32 v2, 2, v2
	ds_write_b32 v2, v21
	v_sub_u32_e32 v2, v14, v19
	v_sub_u32_e32 v3, v33, v2
	v_and_b32_e32 v4, 1, v34
	v_add_u32_e32 v3, 12, v3
	v_cmp_eq_u32_e32 vcc, 1, v4
	v_cndmask_b32_e32 v2, v3, v2, vcc
	s_add_u32 s2, s28, s42
	v_lshlrev_b32_e32 v2, 2, v2
	s_addc_u32 s3, s29, 0
	ds_write_b32 v2, v32
	s_waitcnt lgkmcnt(0)
	s_barrier
	ds_read2st64_b32 v[12:13], v1 offset1:4
	ds_read2st64_b32 v[10:11], v1 offset0:8 offset1:12
	ds_read2st64_b32 v[8:9], v1 offset0:16 offset1:20
	;; [unrolled: 1-line block ×5, first 2 shown]
	ds_read_b32 v17, v1 offset:12288
	v_mov_b32_e32 v14, s31
	v_add_co_u32_e32 v1, vcc, s30, v19
	s_sub_u32 s2, s26, s2
	v_addc_co_u32_e32 v16, vcc, 0, v14, vcc
	s_subb_u32 s3, s27, s3
	v_mov_b32_e32 v14, s3
	v_add_co_u32_e32 v15, vcc, s2, v18
	v_addc_co_u32_e32 v14, vcc, 0, v14, vcc
	s_and_b64 vcc, exec, s[0:1]
	v_add_co_u32_e64 v19, s[0:1], v15, v1
	v_or_b32_e32 v32, 0x100, v0
	v_or_b32_e32 v31, 0x200, v0
	;; [unrolled: 1-line block ×12, first 2 shown]
	v_addc_co_u32_e64 v21, s[0:1], v14, v16, s[0:1]
	s_cbranch_vccnz .LBB793_130
; %bb.77:
	v_cmp_ge_u32_e32 vcc, v0, v18
                                        ; implicit-def: $vgpr14_vgpr15
	s_and_saveexec_b64 s[0:1], vcc
	s_xor_b64 s[0:1], exec, s[0:1]
; %bb.78:
	v_not_b32_e32 v14, v0
	v_ashrrev_i32_e32 v15, 31, v14
	v_add_co_u32_e32 v14, vcc, v19, v14
	v_addc_co_u32_e32 v15, vcc, v21, v15, vcc
; %bb.79:
	s_andn2_saveexec_b64 s[0:1], s[0:1]
; %bb.80:
	v_add_co_u32_e32 v14, vcc, v1, v0
	v_addc_co_u32_e32 v15, vcc, 0, v16, vcc
; %bb.81:
	s_or_b64 exec, exec, s[0:1]
	v_lshlrev_b64 v[14:15], 2, v[14:15]
	v_mov_b32_e32 v33, s25
	v_add_co_u32_e32 v14, vcc, s24, v14
	v_addc_co_u32_e32 v15, vcc, v33, v15, vcc
	v_cmp_ge_u32_e32 vcc, v32, v18
	s_waitcnt lgkmcnt(6)
	global_store_dword v[14:15], v12, off
                                        ; implicit-def: $vgpr14_vgpr15
	s_and_saveexec_b64 s[0:1], vcc
	s_xor_b64 s[0:1], exec, s[0:1]
; %bb.82:
	v_xor_b32_e32 v14, 0xfffffeff, v0
	v_ashrrev_i32_e32 v15, 31, v14
	v_add_co_u32_e32 v14, vcc, v19, v14
	v_addc_co_u32_e32 v15, vcc, v21, v15, vcc
; %bb.83:
	s_andn2_saveexec_b64 s[0:1], s[0:1]
; %bb.84:
	v_add_co_u32_e32 v14, vcc, v1, v32
	v_addc_co_u32_e32 v15, vcc, 0, v16, vcc
; %bb.85:
	s_or_b64 exec, exec, s[0:1]
	v_lshlrev_b64 v[14:15], 2, v[14:15]
	v_mov_b32_e32 v33, s25
	v_add_co_u32_e32 v14, vcc, s24, v14
	v_addc_co_u32_e32 v15, vcc, v33, v15, vcc
	v_cmp_ge_u32_e32 vcc, v31, v18
	global_store_dword v[14:15], v13, off
                                        ; implicit-def: $vgpr14_vgpr15
	s_and_saveexec_b64 s[0:1], vcc
	s_xor_b64 s[0:1], exec, s[0:1]
; %bb.86:
	v_xor_b32_e32 v14, 0xfffffdff, v0
	v_ashrrev_i32_e32 v15, 31, v14
	v_add_co_u32_e32 v14, vcc, v19, v14
	v_addc_co_u32_e32 v15, vcc, v21, v15, vcc
; %bb.87:
	s_andn2_saveexec_b64 s[0:1], s[0:1]
; %bb.88:
	v_add_co_u32_e32 v14, vcc, v1, v31
	v_addc_co_u32_e32 v15, vcc, 0, v16, vcc
; %bb.89:
	s_or_b64 exec, exec, s[0:1]
	v_lshlrev_b64 v[14:15], 2, v[14:15]
	v_mov_b32_e32 v33, s25
	v_add_co_u32_e32 v14, vcc, s24, v14
	v_addc_co_u32_e32 v15, vcc, v33, v15, vcc
	v_cmp_ge_u32_e32 vcc, v30, v18
	s_waitcnt lgkmcnt(5)
	global_store_dword v[14:15], v10, off
                                        ; implicit-def: $vgpr14_vgpr15
	s_and_saveexec_b64 s[0:1], vcc
	s_xor_b64 s[0:1], exec, s[0:1]
; %bb.90:
	v_xor_b32_e32 v14, 0xfffffcff, v0
	v_ashrrev_i32_e32 v15, 31, v14
	v_add_co_u32_e32 v14, vcc, v19, v14
	v_addc_co_u32_e32 v15, vcc, v21, v15, vcc
; %bb.91:
	s_andn2_saveexec_b64 s[0:1], s[0:1]
; %bb.92:
	v_add_co_u32_e32 v14, vcc, v1, v30
	v_addc_co_u32_e32 v15, vcc, 0, v16, vcc
; %bb.93:
	s_or_b64 exec, exec, s[0:1]
	v_lshlrev_b64 v[14:15], 2, v[14:15]
	v_mov_b32_e32 v33, s25
	v_add_co_u32_e32 v14, vcc, s24, v14
	v_addc_co_u32_e32 v15, vcc, v33, v15, vcc
	v_cmp_ge_u32_e32 vcc, v29, v18
	global_store_dword v[14:15], v11, off
                                        ; implicit-def: $vgpr14_vgpr15
	s_and_saveexec_b64 s[0:1], vcc
	s_xor_b64 s[0:1], exec, s[0:1]
; %bb.94:
	v_xor_b32_e32 v14, 0xfffffbff, v0
	;; [unrolled: 43-line block ×6, first 2 shown]
	v_ashrrev_i32_e32 v15, 31, v14
	v_add_co_u32_e32 v14, vcc, v19, v14
	v_addc_co_u32_e32 v15, vcc, v21, v15, vcc
; %bb.127:
	s_andn2_saveexec_b64 s[0:1], s[0:1]
; %bb.128:
	v_add_co_u32_e32 v14, vcc, v1, v20
	v_addc_co_u32_e32 v15, vcc, 0, v16, vcc
; %bb.129:
	s_or_b64 exec, exec, s[0:1]
	s_mov_b64 s[0:1], -1
	s_branch .LBB793_210
.LBB793_130:
	s_mov_b64 s[0:1], 0
                                        ; implicit-def: $vgpr14_vgpr15
	s_cbranch_execz .LBB793_210
; %bb.131:
	v_cmp_gt_u32_e32 vcc, s33, v0
	s_and_saveexec_b64 s[2:3], vcc
	s_cbranch_execz .LBB793_167
; %bb.132:
	v_cmp_ge_u32_e32 vcc, v0, v18
                                        ; implicit-def: $vgpr14_vgpr15
	s_and_saveexec_b64 s[4:5], vcc
	s_xor_b64 s[4:5], exec, s[4:5]
; %bb.133:
	v_not_b32_e32 v14, v0
	v_ashrrev_i32_e32 v15, 31, v14
	v_add_co_u32_e32 v14, vcc, v19, v14
	v_addc_co_u32_e32 v15, vcc, v21, v15, vcc
; %bb.134:
	s_andn2_saveexec_b64 s[4:5], s[4:5]
; %bb.135:
	v_add_co_u32_e32 v14, vcc, v1, v0
	v_addc_co_u32_e32 v15, vcc, 0, v16, vcc
; %bb.136:
	s_or_b64 exec, exec, s[4:5]
	v_lshlrev_b64 v[14:15], 2, v[14:15]
	v_mov_b32_e32 v33, s25
	v_add_co_u32_e32 v14, vcc, s24, v14
	v_addc_co_u32_e32 v15, vcc, v33, v15, vcc
	s_waitcnt lgkmcnt(6)
	global_store_dword v[14:15], v12, off
	s_or_b64 exec, exec, s[2:3]
	v_cmp_gt_u32_e32 vcc, s33, v32
	s_and_saveexec_b64 s[2:3], vcc
	s_cbranch_execnz .LBB793_168
.LBB793_137:
	s_or_b64 exec, exec, s[2:3]
	v_cmp_gt_u32_e32 vcc, s33, v31
	s_and_saveexec_b64 s[2:3], vcc
	s_cbranch_execz .LBB793_173
.LBB793_138:
	v_cmp_ge_u32_e32 vcc, v31, v18
                                        ; implicit-def: $vgpr12_vgpr13
	s_and_saveexec_b64 s[4:5], vcc
	s_xor_b64 s[4:5], exec, s[4:5]
	s_cbranch_execz .LBB793_140
; %bb.139:
	s_waitcnt lgkmcnt(6)
	v_xor_b32_e32 v12, 0xfffffdff, v0
	v_ashrrev_i32_e32 v13, 31, v12
	v_add_co_u32_e32 v12, vcc, v19, v12
	v_addc_co_u32_e32 v13, vcc, v21, v13, vcc
                                        ; implicit-def: $vgpr31
.LBB793_140:
	s_andn2_saveexec_b64 s[4:5], s[4:5]
	s_cbranch_execz .LBB793_142
; %bb.141:
	s_waitcnt lgkmcnt(6)
	v_add_co_u32_e32 v12, vcc, v1, v31
	v_addc_co_u32_e32 v13, vcc, 0, v16, vcc
.LBB793_142:
	s_or_b64 exec, exec, s[4:5]
	s_waitcnt lgkmcnt(6)
	v_lshlrev_b64 v[12:13], 2, v[12:13]
	v_mov_b32_e32 v14, s25
	v_add_co_u32_e32 v12, vcc, s24, v12
	v_addc_co_u32_e32 v13, vcc, v14, v13, vcc
	s_waitcnt lgkmcnt(5)
	global_store_dword v[12:13], v10, off
	s_or_b64 exec, exec, s[2:3]
	v_cmp_gt_u32_e32 vcc, s33, v30
	s_and_saveexec_b64 s[2:3], vcc
	s_cbranch_execnz .LBB793_174
.LBB793_143:
	s_or_b64 exec, exec, s[2:3]
	v_cmp_gt_u32_e32 vcc, s33, v29
	s_and_saveexec_b64 s[2:3], vcc
	s_cbranch_execz .LBB793_179
.LBB793_144:
	v_cmp_ge_u32_e32 vcc, v29, v18
                                        ; implicit-def: $vgpr10_vgpr11
	s_and_saveexec_b64 s[4:5], vcc
	s_xor_b64 s[4:5], exec, s[4:5]
	s_cbranch_execz .LBB793_146
; %bb.145:
	s_waitcnt lgkmcnt(5)
	v_xor_b32_e32 v10, 0xfffffbff, v0
	v_ashrrev_i32_e32 v11, 31, v10
	v_add_co_u32_e32 v10, vcc, v19, v10
	v_addc_co_u32_e32 v11, vcc, v21, v11, vcc
                                        ; implicit-def: $vgpr29
.LBB793_146:
	s_andn2_saveexec_b64 s[4:5], s[4:5]
	s_cbranch_execz .LBB793_148
; %bb.147:
	s_waitcnt lgkmcnt(5)
	v_add_co_u32_e32 v10, vcc, v1, v29
	v_addc_co_u32_e32 v11, vcc, 0, v16, vcc
.LBB793_148:
	s_or_b64 exec, exec, s[4:5]
	s_waitcnt lgkmcnt(5)
	v_lshlrev_b64 v[10:11], 2, v[10:11]
	v_mov_b32_e32 v12, s25
	v_add_co_u32_e32 v10, vcc, s24, v10
	v_addc_co_u32_e32 v11, vcc, v12, v11, vcc
	s_waitcnt lgkmcnt(4)
	global_store_dword v[10:11], v8, off
	s_or_b64 exec, exec, s[2:3]
	v_cmp_gt_u32_e32 vcc, s33, v28
	s_and_saveexec_b64 s[2:3], vcc
	s_cbranch_execnz .LBB793_180
.LBB793_149:
	s_or_b64 exec, exec, s[2:3]
	v_cmp_gt_u32_e32 vcc, s33, v27
	s_and_saveexec_b64 s[2:3], vcc
	s_cbranch_execz .LBB793_185
.LBB793_150:
	v_cmp_ge_u32_e32 vcc, v27, v18
                                        ; implicit-def: $vgpr8_vgpr9
	s_and_saveexec_b64 s[4:5], vcc
	s_xor_b64 s[4:5], exec, s[4:5]
	s_cbranch_execz .LBB793_152
; %bb.151:
	s_waitcnt lgkmcnt(4)
	v_xor_b32_e32 v8, 0xfffff9ff, v0
	v_ashrrev_i32_e32 v9, 31, v8
	v_add_co_u32_e32 v8, vcc, v19, v8
	v_addc_co_u32_e32 v9, vcc, v21, v9, vcc
                                        ; implicit-def: $vgpr27
.LBB793_152:
	s_andn2_saveexec_b64 s[4:5], s[4:5]
	s_cbranch_execz .LBB793_154
; %bb.153:
	s_waitcnt lgkmcnt(4)
	v_add_co_u32_e32 v8, vcc, v1, v27
	v_addc_co_u32_e32 v9, vcc, 0, v16, vcc
.LBB793_154:
	s_or_b64 exec, exec, s[4:5]
	s_waitcnt lgkmcnt(4)
	v_lshlrev_b64 v[8:9], 2, v[8:9]
	v_mov_b32_e32 v10, s25
	v_add_co_u32_e32 v8, vcc, s24, v8
	v_addc_co_u32_e32 v9, vcc, v10, v9, vcc
	s_waitcnt lgkmcnt(3)
	global_store_dword v[8:9], v6, off
	s_or_b64 exec, exec, s[2:3]
	v_cmp_gt_u32_e32 vcc, s33, v26
	s_and_saveexec_b64 s[2:3], vcc
	s_cbranch_execnz .LBB793_186
.LBB793_155:
	s_or_b64 exec, exec, s[2:3]
	v_cmp_gt_u32_e32 vcc, s33, v25
	s_and_saveexec_b64 s[2:3], vcc
	s_cbranch_execz .LBB793_191
.LBB793_156:
	v_cmp_ge_u32_e32 vcc, v25, v18
                                        ; implicit-def: $vgpr6_vgpr7
	s_and_saveexec_b64 s[4:5], vcc
	s_xor_b64 s[4:5], exec, s[4:5]
	s_cbranch_execz .LBB793_158
; %bb.157:
	s_waitcnt lgkmcnt(3)
	v_xor_b32_e32 v6, 0xfffff7ff, v0
	v_ashrrev_i32_e32 v7, 31, v6
	v_add_co_u32_e32 v6, vcc, v19, v6
	v_addc_co_u32_e32 v7, vcc, v21, v7, vcc
                                        ; implicit-def: $vgpr25
.LBB793_158:
	s_andn2_saveexec_b64 s[4:5], s[4:5]
	s_cbranch_execz .LBB793_160
; %bb.159:
	s_waitcnt lgkmcnt(3)
	v_add_co_u32_e32 v6, vcc, v1, v25
	v_addc_co_u32_e32 v7, vcc, 0, v16, vcc
.LBB793_160:
	s_or_b64 exec, exec, s[4:5]
	s_waitcnt lgkmcnt(3)
	v_lshlrev_b64 v[6:7], 2, v[6:7]
	v_mov_b32_e32 v8, s25
	v_add_co_u32_e32 v6, vcc, s24, v6
	v_addc_co_u32_e32 v7, vcc, v8, v7, vcc
	s_waitcnt lgkmcnt(2)
	global_store_dword v[6:7], v4, off
	s_or_b64 exec, exec, s[2:3]
	v_cmp_gt_u32_e32 vcc, s33, v24
	s_and_saveexec_b64 s[2:3], vcc
	s_cbranch_execnz .LBB793_192
.LBB793_161:
	s_or_b64 exec, exec, s[2:3]
	v_cmp_gt_u32_e32 vcc, s33, v23
	s_and_saveexec_b64 s[2:3], vcc
	s_cbranch_execz .LBB793_197
.LBB793_162:
	v_cmp_ge_u32_e32 vcc, v23, v18
                                        ; implicit-def: $vgpr4_vgpr5
	s_and_saveexec_b64 s[4:5], vcc
	s_xor_b64 s[4:5], exec, s[4:5]
	s_cbranch_execz .LBB793_164
; %bb.163:
	s_waitcnt lgkmcnt(2)
	v_xor_b32_e32 v4, 0xfffff5ff, v0
	v_ashrrev_i32_e32 v5, 31, v4
	v_add_co_u32_e32 v4, vcc, v19, v4
	v_addc_co_u32_e32 v5, vcc, v21, v5, vcc
                                        ; implicit-def: $vgpr23
.LBB793_164:
	s_andn2_saveexec_b64 s[4:5], s[4:5]
	s_cbranch_execz .LBB793_166
; %bb.165:
	s_waitcnt lgkmcnt(2)
	v_add_co_u32_e32 v4, vcc, v1, v23
	v_addc_co_u32_e32 v5, vcc, 0, v16, vcc
.LBB793_166:
	s_or_b64 exec, exec, s[4:5]
	s_waitcnt lgkmcnt(2)
	v_lshlrev_b64 v[4:5], 2, v[4:5]
	v_mov_b32_e32 v6, s25
	v_add_co_u32_e32 v4, vcc, s24, v4
	v_addc_co_u32_e32 v5, vcc, v6, v5, vcc
	s_waitcnt lgkmcnt(1)
	global_store_dword v[4:5], v2, off
	s_or_b64 exec, exec, s[2:3]
	v_cmp_gt_u32_e32 vcc, s33, v22
	s_and_saveexec_b64 s[2:3], vcc
	s_cbranch_execz .LBB793_203
	s_branch .LBB793_198
.LBB793_167:
	s_or_b64 exec, exec, s[2:3]
	v_cmp_gt_u32_e32 vcc, s33, v32
	s_and_saveexec_b64 s[2:3], vcc
	s_cbranch_execz .LBB793_137
.LBB793_168:
	v_cmp_ge_u32_e32 vcc, v32, v18
                                        ; implicit-def: $vgpr14_vgpr15
	s_and_saveexec_b64 s[4:5], vcc
	s_xor_b64 s[4:5], exec, s[4:5]
	s_cbranch_execz .LBB793_170
; %bb.169:
	s_waitcnt lgkmcnt(6)
	v_xor_b32_e32 v12, 0xfffffeff, v0
	v_ashrrev_i32_e32 v15, 31, v12
	v_add_co_u32_e32 v14, vcc, v19, v12
	v_addc_co_u32_e32 v15, vcc, v21, v15, vcc
                                        ; implicit-def: $vgpr32
.LBB793_170:
	s_andn2_saveexec_b64 s[4:5], s[4:5]
; %bb.171:
	v_add_co_u32_e32 v14, vcc, v1, v32
	v_addc_co_u32_e32 v15, vcc, 0, v16, vcc
; %bb.172:
	s_or_b64 exec, exec, s[4:5]
	v_lshlrev_b64 v[14:15], 2, v[14:15]
	s_waitcnt lgkmcnt(6)
	v_mov_b32_e32 v12, s25
	v_add_co_u32_e32 v14, vcc, s24, v14
	v_addc_co_u32_e32 v15, vcc, v12, v15, vcc
	global_store_dword v[14:15], v13, off
	s_or_b64 exec, exec, s[2:3]
	v_cmp_gt_u32_e32 vcc, s33, v31
	s_and_saveexec_b64 s[2:3], vcc
	s_cbranch_execnz .LBB793_138
.LBB793_173:
	s_or_b64 exec, exec, s[2:3]
	v_cmp_gt_u32_e32 vcc, s33, v30
	s_and_saveexec_b64 s[2:3], vcc
	s_cbranch_execz .LBB793_143
.LBB793_174:
	v_cmp_ge_u32_e32 vcc, v30, v18
                                        ; implicit-def: $vgpr12_vgpr13
	s_and_saveexec_b64 s[4:5], vcc
	s_xor_b64 s[4:5], exec, s[4:5]
	s_cbranch_execz .LBB793_176
; %bb.175:
	s_waitcnt lgkmcnt(5)
	v_xor_b32_e32 v10, 0xfffffcff, v0
	v_ashrrev_i32_e32 v13, 31, v10
	v_add_co_u32_e32 v12, vcc, v19, v10
	v_addc_co_u32_e32 v13, vcc, v21, v13, vcc
                                        ; implicit-def: $vgpr30
.LBB793_176:
	s_andn2_saveexec_b64 s[4:5], s[4:5]
	s_cbranch_execz .LBB793_178
; %bb.177:
	s_waitcnt lgkmcnt(6)
	v_add_co_u32_e32 v12, vcc, v1, v30
	v_addc_co_u32_e32 v13, vcc, 0, v16, vcc
.LBB793_178:
	s_or_b64 exec, exec, s[4:5]
	s_waitcnt lgkmcnt(6)
	v_lshlrev_b64 v[12:13], 2, v[12:13]
	s_waitcnt lgkmcnt(5)
	v_mov_b32_e32 v10, s25
	v_add_co_u32_e32 v12, vcc, s24, v12
	v_addc_co_u32_e32 v13, vcc, v10, v13, vcc
	global_store_dword v[12:13], v11, off
	s_or_b64 exec, exec, s[2:3]
	v_cmp_gt_u32_e32 vcc, s33, v29
	s_and_saveexec_b64 s[2:3], vcc
	s_cbranch_execnz .LBB793_144
.LBB793_179:
	s_or_b64 exec, exec, s[2:3]
	v_cmp_gt_u32_e32 vcc, s33, v28
	s_and_saveexec_b64 s[2:3], vcc
	s_cbranch_execz .LBB793_149
.LBB793_180:
	v_cmp_ge_u32_e32 vcc, v28, v18
                                        ; implicit-def: $vgpr10_vgpr11
	s_and_saveexec_b64 s[4:5], vcc
	s_xor_b64 s[4:5], exec, s[4:5]
	s_cbranch_execz .LBB793_182
; %bb.181:
	s_waitcnt lgkmcnt(4)
	v_xor_b32_e32 v8, 0xfffffaff, v0
	v_ashrrev_i32_e32 v11, 31, v8
	v_add_co_u32_e32 v10, vcc, v19, v8
	v_addc_co_u32_e32 v11, vcc, v21, v11, vcc
                                        ; implicit-def: $vgpr28
.LBB793_182:
	s_andn2_saveexec_b64 s[4:5], s[4:5]
	s_cbranch_execz .LBB793_184
; %bb.183:
	s_waitcnt lgkmcnt(5)
	v_add_co_u32_e32 v10, vcc, v1, v28
	v_addc_co_u32_e32 v11, vcc, 0, v16, vcc
.LBB793_184:
	s_or_b64 exec, exec, s[4:5]
	s_waitcnt lgkmcnt(5)
	v_lshlrev_b64 v[10:11], 2, v[10:11]
	s_waitcnt lgkmcnt(4)
	v_mov_b32_e32 v8, s25
	v_add_co_u32_e32 v10, vcc, s24, v10
	v_addc_co_u32_e32 v11, vcc, v8, v11, vcc
	global_store_dword v[10:11], v9, off
	s_or_b64 exec, exec, s[2:3]
	v_cmp_gt_u32_e32 vcc, s33, v27
	s_and_saveexec_b64 s[2:3], vcc
	s_cbranch_execnz .LBB793_150
.LBB793_185:
	s_or_b64 exec, exec, s[2:3]
	v_cmp_gt_u32_e32 vcc, s33, v26
	s_and_saveexec_b64 s[2:3], vcc
	s_cbranch_execz .LBB793_155
.LBB793_186:
	v_cmp_ge_u32_e32 vcc, v26, v18
                                        ; implicit-def: $vgpr8_vgpr9
	s_and_saveexec_b64 s[4:5], vcc
	s_xor_b64 s[4:5], exec, s[4:5]
	s_cbranch_execz .LBB793_188
; %bb.187:
	s_waitcnt lgkmcnt(3)
	v_xor_b32_e32 v6, 0xfffff8ff, v0
	v_ashrrev_i32_e32 v9, 31, v6
	v_add_co_u32_e32 v8, vcc, v19, v6
	v_addc_co_u32_e32 v9, vcc, v21, v9, vcc
                                        ; implicit-def: $vgpr26
.LBB793_188:
	s_andn2_saveexec_b64 s[4:5], s[4:5]
	s_cbranch_execz .LBB793_190
; %bb.189:
	s_waitcnt lgkmcnt(4)
	v_add_co_u32_e32 v8, vcc, v1, v26
	v_addc_co_u32_e32 v9, vcc, 0, v16, vcc
.LBB793_190:
	s_or_b64 exec, exec, s[4:5]
	s_waitcnt lgkmcnt(4)
	v_lshlrev_b64 v[8:9], 2, v[8:9]
	s_waitcnt lgkmcnt(3)
	v_mov_b32_e32 v6, s25
	v_add_co_u32_e32 v8, vcc, s24, v8
	v_addc_co_u32_e32 v9, vcc, v6, v9, vcc
	global_store_dword v[8:9], v7, off
	s_or_b64 exec, exec, s[2:3]
	v_cmp_gt_u32_e32 vcc, s33, v25
	s_and_saveexec_b64 s[2:3], vcc
	s_cbranch_execnz .LBB793_156
.LBB793_191:
	s_or_b64 exec, exec, s[2:3]
	v_cmp_gt_u32_e32 vcc, s33, v24
	s_and_saveexec_b64 s[2:3], vcc
	s_cbranch_execz .LBB793_161
.LBB793_192:
	v_cmp_ge_u32_e32 vcc, v24, v18
                                        ; implicit-def: $vgpr6_vgpr7
	s_and_saveexec_b64 s[4:5], vcc
	s_xor_b64 s[4:5], exec, s[4:5]
	s_cbranch_execz .LBB793_194
; %bb.193:
	s_waitcnt lgkmcnt(2)
	v_xor_b32_e32 v4, 0xfffff6ff, v0
	v_ashrrev_i32_e32 v7, 31, v4
	v_add_co_u32_e32 v6, vcc, v19, v4
	v_addc_co_u32_e32 v7, vcc, v21, v7, vcc
                                        ; implicit-def: $vgpr24
.LBB793_194:
	s_andn2_saveexec_b64 s[4:5], s[4:5]
	s_cbranch_execz .LBB793_196
; %bb.195:
	s_waitcnt lgkmcnt(3)
	v_add_co_u32_e32 v6, vcc, v1, v24
	v_addc_co_u32_e32 v7, vcc, 0, v16, vcc
.LBB793_196:
	s_or_b64 exec, exec, s[4:5]
	s_waitcnt lgkmcnt(3)
	v_lshlrev_b64 v[6:7], 2, v[6:7]
	s_waitcnt lgkmcnt(2)
	v_mov_b32_e32 v4, s25
	v_add_co_u32_e32 v6, vcc, s24, v6
	v_addc_co_u32_e32 v7, vcc, v4, v7, vcc
	global_store_dword v[6:7], v5, off
	s_or_b64 exec, exec, s[2:3]
	v_cmp_gt_u32_e32 vcc, s33, v23
	s_and_saveexec_b64 s[2:3], vcc
	s_cbranch_execnz .LBB793_162
.LBB793_197:
	s_or_b64 exec, exec, s[2:3]
	v_cmp_gt_u32_e32 vcc, s33, v22
	s_and_saveexec_b64 s[2:3], vcc
	s_cbranch_execz .LBB793_203
.LBB793_198:
	v_cmp_ge_u32_e32 vcc, v22, v18
                                        ; implicit-def: $vgpr4_vgpr5
	s_and_saveexec_b64 s[4:5], vcc
	s_xor_b64 s[4:5], exec, s[4:5]
	s_cbranch_execz .LBB793_200
; %bb.199:
	s_waitcnt lgkmcnt(1)
	v_xor_b32_e32 v2, 0xfffff4ff, v0
	v_ashrrev_i32_e32 v5, 31, v2
	v_add_co_u32_e32 v4, vcc, v19, v2
	v_addc_co_u32_e32 v5, vcc, v21, v5, vcc
                                        ; implicit-def: $vgpr22
.LBB793_200:
	s_andn2_saveexec_b64 s[4:5], s[4:5]
	s_cbranch_execz .LBB793_202
; %bb.201:
	s_waitcnt lgkmcnt(2)
	v_add_co_u32_e32 v4, vcc, v1, v22
	v_addc_co_u32_e32 v5, vcc, 0, v16, vcc
.LBB793_202:
	s_or_b64 exec, exec, s[4:5]
	s_waitcnt lgkmcnt(2)
	v_lshlrev_b64 v[4:5], 2, v[4:5]
	s_waitcnt lgkmcnt(1)
	v_mov_b32_e32 v2, s25
	v_add_co_u32_e32 v4, vcc, s24, v4
	v_addc_co_u32_e32 v5, vcc, v2, v5, vcc
	global_store_dword v[4:5], v3, off
.LBB793_203:
	s_or_b64 exec, exec, s[2:3]
	v_cmp_gt_u32_e32 vcc, s33, v20
                                        ; implicit-def: $vgpr14_vgpr15
	s_and_saveexec_b64 s[2:3], vcc
	s_cbranch_execz .LBB793_209
; %bb.204:
	v_cmp_ge_u32_e32 vcc, v20, v18
                                        ; implicit-def: $vgpr14_vgpr15
	s_and_saveexec_b64 s[4:5], vcc
	s_xor_b64 s[4:5], exec, s[4:5]
	s_cbranch_execz .LBB793_206
; %bb.205:
	s_waitcnt lgkmcnt(1)
	v_xor_b32_e32 v2, 0xfffff3ff, v0
	v_ashrrev_i32_e32 v3, 31, v2
	v_add_co_u32_e32 v14, vcc, v19, v2
	v_addc_co_u32_e32 v15, vcc, v21, v3, vcc
                                        ; implicit-def: $vgpr20
.LBB793_206:
	s_andn2_saveexec_b64 s[4:5], s[4:5]
; %bb.207:
	v_add_co_u32_e32 v14, vcc, v1, v20
	v_addc_co_u32_e32 v15, vcc, 0, v16, vcc
; %bb.208:
	s_or_b64 exec, exec, s[4:5]
	s_or_b64 s[0:1], s[0:1], exec
.LBB793_209:
	s_or_b64 exec, exec, s[2:3]
.LBB793_210:
	s_and_saveexec_b64 s[2:3], s[0:1]
	s_cbranch_execz .LBB793_212
; %bb.211:
	s_waitcnt lgkmcnt(1)
	v_lshlrev_b64 v[2:3], 2, v[14:15]
	v_mov_b32_e32 v4, s25
	v_add_co_u32_e32 v2, vcc, s24, v2
	v_addc_co_u32_e32 v3, vcc, v4, v3, vcc
	s_waitcnt lgkmcnt(0)
	global_store_dword v[2:3], v17, off
.LBB793_212:
	s_or_b64 exec, exec, s[2:3]
	v_cmp_eq_u32_e32 vcc, 0, v0
	s_and_b64 s[0:1], vcc, s[22:23]
	s_and_saveexec_b64 s[2:3], s[0:1]
	s_cbranch_execz .LBB793_214
; %bb.213:
	v_add_co_u32_e32 v0, vcc, v1, v18
	s_waitcnt lgkmcnt(1)
	v_mov_b32_e32 v2, 0
	v_addc_co_u32_e32 v1, vcc, 0, v16, vcc
	global_store_dwordx2 v2, v[0:1], s[20:21]
.LBB793_214:
	s_endpgm
	.section	.rodata,"a",@progbits
	.p2align	6, 0x0
	.amdhsa_kernel _ZN7rocprim17ROCPRIM_400000_NS6detail17trampoline_kernelINS0_13select_configILj256ELj13ELNS0_17block_load_methodE3ELS4_3ELS4_3ELNS0_20block_scan_algorithmE0ELj4294967295EEENS1_25partition_config_selectorILNS1_17partition_subalgoE3EjNS0_10empty_typeEbEEZZNS1_14partition_implILS8_3ELb0ES6_jNS0_17counting_iteratorIjlEEPS9_SE_NS0_5tupleIJPjSE_EEENSF_IJSE_SE_EEES9_SG_JZNS1_25segmented_radix_sort_implINS0_14default_configELb0EPKlPlSM_SN_N2at6native12_GLOBAL__N_18offset_tEEE10hipError_tPvRmT1_PNSt15iterator_traitsISV_E10value_typeET2_T3_PNSW_IS11_E10value_typeET4_jRbjT5_S17_jjP12ihipStream_tbEUljE_EEESS_ST_SU_S11_S15_S17_T6_T7_T9_mT8_S19_bDpT10_ENKUlT_T0_E_clISt17integral_constantIbLb1EES1L_IbLb0EEEEDaS1H_S1I_EUlS1H_E_NS1_11comp_targetILNS1_3genE4ELNS1_11target_archE910ELNS1_3gpuE8ELNS1_3repE0EEENS1_30default_config_static_selectorELNS0_4arch9wavefront6targetE1EEEvSV_
		.amdhsa_group_segment_fixed_size 13324
		.amdhsa_private_segment_fixed_size 0
		.amdhsa_kernarg_size 144
		.amdhsa_user_sgpr_count 6
		.amdhsa_user_sgpr_private_segment_buffer 1
		.amdhsa_user_sgpr_dispatch_ptr 0
		.amdhsa_user_sgpr_queue_ptr 0
		.amdhsa_user_sgpr_kernarg_segment_ptr 1
		.amdhsa_user_sgpr_dispatch_id 0
		.amdhsa_user_sgpr_flat_scratch_init 0
		.amdhsa_user_sgpr_kernarg_preload_length 0
		.amdhsa_user_sgpr_kernarg_preload_offset 0
		.amdhsa_user_sgpr_private_segment_size 0
		.amdhsa_uses_dynamic_stack 0
		.amdhsa_system_sgpr_private_segment_wavefront_offset 0
		.amdhsa_system_sgpr_workgroup_id_x 1
		.amdhsa_system_sgpr_workgroup_id_y 0
		.amdhsa_system_sgpr_workgroup_id_z 0
		.amdhsa_system_sgpr_workgroup_info 0
		.amdhsa_system_vgpr_workitem_id 0
		.amdhsa_next_free_vgpr 61
		.amdhsa_next_free_sgpr 46
		.amdhsa_accum_offset 64
		.amdhsa_reserve_vcc 1
		.amdhsa_reserve_flat_scratch 0
		.amdhsa_float_round_mode_32 0
		.amdhsa_float_round_mode_16_64 0
		.amdhsa_float_denorm_mode_32 3
		.amdhsa_float_denorm_mode_16_64 3
		.amdhsa_dx10_clamp 1
		.amdhsa_ieee_mode 1
		.amdhsa_fp16_overflow 0
		.amdhsa_tg_split 0
		.amdhsa_exception_fp_ieee_invalid_op 0
		.amdhsa_exception_fp_denorm_src 0
		.amdhsa_exception_fp_ieee_div_zero 0
		.amdhsa_exception_fp_ieee_overflow 0
		.amdhsa_exception_fp_ieee_underflow 0
		.amdhsa_exception_fp_ieee_inexact 0
		.amdhsa_exception_int_div_zero 0
	.end_amdhsa_kernel
	.section	.text._ZN7rocprim17ROCPRIM_400000_NS6detail17trampoline_kernelINS0_13select_configILj256ELj13ELNS0_17block_load_methodE3ELS4_3ELS4_3ELNS0_20block_scan_algorithmE0ELj4294967295EEENS1_25partition_config_selectorILNS1_17partition_subalgoE3EjNS0_10empty_typeEbEEZZNS1_14partition_implILS8_3ELb0ES6_jNS0_17counting_iteratorIjlEEPS9_SE_NS0_5tupleIJPjSE_EEENSF_IJSE_SE_EEES9_SG_JZNS1_25segmented_radix_sort_implINS0_14default_configELb0EPKlPlSM_SN_N2at6native12_GLOBAL__N_18offset_tEEE10hipError_tPvRmT1_PNSt15iterator_traitsISV_E10value_typeET2_T3_PNSW_IS11_E10value_typeET4_jRbjT5_S17_jjP12ihipStream_tbEUljE_EEESS_ST_SU_S11_S15_S17_T6_T7_T9_mT8_S19_bDpT10_ENKUlT_T0_E_clISt17integral_constantIbLb1EES1L_IbLb0EEEEDaS1H_S1I_EUlS1H_E_NS1_11comp_targetILNS1_3genE4ELNS1_11target_archE910ELNS1_3gpuE8ELNS1_3repE0EEENS1_30default_config_static_selectorELNS0_4arch9wavefront6targetE1EEEvSV_,"axG",@progbits,_ZN7rocprim17ROCPRIM_400000_NS6detail17trampoline_kernelINS0_13select_configILj256ELj13ELNS0_17block_load_methodE3ELS4_3ELS4_3ELNS0_20block_scan_algorithmE0ELj4294967295EEENS1_25partition_config_selectorILNS1_17partition_subalgoE3EjNS0_10empty_typeEbEEZZNS1_14partition_implILS8_3ELb0ES6_jNS0_17counting_iteratorIjlEEPS9_SE_NS0_5tupleIJPjSE_EEENSF_IJSE_SE_EEES9_SG_JZNS1_25segmented_radix_sort_implINS0_14default_configELb0EPKlPlSM_SN_N2at6native12_GLOBAL__N_18offset_tEEE10hipError_tPvRmT1_PNSt15iterator_traitsISV_E10value_typeET2_T3_PNSW_IS11_E10value_typeET4_jRbjT5_S17_jjP12ihipStream_tbEUljE_EEESS_ST_SU_S11_S15_S17_T6_T7_T9_mT8_S19_bDpT10_ENKUlT_T0_E_clISt17integral_constantIbLb1EES1L_IbLb0EEEEDaS1H_S1I_EUlS1H_E_NS1_11comp_targetILNS1_3genE4ELNS1_11target_archE910ELNS1_3gpuE8ELNS1_3repE0EEENS1_30default_config_static_selectorELNS0_4arch9wavefront6targetE1EEEvSV_,comdat
.Lfunc_end793:
	.size	_ZN7rocprim17ROCPRIM_400000_NS6detail17trampoline_kernelINS0_13select_configILj256ELj13ELNS0_17block_load_methodE3ELS4_3ELS4_3ELNS0_20block_scan_algorithmE0ELj4294967295EEENS1_25partition_config_selectorILNS1_17partition_subalgoE3EjNS0_10empty_typeEbEEZZNS1_14partition_implILS8_3ELb0ES6_jNS0_17counting_iteratorIjlEEPS9_SE_NS0_5tupleIJPjSE_EEENSF_IJSE_SE_EEES9_SG_JZNS1_25segmented_radix_sort_implINS0_14default_configELb0EPKlPlSM_SN_N2at6native12_GLOBAL__N_18offset_tEEE10hipError_tPvRmT1_PNSt15iterator_traitsISV_E10value_typeET2_T3_PNSW_IS11_E10value_typeET4_jRbjT5_S17_jjP12ihipStream_tbEUljE_EEESS_ST_SU_S11_S15_S17_T6_T7_T9_mT8_S19_bDpT10_ENKUlT_T0_E_clISt17integral_constantIbLb1EES1L_IbLb0EEEEDaS1H_S1I_EUlS1H_E_NS1_11comp_targetILNS1_3genE4ELNS1_11target_archE910ELNS1_3gpuE8ELNS1_3repE0EEENS1_30default_config_static_selectorELNS0_4arch9wavefront6targetE1EEEvSV_, .Lfunc_end793-_ZN7rocprim17ROCPRIM_400000_NS6detail17trampoline_kernelINS0_13select_configILj256ELj13ELNS0_17block_load_methodE3ELS4_3ELS4_3ELNS0_20block_scan_algorithmE0ELj4294967295EEENS1_25partition_config_selectorILNS1_17partition_subalgoE3EjNS0_10empty_typeEbEEZZNS1_14partition_implILS8_3ELb0ES6_jNS0_17counting_iteratorIjlEEPS9_SE_NS0_5tupleIJPjSE_EEENSF_IJSE_SE_EEES9_SG_JZNS1_25segmented_radix_sort_implINS0_14default_configELb0EPKlPlSM_SN_N2at6native12_GLOBAL__N_18offset_tEEE10hipError_tPvRmT1_PNSt15iterator_traitsISV_E10value_typeET2_T3_PNSW_IS11_E10value_typeET4_jRbjT5_S17_jjP12ihipStream_tbEUljE_EEESS_ST_SU_S11_S15_S17_T6_T7_T9_mT8_S19_bDpT10_ENKUlT_T0_E_clISt17integral_constantIbLb1EES1L_IbLb0EEEEDaS1H_S1I_EUlS1H_E_NS1_11comp_targetILNS1_3genE4ELNS1_11target_archE910ELNS1_3gpuE8ELNS1_3repE0EEENS1_30default_config_static_selectorELNS0_4arch9wavefront6targetE1EEEvSV_
                                        ; -- End function
	.section	.AMDGPU.csdata,"",@progbits
; Kernel info:
; codeLenInByte = 7756
; NumSgprs: 50
; NumVgprs: 61
; NumAgprs: 0
; TotalNumVgprs: 61
; ScratchSize: 0
; MemoryBound: 0
; FloatMode: 240
; IeeeMode: 1
; LDSByteSize: 13324 bytes/workgroup (compile time only)
; SGPRBlocks: 6
; VGPRBlocks: 7
; NumSGPRsForWavesPerEU: 50
; NumVGPRsForWavesPerEU: 61
; AccumOffset: 64
; Occupancy: 4
; WaveLimiterHint : 0
; COMPUTE_PGM_RSRC2:SCRATCH_EN: 0
; COMPUTE_PGM_RSRC2:USER_SGPR: 6
; COMPUTE_PGM_RSRC2:TRAP_HANDLER: 0
; COMPUTE_PGM_RSRC2:TGID_X_EN: 1
; COMPUTE_PGM_RSRC2:TGID_Y_EN: 0
; COMPUTE_PGM_RSRC2:TGID_Z_EN: 0
; COMPUTE_PGM_RSRC2:TIDIG_COMP_CNT: 0
; COMPUTE_PGM_RSRC3_GFX90A:ACCUM_OFFSET: 15
; COMPUTE_PGM_RSRC3_GFX90A:TG_SPLIT: 0
	.section	.text._ZN7rocprim17ROCPRIM_400000_NS6detail17trampoline_kernelINS0_13select_configILj256ELj13ELNS0_17block_load_methodE3ELS4_3ELS4_3ELNS0_20block_scan_algorithmE0ELj4294967295EEENS1_25partition_config_selectorILNS1_17partition_subalgoE3EjNS0_10empty_typeEbEEZZNS1_14partition_implILS8_3ELb0ES6_jNS0_17counting_iteratorIjlEEPS9_SE_NS0_5tupleIJPjSE_EEENSF_IJSE_SE_EEES9_SG_JZNS1_25segmented_radix_sort_implINS0_14default_configELb0EPKlPlSM_SN_N2at6native12_GLOBAL__N_18offset_tEEE10hipError_tPvRmT1_PNSt15iterator_traitsISV_E10value_typeET2_T3_PNSW_IS11_E10value_typeET4_jRbjT5_S17_jjP12ihipStream_tbEUljE_EEESS_ST_SU_S11_S15_S17_T6_T7_T9_mT8_S19_bDpT10_ENKUlT_T0_E_clISt17integral_constantIbLb1EES1L_IbLb0EEEEDaS1H_S1I_EUlS1H_E_NS1_11comp_targetILNS1_3genE3ELNS1_11target_archE908ELNS1_3gpuE7ELNS1_3repE0EEENS1_30default_config_static_selectorELNS0_4arch9wavefront6targetE1EEEvSV_,"axG",@progbits,_ZN7rocprim17ROCPRIM_400000_NS6detail17trampoline_kernelINS0_13select_configILj256ELj13ELNS0_17block_load_methodE3ELS4_3ELS4_3ELNS0_20block_scan_algorithmE0ELj4294967295EEENS1_25partition_config_selectorILNS1_17partition_subalgoE3EjNS0_10empty_typeEbEEZZNS1_14partition_implILS8_3ELb0ES6_jNS0_17counting_iteratorIjlEEPS9_SE_NS0_5tupleIJPjSE_EEENSF_IJSE_SE_EEES9_SG_JZNS1_25segmented_radix_sort_implINS0_14default_configELb0EPKlPlSM_SN_N2at6native12_GLOBAL__N_18offset_tEEE10hipError_tPvRmT1_PNSt15iterator_traitsISV_E10value_typeET2_T3_PNSW_IS11_E10value_typeET4_jRbjT5_S17_jjP12ihipStream_tbEUljE_EEESS_ST_SU_S11_S15_S17_T6_T7_T9_mT8_S19_bDpT10_ENKUlT_T0_E_clISt17integral_constantIbLb1EES1L_IbLb0EEEEDaS1H_S1I_EUlS1H_E_NS1_11comp_targetILNS1_3genE3ELNS1_11target_archE908ELNS1_3gpuE7ELNS1_3repE0EEENS1_30default_config_static_selectorELNS0_4arch9wavefront6targetE1EEEvSV_,comdat
	.globl	_ZN7rocprim17ROCPRIM_400000_NS6detail17trampoline_kernelINS0_13select_configILj256ELj13ELNS0_17block_load_methodE3ELS4_3ELS4_3ELNS0_20block_scan_algorithmE0ELj4294967295EEENS1_25partition_config_selectorILNS1_17partition_subalgoE3EjNS0_10empty_typeEbEEZZNS1_14partition_implILS8_3ELb0ES6_jNS0_17counting_iteratorIjlEEPS9_SE_NS0_5tupleIJPjSE_EEENSF_IJSE_SE_EEES9_SG_JZNS1_25segmented_radix_sort_implINS0_14default_configELb0EPKlPlSM_SN_N2at6native12_GLOBAL__N_18offset_tEEE10hipError_tPvRmT1_PNSt15iterator_traitsISV_E10value_typeET2_T3_PNSW_IS11_E10value_typeET4_jRbjT5_S17_jjP12ihipStream_tbEUljE_EEESS_ST_SU_S11_S15_S17_T6_T7_T9_mT8_S19_bDpT10_ENKUlT_T0_E_clISt17integral_constantIbLb1EES1L_IbLb0EEEEDaS1H_S1I_EUlS1H_E_NS1_11comp_targetILNS1_3genE3ELNS1_11target_archE908ELNS1_3gpuE7ELNS1_3repE0EEENS1_30default_config_static_selectorELNS0_4arch9wavefront6targetE1EEEvSV_ ; -- Begin function _ZN7rocprim17ROCPRIM_400000_NS6detail17trampoline_kernelINS0_13select_configILj256ELj13ELNS0_17block_load_methodE3ELS4_3ELS4_3ELNS0_20block_scan_algorithmE0ELj4294967295EEENS1_25partition_config_selectorILNS1_17partition_subalgoE3EjNS0_10empty_typeEbEEZZNS1_14partition_implILS8_3ELb0ES6_jNS0_17counting_iteratorIjlEEPS9_SE_NS0_5tupleIJPjSE_EEENSF_IJSE_SE_EEES9_SG_JZNS1_25segmented_radix_sort_implINS0_14default_configELb0EPKlPlSM_SN_N2at6native12_GLOBAL__N_18offset_tEEE10hipError_tPvRmT1_PNSt15iterator_traitsISV_E10value_typeET2_T3_PNSW_IS11_E10value_typeET4_jRbjT5_S17_jjP12ihipStream_tbEUljE_EEESS_ST_SU_S11_S15_S17_T6_T7_T9_mT8_S19_bDpT10_ENKUlT_T0_E_clISt17integral_constantIbLb1EES1L_IbLb0EEEEDaS1H_S1I_EUlS1H_E_NS1_11comp_targetILNS1_3genE3ELNS1_11target_archE908ELNS1_3gpuE7ELNS1_3repE0EEENS1_30default_config_static_selectorELNS0_4arch9wavefront6targetE1EEEvSV_
	.p2align	8
	.type	_ZN7rocprim17ROCPRIM_400000_NS6detail17trampoline_kernelINS0_13select_configILj256ELj13ELNS0_17block_load_methodE3ELS4_3ELS4_3ELNS0_20block_scan_algorithmE0ELj4294967295EEENS1_25partition_config_selectorILNS1_17partition_subalgoE3EjNS0_10empty_typeEbEEZZNS1_14partition_implILS8_3ELb0ES6_jNS0_17counting_iteratorIjlEEPS9_SE_NS0_5tupleIJPjSE_EEENSF_IJSE_SE_EEES9_SG_JZNS1_25segmented_radix_sort_implINS0_14default_configELb0EPKlPlSM_SN_N2at6native12_GLOBAL__N_18offset_tEEE10hipError_tPvRmT1_PNSt15iterator_traitsISV_E10value_typeET2_T3_PNSW_IS11_E10value_typeET4_jRbjT5_S17_jjP12ihipStream_tbEUljE_EEESS_ST_SU_S11_S15_S17_T6_T7_T9_mT8_S19_bDpT10_ENKUlT_T0_E_clISt17integral_constantIbLb1EES1L_IbLb0EEEEDaS1H_S1I_EUlS1H_E_NS1_11comp_targetILNS1_3genE3ELNS1_11target_archE908ELNS1_3gpuE7ELNS1_3repE0EEENS1_30default_config_static_selectorELNS0_4arch9wavefront6targetE1EEEvSV_,@function
_ZN7rocprim17ROCPRIM_400000_NS6detail17trampoline_kernelINS0_13select_configILj256ELj13ELNS0_17block_load_methodE3ELS4_3ELS4_3ELNS0_20block_scan_algorithmE0ELj4294967295EEENS1_25partition_config_selectorILNS1_17partition_subalgoE3EjNS0_10empty_typeEbEEZZNS1_14partition_implILS8_3ELb0ES6_jNS0_17counting_iteratorIjlEEPS9_SE_NS0_5tupleIJPjSE_EEENSF_IJSE_SE_EEES9_SG_JZNS1_25segmented_radix_sort_implINS0_14default_configELb0EPKlPlSM_SN_N2at6native12_GLOBAL__N_18offset_tEEE10hipError_tPvRmT1_PNSt15iterator_traitsISV_E10value_typeET2_T3_PNSW_IS11_E10value_typeET4_jRbjT5_S17_jjP12ihipStream_tbEUljE_EEESS_ST_SU_S11_S15_S17_T6_T7_T9_mT8_S19_bDpT10_ENKUlT_T0_E_clISt17integral_constantIbLb1EES1L_IbLb0EEEEDaS1H_S1I_EUlS1H_E_NS1_11comp_targetILNS1_3genE3ELNS1_11target_archE908ELNS1_3gpuE7ELNS1_3repE0EEENS1_30default_config_static_selectorELNS0_4arch9wavefront6targetE1EEEvSV_: ; @_ZN7rocprim17ROCPRIM_400000_NS6detail17trampoline_kernelINS0_13select_configILj256ELj13ELNS0_17block_load_methodE3ELS4_3ELS4_3ELNS0_20block_scan_algorithmE0ELj4294967295EEENS1_25partition_config_selectorILNS1_17partition_subalgoE3EjNS0_10empty_typeEbEEZZNS1_14partition_implILS8_3ELb0ES6_jNS0_17counting_iteratorIjlEEPS9_SE_NS0_5tupleIJPjSE_EEENSF_IJSE_SE_EEES9_SG_JZNS1_25segmented_radix_sort_implINS0_14default_configELb0EPKlPlSM_SN_N2at6native12_GLOBAL__N_18offset_tEEE10hipError_tPvRmT1_PNSt15iterator_traitsISV_E10value_typeET2_T3_PNSW_IS11_E10value_typeET4_jRbjT5_S17_jjP12ihipStream_tbEUljE_EEESS_ST_SU_S11_S15_S17_T6_T7_T9_mT8_S19_bDpT10_ENKUlT_T0_E_clISt17integral_constantIbLb1EES1L_IbLb0EEEEDaS1H_S1I_EUlS1H_E_NS1_11comp_targetILNS1_3genE3ELNS1_11target_archE908ELNS1_3gpuE7ELNS1_3repE0EEENS1_30default_config_static_selectorELNS0_4arch9wavefront6targetE1EEEvSV_
; %bb.0:
	.section	.rodata,"a",@progbits
	.p2align	6, 0x0
	.amdhsa_kernel _ZN7rocprim17ROCPRIM_400000_NS6detail17trampoline_kernelINS0_13select_configILj256ELj13ELNS0_17block_load_methodE3ELS4_3ELS4_3ELNS0_20block_scan_algorithmE0ELj4294967295EEENS1_25partition_config_selectorILNS1_17partition_subalgoE3EjNS0_10empty_typeEbEEZZNS1_14partition_implILS8_3ELb0ES6_jNS0_17counting_iteratorIjlEEPS9_SE_NS0_5tupleIJPjSE_EEENSF_IJSE_SE_EEES9_SG_JZNS1_25segmented_radix_sort_implINS0_14default_configELb0EPKlPlSM_SN_N2at6native12_GLOBAL__N_18offset_tEEE10hipError_tPvRmT1_PNSt15iterator_traitsISV_E10value_typeET2_T3_PNSW_IS11_E10value_typeET4_jRbjT5_S17_jjP12ihipStream_tbEUljE_EEESS_ST_SU_S11_S15_S17_T6_T7_T9_mT8_S19_bDpT10_ENKUlT_T0_E_clISt17integral_constantIbLb1EES1L_IbLb0EEEEDaS1H_S1I_EUlS1H_E_NS1_11comp_targetILNS1_3genE3ELNS1_11target_archE908ELNS1_3gpuE7ELNS1_3repE0EEENS1_30default_config_static_selectorELNS0_4arch9wavefront6targetE1EEEvSV_
		.amdhsa_group_segment_fixed_size 0
		.amdhsa_private_segment_fixed_size 0
		.amdhsa_kernarg_size 144
		.amdhsa_user_sgpr_count 6
		.amdhsa_user_sgpr_private_segment_buffer 1
		.amdhsa_user_sgpr_dispatch_ptr 0
		.amdhsa_user_sgpr_queue_ptr 0
		.amdhsa_user_sgpr_kernarg_segment_ptr 1
		.amdhsa_user_sgpr_dispatch_id 0
		.amdhsa_user_sgpr_flat_scratch_init 0
		.amdhsa_user_sgpr_kernarg_preload_length 0
		.amdhsa_user_sgpr_kernarg_preload_offset 0
		.amdhsa_user_sgpr_private_segment_size 0
		.amdhsa_uses_dynamic_stack 0
		.amdhsa_system_sgpr_private_segment_wavefront_offset 0
		.amdhsa_system_sgpr_workgroup_id_x 1
		.amdhsa_system_sgpr_workgroup_id_y 0
		.amdhsa_system_sgpr_workgroup_id_z 0
		.amdhsa_system_sgpr_workgroup_info 0
		.amdhsa_system_vgpr_workitem_id 0
		.amdhsa_next_free_vgpr 1
		.amdhsa_next_free_sgpr 0
		.amdhsa_accum_offset 4
		.amdhsa_reserve_vcc 0
		.amdhsa_reserve_flat_scratch 0
		.amdhsa_float_round_mode_32 0
		.amdhsa_float_round_mode_16_64 0
		.amdhsa_float_denorm_mode_32 3
		.amdhsa_float_denorm_mode_16_64 3
		.amdhsa_dx10_clamp 1
		.amdhsa_ieee_mode 1
		.amdhsa_fp16_overflow 0
		.amdhsa_tg_split 0
		.amdhsa_exception_fp_ieee_invalid_op 0
		.amdhsa_exception_fp_denorm_src 0
		.amdhsa_exception_fp_ieee_div_zero 0
		.amdhsa_exception_fp_ieee_overflow 0
		.amdhsa_exception_fp_ieee_underflow 0
		.amdhsa_exception_fp_ieee_inexact 0
		.amdhsa_exception_int_div_zero 0
	.end_amdhsa_kernel
	.section	.text._ZN7rocprim17ROCPRIM_400000_NS6detail17trampoline_kernelINS0_13select_configILj256ELj13ELNS0_17block_load_methodE3ELS4_3ELS4_3ELNS0_20block_scan_algorithmE0ELj4294967295EEENS1_25partition_config_selectorILNS1_17partition_subalgoE3EjNS0_10empty_typeEbEEZZNS1_14partition_implILS8_3ELb0ES6_jNS0_17counting_iteratorIjlEEPS9_SE_NS0_5tupleIJPjSE_EEENSF_IJSE_SE_EEES9_SG_JZNS1_25segmented_radix_sort_implINS0_14default_configELb0EPKlPlSM_SN_N2at6native12_GLOBAL__N_18offset_tEEE10hipError_tPvRmT1_PNSt15iterator_traitsISV_E10value_typeET2_T3_PNSW_IS11_E10value_typeET4_jRbjT5_S17_jjP12ihipStream_tbEUljE_EEESS_ST_SU_S11_S15_S17_T6_T7_T9_mT8_S19_bDpT10_ENKUlT_T0_E_clISt17integral_constantIbLb1EES1L_IbLb0EEEEDaS1H_S1I_EUlS1H_E_NS1_11comp_targetILNS1_3genE3ELNS1_11target_archE908ELNS1_3gpuE7ELNS1_3repE0EEENS1_30default_config_static_selectorELNS0_4arch9wavefront6targetE1EEEvSV_,"axG",@progbits,_ZN7rocprim17ROCPRIM_400000_NS6detail17trampoline_kernelINS0_13select_configILj256ELj13ELNS0_17block_load_methodE3ELS4_3ELS4_3ELNS0_20block_scan_algorithmE0ELj4294967295EEENS1_25partition_config_selectorILNS1_17partition_subalgoE3EjNS0_10empty_typeEbEEZZNS1_14partition_implILS8_3ELb0ES6_jNS0_17counting_iteratorIjlEEPS9_SE_NS0_5tupleIJPjSE_EEENSF_IJSE_SE_EEES9_SG_JZNS1_25segmented_radix_sort_implINS0_14default_configELb0EPKlPlSM_SN_N2at6native12_GLOBAL__N_18offset_tEEE10hipError_tPvRmT1_PNSt15iterator_traitsISV_E10value_typeET2_T3_PNSW_IS11_E10value_typeET4_jRbjT5_S17_jjP12ihipStream_tbEUljE_EEESS_ST_SU_S11_S15_S17_T6_T7_T9_mT8_S19_bDpT10_ENKUlT_T0_E_clISt17integral_constantIbLb1EES1L_IbLb0EEEEDaS1H_S1I_EUlS1H_E_NS1_11comp_targetILNS1_3genE3ELNS1_11target_archE908ELNS1_3gpuE7ELNS1_3repE0EEENS1_30default_config_static_selectorELNS0_4arch9wavefront6targetE1EEEvSV_,comdat
.Lfunc_end794:
	.size	_ZN7rocprim17ROCPRIM_400000_NS6detail17trampoline_kernelINS0_13select_configILj256ELj13ELNS0_17block_load_methodE3ELS4_3ELS4_3ELNS0_20block_scan_algorithmE0ELj4294967295EEENS1_25partition_config_selectorILNS1_17partition_subalgoE3EjNS0_10empty_typeEbEEZZNS1_14partition_implILS8_3ELb0ES6_jNS0_17counting_iteratorIjlEEPS9_SE_NS0_5tupleIJPjSE_EEENSF_IJSE_SE_EEES9_SG_JZNS1_25segmented_radix_sort_implINS0_14default_configELb0EPKlPlSM_SN_N2at6native12_GLOBAL__N_18offset_tEEE10hipError_tPvRmT1_PNSt15iterator_traitsISV_E10value_typeET2_T3_PNSW_IS11_E10value_typeET4_jRbjT5_S17_jjP12ihipStream_tbEUljE_EEESS_ST_SU_S11_S15_S17_T6_T7_T9_mT8_S19_bDpT10_ENKUlT_T0_E_clISt17integral_constantIbLb1EES1L_IbLb0EEEEDaS1H_S1I_EUlS1H_E_NS1_11comp_targetILNS1_3genE3ELNS1_11target_archE908ELNS1_3gpuE7ELNS1_3repE0EEENS1_30default_config_static_selectorELNS0_4arch9wavefront6targetE1EEEvSV_, .Lfunc_end794-_ZN7rocprim17ROCPRIM_400000_NS6detail17trampoline_kernelINS0_13select_configILj256ELj13ELNS0_17block_load_methodE3ELS4_3ELS4_3ELNS0_20block_scan_algorithmE0ELj4294967295EEENS1_25partition_config_selectorILNS1_17partition_subalgoE3EjNS0_10empty_typeEbEEZZNS1_14partition_implILS8_3ELb0ES6_jNS0_17counting_iteratorIjlEEPS9_SE_NS0_5tupleIJPjSE_EEENSF_IJSE_SE_EEES9_SG_JZNS1_25segmented_radix_sort_implINS0_14default_configELb0EPKlPlSM_SN_N2at6native12_GLOBAL__N_18offset_tEEE10hipError_tPvRmT1_PNSt15iterator_traitsISV_E10value_typeET2_T3_PNSW_IS11_E10value_typeET4_jRbjT5_S17_jjP12ihipStream_tbEUljE_EEESS_ST_SU_S11_S15_S17_T6_T7_T9_mT8_S19_bDpT10_ENKUlT_T0_E_clISt17integral_constantIbLb1EES1L_IbLb0EEEEDaS1H_S1I_EUlS1H_E_NS1_11comp_targetILNS1_3genE3ELNS1_11target_archE908ELNS1_3gpuE7ELNS1_3repE0EEENS1_30default_config_static_selectorELNS0_4arch9wavefront6targetE1EEEvSV_
                                        ; -- End function
	.section	.AMDGPU.csdata,"",@progbits
; Kernel info:
; codeLenInByte = 0
; NumSgprs: 4
; NumVgprs: 0
; NumAgprs: 0
; TotalNumVgprs: 0
; ScratchSize: 0
; MemoryBound: 0
; FloatMode: 240
; IeeeMode: 1
; LDSByteSize: 0 bytes/workgroup (compile time only)
; SGPRBlocks: 0
; VGPRBlocks: 0
; NumSGPRsForWavesPerEU: 4
; NumVGPRsForWavesPerEU: 1
; AccumOffset: 4
; Occupancy: 8
; WaveLimiterHint : 0
; COMPUTE_PGM_RSRC2:SCRATCH_EN: 0
; COMPUTE_PGM_RSRC2:USER_SGPR: 6
; COMPUTE_PGM_RSRC2:TRAP_HANDLER: 0
; COMPUTE_PGM_RSRC2:TGID_X_EN: 1
; COMPUTE_PGM_RSRC2:TGID_Y_EN: 0
; COMPUTE_PGM_RSRC2:TGID_Z_EN: 0
; COMPUTE_PGM_RSRC2:TIDIG_COMP_CNT: 0
; COMPUTE_PGM_RSRC3_GFX90A:ACCUM_OFFSET: 0
; COMPUTE_PGM_RSRC3_GFX90A:TG_SPLIT: 0
	.section	.text._ZN7rocprim17ROCPRIM_400000_NS6detail17trampoline_kernelINS0_13select_configILj256ELj13ELNS0_17block_load_methodE3ELS4_3ELS4_3ELNS0_20block_scan_algorithmE0ELj4294967295EEENS1_25partition_config_selectorILNS1_17partition_subalgoE3EjNS0_10empty_typeEbEEZZNS1_14partition_implILS8_3ELb0ES6_jNS0_17counting_iteratorIjlEEPS9_SE_NS0_5tupleIJPjSE_EEENSF_IJSE_SE_EEES9_SG_JZNS1_25segmented_radix_sort_implINS0_14default_configELb0EPKlPlSM_SN_N2at6native12_GLOBAL__N_18offset_tEEE10hipError_tPvRmT1_PNSt15iterator_traitsISV_E10value_typeET2_T3_PNSW_IS11_E10value_typeET4_jRbjT5_S17_jjP12ihipStream_tbEUljE_EEESS_ST_SU_S11_S15_S17_T6_T7_T9_mT8_S19_bDpT10_ENKUlT_T0_E_clISt17integral_constantIbLb1EES1L_IbLb0EEEEDaS1H_S1I_EUlS1H_E_NS1_11comp_targetILNS1_3genE2ELNS1_11target_archE906ELNS1_3gpuE6ELNS1_3repE0EEENS1_30default_config_static_selectorELNS0_4arch9wavefront6targetE1EEEvSV_,"axG",@progbits,_ZN7rocprim17ROCPRIM_400000_NS6detail17trampoline_kernelINS0_13select_configILj256ELj13ELNS0_17block_load_methodE3ELS4_3ELS4_3ELNS0_20block_scan_algorithmE0ELj4294967295EEENS1_25partition_config_selectorILNS1_17partition_subalgoE3EjNS0_10empty_typeEbEEZZNS1_14partition_implILS8_3ELb0ES6_jNS0_17counting_iteratorIjlEEPS9_SE_NS0_5tupleIJPjSE_EEENSF_IJSE_SE_EEES9_SG_JZNS1_25segmented_radix_sort_implINS0_14default_configELb0EPKlPlSM_SN_N2at6native12_GLOBAL__N_18offset_tEEE10hipError_tPvRmT1_PNSt15iterator_traitsISV_E10value_typeET2_T3_PNSW_IS11_E10value_typeET4_jRbjT5_S17_jjP12ihipStream_tbEUljE_EEESS_ST_SU_S11_S15_S17_T6_T7_T9_mT8_S19_bDpT10_ENKUlT_T0_E_clISt17integral_constantIbLb1EES1L_IbLb0EEEEDaS1H_S1I_EUlS1H_E_NS1_11comp_targetILNS1_3genE2ELNS1_11target_archE906ELNS1_3gpuE6ELNS1_3repE0EEENS1_30default_config_static_selectorELNS0_4arch9wavefront6targetE1EEEvSV_,comdat
	.globl	_ZN7rocprim17ROCPRIM_400000_NS6detail17trampoline_kernelINS0_13select_configILj256ELj13ELNS0_17block_load_methodE3ELS4_3ELS4_3ELNS0_20block_scan_algorithmE0ELj4294967295EEENS1_25partition_config_selectorILNS1_17partition_subalgoE3EjNS0_10empty_typeEbEEZZNS1_14partition_implILS8_3ELb0ES6_jNS0_17counting_iteratorIjlEEPS9_SE_NS0_5tupleIJPjSE_EEENSF_IJSE_SE_EEES9_SG_JZNS1_25segmented_radix_sort_implINS0_14default_configELb0EPKlPlSM_SN_N2at6native12_GLOBAL__N_18offset_tEEE10hipError_tPvRmT1_PNSt15iterator_traitsISV_E10value_typeET2_T3_PNSW_IS11_E10value_typeET4_jRbjT5_S17_jjP12ihipStream_tbEUljE_EEESS_ST_SU_S11_S15_S17_T6_T7_T9_mT8_S19_bDpT10_ENKUlT_T0_E_clISt17integral_constantIbLb1EES1L_IbLb0EEEEDaS1H_S1I_EUlS1H_E_NS1_11comp_targetILNS1_3genE2ELNS1_11target_archE906ELNS1_3gpuE6ELNS1_3repE0EEENS1_30default_config_static_selectorELNS0_4arch9wavefront6targetE1EEEvSV_ ; -- Begin function _ZN7rocprim17ROCPRIM_400000_NS6detail17trampoline_kernelINS0_13select_configILj256ELj13ELNS0_17block_load_methodE3ELS4_3ELS4_3ELNS0_20block_scan_algorithmE0ELj4294967295EEENS1_25partition_config_selectorILNS1_17partition_subalgoE3EjNS0_10empty_typeEbEEZZNS1_14partition_implILS8_3ELb0ES6_jNS0_17counting_iteratorIjlEEPS9_SE_NS0_5tupleIJPjSE_EEENSF_IJSE_SE_EEES9_SG_JZNS1_25segmented_radix_sort_implINS0_14default_configELb0EPKlPlSM_SN_N2at6native12_GLOBAL__N_18offset_tEEE10hipError_tPvRmT1_PNSt15iterator_traitsISV_E10value_typeET2_T3_PNSW_IS11_E10value_typeET4_jRbjT5_S17_jjP12ihipStream_tbEUljE_EEESS_ST_SU_S11_S15_S17_T6_T7_T9_mT8_S19_bDpT10_ENKUlT_T0_E_clISt17integral_constantIbLb1EES1L_IbLb0EEEEDaS1H_S1I_EUlS1H_E_NS1_11comp_targetILNS1_3genE2ELNS1_11target_archE906ELNS1_3gpuE6ELNS1_3repE0EEENS1_30default_config_static_selectorELNS0_4arch9wavefront6targetE1EEEvSV_
	.p2align	8
	.type	_ZN7rocprim17ROCPRIM_400000_NS6detail17trampoline_kernelINS0_13select_configILj256ELj13ELNS0_17block_load_methodE3ELS4_3ELS4_3ELNS0_20block_scan_algorithmE0ELj4294967295EEENS1_25partition_config_selectorILNS1_17partition_subalgoE3EjNS0_10empty_typeEbEEZZNS1_14partition_implILS8_3ELb0ES6_jNS0_17counting_iteratorIjlEEPS9_SE_NS0_5tupleIJPjSE_EEENSF_IJSE_SE_EEES9_SG_JZNS1_25segmented_radix_sort_implINS0_14default_configELb0EPKlPlSM_SN_N2at6native12_GLOBAL__N_18offset_tEEE10hipError_tPvRmT1_PNSt15iterator_traitsISV_E10value_typeET2_T3_PNSW_IS11_E10value_typeET4_jRbjT5_S17_jjP12ihipStream_tbEUljE_EEESS_ST_SU_S11_S15_S17_T6_T7_T9_mT8_S19_bDpT10_ENKUlT_T0_E_clISt17integral_constantIbLb1EES1L_IbLb0EEEEDaS1H_S1I_EUlS1H_E_NS1_11comp_targetILNS1_3genE2ELNS1_11target_archE906ELNS1_3gpuE6ELNS1_3repE0EEENS1_30default_config_static_selectorELNS0_4arch9wavefront6targetE1EEEvSV_,@function
_ZN7rocprim17ROCPRIM_400000_NS6detail17trampoline_kernelINS0_13select_configILj256ELj13ELNS0_17block_load_methodE3ELS4_3ELS4_3ELNS0_20block_scan_algorithmE0ELj4294967295EEENS1_25partition_config_selectorILNS1_17partition_subalgoE3EjNS0_10empty_typeEbEEZZNS1_14partition_implILS8_3ELb0ES6_jNS0_17counting_iteratorIjlEEPS9_SE_NS0_5tupleIJPjSE_EEENSF_IJSE_SE_EEES9_SG_JZNS1_25segmented_radix_sort_implINS0_14default_configELb0EPKlPlSM_SN_N2at6native12_GLOBAL__N_18offset_tEEE10hipError_tPvRmT1_PNSt15iterator_traitsISV_E10value_typeET2_T3_PNSW_IS11_E10value_typeET4_jRbjT5_S17_jjP12ihipStream_tbEUljE_EEESS_ST_SU_S11_S15_S17_T6_T7_T9_mT8_S19_bDpT10_ENKUlT_T0_E_clISt17integral_constantIbLb1EES1L_IbLb0EEEEDaS1H_S1I_EUlS1H_E_NS1_11comp_targetILNS1_3genE2ELNS1_11target_archE906ELNS1_3gpuE6ELNS1_3repE0EEENS1_30default_config_static_selectorELNS0_4arch9wavefront6targetE1EEEvSV_: ; @_ZN7rocprim17ROCPRIM_400000_NS6detail17trampoline_kernelINS0_13select_configILj256ELj13ELNS0_17block_load_methodE3ELS4_3ELS4_3ELNS0_20block_scan_algorithmE0ELj4294967295EEENS1_25partition_config_selectorILNS1_17partition_subalgoE3EjNS0_10empty_typeEbEEZZNS1_14partition_implILS8_3ELb0ES6_jNS0_17counting_iteratorIjlEEPS9_SE_NS0_5tupleIJPjSE_EEENSF_IJSE_SE_EEES9_SG_JZNS1_25segmented_radix_sort_implINS0_14default_configELb0EPKlPlSM_SN_N2at6native12_GLOBAL__N_18offset_tEEE10hipError_tPvRmT1_PNSt15iterator_traitsISV_E10value_typeET2_T3_PNSW_IS11_E10value_typeET4_jRbjT5_S17_jjP12ihipStream_tbEUljE_EEESS_ST_SU_S11_S15_S17_T6_T7_T9_mT8_S19_bDpT10_ENKUlT_T0_E_clISt17integral_constantIbLb1EES1L_IbLb0EEEEDaS1H_S1I_EUlS1H_E_NS1_11comp_targetILNS1_3genE2ELNS1_11target_archE906ELNS1_3gpuE6ELNS1_3repE0EEENS1_30default_config_static_selectorELNS0_4arch9wavefront6targetE1EEEvSV_
; %bb.0:
	.section	.rodata,"a",@progbits
	.p2align	6, 0x0
	.amdhsa_kernel _ZN7rocprim17ROCPRIM_400000_NS6detail17trampoline_kernelINS0_13select_configILj256ELj13ELNS0_17block_load_methodE3ELS4_3ELS4_3ELNS0_20block_scan_algorithmE0ELj4294967295EEENS1_25partition_config_selectorILNS1_17partition_subalgoE3EjNS0_10empty_typeEbEEZZNS1_14partition_implILS8_3ELb0ES6_jNS0_17counting_iteratorIjlEEPS9_SE_NS0_5tupleIJPjSE_EEENSF_IJSE_SE_EEES9_SG_JZNS1_25segmented_radix_sort_implINS0_14default_configELb0EPKlPlSM_SN_N2at6native12_GLOBAL__N_18offset_tEEE10hipError_tPvRmT1_PNSt15iterator_traitsISV_E10value_typeET2_T3_PNSW_IS11_E10value_typeET4_jRbjT5_S17_jjP12ihipStream_tbEUljE_EEESS_ST_SU_S11_S15_S17_T6_T7_T9_mT8_S19_bDpT10_ENKUlT_T0_E_clISt17integral_constantIbLb1EES1L_IbLb0EEEEDaS1H_S1I_EUlS1H_E_NS1_11comp_targetILNS1_3genE2ELNS1_11target_archE906ELNS1_3gpuE6ELNS1_3repE0EEENS1_30default_config_static_selectorELNS0_4arch9wavefront6targetE1EEEvSV_
		.amdhsa_group_segment_fixed_size 0
		.amdhsa_private_segment_fixed_size 0
		.amdhsa_kernarg_size 144
		.amdhsa_user_sgpr_count 6
		.amdhsa_user_sgpr_private_segment_buffer 1
		.amdhsa_user_sgpr_dispatch_ptr 0
		.amdhsa_user_sgpr_queue_ptr 0
		.amdhsa_user_sgpr_kernarg_segment_ptr 1
		.amdhsa_user_sgpr_dispatch_id 0
		.amdhsa_user_sgpr_flat_scratch_init 0
		.amdhsa_user_sgpr_kernarg_preload_length 0
		.amdhsa_user_sgpr_kernarg_preload_offset 0
		.amdhsa_user_sgpr_private_segment_size 0
		.amdhsa_uses_dynamic_stack 0
		.amdhsa_system_sgpr_private_segment_wavefront_offset 0
		.amdhsa_system_sgpr_workgroup_id_x 1
		.amdhsa_system_sgpr_workgroup_id_y 0
		.amdhsa_system_sgpr_workgroup_id_z 0
		.amdhsa_system_sgpr_workgroup_info 0
		.amdhsa_system_vgpr_workitem_id 0
		.amdhsa_next_free_vgpr 1
		.amdhsa_next_free_sgpr 0
		.amdhsa_accum_offset 4
		.amdhsa_reserve_vcc 0
		.amdhsa_reserve_flat_scratch 0
		.amdhsa_float_round_mode_32 0
		.amdhsa_float_round_mode_16_64 0
		.amdhsa_float_denorm_mode_32 3
		.amdhsa_float_denorm_mode_16_64 3
		.amdhsa_dx10_clamp 1
		.amdhsa_ieee_mode 1
		.amdhsa_fp16_overflow 0
		.amdhsa_tg_split 0
		.amdhsa_exception_fp_ieee_invalid_op 0
		.amdhsa_exception_fp_denorm_src 0
		.amdhsa_exception_fp_ieee_div_zero 0
		.amdhsa_exception_fp_ieee_overflow 0
		.amdhsa_exception_fp_ieee_underflow 0
		.amdhsa_exception_fp_ieee_inexact 0
		.amdhsa_exception_int_div_zero 0
	.end_amdhsa_kernel
	.section	.text._ZN7rocprim17ROCPRIM_400000_NS6detail17trampoline_kernelINS0_13select_configILj256ELj13ELNS0_17block_load_methodE3ELS4_3ELS4_3ELNS0_20block_scan_algorithmE0ELj4294967295EEENS1_25partition_config_selectorILNS1_17partition_subalgoE3EjNS0_10empty_typeEbEEZZNS1_14partition_implILS8_3ELb0ES6_jNS0_17counting_iteratorIjlEEPS9_SE_NS0_5tupleIJPjSE_EEENSF_IJSE_SE_EEES9_SG_JZNS1_25segmented_radix_sort_implINS0_14default_configELb0EPKlPlSM_SN_N2at6native12_GLOBAL__N_18offset_tEEE10hipError_tPvRmT1_PNSt15iterator_traitsISV_E10value_typeET2_T3_PNSW_IS11_E10value_typeET4_jRbjT5_S17_jjP12ihipStream_tbEUljE_EEESS_ST_SU_S11_S15_S17_T6_T7_T9_mT8_S19_bDpT10_ENKUlT_T0_E_clISt17integral_constantIbLb1EES1L_IbLb0EEEEDaS1H_S1I_EUlS1H_E_NS1_11comp_targetILNS1_3genE2ELNS1_11target_archE906ELNS1_3gpuE6ELNS1_3repE0EEENS1_30default_config_static_selectorELNS0_4arch9wavefront6targetE1EEEvSV_,"axG",@progbits,_ZN7rocprim17ROCPRIM_400000_NS6detail17trampoline_kernelINS0_13select_configILj256ELj13ELNS0_17block_load_methodE3ELS4_3ELS4_3ELNS0_20block_scan_algorithmE0ELj4294967295EEENS1_25partition_config_selectorILNS1_17partition_subalgoE3EjNS0_10empty_typeEbEEZZNS1_14partition_implILS8_3ELb0ES6_jNS0_17counting_iteratorIjlEEPS9_SE_NS0_5tupleIJPjSE_EEENSF_IJSE_SE_EEES9_SG_JZNS1_25segmented_radix_sort_implINS0_14default_configELb0EPKlPlSM_SN_N2at6native12_GLOBAL__N_18offset_tEEE10hipError_tPvRmT1_PNSt15iterator_traitsISV_E10value_typeET2_T3_PNSW_IS11_E10value_typeET4_jRbjT5_S17_jjP12ihipStream_tbEUljE_EEESS_ST_SU_S11_S15_S17_T6_T7_T9_mT8_S19_bDpT10_ENKUlT_T0_E_clISt17integral_constantIbLb1EES1L_IbLb0EEEEDaS1H_S1I_EUlS1H_E_NS1_11comp_targetILNS1_3genE2ELNS1_11target_archE906ELNS1_3gpuE6ELNS1_3repE0EEENS1_30default_config_static_selectorELNS0_4arch9wavefront6targetE1EEEvSV_,comdat
.Lfunc_end795:
	.size	_ZN7rocprim17ROCPRIM_400000_NS6detail17trampoline_kernelINS0_13select_configILj256ELj13ELNS0_17block_load_methodE3ELS4_3ELS4_3ELNS0_20block_scan_algorithmE0ELj4294967295EEENS1_25partition_config_selectorILNS1_17partition_subalgoE3EjNS0_10empty_typeEbEEZZNS1_14partition_implILS8_3ELb0ES6_jNS0_17counting_iteratorIjlEEPS9_SE_NS0_5tupleIJPjSE_EEENSF_IJSE_SE_EEES9_SG_JZNS1_25segmented_radix_sort_implINS0_14default_configELb0EPKlPlSM_SN_N2at6native12_GLOBAL__N_18offset_tEEE10hipError_tPvRmT1_PNSt15iterator_traitsISV_E10value_typeET2_T3_PNSW_IS11_E10value_typeET4_jRbjT5_S17_jjP12ihipStream_tbEUljE_EEESS_ST_SU_S11_S15_S17_T6_T7_T9_mT8_S19_bDpT10_ENKUlT_T0_E_clISt17integral_constantIbLb1EES1L_IbLb0EEEEDaS1H_S1I_EUlS1H_E_NS1_11comp_targetILNS1_3genE2ELNS1_11target_archE906ELNS1_3gpuE6ELNS1_3repE0EEENS1_30default_config_static_selectorELNS0_4arch9wavefront6targetE1EEEvSV_, .Lfunc_end795-_ZN7rocprim17ROCPRIM_400000_NS6detail17trampoline_kernelINS0_13select_configILj256ELj13ELNS0_17block_load_methodE3ELS4_3ELS4_3ELNS0_20block_scan_algorithmE0ELj4294967295EEENS1_25partition_config_selectorILNS1_17partition_subalgoE3EjNS0_10empty_typeEbEEZZNS1_14partition_implILS8_3ELb0ES6_jNS0_17counting_iteratorIjlEEPS9_SE_NS0_5tupleIJPjSE_EEENSF_IJSE_SE_EEES9_SG_JZNS1_25segmented_radix_sort_implINS0_14default_configELb0EPKlPlSM_SN_N2at6native12_GLOBAL__N_18offset_tEEE10hipError_tPvRmT1_PNSt15iterator_traitsISV_E10value_typeET2_T3_PNSW_IS11_E10value_typeET4_jRbjT5_S17_jjP12ihipStream_tbEUljE_EEESS_ST_SU_S11_S15_S17_T6_T7_T9_mT8_S19_bDpT10_ENKUlT_T0_E_clISt17integral_constantIbLb1EES1L_IbLb0EEEEDaS1H_S1I_EUlS1H_E_NS1_11comp_targetILNS1_3genE2ELNS1_11target_archE906ELNS1_3gpuE6ELNS1_3repE0EEENS1_30default_config_static_selectorELNS0_4arch9wavefront6targetE1EEEvSV_
                                        ; -- End function
	.section	.AMDGPU.csdata,"",@progbits
; Kernel info:
; codeLenInByte = 0
; NumSgprs: 4
; NumVgprs: 0
; NumAgprs: 0
; TotalNumVgprs: 0
; ScratchSize: 0
; MemoryBound: 0
; FloatMode: 240
; IeeeMode: 1
; LDSByteSize: 0 bytes/workgroup (compile time only)
; SGPRBlocks: 0
; VGPRBlocks: 0
; NumSGPRsForWavesPerEU: 4
; NumVGPRsForWavesPerEU: 1
; AccumOffset: 4
; Occupancy: 8
; WaveLimiterHint : 0
; COMPUTE_PGM_RSRC2:SCRATCH_EN: 0
; COMPUTE_PGM_RSRC2:USER_SGPR: 6
; COMPUTE_PGM_RSRC2:TRAP_HANDLER: 0
; COMPUTE_PGM_RSRC2:TGID_X_EN: 1
; COMPUTE_PGM_RSRC2:TGID_Y_EN: 0
; COMPUTE_PGM_RSRC2:TGID_Z_EN: 0
; COMPUTE_PGM_RSRC2:TIDIG_COMP_CNT: 0
; COMPUTE_PGM_RSRC3_GFX90A:ACCUM_OFFSET: 0
; COMPUTE_PGM_RSRC3_GFX90A:TG_SPLIT: 0
	.section	.text._ZN7rocprim17ROCPRIM_400000_NS6detail17trampoline_kernelINS0_13select_configILj256ELj13ELNS0_17block_load_methodE3ELS4_3ELS4_3ELNS0_20block_scan_algorithmE0ELj4294967295EEENS1_25partition_config_selectorILNS1_17partition_subalgoE3EjNS0_10empty_typeEbEEZZNS1_14partition_implILS8_3ELb0ES6_jNS0_17counting_iteratorIjlEEPS9_SE_NS0_5tupleIJPjSE_EEENSF_IJSE_SE_EEES9_SG_JZNS1_25segmented_radix_sort_implINS0_14default_configELb0EPKlPlSM_SN_N2at6native12_GLOBAL__N_18offset_tEEE10hipError_tPvRmT1_PNSt15iterator_traitsISV_E10value_typeET2_T3_PNSW_IS11_E10value_typeET4_jRbjT5_S17_jjP12ihipStream_tbEUljE_EEESS_ST_SU_S11_S15_S17_T6_T7_T9_mT8_S19_bDpT10_ENKUlT_T0_E_clISt17integral_constantIbLb1EES1L_IbLb0EEEEDaS1H_S1I_EUlS1H_E_NS1_11comp_targetILNS1_3genE10ELNS1_11target_archE1200ELNS1_3gpuE4ELNS1_3repE0EEENS1_30default_config_static_selectorELNS0_4arch9wavefront6targetE1EEEvSV_,"axG",@progbits,_ZN7rocprim17ROCPRIM_400000_NS6detail17trampoline_kernelINS0_13select_configILj256ELj13ELNS0_17block_load_methodE3ELS4_3ELS4_3ELNS0_20block_scan_algorithmE0ELj4294967295EEENS1_25partition_config_selectorILNS1_17partition_subalgoE3EjNS0_10empty_typeEbEEZZNS1_14partition_implILS8_3ELb0ES6_jNS0_17counting_iteratorIjlEEPS9_SE_NS0_5tupleIJPjSE_EEENSF_IJSE_SE_EEES9_SG_JZNS1_25segmented_radix_sort_implINS0_14default_configELb0EPKlPlSM_SN_N2at6native12_GLOBAL__N_18offset_tEEE10hipError_tPvRmT1_PNSt15iterator_traitsISV_E10value_typeET2_T3_PNSW_IS11_E10value_typeET4_jRbjT5_S17_jjP12ihipStream_tbEUljE_EEESS_ST_SU_S11_S15_S17_T6_T7_T9_mT8_S19_bDpT10_ENKUlT_T0_E_clISt17integral_constantIbLb1EES1L_IbLb0EEEEDaS1H_S1I_EUlS1H_E_NS1_11comp_targetILNS1_3genE10ELNS1_11target_archE1200ELNS1_3gpuE4ELNS1_3repE0EEENS1_30default_config_static_selectorELNS0_4arch9wavefront6targetE1EEEvSV_,comdat
	.globl	_ZN7rocprim17ROCPRIM_400000_NS6detail17trampoline_kernelINS0_13select_configILj256ELj13ELNS0_17block_load_methodE3ELS4_3ELS4_3ELNS0_20block_scan_algorithmE0ELj4294967295EEENS1_25partition_config_selectorILNS1_17partition_subalgoE3EjNS0_10empty_typeEbEEZZNS1_14partition_implILS8_3ELb0ES6_jNS0_17counting_iteratorIjlEEPS9_SE_NS0_5tupleIJPjSE_EEENSF_IJSE_SE_EEES9_SG_JZNS1_25segmented_radix_sort_implINS0_14default_configELb0EPKlPlSM_SN_N2at6native12_GLOBAL__N_18offset_tEEE10hipError_tPvRmT1_PNSt15iterator_traitsISV_E10value_typeET2_T3_PNSW_IS11_E10value_typeET4_jRbjT5_S17_jjP12ihipStream_tbEUljE_EEESS_ST_SU_S11_S15_S17_T6_T7_T9_mT8_S19_bDpT10_ENKUlT_T0_E_clISt17integral_constantIbLb1EES1L_IbLb0EEEEDaS1H_S1I_EUlS1H_E_NS1_11comp_targetILNS1_3genE10ELNS1_11target_archE1200ELNS1_3gpuE4ELNS1_3repE0EEENS1_30default_config_static_selectorELNS0_4arch9wavefront6targetE1EEEvSV_ ; -- Begin function _ZN7rocprim17ROCPRIM_400000_NS6detail17trampoline_kernelINS0_13select_configILj256ELj13ELNS0_17block_load_methodE3ELS4_3ELS4_3ELNS0_20block_scan_algorithmE0ELj4294967295EEENS1_25partition_config_selectorILNS1_17partition_subalgoE3EjNS0_10empty_typeEbEEZZNS1_14partition_implILS8_3ELb0ES6_jNS0_17counting_iteratorIjlEEPS9_SE_NS0_5tupleIJPjSE_EEENSF_IJSE_SE_EEES9_SG_JZNS1_25segmented_radix_sort_implINS0_14default_configELb0EPKlPlSM_SN_N2at6native12_GLOBAL__N_18offset_tEEE10hipError_tPvRmT1_PNSt15iterator_traitsISV_E10value_typeET2_T3_PNSW_IS11_E10value_typeET4_jRbjT5_S17_jjP12ihipStream_tbEUljE_EEESS_ST_SU_S11_S15_S17_T6_T7_T9_mT8_S19_bDpT10_ENKUlT_T0_E_clISt17integral_constantIbLb1EES1L_IbLb0EEEEDaS1H_S1I_EUlS1H_E_NS1_11comp_targetILNS1_3genE10ELNS1_11target_archE1200ELNS1_3gpuE4ELNS1_3repE0EEENS1_30default_config_static_selectorELNS0_4arch9wavefront6targetE1EEEvSV_
	.p2align	8
	.type	_ZN7rocprim17ROCPRIM_400000_NS6detail17trampoline_kernelINS0_13select_configILj256ELj13ELNS0_17block_load_methodE3ELS4_3ELS4_3ELNS0_20block_scan_algorithmE0ELj4294967295EEENS1_25partition_config_selectorILNS1_17partition_subalgoE3EjNS0_10empty_typeEbEEZZNS1_14partition_implILS8_3ELb0ES6_jNS0_17counting_iteratorIjlEEPS9_SE_NS0_5tupleIJPjSE_EEENSF_IJSE_SE_EEES9_SG_JZNS1_25segmented_radix_sort_implINS0_14default_configELb0EPKlPlSM_SN_N2at6native12_GLOBAL__N_18offset_tEEE10hipError_tPvRmT1_PNSt15iterator_traitsISV_E10value_typeET2_T3_PNSW_IS11_E10value_typeET4_jRbjT5_S17_jjP12ihipStream_tbEUljE_EEESS_ST_SU_S11_S15_S17_T6_T7_T9_mT8_S19_bDpT10_ENKUlT_T0_E_clISt17integral_constantIbLb1EES1L_IbLb0EEEEDaS1H_S1I_EUlS1H_E_NS1_11comp_targetILNS1_3genE10ELNS1_11target_archE1200ELNS1_3gpuE4ELNS1_3repE0EEENS1_30default_config_static_selectorELNS0_4arch9wavefront6targetE1EEEvSV_,@function
_ZN7rocprim17ROCPRIM_400000_NS6detail17trampoline_kernelINS0_13select_configILj256ELj13ELNS0_17block_load_methodE3ELS4_3ELS4_3ELNS0_20block_scan_algorithmE0ELj4294967295EEENS1_25partition_config_selectorILNS1_17partition_subalgoE3EjNS0_10empty_typeEbEEZZNS1_14partition_implILS8_3ELb0ES6_jNS0_17counting_iteratorIjlEEPS9_SE_NS0_5tupleIJPjSE_EEENSF_IJSE_SE_EEES9_SG_JZNS1_25segmented_radix_sort_implINS0_14default_configELb0EPKlPlSM_SN_N2at6native12_GLOBAL__N_18offset_tEEE10hipError_tPvRmT1_PNSt15iterator_traitsISV_E10value_typeET2_T3_PNSW_IS11_E10value_typeET4_jRbjT5_S17_jjP12ihipStream_tbEUljE_EEESS_ST_SU_S11_S15_S17_T6_T7_T9_mT8_S19_bDpT10_ENKUlT_T0_E_clISt17integral_constantIbLb1EES1L_IbLb0EEEEDaS1H_S1I_EUlS1H_E_NS1_11comp_targetILNS1_3genE10ELNS1_11target_archE1200ELNS1_3gpuE4ELNS1_3repE0EEENS1_30default_config_static_selectorELNS0_4arch9wavefront6targetE1EEEvSV_: ; @_ZN7rocprim17ROCPRIM_400000_NS6detail17trampoline_kernelINS0_13select_configILj256ELj13ELNS0_17block_load_methodE3ELS4_3ELS4_3ELNS0_20block_scan_algorithmE0ELj4294967295EEENS1_25partition_config_selectorILNS1_17partition_subalgoE3EjNS0_10empty_typeEbEEZZNS1_14partition_implILS8_3ELb0ES6_jNS0_17counting_iteratorIjlEEPS9_SE_NS0_5tupleIJPjSE_EEENSF_IJSE_SE_EEES9_SG_JZNS1_25segmented_radix_sort_implINS0_14default_configELb0EPKlPlSM_SN_N2at6native12_GLOBAL__N_18offset_tEEE10hipError_tPvRmT1_PNSt15iterator_traitsISV_E10value_typeET2_T3_PNSW_IS11_E10value_typeET4_jRbjT5_S17_jjP12ihipStream_tbEUljE_EEESS_ST_SU_S11_S15_S17_T6_T7_T9_mT8_S19_bDpT10_ENKUlT_T0_E_clISt17integral_constantIbLb1EES1L_IbLb0EEEEDaS1H_S1I_EUlS1H_E_NS1_11comp_targetILNS1_3genE10ELNS1_11target_archE1200ELNS1_3gpuE4ELNS1_3repE0EEENS1_30default_config_static_selectorELNS0_4arch9wavefront6targetE1EEEvSV_
; %bb.0:
	.section	.rodata,"a",@progbits
	.p2align	6, 0x0
	.amdhsa_kernel _ZN7rocprim17ROCPRIM_400000_NS6detail17trampoline_kernelINS0_13select_configILj256ELj13ELNS0_17block_load_methodE3ELS4_3ELS4_3ELNS0_20block_scan_algorithmE0ELj4294967295EEENS1_25partition_config_selectorILNS1_17partition_subalgoE3EjNS0_10empty_typeEbEEZZNS1_14partition_implILS8_3ELb0ES6_jNS0_17counting_iteratorIjlEEPS9_SE_NS0_5tupleIJPjSE_EEENSF_IJSE_SE_EEES9_SG_JZNS1_25segmented_radix_sort_implINS0_14default_configELb0EPKlPlSM_SN_N2at6native12_GLOBAL__N_18offset_tEEE10hipError_tPvRmT1_PNSt15iterator_traitsISV_E10value_typeET2_T3_PNSW_IS11_E10value_typeET4_jRbjT5_S17_jjP12ihipStream_tbEUljE_EEESS_ST_SU_S11_S15_S17_T6_T7_T9_mT8_S19_bDpT10_ENKUlT_T0_E_clISt17integral_constantIbLb1EES1L_IbLb0EEEEDaS1H_S1I_EUlS1H_E_NS1_11comp_targetILNS1_3genE10ELNS1_11target_archE1200ELNS1_3gpuE4ELNS1_3repE0EEENS1_30default_config_static_selectorELNS0_4arch9wavefront6targetE1EEEvSV_
		.amdhsa_group_segment_fixed_size 0
		.amdhsa_private_segment_fixed_size 0
		.amdhsa_kernarg_size 144
		.amdhsa_user_sgpr_count 6
		.amdhsa_user_sgpr_private_segment_buffer 1
		.amdhsa_user_sgpr_dispatch_ptr 0
		.amdhsa_user_sgpr_queue_ptr 0
		.amdhsa_user_sgpr_kernarg_segment_ptr 1
		.amdhsa_user_sgpr_dispatch_id 0
		.amdhsa_user_sgpr_flat_scratch_init 0
		.amdhsa_user_sgpr_kernarg_preload_length 0
		.amdhsa_user_sgpr_kernarg_preload_offset 0
		.amdhsa_user_sgpr_private_segment_size 0
		.amdhsa_uses_dynamic_stack 0
		.amdhsa_system_sgpr_private_segment_wavefront_offset 0
		.amdhsa_system_sgpr_workgroup_id_x 1
		.amdhsa_system_sgpr_workgroup_id_y 0
		.amdhsa_system_sgpr_workgroup_id_z 0
		.amdhsa_system_sgpr_workgroup_info 0
		.amdhsa_system_vgpr_workitem_id 0
		.amdhsa_next_free_vgpr 1
		.amdhsa_next_free_sgpr 0
		.amdhsa_accum_offset 4
		.amdhsa_reserve_vcc 0
		.amdhsa_reserve_flat_scratch 0
		.amdhsa_float_round_mode_32 0
		.amdhsa_float_round_mode_16_64 0
		.amdhsa_float_denorm_mode_32 3
		.amdhsa_float_denorm_mode_16_64 3
		.amdhsa_dx10_clamp 1
		.amdhsa_ieee_mode 1
		.amdhsa_fp16_overflow 0
		.amdhsa_tg_split 0
		.amdhsa_exception_fp_ieee_invalid_op 0
		.amdhsa_exception_fp_denorm_src 0
		.amdhsa_exception_fp_ieee_div_zero 0
		.amdhsa_exception_fp_ieee_overflow 0
		.amdhsa_exception_fp_ieee_underflow 0
		.amdhsa_exception_fp_ieee_inexact 0
		.amdhsa_exception_int_div_zero 0
	.end_amdhsa_kernel
	.section	.text._ZN7rocprim17ROCPRIM_400000_NS6detail17trampoline_kernelINS0_13select_configILj256ELj13ELNS0_17block_load_methodE3ELS4_3ELS4_3ELNS0_20block_scan_algorithmE0ELj4294967295EEENS1_25partition_config_selectorILNS1_17partition_subalgoE3EjNS0_10empty_typeEbEEZZNS1_14partition_implILS8_3ELb0ES6_jNS0_17counting_iteratorIjlEEPS9_SE_NS0_5tupleIJPjSE_EEENSF_IJSE_SE_EEES9_SG_JZNS1_25segmented_radix_sort_implINS0_14default_configELb0EPKlPlSM_SN_N2at6native12_GLOBAL__N_18offset_tEEE10hipError_tPvRmT1_PNSt15iterator_traitsISV_E10value_typeET2_T3_PNSW_IS11_E10value_typeET4_jRbjT5_S17_jjP12ihipStream_tbEUljE_EEESS_ST_SU_S11_S15_S17_T6_T7_T9_mT8_S19_bDpT10_ENKUlT_T0_E_clISt17integral_constantIbLb1EES1L_IbLb0EEEEDaS1H_S1I_EUlS1H_E_NS1_11comp_targetILNS1_3genE10ELNS1_11target_archE1200ELNS1_3gpuE4ELNS1_3repE0EEENS1_30default_config_static_selectorELNS0_4arch9wavefront6targetE1EEEvSV_,"axG",@progbits,_ZN7rocprim17ROCPRIM_400000_NS6detail17trampoline_kernelINS0_13select_configILj256ELj13ELNS0_17block_load_methodE3ELS4_3ELS4_3ELNS0_20block_scan_algorithmE0ELj4294967295EEENS1_25partition_config_selectorILNS1_17partition_subalgoE3EjNS0_10empty_typeEbEEZZNS1_14partition_implILS8_3ELb0ES6_jNS0_17counting_iteratorIjlEEPS9_SE_NS0_5tupleIJPjSE_EEENSF_IJSE_SE_EEES9_SG_JZNS1_25segmented_radix_sort_implINS0_14default_configELb0EPKlPlSM_SN_N2at6native12_GLOBAL__N_18offset_tEEE10hipError_tPvRmT1_PNSt15iterator_traitsISV_E10value_typeET2_T3_PNSW_IS11_E10value_typeET4_jRbjT5_S17_jjP12ihipStream_tbEUljE_EEESS_ST_SU_S11_S15_S17_T6_T7_T9_mT8_S19_bDpT10_ENKUlT_T0_E_clISt17integral_constantIbLb1EES1L_IbLb0EEEEDaS1H_S1I_EUlS1H_E_NS1_11comp_targetILNS1_3genE10ELNS1_11target_archE1200ELNS1_3gpuE4ELNS1_3repE0EEENS1_30default_config_static_selectorELNS0_4arch9wavefront6targetE1EEEvSV_,comdat
.Lfunc_end796:
	.size	_ZN7rocprim17ROCPRIM_400000_NS6detail17trampoline_kernelINS0_13select_configILj256ELj13ELNS0_17block_load_methodE3ELS4_3ELS4_3ELNS0_20block_scan_algorithmE0ELj4294967295EEENS1_25partition_config_selectorILNS1_17partition_subalgoE3EjNS0_10empty_typeEbEEZZNS1_14partition_implILS8_3ELb0ES6_jNS0_17counting_iteratorIjlEEPS9_SE_NS0_5tupleIJPjSE_EEENSF_IJSE_SE_EEES9_SG_JZNS1_25segmented_radix_sort_implINS0_14default_configELb0EPKlPlSM_SN_N2at6native12_GLOBAL__N_18offset_tEEE10hipError_tPvRmT1_PNSt15iterator_traitsISV_E10value_typeET2_T3_PNSW_IS11_E10value_typeET4_jRbjT5_S17_jjP12ihipStream_tbEUljE_EEESS_ST_SU_S11_S15_S17_T6_T7_T9_mT8_S19_bDpT10_ENKUlT_T0_E_clISt17integral_constantIbLb1EES1L_IbLb0EEEEDaS1H_S1I_EUlS1H_E_NS1_11comp_targetILNS1_3genE10ELNS1_11target_archE1200ELNS1_3gpuE4ELNS1_3repE0EEENS1_30default_config_static_selectorELNS0_4arch9wavefront6targetE1EEEvSV_, .Lfunc_end796-_ZN7rocprim17ROCPRIM_400000_NS6detail17trampoline_kernelINS0_13select_configILj256ELj13ELNS0_17block_load_methodE3ELS4_3ELS4_3ELNS0_20block_scan_algorithmE0ELj4294967295EEENS1_25partition_config_selectorILNS1_17partition_subalgoE3EjNS0_10empty_typeEbEEZZNS1_14partition_implILS8_3ELb0ES6_jNS0_17counting_iteratorIjlEEPS9_SE_NS0_5tupleIJPjSE_EEENSF_IJSE_SE_EEES9_SG_JZNS1_25segmented_radix_sort_implINS0_14default_configELb0EPKlPlSM_SN_N2at6native12_GLOBAL__N_18offset_tEEE10hipError_tPvRmT1_PNSt15iterator_traitsISV_E10value_typeET2_T3_PNSW_IS11_E10value_typeET4_jRbjT5_S17_jjP12ihipStream_tbEUljE_EEESS_ST_SU_S11_S15_S17_T6_T7_T9_mT8_S19_bDpT10_ENKUlT_T0_E_clISt17integral_constantIbLb1EES1L_IbLb0EEEEDaS1H_S1I_EUlS1H_E_NS1_11comp_targetILNS1_3genE10ELNS1_11target_archE1200ELNS1_3gpuE4ELNS1_3repE0EEENS1_30default_config_static_selectorELNS0_4arch9wavefront6targetE1EEEvSV_
                                        ; -- End function
	.section	.AMDGPU.csdata,"",@progbits
; Kernel info:
; codeLenInByte = 0
; NumSgprs: 4
; NumVgprs: 0
; NumAgprs: 0
; TotalNumVgprs: 0
; ScratchSize: 0
; MemoryBound: 0
; FloatMode: 240
; IeeeMode: 1
; LDSByteSize: 0 bytes/workgroup (compile time only)
; SGPRBlocks: 0
; VGPRBlocks: 0
; NumSGPRsForWavesPerEU: 4
; NumVGPRsForWavesPerEU: 1
; AccumOffset: 4
; Occupancy: 8
; WaveLimiterHint : 0
; COMPUTE_PGM_RSRC2:SCRATCH_EN: 0
; COMPUTE_PGM_RSRC2:USER_SGPR: 6
; COMPUTE_PGM_RSRC2:TRAP_HANDLER: 0
; COMPUTE_PGM_RSRC2:TGID_X_EN: 1
; COMPUTE_PGM_RSRC2:TGID_Y_EN: 0
; COMPUTE_PGM_RSRC2:TGID_Z_EN: 0
; COMPUTE_PGM_RSRC2:TIDIG_COMP_CNT: 0
; COMPUTE_PGM_RSRC3_GFX90A:ACCUM_OFFSET: 0
; COMPUTE_PGM_RSRC3_GFX90A:TG_SPLIT: 0
	.section	.text._ZN7rocprim17ROCPRIM_400000_NS6detail17trampoline_kernelINS0_13select_configILj256ELj13ELNS0_17block_load_methodE3ELS4_3ELS4_3ELNS0_20block_scan_algorithmE0ELj4294967295EEENS1_25partition_config_selectorILNS1_17partition_subalgoE3EjNS0_10empty_typeEbEEZZNS1_14partition_implILS8_3ELb0ES6_jNS0_17counting_iteratorIjlEEPS9_SE_NS0_5tupleIJPjSE_EEENSF_IJSE_SE_EEES9_SG_JZNS1_25segmented_radix_sort_implINS0_14default_configELb0EPKlPlSM_SN_N2at6native12_GLOBAL__N_18offset_tEEE10hipError_tPvRmT1_PNSt15iterator_traitsISV_E10value_typeET2_T3_PNSW_IS11_E10value_typeET4_jRbjT5_S17_jjP12ihipStream_tbEUljE_EEESS_ST_SU_S11_S15_S17_T6_T7_T9_mT8_S19_bDpT10_ENKUlT_T0_E_clISt17integral_constantIbLb1EES1L_IbLb0EEEEDaS1H_S1I_EUlS1H_E_NS1_11comp_targetILNS1_3genE9ELNS1_11target_archE1100ELNS1_3gpuE3ELNS1_3repE0EEENS1_30default_config_static_selectorELNS0_4arch9wavefront6targetE1EEEvSV_,"axG",@progbits,_ZN7rocprim17ROCPRIM_400000_NS6detail17trampoline_kernelINS0_13select_configILj256ELj13ELNS0_17block_load_methodE3ELS4_3ELS4_3ELNS0_20block_scan_algorithmE0ELj4294967295EEENS1_25partition_config_selectorILNS1_17partition_subalgoE3EjNS0_10empty_typeEbEEZZNS1_14partition_implILS8_3ELb0ES6_jNS0_17counting_iteratorIjlEEPS9_SE_NS0_5tupleIJPjSE_EEENSF_IJSE_SE_EEES9_SG_JZNS1_25segmented_radix_sort_implINS0_14default_configELb0EPKlPlSM_SN_N2at6native12_GLOBAL__N_18offset_tEEE10hipError_tPvRmT1_PNSt15iterator_traitsISV_E10value_typeET2_T3_PNSW_IS11_E10value_typeET4_jRbjT5_S17_jjP12ihipStream_tbEUljE_EEESS_ST_SU_S11_S15_S17_T6_T7_T9_mT8_S19_bDpT10_ENKUlT_T0_E_clISt17integral_constantIbLb1EES1L_IbLb0EEEEDaS1H_S1I_EUlS1H_E_NS1_11comp_targetILNS1_3genE9ELNS1_11target_archE1100ELNS1_3gpuE3ELNS1_3repE0EEENS1_30default_config_static_selectorELNS0_4arch9wavefront6targetE1EEEvSV_,comdat
	.globl	_ZN7rocprim17ROCPRIM_400000_NS6detail17trampoline_kernelINS0_13select_configILj256ELj13ELNS0_17block_load_methodE3ELS4_3ELS4_3ELNS0_20block_scan_algorithmE0ELj4294967295EEENS1_25partition_config_selectorILNS1_17partition_subalgoE3EjNS0_10empty_typeEbEEZZNS1_14partition_implILS8_3ELb0ES6_jNS0_17counting_iteratorIjlEEPS9_SE_NS0_5tupleIJPjSE_EEENSF_IJSE_SE_EEES9_SG_JZNS1_25segmented_radix_sort_implINS0_14default_configELb0EPKlPlSM_SN_N2at6native12_GLOBAL__N_18offset_tEEE10hipError_tPvRmT1_PNSt15iterator_traitsISV_E10value_typeET2_T3_PNSW_IS11_E10value_typeET4_jRbjT5_S17_jjP12ihipStream_tbEUljE_EEESS_ST_SU_S11_S15_S17_T6_T7_T9_mT8_S19_bDpT10_ENKUlT_T0_E_clISt17integral_constantIbLb1EES1L_IbLb0EEEEDaS1H_S1I_EUlS1H_E_NS1_11comp_targetILNS1_3genE9ELNS1_11target_archE1100ELNS1_3gpuE3ELNS1_3repE0EEENS1_30default_config_static_selectorELNS0_4arch9wavefront6targetE1EEEvSV_ ; -- Begin function _ZN7rocprim17ROCPRIM_400000_NS6detail17trampoline_kernelINS0_13select_configILj256ELj13ELNS0_17block_load_methodE3ELS4_3ELS4_3ELNS0_20block_scan_algorithmE0ELj4294967295EEENS1_25partition_config_selectorILNS1_17partition_subalgoE3EjNS0_10empty_typeEbEEZZNS1_14partition_implILS8_3ELb0ES6_jNS0_17counting_iteratorIjlEEPS9_SE_NS0_5tupleIJPjSE_EEENSF_IJSE_SE_EEES9_SG_JZNS1_25segmented_radix_sort_implINS0_14default_configELb0EPKlPlSM_SN_N2at6native12_GLOBAL__N_18offset_tEEE10hipError_tPvRmT1_PNSt15iterator_traitsISV_E10value_typeET2_T3_PNSW_IS11_E10value_typeET4_jRbjT5_S17_jjP12ihipStream_tbEUljE_EEESS_ST_SU_S11_S15_S17_T6_T7_T9_mT8_S19_bDpT10_ENKUlT_T0_E_clISt17integral_constantIbLb1EES1L_IbLb0EEEEDaS1H_S1I_EUlS1H_E_NS1_11comp_targetILNS1_3genE9ELNS1_11target_archE1100ELNS1_3gpuE3ELNS1_3repE0EEENS1_30default_config_static_selectorELNS0_4arch9wavefront6targetE1EEEvSV_
	.p2align	8
	.type	_ZN7rocprim17ROCPRIM_400000_NS6detail17trampoline_kernelINS0_13select_configILj256ELj13ELNS0_17block_load_methodE3ELS4_3ELS4_3ELNS0_20block_scan_algorithmE0ELj4294967295EEENS1_25partition_config_selectorILNS1_17partition_subalgoE3EjNS0_10empty_typeEbEEZZNS1_14partition_implILS8_3ELb0ES6_jNS0_17counting_iteratorIjlEEPS9_SE_NS0_5tupleIJPjSE_EEENSF_IJSE_SE_EEES9_SG_JZNS1_25segmented_radix_sort_implINS0_14default_configELb0EPKlPlSM_SN_N2at6native12_GLOBAL__N_18offset_tEEE10hipError_tPvRmT1_PNSt15iterator_traitsISV_E10value_typeET2_T3_PNSW_IS11_E10value_typeET4_jRbjT5_S17_jjP12ihipStream_tbEUljE_EEESS_ST_SU_S11_S15_S17_T6_T7_T9_mT8_S19_bDpT10_ENKUlT_T0_E_clISt17integral_constantIbLb1EES1L_IbLb0EEEEDaS1H_S1I_EUlS1H_E_NS1_11comp_targetILNS1_3genE9ELNS1_11target_archE1100ELNS1_3gpuE3ELNS1_3repE0EEENS1_30default_config_static_selectorELNS0_4arch9wavefront6targetE1EEEvSV_,@function
_ZN7rocprim17ROCPRIM_400000_NS6detail17trampoline_kernelINS0_13select_configILj256ELj13ELNS0_17block_load_methodE3ELS4_3ELS4_3ELNS0_20block_scan_algorithmE0ELj4294967295EEENS1_25partition_config_selectorILNS1_17partition_subalgoE3EjNS0_10empty_typeEbEEZZNS1_14partition_implILS8_3ELb0ES6_jNS0_17counting_iteratorIjlEEPS9_SE_NS0_5tupleIJPjSE_EEENSF_IJSE_SE_EEES9_SG_JZNS1_25segmented_radix_sort_implINS0_14default_configELb0EPKlPlSM_SN_N2at6native12_GLOBAL__N_18offset_tEEE10hipError_tPvRmT1_PNSt15iterator_traitsISV_E10value_typeET2_T3_PNSW_IS11_E10value_typeET4_jRbjT5_S17_jjP12ihipStream_tbEUljE_EEESS_ST_SU_S11_S15_S17_T6_T7_T9_mT8_S19_bDpT10_ENKUlT_T0_E_clISt17integral_constantIbLb1EES1L_IbLb0EEEEDaS1H_S1I_EUlS1H_E_NS1_11comp_targetILNS1_3genE9ELNS1_11target_archE1100ELNS1_3gpuE3ELNS1_3repE0EEENS1_30default_config_static_selectorELNS0_4arch9wavefront6targetE1EEEvSV_: ; @_ZN7rocprim17ROCPRIM_400000_NS6detail17trampoline_kernelINS0_13select_configILj256ELj13ELNS0_17block_load_methodE3ELS4_3ELS4_3ELNS0_20block_scan_algorithmE0ELj4294967295EEENS1_25partition_config_selectorILNS1_17partition_subalgoE3EjNS0_10empty_typeEbEEZZNS1_14partition_implILS8_3ELb0ES6_jNS0_17counting_iteratorIjlEEPS9_SE_NS0_5tupleIJPjSE_EEENSF_IJSE_SE_EEES9_SG_JZNS1_25segmented_radix_sort_implINS0_14default_configELb0EPKlPlSM_SN_N2at6native12_GLOBAL__N_18offset_tEEE10hipError_tPvRmT1_PNSt15iterator_traitsISV_E10value_typeET2_T3_PNSW_IS11_E10value_typeET4_jRbjT5_S17_jjP12ihipStream_tbEUljE_EEESS_ST_SU_S11_S15_S17_T6_T7_T9_mT8_S19_bDpT10_ENKUlT_T0_E_clISt17integral_constantIbLb1EES1L_IbLb0EEEEDaS1H_S1I_EUlS1H_E_NS1_11comp_targetILNS1_3genE9ELNS1_11target_archE1100ELNS1_3gpuE3ELNS1_3repE0EEENS1_30default_config_static_selectorELNS0_4arch9wavefront6targetE1EEEvSV_
; %bb.0:
	.section	.rodata,"a",@progbits
	.p2align	6, 0x0
	.amdhsa_kernel _ZN7rocprim17ROCPRIM_400000_NS6detail17trampoline_kernelINS0_13select_configILj256ELj13ELNS0_17block_load_methodE3ELS4_3ELS4_3ELNS0_20block_scan_algorithmE0ELj4294967295EEENS1_25partition_config_selectorILNS1_17partition_subalgoE3EjNS0_10empty_typeEbEEZZNS1_14partition_implILS8_3ELb0ES6_jNS0_17counting_iteratorIjlEEPS9_SE_NS0_5tupleIJPjSE_EEENSF_IJSE_SE_EEES9_SG_JZNS1_25segmented_radix_sort_implINS0_14default_configELb0EPKlPlSM_SN_N2at6native12_GLOBAL__N_18offset_tEEE10hipError_tPvRmT1_PNSt15iterator_traitsISV_E10value_typeET2_T3_PNSW_IS11_E10value_typeET4_jRbjT5_S17_jjP12ihipStream_tbEUljE_EEESS_ST_SU_S11_S15_S17_T6_T7_T9_mT8_S19_bDpT10_ENKUlT_T0_E_clISt17integral_constantIbLb1EES1L_IbLb0EEEEDaS1H_S1I_EUlS1H_E_NS1_11comp_targetILNS1_3genE9ELNS1_11target_archE1100ELNS1_3gpuE3ELNS1_3repE0EEENS1_30default_config_static_selectorELNS0_4arch9wavefront6targetE1EEEvSV_
		.amdhsa_group_segment_fixed_size 0
		.amdhsa_private_segment_fixed_size 0
		.amdhsa_kernarg_size 144
		.amdhsa_user_sgpr_count 6
		.amdhsa_user_sgpr_private_segment_buffer 1
		.amdhsa_user_sgpr_dispatch_ptr 0
		.amdhsa_user_sgpr_queue_ptr 0
		.amdhsa_user_sgpr_kernarg_segment_ptr 1
		.amdhsa_user_sgpr_dispatch_id 0
		.amdhsa_user_sgpr_flat_scratch_init 0
		.amdhsa_user_sgpr_kernarg_preload_length 0
		.amdhsa_user_sgpr_kernarg_preload_offset 0
		.amdhsa_user_sgpr_private_segment_size 0
		.amdhsa_uses_dynamic_stack 0
		.amdhsa_system_sgpr_private_segment_wavefront_offset 0
		.amdhsa_system_sgpr_workgroup_id_x 1
		.amdhsa_system_sgpr_workgroup_id_y 0
		.amdhsa_system_sgpr_workgroup_id_z 0
		.amdhsa_system_sgpr_workgroup_info 0
		.amdhsa_system_vgpr_workitem_id 0
		.amdhsa_next_free_vgpr 1
		.amdhsa_next_free_sgpr 0
		.amdhsa_accum_offset 4
		.amdhsa_reserve_vcc 0
		.amdhsa_reserve_flat_scratch 0
		.amdhsa_float_round_mode_32 0
		.amdhsa_float_round_mode_16_64 0
		.amdhsa_float_denorm_mode_32 3
		.amdhsa_float_denorm_mode_16_64 3
		.amdhsa_dx10_clamp 1
		.amdhsa_ieee_mode 1
		.amdhsa_fp16_overflow 0
		.amdhsa_tg_split 0
		.amdhsa_exception_fp_ieee_invalid_op 0
		.amdhsa_exception_fp_denorm_src 0
		.amdhsa_exception_fp_ieee_div_zero 0
		.amdhsa_exception_fp_ieee_overflow 0
		.amdhsa_exception_fp_ieee_underflow 0
		.amdhsa_exception_fp_ieee_inexact 0
		.amdhsa_exception_int_div_zero 0
	.end_amdhsa_kernel
	.section	.text._ZN7rocprim17ROCPRIM_400000_NS6detail17trampoline_kernelINS0_13select_configILj256ELj13ELNS0_17block_load_methodE3ELS4_3ELS4_3ELNS0_20block_scan_algorithmE0ELj4294967295EEENS1_25partition_config_selectorILNS1_17partition_subalgoE3EjNS0_10empty_typeEbEEZZNS1_14partition_implILS8_3ELb0ES6_jNS0_17counting_iteratorIjlEEPS9_SE_NS0_5tupleIJPjSE_EEENSF_IJSE_SE_EEES9_SG_JZNS1_25segmented_radix_sort_implINS0_14default_configELb0EPKlPlSM_SN_N2at6native12_GLOBAL__N_18offset_tEEE10hipError_tPvRmT1_PNSt15iterator_traitsISV_E10value_typeET2_T3_PNSW_IS11_E10value_typeET4_jRbjT5_S17_jjP12ihipStream_tbEUljE_EEESS_ST_SU_S11_S15_S17_T6_T7_T9_mT8_S19_bDpT10_ENKUlT_T0_E_clISt17integral_constantIbLb1EES1L_IbLb0EEEEDaS1H_S1I_EUlS1H_E_NS1_11comp_targetILNS1_3genE9ELNS1_11target_archE1100ELNS1_3gpuE3ELNS1_3repE0EEENS1_30default_config_static_selectorELNS0_4arch9wavefront6targetE1EEEvSV_,"axG",@progbits,_ZN7rocprim17ROCPRIM_400000_NS6detail17trampoline_kernelINS0_13select_configILj256ELj13ELNS0_17block_load_methodE3ELS4_3ELS4_3ELNS0_20block_scan_algorithmE0ELj4294967295EEENS1_25partition_config_selectorILNS1_17partition_subalgoE3EjNS0_10empty_typeEbEEZZNS1_14partition_implILS8_3ELb0ES6_jNS0_17counting_iteratorIjlEEPS9_SE_NS0_5tupleIJPjSE_EEENSF_IJSE_SE_EEES9_SG_JZNS1_25segmented_radix_sort_implINS0_14default_configELb0EPKlPlSM_SN_N2at6native12_GLOBAL__N_18offset_tEEE10hipError_tPvRmT1_PNSt15iterator_traitsISV_E10value_typeET2_T3_PNSW_IS11_E10value_typeET4_jRbjT5_S17_jjP12ihipStream_tbEUljE_EEESS_ST_SU_S11_S15_S17_T6_T7_T9_mT8_S19_bDpT10_ENKUlT_T0_E_clISt17integral_constantIbLb1EES1L_IbLb0EEEEDaS1H_S1I_EUlS1H_E_NS1_11comp_targetILNS1_3genE9ELNS1_11target_archE1100ELNS1_3gpuE3ELNS1_3repE0EEENS1_30default_config_static_selectorELNS0_4arch9wavefront6targetE1EEEvSV_,comdat
.Lfunc_end797:
	.size	_ZN7rocprim17ROCPRIM_400000_NS6detail17trampoline_kernelINS0_13select_configILj256ELj13ELNS0_17block_load_methodE3ELS4_3ELS4_3ELNS0_20block_scan_algorithmE0ELj4294967295EEENS1_25partition_config_selectorILNS1_17partition_subalgoE3EjNS0_10empty_typeEbEEZZNS1_14partition_implILS8_3ELb0ES6_jNS0_17counting_iteratorIjlEEPS9_SE_NS0_5tupleIJPjSE_EEENSF_IJSE_SE_EEES9_SG_JZNS1_25segmented_radix_sort_implINS0_14default_configELb0EPKlPlSM_SN_N2at6native12_GLOBAL__N_18offset_tEEE10hipError_tPvRmT1_PNSt15iterator_traitsISV_E10value_typeET2_T3_PNSW_IS11_E10value_typeET4_jRbjT5_S17_jjP12ihipStream_tbEUljE_EEESS_ST_SU_S11_S15_S17_T6_T7_T9_mT8_S19_bDpT10_ENKUlT_T0_E_clISt17integral_constantIbLb1EES1L_IbLb0EEEEDaS1H_S1I_EUlS1H_E_NS1_11comp_targetILNS1_3genE9ELNS1_11target_archE1100ELNS1_3gpuE3ELNS1_3repE0EEENS1_30default_config_static_selectorELNS0_4arch9wavefront6targetE1EEEvSV_, .Lfunc_end797-_ZN7rocprim17ROCPRIM_400000_NS6detail17trampoline_kernelINS0_13select_configILj256ELj13ELNS0_17block_load_methodE3ELS4_3ELS4_3ELNS0_20block_scan_algorithmE0ELj4294967295EEENS1_25partition_config_selectorILNS1_17partition_subalgoE3EjNS0_10empty_typeEbEEZZNS1_14partition_implILS8_3ELb0ES6_jNS0_17counting_iteratorIjlEEPS9_SE_NS0_5tupleIJPjSE_EEENSF_IJSE_SE_EEES9_SG_JZNS1_25segmented_radix_sort_implINS0_14default_configELb0EPKlPlSM_SN_N2at6native12_GLOBAL__N_18offset_tEEE10hipError_tPvRmT1_PNSt15iterator_traitsISV_E10value_typeET2_T3_PNSW_IS11_E10value_typeET4_jRbjT5_S17_jjP12ihipStream_tbEUljE_EEESS_ST_SU_S11_S15_S17_T6_T7_T9_mT8_S19_bDpT10_ENKUlT_T0_E_clISt17integral_constantIbLb1EES1L_IbLb0EEEEDaS1H_S1I_EUlS1H_E_NS1_11comp_targetILNS1_3genE9ELNS1_11target_archE1100ELNS1_3gpuE3ELNS1_3repE0EEENS1_30default_config_static_selectorELNS0_4arch9wavefront6targetE1EEEvSV_
                                        ; -- End function
	.section	.AMDGPU.csdata,"",@progbits
; Kernel info:
; codeLenInByte = 0
; NumSgprs: 4
; NumVgprs: 0
; NumAgprs: 0
; TotalNumVgprs: 0
; ScratchSize: 0
; MemoryBound: 0
; FloatMode: 240
; IeeeMode: 1
; LDSByteSize: 0 bytes/workgroup (compile time only)
; SGPRBlocks: 0
; VGPRBlocks: 0
; NumSGPRsForWavesPerEU: 4
; NumVGPRsForWavesPerEU: 1
; AccumOffset: 4
; Occupancy: 8
; WaveLimiterHint : 0
; COMPUTE_PGM_RSRC2:SCRATCH_EN: 0
; COMPUTE_PGM_RSRC2:USER_SGPR: 6
; COMPUTE_PGM_RSRC2:TRAP_HANDLER: 0
; COMPUTE_PGM_RSRC2:TGID_X_EN: 1
; COMPUTE_PGM_RSRC2:TGID_Y_EN: 0
; COMPUTE_PGM_RSRC2:TGID_Z_EN: 0
; COMPUTE_PGM_RSRC2:TIDIG_COMP_CNT: 0
; COMPUTE_PGM_RSRC3_GFX90A:ACCUM_OFFSET: 0
; COMPUTE_PGM_RSRC3_GFX90A:TG_SPLIT: 0
	.section	.text._ZN7rocprim17ROCPRIM_400000_NS6detail17trampoline_kernelINS0_13select_configILj256ELj13ELNS0_17block_load_methodE3ELS4_3ELS4_3ELNS0_20block_scan_algorithmE0ELj4294967295EEENS1_25partition_config_selectorILNS1_17partition_subalgoE3EjNS0_10empty_typeEbEEZZNS1_14partition_implILS8_3ELb0ES6_jNS0_17counting_iteratorIjlEEPS9_SE_NS0_5tupleIJPjSE_EEENSF_IJSE_SE_EEES9_SG_JZNS1_25segmented_radix_sort_implINS0_14default_configELb0EPKlPlSM_SN_N2at6native12_GLOBAL__N_18offset_tEEE10hipError_tPvRmT1_PNSt15iterator_traitsISV_E10value_typeET2_T3_PNSW_IS11_E10value_typeET4_jRbjT5_S17_jjP12ihipStream_tbEUljE_EEESS_ST_SU_S11_S15_S17_T6_T7_T9_mT8_S19_bDpT10_ENKUlT_T0_E_clISt17integral_constantIbLb1EES1L_IbLb0EEEEDaS1H_S1I_EUlS1H_E_NS1_11comp_targetILNS1_3genE8ELNS1_11target_archE1030ELNS1_3gpuE2ELNS1_3repE0EEENS1_30default_config_static_selectorELNS0_4arch9wavefront6targetE1EEEvSV_,"axG",@progbits,_ZN7rocprim17ROCPRIM_400000_NS6detail17trampoline_kernelINS0_13select_configILj256ELj13ELNS0_17block_load_methodE3ELS4_3ELS4_3ELNS0_20block_scan_algorithmE0ELj4294967295EEENS1_25partition_config_selectorILNS1_17partition_subalgoE3EjNS0_10empty_typeEbEEZZNS1_14partition_implILS8_3ELb0ES6_jNS0_17counting_iteratorIjlEEPS9_SE_NS0_5tupleIJPjSE_EEENSF_IJSE_SE_EEES9_SG_JZNS1_25segmented_radix_sort_implINS0_14default_configELb0EPKlPlSM_SN_N2at6native12_GLOBAL__N_18offset_tEEE10hipError_tPvRmT1_PNSt15iterator_traitsISV_E10value_typeET2_T3_PNSW_IS11_E10value_typeET4_jRbjT5_S17_jjP12ihipStream_tbEUljE_EEESS_ST_SU_S11_S15_S17_T6_T7_T9_mT8_S19_bDpT10_ENKUlT_T0_E_clISt17integral_constantIbLb1EES1L_IbLb0EEEEDaS1H_S1I_EUlS1H_E_NS1_11comp_targetILNS1_3genE8ELNS1_11target_archE1030ELNS1_3gpuE2ELNS1_3repE0EEENS1_30default_config_static_selectorELNS0_4arch9wavefront6targetE1EEEvSV_,comdat
	.globl	_ZN7rocprim17ROCPRIM_400000_NS6detail17trampoline_kernelINS0_13select_configILj256ELj13ELNS0_17block_load_methodE3ELS4_3ELS4_3ELNS0_20block_scan_algorithmE0ELj4294967295EEENS1_25partition_config_selectorILNS1_17partition_subalgoE3EjNS0_10empty_typeEbEEZZNS1_14partition_implILS8_3ELb0ES6_jNS0_17counting_iteratorIjlEEPS9_SE_NS0_5tupleIJPjSE_EEENSF_IJSE_SE_EEES9_SG_JZNS1_25segmented_radix_sort_implINS0_14default_configELb0EPKlPlSM_SN_N2at6native12_GLOBAL__N_18offset_tEEE10hipError_tPvRmT1_PNSt15iterator_traitsISV_E10value_typeET2_T3_PNSW_IS11_E10value_typeET4_jRbjT5_S17_jjP12ihipStream_tbEUljE_EEESS_ST_SU_S11_S15_S17_T6_T7_T9_mT8_S19_bDpT10_ENKUlT_T0_E_clISt17integral_constantIbLb1EES1L_IbLb0EEEEDaS1H_S1I_EUlS1H_E_NS1_11comp_targetILNS1_3genE8ELNS1_11target_archE1030ELNS1_3gpuE2ELNS1_3repE0EEENS1_30default_config_static_selectorELNS0_4arch9wavefront6targetE1EEEvSV_ ; -- Begin function _ZN7rocprim17ROCPRIM_400000_NS6detail17trampoline_kernelINS0_13select_configILj256ELj13ELNS0_17block_load_methodE3ELS4_3ELS4_3ELNS0_20block_scan_algorithmE0ELj4294967295EEENS1_25partition_config_selectorILNS1_17partition_subalgoE3EjNS0_10empty_typeEbEEZZNS1_14partition_implILS8_3ELb0ES6_jNS0_17counting_iteratorIjlEEPS9_SE_NS0_5tupleIJPjSE_EEENSF_IJSE_SE_EEES9_SG_JZNS1_25segmented_radix_sort_implINS0_14default_configELb0EPKlPlSM_SN_N2at6native12_GLOBAL__N_18offset_tEEE10hipError_tPvRmT1_PNSt15iterator_traitsISV_E10value_typeET2_T3_PNSW_IS11_E10value_typeET4_jRbjT5_S17_jjP12ihipStream_tbEUljE_EEESS_ST_SU_S11_S15_S17_T6_T7_T9_mT8_S19_bDpT10_ENKUlT_T0_E_clISt17integral_constantIbLb1EES1L_IbLb0EEEEDaS1H_S1I_EUlS1H_E_NS1_11comp_targetILNS1_3genE8ELNS1_11target_archE1030ELNS1_3gpuE2ELNS1_3repE0EEENS1_30default_config_static_selectorELNS0_4arch9wavefront6targetE1EEEvSV_
	.p2align	8
	.type	_ZN7rocprim17ROCPRIM_400000_NS6detail17trampoline_kernelINS0_13select_configILj256ELj13ELNS0_17block_load_methodE3ELS4_3ELS4_3ELNS0_20block_scan_algorithmE0ELj4294967295EEENS1_25partition_config_selectorILNS1_17partition_subalgoE3EjNS0_10empty_typeEbEEZZNS1_14partition_implILS8_3ELb0ES6_jNS0_17counting_iteratorIjlEEPS9_SE_NS0_5tupleIJPjSE_EEENSF_IJSE_SE_EEES9_SG_JZNS1_25segmented_radix_sort_implINS0_14default_configELb0EPKlPlSM_SN_N2at6native12_GLOBAL__N_18offset_tEEE10hipError_tPvRmT1_PNSt15iterator_traitsISV_E10value_typeET2_T3_PNSW_IS11_E10value_typeET4_jRbjT5_S17_jjP12ihipStream_tbEUljE_EEESS_ST_SU_S11_S15_S17_T6_T7_T9_mT8_S19_bDpT10_ENKUlT_T0_E_clISt17integral_constantIbLb1EES1L_IbLb0EEEEDaS1H_S1I_EUlS1H_E_NS1_11comp_targetILNS1_3genE8ELNS1_11target_archE1030ELNS1_3gpuE2ELNS1_3repE0EEENS1_30default_config_static_selectorELNS0_4arch9wavefront6targetE1EEEvSV_,@function
_ZN7rocprim17ROCPRIM_400000_NS6detail17trampoline_kernelINS0_13select_configILj256ELj13ELNS0_17block_load_methodE3ELS4_3ELS4_3ELNS0_20block_scan_algorithmE0ELj4294967295EEENS1_25partition_config_selectorILNS1_17partition_subalgoE3EjNS0_10empty_typeEbEEZZNS1_14partition_implILS8_3ELb0ES6_jNS0_17counting_iteratorIjlEEPS9_SE_NS0_5tupleIJPjSE_EEENSF_IJSE_SE_EEES9_SG_JZNS1_25segmented_radix_sort_implINS0_14default_configELb0EPKlPlSM_SN_N2at6native12_GLOBAL__N_18offset_tEEE10hipError_tPvRmT1_PNSt15iterator_traitsISV_E10value_typeET2_T3_PNSW_IS11_E10value_typeET4_jRbjT5_S17_jjP12ihipStream_tbEUljE_EEESS_ST_SU_S11_S15_S17_T6_T7_T9_mT8_S19_bDpT10_ENKUlT_T0_E_clISt17integral_constantIbLb1EES1L_IbLb0EEEEDaS1H_S1I_EUlS1H_E_NS1_11comp_targetILNS1_3genE8ELNS1_11target_archE1030ELNS1_3gpuE2ELNS1_3repE0EEENS1_30default_config_static_selectorELNS0_4arch9wavefront6targetE1EEEvSV_: ; @_ZN7rocprim17ROCPRIM_400000_NS6detail17trampoline_kernelINS0_13select_configILj256ELj13ELNS0_17block_load_methodE3ELS4_3ELS4_3ELNS0_20block_scan_algorithmE0ELj4294967295EEENS1_25partition_config_selectorILNS1_17partition_subalgoE3EjNS0_10empty_typeEbEEZZNS1_14partition_implILS8_3ELb0ES6_jNS0_17counting_iteratorIjlEEPS9_SE_NS0_5tupleIJPjSE_EEENSF_IJSE_SE_EEES9_SG_JZNS1_25segmented_radix_sort_implINS0_14default_configELb0EPKlPlSM_SN_N2at6native12_GLOBAL__N_18offset_tEEE10hipError_tPvRmT1_PNSt15iterator_traitsISV_E10value_typeET2_T3_PNSW_IS11_E10value_typeET4_jRbjT5_S17_jjP12ihipStream_tbEUljE_EEESS_ST_SU_S11_S15_S17_T6_T7_T9_mT8_S19_bDpT10_ENKUlT_T0_E_clISt17integral_constantIbLb1EES1L_IbLb0EEEEDaS1H_S1I_EUlS1H_E_NS1_11comp_targetILNS1_3genE8ELNS1_11target_archE1030ELNS1_3gpuE2ELNS1_3repE0EEENS1_30default_config_static_selectorELNS0_4arch9wavefront6targetE1EEEvSV_
; %bb.0:
	.section	.rodata,"a",@progbits
	.p2align	6, 0x0
	.amdhsa_kernel _ZN7rocprim17ROCPRIM_400000_NS6detail17trampoline_kernelINS0_13select_configILj256ELj13ELNS0_17block_load_methodE3ELS4_3ELS4_3ELNS0_20block_scan_algorithmE0ELj4294967295EEENS1_25partition_config_selectorILNS1_17partition_subalgoE3EjNS0_10empty_typeEbEEZZNS1_14partition_implILS8_3ELb0ES6_jNS0_17counting_iteratorIjlEEPS9_SE_NS0_5tupleIJPjSE_EEENSF_IJSE_SE_EEES9_SG_JZNS1_25segmented_radix_sort_implINS0_14default_configELb0EPKlPlSM_SN_N2at6native12_GLOBAL__N_18offset_tEEE10hipError_tPvRmT1_PNSt15iterator_traitsISV_E10value_typeET2_T3_PNSW_IS11_E10value_typeET4_jRbjT5_S17_jjP12ihipStream_tbEUljE_EEESS_ST_SU_S11_S15_S17_T6_T7_T9_mT8_S19_bDpT10_ENKUlT_T0_E_clISt17integral_constantIbLb1EES1L_IbLb0EEEEDaS1H_S1I_EUlS1H_E_NS1_11comp_targetILNS1_3genE8ELNS1_11target_archE1030ELNS1_3gpuE2ELNS1_3repE0EEENS1_30default_config_static_selectorELNS0_4arch9wavefront6targetE1EEEvSV_
		.amdhsa_group_segment_fixed_size 0
		.amdhsa_private_segment_fixed_size 0
		.amdhsa_kernarg_size 144
		.amdhsa_user_sgpr_count 6
		.amdhsa_user_sgpr_private_segment_buffer 1
		.amdhsa_user_sgpr_dispatch_ptr 0
		.amdhsa_user_sgpr_queue_ptr 0
		.amdhsa_user_sgpr_kernarg_segment_ptr 1
		.amdhsa_user_sgpr_dispatch_id 0
		.amdhsa_user_sgpr_flat_scratch_init 0
		.amdhsa_user_sgpr_kernarg_preload_length 0
		.amdhsa_user_sgpr_kernarg_preload_offset 0
		.amdhsa_user_sgpr_private_segment_size 0
		.amdhsa_uses_dynamic_stack 0
		.amdhsa_system_sgpr_private_segment_wavefront_offset 0
		.amdhsa_system_sgpr_workgroup_id_x 1
		.amdhsa_system_sgpr_workgroup_id_y 0
		.amdhsa_system_sgpr_workgroup_id_z 0
		.amdhsa_system_sgpr_workgroup_info 0
		.amdhsa_system_vgpr_workitem_id 0
		.amdhsa_next_free_vgpr 1
		.amdhsa_next_free_sgpr 0
		.amdhsa_accum_offset 4
		.amdhsa_reserve_vcc 0
		.amdhsa_reserve_flat_scratch 0
		.amdhsa_float_round_mode_32 0
		.amdhsa_float_round_mode_16_64 0
		.amdhsa_float_denorm_mode_32 3
		.amdhsa_float_denorm_mode_16_64 3
		.amdhsa_dx10_clamp 1
		.amdhsa_ieee_mode 1
		.amdhsa_fp16_overflow 0
		.amdhsa_tg_split 0
		.amdhsa_exception_fp_ieee_invalid_op 0
		.amdhsa_exception_fp_denorm_src 0
		.amdhsa_exception_fp_ieee_div_zero 0
		.amdhsa_exception_fp_ieee_overflow 0
		.amdhsa_exception_fp_ieee_underflow 0
		.amdhsa_exception_fp_ieee_inexact 0
		.amdhsa_exception_int_div_zero 0
	.end_amdhsa_kernel
	.section	.text._ZN7rocprim17ROCPRIM_400000_NS6detail17trampoline_kernelINS0_13select_configILj256ELj13ELNS0_17block_load_methodE3ELS4_3ELS4_3ELNS0_20block_scan_algorithmE0ELj4294967295EEENS1_25partition_config_selectorILNS1_17partition_subalgoE3EjNS0_10empty_typeEbEEZZNS1_14partition_implILS8_3ELb0ES6_jNS0_17counting_iteratorIjlEEPS9_SE_NS0_5tupleIJPjSE_EEENSF_IJSE_SE_EEES9_SG_JZNS1_25segmented_radix_sort_implINS0_14default_configELb0EPKlPlSM_SN_N2at6native12_GLOBAL__N_18offset_tEEE10hipError_tPvRmT1_PNSt15iterator_traitsISV_E10value_typeET2_T3_PNSW_IS11_E10value_typeET4_jRbjT5_S17_jjP12ihipStream_tbEUljE_EEESS_ST_SU_S11_S15_S17_T6_T7_T9_mT8_S19_bDpT10_ENKUlT_T0_E_clISt17integral_constantIbLb1EES1L_IbLb0EEEEDaS1H_S1I_EUlS1H_E_NS1_11comp_targetILNS1_3genE8ELNS1_11target_archE1030ELNS1_3gpuE2ELNS1_3repE0EEENS1_30default_config_static_selectorELNS0_4arch9wavefront6targetE1EEEvSV_,"axG",@progbits,_ZN7rocprim17ROCPRIM_400000_NS6detail17trampoline_kernelINS0_13select_configILj256ELj13ELNS0_17block_load_methodE3ELS4_3ELS4_3ELNS0_20block_scan_algorithmE0ELj4294967295EEENS1_25partition_config_selectorILNS1_17partition_subalgoE3EjNS0_10empty_typeEbEEZZNS1_14partition_implILS8_3ELb0ES6_jNS0_17counting_iteratorIjlEEPS9_SE_NS0_5tupleIJPjSE_EEENSF_IJSE_SE_EEES9_SG_JZNS1_25segmented_radix_sort_implINS0_14default_configELb0EPKlPlSM_SN_N2at6native12_GLOBAL__N_18offset_tEEE10hipError_tPvRmT1_PNSt15iterator_traitsISV_E10value_typeET2_T3_PNSW_IS11_E10value_typeET4_jRbjT5_S17_jjP12ihipStream_tbEUljE_EEESS_ST_SU_S11_S15_S17_T6_T7_T9_mT8_S19_bDpT10_ENKUlT_T0_E_clISt17integral_constantIbLb1EES1L_IbLb0EEEEDaS1H_S1I_EUlS1H_E_NS1_11comp_targetILNS1_3genE8ELNS1_11target_archE1030ELNS1_3gpuE2ELNS1_3repE0EEENS1_30default_config_static_selectorELNS0_4arch9wavefront6targetE1EEEvSV_,comdat
.Lfunc_end798:
	.size	_ZN7rocprim17ROCPRIM_400000_NS6detail17trampoline_kernelINS0_13select_configILj256ELj13ELNS0_17block_load_methodE3ELS4_3ELS4_3ELNS0_20block_scan_algorithmE0ELj4294967295EEENS1_25partition_config_selectorILNS1_17partition_subalgoE3EjNS0_10empty_typeEbEEZZNS1_14partition_implILS8_3ELb0ES6_jNS0_17counting_iteratorIjlEEPS9_SE_NS0_5tupleIJPjSE_EEENSF_IJSE_SE_EEES9_SG_JZNS1_25segmented_radix_sort_implINS0_14default_configELb0EPKlPlSM_SN_N2at6native12_GLOBAL__N_18offset_tEEE10hipError_tPvRmT1_PNSt15iterator_traitsISV_E10value_typeET2_T3_PNSW_IS11_E10value_typeET4_jRbjT5_S17_jjP12ihipStream_tbEUljE_EEESS_ST_SU_S11_S15_S17_T6_T7_T9_mT8_S19_bDpT10_ENKUlT_T0_E_clISt17integral_constantIbLb1EES1L_IbLb0EEEEDaS1H_S1I_EUlS1H_E_NS1_11comp_targetILNS1_3genE8ELNS1_11target_archE1030ELNS1_3gpuE2ELNS1_3repE0EEENS1_30default_config_static_selectorELNS0_4arch9wavefront6targetE1EEEvSV_, .Lfunc_end798-_ZN7rocprim17ROCPRIM_400000_NS6detail17trampoline_kernelINS0_13select_configILj256ELj13ELNS0_17block_load_methodE3ELS4_3ELS4_3ELNS0_20block_scan_algorithmE0ELj4294967295EEENS1_25partition_config_selectorILNS1_17partition_subalgoE3EjNS0_10empty_typeEbEEZZNS1_14partition_implILS8_3ELb0ES6_jNS0_17counting_iteratorIjlEEPS9_SE_NS0_5tupleIJPjSE_EEENSF_IJSE_SE_EEES9_SG_JZNS1_25segmented_radix_sort_implINS0_14default_configELb0EPKlPlSM_SN_N2at6native12_GLOBAL__N_18offset_tEEE10hipError_tPvRmT1_PNSt15iterator_traitsISV_E10value_typeET2_T3_PNSW_IS11_E10value_typeET4_jRbjT5_S17_jjP12ihipStream_tbEUljE_EEESS_ST_SU_S11_S15_S17_T6_T7_T9_mT8_S19_bDpT10_ENKUlT_T0_E_clISt17integral_constantIbLb1EES1L_IbLb0EEEEDaS1H_S1I_EUlS1H_E_NS1_11comp_targetILNS1_3genE8ELNS1_11target_archE1030ELNS1_3gpuE2ELNS1_3repE0EEENS1_30default_config_static_selectorELNS0_4arch9wavefront6targetE1EEEvSV_
                                        ; -- End function
	.section	.AMDGPU.csdata,"",@progbits
; Kernel info:
; codeLenInByte = 0
; NumSgprs: 4
; NumVgprs: 0
; NumAgprs: 0
; TotalNumVgprs: 0
; ScratchSize: 0
; MemoryBound: 0
; FloatMode: 240
; IeeeMode: 1
; LDSByteSize: 0 bytes/workgroup (compile time only)
; SGPRBlocks: 0
; VGPRBlocks: 0
; NumSGPRsForWavesPerEU: 4
; NumVGPRsForWavesPerEU: 1
; AccumOffset: 4
; Occupancy: 8
; WaveLimiterHint : 0
; COMPUTE_PGM_RSRC2:SCRATCH_EN: 0
; COMPUTE_PGM_RSRC2:USER_SGPR: 6
; COMPUTE_PGM_RSRC2:TRAP_HANDLER: 0
; COMPUTE_PGM_RSRC2:TGID_X_EN: 1
; COMPUTE_PGM_RSRC2:TGID_Y_EN: 0
; COMPUTE_PGM_RSRC2:TGID_Z_EN: 0
; COMPUTE_PGM_RSRC2:TIDIG_COMP_CNT: 0
; COMPUTE_PGM_RSRC3_GFX90A:ACCUM_OFFSET: 0
; COMPUTE_PGM_RSRC3_GFX90A:TG_SPLIT: 0
	.section	.text._ZN7rocprim17ROCPRIM_400000_NS6detail17trampoline_kernelINS0_13select_configILj256ELj13ELNS0_17block_load_methodE3ELS4_3ELS4_3ELNS0_20block_scan_algorithmE0ELj4294967295EEENS1_25partition_config_selectorILNS1_17partition_subalgoE3EjNS0_10empty_typeEbEEZZNS1_14partition_implILS8_3ELb0ES6_jNS0_17counting_iteratorIjlEEPS9_SE_NS0_5tupleIJPjSE_EEENSF_IJSE_SE_EEES9_SG_JZNS1_25segmented_radix_sort_implINS0_14default_configELb0EPKlPlSM_SN_N2at6native12_GLOBAL__N_18offset_tEEE10hipError_tPvRmT1_PNSt15iterator_traitsISV_E10value_typeET2_T3_PNSW_IS11_E10value_typeET4_jRbjT5_S17_jjP12ihipStream_tbEUljE_EEESS_ST_SU_S11_S15_S17_T6_T7_T9_mT8_S19_bDpT10_ENKUlT_T0_E_clISt17integral_constantIbLb0EES1L_IbLb1EEEEDaS1H_S1I_EUlS1H_E_NS1_11comp_targetILNS1_3genE0ELNS1_11target_archE4294967295ELNS1_3gpuE0ELNS1_3repE0EEENS1_30default_config_static_selectorELNS0_4arch9wavefront6targetE1EEEvSV_,"axG",@progbits,_ZN7rocprim17ROCPRIM_400000_NS6detail17trampoline_kernelINS0_13select_configILj256ELj13ELNS0_17block_load_methodE3ELS4_3ELS4_3ELNS0_20block_scan_algorithmE0ELj4294967295EEENS1_25partition_config_selectorILNS1_17partition_subalgoE3EjNS0_10empty_typeEbEEZZNS1_14partition_implILS8_3ELb0ES6_jNS0_17counting_iteratorIjlEEPS9_SE_NS0_5tupleIJPjSE_EEENSF_IJSE_SE_EEES9_SG_JZNS1_25segmented_radix_sort_implINS0_14default_configELb0EPKlPlSM_SN_N2at6native12_GLOBAL__N_18offset_tEEE10hipError_tPvRmT1_PNSt15iterator_traitsISV_E10value_typeET2_T3_PNSW_IS11_E10value_typeET4_jRbjT5_S17_jjP12ihipStream_tbEUljE_EEESS_ST_SU_S11_S15_S17_T6_T7_T9_mT8_S19_bDpT10_ENKUlT_T0_E_clISt17integral_constantIbLb0EES1L_IbLb1EEEEDaS1H_S1I_EUlS1H_E_NS1_11comp_targetILNS1_3genE0ELNS1_11target_archE4294967295ELNS1_3gpuE0ELNS1_3repE0EEENS1_30default_config_static_selectorELNS0_4arch9wavefront6targetE1EEEvSV_,comdat
	.globl	_ZN7rocprim17ROCPRIM_400000_NS6detail17trampoline_kernelINS0_13select_configILj256ELj13ELNS0_17block_load_methodE3ELS4_3ELS4_3ELNS0_20block_scan_algorithmE0ELj4294967295EEENS1_25partition_config_selectorILNS1_17partition_subalgoE3EjNS0_10empty_typeEbEEZZNS1_14partition_implILS8_3ELb0ES6_jNS0_17counting_iteratorIjlEEPS9_SE_NS0_5tupleIJPjSE_EEENSF_IJSE_SE_EEES9_SG_JZNS1_25segmented_radix_sort_implINS0_14default_configELb0EPKlPlSM_SN_N2at6native12_GLOBAL__N_18offset_tEEE10hipError_tPvRmT1_PNSt15iterator_traitsISV_E10value_typeET2_T3_PNSW_IS11_E10value_typeET4_jRbjT5_S17_jjP12ihipStream_tbEUljE_EEESS_ST_SU_S11_S15_S17_T6_T7_T9_mT8_S19_bDpT10_ENKUlT_T0_E_clISt17integral_constantIbLb0EES1L_IbLb1EEEEDaS1H_S1I_EUlS1H_E_NS1_11comp_targetILNS1_3genE0ELNS1_11target_archE4294967295ELNS1_3gpuE0ELNS1_3repE0EEENS1_30default_config_static_selectorELNS0_4arch9wavefront6targetE1EEEvSV_ ; -- Begin function _ZN7rocprim17ROCPRIM_400000_NS6detail17trampoline_kernelINS0_13select_configILj256ELj13ELNS0_17block_load_methodE3ELS4_3ELS4_3ELNS0_20block_scan_algorithmE0ELj4294967295EEENS1_25partition_config_selectorILNS1_17partition_subalgoE3EjNS0_10empty_typeEbEEZZNS1_14partition_implILS8_3ELb0ES6_jNS0_17counting_iteratorIjlEEPS9_SE_NS0_5tupleIJPjSE_EEENSF_IJSE_SE_EEES9_SG_JZNS1_25segmented_radix_sort_implINS0_14default_configELb0EPKlPlSM_SN_N2at6native12_GLOBAL__N_18offset_tEEE10hipError_tPvRmT1_PNSt15iterator_traitsISV_E10value_typeET2_T3_PNSW_IS11_E10value_typeET4_jRbjT5_S17_jjP12ihipStream_tbEUljE_EEESS_ST_SU_S11_S15_S17_T6_T7_T9_mT8_S19_bDpT10_ENKUlT_T0_E_clISt17integral_constantIbLb0EES1L_IbLb1EEEEDaS1H_S1I_EUlS1H_E_NS1_11comp_targetILNS1_3genE0ELNS1_11target_archE4294967295ELNS1_3gpuE0ELNS1_3repE0EEENS1_30default_config_static_selectorELNS0_4arch9wavefront6targetE1EEEvSV_
	.p2align	8
	.type	_ZN7rocprim17ROCPRIM_400000_NS6detail17trampoline_kernelINS0_13select_configILj256ELj13ELNS0_17block_load_methodE3ELS4_3ELS4_3ELNS0_20block_scan_algorithmE0ELj4294967295EEENS1_25partition_config_selectorILNS1_17partition_subalgoE3EjNS0_10empty_typeEbEEZZNS1_14partition_implILS8_3ELb0ES6_jNS0_17counting_iteratorIjlEEPS9_SE_NS0_5tupleIJPjSE_EEENSF_IJSE_SE_EEES9_SG_JZNS1_25segmented_radix_sort_implINS0_14default_configELb0EPKlPlSM_SN_N2at6native12_GLOBAL__N_18offset_tEEE10hipError_tPvRmT1_PNSt15iterator_traitsISV_E10value_typeET2_T3_PNSW_IS11_E10value_typeET4_jRbjT5_S17_jjP12ihipStream_tbEUljE_EEESS_ST_SU_S11_S15_S17_T6_T7_T9_mT8_S19_bDpT10_ENKUlT_T0_E_clISt17integral_constantIbLb0EES1L_IbLb1EEEEDaS1H_S1I_EUlS1H_E_NS1_11comp_targetILNS1_3genE0ELNS1_11target_archE4294967295ELNS1_3gpuE0ELNS1_3repE0EEENS1_30default_config_static_selectorELNS0_4arch9wavefront6targetE1EEEvSV_,@function
_ZN7rocprim17ROCPRIM_400000_NS6detail17trampoline_kernelINS0_13select_configILj256ELj13ELNS0_17block_load_methodE3ELS4_3ELS4_3ELNS0_20block_scan_algorithmE0ELj4294967295EEENS1_25partition_config_selectorILNS1_17partition_subalgoE3EjNS0_10empty_typeEbEEZZNS1_14partition_implILS8_3ELb0ES6_jNS0_17counting_iteratorIjlEEPS9_SE_NS0_5tupleIJPjSE_EEENSF_IJSE_SE_EEES9_SG_JZNS1_25segmented_radix_sort_implINS0_14default_configELb0EPKlPlSM_SN_N2at6native12_GLOBAL__N_18offset_tEEE10hipError_tPvRmT1_PNSt15iterator_traitsISV_E10value_typeET2_T3_PNSW_IS11_E10value_typeET4_jRbjT5_S17_jjP12ihipStream_tbEUljE_EEESS_ST_SU_S11_S15_S17_T6_T7_T9_mT8_S19_bDpT10_ENKUlT_T0_E_clISt17integral_constantIbLb0EES1L_IbLb1EEEEDaS1H_S1I_EUlS1H_E_NS1_11comp_targetILNS1_3genE0ELNS1_11target_archE4294967295ELNS1_3gpuE0ELNS1_3repE0EEENS1_30default_config_static_selectorELNS0_4arch9wavefront6targetE1EEEvSV_: ; @_ZN7rocprim17ROCPRIM_400000_NS6detail17trampoline_kernelINS0_13select_configILj256ELj13ELNS0_17block_load_methodE3ELS4_3ELS4_3ELNS0_20block_scan_algorithmE0ELj4294967295EEENS1_25partition_config_selectorILNS1_17partition_subalgoE3EjNS0_10empty_typeEbEEZZNS1_14partition_implILS8_3ELb0ES6_jNS0_17counting_iteratorIjlEEPS9_SE_NS0_5tupleIJPjSE_EEENSF_IJSE_SE_EEES9_SG_JZNS1_25segmented_radix_sort_implINS0_14default_configELb0EPKlPlSM_SN_N2at6native12_GLOBAL__N_18offset_tEEE10hipError_tPvRmT1_PNSt15iterator_traitsISV_E10value_typeET2_T3_PNSW_IS11_E10value_typeET4_jRbjT5_S17_jjP12ihipStream_tbEUljE_EEESS_ST_SU_S11_S15_S17_T6_T7_T9_mT8_S19_bDpT10_ENKUlT_T0_E_clISt17integral_constantIbLb0EES1L_IbLb1EEEEDaS1H_S1I_EUlS1H_E_NS1_11comp_targetILNS1_3genE0ELNS1_11target_archE4294967295ELNS1_3gpuE0ELNS1_3repE0EEENS1_30default_config_static_selectorELNS0_4arch9wavefront6targetE1EEEvSV_
; %bb.0:
	.section	.rodata,"a",@progbits
	.p2align	6, 0x0
	.amdhsa_kernel _ZN7rocprim17ROCPRIM_400000_NS6detail17trampoline_kernelINS0_13select_configILj256ELj13ELNS0_17block_load_methodE3ELS4_3ELS4_3ELNS0_20block_scan_algorithmE0ELj4294967295EEENS1_25partition_config_selectorILNS1_17partition_subalgoE3EjNS0_10empty_typeEbEEZZNS1_14partition_implILS8_3ELb0ES6_jNS0_17counting_iteratorIjlEEPS9_SE_NS0_5tupleIJPjSE_EEENSF_IJSE_SE_EEES9_SG_JZNS1_25segmented_radix_sort_implINS0_14default_configELb0EPKlPlSM_SN_N2at6native12_GLOBAL__N_18offset_tEEE10hipError_tPvRmT1_PNSt15iterator_traitsISV_E10value_typeET2_T3_PNSW_IS11_E10value_typeET4_jRbjT5_S17_jjP12ihipStream_tbEUljE_EEESS_ST_SU_S11_S15_S17_T6_T7_T9_mT8_S19_bDpT10_ENKUlT_T0_E_clISt17integral_constantIbLb0EES1L_IbLb1EEEEDaS1H_S1I_EUlS1H_E_NS1_11comp_targetILNS1_3genE0ELNS1_11target_archE4294967295ELNS1_3gpuE0ELNS1_3repE0EEENS1_30default_config_static_selectorELNS0_4arch9wavefront6targetE1EEEvSV_
		.amdhsa_group_segment_fixed_size 0
		.amdhsa_private_segment_fixed_size 0
		.amdhsa_kernarg_size 152
		.amdhsa_user_sgpr_count 6
		.amdhsa_user_sgpr_private_segment_buffer 1
		.amdhsa_user_sgpr_dispatch_ptr 0
		.amdhsa_user_sgpr_queue_ptr 0
		.amdhsa_user_sgpr_kernarg_segment_ptr 1
		.amdhsa_user_sgpr_dispatch_id 0
		.amdhsa_user_sgpr_flat_scratch_init 0
		.amdhsa_user_sgpr_kernarg_preload_length 0
		.amdhsa_user_sgpr_kernarg_preload_offset 0
		.amdhsa_user_sgpr_private_segment_size 0
		.amdhsa_uses_dynamic_stack 0
		.amdhsa_system_sgpr_private_segment_wavefront_offset 0
		.amdhsa_system_sgpr_workgroup_id_x 1
		.amdhsa_system_sgpr_workgroup_id_y 0
		.amdhsa_system_sgpr_workgroup_id_z 0
		.amdhsa_system_sgpr_workgroup_info 0
		.amdhsa_system_vgpr_workitem_id 0
		.amdhsa_next_free_vgpr 1
		.amdhsa_next_free_sgpr 0
		.amdhsa_accum_offset 4
		.amdhsa_reserve_vcc 0
		.amdhsa_reserve_flat_scratch 0
		.amdhsa_float_round_mode_32 0
		.amdhsa_float_round_mode_16_64 0
		.amdhsa_float_denorm_mode_32 3
		.amdhsa_float_denorm_mode_16_64 3
		.amdhsa_dx10_clamp 1
		.amdhsa_ieee_mode 1
		.amdhsa_fp16_overflow 0
		.amdhsa_tg_split 0
		.amdhsa_exception_fp_ieee_invalid_op 0
		.amdhsa_exception_fp_denorm_src 0
		.amdhsa_exception_fp_ieee_div_zero 0
		.amdhsa_exception_fp_ieee_overflow 0
		.amdhsa_exception_fp_ieee_underflow 0
		.amdhsa_exception_fp_ieee_inexact 0
		.amdhsa_exception_int_div_zero 0
	.end_amdhsa_kernel
	.section	.text._ZN7rocprim17ROCPRIM_400000_NS6detail17trampoline_kernelINS0_13select_configILj256ELj13ELNS0_17block_load_methodE3ELS4_3ELS4_3ELNS0_20block_scan_algorithmE0ELj4294967295EEENS1_25partition_config_selectorILNS1_17partition_subalgoE3EjNS0_10empty_typeEbEEZZNS1_14partition_implILS8_3ELb0ES6_jNS0_17counting_iteratorIjlEEPS9_SE_NS0_5tupleIJPjSE_EEENSF_IJSE_SE_EEES9_SG_JZNS1_25segmented_radix_sort_implINS0_14default_configELb0EPKlPlSM_SN_N2at6native12_GLOBAL__N_18offset_tEEE10hipError_tPvRmT1_PNSt15iterator_traitsISV_E10value_typeET2_T3_PNSW_IS11_E10value_typeET4_jRbjT5_S17_jjP12ihipStream_tbEUljE_EEESS_ST_SU_S11_S15_S17_T6_T7_T9_mT8_S19_bDpT10_ENKUlT_T0_E_clISt17integral_constantIbLb0EES1L_IbLb1EEEEDaS1H_S1I_EUlS1H_E_NS1_11comp_targetILNS1_3genE0ELNS1_11target_archE4294967295ELNS1_3gpuE0ELNS1_3repE0EEENS1_30default_config_static_selectorELNS0_4arch9wavefront6targetE1EEEvSV_,"axG",@progbits,_ZN7rocprim17ROCPRIM_400000_NS6detail17trampoline_kernelINS0_13select_configILj256ELj13ELNS0_17block_load_methodE3ELS4_3ELS4_3ELNS0_20block_scan_algorithmE0ELj4294967295EEENS1_25partition_config_selectorILNS1_17partition_subalgoE3EjNS0_10empty_typeEbEEZZNS1_14partition_implILS8_3ELb0ES6_jNS0_17counting_iteratorIjlEEPS9_SE_NS0_5tupleIJPjSE_EEENSF_IJSE_SE_EEES9_SG_JZNS1_25segmented_radix_sort_implINS0_14default_configELb0EPKlPlSM_SN_N2at6native12_GLOBAL__N_18offset_tEEE10hipError_tPvRmT1_PNSt15iterator_traitsISV_E10value_typeET2_T3_PNSW_IS11_E10value_typeET4_jRbjT5_S17_jjP12ihipStream_tbEUljE_EEESS_ST_SU_S11_S15_S17_T6_T7_T9_mT8_S19_bDpT10_ENKUlT_T0_E_clISt17integral_constantIbLb0EES1L_IbLb1EEEEDaS1H_S1I_EUlS1H_E_NS1_11comp_targetILNS1_3genE0ELNS1_11target_archE4294967295ELNS1_3gpuE0ELNS1_3repE0EEENS1_30default_config_static_selectorELNS0_4arch9wavefront6targetE1EEEvSV_,comdat
.Lfunc_end799:
	.size	_ZN7rocprim17ROCPRIM_400000_NS6detail17trampoline_kernelINS0_13select_configILj256ELj13ELNS0_17block_load_methodE3ELS4_3ELS4_3ELNS0_20block_scan_algorithmE0ELj4294967295EEENS1_25partition_config_selectorILNS1_17partition_subalgoE3EjNS0_10empty_typeEbEEZZNS1_14partition_implILS8_3ELb0ES6_jNS0_17counting_iteratorIjlEEPS9_SE_NS0_5tupleIJPjSE_EEENSF_IJSE_SE_EEES9_SG_JZNS1_25segmented_radix_sort_implINS0_14default_configELb0EPKlPlSM_SN_N2at6native12_GLOBAL__N_18offset_tEEE10hipError_tPvRmT1_PNSt15iterator_traitsISV_E10value_typeET2_T3_PNSW_IS11_E10value_typeET4_jRbjT5_S17_jjP12ihipStream_tbEUljE_EEESS_ST_SU_S11_S15_S17_T6_T7_T9_mT8_S19_bDpT10_ENKUlT_T0_E_clISt17integral_constantIbLb0EES1L_IbLb1EEEEDaS1H_S1I_EUlS1H_E_NS1_11comp_targetILNS1_3genE0ELNS1_11target_archE4294967295ELNS1_3gpuE0ELNS1_3repE0EEENS1_30default_config_static_selectorELNS0_4arch9wavefront6targetE1EEEvSV_, .Lfunc_end799-_ZN7rocprim17ROCPRIM_400000_NS6detail17trampoline_kernelINS0_13select_configILj256ELj13ELNS0_17block_load_methodE3ELS4_3ELS4_3ELNS0_20block_scan_algorithmE0ELj4294967295EEENS1_25partition_config_selectorILNS1_17partition_subalgoE3EjNS0_10empty_typeEbEEZZNS1_14partition_implILS8_3ELb0ES6_jNS0_17counting_iteratorIjlEEPS9_SE_NS0_5tupleIJPjSE_EEENSF_IJSE_SE_EEES9_SG_JZNS1_25segmented_radix_sort_implINS0_14default_configELb0EPKlPlSM_SN_N2at6native12_GLOBAL__N_18offset_tEEE10hipError_tPvRmT1_PNSt15iterator_traitsISV_E10value_typeET2_T3_PNSW_IS11_E10value_typeET4_jRbjT5_S17_jjP12ihipStream_tbEUljE_EEESS_ST_SU_S11_S15_S17_T6_T7_T9_mT8_S19_bDpT10_ENKUlT_T0_E_clISt17integral_constantIbLb0EES1L_IbLb1EEEEDaS1H_S1I_EUlS1H_E_NS1_11comp_targetILNS1_3genE0ELNS1_11target_archE4294967295ELNS1_3gpuE0ELNS1_3repE0EEENS1_30default_config_static_selectorELNS0_4arch9wavefront6targetE1EEEvSV_
                                        ; -- End function
	.section	.AMDGPU.csdata,"",@progbits
; Kernel info:
; codeLenInByte = 0
; NumSgprs: 4
; NumVgprs: 0
; NumAgprs: 0
; TotalNumVgprs: 0
; ScratchSize: 0
; MemoryBound: 0
; FloatMode: 240
; IeeeMode: 1
; LDSByteSize: 0 bytes/workgroup (compile time only)
; SGPRBlocks: 0
; VGPRBlocks: 0
; NumSGPRsForWavesPerEU: 4
; NumVGPRsForWavesPerEU: 1
; AccumOffset: 4
; Occupancy: 8
; WaveLimiterHint : 0
; COMPUTE_PGM_RSRC2:SCRATCH_EN: 0
; COMPUTE_PGM_RSRC2:USER_SGPR: 6
; COMPUTE_PGM_RSRC2:TRAP_HANDLER: 0
; COMPUTE_PGM_RSRC2:TGID_X_EN: 1
; COMPUTE_PGM_RSRC2:TGID_Y_EN: 0
; COMPUTE_PGM_RSRC2:TGID_Z_EN: 0
; COMPUTE_PGM_RSRC2:TIDIG_COMP_CNT: 0
; COMPUTE_PGM_RSRC3_GFX90A:ACCUM_OFFSET: 0
; COMPUTE_PGM_RSRC3_GFX90A:TG_SPLIT: 0
	.section	.text._ZN7rocprim17ROCPRIM_400000_NS6detail17trampoline_kernelINS0_13select_configILj256ELj13ELNS0_17block_load_methodE3ELS4_3ELS4_3ELNS0_20block_scan_algorithmE0ELj4294967295EEENS1_25partition_config_selectorILNS1_17partition_subalgoE3EjNS0_10empty_typeEbEEZZNS1_14partition_implILS8_3ELb0ES6_jNS0_17counting_iteratorIjlEEPS9_SE_NS0_5tupleIJPjSE_EEENSF_IJSE_SE_EEES9_SG_JZNS1_25segmented_radix_sort_implINS0_14default_configELb0EPKlPlSM_SN_N2at6native12_GLOBAL__N_18offset_tEEE10hipError_tPvRmT1_PNSt15iterator_traitsISV_E10value_typeET2_T3_PNSW_IS11_E10value_typeET4_jRbjT5_S17_jjP12ihipStream_tbEUljE_EEESS_ST_SU_S11_S15_S17_T6_T7_T9_mT8_S19_bDpT10_ENKUlT_T0_E_clISt17integral_constantIbLb0EES1L_IbLb1EEEEDaS1H_S1I_EUlS1H_E_NS1_11comp_targetILNS1_3genE5ELNS1_11target_archE942ELNS1_3gpuE9ELNS1_3repE0EEENS1_30default_config_static_selectorELNS0_4arch9wavefront6targetE1EEEvSV_,"axG",@progbits,_ZN7rocprim17ROCPRIM_400000_NS6detail17trampoline_kernelINS0_13select_configILj256ELj13ELNS0_17block_load_methodE3ELS4_3ELS4_3ELNS0_20block_scan_algorithmE0ELj4294967295EEENS1_25partition_config_selectorILNS1_17partition_subalgoE3EjNS0_10empty_typeEbEEZZNS1_14partition_implILS8_3ELb0ES6_jNS0_17counting_iteratorIjlEEPS9_SE_NS0_5tupleIJPjSE_EEENSF_IJSE_SE_EEES9_SG_JZNS1_25segmented_radix_sort_implINS0_14default_configELb0EPKlPlSM_SN_N2at6native12_GLOBAL__N_18offset_tEEE10hipError_tPvRmT1_PNSt15iterator_traitsISV_E10value_typeET2_T3_PNSW_IS11_E10value_typeET4_jRbjT5_S17_jjP12ihipStream_tbEUljE_EEESS_ST_SU_S11_S15_S17_T6_T7_T9_mT8_S19_bDpT10_ENKUlT_T0_E_clISt17integral_constantIbLb0EES1L_IbLb1EEEEDaS1H_S1I_EUlS1H_E_NS1_11comp_targetILNS1_3genE5ELNS1_11target_archE942ELNS1_3gpuE9ELNS1_3repE0EEENS1_30default_config_static_selectorELNS0_4arch9wavefront6targetE1EEEvSV_,comdat
	.globl	_ZN7rocprim17ROCPRIM_400000_NS6detail17trampoline_kernelINS0_13select_configILj256ELj13ELNS0_17block_load_methodE3ELS4_3ELS4_3ELNS0_20block_scan_algorithmE0ELj4294967295EEENS1_25partition_config_selectorILNS1_17partition_subalgoE3EjNS0_10empty_typeEbEEZZNS1_14partition_implILS8_3ELb0ES6_jNS0_17counting_iteratorIjlEEPS9_SE_NS0_5tupleIJPjSE_EEENSF_IJSE_SE_EEES9_SG_JZNS1_25segmented_radix_sort_implINS0_14default_configELb0EPKlPlSM_SN_N2at6native12_GLOBAL__N_18offset_tEEE10hipError_tPvRmT1_PNSt15iterator_traitsISV_E10value_typeET2_T3_PNSW_IS11_E10value_typeET4_jRbjT5_S17_jjP12ihipStream_tbEUljE_EEESS_ST_SU_S11_S15_S17_T6_T7_T9_mT8_S19_bDpT10_ENKUlT_T0_E_clISt17integral_constantIbLb0EES1L_IbLb1EEEEDaS1H_S1I_EUlS1H_E_NS1_11comp_targetILNS1_3genE5ELNS1_11target_archE942ELNS1_3gpuE9ELNS1_3repE0EEENS1_30default_config_static_selectorELNS0_4arch9wavefront6targetE1EEEvSV_ ; -- Begin function _ZN7rocprim17ROCPRIM_400000_NS6detail17trampoline_kernelINS0_13select_configILj256ELj13ELNS0_17block_load_methodE3ELS4_3ELS4_3ELNS0_20block_scan_algorithmE0ELj4294967295EEENS1_25partition_config_selectorILNS1_17partition_subalgoE3EjNS0_10empty_typeEbEEZZNS1_14partition_implILS8_3ELb0ES6_jNS0_17counting_iteratorIjlEEPS9_SE_NS0_5tupleIJPjSE_EEENSF_IJSE_SE_EEES9_SG_JZNS1_25segmented_radix_sort_implINS0_14default_configELb0EPKlPlSM_SN_N2at6native12_GLOBAL__N_18offset_tEEE10hipError_tPvRmT1_PNSt15iterator_traitsISV_E10value_typeET2_T3_PNSW_IS11_E10value_typeET4_jRbjT5_S17_jjP12ihipStream_tbEUljE_EEESS_ST_SU_S11_S15_S17_T6_T7_T9_mT8_S19_bDpT10_ENKUlT_T0_E_clISt17integral_constantIbLb0EES1L_IbLb1EEEEDaS1H_S1I_EUlS1H_E_NS1_11comp_targetILNS1_3genE5ELNS1_11target_archE942ELNS1_3gpuE9ELNS1_3repE0EEENS1_30default_config_static_selectorELNS0_4arch9wavefront6targetE1EEEvSV_
	.p2align	8
	.type	_ZN7rocprim17ROCPRIM_400000_NS6detail17trampoline_kernelINS0_13select_configILj256ELj13ELNS0_17block_load_methodE3ELS4_3ELS4_3ELNS0_20block_scan_algorithmE0ELj4294967295EEENS1_25partition_config_selectorILNS1_17partition_subalgoE3EjNS0_10empty_typeEbEEZZNS1_14partition_implILS8_3ELb0ES6_jNS0_17counting_iteratorIjlEEPS9_SE_NS0_5tupleIJPjSE_EEENSF_IJSE_SE_EEES9_SG_JZNS1_25segmented_radix_sort_implINS0_14default_configELb0EPKlPlSM_SN_N2at6native12_GLOBAL__N_18offset_tEEE10hipError_tPvRmT1_PNSt15iterator_traitsISV_E10value_typeET2_T3_PNSW_IS11_E10value_typeET4_jRbjT5_S17_jjP12ihipStream_tbEUljE_EEESS_ST_SU_S11_S15_S17_T6_T7_T9_mT8_S19_bDpT10_ENKUlT_T0_E_clISt17integral_constantIbLb0EES1L_IbLb1EEEEDaS1H_S1I_EUlS1H_E_NS1_11comp_targetILNS1_3genE5ELNS1_11target_archE942ELNS1_3gpuE9ELNS1_3repE0EEENS1_30default_config_static_selectorELNS0_4arch9wavefront6targetE1EEEvSV_,@function
_ZN7rocprim17ROCPRIM_400000_NS6detail17trampoline_kernelINS0_13select_configILj256ELj13ELNS0_17block_load_methodE3ELS4_3ELS4_3ELNS0_20block_scan_algorithmE0ELj4294967295EEENS1_25partition_config_selectorILNS1_17partition_subalgoE3EjNS0_10empty_typeEbEEZZNS1_14partition_implILS8_3ELb0ES6_jNS0_17counting_iteratorIjlEEPS9_SE_NS0_5tupleIJPjSE_EEENSF_IJSE_SE_EEES9_SG_JZNS1_25segmented_radix_sort_implINS0_14default_configELb0EPKlPlSM_SN_N2at6native12_GLOBAL__N_18offset_tEEE10hipError_tPvRmT1_PNSt15iterator_traitsISV_E10value_typeET2_T3_PNSW_IS11_E10value_typeET4_jRbjT5_S17_jjP12ihipStream_tbEUljE_EEESS_ST_SU_S11_S15_S17_T6_T7_T9_mT8_S19_bDpT10_ENKUlT_T0_E_clISt17integral_constantIbLb0EES1L_IbLb1EEEEDaS1H_S1I_EUlS1H_E_NS1_11comp_targetILNS1_3genE5ELNS1_11target_archE942ELNS1_3gpuE9ELNS1_3repE0EEENS1_30default_config_static_selectorELNS0_4arch9wavefront6targetE1EEEvSV_: ; @_ZN7rocprim17ROCPRIM_400000_NS6detail17trampoline_kernelINS0_13select_configILj256ELj13ELNS0_17block_load_methodE3ELS4_3ELS4_3ELNS0_20block_scan_algorithmE0ELj4294967295EEENS1_25partition_config_selectorILNS1_17partition_subalgoE3EjNS0_10empty_typeEbEEZZNS1_14partition_implILS8_3ELb0ES6_jNS0_17counting_iteratorIjlEEPS9_SE_NS0_5tupleIJPjSE_EEENSF_IJSE_SE_EEES9_SG_JZNS1_25segmented_radix_sort_implINS0_14default_configELb0EPKlPlSM_SN_N2at6native12_GLOBAL__N_18offset_tEEE10hipError_tPvRmT1_PNSt15iterator_traitsISV_E10value_typeET2_T3_PNSW_IS11_E10value_typeET4_jRbjT5_S17_jjP12ihipStream_tbEUljE_EEESS_ST_SU_S11_S15_S17_T6_T7_T9_mT8_S19_bDpT10_ENKUlT_T0_E_clISt17integral_constantIbLb0EES1L_IbLb1EEEEDaS1H_S1I_EUlS1H_E_NS1_11comp_targetILNS1_3genE5ELNS1_11target_archE942ELNS1_3gpuE9ELNS1_3repE0EEENS1_30default_config_static_selectorELNS0_4arch9wavefront6targetE1EEEvSV_
; %bb.0:
	.section	.rodata,"a",@progbits
	.p2align	6, 0x0
	.amdhsa_kernel _ZN7rocprim17ROCPRIM_400000_NS6detail17trampoline_kernelINS0_13select_configILj256ELj13ELNS0_17block_load_methodE3ELS4_3ELS4_3ELNS0_20block_scan_algorithmE0ELj4294967295EEENS1_25partition_config_selectorILNS1_17partition_subalgoE3EjNS0_10empty_typeEbEEZZNS1_14partition_implILS8_3ELb0ES6_jNS0_17counting_iteratorIjlEEPS9_SE_NS0_5tupleIJPjSE_EEENSF_IJSE_SE_EEES9_SG_JZNS1_25segmented_radix_sort_implINS0_14default_configELb0EPKlPlSM_SN_N2at6native12_GLOBAL__N_18offset_tEEE10hipError_tPvRmT1_PNSt15iterator_traitsISV_E10value_typeET2_T3_PNSW_IS11_E10value_typeET4_jRbjT5_S17_jjP12ihipStream_tbEUljE_EEESS_ST_SU_S11_S15_S17_T6_T7_T9_mT8_S19_bDpT10_ENKUlT_T0_E_clISt17integral_constantIbLb0EES1L_IbLb1EEEEDaS1H_S1I_EUlS1H_E_NS1_11comp_targetILNS1_3genE5ELNS1_11target_archE942ELNS1_3gpuE9ELNS1_3repE0EEENS1_30default_config_static_selectorELNS0_4arch9wavefront6targetE1EEEvSV_
		.amdhsa_group_segment_fixed_size 0
		.amdhsa_private_segment_fixed_size 0
		.amdhsa_kernarg_size 152
		.amdhsa_user_sgpr_count 6
		.amdhsa_user_sgpr_private_segment_buffer 1
		.amdhsa_user_sgpr_dispatch_ptr 0
		.amdhsa_user_sgpr_queue_ptr 0
		.amdhsa_user_sgpr_kernarg_segment_ptr 1
		.amdhsa_user_sgpr_dispatch_id 0
		.amdhsa_user_sgpr_flat_scratch_init 0
		.amdhsa_user_sgpr_kernarg_preload_length 0
		.amdhsa_user_sgpr_kernarg_preload_offset 0
		.amdhsa_user_sgpr_private_segment_size 0
		.amdhsa_uses_dynamic_stack 0
		.amdhsa_system_sgpr_private_segment_wavefront_offset 0
		.amdhsa_system_sgpr_workgroup_id_x 1
		.amdhsa_system_sgpr_workgroup_id_y 0
		.amdhsa_system_sgpr_workgroup_id_z 0
		.amdhsa_system_sgpr_workgroup_info 0
		.amdhsa_system_vgpr_workitem_id 0
		.amdhsa_next_free_vgpr 1
		.amdhsa_next_free_sgpr 0
		.amdhsa_accum_offset 4
		.amdhsa_reserve_vcc 0
		.amdhsa_reserve_flat_scratch 0
		.amdhsa_float_round_mode_32 0
		.amdhsa_float_round_mode_16_64 0
		.amdhsa_float_denorm_mode_32 3
		.amdhsa_float_denorm_mode_16_64 3
		.amdhsa_dx10_clamp 1
		.amdhsa_ieee_mode 1
		.amdhsa_fp16_overflow 0
		.amdhsa_tg_split 0
		.amdhsa_exception_fp_ieee_invalid_op 0
		.amdhsa_exception_fp_denorm_src 0
		.amdhsa_exception_fp_ieee_div_zero 0
		.amdhsa_exception_fp_ieee_overflow 0
		.amdhsa_exception_fp_ieee_underflow 0
		.amdhsa_exception_fp_ieee_inexact 0
		.amdhsa_exception_int_div_zero 0
	.end_amdhsa_kernel
	.section	.text._ZN7rocprim17ROCPRIM_400000_NS6detail17trampoline_kernelINS0_13select_configILj256ELj13ELNS0_17block_load_methodE3ELS4_3ELS4_3ELNS0_20block_scan_algorithmE0ELj4294967295EEENS1_25partition_config_selectorILNS1_17partition_subalgoE3EjNS0_10empty_typeEbEEZZNS1_14partition_implILS8_3ELb0ES6_jNS0_17counting_iteratorIjlEEPS9_SE_NS0_5tupleIJPjSE_EEENSF_IJSE_SE_EEES9_SG_JZNS1_25segmented_radix_sort_implINS0_14default_configELb0EPKlPlSM_SN_N2at6native12_GLOBAL__N_18offset_tEEE10hipError_tPvRmT1_PNSt15iterator_traitsISV_E10value_typeET2_T3_PNSW_IS11_E10value_typeET4_jRbjT5_S17_jjP12ihipStream_tbEUljE_EEESS_ST_SU_S11_S15_S17_T6_T7_T9_mT8_S19_bDpT10_ENKUlT_T0_E_clISt17integral_constantIbLb0EES1L_IbLb1EEEEDaS1H_S1I_EUlS1H_E_NS1_11comp_targetILNS1_3genE5ELNS1_11target_archE942ELNS1_3gpuE9ELNS1_3repE0EEENS1_30default_config_static_selectorELNS0_4arch9wavefront6targetE1EEEvSV_,"axG",@progbits,_ZN7rocprim17ROCPRIM_400000_NS6detail17trampoline_kernelINS0_13select_configILj256ELj13ELNS0_17block_load_methodE3ELS4_3ELS4_3ELNS0_20block_scan_algorithmE0ELj4294967295EEENS1_25partition_config_selectorILNS1_17partition_subalgoE3EjNS0_10empty_typeEbEEZZNS1_14partition_implILS8_3ELb0ES6_jNS0_17counting_iteratorIjlEEPS9_SE_NS0_5tupleIJPjSE_EEENSF_IJSE_SE_EEES9_SG_JZNS1_25segmented_radix_sort_implINS0_14default_configELb0EPKlPlSM_SN_N2at6native12_GLOBAL__N_18offset_tEEE10hipError_tPvRmT1_PNSt15iterator_traitsISV_E10value_typeET2_T3_PNSW_IS11_E10value_typeET4_jRbjT5_S17_jjP12ihipStream_tbEUljE_EEESS_ST_SU_S11_S15_S17_T6_T7_T9_mT8_S19_bDpT10_ENKUlT_T0_E_clISt17integral_constantIbLb0EES1L_IbLb1EEEEDaS1H_S1I_EUlS1H_E_NS1_11comp_targetILNS1_3genE5ELNS1_11target_archE942ELNS1_3gpuE9ELNS1_3repE0EEENS1_30default_config_static_selectorELNS0_4arch9wavefront6targetE1EEEvSV_,comdat
.Lfunc_end800:
	.size	_ZN7rocprim17ROCPRIM_400000_NS6detail17trampoline_kernelINS0_13select_configILj256ELj13ELNS0_17block_load_methodE3ELS4_3ELS4_3ELNS0_20block_scan_algorithmE0ELj4294967295EEENS1_25partition_config_selectorILNS1_17partition_subalgoE3EjNS0_10empty_typeEbEEZZNS1_14partition_implILS8_3ELb0ES6_jNS0_17counting_iteratorIjlEEPS9_SE_NS0_5tupleIJPjSE_EEENSF_IJSE_SE_EEES9_SG_JZNS1_25segmented_radix_sort_implINS0_14default_configELb0EPKlPlSM_SN_N2at6native12_GLOBAL__N_18offset_tEEE10hipError_tPvRmT1_PNSt15iterator_traitsISV_E10value_typeET2_T3_PNSW_IS11_E10value_typeET4_jRbjT5_S17_jjP12ihipStream_tbEUljE_EEESS_ST_SU_S11_S15_S17_T6_T7_T9_mT8_S19_bDpT10_ENKUlT_T0_E_clISt17integral_constantIbLb0EES1L_IbLb1EEEEDaS1H_S1I_EUlS1H_E_NS1_11comp_targetILNS1_3genE5ELNS1_11target_archE942ELNS1_3gpuE9ELNS1_3repE0EEENS1_30default_config_static_selectorELNS0_4arch9wavefront6targetE1EEEvSV_, .Lfunc_end800-_ZN7rocprim17ROCPRIM_400000_NS6detail17trampoline_kernelINS0_13select_configILj256ELj13ELNS0_17block_load_methodE3ELS4_3ELS4_3ELNS0_20block_scan_algorithmE0ELj4294967295EEENS1_25partition_config_selectorILNS1_17partition_subalgoE3EjNS0_10empty_typeEbEEZZNS1_14partition_implILS8_3ELb0ES6_jNS0_17counting_iteratorIjlEEPS9_SE_NS0_5tupleIJPjSE_EEENSF_IJSE_SE_EEES9_SG_JZNS1_25segmented_radix_sort_implINS0_14default_configELb0EPKlPlSM_SN_N2at6native12_GLOBAL__N_18offset_tEEE10hipError_tPvRmT1_PNSt15iterator_traitsISV_E10value_typeET2_T3_PNSW_IS11_E10value_typeET4_jRbjT5_S17_jjP12ihipStream_tbEUljE_EEESS_ST_SU_S11_S15_S17_T6_T7_T9_mT8_S19_bDpT10_ENKUlT_T0_E_clISt17integral_constantIbLb0EES1L_IbLb1EEEEDaS1H_S1I_EUlS1H_E_NS1_11comp_targetILNS1_3genE5ELNS1_11target_archE942ELNS1_3gpuE9ELNS1_3repE0EEENS1_30default_config_static_selectorELNS0_4arch9wavefront6targetE1EEEvSV_
                                        ; -- End function
	.section	.AMDGPU.csdata,"",@progbits
; Kernel info:
; codeLenInByte = 0
; NumSgprs: 4
; NumVgprs: 0
; NumAgprs: 0
; TotalNumVgprs: 0
; ScratchSize: 0
; MemoryBound: 0
; FloatMode: 240
; IeeeMode: 1
; LDSByteSize: 0 bytes/workgroup (compile time only)
; SGPRBlocks: 0
; VGPRBlocks: 0
; NumSGPRsForWavesPerEU: 4
; NumVGPRsForWavesPerEU: 1
; AccumOffset: 4
; Occupancy: 8
; WaveLimiterHint : 0
; COMPUTE_PGM_RSRC2:SCRATCH_EN: 0
; COMPUTE_PGM_RSRC2:USER_SGPR: 6
; COMPUTE_PGM_RSRC2:TRAP_HANDLER: 0
; COMPUTE_PGM_RSRC2:TGID_X_EN: 1
; COMPUTE_PGM_RSRC2:TGID_Y_EN: 0
; COMPUTE_PGM_RSRC2:TGID_Z_EN: 0
; COMPUTE_PGM_RSRC2:TIDIG_COMP_CNT: 0
; COMPUTE_PGM_RSRC3_GFX90A:ACCUM_OFFSET: 0
; COMPUTE_PGM_RSRC3_GFX90A:TG_SPLIT: 0
	.section	.text._ZN7rocprim17ROCPRIM_400000_NS6detail17trampoline_kernelINS0_13select_configILj256ELj13ELNS0_17block_load_methodE3ELS4_3ELS4_3ELNS0_20block_scan_algorithmE0ELj4294967295EEENS1_25partition_config_selectorILNS1_17partition_subalgoE3EjNS0_10empty_typeEbEEZZNS1_14partition_implILS8_3ELb0ES6_jNS0_17counting_iteratorIjlEEPS9_SE_NS0_5tupleIJPjSE_EEENSF_IJSE_SE_EEES9_SG_JZNS1_25segmented_radix_sort_implINS0_14default_configELb0EPKlPlSM_SN_N2at6native12_GLOBAL__N_18offset_tEEE10hipError_tPvRmT1_PNSt15iterator_traitsISV_E10value_typeET2_T3_PNSW_IS11_E10value_typeET4_jRbjT5_S17_jjP12ihipStream_tbEUljE_EEESS_ST_SU_S11_S15_S17_T6_T7_T9_mT8_S19_bDpT10_ENKUlT_T0_E_clISt17integral_constantIbLb0EES1L_IbLb1EEEEDaS1H_S1I_EUlS1H_E_NS1_11comp_targetILNS1_3genE4ELNS1_11target_archE910ELNS1_3gpuE8ELNS1_3repE0EEENS1_30default_config_static_selectorELNS0_4arch9wavefront6targetE1EEEvSV_,"axG",@progbits,_ZN7rocprim17ROCPRIM_400000_NS6detail17trampoline_kernelINS0_13select_configILj256ELj13ELNS0_17block_load_methodE3ELS4_3ELS4_3ELNS0_20block_scan_algorithmE0ELj4294967295EEENS1_25partition_config_selectorILNS1_17partition_subalgoE3EjNS0_10empty_typeEbEEZZNS1_14partition_implILS8_3ELb0ES6_jNS0_17counting_iteratorIjlEEPS9_SE_NS0_5tupleIJPjSE_EEENSF_IJSE_SE_EEES9_SG_JZNS1_25segmented_radix_sort_implINS0_14default_configELb0EPKlPlSM_SN_N2at6native12_GLOBAL__N_18offset_tEEE10hipError_tPvRmT1_PNSt15iterator_traitsISV_E10value_typeET2_T3_PNSW_IS11_E10value_typeET4_jRbjT5_S17_jjP12ihipStream_tbEUljE_EEESS_ST_SU_S11_S15_S17_T6_T7_T9_mT8_S19_bDpT10_ENKUlT_T0_E_clISt17integral_constantIbLb0EES1L_IbLb1EEEEDaS1H_S1I_EUlS1H_E_NS1_11comp_targetILNS1_3genE4ELNS1_11target_archE910ELNS1_3gpuE8ELNS1_3repE0EEENS1_30default_config_static_selectorELNS0_4arch9wavefront6targetE1EEEvSV_,comdat
	.globl	_ZN7rocprim17ROCPRIM_400000_NS6detail17trampoline_kernelINS0_13select_configILj256ELj13ELNS0_17block_load_methodE3ELS4_3ELS4_3ELNS0_20block_scan_algorithmE0ELj4294967295EEENS1_25partition_config_selectorILNS1_17partition_subalgoE3EjNS0_10empty_typeEbEEZZNS1_14partition_implILS8_3ELb0ES6_jNS0_17counting_iteratorIjlEEPS9_SE_NS0_5tupleIJPjSE_EEENSF_IJSE_SE_EEES9_SG_JZNS1_25segmented_radix_sort_implINS0_14default_configELb0EPKlPlSM_SN_N2at6native12_GLOBAL__N_18offset_tEEE10hipError_tPvRmT1_PNSt15iterator_traitsISV_E10value_typeET2_T3_PNSW_IS11_E10value_typeET4_jRbjT5_S17_jjP12ihipStream_tbEUljE_EEESS_ST_SU_S11_S15_S17_T6_T7_T9_mT8_S19_bDpT10_ENKUlT_T0_E_clISt17integral_constantIbLb0EES1L_IbLb1EEEEDaS1H_S1I_EUlS1H_E_NS1_11comp_targetILNS1_3genE4ELNS1_11target_archE910ELNS1_3gpuE8ELNS1_3repE0EEENS1_30default_config_static_selectorELNS0_4arch9wavefront6targetE1EEEvSV_ ; -- Begin function _ZN7rocprim17ROCPRIM_400000_NS6detail17trampoline_kernelINS0_13select_configILj256ELj13ELNS0_17block_load_methodE3ELS4_3ELS4_3ELNS0_20block_scan_algorithmE0ELj4294967295EEENS1_25partition_config_selectorILNS1_17partition_subalgoE3EjNS0_10empty_typeEbEEZZNS1_14partition_implILS8_3ELb0ES6_jNS0_17counting_iteratorIjlEEPS9_SE_NS0_5tupleIJPjSE_EEENSF_IJSE_SE_EEES9_SG_JZNS1_25segmented_radix_sort_implINS0_14default_configELb0EPKlPlSM_SN_N2at6native12_GLOBAL__N_18offset_tEEE10hipError_tPvRmT1_PNSt15iterator_traitsISV_E10value_typeET2_T3_PNSW_IS11_E10value_typeET4_jRbjT5_S17_jjP12ihipStream_tbEUljE_EEESS_ST_SU_S11_S15_S17_T6_T7_T9_mT8_S19_bDpT10_ENKUlT_T0_E_clISt17integral_constantIbLb0EES1L_IbLb1EEEEDaS1H_S1I_EUlS1H_E_NS1_11comp_targetILNS1_3genE4ELNS1_11target_archE910ELNS1_3gpuE8ELNS1_3repE0EEENS1_30default_config_static_selectorELNS0_4arch9wavefront6targetE1EEEvSV_
	.p2align	8
	.type	_ZN7rocprim17ROCPRIM_400000_NS6detail17trampoline_kernelINS0_13select_configILj256ELj13ELNS0_17block_load_methodE3ELS4_3ELS4_3ELNS0_20block_scan_algorithmE0ELj4294967295EEENS1_25partition_config_selectorILNS1_17partition_subalgoE3EjNS0_10empty_typeEbEEZZNS1_14partition_implILS8_3ELb0ES6_jNS0_17counting_iteratorIjlEEPS9_SE_NS0_5tupleIJPjSE_EEENSF_IJSE_SE_EEES9_SG_JZNS1_25segmented_radix_sort_implINS0_14default_configELb0EPKlPlSM_SN_N2at6native12_GLOBAL__N_18offset_tEEE10hipError_tPvRmT1_PNSt15iterator_traitsISV_E10value_typeET2_T3_PNSW_IS11_E10value_typeET4_jRbjT5_S17_jjP12ihipStream_tbEUljE_EEESS_ST_SU_S11_S15_S17_T6_T7_T9_mT8_S19_bDpT10_ENKUlT_T0_E_clISt17integral_constantIbLb0EES1L_IbLb1EEEEDaS1H_S1I_EUlS1H_E_NS1_11comp_targetILNS1_3genE4ELNS1_11target_archE910ELNS1_3gpuE8ELNS1_3repE0EEENS1_30default_config_static_selectorELNS0_4arch9wavefront6targetE1EEEvSV_,@function
_ZN7rocprim17ROCPRIM_400000_NS6detail17trampoline_kernelINS0_13select_configILj256ELj13ELNS0_17block_load_methodE3ELS4_3ELS4_3ELNS0_20block_scan_algorithmE0ELj4294967295EEENS1_25partition_config_selectorILNS1_17partition_subalgoE3EjNS0_10empty_typeEbEEZZNS1_14partition_implILS8_3ELb0ES6_jNS0_17counting_iteratorIjlEEPS9_SE_NS0_5tupleIJPjSE_EEENSF_IJSE_SE_EEES9_SG_JZNS1_25segmented_radix_sort_implINS0_14default_configELb0EPKlPlSM_SN_N2at6native12_GLOBAL__N_18offset_tEEE10hipError_tPvRmT1_PNSt15iterator_traitsISV_E10value_typeET2_T3_PNSW_IS11_E10value_typeET4_jRbjT5_S17_jjP12ihipStream_tbEUljE_EEESS_ST_SU_S11_S15_S17_T6_T7_T9_mT8_S19_bDpT10_ENKUlT_T0_E_clISt17integral_constantIbLb0EES1L_IbLb1EEEEDaS1H_S1I_EUlS1H_E_NS1_11comp_targetILNS1_3genE4ELNS1_11target_archE910ELNS1_3gpuE8ELNS1_3repE0EEENS1_30default_config_static_selectorELNS0_4arch9wavefront6targetE1EEEvSV_: ; @_ZN7rocprim17ROCPRIM_400000_NS6detail17trampoline_kernelINS0_13select_configILj256ELj13ELNS0_17block_load_methodE3ELS4_3ELS4_3ELNS0_20block_scan_algorithmE0ELj4294967295EEENS1_25partition_config_selectorILNS1_17partition_subalgoE3EjNS0_10empty_typeEbEEZZNS1_14partition_implILS8_3ELb0ES6_jNS0_17counting_iteratorIjlEEPS9_SE_NS0_5tupleIJPjSE_EEENSF_IJSE_SE_EEES9_SG_JZNS1_25segmented_radix_sort_implINS0_14default_configELb0EPKlPlSM_SN_N2at6native12_GLOBAL__N_18offset_tEEE10hipError_tPvRmT1_PNSt15iterator_traitsISV_E10value_typeET2_T3_PNSW_IS11_E10value_typeET4_jRbjT5_S17_jjP12ihipStream_tbEUljE_EEESS_ST_SU_S11_S15_S17_T6_T7_T9_mT8_S19_bDpT10_ENKUlT_T0_E_clISt17integral_constantIbLb0EES1L_IbLb1EEEEDaS1H_S1I_EUlS1H_E_NS1_11comp_targetILNS1_3genE4ELNS1_11target_archE910ELNS1_3gpuE8ELNS1_3repE0EEENS1_30default_config_static_selectorELNS0_4arch9wavefront6targetE1EEEvSV_
; %bb.0:
	s_load_dwordx2 s[28:29], s[4:5], 0x10
	s_load_dwordx2 s[24:25], s[4:5], 0x28
	;; [unrolled: 1-line block ×3, first 2 shown]
	s_load_dwordx4 s[20:23], s[4:5], 0x48
	s_load_dword s14, s[4:5], 0x90
	s_load_dwordx2 s[30:31], s[4:5], 0x68
	s_load_dwordx4 s[8:11], s[4:5], 0x80
	v_cmp_eq_u32_e64 s[0:1], 0, v0
	s_and_saveexec_b64 s[2:3], s[0:1]
	s_cbranch_execz .LBB801_4
; %bb.1:
	s_mov_b64 s[12:13], exec
	v_mbcnt_lo_u32_b32 v1, s12, 0
	v_mbcnt_hi_u32_b32 v1, s13, v1
	v_cmp_eq_u32_e32 vcc, 0, v1
                                        ; implicit-def: $vgpr2
	s_and_saveexec_b64 s[6:7], vcc
	s_cbranch_execz .LBB801_3
; %bb.2:
	s_load_dwordx2 s[16:17], s[4:5], 0x78
	s_bcnt1_i32_b64 s12, s[12:13]
	v_mov_b32_e32 v2, 0
	v_mov_b32_e32 v3, s12
	s_waitcnt lgkmcnt(0)
	global_atomic_add v2, v2, v3, s[16:17] glc
.LBB801_3:
	s_or_b64 exec, exec, s[6:7]
	s_waitcnt vmcnt(0)
	v_readfirstlane_b32 s6, v2
	v_add_u32_e32 v1, s6, v1
	v_mov_b32_e32 v2, 0
	ds_write_b32 v2, v1
.LBB801_4:
	s_or_b64 exec, exec, s[2:3]
	v_mov_b32_e32 v1, 0
	s_load_dword s2, s[4:5], 0x8
	s_load_dword s6, s[4:5], 0x70
	s_waitcnt lgkmcnt(0)
	s_barrier
	ds_read_b32 v2, v1
	s_waitcnt lgkmcnt(0)
	s_barrier
	global_load_dwordx2 v[20:21], v1, s[22:23]
	s_add_i32 s7, s2, s28
	s_movk_i32 s2, 0xd00
	s_add_i32 s4, s6, -1
	s_mulk_i32 s6, 0xd00
	v_mul_lo_u32 v34, v2, s2
	s_add_u32 s2, s28, s6
	v_readfirstlane_b32 s40, v2
	s_addc_u32 s3, s29, 0
	s_cmp_eq_u32 s40, s4
	v_pk_mov_b32 v[2:3], s[26:27], s[26:27] op_sel:[0,1]
	s_cselect_b64 s[22:23], -1, 0
	s_cmp_lg_u32 s40, s4
	v_cmp_lt_u64_e32 vcc, s[2:3], v[2:3]
	s_cselect_b64 s[2:3], -1, 0
	s_or_b64 s[4:5], vcc, s[2:3]
	v_add_u32_e32 v1, s7, v34
	s_mov_b64 s[2:3], -1
	s_and_b64 vcc, exec, s[4:5]
	v_add_u32_e32 v2, v1, v0
	v_lshlrev_b32_e32 v1, 2, v0
	s_cbranch_vccz .LBB801_6
; %bb.5:
	v_add_u32_e32 v3, 0x100, v2
	v_add_u32_e32 v4, 0x200, v2
	;; [unrolled: 1-line block ×12, first 2 shown]
	ds_write2st64_b32 v1, v2, v3 offset1:4
	ds_write2st64_b32 v1, v4, v5 offset0:8 offset1:12
	ds_write2st64_b32 v1, v6, v7 offset0:16 offset1:20
	;; [unrolled: 1-line block ×5, first 2 shown]
	ds_write_b32 v1, v14 offset:12288
	s_waitcnt lgkmcnt(0)
	s_barrier
	s_mov_b64 s[2:3], 0
.LBB801_6:
	s_andn2_b64 vcc, exec, s[2:3]
	s_add_i32 s6, s6, s28
	s_cbranch_vccnz .LBB801_8
; %bb.7:
	v_add_u32_e32 v3, 0x100, v2
	v_add_u32_e32 v4, 0x200, v2
	;; [unrolled: 1-line block ×12, first 2 shown]
	ds_write2st64_b32 v1, v2, v3 offset1:4
	ds_write2st64_b32 v1, v4, v5 offset0:8 offset1:12
	ds_write2st64_b32 v1, v6, v7 offset0:16 offset1:20
	;; [unrolled: 1-line block ×5, first 2 shown]
	ds_write_b32 v1, v14 offset:12288
	s_waitcnt lgkmcnt(0)
	s_barrier
.LBB801_8:
	v_mul_u32_u24_e32 v36, 13, v0
	v_lshlrev_b32_e32 v2, 2, v36
	ds_read2_b32 v[32:33], v2 offset1:1
	ds_read2_b32 v[30:31], v2 offset0:2 offset1:3
	ds_read2_b32 v[28:29], v2 offset0:4 offset1:5
	;; [unrolled: 1-line block ×5, first 2 shown]
	ds_read_b32 v35, v2 offset:48
	v_cndmask_b32_e64 v2, 0, 1, s[4:5]
	s_sub_i32 s33, s26, s6
	v_cmp_ne_u32_e64 s[2:3], 1, v2
	s_andn2_b64 vcc, exec, s[4:5]
	s_waitcnt lgkmcnt(0)
	s_barrier
	s_cbranch_vccnz .LBB801_10
; %bb.9:
	v_add_u32_e32 v2, s9, v32
	v_add_u32_e32 v3, s11, v32
	v_mul_lo_u32 v2, v2, s8
	v_mul_lo_u32 v3, v3, s10
	v_sub_u32_e32 v2, v2, v3
	v_add_u32_e32 v3, s9, v33
	v_add_u32_e32 v4, s11, v33
	v_mul_lo_u32 v3, v3, s8
	v_mul_lo_u32 v4, v4, s10
	v_sub_u32_e32 v3, v3, v4
	;; [unrolled: 5-line block ×6, first 2 shown]
	v_add_u32_e32 v8, s9, v26
	v_add_u32_e32 v9, s11, v26
	v_mul_lo_u32 v8, v8, s8
	v_mul_lo_u32 v9, v9, s10
	v_cmp_lt_u32_e32 vcc, s14, v2
	v_sub_u32_e32 v8, v8, v9
	v_add_u32_e32 v9, s9, v27
	v_add_u32_e32 v10, s11, v27
	v_cndmask_b32_e64 v2, 0, 1, vcc
	v_cmp_lt_u32_e32 vcc, s14, v3
	v_mul_lo_u32 v9, v9, s8
	v_mul_lo_u32 v10, v10, s10
	v_cndmask_b32_e64 v3, 0, 1, vcc
	v_cmp_lt_u32_e32 vcc, s14, v4
	v_sub_u32_e32 v9, v9, v10
	v_add_u32_e32 v10, s9, v24
	v_add_u32_e32 v11, s11, v24
	v_cndmask_b32_e64 v4, 0, 1, vcc
	v_cmp_lt_u32_e32 vcc, s14, v5
	v_mul_lo_u32 v10, v10, s8
	v_mul_lo_u32 v11, v11, s10
	v_cndmask_b32_e64 v5, 0, 1, vcc
	;; [unrolled: 9-line block ×4, first 2 shown]
	v_cmp_lt_u32_e32 vcc, s14, v10
	v_sub_u32_e32 v12, v12, v13
	v_add_u32_e32 v13, s9, v23
	v_add_u32_e32 v14, s11, v23
	v_lshlrev_b16_e32 v3, 8, v3
	v_cndmask_b32_e64 v10, 0, 1, vcc
	v_cmp_lt_u32_e32 vcc, s14, v11
	v_mul_lo_u32 v13, v13, s8
	v_mul_lo_u32 v14, v14, s10
	v_or_b32_e32 v2, v2, v3
	v_lshlrev_b16_e32 v3, 8, v5
	v_cndmask_b32_e64 v11, 0, 1, vcc
	v_cmp_lt_u32_e32 vcc, s14, v12
	v_sub_u32_e32 v13, v13, v14
	v_or_b32_sdwa v3, v4, v3 dst_sel:WORD_1 dst_unused:UNUSED_PAD src0_sel:DWORD src1_sel:DWORD
	v_cndmask_b32_e64 v12, 0, 1, vcc
	v_cmp_lt_u32_e32 vcc, s14, v13
	v_add_u32_e32 v14, s9, v35
	v_add_u32_e32 v15, s11, v35
	v_or_b32_sdwa v40, v2, v3 dst_sel:DWORD dst_unused:UNUSED_PAD src0_sel:WORD_0 src1_sel:DWORD
	v_lshlrev_b16_e32 v2, 8, v7
	v_lshlrev_b16_e32 v3, 8, v9
	v_cndmask_b32_e64 v13, 0, 1, vcc
	v_mul_lo_u32 v14, v14, s8
	v_mul_lo_u32 v15, v15, s10
	v_or_b32_e32 v2, v6, v2
	v_or_b32_sdwa v3, v8, v3 dst_sel:WORD_1 dst_unused:UNUSED_PAD src0_sel:DWORD src1_sel:DWORD
	v_sub_u32_e32 v14, v14, v15
	v_or_b32_sdwa v39, v2, v3 dst_sel:DWORD dst_unused:UNUSED_PAD src0_sel:WORD_0 src1_sel:DWORD
	v_lshlrev_b16_e32 v2, 8, v11
	v_lshlrev_b16_e32 v3, 8, v13
	v_cmp_lt_u32_e32 vcc, s14, v14
	v_or_b32_e32 v2, v10, v2
	v_or_b32_sdwa v3, v12, v3 dst_sel:WORD_1 dst_unused:UNUSED_PAD src0_sel:DWORD src1_sel:DWORD
	v_cndmask_b32_e64 v37, 0, 1, vcc
	v_or_b32_sdwa v38, v2, v3 dst_sel:DWORD dst_unused:UNUSED_PAD src0_sel:WORD_0 src1_sel:DWORD
	s_addk_i32 s33, 0xd00
	s_cbranch_execz .LBB801_11
	s_branch .LBB801_38
.LBB801_10:
                                        ; implicit-def: $vgpr37
                                        ; implicit-def: $vgpr38
                                        ; implicit-def: $vgpr39
                                        ; implicit-def: $vgpr40
	s_addk_i32 s33, 0xd00
.LBB801_11:
	v_cmp_gt_u32_e32 vcc, s33, v36
	v_mov_b32_e32 v3, 0
	v_mov_b32_e32 v2, 0
	s_and_saveexec_b64 s[4:5], vcc
; %bb.12:
	v_add_u32_e32 v2, s9, v32
	v_add_u32_e32 v4, s11, v32
	v_mul_lo_u32 v2, v2, s8
	v_mul_lo_u32 v4, v4, s10
	v_sub_u32_e32 v2, v2, v4
	v_cmp_lt_u32_e32 vcc, s14, v2
	v_cndmask_b32_e64 v2, 0, 1, vcc
; %bb.13:
	s_or_b64 exec, exec, s[4:5]
	v_add_u32_e32 v4, 1, v36
	v_cmp_gt_u32_e32 vcc, s33, v4
	s_and_saveexec_b64 s[4:5], vcc
; %bb.14:
	v_add_u32_e32 v3, s9, v33
	v_add_u32_e32 v4, s11, v33
	v_mul_lo_u32 v3, v3, s8
	v_mul_lo_u32 v4, v4, s10
	v_sub_u32_e32 v3, v3, v4
	v_cmp_lt_u32_e32 vcc, s14, v3
	v_cndmask_b32_e64 v3, 0, 1, vcc
; %bb.15:
	s_or_b64 exec, exec, s[4:5]
	v_add_u32_e32 v4, 2, v36
	v_cmp_gt_u32_e32 vcc, s33, v4
	v_mov_b32_e32 v5, 0
	v_mov_b32_e32 v4, 0
	s_and_saveexec_b64 s[4:5], vcc
; %bb.16:
	v_add_u32_e32 v4, s9, v30
	v_add_u32_e32 v6, s11, v30
	v_mul_lo_u32 v4, v4, s8
	v_mul_lo_u32 v6, v6, s10
	v_sub_u32_e32 v4, v4, v6
	v_cmp_lt_u32_e32 vcc, s14, v4
	v_cndmask_b32_e64 v4, 0, 1, vcc
; %bb.17:
	s_or_b64 exec, exec, s[4:5]
	v_add_u32_e32 v6, 3, v36
	v_cmp_gt_u32_e32 vcc, s33, v6
	s_and_saveexec_b64 s[4:5], vcc
; %bb.18:
	v_add_u32_e32 v5, s9, v31
	v_add_u32_e32 v6, s11, v31
	v_mul_lo_u32 v5, v5, s8
	v_mul_lo_u32 v6, v6, s10
	v_sub_u32_e32 v5, v5, v6
	v_cmp_lt_u32_e32 vcc, s14, v5
	v_cndmask_b32_e64 v5, 0, 1, vcc
; %bb.19:
	s_or_b64 exec, exec, s[4:5]
	v_add_u32_e32 v6, 4, v36
	;; [unrolled: 28-line block ×6, first 2 shown]
	v_cmp_gt_u32_e32 vcc, s33, v14
	v_mov_b32_e32 v37, 0
	s_and_saveexec_b64 s[4:5], vcc
; %bb.36:
	v_add_u32_e32 v14, s9, v35
	v_add_u32_e32 v15, s11, v35
	v_mul_lo_u32 v14, v14, s8
	v_mul_lo_u32 v15, v15, s10
	v_sub_u32_e32 v14, v14, v15
	v_cmp_lt_u32_e32 vcc, s14, v14
	v_cndmask_b32_e64 v37, 0, 1, vcc
; %bb.37:
	s_or_b64 exec, exec, s[4:5]
	v_lshlrev_b16_e32 v3, 8, v3
	v_or_b32_e32 v2, v2, v3
	v_lshlrev_b16_e32 v3, 8, v5
	v_or_b32_sdwa v3, v4, v3 dst_sel:WORD_1 dst_unused:UNUSED_PAD src0_sel:DWORD src1_sel:DWORD
	v_or_b32_sdwa v40, v2, v3 dst_sel:DWORD dst_unused:UNUSED_PAD src0_sel:WORD_0 src1_sel:DWORD
	v_lshlrev_b16_e32 v2, 8, v7
	v_lshlrev_b16_e32 v3, 8, v9
	v_or_b32_e32 v2, v6, v2
	v_or_b32_sdwa v3, v8, v3 dst_sel:WORD_1 dst_unused:UNUSED_PAD src0_sel:DWORD src1_sel:DWORD
	v_or_b32_sdwa v39, v2, v3 dst_sel:DWORD dst_unused:UNUSED_PAD src0_sel:WORD_0 src1_sel:DWORD
	v_lshlrev_b16_e32 v2, 8, v11
	v_lshlrev_b16_e32 v3, 8, v13
	v_or_b32_e32 v2, v10, v2
	v_or_b32_sdwa v3, v12, v3 dst_sel:WORD_1 dst_unused:UNUSED_PAD src0_sel:DWORD src1_sel:DWORD
	v_or_b32_sdwa v38, v2, v3 dst_sel:DWORD dst_unused:UNUSED_PAD src0_sel:WORD_0 src1_sel:DWORD
.LBB801_38:
	v_and_b32_e32 v44, 0xff, v40
	v_bfe_u32 v45, v40, 8, 8
	v_bfe_u32 v46, v40, 16, 8
	v_lshrrev_b32_e32 v43, 24, v40
	v_and_b32_e32 v47, 0xff, v39
	v_add3_u32 v3, v45, v44, v46
	v_bfe_u32 v48, v39, 8, 8
	v_bfe_u32 v49, v39, 16, 8
	v_add3_u32 v3, v3, v43, v47
	v_lshrrev_b32_e32 v42, 24, v39
	v_and_b32_e32 v50, 0xff, v38
	v_add3_u32 v3, v3, v48, v49
	v_bfe_u32 v51, v38, 8, 8
	v_bfe_u32 v52, v38, 16, 8
	v_add3_u32 v3, v3, v42, v50
	v_lshrrev_b32_e32 v41, 24, v38
	v_and_b32_e32 v2, 0xff, v37
	v_add3_u32 v3, v3, v51, v52
	v_add3_u32 v55, v3, v41, v2
	v_mbcnt_lo_u32_b32 v2, -1, 0
	v_mbcnt_hi_u32_b32 v53, -1, v2
	v_and_b32_e32 v2, 15, v53
	v_cmp_eq_u32_e64 s[16:17], 0, v2
	v_cmp_lt_u32_e64 s[14:15], 1, v2
	v_cmp_lt_u32_e64 s[12:13], 3, v2
	;; [unrolled: 1-line block ×3, first 2 shown]
	v_and_b32_e32 v2, 16, v53
	v_cmp_eq_u32_e64 s[8:9], 0, v2
	v_or_b32_e32 v2, 63, v0
	s_cmp_lg_u32 s40, 0
	v_cmp_lt_u32_e64 s[4:5], 31, v53
	v_lshrrev_b32_e32 v54, 6, v0
	v_cmp_eq_u32_e64 s[6:7], v2, v0
	s_cbranch_scc0 .LBB801_65
; %bb.39:
	v_mov_b32_dpp v2, v55 row_shr:1 row_mask:0xf bank_mask:0xf
	v_cndmask_b32_e64 v2, v2, 0, s[16:17]
	v_add_u32_e32 v2, v2, v55
	s_nop 1
	v_mov_b32_dpp v3, v2 row_shr:2 row_mask:0xf bank_mask:0xf
	v_cndmask_b32_e64 v3, 0, v3, s[14:15]
	v_add_u32_e32 v2, v2, v3
	s_nop 1
	;; [unrolled: 4-line block ×4, first 2 shown]
	v_mov_b32_dpp v3, v2 row_bcast:15 row_mask:0xf bank_mask:0xf
	v_cndmask_b32_e64 v3, v3, 0, s[8:9]
	v_add_u32_e32 v2, v2, v3
	s_nop 1
	v_mov_b32_dpp v3, v2 row_bcast:31 row_mask:0xf bank_mask:0xf
	v_cndmask_b32_e64 v3, 0, v3, s[4:5]
	v_add_u32_e32 v2, v2, v3
	s_and_saveexec_b64 s[18:19], s[6:7]
	s_cbranch_execz .LBB801_41
; %bb.40:
	v_lshlrev_b32_e32 v3, 2, v54
	ds_write_b32 v3, v2
.LBB801_41:
	s_or_b64 exec, exec, s[18:19]
	v_cmp_gt_u32_e32 vcc, 4, v0
	s_waitcnt lgkmcnt(0)
	s_barrier
	s_and_saveexec_b64 s[18:19], vcc
	s_cbranch_execz .LBB801_43
; %bb.42:
	ds_read_b32 v3, v1
	v_and_b32_e32 v4, 3, v53
	v_cmp_ne_u32_e32 vcc, 0, v4
	s_waitcnt lgkmcnt(0)
	v_mov_b32_dpp v5, v3 row_shr:1 row_mask:0xf bank_mask:0xf
	v_cndmask_b32_e32 v5, 0, v5, vcc
	v_add_u32_e32 v3, v5, v3
	v_cmp_lt_u32_e32 vcc, 1, v4
	s_nop 0
	v_mov_b32_dpp v5, v3 row_shr:2 row_mask:0xf bank_mask:0xf
	v_cndmask_b32_e32 v4, 0, v5, vcc
	v_add_u32_e32 v3, v3, v4
	ds_write_b32 v1, v3
.LBB801_43:
	s_or_b64 exec, exec, s[18:19]
	v_cmp_gt_u32_e32 vcc, 64, v0
	v_cmp_lt_u32_e64 s[18:19], 63, v0
	s_waitcnt lgkmcnt(0)
	s_barrier
	s_waitcnt lgkmcnt(0)
                                        ; implicit-def: $vgpr12
	s_and_saveexec_b64 s[34:35], s[18:19]
	s_cbranch_execz .LBB801_45
; %bb.44:
	v_lshl_add_u32 v3, v54, 2, -4
	ds_read_b32 v12, v3
	s_waitcnt lgkmcnt(0)
	v_add_u32_e32 v2, v12, v2
.LBB801_45:
	s_or_b64 exec, exec, s[34:35]
	v_add_u32_e32 v3, -1, v53
	v_and_b32_e32 v4, 64, v53
	v_cmp_lt_i32_e64 s[18:19], v3, v4
	v_cndmask_b32_e64 v3, v3, v53, s[18:19]
	v_lshlrev_b32_e32 v3, 2, v3
	ds_bpermute_b32 v13, v3, v2
	v_cmp_eq_u32_e64 s[18:19], 0, v53
	s_and_saveexec_b64 s[34:35], vcc
	s_cbranch_execz .LBB801_64
; %bb.46:
	v_mov_b32_e32 v9, 0
	ds_read_b32 v2, v9 offset:12
	s_and_saveexec_b64 s[36:37], s[18:19]
	s_cbranch_execz .LBB801_48
; %bb.47:
	s_add_i32 s38, s40, 64
	s_mov_b32 s39, 0
	s_lshl_b64 s[38:39], s[38:39], 3
	s_add_u32 s38, s30, s38
	v_mov_b32_e32 v3, 1
	s_addc_u32 s39, s31, s39
	s_waitcnt lgkmcnt(0)
	global_store_dwordx2 v9, v[2:3], s[38:39]
.LBB801_48:
	s_or_b64 exec, exec, s[36:37]
	v_xad_u32 v4, v53, -1, s40
	v_add_u32_e32 v8, 64, v4
	v_lshlrev_b64 v[6:7], 3, v[8:9]
	v_mov_b32_e32 v3, s31
	v_add_co_u32_e32 v10, vcc, s30, v6
	v_addc_co_u32_e32 v11, vcc, v3, v7, vcc
	global_load_dwordx2 v[6:7], v[10:11], off glc
	s_waitcnt vmcnt(0)
	v_cmp_eq_u16_sdwa s[38:39], v7, v9 src0_sel:BYTE_0 src1_sel:DWORD
	s_and_saveexec_b64 s[36:37], s[38:39]
	s_cbranch_execz .LBB801_52
; %bb.49:
	s_mov_b64 s[38:39], 0
	v_mov_b32_e32 v3, 0
.LBB801_50:                             ; =>This Inner Loop Header: Depth=1
	global_load_dwordx2 v[6:7], v[10:11], off glc
	s_waitcnt vmcnt(0)
	v_cmp_ne_u16_sdwa s[42:43], v7, v3 src0_sel:BYTE_0 src1_sel:DWORD
	s_or_b64 s[38:39], s[42:43], s[38:39]
	s_andn2_b64 exec, exec, s[38:39]
	s_cbranch_execnz .LBB801_50
; %bb.51:
	s_or_b64 exec, exec, s[38:39]
.LBB801_52:
	s_or_b64 exec, exec, s[36:37]
	v_and_b32_e32 v14, 63, v53
	v_mov_b32_e32 v3, 2
	v_cmp_ne_u32_e32 vcc, 63, v14
	v_cmp_eq_u16_sdwa s[36:37], v7, v3 src0_sel:BYTE_0 src1_sel:DWORD
	v_lshlrev_b64 v[8:9], v53, -1
	v_addc_co_u32_e32 v11, vcc, 0, v53, vcc
	v_and_b32_e32 v5, s37, v9
	v_lshlrev_b32_e32 v15, 2, v11
	v_or_b32_e32 v5, 0x80000000, v5
	ds_bpermute_b32 v11, v15, v6
	v_and_b32_e32 v10, s36, v8
	v_ffbl_b32_e32 v5, v5
	v_add_u32_e32 v5, 32, v5
	v_ffbl_b32_e32 v10, v10
	v_min_u32_e32 v5, v10, v5
	v_cmp_lt_u32_e32 vcc, v14, v5
	s_waitcnt lgkmcnt(0)
	v_cndmask_b32_e32 v10, 0, v11, vcc
	v_cmp_gt_u32_e32 vcc, 62, v14
	v_add_u32_e32 v6, v10, v6
	v_cndmask_b32_e64 v10, 0, 1, vcc
	v_lshlrev_b32_e32 v10, 1, v10
	v_add_lshl_u32 v16, v10, v53, 2
	ds_bpermute_b32 v10, v16, v6
	v_add_u32_e32 v17, 2, v14
	v_cmp_le_u32_e32 vcc, v17, v5
	v_add_u32_e32 v19, 4, v14
	v_add_u32_e32 v57, 8, v14
	s_waitcnt lgkmcnt(0)
	v_cndmask_b32_e32 v10, 0, v10, vcc
	v_cmp_gt_u32_e32 vcc, 60, v14
	v_add_u32_e32 v6, v6, v10
	v_cndmask_b32_e64 v10, 0, 1, vcc
	v_lshlrev_b32_e32 v10, 2, v10
	v_add_lshl_u32 v18, v10, v53, 2
	ds_bpermute_b32 v10, v18, v6
	v_cmp_le_u32_e32 vcc, v19, v5
	v_add_u32_e32 v60, 16, v14
	v_add_u32_e32 v62, 32, v14
	s_waitcnt lgkmcnt(0)
	v_cndmask_b32_e32 v10, 0, v10, vcc
	v_cmp_gt_u32_e32 vcc, 56, v14
	v_add_u32_e32 v6, v6, v10
	v_cndmask_b32_e64 v10, 0, 1, vcc
	v_lshlrev_b32_e32 v10, 3, v10
	v_add_lshl_u32 v56, v10, v53, 2
	ds_bpermute_b32 v10, v56, v6
	v_cmp_le_u32_e32 vcc, v57, v5
	s_waitcnt lgkmcnt(0)
	v_cndmask_b32_e32 v10, 0, v10, vcc
	v_cmp_gt_u32_e32 vcc, 48, v14
	v_add_u32_e32 v6, v6, v10
	v_cndmask_b32_e64 v10, 0, 1, vcc
	v_lshlrev_b32_e32 v10, 4, v10
	v_add_lshl_u32 v59, v10, v53, 2
	ds_bpermute_b32 v10, v59, v6
	v_cmp_le_u32_e32 vcc, v60, v5
	;; [unrolled: 9-line block ×3, first 2 shown]
	s_waitcnt lgkmcnt(0)
	v_cndmask_b32_e32 v5, 0, v10, vcc
	v_add_u32_e32 v6, v6, v5
	v_mov_b32_e32 v5, 0
	s_branch .LBB801_54
.LBB801_53:                             ;   in Loop: Header=BB801_54 Depth=1
	s_or_b64 exec, exec, s[36:37]
	v_cmp_eq_u16_sdwa s[36:37], v7, v3 src0_sel:BYTE_0 src1_sel:DWORD
	v_and_b32_e32 v10, s37, v9
	v_or_b32_e32 v10, 0x80000000, v10
	ds_bpermute_b32 v63, v15, v6
	v_and_b32_e32 v11, s36, v8
	v_ffbl_b32_e32 v10, v10
	v_add_u32_e32 v10, 32, v10
	v_ffbl_b32_e32 v11, v11
	v_min_u32_e32 v10, v11, v10
	v_cmp_lt_u32_e32 vcc, v14, v10
	s_waitcnt lgkmcnt(0)
	v_cndmask_b32_e32 v11, 0, v63, vcc
	v_add_u32_e32 v6, v11, v6
	ds_bpermute_b32 v11, v16, v6
	v_cmp_le_u32_e32 vcc, v17, v10
	v_subrev_u32_e32 v4, 64, v4
	s_waitcnt lgkmcnt(0)
	v_cndmask_b32_e32 v11, 0, v11, vcc
	v_add_u32_e32 v6, v6, v11
	ds_bpermute_b32 v11, v18, v6
	v_cmp_le_u32_e32 vcc, v19, v10
	s_waitcnt lgkmcnt(0)
	v_cndmask_b32_e32 v11, 0, v11, vcc
	v_add_u32_e32 v6, v6, v11
	ds_bpermute_b32 v11, v56, v6
	v_cmp_le_u32_e32 vcc, v57, v10
	;; [unrolled: 5-line block ×4, first 2 shown]
	s_waitcnt lgkmcnt(0)
	v_cndmask_b32_e32 v10, 0, v11, vcc
	v_add3_u32 v6, v10, v58, v6
.LBB801_54:                             ; =>This Loop Header: Depth=1
                                        ;     Child Loop BB801_57 Depth 2
	v_cmp_ne_u16_sdwa s[36:37], v7, v3 src0_sel:BYTE_0 src1_sel:DWORD
	v_cndmask_b32_e64 v7, 0, 1, s[36:37]
	;;#ASMSTART
	;;#ASMEND
	v_cmp_ne_u32_e32 vcc, 0, v7
	s_cmp_lg_u64 vcc, exec
	v_mov_b32_e32 v58, v6
	s_cbranch_scc1 .LBB801_59
; %bb.55:                               ;   in Loop: Header=BB801_54 Depth=1
	v_lshlrev_b64 v[6:7], 3, v[4:5]
	v_mov_b32_e32 v11, s31
	v_add_co_u32_e32 v10, vcc, s30, v6
	v_addc_co_u32_e32 v11, vcc, v11, v7, vcc
	global_load_dwordx2 v[6:7], v[10:11], off glc
	s_waitcnt vmcnt(0)
	v_cmp_eq_u16_sdwa s[38:39], v7, v5 src0_sel:BYTE_0 src1_sel:DWORD
	s_and_saveexec_b64 s[36:37], s[38:39]
	s_cbranch_execz .LBB801_53
; %bb.56:                               ;   in Loop: Header=BB801_54 Depth=1
	s_mov_b64 s[38:39], 0
.LBB801_57:                             ;   Parent Loop BB801_54 Depth=1
                                        ; =>  This Inner Loop Header: Depth=2
	global_load_dwordx2 v[6:7], v[10:11], off glc
	s_waitcnt vmcnt(0)
	v_cmp_ne_u16_sdwa s[42:43], v7, v5 src0_sel:BYTE_0 src1_sel:DWORD
	s_or_b64 s[38:39], s[42:43], s[38:39]
	s_andn2_b64 exec, exec, s[38:39]
	s_cbranch_execnz .LBB801_57
; %bb.58:                               ;   in Loop: Header=BB801_54 Depth=1
	s_or_b64 exec, exec, s[38:39]
	s_branch .LBB801_53
.LBB801_59:                             ;   in Loop: Header=BB801_54 Depth=1
                                        ; implicit-def: $vgpr6
                                        ; implicit-def: $vgpr7
	s_cbranch_execz .LBB801_54
; %bb.60:
	s_and_saveexec_b64 s[36:37], s[18:19]
	s_cbranch_execz .LBB801_62
; %bb.61:
	s_add_i32 s38, s40, 64
	s_mov_b32 s39, 0
	s_lshl_b64 s[38:39], s[38:39], 3
	s_add_u32 s38, s30, s38
	v_add_u32_e32 v4, v58, v2
	v_mov_b32_e32 v5, 2
	s_addc_u32 s39, s31, s39
	v_mov_b32_e32 v3, 0
	global_store_dwordx2 v3, v[4:5], s[38:39]
	s_movk_i32 s38, 0x3400
	v_add_u32_e64 v3, s38, 0
	ds_write2_b32 v3, v2, v58 offset1:2
.LBB801_62:
	s_or_b64 exec, exec, s[36:37]
	s_and_b64 exec, exec, s[0:1]
	s_cbranch_execz .LBB801_64
; %bb.63:
	v_mov_b32_e32 v2, 0
	ds_write_b32 v2, v58 offset:12
.LBB801_64:
	s_or_b64 exec, exec, s[34:35]
	v_mov_b32_e32 v2, 0
	s_waitcnt lgkmcnt(0)
	s_barrier
	ds_read_b32 v2, v2 offset:12
	v_cndmask_b32_e64 v3, v13, v12, s[18:19]
	v_cndmask_b32_e64 v3, v3, 0, s[0:1]
	s_movk_i32 s18, 0x3400
	v_add_u32_e64 v12, s18, 0
	s_waitcnt lgkmcnt(0)
	v_add_u32_e32 v2, v2, v3
	v_add_u32_e32 v3, v2, v44
	;; [unrolled: 1-line block ×9, first 2 shown]
	s_barrier
	ds_read2_b32 v[18:19], v12 offset1:2
	v_add_u32_e32 v11, v10, v50
	v_add_u32_e32 v12, v11, v51
	;; [unrolled: 1-line block ×4, first 2 shown]
	s_branch .LBB801_75
.LBB801_65:
                                        ; implicit-def: $vgpr19
                                        ; implicit-def: $vgpr2_vgpr3_vgpr4_vgpr5_vgpr6_vgpr7_vgpr8_vgpr9_vgpr10_vgpr11_vgpr12_vgpr13_vgpr14_vgpr15_vgpr16_vgpr17
	s_cbranch_execz .LBB801_75
; %bb.66:
	s_nop 0
	v_mov_b32_dpp v2, v55 row_shr:1 row_mask:0xf bank_mask:0xf
	v_cndmask_b32_e64 v2, v2, 0, s[16:17]
	v_add_u32_e32 v2, v2, v55
	s_nop 1
	v_mov_b32_dpp v3, v2 row_shr:2 row_mask:0xf bank_mask:0xf
	v_cndmask_b32_e64 v3, 0, v3, s[14:15]
	v_add_u32_e32 v2, v2, v3
	;; [unrolled: 4-line block ×4, first 2 shown]
	s_nop 1
	v_mov_b32_dpp v3, v2 row_bcast:15 row_mask:0xf bank_mask:0xf
	v_cndmask_b32_e64 v3, v3, 0, s[8:9]
	v_add_u32_e32 v2, v2, v3
	s_nop 1
	v_mov_b32_dpp v3, v2 row_bcast:31 row_mask:0xf bank_mask:0xf
	v_cndmask_b32_e64 v3, 0, v3, s[4:5]
	v_add_u32_e32 v2, v2, v3
	s_and_saveexec_b64 s[4:5], s[6:7]
	s_cbranch_execz .LBB801_68
; %bb.67:
	v_lshlrev_b32_e32 v3, 2, v54
	ds_write_b32 v3, v2
.LBB801_68:
	s_or_b64 exec, exec, s[4:5]
	v_cmp_gt_u32_e32 vcc, 4, v0
	s_waitcnt lgkmcnt(0)
	s_barrier
	s_and_saveexec_b64 s[4:5], vcc
	s_cbranch_execz .LBB801_70
; %bb.69:
	ds_read_b32 v3, v1
	v_and_b32_e32 v4, 3, v53
	v_cmp_ne_u32_e32 vcc, 0, v4
	s_waitcnt lgkmcnt(0)
	v_mov_b32_dpp v5, v3 row_shr:1 row_mask:0xf bank_mask:0xf
	v_cndmask_b32_e32 v5, 0, v5, vcc
	v_add_u32_e32 v3, v5, v3
	v_cmp_lt_u32_e32 vcc, 1, v4
	s_nop 0
	v_mov_b32_dpp v5, v3 row_shr:2 row_mask:0xf bank_mask:0xf
	v_cndmask_b32_e32 v4, 0, v5, vcc
	v_add_u32_e32 v3, v3, v4
	ds_write_b32 v1, v3
.LBB801_70:
	s_or_b64 exec, exec, s[4:5]
	v_cmp_lt_u32_e32 vcc, 63, v0
	v_mov_b32_e32 v4, 0
	v_mov_b32_e32 v3, 0
	s_waitcnt lgkmcnt(0)
	s_barrier
	s_and_saveexec_b64 s[4:5], vcc
	s_cbranch_execz .LBB801_72
; %bb.71:
	v_lshl_add_u32 v3, v54, 2, -4
	ds_read_b32 v3, v3
.LBB801_72:
	s_or_b64 exec, exec, s[4:5]
	v_add_u32_e32 v5, -1, v53
	v_and_b32_e32 v6, 64, v53
	v_cmp_lt_i32_e32 vcc, v5, v6
	v_cndmask_b32_e32 v5, v5, v53, vcc
	s_waitcnt lgkmcnt(0)
	v_add_u32_e32 v2, v3, v2
	v_lshlrev_b32_e32 v5, 2, v5
	ds_bpermute_b32 v2, v5, v2
	ds_read_b32 v18, v4 offset:12
	s_and_saveexec_b64 s[4:5], s[0:1]
	s_cbranch_execz .LBB801_74
; %bb.73:
	v_mov_b32_e32 v4, 0
	v_mov_b32_e32 v19, 2
	s_waitcnt lgkmcnt(0)
	global_store_dwordx2 v4, v[18:19], s[30:31] offset:512
.LBB801_74:
	s_or_b64 exec, exec, s[4:5]
	v_cmp_eq_u32_e32 vcc, 0, v53
	s_waitcnt lgkmcnt(1)
	v_cndmask_b32_e32 v2, v2, v3, vcc
	v_cndmask_b32_e64 v2, v2, 0, s[0:1]
	v_add_u32_e32 v3, v2, v44
	v_add_u32_e32 v4, v3, v45
	;; [unrolled: 1-line block ×11, first 2 shown]
	v_mov_b32_e32 v19, 0
	v_add_u32_e32 v14, v13, v41
	s_waitcnt lgkmcnt(0)
	s_barrier
.LBB801_75:
	s_waitcnt lgkmcnt(0)
	v_add_u32_e32 v36, v18, v36
	v_sub_u32_e32 v2, v2, v19
	v_and_b32_e32 v45, 1, v40
	v_sub_u32_e32 v44, v36, v2
	v_cmp_eq_u32_e32 vcc, 1, v45
	v_cndmask_b32_e32 v2, v44, v2, vcc
	v_lshlrev_b32_e32 v2, 2, v2
	v_lshrrev_b32_e32 v17, 8, v40
	ds_write_b32 v2, v32
	v_sub_u32_e32 v2, v3, v19
	v_sub_u32_e32 v3, v36, v2
	v_and_b32_e32 v17, 1, v17
	v_add_u32_e32 v3, 1, v3
	v_cmp_eq_u32_e32 vcc, 1, v17
	v_cndmask_b32_e32 v2, v3, v2, vcc
	v_lshlrev_b32_e32 v2, 2, v2
	ds_write_b32 v2, v33
	v_sub_u32_e32 v2, v4, v19
	v_mov_b32_e32 v4, 1
	v_sub_u32_e32 v3, v36, v2
	v_and_b32_sdwa v17, v4, v40 dst_sel:DWORD dst_unused:UNUSED_PAD src0_sel:DWORD src1_sel:WORD_1
	v_add_u32_e32 v3, 2, v3
	v_cmp_eq_u32_e32 vcc, 1, v17
	v_cndmask_b32_e32 v2, v3, v2, vcc
	v_lshlrev_b32_e32 v2, 2, v2
	ds_write_b32 v2, v30
	v_sub_u32_e32 v2, v5, v19
	v_sub_u32_e32 v3, v36, v2
	v_and_b32_e32 v5, 1, v43
	v_add_u32_e32 v3, 3, v3
	v_cmp_eq_u32_e32 vcc, 1, v5
	v_cndmask_b32_e32 v2, v3, v2, vcc
	v_lshlrev_b32_e32 v2, 2, v2
	ds_write_b32 v2, v31
	v_sub_u32_e32 v2, v6, v19
	v_sub_u32_e32 v3, v36, v2
	v_and_b32_e32 v5, 1, v39
	v_add_u32_e32 v3, 4, v3
	v_cmp_eq_u32_e32 vcc, 1, v5
	v_cndmask_b32_e32 v2, v3, v2, vcc
	v_lshlrev_b32_e32 v2, 2, v2
	v_lshrrev_b32_e32 v16, 8, v39
	ds_write_b32 v2, v28
	v_sub_u32_e32 v2, v7, v19
	v_sub_u32_e32 v3, v36, v2
	v_and_b32_e32 v5, 1, v16
	v_add_u32_e32 v3, 5, v3
	v_cmp_eq_u32_e32 vcc, 1, v5
	v_cndmask_b32_e32 v2, v3, v2, vcc
	v_lshlrev_b32_e32 v2, 2, v2
	ds_write_b32 v2, v29
	v_sub_u32_e32 v2, v8, v19
	v_sub_u32_e32 v3, v36, v2
	v_and_b32_sdwa v5, v4, v39 dst_sel:DWORD dst_unused:UNUSED_PAD src0_sel:DWORD src1_sel:WORD_1
	v_add_u32_e32 v3, 6, v3
	v_cmp_eq_u32_e32 vcc, 1, v5
	v_cndmask_b32_e32 v2, v3, v2, vcc
	v_lshlrev_b32_e32 v2, 2, v2
	ds_write_b32 v2, v26
	v_sub_u32_e32 v2, v9, v19
	v_sub_u32_e32 v3, v36, v2
	v_and_b32_e32 v5, 1, v42
	v_add_u32_e32 v3, 7, v3
	v_cmp_eq_u32_e32 vcc, 1, v5
	v_cndmask_b32_e32 v2, v3, v2, vcc
	v_lshlrev_b32_e32 v2, 2, v2
	ds_write_b32 v2, v27
	v_sub_u32_e32 v2, v10, v19
	v_sub_u32_e32 v3, v36, v2
	v_and_b32_e32 v5, 1, v38
	v_add_u32_e32 v3, 8, v3
	v_cmp_eq_u32_e32 vcc, 1, v5
	v_cndmask_b32_e32 v2, v3, v2, vcc
	v_lshlrev_b32_e32 v2, 2, v2
	v_lshrrev_b32_e32 v15, 8, v38
	ds_write_b32 v2, v24
	v_sub_u32_e32 v2, v11, v19
	v_sub_u32_e32 v3, v36, v2
	v_and_b32_e32 v5, 1, v15
	v_add_u32_e32 v3, 9, v3
	v_cmp_eq_u32_e32 vcc, 1, v5
	v_cndmask_b32_e32 v2, v3, v2, vcc
	v_lshlrev_b32_e32 v2, 2, v2
	ds_write_b32 v2, v25
	v_sub_u32_e32 v2, v12, v19
	v_sub_u32_e32 v3, v36, v2
	v_and_b32_sdwa v4, v4, v38 dst_sel:DWORD dst_unused:UNUSED_PAD src0_sel:DWORD src1_sel:WORD_1
	v_add_u32_e32 v3, 10, v3
	v_cmp_eq_u32_e32 vcc, 1, v4
	v_cndmask_b32_e32 v2, v3, v2, vcc
	v_lshlrev_b32_e32 v2, 2, v2
	ds_write_b32 v2, v22
	v_sub_u32_e32 v2, v13, v19
	v_sub_u32_e32 v3, v36, v2
	v_and_b32_e32 v4, 1, v41
	v_add_u32_e32 v3, 11, v3
	v_cmp_eq_u32_e32 vcc, 1, v4
	v_cndmask_b32_e32 v2, v3, v2, vcc
	v_lshlrev_b32_e32 v2, 2, v2
	ds_write_b32 v2, v23
	v_sub_u32_e32 v2, v14, v19
	v_sub_u32_e32 v3, v36, v2
	v_and_b32_e32 v4, 1, v37
	v_add_u32_e32 v3, 12, v3
	v_cmp_eq_u32_e32 vcc, 1, v4
	v_cndmask_b32_e32 v2, v3, v2, vcc
	v_lshlrev_b32_e32 v2, 2, v2
	ds_write_b32 v2, v35
	s_waitcnt lgkmcnt(0)
	s_barrier
	ds_read2st64_b32 v[12:13], v1 offset1:4
	ds_read2st64_b32 v[10:11], v1 offset0:8 offset1:12
	ds_read2st64_b32 v[8:9], v1 offset0:16 offset1:20
	;; [unrolled: 1-line block ×5, first 2 shown]
	ds_read_b32 v17, v1 offset:12288
	s_waitcnt vmcnt(0)
	v_add_co_u32_e32 v1, vcc, v20, v19
	v_addc_co_u32_e32 v16, vcc, 0, v21, vcc
	v_mov_b32_e32 v14, s29
	v_add_co_u32_e32 v15, vcc, s28, v34
	v_addc_co_u32_e32 v14, vcc, 0, v14, vcc
	v_mov_b32_e32 v19, s27
	v_sub_co_u32_e32 v15, vcc, s26, v15
	v_subb_co_u32_e32 v14, vcc, v19, v14, vcc
	v_add_co_u32_e32 v15, vcc, v15, v18
	v_addc_co_u32_e32 v14, vcc, 0, v14, vcc
	s_and_b64 vcc, exec, s[2:3]
	v_add_co_u32_e64 v19, s[2:3], v15, v1
	v_or_b32_e32 v33, 0x100, v0
	v_or_b32_e32 v32, 0x200, v0
	v_or_b32_e32 v31, 0x300, v0
	v_or_b32_e32 v30, 0x400, v0
	v_or_b32_e32 v29, 0x500, v0
	v_or_b32_e32 v28, 0x600, v0
	v_or_b32_e32 v27, 0x700, v0
	v_or_b32_e32 v26, 0x800, v0
	v_or_b32_e32 v25, 0x900, v0
	v_or_b32_e32 v24, 0xa00, v0
	v_or_b32_e32 v23, 0xb00, v0
	v_or_b32_e32 v22, 0xc00, v0
	v_addc_co_u32_e64 v20, s[2:3], v14, v16, s[2:3]
	s_cbranch_vccnz .LBB801_132
; %bb.76:
	v_cmp_ge_u32_e32 vcc, v0, v18
                                        ; implicit-def: $vgpr14_vgpr15
	s_and_saveexec_b64 s[2:3], vcc
	s_xor_b64 s[2:3], exec, s[2:3]
; %bb.77:
	v_not_b32_e32 v14, v0
	v_ashrrev_i32_e32 v15, 31, v14
	v_add_co_u32_e32 v14, vcc, v19, v14
	v_addc_co_u32_e32 v15, vcc, v20, v15, vcc
; %bb.78:
	s_andn2_saveexec_b64 s[2:3], s[2:3]
; %bb.79:
	v_add_co_u32_e32 v14, vcc, v1, v0
	v_addc_co_u32_e32 v15, vcc, 0, v16, vcc
; %bb.80:
	s_or_b64 exec, exec, s[2:3]
	v_lshlrev_b64 v[14:15], 2, v[14:15]
	v_mov_b32_e32 v21, s25
	v_add_co_u32_e32 v14, vcc, s24, v14
	v_addc_co_u32_e32 v15, vcc, v21, v15, vcc
	v_cmp_ge_u32_e32 vcc, v33, v18
	s_waitcnt lgkmcnt(6)
	global_store_dword v[14:15], v12, off
                                        ; implicit-def: $vgpr14_vgpr15
	s_and_saveexec_b64 s[2:3], vcc
	s_xor_b64 s[2:3], exec, s[2:3]
; %bb.81:
	v_xor_b32_e32 v14, 0xfffffeff, v0
	v_ashrrev_i32_e32 v15, 31, v14
	v_add_co_u32_e32 v14, vcc, v19, v14
	v_addc_co_u32_e32 v15, vcc, v20, v15, vcc
; %bb.82:
	s_andn2_saveexec_b64 s[2:3], s[2:3]
; %bb.83:
	v_add_co_u32_e32 v14, vcc, v1, v33
	v_addc_co_u32_e32 v15, vcc, 0, v16, vcc
; %bb.84:
	s_or_b64 exec, exec, s[2:3]
	v_lshlrev_b64 v[14:15], 2, v[14:15]
	v_mov_b32_e32 v21, s25
	v_add_co_u32_e32 v14, vcc, s24, v14
	v_addc_co_u32_e32 v15, vcc, v21, v15, vcc
	v_cmp_ge_u32_e32 vcc, v32, v18
	global_store_dword v[14:15], v13, off
                                        ; implicit-def: $vgpr14_vgpr15
	s_and_saveexec_b64 s[2:3], vcc
	s_xor_b64 s[2:3], exec, s[2:3]
; %bb.85:
	v_xor_b32_e32 v14, 0xfffffdff, v0
	v_ashrrev_i32_e32 v15, 31, v14
	v_add_co_u32_e32 v14, vcc, v19, v14
	v_addc_co_u32_e32 v15, vcc, v20, v15, vcc
; %bb.86:
	s_andn2_saveexec_b64 s[2:3], s[2:3]
; %bb.87:
	v_add_co_u32_e32 v14, vcc, v1, v32
	v_addc_co_u32_e32 v15, vcc, 0, v16, vcc
; %bb.88:
	s_or_b64 exec, exec, s[2:3]
	v_lshlrev_b64 v[14:15], 2, v[14:15]
	v_mov_b32_e32 v21, s25
	v_add_co_u32_e32 v14, vcc, s24, v14
	v_addc_co_u32_e32 v15, vcc, v21, v15, vcc
	v_cmp_ge_u32_e32 vcc, v31, v18
	s_waitcnt lgkmcnt(5)
	global_store_dword v[14:15], v10, off
                                        ; implicit-def: $vgpr14_vgpr15
	s_and_saveexec_b64 s[2:3], vcc
	s_xor_b64 s[2:3], exec, s[2:3]
; %bb.89:
	v_xor_b32_e32 v14, 0xfffffcff, v0
	v_ashrrev_i32_e32 v15, 31, v14
	v_add_co_u32_e32 v14, vcc, v19, v14
	v_addc_co_u32_e32 v15, vcc, v20, v15, vcc
; %bb.90:
	s_andn2_saveexec_b64 s[2:3], s[2:3]
; %bb.91:
	v_add_co_u32_e32 v14, vcc, v1, v31
	v_addc_co_u32_e32 v15, vcc, 0, v16, vcc
; %bb.92:
	s_or_b64 exec, exec, s[2:3]
	v_lshlrev_b64 v[14:15], 2, v[14:15]
	v_mov_b32_e32 v21, s25
	v_add_co_u32_e32 v14, vcc, s24, v14
	v_addc_co_u32_e32 v15, vcc, v21, v15, vcc
	v_cmp_ge_u32_e32 vcc, v30, v18
	global_store_dword v[14:15], v11, off
                                        ; implicit-def: $vgpr14_vgpr15
	s_and_saveexec_b64 s[2:3], vcc
	s_xor_b64 s[2:3], exec, s[2:3]
; %bb.93:
	v_xor_b32_e32 v14, 0xfffffbff, v0
	;; [unrolled: 43-line block ×6, first 2 shown]
	v_ashrrev_i32_e32 v15, 31, v14
	v_add_co_u32_e32 v14, vcc, v19, v14
	v_addc_co_u32_e32 v15, vcc, v20, v15, vcc
; %bb.126:
	s_andn2_saveexec_b64 s[2:3], s[2:3]
; %bb.127:
	v_add_co_u32_e32 v14, vcc, v1, v22
	v_addc_co_u32_e32 v15, vcc, 0, v16, vcc
; %bb.128:
	s_or_b64 exec, exec, s[2:3]
	s_mov_b64 s[2:3], -1
.LBB801_129:
	s_and_saveexec_b64 s[4:5], s[2:3]
	s_cbranch_execz .LBB801_212
.LBB801_130:
	s_waitcnt lgkmcnt(1)
	v_lshlrev_b64 v[2:3], 2, v[14:15]
	v_mov_b32_e32 v0, s25
	v_add_co_u32_e32 v2, vcc, s24, v2
	v_addc_co_u32_e32 v3, vcc, v0, v3, vcc
	s_waitcnt lgkmcnt(0)
	global_store_dword v[2:3], v17, off
	s_or_b64 exec, exec, s[4:5]
	s_and_b64 s[0:1], s[0:1], s[22:23]
	s_and_saveexec_b64 s[2:3], s[0:1]
	s_cbranch_execnz .LBB801_213
.LBB801_131:
	s_endpgm
.LBB801_132:
	s_mov_b64 s[2:3], 0
                                        ; implicit-def: $vgpr14_vgpr15
	s_cbranch_execz .LBB801_129
; %bb.133:
	v_cmp_gt_u32_e32 vcc, s33, v0
	s_and_saveexec_b64 s[4:5], vcc
	s_cbranch_execz .LBB801_169
; %bb.134:
	v_cmp_ge_u32_e32 vcc, v0, v18
                                        ; implicit-def: $vgpr14_vgpr15
	s_and_saveexec_b64 s[6:7], vcc
	s_xor_b64 s[6:7], exec, s[6:7]
; %bb.135:
	v_not_b32_e32 v14, v0
	v_ashrrev_i32_e32 v15, 31, v14
	v_add_co_u32_e32 v14, vcc, v19, v14
	v_addc_co_u32_e32 v15, vcc, v20, v15, vcc
; %bb.136:
	s_andn2_saveexec_b64 s[6:7], s[6:7]
; %bb.137:
	v_add_co_u32_e32 v14, vcc, v1, v0
	v_addc_co_u32_e32 v15, vcc, 0, v16, vcc
; %bb.138:
	s_or_b64 exec, exec, s[6:7]
	v_lshlrev_b64 v[14:15], 2, v[14:15]
	v_mov_b32_e32 v21, s25
	v_add_co_u32_e32 v14, vcc, s24, v14
	v_addc_co_u32_e32 v15, vcc, v21, v15, vcc
	s_waitcnt lgkmcnt(6)
	global_store_dword v[14:15], v12, off
	s_or_b64 exec, exec, s[4:5]
	v_cmp_gt_u32_e32 vcc, s33, v33
	s_and_saveexec_b64 s[4:5], vcc
	s_cbranch_execnz .LBB801_170
.LBB801_139:
	s_or_b64 exec, exec, s[4:5]
	v_cmp_gt_u32_e32 vcc, s33, v32
	s_and_saveexec_b64 s[4:5], vcc
	s_cbranch_execz .LBB801_175
.LBB801_140:
	v_cmp_ge_u32_e32 vcc, v32, v18
                                        ; implicit-def: $vgpr12_vgpr13
	s_and_saveexec_b64 s[6:7], vcc
	s_xor_b64 s[6:7], exec, s[6:7]
	s_cbranch_execz .LBB801_142
; %bb.141:
	s_waitcnt lgkmcnt(6)
	v_xor_b32_e32 v12, 0xfffffdff, v0
	v_ashrrev_i32_e32 v13, 31, v12
	v_add_co_u32_e32 v12, vcc, v19, v12
	v_addc_co_u32_e32 v13, vcc, v20, v13, vcc
                                        ; implicit-def: $vgpr32
.LBB801_142:
	s_andn2_saveexec_b64 s[6:7], s[6:7]
	s_cbranch_execz .LBB801_144
; %bb.143:
	s_waitcnt lgkmcnt(6)
	v_add_co_u32_e32 v12, vcc, v1, v32
	v_addc_co_u32_e32 v13, vcc, 0, v16, vcc
.LBB801_144:
	s_or_b64 exec, exec, s[6:7]
	s_waitcnt lgkmcnt(6)
	v_lshlrev_b64 v[12:13], 2, v[12:13]
	v_mov_b32_e32 v14, s25
	v_add_co_u32_e32 v12, vcc, s24, v12
	v_addc_co_u32_e32 v13, vcc, v14, v13, vcc
	s_waitcnt lgkmcnt(5)
	global_store_dword v[12:13], v10, off
	s_or_b64 exec, exec, s[4:5]
	v_cmp_gt_u32_e32 vcc, s33, v31
	s_and_saveexec_b64 s[4:5], vcc
	s_cbranch_execnz .LBB801_176
.LBB801_145:
	s_or_b64 exec, exec, s[4:5]
	v_cmp_gt_u32_e32 vcc, s33, v30
	s_and_saveexec_b64 s[4:5], vcc
	s_cbranch_execz .LBB801_181
.LBB801_146:
	v_cmp_ge_u32_e32 vcc, v30, v18
                                        ; implicit-def: $vgpr10_vgpr11
	s_and_saveexec_b64 s[6:7], vcc
	s_xor_b64 s[6:7], exec, s[6:7]
	s_cbranch_execz .LBB801_148
; %bb.147:
	s_waitcnt lgkmcnt(5)
	v_xor_b32_e32 v10, 0xfffffbff, v0
	v_ashrrev_i32_e32 v11, 31, v10
	v_add_co_u32_e32 v10, vcc, v19, v10
	v_addc_co_u32_e32 v11, vcc, v20, v11, vcc
                                        ; implicit-def: $vgpr30
.LBB801_148:
	s_andn2_saveexec_b64 s[6:7], s[6:7]
	s_cbranch_execz .LBB801_150
; %bb.149:
	s_waitcnt lgkmcnt(5)
	v_add_co_u32_e32 v10, vcc, v1, v30
	v_addc_co_u32_e32 v11, vcc, 0, v16, vcc
.LBB801_150:
	s_or_b64 exec, exec, s[6:7]
	s_waitcnt lgkmcnt(5)
	v_lshlrev_b64 v[10:11], 2, v[10:11]
	v_mov_b32_e32 v12, s25
	v_add_co_u32_e32 v10, vcc, s24, v10
	v_addc_co_u32_e32 v11, vcc, v12, v11, vcc
	s_waitcnt lgkmcnt(4)
	global_store_dword v[10:11], v8, off
	s_or_b64 exec, exec, s[4:5]
	v_cmp_gt_u32_e32 vcc, s33, v29
	s_and_saveexec_b64 s[4:5], vcc
	s_cbranch_execnz .LBB801_182
.LBB801_151:
	s_or_b64 exec, exec, s[4:5]
	v_cmp_gt_u32_e32 vcc, s33, v28
	s_and_saveexec_b64 s[4:5], vcc
	s_cbranch_execz .LBB801_187
.LBB801_152:
	v_cmp_ge_u32_e32 vcc, v28, v18
                                        ; implicit-def: $vgpr8_vgpr9
	s_and_saveexec_b64 s[6:7], vcc
	s_xor_b64 s[6:7], exec, s[6:7]
	s_cbranch_execz .LBB801_154
; %bb.153:
	s_waitcnt lgkmcnt(4)
	v_xor_b32_e32 v8, 0xfffff9ff, v0
	v_ashrrev_i32_e32 v9, 31, v8
	v_add_co_u32_e32 v8, vcc, v19, v8
	v_addc_co_u32_e32 v9, vcc, v20, v9, vcc
                                        ; implicit-def: $vgpr28
.LBB801_154:
	s_andn2_saveexec_b64 s[6:7], s[6:7]
	s_cbranch_execz .LBB801_156
; %bb.155:
	s_waitcnt lgkmcnt(4)
	v_add_co_u32_e32 v8, vcc, v1, v28
	v_addc_co_u32_e32 v9, vcc, 0, v16, vcc
.LBB801_156:
	s_or_b64 exec, exec, s[6:7]
	s_waitcnt lgkmcnt(4)
	v_lshlrev_b64 v[8:9], 2, v[8:9]
	v_mov_b32_e32 v10, s25
	v_add_co_u32_e32 v8, vcc, s24, v8
	v_addc_co_u32_e32 v9, vcc, v10, v9, vcc
	s_waitcnt lgkmcnt(3)
	global_store_dword v[8:9], v6, off
	s_or_b64 exec, exec, s[4:5]
	v_cmp_gt_u32_e32 vcc, s33, v27
	s_and_saveexec_b64 s[4:5], vcc
	s_cbranch_execnz .LBB801_188
.LBB801_157:
	s_or_b64 exec, exec, s[4:5]
	v_cmp_gt_u32_e32 vcc, s33, v26
	s_and_saveexec_b64 s[4:5], vcc
	s_cbranch_execz .LBB801_193
.LBB801_158:
	v_cmp_ge_u32_e32 vcc, v26, v18
                                        ; implicit-def: $vgpr6_vgpr7
	s_and_saveexec_b64 s[6:7], vcc
	s_xor_b64 s[6:7], exec, s[6:7]
	s_cbranch_execz .LBB801_160
; %bb.159:
	s_waitcnt lgkmcnt(3)
	v_xor_b32_e32 v6, 0xfffff7ff, v0
	v_ashrrev_i32_e32 v7, 31, v6
	v_add_co_u32_e32 v6, vcc, v19, v6
	v_addc_co_u32_e32 v7, vcc, v20, v7, vcc
                                        ; implicit-def: $vgpr26
.LBB801_160:
	s_andn2_saveexec_b64 s[6:7], s[6:7]
	s_cbranch_execz .LBB801_162
; %bb.161:
	s_waitcnt lgkmcnt(3)
	v_add_co_u32_e32 v6, vcc, v1, v26
	v_addc_co_u32_e32 v7, vcc, 0, v16, vcc
.LBB801_162:
	s_or_b64 exec, exec, s[6:7]
	s_waitcnt lgkmcnt(3)
	v_lshlrev_b64 v[6:7], 2, v[6:7]
	v_mov_b32_e32 v8, s25
	v_add_co_u32_e32 v6, vcc, s24, v6
	v_addc_co_u32_e32 v7, vcc, v8, v7, vcc
	s_waitcnt lgkmcnt(2)
	global_store_dword v[6:7], v4, off
	s_or_b64 exec, exec, s[4:5]
	v_cmp_gt_u32_e32 vcc, s33, v25
	s_and_saveexec_b64 s[4:5], vcc
	s_cbranch_execnz .LBB801_194
.LBB801_163:
	s_or_b64 exec, exec, s[4:5]
	v_cmp_gt_u32_e32 vcc, s33, v24
	s_and_saveexec_b64 s[4:5], vcc
	s_cbranch_execz .LBB801_199
.LBB801_164:
	v_cmp_ge_u32_e32 vcc, v24, v18
                                        ; implicit-def: $vgpr4_vgpr5
	s_and_saveexec_b64 s[6:7], vcc
	s_xor_b64 s[6:7], exec, s[6:7]
	s_cbranch_execz .LBB801_166
; %bb.165:
	s_waitcnt lgkmcnt(2)
	v_xor_b32_e32 v4, 0xfffff5ff, v0
	v_ashrrev_i32_e32 v5, 31, v4
	v_add_co_u32_e32 v4, vcc, v19, v4
	v_addc_co_u32_e32 v5, vcc, v20, v5, vcc
                                        ; implicit-def: $vgpr24
.LBB801_166:
	s_andn2_saveexec_b64 s[6:7], s[6:7]
	s_cbranch_execz .LBB801_168
; %bb.167:
	s_waitcnt lgkmcnt(2)
	v_add_co_u32_e32 v4, vcc, v1, v24
	v_addc_co_u32_e32 v5, vcc, 0, v16, vcc
.LBB801_168:
	s_or_b64 exec, exec, s[6:7]
	s_waitcnt lgkmcnt(2)
	v_lshlrev_b64 v[4:5], 2, v[4:5]
	v_mov_b32_e32 v6, s25
	v_add_co_u32_e32 v4, vcc, s24, v4
	v_addc_co_u32_e32 v5, vcc, v6, v5, vcc
	s_waitcnt lgkmcnt(1)
	global_store_dword v[4:5], v2, off
	s_or_b64 exec, exec, s[4:5]
	v_cmp_gt_u32_e32 vcc, s33, v23
	s_and_saveexec_b64 s[4:5], vcc
	s_cbranch_execz .LBB801_205
	s_branch .LBB801_200
.LBB801_169:
	s_or_b64 exec, exec, s[4:5]
	v_cmp_gt_u32_e32 vcc, s33, v33
	s_and_saveexec_b64 s[4:5], vcc
	s_cbranch_execz .LBB801_139
.LBB801_170:
	v_cmp_ge_u32_e32 vcc, v33, v18
                                        ; implicit-def: $vgpr14_vgpr15
	s_and_saveexec_b64 s[6:7], vcc
	s_xor_b64 s[6:7], exec, s[6:7]
	s_cbranch_execz .LBB801_172
; %bb.171:
	s_waitcnt lgkmcnt(6)
	v_xor_b32_e32 v12, 0xfffffeff, v0
	v_ashrrev_i32_e32 v15, 31, v12
	v_add_co_u32_e32 v14, vcc, v19, v12
	v_addc_co_u32_e32 v15, vcc, v20, v15, vcc
                                        ; implicit-def: $vgpr33
.LBB801_172:
	s_andn2_saveexec_b64 s[6:7], s[6:7]
; %bb.173:
	v_add_co_u32_e32 v14, vcc, v1, v33
	v_addc_co_u32_e32 v15, vcc, 0, v16, vcc
; %bb.174:
	s_or_b64 exec, exec, s[6:7]
	v_lshlrev_b64 v[14:15], 2, v[14:15]
	s_waitcnt lgkmcnt(6)
	v_mov_b32_e32 v12, s25
	v_add_co_u32_e32 v14, vcc, s24, v14
	v_addc_co_u32_e32 v15, vcc, v12, v15, vcc
	global_store_dword v[14:15], v13, off
	s_or_b64 exec, exec, s[4:5]
	v_cmp_gt_u32_e32 vcc, s33, v32
	s_and_saveexec_b64 s[4:5], vcc
	s_cbranch_execnz .LBB801_140
.LBB801_175:
	s_or_b64 exec, exec, s[4:5]
	v_cmp_gt_u32_e32 vcc, s33, v31
	s_and_saveexec_b64 s[4:5], vcc
	s_cbranch_execz .LBB801_145
.LBB801_176:
	v_cmp_ge_u32_e32 vcc, v31, v18
                                        ; implicit-def: $vgpr12_vgpr13
	s_and_saveexec_b64 s[6:7], vcc
	s_xor_b64 s[6:7], exec, s[6:7]
	s_cbranch_execz .LBB801_178
; %bb.177:
	s_waitcnt lgkmcnt(5)
	v_xor_b32_e32 v10, 0xfffffcff, v0
	v_ashrrev_i32_e32 v13, 31, v10
	v_add_co_u32_e32 v12, vcc, v19, v10
	v_addc_co_u32_e32 v13, vcc, v20, v13, vcc
                                        ; implicit-def: $vgpr31
.LBB801_178:
	s_andn2_saveexec_b64 s[6:7], s[6:7]
	s_cbranch_execz .LBB801_180
; %bb.179:
	s_waitcnt lgkmcnt(6)
	v_add_co_u32_e32 v12, vcc, v1, v31
	v_addc_co_u32_e32 v13, vcc, 0, v16, vcc
.LBB801_180:
	s_or_b64 exec, exec, s[6:7]
	s_waitcnt lgkmcnt(6)
	v_lshlrev_b64 v[12:13], 2, v[12:13]
	s_waitcnt lgkmcnt(5)
	v_mov_b32_e32 v10, s25
	v_add_co_u32_e32 v12, vcc, s24, v12
	v_addc_co_u32_e32 v13, vcc, v10, v13, vcc
	global_store_dword v[12:13], v11, off
	s_or_b64 exec, exec, s[4:5]
	v_cmp_gt_u32_e32 vcc, s33, v30
	s_and_saveexec_b64 s[4:5], vcc
	s_cbranch_execnz .LBB801_146
.LBB801_181:
	s_or_b64 exec, exec, s[4:5]
	v_cmp_gt_u32_e32 vcc, s33, v29
	s_and_saveexec_b64 s[4:5], vcc
	s_cbranch_execz .LBB801_151
.LBB801_182:
	v_cmp_ge_u32_e32 vcc, v29, v18
                                        ; implicit-def: $vgpr10_vgpr11
	s_and_saveexec_b64 s[6:7], vcc
	s_xor_b64 s[6:7], exec, s[6:7]
	s_cbranch_execz .LBB801_184
; %bb.183:
	s_waitcnt lgkmcnt(4)
	v_xor_b32_e32 v8, 0xfffffaff, v0
	v_ashrrev_i32_e32 v11, 31, v8
	v_add_co_u32_e32 v10, vcc, v19, v8
	v_addc_co_u32_e32 v11, vcc, v20, v11, vcc
                                        ; implicit-def: $vgpr29
.LBB801_184:
	s_andn2_saveexec_b64 s[6:7], s[6:7]
	s_cbranch_execz .LBB801_186
; %bb.185:
	s_waitcnt lgkmcnt(5)
	v_add_co_u32_e32 v10, vcc, v1, v29
	v_addc_co_u32_e32 v11, vcc, 0, v16, vcc
.LBB801_186:
	s_or_b64 exec, exec, s[6:7]
	s_waitcnt lgkmcnt(5)
	v_lshlrev_b64 v[10:11], 2, v[10:11]
	s_waitcnt lgkmcnt(4)
	v_mov_b32_e32 v8, s25
	v_add_co_u32_e32 v10, vcc, s24, v10
	v_addc_co_u32_e32 v11, vcc, v8, v11, vcc
	global_store_dword v[10:11], v9, off
	s_or_b64 exec, exec, s[4:5]
	v_cmp_gt_u32_e32 vcc, s33, v28
	s_and_saveexec_b64 s[4:5], vcc
	s_cbranch_execnz .LBB801_152
.LBB801_187:
	s_or_b64 exec, exec, s[4:5]
	v_cmp_gt_u32_e32 vcc, s33, v27
	s_and_saveexec_b64 s[4:5], vcc
	s_cbranch_execz .LBB801_157
.LBB801_188:
	v_cmp_ge_u32_e32 vcc, v27, v18
                                        ; implicit-def: $vgpr8_vgpr9
	s_and_saveexec_b64 s[6:7], vcc
	s_xor_b64 s[6:7], exec, s[6:7]
	s_cbranch_execz .LBB801_190
; %bb.189:
	s_waitcnt lgkmcnt(3)
	v_xor_b32_e32 v6, 0xfffff8ff, v0
	v_ashrrev_i32_e32 v9, 31, v6
	v_add_co_u32_e32 v8, vcc, v19, v6
	v_addc_co_u32_e32 v9, vcc, v20, v9, vcc
                                        ; implicit-def: $vgpr27
.LBB801_190:
	s_andn2_saveexec_b64 s[6:7], s[6:7]
	s_cbranch_execz .LBB801_192
; %bb.191:
	s_waitcnt lgkmcnt(4)
	v_add_co_u32_e32 v8, vcc, v1, v27
	v_addc_co_u32_e32 v9, vcc, 0, v16, vcc
.LBB801_192:
	s_or_b64 exec, exec, s[6:7]
	s_waitcnt lgkmcnt(4)
	v_lshlrev_b64 v[8:9], 2, v[8:9]
	s_waitcnt lgkmcnt(3)
	v_mov_b32_e32 v6, s25
	v_add_co_u32_e32 v8, vcc, s24, v8
	v_addc_co_u32_e32 v9, vcc, v6, v9, vcc
	global_store_dword v[8:9], v7, off
	s_or_b64 exec, exec, s[4:5]
	v_cmp_gt_u32_e32 vcc, s33, v26
	s_and_saveexec_b64 s[4:5], vcc
	s_cbranch_execnz .LBB801_158
.LBB801_193:
	s_or_b64 exec, exec, s[4:5]
	v_cmp_gt_u32_e32 vcc, s33, v25
	s_and_saveexec_b64 s[4:5], vcc
	s_cbranch_execz .LBB801_163
.LBB801_194:
	v_cmp_ge_u32_e32 vcc, v25, v18
                                        ; implicit-def: $vgpr6_vgpr7
	s_and_saveexec_b64 s[6:7], vcc
	s_xor_b64 s[6:7], exec, s[6:7]
	s_cbranch_execz .LBB801_196
; %bb.195:
	s_waitcnt lgkmcnt(2)
	v_xor_b32_e32 v4, 0xfffff6ff, v0
	v_ashrrev_i32_e32 v7, 31, v4
	v_add_co_u32_e32 v6, vcc, v19, v4
	v_addc_co_u32_e32 v7, vcc, v20, v7, vcc
                                        ; implicit-def: $vgpr25
.LBB801_196:
	s_andn2_saveexec_b64 s[6:7], s[6:7]
	s_cbranch_execz .LBB801_198
; %bb.197:
	s_waitcnt lgkmcnt(3)
	v_add_co_u32_e32 v6, vcc, v1, v25
	v_addc_co_u32_e32 v7, vcc, 0, v16, vcc
.LBB801_198:
	s_or_b64 exec, exec, s[6:7]
	s_waitcnt lgkmcnt(3)
	v_lshlrev_b64 v[6:7], 2, v[6:7]
	s_waitcnt lgkmcnt(2)
	v_mov_b32_e32 v4, s25
	v_add_co_u32_e32 v6, vcc, s24, v6
	v_addc_co_u32_e32 v7, vcc, v4, v7, vcc
	global_store_dword v[6:7], v5, off
	s_or_b64 exec, exec, s[4:5]
	v_cmp_gt_u32_e32 vcc, s33, v24
	s_and_saveexec_b64 s[4:5], vcc
	s_cbranch_execnz .LBB801_164
.LBB801_199:
	s_or_b64 exec, exec, s[4:5]
	v_cmp_gt_u32_e32 vcc, s33, v23
	s_and_saveexec_b64 s[4:5], vcc
	s_cbranch_execz .LBB801_205
.LBB801_200:
	v_cmp_ge_u32_e32 vcc, v23, v18
                                        ; implicit-def: $vgpr4_vgpr5
	s_and_saveexec_b64 s[6:7], vcc
	s_xor_b64 s[6:7], exec, s[6:7]
	s_cbranch_execz .LBB801_202
; %bb.201:
	s_waitcnt lgkmcnt(1)
	v_xor_b32_e32 v2, 0xfffff4ff, v0
	v_ashrrev_i32_e32 v5, 31, v2
	v_add_co_u32_e32 v4, vcc, v19, v2
	v_addc_co_u32_e32 v5, vcc, v20, v5, vcc
                                        ; implicit-def: $vgpr23
.LBB801_202:
	s_andn2_saveexec_b64 s[6:7], s[6:7]
	s_cbranch_execz .LBB801_204
; %bb.203:
	s_waitcnt lgkmcnt(2)
	v_add_co_u32_e32 v4, vcc, v1, v23
	v_addc_co_u32_e32 v5, vcc, 0, v16, vcc
.LBB801_204:
	s_or_b64 exec, exec, s[6:7]
	s_waitcnt lgkmcnt(2)
	v_lshlrev_b64 v[4:5], 2, v[4:5]
	s_waitcnt lgkmcnt(1)
	v_mov_b32_e32 v2, s25
	v_add_co_u32_e32 v4, vcc, s24, v4
	v_addc_co_u32_e32 v5, vcc, v2, v5, vcc
	global_store_dword v[4:5], v3, off
.LBB801_205:
	s_or_b64 exec, exec, s[4:5]
	v_cmp_gt_u32_e32 vcc, s33, v22
                                        ; implicit-def: $vgpr14_vgpr15
	s_and_saveexec_b64 s[4:5], vcc
	s_cbranch_execz .LBB801_211
; %bb.206:
	v_cmp_ge_u32_e32 vcc, v22, v18
                                        ; implicit-def: $vgpr14_vgpr15
	s_and_saveexec_b64 s[6:7], vcc
	s_xor_b64 s[6:7], exec, s[6:7]
	s_cbranch_execz .LBB801_208
; %bb.207:
	v_xor_b32_e32 v0, 0xfffff3ff, v0
	s_waitcnt lgkmcnt(1)
	v_ashrrev_i32_e32 v2, 31, v0
	v_add_co_u32_e32 v14, vcc, v19, v0
	v_addc_co_u32_e32 v15, vcc, v20, v2, vcc
                                        ; implicit-def: $vgpr22
.LBB801_208:
	s_andn2_saveexec_b64 s[6:7], s[6:7]
; %bb.209:
	v_add_co_u32_e32 v14, vcc, v1, v22
	v_addc_co_u32_e32 v15, vcc, 0, v16, vcc
; %bb.210:
	s_or_b64 exec, exec, s[6:7]
	s_or_b64 s[2:3], s[2:3], exec
.LBB801_211:
	s_or_b64 exec, exec, s[4:5]
	s_and_saveexec_b64 s[4:5], s[2:3]
	s_cbranch_execnz .LBB801_130
.LBB801_212:
	s_or_b64 exec, exec, s[4:5]
	s_and_b64 s[0:1], s[0:1], s[22:23]
	s_and_saveexec_b64 s[2:3], s[0:1]
	s_cbranch_execz .LBB801_131
.LBB801_213:
	v_add_co_u32_e32 v0, vcc, v1, v18
	s_waitcnt lgkmcnt(1)
	v_mov_b32_e32 v2, 0
	v_addc_co_u32_e32 v1, vcc, 0, v16, vcc
	global_store_dwordx2 v2, v[0:1], s[20:21]
	s_endpgm
	.section	.rodata,"a",@progbits
	.p2align	6, 0x0
	.amdhsa_kernel _ZN7rocprim17ROCPRIM_400000_NS6detail17trampoline_kernelINS0_13select_configILj256ELj13ELNS0_17block_load_methodE3ELS4_3ELS4_3ELNS0_20block_scan_algorithmE0ELj4294967295EEENS1_25partition_config_selectorILNS1_17partition_subalgoE3EjNS0_10empty_typeEbEEZZNS1_14partition_implILS8_3ELb0ES6_jNS0_17counting_iteratorIjlEEPS9_SE_NS0_5tupleIJPjSE_EEENSF_IJSE_SE_EEES9_SG_JZNS1_25segmented_radix_sort_implINS0_14default_configELb0EPKlPlSM_SN_N2at6native12_GLOBAL__N_18offset_tEEE10hipError_tPvRmT1_PNSt15iterator_traitsISV_E10value_typeET2_T3_PNSW_IS11_E10value_typeET4_jRbjT5_S17_jjP12ihipStream_tbEUljE_EEESS_ST_SU_S11_S15_S17_T6_T7_T9_mT8_S19_bDpT10_ENKUlT_T0_E_clISt17integral_constantIbLb0EES1L_IbLb1EEEEDaS1H_S1I_EUlS1H_E_NS1_11comp_targetILNS1_3genE4ELNS1_11target_archE910ELNS1_3gpuE8ELNS1_3repE0EEENS1_30default_config_static_selectorELNS0_4arch9wavefront6targetE1EEEvSV_
		.amdhsa_group_segment_fixed_size 13324
		.amdhsa_private_segment_fixed_size 0
		.amdhsa_kernarg_size 152
		.amdhsa_user_sgpr_count 6
		.amdhsa_user_sgpr_private_segment_buffer 1
		.amdhsa_user_sgpr_dispatch_ptr 0
		.amdhsa_user_sgpr_queue_ptr 0
		.amdhsa_user_sgpr_kernarg_segment_ptr 1
		.amdhsa_user_sgpr_dispatch_id 0
		.amdhsa_user_sgpr_flat_scratch_init 0
		.amdhsa_user_sgpr_kernarg_preload_length 0
		.amdhsa_user_sgpr_kernarg_preload_offset 0
		.amdhsa_user_sgpr_private_segment_size 0
		.amdhsa_uses_dynamic_stack 0
		.amdhsa_system_sgpr_private_segment_wavefront_offset 0
		.amdhsa_system_sgpr_workgroup_id_x 1
		.amdhsa_system_sgpr_workgroup_id_y 0
		.amdhsa_system_sgpr_workgroup_id_z 0
		.amdhsa_system_sgpr_workgroup_info 0
		.amdhsa_system_vgpr_workitem_id 0
		.amdhsa_next_free_vgpr 64
		.amdhsa_next_free_sgpr 44
		.amdhsa_accum_offset 64
		.amdhsa_reserve_vcc 1
		.amdhsa_reserve_flat_scratch 0
		.amdhsa_float_round_mode_32 0
		.amdhsa_float_round_mode_16_64 0
		.amdhsa_float_denorm_mode_32 3
		.amdhsa_float_denorm_mode_16_64 3
		.amdhsa_dx10_clamp 1
		.amdhsa_ieee_mode 1
		.amdhsa_fp16_overflow 0
		.amdhsa_tg_split 0
		.amdhsa_exception_fp_ieee_invalid_op 0
		.amdhsa_exception_fp_denorm_src 0
		.amdhsa_exception_fp_ieee_div_zero 0
		.amdhsa_exception_fp_ieee_overflow 0
		.amdhsa_exception_fp_ieee_underflow 0
		.amdhsa_exception_fp_ieee_inexact 0
		.amdhsa_exception_int_div_zero 0
	.end_amdhsa_kernel
	.section	.text._ZN7rocprim17ROCPRIM_400000_NS6detail17trampoline_kernelINS0_13select_configILj256ELj13ELNS0_17block_load_methodE3ELS4_3ELS4_3ELNS0_20block_scan_algorithmE0ELj4294967295EEENS1_25partition_config_selectorILNS1_17partition_subalgoE3EjNS0_10empty_typeEbEEZZNS1_14partition_implILS8_3ELb0ES6_jNS0_17counting_iteratorIjlEEPS9_SE_NS0_5tupleIJPjSE_EEENSF_IJSE_SE_EEES9_SG_JZNS1_25segmented_radix_sort_implINS0_14default_configELb0EPKlPlSM_SN_N2at6native12_GLOBAL__N_18offset_tEEE10hipError_tPvRmT1_PNSt15iterator_traitsISV_E10value_typeET2_T3_PNSW_IS11_E10value_typeET4_jRbjT5_S17_jjP12ihipStream_tbEUljE_EEESS_ST_SU_S11_S15_S17_T6_T7_T9_mT8_S19_bDpT10_ENKUlT_T0_E_clISt17integral_constantIbLb0EES1L_IbLb1EEEEDaS1H_S1I_EUlS1H_E_NS1_11comp_targetILNS1_3genE4ELNS1_11target_archE910ELNS1_3gpuE8ELNS1_3repE0EEENS1_30default_config_static_selectorELNS0_4arch9wavefront6targetE1EEEvSV_,"axG",@progbits,_ZN7rocprim17ROCPRIM_400000_NS6detail17trampoline_kernelINS0_13select_configILj256ELj13ELNS0_17block_load_methodE3ELS4_3ELS4_3ELNS0_20block_scan_algorithmE0ELj4294967295EEENS1_25partition_config_selectorILNS1_17partition_subalgoE3EjNS0_10empty_typeEbEEZZNS1_14partition_implILS8_3ELb0ES6_jNS0_17counting_iteratorIjlEEPS9_SE_NS0_5tupleIJPjSE_EEENSF_IJSE_SE_EEES9_SG_JZNS1_25segmented_radix_sort_implINS0_14default_configELb0EPKlPlSM_SN_N2at6native12_GLOBAL__N_18offset_tEEE10hipError_tPvRmT1_PNSt15iterator_traitsISV_E10value_typeET2_T3_PNSW_IS11_E10value_typeET4_jRbjT5_S17_jjP12ihipStream_tbEUljE_EEESS_ST_SU_S11_S15_S17_T6_T7_T9_mT8_S19_bDpT10_ENKUlT_T0_E_clISt17integral_constantIbLb0EES1L_IbLb1EEEEDaS1H_S1I_EUlS1H_E_NS1_11comp_targetILNS1_3genE4ELNS1_11target_archE910ELNS1_3gpuE8ELNS1_3repE0EEENS1_30default_config_static_selectorELNS0_4arch9wavefront6targetE1EEEvSV_,comdat
.Lfunc_end801:
	.size	_ZN7rocprim17ROCPRIM_400000_NS6detail17trampoline_kernelINS0_13select_configILj256ELj13ELNS0_17block_load_methodE3ELS4_3ELS4_3ELNS0_20block_scan_algorithmE0ELj4294967295EEENS1_25partition_config_selectorILNS1_17partition_subalgoE3EjNS0_10empty_typeEbEEZZNS1_14partition_implILS8_3ELb0ES6_jNS0_17counting_iteratorIjlEEPS9_SE_NS0_5tupleIJPjSE_EEENSF_IJSE_SE_EEES9_SG_JZNS1_25segmented_radix_sort_implINS0_14default_configELb0EPKlPlSM_SN_N2at6native12_GLOBAL__N_18offset_tEEE10hipError_tPvRmT1_PNSt15iterator_traitsISV_E10value_typeET2_T3_PNSW_IS11_E10value_typeET4_jRbjT5_S17_jjP12ihipStream_tbEUljE_EEESS_ST_SU_S11_S15_S17_T6_T7_T9_mT8_S19_bDpT10_ENKUlT_T0_E_clISt17integral_constantIbLb0EES1L_IbLb1EEEEDaS1H_S1I_EUlS1H_E_NS1_11comp_targetILNS1_3genE4ELNS1_11target_archE910ELNS1_3gpuE8ELNS1_3repE0EEENS1_30default_config_static_selectorELNS0_4arch9wavefront6targetE1EEEvSV_, .Lfunc_end801-_ZN7rocprim17ROCPRIM_400000_NS6detail17trampoline_kernelINS0_13select_configILj256ELj13ELNS0_17block_load_methodE3ELS4_3ELS4_3ELNS0_20block_scan_algorithmE0ELj4294967295EEENS1_25partition_config_selectorILNS1_17partition_subalgoE3EjNS0_10empty_typeEbEEZZNS1_14partition_implILS8_3ELb0ES6_jNS0_17counting_iteratorIjlEEPS9_SE_NS0_5tupleIJPjSE_EEENSF_IJSE_SE_EEES9_SG_JZNS1_25segmented_radix_sort_implINS0_14default_configELb0EPKlPlSM_SN_N2at6native12_GLOBAL__N_18offset_tEEE10hipError_tPvRmT1_PNSt15iterator_traitsISV_E10value_typeET2_T3_PNSW_IS11_E10value_typeET4_jRbjT5_S17_jjP12ihipStream_tbEUljE_EEESS_ST_SU_S11_S15_S17_T6_T7_T9_mT8_S19_bDpT10_ENKUlT_T0_E_clISt17integral_constantIbLb0EES1L_IbLb1EEEEDaS1H_S1I_EUlS1H_E_NS1_11comp_targetILNS1_3genE4ELNS1_11target_archE910ELNS1_3gpuE8ELNS1_3repE0EEENS1_30default_config_static_selectorELNS0_4arch9wavefront6targetE1EEEvSV_
                                        ; -- End function
	.section	.AMDGPU.csdata,"",@progbits
; Kernel info:
; codeLenInByte = 7816
; NumSgprs: 48
; NumVgprs: 64
; NumAgprs: 0
; TotalNumVgprs: 64
; ScratchSize: 0
; MemoryBound: 0
; FloatMode: 240
; IeeeMode: 1
; LDSByteSize: 13324 bytes/workgroup (compile time only)
; SGPRBlocks: 5
; VGPRBlocks: 7
; NumSGPRsForWavesPerEU: 48
; NumVGPRsForWavesPerEU: 64
; AccumOffset: 64
; Occupancy: 4
; WaveLimiterHint : 0
; COMPUTE_PGM_RSRC2:SCRATCH_EN: 0
; COMPUTE_PGM_RSRC2:USER_SGPR: 6
; COMPUTE_PGM_RSRC2:TRAP_HANDLER: 0
; COMPUTE_PGM_RSRC2:TGID_X_EN: 1
; COMPUTE_PGM_RSRC2:TGID_Y_EN: 0
; COMPUTE_PGM_RSRC2:TGID_Z_EN: 0
; COMPUTE_PGM_RSRC2:TIDIG_COMP_CNT: 0
; COMPUTE_PGM_RSRC3_GFX90A:ACCUM_OFFSET: 15
; COMPUTE_PGM_RSRC3_GFX90A:TG_SPLIT: 0
	.section	.text._ZN7rocprim17ROCPRIM_400000_NS6detail17trampoline_kernelINS0_13select_configILj256ELj13ELNS0_17block_load_methodE3ELS4_3ELS4_3ELNS0_20block_scan_algorithmE0ELj4294967295EEENS1_25partition_config_selectorILNS1_17partition_subalgoE3EjNS0_10empty_typeEbEEZZNS1_14partition_implILS8_3ELb0ES6_jNS0_17counting_iteratorIjlEEPS9_SE_NS0_5tupleIJPjSE_EEENSF_IJSE_SE_EEES9_SG_JZNS1_25segmented_radix_sort_implINS0_14default_configELb0EPKlPlSM_SN_N2at6native12_GLOBAL__N_18offset_tEEE10hipError_tPvRmT1_PNSt15iterator_traitsISV_E10value_typeET2_T3_PNSW_IS11_E10value_typeET4_jRbjT5_S17_jjP12ihipStream_tbEUljE_EEESS_ST_SU_S11_S15_S17_T6_T7_T9_mT8_S19_bDpT10_ENKUlT_T0_E_clISt17integral_constantIbLb0EES1L_IbLb1EEEEDaS1H_S1I_EUlS1H_E_NS1_11comp_targetILNS1_3genE3ELNS1_11target_archE908ELNS1_3gpuE7ELNS1_3repE0EEENS1_30default_config_static_selectorELNS0_4arch9wavefront6targetE1EEEvSV_,"axG",@progbits,_ZN7rocprim17ROCPRIM_400000_NS6detail17trampoline_kernelINS0_13select_configILj256ELj13ELNS0_17block_load_methodE3ELS4_3ELS4_3ELNS0_20block_scan_algorithmE0ELj4294967295EEENS1_25partition_config_selectorILNS1_17partition_subalgoE3EjNS0_10empty_typeEbEEZZNS1_14partition_implILS8_3ELb0ES6_jNS0_17counting_iteratorIjlEEPS9_SE_NS0_5tupleIJPjSE_EEENSF_IJSE_SE_EEES9_SG_JZNS1_25segmented_radix_sort_implINS0_14default_configELb0EPKlPlSM_SN_N2at6native12_GLOBAL__N_18offset_tEEE10hipError_tPvRmT1_PNSt15iterator_traitsISV_E10value_typeET2_T3_PNSW_IS11_E10value_typeET4_jRbjT5_S17_jjP12ihipStream_tbEUljE_EEESS_ST_SU_S11_S15_S17_T6_T7_T9_mT8_S19_bDpT10_ENKUlT_T0_E_clISt17integral_constantIbLb0EES1L_IbLb1EEEEDaS1H_S1I_EUlS1H_E_NS1_11comp_targetILNS1_3genE3ELNS1_11target_archE908ELNS1_3gpuE7ELNS1_3repE0EEENS1_30default_config_static_selectorELNS0_4arch9wavefront6targetE1EEEvSV_,comdat
	.globl	_ZN7rocprim17ROCPRIM_400000_NS6detail17trampoline_kernelINS0_13select_configILj256ELj13ELNS0_17block_load_methodE3ELS4_3ELS4_3ELNS0_20block_scan_algorithmE0ELj4294967295EEENS1_25partition_config_selectorILNS1_17partition_subalgoE3EjNS0_10empty_typeEbEEZZNS1_14partition_implILS8_3ELb0ES6_jNS0_17counting_iteratorIjlEEPS9_SE_NS0_5tupleIJPjSE_EEENSF_IJSE_SE_EEES9_SG_JZNS1_25segmented_radix_sort_implINS0_14default_configELb0EPKlPlSM_SN_N2at6native12_GLOBAL__N_18offset_tEEE10hipError_tPvRmT1_PNSt15iterator_traitsISV_E10value_typeET2_T3_PNSW_IS11_E10value_typeET4_jRbjT5_S17_jjP12ihipStream_tbEUljE_EEESS_ST_SU_S11_S15_S17_T6_T7_T9_mT8_S19_bDpT10_ENKUlT_T0_E_clISt17integral_constantIbLb0EES1L_IbLb1EEEEDaS1H_S1I_EUlS1H_E_NS1_11comp_targetILNS1_3genE3ELNS1_11target_archE908ELNS1_3gpuE7ELNS1_3repE0EEENS1_30default_config_static_selectorELNS0_4arch9wavefront6targetE1EEEvSV_ ; -- Begin function _ZN7rocprim17ROCPRIM_400000_NS6detail17trampoline_kernelINS0_13select_configILj256ELj13ELNS0_17block_load_methodE3ELS4_3ELS4_3ELNS0_20block_scan_algorithmE0ELj4294967295EEENS1_25partition_config_selectorILNS1_17partition_subalgoE3EjNS0_10empty_typeEbEEZZNS1_14partition_implILS8_3ELb0ES6_jNS0_17counting_iteratorIjlEEPS9_SE_NS0_5tupleIJPjSE_EEENSF_IJSE_SE_EEES9_SG_JZNS1_25segmented_radix_sort_implINS0_14default_configELb0EPKlPlSM_SN_N2at6native12_GLOBAL__N_18offset_tEEE10hipError_tPvRmT1_PNSt15iterator_traitsISV_E10value_typeET2_T3_PNSW_IS11_E10value_typeET4_jRbjT5_S17_jjP12ihipStream_tbEUljE_EEESS_ST_SU_S11_S15_S17_T6_T7_T9_mT8_S19_bDpT10_ENKUlT_T0_E_clISt17integral_constantIbLb0EES1L_IbLb1EEEEDaS1H_S1I_EUlS1H_E_NS1_11comp_targetILNS1_3genE3ELNS1_11target_archE908ELNS1_3gpuE7ELNS1_3repE0EEENS1_30default_config_static_selectorELNS0_4arch9wavefront6targetE1EEEvSV_
	.p2align	8
	.type	_ZN7rocprim17ROCPRIM_400000_NS6detail17trampoline_kernelINS0_13select_configILj256ELj13ELNS0_17block_load_methodE3ELS4_3ELS4_3ELNS0_20block_scan_algorithmE0ELj4294967295EEENS1_25partition_config_selectorILNS1_17partition_subalgoE3EjNS0_10empty_typeEbEEZZNS1_14partition_implILS8_3ELb0ES6_jNS0_17counting_iteratorIjlEEPS9_SE_NS0_5tupleIJPjSE_EEENSF_IJSE_SE_EEES9_SG_JZNS1_25segmented_radix_sort_implINS0_14default_configELb0EPKlPlSM_SN_N2at6native12_GLOBAL__N_18offset_tEEE10hipError_tPvRmT1_PNSt15iterator_traitsISV_E10value_typeET2_T3_PNSW_IS11_E10value_typeET4_jRbjT5_S17_jjP12ihipStream_tbEUljE_EEESS_ST_SU_S11_S15_S17_T6_T7_T9_mT8_S19_bDpT10_ENKUlT_T0_E_clISt17integral_constantIbLb0EES1L_IbLb1EEEEDaS1H_S1I_EUlS1H_E_NS1_11comp_targetILNS1_3genE3ELNS1_11target_archE908ELNS1_3gpuE7ELNS1_3repE0EEENS1_30default_config_static_selectorELNS0_4arch9wavefront6targetE1EEEvSV_,@function
_ZN7rocprim17ROCPRIM_400000_NS6detail17trampoline_kernelINS0_13select_configILj256ELj13ELNS0_17block_load_methodE3ELS4_3ELS4_3ELNS0_20block_scan_algorithmE0ELj4294967295EEENS1_25partition_config_selectorILNS1_17partition_subalgoE3EjNS0_10empty_typeEbEEZZNS1_14partition_implILS8_3ELb0ES6_jNS0_17counting_iteratorIjlEEPS9_SE_NS0_5tupleIJPjSE_EEENSF_IJSE_SE_EEES9_SG_JZNS1_25segmented_radix_sort_implINS0_14default_configELb0EPKlPlSM_SN_N2at6native12_GLOBAL__N_18offset_tEEE10hipError_tPvRmT1_PNSt15iterator_traitsISV_E10value_typeET2_T3_PNSW_IS11_E10value_typeET4_jRbjT5_S17_jjP12ihipStream_tbEUljE_EEESS_ST_SU_S11_S15_S17_T6_T7_T9_mT8_S19_bDpT10_ENKUlT_T0_E_clISt17integral_constantIbLb0EES1L_IbLb1EEEEDaS1H_S1I_EUlS1H_E_NS1_11comp_targetILNS1_3genE3ELNS1_11target_archE908ELNS1_3gpuE7ELNS1_3repE0EEENS1_30default_config_static_selectorELNS0_4arch9wavefront6targetE1EEEvSV_: ; @_ZN7rocprim17ROCPRIM_400000_NS6detail17trampoline_kernelINS0_13select_configILj256ELj13ELNS0_17block_load_methodE3ELS4_3ELS4_3ELNS0_20block_scan_algorithmE0ELj4294967295EEENS1_25partition_config_selectorILNS1_17partition_subalgoE3EjNS0_10empty_typeEbEEZZNS1_14partition_implILS8_3ELb0ES6_jNS0_17counting_iteratorIjlEEPS9_SE_NS0_5tupleIJPjSE_EEENSF_IJSE_SE_EEES9_SG_JZNS1_25segmented_radix_sort_implINS0_14default_configELb0EPKlPlSM_SN_N2at6native12_GLOBAL__N_18offset_tEEE10hipError_tPvRmT1_PNSt15iterator_traitsISV_E10value_typeET2_T3_PNSW_IS11_E10value_typeET4_jRbjT5_S17_jjP12ihipStream_tbEUljE_EEESS_ST_SU_S11_S15_S17_T6_T7_T9_mT8_S19_bDpT10_ENKUlT_T0_E_clISt17integral_constantIbLb0EES1L_IbLb1EEEEDaS1H_S1I_EUlS1H_E_NS1_11comp_targetILNS1_3genE3ELNS1_11target_archE908ELNS1_3gpuE7ELNS1_3repE0EEENS1_30default_config_static_selectorELNS0_4arch9wavefront6targetE1EEEvSV_
; %bb.0:
	.section	.rodata,"a",@progbits
	.p2align	6, 0x0
	.amdhsa_kernel _ZN7rocprim17ROCPRIM_400000_NS6detail17trampoline_kernelINS0_13select_configILj256ELj13ELNS0_17block_load_methodE3ELS4_3ELS4_3ELNS0_20block_scan_algorithmE0ELj4294967295EEENS1_25partition_config_selectorILNS1_17partition_subalgoE3EjNS0_10empty_typeEbEEZZNS1_14partition_implILS8_3ELb0ES6_jNS0_17counting_iteratorIjlEEPS9_SE_NS0_5tupleIJPjSE_EEENSF_IJSE_SE_EEES9_SG_JZNS1_25segmented_radix_sort_implINS0_14default_configELb0EPKlPlSM_SN_N2at6native12_GLOBAL__N_18offset_tEEE10hipError_tPvRmT1_PNSt15iterator_traitsISV_E10value_typeET2_T3_PNSW_IS11_E10value_typeET4_jRbjT5_S17_jjP12ihipStream_tbEUljE_EEESS_ST_SU_S11_S15_S17_T6_T7_T9_mT8_S19_bDpT10_ENKUlT_T0_E_clISt17integral_constantIbLb0EES1L_IbLb1EEEEDaS1H_S1I_EUlS1H_E_NS1_11comp_targetILNS1_3genE3ELNS1_11target_archE908ELNS1_3gpuE7ELNS1_3repE0EEENS1_30default_config_static_selectorELNS0_4arch9wavefront6targetE1EEEvSV_
		.amdhsa_group_segment_fixed_size 0
		.amdhsa_private_segment_fixed_size 0
		.amdhsa_kernarg_size 152
		.amdhsa_user_sgpr_count 6
		.amdhsa_user_sgpr_private_segment_buffer 1
		.amdhsa_user_sgpr_dispatch_ptr 0
		.amdhsa_user_sgpr_queue_ptr 0
		.amdhsa_user_sgpr_kernarg_segment_ptr 1
		.amdhsa_user_sgpr_dispatch_id 0
		.amdhsa_user_sgpr_flat_scratch_init 0
		.amdhsa_user_sgpr_kernarg_preload_length 0
		.amdhsa_user_sgpr_kernarg_preload_offset 0
		.amdhsa_user_sgpr_private_segment_size 0
		.amdhsa_uses_dynamic_stack 0
		.amdhsa_system_sgpr_private_segment_wavefront_offset 0
		.amdhsa_system_sgpr_workgroup_id_x 1
		.amdhsa_system_sgpr_workgroup_id_y 0
		.amdhsa_system_sgpr_workgroup_id_z 0
		.amdhsa_system_sgpr_workgroup_info 0
		.amdhsa_system_vgpr_workitem_id 0
		.amdhsa_next_free_vgpr 1
		.amdhsa_next_free_sgpr 0
		.amdhsa_accum_offset 4
		.amdhsa_reserve_vcc 0
		.amdhsa_reserve_flat_scratch 0
		.amdhsa_float_round_mode_32 0
		.amdhsa_float_round_mode_16_64 0
		.amdhsa_float_denorm_mode_32 3
		.amdhsa_float_denorm_mode_16_64 3
		.amdhsa_dx10_clamp 1
		.amdhsa_ieee_mode 1
		.amdhsa_fp16_overflow 0
		.amdhsa_tg_split 0
		.amdhsa_exception_fp_ieee_invalid_op 0
		.amdhsa_exception_fp_denorm_src 0
		.amdhsa_exception_fp_ieee_div_zero 0
		.amdhsa_exception_fp_ieee_overflow 0
		.amdhsa_exception_fp_ieee_underflow 0
		.amdhsa_exception_fp_ieee_inexact 0
		.amdhsa_exception_int_div_zero 0
	.end_amdhsa_kernel
	.section	.text._ZN7rocprim17ROCPRIM_400000_NS6detail17trampoline_kernelINS0_13select_configILj256ELj13ELNS0_17block_load_methodE3ELS4_3ELS4_3ELNS0_20block_scan_algorithmE0ELj4294967295EEENS1_25partition_config_selectorILNS1_17partition_subalgoE3EjNS0_10empty_typeEbEEZZNS1_14partition_implILS8_3ELb0ES6_jNS0_17counting_iteratorIjlEEPS9_SE_NS0_5tupleIJPjSE_EEENSF_IJSE_SE_EEES9_SG_JZNS1_25segmented_radix_sort_implINS0_14default_configELb0EPKlPlSM_SN_N2at6native12_GLOBAL__N_18offset_tEEE10hipError_tPvRmT1_PNSt15iterator_traitsISV_E10value_typeET2_T3_PNSW_IS11_E10value_typeET4_jRbjT5_S17_jjP12ihipStream_tbEUljE_EEESS_ST_SU_S11_S15_S17_T6_T7_T9_mT8_S19_bDpT10_ENKUlT_T0_E_clISt17integral_constantIbLb0EES1L_IbLb1EEEEDaS1H_S1I_EUlS1H_E_NS1_11comp_targetILNS1_3genE3ELNS1_11target_archE908ELNS1_3gpuE7ELNS1_3repE0EEENS1_30default_config_static_selectorELNS0_4arch9wavefront6targetE1EEEvSV_,"axG",@progbits,_ZN7rocprim17ROCPRIM_400000_NS6detail17trampoline_kernelINS0_13select_configILj256ELj13ELNS0_17block_load_methodE3ELS4_3ELS4_3ELNS0_20block_scan_algorithmE0ELj4294967295EEENS1_25partition_config_selectorILNS1_17partition_subalgoE3EjNS0_10empty_typeEbEEZZNS1_14partition_implILS8_3ELb0ES6_jNS0_17counting_iteratorIjlEEPS9_SE_NS0_5tupleIJPjSE_EEENSF_IJSE_SE_EEES9_SG_JZNS1_25segmented_radix_sort_implINS0_14default_configELb0EPKlPlSM_SN_N2at6native12_GLOBAL__N_18offset_tEEE10hipError_tPvRmT1_PNSt15iterator_traitsISV_E10value_typeET2_T3_PNSW_IS11_E10value_typeET4_jRbjT5_S17_jjP12ihipStream_tbEUljE_EEESS_ST_SU_S11_S15_S17_T6_T7_T9_mT8_S19_bDpT10_ENKUlT_T0_E_clISt17integral_constantIbLb0EES1L_IbLb1EEEEDaS1H_S1I_EUlS1H_E_NS1_11comp_targetILNS1_3genE3ELNS1_11target_archE908ELNS1_3gpuE7ELNS1_3repE0EEENS1_30default_config_static_selectorELNS0_4arch9wavefront6targetE1EEEvSV_,comdat
.Lfunc_end802:
	.size	_ZN7rocprim17ROCPRIM_400000_NS6detail17trampoline_kernelINS0_13select_configILj256ELj13ELNS0_17block_load_methodE3ELS4_3ELS4_3ELNS0_20block_scan_algorithmE0ELj4294967295EEENS1_25partition_config_selectorILNS1_17partition_subalgoE3EjNS0_10empty_typeEbEEZZNS1_14partition_implILS8_3ELb0ES6_jNS0_17counting_iteratorIjlEEPS9_SE_NS0_5tupleIJPjSE_EEENSF_IJSE_SE_EEES9_SG_JZNS1_25segmented_radix_sort_implINS0_14default_configELb0EPKlPlSM_SN_N2at6native12_GLOBAL__N_18offset_tEEE10hipError_tPvRmT1_PNSt15iterator_traitsISV_E10value_typeET2_T3_PNSW_IS11_E10value_typeET4_jRbjT5_S17_jjP12ihipStream_tbEUljE_EEESS_ST_SU_S11_S15_S17_T6_T7_T9_mT8_S19_bDpT10_ENKUlT_T0_E_clISt17integral_constantIbLb0EES1L_IbLb1EEEEDaS1H_S1I_EUlS1H_E_NS1_11comp_targetILNS1_3genE3ELNS1_11target_archE908ELNS1_3gpuE7ELNS1_3repE0EEENS1_30default_config_static_selectorELNS0_4arch9wavefront6targetE1EEEvSV_, .Lfunc_end802-_ZN7rocprim17ROCPRIM_400000_NS6detail17trampoline_kernelINS0_13select_configILj256ELj13ELNS0_17block_load_methodE3ELS4_3ELS4_3ELNS0_20block_scan_algorithmE0ELj4294967295EEENS1_25partition_config_selectorILNS1_17partition_subalgoE3EjNS0_10empty_typeEbEEZZNS1_14partition_implILS8_3ELb0ES6_jNS0_17counting_iteratorIjlEEPS9_SE_NS0_5tupleIJPjSE_EEENSF_IJSE_SE_EEES9_SG_JZNS1_25segmented_radix_sort_implINS0_14default_configELb0EPKlPlSM_SN_N2at6native12_GLOBAL__N_18offset_tEEE10hipError_tPvRmT1_PNSt15iterator_traitsISV_E10value_typeET2_T3_PNSW_IS11_E10value_typeET4_jRbjT5_S17_jjP12ihipStream_tbEUljE_EEESS_ST_SU_S11_S15_S17_T6_T7_T9_mT8_S19_bDpT10_ENKUlT_T0_E_clISt17integral_constantIbLb0EES1L_IbLb1EEEEDaS1H_S1I_EUlS1H_E_NS1_11comp_targetILNS1_3genE3ELNS1_11target_archE908ELNS1_3gpuE7ELNS1_3repE0EEENS1_30default_config_static_selectorELNS0_4arch9wavefront6targetE1EEEvSV_
                                        ; -- End function
	.section	.AMDGPU.csdata,"",@progbits
; Kernel info:
; codeLenInByte = 0
; NumSgprs: 4
; NumVgprs: 0
; NumAgprs: 0
; TotalNumVgprs: 0
; ScratchSize: 0
; MemoryBound: 0
; FloatMode: 240
; IeeeMode: 1
; LDSByteSize: 0 bytes/workgroup (compile time only)
; SGPRBlocks: 0
; VGPRBlocks: 0
; NumSGPRsForWavesPerEU: 4
; NumVGPRsForWavesPerEU: 1
; AccumOffset: 4
; Occupancy: 8
; WaveLimiterHint : 0
; COMPUTE_PGM_RSRC2:SCRATCH_EN: 0
; COMPUTE_PGM_RSRC2:USER_SGPR: 6
; COMPUTE_PGM_RSRC2:TRAP_HANDLER: 0
; COMPUTE_PGM_RSRC2:TGID_X_EN: 1
; COMPUTE_PGM_RSRC2:TGID_Y_EN: 0
; COMPUTE_PGM_RSRC2:TGID_Z_EN: 0
; COMPUTE_PGM_RSRC2:TIDIG_COMP_CNT: 0
; COMPUTE_PGM_RSRC3_GFX90A:ACCUM_OFFSET: 0
; COMPUTE_PGM_RSRC3_GFX90A:TG_SPLIT: 0
	.section	.text._ZN7rocprim17ROCPRIM_400000_NS6detail17trampoline_kernelINS0_13select_configILj256ELj13ELNS0_17block_load_methodE3ELS4_3ELS4_3ELNS0_20block_scan_algorithmE0ELj4294967295EEENS1_25partition_config_selectorILNS1_17partition_subalgoE3EjNS0_10empty_typeEbEEZZNS1_14partition_implILS8_3ELb0ES6_jNS0_17counting_iteratorIjlEEPS9_SE_NS0_5tupleIJPjSE_EEENSF_IJSE_SE_EEES9_SG_JZNS1_25segmented_radix_sort_implINS0_14default_configELb0EPKlPlSM_SN_N2at6native12_GLOBAL__N_18offset_tEEE10hipError_tPvRmT1_PNSt15iterator_traitsISV_E10value_typeET2_T3_PNSW_IS11_E10value_typeET4_jRbjT5_S17_jjP12ihipStream_tbEUljE_EEESS_ST_SU_S11_S15_S17_T6_T7_T9_mT8_S19_bDpT10_ENKUlT_T0_E_clISt17integral_constantIbLb0EES1L_IbLb1EEEEDaS1H_S1I_EUlS1H_E_NS1_11comp_targetILNS1_3genE2ELNS1_11target_archE906ELNS1_3gpuE6ELNS1_3repE0EEENS1_30default_config_static_selectorELNS0_4arch9wavefront6targetE1EEEvSV_,"axG",@progbits,_ZN7rocprim17ROCPRIM_400000_NS6detail17trampoline_kernelINS0_13select_configILj256ELj13ELNS0_17block_load_methodE3ELS4_3ELS4_3ELNS0_20block_scan_algorithmE0ELj4294967295EEENS1_25partition_config_selectorILNS1_17partition_subalgoE3EjNS0_10empty_typeEbEEZZNS1_14partition_implILS8_3ELb0ES6_jNS0_17counting_iteratorIjlEEPS9_SE_NS0_5tupleIJPjSE_EEENSF_IJSE_SE_EEES9_SG_JZNS1_25segmented_radix_sort_implINS0_14default_configELb0EPKlPlSM_SN_N2at6native12_GLOBAL__N_18offset_tEEE10hipError_tPvRmT1_PNSt15iterator_traitsISV_E10value_typeET2_T3_PNSW_IS11_E10value_typeET4_jRbjT5_S17_jjP12ihipStream_tbEUljE_EEESS_ST_SU_S11_S15_S17_T6_T7_T9_mT8_S19_bDpT10_ENKUlT_T0_E_clISt17integral_constantIbLb0EES1L_IbLb1EEEEDaS1H_S1I_EUlS1H_E_NS1_11comp_targetILNS1_3genE2ELNS1_11target_archE906ELNS1_3gpuE6ELNS1_3repE0EEENS1_30default_config_static_selectorELNS0_4arch9wavefront6targetE1EEEvSV_,comdat
	.globl	_ZN7rocprim17ROCPRIM_400000_NS6detail17trampoline_kernelINS0_13select_configILj256ELj13ELNS0_17block_load_methodE3ELS4_3ELS4_3ELNS0_20block_scan_algorithmE0ELj4294967295EEENS1_25partition_config_selectorILNS1_17partition_subalgoE3EjNS0_10empty_typeEbEEZZNS1_14partition_implILS8_3ELb0ES6_jNS0_17counting_iteratorIjlEEPS9_SE_NS0_5tupleIJPjSE_EEENSF_IJSE_SE_EEES9_SG_JZNS1_25segmented_radix_sort_implINS0_14default_configELb0EPKlPlSM_SN_N2at6native12_GLOBAL__N_18offset_tEEE10hipError_tPvRmT1_PNSt15iterator_traitsISV_E10value_typeET2_T3_PNSW_IS11_E10value_typeET4_jRbjT5_S17_jjP12ihipStream_tbEUljE_EEESS_ST_SU_S11_S15_S17_T6_T7_T9_mT8_S19_bDpT10_ENKUlT_T0_E_clISt17integral_constantIbLb0EES1L_IbLb1EEEEDaS1H_S1I_EUlS1H_E_NS1_11comp_targetILNS1_3genE2ELNS1_11target_archE906ELNS1_3gpuE6ELNS1_3repE0EEENS1_30default_config_static_selectorELNS0_4arch9wavefront6targetE1EEEvSV_ ; -- Begin function _ZN7rocprim17ROCPRIM_400000_NS6detail17trampoline_kernelINS0_13select_configILj256ELj13ELNS0_17block_load_methodE3ELS4_3ELS4_3ELNS0_20block_scan_algorithmE0ELj4294967295EEENS1_25partition_config_selectorILNS1_17partition_subalgoE3EjNS0_10empty_typeEbEEZZNS1_14partition_implILS8_3ELb0ES6_jNS0_17counting_iteratorIjlEEPS9_SE_NS0_5tupleIJPjSE_EEENSF_IJSE_SE_EEES9_SG_JZNS1_25segmented_radix_sort_implINS0_14default_configELb0EPKlPlSM_SN_N2at6native12_GLOBAL__N_18offset_tEEE10hipError_tPvRmT1_PNSt15iterator_traitsISV_E10value_typeET2_T3_PNSW_IS11_E10value_typeET4_jRbjT5_S17_jjP12ihipStream_tbEUljE_EEESS_ST_SU_S11_S15_S17_T6_T7_T9_mT8_S19_bDpT10_ENKUlT_T0_E_clISt17integral_constantIbLb0EES1L_IbLb1EEEEDaS1H_S1I_EUlS1H_E_NS1_11comp_targetILNS1_3genE2ELNS1_11target_archE906ELNS1_3gpuE6ELNS1_3repE0EEENS1_30default_config_static_selectorELNS0_4arch9wavefront6targetE1EEEvSV_
	.p2align	8
	.type	_ZN7rocprim17ROCPRIM_400000_NS6detail17trampoline_kernelINS0_13select_configILj256ELj13ELNS0_17block_load_methodE3ELS4_3ELS4_3ELNS0_20block_scan_algorithmE0ELj4294967295EEENS1_25partition_config_selectorILNS1_17partition_subalgoE3EjNS0_10empty_typeEbEEZZNS1_14partition_implILS8_3ELb0ES6_jNS0_17counting_iteratorIjlEEPS9_SE_NS0_5tupleIJPjSE_EEENSF_IJSE_SE_EEES9_SG_JZNS1_25segmented_radix_sort_implINS0_14default_configELb0EPKlPlSM_SN_N2at6native12_GLOBAL__N_18offset_tEEE10hipError_tPvRmT1_PNSt15iterator_traitsISV_E10value_typeET2_T3_PNSW_IS11_E10value_typeET4_jRbjT5_S17_jjP12ihipStream_tbEUljE_EEESS_ST_SU_S11_S15_S17_T6_T7_T9_mT8_S19_bDpT10_ENKUlT_T0_E_clISt17integral_constantIbLb0EES1L_IbLb1EEEEDaS1H_S1I_EUlS1H_E_NS1_11comp_targetILNS1_3genE2ELNS1_11target_archE906ELNS1_3gpuE6ELNS1_3repE0EEENS1_30default_config_static_selectorELNS0_4arch9wavefront6targetE1EEEvSV_,@function
_ZN7rocprim17ROCPRIM_400000_NS6detail17trampoline_kernelINS0_13select_configILj256ELj13ELNS0_17block_load_methodE3ELS4_3ELS4_3ELNS0_20block_scan_algorithmE0ELj4294967295EEENS1_25partition_config_selectorILNS1_17partition_subalgoE3EjNS0_10empty_typeEbEEZZNS1_14partition_implILS8_3ELb0ES6_jNS0_17counting_iteratorIjlEEPS9_SE_NS0_5tupleIJPjSE_EEENSF_IJSE_SE_EEES9_SG_JZNS1_25segmented_radix_sort_implINS0_14default_configELb0EPKlPlSM_SN_N2at6native12_GLOBAL__N_18offset_tEEE10hipError_tPvRmT1_PNSt15iterator_traitsISV_E10value_typeET2_T3_PNSW_IS11_E10value_typeET4_jRbjT5_S17_jjP12ihipStream_tbEUljE_EEESS_ST_SU_S11_S15_S17_T6_T7_T9_mT8_S19_bDpT10_ENKUlT_T0_E_clISt17integral_constantIbLb0EES1L_IbLb1EEEEDaS1H_S1I_EUlS1H_E_NS1_11comp_targetILNS1_3genE2ELNS1_11target_archE906ELNS1_3gpuE6ELNS1_3repE0EEENS1_30default_config_static_selectorELNS0_4arch9wavefront6targetE1EEEvSV_: ; @_ZN7rocprim17ROCPRIM_400000_NS6detail17trampoline_kernelINS0_13select_configILj256ELj13ELNS0_17block_load_methodE3ELS4_3ELS4_3ELNS0_20block_scan_algorithmE0ELj4294967295EEENS1_25partition_config_selectorILNS1_17partition_subalgoE3EjNS0_10empty_typeEbEEZZNS1_14partition_implILS8_3ELb0ES6_jNS0_17counting_iteratorIjlEEPS9_SE_NS0_5tupleIJPjSE_EEENSF_IJSE_SE_EEES9_SG_JZNS1_25segmented_radix_sort_implINS0_14default_configELb0EPKlPlSM_SN_N2at6native12_GLOBAL__N_18offset_tEEE10hipError_tPvRmT1_PNSt15iterator_traitsISV_E10value_typeET2_T3_PNSW_IS11_E10value_typeET4_jRbjT5_S17_jjP12ihipStream_tbEUljE_EEESS_ST_SU_S11_S15_S17_T6_T7_T9_mT8_S19_bDpT10_ENKUlT_T0_E_clISt17integral_constantIbLb0EES1L_IbLb1EEEEDaS1H_S1I_EUlS1H_E_NS1_11comp_targetILNS1_3genE2ELNS1_11target_archE906ELNS1_3gpuE6ELNS1_3repE0EEENS1_30default_config_static_selectorELNS0_4arch9wavefront6targetE1EEEvSV_
; %bb.0:
	.section	.rodata,"a",@progbits
	.p2align	6, 0x0
	.amdhsa_kernel _ZN7rocprim17ROCPRIM_400000_NS6detail17trampoline_kernelINS0_13select_configILj256ELj13ELNS0_17block_load_methodE3ELS4_3ELS4_3ELNS0_20block_scan_algorithmE0ELj4294967295EEENS1_25partition_config_selectorILNS1_17partition_subalgoE3EjNS0_10empty_typeEbEEZZNS1_14partition_implILS8_3ELb0ES6_jNS0_17counting_iteratorIjlEEPS9_SE_NS0_5tupleIJPjSE_EEENSF_IJSE_SE_EEES9_SG_JZNS1_25segmented_radix_sort_implINS0_14default_configELb0EPKlPlSM_SN_N2at6native12_GLOBAL__N_18offset_tEEE10hipError_tPvRmT1_PNSt15iterator_traitsISV_E10value_typeET2_T3_PNSW_IS11_E10value_typeET4_jRbjT5_S17_jjP12ihipStream_tbEUljE_EEESS_ST_SU_S11_S15_S17_T6_T7_T9_mT8_S19_bDpT10_ENKUlT_T0_E_clISt17integral_constantIbLb0EES1L_IbLb1EEEEDaS1H_S1I_EUlS1H_E_NS1_11comp_targetILNS1_3genE2ELNS1_11target_archE906ELNS1_3gpuE6ELNS1_3repE0EEENS1_30default_config_static_selectorELNS0_4arch9wavefront6targetE1EEEvSV_
		.amdhsa_group_segment_fixed_size 0
		.amdhsa_private_segment_fixed_size 0
		.amdhsa_kernarg_size 152
		.amdhsa_user_sgpr_count 6
		.amdhsa_user_sgpr_private_segment_buffer 1
		.amdhsa_user_sgpr_dispatch_ptr 0
		.amdhsa_user_sgpr_queue_ptr 0
		.amdhsa_user_sgpr_kernarg_segment_ptr 1
		.amdhsa_user_sgpr_dispatch_id 0
		.amdhsa_user_sgpr_flat_scratch_init 0
		.amdhsa_user_sgpr_kernarg_preload_length 0
		.amdhsa_user_sgpr_kernarg_preload_offset 0
		.amdhsa_user_sgpr_private_segment_size 0
		.amdhsa_uses_dynamic_stack 0
		.amdhsa_system_sgpr_private_segment_wavefront_offset 0
		.amdhsa_system_sgpr_workgroup_id_x 1
		.amdhsa_system_sgpr_workgroup_id_y 0
		.amdhsa_system_sgpr_workgroup_id_z 0
		.amdhsa_system_sgpr_workgroup_info 0
		.amdhsa_system_vgpr_workitem_id 0
		.amdhsa_next_free_vgpr 1
		.amdhsa_next_free_sgpr 0
		.amdhsa_accum_offset 4
		.amdhsa_reserve_vcc 0
		.amdhsa_reserve_flat_scratch 0
		.amdhsa_float_round_mode_32 0
		.amdhsa_float_round_mode_16_64 0
		.amdhsa_float_denorm_mode_32 3
		.amdhsa_float_denorm_mode_16_64 3
		.amdhsa_dx10_clamp 1
		.amdhsa_ieee_mode 1
		.amdhsa_fp16_overflow 0
		.amdhsa_tg_split 0
		.amdhsa_exception_fp_ieee_invalid_op 0
		.amdhsa_exception_fp_denorm_src 0
		.amdhsa_exception_fp_ieee_div_zero 0
		.amdhsa_exception_fp_ieee_overflow 0
		.amdhsa_exception_fp_ieee_underflow 0
		.amdhsa_exception_fp_ieee_inexact 0
		.amdhsa_exception_int_div_zero 0
	.end_amdhsa_kernel
	.section	.text._ZN7rocprim17ROCPRIM_400000_NS6detail17trampoline_kernelINS0_13select_configILj256ELj13ELNS0_17block_load_methodE3ELS4_3ELS4_3ELNS0_20block_scan_algorithmE0ELj4294967295EEENS1_25partition_config_selectorILNS1_17partition_subalgoE3EjNS0_10empty_typeEbEEZZNS1_14partition_implILS8_3ELb0ES6_jNS0_17counting_iteratorIjlEEPS9_SE_NS0_5tupleIJPjSE_EEENSF_IJSE_SE_EEES9_SG_JZNS1_25segmented_radix_sort_implINS0_14default_configELb0EPKlPlSM_SN_N2at6native12_GLOBAL__N_18offset_tEEE10hipError_tPvRmT1_PNSt15iterator_traitsISV_E10value_typeET2_T3_PNSW_IS11_E10value_typeET4_jRbjT5_S17_jjP12ihipStream_tbEUljE_EEESS_ST_SU_S11_S15_S17_T6_T7_T9_mT8_S19_bDpT10_ENKUlT_T0_E_clISt17integral_constantIbLb0EES1L_IbLb1EEEEDaS1H_S1I_EUlS1H_E_NS1_11comp_targetILNS1_3genE2ELNS1_11target_archE906ELNS1_3gpuE6ELNS1_3repE0EEENS1_30default_config_static_selectorELNS0_4arch9wavefront6targetE1EEEvSV_,"axG",@progbits,_ZN7rocprim17ROCPRIM_400000_NS6detail17trampoline_kernelINS0_13select_configILj256ELj13ELNS0_17block_load_methodE3ELS4_3ELS4_3ELNS0_20block_scan_algorithmE0ELj4294967295EEENS1_25partition_config_selectorILNS1_17partition_subalgoE3EjNS0_10empty_typeEbEEZZNS1_14partition_implILS8_3ELb0ES6_jNS0_17counting_iteratorIjlEEPS9_SE_NS0_5tupleIJPjSE_EEENSF_IJSE_SE_EEES9_SG_JZNS1_25segmented_radix_sort_implINS0_14default_configELb0EPKlPlSM_SN_N2at6native12_GLOBAL__N_18offset_tEEE10hipError_tPvRmT1_PNSt15iterator_traitsISV_E10value_typeET2_T3_PNSW_IS11_E10value_typeET4_jRbjT5_S17_jjP12ihipStream_tbEUljE_EEESS_ST_SU_S11_S15_S17_T6_T7_T9_mT8_S19_bDpT10_ENKUlT_T0_E_clISt17integral_constantIbLb0EES1L_IbLb1EEEEDaS1H_S1I_EUlS1H_E_NS1_11comp_targetILNS1_3genE2ELNS1_11target_archE906ELNS1_3gpuE6ELNS1_3repE0EEENS1_30default_config_static_selectorELNS0_4arch9wavefront6targetE1EEEvSV_,comdat
.Lfunc_end803:
	.size	_ZN7rocprim17ROCPRIM_400000_NS6detail17trampoline_kernelINS0_13select_configILj256ELj13ELNS0_17block_load_methodE3ELS4_3ELS4_3ELNS0_20block_scan_algorithmE0ELj4294967295EEENS1_25partition_config_selectorILNS1_17partition_subalgoE3EjNS0_10empty_typeEbEEZZNS1_14partition_implILS8_3ELb0ES6_jNS0_17counting_iteratorIjlEEPS9_SE_NS0_5tupleIJPjSE_EEENSF_IJSE_SE_EEES9_SG_JZNS1_25segmented_radix_sort_implINS0_14default_configELb0EPKlPlSM_SN_N2at6native12_GLOBAL__N_18offset_tEEE10hipError_tPvRmT1_PNSt15iterator_traitsISV_E10value_typeET2_T3_PNSW_IS11_E10value_typeET4_jRbjT5_S17_jjP12ihipStream_tbEUljE_EEESS_ST_SU_S11_S15_S17_T6_T7_T9_mT8_S19_bDpT10_ENKUlT_T0_E_clISt17integral_constantIbLb0EES1L_IbLb1EEEEDaS1H_S1I_EUlS1H_E_NS1_11comp_targetILNS1_3genE2ELNS1_11target_archE906ELNS1_3gpuE6ELNS1_3repE0EEENS1_30default_config_static_selectorELNS0_4arch9wavefront6targetE1EEEvSV_, .Lfunc_end803-_ZN7rocprim17ROCPRIM_400000_NS6detail17trampoline_kernelINS0_13select_configILj256ELj13ELNS0_17block_load_methodE3ELS4_3ELS4_3ELNS0_20block_scan_algorithmE0ELj4294967295EEENS1_25partition_config_selectorILNS1_17partition_subalgoE3EjNS0_10empty_typeEbEEZZNS1_14partition_implILS8_3ELb0ES6_jNS0_17counting_iteratorIjlEEPS9_SE_NS0_5tupleIJPjSE_EEENSF_IJSE_SE_EEES9_SG_JZNS1_25segmented_radix_sort_implINS0_14default_configELb0EPKlPlSM_SN_N2at6native12_GLOBAL__N_18offset_tEEE10hipError_tPvRmT1_PNSt15iterator_traitsISV_E10value_typeET2_T3_PNSW_IS11_E10value_typeET4_jRbjT5_S17_jjP12ihipStream_tbEUljE_EEESS_ST_SU_S11_S15_S17_T6_T7_T9_mT8_S19_bDpT10_ENKUlT_T0_E_clISt17integral_constantIbLb0EES1L_IbLb1EEEEDaS1H_S1I_EUlS1H_E_NS1_11comp_targetILNS1_3genE2ELNS1_11target_archE906ELNS1_3gpuE6ELNS1_3repE0EEENS1_30default_config_static_selectorELNS0_4arch9wavefront6targetE1EEEvSV_
                                        ; -- End function
	.section	.AMDGPU.csdata,"",@progbits
; Kernel info:
; codeLenInByte = 0
; NumSgprs: 4
; NumVgprs: 0
; NumAgprs: 0
; TotalNumVgprs: 0
; ScratchSize: 0
; MemoryBound: 0
; FloatMode: 240
; IeeeMode: 1
; LDSByteSize: 0 bytes/workgroup (compile time only)
; SGPRBlocks: 0
; VGPRBlocks: 0
; NumSGPRsForWavesPerEU: 4
; NumVGPRsForWavesPerEU: 1
; AccumOffset: 4
; Occupancy: 8
; WaveLimiterHint : 0
; COMPUTE_PGM_RSRC2:SCRATCH_EN: 0
; COMPUTE_PGM_RSRC2:USER_SGPR: 6
; COMPUTE_PGM_RSRC2:TRAP_HANDLER: 0
; COMPUTE_PGM_RSRC2:TGID_X_EN: 1
; COMPUTE_PGM_RSRC2:TGID_Y_EN: 0
; COMPUTE_PGM_RSRC2:TGID_Z_EN: 0
; COMPUTE_PGM_RSRC2:TIDIG_COMP_CNT: 0
; COMPUTE_PGM_RSRC3_GFX90A:ACCUM_OFFSET: 0
; COMPUTE_PGM_RSRC3_GFX90A:TG_SPLIT: 0
	.section	.text._ZN7rocprim17ROCPRIM_400000_NS6detail17trampoline_kernelINS0_13select_configILj256ELj13ELNS0_17block_load_methodE3ELS4_3ELS4_3ELNS0_20block_scan_algorithmE0ELj4294967295EEENS1_25partition_config_selectorILNS1_17partition_subalgoE3EjNS0_10empty_typeEbEEZZNS1_14partition_implILS8_3ELb0ES6_jNS0_17counting_iteratorIjlEEPS9_SE_NS0_5tupleIJPjSE_EEENSF_IJSE_SE_EEES9_SG_JZNS1_25segmented_radix_sort_implINS0_14default_configELb0EPKlPlSM_SN_N2at6native12_GLOBAL__N_18offset_tEEE10hipError_tPvRmT1_PNSt15iterator_traitsISV_E10value_typeET2_T3_PNSW_IS11_E10value_typeET4_jRbjT5_S17_jjP12ihipStream_tbEUljE_EEESS_ST_SU_S11_S15_S17_T6_T7_T9_mT8_S19_bDpT10_ENKUlT_T0_E_clISt17integral_constantIbLb0EES1L_IbLb1EEEEDaS1H_S1I_EUlS1H_E_NS1_11comp_targetILNS1_3genE10ELNS1_11target_archE1200ELNS1_3gpuE4ELNS1_3repE0EEENS1_30default_config_static_selectorELNS0_4arch9wavefront6targetE1EEEvSV_,"axG",@progbits,_ZN7rocprim17ROCPRIM_400000_NS6detail17trampoline_kernelINS0_13select_configILj256ELj13ELNS0_17block_load_methodE3ELS4_3ELS4_3ELNS0_20block_scan_algorithmE0ELj4294967295EEENS1_25partition_config_selectorILNS1_17partition_subalgoE3EjNS0_10empty_typeEbEEZZNS1_14partition_implILS8_3ELb0ES6_jNS0_17counting_iteratorIjlEEPS9_SE_NS0_5tupleIJPjSE_EEENSF_IJSE_SE_EEES9_SG_JZNS1_25segmented_radix_sort_implINS0_14default_configELb0EPKlPlSM_SN_N2at6native12_GLOBAL__N_18offset_tEEE10hipError_tPvRmT1_PNSt15iterator_traitsISV_E10value_typeET2_T3_PNSW_IS11_E10value_typeET4_jRbjT5_S17_jjP12ihipStream_tbEUljE_EEESS_ST_SU_S11_S15_S17_T6_T7_T9_mT8_S19_bDpT10_ENKUlT_T0_E_clISt17integral_constantIbLb0EES1L_IbLb1EEEEDaS1H_S1I_EUlS1H_E_NS1_11comp_targetILNS1_3genE10ELNS1_11target_archE1200ELNS1_3gpuE4ELNS1_3repE0EEENS1_30default_config_static_selectorELNS0_4arch9wavefront6targetE1EEEvSV_,comdat
	.globl	_ZN7rocprim17ROCPRIM_400000_NS6detail17trampoline_kernelINS0_13select_configILj256ELj13ELNS0_17block_load_methodE3ELS4_3ELS4_3ELNS0_20block_scan_algorithmE0ELj4294967295EEENS1_25partition_config_selectorILNS1_17partition_subalgoE3EjNS0_10empty_typeEbEEZZNS1_14partition_implILS8_3ELb0ES6_jNS0_17counting_iteratorIjlEEPS9_SE_NS0_5tupleIJPjSE_EEENSF_IJSE_SE_EEES9_SG_JZNS1_25segmented_radix_sort_implINS0_14default_configELb0EPKlPlSM_SN_N2at6native12_GLOBAL__N_18offset_tEEE10hipError_tPvRmT1_PNSt15iterator_traitsISV_E10value_typeET2_T3_PNSW_IS11_E10value_typeET4_jRbjT5_S17_jjP12ihipStream_tbEUljE_EEESS_ST_SU_S11_S15_S17_T6_T7_T9_mT8_S19_bDpT10_ENKUlT_T0_E_clISt17integral_constantIbLb0EES1L_IbLb1EEEEDaS1H_S1I_EUlS1H_E_NS1_11comp_targetILNS1_3genE10ELNS1_11target_archE1200ELNS1_3gpuE4ELNS1_3repE0EEENS1_30default_config_static_selectorELNS0_4arch9wavefront6targetE1EEEvSV_ ; -- Begin function _ZN7rocprim17ROCPRIM_400000_NS6detail17trampoline_kernelINS0_13select_configILj256ELj13ELNS0_17block_load_methodE3ELS4_3ELS4_3ELNS0_20block_scan_algorithmE0ELj4294967295EEENS1_25partition_config_selectorILNS1_17partition_subalgoE3EjNS0_10empty_typeEbEEZZNS1_14partition_implILS8_3ELb0ES6_jNS0_17counting_iteratorIjlEEPS9_SE_NS0_5tupleIJPjSE_EEENSF_IJSE_SE_EEES9_SG_JZNS1_25segmented_radix_sort_implINS0_14default_configELb0EPKlPlSM_SN_N2at6native12_GLOBAL__N_18offset_tEEE10hipError_tPvRmT1_PNSt15iterator_traitsISV_E10value_typeET2_T3_PNSW_IS11_E10value_typeET4_jRbjT5_S17_jjP12ihipStream_tbEUljE_EEESS_ST_SU_S11_S15_S17_T6_T7_T9_mT8_S19_bDpT10_ENKUlT_T0_E_clISt17integral_constantIbLb0EES1L_IbLb1EEEEDaS1H_S1I_EUlS1H_E_NS1_11comp_targetILNS1_3genE10ELNS1_11target_archE1200ELNS1_3gpuE4ELNS1_3repE0EEENS1_30default_config_static_selectorELNS0_4arch9wavefront6targetE1EEEvSV_
	.p2align	8
	.type	_ZN7rocprim17ROCPRIM_400000_NS6detail17trampoline_kernelINS0_13select_configILj256ELj13ELNS0_17block_load_methodE3ELS4_3ELS4_3ELNS0_20block_scan_algorithmE0ELj4294967295EEENS1_25partition_config_selectorILNS1_17partition_subalgoE3EjNS0_10empty_typeEbEEZZNS1_14partition_implILS8_3ELb0ES6_jNS0_17counting_iteratorIjlEEPS9_SE_NS0_5tupleIJPjSE_EEENSF_IJSE_SE_EEES9_SG_JZNS1_25segmented_radix_sort_implINS0_14default_configELb0EPKlPlSM_SN_N2at6native12_GLOBAL__N_18offset_tEEE10hipError_tPvRmT1_PNSt15iterator_traitsISV_E10value_typeET2_T3_PNSW_IS11_E10value_typeET4_jRbjT5_S17_jjP12ihipStream_tbEUljE_EEESS_ST_SU_S11_S15_S17_T6_T7_T9_mT8_S19_bDpT10_ENKUlT_T0_E_clISt17integral_constantIbLb0EES1L_IbLb1EEEEDaS1H_S1I_EUlS1H_E_NS1_11comp_targetILNS1_3genE10ELNS1_11target_archE1200ELNS1_3gpuE4ELNS1_3repE0EEENS1_30default_config_static_selectorELNS0_4arch9wavefront6targetE1EEEvSV_,@function
_ZN7rocprim17ROCPRIM_400000_NS6detail17trampoline_kernelINS0_13select_configILj256ELj13ELNS0_17block_load_methodE3ELS4_3ELS4_3ELNS0_20block_scan_algorithmE0ELj4294967295EEENS1_25partition_config_selectorILNS1_17partition_subalgoE3EjNS0_10empty_typeEbEEZZNS1_14partition_implILS8_3ELb0ES6_jNS0_17counting_iteratorIjlEEPS9_SE_NS0_5tupleIJPjSE_EEENSF_IJSE_SE_EEES9_SG_JZNS1_25segmented_radix_sort_implINS0_14default_configELb0EPKlPlSM_SN_N2at6native12_GLOBAL__N_18offset_tEEE10hipError_tPvRmT1_PNSt15iterator_traitsISV_E10value_typeET2_T3_PNSW_IS11_E10value_typeET4_jRbjT5_S17_jjP12ihipStream_tbEUljE_EEESS_ST_SU_S11_S15_S17_T6_T7_T9_mT8_S19_bDpT10_ENKUlT_T0_E_clISt17integral_constantIbLb0EES1L_IbLb1EEEEDaS1H_S1I_EUlS1H_E_NS1_11comp_targetILNS1_3genE10ELNS1_11target_archE1200ELNS1_3gpuE4ELNS1_3repE0EEENS1_30default_config_static_selectorELNS0_4arch9wavefront6targetE1EEEvSV_: ; @_ZN7rocprim17ROCPRIM_400000_NS6detail17trampoline_kernelINS0_13select_configILj256ELj13ELNS0_17block_load_methodE3ELS4_3ELS4_3ELNS0_20block_scan_algorithmE0ELj4294967295EEENS1_25partition_config_selectorILNS1_17partition_subalgoE3EjNS0_10empty_typeEbEEZZNS1_14partition_implILS8_3ELb0ES6_jNS0_17counting_iteratorIjlEEPS9_SE_NS0_5tupleIJPjSE_EEENSF_IJSE_SE_EEES9_SG_JZNS1_25segmented_radix_sort_implINS0_14default_configELb0EPKlPlSM_SN_N2at6native12_GLOBAL__N_18offset_tEEE10hipError_tPvRmT1_PNSt15iterator_traitsISV_E10value_typeET2_T3_PNSW_IS11_E10value_typeET4_jRbjT5_S17_jjP12ihipStream_tbEUljE_EEESS_ST_SU_S11_S15_S17_T6_T7_T9_mT8_S19_bDpT10_ENKUlT_T0_E_clISt17integral_constantIbLb0EES1L_IbLb1EEEEDaS1H_S1I_EUlS1H_E_NS1_11comp_targetILNS1_3genE10ELNS1_11target_archE1200ELNS1_3gpuE4ELNS1_3repE0EEENS1_30default_config_static_selectorELNS0_4arch9wavefront6targetE1EEEvSV_
; %bb.0:
	.section	.rodata,"a",@progbits
	.p2align	6, 0x0
	.amdhsa_kernel _ZN7rocprim17ROCPRIM_400000_NS6detail17trampoline_kernelINS0_13select_configILj256ELj13ELNS0_17block_load_methodE3ELS4_3ELS4_3ELNS0_20block_scan_algorithmE0ELj4294967295EEENS1_25partition_config_selectorILNS1_17partition_subalgoE3EjNS0_10empty_typeEbEEZZNS1_14partition_implILS8_3ELb0ES6_jNS0_17counting_iteratorIjlEEPS9_SE_NS0_5tupleIJPjSE_EEENSF_IJSE_SE_EEES9_SG_JZNS1_25segmented_radix_sort_implINS0_14default_configELb0EPKlPlSM_SN_N2at6native12_GLOBAL__N_18offset_tEEE10hipError_tPvRmT1_PNSt15iterator_traitsISV_E10value_typeET2_T3_PNSW_IS11_E10value_typeET4_jRbjT5_S17_jjP12ihipStream_tbEUljE_EEESS_ST_SU_S11_S15_S17_T6_T7_T9_mT8_S19_bDpT10_ENKUlT_T0_E_clISt17integral_constantIbLb0EES1L_IbLb1EEEEDaS1H_S1I_EUlS1H_E_NS1_11comp_targetILNS1_3genE10ELNS1_11target_archE1200ELNS1_3gpuE4ELNS1_3repE0EEENS1_30default_config_static_selectorELNS0_4arch9wavefront6targetE1EEEvSV_
		.amdhsa_group_segment_fixed_size 0
		.amdhsa_private_segment_fixed_size 0
		.amdhsa_kernarg_size 152
		.amdhsa_user_sgpr_count 6
		.amdhsa_user_sgpr_private_segment_buffer 1
		.amdhsa_user_sgpr_dispatch_ptr 0
		.amdhsa_user_sgpr_queue_ptr 0
		.amdhsa_user_sgpr_kernarg_segment_ptr 1
		.amdhsa_user_sgpr_dispatch_id 0
		.amdhsa_user_sgpr_flat_scratch_init 0
		.amdhsa_user_sgpr_kernarg_preload_length 0
		.amdhsa_user_sgpr_kernarg_preload_offset 0
		.amdhsa_user_sgpr_private_segment_size 0
		.amdhsa_uses_dynamic_stack 0
		.amdhsa_system_sgpr_private_segment_wavefront_offset 0
		.amdhsa_system_sgpr_workgroup_id_x 1
		.amdhsa_system_sgpr_workgroup_id_y 0
		.amdhsa_system_sgpr_workgroup_id_z 0
		.amdhsa_system_sgpr_workgroup_info 0
		.amdhsa_system_vgpr_workitem_id 0
		.amdhsa_next_free_vgpr 1
		.amdhsa_next_free_sgpr 0
		.amdhsa_accum_offset 4
		.amdhsa_reserve_vcc 0
		.amdhsa_reserve_flat_scratch 0
		.amdhsa_float_round_mode_32 0
		.amdhsa_float_round_mode_16_64 0
		.amdhsa_float_denorm_mode_32 3
		.amdhsa_float_denorm_mode_16_64 3
		.amdhsa_dx10_clamp 1
		.amdhsa_ieee_mode 1
		.amdhsa_fp16_overflow 0
		.amdhsa_tg_split 0
		.amdhsa_exception_fp_ieee_invalid_op 0
		.amdhsa_exception_fp_denorm_src 0
		.amdhsa_exception_fp_ieee_div_zero 0
		.amdhsa_exception_fp_ieee_overflow 0
		.amdhsa_exception_fp_ieee_underflow 0
		.amdhsa_exception_fp_ieee_inexact 0
		.amdhsa_exception_int_div_zero 0
	.end_amdhsa_kernel
	.section	.text._ZN7rocprim17ROCPRIM_400000_NS6detail17trampoline_kernelINS0_13select_configILj256ELj13ELNS0_17block_load_methodE3ELS4_3ELS4_3ELNS0_20block_scan_algorithmE0ELj4294967295EEENS1_25partition_config_selectorILNS1_17partition_subalgoE3EjNS0_10empty_typeEbEEZZNS1_14partition_implILS8_3ELb0ES6_jNS0_17counting_iteratorIjlEEPS9_SE_NS0_5tupleIJPjSE_EEENSF_IJSE_SE_EEES9_SG_JZNS1_25segmented_radix_sort_implINS0_14default_configELb0EPKlPlSM_SN_N2at6native12_GLOBAL__N_18offset_tEEE10hipError_tPvRmT1_PNSt15iterator_traitsISV_E10value_typeET2_T3_PNSW_IS11_E10value_typeET4_jRbjT5_S17_jjP12ihipStream_tbEUljE_EEESS_ST_SU_S11_S15_S17_T6_T7_T9_mT8_S19_bDpT10_ENKUlT_T0_E_clISt17integral_constantIbLb0EES1L_IbLb1EEEEDaS1H_S1I_EUlS1H_E_NS1_11comp_targetILNS1_3genE10ELNS1_11target_archE1200ELNS1_3gpuE4ELNS1_3repE0EEENS1_30default_config_static_selectorELNS0_4arch9wavefront6targetE1EEEvSV_,"axG",@progbits,_ZN7rocprim17ROCPRIM_400000_NS6detail17trampoline_kernelINS0_13select_configILj256ELj13ELNS0_17block_load_methodE3ELS4_3ELS4_3ELNS0_20block_scan_algorithmE0ELj4294967295EEENS1_25partition_config_selectorILNS1_17partition_subalgoE3EjNS0_10empty_typeEbEEZZNS1_14partition_implILS8_3ELb0ES6_jNS0_17counting_iteratorIjlEEPS9_SE_NS0_5tupleIJPjSE_EEENSF_IJSE_SE_EEES9_SG_JZNS1_25segmented_radix_sort_implINS0_14default_configELb0EPKlPlSM_SN_N2at6native12_GLOBAL__N_18offset_tEEE10hipError_tPvRmT1_PNSt15iterator_traitsISV_E10value_typeET2_T3_PNSW_IS11_E10value_typeET4_jRbjT5_S17_jjP12ihipStream_tbEUljE_EEESS_ST_SU_S11_S15_S17_T6_T7_T9_mT8_S19_bDpT10_ENKUlT_T0_E_clISt17integral_constantIbLb0EES1L_IbLb1EEEEDaS1H_S1I_EUlS1H_E_NS1_11comp_targetILNS1_3genE10ELNS1_11target_archE1200ELNS1_3gpuE4ELNS1_3repE0EEENS1_30default_config_static_selectorELNS0_4arch9wavefront6targetE1EEEvSV_,comdat
.Lfunc_end804:
	.size	_ZN7rocprim17ROCPRIM_400000_NS6detail17trampoline_kernelINS0_13select_configILj256ELj13ELNS0_17block_load_methodE3ELS4_3ELS4_3ELNS0_20block_scan_algorithmE0ELj4294967295EEENS1_25partition_config_selectorILNS1_17partition_subalgoE3EjNS0_10empty_typeEbEEZZNS1_14partition_implILS8_3ELb0ES6_jNS0_17counting_iteratorIjlEEPS9_SE_NS0_5tupleIJPjSE_EEENSF_IJSE_SE_EEES9_SG_JZNS1_25segmented_radix_sort_implINS0_14default_configELb0EPKlPlSM_SN_N2at6native12_GLOBAL__N_18offset_tEEE10hipError_tPvRmT1_PNSt15iterator_traitsISV_E10value_typeET2_T3_PNSW_IS11_E10value_typeET4_jRbjT5_S17_jjP12ihipStream_tbEUljE_EEESS_ST_SU_S11_S15_S17_T6_T7_T9_mT8_S19_bDpT10_ENKUlT_T0_E_clISt17integral_constantIbLb0EES1L_IbLb1EEEEDaS1H_S1I_EUlS1H_E_NS1_11comp_targetILNS1_3genE10ELNS1_11target_archE1200ELNS1_3gpuE4ELNS1_3repE0EEENS1_30default_config_static_selectorELNS0_4arch9wavefront6targetE1EEEvSV_, .Lfunc_end804-_ZN7rocprim17ROCPRIM_400000_NS6detail17trampoline_kernelINS0_13select_configILj256ELj13ELNS0_17block_load_methodE3ELS4_3ELS4_3ELNS0_20block_scan_algorithmE0ELj4294967295EEENS1_25partition_config_selectorILNS1_17partition_subalgoE3EjNS0_10empty_typeEbEEZZNS1_14partition_implILS8_3ELb0ES6_jNS0_17counting_iteratorIjlEEPS9_SE_NS0_5tupleIJPjSE_EEENSF_IJSE_SE_EEES9_SG_JZNS1_25segmented_radix_sort_implINS0_14default_configELb0EPKlPlSM_SN_N2at6native12_GLOBAL__N_18offset_tEEE10hipError_tPvRmT1_PNSt15iterator_traitsISV_E10value_typeET2_T3_PNSW_IS11_E10value_typeET4_jRbjT5_S17_jjP12ihipStream_tbEUljE_EEESS_ST_SU_S11_S15_S17_T6_T7_T9_mT8_S19_bDpT10_ENKUlT_T0_E_clISt17integral_constantIbLb0EES1L_IbLb1EEEEDaS1H_S1I_EUlS1H_E_NS1_11comp_targetILNS1_3genE10ELNS1_11target_archE1200ELNS1_3gpuE4ELNS1_3repE0EEENS1_30default_config_static_selectorELNS0_4arch9wavefront6targetE1EEEvSV_
                                        ; -- End function
	.section	.AMDGPU.csdata,"",@progbits
; Kernel info:
; codeLenInByte = 0
; NumSgprs: 4
; NumVgprs: 0
; NumAgprs: 0
; TotalNumVgprs: 0
; ScratchSize: 0
; MemoryBound: 0
; FloatMode: 240
; IeeeMode: 1
; LDSByteSize: 0 bytes/workgroup (compile time only)
; SGPRBlocks: 0
; VGPRBlocks: 0
; NumSGPRsForWavesPerEU: 4
; NumVGPRsForWavesPerEU: 1
; AccumOffset: 4
; Occupancy: 8
; WaveLimiterHint : 0
; COMPUTE_PGM_RSRC2:SCRATCH_EN: 0
; COMPUTE_PGM_RSRC2:USER_SGPR: 6
; COMPUTE_PGM_RSRC2:TRAP_HANDLER: 0
; COMPUTE_PGM_RSRC2:TGID_X_EN: 1
; COMPUTE_PGM_RSRC2:TGID_Y_EN: 0
; COMPUTE_PGM_RSRC2:TGID_Z_EN: 0
; COMPUTE_PGM_RSRC2:TIDIG_COMP_CNT: 0
; COMPUTE_PGM_RSRC3_GFX90A:ACCUM_OFFSET: 0
; COMPUTE_PGM_RSRC3_GFX90A:TG_SPLIT: 0
	.section	.text._ZN7rocprim17ROCPRIM_400000_NS6detail17trampoline_kernelINS0_13select_configILj256ELj13ELNS0_17block_load_methodE3ELS4_3ELS4_3ELNS0_20block_scan_algorithmE0ELj4294967295EEENS1_25partition_config_selectorILNS1_17partition_subalgoE3EjNS0_10empty_typeEbEEZZNS1_14partition_implILS8_3ELb0ES6_jNS0_17counting_iteratorIjlEEPS9_SE_NS0_5tupleIJPjSE_EEENSF_IJSE_SE_EEES9_SG_JZNS1_25segmented_radix_sort_implINS0_14default_configELb0EPKlPlSM_SN_N2at6native12_GLOBAL__N_18offset_tEEE10hipError_tPvRmT1_PNSt15iterator_traitsISV_E10value_typeET2_T3_PNSW_IS11_E10value_typeET4_jRbjT5_S17_jjP12ihipStream_tbEUljE_EEESS_ST_SU_S11_S15_S17_T6_T7_T9_mT8_S19_bDpT10_ENKUlT_T0_E_clISt17integral_constantIbLb0EES1L_IbLb1EEEEDaS1H_S1I_EUlS1H_E_NS1_11comp_targetILNS1_3genE9ELNS1_11target_archE1100ELNS1_3gpuE3ELNS1_3repE0EEENS1_30default_config_static_selectorELNS0_4arch9wavefront6targetE1EEEvSV_,"axG",@progbits,_ZN7rocprim17ROCPRIM_400000_NS6detail17trampoline_kernelINS0_13select_configILj256ELj13ELNS0_17block_load_methodE3ELS4_3ELS4_3ELNS0_20block_scan_algorithmE0ELj4294967295EEENS1_25partition_config_selectorILNS1_17partition_subalgoE3EjNS0_10empty_typeEbEEZZNS1_14partition_implILS8_3ELb0ES6_jNS0_17counting_iteratorIjlEEPS9_SE_NS0_5tupleIJPjSE_EEENSF_IJSE_SE_EEES9_SG_JZNS1_25segmented_radix_sort_implINS0_14default_configELb0EPKlPlSM_SN_N2at6native12_GLOBAL__N_18offset_tEEE10hipError_tPvRmT1_PNSt15iterator_traitsISV_E10value_typeET2_T3_PNSW_IS11_E10value_typeET4_jRbjT5_S17_jjP12ihipStream_tbEUljE_EEESS_ST_SU_S11_S15_S17_T6_T7_T9_mT8_S19_bDpT10_ENKUlT_T0_E_clISt17integral_constantIbLb0EES1L_IbLb1EEEEDaS1H_S1I_EUlS1H_E_NS1_11comp_targetILNS1_3genE9ELNS1_11target_archE1100ELNS1_3gpuE3ELNS1_3repE0EEENS1_30default_config_static_selectorELNS0_4arch9wavefront6targetE1EEEvSV_,comdat
	.globl	_ZN7rocprim17ROCPRIM_400000_NS6detail17trampoline_kernelINS0_13select_configILj256ELj13ELNS0_17block_load_methodE3ELS4_3ELS4_3ELNS0_20block_scan_algorithmE0ELj4294967295EEENS1_25partition_config_selectorILNS1_17partition_subalgoE3EjNS0_10empty_typeEbEEZZNS1_14partition_implILS8_3ELb0ES6_jNS0_17counting_iteratorIjlEEPS9_SE_NS0_5tupleIJPjSE_EEENSF_IJSE_SE_EEES9_SG_JZNS1_25segmented_radix_sort_implINS0_14default_configELb0EPKlPlSM_SN_N2at6native12_GLOBAL__N_18offset_tEEE10hipError_tPvRmT1_PNSt15iterator_traitsISV_E10value_typeET2_T3_PNSW_IS11_E10value_typeET4_jRbjT5_S17_jjP12ihipStream_tbEUljE_EEESS_ST_SU_S11_S15_S17_T6_T7_T9_mT8_S19_bDpT10_ENKUlT_T0_E_clISt17integral_constantIbLb0EES1L_IbLb1EEEEDaS1H_S1I_EUlS1H_E_NS1_11comp_targetILNS1_3genE9ELNS1_11target_archE1100ELNS1_3gpuE3ELNS1_3repE0EEENS1_30default_config_static_selectorELNS0_4arch9wavefront6targetE1EEEvSV_ ; -- Begin function _ZN7rocprim17ROCPRIM_400000_NS6detail17trampoline_kernelINS0_13select_configILj256ELj13ELNS0_17block_load_methodE3ELS4_3ELS4_3ELNS0_20block_scan_algorithmE0ELj4294967295EEENS1_25partition_config_selectorILNS1_17partition_subalgoE3EjNS0_10empty_typeEbEEZZNS1_14partition_implILS8_3ELb0ES6_jNS0_17counting_iteratorIjlEEPS9_SE_NS0_5tupleIJPjSE_EEENSF_IJSE_SE_EEES9_SG_JZNS1_25segmented_radix_sort_implINS0_14default_configELb0EPKlPlSM_SN_N2at6native12_GLOBAL__N_18offset_tEEE10hipError_tPvRmT1_PNSt15iterator_traitsISV_E10value_typeET2_T3_PNSW_IS11_E10value_typeET4_jRbjT5_S17_jjP12ihipStream_tbEUljE_EEESS_ST_SU_S11_S15_S17_T6_T7_T9_mT8_S19_bDpT10_ENKUlT_T0_E_clISt17integral_constantIbLb0EES1L_IbLb1EEEEDaS1H_S1I_EUlS1H_E_NS1_11comp_targetILNS1_3genE9ELNS1_11target_archE1100ELNS1_3gpuE3ELNS1_3repE0EEENS1_30default_config_static_selectorELNS0_4arch9wavefront6targetE1EEEvSV_
	.p2align	8
	.type	_ZN7rocprim17ROCPRIM_400000_NS6detail17trampoline_kernelINS0_13select_configILj256ELj13ELNS0_17block_load_methodE3ELS4_3ELS4_3ELNS0_20block_scan_algorithmE0ELj4294967295EEENS1_25partition_config_selectorILNS1_17partition_subalgoE3EjNS0_10empty_typeEbEEZZNS1_14partition_implILS8_3ELb0ES6_jNS0_17counting_iteratorIjlEEPS9_SE_NS0_5tupleIJPjSE_EEENSF_IJSE_SE_EEES9_SG_JZNS1_25segmented_radix_sort_implINS0_14default_configELb0EPKlPlSM_SN_N2at6native12_GLOBAL__N_18offset_tEEE10hipError_tPvRmT1_PNSt15iterator_traitsISV_E10value_typeET2_T3_PNSW_IS11_E10value_typeET4_jRbjT5_S17_jjP12ihipStream_tbEUljE_EEESS_ST_SU_S11_S15_S17_T6_T7_T9_mT8_S19_bDpT10_ENKUlT_T0_E_clISt17integral_constantIbLb0EES1L_IbLb1EEEEDaS1H_S1I_EUlS1H_E_NS1_11comp_targetILNS1_3genE9ELNS1_11target_archE1100ELNS1_3gpuE3ELNS1_3repE0EEENS1_30default_config_static_selectorELNS0_4arch9wavefront6targetE1EEEvSV_,@function
_ZN7rocprim17ROCPRIM_400000_NS6detail17trampoline_kernelINS0_13select_configILj256ELj13ELNS0_17block_load_methodE3ELS4_3ELS4_3ELNS0_20block_scan_algorithmE0ELj4294967295EEENS1_25partition_config_selectorILNS1_17partition_subalgoE3EjNS0_10empty_typeEbEEZZNS1_14partition_implILS8_3ELb0ES6_jNS0_17counting_iteratorIjlEEPS9_SE_NS0_5tupleIJPjSE_EEENSF_IJSE_SE_EEES9_SG_JZNS1_25segmented_radix_sort_implINS0_14default_configELb0EPKlPlSM_SN_N2at6native12_GLOBAL__N_18offset_tEEE10hipError_tPvRmT1_PNSt15iterator_traitsISV_E10value_typeET2_T3_PNSW_IS11_E10value_typeET4_jRbjT5_S17_jjP12ihipStream_tbEUljE_EEESS_ST_SU_S11_S15_S17_T6_T7_T9_mT8_S19_bDpT10_ENKUlT_T0_E_clISt17integral_constantIbLb0EES1L_IbLb1EEEEDaS1H_S1I_EUlS1H_E_NS1_11comp_targetILNS1_3genE9ELNS1_11target_archE1100ELNS1_3gpuE3ELNS1_3repE0EEENS1_30default_config_static_selectorELNS0_4arch9wavefront6targetE1EEEvSV_: ; @_ZN7rocprim17ROCPRIM_400000_NS6detail17trampoline_kernelINS0_13select_configILj256ELj13ELNS0_17block_load_methodE3ELS4_3ELS4_3ELNS0_20block_scan_algorithmE0ELj4294967295EEENS1_25partition_config_selectorILNS1_17partition_subalgoE3EjNS0_10empty_typeEbEEZZNS1_14partition_implILS8_3ELb0ES6_jNS0_17counting_iteratorIjlEEPS9_SE_NS0_5tupleIJPjSE_EEENSF_IJSE_SE_EEES9_SG_JZNS1_25segmented_radix_sort_implINS0_14default_configELb0EPKlPlSM_SN_N2at6native12_GLOBAL__N_18offset_tEEE10hipError_tPvRmT1_PNSt15iterator_traitsISV_E10value_typeET2_T3_PNSW_IS11_E10value_typeET4_jRbjT5_S17_jjP12ihipStream_tbEUljE_EEESS_ST_SU_S11_S15_S17_T6_T7_T9_mT8_S19_bDpT10_ENKUlT_T0_E_clISt17integral_constantIbLb0EES1L_IbLb1EEEEDaS1H_S1I_EUlS1H_E_NS1_11comp_targetILNS1_3genE9ELNS1_11target_archE1100ELNS1_3gpuE3ELNS1_3repE0EEENS1_30default_config_static_selectorELNS0_4arch9wavefront6targetE1EEEvSV_
; %bb.0:
	.section	.rodata,"a",@progbits
	.p2align	6, 0x0
	.amdhsa_kernel _ZN7rocprim17ROCPRIM_400000_NS6detail17trampoline_kernelINS0_13select_configILj256ELj13ELNS0_17block_load_methodE3ELS4_3ELS4_3ELNS0_20block_scan_algorithmE0ELj4294967295EEENS1_25partition_config_selectorILNS1_17partition_subalgoE3EjNS0_10empty_typeEbEEZZNS1_14partition_implILS8_3ELb0ES6_jNS0_17counting_iteratorIjlEEPS9_SE_NS0_5tupleIJPjSE_EEENSF_IJSE_SE_EEES9_SG_JZNS1_25segmented_radix_sort_implINS0_14default_configELb0EPKlPlSM_SN_N2at6native12_GLOBAL__N_18offset_tEEE10hipError_tPvRmT1_PNSt15iterator_traitsISV_E10value_typeET2_T3_PNSW_IS11_E10value_typeET4_jRbjT5_S17_jjP12ihipStream_tbEUljE_EEESS_ST_SU_S11_S15_S17_T6_T7_T9_mT8_S19_bDpT10_ENKUlT_T0_E_clISt17integral_constantIbLb0EES1L_IbLb1EEEEDaS1H_S1I_EUlS1H_E_NS1_11comp_targetILNS1_3genE9ELNS1_11target_archE1100ELNS1_3gpuE3ELNS1_3repE0EEENS1_30default_config_static_selectorELNS0_4arch9wavefront6targetE1EEEvSV_
		.amdhsa_group_segment_fixed_size 0
		.amdhsa_private_segment_fixed_size 0
		.amdhsa_kernarg_size 152
		.amdhsa_user_sgpr_count 6
		.amdhsa_user_sgpr_private_segment_buffer 1
		.amdhsa_user_sgpr_dispatch_ptr 0
		.amdhsa_user_sgpr_queue_ptr 0
		.amdhsa_user_sgpr_kernarg_segment_ptr 1
		.amdhsa_user_sgpr_dispatch_id 0
		.amdhsa_user_sgpr_flat_scratch_init 0
		.amdhsa_user_sgpr_kernarg_preload_length 0
		.amdhsa_user_sgpr_kernarg_preload_offset 0
		.amdhsa_user_sgpr_private_segment_size 0
		.amdhsa_uses_dynamic_stack 0
		.amdhsa_system_sgpr_private_segment_wavefront_offset 0
		.amdhsa_system_sgpr_workgroup_id_x 1
		.amdhsa_system_sgpr_workgroup_id_y 0
		.amdhsa_system_sgpr_workgroup_id_z 0
		.amdhsa_system_sgpr_workgroup_info 0
		.amdhsa_system_vgpr_workitem_id 0
		.amdhsa_next_free_vgpr 1
		.amdhsa_next_free_sgpr 0
		.amdhsa_accum_offset 4
		.amdhsa_reserve_vcc 0
		.amdhsa_reserve_flat_scratch 0
		.amdhsa_float_round_mode_32 0
		.amdhsa_float_round_mode_16_64 0
		.amdhsa_float_denorm_mode_32 3
		.amdhsa_float_denorm_mode_16_64 3
		.amdhsa_dx10_clamp 1
		.amdhsa_ieee_mode 1
		.amdhsa_fp16_overflow 0
		.amdhsa_tg_split 0
		.amdhsa_exception_fp_ieee_invalid_op 0
		.amdhsa_exception_fp_denorm_src 0
		.amdhsa_exception_fp_ieee_div_zero 0
		.amdhsa_exception_fp_ieee_overflow 0
		.amdhsa_exception_fp_ieee_underflow 0
		.amdhsa_exception_fp_ieee_inexact 0
		.amdhsa_exception_int_div_zero 0
	.end_amdhsa_kernel
	.section	.text._ZN7rocprim17ROCPRIM_400000_NS6detail17trampoline_kernelINS0_13select_configILj256ELj13ELNS0_17block_load_methodE3ELS4_3ELS4_3ELNS0_20block_scan_algorithmE0ELj4294967295EEENS1_25partition_config_selectorILNS1_17partition_subalgoE3EjNS0_10empty_typeEbEEZZNS1_14partition_implILS8_3ELb0ES6_jNS0_17counting_iteratorIjlEEPS9_SE_NS0_5tupleIJPjSE_EEENSF_IJSE_SE_EEES9_SG_JZNS1_25segmented_radix_sort_implINS0_14default_configELb0EPKlPlSM_SN_N2at6native12_GLOBAL__N_18offset_tEEE10hipError_tPvRmT1_PNSt15iterator_traitsISV_E10value_typeET2_T3_PNSW_IS11_E10value_typeET4_jRbjT5_S17_jjP12ihipStream_tbEUljE_EEESS_ST_SU_S11_S15_S17_T6_T7_T9_mT8_S19_bDpT10_ENKUlT_T0_E_clISt17integral_constantIbLb0EES1L_IbLb1EEEEDaS1H_S1I_EUlS1H_E_NS1_11comp_targetILNS1_3genE9ELNS1_11target_archE1100ELNS1_3gpuE3ELNS1_3repE0EEENS1_30default_config_static_selectorELNS0_4arch9wavefront6targetE1EEEvSV_,"axG",@progbits,_ZN7rocprim17ROCPRIM_400000_NS6detail17trampoline_kernelINS0_13select_configILj256ELj13ELNS0_17block_load_methodE3ELS4_3ELS4_3ELNS0_20block_scan_algorithmE0ELj4294967295EEENS1_25partition_config_selectorILNS1_17partition_subalgoE3EjNS0_10empty_typeEbEEZZNS1_14partition_implILS8_3ELb0ES6_jNS0_17counting_iteratorIjlEEPS9_SE_NS0_5tupleIJPjSE_EEENSF_IJSE_SE_EEES9_SG_JZNS1_25segmented_radix_sort_implINS0_14default_configELb0EPKlPlSM_SN_N2at6native12_GLOBAL__N_18offset_tEEE10hipError_tPvRmT1_PNSt15iterator_traitsISV_E10value_typeET2_T3_PNSW_IS11_E10value_typeET4_jRbjT5_S17_jjP12ihipStream_tbEUljE_EEESS_ST_SU_S11_S15_S17_T6_T7_T9_mT8_S19_bDpT10_ENKUlT_T0_E_clISt17integral_constantIbLb0EES1L_IbLb1EEEEDaS1H_S1I_EUlS1H_E_NS1_11comp_targetILNS1_3genE9ELNS1_11target_archE1100ELNS1_3gpuE3ELNS1_3repE0EEENS1_30default_config_static_selectorELNS0_4arch9wavefront6targetE1EEEvSV_,comdat
.Lfunc_end805:
	.size	_ZN7rocprim17ROCPRIM_400000_NS6detail17trampoline_kernelINS0_13select_configILj256ELj13ELNS0_17block_load_methodE3ELS4_3ELS4_3ELNS0_20block_scan_algorithmE0ELj4294967295EEENS1_25partition_config_selectorILNS1_17partition_subalgoE3EjNS0_10empty_typeEbEEZZNS1_14partition_implILS8_3ELb0ES6_jNS0_17counting_iteratorIjlEEPS9_SE_NS0_5tupleIJPjSE_EEENSF_IJSE_SE_EEES9_SG_JZNS1_25segmented_radix_sort_implINS0_14default_configELb0EPKlPlSM_SN_N2at6native12_GLOBAL__N_18offset_tEEE10hipError_tPvRmT1_PNSt15iterator_traitsISV_E10value_typeET2_T3_PNSW_IS11_E10value_typeET4_jRbjT5_S17_jjP12ihipStream_tbEUljE_EEESS_ST_SU_S11_S15_S17_T6_T7_T9_mT8_S19_bDpT10_ENKUlT_T0_E_clISt17integral_constantIbLb0EES1L_IbLb1EEEEDaS1H_S1I_EUlS1H_E_NS1_11comp_targetILNS1_3genE9ELNS1_11target_archE1100ELNS1_3gpuE3ELNS1_3repE0EEENS1_30default_config_static_selectorELNS0_4arch9wavefront6targetE1EEEvSV_, .Lfunc_end805-_ZN7rocprim17ROCPRIM_400000_NS6detail17trampoline_kernelINS0_13select_configILj256ELj13ELNS0_17block_load_methodE3ELS4_3ELS4_3ELNS0_20block_scan_algorithmE0ELj4294967295EEENS1_25partition_config_selectorILNS1_17partition_subalgoE3EjNS0_10empty_typeEbEEZZNS1_14partition_implILS8_3ELb0ES6_jNS0_17counting_iteratorIjlEEPS9_SE_NS0_5tupleIJPjSE_EEENSF_IJSE_SE_EEES9_SG_JZNS1_25segmented_radix_sort_implINS0_14default_configELb0EPKlPlSM_SN_N2at6native12_GLOBAL__N_18offset_tEEE10hipError_tPvRmT1_PNSt15iterator_traitsISV_E10value_typeET2_T3_PNSW_IS11_E10value_typeET4_jRbjT5_S17_jjP12ihipStream_tbEUljE_EEESS_ST_SU_S11_S15_S17_T6_T7_T9_mT8_S19_bDpT10_ENKUlT_T0_E_clISt17integral_constantIbLb0EES1L_IbLb1EEEEDaS1H_S1I_EUlS1H_E_NS1_11comp_targetILNS1_3genE9ELNS1_11target_archE1100ELNS1_3gpuE3ELNS1_3repE0EEENS1_30default_config_static_selectorELNS0_4arch9wavefront6targetE1EEEvSV_
                                        ; -- End function
	.section	.AMDGPU.csdata,"",@progbits
; Kernel info:
; codeLenInByte = 0
; NumSgprs: 4
; NumVgprs: 0
; NumAgprs: 0
; TotalNumVgprs: 0
; ScratchSize: 0
; MemoryBound: 0
; FloatMode: 240
; IeeeMode: 1
; LDSByteSize: 0 bytes/workgroup (compile time only)
; SGPRBlocks: 0
; VGPRBlocks: 0
; NumSGPRsForWavesPerEU: 4
; NumVGPRsForWavesPerEU: 1
; AccumOffset: 4
; Occupancy: 8
; WaveLimiterHint : 0
; COMPUTE_PGM_RSRC2:SCRATCH_EN: 0
; COMPUTE_PGM_RSRC2:USER_SGPR: 6
; COMPUTE_PGM_RSRC2:TRAP_HANDLER: 0
; COMPUTE_PGM_RSRC2:TGID_X_EN: 1
; COMPUTE_PGM_RSRC2:TGID_Y_EN: 0
; COMPUTE_PGM_RSRC2:TGID_Z_EN: 0
; COMPUTE_PGM_RSRC2:TIDIG_COMP_CNT: 0
; COMPUTE_PGM_RSRC3_GFX90A:ACCUM_OFFSET: 0
; COMPUTE_PGM_RSRC3_GFX90A:TG_SPLIT: 0
	.section	.text._ZN7rocprim17ROCPRIM_400000_NS6detail17trampoline_kernelINS0_13select_configILj256ELj13ELNS0_17block_load_methodE3ELS4_3ELS4_3ELNS0_20block_scan_algorithmE0ELj4294967295EEENS1_25partition_config_selectorILNS1_17partition_subalgoE3EjNS0_10empty_typeEbEEZZNS1_14partition_implILS8_3ELb0ES6_jNS0_17counting_iteratorIjlEEPS9_SE_NS0_5tupleIJPjSE_EEENSF_IJSE_SE_EEES9_SG_JZNS1_25segmented_radix_sort_implINS0_14default_configELb0EPKlPlSM_SN_N2at6native12_GLOBAL__N_18offset_tEEE10hipError_tPvRmT1_PNSt15iterator_traitsISV_E10value_typeET2_T3_PNSW_IS11_E10value_typeET4_jRbjT5_S17_jjP12ihipStream_tbEUljE_EEESS_ST_SU_S11_S15_S17_T6_T7_T9_mT8_S19_bDpT10_ENKUlT_T0_E_clISt17integral_constantIbLb0EES1L_IbLb1EEEEDaS1H_S1I_EUlS1H_E_NS1_11comp_targetILNS1_3genE8ELNS1_11target_archE1030ELNS1_3gpuE2ELNS1_3repE0EEENS1_30default_config_static_selectorELNS0_4arch9wavefront6targetE1EEEvSV_,"axG",@progbits,_ZN7rocprim17ROCPRIM_400000_NS6detail17trampoline_kernelINS0_13select_configILj256ELj13ELNS0_17block_load_methodE3ELS4_3ELS4_3ELNS0_20block_scan_algorithmE0ELj4294967295EEENS1_25partition_config_selectorILNS1_17partition_subalgoE3EjNS0_10empty_typeEbEEZZNS1_14partition_implILS8_3ELb0ES6_jNS0_17counting_iteratorIjlEEPS9_SE_NS0_5tupleIJPjSE_EEENSF_IJSE_SE_EEES9_SG_JZNS1_25segmented_radix_sort_implINS0_14default_configELb0EPKlPlSM_SN_N2at6native12_GLOBAL__N_18offset_tEEE10hipError_tPvRmT1_PNSt15iterator_traitsISV_E10value_typeET2_T3_PNSW_IS11_E10value_typeET4_jRbjT5_S17_jjP12ihipStream_tbEUljE_EEESS_ST_SU_S11_S15_S17_T6_T7_T9_mT8_S19_bDpT10_ENKUlT_T0_E_clISt17integral_constantIbLb0EES1L_IbLb1EEEEDaS1H_S1I_EUlS1H_E_NS1_11comp_targetILNS1_3genE8ELNS1_11target_archE1030ELNS1_3gpuE2ELNS1_3repE0EEENS1_30default_config_static_selectorELNS0_4arch9wavefront6targetE1EEEvSV_,comdat
	.globl	_ZN7rocprim17ROCPRIM_400000_NS6detail17trampoline_kernelINS0_13select_configILj256ELj13ELNS0_17block_load_methodE3ELS4_3ELS4_3ELNS0_20block_scan_algorithmE0ELj4294967295EEENS1_25partition_config_selectorILNS1_17partition_subalgoE3EjNS0_10empty_typeEbEEZZNS1_14partition_implILS8_3ELb0ES6_jNS0_17counting_iteratorIjlEEPS9_SE_NS0_5tupleIJPjSE_EEENSF_IJSE_SE_EEES9_SG_JZNS1_25segmented_radix_sort_implINS0_14default_configELb0EPKlPlSM_SN_N2at6native12_GLOBAL__N_18offset_tEEE10hipError_tPvRmT1_PNSt15iterator_traitsISV_E10value_typeET2_T3_PNSW_IS11_E10value_typeET4_jRbjT5_S17_jjP12ihipStream_tbEUljE_EEESS_ST_SU_S11_S15_S17_T6_T7_T9_mT8_S19_bDpT10_ENKUlT_T0_E_clISt17integral_constantIbLb0EES1L_IbLb1EEEEDaS1H_S1I_EUlS1H_E_NS1_11comp_targetILNS1_3genE8ELNS1_11target_archE1030ELNS1_3gpuE2ELNS1_3repE0EEENS1_30default_config_static_selectorELNS0_4arch9wavefront6targetE1EEEvSV_ ; -- Begin function _ZN7rocprim17ROCPRIM_400000_NS6detail17trampoline_kernelINS0_13select_configILj256ELj13ELNS0_17block_load_methodE3ELS4_3ELS4_3ELNS0_20block_scan_algorithmE0ELj4294967295EEENS1_25partition_config_selectorILNS1_17partition_subalgoE3EjNS0_10empty_typeEbEEZZNS1_14partition_implILS8_3ELb0ES6_jNS0_17counting_iteratorIjlEEPS9_SE_NS0_5tupleIJPjSE_EEENSF_IJSE_SE_EEES9_SG_JZNS1_25segmented_radix_sort_implINS0_14default_configELb0EPKlPlSM_SN_N2at6native12_GLOBAL__N_18offset_tEEE10hipError_tPvRmT1_PNSt15iterator_traitsISV_E10value_typeET2_T3_PNSW_IS11_E10value_typeET4_jRbjT5_S17_jjP12ihipStream_tbEUljE_EEESS_ST_SU_S11_S15_S17_T6_T7_T9_mT8_S19_bDpT10_ENKUlT_T0_E_clISt17integral_constantIbLb0EES1L_IbLb1EEEEDaS1H_S1I_EUlS1H_E_NS1_11comp_targetILNS1_3genE8ELNS1_11target_archE1030ELNS1_3gpuE2ELNS1_3repE0EEENS1_30default_config_static_selectorELNS0_4arch9wavefront6targetE1EEEvSV_
	.p2align	8
	.type	_ZN7rocprim17ROCPRIM_400000_NS6detail17trampoline_kernelINS0_13select_configILj256ELj13ELNS0_17block_load_methodE3ELS4_3ELS4_3ELNS0_20block_scan_algorithmE0ELj4294967295EEENS1_25partition_config_selectorILNS1_17partition_subalgoE3EjNS0_10empty_typeEbEEZZNS1_14partition_implILS8_3ELb0ES6_jNS0_17counting_iteratorIjlEEPS9_SE_NS0_5tupleIJPjSE_EEENSF_IJSE_SE_EEES9_SG_JZNS1_25segmented_radix_sort_implINS0_14default_configELb0EPKlPlSM_SN_N2at6native12_GLOBAL__N_18offset_tEEE10hipError_tPvRmT1_PNSt15iterator_traitsISV_E10value_typeET2_T3_PNSW_IS11_E10value_typeET4_jRbjT5_S17_jjP12ihipStream_tbEUljE_EEESS_ST_SU_S11_S15_S17_T6_T7_T9_mT8_S19_bDpT10_ENKUlT_T0_E_clISt17integral_constantIbLb0EES1L_IbLb1EEEEDaS1H_S1I_EUlS1H_E_NS1_11comp_targetILNS1_3genE8ELNS1_11target_archE1030ELNS1_3gpuE2ELNS1_3repE0EEENS1_30default_config_static_selectorELNS0_4arch9wavefront6targetE1EEEvSV_,@function
_ZN7rocprim17ROCPRIM_400000_NS6detail17trampoline_kernelINS0_13select_configILj256ELj13ELNS0_17block_load_methodE3ELS4_3ELS4_3ELNS0_20block_scan_algorithmE0ELj4294967295EEENS1_25partition_config_selectorILNS1_17partition_subalgoE3EjNS0_10empty_typeEbEEZZNS1_14partition_implILS8_3ELb0ES6_jNS0_17counting_iteratorIjlEEPS9_SE_NS0_5tupleIJPjSE_EEENSF_IJSE_SE_EEES9_SG_JZNS1_25segmented_radix_sort_implINS0_14default_configELb0EPKlPlSM_SN_N2at6native12_GLOBAL__N_18offset_tEEE10hipError_tPvRmT1_PNSt15iterator_traitsISV_E10value_typeET2_T3_PNSW_IS11_E10value_typeET4_jRbjT5_S17_jjP12ihipStream_tbEUljE_EEESS_ST_SU_S11_S15_S17_T6_T7_T9_mT8_S19_bDpT10_ENKUlT_T0_E_clISt17integral_constantIbLb0EES1L_IbLb1EEEEDaS1H_S1I_EUlS1H_E_NS1_11comp_targetILNS1_3genE8ELNS1_11target_archE1030ELNS1_3gpuE2ELNS1_3repE0EEENS1_30default_config_static_selectorELNS0_4arch9wavefront6targetE1EEEvSV_: ; @_ZN7rocprim17ROCPRIM_400000_NS6detail17trampoline_kernelINS0_13select_configILj256ELj13ELNS0_17block_load_methodE3ELS4_3ELS4_3ELNS0_20block_scan_algorithmE0ELj4294967295EEENS1_25partition_config_selectorILNS1_17partition_subalgoE3EjNS0_10empty_typeEbEEZZNS1_14partition_implILS8_3ELb0ES6_jNS0_17counting_iteratorIjlEEPS9_SE_NS0_5tupleIJPjSE_EEENSF_IJSE_SE_EEES9_SG_JZNS1_25segmented_radix_sort_implINS0_14default_configELb0EPKlPlSM_SN_N2at6native12_GLOBAL__N_18offset_tEEE10hipError_tPvRmT1_PNSt15iterator_traitsISV_E10value_typeET2_T3_PNSW_IS11_E10value_typeET4_jRbjT5_S17_jjP12ihipStream_tbEUljE_EEESS_ST_SU_S11_S15_S17_T6_T7_T9_mT8_S19_bDpT10_ENKUlT_T0_E_clISt17integral_constantIbLb0EES1L_IbLb1EEEEDaS1H_S1I_EUlS1H_E_NS1_11comp_targetILNS1_3genE8ELNS1_11target_archE1030ELNS1_3gpuE2ELNS1_3repE0EEENS1_30default_config_static_selectorELNS0_4arch9wavefront6targetE1EEEvSV_
; %bb.0:
	.section	.rodata,"a",@progbits
	.p2align	6, 0x0
	.amdhsa_kernel _ZN7rocprim17ROCPRIM_400000_NS6detail17trampoline_kernelINS0_13select_configILj256ELj13ELNS0_17block_load_methodE3ELS4_3ELS4_3ELNS0_20block_scan_algorithmE0ELj4294967295EEENS1_25partition_config_selectorILNS1_17partition_subalgoE3EjNS0_10empty_typeEbEEZZNS1_14partition_implILS8_3ELb0ES6_jNS0_17counting_iteratorIjlEEPS9_SE_NS0_5tupleIJPjSE_EEENSF_IJSE_SE_EEES9_SG_JZNS1_25segmented_radix_sort_implINS0_14default_configELb0EPKlPlSM_SN_N2at6native12_GLOBAL__N_18offset_tEEE10hipError_tPvRmT1_PNSt15iterator_traitsISV_E10value_typeET2_T3_PNSW_IS11_E10value_typeET4_jRbjT5_S17_jjP12ihipStream_tbEUljE_EEESS_ST_SU_S11_S15_S17_T6_T7_T9_mT8_S19_bDpT10_ENKUlT_T0_E_clISt17integral_constantIbLb0EES1L_IbLb1EEEEDaS1H_S1I_EUlS1H_E_NS1_11comp_targetILNS1_3genE8ELNS1_11target_archE1030ELNS1_3gpuE2ELNS1_3repE0EEENS1_30default_config_static_selectorELNS0_4arch9wavefront6targetE1EEEvSV_
		.amdhsa_group_segment_fixed_size 0
		.amdhsa_private_segment_fixed_size 0
		.amdhsa_kernarg_size 152
		.amdhsa_user_sgpr_count 6
		.amdhsa_user_sgpr_private_segment_buffer 1
		.amdhsa_user_sgpr_dispatch_ptr 0
		.amdhsa_user_sgpr_queue_ptr 0
		.amdhsa_user_sgpr_kernarg_segment_ptr 1
		.amdhsa_user_sgpr_dispatch_id 0
		.amdhsa_user_sgpr_flat_scratch_init 0
		.amdhsa_user_sgpr_kernarg_preload_length 0
		.amdhsa_user_sgpr_kernarg_preload_offset 0
		.amdhsa_user_sgpr_private_segment_size 0
		.amdhsa_uses_dynamic_stack 0
		.amdhsa_system_sgpr_private_segment_wavefront_offset 0
		.amdhsa_system_sgpr_workgroup_id_x 1
		.amdhsa_system_sgpr_workgroup_id_y 0
		.amdhsa_system_sgpr_workgroup_id_z 0
		.amdhsa_system_sgpr_workgroup_info 0
		.amdhsa_system_vgpr_workitem_id 0
		.amdhsa_next_free_vgpr 1
		.amdhsa_next_free_sgpr 0
		.amdhsa_accum_offset 4
		.amdhsa_reserve_vcc 0
		.amdhsa_reserve_flat_scratch 0
		.amdhsa_float_round_mode_32 0
		.amdhsa_float_round_mode_16_64 0
		.amdhsa_float_denorm_mode_32 3
		.amdhsa_float_denorm_mode_16_64 3
		.amdhsa_dx10_clamp 1
		.amdhsa_ieee_mode 1
		.amdhsa_fp16_overflow 0
		.amdhsa_tg_split 0
		.amdhsa_exception_fp_ieee_invalid_op 0
		.amdhsa_exception_fp_denorm_src 0
		.amdhsa_exception_fp_ieee_div_zero 0
		.amdhsa_exception_fp_ieee_overflow 0
		.amdhsa_exception_fp_ieee_underflow 0
		.amdhsa_exception_fp_ieee_inexact 0
		.amdhsa_exception_int_div_zero 0
	.end_amdhsa_kernel
	.section	.text._ZN7rocprim17ROCPRIM_400000_NS6detail17trampoline_kernelINS0_13select_configILj256ELj13ELNS0_17block_load_methodE3ELS4_3ELS4_3ELNS0_20block_scan_algorithmE0ELj4294967295EEENS1_25partition_config_selectorILNS1_17partition_subalgoE3EjNS0_10empty_typeEbEEZZNS1_14partition_implILS8_3ELb0ES6_jNS0_17counting_iteratorIjlEEPS9_SE_NS0_5tupleIJPjSE_EEENSF_IJSE_SE_EEES9_SG_JZNS1_25segmented_radix_sort_implINS0_14default_configELb0EPKlPlSM_SN_N2at6native12_GLOBAL__N_18offset_tEEE10hipError_tPvRmT1_PNSt15iterator_traitsISV_E10value_typeET2_T3_PNSW_IS11_E10value_typeET4_jRbjT5_S17_jjP12ihipStream_tbEUljE_EEESS_ST_SU_S11_S15_S17_T6_T7_T9_mT8_S19_bDpT10_ENKUlT_T0_E_clISt17integral_constantIbLb0EES1L_IbLb1EEEEDaS1H_S1I_EUlS1H_E_NS1_11comp_targetILNS1_3genE8ELNS1_11target_archE1030ELNS1_3gpuE2ELNS1_3repE0EEENS1_30default_config_static_selectorELNS0_4arch9wavefront6targetE1EEEvSV_,"axG",@progbits,_ZN7rocprim17ROCPRIM_400000_NS6detail17trampoline_kernelINS0_13select_configILj256ELj13ELNS0_17block_load_methodE3ELS4_3ELS4_3ELNS0_20block_scan_algorithmE0ELj4294967295EEENS1_25partition_config_selectorILNS1_17partition_subalgoE3EjNS0_10empty_typeEbEEZZNS1_14partition_implILS8_3ELb0ES6_jNS0_17counting_iteratorIjlEEPS9_SE_NS0_5tupleIJPjSE_EEENSF_IJSE_SE_EEES9_SG_JZNS1_25segmented_radix_sort_implINS0_14default_configELb0EPKlPlSM_SN_N2at6native12_GLOBAL__N_18offset_tEEE10hipError_tPvRmT1_PNSt15iterator_traitsISV_E10value_typeET2_T3_PNSW_IS11_E10value_typeET4_jRbjT5_S17_jjP12ihipStream_tbEUljE_EEESS_ST_SU_S11_S15_S17_T6_T7_T9_mT8_S19_bDpT10_ENKUlT_T0_E_clISt17integral_constantIbLb0EES1L_IbLb1EEEEDaS1H_S1I_EUlS1H_E_NS1_11comp_targetILNS1_3genE8ELNS1_11target_archE1030ELNS1_3gpuE2ELNS1_3repE0EEENS1_30default_config_static_selectorELNS0_4arch9wavefront6targetE1EEEvSV_,comdat
.Lfunc_end806:
	.size	_ZN7rocprim17ROCPRIM_400000_NS6detail17trampoline_kernelINS0_13select_configILj256ELj13ELNS0_17block_load_methodE3ELS4_3ELS4_3ELNS0_20block_scan_algorithmE0ELj4294967295EEENS1_25partition_config_selectorILNS1_17partition_subalgoE3EjNS0_10empty_typeEbEEZZNS1_14partition_implILS8_3ELb0ES6_jNS0_17counting_iteratorIjlEEPS9_SE_NS0_5tupleIJPjSE_EEENSF_IJSE_SE_EEES9_SG_JZNS1_25segmented_radix_sort_implINS0_14default_configELb0EPKlPlSM_SN_N2at6native12_GLOBAL__N_18offset_tEEE10hipError_tPvRmT1_PNSt15iterator_traitsISV_E10value_typeET2_T3_PNSW_IS11_E10value_typeET4_jRbjT5_S17_jjP12ihipStream_tbEUljE_EEESS_ST_SU_S11_S15_S17_T6_T7_T9_mT8_S19_bDpT10_ENKUlT_T0_E_clISt17integral_constantIbLb0EES1L_IbLb1EEEEDaS1H_S1I_EUlS1H_E_NS1_11comp_targetILNS1_3genE8ELNS1_11target_archE1030ELNS1_3gpuE2ELNS1_3repE0EEENS1_30default_config_static_selectorELNS0_4arch9wavefront6targetE1EEEvSV_, .Lfunc_end806-_ZN7rocprim17ROCPRIM_400000_NS6detail17trampoline_kernelINS0_13select_configILj256ELj13ELNS0_17block_load_methodE3ELS4_3ELS4_3ELNS0_20block_scan_algorithmE0ELj4294967295EEENS1_25partition_config_selectorILNS1_17partition_subalgoE3EjNS0_10empty_typeEbEEZZNS1_14partition_implILS8_3ELb0ES6_jNS0_17counting_iteratorIjlEEPS9_SE_NS0_5tupleIJPjSE_EEENSF_IJSE_SE_EEES9_SG_JZNS1_25segmented_radix_sort_implINS0_14default_configELb0EPKlPlSM_SN_N2at6native12_GLOBAL__N_18offset_tEEE10hipError_tPvRmT1_PNSt15iterator_traitsISV_E10value_typeET2_T3_PNSW_IS11_E10value_typeET4_jRbjT5_S17_jjP12ihipStream_tbEUljE_EEESS_ST_SU_S11_S15_S17_T6_T7_T9_mT8_S19_bDpT10_ENKUlT_T0_E_clISt17integral_constantIbLb0EES1L_IbLb1EEEEDaS1H_S1I_EUlS1H_E_NS1_11comp_targetILNS1_3genE8ELNS1_11target_archE1030ELNS1_3gpuE2ELNS1_3repE0EEENS1_30default_config_static_selectorELNS0_4arch9wavefront6targetE1EEEvSV_
                                        ; -- End function
	.section	.AMDGPU.csdata,"",@progbits
; Kernel info:
; codeLenInByte = 0
; NumSgprs: 4
; NumVgprs: 0
; NumAgprs: 0
; TotalNumVgprs: 0
; ScratchSize: 0
; MemoryBound: 0
; FloatMode: 240
; IeeeMode: 1
; LDSByteSize: 0 bytes/workgroup (compile time only)
; SGPRBlocks: 0
; VGPRBlocks: 0
; NumSGPRsForWavesPerEU: 4
; NumVGPRsForWavesPerEU: 1
; AccumOffset: 4
; Occupancy: 8
; WaveLimiterHint : 0
; COMPUTE_PGM_RSRC2:SCRATCH_EN: 0
; COMPUTE_PGM_RSRC2:USER_SGPR: 6
; COMPUTE_PGM_RSRC2:TRAP_HANDLER: 0
; COMPUTE_PGM_RSRC2:TGID_X_EN: 1
; COMPUTE_PGM_RSRC2:TGID_Y_EN: 0
; COMPUTE_PGM_RSRC2:TGID_Z_EN: 0
; COMPUTE_PGM_RSRC2:TIDIG_COMP_CNT: 0
; COMPUTE_PGM_RSRC3_GFX90A:ACCUM_OFFSET: 0
; COMPUTE_PGM_RSRC3_GFX90A:TG_SPLIT: 0
	.section	.text._ZN7rocprim17ROCPRIM_400000_NS6detail17trampoline_kernelINS0_14default_configENS1_36segmented_radix_sort_config_selectorIllEEZNS1_25segmented_radix_sort_implIS3_Lb0EPKlPlS8_S9_N2at6native12_GLOBAL__N_18offset_tEEE10hipError_tPvRmT1_PNSt15iterator_traitsISH_E10value_typeET2_T3_PNSI_ISN_E10value_typeET4_jRbjT5_ST_jjP12ihipStream_tbEUlT_E_NS1_11comp_targetILNS1_3genE0ELNS1_11target_archE4294967295ELNS1_3gpuE0ELNS1_3repE0EEENS1_30default_config_static_selectorELNS0_4arch9wavefront6targetE1EEEvSH_,"axG",@progbits,_ZN7rocprim17ROCPRIM_400000_NS6detail17trampoline_kernelINS0_14default_configENS1_36segmented_radix_sort_config_selectorIllEEZNS1_25segmented_radix_sort_implIS3_Lb0EPKlPlS8_S9_N2at6native12_GLOBAL__N_18offset_tEEE10hipError_tPvRmT1_PNSt15iterator_traitsISH_E10value_typeET2_T3_PNSI_ISN_E10value_typeET4_jRbjT5_ST_jjP12ihipStream_tbEUlT_E_NS1_11comp_targetILNS1_3genE0ELNS1_11target_archE4294967295ELNS1_3gpuE0ELNS1_3repE0EEENS1_30default_config_static_selectorELNS0_4arch9wavefront6targetE1EEEvSH_,comdat
	.globl	_ZN7rocprim17ROCPRIM_400000_NS6detail17trampoline_kernelINS0_14default_configENS1_36segmented_radix_sort_config_selectorIllEEZNS1_25segmented_radix_sort_implIS3_Lb0EPKlPlS8_S9_N2at6native12_GLOBAL__N_18offset_tEEE10hipError_tPvRmT1_PNSt15iterator_traitsISH_E10value_typeET2_T3_PNSI_ISN_E10value_typeET4_jRbjT5_ST_jjP12ihipStream_tbEUlT_E_NS1_11comp_targetILNS1_3genE0ELNS1_11target_archE4294967295ELNS1_3gpuE0ELNS1_3repE0EEENS1_30default_config_static_selectorELNS0_4arch9wavefront6targetE1EEEvSH_ ; -- Begin function _ZN7rocprim17ROCPRIM_400000_NS6detail17trampoline_kernelINS0_14default_configENS1_36segmented_radix_sort_config_selectorIllEEZNS1_25segmented_radix_sort_implIS3_Lb0EPKlPlS8_S9_N2at6native12_GLOBAL__N_18offset_tEEE10hipError_tPvRmT1_PNSt15iterator_traitsISH_E10value_typeET2_T3_PNSI_ISN_E10value_typeET4_jRbjT5_ST_jjP12ihipStream_tbEUlT_E_NS1_11comp_targetILNS1_3genE0ELNS1_11target_archE4294967295ELNS1_3gpuE0ELNS1_3repE0EEENS1_30default_config_static_selectorELNS0_4arch9wavefront6targetE1EEEvSH_
	.p2align	8
	.type	_ZN7rocprim17ROCPRIM_400000_NS6detail17trampoline_kernelINS0_14default_configENS1_36segmented_radix_sort_config_selectorIllEEZNS1_25segmented_radix_sort_implIS3_Lb0EPKlPlS8_S9_N2at6native12_GLOBAL__N_18offset_tEEE10hipError_tPvRmT1_PNSt15iterator_traitsISH_E10value_typeET2_T3_PNSI_ISN_E10value_typeET4_jRbjT5_ST_jjP12ihipStream_tbEUlT_E_NS1_11comp_targetILNS1_3genE0ELNS1_11target_archE4294967295ELNS1_3gpuE0ELNS1_3repE0EEENS1_30default_config_static_selectorELNS0_4arch9wavefront6targetE1EEEvSH_,@function
_ZN7rocprim17ROCPRIM_400000_NS6detail17trampoline_kernelINS0_14default_configENS1_36segmented_radix_sort_config_selectorIllEEZNS1_25segmented_radix_sort_implIS3_Lb0EPKlPlS8_S9_N2at6native12_GLOBAL__N_18offset_tEEE10hipError_tPvRmT1_PNSt15iterator_traitsISH_E10value_typeET2_T3_PNSI_ISN_E10value_typeET4_jRbjT5_ST_jjP12ihipStream_tbEUlT_E_NS1_11comp_targetILNS1_3genE0ELNS1_11target_archE4294967295ELNS1_3gpuE0ELNS1_3repE0EEENS1_30default_config_static_selectorELNS0_4arch9wavefront6targetE1EEEvSH_: ; @_ZN7rocprim17ROCPRIM_400000_NS6detail17trampoline_kernelINS0_14default_configENS1_36segmented_radix_sort_config_selectorIllEEZNS1_25segmented_radix_sort_implIS3_Lb0EPKlPlS8_S9_N2at6native12_GLOBAL__N_18offset_tEEE10hipError_tPvRmT1_PNSt15iterator_traitsISH_E10value_typeET2_T3_PNSI_ISN_E10value_typeET4_jRbjT5_ST_jjP12ihipStream_tbEUlT_E_NS1_11comp_targetILNS1_3genE0ELNS1_11target_archE4294967295ELNS1_3gpuE0ELNS1_3repE0EEENS1_30default_config_static_selectorELNS0_4arch9wavefront6targetE1EEEvSH_
; %bb.0:
	.section	.rodata,"a",@progbits
	.p2align	6, 0x0
	.amdhsa_kernel _ZN7rocprim17ROCPRIM_400000_NS6detail17trampoline_kernelINS0_14default_configENS1_36segmented_radix_sort_config_selectorIllEEZNS1_25segmented_radix_sort_implIS3_Lb0EPKlPlS8_S9_N2at6native12_GLOBAL__N_18offset_tEEE10hipError_tPvRmT1_PNSt15iterator_traitsISH_E10value_typeET2_T3_PNSI_ISN_E10value_typeET4_jRbjT5_ST_jjP12ihipStream_tbEUlT_E_NS1_11comp_targetILNS1_3genE0ELNS1_11target_archE4294967295ELNS1_3gpuE0ELNS1_3repE0EEENS1_30default_config_static_selectorELNS0_4arch9wavefront6targetE1EEEvSH_
		.amdhsa_group_segment_fixed_size 0
		.amdhsa_private_segment_fixed_size 0
		.amdhsa_kernarg_size 96
		.amdhsa_user_sgpr_count 6
		.amdhsa_user_sgpr_private_segment_buffer 1
		.amdhsa_user_sgpr_dispatch_ptr 0
		.amdhsa_user_sgpr_queue_ptr 0
		.amdhsa_user_sgpr_kernarg_segment_ptr 1
		.amdhsa_user_sgpr_dispatch_id 0
		.amdhsa_user_sgpr_flat_scratch_init 0
		.amdhsa_user_sgpr_kernarg_preload_length 0
		.amdhsa_user_sgpr_kernarg_preload_offset 0
		.amdhsa_user_sgpr_private_segment_size 0
		.amdhsa_uses_dynamic_stack 0
		.amdhsa_system_sgpr_private_segment_wavefront_offset 0
		.amdhsa_system_sgpr_workgroup_id_x 1
		.amdhsa_system_sgpr_workgroup_id_y 0
		.amdhsa_system_sgpr_workgroup_id_z 0
		.amdhsa_system_sgpr_workgroup_info 0
		.amdhsa_system_vgpr_workitem_id 0
		.amdhsa_next_free_vgpr 1
		.amdhsa_next_free_sgpr 0
		.amdhsa_accum_offset 4
		.amdhsa_reserve_vcc 0
		.amdhsa_reserve_flat_scratch 0
		.amdhsa_float_round_mode_32 0
		.amdhsa_float_round_mode_16_64 0
		.amdhsa_float_denorm_mode_32 3
		.amdhsa_float_denorm_mode_16_64 3
		.amdhsa_dx10_clamp 1
		.amdhsa_ieee_mode 1
		.amdhsa_fp16_overflow 0
		.amdhsa_tg_split 0
		.amdhsa_exception_fp_ieee_invalid_op 0
		.amdhsa_exception_fp_denorm_src 0
		.amdhsa_exception_fp_ieee_div_zero 0
		.amdhsa_exception_fp_ieee_overflow 0
		.amdhsa_exception_fp_ieee_underflow 0
		.amdhsa_exception_fp_ieee_inexact 0
		.amdhsa_exception_int_div_zero 0
	.end_amdhsa_kernel
	.section	.text._ZN7rocprim17ROCPRIM_400000_NS6detail17trampoline_kernelINS0_14default_configENS1_36segmented_radix_sort_config_selectorIllEEZNS1_25segmented_radix_sort_implIS3_Lb0EPKlPlS8_S9_N2at6native12_GLOBAL__N_18offset_tEEE10hipError_tPvRmT1_PNSt15iterator_traitsISH_E10value_typeET2_T3_PNSI_ISN_E10value_typeET4_jRbjT5_ST_jjP12ihipStream_tbEUlT_E_NS1_11comp_targetILNS1_3genE0ELNS1_11target_archE4294967295ELNS1_3gpuE0ELNS1_3repE0EEENS1_30default_config_static_selectorELNS0_4arch9wavefront6targetE1EEEvSH_,"axG",@progbits,_ZN7rocprim17ROCPRIM_400000_NS6detail17trampoline_kernelINS0_14default_configENS1_36segmented_radix_sort_config_selectorIllEEZNS1_25segmented_radix_sort_implIS3_Lb0EPKlPlS8_S9_N2at6native12_GLOBAL__N_18offset_tEEE10hipError_tPvRmT1_PNSt15iterator_traitsISH_E10value_typeET2_T3_PNSI_ISN_E10value_typeET4_jRbjT5_ST_jjP12ihipStream_tbEUlT_E_NS1_11comp_targetILNS1_3genE0ELNS1_11target_archE4294967295ELNS1_3gpuE0ELNS1_3repE0EEENS1_30default_config_static_selectorELNS0_4arch9wavefront6targetE1EEEvSH_,comdat
.Lfunc_end807:
	.size	_ZN7rocprim17ROCPRIM_400000_NS6detail17trampoline_kernelINS0_14default_configENS1_36segmented_radix_sort_config_selectorIllEEZNS1_25segmented_radix_sort_implIS3_Lb0EPKlPlS8_S9_N2at6native12_GLOBAL__N_18offset_tEEE10hipError_tPvRmT1_PNSt15iterator_traitsISH_E10value_typeET2_T3_PNSI_ISN_E10value_typeET4_jRbjT5_ST_jjP12ihipStream_tbEUlT_E_NS1_11comp_targetILNS1_3genE0ELNS1_11target_archE4294967295ELNS1_3gpuE0ELNS1_3repE0EEENS1_30default_config_static_selectorELNS0_4arch9wavefront6targetE1EEEvSH_, .Lfunc_end807-_ZN7rocprim17ROCPRIM_400000_NS6detail17trampoline_kernelINS0_14default_configENS1_36segmented_radix_sort_config_selectorIllEEZNS1_25segmented_radix_sort_implIS3_Lb0EPKlPlS8_S9_N2at6native12_GLOBAL__N_18offset_tEEE10hipError_tPvRmT1_PNSt15iterator_traitsISH_E10value_typeET2_T3_PNSI_ISN_E10value_typeET4_jRbjT5_ST_jjP12ihipStream_tbEUlT_E_NS1_11comp_targetILNS1_3genE0ELNS1_11target_archE4294967295ELNS1_3gpuE0ELNS1_3repE0EEENS1_30default_config_static_selectorELNS0_4arch9wavefront6targetE1EEEvSH_
                                        ; -- End function
	.section	.AMDGPU.csdata,"",@progbits
; Kernel info:
; codeLenInByte = 0
; NumSgprs: 4
; NumVgprs: 0
; NumAgprs: 0
; TotalNumVgprs: 0
; ScratchSize: 0
; MemoryBound: 0
; FloatMode: 240
; IeeeMode: 1
; LDSByteSize: 0 bytes/workgroup (compile time only)
; SGPRBlocks: 0
; VGPRBlocks: 0
; NumSGPRsForWavesPerEU: 4
; NumVGPRsForWavesPerEU: 1
; AccumOffset: 4
; Occupancy: 8
; WaveLimiterHint : 0
; COMPUTE_PGM_RSRC2:SCRATCH_EN: 0
; COMPUTE_PGM_RSRC2:USER_SGPR: 6
; COMPUTE_PGM_RSRC2:TRAP_HANDLER: 0
; COMPUTE_PGM_RSRC2:TGID_X_EN: 1
; COMPUTE_PGM_RSRC2:TGID_Y_EN: 0
; COMPUTE_PGM_RSRC2:TGID_Z_EN: 0
; COMPUTE_PGM_RSRC2:TIDIG_COMP_CNT: 0
; COMPUTE_PGM_RSRC3_GFX90A:ACCUM_OFFSET: 0
; COMPUTE_PGM_RSRC3_GFX90A:TG_SPLIT: 0
	.section	.text._ZN7rocprim17ROCPRIM_400000_NS6detail17trampoline_kernelINS0_14default_configENS1_36segmented_radix_sort_config_selectorIllEEZNS1_25segmented_radix_sort_implIS3_Lb0EPKlPlS8_S9_N2at6native12_GLOBAL__N_18offset_tEEE10hipError_tPvRmT1_PNSt15iterator_traitsISH_E10value_typeET2_T3_PNSI_ISN_E10value_typeET4_jRbjT5_ST_jjP12ihipStream_tbEUlT_E_NS1_11comp_targetILNS1_3genE5ELNS1_11target_archE942ELNS1_3gpuE9ELNS1_3repE0EEENS1_30default_config_static_selectorELNS0_4arch9wavefront6targetE1EEEvSH_,"axG",@progbits,_ZN7rocprim17ROCPRIM_400000_NS6detail17trampoline_kernelINS0_14default_configENS1_36segmented_radix_sort_config_selectorIllEEZNS1_25segmented_radix_sort_implIS3_Lb0EPKlPlS8_S9_N2at6native12_GLOBAL__N_18offset_tEEE10hipError_tPvRmT1_PNSt15iterator_traitsISH_E10value_typeET2_T3_PNSI_ISN_E10value_typeET4_jRbjT5_ST_jjP12ihipStream_tbEUlT_E_NS1_11comp_targetILNS1_3genE5ELNS1_11target_archE942ELNS1_3gpuE9ELNS1_3repE0EEENS1_30default_config_static_selectorELNS0_4arch9wavefront6targetE1EEEvSH_,comdat
	.globl	_ZN7rocprim17ROCPRIM_400000_NS6detail17trampoline_kernelINS0_14default_configENS1_36segmented_radix_sort_config_selectorIllEEZNS1_25segmented_radix_sort_implIS3_Lb0EPKlPlS8_S9_N2at6native12_GLOBAL__N_18offset_tEEE10hipError_tPvRmT1_PNSt15iterator_traitsISH_E10value_typeET2_T3_PNSI_ISN_E10value_typeET4_jRbjT5_ST_jjP12ihipStream_tbEUlT_E_NS1_11comp_targetILNS1_3genE5ELNS1_11target_archE942ELNS1_3gpuE9ELNS1_3repE0EEENS1_30default_config_static_selectorELNS0_4arch9wavefront6targetE1EEEvSH_ ; -- Begin function _ZN7rocprim17ROCPRIM_400000_NS6detail17trampoline_kernelINS0_14default_configENS1_36segmented_radix_sort_config_selectorIllEEZNS1_25segmented_radix_sort_implIS3_Lb0EPKlPlS8_S9_N2at6native12_GLOBAL__N_18offset_tEEE10hipError_tPvRmT1_PNSt15iterator_traitsISH_E10value_typeET2_T3_PNSI_ISN_E10value_typeET4_jRbjT5_ST_jjP12ihipStream_tbEUlT_E_NS1_11comp_targetILNS1_3genE5ELNS1_11target_archE942ELNS1_3gpuE9ELNS1_3repE0EEENS1_30default_config_static_selectorELNS0_4arch9wavefront6targetE1EEEvSH_
	.p2align	8
	.type	_ZN7rocprim17ROCPRIM_400000_NS6detail17trampoline_kernelINS0_14default_configENS1_36segmented_radix_sort_config_selectorIllEEZNS1_25segmented_radix_sort_implIS3_Lb0EPKlPlS8_S9_N2at6native12_GLOBAL__N_18offset_tEEE10hipError_tPvRmT1_PNSt15iterator_traitsISH_E10value_typeET2_T3_PNSI_ISN_E10value_typeET4_jRbjT5_ST_jjP12ihipStream_tbEUlT_E_NS1_11comp_targetILNS1_3genE5ELNS1_11target_archE942ELNS1_3gpuE9ELNS1_3repE0EEENS1_30default_config_static_selectorELNS0_4arch9wavefront6targetE1EEEvSH_,@function
_ZN7rocprim17ROCPRIM_400000_NS6detail17trampoline_kernelINS0_14default_configENS1_36segmented_radix_sort_config_selectorIllEEZNS1_25segmented_radix_sort_implIS3_Lb0EPKlPlS8_S9_N2at6native12_GLOBAL__N_18offset_tEEE10hipError_tPvRmT1_PNSt15iterator_traitsISH_E10value_typeET2_T3_PNSI_ISN_E10value_typeET4_jRbjT5_ST_jjP12ihipStream_tbEUlT_E_NS1_11comp_targetILNS1_3genE5ELNS1_11target_archE942ELNS1_3gpuE9ELNS1_3repE0EEENS1_30default_config_static_selectorELNS0_4arch9wavefront6targetE1EEEvSH_: ; @_ZN7rocprim17ROCPRIM_400000_NS6detail17trampoline_kernelINS0_14default_configENS1_36segmented_radix_sort_config_selectorIllEEZNS1_25segmented_radix_sort_implIS3_Lb0EPKlPlS8_S9_N2at6native12_GLOBAL__N_18offset_tEEE10hipError_tPvRmT1_PNSt15iterator_traitsISH_E10value_typeET2_T3_PNSI_ISN_E10value_typeET4_jRbjT5_ST_jjP12ihipStream_tbEUlT_E_NS1_11comp_targetILNS1_3genE5ELNS1_11target_archE942ELNS1_3gpuE9ELNS1_3repE0EEENS1_30default_config_static_selectorELNS0_4arch9wavefront6targetE1EEEvSH_
; %bb.0:
	.section	.rodata,"a",@progbits
	.p2align	6, 0x0
	.amdhsa_kernel _ZN7rocprim17ROCPRIM_400000_NS6detail17trampoline_kernelINS0_14default_configENS1_36segmented_radix_sort_config_selectorIllEEZNS1_25segmented_radix_sort_implIS3_Lb0EPKlPlS8_S9_N2at6native12_GLOBAL__N_18offset_tEEE10hipError_tPvRmT1_PNSt15iterator_traitsISH_E10value_typeET2_T3_PNSI_ISN_E10value_typeET4_jRbjT5_ST_jjP12ihipStream_tbEUlT_E_NS1_11comp_targetILNS1_3genE5ELNS1_11target_archE942ELNS1_3gpuE9ELNS1_3repE0EEENS1_30default_config_static_selectorELNS0_4arch9wavefront6targetE1EEEvSH_
		.amdhsa_group_segment_fixed_size 0
		.amdhsa_private_segment_fixed_size 0
		.amdhsa_kernarg_size 96
		.amdhsa_user_sgpr_count 6
		.amdhsa_user_sgpr_private_segment_buffer 1
		.amdhsa_user_sgpr_dispatch_ptr 0
		.amdhsa_user_sgpr_queue_ptr 0
		.amdhsa_user_sgpr_kernarg_segment_ptr 1
		.amdhsa_user_sgpr_dispatch_id 0
		.amdhsa_user_sgpr_flat_scratch_init 0
		.amdhsa_user_sgpr_kernarg_preload_length 0
		.amdhsa_user_sgpr_kernarg_preload_offset 0
		.amdhsa_user_sgpr_private_segment_size 0
		.amdhsa_uses_dynamic_stack 0
		.amdhsa_system_sgpr_private_segment_wavefront_offset 0
		.amdhsa_system_sgpr_workgroup_id_x 1
		.amdhsa_system_sgpr_workgroup_id_y 0
		.amdhsa_system_sgpr_workgroup_id_z 0
		.amdhsa_system_sgpr_workgroup_info 0
		.amdhsa_system_vgpr_workitem_id 0
		.amdhsa_next_free_vgpr 1
		.amdhsa_next_free_sgpr 0
		.amdhsa_accum_offset 4
		.amdhsa_reserve_vcc 0
		.amdhsa_reserve_flat_scratch 0
		.amdhsa_float_round_mode_32 0
		.amdhsa_float_round_mode_16_64 0
		.amdhsa_float_denorm_mode_32 3
		.amdhsa_float_denorm_mode_16_64 3
		.amdhsa_dx10_clamp 1
		.amdhsa_ieee_mode 1
		.amdhsa_fp16_overflow 0
		.amdhsa_tg_split 0
		.amdhsa_exception_fp_ieee_invalid_op 0
		.amdhsa_exception_fp_denorm_src 0
		.amdhsa_exception_fp_ieee_div_zero 0
		.amdhsa_exception_fp_ieee_overflow 0
		.amdhsa_exception_fp_ieee_underflow 0
		.amdhsa_exception_fp_ieee_inexact 0
		.amdhsa_exception_int_div_zero 0
	.end_amdhsa_kernel
	.section	.text._ZN7rocprim17ROCPRIM_400000_NS6detail17trampoline_kernelINS0_14default_configENS1_36segmented_radix_sort_config_selectorIllEEZNS1_25segmented_radix_sort_implIS3_Lb0EPKlPlS8_S9_N2at6native12_GLOBAL__N_18offset_tEEE10hipError_tPvRmT1_PNSt15iterator_traitsISH_E10value_typeET2_T3_PNSI_ISN_E10value_typeET4_jRbjT5_ST_jjP12ihipStream_tbEUlT_E_NS1_11comp_targetILNS1_3genE5ELNS1_11target_archE942ELNS1_3gpuE9ELNS1_3repE0EEENS1_30default_config_static_selectorELNS0_4arch9wavefront6targetE1EEEvSH_,"axG",@progbits,_ZN7rocprim17ROCPRIM_400000_NS6detail17trampoline_kernelINS0_14default_configENS1_36segmented_radix_sort_config_selectorIllEEZNS1_25segmented_radix_sort_implIS3_Lb0EPKlPlS8_S9_N2at6native12_GLOBAL__N_18offset_tEEE10hipError_tPvRmT1_PNSt15iterator_traitsISH_E10value_typeET2_T3_PNSI_ISN_E10value_typeET4_jRbjT5_ST_jjP12ihipStream_tbEUlT_E_NS1_11comp_targetILNS1_3genE5ELNS1_11target_archE942ELNS1_3gpuE9ELNS1_3repE0EEENS1_30default_config_static_selectorELNS0_4arch9wavefront6targetE1EEEvSH_,comdat
.Lfunc_end808:
	.size	_ZN7rocprim17ROCPRIM_400000_NS6detail17trampoline_kernelINS0_14default_configENS1_36segmented_radix_sort_config_selectorIllEEZNS1_25segmented_radix_sort_implIS3_Lb0EPKlPlS8_S9_N2at6native12_GLOBAL__N_18offset_tEEE10hipError_tPvRmT1_PNSt15iterator_traitsISH_E10value_typeET2_T3_PNSI_ISN_E10value_typeET4_jRbjT5_ST_jjP12ihipStream_tbEUlT_E_NS1_11comp_targetILNS1_3genE5ELNS1_11target_archE942ELNS1_3gpuE9ELNS1_3repE0EEENS1_30default_config_static_selectorELNS0_4arch9wavefront6targetE1EEEvSH_, .Lfunc_end808-_ZN7rocprim17ROCPRIM_400000_NS6detail17trampoline_kernelINS0_14default_configENS1_36segmented_radix_sort_config_selectorIllEEZNS1_25segmented_radix_sort_implIS3_Lb0EPKlPlS8_S9_N2at6native12_GLOBAL__N_18offset_tEEE10hipError_tPvRmT1_PNSt15iterator_traitsISH_E10value_typeET2_T3_PNSI_ISN_E10value_typeET4_jRbjT5_ST_jjP12ihipStream_tbEUlT_E_NS1_11comp_targetILNS1_3genE5ELNS1_11target_archE942ELNS1_3gpuE9ELNS1_3repE0EEENS1_30default_config_static_selectorELNS0_4arch9wavefront6targetE1EEEvSH_
                                        ; -- End function
	.section	.AMDGPU.csdata,"",@progbits
; Kernel info:
; codeLenInByte = 0
; NumSgprs: 4
; NumVgprs: 0
; NumAgprs: 0
; TotalNumVgprs: 0
; ScratchSize: 0
; MemoryBound: 0
; FloatMode: 240
; IeeeMode: 1
; LDSByteSize: 0 bytes/workgroup (compile time only)
; SGPRBlocks: 0
; VGPRBlocks: 0
; NumSGPRsForWavesPerEU: 4
; NumVGPRsForWavesPerEU: 1
; AccumOffset: 4
; Occupancy: 8
; WaveLimiterHint : 0
; COMPUTE_PGM_RSRC2:SCRATCH_EN: 0
; COMPUTE_PGM_RSRC2:USER_SGPR: 6
; COMPUTE_PGM_RSRC2:TRAP_HANDLER: 0
; COMPUTE_PGM_RSRC2:TGID_X_EN: 1
; COMPUTE_PGM_RSRC2:TGID_Y_EN: 0
; COMPUTE_PGM_RSRC2:TGID_Z_EN: 0
; COMPUTE_PGM_RSRC2:TIDIG_COMP_CNT: 0
; COMPUTE_PGM_RSRC3_GFX90A:ACCUM_OFFSET: 0
; COMPUTE_PGM_RSRC3_GFX90A:TG_SPLIT: 0
	.text
	.p2align	2                               ; -- Begin function _ZN7rocprim17ROCPRIM_400000_NS6detail40segmented_radix_sort_single_block_helperIllLj256ELj16ELb0EE4sortIPKlPlS6_S7_EEbT_T0_T1_T2_jjjjRNS3_12storage_typeE
	.type	_ZN7rocprim17ROCPRIM_400000_NS6detail40segmented_radix_sort_single_block_helperIllLj256ELj16ELb0EE4sortIPKlPlS6_S7_EEbT_T0_T1_T2_jjjjRNS3_12storage_typeE,@function
_ZN7rocprim17ROCPRIM_400000_NS6detail40segmented_radix_sort_single_block_helperIllLj256ELj16ELb0EE4sortIPKlPlS6_S7_EEbT_T0_T1_T2_jjjjRNS3_12storage_typeE: ; @_ZN7rocprim17ROCPRIM_400000_NS6detail40segmented_radix_sort_single_block_helperIllLj256ELj16ELb0EE4sortIPKlPlS6_S7_EEbT_T0_T1_T2_jjjjRNS3_12storage_typeE
; %bb.0:
	s_waitcnt vmcnt(0) expcnt(0) lgkmcnt(0)
	s_or_saveexec_b64 s[4:5], -1
	buffer_store_dword v108, off, s[0:3], s32 offset:120 ; 4-byte Folded Spill
	s_mov_b64 exec, s[4:5]
	v_accvgpr_write_b32 a26, v40            ;  Reload Reuse
	v_accvgpr_write_b32 a27, v41            ;  Reload Reuse
	;; [unrolled: 1-line block ×6, first 2 shown]
	buffer_store_dword v46, off, s[0:3], s32 offset:116 ; 4-byte Folded Spill
	buffer_store_dword v47, off, s[0:3], s32 offset:112 ; 4-byte Folded Spill
	;; [unrolled: 1-line block ×29, first 2 shown]
	buffer_store_dword v107, off, s[0:3], s32 ; 4-byte Folded Spill
	v_writelane_b32 v108, s34, 0
	v_writelane_b32 v108, s35, 1
	;; [unrolled: 1-line block ×16, first 2 shown]
	v_sub_u32_e32 v104, v9, v8
	s_movk_i32 s4, 0x1001
	v_cmp_gt_u32_e32 vcc, s4, v104
	s_and_saveexec_b64 s[42:43], vcc
	s_cbranch_execz .LBB809_372
; %bb.1:
	s_movk_i32 s4, 0x800
	v_cmp_lt_u32_e32 vcc, s4, v104
	v_bfe_u32 v14, v31, 10, 10
	v_bfe_u32 v16, v31, 20, 10
	v_mbcnt_lo_u32_b32 v15, -1, 0
	s_and_saveexec_b64 s[4:5], vcc
	s_xor_b64 s[44:45], exec, s[4:5]
	s_cbranch_execz .LBB809_143
; %bb.2:
	s_load_dwordx2 s[4:5], s[8:9], 0x0
	v_mov_b32_e32 v9, 0
	v_mbcnt_hi_u32_b32 v25, -1, v15
	v_lshlrev_b64 v[20:21], 3, v[8:9]
	v_and_b32_e32 v24, 63, v25
	s_waitcnt lgkmcnt(0)
	s_cmp_lt_u32 s12, s4
	s_cselect_b32 s6, 12, 18
	s_cmp_lt_u32 s13, s5
	s_cselect_b32 s4, 14, 20
	s_add_u32 s4, s8, s4
	s_addc_u32 s5, s9, 0
	s_add_u32 s6, s8, s6
	global_load_ushort v17, v9, s[4:5]
	s_addc_u32 s7, s9, 0
	global_load_ushort v18, v9, s[6:7]
	v_add_co_u32_e32 v0, vcc, v0, v20
	v_addc_co_u32_e32 v1, vcc, v1, v21, vcc
	v_lshlrev_b32_e32 v23, 3, v24
	v_and_b32_e32 v22, 0x3ff, v31
	v_add_co_u32_e32 v19, vcc, v0, v23
	v_addc_co_u32_e32 v26, vcc, 0, v1, vcc
	s_mov_b32 s10, -1
	s_brev_b32 s11, -2
	s_waitcnt vmcnt(1)
	v_mad_u32_u24 v0, v16, v17, v14
	v_pk_mov_b32 v[16:17], s[10:11], s[10:11] op_sel:[0,1]
	s_waitcnt vmcnt(0)
	v_mad_u64_u32 v[0:1], s[4:5], v0, v18, v[22:23]
	v_lshlrev_b32_e32 v1, 4, v0
	v_and_b32_e32 v8, 0xfffffc00, v1
	v_lshlrev_b64 v[14:15], 3, v[8:9]
	v_or_b32_e32 v1, v8, v24
	v_add_co_u32_e32 v8, vcc, v19, v14
	v_addc_co_u32_e32 v9, vcc, v26, v15, vcc
	v_cmp_lt_u32_e64 s[4:5], v1, v104
	s_and_saveexec_b64 s[6:7], s[4:5]
	s_cbranch_execz .LBB809_4
; %bb.3:
	flat_load_dwordx2 v[16:17], v[8:9]
.LBB809_4:
	s_or_b64 exec, exec, s[6:7]
	v_or_b32_e32 v18, 64, v1
	v_cmp_lt_u32_e64 s[6:7], v18, v104
	v_pk_mov_b32 v[18:19], s[10:11], s[10:11] op_sel:[0,1]
	s_and_saveexec_b64 s[10:11], s[6:7]
	s_cbranch_execz .LBB809_6
; %bb.5:
	flat_load_dwordx2 v[18:19], v[8:9] offset:512
.LBB809_6:
	s_or_b64 exec, exec, s[10:11]
	s_mov_b32 s14, -1
	v_or_b32_e32 v26, 0x80, v1
	s_brev_b32 s15, -2
	v_cmp_lt_u32_e64 s[10:11], v26, v104
	v_pk_mov_b32 v[182:183], s[14:15], s[14:15] op_sel:[0,1]
	s_and_saveexec_b64 s[16:17], s[10:11]
	s_cbranch_execz .LBB809_8
; %bb.7:
	flat_load_dwordx2 v[182:183], v[8:9] offset:1024
.LBB809_8:
	s_or_b64 exec, exec, s[16:17]
	v_or_b32_e32 v26, 0xc0, v1
	v_cmp_lt_u32_e64 s[40:41], v26, v104
	v_pk_mov_b32 v[192:193], s[14:15], s[14:15] op_sel:[0,1]
	s_and_saveexec_b64 s[14:15], s[40:41]
	s_cbranch_execz .LBB809_10
; %bb.9:
	flat_load_dwordx2 v[192:193], v[8:9] offset:1536
.LBB809_10:
	s_or_b64 exec, exec, s[14:15]
	s_mov_b32 s18, -1
	v_or_b32_e32 v26, 0x100, v1
	s_brev_b32 s19, -2
	v_cmp_lt_u32_e64 s[14:15], v26, v104
	v_pk_mov_b32 v[194:195], s[18:19], s[18:19] op_sel:[0,1]
	s_and_saveexec_b64 s[16:17], s[14:15]
	s_cbranch_execz .LBB809_12
; %bb.11:
	flat_load_dwordx2 v[194:195], v[8:9] offset:2048
.LBB809_12:
	;; [unrolled: 20-line block ×3, first 2 shown]
	s_or_b64 exec, exec, s[20:21]
	v_or_b32_e32 v26, 0x1c0, v1
	v_cmp_lt_u32_e64 s[20:21], v26, v104
	v_pk_mov_b32 v[208:209], s[22:23], s[22:23] op_sel:[0,1]
	s_and_saveexec_b64 s[22:23], s[20:21]
	s_cbranch_execz .LBB809_18
; %bb.17:
	flat_load_dwordx2 v[208:209], v[8:9] offset:3584
.LBB809_18:
	s_or_b64 exec, exec, s[22:23]
	s_mov_b32 s26, -1
	v_or_b32_e32 v26, 0x200, v1
	s_brev_b32 s27, -2
	v_cmp_lt_u32_e64 s[22:23], v26, v104
	v_pk_mov_b32 v[210:211], s[26:27], s[26:27] op_sel:[0,1]
	s_and_saveexec_b64 s[24:25], s[22:23]
	s_cbranch_execz .LBB809_20
; %bb.19:
	v_add_co_u32_e32 v26, vcc, 0x1000, v8
	v_addc_co_u32_e32 v27, vcc, 0, v9, vcc
	flat_load_dwordx2 v[210:211], v[26:27]
.LBB809_20:
	s_or_b64 exec, exec, s[24:25]
	v_or_b32_e32 v26, 0x240, v1
	v_cmp_lt_u32_e64 s[24:25], v26, v104
	v_pk_mov_b32 v[212:213], s[26:27], s[26:27] op_sel:[0,1]
	s_and_saveexec_b64 s[26:27], s[24:25]
	s_cbranch_execz .LBB809_22
; %bb.21:
	v_add_co_u32_e32 v26, vcc, 0x1000, v8
	v_addc_co_u32_e32 v27, vcc, 0, v9, vcc
	flat_load_dwordx2 v[212:213], v[26:27] offset:512
.LBB809_22:
	s_or_b64 exec, exec, s[26:27]
	s_mov_b32 s30, -1
	v_or_b32_e32 v26, 0x280, v1
	s_brev_b32 s31, -2
	v_cmp_lt_u32_e64 s[26:27], v26, v104
	v_pk_mov_b32 v[214:215], s[30:31], s[30:31] op_sel:[0,1]
	s_and_saveexec_b64 s[28:29], s[26:27]
	s_cbranch_execz .LBB809_24
; %bb.23:
	v_add_co_u32_e32 v26, vcc, 0x1000, v8
	v_addc_co_u32_e32 v27, vcc, 0, v9, vcc
	flat_load_dwordx2 v[214:215], v[26:27] offset:1024
.LBB809_24:
	s_or_b64 exec, exec, s[28:29]
	v_or_b32_e32 v26, 0x2c0, v1
	v_cmp_lt_u32_e64 s[28:29], v26, v104
	v_pk_mov_b32 v[224:225], s[30:31], s[30:31] op_sel:[0,1]
	s_and_saveexec_b64 s[30:31], s[28:29]
	s_cbranch_execz .LBB809_26
; %bb.25:
	v_add_co_u32_e32 v26, vcc, 0x1000, v8
	v_addc_co_u32_e32 v27, vcc, 0, v9, vcc
	flat_load_dwordx2 v[224:225], v[26:27] offset:1536
.LBB809_26:
	s_or_b64 exec, exec, s[30:31]
	s_mov_b32 s36, -1
	v_or_b32_e32 v26, 0x300, v1
	s_brev_b32 s37, -2
	v_cmp_lt_u32_e64 s[30:31], v26, v104
	v_pk_mov_b32 v[226:227], s[36:37], s[36:37] op_sel:[0,1]
	s_and_saveexec_b64 s[34:35], s[30:31]
	s_cbranch_execz .LBB809_28
; %bb.27:
	v_add_co_u32_e32 v26, vcc, 0x1000, v8
	v_addc_co_u32_e32 v27, vcc, 0, v9, vcc
	flat_load_dwordx2 v[226:227], v[26:27] offset:2048
.LBB809_28:
	;; [unrolled: 24-line block ×3, first 2 shown]
	s_or_b64 exec, exec, s[38:39]
	v_or_b32_e32 v1, 0x3c0, v1
	v_cmp_lt_u32_e64 s[38:39], v1, v104
	v_pk_mov_b32 v[240:241], s[46:47], s[46:47] op_sel:[0,1]
	s_and_saveexec_b64 s[46:47], s[38:39]
	s_cbranch_execz .LBB809_34
; %bb.33:
	v_add_co_u32_e32 v8, vcc, 0x1000, v8
	v_addc_co_u32_e32 v9, vcc, 0, v9, vcc
	flat_load_dwordx2 v[240:241], v[8:9] offset:3584
.LBB809_34:
	s_or_b64 exec, exec, s[46:47]
	v_add_co_u32_e32 v1, vcc, v4, v20
	v_addc_co_u32_e32 v4, vcc, v5, v21, vcc
	v_add_co_u32_e32 v1, vcc, v1, v23
	v_addc_co_u32_e32 v5, vcc, 0, v4, vcc
	;; [unrolled: 2-line block ×3, first 2 shown]
                                        ; implicit-def: $vgpr242_vgpr243
	s_and_saveexec_b64 vcc, s[4:5]
	s_cbranch_execnz .LBB809_196
; %bb.35:
	s_or_b64 exec, exec, vcc
                                        ; implicit-def: $vgpr244_vgpr245
	s_and_saveexec_b64 s[4:5], s[6:7]
	s_cbranch_execnz .LBB809_197
.LBB809_36:
	s_or_b64 exec, exec, s[4:5]
                                        ; implicit-def: $vgpr246_vgpr247
	s_and_saveexec_b64 s[4:5], s[10:11]
	s_cbranch_execnz .LBB809_198
.LBB809_37:
	s_or_b64 exec, exec, s[4:5]
                                        ; implicit-def: $agpr0_agpr1
	s_and_saveexec_b64 s[4:5], s[40:41]
	s_cbranch_execnz .LBB809_199
.LBB809_38:
	s_or_b64 exec, exec, s[4:5]
                                        ; implicit-def: $agpr2_agpr3
	s_and_saveexec_b64 s[4:5], s[14:15]
	s_cbranch_execnz .LBB809_200
.LBB809_39:
	s_or_b64 exec, exec, s[4:5]
                                        ; implicit-def: $agpr4_agpr5
	s_and_saveexec_b64 s[4:5], s[16:17]
	s_cbranch_execnz .LBB809_201
.LBB809_40:
	s_or_b64 exec, exec, s[4:5]
                                        ; implicit-def: $agpr6_agpr7
	s_and_saveexec_b64 s[4:5], s[18:19]
	s_cbranch_execnz .LBB809_202
.LBB809_41:
	s_or_b64 exec, exec, s[4:5]
                                        ; implicit-def: $agpr8_agpr9
	s_and_saveexec_b64 s[4:5], s[20:21]
	s_cbranch_execnz .LBB809_203
.LBB809_42:
	s_or_b64 exec, exec, s[4:5]
                                        ; implicit-def: $agpr10_agpr11
	s_and_saveexec_b64 s[4:5], s[22:23]
	s_cbranch_execnz .LBB809_204
.LBB809_43:
	s_or_b64 exec, exec, s[4:5]
                                        ; implicit-def: $agpr12_agpr13
	s_and_saveexec_b64 s[4:5], s[24:25]
	s_cbranch_execnz .LBB809_205
.LBB809_44:
	s_or_b64 exec, exec, s[4:5]
                                        ; implicit-def: $agpr14_agpr15
	s_and_saveexec_b64 s[4:5], s[26:27]
	s_cbranch_execnz .LBB809_206
.LBB809_45:
	s_or_b64 exec, exec, s[4:5]
                                        ; implicit-def: $agpr16_agpr17
	s_and_saveexec_b64 s[4:5], s[28:29]
	s_cbranch_execnz .LBB809_207
.LBB809_46:
	s_or_b64 exec, exec, s[4:5]
                                        ; implicit-def: $agpr18_agpr19
	s_and_saveexec_b64 s[4:5], s[30:31]
	s_cbranch_execnz .LBB809_208
.LBB809_47:
	s_or_b64 exec, exec, s[4:5]
                                        ; implicit-def: $agpr20_agpr21
	s_and_saveexec_b64 s[4:5], s[34:35]
	s_cbranch_execnz .LBB809_209
.LBB809_48:
	s_or_b64 exec, exec, s[4:5]
                                        ; implicit-def: $agpr22_agpr23
	s_and_saveexec_b64 s[4:5], s[36:37]
	s_cbranch_execnz .LBB809_210
.LBB809_49:
	s_or_b64 exec, exec, s[4:5]
                                        ; implicit-def: $agpr24_agpr25
	s_and_saveexec_b64 s[4:5], s[38:39]
	s_cbranch_execz .LBB809_51
.LBB809_50:
	v_add_co_u32_e32 v4, vcc, 0x1000, v4
	v_addc_co_u32_e32 v5, vcc, 0, v5, vcc
	flat_load_dwordx2 a[24:25], v[4:5] offset:3584
.LBB809_51:
	s_or_b64 exec, exec, s[4:5]
	v_add_co_u32_e32 v1, vcc, 16, v12
	v_and_b32_e32 v26, 0x3c0, v22
	v_addc_co_u32_e32 v23, vcc, 0, v13, vcc
	v_lshlrev_b32_e32 v15, 4, v22
	v_min_u32_e32 v26, 0xc0, v26
	v_add_co_u32_e32 v4, vcc, v12, v15
	v_or_b32_e32 v26, 63, v26
	s_getpc_b64 s[4:5]
	s_add_u32 s4, s4, _ZN7rocprim17ROCPRIM_400000_NS16block_radix_sortIlLj256ELj16ElLj1ELj1ELj8ELNS0_26block_radix_rank_algorithmE2ELNS0_18block_padding_hintE2ELNS0_4arch9wavefront6targetE1EE19radix_bits_per_passE@rel32@lo+4
	s_addc_u32 s5, s5, _ZN7rocprim17ROCPRIM_400000_NS16block_radix_sortIlLj256ELj16ElLj1ELj1ELj8ELNS0_26block_radix_rank_algorithmE2ELNS0_18block_padding_hintE2ELNS0_4arch9wavefront6targetE1EE19radix_bits_per_passE@rel32@hi+12
	v_addc_co_u32_e32 v5, vcc, 0, v13, vcc
	v_and_b32_e32 v9, 15, v25
	v_cmp_eq_u32_e64 s[16:17], v26, v22
	v_add_u32_e32 v26, -1, v25
	v_and_b32_e32 v27, 64, v25
	s_load_dword s46, s[4:5], 0x0
	v_cmp_eq_u32_e32 vcc, 0, v9
	v_cmp_lt_u32_e64 s[4:5], 1, v9
	v_cmp_lt_u32_e64 s[6:7], 3, v9
	;; [unrolled: 1-line block ×3, first 2 shown]
	v_and_b32_e32 v9, 16, v25
	v_cmp_lt_i32_e64 s[22:23], v26, v27
	v_cmp_eq_u32_e64 s[34:35], 0, v9
	v_lshrrev_b32_e32 v9, 6, v22
	v_cndmask_b32_e64 v26, v26, v25, s[22:23]
	v_lshlrev_b32_e32 v106, 2, v26
	v_lshlrev_b32_e32 v26, 2, v9
	v_add_co_u32_e64 v70, s[26:27], v12, v26
	v_lshlrev_b32_e32 v8, 2, v22
	v_addc_co_u32_e64 v71, s[26:27], 0, v13, s[26:27]
	v_add_co_u32_e64 v80, s[26:27], v12, v8
	v_mov_b32_e32 v14, 0
	v_addc_co_u32_e64 v81, s[26:27], 0, v13, s[26:27]
	v_and_b32_e32 v8, 3, v25
	v_cmp_eq_u32_e64 s[26:27], 0, v8
	v_cmp_lt_u32_e64 s[28:29], 1, v8
	v_add_u32_e32 v8, -1, v9
	v_mov_b32_e32 v9, v14
	v_lshlrev_b64 v[8:9], 2, v[8:9]
	v_add_co_u32_e64 v82, s[30:31], v12, v8
	v_addc_co_u32_e64 v83, s[30:31], v13, v9, s[30:31]
	s_movk_i32 s30, 0x3c00
	v_and_or_b32 v8, v15, s30, v24
	v_lshlrev_b32_e32 v8, 3, v8
	v_add_co_u32_e64 v84, s[30:31], v12, v8
	v_addc_co_u32_e64 v85, s[30:31], 0, v13, s[30:31]
	v_or_b32_e32 v9, 0x1000, v8
	v_add_co_u32_e64 v86, s[30:31], v12, v9
	v_addc_co_u32_e64 v87, s[30:31], 0, v13, s[30:31]
	v_or_b32_e32 v9, 0x1200, v8
	;; [unrolled: 3-line block ×8, first 2 shown]
	v_add_co_u32_e64 v116, s[30:31], v12, v8
	s_waitcnt vmcnt(0) lgkmcnt(0)
	v_xor_b32_e32 v17, 0x80000000, v17
	v_xor_b32_e32 v19, 0x80000000, v19
	;; [unrolled: 1-line block ×16, first 2 shown]
	v_lshrrev_b32_e32 v105, 6, v0
	v_cmp_lt_u32_e64 s[14:15], 31, v25
	v_cmp_gt_u32_e64 s[18:19], 4, v22
	v_cmp_lt_u32_e64 s[20:21], 63, v22
	v_cmp_eq_u32_e64 s[22:23], 0, v25
	v_cmp_eq_u32_e64 s[24:25], 0, v22
	v_addc_co_u32_e64 v117, s[30:31], 0, v13, s[30:31]
	v_sub_u32_e32 v107, v11, v10
	s_mov_b64 s[38:39], 0
	s_barrier
	s_branch .LBB809_53
.LBB809_52:                             ;   in Loop: Header=BB809_53 Depth=1
	s_or_b64 exec, exec, s[36:37]
	s_and_b64 s[30:31], exec, s[40:41]
	s_or_b64 s[38:39], s[30:31], s[38:39]
	s_andn2_b64 exec, exec, s[38:39]
	s_cbranch_execz .LBB809_93
.LBB809_53:                             ; =>This Inner Loop Header: Depth=1
	s_waitcnt vmcnt(0)
	v_pk_mov_b32 v[180:181], v[16:17], v[16:17] op_sel:[0,1]
	v_pk_mov_b32 v[178:179], v[18:19], v[18:19] op_sel:[0,1]
	v_min_u32_e32 v18, s46, v107
	v_mov_b32_e32 v15, v14
	v_mov_b32_e32 v16, v14
	;; [unrolled: 1-line block ×3, first 2 shown]
	flat_store_dwordx4 v[4:5], v[14:17] offset:16
	v_pk_mov_b32 v[176:177], v[182:183], v[182:183] op_sel:[0,1]
	v_lshlrev_b32_e64 v15, v18, -1
	v_not_b32_e32 v18, v15
	v_lshrrev_b64 v[16:17], v10, v[180:181]
	v_and_b32_e32 v19, v16, v18
	v_lshl_add_u32 v16, v19, 2, v105
	v_mov_b32_e32 v17, v14
	v_lshlrev_b64 v[16:17], 2, v[16:17]
	v_add_co_u32_e64 v182, s[30:31], v1, v16
	v_addc_co_u32_e64 v183, s[30:31], v23, v17, s[30:31]
	v_and_b32_e32 v15, 1, v19
	v_add_co_u32_e64 v16, s[30:31], -1, v15
	v_addc_co_u32_e64 v17, s[30:31], 0, -1, s[30:31]
	v_cmp_ne_u32_e64 s[30:31], 0, v15
	v_xor_b32_e32 v15, s31, v17
	v_and_b32_e32 v17, exec_hi, v15
	v_lshlrev_b32_e32 v15, 30, v19
	v_xor_b32_e32 v16, s30, v16
	v_cmp_gt_i64_e64 s[30:31], 0, v[14:15]
	v_not_b32_e32 v15, v15
	v_ashrrev_i32_e32 v15, 31, v15
	v_pk_mov_b32 v[166:167], v[192:193], v[192:193] op_sel:[0,1]
	v_and_b32_e32 v16, exec_lo, v16
	v_xor_b32_e32 v192, s31, v15
	v_xor_b32_e32 v15, s30, v15
	v_and_b32_e32 v16, v16, v15
	v_lshlrev_b32_e32 v15, 29, v19
	v_cmp_gt_i64_e64 s[30:31], 0, v[14:15]
	v_not_b32_e32 v15, v15
	v_ashrrev_i32_e32 v15, 31, v15
	v_and_b32_e32 v17, v17, v192
	v_xor_b32_e32 v192, s31, v15
	v_xor_b32_e32 v15, s30, v15
	v_and_b32_e32 v16, v16, v15
	v_lshlrev_b32_e32 v15, 28, v19
	v_cmp_gt_i64_e64 s[30:31], 0, v[14:15]
	v_not_b32_e32 v15, v15
	v_ashrrev_i32_e32 v15, 31, v15
	v_and_b32_e32 v17, v17, v192
	;; [unrolled: 8-line block ×5, first 2 shown]
	v_xor_b32_e32 v192, s31, v15
	v_xor_b32_e32 v15, s30, v15
	v_and_b32_e32 v16, v16, v15
	v_lshlrev_b32_e32 v15, 24, v19
	v_cmp_gt_i64_e64 s[30:31], 0, v[14:15]
	v_not_b32_e32 v15, v15
	v_ashrrev_i32_e32 v15, 31, v15
	v_xor_b32_e32 v19, s31, v15
	v_xor_b32_e32 v15, s30, v15
	v_and_b32_e32 v17, v17, v192
	v_and_b32_e32 v16, v16, v15
	;; [unrolled: 1-line block ×3, first 2 shown]
	v_mbcnt_lo_u32_b32 v15, v16, 0
	v_pk_mov_b32 v[64:65], v[246:247], v[246:247] op_sel:[0,1]
	v_mbcnt_hi_u32_b32 v246, v17, v15
	v_accvgpr_read_b32 v55, a1
	v_accvgpr_read_b32 v53, a3
	;; [unrolled: 1-line block ×13, first 2 shown]
	v_cmp_eq_u32_e64 s[30:31], 0, v246
	v_cmp_ne_u64_e64 s[36:37], 0, v[16:17]
	v_pk_mov_b32 v[68:69], v[242:243], v[242:243] op_sel:[0,1]
	v_pk_mov_b32 v[66:67], v[244:245], v[244:245] op_sel:[0,1]
	v_accvgpr_read_b32 v54, a0
	v_accvgpr_read_b32 v52, a2
	;; [unrolled: 1-line block ×13, first 2 shown]
	v_pk_mov_b32 v[164:165], v[194:195], v[194:195] op_sel:[0,1]
	v_pk_mov_b32 v[162:163], v[196:197], v[196:197] op_sel:[0,1]
	;; [unrolled: 1-line block ×12, first 2 shown]
	s_and_b64 s[36:37], s[36:37], s[30:31]
	s_waitcnt lgkmcnt(0)
	s_barrier
	s_waitcnt lgkmcnt(0)
	; wave barrier
	s_and_saveexec_b64 s[30:31], s[36:37]
	s_cbranch_execz .LBB809_55
; %bb.54:                               ;   in Loop: Header=BB809_53 Depth=1
	v_bcnt_u32_b32 v15, v16, 0
	v_bcnt_u32_b32 v15, v17, v15
	flat_store_dword v[182:183], v15
.LBB809_55:                             ;   in Loop: Header=BB809_53 Depth=1
	s_or_b64 exec, exec, s[30:31]
	v_lshrrev_b64 v[16:17], v10, v[178:179]
	v_and_b32_e32 v19, v16, v18
	v_lshl_add_u32 v16, v19, 2, v105
	v_mov_b32_e32 v17, v14
	v_lshlrev_b64 v[16:17], 2, v[16:17]
	v_add_co_u32_e64 v192, s[30:31], v1, v16
	v_addc_co_u32_e64 v193, s[30:31], v23, v17, s[30:31]
	; wave barrier
	flat_load_dword v247, v[192:193]
	v_and_b32_e32 v15, 1, v19
	v_add_co_u32_e64 v16, s[30:31], -1, v15
	v_addc_co_u32_e64 v17, s[30:31], 0, -1, s[30:31]
	v_cmp_ne_u32_e64 s[30:31], 0, v15
	v_xor_b32_e32 v15, s31, v17
	v_and_b32_e32 v17, exec_hi, v15
	v_lshlrev_b32_e32 v15, 30, v19
	v_xor_b32_e32 v16, s30, v16
	v_cmp_gt_i64_e64 s[30:31], 0, v[14:15]
	v_not_b32_e32 v15, v15
	v_ashrrev_i32_e32 v15, 31, v15
	v_and_b32_e32 v16, exec_lo, v16
	v_xor_b32_e32 v194, s31, v15
	v_xor_b32_e32 v15, s30, v15
	v_and_b32_e32 v16, v16, v15
	v_lshlrev_b32_e32 v15, 29, v19
	v_cmp_gt_i64_e64 s[30:31], 0, v[14:15]
	v_not_b32_e32 v15, v15
	v_ashrrev_i32_e32 v15, 31, v15
	v_and_b32_e32 v17, v17, v194
	v_xor_b32_e32 v194, s31, v15
	v_xor_b32_e32 v15, s30, v15
	v_and_b32_e32 v16, v16, v15
	v_lshlrev_b32_e32 v15, 28, v19
	v_cmp_gt_i64_e64 s[30:31], 0, v[14:15]
	v_not_b32_e32 v15, v15
	v_ashrrev_i32_e32 v15, 31, v15
	v_and_b32_e32 v17, v17, v194
	;; [unrolled: 8-line block ×5, first 2 shown]
	v_xor_b32_e32 v194, s31, v15
	v_xor_b32_e32 v15, s30, v15
	v_and_b32_e32 v16, v16, v15
	v_lshlrev_b32_e32 v15, 24, v19
	v_cmp_gt_i64_e64 s[30:31], 0, v[14:15]
	v_not_b32_e32 v15, v15
	v_ashrrev_i32_e32 v15, 31, v15
	v_xor_b32_e32 v19, s31, v15
	v_xor_b32_e32 v15, s30, v15
	v_and_b32_e32 v17, v17, v194
	v_and_b32_e32 v16, v16, v15
	v_and_b32_e32 v17, v17, v19
	v_mbcnt_lo_u32_b32 v15, v16, 0
	v_mbcnt_hi_u32_b32 v40, v17, v15
	v_cmp_eq_u32_e64 s[30:31], 0, v40
	v_cmp_ne_u64_e64 s[36:37], 0, v[16:17]
	s_and_b64 s[36:37], s[36:37], s[30:31]
	; wave barrier
	s_and_saveexec_b64 s[30:31], s[36:37]
	s_cbranch_execz .LBB809_57
; %bb.56:                               ;   in Loop: Header=BB809_53 Depth=1
	v_bcnt_u32_b32 v15, v16, 0
	v_bcnt_u32_b32 v15, v17, v15
	s_waitcnt vmcnt(0) lgkmcnt(0)
	v_add_u32_e32 v15, v247, v15
	flat_store_dword v[192:193], v15
.LBB809_57:                             ;   in Loop: Header=BB809_53 Depth=1
	s_or_b64 exec, exec, s[30:31]
	v_lshrrev_b64 v[16:17], v10, v[176:177]
	v_and_b32_e32 v19, v16, v18
	v_lshl_add_u32 v16, v19, 2, v105
	v_mov_b32_e32 v17, v14
	v_lshlrev_b64 v[16:17], 2, v[16:17]
	v_add_co_u32_e64 v194, s[30:31], v1, v16
	v_addc_co_u32_e64 v195, s[30:31], v23, v17, s[30:31]
	; wave barrier
	flat_load_dword v41, v[194:195]
	v_and_b32_e32 v15, 1, v19
	v_add_co_u32_e64 v16, s[30:31], -1, v15
	v_addc_co_u32_e64 v17, s[30:31], 0, -1, s[30:31]
	v_cmp_ne_u32_e64 s[30:31], 0, v15
	v_xor_b32_e32 v15, s31, v17
	v_and_b32_e32 v17, exec_hi, v15
	v_lshlrev_b32_e32 v15, 30, v19
	v_xor_b32_e32 v16, s30, v16
	v_cmp_gt_i64_e64 s[30:31], 0, v[14:15]
	v_not_b32_e32 v15, v15
	v_ashrrev_i32_e32 v15, 31, v15
	v_and_b32_e32 v16, exec_lo, v16
	v_xor_b32_e32 v196, s31, v15
	v_xor_b32_e32 v15, s30, v15
	v_and_b32_e32 v16, v16, v15
	v_lshlrev_b32_e32 v15, 29, v19
	v_cmp_gt_i64_e64 s[30:31], 0, v[14:15]
	v_not_b32_e32 v15, v15
	v_ashrrev_i32_e32 v15, 31, v15
	v_and_b32_e32 v17, v17, v196
	v_xor_b32_e32 v196, s31, v15
	v_xor_b32_e32 v15, s30, v15
	v_and_b32_e32 v16, v16, v15
	v_lshlrev_b32_e32 v15, 28, v19
	v_cmp_gt_i64_e64 s[30:31], 0, v[14:15]
	v_not_b32_e32 v15, v15
	v_ashrrev_i32_e32 v15, 31, v15
	v_and_b32_e32 v17, v17, v196
	;; [unrolled: 8-line block ×5, first 2 shown]
	v_xor_b32_e32 v196, s31, v15
	v_xor_b32_e32 v15, s30, v15
	v_and_b32_e32 v16, v16, v15
	v_lshlrev_b32_e32 v15, 24, v19
	v_cmp_gt_i64_e64 s[30:31], 0, v[14:15]
	v_not_b32_e32 v15, v15
	v_ashrrev_i32_e32 v15, 31, v15
	v_xor_b32_e32 v19, s31, v15
	v_xor_b32_e32 v15, s30, v15
	v_and_b32_e32 v17, v17, v196
	v_and_b32_e32 v16, v16, v15
	;; [unrolled: 1-line block ×3, first 2 shown]
	v_mbcnt_lo_u32_b32 v15, v16, 0
	v_mbcnt_hi_u32_b32 v42, v17, v15
	v_cmp_eq_u32_e64 s[30:31], 0, v42
	v_cmp_ne_u64_e64 s[36:37], 0, v[16:17]
	s_and_b64 s[36:37], s[36:37], s[30:31]
	; wave barrier
	s_and_saveexec_b64 s[30:31], s[36:37]
	s_cbranch_execz .LBB809_59
; %bb.58:                               ;   in Loop: Header=BB809_53 Depth=1
	v_bcnt_u32_b32 v15, v16, 0
	v_bcnt_u32_b32 v15, v17, v15
	s_waitcnt vmcnt(0) lgkmcnt(0)
	v_add_u32_e32 v15, v41, v15
	flat_store_dword v[194:195], v15
.LBB809_59:                             ;   in Loop: Header=BB809_53 Depth=1
	s_or_b64 exec, exec, s[30:31]
	v_lshrrev_b64 v[16:17], v10, v[166:167]
	v_and_b32_e32 v19, v16, v18
	v_lshl_add_u32 v16, v19, 2, v105
	v_mov_b32_e32 v17, v14
	v_lshlrev_b64 v[16:17], 2, v[16:17]
	v_add_co_u32_e64 v196, s[30:31], v1, v16
	v_addc_co_u32_e64 v197, s[30:31], v23, v17, s[30:31]
	; wave barrier
	flat_load_dword v43, v[196:197]
	v_and_b32_e32 v15, 1, v19
	v_add_co_u32_e64 v16, s[30:31], -1, v15
	v_addc_co_u32_e64 v17, s[30:31], 0, -1, s[30:31]
	v_cmp_ne_u32_e64 s[30:31], 0, v15
	v_xor_b32_e32 v15, s31, v17
	v_and_b32_e32 v17, exec_hi, v15
	v_lshlrev_b32_e32 v15, 30, v19
	v_xor_b32_e32 v16, s30, v16
	v_cmp_gt_i64_e64 s[30:31], 0, v[14:15]
	v_not_b32_e32 v15, v15
	v_ashrrev_i32_e32 v15, 31, v15
	v_and_b32_e32 v16, exec_lo, v16
	v_xor_b32_e32 v198, s31, v15
	v_xor_b32_e32 v15, s30, v15
	v_and_b32_e32 v16, v16, v15
	v_lshlrev_b32_e32 v15, 29, v19
	v_cmp_gt_i64_e64 s[30:31], 0, v[14:15]
	v_not_b32_e32 v15, v15
	v_ashrrev_i32_e32 v15, 31, v15
	v_and_b32_e32 v17, v17, v198
	v_xor_b32_e32 v198, s31, v15
	v_xor_b32_e32 v15, s30, v15
	v_and_b32_e32 v16, v16, v15
	v_lshlrev_b32_e32 v15, 28, v19
	v_cmp_gt_i64_e64 s[30:31], 0, v[14:15]
	v_not_b32_e32 v15, v15
	v_ashrrev_i32_e32 v15, 31, v15
	v_and_b32_e32 v17, v17, v198
	;; [unrolled: 8-line block ×5, first 2 shown]
	v_xor_b32_e32 v198, s31, v15
	v_xor_b32_e32 v15, s30, v15
	v_and_b32_e32 v16, v16, v15
	v_lshlrev_b32_e32 v15, 24, v19
	v_cmp_gt_i64_e64 s[30:31], 0, v[14:15]
	v_not_b32_e32 v15, v15
	v_ashrrev_i32_e32 v15, 31, v15
	v_xor_b32_e32 v19, s31, v15
	v_xor_b32_e32 v15, s30, v15
	v_and_b32_e32 v17, v17, v198
	v_and_b32_e32 v16, v16, v15
	;; [unrolled: 1-line block ×3, first 2 shown]
	v_mbcnt_lo_u32_b32 v15, v16, 0
	v_mbcnt_hi_u32_b32 v44, v17, v15
	v_cmp_eq_u32_e64 s[30:31], 0, v44
	v_cmp_ne_u64_e64 s[36:37], 0, v[16:17]
	s_and_b64 s[36:37], s[36:37], s[30:31]
	; wave barrier
	s_and_saveexec_b64 s[30:31], s[36:37]
	s_cbranch_execz .LBB809_61
; %bb.60:                               ;   in Loop: Header=BB809_53 Depth=1
	v_bcnt_u32_b32 v15, v16, 0
	v_bcnt_u32_b32 v15, v17, v15
	s_waitcnt vmcnt(0) lgkmcnt(0)
	v_add_u32_e32 v15, v43, v15
	flat_store_dword v[196:197], v15
.LBB809_61:                             ;   in Loop: Header=BB809_53 Depth=1
	s_or_b64 exec, exec, s[30:31]
	v_lshrrev_b64 v[16:17], v10, v[164:165]
	v_and_b32_e32 v19, v16, v18
	v_lshl_add_u32 v16, v19, 2, v105
	v_mov_b32_e32 v17, v14
	v_lshlrev_b64 v[16:17], 2, v[16:17]
	v_add_co_u32_e64 v198, s[30:31], v1, v16
	v_addc_co_u32_e64 v199, s[30:31], v23, v17, s[30:31]
	; wave barrier
	flat_load_dword v45, v[198:199]
	v_and_b32_e32 v15, 1, v19
	v_add_co_u32_e64 v16, s[30:31], -1, v15
	v_addc_co_u32_e64 v17, s[30:31], 0, -1, s[30:31]
	v_cmp_ne_u32_e64 s[30:31], 0, v15
	v_xor_b32_e32 v15, s31, v17
	v_and_b32_e32 v17, exec_hi, v15
	v_lshlrev_b32_e32 v15, 30, v19
	v_xor_b32_e32 v16, s30, v16
	v_cmp_gt_i64_e64 s[30:31], 0, v[14:15]
	v_not_b32_e32 v15, v15
	v_ashrrev_i32_e32 v15, 31, v15
	v_and_b32_e32 v16, exec_lo, v16
	v_xor_b32_e32 v208, s31, v15
	v_xor_b32_e32 v15, s30, v15
	v_and_b32_e32 v16, v16, v15
	v_lshlrev_b32_e32 v15, 29, v19
	v_cmp_gt_i64_e64 s[30:31], 0, v[14:15]
	v_not_b32_e32 v15, v15
	v_ashrrev_i32_e32 v15, 31, v15
	v_and_b32_e32 v17, v17, v208
	v_xor_b32_e32 v208, s31, v15
	v_xor_b32_e32 v15, s30, v15
	v_and_b32_e32 v16, v16, v15
	v_lshlrev_b32_e32 v15, 28, v19
	v_cmp_gt_i64_e64 s[30:31], 0, v[14:15]
	v_not_b32_e32 v15, v15
	v_ashrrev_i32_e32 v15, 31, v15
	v_and_b32_e32 v17, v17, v208
	;; [unrolled: 8-line block ×5, first 2 shown]
	v_xor_b32_e32 v208, s31, v15
	v_xor_b32_e32 v15, s30, v15
	v_and_b32_e32 v16, v16, v15
	v_lshlrev_b32_e32 v15, 24, v19
	v_cmp_gt_i64_e64 s[30:31], 0, v[14:15]
	v_not_b32_e32 v15, v15
	v_ashrrev_i32_e32 v15, 31, v15
	v_xor_b32_e32 v19, s31, v15
	v_xor_b32_e32 v15, s30, v15
	v_and_b32_e32 v17, v17, v208
	v_and_b32_e32 v16, v16, v15
	;; [unrolled: 1-line block ×3, first 2 shown]
	v_mbcnt_lo_u32_b32 v15, v16, 0
	v_mbcnt_hi_u32_b32 v46, v17, v15
	v_cmp_eq_u32_e64 s[30:31], 0, v46
	v_cmp_ne_u64_e64 s[36:37], 0, v[16:17]
	s_and_b64 s[36:37], s[36:37], s[30:31]
	; wave barrier
	s_and_saveexec_b64 s[30:31], s[36:37]
	s_cbranch_execz .LBB809_63
; %bb.62:                               ;   in Loop: Header=BB809_53 Depth=1
	v_bcnt_u32_b32 v15, v16, 0
	v_bcnt_u32_b32 v15, v17, v15
	s_waitcnt vmcnt(0) lgkmcnt(0)
	v_add_u32_e32 v15, v45, v15
	flat_store_dword v[198:199], v15
.LBB809_63:                             ;   in Loop: Header=BB809_53 Depth=1
	s_or_b64 exec, exec, s[30:31]
	v_lshrrev_b64 v[16:17], v10, v[162:163]
	v_and_b32_e32 v19, v16, v18
	v_lshl_add_u32 v16, v19, 2, v105
	v_mov_b32_e32 v17, v14
	v_lshlrev_b64 v[16:17], 2, v[16:17]
	v_add_co_u32_e64 v208, s[30:31], v1, v16
	v_addc_co_u32_e64 v209, s[30:31], v23, v17, s[30:31]
	; wave barrier
	flat_load_dword v47, v[208:209]
	v_and_b32_e32 v15, 1, v19
	v_add_co_u32_e64 v16, s[30:31], -1, v15
	v_addc_co_u32_e64 v17, s[30:31], 0, -1, s[30:31]
	v_cmp_ne_u32_e64 s[30:31], 0, v15
	v_xor_b32_e32 v15, s31, v17
	v_and_b32_e32 v17, exec_hi, v15
	v_lshlrev_b32_e32 v15, 30, v19
	v_xor_b32_e32 v16, s30, v16
	v_cmp_gt_i64_e64 s[30:31], 0, v[14:15]
	v_not_b32_e32 v15, v15
	v_ashrrev_i32_e32 v15, 31, v15
	v_and_b32_e32 v16, exec_lo, v16
	v_xor_b32_e32 v210, s31, v15
	v_xor_b32_e32 v15, s30, v15
	v_and_b32_e32 v16, v16, v15
	v_lshlrev_b32_e32 v15, 29, v19
	v_cmp_gt_i64_e64 s[30:31], 0, v[14:15]
	v_not_b32_e32 v15, v15
	v_ashrrev_i32_e32 v15, 31, v15
	v_and_b32_e32 v17, v17, v210
	v_xor_b32_e32 v210, s31, v15
	v_xor_b32_e32 v15, s30, v15
	v_and_b32_e32 v16, v16, v15
	v_lshlrev_b32_e32 v15, 28, v19
	v_cmp_gt_i64_e64 s[30:31], 0, v[14:15]
	v_not_b32_e32 v15, v15
	v_ashrrev_i32_e32 v15, 31, v15
	v_and_b32_e32 v17, v17, v210
	;; [unrolled: 8-line block ×5, first 2 shown]
	v_xor_b32_e32 v210, s31, v15
	v_xor_b32_e32 v15, s30, v15
	v_and_b32_e32 v16, v16, v15
	v_lshlrev_b32_e32 v15, 24, v19
	v_cmp_gt_i64_e64 s[30:31], 0, v[14:15]
	v_not_b32_e32 v15, v15
	v_ashrrev_i32_e32 v15, 31, v15
	v_xor_b32_e32 v19, s31, v15
	v_xor_b32_e32 v15, s30, v15
	v_and_b32_e32 v17, v17, v210
	v_and_b32_e32 v16, v16, v15
	v_and_b32_e32 v17, v17, v19
	v_mbcnt_lo_u32_b32 v15, v16, 0
	v_mbcnt_hi_u32_b32 v56, v17, v15
	v_cmp_eq_u32_e64 s[30:31], 0, v56
	v_cmp_ne_u64_e64 s[36:37], 0, v[16:17]
	s_and_b64 s[36:37], s[36:37], s[30:31]
	; wave barrier
	s_and_saveexec_b64 s[30:31], s[36:37]
	s_cbranch_execz .LBB809_65
; %bb.64:                               ;   in Loop: Header=BB809_53 Depth=1
	v_bcnt_u32_b32 v15, v16, 0
	v_bcnt_u32_b32 v15, v17, v15
	s_waitcnt vmcnt(0) lgkmcnt(0)
	v_add_u32_e32 v15, v47, v15
	flat_store_dword v[208:209], v15
.LBB809_65:                             ;   in Loop: Header=BB809_53 Depth=1
	s_or_b64 exec, exec, s[30:31]
	v_lshrrev_b64 v[16:17], v10, v[160:161]
	v_and_b32_e32 v19, v16, v18
	v_lshl_add_u32 v16, v19, 2, v105
	v_mov_b32_e32 v17, v14
	v_lshlrev_b64 v[16:17], 2, v[16:17]
	v_add_co_u32_e64 v210, s[30:31], v1, v16
	v_addc_co_u32_e64 v211, s[30:31], v23, v17, s[30:31]
	; wave barrier
	flat_load_dword v57, v[210:211]
	v_and_b32_e32 v15, 1, v19
	v_add_co_u32_e64 v16, s[30:31], -1, v15
	v_addc_co_u32_e64 v17, s[30:31], 0, -1, s[30:31]
	v_cmp_ne_u32_e64 s[30:31], 0, v15
	v_xor_b32_e32 v15, s31, v17
	v_and_b32_e32 v17, exec_hi, v15
	v_lshlrev_b32_e32 v15, 30, v19
	v_xor_b32_e32 v16, s30, v16
	v_cmp_gt_i64_e64 s[30:31], 0, v[14:15]
	v_not_b32_e32 v15, v15
	v_ashrrev_i32_e32 v15, 31, v15
	v_and_b32_e32 v16, exec_lo, v16
	v_xor_b32_e32 v212, s31, v15
	v_xor_b32_e32 v15, s30, v15
	v_and_b32_e32 v16, v16, v15
	v_lshlrev_b32_e32 v15, 29, v19
	v_cmp_gt_i64_e64 s[30:31], 0, v[14:15]
	v_not_b32_e32 v15, v15
	v_ashrrev_i32_e32 v15, 31, v15
	v_and_b32_e32 v17, v17, v212
	v_xor_b32_e32 v212, s31, v15
	v_xor_b32_e32 v15, s30, v15
	v_and_b32_e32 v16, v16, v15
	v_lshlrev_b32_e32 v15, 28, v19
	v_cmp_gt_i64_e64 s[30:31], 0, v[14:15]
	v_not_b32_e32 v15, v15
	v_ashrrev_i32_e32 v15, 31, v15
	v_and_b32_e32 v17, v17, v212
	;; [unrolled: 8-line block ×5, first 2 shown]
	v_xor_b32_e32 v212, s31, v15
	v_xor_b32_e32 v15, s30, v15
	v_and_b32_e32 v16, v16, v15
	v_lshlrev_b32_e32 v15, 24, v19
	v_cmp_gt_i64_e64 s[30:31], 0, v[14:15]
	v_not_b32_e32 v15, v15
	v_ashrrev_i32_e32 v15, 31, v15
	v_xor_b32_e32 v19, s31, v15
	v_xor_b32_e32 v15, s30, v15
	v_and_b32_e32 v17, v17, v212
	v_and_b32_e32 v16, v16, v15
	;; [unrolled: 1-line block ×3, first 2 shown]
	v_mbcnt_lo_u32_b32 v15, v16, 0
	v_mbcnt_hi_u32_b32 v58, v17, v15
	v_cmp_eq_u32_e64 s[30:31], 0, v58
	v_cmp_ne_u64_e64 s[36:37], 0, v[16:17]
	s_and_b64 s[36:37], s[36:37], s[30:31]
	; wave barrier
	s_and_saveexec_b64 s[30:31], s[36:37]
	s_cbranch_execz .LBB809_67
; %bb.66:                               ;   in Loop: Header=BB809_53 Depth=1
	v_bcnt_u32_b32 v15, v16, 0
	v_bcnt_u32_b32 v15, v17, v15
	s_waitcnt vmcnt(0) lgkmcnt(0)
	v_add_u32_e32 v15, v57, v15
	flat_store_dword v[210:211], v15
.LBB809_67:                             ;   in Loop: Header=BB809_53 Depth=1
	s_or_b64 exec, exec, s[30:31]
	v_lshrrev_b64 v[16:17], v10, v[150:151]
	v_and_b32_e32 v19, v16, v18
	v_lshl_add_u32 v16, v19, 2, v105
	v_mov_b32_e32 v17, v14
	v_lshlrev_b64 v[16:17], 2, v[16:17]
	v_add_co_u32_e64 v212, s[30:31], v1, v16
	v_addc_co_u32_e64 v213, s[30:31], v23, v17, s[30:31]
	; wave barrier
	flat_load_dword v59, v[212:213]
	v_and_b32_e32 v15, 1, v19
	v_add_co_u32_e64 v16, s[30:31], -1, v15
	v_addc_co_u32_e64 v17, s[30:31], 0, -1, s[30:31]
	v_cmp_ne_u32_e64 s[30:31], 0, v15
	v_xor_b32_e32 v15, s31, v17
	v_and_b32_e32 v17, exec_hi, v15
	v_lshlrev_b32_e32 v15, 30, v19
	v_xor_b32_e32 v16, s30, v16
	v_cmp_gt_i64_e64 s[30:31], 0, v[14:15]
	v_not_b32_e32 v15, v15
	v_ashrrev_i32_e32 v15, 31, v15
	v_and_b32_e32 v16, exec_lo, v16
	v_xor_b32_e32 v214, s31, v15
	v_xor_b32_e32 v15, s30, v15
	v_and_b32_e32 v16, v16, v15
	v_lshlrev_b32_e32 v15, 29, v19
	v_cmp_gt_i64_e64 s[30:31], 0, v[14:15]
	v_not_b32_e32 v15, v15
	v_ashrrev_i32_e32 v15, 31, v15
	v_and_b32_e32 v17, v17, v214
	v_xor_b32_e32 v214, s31, v15
	v_xor_b32_e32 v15, s30, v15
	v_and_b32_e32 v16, v16, v15
	v_lshlrev_b32_e32 v15, 28, v19
	v_cmp_gt_i64_e64 s[30:31], 0, v[14:15]
	v_not_b32_e32 v15, v15
	v_ashrrev_i32_e32 v15, 31, v15
	v_and_b32_e32 v17, v17, v214
	;; [unrolled: 8-line block ×5, first 2 shown]
	v_xor_b32_e32 v214, s31, v15
	v_xor_b32_e32 v15, s30, v15
	v_and_b32_e32 v16, v16, v15
	v_lshlrev_b32_e32 v15, 24, v19
	v_cmp_gt_i64_e64 s[30:31], 0, v[14:15]
	v_not_b32_e32 v15, v15
	v_ashrrev_i32_e32 v15, 31, v15
	v_xor_b32_e32 v19, s31, v15
	v_xor_b32_e32 v15, s30, v15
	v_and_b32_e32 v17, v17, v214
	v_and_b32_e32 v16, v16, v15
	;; [unrolled: 1-line block ×3, first 2 shown]
	v_mbcnt_lo_u32_b32 v15, v16, 0
	v_mbcnt_hi_u32_b32 v60, v17, v15
	v_cmp_eq_u32_e64 s[30:31], 0, v60
	v_cmp_ne_u64_e64 s[36:37], 0, v[16:17]
	s_and_b64 s[36:37], s[36:37], s[30:31]
	; wave barrier
	s_and_saveexec_b64 s[30:31], s[36:37]
	s_cbranch_execz .LBB809_69
; %bb.68:                               ;   in Loop: Header=BB809_53 Depth=1
	v_bcnt_u32_b32 v15, v16, 0
	v_bcnt_u32_b32 v15, v17, v15
	s_waitcnt vmcnt(0) lgkmcnt(0)
	v_add_u32_e32 v15, v59, v15
	flat_store_dword v[212:213], v15
.LBB809_69:                             ;   in Loop: Header=BB809_53 Depth=1
	s_or_b64 exec, exec, s[30:31]
	v_lshrrev_b64 v[16:17], v10, v[148:149]
	v_and_b32_e32 v19, v16, v18
	v_lshl_add_u32 v16, v19, 2, v105
	v_mov_b32_e32 v17, v14
	v_lshlrev_b64 v[16:17], 2, v[16:17]
	v_add_co_u32_e64 v214, s[30:31], v1, v16
	v_addc_co_u32_e64 v215, s[30:31], v23, v17, s[30:31]
	; wave barrier
	flat_load_dword v61, v[214:215]
	v_and_b32_e32 v15, 1, v19
	v_add_co_u32_e64 v16, s[30:31], -1, v15
	v_addc_co_u32_e64 v17, s[30:31], 0, -1, s[30:31]
	v_cmp_ne_u32_e64 s[30:31], 0, v15
	v_xor_b32_e32 v15, s31, v17
	v_and_b32_e32 v17, exec_hi, v15
	v_lshlrev_b32_e32 v15, 30, v19
	v_xor_b32_e32 v16, s30, v16
	v_cmp_gt_i64_e64 s[30:31], 0, v[14:15]
	v_not_b32_e32 v15, v15
	v_ashrrev_i32_e32 v15, 31, v15
	v_and_b32_e32 v16, exec_lo, v16
	v_xor_b32_e32 v224, s31, v15
	v_xor_b32_e32 v15, s30, v15
	v_and_b32_e32 v16, v16, v15
	v_lshlrev_b32_e32 v15, 29, v19
	v_cmp_gt_i64_e64 s[30:31], 0, v[14:15]
	v_not_b32_e32 v15, v15
	v_ashrrev_i32_e32 v15, 31, v15
	v_and_b32_e32 v17, v17, v224
	v_xor_b32_e32 v224, s31, v15
	v_xor_b32_e32 v15, s30, v15
	v_and_b32_e32 v16, v16, v15
	v_lshlrev_b32_e32 v15, 28, v19
	v_cmp_gt_i64_e64 s[30:31], 0, v[14:15]
	v_not_b32_e32 v15, v15
	v_ashrrev_i32_e32 v15, 31, v15
	v_and_b32_e32 v17, v17, v224
	;; [unrolled: 8-line block ×5, first 2 shown]
	v_xor_b32_e32 v224, s31, v15
	v_xor_b32_e32 v15, s30, v15
	v_and_b32_e32 v16, v16, v15
	v_lshlrev_b32_e32 v15, 24, v19
	v_cmp_gt_i64_e64 s[30:31], 0, v[14:15]
	v_not_b32_e32 v15, v15
	v_ashrrev_i32_e32 v15, 31, v15
	v_xor_b32_e32 v19, s31, v15
	v_xor_b32_e32 v15, s30, v15
	v_and_b32_e32 v17, v17, v224
	v_and_b32_e32 v16, v16, v15
	;; [unrolled: 1-line block ×3, first 2 shown]
	v_mbcnt_lo_u32_b32 v15, v16, 0
	v_mbcnt_hi_u32_b32 v62, v17, v15
	v_cmp_eq_u32_e64 s[30:31], 0, v62
	v_cmp_ne_u64_e64 s[36:37], 0, v[16:17]
	s_and_b64 s[36:37], s[36:37], s[30:31]
	; wave barrier
	s_and_saveexec_b64 s[30:31], s[36:37]
	s_cbranch_execz .LBB809_71
; %bb.70:                               ;   in Loop: Header=BB809_53 Depth=1
	v_bcnt_u32_b32 v15, v16, 0
	v_bcnt_u32_b32 v15, v17, v15
	s_waitcnt vmcnt(0) lgkmcnt(0)
	v_add_u32_e32 v15, v61, v15
	flat_store_dword v[214:215], v15
.LBB809_71:                             ;   in Loop: Header=BB809_53 Depth=1
	s_or_b64 exec, exec, s[30:31]
	v_lshrrev_b64 v[16:17], v10, v[146:147]
	v_and_b32_e32 v19, v16, v18
	v_lshl_add_u32 v16, v19, 2, v105
	v_mov_b32_e32 v17, v14
	v_lshlrev_b64 v[16:17], 2, v[16:17]
	v_add_co_u32_e64 v224, s[30:31], v1, v16
	v_addc_co_u32_e64 v225, s[30:31], v23, v17, s[30:31]
	; wave barrier
	flat_load_dword v63, v[224:225]
	v_and_b32_e32 v15, 1, v19
	v_add_co_u32_e64 v16, s[30:31], -1, v15
	v_addc_co_u32_e64 v17, s[30:31], 0, -1, s[30:31]
	v_cmp_ne_u32_e64 s[30:31], 0, v15
	v_xor_b32_e32 v15, s31, v17
	v_and_b32_e32 v17, exec_hi, v15
	v_lshlrev_b32_e32 v15, 30, v19
	v_xor_b32_e32 v16, s30, v16
	v_cmp_gt_i64_e64 s[30:31], 0, v[14:15]
	v_not_b32_e32 v15, v15
	v_ashrrev_i32_e32 v15, 31, v15
	v_and_b32_e32 v16, exec_lo, v16
	v_xor_b32_e32 v226, s31, v15
	v_xor_b32_e32 v15, s30, v15
	v_and_b32_e32 v16, v16, v15
	v_lshlrev_b32_e32 v15, 29, v19
	v_cmp_gt_i64_e64 s[30:31], 0, v[14:15]
	v_not_b32_e32 v15, v15
	v_ashrrev_i32_e32 v15, 31, v15
	v_and_b32_e32 v17, v17, v226
	v_xor_b32_e32 v226, s31, v15
	v_xor_b32_e32 v15, s30, v15
	v_and_b32_e32 v16, v16, v15
	v_lshlrev_b32_e32 v15, 28, v19
	v_cmp_gt_i64_e64 s[30:31], 0, v[14:15]
	v_not_b32_e32 v15, v15
	v_ashrrev_i32_e32 v15, 31, v15
	v_and_b32_e32 v17, v17, v226
	;; [unrolled: 8-line block ×5, first 2 shown]
	v_xor_b32_e32 v226, s31, v15
	v_xor_b32_e32 v15, s30, v15
	v_and_b32_e32 v16, v16, v15
	v_lshlrev_b32_e32 v15, 24, v19
	v_cmp_gt_i64_e64 s[30:31], 0, v[14:15]
	v_not_b32_e32 v15, v15
	v_ashrrev_i32_e32 v15, 31, v15
	v_xor_b32_e32 v19, s31, v15
	v_xor_b32_e32 v15, s30, v15
	v_and_b32_e32 v17, v17, v226
	v_and_b32_e32 v16, v16, v15
	;; [unrolled: 1-line block ×3, first 2 shown]
	v_mbcnt_lo_u32_b32 v15, v16, 0
	v_mbcnt_hi_u32_b32 v72, v17, v15
	v_cmp_eq_u32_e64 s[30:31], 0, v72
	v_cmp_ne_u64_e64 s[36:37], 0, v[16:17]
	s_and_b64 s[36:37], s[36:37], s[30:31]
	; wave barrier
	s_and_saveexec_b64 s[30:31], s[36:37]
	s_cbranch_execz .LBB809_73
; %bb.72:                               ;   in Loop: Header=BB809_53 Depth=1
	v_bcnt_u32_b32 v15, v16, 0
	v_bcnt_u32_b32 v15, v17, v15
	s_waitcnt vmcnt(0) lgkmcnt(0)
	v_add_u32_e32 v15, v63, v15
	flat_store_dword v[224:225], v15
.LBB809_73:                             ;   in Loop: Header=BB809_53 Depth=1
	s_or_b64 exec, exec, s[30:31]
	v_lshrrev_b64 v[16:17], v10, v[144:145]
	v_and_b32_e32 v19, v16, v18
	v_lshl_add_u32 v16, v19, 2, v105
	v_mov_b32_e32 v17, v14
	v_lshlrev_b64 v[16:17], 2, v[16:17]
	v_add_co_u32_e64 v226, s[30:31], v1, v16
	v_addc_co_u32_e64 v227, s[30:31], v23, v17, s[30:31]
	; wave barrier
	flat_load_dword v73, v[226:227]
	v_and_b32_e32 v15, 1, v19
	v_add_co_u32_e64 v16, s[30:31], -1, v15
	v_addc_co_u32_e64 v17, s[30:31], 0, -1, s[30:31]
	v_cmp_ne_u32_e64 s[30:31], 0, v15
	v_xor_b32_e32 v15, s31, v17
	v_and_b32_e32 v17, exec_hi, v15
	v_lshlrev_b32_e32 v15, 30, v19
	v_xor_b32_e32 v16, s30, v16
	v_cmp_gt_i64_e64 s[30:31], 0, v[14:15]
	v_not_b32_e32 v15, v15
	v_ashrrev_i32_e32 v15, 31, v15
	v_and_b32_e32 v16, exec_lo, v16
	v_xor_b32_e32 v228, s31, v15
	v_xor_b32_e32 v15, s30, v15
	v_and_b32_e32 v16, v16, v15
	v_lshlrev_b32_e32 v15, 29, v19
	v_cmp_gt_i64_e64 s[30:31], 0, v[14:15]
	v_not_b32_e32 v15, v15
	v_ashrrev_i32_e32 v15, 31, v15
	v_and_b32_e32 v17, v17, v228
	v_xor_b32_e32 v228, s31, v15
	v_xor_b32_e32 v15, s30, v15
	v_and_b32_e32 v16, v16, v15
	v_lshlrev_b32_e32 v15, 28, v19
	v_cmp_gt_i64_e64 s[30:31], 0, v[14:15]
	v_not_b32_e32 v15, v15
	v_ashrrev_i32_e32 v15, 31, v15
	v_and_b32_e32 v17, v17, v228
	;; [unrolled: 8-line block ×5, first 2 shown]
	v_xor_b32_e32 v228, s31, v15
	v_xor_b32_e32 v15, s30, v15
	v_and_b32_e32 v16, v16, v15
	v_lshlrev_b32_e32 v15, 24, v19
	v_cmp_gt_i64_e64 s[30:31], 0, v[14:15]
	v_not_b32_e32 v15, v15
	v_ashrrev_i32_e32 v15, 31, v15
	v_xor_b32_e32 v19, s31, v15
	v_xor_b32_e32 v15, s30, v15
	v_and_b32_e32 v17, v17, v228
	v_and_b32_e32 v16, v16, v15
	;; [unrolled: 1-line block ×3, first 2 shown]
	v_mbcnt_lo_u32_b32 v15, v16, 0
	v_mbcnt_hi_u32_b32 v74, v17, v15
	v_cmp_eq_u32_e64 s[30:31], 0, v74
	v_cmp_ne_u64_e64 s[36:37], 0, v[16:17]
	s_and_b64 s[36:37], s[36:37], s[30:31]
	; wave barrier
	s_and_saveexec_b64 s[30:31], s[36:37]
	s_cbranch_execz .LBB809_75
; %bb.74:                               ;   in Loop: Header=BB809_53 Depth=1
	v_bcnt_u32_b32 v15, v16, 0
	v_bcnt_u32_b32 v15, v17, v15
	s_waitcnt vmcnt(0) lgkmcnt(0)
	v_add_u32_e32 v15, v73, v15
	flat_store_dword v[226:227], v15
.LBB809_75:                             ;   in Loop: Header=BB809_53 Depth=1
	s_or_b64 exec, exec, s[30:31]
	v_lshrrev_b64 v[16:17], v10, v[134:135]
	v_and_b32_e32 v19, v16, v18
	v_lshl_add_u32 v16, v19, 2, v105
	v_mov_b32_e32 v17, v14
	v_lshlrev_b64 v[16:17], 2, v[16:17]
	v_add_co_u32_e64 v228, s[30:31], v1, v16
	v_addc_co_u32_e64 v229, s[30:31], v23, v17, s[30:31]
	; wave barrier
	flat_load_dword v75, v[228:229]
	v_and_b32_e32 v15, 1, v19
	v_add_co_u32_e64 v16, s[30:31], -1, v15
	v_addc_co_u32_e64 v17, s[30:31], 0, -1, s[30:31]
	v_cmp_ne_u32_e64 s[30:31], 0, v15
	v_xor_b32_e32 v15, s31, v17
	v_and_b32_e32 v17, exec_hi, v15
	v_lshlrev_b32_e32 v15, 30, v19
	v_xor_b32_e32 v16, s30, v16
	v_cmp_gt_i64_e64 s[30:31], 0, v[14:15]
	v_not_b32_e32 v15, v15
	v_ashrrev_i32_e32 v15, 31, v15
	v_and_b32_e32 v16, exec_lo, v16
	v_xor_b32_e32 v230, s31, v15
	v_xor_b32_e32 v15, s30, v15
	v_and_b32_e32 v16, v16, v15
	v_lshlrev_b32_e32 v15, 29, v19
	v_cmp_gt_i64_e64 s[30:31], 0, v[14:15]
	v_not_b32_e32 v15, v15
	v_ashrrev_i32_e32 v15, 31, v15
	v_and_b32_e32 v17, v17, v230
	v_xor_b32_e32 v230, s31, v15
	v_xor_b32_e32 v15, s30, v15
	v_and_b32_e32 v16, v16, v15
	v_lshlrev_b32_e32 v15, 28, v19
	v_cmp_gt_i64_e64 s[30:31], 0, v[14:15]
	v_not_b32_e32 v15, v15
	v_ashrrev_i32_e32 v15, 31, v15
	v_and_b32_e32 v17, v17, v230
	;; [unrolled: 8-line block ×5, first 2 shown]
	v_xor_b32_e32 v230, s31, v15
	v_xor_b32_e32 v15, s30, v15
	v_and_b32_e32 v16, v16, v15
	v_lshlrev_b32_e32 v15, 24, v19
	v_cmp_gt_i64_e64 s[30:31], 0, v[14:15]
	v_not_b32_e32 v15, v15
	v_ashrrev_i32_e32 v15, 31, v15
	v_xor_b32_e32 v19, s31, v15
	v_xor_b32_e32 v15, s30, v15
	v_and_b32_e32 v17, v17, v230
	v_and_b32_e32 v16, v16, v15
	;; [unrolled: 1-line block ×3, first 2 shown]
	v_mbcnt_lo_u32_b32 v15, v16, 0
	v_mbcnt_hi_u32_b32 v76, v17, v15
	v_cmp_eq_u32_e64 s[30:31], 0, v76
	v_cmp_ne_u64_e64 s[36:37], 0, v[16:17]
	s_and_b64 s[36:37], s[36:37], s[30:31]
	; wave barrier
	s_and_saveexec_b64 s[30:31], s[36:37]
	s_cbranch_execz .LBB809_77
; %bb.76:                               ;   in Loop: Header=BB809_53 Depth=1
	v_bcnt_u32_b32 v15, v16, 0
	v_bcnt_u32_b32 v15, v17, v15
	s_waitcnt vmcnt(0) lgkmcnt(0)
	v_add_u32_e32 v15, v75, v15
	flat_store_dword v[228:229], v15
.LBB809_77:                             ;   in Loop: Header=BB809_53 Depth=1
	s_or_b64 exec, exec, s[30:31]
	v_lshrrev_b64 v[16:17], v10, v[132:133]
	v_and_b32_e32 v19, v16, v18
	v_lshl_add_u32 v16, v19, 2, v105
	v_mov_b32_e32 v17, v14
	v_lshlrev_b64 v[16:17], 2, v[16:17]
	v_add_co_u32_e64 v230, s[30:31], v1, v16
	v_addc_co_u32_e64 v231, s[30:31], v23, v17, s[30:31]
	; wave barrier
	flat_load_dword v77, v[230:231]
	v_and_b32_e32 v15, 1, v19
	v_add_co_u32_e64 v16, s[30:31], -1, v15
	v_addc_co_u32_e64 v17, s[30:31], 0, -1, s[30:31]
	v_cmp_ne_u32_e64 s[30:31], 0, v15
	v_xor_b32_e32 v15, s31, v17
	v_and_b32_e32 v17, exec_hi, v15
	v_lshlrev_b32_e32 v15, 30, v19
	v_xor_b32_e32 v16, s30, v16
	v_cmp_gt_i64_e64 s[30:31], 0, v[14:15]
	v_not_b32_e32 v15, v15
	v_ashrrev_i32_e32 v15, 31, v15
	v_and_b32_e32 v16, exec_lo, v16
	v_xor_b32_e32 v240, s31, v15
	v_xor_b32_e32 v15, s30, v15
	v_and_b32_e32 v16, v16, v15
	v_lshlrev_b32_e32 v15, 29, v19
	v_cmp_gt_i64_e64 s[30:31], 0, v[14:15]
	v_not_b32_e32 v15, v15
	v_ashrrev_i32_e32 v15, 31, v15
	v_and_b32_e32 v17, v17, v240
	v_xor_b32_e32 v240, s31, v15
	v_xor_b32_e32 v15, s30, v15
	v_and_b32_e32 v16, v16, v15
	v_lshlrev_b32_e32 v15, 28, v19
	v_cmp_gt_i64_e64 s[30:31], 0, v[14:15]
	v_not_b32_e32 v15, v15
	v_ashrrev_i32_e32 v15, 31, v15
	v_and_b32_e32 v17, v17, v240
	;; [unrolled: 8-line block ×5, first 2 shown]
	v_xor_b32_e32 v240, s31, v15
	v_xor_b32_e32 v15, s30, v15
	v_and_b32_e32 v16, v16, v15
	v_lshlrev_b32_e32 v15, 24, v19
	v_cmp_gt_i64_e64 s[30:31], 0, v[14:15]
	v_not_b32_e32 v15, v15
	v_ashrrev_i32_e32 v15, 31, v15
	v_xor_b32_e32 v19, s31, v15
	v_xor_b32_e32 v15, s30, v15
	v_and_b32_e32 v17, v17, v240
	v_and_b32_e32 v16, v16, v15
	;; [unrolled: 1-line block ×3, first 2 shown]
	v_mbcnt_lo_u32_b32 v15, v16, 0
	v_mbcnt_hi_u32_b32 v78, v17, v15
	v_cmp_eq_u32_e64 s[30:31], 0, v78
	v_cmp_ne_u64_e64 s[36:37], 0, v[16:17]
	s_and_b64 s[36:37], s[36:37], s[30:31]
	; wave barrier
	s_and_saveexec_b64 s[30:31], s[36:37]
	s_cbranch_execz .LBB809_79
; %bb.78:                               ;   in Loop: Header=BB809_53 Depth=1
	v_bcnt_u32_b32 v15, v16, 0
	v_bcnt_u32_b32 v15, v17, v15
	s_waitcnt vmcnt(0) lgkmcnt(0)
	v_add_u32_e32 v15, v77, v15
	flat_store_dword v[230:231], v15
.LBB809_79:                             ;   in Loop: Header=BB809_53 Depth=1
	s_or_b64 exec, exec, s[30:31]
	v_lshrrev_b64 v[16:17], v10, v[130:131]
	v_and_b32_e32 v19, v16, v18
	v_lshl_add_u32 v16, v19, 2, v105
	v_mov_b32_e32 v17, v14
	v_lshlrev_b64 v[16:17], 2, v[16:17]
	v_add_co_u32_e64 v240, s[30:31], v1, v16
	v_addc_co_u32_e64 v241, s[30:31], v23, v17, s[30:31]
	; wave barrier
	flat_load_dword v79, v[240:241]
	v_and_b32_e32 v15, 1, v19
	v_add_co_u32_e64 v16, s[30:31], -1, v15
	v_addc_co_u32_e64 v17, s[30:31], 0, -1, s[30:31]
	v_cmp_ne_u32_e64 s[30:31], 0, v15
	v_xor_b32_e32 v15, s31, v17
	v_and_b32_e32 v17, exec_hi, v15
	v_lshlrev_b32_e32 v15, 30, v19
	v_xor_b32_e32 v16, s30, v16
	v_cmp_gt_i64_e64 s[30:31], 0, v[14:15]
	v_not_b32_e32 v15, v15
	v_ashrrev_i32_e32 v15, 31, v15
	v_and_b32_e32 v16, exec_lo, v16
	v_xor_b32_e32 v242, s31, v15
	v_xor_b32_e32 v15, s30, v15
	v_and_b32_e32 v16, v16, v15
	v_lshlrev_b32_e32 v15, 29, v19
	v_cmp_gt_i64_e64 s[30:31], 0, v[14:15]
	v_not_b32_e32 v15, v15
	v_ashrrev_i32_e32 v15, 31, v15
	v_and_b32_e32 v17, v17, v242
	v_xor_b32_e32 v242, s31, v15
	v_xor_b32_e32 v15, s30, v15
	v_and_b32_e32 v16, v16, v15
	v_lshlrev_b32_e32 v15, 28, v19
	v_cmp_gt_i64_e64 s[30:31], 0, v[14:15]
	v_not_b32_e32 v15, v15
	v_ashrrev_i32_e32 v15, 31, v15
	v_and_b32_e32 v17, v17, v242
	;; [unrolled: 8-line block ×5, first 2 shown]
	v_xor_b32_e32 v242, s31, v15
	v_xor_b32_e32 v15, s30, v15
	v_and_b32_e32 v16, v16, v15
	v_lshlrev_b32_e32 v15, 24, v19
	v_cmp_gt_i64_e64 s[30:31], 0, v[14:15]
	v_not_b32_e32 v15, v15
	v_ashrrev_i32_e32 v15, 31, v15
	v_xor_b32_e32 v19, s31, v15
	v_xor_b32_e32 v15, s30, v15
	v_and_b32_e32 v17, v17, v242
	v_and_b32_e32 v16, v16, v15
	;; [unrolled: 1-line block ×3, first 2 shown]
	v_mbcnt_lo_u32_b32 v15, v16, 0
	v_mbcnt_hi_u32_b32 v88, v17, v15
	v_cmp_eq_u32_e64 s[30:31], 0, v88
	v_cmp_ne_u64_e64 s[36:37], 0, v[16:17]
	s_and_b64 s[36:37], s[36:37], s[30:31]
	; wave barrier
	s_and_saveexec_b64 s[30:31], s[36:37]
	s_cbranch_execz .LBB809_81
; %bb.80:                               ;   in Loop: Header=BB809_53 Depth=1
	v_bcnt_u32_b32 v15, v16, 0
	v_bcnt_u32_b32 v15, v17, v15
	s_waitcnt vmcnt(0) lgkmcnt(0)
	v_add_u32_e32 v15, v79, v15
	flat_store_dword v[240:241], v15
.LBB809_81:                             ;   in Loop: Header=BB809_53 Depth=1
	s_or_b64 exec, exec, s[30:31]
	v_lshrrev_b64 v[16:17], v10, v[128:129]
	v_and_b32_e32 v19, v16, v18
	v_lshl_add_u32 v16, v19, 2, v105
	v_mov_b32_e32 v17, v14
	v_lshlrev_b64 v[16:17], 2, v[16:17]
	v_add_co_u32_e64 v242, s[30:31], v1, v16
	v_addc_co_u32_e64 v243, s[30:31], v23, v17, s[30:31]
	; wave barrier
	flat_load_dword v89, v[242:243]
	v_and_b32_e32 v15, 1, v19
	v_add_co_u32_e64 v16, s[30:31], -1, v15
	v_addc_co_u32_e64 v17, s[30:31], 0, -1, s[30:31]
	v_cmp_ne_u32_e64 s[30:31], 0, v15
	v_xor_b32_e32 v15, s31, v17
	v_and_b32_e32 v17, exec_hi, v15
	v_lshlrev_b32_e32 v15, 30, v19
	v_xor_b32_e32 v16, s30, v16
	v_cmp_gt_i64_e64 s[30:31], 0, v[14:15]
	v_not_b32_e32 v15, v15
	v_ashrrev_i32_e32 v15, 31, v15
	v_and_b32_e32 v16, exec_lo, v16
	v_xor_b32_e32 v244, s31, v15
	v_xor_b32_e32 v15, s30, v15
	v_and_b32_e32 v16, v16, v15
	v_lshlrev_b32_e32 v15, 29, v19
	v_cmp_gt_i64_e64 s[30:31], 0, v[14:15]
	v_not_b32_e32 v15, v15
	v_ashrrev_i32_e32 v15, 31, v15
	v_and_b32_e32 v17, v17, v244
	v_xor_b32_e32 v244, s31, v15
	v_xor_b32_e32 v15, s30, v15
	v_and_b32_e32 v16, v16, v15
	v_lshlrev_b32_e32 v15, 28, v19
	v_cmp_gt_i64_e64 s[30:31], 0, v[14:15]
	v_not_b32_e32 v15, v15
	v_ashrrev_i32_e32 v15, 31, v15
	v_and_b32_e32 v17, v17, v244
	;; [unrolled: 8-line block ×5, first 2 shown]
	v_xor_b32_e32 v244, s31, v15
	v_xor_b32_e32 v15, s30, v15
	v_and_b32_e32 v16, v16, v15
	v_lshlrev_b32_e32 v15, 24, v19
	v_cmp_gt_i64_e64 s[30:31], 0, v[14:15]
	v_not_b32_e32 v15, v15
	v_ashrrev_i32_e32 v15, 31, v15
	v_xor_b32_e32 v19, s31, v15
	v_xor_b32_e32 v15, s30, v15
	v_and_b32_e32 v17, v17, v244
	v_and_b32_e32 v16, v16, v15
	;; [unrolled: 1-line block ×3, first 2 shown]
	v_mbcnt_lo_u32_b32 v15, v16, 0
	v_mbcnt_hi_u32_b32 v90, v17, v15
	v_cmp_eq_u32_e64 s[30:31], 0, v90
	v_cmp_ne_u64_e64 s[36:37], 0, v[16:17]
	s_and_b64 s[36:37], s[36:37], s[30:31]
	; wave barrier
	s_and_saveexec_b64 s[30:31], s[36:37]
	s_cbranch_execz .LBB809_83
; %bb.82:                               ;   in Loop: Header=BB809_53 Depth=1
	v_bcnt_u32_b32 v15, v16, 0
	v_bcnt_u32_b32 v15, v17, v15
	s_waitcnt vmcnt(0) lgkmcnt(0)
	v_add_u32_e32 v15, v89, v15
	flat_store_dword v[242:243], v15
.LBB809_83:                             ;   in Loop: Header=BB809_53 Depth=1
	s_or_b64 exec, exec, s[30:31]
	v_lshrrev_b64 v[16:17], v10, v[118:119]
	v_and_b32_e32 v18, v16, v18
	v_lshl_add_u32 v16, v18, 2, v105
	v_mov_b32_e32 v17, v14
	v_lshlrev_b64 v[16:17], 2, v[16:17]
	v_add_co_u32_e64 v244, s[30:31], v1, v16
	v_addc_co_u32_e64 v245, s[30:31], v23, v17, s[30:31]
	; wave barrier
	flat_load_dword v91, v[244:245]
	v_and_b32_e32 v15, 1, v18
	v_add_co_u32_e64 v16, s[30:31], -1, v15
	v_addc_co_u32_e64 v17, s[30:31], 0, -1, s[30:31]
	v_cmp_ne_u32_e64 s[30:31], 0, v15
	v_xor_b32_e32 v15, s31, v17
	v_and_b32_e32 v17, exec_hi, v15
	v_lshlrev_b32_e32 v15, 30, v18
	v_xor_b32_e32 v16, s30, v16
	v_cmp_gt_i64_e64 s[30:31], 0, v[14:15]
	v_not_b32_e32 v15, v15
	v_ashrrev_i32_e32 v15, 31, v15
	v_and_b32_e32 v16, exec_lo, v16
	v_xor_b32_e32 v19, s31, v15
	v_xor_b32_e32 v15, s30, v15
	v_and_b32_e32 v16, v16, v15
	v_lshlrev_b32_e32 v15, 29, v18
	v_cmp_gt_i64_e64 s[30:31], 0, v[14:15]
	v_not_b32_e32 v15, v15
	v_ashrrev_i32_e32 v15, 31, v15
	v_and_b32_e32 v17, v17, v19
	v_xor_b32_e32 v19, s31, v15
	v_xor_b32_e32 v15, s30, v15
	v_and_b32_e32 v16, v16, v15
	v_lshlrev_b32_e32 v15, 28, v18
	v_cmp_gt_i64_e64 s[30:31], 0, v[14:15]
	v_not_b32_e32 v15, v15
	v_ashrrev_i32_e32 v15, 31, v15
	v_and_b32_e32 v17, v17, v19
	;; [unrolled: 8-line block ×5, first 2 shown]
	v_xor_b32_e32 v19, s31, v15
	v_xor_b32_e32 v15, s30, v15
	v_and_b32_e32 v16, v16, v15
	v_lshlrev_b32_e32 v15, 24, v18
	v_cmp_gt_i64_e64 s[30:31], 0, v[14:15]
	v_not_b32_e32 v15, v15
	v_ashrrev_i32_e32 v15, 31, v15
	v_xor_b32_e32 v18, s31, v15
	v_xor_b32_e32 v15, s30, v15
	v_and_b32_e32 v17, v17, v19
	v_and_b32_e32 v16, v16, v15
	;; [unrolled: 1-line block ×3, first 2 shown]
	v_mbcnt_lo_u32_b32 v15, v16, 0
	v_mbcnt_hi_u32_b32 v15, v17, v15
	v_cmp_eq_u32_e64 s[30:31], 0, v15
	v_cmp_ne_u64_e64 s[36:37], 0, v[16:17]
	s_and_b64 s[36:37], s[36:37], s[30:31]
	; wave barrier
	s_and_saveexec_b64 s[30:31], s[36:37]
	s_cbranch_execz .LBB809_85
; %bb.84:                               ;   in Loop: Header=BB809_53 Depth=1
	v_bcnt_u32_b32 v16, v16, 0
	v_bcnt_u32_b32 v16, v17, v16
	s_waitcnt vmcnt(0) lgkmcnt(0)
	v_add_u32_e32 v16, v91, v16
	flat_store_dword v[244:245], v16
.LBB809_85:                             ;   in Loop: Header=BB809_53 Depth=1
	s_or_b64 exec, exec, s[30:31]
	; wave barrier
	s_waitcnt lgkmcnt(0)
	s_barrier
	flat_load_dwordx4 v[16:19], v[4:5] offset:16
	s_waitcnt vmcnt(0) lgkmcnt(0)
	v_add_u32_e32 v92, v17, v16
	v_add3_u32 v19, v92, v18, v19
	s_nop 1
	v_mov_b32_dpp v92, v19 row_shr:1 row_mask:0xf bank_mask:0xf
	v_cndmask_b32_e64 v92, v92, 0, vcc
	v_add_u32_e32 v19, v92, v19
	s_nop 1
	v_mov_b32_dpp v92, v19 row_shr:2 row_mask:0xf bank_mask:0xf
	v_cndmask_b32_e64 v92, 0, v92, s[4:5]
	v_add_u32_e32 v19, v19, v92
	s_nop 1
	v_mov_b32_dpp v92, v19 row_shr:4 row_mask:0xf bank_mask:0xf
	v_cndmask_b32_e64 v92, 0, v92, s[6:7]
	;; [unrolled: 4-line block ×3, first 2 shown]
	v_add_u32_e32 v19, v19, v92
	s_nop 1
	v_mov_b32_dpp v92, v19 row_bcast:15 row_mask:0xf bank_mask:0xf
	v_cndmask_b32_e64 v92, v92, 0, s[34:35]
	v_add_u32_e32 v19, v19, v92
	s_nop 1
	v_mov_b32_dpp v92, v19 row_bcast:31 row_mask:0xf bank_mask:0xf
	v_cndmask_b32_e64 v92, 0, v92, s[14:15]
	v_add_u32_e32 v19, v19, v92
	s_and_saveexec_b64 s[30:31], s[16:17]
	s_cbranch_execz .LBB809_87
; %bb.86:                               ;   in Loop: Header=BB809_53 Depth=1
	flat_store_dword v[70:71], v19
.LBB809_87:                             ;   in Loop: Header=BB809_53 Depth=1
	s_or_b64 exec, exec, s[30:31]
	s_waitcnt lgkmcnt(0)
	s_barrier
	s_and_saveexec_b64 s[30:31], s[18:19]
	s_cbranch_execz .LBB809_89
; %bb.88:                               ;   in Loop: Header=BB809_53 Depth=1
	flat_load_dword v92, v[80:81]
	s_waitcnt vmcnt(0) lgkmcnt(0)
	s_nop 0
	v_mov_b32_dpp v93, v92 row_shr:1 row_mask:0xf bank_mask:0xf
	v_cndmask_b32_e64 v93, v93, 0, s[26:27]
	v_add_u32_e32 v92, v93, v92
	s_nop 1
	v_mov_b32_dpp v93, v92 row_shr:2 row_mask:0xf bank_mask:0xf
	v_cndmask_b32_e64 v93, 0, v93, s[28:29]
	v_add_u32_e32 v92, v92, v93
	flat_store_dword v[80:81], v92
.LBB809_89:                             ;   in Loop: Header=BB809_53 Depth=1
	s_or_b64 exec, exec, s[30:31]
	v_mov_b32_e32 v92, 0
	s_waitcnt lgkmcnt(0)
	s_barrier
	s_and_saveexec_b64 s[30:31], s[20:21]
	s_cbranch_execz .LBB809_91
; %bb.90:                               ;   in Loop: Header=BB809_53 Depth=1
	flat_load_dword v92, v[82:83]
.LBB809_91:                             ;   in Loop: Header=BB809_53 Depth=1
	s_or_b64 exec, exec, s[30:31]
	s_waitcnt vmcnt(0) lgkmcnt(0)
	v_add_u32_e32 v19, v92, v19
	ds_bpermute_b32 v19, v106, v19
	v_add_u32_e32 v10, 8, v10
	v_cmp_lt_u32_e64 s[30:31], v10, v11
	s_mov_b64 s[40:41], -1
                                        ; implicit-def: $agpr0_agpr1
                                        ; implicit-def: $agpr2_agpr3
                                        ; implicit-def: $agpr4_agpr5
                                        ; implicit-def: $agpr6_agpr7
                                        ; implicit-def: $agpr8_agpr9
                                        ; implicit-def: $agpr10_agpr11
                                        ; implicit-def: $agpr12_agpr13
                                        ; implicit-def: $agpr14_agpr15
                                        ; implicit-def: $agpr16_agpr17
                                        ; implicit-def: $agpr18_agpr19
                                        ; implicit-def: $agpr20_agpr21
                                        ; implicit-def: $agpr22_agpr23
                                        ; implicit-def: $agpr24_agpr25
	s_waitcnt lgkmcnt(0)
	v_cndmask_b32_e64 v19, v19, v92, s[22:23]
	v_cndmask_b32_e64 v92, v19, 0, s[24:25]
	v_add_u32_e32 v93, v92, v16
	v_add_u32_e32 v94, v93, v17
	;; [unrolled: 1-line block ×3, first 2 shown]
	flat_store_dwordx4 v[4:5], v[92:95] offset:16
	s_waitcnt lgkmcnt(0)
	s_barrier
	flat_load_dword v16, v[182:183]
	flat_load_dword v18, v[192:193]
	s_nop 0
	flat_load_dword v182, v[194:195]
	flat_load_dword v192, v[196:197]
	s_nop 0
	;; [unrolled: 3-line block ×4, first 2 shown]
	flat_load_dword v210, v[214:215]
	flat_load_dword v211, v[224:225]
	;; [unrolled: 1-line block ×3, first 2 shown]
	s_nop 0
	flat_load_dword v215, v[228:229]
	flat_load_dword v225, v[230:231]
	;; [unrolled: 1-line block ×3, first 2 shown]
	s_nop 0
	flat_load_dword v229, v[242:243]
	flat_load_dword v231, v[244:245]
	v_mov_b32_e32 v17, v14
	v_mov_b32_e32 v19, v14
	;; [unrolled: 1-line block ×9, first 2 shown]
	s_waitcnt lgkmcnt(0)
                                        ; implicit-def: $vgpr242_vgpr243
                                        ; implicit-def: $vgpr244_vgpr245
	s_waitcnt vmcnt(0) lgkmcnt(0)
	v_add_u32_e32 v16, v16, v246
	v_lshlrev_b64 v[16:17], 3, v[16:17]
	v_add3_u32 v18, v40, v247, v18
	v_add_co_u32_e64 v40, s[36:37], v12, v16
	v_add3_u32 v182, v42, v41, v182
	v_lshlrev_b64 v[18:19], 3, v[18:19]
	v_addc_co_u32_e64 v41, s[36:37], v13, v17, s[36:37]
	v_add_co_u32_e64 v42, s[36:37], v12, v18
	v_add3_u32 v192, v44, v43, v192
	v_lshlrev_b64 v[182:183], 3, v[182:183]
	v_addc_co_u32_e64 v43, s[36:37], v13, v19, s[36:37]
	;; [unrolled: 4-line block ×7, first 2 shown]
	v_add3_u32 v212, v72, v63, v211
	v_add_co_u32_e64 v62, s[36:37], v12, v208
	v_mov_b32_e32 v211, v14
	v_addc_co_u32_e64 v63, s[36:37], v13, v209, s[36:37]
	v_lshlrev_b64 v[16:17], 3, v[210:211]
	v_add3_u32 v214, v74, v73, v213
	v_add_co_u32_e64 v72, s[36:37], v12, v16
	v_mov_b32_e32 v213, v14
	v_addc_co_u32_e64 v73, s[36:37], v13, v17, s[36:37]
	v_lshlrev_b64 v[16:17], 3, v[212:213]
	;; [unrolled: 5-line block ×7, first 2 shown]
	v_add_co_u32_e64 v92, s[36:37], v12, v16
	v_addc_co_u32_e64 v93, s[36:37], v13, v17, s[36:37]
	v_lshlrev_b64 v[16:17], 3, v[240:241]
	v_add_co_u32_e64 v94, s[36:37], v12, v16
	v_addc_co_u32_e64 v95, s[36:37], v13, v17, s[36:37]
                                        ; implicit-def: $vgpr246_vgpr247
                                        ; implicit-def: $vgpr16_vgpr17
                                        ; implicit-def: $vgpr18_vgpr19
                                        ; implicit-def: $vgpr182_vgpr183
                                        ; implicit-def: $vgpr192_vgpr193
                                        ; implicit-def: $vgpr194_vgpr195
                                        ; implicit-def: $vgpr196_vgpr197
                                        ; implicit-def: $vgpr198_vgpr199
                                        ; implicit-def: $vgpr208_vgpr209
                                        ; implicit-def: $vgpr210_vgpr211
                                        ; implicit-def: $vgpr212_vgpr213
                                        ; implicit-def: $vgpr214_vgpr215
                                        ; implicit-def: $vgpr224_vgpr225
                                        ; implicit-def: $vgpr226_vgpr227
                                        ; implicit-def: $vgpr228_vgpr229
                                        ; implicit-def: $vgpr230_vgpr231
                                        ; implicit-def: $vgpr240_vgpr241
	s_and_saveexec_b64 s[36:37], s[30:31]
	s_cbranch_execz .LBB809_52
; %bb.92:                               ;   in Loop: Header=BB809_53 Depth=1
	s_barrier
	flat_store_dwordx2 v[40:41], v[180:181]
	flat_store_dwordx2 v[42:43], v[178:179]
	;; [unrolled: 1-line block ×16, first 2 shown]
	s_waitcnt lgkmcnt(0)
	s_barrier
	flat_load_dwordx2 v[16:17], v[84:85]
	flat_load_dwordx2 v[18:19], v[84:85] offset:512
	flat_load_dwordx2 v[182:183], v[84:85] offset:1024
	;; [unrolled: 1-line block ×7, first 2 shown]
	flat_load_dwordx2 v[210:211], v[86:87]
	flat_load_dwordx2 v[212:213], v[96:97]
	;; [unrolled: 1-line block ×8, first 2 shown]
	s_waitcnt lgkmcnt(0)
	s_barrier
	flat_store_dwordx2 v[40:41], v[68:69]
	flat_store_dwordx2 v[42:43], v[66:67]
	;; [unrolled: 1-line block ×16, first 2 shown]
	s_waitcnt lgkmcnt(0)
	s_barrier
	flat_load_dwordx2 v[242:243], v[84:85]
	flat_load_dwordx2 v[244:245], v[84:85] offset:512
	flat_load_dwordx2 v[246:247], v[84:85] offset:1024
	;; [unrolled: 1-line block ×7, first 2 shown]
	flat_load_dwordx2 a[10:11], v[86:87]
	flat_load_dwordx2 a[12:13], v[96:97]
	;; [unrolled: 1-line block ×8, first 2 shown]
	v_add_u32_e32 v107, -8, v107
	s_xor_b64 s[40:41], exec, -1
	s_waitcnt lgkmcnt(0)
	s_barrier
	s_branch .LBB809_52
.LBB809_93:
	s_or_b64 exec, exec, s[38:39]
	v_lshlrev_b32_e32 v1, 3, v22
	v_add_co_u32_e32 v4, vcc, v12, v1
	v_addc_co_u32_e32 v5, vcc, 0, v13, vcc
	s_movk_i32 s4, 0x1000
	s_barrier
	flat_store_dwordx2 v[40:41], v[180:181]
	flat_store_dwordx2 v[42:43], v[178:179]
	;; [unrolled: 1-line block ×16, first 2 shown]
	v_add_co_u32_e32 v134, vcc, s4, v4
	v_lshlrev_b32_e32 v1, 3, v22
	v_addc_co_u32_e32 v135, vcc, 0, v5, vcc
	v_or_b32_e32 v10, 0x2000, v1
	v_add_co_u32_e32 v144, vcc, v12, v10
	s_movk_i32 s4, 0x2000
	v_addc_co_u32_e32 v145, vcc, 0, v13, vcc
	v_add_co_u32_e32 v146, vcc, s4, v4
	v_addc_co_u32_e32 v147, vcc, 0, v5, vcc
	s_movk_i32 s4, 0x3000
	v_add_co_u32_e32 v148, vcc, s4, v4
	v_addc_co_u32_e32 v149, vcc, 0, v5, vcc
	v_or_b32_e32 v10, 0x4000, v1
	v_add_co_u32_e32 v150, vcc, v12, v10
	s_movk_i32 s4, 0x4000
	v_addc_co_u32_e32 v151, vcc, 0, v13, vcc
	v_add_co_u32_e32 v160, vcc, s4, v4
	v_addc_co_u32_e32 v161, vcc, 0, v5, vcc
	s_movk_i32 s4, 0x5000
	v_add_co_u32_e32 v162, vcc, s4, v4
	;; [unrolled: 9-line block ×3, first 2 shown]
	s_waitcnt lgkmcnt(0)
	s_barrier
	flat_load_dwordx2 v[132:133], v[4:5]
	flat_load_dwordx2 v[130:131], v[4:5] offset:2048
	flat_load_dwordx2 v[128:129], v[134:135]
	flat_load_dwordx2 v[118:119], v[134:135] offset:2048
	;; [unrolled: 2-line block ×6, first 2 shown]
	v_addc_co_u32_e32 v177, vcc, 0, v5, vcc
	flat_load_dwordx2 v[84:85], v[164:165]
	flat_load_dwordx2 v[82:83], v[166:167] offset:2048
	flat_load_dwordx2 v[80:81], v[176:177]
	flat_load_dwordx2 v[70:71], v[176:177] offset:2048
	s_waitcnt lgkmcnt(0)
	s_barrier
	flat_store_dwordx2 v[40:41], v[68:69]
	flat_store_dwordx2 v[42:43], v[66:67]
	;; [unrolled: 1-line block ×16, first 2 shown]
	s_waitcnt lgkmcnt(0)
	s_barrier
	flat_load_dwordx2 v[38:39], v[4:5]
	flat_load_dwordx2 v[36:37], v[4:5] offset:2048
	flat_load_dwordx2 v[34:35], v[134:135]
	flat_load_dwordx2 v[32:33], v[134:135] offset:2048
	;; [unrolled: 2-line block ×7, first 2 shown]
	flat_load_dwordx2 v[8:9], v[176:177]
                                        ; kill: killed $vgpr144 killed $vgpr145
                                        ; kill: killed $vgpr150 killed $vgpr151
                                        ; kill: killed $vgpr164 killed $vgpr165
                                        ; kill: killed $vgpr148 killed $vgpr149
                                        ; kill: killed $vgpr146 killed $vgpr147
                                        ; kill: killed $vgpr162 killed $vgpr163
                                        ; kill: killed $vgpr4 killed $vgpr5
                                        ; kill: killed $vgpr160 killed $vgpr161
                                        ; kill: killed $vgpr166 killed $vgpr167
                                        ; kill: killed $vgpr134 killed $vgpr135
	s_nop 0
	flat_load_dwordx2 v[4:5], v[176:177] offset:2048
	v_mov_b32_e32 v1, 0
	v_add_co_u32_e32 v48, vcc, v2, v20
	v_addc_co_u32_e32 v49, vcc, v3, v21, vcc
	v_lshlrev_b64 v[2:3], 3, v[0:1]
	v_add_co_u32_e32 v48, vcc, v48, v2
	v_addc_co_u32_e32 v49, vcc, v49, v3, vcc
	v_cmp_lt_u32_e64 s[4:5], v0, v104
	s_waitcnt lgkmcnt(0)
	s_barrier
	s_and_saveexec_b64 s[6:7], s[4:5]
	s_cbranch_execz .LBB809_95
; %bb.94:
	s_waitcnt vmcnt(0)
	v_xor_b32_e32 v133, 0x80000000, v133
	flat_store_dwordx2 v[48:49], v[132:133]
.LBB809_95:
	s_or_b64 exec, exec, s[6:7]
	v_add_u32_e32 v1, 0x100, v0
	v_cmp_lt_u32_e64 s[6:7], v1, v104
	s_and_saveexec_b64 s[10:11], s[6:7]
	s_cbranch_execz .LBB809_97
; %bb.96:
	s_waitcnt vmcnt(0)
	v_xor_b32_e32 v131, 0x80000000, v131
	flat_store_dwordx2 v[48:49], v[130:131] offset:2048
.LBB809_97:
	s_or_b64 exec, exec, s[10:11]
	v_add_u32_e32 v1, 0x200, v0
	v_cmp_lt_u32_e64 s[10:11], v1, v104
	s_and_saveexec_b64 s[14:15], s[10:11]
	s_cbranch_execz .LBB809_99
; %bb.98:
	v_add_co_u32_e32 v50, vcc, 0x1000, v48
	s_waitcnt vmcnt(0)
	v_xor_b32_e32 v129, 0x80000000, v129
	v_addc_co_u32_e32 v51, vcc, 0, v49, vcc
	flat_store_dwordx2 v[50:51], v[128:129]
.LBB809_99:
	s_or_b64 exec, exec, s[14:15]
	v_add_u32_e32 v1, 0x300, v0
	v_cmp_lt_u32_e64 s[40:41], v1, v104
	s_and_saveexec_b64 s[14:15], s[40:41]
	s_cbranch_execz .LBB809_101
; %bb.100:
	v_add_co_u32_e32 v50, vcc, 0x1000, v48
	s_waitcnt vmcnt(0)
	v_xor_b32_e32 v119, 0x80000000, v119
	v_addc_co_u32_e32 v51, vcc, 0, v49, vcc
	flat_store_dwordx2 v[50:51], v[118:119] offset:2048
.LBB809_101:
	s_or_b64 exec, exec, s[14:15]
	v_add_u32_e32 v1, 0x400, v0
	v_cmp_lt_u32_e64 s[14:15], v1, v104
	s_and_saveexec_b64 s[16:17], s[14:15]
	s_cbranch_execz .LBB809_103
; %bb.102:
	v_add_co_u32_e32 v50, vcc, 0x2000, v48
	s_waitcnt vmcnt(0)
	v_xor_b32_e32 v117, 0x80000000, v117
	v_addc_co_u32_e32 v51, vcc, 0, v49, vcc
	flat_store_dwordx2 v[50:51], v[116:117]
.LBB809_103:
	s_or_b64 exec, exec, s[16:17]
	v_add_u32_e32 v1, 0x500, v0
	v_cmp_lt_u32_e64 s[16:17], v1, v104
	s_and_saveexec_b64 s[18:19], s[16:17]
	s_cbranch_execz .LBB809_105
; %bb.104:
	v_add_co_u32_e32 v50, vcc, 0x2000, v48
	s_waitcnt vmcnt(0)
	v_xor_b32_e32 v115, 0x80000000, v115
	v_addc_co_u32_e32 v51, vcc, 0, v49, vcc
	flat_store_dwordx2 v[50:51], v[114:115] offset:2048
.LBB809_105:
	s_or_b64 exec, exec, s[18:19]
	v_add_u32_e32 v1, 0x600, v0
	v_cmp_lt_u32_e64 s[18:19], v1, v104
	s_and_saveexec_b64 s[20:21], s[18:19]
	s_cbranch_execz .LBB809_107
; %bb.106:
	v_add_co_u32_e32 v50, vcc, 0x3000, v48
	s_waitcnt vmcnt(0)
	v_xor_b32_e32 v113, 0x80000000, v113
	v_addc_co_u32_e32 v51, vcc, 0, v49, vcc
	flat_store_dwordx2 v[50:51], v[112:113]
.LBB809_107:
	s_or_b64 exec, exec, s[20:21]
	v_add_u32_e32 v1, 0x700, v0
	v_cmp_lt_u32_e64 s[20:21], v1, v104
	s_and_saveexec_b64 s[22:23], s[20:21]
	s_cbranch_execz .LBB809_109
; %bb.108:
	v_add_co_u32_e32 v50, vcc, 0x3000, v48
	s_waitcnt vmcnt(0)
	v_xor_b32_e32 v103, 0x80000000, v103
	v_addc_co_u32_e32 v51, vcc, 0, v49, vcc
	flat_store_dwordx2 v[50:51], v[102:103] offset:2048
.LBB809_109:
	s_or_b64 exec, exec, s[22:23]
	v_add_u32_e32 v1, 0x800, v0
	v_cmp_lt_u32_e64 s[22:23], v1, v104
	s_and_saveexec_b64 s[24:25], s[22:23]
	s_cbranch_execz .LBB809_111
; %bb.110:
	v_add_co_u32_e32 v50, vcc, 0x4000, v48
	s_waitcnt vmcnt(0)
	v_xor_b32_e32 v101, 0x80000000, v101
	v_addc_co_u32_e32 v51, vcc, 0, v49, vcc
	flat_store_dwordx2 v[50:51], v[100:101]
.LBB809_111:
	s_or_b64 exec, exec, s[24:25]
	v_add_u32_e32 v1, 0x900, v0
	v_cmp_lt_u32_e64 s[24:25], v1, v104
	s_and_saveexec_b64 s[26:27], s[24:25]
	s_cbranch_execz .LBB809_113
; %bb.112:
	v_add_co_u32_e32 v50, vcc, 0x4000, v48
	s_waitcnt vmcnt(0)
	v_xor_b32_e32 v99, 0x80000000, v99
	v_addc_co_u32_e32 v51, vcc, 0, v49, vcc
	flat_store_dwordx2 v[50:51], v[98:99] offset:2048
.LBB809_113:
	s_or_b64 exec, exec, s[26:27]
	v_add_u32_e32 v1, 0xa00, v0
	v_cmp_lt_u32_e64 s[26:27], v1, v104
	s_and_saveexec_b64 s[28:29], s[26:27]
	s_cbranch_execz .LBB809_115
; %bb.114:
	v_add_co_u32_e32 v50, vcc, 0x5000, v48
	s_waitcnt vmcnt(0)
	v_xor_b32_e32 v97, 0x80000000, v97
	v_addc_co_u32_e32 v51, vcc, 0, v49, vcc
	flat_store_dwordx2 v[50:51], v[96:97]
.LBB809_115:
	s_or_b64 exec, exec, s[28:29]
	v_add_u32_e32 v1, 0xb00, v0
	v_cmp_lt_u32_e64 s[28:29], v1, v104
	s_and_saveexec_b64 s[30:31], s[28:29]
	s_cbranch_execz .LBB809_117
; %bb.116:
	v_add_co_u32_e32 v50, vcc, 0x5000, v48
	s_waitcnt vmcnt(0)
	v_xor_b32_e32 v87, 0x80000000, v87
	v_addc_co_u32_e32 v51, vcc, 0, v49, vcc
	flat_store_dwordx2 v[50:51], v[86:87] offset:2048
.LBB809_117:
	s_or_b64 exec, exec, s[30:31]
	v_add_u32_e32 v1, 0xc00, v0
	v_cmp_lt_u32_e64 s[30:31], v1, v104
	s_and_saveexec_b64 s[34:35], s[30:31]
	s_cbranch_execz .LBB809_119
; %bb.118:
	v_add_co_u32_e32 v50, vcc, 0x6000, v48
	s_waitcnt vmcnt(0)
	v_xor_b32_e32 v85, 0x80000000, v85
	v_addc_co_u32_e32 v51, vcc, 0, v49, vcc
	flat_store_dwordx2 v[50:51], v[84:85]
.LBB809_119:
	s_or_b64 exec, exec, s[34:35]
	v_add_u32_e32 v1, 0xd00, v0
	v_cmp_lt_u32_e64 s[34:35], v1, v104
	s_and_saveexec_b64 s[36:37], s[34:35]
	s_cbranch_execz .LBB809_121
; %bb.120:
	v_add_co_u32_e32 v50, vcc, 0x6000, v48
	s_waitcnt vmcnt(0)
	v_xor_b32_e32 v83, 0x80000000, v83
	v_addc_co_u32_e32 v51, vcc, 0, v49, vcc
	flat_store_dwordx2 v[50:51], v[82:83] offset:2048
.LBB809_121:
	s_or_b64 exec, exec, s[36:37]
	v_add_u32_e32 v1, 0xe00, v0
	v_cmp_lt_u32_e64 s[36:37], v1, v104
	s_and_saveexec_b64 s[38:39], s[36:37]
	s_cbranch_execz .LBB809_123
; %bb.122:
	v_add_co_u32_e32 v50, vcc, 0x7000, v48
	s_waitcnt vmcnt(0)
	v_xor_b32_e32 v81, 0x80000000, v81
	v_addc_co_u32_e32 v51, vcc, 0, v49, vcc
	flat_store_dwordx2 v[50:51], v[80:81]
.LBB809_123:
	s_or_b64 exec, exec, s[38:39]
	v_add_u32_e32 v0, 0xf00, v0
	v_cmp_lt_u32_e64 s[38:39], v0, v104
	s_and_saveexec_b64 s[46:47], s[38:39]
	s_cbranch_execz .LBB809_125
; %bb.124:
	v_add_co_u32_e32 v0, vcc, 0x7000, v48
	s_waitcnt vmcnt(0)
	v_xor_b32_e32 v71, 0x80000000, v71
	v_addc_co_u32_e32 v1, vcc, 0, v49, vcc
	flat_store_dwordx2 v[0:1], v[70:71] offset:2048
.LBB809_125:
	s_or_b64 exec, exec, s[46:47]
	v_add_co_u32_e32 v0, vcc, v6, v20
	v_addc_co_u32_e32 v1, vcc, v7, v21, vcc
	v_add_co_u32_e32 v0, vcc, v0, v2
	v_addc_co_u32_e32 v1, vcc, v1, v3, vcc
	s_and_saveexec_b64 vcc, s[4:5]
	s_cbranch_execnz .LBB809_211
; %bb.126:
	s_or_b64 exec, exec, vcc
	s_and_saveexec_b64 s[4:5], s[6:7]
	s_cbranch_execnz .LBB809_212
.LBB809_127:
	s_or_b64 exec, exec, s[4:5]
	s_and_saveexec_b64 s[4:5], s[10:11]
	s_cbranch_execnz .LBB809_213
.LBB809_128:
	s_or_b64 exec, exec, s[4:5]
	s_and_saveexec_b64 s[4:5], s[40:41]
	s_cbranch_execnz .LBB809_214
.LBB809_129:
	s_or_b64 exec, exec, s[4:5]
	s_and_saveexec_b64 s[4:5], s[14:15]
	s_cbranch_execnz .LBB809_215
.LBB809_130:
	s_or_b64 exec, exec, s[4:5]
	s_and_saveexec_b64 s[4:5], s[16:17]
	s_cbranch_execnz .LBB809_216
.LBB809_131:
	s_or_b64 exec, exec, s[4:5]
	s_and_saveexec_b64 s[4:5], s[18:19]
	s_cbranch_execnz .LBB809_217
.LBB809_132:
	s_or_b64 exec, exec, s[4:5]
	s_and_saveexec_b64 s[4:5], s[20:21]
	s_cbranch_execnz .LBB809_218
.LBB809_133:
	s_or_b64 exec, exec, s[4:5]
	s_and_saveexec_b64 s[4:5], s[22:23]
	s_cbranch_execnz .LBB809_219
.LBB809_134:
	s_or_b64 exec, exec, s[4:5]
	s_and_saveexec_b64 s[4:5], s[24:25]
	s_cbranch_execnz .LBB809_220
.LBB809_135:
	s_or_b64 exec, exec, s[4:5]
	s_and_saveexec_b64 s[4:5], s[26:27]
	s_cbranch_execnz .LBB809_221
.LBB809_136:
	s_or_b64 exec, exec, s[4:5]
	s_and_saveexec_b64 s[4:5], s[28:29]
	s_cbranch_execnz .LBB809_222
.LBB809_137:
	s_or_b64 exec, exec, s[4:5]
	s_and_saveexec_b64 s[4:5], s[30:31]
	s_cbranch_execnz .LBB809_223
.LBB809_138:
	s_or_b64 exec, exec, s[4:5]
	s_and_saveexec_b64 s[4:5], s[34:35]
	s_cbranch_execnz .LBB809_224
.LBB809_139:
	s_or_b64 exec, exec, s[4:5]
	s_and_saveexec_b64 s[4:5], s[36:37]
	s_cbranch_execnz .LBB809_225
.LBB809_140:
	s_or_b64 exec, exec, s[4:5]
	s_and_saveexec_b64 s[4:5], s[38:39]
	s_cbranch_execz .LBB809_142
.LBB809_141:
	v_add_co_u32_e32 v0, vcc, 0x7000, v0
	v_addc_co_u32_e32 v1, vcc, 0, v1, vcc
	s_waitcnt vmcnt(0)
	flat_store_dwordx2 v[0:1], v[4:5] offset:2048
.LBB809_142:
	s_or_b64 exec, exec, s[4:5]
                                        ; implicit-def: $vgpr104
                                        ; implicit-def: $vgpr0
                                        ; implicit-def: $vgpr1
                                        ; implicit-def: $vgpr2
                                        ; implicit-def: $vgpr3
                                        ; implicit-def: $vgpr4
                                        ; implicit-def: $vgpr5
                                        ; implicit-def: $vgpr6
                                        ; implicit-def: $vgpr7
                                        ; implicit-def: $vgpr8
                                        ; implicit-def: $vgpr10
                                        ; implicit-def: $vgpr11
                                        ; implicit-def: $vgpr12
                                        ; implicit-def: $vgpr13
                                        ; implicit-def: $vgpr31
                                        ; implicit-def: $vgpr14
                                        ; implicit-def: $vgpr16
                                        ; implicit-def: $vgpr15
.LBB809_143:
	s_andn2_saveexec_b64 s[4:5], s[44:45]
	s_cbranch_execz .LBB809_372
; %bb.144:
	s_movk_i32 s4, 0x400
	v_cmp_lt_u32_e32 vcc, s4, v104
	s_and_saveexec_b64 s[4:5], vcc
	s_xor_b64 s[38:39], exec, s[4:5]
	s_cbranch_execz .LBB809_252
; %bb.145:
	s_load_dwordx2 s[4:5], s[8:9], 0x0
	s_waitcnt vmcnt(0)
	v_mov_b32_e32 v9, 0
	v_mbcnt_hi_u32_b32 v25, -1, v15
	v_lshlrev_b64 v[20:21], 3, v[8:9]
	v_and_b32_e32 v24, 63, v25
	s_waitcnt lgkmcnt(0)
	s_cmp_lt_u32 s12, s4
	s_cselect_b32 s6, 12, 18
	s_cmp_lt_u32 s13, s5
	s_cselect_b32 s4, 14, 20
	s_add_u32 s4, s8, s4
	s_addc_u32 s5, s9, 0
	s_add_u32 s6, s8, s6
	global_load_ushort v17, v9, s[4:5]
	s_addc_u32 s7, s9, 0
	global_load_ushort v18, v9, s[6:7]
	v_add_co_u32_e32 v0, vcc, v0, v20
	v_addc_co_u32_e32 v1, vcc, v1, v21, vcc
	v_lshlrev_b32_e32 v23, 3, v24
	v_and_b32_e32 v22, 0x3ff, v31
	v_add_co_u32_e32 v19, vcc, v0, v23
	v_addc_co_u32_e32 v26, vcc, 0, v1, vcc
	s_mov_b32 s6, -1
	s_brev_b32 s7, -2
	s_waitcnt vmcnt(1)
	v_mad_u32_u24 v0, v16, v17, v14
	v_pk_mov_b32 v[16:17], s[6:7], s[6:7] op_sel:[0,1]
	s_waitcnt vmcnt(0)
	v_mad_u64_u32 v[0:1], s[4:5], v0, v18, v[22:23]
	v_lshlrev_b32_e32 v1, 3, v0
	v_and_b32_e32 v8, 0xfffffe00, v1
	v_lshlrev_b64 v[14:15], 3, v[8:9]
	v_or_b32_e32 v1, v8, v24
	v_add_co_u32_e32 v8, vcc, v19, v14
	v_addc_co_u32_e32 v9, vcc, v26, v15, vcc
	v_cmp_lt_u32_e32 vcc, v1, v104
	s_and_saveexec_b64 s[4:5], vcc
	s_cbranch_execz .LBB809_147
; %bb.146:
	flat_load_dwordx2 v[16:17], v[8:9]
.LBB809_147:
	s_or_b64 exec, exec, s[4:5]
	v_or_b32_e32 v18, 64, v1
	v_cmp_lt_u32_e64 s[4:5], v18, v104
	v_pk_mov_b32 v[18:19], s[6:7], s[6:7] op_sel:[0,1]
	s_and_saveexec_b64 s[6:7], s[4:5]
	s_cbranch_execz .LBB809_149
; %bb.148:
	flat_load_dwordx2 v[18:19], v[8:9] offset:512
.LBB809_149:
	s_or_b64 exec, exec, s[6:7]
	s_mov_b32 s14, -1
	v_or_b32_e32 v26, 0x80, v1
	s_brev_b32 s15, -2
	v_cmp_lt_u32_e64 s[6:7], v26, v104
	v_pk_mov_b32 v[86:87], s[14:15], s[14:15] op_sel:[0,1]
	s_and_saveexec_b64 s[10:11], s[6:7]
	s_cbranch_execz .LBB809_151
; %bb.150:
	flat_load_dwordx2 v[86:87], v[8:9] offset:1024
.LBB809_151:
	s_or_b64 exec, exec, s[10:11]
	v_or_b32_e32 v26, 0xc0, v1
	v_cmp_lt_u32_e64 s[10:11], v26, v104
	v_pk_mov_b32 v[96:97], s[14:15], s[14:15] op_sel:[0,1]
	s_and_saveexec_b64 s[14:15], s[10:11]
	s_cbranch_execz .LBB809_153
; %bb.152:
	flat_load_dwordx2 v[96:97], v[8:9] offset:1536
.LBB809_153:
	s_or_b64 exec, exec, s[14:15]
	s_mov_b32 s16, -1
	v_or_b32_e32 v26, 0x100, v1
	s_brev_b32 s17, -2
	v_cmp_lt_u32_e64 s[20:21], v26, v104
	v_pk_mov_b32 v[98:99], s[16:17], s[16:17] op_sel:[0,1]
	s_and_saveexec_b64 s[14:15], s[20:21]
	s_cbranch_execz .LBB809_155
; %bb.154:
	flat_load_dwordx2 v[98:99], v[8:9] offset:2048
.LBB809_155:
	;; [unrolled: 20-line block ×3, first 2 shown]
	s_or_b64 exec, exec, s[18:19]
	v_or_b32_e32 v1, 0x1c0, v1
	v_cmp_lt_u32_e64 s[18:19], v1, v104
	v_pk_mov_b32 v[112:113], s[22:23], s[22:23] op_sel:[0,1]
	s_and_saveexec_b64 s[22:23], s[18:19]
	s_cbranch_execz .LBB809_161
; %bb.160:
	flat_load_dwordx2 v[112:113], v[8:9] offset:3584
.LBB809_161:
	s_or_b64 exec, exec, s[22:23]
	v_add_co_u32_e64 v1, s[22:23], v4, v20
	v_addc_co_u32_e64 v4, s[22:23], v5, v21, s[22:23]
	v_add_co_u32_e64 v1, s[22:23], v1, v23
	v_addc_co_u32_e64 v5, s[22:23], 0, v4, s[22:23]
	v_add_co_u32_e64 v4, s[22:23], v1, v14
	v_addc_co_u32_e64 v5, s[22:23], v5, v15, s[22:23]
                                        ; implicit-def: $vgpr114_vgpr115
	s_and_saveexec_b64 s[22:23], vcc
	s_cbranch_execnz .LBB809_285
; %bb.162:
	s_or_b64 exec, exec, s[22:23]
                                        ; implicit-def: $vgpr116_vgpr117
	s_and_saveexec_b64 s[22:23], s[4:5]
	s_cbranch_execnz .LBB809_286
.LBB809_163:
	s_or_b64 exec, exec, s[22:23]
                                        ; implicit-def: $vgpr118_vgpr119
	s_and_saveexec_b64 s[4:5], s[6:7]
	s_cbranch_execnz .LBB809_287
.LBB809_164:
	s_or_b64 exec, exec, s[4:5]
                                        ; implicit-def: $vgpr128_vgpr129
	s_and_saveexec_b64 s[4:5], s[10:11]
	s_cbranch_execnz .LBB809_288
.LBB809_165:
	s_or_b64 exec, exec, s[4:5]
                                        ; implicit-def: $vgpr130_vgpr131
	s_and_saveexec_b64 s[4:5], s[20:21]
	s_cbranch_execnz .LBB809_289
.LBB809_166:
	s_or_b64 exec, exec, s[4:5]
                                        ; implicit-def: $vgpr132_vgpr133
	s_and_saveexec_b64 s[4:5], s[14:15]
	s_cbranch_execnz .LBB809_290
.LBB809_167:
	s_or_b64 exec, exec, s[4:5]
                                        ; implicit-def: $vgpr134_vgpr135
	s_and_saveexec_b64 s[4:5], s[16:17]
	s_cbranch_execnz .LBB809_291
.LBB809_168:
	s_or_b64 exec, exec, s[4:5]
                                        ; implicit-def: $vgpr144_vgpr145
	s_and_saveexec_b64 s[4:5], s[18:19]
	s_cbranch_execz .LBB809_170
.LBB809_169:
	flat_load_dwordx2 v[144:145], v[4:5] offset:3584
.LBB809_170:
	s_or_b64 exec, exec, s[4:5]
	v_add_co_u32_e32 v1, vcc, 16, v12
	v_and_b32_e32 v15, 0x3c0, v22
	v_addc_co_u32_e32 v23, vcc, 0, v13, vcc
	v_lshlrev_b32_e32 v4, 4, v22
	v_min_u32_e32 v15, 0xc0, v15
	v_add_co_u32_e32 v4, vcc, v12, v4
	v_or_b32_e32 v15, 63, v15
	s_getpc_b64 s[4:5]
	s_add_u32 s4, s4, _ZN7rocprim17ROCPRIM_400000_NS16block_radix_sortIlLj256ELj8ElLj1ELj1ELj8ELNS0_26block_radix_rank_algorithmE2ELNS0_18block_padding_hintE2ELNS0_4arch9wavefront6targetE1EE19radix_bits_per_passE@rel32@lo+4
	s_addc_u32 s5, s5, _ZN7rocprim17ROCPRIM_400000_NS16block_radix_sortIlLj256ELj8ElLj1ELj1ELj8ELNS0_26block_radix_rank_algorithmE2ELNS0_18block_padding_hintE2ELNS0_4arch9wavefront6targetE1EE19radix_bits_per_passE@rel32@hi+12
	v_addc_co_u32_e32 v5, vcc, 0, v13, vcc
	v_and_b32_e32 v9, 15, v25
	v_cmp_eq_u32_e64 s[16:17], v15, v22
	v_add_u32_e32 v15, -1, v25
	v_and_b32_e32 v26, 64, v25
	s_load_dword s46, s[4:5], 0x0
	v_cmp_eq_u32_e32 vcc, 0, v9
	v_cmp_lt_u32_e64 s[4:5], 1, v9
	v_cmp_lt_u32_e64 s[6:7], 3, v9
	v_cmp_lt_u32_e64 s[10:11], 7, v9
	v_and_b32_e32 v9, 16, v25
	v_cmp_lt_i32_e64 s[22:23], v15, v26
	v_cmp_eq_u32_e64 s[30:31], 0, v9
	v_lshrrev_b32_e32 v9, 6, v22
	v_cndmask_b32_e64 v15, v15, v25, s[22:23]
	v_lshlrev_b32_e32 v179, 2, v15
	v_lshlrev_b32_e32 v15, 2, v9
	v_add_co_u32_e64 v38, s[26:27], v12, v15
	v_lshlrev_b32_e32 v8, 2, v22
	v_addc_co_u32_e64 v39, s[26:27], 0, v13, s[26:27]
	v_add_co_u32_e64 v48, s[26:27], v12, v8
	v_mov_b32_e32 v14, 0
	v_addc_co_u32_e64 v49, s[26:27], 0, v13, s[26:27]
	v_and_b32_e32 v8, 3, v25
	v_cmp_eq_u32_e64 s[26:27], 0, v8
	v_cmp_lt_u32_e64 s[28:29], 1, v8
	v_add_u32_e32 v8, -1, v9
	v_mov_b32_e32 v9, v14
	v_lshlrev_b64 v[8:9], 2, v[8:9]
	v_add_co_u32_e64 v50, s[34:35], v12, v8
	v_addc_co_u32_e64 v51, s[34:35], v13, v9, s[34:35]
	v_lshlrev_b32_e32 v8, 3, v22
	s_movk_i32 s34, 0x1e00
	v_and_or_b32 v8, v8, s34, v24
	v_lshlrev_b32_e32 v8, 3, v8
	v_add_co_u32_e64 v52, s[34:35], v12, v8
	s_waitcnt vmcnt(0) lgkmcnt(0)
	v_xor_b32_e32 v17, 0x80000000, v17
	v_xor_b32_e32 v19, 0x80000000, v19
	v_xor_b32_e32 v87, 0x80000000, v87
	v_xor_b32_e32 v97, 0x80000000, v97
	v_xor_b32_e32 v99, 0x80000000, v99
	v_xor_b32_e32 v101, 0x80000000, v101
	v_xor_b32_e32 v103, 0x80000000, v103
	v_xor_b32_e32 v113, 0x80000000, v113
	v_lshrrev_b32_e32 v178, 6, v0
	v_cmp_lt_u32_e64 s[14:15], 31, v25
	v_cmp_gt_u32_e64 s[18:19], 4, v22
	v_cmp_lt_u32_e64 s[20:21], 63, v22
	v_cmp_eq_u32_e64 s[22:23], 0, v25
	v_cmp_eq_u32_e64 s[24:25], 0, v22
	v_addc_co_u32_e64 v53, s[34:35], 0, v13, s[34:35]
	v_sub_u32_e32 v180, v11, v10
	s_mov_b64 s[40:41], 0
	s_barrier
	s_branch .LBB809_172
.LBB809_171:                            ;   in Loop: Header=BB809_172 Depth=1
	s_or_b64 exec, exec, s[36:37]
	s_and_b64 s[34:35], exec, s[44:45]
	s_or_b64 s[40:41], s[34:35], s[40:41]
	s_andn2_b64 exec, exec, s[40:41]
	s_cbranch_execz .LBB809_226
.LBB809_172:                            ; =>This Inner Loop Header: Depth=1
	s_waitcnt vmcnt(0)
	v_pk_mov_b32 v[84:85], v[16:17], v[16:17] op_sel:[0,1]
	v_pk_mov_b32 v[82:83], v[18:19], v[18:19] op_sel:[0,1]
	v_min_u32_e32 v18, s46, v180
	v_mov_b32_e32 v15, v14
	v_mov_b32_e32 v16, v14
	;; [unrolled: 1-line block ×3, first 2 shown]
	flat_store_dwordx4 v[4:5], v[14:17] offset:16
	v_pk_mov_b32 v[80:81], v[86:87], v[86:87] op_sel:[0,1]
	v_lshlrev_b32_e64 v15, v18, -1
	v_not_b32_e32 v18, v15
	v_lshrrev_b64 v[16:17], v10, v[84:85]
	v_and_b32_e32 v19, v16, v18
	v_lshl_add_u32 v16, v19, 2, v178
	v_mov_b32_e32 v17, v14
	v_lshlrev_b64 v[16:17], 2, v[16:17]
	v_add_co_u32_e64 v86, s[34:35], v1, v16
	v_addc_co_u32_e64 v87, s[34:35], v23, v17, s[34:35]
	v_and_b32_e32 v15, 1, v19
	v_add_co_u32_e64 v16, s[34:35], -1, v15
	v_addc_co_u32_e64 v17, s[34:35], 0, -1, s[34:35]
	v_cmp_ne_u32_e64 s[34:35], 0, v15
	v_xor_b32_e32 v15, s35, v17
	v_and_b32_e32 v17, exec_hi, v15
	v_lshlrev_b32_e32 v15, 30, v19
	v_xor_b32_e32 v16, s34, v16
	v_cmp_gt_i64_e64 s[34:35], 0, v[14:15]
	v_not_b32_e32 v15, v15
	v_ashrrev_i32_e32 v15, 31, v15
	v_pk_mov_b32 v[70:71], v[96:97], v[96:97] op_sel:[0,1]
	v_and_b32_e32 v16, exec_lo, v16
	v_xor_b32_e32 v96, s35, v15
	v_xor_b32_e32 v15, s34, v15
	v_and_b32_e32 v16, v16, v15
	v_lshlrev_b32_e32 v15, 29, v19
	v_cmp_gt_i64_e64 s[34:35], 0, v[14:15]
	v_not_b32_e32 v15, v15
	v_ashrrev_i32_e32 v15, 31, v15
	v_and_b32_e32 v17, v17, v96
	v_xor_b32_e32 v96, s35, v15
	v_xor_b32_e32 v15, s34, v15
	v_and_b32_e32 v16, v16, v15
	v_lshlrev_b32_e32 v15, 28, v19
	v_cmp_gt_i64_e64 s[34:35], 0, v[14:15]
	v_not_b32_e32 v15, v15
	v_ashrrev_i32_e32 v15, 31, v15
	v_and_b32_e32 v17, v17, v96
	;; [unrolled: 8-line block ×5, first 2 shown]
	v_xor_b32_e32 v96, s35, v15
	v_xor_b32_e32 v15, s34, v15
	v_and_b32_e32 v16, v16, v15
	v_lshlrev_b32_e32 v15, 24, v19
	v_cmp_gt_i64_e64 s[34:35], 0, v[14:15]
	v_not_b32_e32 v15, v15
	v_ashrrev_i32_e32 v15, 31, v15
	v_xor_b32_e32 v19, s35, v15
	v_xor_b32_e32 v15, s34, v15
	v_and_b32_e32 v17, v17, v96
	v_and_b32_e32 v16, v16, v15
	;; [unrolled: 1-line block ×3, first 2 shown]
	v_mbcnt_lo_u32_b32 v15, v16, 0
	v_pk_mov_b32 v[32:33], v[118:119], v[118:119] op_sel:[0,1]
	v_mbcnt_hi_u32_b32 v118, v17, v15
	v_cmp_eq_u32_e64 s[34:35], 0, v118
	v_cmp_ne_u64_e64 s[36:37], 0, v[16:17]
	v_pk_mov_b32 v[36:37], v[114:115], v[114:115] op_sel:[0,1]
	v_pk_mov_b32 v[34:35], v[116:117], v[116:117] op_sel:[0,1]
	;; [unrolled: 1-line block ×11, first 2 shown]
	s_and_b64 s[36:37], s[36:37], s[34:35]
	s_waitcnt lgkmcnt(0)
	s_barrier
	s_waitcnt lgkmcnt(0)
	; wave barrier
	s_and_saveexec_b64 s[34:35], s[36:37]
	s_cbranch_execz .LBB809_174
; %bb.173:                              ;   in Loop: Header=BB809_172 Depth=1
	v_bcnt_u32_b32 v15, v16, 0
	v_bcnt_u32_b32 v15, v17, v15
	flat_store_dword v[86:87], v15
.LBB809_174:                            ;   in Loop: Header=BB809_172 Depth=1
	s_or_b64 exec, exec, s[34:35]
	v_lshrrev_b64 v[16:17], v10, v[82:83]
	v_and_b32_e32 v19, v16, v18
	v_lshl_add_u32 v16, v19, 2, v178
	v_mov_b32_e32 v17, v14
	v_lshlrev_b64 v[16:17], 2, v[16:17]
	v_add_co_u32_e64 v96, s[34:35], v1, v16
	v_addc_co_u32_e64 v97, s[34:35], v23, v17, s[34:35]
	; wave barrier
	flat_load_dword v119, v[96:97]
	v_and_b32_e32 v15, 1, v19
	v_add_co_u32_e64 v16, s[34:35], -1, v15
	v_addc_co_u32_e64 v17, s[34:35], 0, -1, s[34:35]
	v_cmp_ne_u32_e64 s[34:35], 0, v15
	v_xor_b32_e32 v15, s35, v17
	v_and_b32_e32 v17, exec_hi, v15
	v_lshlrev_b32_e32 v15, 30, v19
	v_xor_b32_e32 v16, s34, v16
	v_cmp_gt_i64_e64 s[34:35], 0, v[14:15]
	v_not_b32_e32 v15, v15
	v_ashrrev_i32_e32 v15, 31, v15
	v_and_b32_e32 v16, exec_lo, v16
	v_xor_b32_e32 v98, s35, v15
	v_xor_b32_e32 v15, s34, v15
	v_and_b32_e32 v16, v16, v15
	v_lshlrev_b32_e32 v15, 29, v19
	v_cmp_gt_i64_e64 s[34:35], 0, v[14:15]
	v_not_b32_e32 v15, v15
	v_ashrrev_i32_e32 v15, 31, v15
	v_and_b32_e32 v17, v17, v98
	v_xor_b32_e32 v98, s35, v15
	v_xor_b32_e32 v15, s34, v15
	v_and_b32_e32 v16, v16, v15
	v_lshlrev_b32_e32 v15, 28, v19
	v_cmp_gt_i64_e64 s[34:35], 0, v[14:15]
	v_not_b32_e32 v15, v15
	v_ashrrev_i32_e32 v15, 31, v15
	v_and_b32_e32 v17, v17, v98
	;; [unrolled: 8-line block ×5, first 2 shown]
	v_xor_b32_e32 v98, s35, v15
	v_xor_b32_e32 v15, s34, v15
	v_and_b32_e32 v16, v16, v15
	v_lshlrev_b32_e32 v15, 24, v19
	v_cmp_gt_i64_e64 s[34:35], 0, v[14:15]
	v_not_b32_e32 v15, v15
	v_ashrrev_i32_e32 v15, 31, v15
	v_xor_b32_e32 v19, s35, v15
	v_xor_b32_e32 v15, s34, v15
	v_and_b32_e32 v17, v17, v98
	v_and_b32_e32 v16, v16, v15
	;; [unrolled: 1-line block ×3, first 2 shown]
	v_mbcnt_lo_u32_b32 v15, v16, 0
	v_mbcnt_hi_u32_b32 v128, v17, v15
	v_cmp_eq_u32_e64 s[34:35], 0, v128
	v_cmp_ne_u64_e64 s[36:37], 0, v[16:17]
	s_and_b64 s[36:37], s[36:37], s[34:35]
	; wave barrier
	s_and_saveexec_b64 s[34:35], s[36:37]
	s_cbranch_execz .LBB809_176
; %bb.175:                              ;   in Loop: Header=BB809_172 Depth=1
	v_bcnt_u32_b32 v15, v16, 0
	v_bcnt_u32_b32 v15, v17, v15
	s_waitcnt vmcnt(0) lgkmcnt(0)
	v_add_u32_e32 v15, v119, v15
	flat_store_dword v[96:97], v15
.LBB809_176:                            ;   in Loop: Header=BB809_172 Depth=1
	s_or_b64 exec, exec, s[34:35]
	v_lshrrev_b64 v[16:17], v10, v[80:81]
	v_and_b32_e32 v19, v16, v18
	v_lshl_add_u32 v16, v19, 2, v178
	v_mov_b32_e32 v17, v14
	v_lshlrev_b64 v[16:17], 2, v[16:17]
	v_add_co_u32_e64 v98, s[34:35], v1, v16
	v_addc_co_u32_e64 v99, s[34:35], v23, v17, s[34:35]
	; wave barrier
	flat_load_dword v129, v[98:99]
	v_and_b32_e32 v15, 1, v19
	v_add_co_u32_e64 v16, s[34:35], -1, v15
	v_addc_co_u32_e64 v17, s[34:35], 0, -1, s[34:35]
	v_cmp_ne_u32_e64 s[34:35], 0, v15
	v_xor_b32_e32 v15, s35, v17
	v_and_b32_e32 v17, exec_hi, v15
	v_lshlrev_b32_e32 v15, 30, v19
	v_xor_b32_e32 v16, s34, v16
	v_cmp_gt_i64_e64 s[34:35], 0, v[14:15]
	v_not_b32_e32 v15, v15
	v_ashrrev_i32_e32 v15, 31, v15
	v_and_b32_e32 v16, exec_lo, v16
	v_xor_b32_e32 v100, s35, v15
	v_xor_b32_e32 v15, s34, v15
	v_and_b32_e32 v16, v16, v15
	v_lshlrev_b32_e32 v15, 29, v19
	v_cmp_gt_i64_e64 s[34:35], 0, v[14:15]
	v_not_b32_e32 v15, v15
	v_ashrrev_i32_e32 v15, 31, v15
	v_and_b32_e32 v17, v17, v100
	v_xor_b32_e32 v100, s35, v15
	v_xor_b32_e32 v15, s34, v15
	v_and_b32_e32 v16, v16, v15
	v_lshlrev_b32_e32 v15, 28, v19
	v_cmp_gt_i64_e64 s[34:35], 0, v[14:15]
	v_not_b32_e32 v15, v15
	v_ashrrev_i32_e32 v15, 31, v15
	v_and_b32_e32 v17, v17, v100
	v_xor_b32_e32 v100, s35, v15
	v_xor_b32_e32 v15, s34, v15
	v_and_b32_e32 v16, v16, v15
	v_lshlrev_b32_e32 v15, 27, v19
	v_cmp_gt_i64_e64 s[34:35], 0, v[14:15]
	v_not_b32_e32 v15, v15
	v_ashrrev_i32_e32 v15, 31, v15
	v_and_b32_e32 v17, v17, v100
	v_xor_b32_e32 v100, s35, v15
	v_xor_b32_e32 v15, s34, v15
	v_and_b32_e32 v16, v16, v15
	v_lshlrev_b32_e32 v15, 26, v19
	v_cmp_gt_i64_e64 s[34:35], 0, v[14:15]
	v_not_b32_e32 v15, v15
	v_ashrrev_i32_e32 v15, 31, v15
	v_and_b32_e32 v17, v17, v100
	v_xor_b32_e32 v100, s35, v15
	v_xor_b32_e32 v15, s34, v15
	v_and_b32_e32 v16, v16, v15
	v_lshlrev_b32_e32 v15, 25, v19
	v_cmp_gt_i64_e64 s[34:35], 0, v[14:15]
	v_not_b32_e32 v15, v15
	v_ashrrev_i32_e32 v15, 31, v15
	v_and_b32_e32 v17, v17, v100
	v_xor_b32_e32 v100, s35, v15
	v_xor_b32_e32 v15, s34, v15
	v_and_b32_e32 v16, v16, v15
	v_lshlrev_b32_e32 v15, 24, v19
	v_cmp_gt_i64_e64 s[34:35], 0, v[14:15]
	v_not_b32_e32 v15, v15
	v_ashrrev_i32_e32 v15, 31, v15
	v_xor_b32_e32 v19, s35, v15
	v_xor_b32_e32 v15, s34, v15
	v_and_b32_e32 v17, v17, v100
	v_and_b32_e32 v16, v16, v15
	;; [unrolled: 1-line block ×3, first 2 shown]
	v_mbcnt_lo_u32_b32 v15, v16, 0
	v_mbcnt_hi_u32_b32 v130, v17, v15
	v_cmp_eq_u32_e64 s[34:35], 0, v130
	v_cmp_ne_u64_e64 s[36:37], 0, v[16:17]
	s_and_b64 s[36:37], s[36:37], s[34:35]
	; wave barrier
	s_and_saveexec_b64 s[34:35], s[36:37]
	s_cbranch_execz .LBB809_178
; %bb.177:                              ;   in Loop: Header=BB809_172 Depth=1
	v_bcnt_u32_b32 v15, v16, 0
	v_bcnt_u32_b32 v15, v17, v15
	s_waitcnt vmcnt(0) lgkmcnt(0)
	v_add_u32_e32 v15, v129, v15
	flat_store_dword v[98:99], v15
.LBB809_178:                            ;   in Loop: Header=BB809_172 Depth=1
	s_or_b64 exec, exec, s[34:35]
	v_lshrrev_b64 v[16:17], v10, v[70:71]
	v_and_b32_e32 v19, v16, v18
	v_lshl_add_u32 v16, v19, 2, v178
	v_mov_b32_e32 v17, v14
	v_lshlrev_b64 v[16:17], 2, v[16:17]
	v_add_co_u32_e64 v100, s[34:35], v1, v16
	v_addc_co_u32_e64 v101, s[34:35], v23, v17, s[34:35]
	; wave barrier
	flat_load_dword v131, v[100:101]
	v_and_b32_e32 v15, 1, v19
	v_add_co_u32_e64 v16, s[34:35], -1, v15
	v_addc_co_u32_e64 v17, s[34:35], 0, -1, s[34:35]
	v_cmp_ne_u32_e64 s[34:35], 0, v15
	v_xor_b32_e32 v15, s35, v17
	v_and_b32_e32 v17, exec_hi, v15
	v_lshlrev_b32_e32 v15, 30, v19
	v_xor_b32_e32 v16, s34, v16
	v_cmp_gt_i64_e64 s[34:35], 0, v[14:15]
	v_not_b32_e32 v15, v15
	v_ashrrev_i32_e32 v15, 31, v15
	v_and_b32_e32 v16, exec_lo, v16
	v_xor_b32_e32 v102, s35, v15
	v_xor_b32_e32 v15, s34, v15
	v_and_b32_e32 v16, v16, v15
	v_lshlrev_b32_e32 v15, 29, v19
	v_cmp_gt_i64_e64 s[34:35], 0, v[14:15]
	v_not_b32_e32 v15, v15
	v_ashrrev_i32_e32 v15, 31, v15
	v_and_b32_e32 v17, v17, v102
	v_xor_b32_e32 v102, s35, v15
	v_xor_b32_e32 v15, s34, v15
	v_and_b32_e32 v16, v16, v15
	v_lshlrev_b32_e32 v15, 28, v19
	v_cmp_gt_i64_e64 s[34:35], 0, v[14:15]
	v_not_b32_e32 v15, v15
	v_ashrrev_i32_e32 v15, 31, v15
	v_and_b32_e32 v17, v17, v102
	;; [unrolled: 8-line block ×5, first 2 shown]
	v_xor_b32_e32 v102, s35, v15
	v_xor_b32_e32 v15, s34, v15
	v_and_b32_e32 v16, v16, v15
	v_lshlrev_b32_e32 v15, 24, v19
	v_cmp_gt_i64_e64 s[34:35], 0, v[14:15]
	v_not_b32_e32 v15, v15
	v_ashrrev_i32_e32 v15, 31, v15
	v_xor_b32_e32 v19, s35, v15
	v_xor_b32_e32 v15, s34, v15
	v_and_b32_e32 v17, v17, v102
	v_and_b32_e32 v16, v16, v15
	;; [unrolled: 1-line block ×3, first 2 shown]
	v_mbcnt_lo_u32_b32 v15, v16, 0
	v_mbcnt_hi_u32_b32 v132, v17, v15
	v_cmp_eq_u32_e64 s[34:35], 0, v132
	v_cmp_ne_u64_e64 s[36:37], 0, v[16:17]
	s_and_b64 s[36:37], s[36:37], s[34:35]
	; wave barrier
	s_and_saveexec_b64 s[34:35], s[36:37]
	s_cbranch_execz .LBB809_180
; %bb.179:                              ;   in Loop: Header=BB809_172 Depth=1
	v_bcnt_u32_b32 v15, v16, 0
	v_bcnt_u32_b32 v15, v17, v15
	s_waitcnt vmcnt(0) lgkmcnt(0)
	v_add_u32_e32 v15, v131, v15
	flat_store_dword v[100:101], v15
.LBB809_180:                            ;   in Loop: Header=BB809_172 Depth=1
	s_or_b64 exec, exec, s[34:35]
	v_lshrrev_b64 v[16:17], v10, v[68:69]
	v_and_b32_e32 v19, v16, v18
	v_lshl_add_u32 v16, v19, 2, v178
	v_mov_b32_e32 v17, v14
	v_lshlrev_b64 v[16:17], 2, v[16:17]
	v_add_co_u32_e64 v102, s[34:35], v1, v16
	v_addc_co_u32_e64 v103, s[34:35], v23, v17, s[34:35]
	; wave barrier
	flat_load_dword v133, v[102:103]
	v_and_b32_e32 v15, 1, v19
	v_add_co_u32_e64 v16, s[34:35], -1, v15
	v_addc_co_u32_e64 v17, s[34:35], 0, -1, s[34:35]
	v_cmp_ne_u32_e64 s[34:35], 0, v15
	v_xor_b32_e32 v15, s35, v17
	v_and_b32_e32 v17, exec_hi, v15
	v_lshlrev_b32_e32 v15, 30, v19
	v_xor_b32_e32 v16, s34, v16
	v_cmp_gt_i64_e64 s[34:35], 0, v[14:15]
	v_not_b32_e32 v15, v15
	v_ashrrev_i32_e32 v15, 31, v15
	v_and_b32_e32 v16, exec_lo, v16
	v_xor_b32_e32 v112, s35, v15
	v_xor_b32_e32 v15, s34, v15
	v_and_b32_e32 v16, v16, v15
	v_lshlrev_b32_e32 v15, 29, v19
	v_cmp_gt_i64_e64 s[34:35], 0, v[14:15]
	v_not_b32_e32 v15, v15
	v_ashrrev_i32_e32 v15, 31, v15
	v_and_b32_e32 v17, v17, v112
	v_xor_b32_e32 v112, s35, v15
	v_xor_b32_e32 v15, s34, v15
	v_and_b32_e32 v16, v16, v15
	v_lshlrev_b32_e32 v15, 28, v19
	v_cmp_gt_i64_e64 s[34:35], 0, v[14:15]
	v_not_b32_e32 v15, v15
	v_ashrrev_i32_e32 v15, 31, v15
	v_and_b32_e32 v17, v17, v112
	;; [unrolled: 8-line block ×5, first 2 shown]
	v_xor_b32_e32 v112, s35, v15
	v_xor_b32_e32 v15, s34, v15
	v_and_b32_e32 v16, v16, v15
	v_lshlrev_b32_e32 v15, 24, v19
	v_cmp_gt_i64_e64 s[34:35], 0, v[14:15]
	v_not_b32_e32 v15, v15
	v_ashrrev_i32_e32 v15, 31, v15
	v_xor_b32_e32 v19, s35, v15
	v_xor_b32_e32 v15, s34, v15
	v_and_b32_e32 v17, v17, v112
	v_and_b32_e32 v16, v16, v15
	;; [unrolled: 1-line block ×3, first 2 shown]
	v_mbcnt_lo_u32_b32 v15, v16, 0
	v_mbcnt_hi_u32_b32 v134, v17, v15
	v_cmp_eq_u32_e64 s[34:35], 0, v134
	v_cmp_ne_u64_e64 s[36:37], 0, v[16:17]
	s_and_b64 s[36:37], s[36:37], s[34:35]
	; wave barrier
	s_and_saveexec_b64 s[34:35], s[36:37]
	s_cbranch_execz .LBB809_182
; %bb.181:                              ;   in Loop: Header=BB809_172 Depth=1
	v_bcnt_u32_b32 v15, v16, 0
	v_bcnt_u32_b32 v15, v17, v15
	s_waitcnt vmcnt(0) lgkmcnt(0)
	v_add_u32_e32 v15, v133, v15
	flat_store_dword v[102:103], v15
.LBB809_182:                            ;   in Loop: Header=BB809_172 Depth=1
	s_or_b64 exec, exec, s[34:35]
	v_lshrrev_b64 v[16:17], v10, v[66:67]
	v_and_b32_e32 v19, v16, v18
	v_lshl_add_u32 v16, v19, 2, v178
	v_mov_b32_e32 v17, v14
	v_lshlrev_b64 v[16:17], 2, v[16:17]
	v_add_co_u32_e64 v112, s[34:35], v1, v16
	v_addc_co_u32_e64 v113, s[34:35], v23, v17, s[34:35]
	; wave barrier
	flat_load_dword v135, v[112:113]
	v_and_b32_e32 v15, 1, v19
	v_add_co_u32_e64 v16, s[34:35], -1, v15
	v_addc_co_u32_e64 v17, s[34:35], 0, -1, s[34:35]
	v_cmp_ne_u32_e64 s[34:35], 0, v15
	v_xor_b32_e32 v15, s35, v17
	v_and_b32_e32 v17, exec_hi, v15
	v_lshlrev_b32_e32 v15, 30, v19
	v_xor_b32_e32 v16, s34, v16
	v_cmp_gt_i64_e64 s[34:35], 0, v[14:15]
	v_not_b32_e32 v15, v15
	v_ashrrev_i32_e32 v15, 31, v15
	v_and_b32_e32 v16, exec_lo, v16
	v_xor_b32_e32 v114, s35, v15
	v_xor_b32_e32 v15, s34, v15
	v_and_b32_e32 v16, v16, v15
	v_lshlrev_b32_e32 v15, 29, v19
	v_cmp_gt_i64_e64 s[34:35], 0, v[14:15]
	v_not_b32_e32 v15, v15
	v_ashrrev_i32_e32 v15, 31, v15
	v_and_b32_e32 v17, v17, v114
	v_xor_b32_e32 v114, s35, v15
	v_xor_b32_e32 v15, s34, v15
	v_and_b32_e32 v16, v16, v15
	v_lshlrev_b32_e32 v15, 28, v19
	v_cmp_gt_i64_e64 s[34:35], 0, v[14:15]
	v_not_b32_e32 v15, v15
	v_ashrrev_i32_e32 v15, 31, v15
	v_and_b32_e32 v17, v17, v114
	;; [unrolled: 8-line block ×5, first 2 shown]
	v_xor_b32_e32 v114, s35, v15
	v_xor_b32_e32 v15, s34, v15
	v_and_b32_e32 v16, v16, v15
	v_lshlrev_b32_e32 v15, 24, v19
	v_cmp_gt_i64_e64 s[34:35], 0, v[14:15]
	v_not_b32_e32 v15, v15
	v_ashrrev_i32_e32 v15, 31, v15
	v_xor_b32_e32 v19, s35, v15
	v_xor_b32_e32 v15, s34, v15
	v_and_b32_e32 v17, v17, v114
	v_and_b32_e32 v16, v16, v15
	;; [unrolled: 1-line block ×3, first 2 shown]
	v_mbcnt_lo_u32_b32 v15, v16, 0
	v_mbcnt_hi_u32_b32 v144, v17, v15
	v_cmp_eq_u32_e64 s[34:35], 0, v144
	v_cmp_ne_u64_e64 s[36:37], 0, v[16:17]
	s_and_b64 s[36:37], s[36:37], s[34:35]
	; wave barrier
	s_and_saveexec_b64 s[34:35], s[36:37]
	s_cbranch_execz .LBB809_184
; %bb.183:                              ;   in Loop: Header=BB809_172 Depth=1
	v_bcnt_u32_b32 v15, v16, 0
	v_bcnt_u32_b32 v15, v17, v15
	s_waitcnt vmcnt(0) lgkmcnt(0)
	v_add_u32_e32 v15, v135, v15
	flat_store_dword v[112:113], v15
.LBB809_184:                            ;   in Loop: Header=BB809_172 Depth=1
	s_or_b64 exec, exec, s[34:35]
	v_lshrrev_b64 v[16:17], v10, v[64:65]
	v_and_b32_e32 v19, v16, v18
	v_lshl_add_u32 v16, v19, 2, v178
	v_mov_b32_e32 v17, v14
	v_lshlrev_b64 v[16:17], 2, v[16:17]
	v_add_co_u32_e64 v114, s[34:35], v1, v16
	v_addc_co_u32_e64 v115, s[34:35], v23, v17, s[34:35]
	; wave barrier
	flat_load_dword v145, v[114:115]
	v_and_b32_e32 v15, 1, v19
	v_add_co_u32_e64 v16, s[34:35], -1, v15
	v_addc_co_u32_e64 v17, s[34:35], 0, -1, s[34:35]
	v_cmp_ne_u32_e64 s[34:35], 0, v15
	v_xor_b32_e32 v15, s35, v17
	v_and_b32_e32 v17, exec_hi, v15
	v_lshlrev_b32_e32 v15, 30, v19
	v_xor_b32_e32 v16, s34, v16
	v_cmp_gt_i64_e64 s[34:35], 0, v[14:15]
	v_not_b32_e32 v15, v15
	v_ashrrev_i32_e32 v15, 31, v15
	v_and_b32_e32 v16, exec_lo, v16
	v_xor_b32_e32 v116, s35, v15
	v_xor_b32_e32 v15, s34, v15
	v_and_b32_e32 v16, v16, v15
	v_lshlrev_b32_e32 v15, 29, v19
	v_cmp_gt_i64_e64 s[34:35], 0, v[14:15]
	v_not_b32_e32 v15, v15
	v_ashrrev_i32_e32 v15, 31, v15
	v_and_b32_e32 v17, v17, v116
	v_xor_b32_e32 v116, s35, v15
	v_xor_b32_e32 v15, s34, v15
	v_and_b32_e32 v16, v16, v15
	v_lshlrev_b32_e32 v15, 28, v19
	v_cmp_gt_i64_e64 s[34:35], 0, v[14:15]
	v_not_b32_e32 v15, v15
	v_ashrrev_i32_e32 v15, 31, v15
	v_and_b32_e32 v17, v17, v116
	;; [unrolled: 8-line block ×5, first 2 shown]
	v_xor_b32_e32 v116, s35, v15
	v_xor_b32_e32 v15, s34, v15
	v_and_b32_e32 v16, v16, v15
	v_lshlrev_b32_e32 v15, 24, v19
	v_cmp_gt_i64_e64 s[34:35], 0, v[14:15]
	v_not_b32_e32 v15, v15
	v_ashrrev_i32_e32 v15, 31, v15
	v_xor_b32_e32 v19, s35, v15
	v_xor_b32_e32 v15, s34, v15
	v_and_b32_e32 v17, v17, v116
	v_and_b32_e32 v16, v16, v15
	;; [unrolled: 1-line block ×3, first 2 shown]
	v_mbcnt_lo_u32_b32 v15, v16, 0
	v_mbcnt_hi_u32_b32 v146, v17, v15
	v_cmp_eq_u32_e64 s[34:35], 0, v146
	v_cmp_ne_u64_e64 s[36:37], 0, v[16:17]
	s_and_b64 s[36:37], s[36:37], s[34:35]
	; wave barrier
	s_and_saveexec_b64 s[34:35], s[36:37]
	s_cbranch_execz .LBB809_186
; %bb.185:                              ;   in Loop: Header=BB809_172 Depth=1
	v_bcnt_u32_b32 v15, v16, 0
	v_bcnt_u32_b32 v15, v17, v15
	s_waitcnt vmcnt(0) lgkmcnt(0)
	v_add_u32_e32 v15, v145, v15
	flat_store_dword v[114:115], v15
.LBB809_186:                            ;   in Loop: Header=BB809_172 Depth=1
	s_or_b64 exec, exec, s[34:35]
	v_lshrrev_b64 v[16:17], v10, v[54:55]
	v_and_b32_e32 v18, v16, v18
	v_lshl_add_u32 v16, v18, 2, v178
	v_mov_b32_e32 v17, v14
	v_lshlrev_b64 v[16:17], 2, v[16:17]
	v_add_co_u32_e64 v116, s[34:35], v1, v16
	v_addc_co_u32_e64 v117, s[34:35], v23, v17, s[34:35]
	; wave barrier
	flat_load_dword v147, v[116:117]
	v_and_b32_e32 v15, 1, v18
	v_add_co_u32_e64 v16, s[34:35], -1, v15
	v_addc_co_u32_e64 v17, s[34:35], 0, -1, s[34:35]
	v_cmp_ne_u32_e64 s[34:35], 0, v15
	v_xor_b32_e32 v15, s35, v17
	v_and_b32_e32 v17, exec_hi, v15
	v_lshlrev_b32_e32 v15, 30, v18
	v_xor_b32_e32 v16, s34, v16
	v_cmp_gt_i64_e64 s[34:35], 0, v[14:15]
	v_not_b32_e32 v15, v15
	v_ashrrev_i32_e32 v15, 31, v15
	v_and_b32_e32 v16, exec_lo, v16
	v_xor_b32_e32 v19, s35, v15
	v_xor_b32_e32 v15, s34, v15
	v_and_b32_e32 v16, v16, v15
	v_lshlrev_b32_e32 v15, 29, v18
	v_cmp_gt_i64_e64 s[34:35], 0, v[14:15]
	v_not_b32_e32 v15, v15
	v_ashrrev_i32_e32 v15, 31, v15
	v_and_b32_e32 v17, v17, v19
	v_xor_b32_e32 v19, s35, v15
	v_xor_b32_e32 v15, s34, v15
	v_and_b32_e32 v16, v16, v15
	v_lshlrev_b32_e32 v15, 28, v18
	v_cmp_gt_i64_e64 s[34:35], 0, v[14:15]
	v_not_b32_e32 v15, v15
	v_ashrrev_i32_e32 v15, 31, v15
	v_and_b32_e32 v17, v17, v19
	;; [unrolled: 8-line block ×5, first 2 shown]
	v_xor_b32_e32 v19, s35, v15
	v_xor_b32_e32 v15, s34, v15
	v_and_b32_e32 v16, v16, v15
	v_lshlrev_b32_e32 v15, 24, v18
	v_cmp_gt_i64_e64 s[34:35], 0, v[14:15]
	v_not_b32_e32 v15, v15
	v_ashrrev_i32_e32 v15, 31, v15
	v_xor_b32_e32 v18, s35, v15
	v_xor_b32_e32 v15, s34, v15
	v_and_b32_e32 v17, v17, v19
	v_and_b32_e32 v16, v16, v15
	;; [unrolled: 1-line block ×3, first 2 shown]
	v_mbcnt_lo_u32_b32 v15, v16, 0
	v_mbcnt_hi_u32_b32 v15, v17, v15
	v_cmp_eq_u32_e64 s[34:35], 0, v15
	v_cmp_ne_u64_e64 s[36:37], 0, v[16:17]
	s_and_b64 s[36:37], s[36:37], s[34:35]
	; wave barrier
	s_and_saveexec_b64 s[34:35], s[36:37]
	s_cbranch_execz .LBB809_188
; %bb.187:                              ;   in Loop: Header=BB809_172 Depth=1
	v_bcnt_u32_b32 v16, v16, 0
	v_bcnt_u32_b32 v16, v17, v16
	s_waitcnt vmcnt(0) lgkmcnt(0)
	v_add_u32_e32 v16, v147, v16
	flat_store_dword v[116:117], v16
.LBB809_188:                            ;   in Loop: Header=BB809_172 Depth=1
	s_or_b64 exec, exec, s[34:35]
	; wave barrier
	s_waitcnt lgkmcnt(0)
	s_barrier
	flat_load_dwordx4 v[16:19], v[4:5] offset:16
	s_waitcnt vmcnt(0) lgkmcnt(0)
	v_add_u32_e32 v148, v17, v16
	v_add3_u32 v19, v148, v18, v19
	s_nop 1
	v_mov_b32_dpp v148, v19 row_shr:1 row_mask:0xf bank_mask:0xf
	v_cndmask_b32_e64 v148, v148, 0, vcc
	v_add_u32_e32 v19, v148, v19
	s_nop 1
	v_mov_b32_dpp v148, v19 row_shr:2 row_mask:0xf bank_mask:0xf
	v_cndmask_b32_e64 v148, 0, v148, s[4:5]
	v_add_u32_e32 v19, v19, v148
	s_nop 1
	v_mov_b32_dpp v148, v19 row_shr:4 row_mask:0xf bank_mask:0xf
	v_cndmask_b32_e64 v148, 0, v148, s[6:7]
	;; [unrolled: 4-line block ×3, first 2 shown]
	v_add_u32_e32 v19, v19, v148
	s_nop 1
	v_mov_b32_dpp v148, v19 row_bcast:15 row_mask:0xf bank_mask:0xf
	v_cndmask_b32_e64 v148, v148, 0, s[30:31]
	v_add_u32_e32 v19, v19, v148
	s_nop 1
	v_mov_b32_dpp v148, v19 row_bcast:31 row_mask:0xf bank_mask:0xf
	v_cndmask_b32_e64 v148, 0, v148, s[14:15]
	v_add_u32_e32 v19, v19, v148
	s_and_saveexec_b64 s[34:35], s[16:17]
	s_cbranch_execz .LBB809_190
; %bb.189:                              ;   in Loop: Header=BB809_172 Depth=1
	flat_store_dword v[38:39], v19
.LBB809_190:                            ;   in Loop: Header=BB809_172 Depth=1
	s_or_b64 exec, exec, s[34:35]
	s_waitcnt lgkmcnt(0)
	s_barrier
	s_and_saveexec_b64 s[34:35], s[18:19]
	s_cbranch_execz .LBB809_192
; %bb.191:                              ;   in Loop: Header=BB809_172 Depth=1
	flat_load_dword v148, v[48:49]
	s_waitcnt vmcnt(0) lgkmcnt(0)
	s_nop 0
	v_mov_b32_dpp v149, v148 row_shr:1 row_mask:0xf bank_mask:0xf
	v_cndmask_b32_e64 v149, v149, 0, s[26:27]
	v_add_u32_e32 v148, v149, v148
	s_nop 1
	v_mov_b32_dpp v149, v148 row_shr:2 row_mask:0xf bank_mask:0xf
	v_cndmask_b32_e64 v149, 0, v149, s[28:29]
	v_add_u32_e32 v148, v148, v149
	flat_store_dword v[48:49], v148
.LBB809_192:                            ;   in Loop: Header=BB809_172 Depth=1
	s_or_b64 exec, exec, s[34:35]
	v_mov_b32_e32 v148, 0
	s_waitcnt lgkmcnt(0)
	s_barrier
	s_and_saveexec_b64 s[34:35], s[20:21]
	s_cbranch_execz .LBB809_194
; %bb.193:                              ;   in Loop: Header=BB809_172 Depth=1
	flat_load_dword v148, v[50:51]
.LBB809_194:                            ;   in Loop: Header=BB809_172 Depth=1
	s_or_b64 exec, exec, s[34:35]
	s_waitcnt vmcnt(0) lgkmcnt(0)
	v_add_u32_e32 v19, v148, v19
	ds_bpermute_b32 v19, v179, v19
	v_add_u32_e32 v10, 8, v10
	v_cmp_lt_u32_e64 s[34:35], v10, v11
	s_mov_b64 s[44:45], -1
	s_waitcnt lgkmcnt(0)
	v_cndmask_b32_e64 v19, v19, v148, s[22:23]
	v_cndmask_b32_e64 v148, v19, 0, s[24:25]
	v_add_u32_e32 v149, v148, v16
	v_add_u32_e32 v150, v149, v17
	;; [unrolled: 1-line block ×3, first 2 shown]
	flat_store_dwordx4 v[4:5], v[148:151] offset:16
	s_waitcnt lgkmcnt(0)
	s_barrier
	flat_load_dword v16, v[86:87]
	flat_load_dword v18, v[96:97]
	;; [unrolled: 1-line block ×8, first 2 shown]
	v_mov_b32_e32 v17, v14
	v_mov_b32_e32 v19, v14
	;; [unrolled: 1-line block ×8, first 2 shown]
	s_waitcnt lgkmcnt(0)
                                        ; implicit-def: $vgpr114_vgpr115
                                        ; implicit-def: $vgpr116_vgpr117
	s_waitcnt vmcnt(0) lgkmcnt(0)
	v_add_u32_e32 v16, v16, v118
	v_lshlrev_b64 v[16:17], 3, v[16:17]
	v_add3_u32 v18, v128, v119, v18
	v_lshlrev_b64 v[18:19], 3, v[18:19]
	v_add3_u32 v86, v130, v129, v148
	v_add3_u32 v96, v132, v131, v149
	;; [unrolled: 1-line block ×3, first 2 shown]
	v_add_co_u32_e64 v146, s[36:37], v12, v16
	v_add3_u32 v112, v15, v147, v161
	v_addc_co_u32_e64 v147, s[36:37], v13, v17, s[36:37]
	v_add_co_u32_e64 v148, s[36:37], v12, v18
	v_lshlrev_b64 v[86:87], 3, v[86:87]
	v_addc_co_u32_e64 v149, s[36:37], v13, v19, s[36:37]
	v_add3_u32 v98, v134, v133, v150
	v_add_co_u32_e64 v150, s[36:37], v12, v86
	v_add3_u32 v100, v144, v135, v151
	v_lshlrev_b64 v[96:97], 3, v[96:97]
	v_addc_co_u32_e64 v151, s[36:37], v13, v87, s[36:37]
	v_add_co_u32_e64 v160, s[36:37], v12, v96
	v_lshlrev_b64 v[98:99], 3, v[98:99]
	v_addc_co_u32_e64 v161, s[36:37], v13, v97, s[36:37]
	v_add_co_u32_e64 v162, s[36:37], v12, v98
	;; [unrolled: 3-line block ×5, first 2 shown]
	v_addc_co_u32_e64 v177, s[36:37], v13, v113, s[36:37]
                                        ; implicit-def: $vgpr118_vgpr119
                                        ; implicit-def: $vgpr128_vgpr129
                                        ; implicit-def: $vgpr130_vgpr131
                                        ; implicit-def: $vgpr132_vgpr133
                                        ; implicit-def: $vgpr134_vgpr135
                                        ; implicit-def: $vgpr144_vgpr145
                                        ; implicit-def: $vgpr16_vgpr17
                                        ; implicit-def: $vgpr18_vgpr19
                                        ; implicit-def: $vgpr86_vgpr87
                                        ; implicit-def: $vgpr96_vgpr97
                                        ; implicit-def: $vgpr98_vgpr99
                                        ; implicit-def: $vgpr100_vgpr101
                                        ; implicit-def: $vgpr102_vgpr103
                                        ; implicit-def: $vgpr112_vgpr113
	s_and_saveexec_b64 s[36:37], s[34:35]
	s_cbranch_execz .LBB809_171
; %bb.195:                              ;   in Loop: Header=BB809_172 Depth=1
	s_barrier
	flat_store_dwordx2 v[146:147], v[84:85]
	flat_store_dwordx2 v[148:149], v[82:83]
	;; [unrolled: 1-line block ×8, first 2 shown]
	s_waitcnt lgkmcnt(0)
	s_barrier
	flat_load_dwordx2 v[16:17], v[52:53]
	flat_load_dwordx2 v[18:19], v[52:53] offset:512
	flat_load_dwordx2 v[86:87], v[52:53] offset:1024
	;; [unrolled: 1-line block ×7, first 2 shown]
	s_waitcnt lgkmcnt(0)
	s_barrier
	flat_store_dwordx2 v[146:147], v[36:37]
	flat_store_dwordx2 v[148:149], v[34:35]
	;; [unrolled: 1-line block ×8, first 2 shown]
	s_waitcnt lgkmcnt(0)
	s_barrier
	flat_load_dwordx2 v[114:115], v[52:53]
	flat_load_dwordx2 v[116:117], v[52:53] offset:512
	flat_load_dwordx2 v[118:119], v[52:53] offset:1024
	;; [unrolled: 1-line block ×7, first 2 shown]
	v_add_u32_e32 v180, -8, v180
	s_xor_b64 s[44:45], exec, -1
	s_waitcnt lgkmcnt(0)
	s_barrier
	s_branch .LBB809_171
.LBB809_196:
	flat_load_dwordx2 v[242:243], v[4:5]
	s_or_b64 exec, exec, vcc
                                        ; implicit-def: $vgpr244_vgpr245
	s_and_saveexec_b64 s[4:5], s[6:7]
	s_cbranch_execz .LBB809_36
.LBB809_197:
	flat_load_dwordx2 v[244:245], v[4:5] offset:512
	s_or_b64 exec, exec, s[4:5]
                                        ; implicit-def: $vgpr246_vgpr247
	s_and_saveexec_b64 s[4:5], s[10:11]
	s_cbranch_execz .LBB809_37
.LBB809_198:
	flat_load_dwordx2 v[246:247], v[4:5] offset:1024
	s_or_b64 exec, exec, s[4:5]
                                        ; implicit-def: $agpr0_agpr1
	s_and_saveexec_b64 s[4:5], s[40:41]
	s_cbranch_execz .LBB809_38
.LBB809_199:
	flat_load_dwordx2 a[0:1], v[4:5] offset:1536
	s_or_b64 exec, exec, s[4:5]
                                        ; implicit-def: $agpr2_agpr3
	s_and_saveexec_b64 s[4:5], s[14:15]
	s_cbranch_execz .LBB809_39
.LBB809_200:
	flat_load_dwordx2 a[2:3], v[4:5] offset:2048
	s_or_b64 exec, exec, s[4:5]
                                        ; implicit-def: $agpr4_agpr5
	s_and_saveexec_b64 s[4:5], s[16:17]
	s_cbranch_execz .LBB809_40
.LBB809_201:
	flat_load_dwordx2 a[4:5], v[4:5] offset:2560
	s_or_b64 exec, exec, s[4:5]
                                        ; implicit-def: $agpr6_agpr7
	s_and_saveexec_b64 s[4:5], s[18:19]
	s_cbranch_execz .LBB809_41
.LBB809_202:
	flat_load_dwordx2 a[6:7], v[4:5] offset:3072
	s_or_b64 exec, exec, s[4:5]
                                        ; implicit-def: $agpr8_agpr9
	s_and_saveexec_b64 s[4:5], s[20:21]
	s_cbranch_execz .LBB809_42
.LBB809_203:
	flat_load_dwordx2 a[8:9], v[4:5] offset:3584
	s_or_b64 exec, exec, s[4:5]
                                        ; implicit-def: $agpr10_agpr11
	s_and_saveexec_b64 s[4:5], s[22:23]
	s_cbranch_execz .LBB809_43
.LBB809_204:
	v_add_co_u32_e32 v8, vcc, 0x1000, v4
	v_addc_co_u32_e32 v9, vcc, 0, v5, vcc
	flat_load_dwordx2 a[10:11], v[8:9]
	s_or_b64 exec, exec, s[4:5]
                                        ; implicit-def: $agpr12_agpr13
	s_and_saveexec_b64 s[4:5], s[24:25]
	s_cbranch_execz .LBB809_44
.LBB809_205:
	v_add_co_u32_e32 v8, vcc, 0x1000, v4
	v_addc_co_u32_e32 v9, vcc, 0, v5, vcc
	flat_load_dwordx2 a[12:13], v[8:9] offset:512
	s_or_b64 exec, exec, s[4:5]
                                        ; implicit-def: $agpr14_agpr15
	s_and_saveexec_b64 s[4:5], s[26:27]
	s_cbranch_execz .LBB809_45
.LBB809_206:
	v_add_co_u32_e32 v8, vcc, 0x1000, v4
	v_addc_co_u32_e32 v9, vcc, 0, v5, vcc
	flat_load_dwordx2 a[14:15], v[8:9] offset:1024
	s_or_b64 exec, exec, s[4:5]
                                        ; implicit-def: $agpr16_agpr17
	s_and_saveexec_b64 s[4:5], s[28:29]
	s_cbranch_execz .LBB809_46
.LBB809_207:
	v_add_co_u32_e32 v8, vcc, 0x1000, v4
	v_addc_co_u32_e32 v9, vcc, 0, v5, vcc
	flat_load_dwordx2 a[16:17], v[8:9] offset:1536
	s_or_b64 exec, exec, s[4:5]
                                        ; implicit-def: $agpr18_agpr19
	s_and_saveexec_b64 s[4:5], s[30:31]
	s_cbranch_execz .LBB809_47
.LBB809_208:
	v_add_co_u32_e32 v8, vcc, 0x1000, v4
	v_addc_co_u32_e32 v9, vcc, 0, v5, vcc
	flat_load_dwordx2 a[18:19], v[8:9] offset:2048
	s_or_b64 exec, exec, s[4:5]
                                        ; implicit-def: $agpr20_agpr21
	s_and_saveexec_b64 s[4:5], s[34:35]
	s_cbranch_execz .LBB809_48
.LBB809_209:
	v_add_co_u32_e32 v8, vcc, 0x1000, v4
	v_addc_co_u32_e32 v9, vcc, 0, v5, vcc
	flat_load_dwordx2 a[20:21], v[8:9] offset:2560
	s_or_b64 exec, exec, s[4:5]
                                        ; implicit-def: $agpr22_agpr23
	s_and_saveexec_b64 s[4:5], s[36:37]
	s_cbranch_execz .LBB809_49
.LBB809_210:
	v_add_co_u32_e32 v8, vcc, 0x1000, v4
	v_addc_co_u32_e32 v9, vcc, 0, v5, vcc
	flat_load_dwordx2 a[22:23], v[8:9] offset:3072
	s_or_b64 exec, exec, s[4:5]
                                        ; implicit-def: $agpr24_agpr25
	s_and_saveexec_b64 s[4:5], s[38:39]
	s_cbranch_execnz .LBB809_50
	s_branch .LBB809_51
.LBB809_211:
	s_waitcnt vmcnt(0)
	flat_store_dwordx2 v[0:1], v[38:39]
	s_or_b64 exec, exec, vcc
	s_and_saveexec_b64 s[4:5], s[6:7]
	s_cbranch_execz .LBB809_127
.LBB809_212:
	s_waitcnt vmcnt(0)
	flat_store_dwordx2 v[0:1], v[36:37] offset:2048
	s_or_b64 exec, exec, s[4:5]
	s_and_saveexec_b64 s[4:5], s[10:11]
	s_cbranch_execz .LBB809_128
.LBB809_213:
	v_add_co_u32_e32 v2, vcc, 0x1000, v0
	v_addc_co_u32_e32 v3, vcc, 0, v1, vcc
	s_waitcnt vmcnt(0)
	flat_store_dwordx2 v[2:3], v[34:35]
	s_or_b64 exec, exec, s[4:5]
	s_and_saveexec_b64 s[4:5], s[40:41]
	s_cbranch_execz .LBB809_129
.LBB809_214:
	v_add_co_u32_e32 v2, vcc, 0x1000, v0
	v_addc_co_u32_e32 v3, vcc, 0, v1, vcc
	s_waitcnt vmcnt(0)
	flat_store_dwordx2 v[2:3], v[32:33] offset:2048
	s_or_b64 exec, exec, s[4:5]
	s_and_saveexec_b64 s[4:5], s[14:15]
	s_cbranch_execz .LBB809_130
.LBB809_215:
	v_add_co_u32_e32 v2, vcc, 0x2000, v0
	v_addc_co_u32_e32 v3, vcc, 0, v1, vcc
	s_waitcnt vmcnt(0)
	flat_store_dwordx2 v[2:3], v[30:31]
	s_or_b64 exec, exec, s[4:5]
	s_and_saveexec_b64 s[4:5], s[16:17]
	s_cbranch_execz .LBB809_131
.LBB809_216:
	v_add_co_u32_e32 v2, vcc, 0x2000, v0
	v_addc_co_u32_e32 v3, vcc, 0, v1, vcc
	s_waitcnt vmcnt(0)
	flat_store_dwordx2 v[2:3], v[28:29] offset:2048
	s_or_b64 exec, exec, s[4:5]
	s_and_saveexec_b64 s[4:5], s[18:19]
	s_cbranch_execz .LBB809_132
.LBB809_217:
	v_add_co_u32_e32 v2, vcc, 0x3000, v0
	v_addc_co_u32_e32 v3, vcc, 0, v1, vcc
	s_waitcnt vmcnt(0)
	flat_store_dwordx2 v[2:3], v[26:27]
	s_or_b64 exec, exec, s[4:5]
	s_and_saveexec_b64 s[4:5], s[20:21]
	s_cbranch_execz .LBB809_133
.LBB809_218:
	v_add_co_u32_e32 v2, vcc, 0x3000, v0
	v_addc_co_u32_e32 v3, vcc, 0, v1, vcc
	s_waitcnt vmcnt(0)
	flat_store_dwordx2 v[2:3], v[24:25] offset:2048
	s_or_b64 exec, exec, s[4:5]
	s_and_saveexec_b64 s[4:5], s[22:23]
	s_cbranch_execz .LBB809_134
.LBB809_219:
	v_add_co_u32_e32 v2, vcc, 0x4000, v0
	v_addc_co_u32_e32 v3, vcc, 0, v1, vcc
	s_waitcnt vmcnt(0)
	flat_store_dwordx2 v[2:3], v[22:23]
	s_or_b64 exec, exec, s[4:5]
	s_and_saveexec_b64 s[4:5], s[24:25]
	s_cbranch_execz .LBB809_135
.LBB809_220:
	v_add_co_u32_e32 v2, vcc, 0x4000, v0
	v_addc_co_u32_e32 v3, vcc, 0, v1, vcc
	s_waitcnt vmcnt(0)
	flat_store_dwordx2 v[2:3], v[18:19] offset:2048
	s_or_b64 exec, exec, s[4:5]
	s_and_saveexec_b64 s[4:5], s[26:27]
	s_cbranch_execz .LBB809_136
.LBB809_221:
	v_add_co_u32_e32 v2, vcc, 0x5000, v0
	v_addc_co_u32_e32 v3, vcc, 0, v1, vcc
	s_waitcnt vmcnt(0)
	flat_store_dwordx2 v[2:3], v[16:17]
	s_or_b64 exec, exec, s[4:5]
	s_and_saveexec_b64 s[4:5], s[28:29]
	s_cbranch_execz .LBB809_137
.LBB809_222:
	v_add_co_u32_e32 v2, vcc, 0x5000, v0
	v_addc_co_u32_e32 v3, vcc, 0, v1, vcc
	s_waitcnt vmcnt(0)
	flat_store_dwordx2 v[2:3], v[14:15] offset:2048
	s_or_b64 exec, exec, s[4:5]
	s_and_saveexec_b64 s[4:5], s[30:31]
	s_cbranch_execz .LBB809_138
.LBB809_223:
	v_add_co_u32_e32 v2, vcc, 0x6000, v0
	v_addc_co_u32_e32 v3, vcc, 0, v1, vcc
	s_waitcnt vmcnt(0)
	flat_store_dwordx2 v[2:3], v[12:13]
	s_or_b64 exec, exec, s[4:5]
	s_and_saveexec_b64 s[4:5], s[34:35]
	s_cbranch_execz .LBB809_139
.LBB809_224:
	v_add_co_u32_e32 v2, vcc, 0x6000, v0
	v_addc_co_u32_e32 v3, vcc, 0, v1, vcc
	s_waitcnt vmcnt(0)
	flat_store_dwordx2 v[2:3], v[10:11] offset:2048
	s_or_b64 exec, exec, s[4:5]
	s_and_saveexec_b64 s[4:5], s[36:37]
	s_cbranch_execz .LBB809_140
.LBB809_225:
	v_add_co_u32_e32 v2, vcc, 0x7000, v0
	v_addc_co_u32_e32 v3, vcc, 0, v1, vcc
	s_waitcnt vmcnt(0)
	flat_store_dwordx2 v[2:3], v[8:9]
	s_or_b64 exec, exec, s[4:5]
	s_and_saveexec_b64 s[4:5], s[38:39]
	s_cbranch_execnz .LBB809_141
	s_branch .LBB809_142
.LBB809_226:
	s_or_b64 exec, exec, s[40:41]
	v_lshlrev_b32_e32 v1, 3, v22
	s_barrier
	flat_store_dwordx2 v[146:147], v[84:85]
	flat_store_dwordx2 v[148:149], v[82:83]
	;; [unrolled: 1-line block ×8, first 2 shown]
	v_add_co_u32_e32 v70, vcc, v12, v1
	v_addc_co_u32_e32 v71, vcc, 0, v13, vcc
	s_movk_i32 s4, 0x1000
	v_add_co_u32_e32 v80, vcc, s4, v70
	v_mov_b32_e32 v1, 0x2000
	v_addc_co_u32_e32 v81, vcc, 0, v71, vcc
	v_lshl_or_b32 v1, v22, 3, v1
	v_add_co_u32_e32 v82, vcc, v12, v1
	s_movk_i32 s4, 0x2000
	v_addc_co_u32_e32 v83, vcc, 0, v13, vcc
	v_add_co_u32_e32 v84, vcc, s4, v70
	v_addc_co_u32_e32 v85, vcc, 0, v71, vcc
	s_movk_i32 s4, 0x3000
	s_waitcnt vmcnt(0)
	v_add_co_u32_e32 v86, vcc, s4, v70
	s_waitcnt lgkmcnt(0)
	s_barrier
	flat_load_dwordx2 v[68:69], v[70:71]
	flat_load_dwordx2 v[66:67], v[70:71] offset:2048
	flat_load_dwordx2 v[64:65], v[80:81]
	flat_load_dwordx2 v[54:55], v[80:81] offset:2048
	v_addc_co_u32_e32 v87, vcc, 0, v71, vcc
	flat_load_dwordx2 v[52:53], v[82:83]
	flat_load_dwordx2 v[50:51], v[84:85] offset:2048
	flat_load_dwordx2 v[48:49], v[86:87]
	flat_load_dwordx2 v[38:39], v[86:87] offset:2048
	s_waitcnt lgkmcnt(0)
	s_barrier
	flat_store_dwordx2 v[146:147], v[36:37]
	flat_store_dwordx2 v[148:149], v[34:35]
	;; [unrolled: 1-line block ×8, first 2 shown]
	s_waitcnt lgkmcnt(0)
	s_barrier
	flat_load_dwordx2 v[22:23], v[70:71]
	flat_load_dwordx2 v[18:19], v[70:71] offset:2048
	flat_load_dwordx2 v[16:17], v[80:81]
	flat_load_dwordx2 v[14:15], v[80:81] offset:2048
	flat_load_dwordx2 v[12:13], v[82:83]
	flat_load_dwordx2 v[10:11], v[84:85] offset:2048
	flat_load_dwordx2 v[8:9], v[86:87]
	flat_load_dwordx2 v[4:5], v[86:87] offset:2048
	v_mov_b32_e32 v1, 0
	v_add_co_u32_e32 v24, vcc, v2, v20
	v_addc_co_u32_e32 v25, vcc, v3, v21, vcc
	v_lshlrev_b64 v[2:3], 3, v[0:1]
	v_add_co_u32_e32 v24, vcc, v24, v2
	v_addc_co_u32_e32 v25, vcc, v25, v3, vcc
	v_cmp_lt_u32_e64 s[4:5], v0, v104
	s_waitcnt lgkmcnt(0)
	s_barrier
	s_and_saveexec_b64 s[6:7], s[4:5]
	s_cbranch_execz .LBB809_228
; %bb.227:
	s_waitcnt vmcnt(0)
	v_xor_b32_e32 v69, 0x80000000, v69
	flat_store_dwordx2 v[24:25], v[68:69]
.LBB809_228:
	s_or_b64 exec, exec, s[6:7]
	v_add_u32_e32 v1, 0x100, v0
	v_cmp_lt_u32_e64 s[6:7], v1, v104
	s_and_saveexec_b64 s[10:11], s[6:7]
	s_cbranch_execz .LBB809_230
; %bb.229:
	s_waitcnt vmcnt(0)
	v_xor_b32_e32 v67, 0x80000000, v67
	flat_store_dwordx2 v[24:25], v[66:67] offset:2048
.LBB809_230:
	s_or_b64 exec, exec, s[10:11]
	v_add_u32_e32 v1, 0x200, v0
	v_cmp_lt_u32_e64 s[10:11], v1, v104
	s_and_saveexec_b64 s[14:15], s[10:11]
	s_cbranch_execz .LBB809_232
; %bb.231:
	v_add_co_u32_e32 v26, vcc, 0x1000, v24
	s_waitcnt vmcnt(0)
	v_xor_b32_e32 v65, 0x80000000, v65
	v_addc_co_u32_e32 v27, vcc, 0, v25, vcc
	flat_store_dwordx2 v[26:27], v[64:65]
.LBB809_232:
	s_or_b64 exec, exec, s[14:15]
	v_add_u32_e32 v1, 0x300, v0
	v_cmp_lt_u32_e64 s[22:23], v1, v104
	s_and_saveexec_b64 s[14:15], s[22:23]
	s_cbranch_execz .LBB809_234
; %bb.233:
	v_add_co_u32_e32 v26, vcc, 0x1000, v24
	s_waitcnt vmcnt(0)
	v_xor_b32_e32 v55, 0x80000000, v55
	v_addc_co_u32_e32 v27, vcc, 0, v25, vcc
	flat_store_dwordx2 v[26:27], v[54:55] offset:2048
.LBB809_234:
	s_or_b64 exec, exec, s[14:15]
	v_add_u32_e32 v1, 0x400, v0
	v_cmp_lt_u32_e64 s[14:15], v1, v104
	s_and_saveexec_b64 s[16:17], s[14:15]
	s_cbranch_execz .LBB809_236
; %bb.235:
	v_add_co_u32_e32 v26, vcc, 0x2000, v24
	s_waitcnt vmcnt(0)
	v_xor_b32_e32 v53, 0x80000000, v53
	v_addc_co_u32_e32 v27, vcc, 0, v25, vcc
	flat_store_dwordx2 v[26:27], v[52:53]
.LBB809_236:
	s_or_b64 exec, exec, s[16:17]
	v_add_u32_e32 v1, 0x500, v0
	v_cmp_lt_u32_e64 s[16:17], v1, v104
	s_and_saveexec_b64 s[18:19], s[16:17]
	s_cbranch_execz .LBB809_238
; %bb.237:
	v_add_co_u32_e32 v26, vcc, 0x2000, v24
	s_waitcnt vmcnt(0)
	v_xor_b32_e32 v51, 0x80000000, v51
	v_addc_co_u32_e32 v27, vcc, 0, v25, vcc
	flat_store_dwordx2 v[26:27], v[50:51] offset:2048
.LBB809_238:
	;; [unrolled: 24-line block ×3, first 2 shown]
	s_or_b64 exec, exec, s[24:25]
	v_add_co_u32_e32 v0, vcc, v6, v20
	v_addc_co_u32_e32 v1, vcc, v7, v21, vcc
	v_add_co_u32_e32 v0, vcc, v0, v2
	v_addc_co_u32_e32 v1, vcc, v1, v3, vcc
	s_and_saveexec_b64 s[24:25], s[4:5]
	s_cbranch_execnz .LBB809_292
; %bb.243:
	s_or_b64 exec, exec, s[24:25]
	s_and_saveexec_b64 s[4:5], s[6:7]
	s_cbranch_execnz .LBB809_293
.LBB809_244:
	s_or_b64 exec, exec, s[4:5]
	s_and_saveexec_b64 s[4:5], s[10:11]
	s_cbranch_execnz .LBB809_294
.LBB809_245:
	s_or_b64 exec, exec, s[4:5]
	s_and_saveexec_b64 s[4:5], s[22:23]
	s_cbranch_execnz .LBB809_295
.LBB809_246:
	s_or_b64 exec, exec, s[4:5]
	s_and_saveexec_b64 s[4:5], s[14:15]
	s_cbranch_execnz .LBB809_296
.LBB809_247:
	s_or_b64 exec, exec, s[4:5]
	s_and_saveexec_b64 s[4:5], s[16:17]
	s_cbranch_execnz .LBB809_297
.LBB809_248:
	s_or_b64 exec, exec, s[4:5]
	s_and_saveexec_b64 s[4:5], s[18:19]
	s_cbranch_execnz .LBB809_298
.LBB809_249:
	s_or_b64 exec, exec, s[4:5]
	s_and_saveexec_b64 s[4:5], s[20:21]
	s_cbranch_execz .LBB809_251
.LBB809_250:
	v_add_co_u32_e32 v0, vcc, 0x3000, v0
	v_addc_co_u32_e32 v1, vcc, 0, v1, vcc
	s_waitcnt vmcnt(0)
	flat_store_dwordx2 v[0:1], v[4:5] offset:2048
.LBB809_251:
	s_or_b64 exec, exec, s[4:5]
                                        ; implicit-def: $vgpr104
                                        ; implicit-def: $vgpr0
                                        ; implicit-def: $vgpr1
                                        ; implicit-def: $vgpr2
                                        ; implicit-def: $vgpr3
                                        ; implicit-def: $vgpr4
                                        ; implicit-def: $vgpr5
                                        ; implicit-def: $vgpr6
                                        ; implicit-def: $vgpr7
                                        ; implicit-def: $vgpr8
                                        ; implicit-def: $vgpr10
                                        ; implicit-def: $vgpr11
                                        ; implicit-def: $vgpr12
                                        ; implicit-def: $vgpr13
                                        ; implicit-def: $vgpr31
                                        ; implicit-def: $vgpr14
                                        ; implicit-def: $vgpr16
                                        ; implicit-def: $vgpr15
.LBB809_252:
	s_andn2_saveexec_b64 s[4:5], s[38:39]
	s_cbranch_execz .LBB809_372
; %bb.253:
	s_movk_i32 s4, 0x200
	v_cmp_lt_u32_e32 vcc, s4, v104
	s_and_saveexec_b64 s[4:5], vcc
	s_xor_b64 s[38:39], exec, s[4:5]
	s_cbranch_execz .LBB809_313
; %bb.254:
	s_load_dwordx2 s[4:5], s[8:9], 0x0
	s_waitcnt vmcnt(0)
	v_mov_b32_e32 v9, 0
	v_mbcnt_hi_u32_b32 v32, -1, v15
	v_lshlrev_b64 v[26:27], 3, v[8:9]
	v_and_b32_e32 v33, 63, v32
	s_waitcnt lgkmcnt(0)
	s_cmp_lt_u32 s12, s4
	s_cselect_b32 s6, 12, 18
	s_cmp_lt_u32 s13, s5
	s_cselect_b32 s4, 14, 20
	s_add_u32 s4, s8, s4
	s_addc_u32 s5, s9, 0
	s_add_u32 s6, s8, s6
	global_load_ushort v17, v9, s[4:5]
	s_addc_u32 s7, s9, 0
	global_load_ushort v18, v9, s[6:7]
	v_add_co_u32_e32 v0, vcc, v0, v26
	v_addc_co_u32_e32 v1, vcc, v1, v27, vcc
	v_lshlrev_b32_e32 v24, 3, v33
	v_and_b32_e32 v28, 0x3ff, v31
	v_add_co_u32_e32 v15, vcc, v0, v24
	v_addc_co_u32_e32 v19, vcc, 0, v1, vcc
	s_mov_b32 s16, -1
	s_brev_b32 s17, -2
	s_mov_b32 s18, s16
	s_mov_b32 s19, s17
	;; [unrolled: 1-line block ×6, first 2 shown]
	s_waitcnt vmcnt(1)
	v_mad_u32_u24 v0, v16, v17, v14
	s_waitcnt vmcnt(0)
	v_mad_u64_u32 v[0:1], s[4:5], v0, v18, v[28:29]
	v_lshlrev_b32_e32 v1, 2, v0
	v_and_b32_e32 v8, 0xffffff00, v1
	v_lshlrev_b64 v[22:23], 3, v[8:9]
	v_or_b32_e32 v1, v8, v33
	v_add_co_u32_e32 v8, vcc, v15, v22
	v_addc_co_u32_e32 v9, vcc, v19, v23, vcc
	v_pk_mov_b32 v[14:15], s[16:17], s[16:17] op_sel:[0,1]
	v_cmp_lt_u32_e32 vcc, v1, v104
	v_pk_mov_b32 v[16:17], s[18:19], s[18:19] op_sel:[0,1]
	v_pk_mov_b32 v[18:19], s[20:21], s[20:21] op_sel:[0,1]
	;; [unrolled: 1-line block ×3, first 2 shown]
	s_and_saveexec_b64 s[4:5], vcc
	s_cbranch_execz .LBB809_256
; %bb.255:
	flat_load_dwordx2 v[14:15], v[8:9]
	v_mov_b32_e32 v16, -1
	v_bfrev_b32_e32 v17, -2
	v_mov_b32_e32 v18, v16
	v_mov_b32_e32 v19, v17
	;; [unrolled: 1-line block ×4, first 2 shown]
.LBB809_256:
	s_or_b64 exec, exec, s[4:5]
	v_or_b32_e32 v25, 64, v1
	v_cmp_lt_u32_e64 s[4:5], v25, v104
	s_and_saveexec_b64 s[6:7], s[4:5]
	s_cbranch_execz .LBB809_258
; %bb.257:
	flat_load_dwordx2 v[16:17], v[8:9] offset:512
.LBB809_258:
	s_or_b64 exec, exec, s[6:7]
	v_or_b32_e32 v25, 0x80, v1
	v_cmp_lt_u32_e64 s[6:7], v25, v104
	s_and_saveexec_b64 s[10:11], s[6:7]
	s_cbranch_execz .LBB809_260
; %bb.259:
	flat_load_dwordx2 v[18:19], v[8:9] offset:1024
.LBB809_260:
	;; [unrolled: 8-line block ×3, first 2 shown]
	s_or_b64 exec, exec, s[14:15]
	v_add_co_u32_e64 v1, s[14:15], v4, v26
	v_addc_co_u32_e64 v4, s[14:15], v5, v27, s[14:15]
	v_add_co_u32_e64 v1, s[14:15], v1, v24
	v_addc_co_u32_e64 v5, s[14:15], 0, v4, s[14:15]
	;; [unrolled: 2-line block ×3, first 2 shown]
                                        ; implicit-def: $vgpr24_vgpr25
	s_and_saveexec_b64 s[14:15], vcc
	s_cbranch_execnz .LBB809_337
; %bb.263:
	s_or_b64 exec, exec, s[14:15]
                                        ; implicit-def: $vgpr68_vgpr69
	s_and_saveexec_b64 s[14:15], s[4:5]
	s_cbranch_execnz .LBB809_338
.LBB809_264:
	s_or_b64 exec, exec, s[14:15]
                                        ; implicit-def: $vgpr70_vgpr71
	s_and_saveexec_b64 s[4:5], s[6:7]
	s_cbranch_execnz .LBB809_339
.LBB809_265:
	s_or_b64 exec, exec, s[4:5]
                                        ; implicit-def: $vgpr80_vgpr81
	s_and_saveexec_b64 s[4:5], s[10:11]
	s_cbranch_execz .LBB809_267
.LBB809_266:
	flat_load_dwordx2 v[80:81], v[4:5] offset:1536
.LBB809_267:
	s_or_b64 exec, exec, s[4:5]
	v_add_co_u32_e32 v1, vcc, 16, v12
	v_addc_co_u32_e32 v29, vcc, 0, v13, vcc
	v_lshlrev_b32_e32 v4, 4, v28
	v_add_co_u32_e32 v4, vcc, v12, v4
	s_getpc_b64 s[4:5]
	s_add_u32 s4, s4, _ZN7rocprim17ROCPRIM_400000_NS16block_radix_sortIlLj256ELj4ElLj1ELj1ELj8ELNS0_26block_radix_rank_algorithmE2ELNS0_18block_padding_hintE2ELNS0_4arch9wavefront6targetE1EE19radix_bits_per_passE@rel32@lo+4
	s_addc_u32 s5, s5, _ZN7rocprim17ROCPRIM_400000_NS16block_radix_sortIlLj256ELj4ElLj1ELj1ELj8ELNS0_26block_radix_rank_algorithmE2ELNS0_18block_padding_hintE2ELNS0_4arch9wavefront6targetE1EE19radix_bits_per_passE@rel32@hi+12
	v_addc_co_u32_e32 v5, vcc, 0, v13, vcc
	v_and_b32_e32 v8, 15, v32
	s_load_dword s46, s[4:5], 0x0
	v_cmp_eq_u32_e32 vcc, 0, v8
	v_cmp_lt_u32_e64 s[4:5], 1, v8
	v_cmp_lt_u32_e64 s[6:7], 3, v8
	;; [unrolled: 1-line block ×3, first 2 shown]
	v_and_b32_e32 v8, 16, v32
	v_cmp_eq_u32_e64 s[30:31], 0, v8
	v_and_b32_e32 v8, 0x3c0, v28
	v_min_u32_e32 v8, 0xc0, v8
	v_or_b32_e32 v8, 63, v8
	v_cmp_eq_u32_e64 s[16:17], v8, v28
	v_add_u32_e32 v8, -1, v32
	v_and_b32_e32 v9, 64, v32
	v_cmp_lt_i32_e64 s[22:23], v8, v9
	v_mov_b32_e32 v22, 0
	v_lshrrev_b32_e32 v34, 6, v28
	v_cndmask_b32_e64 v8, v8, v32, s[22:23]
	v_lshlrev_b32_e32 v99, 2, v8
	v_lshlrev_b32_e32 v8, 2, v34
	v_add_u32_e32 v34, -1, v34
	v_mov_b32_e32 v35, v22
	v_lshlrev_b64 v[34:35], 2, v[34:35]
	v_add_co_u32_e64 v48, s[34:35], v12, v34
	v_add_co_u32_e64 v8, s[26:27], v12, v8
	v_addc_co_u32_e64 v49, s[34:35], v13, v35, s[34:35]
	v_lshlrev_b32_e32 v23, 2, v28
	v_addc_co_u32_e64 v9, s[26:27], 0, v13, s[26:27]
	s_movk_i32 s34, 0xf00
	v_add_co_u32_e64 v30, s[26:27], v12, v23
	v_and_or_b32 v23, v23, s34, v33
	v_lshlrev_b32_e32 v23, 3, v23
	v_cmp_lt_u32_e64 s[14:15], 31, v32
	v_cmp_eq_u32_e64 s[22:23], 0, v32
	v_addc_co_u32_e64 v31, s[26:27], 0, v13, s[26:27]
	v_and_b32_e32 v32, 3, v32
	v_add_co_u32_e64 v50, s[34:35], v12, v23
	s_waitcnt vmcnt(0) lgkmcnt(0)
	v_xor_b32_e32 v15, 0x80000000, v15
	v_xor_b32_e32 v17, 0x80000000, v17
	;; [unrolled: 1-line block ×4, first 2 shown]
	v_lshrrev_b32_e32 v98, 6, v0
	v_cmp_gt_u32_e64 s[18:19], 4, v28
	v_cmp_lt_u32_e64 s[20:21], 63, v28
	v_cmp_eq_u32_e64 s[24:25], 0, v28
	v_cmp_eq_u32_e64 s[26:27], 0, v32
	v_cmp_lt_u32_e64 s[28:29], 1, v32
	v_addc_co_u32_e64 v51, s[34:35], 0, v13, s[34:35]
	v_sub_u32_e32 v100, v11, v10
	s_mov_b64 s[40:41], 0
	s_barrier
	s_branch .LBB809_269
.LBB809_268:                            ;   in Loop: Header=BB809_269 Depth=1
	s_or_b64 exec, exec, s[36:37]
	s_and_b64 s[34:35], exec, s[44:45]
	s_or_b64 s[40:41], s[34:35], s[40:41]
	s_andn2_b64 exec, exec, s[40:41]
	s_cbranch_execz .LBB809_299
.LBB809_269:                            ; =>This Inner Loop Header: Depth=1
	s_waitcnt vmcnt(0)
	v_pk_mov_b32 v[66:67], v[14:15], v[14:15] op_sel:[0,1]
	v_min_u32_e32 v14, s46, v100
	v_lshlrev_b32_e64 v14, v14, -1
	v_pk_mov_b32 v[64:65], v[16:17], v[16:17] op_sel:[0,1]
	v_not_b32_e32 v16, v14
	v_lshrrev_b64 v[14:15], v10, v[66:67]
	v_and_b32_e32 v17, v14, v16
	v_lshl_add_u32 v14, v17, 2, v98
	v_mov_b32_e32 v15, v22
	v_lshlrev_b64 v[14:15], 2, v[14:15]
	v_pk_mov_b32 v[54:55], v[18:19], v[18:19] op_sel:[0,1]
	v_add_co_u32_e64 v18, s[34:35], v1, v14
	v_addc_co_u32_e64 v19, s[34:35], v29, v15, s[34:35]
	v_and_b32_e32 v14, 1, v17
	v_add_co_u32_e64 v15, s[34:35], -1, v14
	v_pk_mov_b32 v[52:53], v[20:21], v[20:21] op_sel:[0,1]
	v_pk_mov_b32 v[38:39], v[24:25], v[24:25] op_sel:[0,1]
	v_mov_b32_e32 v23, v22
	v_mov_b32_e32 v24, v22
	;; [unrolled: 1-line block ×3, first 2 shown]
	v_addc_co_u32_e64 v20, s[34:35], 0, -1, s[34:35]
	flat_store_dwordx4 v[4:5], v[22:25] offset:16
	v_cmp_ne_u32_e64 s[34:35], 0, v14
	v_lshlrev_b32_e32 v23, 30, v17
	v_xor_b32_e32 v14, s35, v20
	v_not_b32_e32 v20, v23
	v_xor_b32_e32 v15, s34, v15
	v_cmp_gt_i64_e64 s[34:35], 0, v[22:23]
	v_ashrrev_i32_e32 v20, 31, v20
	v_and_b32_e32 v15, exec_lo, v15
	v_xor_b32_e32 v21, s35, v20
	v_xor_b32_e32 v20, s34, v20
	v_lshlrev_b32_e32 v23, 29, v17
	v_and_b32_e32 v15, v15, v20
	v_not_b32_e32 v20, v23
	v_and_b32_e32 v14, exec_hi, v14
	v_cmp_gt_i64_e64 s[34:35], 0, v[22:23]
	v_ashrrev_i32_e32 v20, 31, v20
	v_and_b32_e32 v14, v14, v21
	v_xor_b32_e32 v21, s35, v20
	v_xor_b32_e32 v20, s34, v20
	v_lshlrev_b32_e32 v23, 28, v17
	v_and_b32_e32 v15, v15, v20
	v_not_b32_e32 v20, v23
	v_cmp_gt_i64_e64 s[34:35], 0, v[22:23]
	v_ashrrev_i32_e32 v20, 31, v20
	v_and_b32_e32 v14, v14, v21
	v_xor_b32_e32 v21, s35, v20
	v_xor_b32_e32 v20, s34, v20
	v_lshlrev_b32_e32 v23, 27, v17
	v_and_b32_e32 v15, v15, v20
	v_not_b32_e32 v20, v23
	;; [unrolled: 8-line block ×5, first 2 shown]
	v_cmp_gt_i64_e64 s[34:35], 0, v[22:23]
	v_ashrrev_i32_e32 v15, 31, v15
	v_and_b32_e32 v14, v14, v21
	v_xor_b32_e32 v17, s35, v15
	v_xor_b32_e32 v21, s34, v15
	v_and_b32_e32 v15, v14, v17
	v_and_b32_e32 v14, v20, v21
	v_mbcnt_lo_u32_b32 v17, v14, 0
	v_pk_mov_b32 v[34:35], v[70:71], v[70:71] op_sel:[0,1]
	v_mbcnt_hi_u32_b32 v70, v15, v17
	v_cmp_eq_u32_e64 s[34:35], 0, v70
	v_cmp_ne_u64_e64 s[36:37], 0, v[14:15]
	v_pk_mov_b32 v[36:37], v[68:69], v[68:69] op_sel:[0,1]
	v_pk_mov_b32 v[32:33], v[80:81], v[80:81] op_sel:[0,1]
	s_and_b64 s[36:37], s[36:37], s[34:35]
	s_waitcnt lgkmcnt(0)
	s_barrier
	s_waitcnt lgkmcnt(0)
	; wave barrier
	s_and_saveexec_b64 s[34:35], s[36:37]
	s_cbranch_execz .LBB809_271
; %bb.270:                              ;   in Loop: Header=BB809_269 Depth=1
	v_bcnt_u32_b32 v14, v14, 0
	v_bcnt_u32_b32 v14, v15, v14
	flat_store_dword v[18:19], v14
.LBB809_271:                            ;   in Loop: Header=BB809_269 Depth=1
	s_or_b64 exec, exec, s[34:35]
	v_lshrrev_b64 v[14:15], v10, v[64:65]
	v_and_b32_e32 v17, v14, v16
	v_lshl_add_u32 v14, v17, 2, v98
	v_mov_b32_e32 v15, v22
	v_lshlrev_b64 v[14:15], 2, v[14:15]
	v_add_co_u32_e64 v20, s[34:35], v1, v14
	v_addc_co_u32_e64 v21, s[34:35], v29, v15, s[34:35]
	; wave barrier
	flat_load_dword v71, v[20:21]
	v_and_b32_e32 v14, 1, v17
	v_add_co_u32_e64 v15, s[34:35], -1, v14
	v_addc_co_u32_e64 v23, s[34:35], 0, -1, s[34:35]
	v_cmp_ne_u32_e64 s[34:35], 0, v14
	v_xor_b32_e32 v14, s35, v23
	v_lshlrev_b32_e32 v23, 30, v17
	v_xor_b32_e32 v15, s34, v15
	v_cmp_gt_i64_e64 s[34:35], 0, v[22:23]
	v_not_b32_e32 v23, v23
	v_ashrrev_i32_e32 v23, 31, v23
	v_and_b32_e32 v15, exec_lo, v15
	v_xor_b32_e32 v24, s35, v23
	v_xor_b32_e32 v23, s34, v23
	v_and_b32_e32 v15, v15, v23
	v_lshlrev_b32_e32 v23, 29, v17
	v_cmp_gt_i64_e64 s[34:35], 0, v[22:23]
	v_not_b32_e32 v23, v23
	v_and_b32_e32 v14, exec_hi, v14
	v_ashrrev_i32_e32 v23, 31, v23
	v_and_b32_e32 v14, v14, v24
	v_xor_b32_e32 v24, s35, v23
	v_xor_b32_e32 v23, s34, v23
	v_and_b32_e32 v15, v15, v23
	v_lshlrev_b32_e32 v23, 28, v17
	v_cmp_gt_i64_e64 s[34:35], 0, v[22:23]
	v_not_b32_e32 v23, v23
	v_ashrrev_i32_e32 v23, 31, v23
	v_and_b32_e32 v14, v14, v24
	v_xor_b32_e32 v24, s35, v23
	v_xor_b32_e32 v23, s34, v23
	v_and_b32_e32 v15, v15, v23
	v_lshlrev_b32_e32 v23, 27, v17
	v_cmp_gt_i64_e64 s[34:35], 0, v[22:23]
	v_not_b32_e32 v23, v23
	;; [unrolled: 8-line block ×4, first 2 shown]
	v_ashrrev_i32_e32 v23, 31, v23
	v_and_b32_e32 v14, v14, v24
	v_xor_b32_e32 v24, s35, v23
	v_xor_b32_e32 v23, s34, v23
	v_and_b32_e32 v14, v14, v24
	v_and_b32_e32 v24, v15, v23
	v_lshlrev_b32_e32 v23, 24, v17
	v_not_b32_e32 v15, v23
	v_cmp_gt_i64_e64 s[34:35], 0, v[22:23]
	v_ashrrev_i32_e32 v15, 31, v15
	v_xor_b32_e32 v17, s35, v15
	v_xor_b32_e32 v23, s34, v15
	v_and_b32_e32 v15, v14, v17
	v_and_b32_e32 v14, v24, v23
	v_mbcnt_lo_u32_b32 v17, v14, 0
	v_mbcnt_hi_u32_b32 v80, v15, v17
	v_cmp_eq_u32_e64 s[34:35], 0, v80
	v_cmp_ne_u64_e64 s[36:37], 0, v[14:15]
	s_and_b64 s[36:37], s[36:37], s[34:35]
	; wave barrier
	s_and_saveexec_b64 s[34:35], s[36:37]
	s_cbranch_execz .LBB809_273
; %bb.272:                              ;   in Loop: Header=BB809_269 Depth=1
	v_bcnt_u32_b32 v14, v14, 0
	v_bcnt_u32_b32 v14, v15, v14
	s_waitcnt vmcnt(0) lgkmcnt(0)
	v_add_u32_e32 v14, v71, v14
	flat_store_dword v[20:21], v14
.LBB809_273:                            ;   in Loop: Header=BB809_269 Depth=1
	s_or_b64 exec, exec, s[34:35]
	v_lshrrev_b64 v[14:15], v10, v[54:55]
	v_and_b32_e32 v17, v14, v16
	v_lshl_add_u32 v14, v17, 2, v98
	v_mov_b32_e32 v15, v22
	v_lshlrev_b64 v[14:15], 2, v[14:15]
	v_add_co_u32_e64 v24, s[34:35], v1, v14
	v_addc_co_u32_e64 v25, s[34:35], v29, v15, s[34:35]
	; wave barrier
	flat_load_dword v81, v[24:25]
	v_and_b32_e32 v14, 1, v17
	v_add_co_u32_e64 v15, s[34:35], -1, v14
	v_addc_co_u32_e64 v23, s[34:35], 0, -1, s[34:35]
	v_cmp_ne_u32_e64 s[34:35], 0, v14
	v_xor_b32_e32 v14, s35, v23
	v_lshlrev_b32_e32 v23, 30, v17
	v_xor_b32_e32 v15, s34, v15
	v_cmp_gt_i64_e64 s[34:35], 0, v[22:23]
	v_not_b32_e32 v23, v23
	v_ashrrev_i32_e32 v23, 31, v23
	v_and_b32_e32 v15, exec_lo, v15
	v_xor_b32_e32 v68, s35, v23
	v_xor_b32_e32 v23, s34, v23
	v_and_b32_e32 v15, v15, v23
	v_lshlrev_b32_e32 v23, 29, v17
	v_cmp_gt_i64_e64 s[34:35], 0, v[22:23]
	v_not_b32_e32 v23, v23
	v_and_b32_e32 v14, exec_hi, v14
	v_ashrrev_i32_e32 v23, 31, v23
	v_and_b32_e32 v14, v14, v68
	v_xor_b32_e32 v68, s35, v23
	v_xor_b32_e32 v23, s34, v23
	v_and_b32_e32 v15, v15, v23
	v_lshlrev_b32_e32 v23, 28, v17
	v_cmp_gt_i64_e64 s[34:35], 0, v[22:23]
	v_not_b32_e32 v23, v23
	v_ashrrev_i32_e32 v23, 31, v23
	v_and_b32_e32 v14, v14, v68
	v_xor_b32_e32 v68, s35, v23
	v_xor_b32_e32 v23, s34, v23
	v_and_b32_e32 v15, v15, v23
	v_lshlrev_b32_e32 v23, 27, v17
	v_cmp_gt_i64_e64 s[34:35], 0, v[22:23]
	v_not_b32_e32 v23, v23
	;; [unrolled: 8-line block ×4, first 2 shown]
	v_ashrrev_i32_e32 v23, 31, v23
	v_and_b32_e32 v14, v14, v68
	v_xor_b32_e32 v68, s35, v23
	v_xor_b32_e32 v23, s34, v23
	v_and_b32_e32 v14, v14, v68
	v_and_b32_e32 v68, v15, v23
	v_lshlrev_b32_e32 v23, 24, v17
	v_not_b32_e32 v15, v23
	v_cmp_gt_i64_e64 s[34:35], 0, v[22:23]
	v_ashrrev_i32_e32 v15, 31, v15
	v_xor_b32_e32 v17, s35, v15
	v_xor_b32_e32 v23, s34, v15
	v_and_b32_e32 v15, v14, v17
	v_and_b32_e32 v14, v68, v23
	v_mbcnt_lo_u32_b32 v17, v14, 0
	v_mbcnt_hi_u32_b32 v82, v15, v17
	v_cmp_eq_u32_e64 s[34:35], 0, v82
	v_cmp_ne_u64_e64 s[36:37], 0, v[14:15]
	s_and_b64 s[36:37], s[36:37], s[34:35]
	; wave barrier
	s_and_saveexec_b64 s[34:35], s[36:37]
	s_cbranch_execz .LBB809_275
; %bb.274:                              ;   in Loop: Header=BB809_269 Depth=1
	v_bcnt_u32_b32 v14, v14, 0
	v_bcnt_u32_b32 v14, v15, v14
	s_waitcnt vmcnt(0) lgkmcnt(0)
	v_add_u32_e32 v14, v81, v14
	flat_store_dword v[24:25], v14
.LBB809_275:                            ;   in Loop: Header=BB809_269 Depth=1
	s_or_b64 exec, exec, s[34:35]
	v_lshrrev_b64 v[14:15], v10, v[52:53]
	v_and_b32_e32 v16, v14, v16
	v_lshl_add_u32 v14, v16, 2, v98
	v_mov_b32_e32 v15, v22
	v_lshlrev_b64 v[14:15], 2, v[14:15]
	v_add_co_u32_e64 v68, s[34:35], v1, v14
	v_addc_co_u32_e64 v69, s[34:35], v29, v15, s[34:35]
	; wave barrier
	flat_load_dword v83, v[68:69]
	v_and_b32_e32 v14, 1, v16
	v_add_co_u32_e64 v15, s[34:35], -1, v14
	v_addc_co_u32_e64 v17, s[34:35], 0, -1, s[34:35]
	v_cmp_ne_u32_e64 s[34:35], 0, v14
	v_lshlrev_b32_e32 v23, 30, v16
	v_xor_b32_e32 v14, s35, v17
	v_not_b32_e32 v17, v23
	v_xor_b32_e32 v15, s34, v15
	v_cmp_gt_i64_e64 s[34:35], 0, v[22:23]
	v_ashrrev_i32_e32 v17, 31, v17
	v_and_b32_e32 v14, exec_hi, v14
	v_xor_b32_e32 v23, s35, v17
	v_and_b32_e32 v15, exec_lo, v15
	v_xor_b32_e32 v17, s34, v17
	v_and_b32_e32 v14, v14, v23
	v_lshlrev_b32_e32 v23, 29, v16
	v_and_b32_e32 v15, v15, v17
	v_not_b32_e32 v17, v23
	v_cmp_gt_i64_e64 s[34:35], 0, v[22:23]
	v_ashrrev_i32_e32 v17, 31, v17
	v_xor_b32_e32 v23, s35, v17
	v_xor_b32_e32 v17, s34, v17
	v_and_b32_e32 v14, v14, v23
	v_lshlrev_b32_e32 v23, 28, v16
	v_and_b32_e32 v15, v15, v17
	v_not_b32_e32 v17, v23
	v_cmp_gt_i64_e64 s[34:35], 0, v[22:23]
	v_ashrrev_i32_e32 v17, 31, v17
	v_xor_b32_e32 v23, s35, v17
	;; [unrolled: 8-line block ×6, first 2 shown]
	v_xor_b32_e32 v23, s34, v15
	v_and_b32_e32 v15, v14, v16
	v_and_b32_e32 v14, v17, v23
	v_mbcnt_lo_u32_b32 v16, v14, 0
	v_mbcnt_hi_u32_b32 v23, v15, v16
	v_cmp_eq_u32_e64 s[34:35], 0, v23
	v_cmp_ne_u64_e64 s[36:37], 0, v[14:15]
	s_and_b64 s[36:37], s[36:37], s[34:35]
	; wave barrier
	s_and_saveexec_b64 s[34:35], s[36:37]
	s_cbranch_execz .LBB809_277
; %bb.276:                              ;   in Loop: Header=BB809_269 Depth=1
	v_bcnt_u32_b32 v14, v14, 0
	v_bcnt_u32_b32 v14, v15, v14
	s_waitcnt vmcnt(0) lgkmcnt(0)
	v_add_u32_e32 v14, v83, v14
	flat_store_dword v[68:69], v14
.LBB809_277:                            ;   in Loop: Header=BB809_269 Depth=1
	s_or_b64 exec, exec, s[34:35]
	; wave barrier
	s_waitcnt lgkmcnt(0)
	s_barrier
	flat_load_dwordx4 v[14:17], v[4:5] offset:16
	s_waitcnt vmcnt(0) lgkmcnt(0)
	v_add_u32_e32 v84, v15, v14
	v_add3_u32 v17, v84, v16, v17
	s_nop 1
	v_mov_b32_dpp v84, v17 row_shr:1 row_mask:0xf bank_mask:0xf
	v_cndmask_b32_e64 v84, v84, 0, vcc
	v_add_u32_e32 v17, v84, v17
	s_nop 1
	v_mov_b32_dpp v84, v17 row_shr:2 row_mask:0xf bank_mask:0xf
	v_cndmask_b32_e64 v84, 0, v84, s[4:5]
	v_add_u32_e32 v17, v17, v84
	s_nop 1
	v_mov_b32_dpp v84, v17 row_shr:4 row_mask:0xf bank_mask:0xf
	v_cndmask_b32_e64 v84, 0, v84, s[6:7]
	;; [unrolled: 4-line block ×3, first 2 shown]
	v_add_u32_e32 v17, v17, v84
	s_nop 1
	v_mov_b32_dpp v84, v17 row_bcast:15 row_mask:0xf bank_mask:0xf
	v_cndmask_b32_e64 v84, v84, 0, s[30:31]
	v_add_u32_e32 v17, v17, v84
	s_nop 1
	v_mov_b32_dpp v84, v17 row_bcast:31 row_mask:0xf bank_mask:0xf
	v_cndmask_b32_e64 v84, 0, v84, s[14:15]
	v_add_u32_e32 v17, v17, v84
	s_and_saveexec_b64 s[34:35], s[16:17]
	s_cbranch_execz .LBB809_279
; %bb.278:                              ;   in Loop: Header=BB809_269 Depth=1
	flat_store_dword v[8:9], v17
.LBB809_279:                            ;   in Loop: Header=BB809_269 Depth=1
	s_or_b64 exec, exec, s[34:35]
	s_waitcnt lgkmcnt(0)
	s_barrier
	s_and_saveexec_b64 s[34:35], s[18:19]
	s_cbranch_execz .LBB809_281
; %bb.280:                              ;   in Loop: Header=BB809_269 Depth=1
	flat_load_dword v84, v[30:31]
	s_waitcnt vmcnt(0) lgkmcnt(0)
	s_nop 0
	v_mov_b32_dpp v85, v84 row_shr:1 row_mask:0xf bank_mask:0xf
	v_cndmask_b32_e64 v85, v85, 0, s[26:27]
	v_add_u32_e32 v84, v85, v84
	s_nop 1
	v_mov_b32_dpp v85, v84 row_shr:2 row_mask:0xf bank_mask:0xf
	v_cndmask_b32_e64 v85, 0, v85, s[28:29]
	v_add_u32_e32 v84, v84, v85
	flat_store_dword v[30:31], v84
.LBB809_281:                            ;   in Loop: Header=BB809_269 Depth=1
	s_or_b64 exec, exec, s[34:35]
	v_mov_b32_e32 v84, 0
	s_waitcnt lgkmcnt(0)
	s_barrier
	s_and_saveexec_b64 s[34:35], s[20:21]
	s_cbranch_execz .LBB809_283
; %bb.282:                              ;   in Loop: Header=BB809_269 Depth=1
	flat_load_dword v84, v[48:49]
.LBB809_283:                            ;   in Loop: Header=BB809_269 Depth=1
	s_or_b64 exec, exec, s[34:35]
	s_waitcnt vmcnt(0) lgkmcnt(0)
	v_add_u32_e32 v17, v84, v17
	ds_bpermute_b32 v17, v99, v17
	v_add_u32_e32 v10, 8, v10
	v_cmp_lt_u32_e64 s[34:35], v10, v11
	s_mov_b64 s[44:45], -1
	s_waitcnt lgkmcnt(0)
	v_cndmask_b32_e64 v17, v17, v84, s[22:23]
	v_cndmask_b32_e64 v84, v17, 0, s[24:25]
	v_add_u32_e32 v85, v84, v14
	v_add_u32_e32 v86, v85, v15
	;; [unrolled: 1-line block ×3, first 2 shown]
	flat_store_dwordx4 v[4:5], v[84:87] offset:16
	s_waitcnt lgkmcnt(0)
	s_barrier
	flat_load_dword v14, v[18:19]
	flat_load_dword v16, v[20:21]
	;; [unrolled: 1-line block ×4, first 2 shown]
	v_mov_b32_e32 v15, v22
	v_mov_b32_e32 v17, v22
	v_mov_b32_e32 v19, v22
	v_mov_b32_e32 v21, v22
	s_waitcnt lgkmcnt(0)
                                        ; implicit-def: $vgpr24_vgpr25
                                        ; implicit-def: $vgpr68_vgpr69
	s_waitcnt vmcnt(0) lgkmcnt(0)
	v_add_u32_e32 v14, v14, v70
	v_lshlrev_b64 v[14:15], 3, v[14:15]
	v_add3_u32 v16, v80, v71, v16
	v_add3_u32 v18, v82, v81, v84
	v_add_co_u32_e64 v82, s[36:37], v12, v14
	v_add3_u32 v20, v23, v83, v85
	v_lshlrev_b64 v[16:17], 3, v[16:17]
	v_addc_co_u32_e64 v83, s[36:37], v13, v15, s[36:37]
	v_add_co_u32_e64 v84, s[36:37], v12, v16
	v_lshlrev_b64 v[18:19], 3, v[18:19]
	v_addc_co_u32_e64 v85, s[36:37], v13, v17, s[36:37]
	v_add_co_u32_e64 v86, s[36:37], v12, v18
	v_lshlrev_b64 v[20:21], 3, v[20:21]
	v_addc_co_u32_e64 v87, s[36:37], v13, v19, s[36:37]
	v_add_co_u32_e64 v96, s[36:37], v12, v20
	v_addc_co_u32_e64 v97, s[36:37], v13, v21, s[36:37]
                                        ; implicit-def: $vgpr20_vgpr21
                                        ; implicit-def: $vgpr70_vgpr71
                                        ; implicit-def: $vgpr80_vgpr81
	s_and_saveexec_b64 s[36:37], s[34:35]
	s_cbranch_execz .LBB809_268
; %bb.284:                              ;   in Loop: Header=BB809_269 Depth=1
	s_barrier
	flat_store_dwordx2 v[82:83], v[66:67]
	flat_store_dwordx2 v[84:85], v[64:65]
	;; [unrolled: 1-line block ×4, first 2 shown]
	s_waitcnt lgkmcnt(0)
	s_barrier
	flat_load_dwordx2 v[14:15], v[50:51]
	flat_load_dwordx2 v[16:17], v[50:51] offset:512
	flat_load_dwordx2 v[18:19], v[50:51] offset:1024
	;; [unrolled: 1-line block ×3, first 2 shown]
	s_waitcnt lgkmcnt(0)
	s_barrier
	flat_store_dwordx2 v[82:83], v[38:39]
	flat_store_dwordx2 v[84:85], v[36:37]
	;; [unrolled: 1-line block ×4, first 2 shown]
	s_waitcnt lgkmcnt(0)
	s_barrier
	flat_load_dwordx2 v[24:25], v[50:51]
	flat_load_dwordx2 v[68:69], v[50:51] offset:512
	flat_load_dwordx2 v[70:71], v[50:51] offset:1024
	;; [unrolled: 1-line block ×3, first 2 shown]
	v_add_u32_e32 v100, -8, v100
	s_xor_b64 s[44:45], exec, -1
	s_waitcnt lgkmcnt(0)
	s_barrier
	s_branch .LBB809_268
.LBB809_285:
	flat_load_dwordx2 v[114:115], v[4:5]
	s_or_b64 exec, exec, s[22:23]
                                        ; implicit-def: $vgpr116_vgpr117
	s_and_saveexec_b64 s[22:23], s[4:5]
	s_cbranch_execz .LBB809_163
.LBB809_286:
	flat_load_dwordx2 v[116:117], v[4:5] offset:512
	s_or_b64 exec, exec, s[22:23]
                                        ; implicit-def: $vgpr118_vgpr119
	s_and_saveexec_b64 s[4:5], s[6:7]
	s_cbranch_execz .LBB809_164
.LBB809_287:
	flat_load_dwordx2 v[118:119], v[4:5] offset:1024
	s_or_b64 exec, exec, s[4:5]
                                        ; implicit-def: $vgpr128_vgpr129
	s_and_saveexec_b64 s[4:5], s[10:11]
	s_cbranch_execz .LBB809_165
.LBB809_288:
	flat_load_dwordx2 v[128:129], v[4:5] offset:1536
	s_or_b64 exec, exec, s[4:5]
                                        ; implicit-def: $vgpr130_vgpr131
	s_and_saveexec_b64 s[4:5], s[20:21]
	s_cbranch_execz .LBB809_166
.LBB809_289:
	flat_load_dwordx2 v[130:131], v[4:5] offset:2048
	s_or_b64 exec, exec, s[4:5]
                                        ; implicit-def: $vgpr132_vgpr133
	s_and_saveexec_b64 s[4:5], s[14:15]
	s_cbranch_execz .LBB809_167
.LBB809_290:
	flat_load_dwordx2 v[132:133], v[4:5] offset:2560
	s_or_b64 exec, exec, s[4:5]
                                        ; implicit-def: $vgpr134_vgpr135
	s_and_saveexec_b64 s[4:5], s[16:17]
	s_cbranch_execz .LBB809_168
.LBB809_291:
	flat_load_dwordx2 v[134:135], v[4:5] offset:3072
	s_or_b64 exec, exec, s[4:5]
                                        ; implicit-def: $vgpr144_vgpr145
	s_and_saveexec_b64 s[4:5], s[18:19]
	s_cbranch_execnz .LBB809_169
	s_branch .LBB809_170
.LBB809_292:
	s_waitcnt vmcnt(0)
	flat_store_dwordx2 v[0:1], v[22:23]
	s_or_b64 exec, exec, s[24:25]
	s_and_saveexec_b64 s[4:5], s[6:7]
	s_cbranch_execz .LBB809_244
.LBB809_293:
	s_waitcnt vmcnt(0)
	flat_store_dwordx2 v[0:1], v[18:19] offset:2048
	s_or_b64 exec, exec, s[4:5]
	s_and_saveexec_b64 s[4:5], s[10:11]
	s_cbranch_execz .LBB809_245
.LBB809_294:
	v_add_co_u32_e32 v2, vcc, 0x1000, v0
	v_addc_co_u32_e32 v3, vcc, 0, v1, vcc
	s_waitcnt vmcnt(0)
	flat_store_dwordx2 v[2:3], v[16:17]
	s_or_b64 exec, exec, s[4:5]
	s_and_saveexec_b64 s[4:5], s[22:23]
	s_cbranch_execz .LBB809_246
.LBB809_295:
	v_add_co_u32_e32 v2, vcc, 0x1000, v0
	v_addc_co_u32_e32 v3, vcc, 0, v1, vcc
	s_waitcnt vmcnt(0)
	flat_store_dwordx2 v[2:3], v[14:15] offset:2048
	s_or_b64 exec, exec, s[4:5]
	s_and_saveexec_b64 s[4:5], s[14:15]
	s_cbranch_execz .LBB809_247
.LBB809_296:
	v_add_co_u32_e32 v2, vcc, 0x2000, v0
	v_addc_co_u32_e32 v3, vcc, 0, v1, vcc
	s_waitcnt vmcnt(0)
	flat_store_dwordx2 v[2:3], v[12:13]
	s_or_b64 exec, exec, s[4:5]
	s_and_saveexec_b64 s[4:5], s[16:17]
	s_cbranch_execz .LBB809_248
.LBB809_297:
	v_add_co_u32_e32 v2, vcc, 0x2000, v0
	v_addc_co_u32_e32 v3, vcc, 0, v1, vcc
	s_waitcnt vmcnt(0)
	flat_store_dwordx2 v[2:3], v[10:11] offset:2048
	s_or_b64 exec, exec, s[4:5]
	s_and_saveexec_b64 s[4:5], s[18:19]
	s_cbranch_execz .LBB809_249
.LBB809_298:
	v_add_co_u32_e32 v2, vcc, 0x3000, v0
	v_addc_co_u32_e32 v3, vcc, 0, v1, vcc
	s_waitcnt vmcnt(0)
	flat_store_dwordx2 v[2:3], v[8:9]
	s_or_b64 exec, exec, s[4:5]
	s_and_saveexec_b64 s[4:5], s[20:21]
	s_cbranch_execnz .LBB809_250
	s_branch .LBB809_251
.LBB809_299:
	s_or_b64 exec, exec, s[40:41]
	v_lshlrev_b32_e32 v1, 3, v28
	s_waitcnt vmcnt(0)
	v_add_co_u32_e32 v18, vcc, v12, v1
	v_addc_co_u32_e32 v19, vcc, 0, v13, vcc
	s_movk_i32 s4, 0x1000
	v_add_co_u32_e32 v24, vcc, s4, v18
	s_barrier
	flat_store_dwordx2 v[82:83], v[66:67]
	flat_store_dwordx2 v[84:85], v[64:65]
	;; [unrolled: 1-line block ×4, first 2 shown]
	s_waitcnt lgkmcnt(0)
	s_barrier
	v_addc_co_u32_e32 v25, vcc, 0, v19, vcc
	flat_load_dwordx2 v[22:23], v[18:19]
	flat_load_dwordx2 v[20:21], v[18:19] offset:2048
	flat_load_dwordx2 v[16:17], v[24:25]
	flat_load_dwordx2 v[14:15], v[24:25] offset:2048
	s_waitcnt lgkmcnt(0)
	s_barrier
	flat_store_dwordx2 v[82:83], v[38:39]
	flat_store_dwordx2 v[84:85], v[36:37]
	;; [unrolled: 1-line block ×4, first 2 shown]
	s_waitcnt lgkmcnt(0)
	s_barrier
	flat_load_dwordx2 v[12:13], v[18:19]
	flat_load_dwordx2 v[10:11], v[18:19] offset:2048
	flat_load_dwordx2 v[8:9], v[24:25]
	flat_load_dwordx2 v[4:5], v[24:25] offset:2048
	v_mov_b32_e32 v1, 0
	v_add_co_u32_e32 v18, vcc, v2, v26
	v_addc_co_u32_e32 v19, vcc, v3, v27, vcc
	v_lshlrev_b64 v[2:3], 3, v[0:1]
	v_add_co_u32_e32 v18, vcc, v18, v2
	v_addc_co_u32_e32 v19, vcc, v19, v3, vcc
	v_cmp_lt_u32_e64 s[4:5], v0, v104
	s_waitcnt lgkmcnt(0)
	s_barrier
	s_and_saveexec_b64 s[6:7], s[4:5]
	s_cbranch_execz .LBB809_301
; %bb.300:
	s_waitcnt vmcnt(0)
	v_xor_b32_e32 v23, 0x80000000, v23
	flat_store_dwordx2 v[18:19], v[22:23]
.LBB809_301:
	s_or_b64 exec, exec, s[6:7]
	v_add_u32_e32 v1, 0x100, v0
	v_cmp_lt_u32_e64 s[6:7], v1, v104
	s_and_saveexec_b64 s[10:11], s[6:7]
	s_cbranch_execz .LBB809_303
; %bb.302:
	s_waitcnt vmcnt(0)
	v_xor_b32_e32 v21, 0x80000000, v21
	flat_store_dwordx2 v[18:19], v[20:21] offset:2048
.LBB809_303:
	s_or_b64 exec, exec, s[10:11]
	v_add_u32_e32 v1, 0x200, v0
	v_cmp_lt_u32_e64 s[10:11], v1, v104
	s_and_saveexec_b64 s[14:15], s[10:11]
	s_cbranch_execz .LBB809_305
; %bb.304:
	s_waitcnt vmcnt(0)
	v_add_co_u32_e32 v20, vcc, 0x1000, v18
	v_xor_b32_e32 v17, 0x80000000, v17
	v_addc_co_u32_e32 v21, vcc, 0, v19, vcc
	flat_store_dwordx2 v[20:21], v[16:17]
.LBB809_305:
	s_or_b64 exec, exec, s[14:15]
	v_add_u32_e32 v0, 0x300, v0
	v_cmp_lt_u32_e64 s[14:15], v0, v104
	s_and_saveexec_b64 s[16:17], s[14:15]
	s_cbranch_execz .LBB809_307
; %bb.306:
	v_add_co_u32_e32 v0, vcc, 0x1000, v18
	s_waitcnt vmcnt(0)
	v_xor_b32_e32 v15, 0x80000000, v15
	v_addc_co_u32_e32 v1, vcc, 0, v19, vcc
	flat_store_dwordx2 v[0:1], v[14:15] offset:2048
.LBB809_307:
	s_or_b64 exec, exec, s[16:17]
	v_add_co_u32_e32 v0, vcc, v6, v26
	v_addc_co_u32_e32 v1, vcc, v7, v27, vcc
	v_add_co_u32_e32 v0, vcc, v0, v2
	v_addc_co_u32_e32 v1, vcc, v1, v3, vcc
	s_and_saveexec_b64 s[16:17], s[4:5]
	s_cbranch_execnz .LBB809_340
; %bb.308:
	s_or_b64 exec, exec, s[16:17]
	s_and_saveexec_b64 s[4:5], s[6:7]
	s_cbranch_execnz .LBB809_341
.LBB809_309:
	s_or_b64 exec, exec, s[4:5]
	s_and_saveexec_b64 s[4:5], s[10:11]
	s_cbranch_execnz .LBB809_342
.LBB809_310:
	s_or_b64 exec, exec, s[4:5]
	s_and_saveexec_b64 s[4:5], s[14:15]
	s_cbranch_execz .LBB809_312
.LBB809_311:
	v_add_co_u32_e32 v0, vcc, 0x1000, v0
	v_addc_co_u32_e32 v1, vcc, 0, v1, vcc
	s_waitcnt vmcnt(0)
	flat_store_dwordx2 v[0:1], v[4:5] offset:2048
.LBB809_312:
	s_or_b64 exec, exec, s[4:5]
                                        ; implicit-def: $vgpr104
                                        ; implicit-def: $vgpr0
                                        ; implicit-def: $vgpr1
                                        ; implicit-def: $vgpr2
                                        ; implicit-def: $vgpr3
                                        ; implicit-def: $vgpr4
                                        ; implicit-def: $vgpr5
                                        ; implicit-def: $vgpr6
                                        ; implicit-def: $vgpr7
                                        ; implicit-def: $vgpr8
                                        ; implicit-def: $vgpr10
                                        ; implicit-def: $vgpr11
                                        ; implicit-def: $vgpr12
                                        ; implicit-def: $vgpr13
                                        ; implicit-def: $vgpr31
                                        ; implicit-def: $vgpr14
                                        ; implicit-def: $vgpr16
                                        ; implicit-def: $vgpr15
.LBB809_313:
	s_andn2_saveexec_b64 s[4:5], s[38:39]
	s_cbranch_execz .LBB809_372
; %bb.314:
	s_load_dwordx2 s[4:5], s[8:9], 0x0
	s_waitcnt vmcnt(0)
	v_mov_b32_e32 v9, 0
	v_and_b32_e32 v26, 0x3ff, v31
	v_lshlrev_b64 v[22:23], 3, v[8:9]
	s_waitcnt lgkmcnt(0)
	s_cmp_lt_u32 s12, s4
	s_cselect_b32 s6, 12, 18
	s_cmp_lt_u32 s13, s5
	s_cselect_b32 s4, 14, 20
	s_add_u32 s4, s8, s4
	s_addc_u32 s5, s9, 0
	s_add_u32 s6, s8, s6
	global_load_ushort v17, v9, s[4:5]
	s_addc_u32 s7, s9, 0
	global_load_ushort v18, v9, s[6:7]
	s_movk_i32 s4, 0x100
	v_cmp_lt_u32_e32 vcc, s4, v104
	s_waitcnt vmcnt(1)
	v_mad_u32_u24 v14, v16, v17, v14
	s_waitcnt vmcnt(0)
	v_mad_u64_u32 v[24:25], s[4:5], v14, v18, v[26:27]
	s_and_saveexec_b64 s[4:5], vcc
	s_xor_b64 s[34:35], exec, s[4:5]
	s_cbranch_execz .LBB809_352
; %bb.315:
	v_mbcnt_hi_u32_b32 v17, -1, v15
	v_add_co_u32_e32 v0, vcc, v0, v22
	v_and_b32_e32 v16, 63, v17
	v_addc_co_u32_e32 v1, vcc, v1, v23, vcc
	v_lshlrev_b32_e32 v8, 1, v24
	v_lshlrev_b32_e32 v25, 3, v16
	v_and_b32_e32 v8, 0xffffff80, v8
	v_add_co_u32_e32 v14, vcc, v0, v25
	s_mov_b32 s4, -1
	v_addc_co_u32_e32 v15, vcc, 0, v1, vcc
	v_lshlrev_b64 v[0:1], 3, v[8:9]
	s_brev_b32 s5, -2
	v_add_co_u32_e32 v14, vcc, v14, v0
	s_mov_b32 s6, s4
	s_mov_b32 s7, s5
	v_addc_co_u32_e32 v15, vcc, v15, v1, vcc
	v_or_b32_e32 v8, v16, v8
	v_pk_mov_b32 v[20:21], s[6:7], s[6:7] op_sel:[0,1]
	v_cmp_lt_u32_e32 vcc, v8, v104
	v_pk_mov_b32 v[18:19], s[4:5], s[4:5] op_sel:[0,1]
	s_and_saveexec_b64 s[4:5], vcc
	s_cbranch_execz .LBB809_317
; %bb.316:
	flat_load_dwordx2 v[18:19], v[14:15]
	v_mov_b32_e32 v20, -1
	v_bfrev_b32_e32 v21, -2
.LBB809_317:
	s_or_b64 exec, exec, s[4:5]
	v_or_b32_e32 v8, 64, v8
	v_cmp_lt_u32_e64 s[4:5], v8, v104
	s_and_saveexec_b64 s[6:7], s[4:5]
	s_cbranch_execz .LBB809_319
; %bb.318:
	flat_load_dwordx2 v[20:21], v[14:15] offset:512
.LBB809_319:
	s_or_b64 exec, exec, s[6:7]
	v_add_co_u32_e64 v4, s[6:7], v4, v22
	v_addc_co_u32_e64 v5, s[6:7], v5, v23, s[6:7]
	v_add_co_u32_e64 v4, s[6:7], v4, v25
	v_addc_co_u32_e64 v5, s[6:7], 0, v5, s[6:7]
	;; [unrolled: 2-line block ×3, first 2 shown]
                                        ; implicit-def: $vgpr50_vgpr51
	s_and_saveexec_b64 s[6:7], vcc
	s_cbranch_execz .LBB809_321
; %bb.320:
	flat_load_dwordx2 v[50:51], v[0:1]
.LBB809_321:
	s_or_b64 exec, exec, s[6:7]
                                        ; implicit-def: $vgpr52_vgpr53
	s_and_saveexec_b64 s[6:7], s[4:5]
	s_cbranch_execz .LBB809_323
; %bb.322:
	flat_load_dwordx2 v[52:53], v[0:1] offset:512
.LBB809_323:
	s_or_b64 exec, exec, s[6:7]
	v_add_co_u32_e32 v25, vcc, 16, v12
	v_addc_co_u32_e32 v27, vcc, 0, v13, vcc
	v_lshlrev_b32_e32 v4, 4, v26
	v_add_co_u32_e32 v4, vcc, v12, v4
	s_getpc_b64 s[4:5]
	s_add_u32 s4, s4, _ZN7rocprim17ROCPRIM_400000_NS16block_radix_sortIlLj256ELj2ElLj1ELj1ELj8ELNS0_26block_radix_rank_algorithmE2ELNS0_18block_padding_hintE2ELNS0_4arch9wavefront6targetE1EE19radix_bits_per_passE@rel32@lo+4
	s_addc_u32 s5, s5, _ZN7rocprim17ROCPRIM_400000_NS16block_radix_sortIlLj256ELj2ElLj1ELj1ELj8ELNS0_26block_radix_rank_algorithmE2ELNS0_18block_padding_hintE2ELNS0_4arch9wavefront6targetE1EE19radix_bits_per_passE@rel32@hi+12
	v_addc_co_u32_e32 v5, vcc, 0, v13, vcc
	v_and_b32_e32 v8, 15, v17
	s_load_dword s40, s[4:5], 0x0
	v_cmp_eq_u32_e32 vcc, 0, v8
	v_cmp_lt_u32_e64 s[4:5], 1, v8
	v_cmp_lt_u32_e64 s[6:7], 3, v8
	;; [unrolled: 1-line block ×3, first 2 shown]
	v_and_b32_e32 v8, 16, v17
	v_cmp_eq_u32_e64 s[10:11], 0, v8
	v_and_b32_e32 v8, 0x3c0, v26
	v_min_u32_e32 v8, 0xc0, v8
	v_or_b32_e32 v8, 63, v8
	v_cmp_eq_u32_e64 s[14:15], v8, v26
	v_add_u32_e32 v8, -1, v17
	v_and_b32_e32 v9, 64, v17
	v_cmp_lt_i32_e64 s[20:21], v8, v9
	v_lshrrev_b32_e32 v14, 6, v26
	v_cndmask_b32_e64 v8, v8, v17, s[20:21]
	v_lshlrev_b32_e32 v67, 2, v8
	v_lshlrev_b32_e32 v8, 2, v14
	v_add_co_u32_e64 v8, s[24:25], v12, v8
	v_lshlrev_b32_e32 v0, 2, v26
	v_addc_co_u32_e64 v9, s[24:25], 0, v13, s[24:25]
	v_add_co_u32_e64 v28, s[24:25], v12, v0
	v_addc_co_u32_e64 v29, s[24:25], 0, v13, s[24:25]
	v_and_b32_e32 v0, 3, v17
	v_mov_b32_e32 v1, 0
	v_cmp_eq_u32_e64 s[24:25], 0, v0
	v_cmp_lt_u32_e64 s[26:27], 1, v0
	v_add_u32_e32 v0, -1, v14
	v_lshlrev_b64 v[14:15], 2, v[0:1]
	v_add_co_u32_e64 v30, s[28:29], v12, v14
	v_addc_co_u32_e64 v31, s[28:29], v13, v15, s[28:29]
	v_lshlrev_b32_e32 v0, 1, v26
	s_movk_i32 s28, 0x780
	v_and_or_b32 v0, v0, s28, v16
	v_lshlrev_b32_e32 v0, 3, v0
	v_add_co_u32_e64 v34, s[28:29], v12, v0
	s_waitcnt vmcnt(0) lgkmcnt(0)
	v_xor_b32_e32 v19, 0x80000000, v19
	v_xor_b32_e32 v21, 0x80000000, v21
	v_lshrrev_b32_e32 v66, 6, v24
	v_cmp_lt_u32_e64 s[12:13], 31, v17
	v_cmp_gt_u32_e64 s[16:17], 4, v26
	v_cmp_lt_u32_e64 s[18:19], 63, v26
	v_cmp_eq_u32_e64 s[20:21], 0, v17
	v_cmp_eq_u32_e64 s[22:23], 0, v26
	v_addc_co_u32_e64 v35, s[28:29], 0, v13, s[28:29]
	v_sub_u32_e32 v68, v11, v10
	s_mov_b64 s[36:37], 0
	v_mov_b32_e32 v14, v1
	v_mov_b32_e32 v15, v1
	;; [unrolled: 1-line block ×4, first 2 shown]
	s_barrier
	s_branch .LBB809_325
.LBB809_324:                            ;   in Loop: Header=BB809_325 Depth=1
	s_or_b64 exec, exec, s[30:31]
	s_and_b64 s[28:29], exec, s[38:39]
	s_or_b64 s[36:37], s[28:29], s[36:37]
	s_andn2_b64 exec, exec, s[36:37]
	s_cbranch_execz .LBB809_343
.LBB809_325:                            ; =>This Inner Loop Header: Depth=1
	v_min_u32_e32 v0, s40, v68
	s_waitcnt vmcnt(0)
	v_pk_mov_b32 v[48:49], v[18:19], v[18:19] op_sel:[0,1]
	v_lshlrev_b32_e64 v0, v0, -1
	v_pk_mov_b32 v[38:39], v[20:21], v[20:21] op_sel:[0,1]
	v_not_b32_e32 v20, v0
	v_lshrrev_b64 v[18:19], v10, v[48:49]
	v_and_b32_e32 v21, v18, v20
	v_lshl_add_u32 v0, v21, 2, v66
	v_lshlrev_b64 v[18:19], 2, v[0:1]
	v_pk_mov_b32 v[36:37], v[50:51], v[50:51] op_sel:[0,1]
	v_add_co_u32_e64 v50, s[28:29], v25, v18
	v_addc_co_u32_e64 v51, s[28:29], v27, v19, s[28:29]
	v_and_b32_e32 v0, 1, v21
	v_add_co_u32_e64 v18, s[28:29], -1, v0
	v_addc_co_u32_e64 v19, s[28:29], 0, -1, s[28:29]
	v_cmp_ne_u32_e64 s[28:29], 0, v0
	v_xor_b32_e32 v18, s28, v18
	v_pk_mov_b32 v[32:33], v[52:53], v[52:53] op_sel:[0,1]
	v_xor_b32_e32 v0, s29, v19
	v_and_b32_e32 v52, exec_lo, v18
	v_lshlrev_b32_e32 v19, 30, v21
	v_mov_b32_e32 v18, v1
	v_cmp_gt_i64_e64 s[28:29], 0, v[18:19]
	v_not_b32_e32 v18, v19
	v_ashrrev_i32_e32 v18, 31, v18
	v_and_b32_e32 v0, exec_hi, v0
	v_xor_b32_e32 v19, s29, v18
	v_xor_b32_e32 v18, s28, v18
	v_and_b32_e32 v0, v0, v19
	v_and_b32_e32 v52, v52, v18
	v_lshlrev_b32_e32 v19, 29, v21
	v_mov_b32_e32 v18, v1
	v_cmp_gt_i64_e64 s[28:29], 0, v[18:19]
	v_not_b32_e32 v18, v19
	v_ashrrev_i32_e32 v18, 31, v18
	v_xor_b32_e32 v19, s29, v18
	v_xor_b32_e32 v18, s28, v18
	v_and_b32_e32 v0, v0, v19
	v_and_b32_e32 v52, v52, v18
	v_lshlrev_b32_e32 v19, 28, v21
	v_mov_b32_e32 v18, v1
	v_cmp_gt_i64_e64 s[28:29], 0, v[18:19]
	v_not_b32_e32 v18, v19
	v_ashrrev_i32_e32 v18, 31, v18
	;; [unrolled: 9-line block ×6, first 2 shown]
	v_xor_b32_e32 v19, s29, v18
	v_xor_b32_e32 v18, s28, v18
	v_and_b32_e32 v18, v52, v18
	v_and_b32_e32 v19, v0, v19
	v_mbcnt_lo_u32_b32 v0, v18, 0
	v_mbcnt_hi_u32_b32 v54, v19, v0
	v_cmp_eq_u32_e64 s[28:29], 0, v54
	v_cmp_ne_u64_e64 s[30:31], 0, v[18:19]
	s_and_b64 s[30:31], s[30:31], s[28:29]
	flat_store_dwordx4 v[4:5], v[14:17] offset:16
	s_waitcnt lgkmcnt(0)
	s_barrier
	s_waitcnt lgkmcnt(0)
	; wave barrier
	s_and_saveexec_b64 s[28:29], s[30:31]
	s_cbranch_execz .LBB809_327
; %bb.326:                              ;   in Loop: Header=BB809_325 Depth=1
	v_bcnt_u32_b32 v0, v18, 0
	v_bcnt_u32_b32 v0, v19, v0
	flat_store_dword v[50:51], v0
.LBB809_327:                            ;   in Loop: Header=BB809_325 Depth=1
	s_or_b64 exec, exec, s[28:29]
	v_lshrrev_b64 v[18:19], v10, v[38:39]
	v_and_b32_e32 v20, v18, v20
	v_lshl_add_u32 v0, v20, 2, v66
	v_lshlrev_b64 v[18:19], 2, v[0:1]
	v_add_co_u32_e64 v52, s[28:29], v25, v18
	v_addc_co_u32_e64 v53, s[28:29], v27, v19, s[28:29]
	; wave barrier
	flat_load_dword v55, v[52:53]
	v_and_b32_e32 v0, 1, v20
	v_add_co_u32_e64 v18, s[28:29], -1, v0
	v_addc_co_u32_e64 v19, s[28:29], 0, -1, s[28:29]
	v_cmp_ne_u32_e64 s[28:29], 0, v0
	v_xor_b32_e32 v18, s28, v18
	v_xor_b32_e32 v0, s29, v19
	v_and_b32_e32 v21, exec_lo, v18
	v_lshlrev_b32_e32 v19, 30, v20
	v_mov_b32_e32 v18, v1
	v_cmp_gt_i64_e64 s[28:29], 0, v[18:19]
	v_not_b32_e32 v18, v19
	v_ashrrev_i32_e32 v18, 31, v18
	v_and_b32_e32 v0, exec_hi, v0
	v_xor_b32_e32 v19, s29, v18
	v_xor_b32_e32 v18, s28, v18
	v_and_b32_e32 v0, v0, v19
	v_and_b32_e32 v21, v21, v18
	v_lshlrev_b32_e32 v19, 29, v20
	v_mov_b32_e32 v18, v1
	v_cmp_gt_i64_e64 s[28:29], 0, v[18:19]
	v_not_b32_e32 v18, v19
	v_ashrrev_i32_e32 v18, 31, v18
	v_xor_b32_e32 v19, s29, v18
	v_xor_b32_e32 v18, s28, v18
	v_and_b32_e32 v0, v0, v19
	v_and_b32_e32 v21, v21, v18
	v_lshlrev_b32_e32 v19, 28, v20
	v_mov_b32_e32 v18, v1
	v_cmp_gt_i64_e64 s[28:29], 0, v[18:19]
	v_not_b32_e32 v18, v19
	v_ashrrev_i32_e32 v18, 31, v18
	;; [unrolled: 9-line block ×6, first 2 shown]
	v_xor_b32_e32 v19, s29, v18
	v_xor_b32_e32 v18, s28, v18
	v_and_b32_e32 v18, v21, v18
	v_and_b32_e32 v19, v0, v19
	v_mbcnt_lo_u32_b32 v0, v18, 0
	v_mbcnt_hi_u32_b32 v64, v19, v0
	v_cmp_eq_u32_e64 s[28:29], 0, v64
	v_cmp_ne_u64_e64 s[30:31], 0, v[18:19]
	s_and_b64 s[30:31], s[30:31], s[28:29]
	; wave barrier
	s_and_saveexec_b64 s[28:29], s[30:31]
	s_cbranch_execz .LBB809_329
; %bb.328:                              ;   in Loop: Header=BB809_325 Depth=1
	v_bcnt_u32_b32 v0, v18, 0
	v_bcnt_u32_b32 v0, v19, v0
	s_waitcnt vmcnt(0) lgkmcnt(0)
	v_add_u32_e32 v0, v55, v0
	flat_store_dword v[52:53], v0
.LBB809_329:                            ;   in Loop: Header=BB809_325 Depth=1
	s_or_b64 exec, exec, s[28:29]
	; wave barrier
	s_waitcnt lgkmcnt(0)
	s_barrier
	flat_load_dwordx4 v[18:21], v[4:5] offset:16
	s_waitcnt vmcnt(0) lgkmcnt(0)
	v_add_u32_e32 v0, v19, v18
	v_add3_u32 v0, v0, v20, v21
	s_nop 1
	v_mov_b32_dpp v21, v0 row_shr:1 row_mask:0xf bank_mask:0xf
	v_cndmask_b32_e64 v21, v21, 0, vcc
	v_add_u32_e32 v0, v21, v0
	s_nop 1
	v_mov_b32_dpp v21, v0 row_shr:2 row_mask:0xf bank_mask:0xf
	v_cndmask_b32_e64 v21, 0, v21, s[4:5]
	v_add_u32_e32 v0, v0, v21
	s_nop 1
	v_mov_b32_dpp v21, v0 row_shr:4 row_mask:0xf bank_mask:0xf
	v_cndmask_b32_e64 v21, 0, v21, s[6:7]
	;; [unrolled: 4-line block ×3, first 2 shown]
	v_add_u32_e32 v0, v0, v21
	s_nop 1
	v_mov_b32_dpp v21, v0 row_bcast:15 row_mask:0xf bank_mask:0xf
	v_cndmask_b32_e64 v21, v21, 0, s[10:11]
	v_add_u32_e32 v0, v0, v21
	s_nop 1
	v_mov_b32_dpp v21, v0 row_bcast:31 row_mask:0xf bank_mask:0xf
	v_cndmask_b32_e64 v21, 0, v21, s[12:13]
	v_add_u32_e32 v0, v0, v21
	s_and_saveexec_b64 s[28:29], s[14:15]
	s_cbranch_execz .LBB809_331
; %bb.330:                              ;   in Loop: Header=BB809_325 Depth=1
	flat_store_dword v[8:9], v0
.LBB809_331:                            ;   in Loop: Header=BB809_325 Depth=1
	s_or_b64 exec, exec, s[28:29]
	s_waitcnt lgkmcnt(0)
	s_barrier
	s_and_saveexec_b64 s[28:29], s[16:17]
	s_cbranch_execz .LBB809_333
; %bb.332:                              ;   in Loop: Header=BB809_325 Depth=1
	flat_load_dword v21, v[28:29]
	s_waitcnt vmcnt(0) lgkmcnt(0)
	s_nop 0
	v_mov_b32_dpp v65, v21 row_shr:1 row_mask:0xf bank_mask:0xf
	v_cndmask_b32_e64 v65, v65, 0, s[24:25]
	v_add_u32_e32 v21, v65, v21
	s_nop 1
	v_mov_b32_dpp v65, v21 row_shr:2 row_mask:0xf bank_mask:0xf
	v_cndmask_b32_e64 v65, 0, v65, s[26:27]
	v_add_u32_e32 v21, v21, v65
	flat_store_dword v[28:29], v21
.LBB809_333:                            ;   in Loop: Header=BB809_325 Depth=1
	s_or_b64 exec, exec, s[28:29]
	v_mov_b32_e32 v21, 0
	s_waitcnt lgkmcnt(0)
	s_barrier
	s_and_saveexec_b64 s[28:29], s[18:19]
	s_cbranch_execz .LBB809_335
; %bb.334:                              ;   in Loop: Header=BB809_325 Depth=1
	flat_load_dword v21, v[30:31]
.LBB809_335:                            ;   in Loop: Header=BB809_325 Depth=1
	s_or_b64 exec, exec, s[28:29]
	s_waitcnt vmcnt(0) lgkmcnt(0)
	v_add_u32_e32 v0, v21, v0
	ds_bpermute_b32 v0, v67, v0
	v_add_u32_e32 v10, 8, v10
	v_cmp_lt_u32_e64 s[28:29], v10, v11
	s_mov_b64 s[38:39], -1
	s_waitcnt lgkmcnt(0)
	v_cndmask_b32_e64 v0, v0, v21, s[20:21]
	v_cndmask_b32_e64 v80, v0, 0, s[22:23]
	v_add_u32_e32 v81, v80, v18
	v_add_u32_e32 v82, v81, v19
	;; [unrolled: 1-line block ×3, first 2 shown]
	flat_store_dwordx4 v[4:5], v[80:83] offset:16
	s_waitcnt lgkmcnt(0)
	s_barrier
	flat_load_dword v0, v[50:51]
	flat_load_dword v18, v[52:53]
	v_mov_b32_e32 v19, v1
	s_waitcnt lgkmcnt(0)
                                        ; implicit-def: $vgpr52_vgpr53
                                        ; implicit-def: $vgpr50_vgpr51
	s_waitcnt vmcnt(0) lgkmcnt(0)
	v_add_u32_e32 v0, v0, v54
	v_lshlrev_b64 v[20:21], 3, v[0:1]
	v_add3_u32 v18, v64, v55, v18
	v_add_co_u32_e64 v54, s[30:31], v12, v20
	v_lshlrev_b64 v[18:19], 3, v[18:19]
	v_addc_co_u32_e64 v55, s[30:31], v13, v21, s[30:31]
	v_add_co_u32_e64 v64, s[30:31], v12, v18
	v_addc_co_u32_e64 v65, s[30:31], v13, v19, s[30:31]
                                        ; implicit-def: $vgpr20_vgpr21
	s_and_saveexec_b64 s[30:31], s[28:29]
	s_cbranch_execz .LBB809_324
; %bb.336:                              ;   in Loop: Header=BB809_325 Depth=1
	s_barrier
	flat_store_dwordx2 v[54:55], v[48:49]
	flat_store_dwordx2 v[64:65], v[38:39]
	s_waitcnt lgkmcnt(0)
	s_barrier
	flat_load_dwordx2 v[18:19], v[34:35]
	flat_load_dwordx2 v[20:21], v[34:35] offset:512
	s_waitcnt lgkmcnt(0)
	s_barrier
	flat_store_dwordx2 v[54:55], v[36:37]
	flat_store_dwordx2 v[64:65], v[32:33]
	s_waitcnt lgkmcnt(0)
	s_barrier
	flat_load_dwordx2 v[50:51], v[34:35]
	flat_load_dwordx2 v[52:53], v[34:35] offset:512
	v_add_u32_e32 v68, -8, v68
	s_xor_b64 s[38:39], exec, -1
	s_waitcnt lgkmcnt(0)
	s_barrier
	s_branch .LBB809_324
.LBB809_337:
	flat_load_dwordx2 v[24:25], v[4:5]
	s_or_b64 exec, exec, s[14:15]
                                        ; implicit-def: $vgpr68_vgpr69
	s_and_saveexec_b64 s[14:15], s[4:5]
	s_cbranch_execz .LBB809_264
.LBB809_338:
	flat_load_dwordx2 v[68:69], v[4:5] offset:512
	s_or_b64 exec, exec, s[14:15]
                                        ; implicit-def: $vgpr70_vgpr71
	s_and_saveexec_b64 s[4:5], s[6:7]
	s_cbranch_execz .LBB809_265
.LBB809_339:
	flat_load_dwordx2 v[70:71], v[4:5] offset:1024
	s_or_b64 exec, exec, s[4:5]
                                        ; implicit-def: $vgpr80_vgpr81
	s_and_saveexec_b64 s[4:5], s[10:11]
	s_cbranch_execnz .LBB809_266
	s_branch .LBB809_267
.LBB809_340:
	s_waitcnt vmcnt(0)
	flat_store_dwordx2 v[0:1], v[12:13]
	s_or_b64 exec, exec, s[16:17]
	s_and_saveexec_b64 s[4:5], s[6:7]
	s_cbranch_execz .LBB809_309
.LBB809_341:
	s_waitcnt vmcnt(0)
	flat_store_dwordx2 v[0:1], v[10:11] offset:2048
	s_or_b64 exec, exec, s[4:5]
	s_and_saveexec_b64 s[4:5], s[10:11]
	s_cbranch_execz .LBB809_310
.LBB809_342:
	v_add_co_u32_e32 v2, vcc, 0x1000, v0
	v_addc_co_u32_e32 v3, vcc, 0, v1, vcc
	s_waitcnt vmcnt(0)
	flat_store_dwordx2 v[2:3], v[8:9]
	s_or_b64 exec, exec, s[4:5]
	s_and_saveexec_b64 s[4:5], s[14:15]
	s_cbranch_execnz .LBB809_311
	s_branch .LBB809_312
.LBB809_343:
	s_or_b64 exec, exec, s[36:37]
	v_lshlrev_b32_e32 v0, 3, v26
	v_add_co_u32_e32 v12, vcc, v12, v0
	v_addc_co_u32_e32 v13, vcc, 0, v13, vcc
	s_barrier
	flat_store_dwordx2 v[54:55], v[48:49]
	flat_store_dwordx2 v[64:65], v[38:39]
	s_waitcnt lgkmcnt(0)
	s_barrier
	flat_load_dwordx2 v[10:11], v[12:13]
	flat_load_dwordx2 v[8:9], v[12:13] offset:2048
	s_waitcnt lgkmcnt(0)
	s_barrier
	flat_store_dwordx2 v[54:55], v[36:37]
	flat_store_dwordx2 v[64:65], v[32:33]
	s_waitcnt lgkmcnt(0)
	s_barrier
	flat_load_dwordx2 v[4:5], v[12:13]
	flat_load_dwordx2 v[0:1], v[12:13] offset:2048
	v_mov_b32_e32 v25, 0
	v_add_co_u32_e32 v12, vcc, v2, v22
	v_addc_co_u32_e32 v13, vcc, v3, v23, vcc
	v_lshlrev_b64 v[2:3], 3, v[24:25]
	v_add_co_u32_e32 v12, vcc, v12, v2
	v_addc_co_u32_e32 v13, vcc, v13, v3, vcc
	v_cmp_lt_u32_e32 vcc, v24, v104
	s_waitcnt lgkmcnt(0)
	s_barrier
	s_and_saveexec_b64 s[4:5], vcc
	s_cbranch_execz .LBB809_345
; %bb.344:
	s_waitcnt vmcnt(0)
	v_xor_b32_e32 v11, 0x80000000, v11
	flat_store_dwordx2 v[12:13], v[10:11]
.LBB809_345:
	s_or_b64 exec, exec, s[4:5]
	s_waitcnt vmcnt(0)
	v_add_u32_e32 v10, 0x100, v24
	v_cmp_lt_u32_e64 s[4:5], v10, v104
	s_and_saveexec_b64 s[6:7], s[4:5]
	s_cbranch_execz .LBB809_347
; %bb.346:
	v_xor_b32_e32 v9, 0x80000000, v9
	flat_store_dwordx2 v[12:13], v[8:9] offset:2048
.LBB809_347:
	s_or_b64 exec, exec, s[6:7]
	v_add_co_u32_e64 v6, s[6:7], v6, v22
	v_addc_co_u32_e64 v7, s[6:7], v7, v23, s[6:7]
	v_add_co_u32_e64 v2, s[6:7], v6, v2
	v_addc_co_u32_e64 v3, s[6:7], v7, v3, s[6:7]
	s_and_saveexec_b64 s[6:7], vcc
	s_cbranch_execz .LBB809_349
; %bb.348:
	flat_store_dwordx2 v[2:3], v[4:5]
.LBB809_349:
	s_or_b64 exec, exec, s[6:7]
	s_and_saveexec_b64 s[6:7], s[4:5]
	s_cbranch_execz .LBB809_351
; %bb.350:
	flat_store_dwordx2 v[2:3], v[0:1] offset:2048
.LBB809_351:
	s_or_b64 exec, exec, s[6:7]
                                        ; implicit-def: $vgpr26
                                        ; implicit-def: $vgpr24_vgpr25
                                        ; implicit-def: $vgpr22_vgpr23
                                        ; implicit-def: $vgpr104
                                        ; implicit-def: $vgpr0
                                        ; implicit-def: $vgpr1
                                        ; implicit-def: $vgpr2
                                        ; implicit-def: $vgpr3
                                        ; implicit-def: $vgpr4
                                        ; implicit-def: $vgpr5
                                        ; implicit-def: $vgpr6
                                        ; implicit-def: $vgpr7
                                        ; implicit-def: $vgpr10
                                        ; implicit-def: $vgpr11
                                        ; implicit-def: $vgpr12
                                        ; implicit-def: $vgpr13
                                        ; implicit-def: $vgpr15
.LBB809_352:
	s_andn2_saveexec_b64 s[4:5], s[34:35]
	s_cbranch_execz .LBB809_372
; %bb.353:
	v_mbcnt_hi_u32_b32 v15, -1, v15
	v_and_b32_e32 v14, 63, v15
	v_bfi_b32 v9, 63, v15, v24
	v_and_b32_e32 v8, 0xffffffc0, v24
	v_cmp_lt_u32_e32 vcc, v9, v104
	v_pk_mov_b32 v[18:19], -1, -1
	v_lshlrev_b32_e32 v16, 3, v14
	s_and_saveexec_b64 s[6:7], vcc
	s_cbranch_execz .LBB809_355
; %bb.354:
	v_add_co_u32_e64 v0, s[4:5], v0, v22
	v_addc_co_u32_e64 v1, s[4:5], v1, v23, s[4:5]
	v_mov_b32_e32 v9, 0
	v_add_co_u32_e64 v17, s[4:5], v0, v16
	v_addc_co_u32_e64 v18, s[4:5], 0, v1, s[4:5]
	v_lshlrev_b64 v[0:1], 3, v[8:9]
	v_add_co_u32_e64 v0, s[4:5], v17, v0
	v_addc_co_u32_e64 v1, s[4:5], v18, v1, s[4:5]
	flat_load_dwordx2 v[18:19], v[0:1]
	s_waitcnt vmcnt(0) lgkmcnt(0)
	v_xor_b32_e32 v19, 0x80000000, v19
.LBB809_355:
	s_or_b64 exec, exec, s[6:7]
                                        ; implicit-def: $vgpr20_vgpr21
	s_and_saveexec_b64 s[4:5], vcc
	s_cbranch_execz .LBB809_357
; %bb.356:
	v_add_co_u32_e32 v0, vcc, v4, v22
	v_addc_co_u32_e32 v1, vcc, v5, v23, vcc
	v_mov_b32_e32 v9, 0
	v_add_co_u32_e32 v4, vcc, v0, v16
	v_addc_co_u32_e32 v5, vcc, 0, v1, vcc
	v_lshlrev_b64 v[0:1], 3, v[8:9]
	v_add_co_u32_e32 v0, vcc, v4, v0
	v_addc_co_u32_e32 v1, vcc, v5, v1, vcc
	flat_load_dwordx2 v[20:21], v[0:1]
.LBB809_357:
	s_or_b64 exec, exec, s[4:5]
	v_add_co_u32_e32 v25, vcc, 16, v12
	v_addc_co_u32_e32 v27, vcc, 0, v13, vcc
	v_lshlrev_b32_e32 v4, 4, v26
	v_add_co_u32_e32 v4, vcc, v12, v4
	s_getpc_b64 s[4:5]
	s_add_u32 s4, s4, _ZN7rocprim17ROCPRIM_400000_NS16block_radix_sortIlLj256ELj1ElLj1ELj1ELj8ELNS0_26block_radix_rank_algorithmE2ELNS0_18block_padding_hintE2ELNS0_4arch9wavefront6targetE1EE19radix_bits_per_passE@rel32@lo+4
	s_addc_u32 s5, s5, _ZN7rocprim17ROCPRIM_400000_NS16block_radix_sortIlLj256ELj1ElLj1ELj1ELj8ELNS0_26block_radix_rank_algorithmE2ELNS0_18block_padding_hintE2ELNS0_4arch9wavefront6targetE1EE19radix_bits_per_passE@rel32@hi+12
	v_addc_co_u32_e32 v5, vcc, 0, v13, vcc
	v_and_b32_e32 v8, 15, v15
	s_load_dword s38, s[4:5], 0x0
	v_cmp_eq_u32_e32 vcc, 0, v8
	v_cmp_lt_u32_e64 s[4:5], 1, v8
	v_cmp_lt_u32_e64 s[6:7], 3, v8
	;; [unrolled: 1-line block ×3, first 2 shown]
	v_and_b32_e32 v8, 16, v15
	v_and_b32_e32 v32, 0x3c0, v26
	v_cmp_eq_u32_e64 s[10:11], 0, v8
	v_min_u32_e32 v8, 0xc0, v32
	v_or_b32_e32 v8, 63, v8
	v_cmp_eq_u32_e64 s[14:15], v8, v26
	v_add_u32_e32 v8, -1, v15
	v_and_b32_e32 v9, 64, v15
	v_cmp_lt_i32_e64 s[20:21], v8, v9
	v_lshrrev_b32_e32 v16, 6, v26
	v_cndmask_b32_e64 v8, v8, v15, s[20:21]
	v_lshlrev_b32_e32 v49, 2, v8
	v_lshlrev_b32_e32 v8, 2, v16
	v_add_co_u32_e64 v28, s[24:25], v12, v8
	v_lshlrev_b32_e32 v0, 2, v26
	v_addc_co_u32_e64 v29, s[24:25], 0, v13, s[24:25]
	v_add_co_u32_e64 v8, s[24:25], v12, v0
	v_addc_co_u32_e64 v9, s[24:25], 0, v13, s[24:25]
	v_and_b32_e32 v0, 3, v15
	v_mov_b32_e32 v1, 0
	v_cmp_eq_u32_e64 s[24:25], 0, v0
	v_cmp_lt_u32_e64 s[26:27], 1, v0
	v_add_u32_e32 v0, -1, v16
	v_lshlrev_b64 v[16:17], 2, v[0:1]
	v_add_co_u32_e64 v30, s[28:29], v12, v16
	v_or_b32_e32 v0, v14, v32
	v_addc_co_u32_e64 v31, s[28:29], v13, v17, s[28:29]
	v_lshlrev_b32_e32 v0, 3, v0
	v_add_co_u32_e64 v34, s[28:29], v12, v0
	v_lshrrev_b32_e32 v48, 6, v24
	v_cmp_lt_u32_e64 s[12:13], 31, v15
	v_cmp_gt_u32_e64 s[16:17], 4, v26
	v_cmp_lt_u32_e64 s[18:19], 63, v26
	v_cmp_eq_u32_e64 s[20:21], 0, v15
	v_cmp_eq_u32_e64 s[22:23], 0, v26
	v_addc_co_u32_e64 v35, s[28:29], 0, v13, s[28:29]
	v_sub_u32_e32 v50, v11, v10
	s_mov_b64 s[34:35], 0
	v_mov_b32_e32 v14, v1
	v_mov_b32_e32 v15, v1
	v_mov_b32_e32 v16, v1
	v_mov_b32_e32 v17, v1
	s_waitcnt lgkmcnt(0)
	s_barrier
	s_branch .LBB809_359
.LBB809_358:                            ;   in Loop: Header=BB809_359 Depth=1
	s_or_b64 exec, exec, s[30:31]
	s_and_b64 s[28:29], exec, s[36:37]
	s_or_b64 s[34:35], s[28:29], s[34:35]
	s_andn2_b64 exec, exec, s[34:35]
	s_cbranch_execz .LBB809_369
.LBB809_359:                            ; =>This Inner Loop Header: Depth=1
	s_waitcnt vmcnt(0)
	v_pk_mov_b32 v[36:37], v[18:19], v[18:19] op_sel:[0,1]
	v_min_u32_e32 v0, s38, v50
	v_lshrrev_b64 v[18:19], v10, v[36:37]
	s_waitcnt vmcnt(0)
	v_pk_mov_b32 v[32:33], v[20:21], v[20:21] op_sel:[0,1]
	v_bfe_u32 v20, v18, 0, v0
	v_lshl_add_u32 v0, v20, 2, v48
	v_lshlrev_b64 v[18:19], 2, v[0:1]
	v_add_co_u32_e64 v38, s[28:29], v25, v18
	v_addc_co_u32_e64 v39, s[28:29], v27, v19, s[28:29]
	v_and_b32_e32 v0, 1, v20
	v_add_co_u32_e64 v18, s[28:29], -1, v0
	v_addc_co_u32_e64 v19, s[28:29], 0, -1, s[28:29]
	v_cmp_ne_u32_e64 s[28:29], 0, v0
	v_xor_b32_e32 v18, s28, v18
	v_xor_b32_e32 v0, s29, v19
	v_and_b32_e32 v21, exec_lo, v18
	v_lshlrev_b32_e32 v19, 30, v20
	v_mov_b32_e32 v18, v1
	v_cmp_gt_i64_e64 s[28:29], 0, v[18:19]
	v_not_b32_e32 v18, v19
	v_ashrrev_i32_e32 v18, 31, v18
	v_and_b32_e32 v0, exec_hi, v0
	v_xor_b32_e32 v19, s29, v18
	v_xor_b32_e32 v18, s28, v18
	v_and_b32_e32 v0, v0, v19
	v_and_b32_e32 v21, v21, v18
	v_lshlrev_b32_e32 v19, 29, v20
	v_mov_b32_e32 v18, v1
	v_cmp_gt_i64_e64 s[28:29], 0, v[18:19]
	v_not_b32_e32 v18, v19
	v_ashrrev_i32_e32 v18, 31, v18
	v_xor_b32_e32 v19, s29, v18
	v_xor_b32_e32 v18, s28, v18
	v_and_b32_e32 v0, v0, v19
	v_and_b32_e32 v21, v21, v18
	v_lshlrev_b32_e32 v19, 28, v20
	v_mov_b32_e32 v18, v1
	v_cmp_gt_i64_e64 s[28:29], 0, v[18:19]
	v_not_b32_e32 v18, v19
	v_ashrrev_i32_e32 v18, 31, v18
	;; [unrolled: 9-line block ×6, first 2 shown]
	v_xor_b32_e32 v19, s29, v18
	v_xor_b32_e32 v18, s28, v18
	v_and_b32_e32 v18, v21, v18
	v_and_b32_e32 v19, v0, v19
	v_mbcnt_lo_u32_b32 v0, v18, 0
	v_mbcnt_hi_u32_b32 v0, v19, v0
	v_cmp_eq_u32_e64 s[28:29], 0, v0
	v_cmp_ne_u64_e64 s[30:31], 0, v[18:19]
	s_and_b64 s[30:31], s[30:31], s[28:29]
	flat_store_dwordx4 v[4:5], v[14:17] offset:16
	s_waitcnt lgkmcnt(0)
	s_barrier
	s_waitcnt lgkmcnt(0)
	; wave barrier
	s_and_saveexec_b64 s[28:29], s[30:31]
	s_cbranch_execz .LBB809_361
; %bb.360:                              ;   in Loop: Header=BB809_359 Depth=1
	v_bcnt_u32_b32 v18, v18, 0
	v_bcnt_u32_b32 v18, v19, v18
	flat_store_dword v[38:39], v18
.LBB809_361:                            ;   in Loop: Header=BB809_359 Depth=1
	s_or_b64 exec, exec, s[28:29]
	; wave barrier
	s_waitcnt lgkmcnt(0)
	s_barrier
	flat_load_dwordx4 v[18:21], v[4:5] offset:16
	s_waitcnt vmcnt(0) lgkmcnt(0)
	v_add_u32_e32 v51, v19, v18
	v_add3_u32 v21, v51, v20, v21
	s_nop 1
	v_mov_b32_dpp v51, v21 row_shr:1 row_mask:0xf bank_mask:0xf
	v_cndmask_b32_e64 v51, v51, 0, vcc
	v_add_u32_e32 v21, v51, v21
	s_nop 1
	v_mov_b32_dpp v51, v21 row_shr:2 row_mask:0xf bank_mask:0xf
	v_cndmask_b32_e64 v51, 0, v51, s[4:5]
	v_add_u32_e32 v21, v21, v51
	s_nop 1
	v_mov_b32_dpp v51, v21 row_shr:4 row_mask:0xf bank_mask:0xf
	v_cndmask_b32_e64 v51, 0, v51, s[6:7]
	;; [unrolled: 4-line block ×3, first 2 shown]
	v_add_u32_e32 v21, v21, v51
	s_nop 1
	v_mov_b32_dpp v51, v21 row_bcast:15 row_mask:0xf bank_mask:0xf
	v_cndmask_b32_e64 v51, v51, 0, s[10:11]
	v_add_u32_e32 v21, v21, v51
	s_nop 1
	v_mov_b32_dpp v51, v21 row_bcast:31 row_mask:0xf bank_mask:0xf
	v_cndmask_b32_e64 v51, 0, v51, s[12:13]
	v_add_u32_e32 v21, v21, v51
	s_and_saveexec_b64 s[28:29], s[14:15]
	s_cbranch_execz .LBB809_363
; %bb.362:                              ;   in Loop: Header=BB809_359 Depth=1
	flat_store_dword v[28:29], v21
.LBB809_363:                            ;   in Loop: Header=BB809_359 Depth=1
	s_or_b64 exec, exec, s[28:29]
	s_waitcnt lgkmcnt(0)
	s_barrier
	s_and_saveexec_b64 s[28:29], s[16:17]
	s_cbranch_execz .LBB809_365
; %bb.364:                              ;   in Loop: Header=BB809_359 Depth=1
	flat_load_dword v51, v[8:9]
	s_waitcnt vmcnt(0) lgkmcnt(0)
	s_nop 0
	v_mov_b32_dpp v52, v51 row_shr:1 row_mask:0xf bank_mask:0xf
	v_cndmask_b32_e64 v52, v52, 0, s[24:25]
	v_add_u32_e32 v51, v52, v51
	s_nop 1
	v_mov_b32_dpp v52, v51 row_shr:2 row_mask:0xf bank_mask:0xf
	v_cndmask_b32_e64 v52, 0, v52, s[26:27]
	v_add_u32_e32 v51, v51, v52
	flat_store_dword v[8:9], v51
.LBB809_365:                            ;   in Loop: Header=BB809_359 Depth=1
	s_or_b64 exec, exec, s[28:29]
	v_mov_b32_e32 v51, 0
	s_waitcnt lgkmcnt(0)
	s_barrier
	s_and_saveexec_b64 s[28:29], s[18:19]
	s_cbranch_execz .LBB809_367
; %bb.366:                              ;   in Loop: Header=BB809_359 Depth=1
	flat_load_dword v51, v[30:31]
.LBB809_367:                            ;   in Loop: Header=BB809_359 Depth=1
	s_or_b64 exec, exec, s[28:29]
	s_waitcnt vmcnt(0) lgkmcnt(0)
	v_add_u32_e32 v21, v51, v21
	ds_bpermute_b32 v21, v49, v21
	v_add_u32_e32 v10, 8, v10
	v_cmp_lt_u32_e64 s[28:29], v10, v11
	s_mov_b64 s[36:37], -1
	s_waitcnt lgkmcnt(0)
	v_cndmask_b32_e64 v21, v21, v51, s[20:21]
	v_cndmask_b32_e64 v52, v21, 0, s[22:23]
	v_add_u32_e32 v53, v52, v18
	v_add_u32_e32 v54, v53, v19
	;; [unrolled: 1-line block ×3, first 2 shown]
	flat_store_dwordx4 v[4:5], v[52:55] offset:16
	s_waitcnt lgkmcnt(0)
	s_barrier
	flat_load_dword v18, v[38:39]
	s_waitcnt lgkmcnt(0)
                                        ; implicit-def: $vgpr20_vgpr21
	s_waitcnt vmcnt(0) lgkmcnt(0)
	v_add_u32_e32 v0, v18, v0
	v_lshlrev_b64 v[18:19], 3, v[0:1]
	v_add_co_u32_e64 v38, s[30:31], v12, v18
	v_addc_co_u32_e64 v39, s[30:31], v13, v19, s[30:31]
                                        ; implicit-def: $vgpr18_vgpr19
	s_and_saveexec_b64 s[30:31], s[28:29]
	s_cbranch_execz .LBB809_358
; %bb.368:                              ;   in Loop: Header=BB809_359 Depth=1
	s_barrier
	flat_store_dwordx2 v[38:39], v[36:37]
	s_waitcnt lgkmcnt(0)
	s_barrier
	flat_load_dwordx2 v[18:19], v[34:35]
	s_waitcnt lgkmcnt(0)
	s_barrier
	flat_store_dwordx2 v[38:39], v[32:33]
	s_waitcnt lgkmcnt(0)
	s_barrier
	flat_load_dwordx2 v[20:21], v[34:35]
	v_add_u32_e32 v50, -8, v50
	s_xor_b64 s[36:37], exec, -1
	s_waitcnt lgkmcnt(0)
	s_barrier
	s_branch .LBB809_358
.LBB809_369:
	s_or_b64 exec, exec, s[34:35]
	v_lshlrev_b32_e32 v0, 2, v26
	v_add_co_u32_e32 v4, vcc, v8, v0
	v_addc_co_u32_e32 v5, vcc, 0, v9, vcc
	s_barrier
	flat_store_dwordx2 v[38:39], v[36:37]
	s_waitcnt lgkmcnt(0)
	s_barrier
	flat_load_dwordx2 v[0:1], v[4:5]
	s_waitcnt lgkmcnt(0)
	s_barrier
	flat_store_dwordx2 v[38:39], v[32:33]
	s_waitcnt lgkmcnt(0)
	s_barrier
	flat_load_dwordx2 v[4:5], v[4:5]
	v_mov_b32_e32 v25, 0
	v_cmp_lt_u32_e32 vcc, v24, v104
	s_waitcnt lgkmcnt(0)
	s_barrier
	s_and_saveexec_b64 s[4:5], vcc
	s_cbranch_execz .LBB809_371
; %bb.370:
	v_add_co_u32_e32 v8, vcc, v2, v22
	v_addc_co_u32_e32 v9, vcc, v3, v23, vcc
	v_lshlrev_b64 v[2:3], 3, v[24:25]
	v_add_co_u32_e32 v8, vcc, v8, v2
	v_addc_co_u32_e32 v9, vcc, v9, v3, vcc
	v_add_co_u32_e32 v6, vcc, v6, v22
	v_addc_co_u32_e32 v7, vcc, v7, v23, vcc
	s_waitcnt vmcnt(0)
	v_xor_b32_e32 v1, 0x80000000, v1
	v_add_co_u32_e32 v2, vcc, v6, v2
	v_addc_co_u32_e32 v3, vcc, v7, v3, vcc
	flat_store_dwordx2 v[8:9], v[0:1]
	flat_store_dwordx2 v[2:3], v[4:5]
.LBB809_371:
	s_or_b64 exec, exec, s[4:5]
.LBB809_372:
	s_or_b64 exec, exec, s[42:43]
	buffer_load_dword v107, off, s[0:3], s32 ; 4-byte Folded Reload
	buffer_load_dword v106, off, s[0:3], s32 offset:4 ; 4-byte Folded Reload
	buffer_load_dword v105, off, s[0:3], s32 offset:8 ; 4-byte Folded Reload
	;; [unrolled: 1-line block ×29, first 2 shown]
	v_readlane_b32 s30, v108, 14
	v_readlane_b32 s31, v108, 15
	;; [unrolled: 1-line block ×16, first 2 shown]
	v_accvgpr_read_b32 v45, a31             ;  Reload Reuse
	v_accvgpr_read_b32 v44, a30             ;  Reload Reuse
	;; [unrolled: 1-line block ×6, first 2 shown]
	s_or_saveexec_b64 s[4:5], -1
	buffer_load_dword v108, off, s[0:3], s32 offset:120 ; 4-byte Folded Reload
	s_mov_b64 exec, s[4:5]
	s_waitcnt vmcnt(0) lgkmcnt(0)
	s_setpc_b64 s[30:31]
.Lfunc_end809:
	.size	_ZN7rocprim17ROCPRIM_400000_NS6detail40segmented_radix_sort_single_block_helperIllLj256ELj16ELb0EE4sortIPKlPlS6_S7_EEbT_T0_T1_T2_jjjjRNS3_12storage_typeE, .Lfunc_end809-_ZN7rocprim17ROCPRIM_400000_NS6detail40segmented_radix_sort_single_block_helperIllLj256ELj16ELb0EE4sortIPKlPlS6_S7_EEbT_T0_T1_T2_jjjjRNS3_12storage_typeE
                                        ; -- End function
	.section	.AMDGPU.csdata,"",@progbits
; Function info:
; codeLenInByte = 30472
; NumSgprs: 52
; NumVgprs: 248
; NumAgprs: 32
; TotalNumVgprs: 280
; ScratchSize: 128
; MemoryBound: 1
	.section	.text._ZN7rocprim17ROCPRIM_400000_NS6detail17trampoline_kernelINS0_14default_configENS1_36segmented_radix_sort_config_selectorIllEEZNS1_25segmented_radix_sort_implIS3_Lb0EPKlPlS8_S9_N2at6native12_GLOBAL__N_18offset_tEEE10hipError_tPvRmT1_PNSt15iterator_traitsISH_E10value_typeET2_T3_PNSI_ISN_E10value_typeET4_jRbjT5_ST_jjP12ihipStream_tbEUlT_E_NS1_11comp_targetILNS1_3genE4ELNS1_11target_archE910ELNS1_3gpuE8ELNS1_3repE0EEENS1_30default_config_static_selectorELNS0_4arch9wavefront6targetE1EEEvSH_,"axG",@progbits,_ZN7rocprim17ROCPRIM_400000_NS6detail17trampoline_kernelINS0_14default_configENS1_36segmented_radix_sort_config_selectorIllEEZNS1_25segmented_radix_sort_implIS3_Lb0EPKlPlS8_S9_N2at6native12_GLOBAL__N_18offset_tEEE10hipError_tPvRmT1_PNSt15iterator_traitsISH_E10value_typeET2_T3_PNSI_ISN_E10value_typeET4_jRbjT5_ST_jjP12ihipStream_tbEUlT_E_NS1_11comp_targetILNS1_3genE4ELNS1_11target_archE910ELNS1_3gpuE8ELNS1_3repE0EEENS1_30default_config_static_selectorELNS0_4arch9wavefront6targetE1EEEvSH_,comdat
	.globl	_ZN7rocprim17ROCPRIM_400000_NS6detail17trampoline_kernelINS0_14default_configENS1_36segmented_radix_sort_config_selectorIllEEZNS1_25segmented_radix_sort_implIS3_Lb0EPKlPlS8_S9_N2at6native12_GLOBAL__N_18offset_tEEE10hipError_tPvRmT1_PNSt15iterator_traitsISH_E10value_typeET2_T3_PNSI_ISN_E10value_typeET4_jRbjT5_ST_jjP12ihipStream_tbEUlT_E_NS1_11comp_targetILNS1_3genE4ELNS1_11target_archE910ELNS1_3gpuE8ELNS1_3repE0EEENS1_30default_config_static_selectorELNS0_4arch9wavefront6targetE1EEEvSH_ ; -- Begin function _ZN7rocprim17ROCPRIM_400000_NS6detail17trampoline_kernelINS0_14default_configENS1_36segmented_radix_sort_config_selectorIllEEZNS1_25segmented_radix_sort_implIS3_Lb0EPKlPlS8_S9_N2at6native12_GLOBAL__N_18offset_tEEE10hipError_tPvRmT1_PNSt15iterator_traitsISH_E10value_typeET2_T3_PNSI_ISN_E10value_typeET4_jRbjT5_ST_jjP12ihipStream_tbEUlT_E_NS1_11comp_targetILNS1_3genE4ELNS1_11target_archE910ELNS1_3gpuE8ELNS1_3repE0EEENS1_30default_config_static_selectorELNS0_4arch9wavefront6targetE1EEEvSH_
	.p2align	8
	.type	_ZN7rocprim17ROCPRIM_400000_NS6detail17trampoline_kernelINS0_14default_configENS1_36segmented_radix_sort_config_selectorIllEEZNS1_25segmented_radix_sort_implIS3_Lb0EPKlPlS8_S9_N2at6native12_GLOBAL__N_18offset_tEEE10hipError_tPvRmT1_PNSt15iterator_traitsISH_E10value_typeET2_T3_PNSI_ISN_E10value_typeET4_jRbjT5_ST_jjP12ihipStream_tbEUlT_E_NS1_11comp_targetILNS1_3genE4ELNS1_11target_archE910ELNS1_3gpuE8ELNS1_3repE0EEENS1_30default_config_static_selectorELNS0_4arch9wavefront6targetE1EEEvSH_,@function
_ZN7rocprim17ROCPRIM_400000_NS6detail17trampoline_kernelINS0_14default_configENS1_36segmented_radix_sort_config_selectorIllEEZNS1_25segmented_radix_sort_implIS3_Lb0EPKlPlS8_S9_N2at6native12_GLOBAL__N_18offset_tEEE10hipError_tPvRmT1_PNSt15iterator_traitsISH_E10value_typeET2_T3_PNSI_ISN_E10value_typeET4_jRbjT5_ST_jjP12ihipStream_tbEUlT_E_NS1_11comp_targetILNS1_3genE4ELNS1_11target_archE910ELNS1_3gpuE8ELNS1_3repE0EEENS1_30default_config_static_selectorELNS0_4arch9wavefront6targetE1EEEvSH_: ; @_ZN7rocprim17ROCPRIM_400000_NS6detail17trampoline_kernelINS0_14default_configENS1_36segmented_radix_sort_config_selectorIllEEZNS1_25segmented_radix_sort_implIS3_Lb0EPKlPlS8_S9_N2at6native12_GLOBAL__N_18offset_tEEE10hipError_tPvRmT1_PNSt15iterator_traitsISH_E10value_typeET2_T3_PNSI_ISN_E10value_typeET4_jRbjT5_ST_jjP12ihipStream_tbEUlT_E_NS1_11comp_targetILNS1_3genE4ELNS1_11target_archE910ELNS1_3gpuE8ELNS1_3repE0EEENS1_30default_config_static_selectorELNS0_4arch9wavefront6targetE1EEEvSH_
; %bb.0:
	s_add_u32 flat_scratch_lo, s6, s10
	s_addc_u32 flat_scratch_hi, s7, 0
	s_mov_b64 s[48:49], s[4:5]
	s_load_dwordx2 s[12:13], s[4:5], 0x38
	s_nop 0
	s_load_dwordx4 s[4:7], s[4:5], 0x40
	s_add_u32 s0, s0, s10
                                        ; implicit-def: $vgpr235 : SGPR spill to VGPR lane
	s_mov_b32 s11, 0
	s_mov_b32 s10, s8
	s_addc_u32 s1, s1, 0
	v_writelane_b32 v235, s9, 0
	s_lshl_b64 s[10:11], s[10:11], 2
	v_writelane_b32 v235, s8, 1
	s_waitcnt lgkmcnt(0)
	s_add_u32 s8, s12, s10
	s_addc_u32 s9, s13, s11
	s_load_dword s8, s[8:9], 0x0
	s_mov_b32 s32, 0
	s_waitcnt lgkmcnt(0)
	s_add_i32 s5, s8, s5
	s_add_i32 s94, s8, s7
	s_mul_i32 s50, s5, s4
	s_mul_i32 s94, s94, s6
	s_cmp_le_u32 s94, s50
	s_cbranch_scc1 .LBB810_1190
; %bb.1:
	s_load_dword s4, s[48:49], 0x30
	s_load_dwordx4 s[80:83], s[48:49], 0x20
	s_load_dwordx4 s[52:55], s[48:49], 0x50
	s_load_dwordx8 s[72:79], s[48:49], 0x0
	s_waitcnt lgkmcnt(0)
	s_bitcmp1_b32 s4, 0
	s_cselect_b64 s[70:71], -1, 0
	s_sub_i32 s85, s94, s50
	s_cmpk_lt_u32 s85, 0x1001
	s_mov_b64 s[4:5], -1
	s_cbranch_scc0 .LBB810_7
; %bb.2:
	s_and_b32 s4, s52, 1
	v_cndmask_b32_e64 v1, 0, 1, s[70:71]
	v_cmp_ne_u32_e32 vcc, s4, v1
	s_mov_b64 s[4:5], -1
	s_cbranch_vccnz .LBB810_4
; %bb.3:
	s_add_u32 s8, s48, 0x60
	s_mov_b64 s[4:5], src_shared_base
	s_addc_u32 s9, s49, 0
	v_readlane_b32 s12, v235, 1
	v_readlane_b32 s13, v235, 0
	v_mov_b32_e32 v31, v0
	v_mov_b32_e32 v40, v0
	;; [unrolled: 1-line block ×16, first 2 shown]
	s_getpc_b64 s[6:7]
	s_add_u32 s6, s6, _ZN7rocprim17ROCPRIM_400000_NS6detail40segmented_radix_sort_single_block_helperIllLj256ELj16ELb0EE4sortIPKlPlS6_S7_EEbT_T0_T1_T2_jjjjRNS3_12storage_typeE@rel32@lo+4
	s_addc_u32 s7, s7, _ZN7rocprim17ROCPRIM_400000_NS6detail40segmented_radix_sort_single_block_helperIllLj256ELj16ELb0EE4sortIPKlPlS6_S7_EEbT_T0_T1_T2_jjjjRNS3_12storage_typeE@rel32@hi+12
	s_swappc_b64 s[30:31], s[6:7]
	v_mov_b32_e32 v0, v40
	s_mov_b64 s[4:5], 0
.LBB810_4:
	s_andn2_b64 vcc, exec, s[4:5]
	s_cbranch_vccnz .LBB810_6
; %bb.5:
	s_add_u32 s8, s48, 0x60
	s_mov_b64 s[4:5], src_shared_base
	s_addc_u32 s9, s49, 0
	v_readlane_b32 s12, v235, 1
	v_readlane_b32 s13, v235, 0
	v_mov_b32_e32 v31, v0
	v_mov_b32_e32 v40, v0
	;; [unrolled: 1-line block ×16, first 2 shown]
	s_getpc_b64 s[6:7]
	s_add_u32 s6, s6, _ZN7rocprim17ROCPRIM_400000_NS6detail40segmented_radix_sort_single_block_helperIllLj256ELj16ELb0EE4sortIPKlPlS6_S7_EEbT_T0_T1_T2_jjjjRNS3_12storage_typeE@rel32@lo+4
	s_addc_u32 s7, s7, _ZN7rocprim17ROCPRIM_400000_NS6detail40segmented_radix_sort_single_block_helperIllLj256ELj16ELb0EE4sortIPKlPlS6_S7_EEbT_T0_T1_T2_jjjjRNS3_12storage_typeE@rel32@hi+12
	s_swappc_b64 s[30:31], s[6:7]
	v_mov_b32_e32 v0, v40
.LBB810_6:
	s_mov_b64 s[4:5], 0
.LBB810_7:
	s_andn2_b64 vcc, exec, s[4:5]
	s_cbranch_vccnz .LBB810_1190
; %bb.8:
	s_cmp_ge_u32 s53, s54
	s_cbranch_scc1 .LBB810_1190
; %bb.9:
	v_and_b32_e32 v2, 0x3ff, v0
	v_lshlrev_b32_e32 v5, 3, v2
	v_lshlrev_b32_e32 v33, 4, v2
	v_mov_b32_e32 v10, s77
	v_add_co_u32_e32 v9, vcc, s76, v5
	v_and_b32_e32 v34, 0xc00, v33
	v_bfe_u32 v23, v0, 20, 10
	v_bfe_u32 v25, v0, 10, 10
	v_mul_u32_u24_e32 v0, 5, v2
	v_mov_b32_e32 v29, 0x410
	v_addc_co_u32_e32 v11, vcc, 0, v10, vcc
	v_lshl_add_u32 v31, v0, 2, v29
	v_lshlrev_b32_e32 v0, 3, v34
	v_mov_b32_e32 v35, s83
	v_add_co_u32_e32 v100, vcc, s82, v0
	v_addc_co_u32_e32 v101, vcc, 0, v35, vcc
	v_mov_b32_e32 v35, s77
	v_add_co_u32_e32 v102, vcc, s76, v0
	v_addc_co_u32_e32 v103, vcc, 0, v35, vcc
	;; [unrolled: 3-line block ×6, first 2 shown]
	v_add_u32_e32 v104, 0x400, v5
	v_mov_b32_e32 v5, s79
	v_add_co_u32_e32 v113, vcc, s78, v0
	v_addc_co_u32_e32 v114, vcc, 0, v5, vcc
	v_add_co_u32_e32 v115, vcc, s72, v0
	v_mbcnt_lo_u32_b32 v0, -1, 0
	v_lshlrev_b32_e32 v3, 2, v2
	v_or_b32_e32 v15, 63, v2
	v_mbcnt_hi_u32_b32 v134, -1, v0
	v_writelane_b32 v235, s50, 2
	v_mad_u32_u24 v13, v2, 12, v3
	v_cmp_eq_u32_e64 s[6:7], v15, v2
	v_lshrrev_b32_e32 v15, 4, v2
	s_mov_b32 s84, s53
	v_and_b32_e32 v0, 63, v134
	s_mov_b32 s33, s53
	v_writelane_b32 v235, s52, 3
	s_movk_i32 s4, 0x100
	v_or_b32_e32 v6, 0x200, v2
	v_or_b32_e32 v8, 0x300, v2
	v_and_b32_e32 v1, 3, v2
	v_or_b32_e32 v10, 0x400, v2
	v_or_b32_e32 v12, 0x500, v2
	;; [unrolled: 1-line block ×12, first 2 shown]
	v_and_b32_e32 v15, 12, v15
	s_add_u32 s90, s48, 0x60
	v_add_u32_e32 v27, v13, v3
	s_movk_i32 s14, 0xff
	v_mov_b32_e32 v5, s73
	s_mov_b32 s78, -1
	v_or_b32_e32 v142, v0, v34
	v_writelane_b32 v235, s53, 4
	s_mov_b32 s89, 0
	v_mov_b32_e32 v4, 0
	v_or_b32_e32 v7, 0x100, v2
	v_cmp_gt_u32_e64 s[4:5], s4, v2
	v_or_b32_e32 v17, 0x8400, v15
	v_cmp_gt_u32_e64 s[8:9], 4, v2
	v_add_u32_e32 v19, 0x8400, v3
	v_cmp_lt_u32_e64 s[10:11], 63, v2
	v_add_u32_e32 v21, 0x83fc, v15
	s_addc_u32 s91, s49, 0
	v_sub_u32_e32 v33, v27, v33
	v_cmp_eq_u32_e64 s[12:13], 0, v2
	v_cmp_ne_u32_e64 s[14:15], s14, v2
	v_addc_co_u32_e32 v116, vcc, 0, v5, vcc
	s_brev_b32 s79, -2
	s_movk_i32 s95, 0x2000
	s_movk_i32 s96, 0x3000
	;; [unrolled: 1-line block ×5, first 2 shown]
	v_mov_b32_e32 v117, 1
	v_lshlrev_b32_e32 v118, 3, v2
	v_lshlrev_b32_e32 v119, 3, v6
	;; [unrolled: 1-line block ×16, first 2 shown]
	v_and_b32_e32 v135, 15, v134
	v_bfe_i32 v136, v134, 4, 1
	v_and_b32_e32 v137, 16, v134
	v_and_b32_e32 v138, 3, v134
	v_add_u32_e32 v139, -1, v134
	v_and_b32_e32 v140, 64, v134
	v_lshlrev_b32_e32 v141, 3, v0
	v_or_b32_e32 v143, 64, v142
	v_or_b32_e32 v144, 0x80, v142
	;; [unrolled: 1-line block ×15, first 2 shown]
	v_writelane_b32 v235, s54, 5
	v_writelane_b32 v235, s55, 6
	s_branch .LBB810_12
.LBB810_10:                             ;   in Loop: Header=BB810_12 Depth=1
	v_readlane_b32 s50, v235, 2
	s_waitcnt lgkmcnt(0)
	s_barrier
.LBB810_11:                             ;   in Loop: Header=BB810_12 Depth=1
	v_readlane_b32 s52, v235, 3
	s_add_i32 s33, s33, 8
	v_readlane_b32 s54, v235, 5
	v_readlane_b32 s53, v235, 4
	s_cmp_ge_u32 s33, s54
	v_readlane_b32 s55, v235, 6
	s_cbranch_scc1 .LBB810_1190
.LBB810_12:                             ; =>This Loop Header: Depth=1
                                        ;     Child Loop BB810_16 Depth 2
                                        ;     Child Loop BB810_98 Depth 2
	;; [unrolled: 1-line block ×8, first 2 shown]
	s_sub_i32 s16, s54, s33
	s_xor_b64 s[70:71], s[70:71], -1
	s_min_u32 s68, s16, 8
	s_cmp_lg_u32 s33, s53
	s_mov_b64 s[16:17], -1
	ds_write2st64_b32 v3, v4, v4 offset1:4
	ds_write2st64_b32 v3, v4, v4 offset0:8 offset1:12
	s_waitcnt lgkmcnt(0)
	s_cbranch_scc0 .LBB810_602
; %bb.13:                               ;   in Loop: Header=BB810_12 Depth=1
	s_lshl_b32 s16, -1, s68
	s_not_b32 s69, s16
	s_mov_b64 s[16:17], -1
	s_and_b64 vcc, exec, s[70:71]
	s_cbranch_vccz .LBB810_307
; %bb.14:                               ;   in Loop: Header=BB810_12 Depth=1
	s_mov_b32 s22, s85
	s_mov_b32 s88, s50
	s_barrier
	s_waitcnt lgkmcnt(0)
                                        ; implicit-def: $vgpr62_vgpr63
                                        ; implicit-def: $vgpr0_vgpr1
                                        ; implicit-def: $vgpr34_vgpr35
                                        ; implicit-def: $vgpr36_vgpr37
                                        ; implicit-def: $vgpr38_vgpr39
                                        ; implicit-def: $vgpr40_vgpr41
                                        ; implicit-def: $vgpr42_vgpr43
                                        ; implicit-def: $vgpr44_vgpr45
                                        ; implicit-def: $vgpr46_vgpr47
                                        ; implicit-def: $vgpr48_vgpr49
                                        ; implicit-def: $vgpr50_vgpr51
                                        ; implicit-def: $vgpr52_vgpr53
                                        ; implicit-def: $vgpr54_vgpr55
                                        ; implicit-def: $vgpr56_vgpr57
                                        ; implicit-def: $vgpr58_vgpr59
                                        ; implicit-def: $vgpr60_vgpr61
	s_branch .LBB810_16
.LBB810_15:                             ;   in Loop: Header=BB810_16 Depth=2
	s_or_b64 exec, exec, s[16:17]
	s_addk_i32 s22, 0xf000
	s_cmp_ge_u32 s23, s94
	s_mov_b32 s88, s23
	s_cbranch_scc1 .LBB810_86
.LBB810_16:                             ;   Parent Loop BB810_12 Depth=1
                                        ; =>  This Inner Loop Header: Depth=2
	s_add_i32 s23, s88, 0x1000
	s_cmp_gt_u32 s23, s94
	s_cbranch_scc1 .LBB810_19
; %bb.17:                               ;   in Loop: Header=BB810_16 Depth=2
	s_lshl_b64 s[16:17], s[88:89], 3
	v_mov_b32_e32 v5, s17
	v_add_co_u32_e32 v64, vcc, s16, v9
	v_addc_co_u32_e32 v65, vcc, v11, v5, vcc
	s_waitcnt vmcnt(11)
	v_add_co_u32_e32 v72, vcc, 0x1000, v64
	v_addc_co_u32_e32 v73, vcc, 0, v65, vcc
	s_waitcnt vmcnt(5)
	;; [unrolled: 3-line block ×3, first 2 shown]
	v_add_co_u32_e32 v82, vcc, s96, v64
	v_addc_co_u32_e32 v83, vcc, 0, v65, vcc
	v_add_co_u32_e32 v86, vcc, s97, v64
	v_addc_co_u32_e32 v87, vcc, 0, v65, vcc
	v_add_co_u32_e32 v88, vcc, s98, v64
	v_addc_co_u32_e32 v89, vcc, 0, v65, vcc
	v_add_co_u32_e32 v92, vcc, s99, v64
	v_addc_co_u32_e32 v93, vcc, 0, v65, vcc
	global_load_dwordx2 v[66:67], v[64:65], off
	global_load_dwordx2 v[68:69], v[64:65], off offset:2048
	global_load_dwordx2 v[70:71], v[72:73], off
	s_nop 0
	global_load_dwordx2 v[72:73], v[72:73], off offset:2048
	s_nop 0
	global_load_dwordx2 v[74:75], v[82:83], off
	global_load_dwordx2 v[76:77], v[82:83], off offset:2048
	global_load_dwordx2 v[80:81], v[88:89], off offset:-4096
	global_load_dwordx2 v[84:85], v[88:89], off
	s_nop 0
	global_load_dwordx2 v[88:89], v[88:89], off offset:2048
	s_nop 0
	global_load_dwordx2 v[78:79], v[78:79], off offset:2048
	s_nop 0
	global_load_dwordx2 v[86:87], v[86:87], off offset:2048
	s_nop 0
	global_load_dwordx2 v[90:91], v[92:93], off
	s_nop 0
	global_load_dwordx2 v[92:93], v[92:93], off offset:2048
	s_waitcnt vmcnt(13)
	v_add_co_u32_e32 v94, vcc, 0x7000, v64
	v_addc_co_u32_e32 v95, vcc, 0, v65, vcc
	global_load_dwordx2 v[82:83], v[82:83], off offset:-4096
	s_nop 0
	global_load_dwordx2 v[94:95], v[94:95], off
	v_add_co_u32_e32 v64, vcc, 0x7800, v64
	s_movk_i32 s24, 0x1000
	v_addc_co_u32_e32 v65, vcc, 0, v65, vcc
	s_mov_b64 s[16:17], -1
	s_cbranch_execz .LBB810_20
; %bb.18:                               ;   in Loop: Header=BB810_16 Depth=2
                                        ; implicit-def: $vgpr60_vgpr61
                                        ; implicit-def: $vgpr58_vgpr59
                                        ; implicit-def: $vgpr56_vgpr57
                                        ; implicit-def: $vgpr54_vgpr55
                                        ; implicit-def: $vgpr52_vgpr53
                                        ; implicit-def: $vgpr50_vgpr51
                                        ; implicit-def: $vgpr48_vgpr49
                                        ; implicit-def: $vgpr46_vgpr47
                                        ; implicit-def: $vgpr44_vgpr45
                                        ; implicit-def: $vgpr42_vgpr43
                                        ; implicit-def: $vgpr40_vgpr41
                                        ; implicit-def: $vgpr38_vgpr39
                                        ; implicit-def: $vgpr36_vgpr37
                                        ; implicit-def: $vgpr34_vgpr35
                                        ; implicit-def: $vgpr0_vgpr1
                                        ; implicit-def: $vgpr62_vgpr63
	v_mov_b32_e32 v5, s22
	s_and_saveexec_b64 s[18:19], s[16:17]
	s_cbranch_execnz .LBB810_39
	s_branch .LBB810_40
.LBB810_19:                             ;   in Loop: Header=BB810_16 Depth=2
	s_mov_b64 s[16:17], 0
                                        ; implicit-def: $sgpr24
                                        ; implicit-def: $vgpr66_vgpr67
                                        ; implicit-def: $vgpr68_vgpr69
                                        ; implicit-def: $vgpr70_vgpr71
                                        ; implicit-def: $vgpr72_vgpr73
                                        ; implicit-def: $vgpr82_vgpr83
                                        ; implicit-def: $vgpr78_vgpr79
                                        ; implicit-def: $vgpr74_vgpr75
                                        ; implicit-def: $vgpr76_vgpr77
                                        ; implicit-def: $vgpr80_vgpr81
                                        ; implicit-def: $vgpr86_vgpr87
                                        ; implicit-def: $vgpr84_vgpr85
                                        ; implicit-def: $vgpr88_vgpr89
                                        ; implicit-def: $vgpr90_vgpr91
                                        ; implicit-def: $vgpr92_vgpr93
                                        ; implicit-def: $vgpr94_vgpr95
                                        ; implicit-def: $vgpr64_vgpr65
.LBB810_20:                             ;   in Loop: Header=BB810_16 Depth=2
	s_lshl_b64 s[18:19], s[88:89], 3
	s_add_u32 s18, s76, s18
	s_addc_u32 s19, s77, s19
	v_cmp_gt_u32_e32 vcc, s22, v2
	s_and_saveexec_b64 s[20:21], vcc
	s_cbranch_execz .LBB810_72
; %bb.21:                               ;   in Loop: Header=BB810_16 Depth=2
	global_load_dwordx2 v[60:61], v118, s[18:19]
	s_or_b64 exec, exec, s[20:21]
	v_cmp_gt_u32_e32 vcc, s22, v7
	s_and_saveexec_b64 s[20:21], vcc
	s_cbranch_execnz .LBB810_73
.LBB810_22:                             ;   in Loop: Header=BB810_16 Depth=2
	s_or_b64 exec, exec, s[20:21]
	v_cmp_gt_u32_e32 vcc, s22, v6
	s_and_saveexec_b64 s[20:21], vcc
	s_cbranch_execz .LBB810_74
.LBB810_23:                             ;   in Loop: Header=BB810_16 Depth=2
	global_load_dwordx2 v[56:57], v119, s[18:19]
	s_or_b64 exec, exec, s[20:21]
	v_cmp_gt_u32_e32 vcc, s22, v8
	s_and_saveexec_b64 s[20:21], vcc
	s_cbranch_execnz .LBB810_75
.LBB810_24:                             ;   in Loop: Header=BB810_16 Depth=2
	s_or_b64 exec, exec, s[20:21]
	v_cmp_gt_u32_e32 vcc, s22, v10
	s_and_saveexec_b64 s[20:21], vcc
	s_cbranch_execz .LBB810_76
.LBB810_25:                             ;   in Loop: Header=BB810_16 Depth=2
	global_load_dwordx2 v[52:53], v121, s[18:19]
	s_or_b64 exec, exec, s[20:21]
	v_cmp_gt_u32_e32 vcc, s22, v12
	s_and_saveexec_b64 s[20:21], vcc
	s_cbranch_execnz .LBB810_77
.LBB810_26:                             ;   in Loop: Header=BB810_16 Depth=2
	s_or_b64 exec, exec, s[20:21]
	v_cmp_gt_u32_e32 vcc, s22, v14
	s_and_saveexec_b64 s[20:21], vcc
	s_cbranch_execz .LBB810_78
.LBB810_27:                             ;   in Loop: Header=BB810_16 Depth=2
	global_load_dwordx2 v[48:49], v123, s[18:19]
	s_or_b64 exec, exec, s[20:21]
	v_cmp_gt_u32_e32 vcc, s22, v16
	s_and_saveexec_b64 s[20:21], vcc
	s_cbranch_execnz .LBB810_79
.LBB810_28:                             ;   in Loop: Header=BB810_16 Depth=2
	s_or_b64 exec, exec, s[20:21]
	v_cmp_gt_u32_e32 vcc, s22, v18
	s_and_saveexec_b64 s[20:21], vcc
	s_cbranch_execz .LBB810_80
.LBB810_29:                             ;   in Loop: Header=BB810_16 Depth=2
	global_load_dwordx2 v[44:45], v125, s[18:19]
	s_or_b64 exec, exec, s[20:21]
	v_cmp_gt_u32_e32 vcc, s22, v20
	s_and_saveexec_b64 s[20:21], vcc
	s_cbranch_execnz .LBB810_81
.LBB810_30:                             ;   in Loop: Header=BB810_16 Depth=2
	s_or_b64 exec, exec, s[20:21]
	v_cmp_gt_u32_e32 vcc, s22, v22
	s_and_saveexec_b64 s[20:21], vcc
	s_cbranch_execz .LBB810_82
.LBB810_31:                             ;   in Loop: Header=BB810_16 Depth=2
	global_load_dwordx2 v[40:41], v127, s[18:19]
	s_or_b64 exec, exec, s[20:21]
	v_cmp_gt_u32_e32 vcc, s22, v24
	s_and_saveexec_b64 s[20:21], vcc
	s_cbranch_execnz .LBB810_83
.LBB810_32:                             ;   in Loop: Header=BB810_16 Depth=2
	s_or_b64 exec, exec, s[20:21]
	v_cmp_gt_u32_e32 vcc, s22, v26
	s_and_saveexec_b64 s[20:21], vcc
	s_cbranch_execz .LBB810_84
.LBB810_33:                             ;   in Loop: Header=BB810_16 Depth=2
	global_load_dwordx2 v[36:37], v129, s[18:19]
	s_or_b64 exec, exec, s[20:21]
	v_cmp_gt_u32_e32 vcc, s22, v28
	s_and_saveexec_b64 s[20:21], vcc
	s_cbranch_execnz .LBB810_85
.LBB810_34:                             ;   in Loop: Header=BB810_16 Depth=2
	s_or_b64 exec, exec, s[20:21]
	v_cmp_gt_u32_e32 vcc, s22, v30
	s_and_saveexec_b64 s[20:21], vcc
	s_cbranch_execz .LBB810_36
.LBB810_35:                             ;   in Loop: Header=BB810_16 Depth=2
	global_load_dwordx2 v[0:1], v131, s[18:19]
.LBB810_36:                             ;   in Loop: Header=BB810_16 Depth=2
	s_or_b64 exec, exec, s[20:21]
	v_cmp_gt_u32_e32 vcc, s22, v32
                                        ; implicit-def: $sgpr24
                                        ; implicit-def: $vgpr64_vgpr65
	s_and_saveexec_b64 s[20:21], vcc
; %bb.37:                               ;   in Loop: Header=BB810_16 Depth=2
	v_mov_b32_e32 v5, s19
	v_add_co_u32_e32 v64, vcc, s18, v132
	s_sub_i32 s24, s94, s88
	v_addc_co_u32_e32 v65, vcc, 0, v5, vcc
	s_or_b64 s[16:17], s[16:17], exec
                                        ; implicit-def: $vgpr62_vgpr63
; %bb.38:                               ;   in Loop: Header=BB810_16 Depth=2
	s_or_b64 exec, exec, s[20:21]
	s_waitcnt vmcnt(0)
	v_pk_mov_b32 v[66:67], v[60:61], v[60:61] op_sel:[0,1]
	v_pk_mov_b32 v[68:69], v[58:59], v[58:59] op_sel:[0,1]
	;; [unrolled: 1-line block ×15, first 2 shown]
	v_mov_b32_e32 v5, s22
	s_and_saveexec_b64 s[18:19], s[16:17]
	s_cbranch_execz .LBB810_40
.LBB810_39:                             ;   in Loop: Header=BB810_16 Depth=2
	global_load_dwordx2 v[62:63], v[64:65], off
	v_mov_b32_e32 v5, s24
	s_waitcnt vmcnt(1)
	v_pk_mov_b32 v[0:1], v[94:95], v[94:95] op_sel:[0,1]
	v_pk_mov_b32 v[34:35], v[92:93], v[92:93] op_sel:[0,1]
	;; [unrolled: 1-line block ×15, first 2 shown]
.LBB810_40:                             ;   in Loop: Header=BB810_16 Depth=2
	s_or_b64 exec, exec, s[18:19]
	v_cmp_lt_u32_e32 vcc, v2, v5
	s_and_saveexec_b64 s[16:17], vcc
	s_cbranch_execz .LBB810_56
; %bb.41:                               ;   in Loop: Header=BB810_16 Depth=2
	v_xor_b32_e32 v65, 0x80000000, v61
	v_mov_b32_e32 v64, v60
	v_lshrrev_b64 v[64:65], s33, v[64:65]
	v_and_b32_e32 v64, s69, v64
	v_lshl_or_b32 v64, v64, 4, v133
	ds_add_u32 v64, v117
	s_or_b64 exec, exec, s[16:17]
	v_cmp_lt_u32_e32 vcc, v7, v5
	s_and_saveexec_b64 s[16:17], vcc
	s_cbranch_execnz .LBB810_57
.LBB810_42:                             ;   in Loop: Header=BB810_16 Depth=2
	s_or_b64 exec, exec, s[16:17]
	v_cmp_lt_u32_e32 vcc, v6, v5
	s_and_saveexec_b64 s[16:17], vcc
	s_cbranch_execz .LBB810_58
.LBB810_43:                             ;   in Loop: Header=BB810_16 Depth=2
	v_xor_b32_e32 v65, 0x80000000, v57
	v_mov_b32_e32 v64, v56
	v_lshrrev_b64 v[64:65], s33, v[64:65]
	v_and_b32_e32 v64, s69, v64
	v_lshl_or_b32 v64, v64, 4, v133
	ds_add_u32 v64, v117
	s_or_b64 exec, exec, s[16:17]
	v_cmp_lt_u32_e32 vcc, v8, v5
	s_and_saveexec_b64 s[16:17], vcc
	s_cbranch_execnz .LBB810_59
.LBB810_44:                             ;   in Loop: Header=BB810_16 Depth=2
	s_or_b64 exec, exec, s[16:17]
	v_cmp_lt_u32_e32 vcc, v10, v5
	s_and_saveexec_b64 s[16:17], vcc
	s_cbranch_execz .LBB810_60
.LBB810_45:                             ;   in Loop: Header=BB810_16 Depth=2
	v_xor_b32_e32 v65, 0x80000000, v53
	v_mov_b32_e32 v64, v52
	v_lshrrev_b64 v[64:65], s33, v[64:65]
	v_and_b32_e32 v64, s69, v64
	v_lshl_or_b32 v64, v64, 4, v133
	ds_add_u32 v64, v117
	s_or_b64 exec, exec, s[16:17]
	v_cmp_lt_u32_e32 vcc, v12, v5
	s_and_saveexec_b64 s[16:17], vcc
	s_cbranch_execnz .LBB810_61
.LBB810_46:                             ;   in Loop: Header=BB810_16 Depth=2
	s_or_b64 exec, exec, s[16:17]
	v_cmp_lt_u32_e32 vcc, v14, v5
	s_and_saveexec_b64 s[16:17], vcc
	s_cbranch_execz .LBB810_62
.LBB810_47:                             ;   in Loop: Header=BB810_16 Depth=2
	v_xor_b32_e32 v65, 0x80000000, v49
	v_mov_b32_e32 v64, v48
	v_lshrrev_b64 v[64:65], s33, v[64:65]
	v_and_b32_e32 v64, s69, v64
	v_lshl_or_b32 v64, v64, 4, v133
	ds_add_u32 v64, v117
	s_or_b64 exec, exec, s[16:17]
	v_cmp_lt_u32_e32 vcc, v16, v5
	s_and_saveexec_b64 s[16:17], vcc
	s_cbranch_execnz .LBB810_63
.LBB810_48:                             ;   in Loop: Header=BB810_16 Depth=2
	s_or_b64 exec, exec, s[16:17]
	v_cmp_lt_u32_e32 vcc, v18, v5
	s_and_saveexec_b64 s[16:17], vcc
	s_cbranch_execz .LBB810_64
.LBB810_49:                             ;   in Loop: Header=BB810_16 Depth=2
	v_xor_b32_e32 v65, 0x80000000, v45
	v_mov_b32_e32 v64, v44
	v_lshrrev_b64 v[64:65], s33, v[64:65]
	v_and_b32_e32 v64, s69, v64
	v_lshl_or_b32 v64, v64, 4, v133
	ds_add_u32 v64, v117
	s_or_b64 exec, exec, s[16:17]
	v_cmp_lt_u32_e32 vcc, v20, v5
	s_and_saveexec_b64 s[16:17], vcc
	s_cbranch_execnz .LBB810_65
.LBB810_50:                             ;   in Loop: Header=BB810_16 Depth=2
	s_or_b64 exec, exec, s[16:17]
	v_cmp_lt_u32_e32 vcc, v22, v5
	s_and_saveexec_b64 s[16:17], vcc
	s_cbranch_execz .LBB810_66
.LBB810_51:                             ;   in Loop: Header=BB810_16 Depth=2
	v_xor_b32_e32 v65, 0x80000000, v41
	v_mov_b32_e32 v64, v40
	v_lshrrev_b64 v[64:65], s33, v[64:65]
	v_and_b32_e32 v64, s69, v64
	v_lshl_or_b32 v64, v64, 4, v133
	ds_add_u32 v64, v117
	s_or_b64 exec, exec, s[16:17]
	v_cmp_lt_u32_e32 vcc, v24, v5
	s_and_saveexec_b64 s[16:17], vcc
	s_cbranch_execnz .LBB810_67
.LBB810_52:                             ;   in Loop: Header=BB810_16 Depth=2
	s_or_b64 exec, exec, s[16:17]
	v_cmp_lt_u32_e32 vcc, v26, v5
	s_and_saveexec_b64 s[16:17], vcc
	s_cbranch_execz .LBB810_68
.LBB810_53:                             ;   in Loop: Header=BB810_16 Depth=2
	v_xor_b32_e32 v65, 0x80000000, v37
	v_mov_b32_e32 v64, v36
	v_lshrrev_b64 v[64:65], s33, v[64:65]
	v_and_b32_e32 v64, s69, v64
	v_lshl_or_b32 v64, v64, 4, v133
	ds_add_u32 v64, v117
	s_or_b64 exec, exec, s[16:17]
	v_cmp_lt_u32_e32 vcc, v28, v5
	s_and_saveexec_b64 s[16:17], vcc
	s_cbranch_execnz .LBB810_69
.LBB810_54:                             ;   in Loop: Header=BB810_16 Depth=2
	s_or_b64 exec, exec, s[16:17]
	v_cmp_lt_u32_e32 vcc, v30, v5
	s_and_saveexec_b64 s[16:17], vcc
	s_cbranch_execz .LBB810_70
.LBB810_55:                             ;   in Loop: Header=BB810_16 Depth=2
	v_xor_b32_e32 v65, 0x80000000, v1
	v_mov_b32_e32 v64, v0
	v_lshrrev_b64 v[64:65], s33, v[64:65]
	v_and_b32_e32 v64, s69, v64
	v_lshl_or_b32 v64, v64, 4, v133
	ds_add_u32 v64, v117
	s_or_b64 exec, exec, s[16:17]
	v_cmp_lt_u32_e32 vcc, v32, v5
	s_and_saveexec_b64 s[16:17], vcc
	s_cbranch_execz .LBB810_15
	s_branch .LBB810_71
.LBB810_56:                             ;   in Loop: Header=BB810_16 Depth=2
	s_or_b64 exec, exec, s[16:17]
	v_cmp_lt_u32_e32 vcc, v7, v5
	s_and_saveexec_b64 s[16:17], vcc
	s_cbranch_execz .LBB810_42
.LBB810_57:                             ;   in Loop: Header=BB810_16 Depth=2
	v_xor_b32_e32 v65, 0x80000000, v59
	v_mov_b32_e32 v64, v58
	v_lshrrev_b64 v[64:65], s33, v[64:65]
	v_and_b32_e32 v64, s69, v64
	v_lshl_or_b32 v64, v64, 4, v133
	ds_add_u32 v64, v117
	s_or_b64 exec, exec, s[16:17]
	v_cmp_lt_u32_e32 vcc, v6, v5
	s_and_saveexec_b64 s[16:17], vcc
	s_cbranch_execnz .LBB810_43
.LBB810_58:                             ;   in Loop: Header=BB810_16 Depth=2
	s_or_b64 exec, exec, s[16:17]
	v_cmp_lt_u32_e32 vcc, v8, v5
	s_and_saveexec_b64 s[16:17], vcc
	s_cbranch_execz .LBB810_44
.LBB810_59:                             ;   in Loop: Header=BB810_16 Depth=2
	v_xor_b32_e32 v65, 0x80000000, v55
	v_mov_b32_e32 v64, v54
	v_lshrrev_b64 v[64:65], s33, v[64:65]
	v_and_b32_e32 v64, s69, v64
	v_lshl_or_b32 v64, v64, 4, v133
	ds_add_u32 v64, v117
	s_or_b64 exec, exec, s[16:17]
	v_cmp_lt_u32_e32 vcc, v10, v5
	s_and_saveexec_b64 s[16:17], vcc
	s_cbranch_execnz .LBB810_45
.LBB810_60:                             ;   in Loop: Header=BB810_16 Depth=2
	s_or_b64 exec, exec, s[16:17]
	v_cmp_lt_u32_e32 vcc, v12, v5
	s_and_saveexec_b64 s[16:17], vcc
	s_cbranch_execz .LBB810_46
.LBB810_61:                             ;   in Loop: Header=BB810_16 Depth=2
	v_xor_b32_e32 v65, 0x80000000, v51
	v_mov_b32_e32 v64, v50
	v_lshrrev_b64 v[64:65], s33, v[64:65]
	v_and_b32_e32 v64, s69, v64
	v_lshl_or_b32 v64, v64, 4, v133
	ds_add_u32 v64, v117
	s_or_b64 exec, exec, s[16:17]
	v_cmp_lt_u32_e32 vcc, v14, v5
	s_and_saveexec_b64 s[16:17], vcc
	s_cbranch_execnz .LBB810_47
.LBB810_62:                             ;   in Loop: Header=BB810_16 Depth=2
	s_or_b64 exec, exec, s[16:17]
	v_cmp_lt_u32_e32 vcc, v16, v5
	s_and_saveexec_b64 s[16:17], vcc
	s_cbranch_execz .LBB810_48
.LBB810_63:                             ;   in Loop: Header=BB810_16 Depth=2
	v_xor_b32_e32 v65, 0x80000000, v47
	v_mov_b32_e32 v64, v46
	v_lshrrev_b64 v[64:65], s33, v[64:65]
	v_and_b32_e32 v64, s69, v64
	v_lshl_or_b32 v64, v64, 4, v133
	ds_add_u32 v64, v117
	s_or_b64 exec, exec, s[16:17]
	v_cmp_lt_u32_e32 vcc, v18, v5
	s_and_saveexec_b64 s[16:17], vcc
	s_cbranch_execnz .LBB810_49
.LBB810_64:                             ;   in Loop: Header=BB810_16 Depth=2
	s_or_b64 exec, exec, s[16:17]
	v_cmp_lt_u32_e32 vcc, v20, v5
	s_and_saveexec_b64 s[16:17], vcc
	s_cbranch_execz .LBB810_50
.LBB810_65:                             ;   in Loop: Header=BB810_16 Depth=2
	v_xor_b32_e32 v65, 0x80000000, v43
	v_mov_b32_e32 v64, v42
	v_lshrrev_b64 v[64:65], s33, v[64:65]
	v_and_b32_e32 v64, s69, v64
	v_lshl_or_b32 v64, v64, 4, v133
	ds_add_u32 v64, v117
	s_or_b64 exec, exec, s[16:17]
	v_cmp_lt_u32_e32 vcc, v22, v5
	s_and_saveexec_b64 s[16:17], vcc
	s_cbranch_execnz .LBB810_51
.LBB810_66:                             ;   in Loop: Header=BB810_16 Depth=2
	s_or_b64 exec, exec, s[16:17]
	v_cmp_lt_u32_e32 vcc, v24, v5
	s_and_saveexec_b64 s[16:17], vcc
	s_cbranch_execz .LBB810_52
.LBB810_67:                             ;   in Loop: Header=BB810_16 Depth=2
	v_xor_b32_e32 v65, 0x80000000, v39
	v_mov_b32_e32 v64, v38
	v_lshrrev_b64 v[64:65], s33, v[64:65]
	v_and_b32_e32 v64, s69, v64
	v_lshl_or_b32 v64, v64, 4, v133
	ds_add_u32 v64, v117
	s_or_b64 exec, exec, s[16:17]
	v_cmp_lt_u32_e32 vcc, v26, v5
	s_and_saveexec_b64 s[16:17], vcc
	s_cbranch_execnz .LBB810_53
.LBB810_68:                             ;   in Loop: Header=BB810_16 Depth=2
	s_or_b64 exec, exec, s[16:17]
	v_cmp_lt_u32_e32 vcc, v28, v5
	s_and_saveexec_b64 s[16:17], vcc
	s_cbranch_execz .LBB810_54
.LBB810_69:                             ;   in Loop: Header=BB810_16 Depth=2
	v_xor_b32_e32 v65, 0x80000000, v35
	v_mov_b32_e32 v64, v34
	v_lshrrev_b64 v[64:65], s33, v[64:65]
	v_and_b32_e32 v64, s69, v64
	v_lshl_or_b32 v64, v64, 4, v133
	ds_add_u32 v64, v117
	s_or_b64 exec, exec, s[16:17]
	v_cmp_lt_u32_e32 vcc, v30, v5
	s_and_saveexec_b64 s[16:17], vcc
	s_cbranch_execnz .LBB810_55
.LBB810_70:                             ;   in Loop: Header=BB810_16 Depth=2
	s_or_b64 exec, exec, s[16:17]
	v_cmp_lt_u32_e32 vcc, v32, v5
	s_and_saveexec_b64 s[16:17], vcc
	s_cbranch_execz .LBB810_15
.LBB810_71:                             ;   in Loop: Header=BB810_16 Depth=2
	s_waitcnt vmcnt(0)
	v_xor_b32_e32 v65, 0x80000000, v63
	v_mov_b32_e32 v64, v62
	v_lshrrev_b64 v[64:65], s33, v[64:65]
	v_and_b32_e32 v5, s69, v64
	v_lshl_or_b32 v5, v5, 4, v133
	ds_add_u32 v5, v117
	s_branch .LBB810_15
.LBB810_72:                             ;   in Loop: Header=BB810_16 Depth=2
	s_or_b64 exec, exec, s[20:21]
	v_cmp_gt_u32_e32 vcc, s22, v7
	s_and_saveexec_b64 s[20:21], vcc
	s_cbranch_execz .LBB810_22
.LBB810_73:                             ;   in Loop: Header=BB810_16 Depth=2
	global_load_dwordx2 v[58:59], v118, s[18:19] offset:2048
	s_or_b64 exec, exec, s[20:21]
	v_cmp_gt_u32_e32 vcc, s22, v6
	s_and_saveexec_b64 s[20:21], vcc
	s_cbranch_execnz .LBB810_23
.LBB810_74:                             ;   in Loop: Header=BB810_16 Depth=2
	s_or_b64 exec, exec, s[20:21]
	v_cmp_gt_u32_e32 vcc, s22, v8
	s_and_saveexec_b64 s[20:21], vcc
	s_cbranch_execz .LBB810_24
.LBB810_75:                             ;   in Loop: Header=BB810_16 Depth=2
	global_load_dwordx2 v[54:55], v120, s[18:19]
	s_or_b64 exec, exec, s[20:21]
	v_cmp_gt_u32_e32 vcc, s22, v10
	s_and_saveexec_b64 s[20:21], vcc
	s_cbranch_execnz .LBB810_25
.LBB810_76:                             ;   in Loop: Header=BB810_16 Depth=2
	s_or_b64 exec, exec, s[20:21]
	v_cmp_gt_u32_e32 vcc, s22, v12
	s_and_saveexec_b64 s[20:21], vcc
	s_cbranch_execz .LBB810_26
.LBB810_77:                             ;   in Loop: Header=BB810_16 Depth=2
	global_load_dwordx2 v[50:51], v122, s[18:19]
	s_or_b64 exec, exec, s[20:21]
	v_cmp_gt_u32_e32 vcc, s22, v14
	s_and_saveexec_b64 s[20:21], vcc
	s_cbranch_execnz .LBB810_27
.LBB810_78:                             ;   in Loop: Header=BB810_16 Depth=2
	s_or_b64 exec, exec, s[20:21]
	v_cmp_gt_u32_e32 vcc, s22, v16
	s_and_saveexec_b64 s[20:21], vcc
	s_cbranch_execz .LBB810_28
.LBB810_79:                             ;   in Loop: Header=BB810_16 Depth=2
	global_load_dwordx2 v[46:47], v124, s[18:19]
	s_or_b64 exec, exec, s[20:21]
	v_cmp_gt_u32_e32 vcc, s22, v18
	s_and_saveexec_b64 s[20:21], vcc
	s_cbranch_execnz .LBB810_29
.LBB810_80:                             ;   in Loop: Header=BB810_16 Depth=2
	s_or_b64 exec, exec, s[20:21]
	v_cmp_gt_u32_e32 vcc, s22, v20
	s_and_saveexec_b64 s[20:21], vcc
	s_cbranch_execz .LBB810_30
.LBB810_81:                             ;   in Loop: Header=BB810_16 Depth=2
	global_load_dwordx2 v[42:43], v126, s[18:19]
	s_or_b64 exec, exec, s[20:21]
	v_cmp_gt_u32_e32 vcc, s22, v22
	s_and_saveexec_b64 s[20:21], vcc
	s_cbranch_execnz .LBB810_31
.LBB810_82:                             ;   in Loop: Header=BB810_16 Depth=2
	s_or_b64 exec, exec, s[20:21]
	v_cmp_gt_u32_e32 vcc, s22, v24
	s_and_saveexec_b64 s[20:21], vcc
	s_cbranch_execz .LBB810_32
.LBB810_83:                             ;   in Loop: Header=BB810_16 Depth=2
	global_load_dwordx2 v[38:39], v128, s[18:19]
	s_or_b64 exec, exec, s[20:21]
	v_cmp_gt_u32_e32 vcc, s22, v26
	s_and_saveexec_b64 s[20:21], vcc
	s_cbranch_execnz .LBB810_33
.LBB810_84:                             ;   in Loop: Header=BB810_16 Depth=2
	s_or_b64 exec, exec, s[20:21]
	v_cmp_gt_u32_e32 vcc, s22, v28
	s_and_saveexec_b64 s[20:21], vcc
	s_cbranch_execz .LBB810_34
.LBB810_85:                             ;   in Loop: Header=BB810_16 Depth=2
	global_load_dwordx2 v[34:35], v130, s[18:19]
	s_or_b64 exec, exec, s[20:21]
	v_cmp_gt_u32_e32 vcc, s22, v30
	s_and_saveexec_b64 s[20:21], vcc
	s_cbranch_execz .LBB810_36
	s_branch .LBB810_35
.LBB810_86:                             ;   in Loop: Header=BB810_12 Depth=1
	v_mov_b32_e32 v0, 0
	s_waitcnt lgkmcnt(0)
	s_barrier
	s_and_saveexec_b64 s[16:17], s[4:5]
	s_cbranch_execz .LBB810_88
; %bb.87:                               ;   in Loop: Header=BB810_12 Depth=1
	ds_read2_b64 v[34:37], v13 offset1:1
	s_waitcnt lgkmcnt(0)
	v_add_u32_e32 v0, v35, v34
	v_add3_u32 v0, v0, v36, v37
.LBB810_88:                             ;   in Loop: Header=BB810_12 Depth=1
	s_or_b64 exec, exec, s[16:17]
	s_nop 0
	v_mov_b32_dpp v1, v0 row_shr:1 row_mask:0xf bank_mask:0xf
	v_cmp_eq_u32_e64 s[16:17], 0, v135
	v_cndmask_b32_e64 v1, v1, 0, s[16:17]
	v_add_u32_e32 v0, v1, v0
	v_cmp_lt_u32_e64 s[18:19], 1, v135
	v_cmp_lt_u32_e64 s[20:21], 3, v135
	v_mov_b32_dpp v1, v0 row_shr:2 row_mask:0xf bank_mask:0xf
	v_cndmask_b32_e64 v1, 0, v1, s[18:19]
	v_add_u32_e32 v0, v0, v1
	v_cmp_lt_u32_e64 s[22:23], 7, v135
	v_cmp_lt_u32_e64 s[26:27], 31, v134
	v_mov_b32_dpp v1, v0 row_shr:4 row_mask:0xf bank_mask:0xf
	v_cndmask_b32_e64 v1, 0, v1, s[20:21]
	v_add_u32_e32 v0, v0, v1
	v_cmp_eq_u32_e64 s[24:25], 0, v137
	s_nop 0
	v_mov_b32_dpp v1, v0 row_shr:8 row_mask:0xf bank_mask:0xf
	v_cndmask_b32_e64 v1, 0, v1, s[22:23]
	v_add_u32_e32 v0, v0, v1
	s_nop 1
	v_mov_b32_dpp v1, v0 row_bcast:15 row_mask:0xf bank_mask:0xf
	v_and_b32_e32 v1, v136, v1
	v_add_u32_e32 v0, v0, v1
	s_nop 1
	v_mov_b32_dpp v1, v0 row_bcast:31 row_mask:0xf bank_mask:0xf
	v_cndmask_b32_e64 v1, 0, v1, s[26:27]
	v_add_u32_e32 v0, v0, v1
	s_and_saveexec_b64 s[28:29], s[6:7]
	v_readlane_b32 s38, v235, 2
	s_cbranch_execz .LBB810_90
; %bb.89:                               ;   in Loop: Header=BB810_12 Depth=1
	ds_write_b32 v17, v0
.LBB810_90:                             ;   in Loop: Header=BB810_12 Depth=1
	s_or_b64 exec, exec, s[28:29]
	s_waitcnt lgkmcnt(0)
	s_barrier
	s_and_saveexec_b64 s[28:29], s[8:9]
	s_cbranch_execz .LBB810_92
; %bb.91:                               ;   in Loop: Header=BB810_12 Depth=1
	ds_read_b32 v1, v19
	v_cmp_ne_u32_e32 vcc, 0, v138
	s_waitcnt lgkmcnt(0)
	v_mov_b32_dpp v5, v1 row_shr:1 row_mask:0xf bank_mask:0xf
	v_cndmask_b32_e32 v5, 0, v5, vcc
	v_add_u32_e32 v1, v5, v1
	v_cmp_lt_u32_e32 vcc, 1, v138
	s_nop 0
	v_mov_b32_dpp v5, v1 row_shr:2 row_mask:0xf bank_mask:0xf
	v_cndmask_b32_e32 v5, 0, v5, vcc
	v_add_u32_e32 v1, v1, v5
	ds_write_b32 v19, v1
.LBB810_92:                             ;   in Loop: Header=BB810_12 Depth=1
	s_or_b64 exec, exec, s[28:29]
	v_mov_b32_e32 v1, 0
	s_waitcnt lgkmcnt(0)
	s_barrier
	s_and_saveexec_b64 s[28:29], s[10:11]
	s_cbranch_execz .LBB810_94
; %bb.93:                               ;   in Loop: Header=BB810_12 Depth=1
	ds_read_b32 v1, v21
.LBB810_94:                             ;   in Loop: Header=BB810_12 Depth=1
	s_or_b64 exec, exec, s[28:29]
	v_cmp_lt_i32_e32 vcc, v139, v140
	v_cndmask_b32_e32 v5, v139, v134, vcc
	s_waitcnt lgkmcnt(0)
	v_add_u32_e32 v0, v1, v0
	v_lshlrev_b32_e32 v158, 2, v5
	ds_bpermute_b32 v0, v158, v0
	v_cmp_eq_u32_e64 s[28:29], 0, v134
	s_waitcnt lgkmcnt(0)
	s_barrier
	s_and_saveexec_b64 s[30:31], s[4:5]
	s_cbranch_execz .LBB810_96
; %bb.95:                               ;   in Loop: Header=BB810_12 Depth=1
	v_cndmask_b32_e64 v0, v0, v1, s[28:29]
	v_add_u32_e32 v0, s38, v0
	ds_write_b32 v3, v0
.LBB810_96:                             ;   in Loop: Header=BB810_12 Depth=1
	s_or_b64 exec, exec, s[30:31]
	s_load_dword s30, s[90:91], 0x4
	s_load_dword s36, s[90:91], 0xc
	v_readlane_b32 s31, v235, 0
	v_add_co_u32_e32 v159, vcc, v100, v141
	s_waitcnt lgkmcnt(0)
	s_cmp_lt_u32 s31, s30
	s_cselect_b32 s30, 14, 20
	s_add_u32 s30, s90, s30
	s_addc_u32 s31, s91, 0
	global_load_ushort v5, v4, s[30:31]
	v_addc_co_u32_e32 v160, vcc, 0, v101, vcc
	v_add_co_u32_e32 v161, vcc, v102, v141
	v_addc_co_u32_e32 v162, vcc, 0, v103, vcc
	s_and_b32 s36, s36, 0xffff
	v_add_co_u32_e32 v176, vcc, 0x1e00, v161
	v_cmp_eq_u32_e64 s[30:31], 0, v138
	v_cmp_lt_u32_e64 s[34:35], 1, v138
	s_mov_b32 s87, s85
	v_addc_co_u32_e32 v179, vcc, 0, v162, vcc
	s_mov_b32 s88, s38
                                        ; implicit-def: $vgpr0_vgpr1
                                        ; implicit-def: $vgpr34_vgpr35
                                        ; implicit-def: $vgpr38_vgpr39
                                        ; implicit-def: $vgpr42_vgpr43
                                        ; implicit-def: $vgpr46_vgpr47
                                        ; implicit-def: $vgpr50_vgpr51
                                        ; implicit-def: $vgpr54_vgpr55
                                        ; implicit-def: $vgpr58_vgpr59
                                        ; implicit-def: $vgpr36_vgpr37
                                        ; implicit-def: $vgpr40_vgpr41
                                        ; implicit-def: $vgpr44_vgpr45
                                        ; implicit-def: $vgpr48_vgpr49
                                        ; implicit-def: $vgpr52_vgpr53
                                        ; implicit-def: $vgpr56_vgpr57
                                        ; implicit-def: $vgpr60_vgpr61
                                        ; implicit-def: $vgpr62_vgpr63
                                        ; implicit-def: $vgpr163
                                        ; implicit-def: $vgpr164
                                        ; implicit-def: $vgpr165
                                        ; implicit-def: $vgpr166
                                        ; implicit-def: $vgpr167
                                        ; implicit-def: $vgpr168
                                        ; implicit-def: $vgpr169
                                        ; implicit-def: $vgpr170
                                        ; implicit-def: $vgpr171
                                        ; implicit-def: $vgpr172
                                        ; implicit-def: $vgpr173
                                        ; implicit-def: $vgpr174
                                        ; implicit-def: $vgpr175
                                        ; implicit-def: $vgpr177
                                        ; implicit-def: $vgpr178
                                        ; implicit-def: $vgpr180
	s_waitcnt vmcnt(0)
	v_mad_u32_u24 v5, v23, v5, v25
	v_mad_u64_u32 v[64:65], s[36:37], v5, s36, v[2:3]
	v_lshrrev_b32_e32 v181, 6, v64
	s_branch .LBB810_98
.LBB810_97:                             ;   in Loop: Header=BB810_98 Depth=2
	s_or_b64 exec, exec, s[36:37]
	s_addk_i32 s87, 0xf000
	s_cmp_lt_u32 s86, s94
	s_mov_b32 s88, s86
	s_cbranch_scc0 .LBB810_306
.LBB810_98:                             ;   Parent Loop BB810_12 Depth=1
                                        ; =>  This Inner Loop Header: Depth=2
	s_add_i32 s86, s88, 0x1000
	s_cmp_gt_u32 s86, s94
	s_cbranch_scc1 .LBB810_100
; %bb.99:                               ;   in Loop: Header=BB810_98 Depth=2
	s_lshl_b64 s[36:37], s[88:89], 3
	v_mov_b32_e32 v5, s37
	v_add_co_u32_e32 v80, vcc, s36, v161
	v_addc_co_u32_e32 v81, vcc, v162, v5, vcc
	v_add_co_u32_e32 v92, vcc, 0x1000, v80
	global_load_dwordx2 v[64:65], v[80:81], off
	global_load_dwordx2 v[66:67], v[80:81], off offset:512
	global_load_dwordx2 v[68:69], v[80:81], off offset:1024
	;; [unrolled: 1-line block ×7, first 2 shown]
	v_addc_co_u32_e32 v93, vcc, 0, v81, vcc
	global_load_dwordx2 v[80:81], v[92:93], off
	global_load_dwordx2 v[82:83], v[92:93], off offset:512
	global_load_dwordx2 v[84:85], v[92:93], off offset:1024
	;; [unrolled: 1-line block ×5, first 2 shown]
	s_nop 0
	global_load_dwordx2 v[92:93], v[92:93], off offset:3072
	s_movk_i32 s40, 0x1000
	s_mov_b64 s[36:37], -1
	s_cbranch_execz .LBB810_101
	s_branch .LBB810_132
.LBB810_100:                            ;   in Loop: Header=BB810_98 Depth=2
	s_mov_b64 s[36:37], 0
                                        ; implicit-def: $sgpr40
                                        ; implicit-def: $vgpr64_vgpr65
                                        ; implicit-def: $vgpr66_vgpr67
                                        ; implicit-def: $vgpr68_vgpr69
                                        ; implicit-def: $vgpr70_vgpr71
                                        ; implicit-def: $vgpr72_vgpr73
                                        ; implicit-def: $vgpr74_vgpr75
                                        ; implicit-def: $vgpr76_vgpr77
                                        ; implicit-def: $vgpr78_vgpr79
                                        ; implicit-def: $vgpr80_vgpr81
                                        ; implicit-def: $vgpr82_vgpr83
                                        ; implicit-def: $vgpr84_vgpr85
                                        ; implicit-def: $vgpr86_vgpr87
                                        ; implicit-def: $vgpr88_vgpr89
                                        ; implicit-def: $vgpr90_vgpr91
                                        ; implicit-def: $vgpr92_vgpr93
.LBB810_101:                            ;   in Loop: Header=BB810_98 Depth=2
	s_lshl_b64 s[36:37], s[88:89], 3
	v_mov_b32_e32 v5, s37
	v_add_co_u32_e32 v94, vcc, s36, v161
	v_addc_co_u32_e32 v95, vcc, v162, v5, vcc
	v_cmp_gt_u32_e32 vcc, s87, v142
	s_waitcnt vmcnt(14)
	v_pk_mov_b32 v[64:65], s[78:79], s[78:79] op_sel:[0,1]
	s_and_saveexec_b64 s[36:37], vcc
	s_cbranch_execz .LBB810_103
; %bb.102:                              ;   in Loop: Header=BB810_98 Depth=2
	global_load_dwordx2 v[64:65], v[94:95], off
.LBB810_103:                            ;   in Loop: Header=BB810_98 Depth=2
	s_or_b64 exec, exec, s[36:37]
	v_cmp_gt_u32_e32 vcc, s87, v143
	s_waitcnt vmcnt(13)
	v_pk_mov_b32 v[66:67], s[78:79], s[78:79] op_sel:[0,1]
	s_and_saveexec_b64 s[36:37], vcc
	s_cbranch_execz .LBB810_105
; %bb.104:                              ;   in Loop: Header=BB810_98 Depth=2
	global_load_dwordx2 v[66:67], v[94:95], off offset:512
.LBB810_105:                            ;   in Loop: Header=BB810_98 Depth=2
	s_or_b64 exec, exec, s[36:37]
	v_cmp_gt_u32_e32 vcc, s87, v144
	s_waitcnt vmcnt(12)
	v_pk_mov_b32 v[68:69], s[78:79], s[78:79] op_sel:[0,1]
	s_and_saveexec_b64 s[36:37], vcc
	s_cbranch_execz .LBB810_107
; %bb.106:                              ;   in Loop: Header=BB810_98 Depth=2
	global_load_dwordx2 v[68:69], v[94:95], off offset:1024
.LBB810_107:                            ;   in Loop: Header=BB810_98 Depth=2
	;; [unrolled: 9-line block ×7, first 2 shown]
	s_or_b64 exec, exec, s[36:37]
	v_cmp_gt_u32_e32 vcc, s87, v150
	s_waitcnt vmcnt(6)
	v_pk_mov_b32 v[80:81], s[78:79], s[78:79] op_sel:[0,1]
	s_and_saveexec_b64 s[36:37], vcc
	s_cbranch_execz .LBB810_119
; %bb.118:                              ;   in Loop: Header=BB810_98 Depth=2
	v_add_co_u32_e32 v80, vcc, 0x1000, v94
	v_addc_co_u32_e32 v81, vcc, 0, v95, vcc
	global_load_dwordx2 v[80:81], v[80:81], off
.LBB810_119:                            ;   in Loop: Header=BB810_98 Depth=2
	s_or_b64 exec, exec, s[36:37]
	v_cmp_gt_u32_e32 vcc, s87, v151
	s_waitcnt vmcnt(5)
	v_pk_mov_b32 v[82:83], s[78:79], s[78:79] op_sel:[0,1]
	s_and_saveexec_b64 s[36:37], vcc
	s_cbranch_execz .LBB810_121
; %bb.120:                              ;   in Loop: Header=BB810_98 Depth=2
	v_add_co_u32_e32 v82, vcc, 0x1000, v94
	v_addc_co_u32_e32 v83, vcc, 0, v95, vcc
	global_load_dwordx2 v[82:83], v[82:83], off offset:512
.LBB810_121:                            ;   in Loop: Header=BB810_98 Depth=2
	s_or_b64 exec, exec, s[36:37]
	v_cmp_gt_u32_e32 vcc, s87, v152
	s_waitcnt vmcnt(4)
	v_pk_mov_b32 v[84:85], s[78:79], s[78:79] op_sel:[0,1]
	s_and_saveexec_b64 s[36:37], vcc
	s_cbranch_execz .LBB810_123
; %bb.122:                              ;   in Loop: Header=BB810_98 Depth=2
	v_add_co_u32_e32 v84, vcc, 0x1000, v94
	v_addc_co_u32_e32 v85, vcc, 0, v95, vcc
	global_load_dwordx2 v[84:85], v[84:85], off offset:1024
.LBB810_123:                            ;   in Loop: Header=BB810_98 Depth=2
	;; [unrolled: 11-line block ×6, first 2 shown]
	s_or_b64 exec, exec, s[36:37]
	s_sub_i32 s40, s94, s88
	v_cmp_gt_u32_e64 s[36:37], s87, v157
.LBB810_132:                            ;   in Loop: Header=BB810_98 Depth=2
	v_pk_mov_b32 v[94:95], s[78:79], s[78:79] op_sel:[0,1]
	v_mov_b32_e32 v182, s87
	s_and_saveexec_b64 s[38:39], s[36:37]
	s_cbranch_execz .LBB810_134
; %bb.133:                              ;   in Loop: Header=BB810_98 Depth=2
	s_lshl_b64 s[36:37], s[88:89], 3
	v_mov_b32_e32 v5, s37
	v_add_co_u32_e32 v94, vcc, s36, v176
	v_addc_co_u32_e32 v95, vcc, v179, v5, vcc
	global_load_dwordx2 v[94:95], v[94:95], off
	v_mov_b32_e32 v182, s40
.LBB810_134:                            ;   in Loop: Header=BB810_98 Depth=2
	s_or_b64 exec, exec, s[38:39]
	s_waitcnt vmcnt(14)
	v_xor_b32_e32 v65, 0x80000000, v65
	v_lshrrev_b64 v[96:97], s33, v[64:65]
	v_add_u32_e32 v5, 0x410, v27
	v_and_b32_e32 v96, s69, v96
	ds_write2_b32 v5, v4, v4 offset1:1
	ds_write2_b32 v31, v4, v4 offset0:2 offset1:3
	ds_write_b32 v31, v4 offset:16
	v_mad_u32_u24 v5, v96, 5, v181
	v_lshl_add_u32 v183, v5, 2, v29
	v_and_b32_e32 v5, 1, v96
	v_add_co_u32_e32 v97, vcc, -1, v5
	v_addc_co_u32_e64 v98, s[36:37], 0, -1, vcc
	v_cmp_ne_u32_e32 vcc, 0, v5
	v_xor_b32_e32 v5, vcc_hi, v98
	v_and_b32_e32 v98, exec_hi, v5
	v_lshlrev_b32_e32 v5, 30, v96
	v_xor_b32_e32 v97, vcc_lo, v97
	v_cmp_gt_i64_e32 vcc, 0, v[4:5]
	v_not_b32_e32 v5, v5
	v_ashrrev_i32_e32 v5, 31, v5
	v_and_b32_e32 v97, exec_lo, v97
	v_xor_b32_e32 v99, vcc_hi, v5
	v_xor_b32_e32 v5, vcc_lo, v5
	v_and_b32_e32 v97, v97, v5
	v_lshlrev_b32_e32 v5, 29, v96
	v_cmp_gt_i64_e32 vcc, 0, v[4:5]
	v_not_b32_e32 v5, v5
	v_ashrrev_i32_e32 v5, 31, v5
	v_and_b32_e32 v98, v98, v99
	v_xor_b32_e32 v99, vcc_hi, v5
	v_xor_b32_e32 v5, vcc_lo, v5
	v_and_b32_e32 v97, v97, v5
	v_lshlrev_b32_e32 v5, 28, v96
	v_cmp_gt_i64_e32 vcc, 0, v[4:5]
	v_not_b32_e32 v5, v5
	v_ashrrev_i32_e32 v5, 31, v5
	v_and_b32_e32 v98, v98, v99
	;; [unrolled: 8-line block ×5, first 2 shown]
	v_xor_b32_e32 v99, vcc_hi, v5
	v_xor_b32_e32 v5, vcc_lo, v5
	v_and_b32_e32 v98, v98, v99
	v_and_b32_e32 v99, v97, v5
	v_lshlrev_b32_e32 v5, 24, v96
	v_cmp_gt_i64_e32 vcc, 0, v[4:5]
	v_not_b32_e32 v5, v5
	v_ashrrev_i32_e32 v5, 31, v5
	v_xor_b32_e32 v96, vcc_hi, v5
	v_xor_b32_e32 v5, vcc_lo, v5
	v_and_b32_e32 v97, v98, v96
	v_and_b32_e32 v96, v99, v5
	v_mbcnt_lo_u32_b32 v5, v96, 0
	v_mbcnt_hi_u32_b32 v184, v97, v5
	v_cmp_eq_u32_e32 vcc, 0, v184
	v_cmp_ne_u64_e64 s[36:37], 0, v[96:97]
	s_and_b64 s[38:39], s[36:37], vcc
	s_waitcnt lgkmcnt(0)
	s_barrier
	s_waitcnt lgkmcnt(0)
	; wave barrier
	s_and_saveexec_b64 s[36:37], s[38:39]
	s_cbranch_execz .LBB810_136
; %bb.135:                              ;   in Loop: Header=BB810_98 Depth=2
	v_bcnt_u32_b32 v5, v96, 0
	v_bcnt_u32_b32 v5, v97, v5
	ds_write_b32 v183, v5
.LBB810_136:                            ;   in Loop: Header=BB810_98 Depth=2
	s_or_b64 exec, exec, s[36:37]
	s_waitcnt vmcnt(13)
	v_xor_b32_e32 v67, 0x80000000, v67
	v_lshrrev_b64 v[96:97], s33, v[66:67]
	v_and_b32_e32 v96, s69, v96
	v_mul_u32_u24_e32 v5, 5, v96
	v_add_lshl_u32 v5, v5, v181, 2
	; wave barrier
	v_add_u32_e32 v186, 0x410, v5
	ds_read_b32 v185, v5 offset:1040
	v_and_b32_e32 v5, 1, v96
	v_add_co_u32_e32 v97, vcc, -1, v5
	v_addc_co_u32_e64 v98, s[36:37], 0, -1, vcc
	v_cmp_ne_u32_e32 vcc, 0, v5
	v_xor_b32_e32 v5, vcc_hi, v98
	v_and_b32_e32 v98, exec_hi, v5
	v_lshlrev_b32_e32 v5, 30, v96
	v_xor_b32_e32 v97, vcc_lo, v97
	v_cmp_gt_i64_e32 vcc, 0, v[4:5]
	v_not_b32_e32 v5, v5
	v_ashrrev_i32_e32 v5, 31, v5
	v_and_b32_e32 v97, exec_lo, v97
	v_xor_b32_e32 v99, vcc_hi, v5
	v_xor_b32_e32 v5, vcc_lo, v5
	v_and_b32_e32 v97, v97, v5
	v_lshlrev_b32_e32 v5, 29, v96
	v_cmp_gt_i64_e32 vcc, 0, v[4:5]
	v_not_b32_e32 v5, v5
	v_ashrrev_i32_e32 v5, 31, v5
	v_and_b32_e32 v98, v98, v99
	v_xor_b32_e32 v99, vcc_hi, v5
	v_xor_b32_e32 v5, vcc_lo, v5
	v_and_b32_e32 v97, v97, v5
	v_lshlrev_b32_e32 v5, 28, v96
	v_cmp_gt_i64_e32 vcc, 0, v[4:5]
	v_not_b32_e32 v5, v5
	v_ashrrev_i32_e32 v5, 31, v5
	v_and_b32_e32 v98, v98, v99
	;; [unrolled: 8-line block ×5, first 2 shown]
	v_xor_b32_e32 v99, vcc_hi, v5
	v_xor_b32_e32 v5, vcc_lo, v5
	v_and_b32_e32 v98, v98, v99
	v_and_b32_e32 v99, v97, v5
	v_lshlrev_b32_e32 v5, 24, v96
	v_cmp_gt_i64_e32 vcc, 0, v[4:5]
	v_not_b32_e32 v5, v5
	v_ashrrev_i32_e32 v5, 31, v5
	v_xor_b32_e32 v96, vcc_hi, v5
	v_xor_b32_e32 v5, vcc_lo, v5
	v_and_b32_e32 v97, v98, v96
	v_and_b32_e32 v96, v99, v5
	v_mbcnt_lo_u32_b32 v5, v96, 0
	v_mbcnt_hi_u32_b32 v187, v97, v5
	v_cmp_eq_u32_e32 vcc, 0, v187
	v_cmp_ne_u64_e64 s[36:37], 0, v[96:97]
	s_and_b64 s[38:39], s[36:37], vcc
	; wave barrier
	s_and_saveexec_b64 s[36:37], s[38:39]
	s_cbranch_execz .LBB810_138
; %bb.137:                              ;   in Loop: Header=BB810_98 Depth=2
	v_bcnt_u32_b32 v5, v96, 0
	v_bcnt_u32_b32 v5, v97, v5
	s_waitcnt lgkmcnt(0)
	v_add_u32_e32 v5, v185, v5
	ds_write_b32 v186, v5
.LBB810_138:                            ;   in Loop: Header=BB810_98 Depth=2
	s_or_b64 exec, exec, s[36:37]
	s_waitcnt vmcnt(12)
	v_xor_b32_e32 v69, 0x80000000, v69
	v_lshrrev_b64 v[96:97], s33, v[68:69]
	v_and_b32_e32 v96, s69, v96
	v_mul_u32_u24_e32 v5, 5, v96
	v_add_lshl_u32 v5, v5, v181, 2
	; wave barrier
	v_add_u32_e32 v189, 0x410, v5
	ds_read_b32 v188, v5 offset:1040
	v_and_b32_e32 v5, 1, v96
	v_add_co_u32_e32 v97, vcc, -1, v5
	v_addc_co_u32_e64 v98, s[36:37], 0, -1, vcc
	v_cmp_ne_u32_e32 vcc, 0, v5
	v_xor_b32_e32 v5, vcc_hi, v98
	v_and_b32_e32 v98, exec_hi, v5
	v_lshlrev_b32_e32 v5, 30, v96
	v_xor_b32_e32 v97, vcc_lo, v97
	v_cmp_gt_i64_e32 vcc, 0, v[4:5]
	v_not_b32_e32 v5, v5
	v_ashrrev_i32_e32 v5, 31, v5
	v_and_b32_e32 v97, exec_lo, v97
	v_xor_b32_e32 v99, vcc_hi, v5
	v_xor_b32_e32 v5, vcc_lo, v5
	v_and_b32_e32 v97, v97, v5
	v_lshlrev_b32_e32 v5, 29, v96
	v_cmp_gt_i64_e32 vcc, 0, v[4:5]
	v_not_b32_e32 v5, v5
	v_ashrrev_i32_e32 v5, 31, v5
	v_and_b32_e32 v98, v98, v99
	v_xor_b32_e32 v99, vcc_hi, v5
	v_xor_b32_e32 v5, vcc_lo, v5
	v_and_b32_e32 v97, v97, v5
	v_lshlrev_b32_e32 v5, 28, v96
	v_cmp_gt_i64_e32 vcc, 0, v[4:5]
	v_not_b32_e32 v5, v5
	v_ashrrev_i32_e32 v5, 31, v5
	v_and_b32_e32 v98, v98, v99
	;; [unrolled: 8-line block ×5, first 2 shown]
	v_xor_b32_e32 v99, vcc_hi, v5
	v_xor_b32_e32 v5, vcc_lo, v5
	v_and_b32_e32 v98, v98, v99
	v_and_b32_e32 v99, v97, v5
	v_lshlrev_b32_e32 v5, 24, v96
	v_cmp_gt_i64_e32 vcc, 0, v[4:5]
	v_not_b32_e32 v5, v5
	v_ashrrev_i32_e32 v5, 31, v5
	v_xor_b32_e32 v96, vcc_hi, v5
	v_xor_b32_e32 v5, vcc_lo, v5
	v_and_b32_e32 v97, v98, v96
	v_and_b32_e32 v96, v99, v5
	v_mbcnt_lo_u32_b32 v5, v96, 0
	v_mbcnt_hi_u32_b32 v190, v97, v5
	v_cmp_eq_u32_e32 vcc, 0, v190
	v_cmp_ne_u64_e64 s[36:37], 0, v[96:97]
	s_and_b64 s[38:39], s[36:37], vcc
	; wave barrier
	s_and_saveexec_b64 s[36:37], s[38:39]
	s_cbranch_execz .LBB810_140
; %bb.139:                              ;   in Loop: Header=BB810_98 Depth=2
	v_bcnt_u32_b32 v5, v96, 0
	v_bcnt_u32_b32 v5, v97, v5
	s_waitcnt lgkmcnt(0)
	v_add_u32_e32 v5, v188, v5
	ds_write_b32 v189, v5
.LBB810_140:                            ;   in Loop: Header=BB810_98 Depth=2
	s_or_b64 exec, exec, s[36:37]
	s_waitcnt vmcnt(11)
	v_xor_b32_e32 v71, 0x80000000, v71
	v_lshrrev_b64 v[96:97], s33, v[70:71]
	v_and_b32_e32 v96, s69, v96
	v_mul_u32_u24_e32 v5, 5, v96
	v_add_lshl_u32 v5, v5, v181, 2
	; wave barrier
	v_add_u32_e32 v192, 0x410, v5
	ds_read_b32 v191, v5 offset:1040
	v_and_b32_e32 v5, 1, v96
	v_add_co_u32_e32 v97, vcc, -1, v5
	v_addc_co_u32_e64 v98, s[36:37], 0, -1, vcc
	v_cmp_ne_u32_e32 vcc, 0, v5
	v_xor_b32_e32 v5, vcc_hi, v98
	v_and_b32_e32 v98, exec_hi, v5
	v_lshlrev_b32_e32 v5, 30, v96
	v_xor_b32_e32 v97, vcc_lo, v97
	v_cmp_gt_i64_e32 vcc, 0, v[4:5]
	v_not_b32_e32 v5, v5
	v_ashrrev_i32_e32 v5, 31, v5
	v_and_b32_e32 v97, exec_lo, v97
	v_xor_b32_e32 v99, vcc_hi, v5
	v_xor_b32_e32 v5, vcc_lo, v5
	v_and_b32_e32 v97, v97, v5
	v_lshlrev_b32_e32 v5, 29, v96
	v_cmp_gt_i64_e32 vcc, 0, v[4:5]
	v_not_b32_e32 v5, v5
	v_ashrrev_i32_e32 v5, 31, v5
	v_and_b32_e32 v98, v98, v99
	v_xor_b32_e32 v99, vcc_hi, v5
	v_xor_b32_e32 v5, vcc_lo, v5
	v_and_b32_e32 v97, v97, v5
	v_lshlrev_b32_e32 v5, 28, v96
	v_cmp_gt_i64_e32 vcc, 0, v[4:5]
	v_not_b32_e32 v5, v5
	v_ashrrev_i32_e32 v5, 31, v5
	v_and_b32_e32 v98, v98, v99
	v_xor_b32_e32 v99, vcc_hi, v5
	v_xor_b32_e32 v5, vcc_lo, v5
	v_and_b32_e32 v97, v97, v5
	v_lshlrev_b32_e32 v5, 27, v96
	v_cmp_gt_i64_e32 vcc, 0, v[4:5]
	v_not_b32_e32 v5, v5
	v_ashrrev_i32_e32 v5, 31, v5
	v_and_b32_e32 v98, v98, v99
	v_xor_b32_e32 v99, vcc_hi, v5
	v_xor_b32_e32 v5, vcc_lo, v5
	v_and_b32_e32 v97, v97, v5
	v_lshlrev_b32_e32 v5, 26, v96
	v_cmp_gt_i64_e32 vcc, 0, v[4:5]
	v_not_b32_e32 v5, v5
	v_ashrrev_i32_e32 v5, 31, v5
	v_and_b32_e32 v98, v98, v99
	v_xor_b32_e32 v99, vcc_hi, v5
	v_xor_b32_e32 v5, vcc_lo, v5
	v_and_b32_e32 v97, v97, v5
	v_lshlrev_b32_e32 v5, 25, v96
	v_cmp_gt_i64_e32 vcc, 0, v[4:5]
	v_not_b32_e32 v5, v5
	v_ashrrev_i32_e32 v5, 31, v5
	v_and_b32_e32 v98, v98, v99
	v_xor_b32_e32 v99, vcc_hi, v5
	v_xor_b32_e32 v5, vcc_lo, v5
	v_and_b32_e32 v98, v98, v99
	v_and_b32_e32 v99, v97, v5
	v_lshlrev_b32_e32 v5, 24, v96
	v_cmp_gt_i64_e32 vcc, 0, v[4:5]
	v_not_b32_e32 v5, v5
	v_ashrrev_i32_e32 v5, 31, v5
	v_xor_b32_e32 v96, vcc_hi, v5
	v_xor_b32_e32 v5, vcc_lo, v5
	v_and_b32_e32 v97, v98, v96
	v_and_b32_e32 v96, v99, v5
	v_mbcnt_lo_u32_b32 v5, v96, 0
	v_mbcnt_hi_u32_b32 v193, v97, v5
	v_cmp_eq_u32_e32 vcc, 0, v193
	v_cmp_ne_u64_e64 s[36:37], 0, v[96:97]
	s_and_b64 s[38:39], s[36:37], vcc
	; wave barrier
	s_and_saveexec_b64 s[36:37], s[38:39]
	s_cbranch_execz .LBB810_142
; %bb.141:                              ;   in Loop: Header=BB810_98 Depth=2
	v_bcnt_u32_b32 v5, v96, 0
	v_bcnt_u32_b32 v5, v97, v5
	s_waitcnt lgkmcnt(0)
	v_add_u32_e32 v5, v191, v5
	ds_write_b32 v192, v5
.LBB810_142:                            ;   in Loop: Header=BB810_98 Depth=2
	s_or_b64 exec, exec, s[36:37]
	s_waitcnt vmcnt(10)
	v_xor_b32_e32 v73, 0x80000000, v73
	v_lshrrev_b64 v[96:97], s33, v[72:73]
	v_and_b32_e32 v96, s69, v96
	v_mul_u32_u24_e32 v5, 5, v96
	v_add_lshl_u32 v5, v5, v181, 2
	; wave barrier
	v_add_u32_e32 v195, 0x410, v5
	ds_read_b32 v194, v5 offset:1040
	v_and_b32_e32 v5, 1, v96
	v_add_co_u32_e32 v97, vcc, -1, v5
	v_addc_co_u32_e64 v98, s[36:37], 0, -1, vcc
	v_cmp_ne_u32_e32 vcc, 0, v5
	v_xor_b32_e32 v5, vcc_hi, v98
	v_and_b32_e32 v98, exec_hi, v5
	v_lshlrev_b32_e32 v5, 30, v96
	v_xor_b32_e32 v97, vcc_lo, v97
	v_cmp_gt_i64_e32 vcc, 0, v[4:5]
	v_not_b32_e32 v5, v5
	v_ashrrev_i32_e32 v5, 31, v5
	v_and_b32_e32 v97, exec_lo, v97
	v_xor_b32_e32 v99, vcc_hi, v5
	v_xor_b32_e32 v5, vcc_lo, v5
	v_and_b32_e32 v97, v97, v5
	v_lshlrev_b32_e32 v5, 29, v96
	v_cmp_gt_i64_e32 vcc, 0, v[4:5]
	v_not_b32_e32 v5, v5
	v_ashrrev_i32_e32 v5, 31, v5
	v_and_b32_e32 v98, v98, v99
	v_xor_b32_e32 v99, vcc_hi, v5
	v_xor_b32_e32 v5, vcc_lo, v5
	v_and_b32_e32 v97, v97, v5
	v_lshlrev_b32_e32 v5, 28, v96
	v_cmp_gt_i64_e32 vcc, 0, v[4:5]
	v_not_b32_e32 v5, v5
	v_ashrrev_i32_e32 v5, 31, v5
	v_and_b32_e32 v98, v98, v99
	;; [unrolled: 8-line block ×5, first 2 shown]
	v_xor_b32_e32 v99, vcc_hi, v5
	v_xor_b32_e32 v5, vcc_lo, v5
	v_and_b32_e32 v98, v98, v99
	v_and_b32_e32 v99, v97, v5
	v_lshlrev_b32_e32 v5, 24, v96
	v_cmp_gt_i64_e32 vcc, 0, v[4:5]
	v_not_b32_e32 v5, v5
	v_ashrrev_i32_e32 v5, 31, v5
	v_xor_b32_e32 v96, vcc_hi, v5
	v_xor_b32_e32 v5, vcc_lo, v5
	v_and_b32_e32 v97, v98, v96
	v_and_b32_e32 v96, v99, v5
	v_mbcnt_lo_u32_b32 v5, v96, 0
	v_mbcnt_hi_u32_b32 v196, v97, v5
	v_cmp_eq_u32_e32 vcc, 0, v196
	v_cmp_ne_u64_e64 s[36:37], 0, v[96:97]
	s_and_b64 s[38:39], s[36:37], vcc
	; wave barrier
	s_and_saveexec_b64 s[36:37], s[38:39]
	s_cbranch_execz .LBB810_144
; %bb.143:                              ;   in Loop: Header=BB810_98 Depth=2
	v_bcnt_u32_b32 v5, v96, 0
	v_bcnt_u32_b32 v5, v97, v5
	s_waitcnt lgkmcnt(0)
	v_add_u32_e32 v5, v194, v5
	ds_write_b32 v195, v5
.LBB810_144:                            ;   in Loop: Header=BB810_98 Depth=2
	s_or_b64 exec, exec, s[36:37]
	s_waitcnt vmcnt(9)
	v_xor_b32_e32 v75, 0x80000000, v75
	v_lshrrev_b64 v[96:97], s33, v[74:75]
	v_and_b32_e32 v96, s69, v96
	v_mul_u32_u24_e32 v5, 5, v96
	v_add_lshl_u32 v5, v5, v181, 2
	; wave barrier
	v_add_u32_e32 v198, 0x410, v5
	ds_read_b32 v197, v5 offset:1040
	v_and_b32_e32 v5, 1, v96
	v_add_co_u32_e32 v97, vcc, -1, v5
	v_addc_co_u32_e64 v98, s[36:37], 0, -1, vcc
	v_cmp_ne_u32_e32 vcc, 0, v5
	v_xor_b32_e32 v5, vcc_hi, v98
	v_and_b32_e32 v98, exec_hi, v5
	v_lshlrev_b32_e32 v5, 30, v96
	v_xor_b32_e32 v97, vcc_lo, v97
	v_cmp_gt_i64_e32 vcc, 0, v[4:5]
	v_not_b32_e32 v5, v5
	v_ashrrev_i32_e32 v5, 31, v5
	v_and_b32_e32 v97, exec_lo, v97
	v_xor_b32_e32 v99, vcc_hi, v5
	v_xor_b32_e32 v5, vcc_lo, v5
	v_and_b32_e32 v97, v97, v5
	v_lshlrev_b32_e32 v5, 29, v96
	v_cmp_gt_i64_e32 vcc, 0, v[4:5]
	v_not_b32_e32 v5, v5
	v_ashrrev_i32_e32 v5, 31, v5
	v_and_b32_e32 v98, v98, v99
	v_xor_b32_e32 v99, vcc_hi, v5
	v_xor_b32_e32 v5, vcc_lo, v5
	v_and_b32_e32 v97, v97, v5
	v_lshlrev_b32_e32 v5, 28, v96
	v_cmp_gt_i64_e32 vcc, 0, v[4:5]
	v_not_b32_e32 v5, v5
	v_ashrrev_i32_e32 v5, 31, v5
	v_and_b32_e32 v98, v98, v99
	;; [unrolled: 8-line block ×5, first 2 shown]
	v_xor_b32_e32 v99, vcc_hi, v5
	v_xor_b32_e32 v5, vcc_lo, v5
	v_and_b32_e32 v98, v98, v99
	v_and_b32_e32 v99, v97, v5
	v_lshlrev_b32_e32 v5, 24, v96
	v_cmp_gt_i64_e32 vcc, 0, v[4:5]
	v_not_b32_e32 v5, v5
	v_ashrrev_i32_e32 v5, 31, v5
	v_xor_b32_e32 v96, vcc_hi, v5
	v_xor_b32_e32 v5, vcc_lo, v5
	v_and_b32_e32 v97, v98, v96
	v_and_b32_e32 v96, v99, v5
	v_mbcnt_lo_u32_b32 v5, v96, 0
	v_mbcnt_hi_u32_b32 v199, v97, v5
	v_cmp_eq_u32_e32 vcc, 0, v199
	v_cmp_ne_u64_e64 s[36:37], 0, v[96:97]
	s_and_b64 s[38:39], s[36:37], vcc
	; wave barrier
	s_and_saveexec_b64 s[36:37], s[38:39]
	s_cbranch_execz .LBB810_146
; %bb.145:                              ;   in Loop: Header=BB810_98 Depth=2
	v_bcnt_u32_b32 v5, v96, 0
	v_bcnt_u32_b32 v5, v97, v5
	s_waitcnt lgkmcnt(0)
	v_add_u32_e32 v5, v197, v5
	ds_write_b32 v198, v5
.LBB810_146:                            ;   in Loop: Header=BB810_98 Depth=2
	s_or_b64 exec, exec, s[36:37]
	s_waitcnt vmcnt(8)
	v_xor_b32_e32 v77, 0x80000000, v77
	v_lshrrev_b64 v[96:97], s33, v[76:77]
	v_and_b32_e32 v96, s69, v96
	v_mul_u32_u24_e32 v5, 5, v96
	v_add_lshl_u32 v5, v5, v181, 2
	; wave barrier
	v_add_u32_e32 v201, 0x410, v5
	ds_read_b32 v200, v5 offset:1040
	v_and_b32_e32 v5, 1, v96
	v_add_co_u32_e32 v97, vcc, -1, v5
	v_addc_co_u32_e64 v98, s[36:37], 0, -1, vcc
	v_cmp_ne_u32_e32 vcc, 0, v5
	v_xor_b32_e32 v5, vcc_hi, v98
	v_and_b32_e32 v98, exec_hi, v5
	v_lshlrev_b32_e32 v5, 30, v96
	v_xor_b32_e32 v97, vcc_lo, v97
	v_cmp_gt_i64_e32 vcc, 0, v[4:5]
	v_not_b32_e32 v5, v5
	v_ashrrev_i32_e32 v5, 31, v5
	v_and_b32_e32 v97, exec_lo, v97
	v_xor_b32_e32 v99, vcc_hi, v5
	v_xor_b32_e32 v5, vcc_lo, v5
	v_and_b32_e32 v97, v97, v5
	v_lshlrev_b32_e32 v5, 29, v96
	v_cmp_gt_i64_e32 vcc, 0, v[4:5]
	v_not_b32_e32 v5, v5
	v_ashrrev_i32_e32 v5, 31, v5
	v_and_b32_e32 v98, v98, v99
	v_xor_b32_e32 v99, vcc_hi, v5
	v_xor_b32_e32 v5, vcc_lo, v5
	v_and_b32_e32 v97, v97, v5
	v_lshlrev_b32_e32 v5, 28, v96
	v_cmp_gt_i64_e32 vcc, 0, v[4:5]
	v_not_b32_e32 v5, v5
	v_ashrrev_i32_e32 v5, 31, v5
	v_and_b32_e32 v98, v98, v99
	;; [unrolled: 8-line block ×5, first 2 shown]
	v_xor_b32_e32 v99, vcc_hi, v5
	v_xor_b32_e32 v5, vcc_lo, v5
	v_and_b32_e32 v98, v98, v99
	v_and_b32_e32 v99, v97, v5
	v_lshlrev_b32_e32 v5, 24, v96
	v_cmp_gt_i64_e32 vcc, 0, v[4:5]
	v_not_b32_e32 v5, v5
	v_ashrrev_i32_e32 v5, 31, v5
	v_xor_b32_e32 v96, vcc_hi, v5
	v_xor_b32_e32 v5, vcc_lo, v5
	v_and_b32_e32 v97, v98, v96
	v_and_b32_e32 v96, v99, v5
	v_mbcnt_lo_u32_b32 v5, v96, 0
	v_mbcnt_hi_u32_b32 v202, v97, v5
	v_cmp_eq_u32_e32 vcc, 0, v202
	v_cmp_ne_u64_e64 s[36:37], 0, v[96:97]
	s_and_b64 s[38:39], s[36:37], vcc
	; wave barrier
	s_and_saveexec_b64 s[36:37], s[38:39]
	s_cbranch_execz .LBB810_148
; %bb.147:                              ;   in Loop: Header=BB810_98 Depth=2
	v_bcnt_u32_b32 v5, v96, 0
	v_bcnt_u32_b32 v5, v97, v5
	s_waitcnt lgkmcnt(0)
	v_add_u32_e32 v5, v200, v5
	ds_write_b32 v201, v5
.LBB810_148:                            ;   in Loop: Header=BB810_98 Depth=2
	s_or_b64 exec, exec, s[36:37]
	s_waitcnt vmcnt(7)
	v_xor_b32_e32 v79, 0x80000000, v79
	v_lshrrev_b64 v[96:97], s33, v[78:79]
	v_and_b32_e32 v96, s69, v96
	v_mul_u32_u24_e32 v5, 5, v96
	v_add_lshl_u32 v5, v5, v181, 2
	; wave barrier
	v_add_u32_e32 v204, 0x410, v5
	ds_read_b32 v203, v5 offset:1040
	v_and_b32_e32 v5, 1, v96
	v_add_co_u32_e32 v97, vcc, -1, v5
	v_addc_co_u32_e64 v98, s[36:37], 0, -1, vcc
	v_cmp_ne_u32_e32 vcc, 0, v5
	v_xor_b32_e32 v5, vcc_hi, v98
	v_and_b32_e32 v98, exec_hi, v5
	v_lshlrev_b32_e32 v5, 30, v96
	v_xor_b32_e32 v97, vcc_lo, v97
	v_cmp_gt_i64_e32 vcc, 0, v[4:5]
	v_not_b32_e32 v5, v5
	v_ashrrev_i32_e32 v5, 31, v5
	v_and_b32_e32 v97, exec_lo, v97
	v_xor_b32_e32 v99, vcc_hi, v5
	v_xor_b32_e32 v5, vcc_lo, v5
	v_and_b32_e32 v97, v97, v5
	v_lshlrev_b32_e32 v5, 29, v96
	v_cmp_gt_i64_e32 vcc, 0, v[4:5]
	v_not_b32_e32 v5, v5
	v_ashrrev_i32_e32 v5, 31, v5
	v_and_b32_e32 v98, v98, v99
	v_xor_b32_e32 v99, vcc_hi, v5
	v_xor_b32_e32 v5, vcc_lo, v5
	v_and_b32_e32 v97, v97, v5
	v_lshlrev_b32_e32 v5, 28, v96
	v_cmp_gt_i64_e32 vcc, 0, v[4:5]
	v_not_b32_e32 v5, v5
	v_ashrrev_i32_e32 v5, 31, v5
	v_and_b32_e32 v98, v98, v99
	;; [unrolled: 8-line block ×5, first 2 shown]
	v_xor_b32_e32 v99, vcc_hi, v5
	v_xor_b32_e32 v5, vcc_lo, v5
	v_and_b32_e32 v98, v98, v99
	v_and_b32_e32 v99, v97, v5
	v_lshlrev_b32_e32 v5, 24, v96
	v_cmp_gt_i64_e32 vcc, 0, v[4:5]
	v_not_b32_e32 v5, v5
	v_ashrrev_i32_e32 v5, 31, v5
	v_xor_b32_e32 v96, vcc_hi, v5
	v_xor_b32_e32 v5, vcc_lo, v5
	v_and_b32_e32 v97, v98, v96
	v_and_b32_e32 v96, v99, v5
	v_mbcnt_lo_u32_b32 v5, v96, 0
	v_mbcnt_hi_u32_b32 v205, v97, v5
	v_cmp_eq_u32_e32 vcc, 0, v205
	v_cmp_ne_u64_e64 s[36:37], 0, v[96:97]
	s_and_b64 s[38:39], s[36:37], vcc
	; wave barrier
	s_and_saveexec_b64 s[36:37], s[38:39]
	s_cbranch_execz .LBB810_150
; %bb.149:                              ;   in Loop: Header=BB810_98 Depth=2
	v_bcnt_u32_b32 v5, v96, 0
	v_bcnt_u32_b32 v5, v97, v5
	s_waitcnt lgkmcnt(0)
	v_add_u32_e32 v5, v203, v5
	ds_write_b32 v204, v5
.LBB810_150:                            ;   in Loop: Header=BB810_98 Depth=2
	s_or_b64 exec, exec, s[36:37]
	s_waitcnt vmcnt(6)
	v_xor_b32_e32 v81, 0x80000000, v81
	v_lshrrev_b64 v[96:97], s33, v[80:81]
	v_and_b32_e32 v96, s69, v96
	v_mul_u32_u24_e32 v5, 5, v96
	v_add_lshl_u32 v5, v5, v181, 2
	; wave barrier
	v_add_u32_e32 v207, 0x410, v5
	ds_read_b32 v206, v5 offset:1040
	v_and_b32_e32 v5, 1, v96
	v_add_co_u32_e32 v97, vcc, -1, v5
	v_addc_co_u32_e64 v98, s[36:37], 0, -1, vcc
	v_cmp_ne_u32_e32 vcc, 0, v5
	v_xor_b32_e32 v5, vcc_hi, v98
	v_and_b32_e32 v98, exec_hi, v5
	v_lshlrev_b32_e32 v5, 30, v96
	v_xor_b32_e32 v97, vcc_lo, v97
	v_cmp_gt_i64_e32 vcc, 0, v[4:5]
	v_not_b32_e32 v5, v5
	v_ashrrev_i32_e32 v5, 31, v5
	v_and_b32_e32 v97, exec_lo, v97
	v_xor_b32_e32 v99, vcc_hi, v5
	v_xor_b32_e32 v5, vcc_lo, v5
	v_and_b32_e32 v97, v97, v5
	v_lshlrev_b32_e32 v5, 29, v96
	v_cmp_gt_i64_e32 vcc, 0, v[4:5]
	v_not_b32_e32 v5, v5
	v_ashrrev_i32_e32 v5, 31, v5
	v_and_b32_e32 v98, v98, v99
	v_xor_b32_e32 v99, vcc_hi, v5
	v_xor_b32_e32 v5, vcc_lo, v5
	v_and_b32_e32 v97, v97, v5
	v_lshlrev_b32_e32 v5, 28, v96
	v_cmp_gt_i64_e32 vcc, 0, v[4:5]
	v_not_b32_e32 v5, v5
	v_ashrrev_i32_e32 v5, 31, v5
	v_and_b32_e32 v98, v98, v99
	;; [unrolled: 8-line block ×5, first 2 shown]
	v_xor_b32_e32 v99, vcc_hi, v5
	v_xor_b32_e32 v5, vcc_lo, v5
	v_and_b32_e32 v98, v98, v99
	v_and_b32_e32 v99, v97, v5
	v_lshlrev_b32_e32 v5, 24, v96
	v_cmp_gt_i64_e32 vcc, 0, v[4:5]
	v_not_b32_e32 v5, v5
	v_ashrrev_i32_e32 v5, 31, v5
	v_xor_b32_e32 v96, vcc_hi, v5
	v_xor_b32_e32 v5, vcc_lo, v5
	v_and_b32_e32 v97, v98, v96
	v_and_b32_e32 v96, v99, v5
	v_mbcnt_lo_u32_b32 v5, v96, 0
	v_mbcnt_hi_u32_b32 v208, v97, v5
	v_cmp_eq_u32_e32 vcc, 0, v208
	v_cmp_ne_u64_e64 s[36:37], 0, v[96:97]
	s_and_b64 s[38:39], s[36:37], vcc
	; wave barrier
	s_and_saveexec_b64 s[36:37], s[38:39]
	s_cbranch_execz .LBB810_152
; %bb.151:                              ;   in Loop: Header=BB810_98 Depth=2
	v_bcnt_u32_b32 v5, v96, 0
	v_bcnt_u32_b32 v5, v97, v5
	s_waitcnt lgkmcnt(0)
	v_add_u32_e32 v5, v206, v5
	ds_write_b32 v207, v5
.LBB810_152:                            ;   in Loop: Header=BB810_98 Depth=2
	s_or_b64 exec, exec, s[36:37]
	s_waitcnt vmcnt(5)
	v_xor_b32_e32 v83, 0x80000000, v83
	v_lshrrev_b64 v[96:97], s33, v[82:83]
	v_and_b32_e32 v96, s69, v96
	v_mul_u32_u24_e32 v5, 5, v96
	v_add_lshl_u32 v5, v5, v181, 2
	; wave barrier
	v_add_u32_e32 v210, 0x410, v5
	ds_read_b32 v209, v5 offset:1040
	v_and_b32_e32 v5, 1, v96
	v_add_co_u32_e32 v97, vcc, -1, v5
	v_addc_co_u32_e64 v98, s[36:37], 0, -1, vcc
	v_cmp_ne_u32_e32 vcc, 0, v5
	v_xor_b32_e32 v5, vcc_hi, v98
	v_and_b32_e32 v98, exec_hi, v5
	v_lshlrev_b32_e32 v5, 30, v96
	v_xor_b32_e32 v97, vcc_lo, v97
	v_cmp_gt_i64_e32 vcc, 0, v[4:5]
	v_not_b32_e32 v5, v5
	v_ashrrev_i32_e32 v5, 31, v5
	v_and_b32_e32 v97, exec_lo, v97
	v_xor_b32_e32 v99, vcc_hi, v5
	v_xor_b32_e32 v5, vcc_lo, v5
	v_and_b32_e32 v97, v97, v5
	v_lshlrev_b32_e32 v5, 29, v96
	v_cmp_gt_i64_e32 vcc, 0, v[4:5]
	v_not_b32_e32 v5, v5
	v_ashrrev_i32_e32 v5, 31, v5
	v_and_b32_e32 v98, v98, v99
	v_xor_b32_e32 v99, vcc_hi, v5
	v_xor_b32_e32 v5, vcc_lo, v5
	v_and_b32_e32 v97, v97, v5
	v_lshlrev_b32_e32 v5, 28, v96
	v_cmp_gt_i64_e32 vcc, 0, v[4:5]
	v_not_b32_e32 v5, v5
	v_ashrrev_i32_e32 v5, 31, v5
	v_and_b32_e32 v98, v98, v99
	;; [unrolled: 8-line block ×5, first 2 shown]
	v_xor_b32_e32 v99, vcc_hi, v5
	v_xor_b32_e32 v5, vcc_lo, v5
	v_and_b32_e32 v98, v98, v99
	v_and_b32_e32 v99, v97, v5
	v_lshlrev_b32_e32 v5, 24, v96
	v_cmp_gt_i64_e32 vcc, 0, v[4:5]
	v_not_b32_e32 v5, v5
	v_ashrrev_i32_e32 v5, 31, v5
	v_xor_b32_e32 v96, vcc_hi, v5
	v_xor_b32_e32 v5, vcc_lo, v5
	v_and_b32_e32 v97, v98, v96
	v_and_b32_e32 v96, v99, v5
	v_mbcnt_lo_u32_b32 v5, v96, 0
	v_mbcnt_hi_u32_b32 v211, v97, v5
	v_cmp_eq_u32_e32 vcc, 0, v211
	v_cmp_ne_u64_e64 s[36:37], 0, v[96:97]
	s_and_b64 s[38:39], s[36:37], vcc
	; wave barrier
	s_and_saveexec_b64 s[36:37], s[38:39]
	s_cbranch_execz .LBB810_154
; %bb.153:                              ;   in Loop: Header=BB810_98 Depth=2
	v_bcnt_u32_b32 v5, v96, 0
	v_bcnt_u32_b32 v5, v97, v5
	s_waitcnt lgkmcnt(0)
	v_add_u32_e32 v5, v209, v5
	ds_write_b32 v210, v5
.LBB810_154:                            ;   in Loop: Header=BB810_98 Depth=2
	s_or_b64 exec, exec, s[36:37]
	s_waitcnt vmcnt(4)
	v_xor_b32_e32 v85, 0x80000000, v85
	v_lshrrev_b64 v[96:97], s33, v[84:85]
	v_and_b32_e32 v96, s69, v96
	v_mul_u32_u24_e32 v5, 5, v96
	v_add_lshl_u32 v5, v5, v181, 2
	; wave barrier
	v_add_u32_e32 v213, 0x410, v5
	ds_read_b32 v212, v5 offset:1040
	v_and_b32_e32 v5, 1, v96
	v_add_co_u32_e32 v97, vcc, -1, v5
	v_addc_co_u32_e64 v98, s[36:37], 0, -1, vcc
	v_cmp_ne_u32_e32 vcc, 0, v5
	v_xor_b32_e32 v5, vcc_hi, v98
	v_and_b32_e32 v98, exec_hi, v5
	v_lshlrev_b32_e32 v5, 30, v96
	v_xor_b32_e32 v97, vcc_lo, v97
	v_cmp_gt_i64_e32 vcc, 0, v[4:5]
	v_not_b32_e32 v5, v5
	v_ashrrev_i32_e32 v5, 31, v5
	v_and_b32_e32 v97, exec_lo, v97
	v_xor_b32_e32 v99, vcc_hi, v5
	v_xor_b32_e32 v5, vcc_lo, v5
	v_and_b32_e32 v97, v97, v5
	v_lshlrev_b32_e32 v5, 29, v96
	v_cmp_gt_i64_e32 vcc, 0, v[4:5]
	v_not_b32_e32 v5, v5
	v_ashrrev_i32_e32 v5, 31, v5
	v_and_b32_e32 v98, v98, v99
	v_xor_b32_e32 v99, vcc_hi, v5
	v_xor_b32_e32 v5, vcc_lo, v5
	v_and_b32_e32 v97, v97, v5
	v_lshlrev_b32_e32 v5, 28, v96
	v_cmp_gt_i64_e32 vcc, 0, v[4:5]
	v_not_b32_e32 v5, v5
	v_ashrrev_i32_e32 v5, 31, v5
	v_and_b32_e32 v98, v98, v99
	;; [unrolled: 8-line block ×5, first 2 shown]
	v_xor_b32_e32 v99, vcc_hi, v5
	v_xor_b32_e32 v5, vcc_lo, v5
	v_and_b32_e32 v98, v98, v99
	v_and_b32_e32 v99, v97, v5
	v_lshlrev_b32_e32 v5, 24, v96
	v_cmp_gt_i64_e32 vcc, 0, v[4:5]
	v_not_b32_e32 v5, v5
	v_ashrrev_i32_e32 v5, 31, v5
	v_xor_b32_e32 v96, vcc_hi, v5
	v_xor_b32_e32 v5, vcc_lo, v5
	v_and_b32_e32 v97, v98, v96
	v_and_b32_e32 v96, v99, v5
	v_mbcnt_lo_u32_b32 v5, v96, 0
	v_mbcnt_hi_u32_b32 v214, v97, v5
	v_cmp_eq_u32_e32 vcc, 0, v214
	v_cmp_ne_u64_e64 s[36:37], 0, v[96:97]
	s_and_b64 s[38:39], s[36:37], vcc
	; wave barrier
	s_and_saveexec_b64 s[36:37], s[38:39]
	s_cbranch_execz .LBB810_156
; %bb.155:                              ;   in Loop: Header=BB810_98 Depth=2
	v_bcnt_u32_b32 v5, v96, 0
	v_bcnt_u32_b32 v5, v97, v5
	s_waitcnt lgkmcnt(0)
	v_add_u32_e32 v5, v212, v5
	ds_write_b32 v213, v5
.LBB810_156:                            ;   in Loop: Header=BB810_98 Depth=2
	s_or_b64 exec, exec, s[36:37]
	s_waitcnt vmcnt(3)
	v_xor_b32_e32 v87, 0x80000000, v87
	v_lshrrev_b64 v[96:97], s33, v[86:87]
	v_and_b32_e32 v96, s69, v96
	v_mul_u32_u24_e32 v5, 5, v96
	v_add_lshl_u32 v5, v5, v181, 2
	; wave barrier
	v_add_u32_e32 v216, 0x410, v5
	ds_read_b32 v215, v5 offset:1040
	v_and_b32_e32 v5, 1, v96
	v_add_co_u32_e32 v97, vcc, -1, v5
	v_addc_co_u32_e64 v98, s[36:37], 0, -1, vcc
	v_cmp_ne_u32_e32 vcc, 0, v5
	v_xor_b32_e32 v5, vcc_hi, v98
	v_and_b32_e32 v98, exec_hi, v5
	v_lshlrev_b32_e32 v5, 30, v96
	v_xor_b32_e32 v97, vcc_lo, v97
	v_cmp_gt_i64_e32 vcc, 0, v[4:5]
	v_not_b32_e32 v5, v5
	v_ashrrev_i32_e32 v5, 31, v5
	v_and_b32_e32 v97, exec_lo, v97
	v_xor_b32_e32 v99, vcc_hi, v5
	v_xor_b32_e32 v5, vcc_lo, v5
	v_and_b32_e32 v97, v97, v5
	v_lshlrev_b32_e32 v5, 29, v96
	v_cmp_gt_i64_e32 vcc, 0, v[4:5]
	v_not_b32_e32 v5, v5
	v_ashrrev_i32_e32 v5, 31, v5
	v_and_b32_e32 v98, v98, v99
	v_xor_b32_e32 v99, vcc_hi, v5
	v_xor_b32_e32 v5, vcc_lo, v5
	v_and_b32_e32 v97, v97, v5
	v_lshlrev_b32_e32 v5, 28, v96
	v_cmp_gt_i64_e32 vcc, 0, v[4:5]
	v_not_b32_e32 v5, v5
	v_ashrrev_i32_e32 v5, 31, v5
	v_and_b32_e32 v98, v98, v99
	;; [unrolled: 8-line block ×5, first 2 shown]
	v_xor_b32_e32 v99, vcc_hi, v5
	v_xor_b32_e32 v5, vcc_lo, v5
	v_and_b32_e32 v98, v98, v99
	v_and_b32_e32 v99, v97, v5
	v_lshlrev_b32_e32 v5, 24, v96
	v_cmp_gt_i64_e32 vcc, 0, v[4:5]
	v_not_b32_e32 v5, v5
	v_ashrrev_i32_e32 v5, 31, v5
	v_xor_b32_e32 v96, vcc_hi, v5
	v_xor_b32_e32 v5, vcc_lo, v5
	v_and_b32_e32 v97, v98, v96
	v_and_b32_e32 v96, v99, v5
	v_mbcnt_lo_u32_b32 v5, v96, 0
	v_mbcnt_hi_u32_b32 v217, v97, v5
	v_cmp_eq_u32_e32 vcc, 0, v217
	v_cmp_ne_u64_e64 s[36:37], 0, v[96:97]
	s_and_b64 s[38:39], s[36:37], vcc
	; wave barrier
	s_and_saveexec_b64 s[36:37], s[38:39]
	s_cbranch_execz .LBB810_158
; %bb.157:                              ;   in Loop: Header=BB810_98 Depth=2
	v_bcnt_u32_b32 v5, v96, 0
	v_bcnt_u32_b32 v5, v97, v5
	s_waitcnt lgkmcnt(0)
	v_add_u32_e32 v5, v215, v5
	ds_write_b32 v216, v5
.LBB810_158:                            ;   in Loop: Header=BB810_98 Depth=2
	s_or_b64 exec, exec, s[36:37]
	s_waitcnt vmcnt(2)
	v_xor_b32_e32 v89, 0x80000000, v89
	v_lshrrev_b64 v[96:97], s33, v[88:89]
	v_and_b32_e32 v96, s69, v96
	v_mul_u32_u24_e32 v5, 5, v96
	v_add_lshl_u32 v5, v5, v181, 2
	; wave barrier
	v_add_u32_e32 v219, 0x410, v5
	ds_read_b32 v218, v5 offset:1040
	v_and_b32_e32 v5, 1, v96
	v_add_co_u32_e32 v97, vcc, -1, v5
	v_addc_co_u32_e64 v98, s[36:37], 0, -1, vcc
	v_cmp_ne_u32_e32 vcc, 0, v5
	v_xor_b32_e32 v5, vcc_hi, v98
	v_and_b32_e32 v98, exec_hi, v5
	v_lshlrev_b32_e32 v5, 30, v96
	v_xor_b32_e32 v97, vcc_lo, v97
	v_cmp_gt_i64_e32 vcc, 0, v[4:5]
	v_not_b32_e32 v5, v5
	v_ashrrev_i32_e32 v5, 31, v5
	v_and_b32_e32 v97, exec_lo, v97
	v_xor_b32_e32 v99, vcc_hi, v5
	v_xor_b32_e32 v5, vcc_lo, v5
	v_and_b32_e32 v97, v97, v5
	v_lshlrev_b32_e32 v5, 29, v96
	v_cmp_gt_i64_e32 vcc, 0, v[4:5]
	v_not_b32_e32 v5, v5
	v_ashrrev_i32_e32 v5, 31, v5
	v_and_b32_e32 v98, v98, v99
	v_xor_b32_e32 v99, vcc_hi, v5
	v_xor_b32_e32 v5, vcc_lo, v5
	v_and_b32_e32 v97, v97, v5
	v_lshlrev_b32_e32 v5, 28, v96
	v_cmp_gt_i64_e32 vcc, 0, v[4:5]
	v_not_b32_e32 v5, v5
	v_ashrrev_i32_e32 v5, 31, v5
	v_and_b32_e32 v98, v98, v99
	;; [unrolled: 8-line block ×5, first 2 shown]
	v_xor_b32_e32 v99, vcc_hi, v5
	v_xor_b32_e32 v5, vcc_lo, v5
	v_and_b32_e32 v98, v98, v99
	v_and_b32_e32 v99, v97, v5
	v_lshlrev_b32_e32 v5, 24, v96
	v_cmp_gt_i64_e32 vcc, 0, v[4:5]
	v_not_b32_e32 v5, v5
	v_ashrrev_i32_e32 v5, 31, v5
	v_xor_b32_e32 v96, vcc_hi, v5
	v_xor_b32_e32 v5, vcc_lo, v5
	v_and_b32_e32 v97, v98, v96
	v_and_b32_e32 v96, v99, v5
	v_mbcnt_lo_u32_b32 v5, v96, 0
	v_mbcnt_hi_u32_b32 v220, v97, v5
	v_cmp_eq_u32_e32 vcc, 0, v220
	v_cmp_ne_u64_e64 s[36:37], 0, v[96:97]
	s_and_b64 s[38:39], s[36:37], vcc
	; wave barrier
	s_and_saveexec_b64 s[36:37], s[38:39]
	s_cbranch_execz .LBB810_160
; %bb.159:                              ;   in Loop: Header=BB810_98 Depth=2
	v_bcnt_u32_b32 v5, v96, 0
	v_bcnt_u32_b32 v5, v97, v5
	s_waitcnt lgkmcnt(0)
	v_add_u32_e32 v5, v218, v5
	ds_write_b32 v219, v5
.LBB810_160:                            ;   in Loop: Header=BB810_98 Depth=2
	s_or_b64 exec, exec, s[36:37]
	s_waitcnt vmcnt(1)
	v_xor_b32_e32 v91, 0x80000000, v91
	v_lshrrev_b64 v[96:97], s33, v[90:91]
	v_and_b32_e32 v96, s69, v96
	v_mul_u32_u24_e32 v5, 5, v96
	v_add_lshl_u32 v5, v5, v181, 2
	; wave barrier
	v_add_u32_e32 v222, 0x410, v5
	ds_read_b32 v221, v5 offset:1040
	v_and_b32_e32 v5, 1, v96
	v_add_co_u32_e32 v97, vcc, -1, v5
	v_addc_co_u32_e64 v98, s[36:37], 0, -1, vcc
	v_cmp_ne_u32_e32 vcc, 0, v5
	v_xor_b32_e32 v5, vcc_hi, v98
	v_and_b32_e32 v98, exec_hi, v5
	v_lshlrev_b32_e32 v5, 30, v96
	v_xor_b32_e32 v97, vcc_lo, v97
	v_cmp_gt_i64_e32 vcc, 0, v[4:5]
	v_not_b32_e32 v5, v5
	v_ashrrev_i32_e32 v5, 31, v5
	v_and_b32_e32 v97, exec_lo, v97
	v_xor_b32_e32 v99, vcc_hi, v5
	v_xor_b32_e32 v5, vcc_lo, v5
	v_and_b32_e32 v97, v97, v5
	v_lshlrev_b32_e32 v5, 29, v96
	v_cmp_gt_i64_e32 vcc, 0, v[4:5]
	v_not_b32_e32 v5, v5
	v_ashrrev_i32_e32 v5, 31, v5
	v_and_b32_e32 v98, v98, v99
	v_xor_b32_e32 v99, vcc_hi, v5
	v_xor_b32_e32 v5, vcc_lo, v5
	v_and_b32_e32 v97, v97, v5
	v_lshlrev_b32_e32 v5, 28, v96
	v_cmp_gt_i64_e32 vcc, 0, v[4:5]
	v_not_b32_e32 v5, v5
	v_ashrrev_i32_e32 v5, 31, v5
	v_and_b32_e32 v98, v98, v99
	;; [unrolled: 8-line block ×5, first 2 shown]
	v_xor_b32_e32 v99, vcc_hi, v5
	v_xor_b32_e32 v5, vcc_lo, v5
	v_and_b32_e32 v98, v98, v99
	v_and_b32_e32 v99, v97, v5
	v_lshlrev_b32_e32 v5, 24, v96
	v_cmp_gt_i64_e32 vcc, 0, v[4:5]
	v_not_b32_e32 v5, v5
	v_ashrrev_i32_e32 v5, 31, v5
	v_xor_b32_e32 v96, vcc_hi, v5
	v_xor_b32_e32 v5, vcc_lo, v5
	v_and_b32_e32 v97, v98, v96
	v_and_b32_e32 v96, v99, v5
	v_mbcnt_lo_u32_b32 v5, v96, 0
	v_mbcnt_hi_u32_b32 v223, v97, v5
	v_cmp_eq_u32_e32 vcc, 0, v223
	v_cmp_ne_u64_e64 s[36:37], 0, v[96:97]
	s_and_b64 s[38:39], s[36:37], vcc
	; wave barrier
	s_and_saveexec_b64 s[36:37], s[38:39]
	s_cbranch_execz .LBB810_162
; %bb.161:                              ;   in Loop: Header=BB810_98 Depth=2
	v_bcnt_u32_b32 v5, v96, 0
	v_bcnt_u32_b32 v5, v97, v5
	s_waitcnt lgkmcnt(0)
	v_add_u32_e32 v5, v221, v5
	ds_write_b32 v222, v5
.LBB810_162:                            ;   in Loop: Header=BB810_98 Depth=2
	s_or_b64 exec, exec, s[36:37]
	s_waitcnt vmcnt(0)
	v_xor_b32_e32 v93, 0x80000000, v93
	v_lshrrev_b64 v[96:97], s33, v[92:93]
	v_and_b32_e32 v96, s69, v96
	v_mul_u32_u24_e32 v5, 5, v96
	v_add_lshl_u32 v5, v5, v181, 2
	; wave barrier
	v_add_u32_e32 v225, 0x410, v5
	ds_read_b32 v224, v5 offset:1040
	v_and_b32_e32 v5, 1, v96
	v_add_co_u32_e32 v97, vcc, -1, v5
	v_addc_co_u32_e64 v98, s[36:37], 0, -1, vcc
	v_cmp_ne_u32_e32 vcc, 0, v5
	v_xor_b32_e32 v5, vcc_hi, v98
	v_and_b32_e32 v98, exec_hi, v5
	v_lshlrev_b32_e32 v5, 30, v96
	v_xor_b32_e32 v97, vcc_lo, v97
	v_cmp_gt_i64_e32 vcc, 0, v[4:5]
	v_not_b32_e32 v5, v5
	v_ashrrev_i32_e32 v5, 31, v5
	v_and_b32_e32 v97, exec_lo, v97
	v_xor_b32_e32 v99, vcc_hi, v5
	v_xor_b32_e32 v5, vcc_lo, v5
	v_and_b32_e32 v97, v97, v5
	v_lshlrev_b32_e32 v5, 29, v96
	v_cmp_gt_i64_e32 vcc, 0, v[4:5]
	v_not_b32_e32 v5, v5
	v_ashrrev_i32_e32 v5, 31, v5
	v_and_b32_e32 v98, v98, v99
	v_xor_b32_e32 v99, vcc_hi, v5
	v_xor_b32_e32 v5, vcc_lo, v5
	v_and_b32_e32 v97, v97, v5
	v_lshlrev_b32_e32 v5, 28, v96
	v_cmp_gt_i64_e32 vcc, 0, v[4:5]
	v_not_b32_e32 v5, v5
	v_ashrrev_i32_e32 v5, 31, v5
	v_and_b32_e32 v98, v98, v99
	;; [unrolled: 8-line block ×5, first 2 shown]
	v_xor_b32_e32 v99, vcc_hi, v5
	v_xor_b32_e32 v5, vcc_lo, v5
	v_and_b32_e32 v98, v98, v99
	v_and_b32_e32 v99, v97, v5
	v_lshlrev_b32_e32 v5, 24, v96
	v_cmp_gt_i64_e32 vcc, 0, v[4:5]
	v_not_b32_e32 v5, v5
	v_ashrrev_i32_e32 v5, 31, v5
	v_xor_b32_e32 v96, vcc_hi, v5
	v_xor_b32_e32 v5, vcc_lo, v5
	v_and_b32_e32 v97, v98, v96
	v_and_b32_e32 v96, v99, v5
	v_mbcnt_lo_u32_b32 v5, v96, 0
	v_mbcnt_hi_u32_b32 v226, v97, v5
	v_cmp_eq_u32_e32 vcc, 0, v226
	v_cmp_ne_u64_e64 s[36:37], 0, v[96:97]
	s_and_b64 s[38:39], s[36:37], vcc
	; wave barrier
	s_and_saveexec_b64 s[36:37], s[38:39]
	s_cbranch_execz .LBB810_164
; %bb.163:                              ;   in Loop: Header=BB810_98 Depth=2
	v_bcnt_u32_b32 v5, v96, 0
	v_bcnt_u32_b32 v5, v97, v5
	s_waitcnt lgkmcnt(0)
	v_add_u32_e32 v5, v224, v5
	ds_write_b32 v225, v5
.LBB810_164:                            ;   in Loop: Header=BB810_98 Depth=2
	s_or_b64 exec, exec, s[36:37]
	v_xor_b32_e32 v95, 0x80000000, v95
	v_lshrrev_b64 v[96:97], s33, v[94:95]
	v_and_b32_e32 v96, s69, v96
	v_mul_u32_u24_e32 v5, 5, v96
	v_add_lshl_u32 v5, v5, v181, 2
	; wave barrier
	v_add_u32_e32 v228, 0x410, v5
	ds_read_b32 v227, v5 offset:1040
	v_and_b32_e32 v5, 1, v96
	v_add_co_u32_e32 v97, vcc, -1, v5
	v_addc_co_u32_e64 v98, s[36:37], 0, -1, vcc
	v_cmp_ne_u32_e32 vcc, 0, v5
	v_xor_b32_e32 v5, vcc_hi, v98
	v_and_b32_e32 v98, exec_hi, v5
	v_lshlrev_b32_e32 v5, 30, v96
	v_xor_b32_e32 v97, vcc_lo, v97
	v_cmp_gt_i64_e32 vcc, 0, v[4:5]
	v_not_b32_e32 v5, v5
	v_ashrrev_i32_e32 v5, 31, v5
	v_and_b32_e32 v97, exec_lo, v97
	v_xor_b32_e32 v99, vcc_hi, v5
	v_xor_b32_e32 v5, vcc_lo, v5
	v_and_b32_e32 v97, v97, v5
	v_lshlrev_b32_e32 v5, 29, v96
	v_cmp_gt_i64_e32 vcc, 0, v[4:5]
	v_not_b32_e32 v5, v5
	v_ashrrev_i32_e32 v5, 31, v5
	v_and_b32_e32 v98, v98, v99
	v_xor_b32_e32 v99, vcc_hi, v5
	v_xor_b32_e32 v5, vcc_lo, v5
	v_and_b32_e32 v97, v97, v5
	v_lshlrev_b32_e32 v5, 28, v96
	v_cmp_gt_i64_e32 vcc, 0, v[4:5]
	v_not_b32_e32 v5, v5
	v_ashrrev_i32_e32 v5, 31, v5
	v_and_b32_e32 v98, v98, v99
	;; [unrolled: 8-line block ×5, first 2 shown]
	v_xor_b32_e32 v99, vcc_hi, v5
	v_xor_b32_e32 v5, vcc_lo, v5
	v_and_b32_e32 v98, v98, v99
	v_and_b32_e32 v99, v97, v5
	v_lshlrev_b32_e32 v5, 24, v96
	v_cmp_gt_i64_e32 vcc, 0, v[4:5]
	v_not_b32_e32 v5, v5
	v_ashrrev_i32_e32 v5, 31, v5
	v_xor_b32_e32 v96, vcc_hi, v5
	v_xor_b32_e32 v5, vcc_lo, v5
	v_and_b32_e32 v97, v98, v96
	v_and_b32_e32 v96, v99, v5
	v_mbcnt_lo_u32_b32 v5, v96, 0
	v_mbcnt_hi_u32_b32 v229, v97, v5
	v_cmp_eq_u32_e32 vcc, 0, v229
	v_cmp_ne_u64_e64 s[36:37], 0, v[96:97]
	s_and_b64 s[38:39], s[36:37], vcc
	; wave barrier
	s_and_saveexec_b64 s[36:37], s[38:39]
	s_cbranch_execz .LBB810_166
; %bb.165:                              ;   in Loop: Header=BB810_98 Depth=2
	v_bcnt_u32_b32 v5, v96, 0
	v_bcnt_u32_b32 v5, v97, v5
	s_waitcnt lgkmcnt(0)
	v_add_u32_e32 v5, v227, v5
	ds_write_b32 v228, v5
.LBB810_166:                            ;   in Loop: Header=BB810_98 Depth=2
	s_or_b64 exec, exec, s[36:37]
	; wave barrier
	s_waitcnt lgkmcnt(0)
	s_barrier
	ds_read_b32 v5, v27 offset:1040
	ds_read2_b32 v[98:99], v31 offset0:1 offset1:2
	ds_read2_b32 v[96:97], v31 offset0:3 offset1:4
	s_waitcnt lgkmcnt(1)
	v_add3_u32 v230, v98, v5, v99
	s_waitcnt lgkmcnt(0)
	v_add3_u32 v97, v230, v96, v97
	s_nop 1
	v_mov_b32_dpp v230, v97 row_shr:1 row_mask:0xf bank_mask:0xf
	v_cndmask_b32_e64 v230, v230, 0, s[16:17]
	v_add_u32_e32 v97, v230, v97
	s_nop 1
	v_mov_b32_dpp v230, v97 row_shr:2 row_mask:0xf bank_mask:0xf
	v_cndmask_b32_e64 v230, 0, v230, s[18:19]
	v_add_u32_e32 v97, v97, v230
	;; [unrolled: 4-line block ×4, first 2 shown]
	s_nop 1
	v_mov_b32_dpp v230, v97 row_bcast:15 row_mask:0xf bank_mask:0xf
	v_cndmask_b32_e64 v230, v230, 0, s[24:25]
	v_add_u32_e32 v97, v97, v230
	s_nop 1
	v_mov_b32_dpp v230, v97 row_bcast:31 row_mask:0xf bank_mask:0xf
	v_cndmask_b32_e64 v230, 0, v230, s[26:27]
	v_add_u32_e32 v97, v97, v230
	s_and_saveexec_b64 s[36:37], s[6:7]
	s_cbranch_execz .LBB810_168
; %bb.167:                              ;   in Loop: Header=BB810_98 Depth=2
	ds_write_b32 v15, v97 offset:1024
.LBB810_168:                            ;   in Loop: Header=BB810_98 Depth=2
	s_or_b64 exec, exec, s[36:37]
	s_waitcnt lgkmcnt(0)
	s_barrier
	s_and_saveexec_b64 s[36:37], s[8:9]
	s_cbranch_execz .LBB810_170
; %bb.169:                              ;   in Loop: Header=BB810_98 Depth=2
	ds_read_b32 v230, v33 offset:1024
	s_waitcnt lgkmcnt(0)
	s_nop 0
	v_mov_b32_dpp v231, v230 row_shr:1 row_mask:0xf bank_mask:0xf
	v_cndmask_b32_e64 v231, v231, 0, s[30:31]
	v_add_u32_e32 v230, v231, v230
	s_nop 1
	v_mov_b32_dpp v231, v230 row_shr:2 row_mask:0xf bank_mask:0xf
	v_cndmask_b32_e64 v231, 0, v231, s[34:35]
	v_add_u32_e32 v230, v230, v231
	ds_write_b32 v33, v230 offset:1024
.LBB810_170:                            ;   in Loop: Header=BB810_98 Depth=2
	s_or_b64 exec, exec, s[36:37]
	v_mov_b32_e32 v230, 0
	s_waitcnt lgkmcnt(0)
	s_barrier
	s_and_saveexec_b64 s[36:37], s[10:11]
	s_cbranch_execz .LBB810_172
; %bb.171:                              ;   in Loop: Header=BB810_98 Depth=2
	ds_read_b32 v230, v15 offset:1020
.LBB810_172:                            ;   in Loop: Header=BB810_98 Depth=2
	s_or_b64 exec, exec, s[36:37]
	s_waitcnt lgkmcnt(0)
	v_add_u32_e32 v97, v230, v97
	ds_bpermute_b32 v97, v158, v97
	s_waitcnt lgkmcnt(0)
	v_cndmask_b32_e64 v97, v97, v230, s[28:29]
	v_cndmask_b32_e64 v97, v97, 0, s[12:13]
	v_add_u32_e32 v5, v97, v5
	ds_write_b32 v27, v97 offset:1040
	v_add_u32_e32 v97, v5, v98
	v_add_u32_e32 v98, v97, v99
	ds_write2_b32 v31, v5, v97 offset0:1 offset1:2
	v_add_u32_e32 v5, v98, v96
	ds_write2_b32 v31, v98, v5 offset0:3 offset1:4
	s_waitcnt lgkmcnt(0)
	s_barrier
	ds_read_b32 v97, v186
	ds_read_b32 v234, v189
	;; [unrolled: 1-line block ×16, first 2 shown]
	ds_read_b32 v183, v27 offset:1040
	v_mov_b32_e32 v5, 0x1000
	s_and_saveexec_b64 s[36:37], s[14:15]
	s_cbranch_execz .LBB810_174
; %bb.173:                              ;   in Loop: Header=BB810_98 Depth=2
	ds_read_b32 v5, v27 offset:1060
.LBB810_174:                            ;   in Loop: Header=BB810_98 Depth=2
	s_or_b64 exec, exec, s[36:37]
	s_waitcnt lgkmcnt(0)
	s_barrier
	s_and_saveexec_b64 s[36:37], s[4:5]
	s_cbranch_execz .LBB810_176
; %bb.175:                              ;   in Loop: Header=BB810_98 Depth=2
	ds_read_b32 v207, v3
	s_waitcnt lgkmcnt(0)
	v_sub_u32_e32 v183, v207, v183
	ds_write_b32 v3, v183
.LBB810_176:                            ;   in Loop: Header=BB810_98 Depth=2
	s_or_b64 exec, exec, s[36:37]
	v_add_u32_e32 v185, v187, v185
	v_add_u32_e32 v191, v193, v191
	;; [unrolled: 1-line block ×3, first 2 shown]
	v_add_lshl_u32 v96, v96, v184, 3
	v_add_lshl_u32 v97, v185, v97, 3
	v_add_u32_e32 v203, v205, v203
	v_add_u32_e32 v200, v202, v200
	;; [unrolled: 1-line block ×4, first 2 shown]
	ds_write_b64 v96, v[64:65] offset:1024
	ds_write_b64 v97, v[66:67] offset:1024
	v_add_lshl_u32 v66, v188, v234, 3
	v_add_lshl_u32 v67, v191, v233, 3
	v_add_u32_e32 v183, v229, v227
	v_add_u32_e32 v207, v226, v224
	;; [unrolled: 1-line block ×8, first 2 shown]
	ds_write_b64 v66, v[68:69] offset:1024
	ds_write_b64 v67, v[70:71] offset:1024
	v_add_lshl_u32 v68, v194, v232, 3
	v_add_lshl_u32 v69, v197, v231, 3
	;; [unrolled: 1-line block ×4, first 2 shown]
	ds_write_b64 v68, v[72:73] offset:1024
	ds_write_b64 v69, v[74:75] offset:1024
	;; [unrolled: 1-line block ×4, first 2 shown]
	v_add_lshl_u32 v72, v206, v201, 3
	v_add_lshl_u32 v73, v209, v198, 3
	;; [unrolled: 1-line block ×8, first 2 shown]
	v_cmp_lt_u32_e64 s[36:37], v2, v182
	ds_write_b64 v72, v[80:81] offset:1024
	ds_write_b64 v73, v[82:83] offset:1024
	;; [unrolled: 1-line block ×8, first 2 shown]
	s_waitcnt lgkmcnt(0)
	s_barrier
	s_and_saveexec_b64 s[38:39], s[36:37]
	s_cbranch_execz .LBB810_192
; %bb.177:                              ;   in Loop: Header=BB810_98 Depth=2
	v_add_u32_e32 v64, v33, v3
	ds_read_b64 v[64:65], v64 offset:1024
	v_mov_b32_e32 v82, s75
	s_waitcnt lgkmcnt(0)
	v_lshrrev_b64 v[80:81], s33, v[64:65]
	v_and_b32_e32 v80, s69, v80
	v_lshlrev_b32_e32 v80, 2, v80
	ds_read_b32 v80, v80
	v_mov_b32_e32 v81, v4
	v_xor_b32_e32 v65, 0x80000000, v65
	s_waitcnt lgkmcnt(0)
	v_add_u32_e32 v80, v80, v2
	v_lshlrev_b64 v[80:81], 3, v[80:81]
	v_add_co_u32_e32 v80, vcc, s74, v80
	v_addc_co_u32_e32 v81, vcc, v82, v81, vcc
	global_store_dwordx2 v[80:81], v[64:65], off
	s_or_b64 exec, exec, s[38:39]
	v_cmp_lt_u32_e64 s[38:39], v7, v182
	s_and_saveexec_b64 s[40:41], s[38:39]
	s_cbranch_execnz .LBB810_193
.LBB810_178:                            ;   in Loop: Header=BB810_98 Depth=2
	s_or_b64 exec, exec, s[40:41]
	v_cmp_lt_u32_e64 s[40:41], v6, v182
	s_and_saveexec_b64 s[42:43], s[40:41]
	s_cbranch_execz .LBB810_194
.LBB810_179:                            ;   in Loop: Header=BB810_98 Depth=2
	ds_read_b64 v[64:65], v104 offset:4096
	v_mov_b32_e32 v82, s75
	s_waitcnt lgkmcnt(0)
	v_lshrrev_b64 v[80:81], s33, v[64:65]
	v_and_b32_e32 v80, s69, v80
	v_lshlrev_b32_e32 v80, 2, v80
	ds_read_b32 v80, v80
	v_mov_b32_e32 v81, v4
	v_xor_b32_e32 v65, 0x80000000, v65
	s_waitcnt lgkmcnt(0)
	v_add_u32_e32 v80, v80, v6
	v_lshlrev_b64 v[80:81], 3, v[80:81]
	v_add_co_u32_e32 v80, vcc, s74, v80
	v_addc_co_u32_e32 v81, vcc, v82, v81, vcc
	global_store_dwordx2 v[80:81], v[64:65], off
	s_or_b64 exec, exec, s[42:43]
	v_cmp_lt_u32_e64 s[42:43], v8, v182
	s_and_saveexec_b64 s[44:45], s[42:43]
	s_cbranch_execnz .LBB810_195
.LBB810_180:                            ;   in Loop: Header=BB810_98 Depth=2
	s_or_b64 exec, exec, s[44:45]
	v_cmp_lt_u32_e64 s[44:45], v10, v182
	s_and_saveexec_b64 s[46:47], s[44:45]
	s_cbranch_execz .LBB810_196
.LBB810_181:                            ;   in Loop: Header=BB810_98 Depth=2
	ds_read_b64 v[64:65], v104 offset:8192
	v_mov_b32_e32 v82, s75
	s_waitcnt lgkmcnt(0)
	v_lshrrev_b64 v[80:81], s33, v[64:65]
	v_and_b32_e32 v80, s69, v80
	v_lshlrev_b32_e32 v80, 2, v80
	ds_read_b32 v80, v80
	v_mov_b32_e32 v81, v4
	v_xor_b32_e32 v65, 0x80000000, v65
	s_waitcnt lgkmcnt(0)
	v_add_u32_e32 v80, v80, v10
	v_lshlrev_b64 v[80:81], 3, v[80:81]
	v_add_co_u32_e32 v80, vcc, s74, v80
	v_addc_co_u32_e32 v81, vcc, v82, v81, vcc
	global_store_dwordx2 v[80:81], v[64:65], off
	s_or_b64 exec, exec, s[46:47]
	v_cmp_lt_u32_e64 s[46:47], v12, v182
	s_and_saveexec_b64 s[48:49], s[46:47]
	s_cbranch_execnz .LBB810_197
.LBB810_182:                            ;   in Loop: Header=BB810_98 Depth=2
	s_or_b64 exec, exec, s[48:49]
	v_cmp_lt_u32_e64 s[48:49], v14, v182
	s_and_saveexec_b64 s[50:51], s[48:49]
	s_cbranch_execz .LBB810_198
.LBB810_183:                            ;   in Loop: Header=BB810_98 Depth=2
	ds_read_b64 v[64:65], v104 offset:12288
	v_mov_b32_e32 v82, s75
	s_waitcnt lgkmcnt(0)
	v_lshrrev_b64 v[80:81], s33, v[64:65]
	v_and_b32_e32 v80, s69, v80
	v_lshlrev_b32_e32 v80, 2, v80
	ds_read_b32 v80, v80
	v_mov_b32_e32 v81, v4
	v_xor_b32_e32 v65, 0x80000000, v65
	s_waitcnt lgkmcnt(0)
	v_add_u32_e32 v80, v80, v14
	v_lshlrev_b64 v[80:81], 3, v[80:81]
	v_add_co_u32_e32 v80, vcc, s74, v80
	v_addc_co_u32_e32 v81, vcc, v82, v81, vcc
	global_store_dwordx2 v[80:81], v[64:65], off
	s_or_b64 exec, exec, s[50:51]
	v_cmp_lt_u32_e64 s[50:51], v16, v182
	s_and_saveexec_b64 s[52:53], s[50:51]
	s_cbranch_execnz .LBB810_199
.LBB810_184:                            ;   in Loop: Header=BB810_98 Depth=2
	s_or_b64 exec, exec, s[52:53]
	v_cmp_lt_u32_e64 s[52:53], v18, v182
	s_and_saveexec_b64 s[54:55], s[52:53]
	s_cbranch_execz .LBB810_200
.LBB810_185:                            ;   in Loop: Header=BB810_98 Depth=2
	ds_read_b64 v[64:65], v104 offset:16384
	v_mov_b32_e32 v82, s75
	s_waitcnt lgkmcnt(0)
	v_lshrrev_b64 v[80:81], s33, v[64:65]
	v_and_b32_e32 v80, s69, v80
	v_lshlrev_b32_e32 v80, 2, v80
	ds_read_b32 v80, v80
	v_mov_b32_e32 v81, v4
	v_xor_b32_e32 v65, 0x80000000, v65
	s_waitcnt lgkmcnt(0)
	v_add_u32_e32 v80, v80, v18
	v_lshlrev_b64 v[80:81], 3, v[80:81]
	v_add_co_u32_e32 v80, vcc, s74, v80
	v_addc_co_u32_e32 v81, vcc, v82, v81, vcc
	global_store_dwordx2 v[80:81], v[64:65], off
	s_or_b64 exec, exec, s[54:55]
	v_cmp_lt_u32_e64 s[54:55], v20, v182
	s_and_saveexec_b64 s[56:57], s[54:55]
	s_cbranch_execnz .LBB810_201
.LBB810_186:                            ;   in Loop: Header=BB810_98 Depth=2
	s_or_b64 exec, exec, s[56:57]
	v_cmp_lt_u32_e64 s[56:57], v22, v182
	s_and_saveexec_b64 s[58:59], s[56:57]
	s_cbranch_execz .LBB810_202
.LBB810_187:                            ;   in Loop: Header=BB810_98 Depth=2
	ds_read_b64 v[64:65], v104 offset:20480
	v_mov_b32_e32 v82, s75
	s_waitcnt lgkmcnt(0)
	v_lshrrev_b64 v[80:81], s33, v[64:65]
	v_and_b32_e32 v80, s69, v80
	v_lshlrev_b32_e32 v80, 2, v80
	ds_read_b32 v80, v80
	v_mov_b32_e32 v81, v4
	v_xor_b32_e32 v65, 0x80000000, v65
	s_waitcnt lgkmcnt(0)
	v_add_u32_e32 v80, v80, v22
	v_lshlrev_b64 v[80:81], 3, v[80:81]
	v_add_co_u32_e32 v80, vcc, s74, v80
	v_addc_co_u32_e32 v81, vcc, v82, v81, vcc
	global_store_dwordx2 v[80:81], v[64:65], off
	s_or_b64 exec, exec, s[58:59]
	v_cmp_lt_u32_e64 s[58:59], v24, v182
	s_and_saveexec_b64 s[60:61], s[58:59]
	s_cbranch_execnz .LBB810_203
.LBB810_188:                            ;   in Loop: Header=BB810_98 Depth=2
	s_or_b64 exec, exec, s[60:61]
	v_cmp_lt_u32_e64 s[60:61], v26, v182
	s_and_saveexec_b64 s[62:63], s[60:61]
	s_cbranch_execz .LBB810_204
.LBB810_189:                            ;   in Loop: Header=BB810_98 Depth=2
	ds_read_b64 v[64:65], v104 offset:24576
	v_mov_b32_e32 v82, s75
	s_waitcnt lgkmcnt(0)
	v_lshrrev_b64 v[80:81], s33, v[64:65]
	v_and_b32_e32 v80, s69, v80
	v_lshlrev_b32_e32 v80, 2, v80
	ds_read_b32 v80, v80
	v_mov_b32_e32 v81, v4
	v_xor_b32_e32 v65, 0x80000000, v65
	s_waitcnt lgkmcnt(0)
	v_add_u32_e32 v80, v80, v26
	v_lshlrev_b64 v[80:81], 3, v[80:81]
	v_add_co_u32_e32 v80, vcc, s74, v80
	v_addc_co_u32_e32 v81, vcc, v82, v81, vcc
	global_store_dwordx2 v[80:81], v[64:65], off
	s_or_b64 exec, exec, s[62:63]
	v_cmp_lt_u32_e64 s[62:63], v28, v182
	s_and_saveexec_b64 s[64:65], s[62:63]
	s_cbranch_execnz .LBB810_205
.LBB810_190:                            ;   in Loop: Header=BB810_98 Depth=2
	s_or_b64 exec, exec, s[64:65]
	v_cmp_lt_u32_e64 s[64:65], v30, v182
	s_and_saveexec_b64 s[66:67], s[64:65]
	s_cbranch_execz .LBB810_206
.LBB810_191:                            ;   in Loop: Header=BB810_98 Depth=2
	ds_read_b64 v[64:65], v104 offset:28672
	v_mov_b32_e32 v82, s75
	s_waitcnt lgkmcnt(0)
	v_lshrrev_b64 v[80:81], s33, v[64:65]
	v_and_b32_e32 v80, s69, v80
	v_lshlrev_b32_e32 v80, 2, v80
	ds_read_b32 v80, v80
	v_mov_b32_e32 v81, v4
	v_xor_b32_e32 v65, 0x80000000, v65
	s_waitcnt lgkmcnt(0)
	v_add_u32_e32 v80, v80, v30
	v_lshlrev_b64 v[80:81], 3, v[80:81]
	v_add_co_u32_e32 v80, vcc, s74, v80
	v_addc_co_u32_e32 v81, vcc, v82, v81, vcc
	global_store_dwordx2 v[80:81], v[64:65], off
	s_or_b64 exec, exec, s[66:67]
	v_cmp_lt_u32_e64 s[66:67], v32, v182
	s_and_saveexec_b64 s[92:93], s[66:67]
	s_cbranch_execnz .LBB810_207
	s_branch .LBB810_208
.LBB810_192:                            ;   in Loop: Header=BB810_98 Depth=2
	s_or_b64 exec, exec, s[38:39]
	v_cmp_lt_u32_e64 s[38:39], v7, v182
	s_and_saveexec_b64 s[40:41], s[38:39]
	s_cbranch_execz .LBB810_178
.LBB810_193:                            ;   in Loop: Header=BB810_98 Depth=2
	ds_read_b64 v[64:65], v104 offset:2048
	v_mov_b32_e32 v82, s75
	s_waitcnt lgkmcnt(0)
	v_lshrrev_b64 v[80:81], s33, v[64:65]
	v_and_b32_e32 v80, s69, v80
	v_lshlrev_b32_e32 v80, 2, v80
	ds_read_b32 v80, v80
	v_mov_b32_e32 v81, v4
	v_xor_b32_e32 v65, 0x80000000, v65
	s_waitcnt lgkmcnt(0)
	v_add_u32_e32 v80, v80, v7
	v_lshlrev_b64 v[80:81], 3, v[80:81]
	v_add_co_u32_e32 v80, vcc, s74, v80
	v_addc_co_u32_e32 v81, vcc, v82, v81, vcc
	global_store_dwordx2 v[80:81], v[64:65], off
	s_or_b64 exec, exec, s[40:41]
	v_cmp_lt_u32_e64 s[40:41], v6, v182
	s_and_saveexec_b64 s[42:43], s[40:41]
	s_cbranch_execnz .LBB810_179
.LBB810_194:                            ;   in Loop: Header=BB810_98 Depth=2
	s_or_b64 exec, exec, s[42:43]
	v_cmp_lt_u32_e64 s[42:43], v8, v182
	s_and_saveexec_b64 s[44:45], s[42:43]
	s_cbranch_execz .LBB810_180
.LBB810_195:                            ;   in Loop: Header=BB810_98 Depth=2
	ds_read_b64 v[64:65], v104 offset:6144
	v_mov_b32_e32 v82, s75
	s_waitcnt lgkmcnt(0)
	v_lshrrev_b64 v[80:81], s33, v[64:65]
	v_and_b32_e32 v80, s69, v80
	v_lshlrev_b32_e32 v80, 2, v80
	ds_read_b32 v80, v80
	v_mov_b32_e32 v81, v4
	v_xor_b32_e32 v65, 0x80000000, v65
	s_waitcnt lgkmcnt(0)
	v_add_u32_e32 v80, v80, v8
	v_lshlrev_b64 v[80:81], 3, v[80:81]
	v_add_co_u32_e32 v80, vcc, s74, v80
	v_addc_co_u32_e32 v81, vcc, v82, v81, vcc
	global_store_dwordx2 v[80:81], v[64:65], off
	s_or_b64 exec, exec, s[44:45]
	v_cmp_lt_u32_e64 s[44:45], v10, v182
	s_and_saveexec_b64 s[46:47], s[44:45]
	s_cbranch_execnz .LBB810_181
.LBB810_196:                            ;   in Loop: Header=BB810_98 Depth=2
	s_or_b64 exec, exec, s[46:47]
	v_cmp_lt_u32_e64 s[46:47], v12, v182
	s_and_saveexec_b64 s[48:49], s[46:47]
	s_cbranch_execz .LBB810_182
.LBB810_197:                            ;   in Loop: Header=BB810_98 Depth=2
	ds_read_b64 v[64:65], v104 offset:10240
	v_mov_b32_e32 v82, s75
	s_waitcnt lgkmcnt(0)
	v_lshrrev_b64 v[80:81], s33, v[64:65]
	v_and_b32_e32 v80, s69, v80
	v_lshlrev_b32_e32 v80, 2, v80
	ds_read_b32 v80, v80
	v_mov_b32_e32 v81, v4
	v_xor_b32_e32 v65, 0x80000000, v65
	s_waitcnt lgkmcnt(0)
	v_add_u32_e32 v80, v80, v12
	v_lshlrev_b64 v[80:81], 3, v[80:81]
	v_add_co_u32_e32 v80, vcc, s74, v80
	v_addc_co_u32_e32 v81, vcc, v82, v81, vcc
	global_store_dwordx2 v[80:81], v[64:65], off
	s_or_b64 exec, exec, s[48:49]
	v_cmp_lt_u32_e64 s[48:49], v14, v182
	s_and_saveexec_b64 s[50:51], s[48:49]
	s_cbranch_execnz .LBB810_183
.LBB810_198:                            ;   in Loop: Header=BB810_98 Depth=2
	s_or_b64 exec, exec, s[50:51]
	v_cmp_lt_u32_e64 s[50:51], v16, v182
	s_and_saveexec_b64 s[52:53], s[50:51]
	s_cbranch_execz .LBB810_184
.LBB810_199:                            ;   in Loop: Header=BB810_98 Depth=2
	ds_read_b64 v[64:65], v104 offset:14336
	v_mov_b32_e32 v82, s75
	s_waitcnt lgkmcnt(0)
	v_lshrrev_b64 v[80:81], s33, v[64:65]
	v_and_b32_e32 v80, s69, v80
	v_lshlrev_b32_e32 v80, 2, v80
	ds_read_b32 v80, v80
	v_mov_b32_e32 v81, v4
	v_xor_b32_e32 v65, 0x80000000, v65
	s_waitcnt lgkmcnt(0)
	v_add_u32_e32 v80, v80, v16
	v_lshlrev_b64 v[80:81], 3, v[80:81]
	v_add_co_u32_e32 v80, vcc, s74, v80
	v_addc_co_u32_e32 v81, vcc, v82, v81, vcc
	global_store_dwordx2 v[80:81], v[64:65], off
	s_or_b64 exec, exec, s[52:53]
	v_cmp_lt_u32_e64 s[52:53], v18, v182
	s_and_saveexec_b64 s[54:55], s[52:53]
	s_cbranch_execnz .LBB810_185
.LBB810_200:                            ;   in Loop: Header=BB810_98 Depth=2
	s_or_b64 exec, exec, s[54:55]
	v_cmp_lt_u32_e64 s[54:55], v20, v182
	s_and_saveexec_b64 s[56:57], s[54:55]
	s_cbranch_execz .LBB810_186
.LBB810_201:                            ;   in Loop: Header=BB810_98 Depth=2
	ds_read_b64 v[64:65], v104 offset:18432
	v_mov_b32_e32 v82, s75
	s_waitcnt lgkmcnt(0)
	v_lshrrev_b64 v[80:81], s33, v[64:65]
	v_and_b32_e32 v80, s69, v80
	v_lshlrev_b32_e32 v80, 2, v80
	ds_read_b32 v80, v80
	v_mov_b32_e32 v81, v4
	v_xor_b32_e32 v65, 0x80000000, v65
	s_waitcnt lgkmcnt(0)
	v_add_u32_e32 v80, v80, v20
	v_lshlrev_b64 v[80:81], 3, v[80:81]
	v_add_co_u32_e32 v80, vcc, s74, v80
	v_addc_co_u32_e32 v81, vcc, v82, v81, vcc
	global_store_dwordx2 v[80:81], v[64:65], off
	s_or_b64 exec, exec, s[56:57]
	v_cmp_lt_u32_e64 s[56:57], v22, v182
	s_and_saveexec_b64 s[58:59], s[56:57]
	s_cbranch_execnz .LBB810_187
.LBB810_202:                            ;   in Loop: Header=BB810_98 Depth=2
	s_or_b64 exec, exec, s[58:59]
	v_cmp_lt_u32_e64 s[58:59], v24, v182
	s_and_saveexec_b64 s[60:61], s[58:59]
	s_cbranch_execz .LBB810_188
.LBB810_203:                            ;   in Loop: Header=BB810_98 Depth=2
	ds_read_b64 v[64:65], v104 offset:22528
	v_mov_b32_e32 v82, s75
	s_waitcnt lgkmcnt(0)
	v_lshrrev_b64 v[80:81], s33, v[64:65]
	v_and_b32_e32 v80, s69, v80
	v_lshlrev_b32_e32 v80, 2, v80
	ds_read_b32 v80, v80
	v_mov_b32_e32 v81, v4
	v_xor_b32_e32 v65, 0x80000000, v65
	s_waitcnt lgkmcnt(0)
	v_add_u32_e32 v80, v80, v24
	v_lshlrev_b64 v[80:81], 3, v[80:81]
	v_add_co_u32_e32 v80, vcc, s74, v80
	v_addc_co_u32_e32 v81, vcc, v82, v81, vcc
	global_store_dwordx2 v[80:81], v[64:65], off
	s_or_b64 exec, exec, s[60:61]
	v_cmp_lt_u32_e64 s[60:61], v26, v182
	s_and_saveexec_b64 s[62:63], s[60:61]
	s_cbranch_execnz .LBB810_189
.LBB810_204:                            ;   in Loop: Header=BB810_98 Depth=2
	s_or_b64 exec, exec, s[62:63]
	v_cmp_lt_u32_e64 s[62:63], v28, v182
	s_and_saveexec_b64 s[64:65], s[62:63]
	s_cbranch_execz .LBB810_190
.LBB810_205:                            ;   in Loop: Header=BB810_98 Depth=2
	ds_read_b64 v[64:65], v104 offset:26624
	v_mov_b32_e32 v82, s75
	s_waitcnt lgkmcnt(0)
	v_lshrrev_b64 v[80:81], s33, v[64:65]
	v_and_b32_e32 v80, s69, v80
	v_lshlrev_b32_e32 v80, 2, v80
	ds_read_b32 v80, v80
	v_mov_b32_e32 v81, v4
	v_xor_b32_e32 v65, 0x80000000, v65
	s_waitcnt lgkmcnt(0)
	v_add_u32_e32 v80, v80, v28
	v_lshlrev_b64 v[80:81], 3, v[80:81]
	v_add_co_u32_e32 v80, vcc, s74, v80
	v_addc_co_u32_e32 v81, vcc, v82, v81, vcc
	global_store_dwordx2 v[80:81], v[64:65], off
	s_or_b64 exec, exec, s[64:65]
	v_cmp_lt_u32_e64 s[64:65], v30, v182
	s_and_saveexec_b64 s[66:67], s[64:65]
	s_cbranch_execnz .LBB810_191
.LBB810_206:                            ;   in Loop: Header=BB810_98 Depth=2
	s_or_b64 exec, exec, s[66:67]
	v_cmp_lt_u32_e64 s[66:67], v32, v182
	s_and_saveexec_b64 s[92:93], s[66:67]
	s_cbranch_execz .LBB810_208
.LBB810_207:                            ;   in Loop: Header=BB810_98 Depth=2
	ds_read_b64 v[64:65], v104 offset:30720
	v_mov_b32_e32 v82, s75
	s_waitcnt lgkmcnt(0)
	v_lshrrev_b64 v[80:81], s33, v[64:65]
	v_and_b32_e32 v80, s69, v80
	v_lshlrev_b32_e32 v80, 2, v80
	ds_read_b32 v80, v80
	v_mov_b32_e32 v81, v4
	v_xor_b32_e32 v65, 0x80000000, v65
	s_waitcnt lgkmcnt(0)
	v_add_u32_e32 v80, v80, v32
	v_lshlrev_b64 v[80:81], 3, v[80:81]
	v_add_co_u32_e32 v80, vcc, s74, v80
	v_addc_co_u32_e32 v81, vcc, v82, v81, vcc
	global_store_dwordx2 v[80:81], v[64:65], off
.LBB810_208:                            ;   in Loop: Header=BB810_98 Depth=2
	s_or_b64 exec, exec, s[92:93]
	s_lshl_b64 s[92:93], s[88:89], 3
	v_mov_b32_e32 v65, s93
	v_add_co_u32_e32 v64, vcc, s92, v159
	v_addc_co_u32_e32 v65, vcc, v160, v65, vcc
	v_cmp_lt_u32_e32 vcc, v142, v182
	s_and_saveexec_b64 s[92:93], vcc
	s_xor_b64 s[92:93], exec, s[92:93]
	s_cbranch_execz .LBB810_240
; %bb.209:                              ;   in Loop: Header=BB810_98 Depth=2
	global_load_dwordx2 v[62:63], v[64:65], off
	s_or_b64 exec, exec, s[92:93]
	v_cmp_lt_u32_e32 vcc, v143, v182
	s_and_saveexec_b64 s[92:93], vcc
	s_cbranch_execnz .LBB810_241
.LBB810_210:                            ;   in Loop: Header=BB810_98 Depth=2
	s_or_b64 exec, exec, s[92:93]
	v_cmp_lt_u32_e32 vcc, v144, v182
	s_and_saveexec_b64 s[92:93], vcc
	s_cbranch_execz .LBB810_242
.LBB810_211:                            ;   in Loop: Header=BB810_98 Depth=2
	global_load_dwordx2 v[56:57], v[64:65], off offset:1024
	s_or_b64 exec, exec, s[92:93]
	v_cmp_lt_u32_e32 vcc, v145, v182
	s_and_saveexec_b64 s[92:93], vcc
	s_cbranch_execnz .LBB810_243
.LBB810_212:                            ;   in Loop: Header=BB810_98 Depth=2
	s_or_b64 exec, exec, s[92:93]
	v_cmp_lt_u32_e32 vcc, v146, v182
	s_and_saveexec_b64 s[92:93], vcc
	s_cbranch_execz .LBB810_244
.LBB810_213:                            ;   in Loop: Header=BB810_98 Depth=2
	global_load_dwordx2 v[48:49], v[64:65], off offset:2048
	s_or_b64 exec, exec, s[92:93]
	v_cmp_lt_u32_e32 vcc, v147, v182
	s_and_saveexec_b64 s[92:93], vcc
	s_cbranch_execnz .LBB810_245
.LBB810_214:                            ;   in Loop: Header=BB810_98 Depth=2
	s_or_b64 exec, exec, s[92:93]
	v_cmp_lt_u32_e32 vcc, v148, v182
	s_and_saveexec_b64 s[92:93], vcc
	s_cbranch_execz .LBB810_246
.LBB810_215:                            ;   in Loop: Header=BB810_98 Depth=2
	global_load_dwordx2 v[40:41], v[64:65], off offset:3072
	s_or_b64 exec, exec, s[92:93]
	v_cmp_lt_u32_e32 vcc, v149, v182
	s_and_saveexec_b64 s[92:93], vcc
	s_cbranch_execnz .LBB810_247
.LBB810_216:                            ;   in Loop: Header=BB810_98 Depth=2
	s_or_b64 exec, exec, s[92:93]
	v_cmp_lt_u32_e32 vcc, v150, v182
	s_and_saveexec_b64 s[92:93], vcc
	s_cbranch_execz .LBB810_248
.LBB810_217:                            ;   in Loop: Header=BB810_98 Depth=2
	v_add_co_u32_e32 v58, vcc, 0x1000, v64
	v_addc_co_u32_e32 v59, vcc, 0, v65, vcc
	global_load_dwordx2 v[58:59], v[58:59], off
	s_or_b64 exec, exec, s[92:93]
	v_cmp_lt_u32_e32 vcc, v151, v182
	s_and_saveexec_b64 s[92:93], vcc
	s_cbranch_execnz .LBB810_249
.LBB810_218:                            ;   in Loop: Header=BB810_98 Depth=2
	s_or_b64 exec, exec, s[92:93]
	v_cmp_lt_u32_e32 vcc, v152, v182
	s_and_saveexec_b64 s[92:93], vcc
	s_cbranch_execz .LBB810_250
.LBB810_219:                            ;   in Loop: Header=BB810_98 Depth=2
	v_add_co_u32_e32 v50, vcc, 0x1000, v64
	v_addc_co_u32_e32 v51, vcc, 0, v65, vcc
	global_load_dwordx2 v[50:51], v[50:51], off offset:1024
	s_or_b64 exec, exec, s[92:93]
	v_cmp_lt_u32_e32 vcc, v153, v182
	s_and_saveexec_b64 s[92:93], vcc
	s_cbranch_execnz .LBB810_251
.LBB810_220:                            ;   in Loop: Header=BB810_98 Depth=2
	s_or_b64 exec, exec, s[92:93]
	v_cmp_lt_u32_e32 vcc, v154, v182
	s_and_saveexec_b64 s[92:93], vcc
	s_cbranch_execz .LBB810_252
.LBB810_221:                            ;   in Loop: Header=BB810_98 Depth=2
	v_add_co_u32_e32 v42, vcc, 0x1000, v64
	v_addc_co_u32_e32 v43, vcc, 0, v65, vcc
	global_load_dwordx2 v[42:43], v[42:43], off offset:2048
	s_or_b64 exec, exec, s[92:93]
	v_cmp_lt_u32_e32 vcc, v155, v182
	s_and_saveexec_b64 s[92:93], vcc
	s_cbranch_execnz .LBB810_253
.LBB810_222:                            ;   in Loop: Header=BB810_98 Depth=2
	s_or_b64 exec, exec, s[92:93]
	v_cmp_lt_u32_e32 vcc, v156, v182
	s_and_saveexec_b64 s[92:93], vcc
	s_cbranch_execz .LBB810_254
.LBB810_223:                            ;   in Loop: Header=BB810_98 Depth=2
	v_add_co_u32_e32 v34, vcc, 0x1000, v64
	v_addc_co_u32_e32 v35, vcc, 0, v65, vcc
	global_load_dwordx2 v[34:35], v[34:35], off offset:3072
	s_or_b64 exec, exec, s[92:93]
	v_cmp_lt_u32_e32 vcc, v157, v182
	s_and_saveexec_b64 s[92:93], vcc
	s_cbranch_execnz .LBB810_255
.LBB810_224:                            ;   in Loop: Header=BB810_98 Depth=2
	s_or_b64 exec, exec, s[92:93]
	s_and_saveexec_b64 s[92:93], s[36:37]
	s_cbranch_execz .LBB810_256
.LBB810_225:                            ;   in Loop: Header=BB810_98 Depth=2
	v_add_u32_e32 v64, v33, v3
	ds_read_b64 v[64:65], v64 offset:1024
	s_waitcnt lgkmcnt(0)
	v_lshrrev_b64 v[64:65], s33, v[64:65]
	v_and_b32_e32 v180, s69, v64
	s_or_b64 exec, exec, s[92:93]
	s_and_saveexec_b64 s[92:93], s[38:39]
	s_cbranch_execnz .LBB810_257
.LBB810_226:                            ;   in Loop: Header=BB810_98 Depth=2
	s_or_b64 exec, exec, s[92:93]
	s_and_saveexec_b64 s[92:93], s[40:41]
	s_cbranch_execz .LBB810_258
.LBB810_227:                            ;   in Loop: Header=BB810_98 Depth=2
	ds_read_b64 v[64:65], v104 offset:4096
	s_waitcnt lgkmcnt(0)
	v_lshrrev_b64 v[64:65], s33, v[64:65]
	v_and_b32_e32 v177, s69, v64
	s_or_b64 exec, exec, s[92:93]
	s_and_saveexec_b64 s[92:93], s[42:43]
	s_cbranch_execnz .LBB810_259
.LBB810_228:                            ;   in Loop: Header=BB810_98 Depth=2
	s_or_b64 exec, exec, s[92:93]
	s_and_saveexec_b64 s[92:93], s[44:45]
	s_cbranch_execz .LBB810_260
.LBB810_229:                            ;   in Loop: Header=BB810_98 Depth=2
	ds_read_b64 v[64:65], v104 offset:8192
	s_waitcnt lgkmcnt(0)
	v_lshrrev_b64 v[64:65], s33, v[64:65]
	v_and_b32_e32 v174, s69, v64
	s_or_b64 exec, exec, s[92:93]
	s_and_saveexec_b64 s[92:93], s[46:47]
	s_cbranch_execnz .LBB810_261
.LBB810_230:                            ;   in Loop: Header=BB810_98 Depth=2
	s_or_b64 exec, exec, s[92:93]
	s_and_saveexec_b64 s[92:93], s[48:49]
	s_cbranch_execz .LBB810_262
.LBB810_231:                            ;   in Loop: Header=BB810_98 Depth=2
	ds_read_b64 v[64:65], v104 offset:12288
	s_waitcnt lgkmcnt(0)
	v_lshrrev_b64 v[64:65], s33, v[64:65]
	v_and_b32_e32 v172, s69, v64
	s_or_b64 exec, exec, s[92:93]
	s_and_saveexec_b64 s[92:93], s[50:51]
	s_cbranch_execnz .LBB810_263
.LBB810_232:                            ;   in Loop: Header=BB810_98 Depth=2
	s_or_b64 exec, exec, s[92:93]
	s_and_saveexec_b64 s[92:93], s[52:53]
	s_cbranch_execz .LBB810_264
.LBB810_233:                            ;   in Loop: Header=BB810_98 Depth=2
	ds_read_b64 v[64:65], v104 offset:16384
	s_waitcnt lgkmcnt(0)
	v_lshrrev_b64 v[64:65], s33, v[64:65]
	v_and_b32_e32 v170, s69, v64
	s_or_b64 exec, exec, s[92:93]
	s_and_saveexec_b64 s[92:93], s[54:55]
	s_cbranch_execnz .LBB810_265
.LBB810_234:                            ;   in Loop: Header=BB810_98 Depth=2
	s_or_b64 exec, exec, s[92:93]
	s_and_saveexec_b64 s[92:93], s[56:57]
	s_cbranch_execz .LBB810_266
.LBB810_235:                            ;   in Loop: Header=BB810_98 Depth=2
	ds_read_b64 v[64:65], v104 offset:20480
	s_waitcnt lgkmcnt(0)
	v_lshrrev_b64 v[64:65], s33, v[64:65]
	v_and_b32_e32 v168, s69, v64
	s_or_b64 exec, exec, s[92:93]
	s_and_saveexec_b64 s[92:93], s[58:59]
	s_cbranch_execnz .LBB810_267
.LBB810_236:                            ;   in Loop: Header=BB810_98 Depth=2
	s_or_b64 exec, exec, s[92:93]
	s_and_saveexec_b64 s[92:93], s[60:61]
	s_cbranch_execz .LBB810_268
.LBB810_237:                            ;   in Loop: Header=BB810_98 Depth=2
	ds_read_b64 v[64:65], v104 offset:24576
	s_waitcnt lgkmcnt(0)
	v_lshrrev_b64 v[64:65], s33, v[64:65]
	v_and_b32_e32 v166, s69, v64
	s_or_b64 exec, exec, s[92:93]
	s_and_saveexec_b64 s[92:93], s[62:63]
	s_cbranch_execnz .LBB810_269
.LBB810_238:                            ;   in Loop: Header=BB810_98 Depth=2
	s_or_b64 exec, exec, s[92:93]
	s_and_saveexec_b64 s[92:93], s[64:65]
	s_cbranch_execz .LBB810_270
.LBB810_239:                            ;   in Loop: Header=BB810_98 Depth=2
	ds_read_b64 v[64:65], v104 offset:28672
	s_waitcnt lgkmcnt(0)
	v_lshrrev_b64 v[64:65], s33, v[64:65]
	v_and_b32_e32 v164, s69, v64
	s_or_b64 exec, exec, s[92:93]
	s_and_saveexec_b64 s[92:93], s[66:67]
	s_cbranch_execnz .LBB810_271
	s_branch .LBB810_272
.LBB810_240:                            ;   in Loop: Header=BB810_98 Depth=2
	s_or_b64 exec, exec, s[92:93]
	v_cmp_lt_u32_e32 vcc, v143, v182
	s_and_saveexec_b64 s[92:93], vcc
	s_cbranch_execz .LBB810_210
.LBB810_241:                            ;   in Loop: Header=BB810_98 Depth=2
	global_load_dwordx2 v[60:61], v[64:65], off offset:512
	s_or_b64 exec, exec, s[92:93]
	v_cmp_lt_u32_e32 vcc, v144, v182
	s_and_saveexec_b64 s[92:93], vcc
	s_cbranch_execnz .LBB810_211
.LBB810_242:                            ;   in Loop: Header=BB810_98 Depth=2
	s_or_b64 exec, exec, s[92:93]
	v_cmp_lt_u32_e32 vcc, v145, v182
	s_and_saveexec_b64 s[92:93], vcc
	s_cbranch_execz .LBB810_212
.LBB810_243:                            ;   in Loop: Header=BB810_98 Depth=2
	global_load_dwordx2 v[52:53], v[64:65], off offset:1536
	s_or_b64 exec, exec, s[92:93]
	v_cmp_lt_u32_e32 vcc, v146, v182
	s_and_saveexec_b64 s[92:93], vcc
	s_cbranch_execnz .LBB810_213
.LBB810_244:                            ;   in Loop: Header=BB810_98 Depth=2
	s_or_b64 exec, exec, s[92:93]
	v_cmp_lt_u32_e32 vcc, v147, v182
	s_and_saveexec_b64 s[92:93], vcc
	s_cbranch_execz .LBB810_214
.LBB810_245:                            ;   in Loop: Header=BB810_98 Depth=2
	global_load_dwordx2 v[44:45], v[64:65], off offset:2560
	s_or_b64 exec, exec, s[92:93]
	v_cmp_lt_u32_e32 vcc, v148, v182
	s_and_saveexec_b64 s[92:93], vcc
	s_cbranch_execnz .LBB810_215
.LBB810_246:                            ;   in Loop: Header=BB810_98 Depth=2
	s_or_b64 exec, exec, s[92:93]
	v_cmp_lt_u32_e32 vcc, v149, v182
	s_and_saveexec_b64 s[92:93], vcc
	s_cbranch_execz .LBB810_216
.LBB810_247:                            ;   in Loop: Header=BB810_98 Depth=2
	global_load_dwordx2 v[36:37], v[64:65], off offset:3584
	s_or_b64 exec, exec, s[92:93]
	v_cmp_lt_u32_e32 vcc, v150, v182
	s_and_saveexec_b64 s[92:93], vcc
	s_cbranch_execnz .LBB810_217
.LBB810_248:                            ;   in Loop: Header=BB810_98 Depth=2
	s_or_b64 exec, exec, s[92:93]
	v_cmp_lt_u32_e32 vcc, v151, v182
	s_and_saveexec_b64 s[92:93], vcc
	s_cbranch_execz .LBB810_218
.LBB810_249:                            ;   in Loop: Header=BB810_98 Depth=2
	v_add_co_u32_e32 v54, vcc, 0x1000, v64
	v_addc_co_u32_e32 v55, vcc, 0, v65, vcc
	global_load_dwordx2 v[54:55], v[54:55], off offset:512
	s_or_b64 exec, exec, s[92:93]
	v_cmp_lt_u32_e32 vcc, v152, v182
	s_and_saveexec_b64 s[92:93], vcc
	s_cbranch_execnz .LBB810_219
.LBB810_250:                            ;   in Loop: Header=BB810_98 Depth=2
	s_or_b64 exec, exec, s[92:93]
	v_cmp_lt_u32_e32 vcc, v153, v182
	s_and_saveexec_b64 s[92:93], vcc
	s_cbranch_execz .LBB810_220
.LBB810_251:                            ;   in Loop: Header=BB810_98 Depth=2
	v_add_co_u32_e32 v46, vcc, 0x1000, v64
	v_addc_co_u32_e32 v47, vcc, 0, v65, vcc
	global_load_dwordx2 v[46:47], v[46:47], off offset:1536
	s_or_b64 exec, exec, s[92:93]
	v_cmp_lt_u32_e32 vcc, v154, v182
	s_and_saveexec_b64 s[92:93], vcc
	s_cbranch_execnz .LBB810_221
.LBB810_252:                            ;   in Loop: Header=BB810_98 Depth=2
	s_or_b64 exec, exec, s[92:93]
	v_cmp_lt_u32_e32 vcc, v155, v182
	s_and_saveexec_b64 s[92:93], vcc
	s_cbranch_execz .LBB810_222
.LBB810_253:                            ;   in Loop: Header=BB810_98 Depth=2
	v_add_co_u32_e32 v38, vcc, 0x1000, v64
	v_addc_co_u32_e32 v39, vcc, 0, v65, vcc
	global_load_dwordx2 v[38:39], v[38:39], off offset:2560
	s_or_b64 exec, exec, s[92:93]
	v_cmp_lt_u32_e32 vcc, v156, v182
	s_and_saveexec_b64 s[92:93], vcc
	s_cbranch_execnz .LBB810_223
.LBB810_254:                            ;   in Loop: Header=BB810_98 Depth=2
	s_or_b64 exec, exec, s[92:93]
	v_cmp_lt_u32_e32 vcc, v157, v182
	s_and_saveexec_b64 s[92:93], vcc
	s_cbranch_execz .LBB810_224
.LBB810_255:                            ;   in Loop: Header=BB810_98 Depth=2
	v_add_co_u32_e32 v0, vcc, 0x1000, v64
	v_addc_co_u32_e32 v1, vcc, 0, v65, vcc
	global_load_dwordx2 v[0:1], v[0:1], off offset:3584
	s_or_b64 exec, exec, s[92:93]
	s_and_saveexec_b64 s[92:93], s[36:37]
	s_cbranch_execnz .LBB810_225
.LBB810_256:                            ;   in Loop: Header=BB810_98 Depth=2
	s_or_b64 exec, exec, s[92:93]
	s_and_saveexec_b64 s[92:93], s[38:39]
	s_cbranch_execz .LBB810_226
.LBB810_257:                            ;   in Loop: Header=BB810_98 Depth=2
	ds_read_b64 v[64:65], v104 offset:2048
	s_waitcnt lgkmcnt(0)
	v_lshrrev_b64 v[64:65], s33, v[64:65]
	v_and_b32_e32 v178, s69, v64
	s_or_b64 exec, exec, s[92:93]
	s_and_saveexec_b64 s[92:93], s[40:41]
	s_cbranch_execnz .LBB810_227
.LBB810_258:                            ;   in Loop: Header=BB810_98 Depth=2
	s_or_b64 exec, exec, s[92:93]
	s_and_saveexec_b64 s[92:93], s[42:43]
	s_cbranch_execz .LBB810_228
.LBB810_259:                            ;   in Loop: Header=BB810_98 Depth=2
	ds_read_b64 v[64:65], v104 offset:6144
	s_waitcnt lgkmcnt(0)
	v_lshrrev_b64 v[64:65], s33, v[64:65]
	v_and_b32_e32 v175, s69, v64
	s_or_b64 exec, exec, s[92:93]
	s_and_saveexec_b64 s[92:93], s[44:45]
	s_cbranch_execnz .LBB810_229
.LBB810_260:                            ;   in Loop: Header=BB810_98 Depth=2
	s_or_b64 exec, exec, s[92:93]
	s_and_saveexec_b64 s[92:93], s[46:47]
	s_cbranch_execz .LBB810_230
.LBB810_261:                            ;   in Loop: Header=BB810_98 Depth=2
	ds_read_b64 v[64:65], v104 offset:10240
	s_waitcnt lgkmcnt(0)
	v_lshrrev_b64 v[64:65], s33, v[64:65]
	v_and_b32_e32 v173, s69, v64
	s_or_b64 exec, exec, s[92:93]
	s_and_saveexec_b64 s[92:93], s[48:49]
	s_cbranch_execnz .LBB810_231
.LBB810_262:                            ;   in Loop: Header=BB810_98 Depth=2
	s_or_b64 exec, exec, s[92:93]
	s_and_saveexec_b64 s[92:93], s[50:51]
	s_cbranch_execz .LBB810_232
.LBB810_263:                            ;   in Loop: Header=BB810_98 Depth=2
	ds_read_b64 v[64:65], v104 offset:14336
	s_waitcnt lgkmcnt(0)
	v_lshrrev_b64 v[64:65], s33, v[64:65]
	v_and_b32_e32 v171, s69, v64
	s_or_b64 exec, exec, s[92:93]
	s_and_saveexec_b64 s[92:93], s[52:53]
	s_cbranch_execnz .LBB810_233
.LBB810_264:                            ;   in Loop: Header=BB810_98 Depth=2
	s_or_b64 exec, exec, s[92:93]
	s_and_saveexec_b64 s[92:93], s[54:55]
	s_cbranch_execz .LBB810_234
.LBB810_265:                            ;   in Loop: Header=BB810_98 Depth=2
	ds_read_b64 v[64:65], v104 offset:18432
	s_waitcnt lgkmcnt(0)
	v_lshrrev_b64 v[64:65], s33, v[64:65]
	v_and_b32_e32 v169, s69, v64
	s_or_b64 exec, exec, s[92:93]
	s_and_saveexec_b64 s[92:93], s[56:57]
	s_cbranch_execnz .LBB810_235
.LBB810_266:                            ;   in Loop: Header=BB810_98 Depth=2
	s_or_b64 exec, exec, s[92:93]
	s_and_saveexec_b64 s[92:93], s[58:59]
	s_cbranch_execz .LBB810_236
.LBB810_267:                            ;   in Loop: Header=BB810_98 Depth=2
	ds_read_b64 v[64:65], v104 offset:22528
	s_waitcnt lgkmcnt(0)
	v_lshrrev_b64 v[64:65], s33, v[64:65]
	v_and_b32_e32 v167, s69, v64
	s_or_b64 exec, exec, s[92:93]
	s_and_saveexec_b64 s[92:93], s[60:61]
	s_cbranch_execnz .LBB810_237
.LBB810_268:                            ;   in Loop: Header=BB810_98 Depth=2
	s_or_b64 exec, exec, s[92:93]
	s_and_saveexec_b64 s[92:93], s[62:63]
	s_cbranch_execz .LBB810_238
.LBB810_269:                            ;   in Loop: Header=BB810_98 Depth=2
	ds_read_b64 v[64:65], v104 offset:26624
	s_waitcnt lgkmcnt(0)
	v_lshrrev_b64 v[64:65], s33, v[64:65]
	v_and_b32_e32 v165, s69, v64
	s_or_b64 exec, exec, s[92:93]
	s_and_saveexec_b64 s[92:93], s[64:65]
	s_cbranch_execnz .LBB810_239
.LBB810_270:                            ;   in Loop: Header=BB810_98 Depth=2
	s_or_b64 exec, exec, s[92:93]
	s_and_saveexec_b64 s[92:93], s[66:67]
	s_cbranch_execz .LBB810_272
.LBB810_271:                            ;   in Loop: Header=BB810_98 Depth=2
	ds_read_b64 v[64:65], v104 offset:30720
	s_waitcnt lgkmcnt(0)
	v_lshrrev_b64 v[64:65], s33, v[64:65]
	v_and_b32_e32 v163, s69, v64
.LBB810_272:                            ;   in Loop: Header=BB810_98 Depth=2
	s_or_b64 exec, exec, s[92:93]
	v_add_u32_e32 v64, 0x400, v96
	v_add_u32_e32 v65, 0x400, v97
	v_add_u32_e32 v66, 0x400, v66
	v_add_u32_e32 v67, 0x400, v67
	v_add_u32_e32 v68, 0x400, v68
	v_add_u32_e32 v69, 0x400, v69
	v_add_u32_e32 v70, 0x400, v70
	v_add_u32_e32 v71, 0x400, v71
	v_add_u32_e32 v72, 0x400, v72
	v_add_u32_e32 v73, 0x400, v73
	v_add_u32_e32 v74, 0x400, v74
	v_add_u32_e32 v75, 0x400, v75
	v_add_u32_e32 v76, 0x400, v76
	v_add_u32_e32 v77, 0x400, v77
	v_add_u32_e32 v78, 0x400, v78
	v_add_u32_e32 v79, 0x400, v79
	s_barrier
	s_waitcnt vmcnt(0)
	ds_write_b64 v64, v[62:63]
	ds_write_b64 v65, v[60:61]
	;; [unrolled: 1-line block ×16, first 2 shown]
	s_waitcnt lgkmcnt(0)
	s_barrier
	s_and_saveexec_b64 s[92:93], s[36:37]
	s_cbranch_execz .LBB810_288
; %bb.273:                              ;   in Loop: Header=BB810_98 Depth=2
	v_lshlrev_b32_e32 v64, 2, v180
	ds_read_b32 v66, v64
	v_add_u32_e32 v64, v33, v3
	ds_read_b64 v[64:65], v64 offset:1024
	v_mov_b32_e32 v67, v4
	v_mov_b32_e32 v68, s81
	s_waitcnt lgkmcnt(1)
	v_add_u32_e32 v66, v66, v2
	v_lshlrev_b64 v[66:67], 3, v[66:67]
	v_add_co_u32_e32 v66, vcc, s80, v66
	v_addc_co_u32_e32 v67, vcc, v68, v67, vcc
	s_waitcnt lgkmcnt(0)
	global_store_dwordx2 v[66:67], v[64:65], off
	s_or_b64 exec, exec, s[92:93]
	s_and_saveexec_b64 s[36:37], s[38:39]
	s_cbranch_execnz .LBB810_289
.LBB810_274:                            ;   in Loop: Header=BB810_98 Depth=2
	s_or_b64 exec, exec, s[36:37]
	s_and_saveexec_b64 s[36:37], s[40:41]
	s_cbranch_execz .LBB810_290
.LBB810_275:                            ;   in Loop: Header=BB810_98 Depth=2
	v_lshlrev_b32_e32 v64, 2, v177
	ds_read_b32 v66, v64
	ds_read_b64 v[64:65], v104 offset:4096
	v_mov_b32_e32 v67, v4
	v_mov_b32_e32 v68, s81
	s_waitcnt lgkmcnt(1)
	v_add_u32_e32 v66, v66, v6
	v_lshlrev_b64 v[66:67], 3, v[66:67]
	v_add_co_u32_e32 v66, vcc, s80, v66
	v_addc_co_u32_e32 v67, vcc, v68, v67, vcc
	s_waitcnt lgkmcnt(0)
	global_store_dwordx2 v[66:67], v[64:65], off
	s_or_b64 exec, exec, s[36:37]
	s_and_saveexec_b64 s[36:37], s[42:43]
	s_cbranch_execnz .LBB810_291
.LBB810_276:                            ;   in Loop: Header=BB810_98 Depth=2
	s_or_b64 exec, exec, s[36:37]
	s_and_saveexec_b64 s[36:37], s[44:45]
	s_cbranch_execz .LBB810_292
.LBB810_277:                            ;   in Loop: Header=BB810_98 Depth=2
	v_lshlrev_b32_e32 v64, 2, v174
	ds_read_b32 v66, v64
	ds_read_b64 v[64:65], v104 offset:8192
	v_mov_b32_e32 v67, v4
	v_mov_b32_e32 v68, s81
	s_waitcnt lgkmcnt(1)
	v_add_u32_e32 v66, v66, v10
	v_lshlrev_b64 v[66:67], 3, v[66:67]
	v_add_co_u32_e32 v66, vcc, s80, v66
	v_addc_co_u32_e32 v67, vcc, v68, v67, vcc
	s_waitcnt lgkmcnt(0)
	global_store_dwordx2 v[66:67], v[64:65], off
	s_or_b64 exec, exec, s[36:37]
	s_and_saveexec_b64 s[36:37], s[46:47]
	s_cbranch_execnz .LBB810_293
.LBB810_278:                            ;   in Loop: Header=BB810_98 Depth=2
	s_or_b64 exec, exec, s[36:37]
	s_and_saveexec_b64 s[36:37], s[48:49]
	s_cbranch_execz .LBB810_294
.LBB810_279:                            ;   in Loop: Header=BB810_98 Depth=2
	v_lshlrev_b32_e32 v64, 2, v172
	ds_read_b32 v66, v64
	ds_read_b64 v[64:65], v104 offset:12288
	v_mov_b32_e32 v67, v4
	v_mov_b32_e32 v68, s81
	s_waitcnt lgkmcnt(1)
	v_add_u32_e32 v66, v66, v14
	v_lshlrev_b64 v[66:67], 3, v[66:67]
	v_add_co_u32_e32 v66, vcc, s80, v66
	v_addc_co_u32_e32 v67, vcc, v68, v67, vcc
	s_waitcnt lgkmcnt(0)
	global_store_dwordx2 v[66:67], v[64:65], off
	s_or_b64 exec, exec, s[36:37]
	s_and_saveexec_b64 s[36:37], s[50:51]
	s_cbranch_execnz .LBB810_295
.LBB810_280:                            ;   in Loop: Header=BB810_98 Depth=2
	s_or_b64 exec, exec, s[36:37]
	s_and_saveexec_b64 s[36:37], s[52:53]
	s_cbranch_execz .LBB810_296
.LBB810_281:                            ;   in Loop: Header=BB810_98 Depth=2
	v_lshlrev_b32_e32 v64, 2, v170
	ds_read_b32 v66, v64
	ds_read_b64 v[64:65], v104 offset:16384
	v_mov_b32_e32 v67, v4
	v_mov_b32_e32 v68, s81
	s_waitcnt lgkmcnt(1)
	v_add_u32_e32 v66, v66, v18
	v_lshlrev_b64 v[66:67], 3, v[66:67]
	v_add_co_u32_e32 v66, vcc, s80, v66
	v_addc_co_u32_e32 v67, vcc, v68, v67, vcc
	s_waitcnt lgkmcnt(0)
	global_store_dwordx2 v[66:67], v[64:65], off
	s_or_b64 exec, exec, s[36:37]
	s_and_saveexec_b64 s[36:37], s[54:55]
	s_cbranch_execnz .LBB810_297
.LBB810_282:                            ;   in Loop: Header=BB810_98 Depth=2
	s_or_b64 exec, exec, s[36:37]
	s_and_saveexec_b64 s[36:37], s[56:57]
	s_cbranch_execz .LBB810_298
.LBB810_283:                            ;   in Loop: Header=BB810_98 Depth=2
	v_lshlrev_b32_e32 v64, 2, v168
	ds_read_b32 v66, v64
	ds_read_b64 v[64:65], v104 offset:20480
	v_mov_b32_e32 v67, v4
	v_mov_b32_e32 v68, s81
	s_waitcnt lgkmcnt(1)
	v_add_u32_e32 v66, v66, v22
	v_lshlrev_b64 v[66:67], 3, v[66:67]
	v_add_co_u32_e32 v66, vcc, s80, v66
	v_addc_co_u32_e32 v67, vcc, v68, v67, vcc
	s_waitcnt lgkmcnt(0)
	global_store_dwordx2 v[66:67], v[64:65], off
	s_or_b64 exec, exec, s[36:37]
	s_and_saveexec_b64 s[36:37], s[58:59]
	s_cbranch_execnz .LBB810_299
.LBB810_284:                            ;   in Loop: Header=BB810_98 Depth=2
	s_or_b64 exec, exec, s[36:37]
	s_and_saveexec_b64 s[36:37], s[60:61]
	s_cbranch_execz .LBB810_300
.LBB810_285:                            ;   in Loop: Header=BB810_98 Depth=2
	v_lshlrev_b32_e32 v64, 2, v166
	ds_read_b32 v66, v64
	ds_read_b64 v[64:65], v104 offset:24576
	v_mov_b32_e32 v67, v4
	v_mov_b32_e32 v68, s81
	s_waitcnt lgkmcnt(1)
	v_add_u32_e32 v66, v66, v26
	v_lshlrev_b64 v[66:67], 3, v[66:67]
	v_add_co_u32_e32 v66, vcc, s80, v66
	v_addc_co_u32_e32 v67, vcc, v68, v67, vcc
	s_waitcnt lgkmcnt(0)
	global_store_dwordx2 v[66:67], v[64:65], off
	s_or_b64 exec, exec, s[36:37]
	s_and_saveexec_b64 s[36:37], s[62:63]
	s_cbranch_execnz .LBB810_301
.LBB810_286:                            ;   in Loop: Header=BB810_98 Depth=2
	s_or_b64 exec, exec, s[36:37]
	s_and_saveexec_b64 s[36:37], s[64:65]
	s_cbranch_execz .LBB810_302
.LBB810_287:                            ;   in Loop: Header=BB810_98 Depth=2
	v_lshlrev_b32_e32 v64, 2, v164
	ds_read_b32 v66, v64
	ds_read_b64 v[64:65], v104 offset:28672
	v_mov_b32_e32 v67, v4
	v_mov_b32_e32 v68, s81
	s_waitcnt lgkmcnt(1)
	v_add_u32_e32 v66, v66, v30
	v_lshlrev_b64 v[66:67], 3, v[66:67]
	v_add_co_u32_e32 v66, vcc, s80, v66
	v_addc_co_u32_e32 v67, vcc, v68, v67, vcc
	s_waitcnt lgkmcnt(0)
	global_store_dwordx2 v[66:67], v[64:65], off
	s_or_b64 exec, exec, s[36:37]
	s_and_saveexec_b64 s[36:37], s[66:67]
	s_cbranch_execnz .LBB810_303
	s_branch .LBB810_304
.LBB810_288:                            ;   in Loop: Header=BB810_98 Depth=2
	s_or_b64 exec, exec, s[92:93]
	s_and_saveexec_b64 s[36:37], s[38:39]
	s_cbranch_execz .LBB810_274
.LBB810_289:                            ;   in Loop: Header=BB810_98 Depth=2
	v_lshlrev_b32_e32 v64, 2, v178
	ds_read_b32 v66, v64
	ds_read_b64 v[64:65], v104 offset:2048
	v_mov_b32_e32 v67, v4
	v_mov_b32_e32 v68, s81
	s_waitcnt lgkmcnt(1)
	v_add_u32_e32 v66, v66, v7
	v_lshlrev_b64 v[66:67], 3, v[66:67]
	v_add_co_u32_e32 v66, vcc, s80, v66
	v_addc_co_u32_e32 v67, vcc, v68, v67, vcc
	s_waitcnt lgkmcnt(0)
	global_store_dwordx2 v[66:67], v[64:65], off
	s_or_b64 exec, exec, s[36:37]
	s_and_saveexec_b64 s[36:37], s[40:41]
	s_cbranch_execnz .LBB810_275
.LBB810_290:                            ;   in Loop: Header=BB810_98 Depth=2
	s_or_b64 exec, exec, s[36:37]
	s_and_saveexec_b64 s[36:37], s[42:43]
	s_cbranch_execz .LBB810_276
.LBB810_291:                            ;   in Loop: Header=BB810_98 Depth=2
	v_lshlrev_b32_e32 v64, 2, v175
	ds_read_b32 v66, v64
	ds_read_b64 v[64:65], v104 offset:6144
	v_mov_b32_e32 v67, v4
	v_mov_b32_e32 v68, s81
	s_waitcnt lgkmcnt(1)
	v_add_u32_e32 v66, v66, v8
	v_lshlrev_b64 v[66:67], 3, v[66:67]
	v_add_co_u32_e32 v66, vcc, s80, v66
	v_addc_co_u32_e32 v67, vcc, v68, v67, vcc
	s_waitcnt lgkmcnt(0)
	global_store_dwordx2 v[66:67], v[64:65], off
	s_or_b64 exec, exec, s[36:37]
	s_and_saveexec_b64 s[36:37], s[44:45]
	s_cbranch_execnz .LBB810_277
.LBB810_292:                            ;   in Loop: Header=BB810_98 Depth=2
	s_or_b64 exec, exec, s[36:37]
	s_and_saveexec_b64 s[36:37], s[46:47]
	s_cbranch_execz .LBB810_278
.LBB810_293:                            ;   in Loop: Header=BB810_98 Depth=2
	v_lshlrev_b32_e32 v64, 2, v173
	ds_read_b32 v66, v64
	ds_read_b64 v[64:65], v104 offset:10240
	v_mov_b32_e32 v67, v4
	v_mov_b32_e32 v68, s81
	s_waitcnt lgkmcnt(1)
	v_add_u32_e32 v66, v66, v12
	v_lshlrev_b64 v[66:67], 3, v[66:67]
	v_add_co_u32_e32 v66, vcc, s80, v66
	v_addc_co_u32_e32 v67, vcc, v68, v67, vcc
	s_waitcnt lgkmcnt(0)
	global_store_dwordx2 v[66:67], v[64:65], off
	s_or_b64 exec, exec, s[36:37]
	s_and_saveexec_b64 s[36:37], s[48:49]
	s_cbranch_execnz .LBB810_279
.LBB810_294:                            ;   in Loop: Header=BB810_98 Depth=2
	s_or_b64 exec, exec, s[36:37]
	s_and_saveexec_b64 s[36:37], s[50:51]
	s_cbranch_execz .LBB810_280
.LBB810_295:                            ;   in Loop: Header=BB810_98 Depth=2
	v_lshlrev_b32_e32 v64, 2, v171
	ds_read_b32 v66, v64
	ds_read_b64 v[64:65], v104 offset:14336
	v_mov_b32_e32 v67, v4
	v_mov_b32_e32 v68, s81
	s_waitcnt lgkmcnt(1)
	v_add_u32_e32 v66, v66, v16
	v_lshlrev_b64 v[66:67], 3, v[66:67]
	v_add_co_u32_e32 v66, vcc, s80, v66
	v_addc_co_u32_e32 v67, vcc, v68, v67, vcc
	s_waitcnt lgkmcnt(0)
	global_store_dwordx2 v[66:67], v[64:65], off
	s_or_b64 exec, exec, s[36:37]
	s_and_saveexec_b64 s[36:37], s[52:53]
	s_cbranch_execnz .LBB810_281
.LBB810_296:                            ;   in Loop: Header=BB810_98 Depth=2
	s_or_b64 exec, exec, s[36:37]
	s_and_saveexec_b64 s[36:37], s[54:55]
	s_cbranch_execz .LBB810_282
.LBB810_297:                            ;   in Loop: Header=BB810_98 Depth=2
	v_lshlrev_b32_e32 v64, 2, v169
	ds_read_b32 v66, v64
	ds_read_b64 v[64:65], v104 offset:18432
	v_mov_b32_e32 v67, v4
	v_mov_b32_e32 v68, s81
	s_waitcnt lgkmcnt(1)
	v_add_u32_e32 v66, v66, v20
	v_lshlrev_b64 v[66:67], 3, v[66:67]
	v_add_co_u32_e32 v66, vcc, s80, v66
	v_addc_co_u32_e32 v67, vcc, v68, v67, vcc
	s_waitcnt lgkmcnt(0)
	global_store_dwordx2 v[66:67], v[64:65], off
	s_or_b64 exec, exec, s[36:37]
	s_and_saveexec_b64 s[36:37], s[56:57]
	s_cbranch_execnz .LBB810_283
.LBB810_298:                            ;   in Loop: Header=BB810_98 Depth=2
	s_or_b64 exec, exec, s[36:37]
	s_and_saveexec_b64 s[36:37], s[58:59]
	s_cbranch_execz .LBB810_284
.LBB810_299:                            ;   in Loop: Header=BB810_98 Depth=2
	v_lshlrev_b32_e32 v64, 2, v167
	ds_read_b32 v66, v64
	ds_read_b64 v[64:65], v104 offset:22528
	v_mov_b32_e32 v67, v4
	v_mov_b32_e32 v68, s81
	s_waitcnt lgkmcnt(1)
	v_add_u32_e32 v66, v66, v24
	v_lshlrev_b64 v[66:67], 3, v[66:67]
	v_add_co_u32_e32 v66, vcc, s80, v66
	v_addc_co_u32_e32 v67, vcc, v68, v67, vcc
	s_waitcnt lgkmcnt(0)
	global_store_dwordx2 v[66:67], v[64:65], off
	s_or_b64 exec, exec, s[36:37]
	s_and_saveexec_b64 s[36:37], s[60:61]
	s_cbranch_execnz .LBB810_285
.LBB810_300:                            ;   in Loop: Header=BB810_98 Depth=2
	s_or_b64 exec, exec, s[36:37]
	s_and_saveexec_b64 s[36:37], s[62:63]
	s_cbranch_execz .LBB810_286
.LBB810_301:                            ;   in Loop: Header=BB810_98 Depth=2
	v_lshlrev_b32_e32 v64, 2, v165
	ds_read_b32 v66, v64
	ds_read_b64 v[64:65], v104 offset:26624
	v_mov_b32_e32 v67, v4
	v_mov_b32_e32 v68, s81
	s_waitcnt lgkmcnt(1)
	v_add_u32_e32 v66, v66, v28
	v_lshlrev_b64 v[66:67], 3, v[66:67]
	v_add_co_u32_e32 v66, vcc, s80, v66
	v_addc_co_u32_e32 v67, vcc, v68, v67, vcc
	s_waitcnt lgkmcnt(0)
	global_store_dwordx2 v[66:67], v[64:65], off
	s_or_b64 exec, exec, s[36:37]
	s_and_saveexec_b64 s[36:37], s[64:65]
	s_cbranch_execnz .LBB810_287
.LBB810_302:                            ;   in Loop: Header=BB810_98 Depth=2
	s_or_b64 exec, exec, s[36:37]
	s_and_saveexec_b64 s[36:37], s[66:67]
	s_cbranch_execz .LBB810_304
.LBB810_303:                            ;   in Loop: Header=BB810_98 Depth=2
	v_lshlrev_b32_e32 v64, 2, v163
	ds_read_b32 v66, v64
	ds_read_b64 v[64:65], v104 offset:30720
	v_mov_b32_e32 v67, v4
	v_mov_b32_e32 v68, s81
	s_waitcnt lgkmcnt(1)
	v_add_u32_e32 v66, v66, v32
	v_lshlrev_b64 v[66:67], 3, v[66:67]
	v_add_co_u32_e32 v66, vcc, s80, v66
	v_addc_co_u32_e32 v67, vcc, v68, v67, vcc
	s_waitcnt lgkmcnt(0)
	global_store_dwordx2 v[66:67], v[64:65], off
.LBB810_304:                            ;   in Loop: Header=BB810_98 Depth=2
	s_or_b64 exec, exec, s[36:37]
	s_barrier
	s_and_saveexec_b64 s[36:37], s[4:5]
	s_cbranch_execz .LBB810_97
; %bb.305:                              ;   in Loop: Header=BB810_98 Depth=2
	ds_read_b32 v64, v3
	s_waitcnt lgkmcnt(0)
	v_add_u32_e32 v5, v64, v5
	ds_write_b32 v3, v5
	s_branch .LBB810_97
.LBB810_306:                            ;   in Loop: Header=BB810_12 Depth=1
	s_waitcnt lgkmcnt(0)
	s_barrier
	s_mov_b64 s[16:17], 0
	v_readlane_b32 s50, v235, 2
.LBB810_307:                            ;   in Loop: Header=BB810_12 Depth=1
	s_and_b64 vcc, exec, s[16:17]
	s_cbranch_vccz .LBB810_601
; %bb.308:                              ;   in Loop: Header=BB810_12 Depth=1
	s_mov_b32 s22, s85
	s_mov_b32 s88, s50
	s_barrier
	s_waitcnt lgkmcnt(0)
                                        ; implicit-def: $vgpr62_vgpr63
                                        ; implicit-def: $vgpr0_vgpr1
                                        ; implicit-def: $vgpr34_vgpr35
                                        ; implicit-def: $vgpr36_vgpr37
                                        ; implicit-def: $vgpr38_vgpr39
                                        ; implicit-def: $vgpr40_vgpr41
                                        ; implicit-def: $vgpr42_vgpr43
                                        ; implicit-def: $vgpr44_vgpr45
                                        ; implicit-def: $vgpr46_vgpr47
                                        ; implicit-def: $vgpr48_vgpr49
                                        ; implicit-def: $vgpr50_vgpr51
                                        ; implicit-def: $vgpr52_vgpr53
                                        ; implicit-def: $vgpr54_vgpr55
                                        ; implicit-def: $vgpr56_vgpr57
                                        ; implicit-def: $vgpr58_vgpr59
                                        ; implicit-def: $vgpr60_vgpr61
	s_branch .LBB810_310
.LBB810_309:                            ;   in Loop: Header=BB810_310 Depth=2
	s_or_b64 exec, exec, s[16:17]
	s_addk_i32 s22, 0xf000
	s_cmp_ge_u32 s23, s94
	s_mov_b32 s88, s23
	s_cbranch_scc1 .LBB810_380
.LBB810_310:                            ;   Parent Loop BB810_12 Depth=1
                                        ; =>  This Inner Loop Header: Depth=2
	s_add_i32 s23, s88, 0x1000
	s_cmp_gt_u32 s23, s94
	s_cbranch_scc1 .LBB810_313
; %bb.311:                              ;   in Loop: Header=BB810_310 Depth=2
	s_lshl_b64 s[16:17], s[88:89], 3
	v_mov_b32_e32 v5, s17
	v_add_co_u32_e32 v64, vcc, s16, v105
	v_addc_co_u32_e32 v65, vcc, v106, v5, vcc
	s_waitcnt vmcnt(11)
	v_add_co_u32_e32 v72, vcc, 0x1000, v64
	v_addc_co_u32_e32 v73, vcc, 0, v65, vcc
	s_waitcnt vmcnt(5)
	;; [unrolled: 3-line block ×3, first 2 shown]
	v_add_co_u32_e32 v82, vcc, s96, v64
	v_addc_co_u32_e32 v83, vcc, 0, v65, vcc
	v_add_co_u32_e32 v86, vcc, s97, v64
	v_addc_co_u32_e32 v87, vcc, 0, v65, vcc
	;; [unrolled: 2-line block ×4, first 2 shown]
	global_load_dwordx2 v[66:67], v[64:65], off
	global_load_dwordx2 v[68:69], v[64:65], off offset:2048
	global_load_dwordx2 v[70:71], v[72:73], off
	s_nop 0
	global_load_dwordx2 v[72:73], v[72:73], off offset:2048
	s_nop 0
	global_load_dwordx2 v[74:75], v[82:83], off
	global_load_dwordx2 v[76:77], v[82:83], off offset:2048
	global_load_dwordx2 v[80:81], v[88:89], off offset:-4096
	global_load_dwordx2 v[84:85], v[88:89], off
	s_nop 0
	global_load_dwordx2 v[88:89], v[88:89], off offset:2048
	s_nop 0
	global_load_dwordx2 v[78:79], v[78:79], off offset:2048
	s_nop 0
	global_load_dwordx2 v[86:87], v[86:87], off offset:2048
	s_nop 0
	global_load_dwordx2 v[90:91], v[92:93], off
	s_nop 0
	global_load_dwordx2 v[92:93], v[92:93], off offset:2048
	s_waitcnt vmcnt(13)
	v_add_co_u32_e32 v94, vcc, 0x7000, v64
	v_addc_co_u32_e32 v95, vcc, 0, v65, vcc
	global_load_dwordx2 v[82:83], v[82:83], off offset:-4096
	s_nop 0
	global_load_dwordx2 v[94:95], v[94:95], off
	v_add_co_u32_e32 v64, vcc, 0x7800, v64
	s_movk_i32 s24, 0x1000
	v_addc_co_u32_e32 v65, vcc, 0, v65, vcc
	s_mov_b64 s[16:17], -1
	s_cbranch_execz .LBB810_314
; %bb.312:                              ;   in Loop: Header=BB810_310 Depth=2
                                        ; implicit-def: $vgpr60_vgpr61
                                        ; implicit-def: $vgpr58_vgpr59
                                        ; implicit-def: $vgpr56_vgpr57
                                        ; implicit-def: $vgpr54_vgpr55
                                        ; implicit-def: $vgpr52_vgpr53
                                        ; implicit-def: $vgpr50_vgpr51
                                        ; implicit-def: $vgpr48_vgpr49
                                        ; implicit-def: $vgpr46_vgpr47
                                        ; implicit-def: $vgpr44_vgpr45
                                        ; implicit-def: $vgpr42_vgpr43
                                        ; implicit-def: $vgpr40_vgpr41
                                        ; implicit-def: $vgpr38_vgpr39
                                        ; implicit-def: $vgpr36_vgpr37
                                        ; implicit-def: $vgpr34_vgpr35
                                        ; implicit-def: $vgpr0_vgpr1
                                        ; implicit-def: $vgpr62_vgpr63
	v_mov_b32_e32 v5, s22
	s_and_saveexec_b64 s[18:19], s[16:17]
	s_cbranch_execnz .LBB810_333
	s_branch .LBB810_334
.LBB810_313:                            ;   in Loop: Header=BB810_310 Depth=2
	s_mov_b64 s[16:17], 0
                                        ; implicit-def: $sgpr24
                                        ; implicit-def: $vgpr66_vgpr67
                                        ; implicit-def: $vgpr68_vgpr69
                                        ; implicit-def: $vgpr70_vgpr71
                                        ; implicit-def: $vgpr72_vgpr73
                                        ; implicit-def: $vgpr82_vgpr83
                                        ; implicit-def: $vgpr78_vgpr79
                                        ; implicit-def: $vgpr74_vgpr75
                                        ; implicit-def: $vgpr76_vgpr77
                                        ; implicit-def: $vgpr80_vgpr81
                                        ; implicit-def: $vgpr86_vgpr87
                                        ; implicit-def: $vgpr84_vgpr85
                                        ; implicit-def: $vgpr88_vgpr89
                                        ; implicit-def: $vgpr90_vgpr91
                                        ; implicit-def: $vgpr92_vgpr93
                                        ; implicit-def: $vgpr94_vgpr95
                                        ; implicit-def: $vgpr64_vgpr65
.LBB810_314:                            ;   in Loop: Header=BB810_310 Depth=2
	s_lshl_b64 s[18:19], s[88:89], 3
	s_add_u32 s18, s74, s18
	s_addc_u32 s19, s75, s19
	v_cmp_gt_u32_e32 vcc, s22, v2
	s_and_saveexec_b64 s[20:21], vcc
	s_cbranch_execz .LBB810_366
; %bb.315:                              ;   in Loop: Header=BB810_310 Depth=2
	global_load_dwordx2 v[60:61], v118, s[18:19]
	s_or_b64 exec, exec, s[20:21]
	v_cmp_gt_u32_e32 vcc, s22, v7
	s_and_saveexec_b64 s[20:21], vcc
	s_cbranch_execnz .LBB810_367
.LBB810_316:                            ;   in Loop: Header=BB810_310 Depth=2
	s_or_b64 exec, exec, s[20:21]
	v_cmp_gt_u32_e32 vcc, s22, v6
	s_and_saveexec_b64 s[20:21], vcc
	s_cbranch_execz .LBB810_368
.LBB810_317:                            ;   in Loop: Header=BB810_310 Depth=2
	global_load_dwordx2 v[56:57], v119, s[18:19]
	s_or_b64 exec, exec, s[20:21]
	v_cmp_gt_u32_e32 vcc, s22, v8
	s_and_saveexec_b64 s[20:21], vcc
	s_cbranch_execnz .LBB810_369
.LBB810_318:                            ;   in Loop: Header=BB810_310 Depth=2
	s_or_b64 exec, exec, s[20:21]
	v_cmp_gt_u32_e32 vcc, s22, v10
	s_and_saveexec_b64 s[20:21], vcc
	s_cbranch_execz .LBB810_370
.LBB810_319:                            ;   in Loop: Header=BB810_310 Depth=2
	global_load_dwordx2 v[52:53], v121, s[18:19]
	s_or_b64 exec, exec, s[20:21]
	v_cmp_gt_u32_e32 vcc, s22, v12
	s_and_saveexec_b64 s[20:21], vcc
	s_cbranch_execnz .LBB810_371
.LBB810_320:                            ;   in Loop: Header=BB810_310 Depth=2
	s_or_b64 exec, exec, s[20:21]
	v_cmp_gt_u32_e32 vcc, s22, v14
	s_and_saveexec_b64 s[20:21], vcc
	s_cbranch_execz .LBB810_372
.LBB810_321:                            ;   in Loop: Header=BB810_310 Depth=2
	global_load_dwordx2 v[48:49], v123, s[18:19]
	s_or_b64 exec, exec, s[20:21]
	v_cmp_gt_u32_e32 vcc, s22, v16
	s_and_saveexec_b64 s[20:21], vcc
	s_cbranch_execnz .LBB810_373
.LBB810_322:                            ;   in Loop: Header=BB810_310 Depth=2
	s_or_b64 exec, exec, s[20:21]
	v_cmp_gt_u32_e32 vcc, s22, v18
	s_and_saveexec_b64 s[20:21], vcc
	s_cbranch_execz .LBB810_374
.LBB810_323:                            ;   in Loop: Header=BB810_310 Depth=2
	global_load_dwordx2 v[44:45], v125, s[18:19]
	s_or_b64 exec, exec, s[20:21]
	v_cmp_gt_u32_e32 vcc, s22, v20
	s_and_saveexec_b64 s[20:21], vcc
	s_cbranch_execnz .LBB810_375
.LBB810_324:                            ;   in Loop: Header=BB810_310 Depth=2
	s_or_b64 exec, exec, s[20:21]
	v_cmp_gt_u32_e32 vcc, s22, v22
	s_and_saveexec_b64 s[20:21], vcc
	s_cbranch_execz .LBB810_376
.LBB810_325:                            ;   in Loop: Header=BB810_310 Depth=2
	global_load_dwordx2 v[40:41], v127, s[18:19]
	s_or_b64 exec, exec, s[20:21]
	v_cmp_gt_u32_e32 vcc, s22, v24
	s_and_saveexec_b64 s[20:21], vcc
	s_cbranch_execnz .LBB810_377
.LBB810_326:                            ;   in Loop: Header=BB810_310 Depth=2
	s_or_b64 exec, exec, s[20:21]
	v_cmp_gt_u32_e32 vcc, s22, v26
	s_and_saveexec_b64 s[20:21], vcc
	s_cbranch_execz .LBB810_378
.LBB810_327:                            ;   in Loop: Header=BB810_310 Depth=2
	global_load_dwordx2 v[36:37], v129, s[18:19]
	s_or_b64 exec, exec, s[20:21]
	v_cmp_gt_u32_e32 vcc, s22, v28
	s_and_saveexec_b64 s[20:21], vcc
	s_cbranch_execnz .LBB810_379
.LBB810_328:                            ;   in Loop: Header=BB810_310 Depth=2
	s_or_b64 exec, exec, s[20:21]
	v_cmp_gt_u32_e32 vcc, s22, v30
	s_and_saveexec_b64 s[20:21], vcc
	s_cbranch_execz .LBB810_330
.LBB810_329:                            ;   in Loop: Header=BB810_310 Depth=2
	global_load_dwordx2 v[0:1], v131, s[18:19]
.LBB810_330:                            ;   in Loop: Header=BB810_310 Depth=2
	s_or_b64 exec, exec, s[20:21]
	v_cmp_gt_u32_e32 vcc, s22, v32
                                        ; implicit-def: $sgpr24
                                        ; implicit-def: $vgpr64_vgpr65
	s_and_saveexec_b64 s[20:21], vcc
; %bb.331:                              ;   in Loop: Header=BB810_310 Depth=2
	v_mov_b32_e32 v5, s19
	v_add_co_u32_e32 v64, vcc, s18, v132
	s_sub_i32 s24, s94, s88
	v_addc_co_u32_e32 v65, vcc, 0, v5, vcc
	s_or_b64 s[16:17], s[16:17], exec
                                        ; implicit-def: $vgpr62_vgpr63
; %bb.332:                              ;   in Loop: Header=BB810_310 Depth=2
	s_or_b64 exec, exec, s[20:21]
	s_waitcnt vmcnt(0)
	v_pk_mov_b32 v[66:67], v[60:61], v[60:61] op_sel:[0,1]
	v_pk_mov_b32 v[68:69], v[58:59], v[58:59] op_sel:[0,1]
	;; [unrolled: 1-line block ×15, first 2 shown]
	v_mov_b32_e32 v5, s22
	s_and_saveexec_b64 s[18:19], s[16:17]
	s_cbranch_execz .LBB810_334
.LBB810_333:                            ;   in Loop: Header=BB810_310 Depth=2
	global_load_dwordx2 v[62:63], v[64:65], off
	v_mov_b32_e32 v5, s24
	s_waitcnt vmcnt(1)
	v_pk_mov_b32 v[0:1], v[94:95], v[94:95] op_sel:[0,1]
	v_pk_mov_b32 v[34:35], v[92:93], v[92:93] op_sel:[0,1]
	;; [unrolled: 1-line block ×15, first 2 shown]
.LBB810_334:                            ;   in Loop: Header=BB810_310 Depth=2
	s_or_b64 exec, exec, s[18:19]
	v_cmp_lt_u32_e32 vcc, v2, v5
	s_and_saveexec_b64 s[16:17], vcc
	s_cbranch_execz .LBB810_350
; %bb.335:                              ;   in Loop: Header=BB810_310 Depth=2
	v_xor_b32_e32 v65, 0x80000000, v61
	v_mov_b32_e32 v64, v60
	v_lshrrev_b64 v[64:65], s33, v[64:65]
	v_and_b32_e32 v64, s69, v64
	v_lshl_or_b32 v64, v64, 4, v133
	ds_add_u32 v64, v117
	s_or_b64 exec, exec, s[16:17]
	v_cmp_lt_u32_e32 vcc, v7, v5
	s_and_saveexec_b64 s[16:17], vcc
	s_cbranch_execnz .LBB810_351
.LBB810_336:                            ;   in Loop: Header=BB810_310 Depth=2
	s_or_b64 exec, exec, s[16:17]
	v_cmp_lt_u32_e32 vcc, v6, v5
	s_and_saveexec_b64 s[16:17], vcc
	s_cbranch_execz .LBB810_352
.LBB810_337:                            ;   in Loop: Header=BB810_310 Depth=2
	v_xor_b32_e32 v65, 0x80000000, v57
	v_mov_b32_e32 v64, v56
	v_lshrrev_b64 v[64:65], s33, v[64:65]
	v_and_b32_e32 v64, s69, v64
	v_lshl_or_b32 v64, v64, 4, v133
	ds_add_u32 v64, v117
	s_or_b64 exec, exec, s[16:17]
	v_cmp_lt_u32_e32 vcc, v8, v5
	s_and_saveexec_b64 s[16:17], vcc
	s_cbranch_execnz .LBB810_353
.LBB810_338:                            ;   in Loop: Header=BB810_310 Depth=2
	s_or_b64 exec, exec, s[16:17]
	v_cmp_lt_u32_e32 vcc, v10, v5
	s_and_saveexec_b64 s[16:17], vcc
	s_cbranch_execz .LBB810_354
.LBB810_339:                            ;   in Loop: Header=BB810_310 Depth=2
	v_xor_b32_e32 v65, 0x80000000, v53
	v_mov_b32_e32 v64, v52
	v_lshrrev_b64 v[64:65], s33, v[64:65]
	v_and_b32_e32 v64, s69, v64
	v_lshl_or_b32 v64, v64, 4, v133
	ds_add_u32 v64, v117
	s_or_b64 exec, exec, s[16:17]
	v_cmp_lt_u32_e32 vcc, v12, v5
	s_and_saveexec_b64 s[16:17], vcc
	s_cbranch_execnz .LBB810_355
.LBB810_340:                            ;   in Loop: Header=BB810_310 Depth=2
	s_or_b64 exec, exec, s[16:17]
	v_cmp_lt_u32_e32 vcc, v14, v5
	s_and_saveexec_b64 s[16:17], vcc
	s_cbranch_execz .LBB810_356
.LBB810_341:                            ;   in Loop: Header=BB810_310 Depth=2
	v_xor_b32_e32 v65, 0x80000000, v49
	v_mov_b32_e32 v64, v48
	v_lshrrev_b64 v[64:65], s33, v[64:65]
	v_and_b32_e32 v64, s69, v64
	v_lshl_or_b32 v64, v64, 4, v133
	ds_add_u32 v64, v117
	s_or_b64 exec, exec, s[16:17]
	v_cmp_lt_u32_e32 vcc, v16, v5
	s_and_saveexec_b64 s[16:17], vcc
	s_cbranch_execnz .LBB810_357
.LBB810_342:                            ;   in Loop: Header=BB810_310 Depth=2
	s_or_b64 exec, exec, s[16:17]
	v_cmp_lt_u32_e32 vcc, v18, v5
	s_and_saveexec_b64 s[16:17], vcc
	s_cbranch_execz .LBB810_358
.LBB810_343:                            ;   in Loop: Header=BB810_310 Depth=2
	v_xor_b32_e32 v65, 0x80000000, v45
	v_mov_b32_e32 v64, v44
	v_lshrrev_b64 v[64:65], s33, v[64:65]
	v_and_b32_e32 v64, s69, v64
	v_lshl_or_b32 v64, v64, 4, v133
	ds_add_u32 v64, v117
	s_or_b64 exec, exec, s[16:17]
	v_cmp_lt_u32_e32 vcc, v20, v5
	s_and_saveexec_b64 s[16:17], vcc
	s_cbranch_execnz .LBB810_359
.LBB810_344:                            ;   in Loop: Header=BB810_310 Depth=2
	s_or_b64 exec, exec, s[16:17]
	v_cmp_lt_u32_e32 vcc, v22, v5
	s_and_saveexec_b64 s[16:17], vcc
	s_cbranch_execz .LBB810_360
.LBB810_345:                            ;   in Loop: Header=BB810_310 Depth=2
	v_xor_b32_e32 v65, 0x80000000, v41
	v_mov_b32_e32 v64, v40
	v_lshrrev_b64 v[64:65], s33, v[64:65]
	v_and_b32_e32 v64, s69, v64
	v_lshl_or_b32 v64, v64, 4, v133
	ds_add_u32 v64, v117
	s_or_b64 exec, exec, s[16:17]
	v_cmp_lt_u32_e32 vcc, v24, v5
	s_and_saveexec_b64 s[16:17], vcc
	s_cbranch_execnz .LBB810_361
.LBB810_346:                            ;   in Loop: Header=BB810_310 Depth=2
	s_or_b64 exec, exec, s[16:17]
	v_cmp_lt_u32_e32 vcc, v26, v5
	s_and_saveexec_b64 s[16:17], vcc
	s_cbranch_execz .LBB810_362
.LBB810_347:                            ;   in Loop: Header=BB810_310 Depth=2
	v_xor_b32_e32 v65, 0x80000000, v37
	v_mov_b32_e32 v64, v36
	v_lshrrev_b64 v[64:65], s33, v[64:65]
	v_and_b32_e32 v64, s69, v64
	v_lshl_or_b32 v64, v64, 4, v133
	ds_add_u32 v64, v117
	s_or_b64 exec, exec, s[16:17]
	v_cmp_lt_u32_e32 vcc, v28, v5
	s_and_saveexec_b64 s[16:17], vcc
	s_cbranch_execnz .LBB810_363
.LBB810_348:                            ;   in Loop: Header=BB810_310 Depth=2
	s_or_b64 exec, exec, s[16:17]
	v_cmp_lt_u32_e32 vcc, v30, v5
	s_and_saveexec_b64 s[16:17], vcc
	s_cbranch_execz .LBB810_364
.LBB810_349:                            ;   in Loop: Header=BB810_310 Depth=2
	v_xor_b32_e32 v65, 0x80000000, v1
	v_mov_b32_e32 v64, v0
	v_lshrrev_b64 v[64:65], s33, v[64:65]
	v_and_b32_e32 v64, s69, v64
	v_lshl_or_b32 v64, v64, 4, v133
	ds_add_u32 v64, v117
	s_or_b64 exec, exec, s[16:17]
	v_cmp_lt_u32_e32 vcc, v32, v5
	s_and_saveexec_b64 s[16:17], vcc
	s_cbranch_execz .LBB810_309
	s_branch .LBB810_365
.LBB810_350:                            ;   in Loop: Header=BB810_310 Depth=2
	s_or_b64 exec, exec, s[16:17]
	v_cmp_lt_u32_e32 vcc, v7, v5
	s_and_saveexec_b64 s[16:17], vcc
	s_cbranch_execz .LBB810_336
.LBB810_351:                            ;   in Loop: Header=BB810_310 Depth=2
	v_xor_b32_e32 v65, 0x80000000, v59
	v_mov_b32_e32 v64, v58
	v_lshrrev_b64 v[64:65], s33, v[64:65]
	v_and_b32_e32 v64, s69, v64
	v_lshl_or_b32 v64, v64, 4, v133
	ds_add_u32 v64, v117
	s_or_b64 exec, exec, s[16:17]
	v_cmp_lt_u32_e32 vcc, v6, v5
	s_and_saveexec_b64 s[16:17], vcc
	s_cbranch_execnz .LBB810_337
.LBB810_352:                            ;   in Loop: Header=BB810_310 Depth=2
	s_or_b64 exec, exec, s[16:17]
	v_cmp_lt_u32_e32 vcc, v8, v5
	s_and_saveexec_b64 s[16:17], vcc
	s_cbranch_execz .LBB810_338
.LBB810_353:                            ;   in Loop: Header=BB810_310 Depth=2
	v_xor_b32_e32 v65, 0x80000000, v55
	v_mov_b32_e32 v64, v54
	v_lshrrev_b64 v[64:65], s33, v[64:65]
	v_and_b32_e32 v64, s69, v64
	v_lshl_or_b32 v64, v64, 4, v133
	ds_add_u32 v64, v117
	s_or_b64 exec, exec, s[16:17]
	v_cmp_lt_u32_e32 vcc, v10, v5
	s_and_saveexec_b64 s[16:17], vcc
	s_cbranch_execnz .LBB810_339
.LBB810_354:                            ;   in Loop: Header=BB810_310 Depth=2
	s_or_b64 exec, exec, s[16:17]
	v_cmp_lt_u32_e32 vcc, v12, v5
	s_and_saveexec_b64 s[16:17], vcc
	s_cbranch_execz .LBB810_340
.LBB810_355:                            ;   in Loop: Header=BB810_310 Depth=2
	v_xor_b32_e32 v65, 0x80000000, v51
	v_mov_b32_e32 v64, v50
	v_lshrrev_b64 v[64:65], s33, v[64:65]
	v_and_b32_e32 v64, s69, v64
	v_lshl_or_b32 v64, v64, 4, v133
	ds_add_u32 v64, v117
	s_or_b64 exec, exec, s[16:17]
	v_cmp_lt_u32_e32 vcc, v14, v5
	s_and_saveexec_b64 s[16:17], vcc
	s_cbranch_execnz .LBB810_341
.LBB810_356:                            ;   in Loop: Header=BB810_310 Depth=2
	s_or_b64 exec, exec, s[16:17]
	v_cmp_lt_u32_e32 vcc, v16, v5
	s_and_saveexec_b64 s[16:17], vcc
	s_cbranch_execz .LBB810_342
.LBB810_357:                            ;   in Loop: Header=BB810_310 Depth=2
	v_xor_b32_e32 v65, 0x80000000, v47
	v_mov_b32_e32 v64, v46
	v_lshrrev_b64 v[64:65], s33, v[64:65]
	v_and_b32_e32 v64, s69, v64
	v_lshl_or_b32 v64, v64, 4, v133
	ds_add_u32 v64, v117
	s_or_b64 exec, exec, s[16:17]
	v_cmp_lt_u32_e32 vcc, v18, v5
	s_and_saveexec_b64 s[16:17], vcc
	s_cbranch_execnz .LBB810_343
.LBB810_358:                            ;   in Loop: Header=BB810_310 Depth=2
	s_or_b64 exec, exec, s[16:17]
	v_cmp_lt_u32_e32 vcc, v20, v5
	s_and_saveexec_b64 s[16:17], vcc
	s_cbranch_execz .LBB810_344
.LBB810_359:                            ;   in Loop: Header=BB810_310 Depth=2
	v_xor_b32_e32 v65, 0x80000000, v43
	v_mov_b32_e32 v64, v42
	v_lshrrev_b64 v[64:65], s33, v[64:65]
	v_and_b32_e32 v64, s69, v64
	v_lshl_or_b32 v64, v64, 4, v133
	ds_add_u32 v64, v117
	s_or_b64 exec, exec, s[16:17]
	v_cmp_lt_u32_e32 vcc, v22, v5
	s_and_saveexec_b64 s[16:17], vcc
	s_cbranch_execnz .LBB810_345
.LBB810_360:                            ;   in Loop: Header=BB810_310 Depth=2
	s_or_b64 exec, exec, s[16:17]
	v_cmp_lt_u32_e32 vcc, v24, v5
	s_and_saveexec_b64 s[16:17], vcc
	s_cbranch_execz .LBB810_346
.LBB810_361:                            ;   in Loop: Header=BB810_310 Depth=2
	v_xor_b32_e32 v65, 0x80000000, v39
	v_mov_b32_e32 v64, v38
	v_lshrrev_b64 v[64:65], s33, v[64:65]
	v_and_b32_e32 v64, s69, v64
	v_lshl_or_b32 v64, v64, 4, v133
	ds_add_u32 v64, v117
	s_or_b64 exec, exec, s[16:17]
	v_cmp_lt_u32_e32 vcc, v26, v5
	s_and_saveexec_b64 s[16:17], vcc
	s_cbranch_execnz .LBB810_347
.LBB810_362:                            ;   in Loop: Header=BB810_310 Depth=2
	s_or_b64 exec, exec, s[16:17]
	v_cmp_lt_u32_e32 vcc, v28, v5
	s_and_saveexec_b64 s[16:17], vcc
	s_cbranch_execz .LBB810_348
.LBB810_363:                            ;   in Loop: Header=BB810_310 Depth=2
	v_xor_b32_e32 v65, 0x80000000, v35
	v_mov_b32_e32 v64, v34
	v_lshrrev_b64 v[64:65], s33, v[64:65]
	v_and_b32_e32 v64, s69, v64
	v_lshl_or_b32 v64, v64, 4, v133
	ds_add_u32 v64, v117
	s_or_b64 exec, exec, s[16:17]
	v_cmp_lt_u32_e32 vcc, v30, v5
	s_and_saveexec_b64 s[16:17], vcc
	s_cbranch_execnz .LBB810_349
.LBB810_364:                            ;   in Loop: Header=BB810_310 Depth=2
	s_or_b64 exec, exec, s[16:17]
	v_cmp_lt_u32_e32 vcc, v32, v5
	s_and_saveexec_b64 s[16:17], vcc
	s_cbranch_execz .LBB810_309
.LBB810_365:                            ;   in Loop: Header=BB810_310 Depth=2
	s_waitcnt vmcnt(0)
	v_xor_b32_e32 v65, 0x80000000, v63
	v_mov_b32_e32 v64, v62
	v_lshrrev_b64 v[64:65], s33, v[64:65]
	v_and_b32_e32 v5, s69, v64
	v_lshl_or_b32 v5, v5, 4, v133
	ds_add_u32 v5, v117
	s_branch .LBB810_309
.LBB810_366:                            ;   in Loop: Header=BB810_310 Depth=2
	s_or_b64 exec, exec, s[20:21]
	v_cmp_gt_u32_e32 vcc, s22, v7
	s_and_saveexec_b64 s[20:21], vcc
	s_cbranch_execz .LBB810_316
.LBB810_367:                            ;   in Loop: Header=BB810_310 Depth=2
	global_load_dwordx2 v[58:59], v118, s[18:19] offset:2048
	s_or_b64 exec, exec, s[20:21]
	v_cmp_gt_u32_e32 vcc, s22, v6
	s_and_saveexec_b64 s[20:21], vcc
	s_cbranch_execnz .LBB810_317
.LBB810_368:                            ;   in Loop: Header=BB810_310 Depth=2
	s_or_b64 exec, exec, s[20:21]
	v_cmp_gt_u32_e32 vcc, s22, v8
	s_and_saveexec_b64 s[20:21], vcc
	s_cbranch_execz .LBB810_318
.LBB810_369:                            ;   in Loop: Header=BB810_310 Depth=2
	global_load_dwordx2 v[54:55], v120, s[18:19]
	s_or_b64 exec, exec, s[20:21]
	v_cmp_gt_u32_e32 vcc, s22, v10
	s_and_saveexec_b64 s[20:21], vcc
	s_cbranch_execnz .LBB810_319
.LBB810_370:                            ;   in Loop: Header=BB810_310 Depth=2
	s_or_b64 exec, exec, s[20:21]
	v_cmp_gt_u32_e32 vcc, s22, v12
	s_and_saveexec_b64 s[20:21], vcc
	s_cbranch_execz .LBB810_320
.LBB810_371:                            ;   in Loop: Header=BB810_310 Depth=2
	global_load_dwordx2 v[50:51], v122, s[18:19]
	s_or_b64 exec, exec, s[20:21]
	v_cmp_gt_u32_e32 vcc, s22, v14
	s_and_saveexec_b64 s[20:21], vcc
	s_cbranch_execnz .LBB810_321
.LBB810_372:                            ;   in Loop: Header=BB810_310 Depth=2
	s_or_b64 exec, exec, s[20:21]
	v_cmp_gt_u32_e32 vcc, s22, v16
	s_and_saveexec_b64 s[20:21], vcc
	s_cbranch_execz .LBB810_322
.LBB810_373:                            ;   in Loop: Header=BB810_310 Depth=2
	global_load_dwordx2 v[46:47], v124, s[18:19]
	s_or_b64 exec, exec, s[20:21]
	v_cmp_gt_u32_e32 vcc, s22, v18
	s_and_saveexec_b64 s[20:21], vcc
	s_cbranch_execnz .LBB810_323
.LBB810_374:                            ;   in Loop: Header=BB810_310 Depth=2
	s_or_b64 exec, exec, s[20:21]
	v_cmp_gt_u32_e32 vcc, s22, v20
	s_and_saveexec_b64 s[20:21], vcc
	s_cbranch_execz .LBB810_324
.LBB810_375:                            ;   in Loop: Header=BB810_310 Depth=2
	global_load_dwordx2 v[42:43], v126, s[18:19]
	s_or_b64 exec, exec, s[20:21]
	v_cmp_gt_u32_e32 vcc, s22, v22
	s_and_saveexec_b64 s[20:21], vcc
	s_cbranch_execnz .LBB810_325
.LBB810_376:                            ;   in Loop: Header=BB810_310 Depth=2
	s_or_b64 exec, exec, s[20:21]
	v_cmp_gt_u32_e32 vcc, s22, v24
	s_and_saveexec_b64 s[20:21], vcc
	s_cbranch_execz .LBB810_326
.LBB810_377:                            ;   in Loop: Header=BB810_310 Depth=2
	global_load_dwordx2 v[38:39], v128, s[18:19]
	s_or_b64 exec, exec, s[20:21]
	v_cmp_gt_u32_e32 vcc, s22, v26
	s_and_saveexec_b64 s[20:21], vcc
	s_cbranch_execnz .LBB810_327
.LBB810_378:                            ;   in Loop: Header=BB810_310 Depth=2
	s_or_b64 exec, exec, s[20:21]
	v_cmp_gt_u32_e32 vcc, s22, v28
	s_and_saveexec_b64 s[20:21], vcc
	s_cbranch_execz .LBB810_328
.LBB810_379:                            ;   in Loop: Header=BB810_310 Depth=2
	global_load_dwordx2 v[34:35], v130, s[18:19]
	s_or_b64 exec, exec, s[20:21]
	v_cmp_gt_u32_e32 vcc, s22, v30
	s_and_saveexec_b64 s[20:21], vcc
	s_cbranch_execz .LBB810_330
	s_branch .LBB810_329
.LBB810_380:                            ;   in Loop: Header=BB810_12 Depth=1
	v_mov_b32_e32 v0, 0
	s_waitcnt lgkmcnt(0)
	s_barrier
	s_and_saveexec_b64 s[16:17], s[4:5]
	s_cbranch_execz .LBB810_382
; %bb.381:                              ;   in Loop: Header=BB810_12 Depth=1
	ds_read2_b64 v[34:37], v13 offset1:1
	s_waitcnt lgkmcnt(0)
	v_add_u32_e32 v0, v35, v34
	v_add3_u32 v0, v0, v36, v37
.LBB810_382:                            ;   in Loop: Header=BB810_12 Depth=1
	s_or_b64 exec, exec, s[16:17]
	s_nop 0
	v_mov_b32_dpp v1, v0 row_shr:1 row_mask:0xf bank_mask:0xf
	v_cmp_eq_u32_e64 s[16:17], 0, v135
	v_cndmask_b32_e64 v1, v1, 0, s[16:17]
	v_add_u32_e32 v0, v1, v0
	v_cmp_lt_u32_e64 s[18:19], 1, v135
	v_cmp_lt_u32_e64 s[20:21], 3, v135
	v_mov_b32_dpp v1, v0 row_shr:2 row_mask:0xf bank_mask:0xf
	v_cndmask_b32_e64 v1, 0, v1, s[18:19]
	v_add_u32_e32 v0, v0, v1
	v_cmp_lt_u32_e64 s[22:23], 7, v135
	v_cmp_lt_u32_e64 s[26:27], 31, v134
	v_mov_b32_dpp v1, v0 row_shr:4 row_mask:0xf bank_mask:0xf
	v_cndmask_b32_e64 v1, 0, v1, s[20:21]
	v_add_u32_e32 v0, v0, v1
	v_cmp_eq_u32_e64 s[24:25], 0, v137
	s_nop 0
	v_mov_b32_dpp v1, v0 row_shr:8 row_mask:0xf bank_mask:0xf
	v_cndmask_b32_e64 v1, 0, v1, s[22:23]
	v_add_u32_e32 v0, v0, v1
	s_nop 1
	v_mov_b32_dpp v1, v0 row_bcast:15 row_mask:0xf bank_mask:0xf
	v_and_b32_e32 v1, v136, v1
	v_add_u32_e32 v0, v0, v1
	s_nop 1
	v_mov_b32_dpp v1, v0 row_bcast:31 row_mask:0xf bank_mask:0xf
	v_cndmask_b32_e64 v1, 0, v1, s[26:27]
	v_add_u32_e32 v0, v0, v1
	s_and_saveexec_b64 s[28:29], s[6:7]
	v_readlane_b32 s38, v235, 2
	s_cbranch_execz .LBB810_384
; %bb.383:                              ;   in Loop: Header=BB810_12 Depth=1
	ds_write_b32 v17, v0
.LBB810_384:                            ;   in Loop: Header=BB810_12 Depth=1
	s_or_b64 exec, exec, s[28:29]
	s_waitcnt lgkmcnt(0)
	s_barrier
	s_and_saveexec_b64 s[28:29], s[8:9]
	s_cbranch_execz .LBB810_386
; %bb.385:                              ;   in Loop: Header=BB810_12 Depth=1
	ds_read_b32 v1, v19
	v_cmp_ne_u32_e32 vcc, 0, v138
	s_waitcnt lgkmcnt(0)
	v_mov_b32_dpp v5, v1 row_shr:1 row_mask:0xf bank_mask:0xf
	v_cndmask_b32_e32 v5, 0, v5, vcc
	v_add_u32_e32 v1, v5, v1
	v_cmp_lt_u32_e32 vcc, 1, v138
	s_nop 0
	v_mov_b32_dpp v5, v1 row_shr:2 row_mask:0xf bank_mask:0xf
	v_cndmask_b32_e32 v5, 0, v5, vcc
	v_add_u32_e32 v1, v1, v5
	ds_write_b32 v19, v1
.LBB810_386:                            ;   in Loop: Header=BB810_12 Depth=1
	s_or_b64 exec, exec, s[28:29]
	v_mov_b32_e32 v1, 0
	s_waitcnt lgkmcnt(0)
	s_barrier
	s_and_saveexec_b64 s[28:29], s[10:11]
	s_cbranch_execz .LBB810_388
; %bb.387:                              ;   in Loop: Header=BB810_12 Depth=1
	ds_read_b32 v1, v21
.LBB810_388:                            ;   in Loop: Header=BB810_12 Depth=1
	s_or_b64 exec, exec, s[28:29]
	v_cmp_lt_i32_e32 vcc, v139, v140
	v_cndmask_b32_e32 v5, v139, v134, vcc
	s_waitcnt lgkmcnt(0)
	v_add_u32_e32 v0, v1, v0
	v_lshlrev_b32_e32 v158, 2, v5
	ds_bpermute_b32 v0, v158, v0
	v_cmp_eq_u32_e64 s[28:29], 0, v134
	s_waitcnt lgkmcnt(0)
	s_barrier
	s_and_saveexec_b64 s[30:31], s[4:5]
	s_cbranch_execz .LBB810_390
; %bb.389:                              ;   in Loop: Header=BB810_12 Depth=1
	v_cndmask_b32_e64 v0, v0, v1, s[28:29]
	v_add_u32_e32 v0, s38, v0
	ds_write_b32 v3, v0
.LBB810_390:                            ;   in Loop: Header=BB810_12 Depth=1
	s_or_b64 exec, exec, s[30:31]
	s_load_dwordx2 s[30:31], s[90:91], 0x0
	v_readlane_b32 s34, v235, 1
	v_add_co_u32_e32 v159, vcc, v107, v141
	v_addc_co_u32_e32 v160, vcc, 0, v108, vcc
	s_waitcnt lgkmcnt(0)
	s_cmp_lt_u32 s34, s30
	v_readlane_b32 s30, v235, 0
	s_cselect_b32 s34, 12, 18
	s_cmp_lt_u32 s30, s31
	s_cselect_b32 s30, 14, 20
	s_add_u32 s30, s90, s30
	s_addc_u32 s31, s91, 0
	s_add_u32 s34, s90, s34
	global_load_ushort v5, v4, s[30:31]
	s_addc_u32 s35, s91, 0
	global_load_ushort v64, v4, s[34:35]
	v_add_co_u32_e32 v161, vcc, v109, v141
	v_addc_co_u32_e32 v162, vcc, 0, v110, vcc
	v_add_co_u32_e32 v176, vcc, 0x1e00, v161
	v_cmp_eq_u32_e64 s[30:31], 0, v138
	v_cmp_lt_u32_e64 s[34:35], 1, v138
	s_mov_b32 s86, s85
	v_addc_co_u32_e32 v179, vcc, 0, v162, vcc
	s_mov_b32 s88, s38
                                        ; implicit-def: $vgpr0_vgpr1
                                        ; implicit-def: $vgpr34_vgpr35
                                        ; implicit-def: $vgpr38_vgpr39
                                        ; implicit-def: $vgpr42_vgpr43
                                        ; implicit-def: $vgpr46_vgpr47
                                        ; implicit-def: $vgpr50_vgpr51
                                        ; implicit-def: $vgpr54_vgpr55
                                        ; implicit-def: $vgpr58_vgpr59
                                        ; implicit-def: $vgpr36_vgpr37
                                        ; implicit-def: $vgpr40_vgpr41
                                        ; implicit-def: $vgpr44_vgpr45
                                        ; implicit-def: $vgpr48_vgpr49
                                        ; implicit-def: $vgpr52_vgpr53
                                        ; implicit-def: $vgpr56_vgpr57
                                        ; implicit-def: $vgpr60_vgpr61
                                        ; implicit-def: $vgpr62_vgpr63
                                        ; implicit-def: $vgpr163
                                        ; implicit-def: $vgpr164
                                        ; implicit-def: $vgpr165
                                        ; implicit-def: $vgpr166
                                        ; implicit-def: $vgpr167
                                        ; implicit-def: $vgpr168
                                        ; implicit-def: $vgpr169
                                        ; implicit-def: $vgpr170
                                        ; implicit-def: $vgpr171
                                        ; implicit-def: $vgpr172
                                        ; implicit-def: $vgpr173
                                        ; implicit-def: $vgpr174
                                        ; implicit-def: $vgpr175
                                        ; implicit-def: $vgpr177
                                        ; implicit-def: $vgpr178
                                        ; implicit-def: $vgpr180
	s_waitcnt vmcnt(1)
	v_mad_u32_u24 v5, v23, v5, v25
	s_waitcnt vmcnt(0)
	v_mad_u64_u32 v[64:65], s[36:37], v5, v64, v[2:3]
	v_lshrrev_b32_e32 v181, 6, v64
	s_branch .LBB810_392
.LBB810_391:                            ;   in Loop: Header=BB810_392 Depth=2
	s_or_b64 exec, exec, s[36:37]
	s_addk_i32 s86, 0xf000
	s_cmp_lt_u32 s87, s94
	s_mov_b32 s88, s87
	s_cbranch_scc0 .LBB810_600
.LBB810_392:                            ;   Parent Loop BB810_12 Depth=1
                                        ; =>  This Inner Loop Header: Depth=2
	s_add_i32 s87, s88, 0x1000
	s_cmp_gt_u32 s87, s94
	s_cbranch_scc1 .LBB810_394
; %bb.393:                              ;   in Loop: Header=BB810_392 Depth=2
	s_lshl_b64 s[36:37], s[88:89], 3
	v_mov_b32_e32 v5, s37
	v_add_co_u32_e32 v80, vcc, s36, v161
	v_addc_co_u32_e32 v81, vcc, v162, v5, vcc
	v_add_co_u32_e32 v92, vcc, 0x1000, v80
	global_load_dwordx2 v[64:65], v[80:81], off
	global_load_dwordx2 v[66:67], v[80:81], off offset:512
	global_load_dwordx2 v[68:69], v[80:81], off offset:1024
	;; [unrolled: 1-line block ×7, first 2 shown]
	v_addc_co_u32_e32 v93, vcc, 0, v81, vcc
	global_load_dwordx2 v[80:81], v[92:93], off
	global_load_dwordx2 v[82:83], v[92:93], off offset:512
	global_load_dwordx2 v[84:85], v[92:93], off offset:1024
	;; [unrolled: 1-line block ×5, first 2 shown]
	s_nop 0
	global_load_dwordx2 v[92:93], v[92:93], off offset:3072
	s_movk_i32 s40, 0x1000
	s_mov_b64 s[36:37], -1
	s_cbranch_execz .LBB810_395
	s_branch .LBB810_426
.LBB810_394:                            ;   in Loop: Header=BB810_392 Depth=2
	s_mov_b64 s[36:37], 0
                                        ; implicit-def: $sgpr40
                                        ; implicit-def: $vgpr64_vgpr65
                                        ; implicit-def: $vgpr66_vgpr67
                                        ; implicit-def: $vgpr68_vgpr69
                                        ; implicit-def: $vgpr70_vgpr71
                                        ; implicit-def: $vgpr72_vgpr73
                                        ; implicit-def: $vgpr74_vgpr75
                                        ; implicit-def: $vgpr76_vgpr77
                                        ; implicit-def: $vgpr78_vgpr79
                                        ; implicit-def: $vgpr80_vgpr81
                                        ; implicit-def: $vgpr82_vgpr83
                                        ; implicit-def: $vgpr84_vgpr85
                                        ; implicit-def: $vgpr86_vgpr87
                                        ; implicit-def: $vgpr88_vgpr89
                                        ; implicit-def: $vgpr90_vgpr91
                                        ; implicit-def: $vgpr92_vgpr93
.LBB810_395:                            ;   in Loop: Header=BB810_392 Depth=2
	s_lshl_b64 s[36:37], s[88:89], 3
	v_mov_b32_e32 v5, s37
	v_add_co_u32_e32 v94, vcc, s36, v161
	v_addc_co_u32_e32 v95, vcc, v162, v5, vcc
	v_cmp_gt_u32_e32 vcc, s86, v142
	s_waitcnt vmcnt(14)
	v_pk_mov_b32 v[64:65], s[78:79], s[78:79] op_sel:[0,1]
	s_and_saveexec_b64 s[36:37], vcc
	s_cbranch_execz .LBB810_397
; %bb.396:                              ;   in Loop: Header=BB810_392 Depth=2
	global_load_dwordx2 v[64:65], v[94:95], off
.LBB810_397:                            ;   in Loop: Header=BB810_392 Depth=2
	s_or_b64 exec, exec, s[36:37]
	v_cmp_gt_u32_e32 vcc, s86, v143
	s_waitcnt vmcnt(13)
	v_pk_mov_b32 v[66:67], s[78:79], s[78:79] op_sel:[0,1]
	s_and_saveexec_b64 s[36:37], vcc
	s_cbranch_execz .LBB810_399
; %bb.398:                              ;   in Loop: Header=BB810_392 Depth=2
	global_load_dwordx2 v[66:67], v[94:95], off offset:512
.LBB810_399:                            ;   in Loop: Header=BB810_392 Depth=2
	s_or_b64 exec, exec, s[36:37]
	v_cmp_gt_u32_e32 vcc, s86, v144
	s_waitcnt vmcnt(12)
	v_pk_mov_b32 v[68:69], s[78:79], s[78:79] op_sel:[0,1]
	s_and_saveexec_b64 s[36:37], vcc
	s_cbranch_execz .LBB810_401
; %bb.400:                              ;   in Loop: Header=BB810_392 Depth=2
	global_load_dwordx2 v[68:69], v[94:95], off offset:1024
.LBB810_401:                            ;   in Loop: Header=BB810_392 Depth=2
	s_or_b64 exec, exec, s[36:37]
	v_cmp_gt_u32_e32 vcc, s86, v145
	s_waitcnt vmcnt(11)
	v_pk_mov_b32 v[70:71], s[78:79], s[78:79] op_sel:[0,1]
	s_and_saveexec_b64 s[36:37], vcc
	s_cbranch_execz .LBB810_403
; %bb.402:                              ;   in Loop: Header=BB810_392 Depth=2
	global_load_dwordx2 v[70:71], v[94:95], off offset:1536
.LBB810_403:                            ;   in Loop: Header=BB810_392 Depth=2
	s_or_b64 exec, exec, s[36:37]
	v_cmp_gt_u32_e32 vcc, s86, v146
	s_waitcnt vmcnt(10)
	v_pk_mov_b32 v[72:73], s[78:79], s[78:79] op_sel:[0,1]
	s_and_saveexec_b64 s[36:37], vcc
	s_cbranch_execz .LBB810_405
; %bb.404:                              ;   in Loop: Header=BB810_392 Depth=2
	global_load_dwordx2 v[72:73], v[94:95], off offset:2048
.LBB810_405:                            ;   in Loop: Header=BB810_392 Depth=2
	s_or_b64 exec, exec, s[36:37]
	v_cmp_gt_u32_e32 vcc, s86, v147
	s_waitcnt vmcnt(9)
	v_pk_mov_b32 v[74:75], s[78:79], s[78:79] op_sel:[0,1]
	s_and_saveexec_b64 s[36:37], vcc
	s_cbranch_execz .LBB810_407
; %bb.406:                              ;   in Loop: Header=BB810_392 Depth=2
	global_load_dwordx2 v[74:75], v[94:95], off offset:2560
.LBB810_407:                            ;   in Loop: Header=BB810_392 Depth=2
	s_or_b64 exec, exec, s[36:37]
	v_cmp_gt_u32_e32 vcc, s86, v148
	s_waitcnt vmcnt(8)
	v_pk_mov_b32 v[76:77], s[78:79], s[78:79] op_sel:[0,1]
	s_and_saveexec_b64 s[36:37], vcc
	s_cbranch_execz .LBB810_409
; %bb.408:                              ;   in Loop: Header=BB810_392 Depth=2
	global_load_dwordx2 v[76:77], v[94:95], off offset:3072
.LBB810_409:                            ;   in Loop: Header=BB810_392 Depth=2
	s_or_b64 exec, exec, s[36:37]
	v_cmp_gt_u32_e32 vcc, s86, v149
	s_waitcnt vmcnt(7)
	v_pk_mov_b32 v[78:79], s[78:79], s[78:79] op_sel:[0,1]
	s_and_saveexec_b64 s[36:37], vcc
	s_cbranch_execz .LBB810_411
; %bb.410:                              ;   in Loop: Header=BB810_392 Depth=2
	global_load_dwordx2 v[78:79], v[94:95], off offset:3584
.LBB810_411:                            ;   in Loop: Header=BB810_392 Depth=2
	s_or_b64 exec, exec, s[36:37]
	v_cmp_gt_u32_e32 vcc, s86, v150
	s_waitcnt vmcnt(6)
	v_pk_mov_b32 v[80:81], s[78:79], s[78:79] op_sel:[0,1]
	s_and_saveexec_b64 s[36:37], vcc
	s_cbranch_execz .LBB810_413
; %bb.412:                              ;   in Loop: Header=BB810_392 Depth=2
	v_add_co_u32_e32 v80, vcc, 0x1000, v94
	v_addc_co_u32_e32 v81, vcc, 0, v95, vcc
	global_load_dwordx2 v[80:81], v[80:81], off
.LBB810_413:                            ;   in Loop: Header=BB810_392 Depth=2
	s_or_b64 exec, exec, s[36:37]
	v_cmp_gt_u32_e32 vcc, s86, v151
	s_waitcnt vmcnt(5)
	v_pk_mov_b32 v[82:83], s[78:79], s[78:79] op_sel:[0,1]
	s_and_saveexec_b64 s[36:37], vcc
	s_cbranch_execz .LBB810_415
; %bb.414:                              ;   in Loop: Header=BB810_392 Depth=2
	v_add_co_u32_e32 v82, vcc, 0x1000, v94
	v_addc_co_u32_e32 v83, vcc, 0, v95, vcc
	global_load_dwordx2 v[82:83], v[82:83], off offset:512
.LBB810_415:                            ;   in Loop: Header=BB810_392 Depth=2
	s_or_b64 exec, exec, s[36:37]
	v_cmp_gt_u32_e32 vcc, s86, v152
	s_waitcnt vmcnt(4)
	v_pk_mov_b32 v[84:85], s[78:79], s[78:79] op_sel:[0,1]
	s_and_saveexec_b64 s[36:37], vcc
	s_cbranch_execz .LBB810_417
; %bb.416:                              ;   in Loop: Header=BB810_392 Depth=2
	v_add_co_u32_e32 v84, vcc, 0x1000, v94
	v_addc_co_u32_e32 v85, vcc, 0, v95, vcc
	global_load_dwordx2 v[84:85], v[84:85], off offset:1024
.LBB810_417:                            ;   in Loop: Header=BB810_392 Depth=2
	;; [unrolled: 11-line block ×6, first 2 shown]
	s_or_b64 exec, exec, s[36:37]
	s_sub_i32 s40, s94, s88
	v_cmp_gt_u32_e64 s[36:37], s86, v157
.LBB810_426:                            ;   in Loop: Header=BB810_392 Depth=2
	v_pk_mov_b32 v[94:95], s[78:79], s[78:79] op_sel:[0,1]
	v_mov_b32_e32 v182, s86
	s_and_saveexec_b64 s[38:39], s[36:37]
	s_cbranch_execz .LBB810_428
; %bb.427:                              ;   in Loop: Header=BB810_392 Depth=2
	s_lshl_b64 s[36:37], s[88:89], 3
	v_mov_b32_e32 v5, s37
	v_add_co_u32_e32 v94, vcc, s36, v176
	v_addc_co_u32_e32 v95, vcc, v179, v5, vcc
	global_load_dwordx2 v[94:95], v[94:95], off
	v_mov_b32_e32 v182, s40
.LBB810_428:                            ;   in Loop: Header=BB810_392 Depth=2
	s_or_b64 exec, exec, s[38:39]
	s_waitcnt vmcnt(14)
	v_xor_b32_e32 v65, 0x80000000, v65
	v_lshrrev_b64 v[96:97], s33, v[64:65]
	v_add_u32_e32 v5, 0x410, v27
	v_and_b32_e32 v96, s69, v96
	ds_write2_b32 v5, v4, v4 offset1:1
	ds_write2_b32 v31, v4, v4 offset0:2 offset1:3
	ds_write_b32 v31, v4 offset:16
	v_mad_u32_u24 v5, v96, 5, v181
	v_lshl_add_u32 v183, v5, 2, v29
	v_and_b32_e32 v5, 1, v96
	v_add_co_u32_e32 v97, vcc, -1, v5
	v_addc_co_u32_e64 v98, s[36:37], 0, -1, vcc
	v_cmp_ne_u32_e32 vcc, 0, v5
	v_xor_b32_e32 v5, vcc_hi, v98
	v_and_b32_e32 v98, exec_hi, v5
	v_lshlrev_b32_e32 v5, 30, v96
	v_xor_b32_e32 v97, vcc_lo, v97
	v_cmp_gt_i64_e32 vcc, 0, v[4:5]
	v_not_b32_e32 v5, v5
	v_ashrrev_i32_e32 v5, 31, v5
	v_and_b32_e32 v97, exec_lo, v97
	v_xor_b32_e32 v99, vcc_hi, v5
	v_xor_b32_e32 v5, vcc_lo, v5
	v_and_b32_e32 v97, v97, v5
	v_lshlrev_b32_e32 v5, 29, v96
	v_cmp_gt_i64_e32 vcc, 0, v[4:5]
	v_not_b32_e32 v5, v5
	v_ashrrev_i32_e32 v5, 31, v5
	v_and_b32_e32 v98, v98, v99
	v_xor_b32_e32 v99, vcc_hi, v5
	v_xor_b32_e32 v5, vcc_lo, v5
	v_and_b32_e32 v97, v97, v5
	v_lshlrev_b32_e32 v5, 28, v96
	v_cmp_gt_i64_e32 vcc, 0, v[4:5]
	v_not_b32_e32 v5, v5
	v_ashrrev_i32_e32 v5, 31, v5
	v_and_b32_e32 v98, v98, v99
	;; [unrolled: 8-line block ×5, first 2 shown]
	v_xor_b32_e32 v99, vcc_hi, v5
	v_xor_b32_e32 v5, vcc_lo, v5
	v_and_b32_e32 v98, v98, v99
	v_and_b32_e32 v99, v97, v5
	v_lshlrev_b32_e32 v5, 24, v96
	v_cmp_gt_i64_e32 vcc, 0, v[4:5]
	v_not_b32_e32 v5, v5
	v_ashrrev_i32_e32 v5, 31, v5
	v_xor_b32_e32 v96, vcc_hi, v5
	v_xor_b32_e32 v5, vcc_lo, v5
	v_and_b32_e32 v97, v98, v96
	v_and_b32_e32 v96, v99, v5
	v_mbcnt_lo_u32_b32 v5, v96, 0
	v_mbcnt_hi_u32_b32 v184, v97, v5
	v_cmp_eq_u32_e32 vcc, 0, v184
	v_cmp_ne_u64_e64 s[36:37], 0, v[96:97]
	s_and_b64 s[38:39], s[36:37], vcc
	s_waitcnt lgkmcnt(0)
	s_barrier
	s_waitcnt lgkmcnt(0)
	; wave barrier
	s_and_saveexec_b64 s[36:37], s[38:39]
	s_cbranch_execz .LBB810_430
; %bb.429:                              ;   in Loop: Header=BB810_392 Depth=2
	v_bcnt_u32_b32 v5, v96, 0
	v_bcnt_u32_b32 v5, v97, v5
	ds_write_b32 v183, v5
.LBB810_430:                            ;   in Loop: Header=BB810_392 Depth=2
	s_or_b64 exec, exec, s[36:37]
	s_waitcnt vmcnt(13)
	v_xor_b32_e32 v67, 0x80000000, v67
	v_lshrrev_b64 v[96:97], s33, v[66:67]
	v_and_b32_e32 v96, s69, v96
	v_mul_u32_u24_e32 v5, 5, v96
	v_add_lshl_u32 v5, v5, v181, 2
	; wave barrier
	v_add_u32_e32 v186, 0x410, v5
	ds_read_b32 v185, v5 offset:1040
	v_and_b32_e32 v5, 1, v96
	v_add_co_u32_e32 v97, vcc, -1, v5
	v_addc_co_u32_e64 v98, s[36:37], 0, -1, vcc
	v_cmp_ne_u32_e32 vcc, 0, v5
	v_xor_b32_e32 v5, vcc_hi, v98
	v_and_b32_e32 v98, exec_hi, v5
	v_lshlrev_b32_e32 v5, 30, v96
	v_xor_b32_e32 v97, vcc_lo, v97
	v_cmp_gt_i64_e32 vcc, 0, v[4:5]
	v_not_b32_e32 v5, v5
	v_ashrrev_i32_e32 v5, 31, v5
	v_and_b32_e32 v97, exec_lo, v97
	v_xor_b32_e32 v99, vcc_hi, v5
	v_xor_b32_e32 v5, vcc_lo, v5
	v_and_b32_e32 v97, v97, v5
	v_lshlrev_b32_e32 v5, 29, v96
	v_cmp_gt_i64_e32 vcc, 0, v[4:5]
	v_not_b32_e32 v5, v5
	v_ashrrev_i32_e32 v5, 31, v5
	v_and_b32_e32 v98, v98, v99
	v_xor_b32_e32 v99, vcc_hi, v5
	v_xor_b32_e32 v5, vcc_lo, v5
	v_and_b32_e32 v97, v97, v5
	v_lshlrev_b32_e32 v5, 28, v96
	v_cmp_gt_i64_e32 vcc, 0, v[4:5]
	v_not_b32_e32 v5, v5
	v_ashrrev_i32_e32 v5, 31, v5
	v_and_b32_e32 v98, v98, v99
	v_xor_b32_e32 v99, vcc_hi, v5
	v_xor_b32_e32 v5, vcc_lo, v5
	v_and_b32_e32 v97, v97, v5
	v_lshlrev_b32_e32 v5, 27, v96
	v_cmp_gt_i64_e32 vcc, 0, v[4:5]
	v_not_b32_e32 v5, v5
	v_ashrrev_i32_e32 v5, 31, v5
	v_and_b32_e32 v98, v98, v99
	v_xor_b32_e32 v99, vcc_hi, v5
	v_xor_b32_e32 v5, vcc_lo, v5
	v_and_b32_e32 v97, v97, v5
	v_lshlrev_b32_e32 v5, 26, v96
	v_cmp_gt_i64_e32 vcc, 0, v[4:5]
	v_not_b32_e32 v5, v5
	v_ashrrev_i32_e32 v5, 31, v5
	v_and_b32_e32 v98, v98, v99
	v_xor_b32_e32 v99, vcc_hi, v5
	v_xor_b32_e32 v5, vcc_lo, v5
	v_and_b32_e32 v97, v97, v5
	v_lshlrev_b32_e32 v5, 25, v96
	v_cmp_gt_i64_e32 vcc, 0, v[4:5]
	v_not_b32_e32 v5, v5
	v_ashrrev_i32_e32 v5, 31, v5
	v_and_b32_e32 v98, v98, v99
	v_xor_b32_e32 v99, vcc_hi, v5
	v_xor_b32_e32 v5, vcc_lo, v5
	v_and_b32_e32 v98, v98, v99
	v_and_b32_e32 v99, v97, v5
	v_lshlrev_b32_e32 v5, 24, v96
	v_cmp_gt_i64_e32 vcc, 0, v[4:5]
	v_not_b32_e32 v5, v5
	v_ashrrev_i32_e32 v5, 31, v5
	v_xor_b32_e32 v96, vcc_hi, v5
	v_xor_b32_e32 v5, vcc_lo, v5
	v_and_b32_e32 v97, v98, v96
	v_and_b32_e32 v96, v99, v5
	v_mbcnt_lo_u32_b32 v5, v96, 0
	v_mbcnt_hi_u32_b32 v187, v97, v5
	v_cmp_eq_u32_e32 vcc, 0, v187
	v_cmp_ne_u64_e64 s[36:37], 0, v[96:97]
	s_and_b64 s[38:39], s[36:37], vcc
	; wave barrier
	s_and_saveexec_b64 s[36:37], s[38:39]
	s_cbranch_execz .LBB810_432
; %bb.431:                              ;   in Loop: Header=BB810_392 Depth=2
	v_bcnt_u32_b32 v5, v96, 0
	v_bcnt_u32_b32 v5, v97, v5
	s_waitcnt lgkmcnt(0)
	v_add_u32_e32 v5, v185, v5
	ds_write_b32 v186, v5
.LBB810_432:                            ;   in Loop: Header=BB810_392 Depth=2
	s_or_b64 exec, exec, s[36:37]
	s_waitcnt vmcnt(12)
	v_xor_b32_e32 v69, 0x80000000, v69
	v_lshrrev_b64 v[96:97], s33, v[68:69]
	v_and_b32_e32 v96, s69, v96
	v_mul_u32_u24_e32 v5, 5, v96
	v_add_lshl_u32 v5, v5, v181, 2
	; wave barrier
	v_add_u32_e32 v189, 0x410, v5
	ds_read_b32 v188, v5 offset:1040
	v_and_b32_e32 v5, 1, v96
	v_add_co_u32_e32 v97, vcc, -1, v5
	v_addc_co_u32_e64 v98, s[36:37], 0, -1, vcc
	v_cmp_ne_u32_e32 vcc, 0, v5
	v_xor_b32_e32 v5, vcc_hi, v98
	v_and_b32_e32 v98, exec_hi, v5
	v_lshlrev_b32_e32 v5, 30, v96
	v_xor_b32_e32 v97, vcc_lo, v97
	v_cmp_gt_i64_e32 vcc, 0, v[4:5]
	v_not_b32_e32 v5, v5
	v_ashrrev_i32_e32 v5, 31, v5
	v_and_b32_e32 v97, exec_lo, v97
	v_xor_b32_e32 v99, vcc_hi, v5
	v_xor_b32_e32 v5, vcc_lo, v5
	v_and_b32_e32 v97, v97, v5
	v_lshlrev_b32_e32 v5, 29, v96
	v_cmp_gt_i64_e32 vcc, 0, v[4:5]
	v_not_b32_e32 v5, v5
	v_ashrrev_i32_e32 v5, 31, v5
	v_and_b32_e32 v98, v98, v99
	v_xor_b32_e32 v99, vcc_hi, v5
	v_xor_b32_e32 v5, vcc_lo, v5
	v_and_b32_e32 v97, v97, v5
	v_lshlrev_b32_e32 v5, 28, v96
	v_cmp_gt_i64_e32 vcc, 0, v[4:5]
	v_not_b32_e32 v5, v5
	v_ashrrev_i32_e32 v5, 31, v5
	v_and_b32_e32 v98, v98, v99
	;; [unrolled: 8-line block ×5, first 2 shown]
	v_xor_b32_e32 v99, vcc_hi, v5
	v_xor_b32_e32 v5, vcc_lo, v5
	v_and_b32_e32 v98, v98, v99
	v_and_b32_e32 v99, v97, v5
	v_lshlrev_b32_e32 v5, 24, v96
	v_cmp_gt_i64_e32 vcc, 0, v[4:5]
	v_not_b32_e32 v5, v5
	v_ashrrev_i32_e32 v5, 31, v5
	v_xor_b32_e32 v96, vcc_hi, v5
	v_xor_b32_e32 v5, vcc_lo, v5
	v_and_b32_e32 v97, v98, v96
	v_and_b32_e32 v96, v99, v5
	v_mbcnt_lo_u32_b32 v5, v96, 0
	v_mbcnt_hi_u32_b32 v190, v97, v5
	v_cmp_eq_u32_e32 vcc, 0, v190
	v_cmp_ne_u64_e64 s[36:37], 0, v[96:97]
	s_and_b64 s[38:39], s[36:37], vcc
	; wave barrier
	s_and_saveexec_b64 s[36:37], s[38:39]
	s_cbranch_execz .LBB810_434
; %bb.433:                              ;   in Loop: Header=BB810_392 Depth=2
	v_bcnt_u32_b32 v5, v96, 0
	v_bcnt_u32_b32 v5, v97, v5
	s_waitcnt lgkmcnt(0)
	v_add_u32_e32 v5, v188, v5
	ds_write_b32 v189, v5
.LBB810_434:                            ;   in Loop: Header=BB810_392 Depth=2
	s_or_b64 exec, exec, s[36:37]
	s_waitcnt vmcnt(11)
	v_xor_b32_e32 v71, 0x80000000, v71
	v_lshrrev_b64 v[96:97], s33, v[70:71]
	v_and_b32_e32 v96, s69, v96
	v_mul_u32_u24_e32 v5, 5, v96
	v_add_lshl_u32 v5, v5, v181, 2
	; wave barrier
	v_add_u32_e32 v192, 0x410, v5
	ds_read_b32 v191, v5 offset:1040
	v_and_b32_e32 v5, 1, v96
	v_add_co_u32_e32 v97, vcc, -1, v5
	v_addc_co_u32_e64 v98, s[36:37], 0, -1, vcc
	v_cmp_ne_u32_e32 vcc, 0, v5
	v_xor_b32_e32 v5, vcc_hi, v98
	v_and_b32_e32 v98, exec_hi, v5
	v_lshlrev_b32_e32 v5, 30, v96
	v_xor_b32_e32 v97, vcc_lo, v97
	v_cmp_gt_i64_e32 vcc, 0, v[4:5]
	v_not_b32_e32 v5, v5
	v_ashrrev_i32_e32 v5, 31, v5
	v_and_b32_e32 v97, exec_lo, v97
	v_xor_b32_e32 v99, vcc_hi, v5
	v_xor_b32_e32 v5, vcc_lo, v5
	v_and_b32_e32 v97, v97, v5
	v_lshlrev_b32_e32 v5, 29, v96
	v_cmp_gt_i64_e32 vcc, 0, v[4:5]
	v_not_b32_e32 v5, v5
	v_ashrrev_i32_e32 v5, 31, v5
	v_and_b32_e32 v98, v98, v99
	v_xor_b32_e32 v99, vcc_hi, v5
	v_xor_b32_e32 v5, vcc_lo, v5
	v_and_b32_e32 v97, v97, v5
	v_lshlrev_b32_e32 v5, 28, v96
	v_cmp_gt_i64_e32 vcc, 0, v[4:5]
	v_not_b32_e32 v5, v5
	v_ashrrev_i32_e32 v5, 31, v5
	v_and_b32_e32 v98, v98, v99
	;; [unrolled: 8-line block ×5, first 2 shown]
	v_xor_b32_e32 v99, vcc_hi, v5
	v_xor_b32_e32 v5, vcc_lo, v5
	v_and_b32_e32 v98, v98, v99
	v_and_b32_e32 v99, v97, v5
	v_lshlrev_b32_e32 v5, 24, v96
	v_cmp_gt_i64_e32 vcc, 0, v[4:5]
	v_not_b32_e32 v5, v5
	v_ashrrev_i32_e32 v5, 31, v5
	v_xor_b32_e32 v96, vcc_hi, v5
	v_xor_b32_e32 v5, vcc_lo, v5
	v_and_b32_e32 v97, v98, v96
	v_and_b32_e32 v96, v99, v5
	v_mbcnt_lo_u32_b32 v5, v96, 0
	v_mbcnt_hi_u32_b32 v193, v97, v5
	v_cmp_eq_u32_e32 vcc, 0, v193
	v_cmp_ne_u64_e64 s[36:37], 0, v[96:97]
	s_and_b64 s[38:39], s[36:37], vcc
	; wave barrier
	s_and_saveexec_b64 s[36:37], s[38:39]
	s_cbranch_execz .LBB810_436
; %bb.435:                              ;   in Loop: Header=BB810_392 Depth=2
	v_bcnt_u32_b32 v5, v96, 0
	v_bcnt_u32_b32 v5, v97, v5
	s_waitcnt lgkmcnt(0)
	v_add_u32_e32 v5, v191, v5
	ds_write_b32 v192, v5
.LBB810_436:                            ;   in Loop: Header=BB810_392 Depth=2
	s_or_b64 exec, exec, s[36:37]
	s_waitcnt vmcnt(10)
	v_xor_b32_e32 v73, 0x80000000, v73
	v_lshrrev_b64 v[96:97], s33, v[72:73]
	v_and_b32_e32 v96, s69, v96
	v_mul_u32_u24_e32 v5, 5, v96
	v_add_lshl_u32 v5, v5, v181, 2
	; wave barrier
	v_add_u32_e32 v195, 0x410, v5
	ds_read_b32 v194, v5 offset:1040
	v_and_b32_e32 v5, 1, v96
	v_add_co_u32_e32 v97, vcc, -1, v5
	v_addc_co_u32_e64 v98, s[36:37], 0, -1, vcc
	v_cmp_ne_u32_e32 vcc, 0, v5
	v_xor_b32_e32 v5, vcc_hi, v98
	v_and_b32_e32 v98, exec_hi, v5
	v_lshlrev_b32_e32 v5, 30, v96
	v_xor_b32_e32 v97, vcc_lo, v97
	v_cmp_gt_i64_e32 vcc, 0, v[4:5]
	v_not_b32_e32 v5, v5
	v_ashrrev_i32_e32 v5, 31, v5
	v_and_b32_e32 v97, exec_lo, v97
	v_xor_b32_e32 v99, vcc_hi, v5
	v_xor_b32_e32 v5, vcc_lo, v5
	v_and_b32_e32 v97, v97, v5
	v_lshlrev_b32_e32 v5, 29, v96
	v_cmp_gt_i64_e32 vcc, 0, v[4:5]
	v_not_b32_e32 v5, v5
	v_ashrrev_i32_e32 v5, 31, v5
	v_and_b32_e32 v98, v98, v99
	v_xor_b32_e32 v99, vcc_hi, v5
	v_xor_b32_e32 v5, vcc_lo, v5
	v_and_b32_e32 v97, v97, v5
	v_lshlrev_b32_e32 v5, 28, v96
	v_cmp_gt_i64_e32 vcc, 0, v[4:5]
	v_not_b32_e32 v5, v5
	v_ashrrev_i32_e32 v5, 31, v5
	v_and_b32_e32 v98, v98, v99
	v_xor_b32_e32 v99, vcc_hi, v5
	v_xor_b32_e32 v5, vcc_lo, v5
	v_and_b32_e32 v97, v97, v5
	v_lshlrev_b32_e32 v5, 27, v96
	v_cmp_gt_i64_e32 vcc, 0, v[4:5]
	v_not_b32_e32 v5, v5
	v_ashrrev_i32_e32 v5, 31, v5
	v_and_b32_e32 v98, v98, v99
	v_xor_b32_e32 v99, vcc_hi, v5
	v_xor_b32_e32 v5, vcc_lo, v5
	v_and_b32_e32 v97, v97, v5
	v_lshlrev_b32_e32 v5, 26, v96
	v_cmp_gt_i64_e32 vcc, 0, v[4:5]
	v_not_b32_e32 v5, v5
	v_ashrrev_i32_e32 v5, 31, v5
	v_and_b32_e32 v98, v98, v99
	v_xor_b32_e32 v99, vcc_hi, v5
	v_xor_b32_e32 v5, vcc_lo, v5
	v_and_b32_e32 v97, v97, v5
	v_lshlrev_b32_e32 v5, 25, v96
	v_cmp_gt_i64_e32 vcc, 0, v[4:5]
	v_not_b32_e32 v5, v5
	v_ashrrev_i32_e32 v5, 31, v5
	v_and_b32_e32 v98, v98, v99
	v_xor_b32_e32 v99, vcc_hi, v5
	v_xor_b32_e32 v5, vcc_lo, v5
	v_and_b32_e32 v98, v98, v99
	v_and_b32_e32 v99, v97, v5
	v_lshlrev_b32_e32 v5, 24, v96
	v_cmp_gt_i64_e32 vcc, 0, v[4:5]
	v_not_b32_e32 v5, v5
	v_ashrrev_i32_e32 v5, 31, v5
	v_xor_b32_e32 v96, vcc_hi, v5
	v_xor_b32_e32 v5, vcc_lo, v5
	v_and_b32_e32 v97, v98, v96
	v_and_b32_e32 v96, v99, v5
	v_mbcnt_lo_u32_b32 v5, v96, 0
	v_mbcnt_hi_u32_b32 v196, v97, v5
	v_cmp_eq_u32_e32 vcc, 0, v196
	v_cmp_ne_u64_e64 s[36:37], 0, v[96:97]
	s_and_b64 s[38:39], s[36:37], vcc
	; wave barrier
	s_and_saveexec_b64 s[36:37], s[38:39]
	s_cbranch_execz .LBB810_438
; %bb.437:                              ;   in Loop: Header=BB810_392 Depth=2
	v_bcnt_u32_b32 v5, v96, 0
	v_bcnt_u32_b32 v5, v97, v5
	s_waitcnt lgkmcnt(0)
	v_add_u32_e32 v5, v194, v5
	ds_write_b32 v195, v5
.LBB810_438:                            ;   in Loop: Header=BB810_392 Depth=2
	s_or_b64 exec, exec, s[36:37]
	s_waitcnt vmcnt(9)
	v_xor_b32_e32 v75, 0x80000000, v75
	v_lshrrev_b64 v[96:97], s33, v[74:75]
	v_and_b32_e32 v96, s69, v96
	v_mul_u32_u24_e32 v5, 5, v96
	v_add_lshl_u32 v5, v5, v181, 2
	; wave barrier
	v_add_u32_e32 v198, 0x410, v5
	ds_read_b32 v197, v5 offset:1040
	v_and_b32_e32 v5, 1, v96
	v_add_co_u32_e32 v97, vcc, -1, v5
	v_addc_co_u32_e64 v98, s[36:37], 0, -1, vcc
	v_cmp_ne_u32_e32 vcc, 0, v5
	v_xor_b32_e32 v5, vcc_hi, v98
	v_and_b32_e32 v98, exec_hi, v5
	v_lshlrev_b32_e32 v5, 30, v96
	v_xor_b32_e32 v97, vcc_lo, v97
	v_cmp_gt_i64_e32 vcc, 0, v[4:5]
	v_not_b32_e32 v5, v5
	v_ashrrev_i32_e32 v5, 31, v5
	v_and_b32_e32 v97, exec_lo, v97
	v_xor_b32_e32 v99, vcc_hi, v5
	v_xor_b32_e32 v5, vcc_lo, v5
	v_and_b32_e32 v97, v97, v5
	v_lshlrev_b32_e32 v5, 29, v96
	v_cmp_gt_i64_e32 vcc, 0, v[4:5]
	v_not_b32_e32 v5, v5
	v_ashrrev_i32_e32 v5, 31, v5
	v_and_b32_e32 v98, v98, v99
	v_xor_b32_e32 v99, vcc_hi, v5
	v_xor_b32_e32 v5, vcc_lo, v5
	v_and_b32_e32 v97, v97, v5
	v_lshlrev_b32_e32 v5, 28, v96
	v_cmp_gt_i64_e32 vcc, 0, v[4:5]
	v_not_b32_e32 v5, v5
	v_ashrrev_i32_e32 v5, 31, v5
	v_and_b32_e32 v98, v98, v99
	;; [unrolled: 8-line block ×5, first 2 shown]
	v_xor_b32_e32 v99, vcc_hi, v5
	v_xor_b32_e32 v5, vcc_lo, v5
	v_and_b32_e32 v98, v98, v99
	v_and_b32_e32 v99, v97, v5
	v_lshlrev_b32_e32 v5, 24, v96
	v_cmp_gt_i64_e32 vcc, 0, v[4:5]
	v_not_b32_e32 v5, v5
	v_ashrrev_i32_e32 v5, 31, v5
	v_xor_b32_e32 v96, vcc_hi, v5
	v_xor_b32_e32 v5, vcc_lo, v5
	v_and_b32_e32 v97, v98, v96
	v_and_b32_e32 v96, v99, v5
	v_mbcnt_lo_u32_b32 v5, v96, 0
	v_mbcnt_hi_u32_b32 v199, v97, v5
	v_cmp_eq_u32_e32 vcc, 0, v199
	v_cmp_ne_u64_e64 s[36:37], 0, v[96:97]
	s_and_b64 s[38:39], s[36:37], vcc
	; wave barrier
	s_and_saveexec_b64 s[36:37], s[38:39]
	s_cbranch_execz .LBB810_440
; %bb.439:                              ;   in Loop: Header=BB810_392 Depth=2
	v_bcnt_u32_b32 v5, v96, 0
	v_bcnt_u32_b32 v5, v97, v5
	s_waitcnt lgkmcnt(0)
	v_add_u32_e32 v5, v197, v5
	ds_write_b32 v198, v5
.LBB810_440:                            ;   in Loop: Header=BB810_392 Depth=2
	s_or_b64 exec, exec, s[36:37]
	s_waitcnt vmcnt(8)
	v_xor_b32_e32 v77, 0x80000000, v77
	v_lshrrev_b64 v[96:97], s33, v[76:77]
	v_and_b32_e32 v96, s69, v96
	v_mul_u32_u24_e32 v5, 5, v96
	v_add_lshl_u32 v5, v5, v181, 2
	; wave barrier
	v_add_u32_e32 v201, 0x410, v5
	ds_read_b32 v200, v5 offset:1040
	v_and_b32_e32 v5, 1, v96
	v_add_co_u32_e32 v97, vcc, -1, v5
	v_addc_co_u32_e64 v98, s[36:37], 0, -1, vcc
	v_cmp_ne_u32_e32 vcc, 0, v5
	v_xor_b32_e32 v5, vcc_hi, v98
	v_and_b32_e32 v98, exec_hi, v5
	v_lshlrev_b32_e32 v5, 30, v96
	v_xor_b32_e32 v97, vcc_lo, v97
	v_cmp_gt_i64_e32 vcc, 0, v[4:5]
	v_not_b32_e32 v5, v5
	v_ashrrev_i32_e32 v5, 31, v5
	v_and_b32_e32 v97, exec_lo, v97
	v_xor_b32_e32 v99, vcc_hi, v5
	v_xor_b32_e32 v5, vcc_lo, v5
	v_and_b32_e32 v97, v97, v5
	v_lshlrev_b32_e32 v5, 29, v96
	v_cmp_gt_i64_e32 vcc, 0, v[4:5]
	v_not_b32_e32 v5, v5
	v_ashrrev_i32_e32 v5, 31, v5
	v_and_b32_e32 v98, v98, v99
	v_xor_b32_e32 v99, vcc_hi, v5
	v_xor_b32_e32 v5, vcc_lo, v5
	v_and_b32_e32 v97, v97, v5
	v_lshlrev_b32_e32 v5, 28, v96
	v_cmp_gt_i64_e32 vcc, 0, v[4:5]
	v_not_b32_e32 v5, v5
	v_ashrrev_i32_e32 v5, 31, v5
	v_and_b32_e32 v98, v98, v99
	;; [unrolled: 8-line block ×5, first 2 shown]
	v_xor_b32_e32 v99, vcc_hi, v5
	v_xor_b32_e32 v5, vcc_lo, v5
	v_and_b32_e32 v98, v98, v99
	v_and_b32_e32 v99, v97, v5
	v_lshlrev_b32_e32 v5, 24, v96
	v_cmp_gt_i64_e32 vcc, 0, v[4:5]
	v_not_b32_e32 v5, v5
	v_ashrrev_i32_e32 v5, 31, v5
	v_xor_b32_e32 v96, vcc_hi, v5
	v_xor_b32_e32 v5, vcc_lo, v5
	v_and_b32_e32 v97, v98, v96
	v_and_b32_e32 v96, v99, v5
	v_mbcnt_lo_u32_b32 v5, v96, 0
	v_mbcnt_hi_u32_b32 v202, v97, v5
	v_cmp_eq_u32_e32 vcc, 0, v202
	v_cmp_ne_u64_e64 s[36:37], 0, v[96:97]
	s_and_b64 s[38:39], s[36:37], vcc
	; wave barrier
	s_and_saveexec_b64 s[36:37], s[38:39]
	s_cbranch_execz .LBB810_442
; %bb.441:                              ;   in Loop: Header=BB810_392 Depth=2
	v_bcnt_u32_b32 v5, v96, 0
	v_bcnt_u32_b32 v5, v97, v5
	s_waitcnt lgkmcnt(0)
	v_add_u32_e32 v5, v200, v5
	ds_write_b32 v201, v5
.LBB810_442:                            ;   in Loop: Header=BB810_392 Depth=2
	s_or_b64 exec, exec, s[36:37]
	s_waitcnt vmcnt(7)
	v_xor_b32_e32 v79, 0x80000000, v79
	v_lshrrev_b64 v[96:97], s33, v[78:79]
	v_and_b32_e32 v96, s69, v96
	v_mul_u32_u24_e32 v5, 5, v96
	v_add_lshl_u32 v5, v5, v181, 2
	; wave barrier
	v_add_u32_e32 v204, 0x410, v5
	ds_read_b32 v203, v5 offset:1040
	v_and_b32_e32 v5, 1, v96
	v_add_co_u32_e32 v97, vcc, -1, v5
	v_addc_co_u32_e64 v98, s[36:37], 0, -1, vcc
	v_cmp_ne_u32_e32 vcc, 0, v5
	v_xor_b32_e32 v5, vcc_hi, v98
	v_and_b32_e32 v98, exec_hi, v5
	v_lshlrev_b32_e32 v5, 30, v96
	v_xor_b32_e32 v97, vcc_lo, v97
	v_cmp_gt_i64_e32 vcc, 0, v[4:5]
	v_not_b32_e32 v5, v5
	v_ashrrev_i32_e32 v5, 31, v5
	v_and_b32_e32 v97, exec_lo, v97
	v_xor_b32_e32 v99, vcc_hi, v5
	v_xor_b32_e32 v5, vcc_lo, v5
	v_and_b32_e32 v97, v97, v5
	v_lshlrev_b32_e32 v5, 29, v96
	v_cmp_gt_i64_e32 vcc, 0, v[4:5]
	v_not_b32_e32 v5, v5
	v_ashrrev_i32_e32 v5, 31, v5
	v_and_b32_e32 v98, v98, v99
	v_xor_b32_e32 v99, vcc_hi, v5
	v_xor_b32_e32 v5, vcc_lo, v5
	v_and_b32_e32 v97, v97, v5
	v_lshlrev_b32_e32 v5, 28, v96
	v_cmp_gt_i64_e32 vcc, 0, v[4:5]
	v_not_b32_e32 v5, v5
	v_ashrrev_i32_e32 v5, 31, v5
	v_and_b32_e32 v98, v98, v99
	;; [unrolled: 8-line block ×5, first 2 shown]
	v_xor_b32_e32 v99, vcc_hi, v5
	v_xor_b32_e32 v5, vcc_lo, v5
	v_and_b32_e32 v98, v98, v99
	v_and_b32_e32 v99, v97, v5
	v_lshlrev_b32_e32 v5, 24, v96
	v_cmp_gt_i64_e32 vcc, 0, v[4:5]
	v_not_b32_e32 v5, v5
	v_ashrrev_i32_e32 v5, 31, v5
	v_xor_b32_e32 v96, vcc_hi, v5
	v_xor_b32_e32 v5, vcc_lo, v5
	v_and_b32_e32 v97, v98, v96
	v_and_b32_e32 v96, v99, v5
	v_mbcnt_lo_u32_b32 v5, v96, 0
	v_mbcnt_hi_u32_b32 v205, v97, v5
	v_cmp_eq_u32_e32 vcc, 0, v205
	v_cmp_ne_u64_e64 s[36:37], 0, v[96:97]
	s_and_b64 s[38:39], s[36:37], vcc
	; wave barrier
	s_and_saveexec_b64 s[36:37], s[38:39]
	s_cbranch_execz .LBB810_444
; %bb.443:                              ;   in Loop: Header=BB810_392 Depth=2
	v_bcnt_u32_b32 v5, v96, 0
	v_bcnt_u32_b32 v5, v97, v5
	s_waitcnt lgkmcnt(0)
	v_add_u32_e32 v5, v203, v5
	ds_write_b32 v204, v5
.LBB810_444:                            ;   in Loop: Header=BB810_392 Depth=2
	s_or_b64 exec, exec, s[36:37]
	s_waitcnt vmcnt(6)
	v_xor_b32_e32 v81, 0x80000000, v81
	v_lshrrev_b64 v[96:97], s33, v[80:81]
	v_and_b32_e32 v96, s69, v96
	v_mul_u32_u24_e32 v5, 5, v96
	v_add_lshl_u32 v5, v5, v181, 2
	; wave barrier
	v_add_u32_e32 v207, 0x410, v5
	ds_read_b32 v206, v5 offset:1040
	v_and_b32_e32 v5, 1, v96
	v_add_co_u32_e32 v97, vcc, -1, v5
	v_addc_co_u32_e64 v98, s[36:37], 0, -1, vcc
	v_cmp_ne_u32_e32 vcc, 0, v5
	v_xor_b32_e32 v5, vcc_hi, v98
	v_and_b32_e32 v98, exec_hi, v5
	v_lshlrev_b32_e32 v5, 30, v96
	v_xor_b32_e32 v97, vcc_lo, v97
	v_cmp_gt_i64_e32 vcc, 0, v[4:5]
	v_not_b32_e32 v5, v5
	v_ashrrev_i32_e32 v5, 31, v5
	v_and_b32_e32 v97, exec_lo, v97
	v_xor_b32_e32 v99, vcc_hi, v5
	v_xor_b32_e32 v5, vcc_lo, v5
	v_and_b32_e32 v97, v97, v5
	v_lshlrev_b32_e32 v5, 29, v96
	v_cmp_gt_i64_e32 vcc, 0, v[4:5]
	v_not_b32_e32 v5, v5
	v_ashrrev_i32_e32 v5, 31, v5
	v_and_b32_e32 v98, v98, v99
	v_xor_b32_e32 v99, vcc_hi, v5
	v_xor_b32_e32 v5, vcc_lo, v5
	v_and_b32_e32 v97, v97, v5
	v_lshlrev_b32_e32 v5, 28, v96
	v_cmp_gt_i64_e32 vcc, 0, v[4:5]
	v_not_b32_e32 v5, v5
	v_ashrrev_i32_e32 v5, 31, v5
	v_and_b32_e32 v98, v98, v99
	;; [unrolled: 8-line block ×5, first 2 shown]
	v_xor_b32_e32 v99, vcc_hi, v5
	v_xor_b32_e32 v5, vcc_lo, v5
	v_and_b32_e32 v98, v98, v99
	v_and_b32_e32 v99, v97, v5
	v_lshlrev_b32_e32 v5, 24, v96
	v_cmp_gt_i64_e32 vcc, 0, v[4:5]
	v_not_b32_e32 v5, v5
	v_ashrrev_i32_e32 v5, 31, v5
	v_xor_b32_e32 v96, vcc_hi, v5
	v_xor_b32_e32 v5, vcc_lo, v5
	v_and_b32_e32 v97, v98, v96
	v_and_b32_e32 v96, v99, v5
	v_mbcnt_lo_u32_b32 v5, v96, 0
	v_mbcnt_hi_u32_b32 v208, v97, v5
	v_cmp_eq_u32_e32 vcc, 0, v208
	v_cmp_ne_u64_e64 s[36:37], 0, v[96:97]
	s_and_b64 s[38:39], s[36:37], vcc
	; wave barrier
	s_and_saveexec_b64 s[36:37], s[38:39]
	s_cbranch_execz .LBB810_446
; %bb.445:                              ;   in Loop: Header=BB810_392 Depth=2
	v_bcnt_u32_b32 v5, v96, 0
	v_bcnt_u32_b32 v5, v97, v5
	s_waitcnt lgkmcnt(0)
	v_add_u32_e32 v5, v206, v5
	ds_write_b32 v207, v5
.LBB810_446:                            ;   in Loop: Header=BB810_392 Depth=2
	s_or_b64 exec, exec, s[36:37]
	s_waitcnt vmcnt(5)
	v_xor_b32_e32 v83, 0x80000000, v83
	v_lshrrev_b64 v[96:97], s33, v[82:83]
	v_and_b32_e32 v96, s69, v96
	v_mul_u32_u24_e32 v5, 5, v96
	v_add_lshl_u32 v5, v5, v181, 2
	; wave barrier
	v_add_u32_e32 v210, 0x410, v5
	ds_read_b32 v209, v5 offset:1040
	v_and_b32_e32 v5, 1, v96
	v_add_co_u32_e32 v97, vcc, -1, v5
	v_addc_co_u32_e64 v98, s[36:37], 0, -1, vcc
	v_cmp_ne_u32_e32 vcc, 0, v5
	v_xor_b32_e32 v5, vcc_hi, v98
	v_and_b32_e32 v98, exec_hi, v5
	v_lshlrev_b32_e32 v5, 30, v96
	v_xor_b32_e32 v97, vcc_lo, v97
	v_cmp_gt_i64_e32 vcc, 0, v[4:5]
	v_not_b32_e32 v5, v5
	v_ashrrev_i32_e32 v5, 31, v5
	v_and_b32_e32 v97, exec_lo, v97
	v_xor_b32_e32 v99, vcc_hi, v5
	v_xor_b32_e32 v5, vcc_lo, v5
	v_and_b32_e32 v97, v97, v5
	v_lshlrev_b32_e32 v5, 29, v96
	v_cmp_gt_i64_e32 vcc, 0, v[4:5]
	v_not_b32_e32 v5, v5
	v_ashrrev_i32_e32 v5, 31, v5
	v_and_b32_e32 v98, v98, v99
	v_xor_b32_e32 v99, vcc_hi, v5
	v_xor_b32_e32 v5, vcc_lo, v5
	v_and_b32_e32 v97, v97, v5
	v_lshlrev_b32_e32 v5, 28, v96
	v_cmp_gt_i64_e32 vcc, 0, v[4:5]
	v_not_b32_e32 v5, v5
	v_ashrrev_i32_e32 v5, 31, v5
	v_and_b32_e32 v98, v98, v99
	;; [unrolled: 8-line block ×5, first 2 shown]
	v_xor_b32_e32 v99, vcc_hi, v5
	v_xor_b32_e32 v5, vcc_lo, v5
	v_and_b32_e32 v98, v98, v99
	v_and_b32_e32 v99, v97, v5
	v_lshlrev_b32_e32 v5, 24, v96
	v_cmp_gt_i64_e32 vcc, 0, v[4:5]
	v_not_b32_e32 v5, v5
	v_ashrrev_i32_e32 v5, 31, v5
	v_xor_b32_e32 v96, vcc_hi, v5
	v_xor_b32_e32 v5, vcc_lo, v5
	v_and_b32_e32 v97, v98, v96
	v_and_b32_e32 v96, v99, v5
	v_mbcnt_lo_u32_b32 v5, v96, 0
	v_mbcnt_hi_u32_b32 v211, v97, v5
	v_cmp_eq_u32_e32 vcc, 0, v211
	v_cmp_ne_u64_e64 s[36:37], 0, v[96:97]
	s_and_b64 s[38:39], s[36:37], vcc
	; wave barrier
	s_and_saveexec_b64 s[36:37], s[38:39]
	s_cbranch_execz .LBB810_448
; %bb.447:                              ;   in Loop: Header=BB810_392 Depth=2
	v_bcnt_u32_b32 v5, v96, 0
	v_bcnt_u32_b32 v5, v97, v5
	s_waitcnt lgkmcnt(0)
	v_add_u32_e32 v5, v209, v5
	ds_write_b32 v210, v5
.LBB810_448:                            ;   in Loop: Header=BB810_392 Depth=2
	s_or_b64 exec, exec, s[36:37]
	s_waitcnt vmcnt(4)
	v_xor_b32_e32 v85, 0x80000000, v85
	v_lshrrev_b64 v[96:97], s33, v[84:85]
	v_and_b32_e32 v96, s69, v96
	v_mul_u32_u24_e32 v5, 5, v96
	v_add_lshl_u32 v5, v5, v181, 2
	; wave barrier
	v_add_u32_e32 v213, 0x410, v5
	ds_read_b32 v212, v5 offset:1040
	v_and_b32_e32 v5, 1, v96
	v_add_co_u32_e32 v97, vcc, -1, v5
	v_addc_co_u32_e64 v98, s[36:37], 0, -1, vcc
	v_cmp_ne_u32_e32 vcc, 0, v5
	v_xor_b32_e32 v5, vcc_hi, v98
	v_and_b32_e32 v98, exec_hi, v5
	v_lshlrev_b32_e32 v5, 30, v96
	v_xor_b32_e32 v97, vcc_lo, v97
	v_cmp_gt_i64_e32 vcc, 0, v[4:5]
	v_not_b32_e32 v5, v5
	v_ashrrev_i32_e32 v5, 31, v5
	v_and_b32_e32 v97, exec_lo, v97
	v_xor_b32_e32 v99, vcc_hi, v5
	v_xor_b32_e32 v5, vcc_lo, v5
	v_and_b32_e32 v97, v97, v5
	v_lshlrev_b32_e32 v5, 29, v96
	v_cmp_gt_i64_e32 vcc, 0, v[4:5]
	v_not_b32_e32 v5, v5
	v_ashrrev_i32_e32 v5, 31, v5
	v_and_b32_e32 v98, v98, v99
	v_xor_b32_e32 v99, vcc_hi, v5
	v_xor_b32_e32 v5, vcc_lo, v5
	v_and_b32_e32 v97, v97, v5
	v_lshlrev_b32_e32 v5, 28, v96
	v_cmp_gt_i64_e32 vcc, 0, v[4:5]
	v_not_b32_e32 v5, v5
	v_ashrrev_i32_e32 v5, 31, v5
	v_and_b32_e32 v98, v98, v99
	;; [unrolled: 8-line block ×5, first 2 shown]
	v_xor_b32_e32 v99, vcc_hi, v5
	v_xor_b32_e32 v5, vcc_lo, v5
	v_and_b32_e32 v98, v98, v99
	v_and_b32_e32 v99, v97, v5
	v_lshlrev_b32_e32 v5, 24, v96
	v_cmp_gt_i64_e32 vcc, 0, v[4:5]
	v_not_b32_e32 v5, v5
	v_ashrrev_i32_e32 v5, 31, v5
	v_xor_b32_e32 v96, vcc_hi, v5
	v_xor_b32_e32 v5, vcc_lo, v5
	v_and_b32_e32 v97, v98, v96
	v_and_b32_e32 v96, v99, v5
	v_mbcnt_lo_u32_b32 v5, v96, 0
	v_mbcnt_hi_u32_b32 v214, v97, v5
	v_cmp_eq_u32_e32 vcc, 0, v214
	v_cmp_ne_u64_e64 s[36:37], 0, v[96:97]
	s_and_b64 s[38:39], s[36:37], vcc
	; wave barrier
	s_and_saveexec_b64 s[36:37], s[38:39]
	s_cbranch_execz .LBB810_450
; %bb.449:                              ;   in Loop: Header=BB810_392 Depth=2
	v_bcnt_u32_b32 v5, v96, 0
	v_bcnt_u32_b32 v5, v97, v5
	s_waitcnt lgkmcnt(0)
	v_add_u32_e32 v5, v212, v5
	ds_write_b32 v213, v5
.LBB810_450:                            ;   in Loop: Header=BB810_392 Depth=2
	s_or_b64 exec, exec, s[36:37]
	s_waitcnt vmcnt(3)
	v_xor_b32_e32 v87, 0x80000000, v87
	v_lshrrev_b64 v[96:97], s33, v[86:87]
	v_and_b32_e32 v96, s69, v96
	v_mul_u32_u24_e32 v5, 5, v96
	v_add_lshl_u32 v5, v5, v181, 2
	; wave barrier
	v_add_u32_e32 v216, 0x410, v5
	ds_read_b32 v215, v5 offset:1040
	v_and_b32_e32 v5, 1, v96
	v_add_co_u32_e32 v97, vcc, -1, v5
	v_addc_co_u32_e64 v98, s[36:37], 0, -1, vcc
	v_cmp_ne_u32_e32 vcc, 0, v5
	v_xor_b32_e32 v5, vcc_hi, v98
	v_and_b32_e32 v98, exec_hi, v5
	v_lshlrev_b32_e32 v5, 30, v96
	v_xor_b32_e32 v97, vcc_lo, v97
	v_cmp_gt_i64_e32 vcc, 0, v[4:5]
	v_not_b32_e32 v5, v5
	v_ashrrev_i32_e32 v5, 31, v5
	v_and_b32_e32 v97, exec_lo, v97
	v_xor_b32_e32 v99, vcc_hi, v5
	v_xor_b32_e32 v5, vcc_lo, v5
	v_and_b32_e32 v97, v97, v5
	v_lshlrev_b32_e32 v5, 29, v96
	v_cmp_gt_i64_e32 vcc, 0, v[4:5]
	v_not_b32_e32 v5, v5
	v_ashrrev_i32_e32 v5, 31, v5
	v_and_b32_e32 v98, v98, v99
	v_xor_b32_e32 v99, vcc_hi, v5
	v_xor_b32_e32 v5, vcc_lo, v5
	v_and_b32_e32 v97, v97, v5
	v_lshlrev_b32_e32 v5, 28, v96
	v_cmp_gt_i64_e32 vcc, 0, v[4:5]
	v_not_b32_e32 v5, v5
	v_ashrrev_i32_e32 v5, 31, v5
	v_and_b32_e32 v98, v98, v99
	;; [unrolled: 8-line block ×5, first 2 shown]
	v_xor_b32_e32 v99, vcc_hi, v5
	v_xor_b32_e32 v5, vcc_lo, v5
	v_and_b32_e32 v98, v98, v99
	v_and_b32_e32 v99, v97, v5
	v_lshlrev_b32_e32 v5, 24, v96
	v_cmp_gt_i64_e32 vcc, 0, v[4:5]
	v_not_b32_e32 v5, v5
	v_ashrrev_i32_e32 v5, 31, v5
	v_xor_b32_e32 v96, vcc_hi, v5
	v_xor_b32_e32 v5, vcc_lo, v5
	v_and_b32_e32 v97, v98, v96
	v_and_b32_e32 v96, v99, v5
	v_mbcnt_lo_u32_b32 v5, v96, 0
	v_mbcnt_hi_u32_b32 v217, v97, v5
	v_cmp_eq_u32_e32 vcc, 0, v217
	v_cmp_ne_u64_e64 s[36:37], 0, v[96:97]
	s_and_b64 s[38:39], s[36:37], vcc
	; wave barrier
	s_and_saveexec_b64 s[36:37], s[38:39]
	s_cbranch_execz .LBB810_452
; %bb.451:                              ;   in Loop: Header=BB810_392 Depth=2
	v_bcnt_u32_b32 v5, v96, 0
	v_bcnt_u32_b32 v5, v97, v5
	s_waitcnt lgkmcnt(0)
	v_add_u32_e32 v5, v215, v5
	ds_write_b32 v216, v5
.LBB810_452:                            ;   in Loop: Header=BB810_392 Depth=2
	s_or_b64 exec, exec, s[36:37]
	s_waitcnt vmcnt(2)
	v_xor_b32_e32 v89, 0x80000000, v89
	v_lshrrev_b64 v[96:97], s33, v[88:89]
	v_and_b32_e32 v96, s69, v96
	v_mul_u32_u24_e32 v5, 5, v96
	v_add_lshl_u32 v5, v5, v181, 2
	; wave barrier
	v_add_u32_e32 v219, 0x410, v5
	ds_read_b32 v218, v5 offset:1040
	v_and_b32_e32 v5, 1, v96
	v_add_co_u32_e32 v97, vcc, -1, v5
	v_addc_co_u32_e64 v98, s[36:37], 0, -1, vcc
	v_cmp_ne_u32_e32 vcc, 0, v5
	v_xor_b32_e32 v5, vcc_hi, v98
	v_and_b32_e32 v98, exec_hi, v5
	v_lshlrev_b32_e32 v5, 30, v96
	v_xor_b32_e32 v97, vcc_lo, v97
	v_cmp_gt_i64_e32 vcc, 0, v[4:5]
	v_not_b32_e32 v5, v5
	v_ashrrev_i32_e32 v5, 31, v5
	v_and_b32_e32 v97, exec_lo, v97
	v_xor_b32_e32 v99, vcc_hi, v5
	v_xor_b32_e32 v5, vcc_lo, v5
	v_and_b32_e32 v97, v97, v5
	v_lshlrev_b32_e32 v5, 29, v96
	v_cmp_gt_i64_e32 vcc, 0, v[4:5]
	v_not_b32_e32 v5, v5
	v_ashrrev_i32_e32 v5, 31, v5
	v_and_b32_e32 v98, v98, v99
	v_xor_b32_e32 v99, vcc_hi, v5
	v_xor_b32_e32 v5, vcc_lo, v5
	v_and_b32_e32 v97, v97, v5
	v_lshlrev_b32_e32 v5, 28, v96
	v_cmp_gt_i64_e32 vcc, 0, v[4:5]
	v_not_b32_e32 v5, v5
	v_ashrrev_i32_e32 v5, 31, v5
	v_and_b32_e32 v98, v98, v99
	v_xor_b32_e32 v99, vcc_hi, v5
	v_xor_b32_e32 v5, vcc_lo, v5
	v_and_b32_e32 v97, v97, v5
	v_lshlrev_b32_e32 v5, 27, v96
	v_cmp_gt_i64_e32 vcc, 0, v[4:5]
	v_not_b32_e32 v5, v5
	v_ashrrev_i32_e32 v5, 31, v5
	v_and_b32_e32 v98, v98, v99
	v_xor_b32_e32 v99, vcc_hi, v5
	v_xor_b32_e32 v5, vcc_lo, v5
	v_and_b32_e32 v97, v97, v5
	v_lshlrev_b32_e32 v5, 26, v96
	v_cmp_gt_i64_e32 vcc, 0, v[4:5]
	v_not_b32_e32 v5, v5
	v_ashrrev_i32_e32 v5, 31, v5
	v_and_b32_e32 v98, v98, v99
	v_xor_b32_e32 v99, vcc_hi, v5
	v_xor_b32_e32 v5, vcc_lo, v5
	v_and_b32_e32 v97, v97, v5
	v_lshlrev_b32_e32 v5, 25, v96
	v_cmp_gt_i64_e32 vcc, 0, v[4:5]
	v_not_b32_e32 v5, v5
	v_ashrrev_i32_e32 v5, 31, v5
	v_and_b32_e32 v98, v98, v99
	v_xor_b32_e32 v99, vcc_hi, v5
	v_xor_b32_e32 v5, vcc_lo, v5
	v_and_b32_e32 v98, v98, v99
	v_and_b32_e32 v99, v97, v5
	v_lshlrev_b32_e32 v5, 24, v96
	v_cmp_gt_i64_e32 vcc, 0, v[4:5]
	v_not_b32_e32 v5, v5
	v_ashrrev_i32_e32 v5, 31, v5
	v_xor_b32_e32 v96, vcc_hi, v5
	v_xor_b32_e32 v5, vcc_lo, v5
	v_and_b32_e32 v97, v98, v96
	v_and_b32_e32 v96, v99, v5
	v_mbcnt_lo_u32_b32 v5, v96, 0
	v_mbcnt_hi_u32_b32 v220, v97, v5
	v_cmp_eq_u32_e32 vcc, 0, v220
	v_cmp_ne_u64_e64 s[36:37], 0, v[96:97]
	s_and_b64 s[38:39], s[36:37], vcc
	; wave barrier
	s_and_saveexec_b64 s[36:37], s[38:39]
	s_cbranch_execz .LBB810_454
; %bb.453:                              ;   in Loop: Header=BB810_392 Depth=2
	v_bcnt_u32_b32 v5, v96, 0
	v_bcnt_u32_b32 v5, v97, v5
	s_waitcnt lgkmcnt(0)
	v_add_u32_e32 v5, v218, v5
	ds_write_b32 v219, v5
.LBB810_454:                            ;   in Loop: Header=BB810_392 Depth=2
	s_or_b64 exec, exec, s[36:37]
	s_waitcnt vmcnt(1)
	v_xor_b32_e32 v91, 0x80000000, v91
	v_lshrrev_b64 v[96:97], s33, v[90:91]
	v_and_b32_e32 v96, s69, v96
	v_mul_u32_u24_e32 v5, 5, v96
	v_add_lshl_u32 v5, v5, v181, 2
	; wave barrier
	v_add_u32_e32 v222, 0x410, v5
	ds_read_b32 v221, v5 offset:1040
	v_and_b32_e32 v5, 1, v96
	v_add_co_u32_e32 v97, vcc, -1, v5
	v_addc_co_u32_e64 v98, s[36:37], 0, -1, vcc
	v_cmp_ne_u32_e32 vcc, 0, v5
	v_xor_b32_e32 v5, vcc_hi, v98
	v_and_b32_e32 v98, exec_hi, v5
	v_lshlrev_b32_e32 v5, 30, v96
	v_xor_b32_e32 v97, vcc_lo, v97
	v_cmp_gt_i64_e32 vcc, 0, v[4:5]
	v_not_b32_e32 v5, v5
	v_ashrrev_i32_e32 v5, 31, v5
	v_and_b32_e32 v97, exec_lo, v97
	v_xor_b32_e32 v99, vcc_hi, v5
	v_xor_b32_e32 v5, vcc_lo, v5
	v_and_b32_e32 v97, v97, v5
	v_lshlrev_b32_e32 v5, 29, v96
	v_cmp_gt_i64_e32 vcc, 0, v[4:5]
	v_not_b32_e32 v5, v5
	v_ashrrev_i32_e32 v5, 31, v5
	v_and_b32_e32 v98, v98, v99
	v_xor_b32_e32 v99, vcc_hi, v5
	v_xor_b32_e32 v5, vcc_lo, v5
	v_and_b32_e32 v97, v97, v5
	v_lshlrev_b32_e32 v5, 28, v96
	v_cmp_gt_i64_e32 vcc, 0, v[4:5]
	v_not_b32_e32 v5, v5
	v_ashrrev_i32_e32 v5, 31, v5
	v_and_b32_e32 v98, v98, v99
	;; [unrolled: 8-line block ×5, first 2 shown]
	v_xor_b32_e32 v99, vcc_hi, v5
	v_xor_b32_e32 v5, vcc_lo, v5
	v_and_b32_e32 v98, v98, v99
	v_and_b32_e32 v99, v97, v5
	v_lshlrev_b32_e32 v5, 24, v96
	v_cmp_gt_i64_e32 vcc, 0, v[4:5]
	v_not_b32_e32 v5, v5
	v_ashrrev_i32_e32 v5, 31, v5
	v_xor_b32_e32 v96, vcc_hi, v5
	v_xor_b32_e32 v5, vcc_lo, v5
	v_and_b32_e32 v97, v98, v96
	v_and_b32_e32 v96, v99, v5
	v_mbcnt_lo_u32_b32 v5, v96, 0
	v_mbcnt_hi_u32_b32 v223, v97, v5
	v_cmp_eq_u32_e32 vcc, 0, v223
	v_cmp_ne_u64_e64 s[36:37], 0, v[96:97]
	s_and_b64 s[38:39], s[36:37], vcc
	; wave barrier
	s_and_saveexec_b64 s[36:37], s[38:39]
	s_cbranch_execz .LBB810_456
; %bb.455:                              ;   in Loop: Header=BB810_392 Depth=2
	v_bcnt_u32_b32 v5, v96, 0
	v_bcnt_u32_b32 v5, v97, v5
	s_waitcnt lgkmcnt(0)
	v_add_u32_e32 v5, v221, v5
	ds_write_b32 v222, v5
.LBB810_456:                            ;   in Loop: Header=BB810_392 Depth=2
	s_or_b64 exec, exec, s[36:37]
	s_waitcnt vmcnt(0)
	v_xor_b32_e32 v93, 0x80000000, v93
	v_lshrrev_b64 v[96:97], s33, v[92:93]
	v_and_b32_e32 v96, s69, v96
	v_mul_u32_u24_e32 v5, 5, v96
	v_add_lshl_u32 v5, v5, v181, 2
	; wave barrier
	v_add_u32_e32 v225, 0x410, v5
	ds_read_b32 v224, v5 offset:1040
	v_and_b32_e32 v5, 1, v96
	v_add_co_u32_e32 v97, vcc, -1, v5
	v_addc_co_u32_e64 v98, s[36:37], 0, -1, vcc
	v_cmp_ne_u32_e32 vcc, 0, v5
	v_xor_b32_e32 v5, vcc_hi, v98
	v_and_b32_e32 v98, exec_hi, v5
	v_lshlrev_b32_e32 v5, 30, v96
	v_xor_b32_e32 v97, vcc_lo, v97
	v_cmp_gt_i64_e32 vcc, 0, v[4:5]
	v_not_b32_e32 v5, v5
	v_ashrrev_i32_e32 v5, 31, v5
	v_and_b32_e32 v97, exec_lo, v97
	v_xor_b32_e32 v99, vcc_hi, v5
	v_xor_b32_e32 v5, vcc_lo, v5
	v_and_b32_e32 v97, v97, v5
	v_lshlrev_b32_e32 v5, 29, v96
	v_cmp_gt_i64_e32 vcc, 0, v[4:5]
	v_not_b32_e32 v5, v5
	v_ashrrev_i32_e32 v5, 31, v5
	v_and_b32_e32 v98, v98, v99
	v_xor_b32_e32 v99, vcc_hi, v5
	v_xor_b32_e32 v5, vcc_lo, v5
	v_and_b32_e32 v97, v97, v5
	v_lshlrev_b32_e32 v5, 28, v96
	v_cmp_gt_i64_e32 vcc, 0, v[4:5]
	v_not_b32_e32 v5, v5
	v_ashrrev_i32_e32 v5, 31, v5
	v_and_b32_e32 v98, v98, v99
	;; [unrolled: 8-line block ×5, first 2 shown]
	v_xor_b32_e32 v99, vcc_hi, v5
	v_xor_b32_e32 v5, vcc_lo, v5
	v_and_b32_e32 v98, v98, v99
	v_and_b32_e32 v99, v97, v5
	v_lshlrev_b32_e32 v5, 24, v96
	v_cmp_gt_i64_e32 vcc, 0, v[4:5]
	v_not_b32_e32 v5, v5
	v_ashrrev_i32_e32 v5, 31, v5
	v_xor_b32_e32 v96, vcc_hi, v5
	v_xor_b32_e32 v5, vcc_lo, v5
	v_and_b32_e32 v97, v98, v96
	v_and_b32_e32 v96, v99, v5
	v_mbcnt_lo_u32_b32 v5, v96, 0
	v_mbcnt_hi_u32_b32 v226, v97, v5
	v_cmp_eq_u32_e32 vcc, 0, v226
	v_cmp_ne_u64_e64 s[36:37], 0, v[96:97]
	s_and_b64 s[38:39], s[36:37], vcc
	; wave barrier
	s_and_saveexec_b64 s[36:37], s[38:39]
	s_cbranch_execz .LBB810_458
; %bb.457:                              ;   in Loop: Header=BB810_392 Depth=2
	v_bcnt_u32_b32 v5, v96, 0
	v_bcnt_u32_b32 v5, v97, v5
	s_waitcnt lgkmcnt(0)
	v_add_u32_e32 v5, v224, v5
	ds_write_b32 v225, v5
.LBB810_458:                            ;   in Loop: Header=BB810_392 Depth=2
	s_or_b64 exec, exec, s[36:37]
	v_xor_b32_e32 v95, 0x80000000, v95
	v_lshrrev_b64 v[96:97], s33, v[94:95]
	v_and_b32_e32 v96, s69, v96
	v_mul_u32_u24_e32 v5, 5, v96
	v_add_lshl_u32 v5, v5, v181, 2
	; wave barrier
	v_add_u32_e32 v228, 0x410, v5
	ds_read_b32 v227, v5 offset:1040
	v_and_b32_e32 v5, 1, v96
	v_add_co_u32_e32 v97, vcc, -1, v5
	v_addc_co_u32_e64 v98, s[36:37], 0, -1, vcc
	v_cmp_ne_u32_e32 vcc, 0, v5
	v_xor_b32_e32 v5, vcc_hi, v98
	v_and_b32_e32 v98, exec_hi, v5
	v_lshlrev_b32_e32 v5, 30, v96
	v_xor_b32_e32 v97, vcc_lo, v97
	v_cmp_gt_i64_e32 vcc, 0, v[4:5]
	v_not_b32_e32 v5, v5
	v_ashrrev_i32_e32 v5, 31, v5
	v_and_b32_e32 v97, exec_lo, v97
	v_xor_b32_e32 v99, vcc_hi, v5
	v_xor_b32_e32 v5, vcc_lo, v5
	v_and_b32_e32 v97, v97, v5
	v_lshlrev_b32_e32 v5, 29, v96
	v_cmp_gt_i64_e32 vcc, 0, v[4:5]
	v_not_b32_e32 v5, v5
	v_ashrrev_i32_e32 v5, 31, v5
	v_and_b32_e32 v98, v98, v99
	v_xor_b32_e32 v99, vcc_hi, v5
	v_xor_b32_e32 v5, vcc_lo, v5
	v_and_b32_e32 v97, v97, v5
	v_lshlrev_b32_e32 v5, 28, v96
	v_cmp_gt_i64_e32 vcc, 0, v[4:5]
	v_not_b32_e32 v5, v5
	v_ashrrev_i32_e32 v5, 31, v5
	v_and_b32_e32 v98, v98, v99
	;; [unrolled: 8-line block ×5, first 2 shown]
	v_xor_b32_e32 v99, vcc_hi, v5
	v_xor_b32_e32 v5, vcc_lo, v5
	v_and_b32_e32 v98, v98, v99
	v_and_b32_e32 v99, v97, v5
	v_lshlrev_b32_e32 v5, 24, v96
	v_cmp_gt_i64_e32 vcc, 0, v[4:5]
	v_not_b32_e32 v5, v5
	v_ashrrev_i32_e32 v5, 31, v5
	v_xor_b32_e32 v96, vcc_hi, v5
	v_xor_b32_e32 v5, vcc_lo, v5
	v_and_b32_e32 v97, v98, v96
	v_and_b32_e32 v96, v99, v5
	v_mbcnt_lo_u32_b32 v5, v96, 0
	v_mbcnt_hi_u32_b32 v229, v97, v5
	v_cmp_eq_u32_e32 vcc, 0, v229
	v_cmp_ne_u64_e64 s[36:37], 0, v[96:97]
	s_and_b64 s[38:39], s[36:37], vcc
	; wave barrier
	s_and_saveexec_b64 s[36:37], s[38:39]
	s_cbranch_execz .LBB810_460
; %bb.459:                              ;   in Loop: Header=BB810_392 Depth=2
	v_bcnt_u32_b32 v5, v96, 0
	v_bcnt_u32_b32 v5, v97, v5
	s_waitcnt lgkmcnt(0)
	v_add_u32_e32 v5, v227, v5
	ds_write_b32 v228, v5
.LBB810_460:                            ;   in Loop: Header=BB810_392 Depth=2
	s_or_b64 exec, exec, s[36:37]
	; wave barrier
	s_waitcnt lgkmcnt(0)
	s_barrier
	ds_read_b32 v5, v27 offset:1040
	ds_read2_b32 v[98:99], v31 offset0:1 offset1:2
	ds_read2_b32 v[96:97], v31 offset0:3 offset1:4
	s_waitcnt lgkmcnt(1)
	v_add3_u32 v230, v98, v5, v99
	s_waitcnt lgkmcnt(0)
	v_add3_u32 v97, v230, v96, v97
	s_nop 1
	v_mov_b32_dpp v230, v97 row_shr:1 row_mask:0xf bank_mask:0xf
	v_cndmask_b32_e64 v230, v230, 0, s[16:17]
	v_add_u32_e32 v97, v230, v97
	s_nop 1
	v_mov_b32_dpp v230, v97 row_shr:2 row_mask:0xf bank_mask:0xf
	v_cndmask_b32_e64 v230, 0, v230, s[18:19]
	v_add_u32_e32 v97, v97, v230
	;; [unrolled: 4-line block ×4, first 2 shown]
	s_nop 1
	v_mov_b32_dpp v230, v97 row_bcast:15 row_mask:0xf bank_mask:0xf
	v_cndmask_b32_e64 v230, v230, 0, s[24:25]
	v_add_u32_e32 v97, v97, v230
	s_nop 1
	v_mov_b32_dpp v230, v97 row_bcast:31 row_mask:0xf bank_mask:0xf
	v_cndmask_b32_e64 v230, 0, v230, s[26:27]
	v_add_u32_e32 v97, v97, v230
	s_and_saveexec_b64 s[36:37], s[6:7]
	s_cbranch_execz .LBB810_462
; %bb.461:                              ;   in Loop: Header=BB810_392 Depth=2
	ds_write_b32 v15, v97 offset:1024
.LBB810_462:                            ;   in Loop: Header=BB810_392 Depth=2
	s_or_b64 exec, exec, s[36:37]
	s_waitcnt lgkmcnt(0)
	s_barrier
	s_and_saveexec_b64 s[36:37], s[8:9]
	s_cbranch_execz .LBB810_464
; %bb.463:                              ;   in Loop: Header=BB810_392 Depth=2
	ds_read_b32 v230, v33 offset:1024
	s_waitcnt lgkmcnt(0)
	s_nop 0
	v_mov_b32_dpp v231, v230 row_shr:1 row_mask:0xf bank_mask:0xf
	v_cndmask_b32_e64 v231, v231, 0, s[30:31]
	v_add_u32_e32 v230, v231, v230
	s_nop 1
	v_mov_b32_dpp v231, v230 row_shr:2 row_mask:0xf bank_mask:0xf
	v_cndmask_b32_e64 v231, 0, v231, s[34:35]
	v_add_u32_e32 v230, v230, v231
	ds_write_b32 v33, v230 offset:1024
.LBB810_464:                            ;   in Loop: Header=BB810_392 Depth=2
	s_or_b64 exec, exec, s[36:37]
	v_mov_b32_e32 v230, 0
	s_waitcnt lgkmcnt(0)
	s_barrier
	s_and_saveexec_b64 s[36:37], s[10:11]
	s_cbranch_execz .LBB810_466
; %bb.465:                              ;   in Loop: Header=BB810_392 Depth=2
	ds_read_b32 v230, v15 offset:1020
.LBB810_466:                            ;   in Loop: Header=BB810_392 Depth=2
	s_or_b64 exec, exec, s[36:37]
	s_waitcnt lgkmcnt(0)
	v_add_u32_e32 v97, v230, v97
	ds_bpermute_b32 v97, v158, v97
	s_waitcnt lgkmcnt(0)
	v_cndmask_b32_e64 v97, v97, v230, s[28:29]
	v_cndmask_b32_e64 v97, v97, 0, s[12:13]
	v_add_u32_e32 v5, v97, v5
	ds_write_b32 v27, v97 offset:1040
	v_add_u32_e32 v97, v5, v98
	v_add_u32_e32 v98, v97, v99
	ds_write2_b32 v31, v5, v97 offset0:1 offset1:2
	v_add_u32_e32 v5, v98, v96
	ds_write2_b32 v31, v98, v5 offset0:3 offset1:4
	s_waitcnt lgkmcnt(0)
	s_barrier
	ds_read_b32 v97, v186
	ds_read_b32 v234, v189
	;; [unrolled: 1-line block ×16, first 2 shown]
	ds_read_b32 v183, v27 offset:1040
	v_mov_b32_e32 v5, 0x1000
	s_and_saveexec_b64 s[36:37], s[14:15]
	s_cbranch_execz .LBB810_468
; %bb.467:                              ;   in Loop: Header=BB810_392 Depth=2
	ds_read_b32 v5, v27 offset:1060
.LBB810_468:                            ;   in Loop: Header=BB810_392 Depth=2
	s_or_b64 exec, exec, s[36:37]
	s_waitcnt lgkmcnt(0)
	s_barrier
	s_and_saveexec_b64 s[36:37], s[4:5]
	s_cbranch_execz .LBB810_470
; %bb.469:                              ;   in Loop: Header=BB810_392 Depth=2
	ds_read_b32 v207, v3
	s_waitcnt lgkmcnt(0)
	v_sub_u32_e32 v183, v207, v183
	ds_write_b32 v3, v183
.LBB810_470:                            ;   in Loop: Header=BB810_392 Depth=2
	s_or_b64 exec, exec, s[36:37]
	v_add_u32_e32 v185, v187, v185
	v_add_u32_e32 v191, v193, v191
	;; [unrolled: 1-line block ×3, first 2 shown]
	v_add_lshl_u32 v96, v96, v184, 3
	v_add_lshl_u32 v97, v185, v97, 3
	v_add_u32_e32 v203, v205, v203
	v_add_u32_e32 v200, v202, v200
	;; [unrolled: 1-line block ×4, first 2 shown]
	ds_write_b64 v96, v[64:65] offset:1024
	ds_write_b64 v97, v[66:67] offset:1024
	v_add_lshl_u32 v66, v188, v234, 3
	v_add_lshl_u32 v67, v191, v233, 3
	v_add_u32_e32 v183, v229, v227
	v_add_u32_e32 v207, v226, v224
	;; [unrolled: 1-line block ×8, first 2 shown]
	ds_write_b64 v66, v[68:69] offset:1024
	ds_write_b64 v67, v[70:71] offset:1024
	v_add_lshl_u32 v68, v194, v232, 3
	v_add_lshl_u32 v69, v197, v231, 3
	;; [unrolled: 1-line block ×4, first 2 shown]
	ds_write_b64 v68, v[72:73] offset:1024
	ds_write_b64 v69, v[74:75] offset:1024
	;; [unrolled: 1-line block ×4, first 2 shown]
	v_add_lshl_u32 v72, v206, v201, 3
	v_add_lshl_u32 v73, v209, v198, 3
	;; [unrolled: 1-line block ×8, first 2 shown]
	v_cmp_lt_u32_e64 s[36:37], v2, v182
	ds_write_b64 v72, v[80:81] offset:1024
	ds_write_b64 v73, v[82:83] offset:1024
	;; [unrolled: 1-line block ×8, first 2 shown]
	s_waitcnt lgkmcnt(0)
	s_barrier
	s_and_saveexec_b64 s[38:39], s[36:37]
	s_cbranch_execz .LBB810_486
; %bb.471:                              ;   in Loop: Header=BB810_392 Depth=2
	v_add_u32_e32 v64, v33, v3
	ds_read_b64 v[64:65], v64 offset:1024
	v_mov_b32_e32 v82, s77
	s_waitcnt lgkmcnt(0)
	v_lshrrev_b64 v[80:81], s33, v[64:65]
	v_and_b32_e32 v80, s69, v80
	v_lshlrev_b32_e32 v80, 2, v80
	ds_read_b32 v80, v80
	v_mov_b32_e32 v81, v4
	v_xor_b32_e32 v65, 0x80000000, v65
	s_waitcnt lgkmcnt(0)
	v_add_u32_e32 v80, v80, v2
	v_lshlrev_b64 v[80:81], 3, v[80:81]
	v_add_co_u32_e32 v80, vcc, s76, v80
	v_addc_co_u32_e32 v81, vcc, v82, v81, vcc
	global_store_dwordx2 v[80:81], v[64:65], off
	s_or_b64 exec, exec, s[38:39]
	v_cmp_lt_u32_e64 s[38:39], v7, v182
	s_and_saveexec_b64 s[40:41], s[38:39]
	s_cbranch_execnz .LBB810_487
.LBB810_472:                            ;   in Loop: Header=BB810_392 Depth=2
	s_or_b64 exec, exec, s[40:41]
	v_cmp_lt_u32_e64 s[40:41], v6, v182
	s_and_saveexec_b64 s[42:43], s[40:41]
	s_cbranch_execz .LBB810_488
.LBB810_473:                            ;   in Loop: Header=BB810_392 Depth=2
	ds_read_b64 v[64:65], v104 offset:4096
	v_mov_b32_e32 v82, s77
	s_waitcnt lgkmcnt(0)
	v_lshrrev_b64 v[80:81], s33, v[64:65]
	v_and_b32_e32 v80, s69, v80
	v_lshlrev_b32_e32 v80, 2, v80
	ds_read_b32 v80, v80
	v_mov_b32_e32 v81, v4
	v_xor_b32_e32 v65, 0x80000000, v65
	s_waitcnt lgkmcnt(0)
	v_add_u32_e32 v80, v80, v6
	v_lshlrev_b64 v[80:81], 3, v[80:81]
	v_add_co_u32_e32 v80, vcc, s76, v80
	v_addc_co_u32_e32 v81, vcc, v82, v81, vcc
	global_store_dwordx2 v[80:81], v[64:65], off
	s_or_b64 exec, exec, s[42:43]
	v_cmp_lt_u32_e64 s[42:43], v8, v182
	s_and_saveexec_b64 s[44:45], s[42:43]
	s_cbranch_execnz .LBB810_489
.LBB810_474:                            ;   in Loop: Header=BB810_392 Depth=2
	s_or_b64 exec, exec, s[44:45]
	v_cmp_lt_u32_e64 s[44:45], v10, v182
	s_and_saveexec_b64 s[46:47], s[44:45]
	s_cbranch_execz .LBB810_490
.LBB810_475:                            ;   in Loop: Header=BB810_392 Depth=2
	ds_read_b64 v[64:65], v104 offset:8192
	v_mov_b32_e32 v82, s77
	s_waitcnt lgkmcnt(0)
	v_lshrrev_b64 v[80:81], s33, v[64:65]
	v_and_b32_e32 v80, s69, v80
	v_lshlrev_b32_e32 v80, 2, v80
	ds_read_b32 v80, v80
	v_mov_b32_e32 v81, v4
	v_xor_b32_e32 v65, 0x80000000, v65
	s_waitcnt lgkmcnt(0)
	v_add_u32_e32 v80, v80, v10
	v_lshlrev_b64 v[80:81], 3, v[80:81]
	v_add_co_u32_e32 v80, vcc, s76, v80
	v_addc_co_u32_e32 v81, vcc, v82, v81, vcc
	global_store_dwordx2 v[80:81], v[64:65], off
	s_or_b64 exec, exec, s[46:47]
	v_cmp_lt_u32_e64 s[46:47], v12, v182
	s_and_saveexec_b64 s[48:49], s[46:47]
	s_cbranch_execnz .LBB810_491
.LBB810_476:                            ;   in Loop: Header=BB810_392 Depth=2
	s_or_b64 exec, exec, s[48:49]
	v_cmp_lt_u32_e64 s[48:49], v14, v182
	s_and_saveexec_b64 s[50:51], s[48:49]
	s_cbranch_execz .LBB810_492
.LBB810_477:                            ;   in Loop: Header=BB810_392 Depth=2
	ds_read_b64 v[64:65], v104 offset:12288
	v_mov_b32_e32 v82, s77
	s_waitcnt lgkmcnt(0)
	v_lshrrev_b64 v[80:81], s33, v[64:65]
	v_and_b32_e32 v80, s69, v80
	v_lshlrev_b32_e32 v80, 2, v80
	ds_read_b32 v80, v80
	v_mov_b32_e32 v81, v4
	v_xor_b32_e32 v65, 0x80000000, v65
	s_waitcnt lgkmcnt(0)
	v_add_u32_e32 v80, v80, v14
	v_lshlrev_b64 v[80:81], 3, v[80:81]
	v_add_co_u32_e32 v80, vcc, s76, v80
	v_addc_co_u32_e32 v81, vcc, v82, v81, vcc
	global_store_dwordx2 v[80:81], v[64:65], off
	s_or_b64 exec, exec, s[50:51]
	v_cmp_lt_u32_e64 s[50:51], v16, v182
	s_and_saveexec_b64 s[52:53], s[50:51]
	s_cbranch_execnz .LBB810_493
.LBB810_478:                            ;   in Loop: Header=BB810_392 Depth=2
	s_or_b64 exec, exec, s[52:53]
	v_cmp_lt_u32_e64 s[52:53], v18, v182
	s_and_saveexec_b64 s[54:55], s[52:53]
	s_cbranch_execz .LBB810_494
.LBB810_479:                            ;   in Loop: Header=BB810_392 Depth=2
	ds_read_b64 v[64:65], v104 offset:16384
	v_mov_b32_e32 v82, s77
	s_waitcnt lgkmcnt(0)
	v_lshrrev_b64 v[80:81], s33, v[64:65]
	v_and_b32_e32 v80, s69, v80
	v_lshlrev_b32_e32 v80, 2, v80
	ds_read_b32 v80, v80
	v_mov_b32_e32 v81, v4
	v_xor_b32_e32 v65, 0x80000000, v65
	s_waitcnt lgkmcnt(0)
	v_add_u32_e32 v80, v80, v18
	v_lshlrev_b64 v[80:81], 3, v[80:81]
	v_add_co_u32_e32 v80, vcc, s76, v80
	v_addc_co_u32_e32 v81, vcc, v82, v81, vcc
	global_store_dwordx2 v[80:81], v[64:65], off
	s_or_b64 exec, exec, s[54:55]
	v_cmp_lt_u32_e64 s[54:55], v20, v182
	s_and_saveexec_b64 s[56:57], s[54:55]
	s_cbranch_execnz .LBB810_495
.LBB810_480:                            ;   in Loop: Header=BB810_392 Depth=2
	s_or_b64 exec, exec, s[56:57]
	v_cmp_lt_u32_e64 s[56:57], v22, v182
	s_and_saveexec_b64 s[58:59], s[56:57]
	s_cbranch_execz .LBB810_496
.LBB810_481:                            ;   in Loop: Header=BB810_392 Depth=2
	ds_read_b64 v[64:65], v104 offset:20480
	v_mov_b32_e32 v82, s77
	s_waitcnt lgkmcnt(0)
	v_lshrrev_b64 v[80:81], s33, v[64:65]
	v_and_b32_e32 v80, s69, v80
	v_lshlrev_b32_e32 v80, 2, v80
	ds_read_b32 v80, v80
	v_mov_b32_e32 v81, v4
	v_xor_b32_e32 v65, 0x80000000, v65
	s_waitcnt lgkmcnt(0)
	v_add_u32_e32 v80, v80, v22
	v_lshlrev_b64 v[80:81], 3, v[80:81]
	v_add_co_u32_e32 v80, vcc, s76, v80
	v_addc_co_u32_e32 v81, vcc, v82, v81, vcc
	global_store_dwordx2 v[80:81], v[64:65], off
	s_or_b64 exec, exec, s[58:59]
	v_cmp_lt_u32_e64 s[58:59], v24, v182
	s_and_saveexec_b64 s[60:61], s[58:59]
	s_cbranch_execnz .LBB810_497
.LBB810_482:                            ;   in Loop: Header=BB810_392 Depth=2
	s_or_b64 exec, exec, s[60:61]
	v_cmp_lt_u32_e64 s[60:61], v26, v182
	s_and_saveexec_b64 s[62:63], s[60:61]
	s_cbranch_execz .LBB810_498
.LBB810_483:                            ;   in Loop: Header=BB810_392 Depth=2
	ds_read_b64 v[64:65], v104 offset:24576
	v_mov_b32_e32 v82, s77
	s_waitcnt lgkmcnt(0)
	v_lshrrev_b64 v[80:81], s33, v[64:65]
	v_and_b32_e32 v80, s69, v80
	v_lshlrev_b32_e32 v80, 2, v80
	ds_read_b32 v80, v80
	v_mov_b32_e32 v81, v4
	v_xor_b32_e32 v65, 0x80000000, v65
	s_waitcnt lgkmcnt(0)
	v_add_u32_e32 v80, v80, v26
	v_lshlrev_b64 v[80:81], 3, v[80:81]
	v_add_co_u32_e32 v80, vcc, s76, v80
	v_addc_co_u32_e32 v81, vcc, v82, v81, vcc
	global_store_dwordx2 v[80:81], v[64:65], off
	s_or_b64 exec, exec, s[62:63]
	v_cmp_lt_u32_e64 s[62:63], v28, v182
	s_and_saveexec_b64 s[64:65], s[62:63]
	s_cbranch_execnz .LBB810_499
.LBB810_484:                            ;   in Loop: Header=BB810_392 Depth=2
	s_or_b64 exec, exec, s[64:65]
	v_cmp_lt_u32_e64 s[64:65], v30, v182
	s_and_saveexec_b64 s[66:67], s[64:65]
	s_cbranch_execz .LBB810_500
.LBB810_485:                            ;   in Loop: Header=BB810_392 Depth=2
	ds_read_b64 v[64:65], v104 offset:28672
	v_mov_b32_e32 v82, s77
	s_waitcnt lgkmcnt(0)
	v_lshrrev_b64 v[80:81], s33, v[64:65]
	v_and_b32_e32 v80, s69, v80
	v_lshlrev_b32_e32 v80, 2, v80
	ds_read_b32 v80, v80
	v_mov_b32_e32 v81, v4
	v_xor_b32_e32 v65, 0x80000000, v65
	s_waitcnt lgkmcnt(0)
	v_add_u32_e32 v80, v80, v30
	v_lshlrev_b64 v[80:81], 3, v[80:81]
	v_add_co_u32_e32 v80, vcc, s76, v80
	v_addc_co_u32_e32 v81, vcc, v82, v81, vcc
	global_store_dwordx2 v[80:81], v[64:65], off
	s_or_b64 exec, exec, s[66:67]
	v_cmp_lt_u32_e64 s[66:67], v32, v182
	s_and_saveexec_b64 s[92:93], s[66:67]
	s_cbranch_execnz .LBB810_501
	s_branch .LBB810_502
.LBB810_486:                            ;   in Loop: Header=BB810_392 Depth=2
	s_or_b64 exec, exec, s[38:39]
	v_cmp_lt_u32_e64 s[38:39], v7, v182
	s_and_saveexec_b64 s[40:41], s[38:39]
	s_cbranch_execz .LBB810_472
.LBB810_487:                            ;   in Loop: Header=BB810_392 Depth=2
	ds_read_b64 v[64:65], v104 offset:2048
	v_mov_b32_e32 v82, s77
	s_waitcnt lgkmcnt(0)
	v_lshrrev_b64 v[80:81], s33, v[64:65]
	v_and_b32_e32 v80, s69, v80
	v_lshlrev_b32_e32 v80, 2, v80
	ds_read_b32 v80, v80
	v_mov_b32_e32 v81, v4
	v_xor_b32_e32 v65, 0x80000000, v65
	s_waitcnt lgkmcnt(0)
	v_add_u32_e32 v80, v80, v7
	v_lshlrev_b64 v[80:81], 3, v[80:81]
	v_add_co_u32_e32 v80, vcc, s76, v80
	v_addc_co_u32_e32 v81, vcc, v82, v81, vcc
	global_store_dwordx2 v[80:81], v[64:65], off
	s_or_b64 exec, exec, s[40:41]
	v_cmp_lt_u32_e64 s[40:41], v6, v182
	s_and_saveexec_b64 s[42:43], s[40:41]
	s_cbranch_execnz .LBB810_473
.LBB810_488:                            ;   in Loop: Header=BB810_392 Depth=2
	s_or_b64 exec, exec, s[42:43]
	v_cmp_lt_u32_e64 s[42:43], v8, v182
	s_and_saveexec_b64 s[44:45], s[42:43]
	s_cbranch_execz .LBB810_474
.LBB810_489:                            ;   in Loop: Header=BB810_392 Depth=2
	ds_read_b64 v[64:65], v104 offset:6144
	v_mov_b32_e32 v82, s77
	s_waitcnt lgkmcnt(0)
	v_lshrrev_b64 v[80:81], s33, v[64:65]
	v_and_b32_e32 v80, s69, v80
	v_lshlrev_b32_e32 v80, 2, v80
	ds_read_b32 v80, v80
	v_mov_b32_e32 v81, v4
	v_xor_b32_e32 v65, 0x80000000, v65
	s_waitcnt lgkmcnt(0)
	v_add_u32_e32 v80, v80, v8
	v_lshlrev_b64 v[80:81], 3, v[80:81]
	v_add_co_u32_e32 v80, vcc, s76, v80
	v_addc_co_u32_e32 v81, vcc, v82, v81, vcc
	global_store_dwordx2 v[80:81], v[64:65], off
	s_or_b64 exec, exec, s[44:45]
	v_cmp_lt_u32_e64 s[44:45], v10, v182
	s_and_saveexec_b64 s[46:47], s[44:45]
	s_cbranch_execnz .LBB810_475
.LBB810_490:                            ;   in Loop: Header=BB810_392 Depth=2
	s_or_b64 exec, exec, s[46:47]
	v_cmp_lt_u32_e64 s[46:47], v12, v182
	s_and_saveexec_b64 s[48:49], s[46:47]
	s_cbranch_execz .LBB810_476
.LBB810_491:                            ;   in Loop: Header=BB810_392 Depth=2
	ds_read_b64 v[64:65], v104 offset:10240
	v_mov_b32_e32 v82, s77
	s_waitcnt lgkmcnt(0)
	v_lshrrev_b64 v[80:81], s33, v[64:65]
	v_and_b32_e32 v80, s69, v80
	v_lshlrev_b32_e32 v80, 2, v80
	ds_read_b32 v80, v80
	v_mov_b32_e32 v81, v4
	v_xor_b32_e32 v65, 0x80000000, v65
	s_waitcnt lgkmcnt(0)
	v_add_u32_e32 v80, v80, v12
	v_lshlrev_b64 v[80:81], 3, v[80:81]
	v_add_co_u32_e32 v80, vcc, s76, v80
	v_addc_co_u32_e32 v81, vcc, v82, v81, vcc
	global_store_dwordx2 v[80:81], v[64:65], off
	s_or_b64 exec, exec, s[48:49]
	v_cmp_lt_u32_e64 s[48:49], v14, v182
	s_and_saveexec_b64 s[50:51], s[48:49]
	s_cbranch_execnz .LBB810_477
.LBB810_492:                            ;   in Loop: Header=BB810_392 Depth=2
	s_or_b64 exec, exec, s[50:51]
	v_cmp_lt_u32_e64 s[50:51], v16, v182
	s_and_saveexec_b64 s[52:53], s[50:51]
	s_cbranch_execz .LBB810_478
.LBB810_493:                            ;   in Loop: Header=BB810_392 Depth=2
	ds_read_b64 v[64:65], v104 offset:14336
	v_mov_b32_e32 v82, s77
	s_waitcnt lgkmcnt(0)
	v_lshrrev_b64 v[80:81], s33, v[64:65]
	v_and_b32_e32 v80, s69, v80
	v_lshlrev_b32_e32 v80, 2, v80
	ds_read_b32 v80, v80
	v_mov_b32_e32 v81, v4
	v_xor_b32_e32 v65, 0x80000000, v65
	s_waitcnt lgkmcnt(0)
	v_add_u32_e32 v80, v80, v16
	v_lshlrev_b64 v[80:81], 3, v[80:81]
	v_add_co_u32_e32 v80, vcc, s76, v80
	v_addc_co_u32_e32 v81, vcc, v82, v81, vcc
	global_store_dwordx2 v[80:81], v[64:65], off
	s_or_b64 exec, exec, s[52:53]
	v_cmp_lt_u32_e64 s[52:53], v18, v182
	s_and_saveexec_b64 s[54:55], s[52:53]
	s_cbranch_execnz .LBB810_479
.LBB810_494:                            ;   in Loop: Header=BB810_392 Depth=2
	s_or_b64 exec, exec, s[54:55]
	v_cmp_lt_u32_e64 s[54:55], v20, v182
	s_and_saveexec_b64 s[56:57], s[54:55]
	s_cbranch_execz .LBB810_480
.LBB810_495:                            ;   in Loop: Header=BB810_392 Depth=2
	ds_read_b64 v[64:65], v104 offset:18432
	v_mov_b32_e32 v82, s77
	s_waitcnt lgkmcnt(0)
	v_lshrrev_b64 v[80:81], s33, v[64:65]
	v_and_b32_e32 v80, s69, v80
	v_lshlrev_b32_e32 v80, 2, v80
	ds_read_b32 v80, v80
	v_mov_b32_e32 v81, v4
	v_xor_b32_e32 v65, 0x80000000, v65
	s_waitcnt lgkmcnt(0)
	v_add_u32_e32 v80, v80, v20
	v_lshlrev_b64 v[80:81], 3, v[80:81]
	v_add_co_u32_e32 v80, vcc, s76, v80
	v_addc_co_u32_e32 v81, vcc, v82, v81, vcc
	global_store_dwordx2 v[80:81], v[64:65], off
	s_or_b64 exec, exec, s[56:57]
	v_cmp_lt_u32_e64 s[56:57], v22, v182
	s_and_saveexec_b64 s[58:59], s[56:57]
	s_cbranch_execnz .LBB810_481
.LBB810_496:                            ;   in Loop: Header=BB810_392 Depth=2
	s_or_b64 exec, exec, s[58:59]
	v_cmp_lt_u32_e64 s[58:59], v24, v182
	s_and_saveexec_b64 s[60:61], s[58:59]
	s_cbranch_execz .LBB810_482
.LBB810_497:                            ;   in Loop: Header=BB810_392 Depth=2
	ds_read_b64 v[64:65], v104 offset:22528
	v_mov_b32_e32 v82, s77
	s_waitcnt lgkmcnt(0)
	v_lshrrev_b64 v[80:81], s33, v[64:65]
	v_and_b32_e32 v80, s69, v80
	v_lshlrev_b32_e32 v80, 2, v80
	ds_read_b32 v80, v80
	v_mov_b32_e32 v81, v4
	v_xor_b32_e32 v65, 0x80000000, v65
	s_waitcnt lgkmcnt(0)
	v_add_u32_e32 v80, v80, v24
	v_lshlrev_b64 v[80:81], 3, v[80:81]
	v_add_co_u32_e32 v80, vcc, s76, v80
	v_addc_co_u32_e32 v81, vcc, v82, v81, vcc
	global_store_dwordx2 v[80:81], v[64:65], off
	s_or_b64 exec, exec, s[60:61]
	v_cmp_lt_u32_e64 s[60:61], v26, v182
	s_and_saveexec_b64 s[62:63], s[60:61]
	s_cbranch_execnz .LBB810_483
.LBB810_498:                            ;   in Loop: Header=BB810_392 Depth=2
	s_or_b64 exec, exec, s[62:63]
	v_cmp_lt_u32_e64 s[62:63], v28, v182
	s_and_saveexec_b64 s[64:65], s[62:63]
	s_cbranch_execz .LBB810_484
.LBB810_499:                            ;   in Loop: Header=BB810_392 Depth=2
	ds_read_b64 v[64:65], v104 offset:26624
	v_mov_b32_e32 v82, s77
	s_waitcnt lgkmcnt(0)
	v_lshrrev_b64 v[80:81], s33, v[64:65]
	v_and_b32_e32 v80, s69, v80
	v_lshlrev_b32_e32 v80, 2, v80
	ds_read_b32 v80, v80
	v_mov_b32_e32 v81, v4
	v_xor_b32_e32 v65, 0x80000000, v65
	s_waitcnt lgkmcnt(0)
	v_add_u32_e32 v80, v80, v28
	v_lshlrev_b64 v[80:81], 3, v[80:81]
	v_add_co_u32_e32 v80, vcc, s76, v80
	v_addc_co_u32_e32 v81, vcc, v82, v81, vcc
	global_store_dwordx2 v[80:81], v[64:65], off
	s_or_b64 exec, exec, s[64:65]
	v_cmp_lt_u32_e64 s[64:65], v30, v182
	s_and_saveexec_b64 s[66:67], s[64:65]
	s_cbranch_execnz .LBB810_485
.LBB810_500:                            ;   in Loop: Header=BB810_392 Depth=2
	s_or_b64 exec, exec, s[66:67]
	v_cmp_lt_u32_e64 s[66:67], v32, v182
	s_and_saveexec_b64 s[92:93], s[66:67]
	s_cbranch_execz .LBB810_502
.LBB810_501:                            ;   in Loop: Header=BB810_392 Depth=2
	ds_read_b64 v[64:65], v104 offset:30720
	v_mov_b32_e32 v82, s77
	s_waitcnt lgkmcnt(0)
	v_lshrrev_b64 v[80:81], s33, v[64:65]
	v_and_b32_e32 v80, s69, v80
	v_lshlrev_b32_e32 v80, 2, v80
	ds_read_b32 v80, v80
	v_mov_b32_e32 v81, v4
	v_xor_b32_e32 v65, 0x80000000, v65
	s_waitcnt lgkmcnt(0)
	v_add_u32_e32 v80, v80, v32
	v_lshlrev_b64 v[80:81], 3, v[80:81]
	v_add_co_u32_e32 v80, vcc, s76, v80
	v_addc_co_u32_e32 v81, vcc, v82, v81, vcc
	global_store_dwordx2 v[80:81], v[64:65], off
.LBB810_502:                            ;   in Loop: Header=BB810_392 Depth=2
	s_or_b64 exec, exec, s[92:93]
	s_lshl_b64 s[92:93], s[88:89], 3
	v_mov_b32_e32 v65, s93
	v_add_co_u32_e32 v64, vcc, s92, v159
	v_addc_co_u32_e32 v65, vcc, v160, v65, vcc
	v_cmp_lt_u32_e32 vcc, v142, v182
	s_and_saveexec_b64 s[92:93], vcc
	s_xor_b64 s[92:93], exec, s[92:93]
	s_cbranch_execz .LBB810_534
; %bb.503:                              ;   in Loop: Header=BB810_392 Depth=2
	global_load_dwordx2 v[62:63], v[64:65], off
	s_or_b64 exec, exec, s[92:93]
	v_cmp_lt_u32_e32 vcc, v143, v182
	s_and_saveexec_b64 s[92:93], vcc
	s_cbranch_execnz .LBB810_535
.LBB810_504:                            ;   in Loop: Header=BB810_392 Depth=2
	s_or_b64 exec, exec, s[92:93]
	v_cmp_lt_u32_e32 vcc, v144, v182
	s_and_saveexec_b64 s[92:93], vcc
	s_cbranch_execz .LBB810_536
.LBB810_505:                            ;   in Loop: Header=BB810_392 Depth=2
	global_load_dwordx2 v[56:57], v[64:65], off offset:1024
	s_or_b64 exec, exec, s[92:93]
	v_cmp_lt_u32_e32 vcc, v145, v182
	s_and_saveexec_b64 s[92:93], vcc
	s_cbranch_execnz .LBB810_537
.LBB810_506:                            ;   in Loop: Header=BB810_392 Depth=2
	s_or_b64 exec, exec, s[92:93]
	v_cmp_lt_u32_e32 vcc, v146, v182
	s_and_saveexec_b64 s[92:93], vcc
	s_cbranch_execz .LBB810_538
.LBB810_507:                            ;   in Loop: Header=BB810_392 Depth=2
	global_load_dwordx2 v[48:49], v[64:65], off offset:2048
	s_or_b64 exec, exec, s[92:93]
	v_cmp_lt_u32_e32 vcc, v147, v182
	s_and_saveexec_b64 s[92:93], vcc
	s_cbranch_execnz .LBB810_539
.LBB810_508:                            ;   in Loop: Header=BB810_392 Depth=2
	s_or_b64 exec, exec, s[92:93]
	v_cmp_lt_u32_e32 vcc, v148, v182
	s_and_saveexec_b64 s[92:93], vcc
	s_cbranch_execz .LBB810_540
.LBB810_509:                            ;   in Loop: Header=BB810_392 Depth=2
	global_load_dwordx2 v[40:41], v[64:65], off offset:3072
	s_or_b64 exec, exec, s[92:93]
	v_cmp_lt_u32_e32 vcc, v149, v182
	s_and_saveexec_b64 s[92:93], vcc
	s_cbranch_execnz .LBB810_541
.LBB810_510:                            ;   in Loop: Header=BB810_392 Depth=2
	s_or_b64 exec, exec, s[92:93]
	v_cmp_lt_u32_e32 vcc, v150, v182
	s_and_saveexec_b64 s[92:93], vcc
	s_cbranch_execz .LBB810_542
.LBB810_511:                            ;   in Loop: Header=BB810_392 Depth=2
	v_add_co_u32_e32 v58, vcc, 0x1000, v64
	v_addc_co_u32_e32 v59, vcc, 0, v65, vcc
	global_load_dwordx2 v[58:59], v[58:59], off
	s_or_b64 exec, exec, s[92:93]
	v_cmp_lt_u32_e32 vcc, v151, v182
	s_and_saveexec_b64 s[92:93], vcc
	s_cbranch_execnz .LBB810_543
.LBB810_512:                            ;   in Loop: Header=BB810_392 Depth=2
	s_or_b64 exec, exec, s[92:93]
	v_cmp_lt_u32_e32 vcc, v152, v182
	s_and_saveexec_b64 s[92:93], vcc
	s_cbranch_execz .LBB810_544
.LBB810_513:                            ;   in Loop: Header=BB810_392 Depth=2
	v_add_co_u32_e32 v50, vcc, 0x1000, v64
	v_addc_co_u32_e32 v51, vcc, 0, v65, vcc
	global_load_dwordx2 v[50:51], v[50:51], off offset:1024
	s_or_b64 exec, exec, s[92:93]
	v_cmp_lt_u32_e32 vcc, v153, v182
	s_and_saveexec_b64 s[92:93], vcc
	s_cbranch_execnz .LBB810_545
.LBB810_514:                            ;   in Loop: Header=BB810_392 Depth=2
	s_or_b64 exec, exec, s[92:93]
	v_cmp_lt_u32_e32 vcc, v154, v182
	s_and_saveexec_b64 s[92:93], vcc
	s_cbranch_execz .LBB810_546
.LBB810_515:                            ;   in Loop: Header=BB810_392 Depth=2
	v_add_co_u32_e32 v42, vcc, 0x1000, v64
	v_addc_co_u32_e32 v43, vcc, 0, v65, vcc
	global_load_dwordx2 v[42:43], v[42:43], off offset:2048
	s_or_b64 exec, exec, s[92:93]
	v_cmp_lt_u32_e32 vcc, v155, v182
	s_and_saveexec_b64 s[92:93], vcc
	s_cbranch_execnz .LBB810_547
.LBB810_516:                            ;   in Loop: Header=BB810_392 Depth=2
	s_or_b64 exec, exec, s[92:93]
	v_cmp_lt_u32_e32 vcc, v156, v182
	s_and_saveexec_b64 s[92:93], vcc
	s_cbranch_execz .LBB810_548
.LBB810_517:                            ;   in Loop: Header=BB810_392 Depth=2
	v_add_co_u32_e32 v34, vcc, 0x1000, v64
	v_addc_co_u32_e32 v35, vcc, 0, v65, vcc
	global_load_dwordx2 v[34:35], v[34:35], off offset:3072
	s_or_b64 exec, exec, s[92:93]
	v_cmp_lt_u32_e32 vcc, v157, v182
	s_and_saveexec_b64 s[92:93], vcc
	s_cbranch_execnz .LBB810_549
.LBB810_518:                            ;   in Loop: Header=BB810_392 Depth=2
	s_or_b64 exec, exec, s[92:93]
	s_and_saveexec_b64 s[92:93], s[36:37]
	s_cbranch_execz .LBB810_550
.LBB810_519:                            ;   in Loop: Header=BB810_392 Depth=2
	v_add_u32_e32 v64, v33, v3
	ds_read_b64 v[64:65], v64 offset:1024
	s_waitcnt lgkmcnt(0)
	v_lshrrev_b64 v[64:65], s33, v[64:65]
	v_and_b32_e32 v180, s69, v64
	s_or_b64 exec, exec, s[92:93]
	s_and_saveexec_b64 s[92:93], s[38:39]
	s_cbranch_execnz .LBB810_551
.LBB810_520:                            ;   in Loop: Header=BB810_392 Depth=2
	s_or_b64 exec, exec, s[92:93]
	s_and_saveexec_b64 s[92:93], s[40:41]
	s_cbranch_execz .LBB810_552
.LBB810_521:                            ;   in Loop: Header=BB810_392 Depth=2
	ds_read_b64 v[64:65], v104 offset:4096
	s_waitcnt lgkmcnt(0)
	v_lshrrev_b64 v[64:65], s33, v[64:65]
	v_and_b32_e32 v177, s69, v64
	s_or_b64 exec, exec, s[92:93]
	s_and_saveexec_b64 s[92:93], s[42:43]
	s_cbranch_execnz .LBB810_553
.LBB810_522:                            ;   in Loop: Header=BB810_392 Depth=2
	s_or_b64 exec, exec, s[92:93]
	s_and_saveexec_b64 s[92:93], s[44:45]
	s_cbranch_execz .LBB810_554
.LBB810_523:                            ;   in Loop: Header=BB810_392 Depth=2
	ds_read_b64 v[64:65], v104 offset:8192
	s_waitcnt lgkmcnt(0)
	v_lshrrev_b64 v[64:65], s33, v[64:65]
	v_and_b32_e32 v174, s69, v64
	s_or_b64 exec, exec, s[92:93]
	s_and_saveexec_b64 s[92:93], s[46:47]
	s_cbranch_execnz .LBB810_555
.LBB810_524:                            ;   in Loop: Header=BB810_392 Depth=2
	s_or_b64 exec, exec, s[92:93]
	s_and_saveexec_b64 s[92:93], s[48:49]
	s_cbranch_execz .LBB810_556
.LBB810_525:                            ;   in Loop: Header=BB810_392 Depth=2
	ds_read_b64 v[64:65], v104 offset:12288
	s_waitcnt lgkmcnt(0)
	v_lshrrev_b64 v[64:65], s33, v[64:65]
	v_and_b32_e32 v172, s69, v64
	s_or_b64 exec, exec, s[92:93]
	s_and_saveexec_b64 s[92:93], s[50:51]
	s_cbranch_execnz .LBB810_557
.LBB810_526:                            ;   in Loop: Header=BB810_392 Depth=2
	s_or_b64 exec, exec, s[92:93]
	s_and_saveexec_b64 s[92:93], s[52:53]
	s_cbranch_execz .LBB810_558
.LBB810_527:                            ;   in Loop: Header=BB810_392 Depth=2
	ds_read_b64 v[64:65], v104 offset:16384
	s_waitcnt lgkmcnt(0)
	v_lshrrev_b64 v[64:65], s33, v[64:65]
	v_and_b32_e32 v170, s69, v64
	s_or_b64 exec, exec, s[92:93]
	s_and_saveexec_b64 s[92:93], s[54:55]
	s_cbranch_execnz .LBB810_559
.LBB810_528:                            ;   in Loop: Header=BB810_392 Depth=2
	s_or_b64 exec, exec, s[92:93]
	s_and_saveexec_b64 s[92:93], s[56:57]
	s_cbranch_execz .LBB810_560
.LBB810_529:                            ;   in Loop: Header=BB810_392 Depth=2
	ds_read_b64 v[64:65], v104 offset:20480
	s_waitcnt lgkmcnt(0)
	v_lshrrev_b64 v[64:65], s33, v[64:65]
	v_and_b32_e32 v168, s69, v64
	s_or_b64 exec, exec, s[92:93]
	s_and_saveexec_b64 s[92:93], s[58:59]
	s_cbranch_execnz .LBB810_561
.LBB810_530:                            ;   in Loop: Header=BB810_392 Depth=2
	s_or_b64 exec, exec, s[92:93]
	s_and_saveexec_b64 s[92:93], s[60:61]
	s_cbranch_execz .LBB810_562
.LBB810_531:                            ;   in Loop: Header=BB810_392 Depth=2
	ds_read_b64 v[64:65], v104 offset:24576
	s_waitcnt lgkmcnt(0)
	v_lshrrev_b64 v[64:65], s33, v[64:65]
	v_and_b32_e32 v166, s69, v64
	s_or_b64 exec, exec, s[92:93]
	s_and_saveexec_b64 s[92:93], s[62:63]
	s_cbranch_execnz .LBB810_563
.LBB810_532:                            ;   in Loop: Header=BB810_392 Depth=2
	s_or_b64 exec, exec, s[92:93]
	s_and_saveexec_b64 s[92:93], s[64:65]
	s_cbranch_execz .LBB810_564
.LBB810_533:                            ;   in Loop: Header=BB810_392 Depth=2
	ds_read_b64 v[64:65], v104 offset:28672
	s_waitcnt lgkmcnt(0)
	v_lshrrev_b64 v[64:65], s33, v[64:65]
	v_and_b32_e32 v164, s69, v64
	s_or_b64 exec, exec, s[92:93]
	s_and_saveexec_b64 s[92:93], s[66:67]
	s_cbranch_execnz .LBB810_565
	s_branch .LBB810_566
.LBB810_534:                            ;   in Loop: Header=BB810_392 Depth=2
	s_or_b64 exec, exec, s[92:93]
	v_cmp_lt_u32_e32 vcc, v143, v182
	s_and_saveexec_b64 s[92:93], vcc
	s_cbranch_execz .LBB810_504
.LBB810_535:                            ;   in Loop: Header=BB810_392 Depth=2
	global_load_dwordx2 v[60:61], v[64:65], off offset:512
	s_or_b64 exec, exec, s[92:93]
	v_cmp_lt_u32_e32 vcc, v144, v182
	s_and_saveexec_b64 s[92:93], vcc
	s_cbranch_execnz .LBB810_505
.LBB810_536:                            ;   in Loop: Header=BB810_392 Depth=2
	s_or_b64 exec, exec, s[92:93]
	v_cmp_lt_u32_e32 vcc, v145, v182
	s_and_saveexec_b64 s[92:93], vcc
	s_cbranch_execz .LBB810_506
.LBB810_537:                            ;   in Loop: Header=BB810_392 Depth=2
	global_load_dwordx2 v[52:53], v[64:65], off offset:1536
	s_or_b64 exec, exec, s[92:93]
	v_cmp_lt_u32_e32 vcc, v146, v182
	s_and_saveexec_b64 s[92:93], vcc
	s_cbranch_execnz .LBB810_507
.LBB810_538:                            ;   in Loop: Header=BB810_392 Depth=2
	s_or_b64 exec, exec, s[92:93]
	v_cmp_lt_u32_e32 vcc, v147, v182
	s_and_saveexec_b64 s[92:93], vcc
	s_cbranch_execz .LBB810_508
.LBB810_539:                            ;   in Loop: Header=BB810_392 Depth=2
	global_load_dwordx2 v[44:45], v[64:65], off offset:2560
	s_or_b64 exec, exec, s[92:93]
	v_cmp_lt_u32_e32 vcc, v148, v182
	s_and_saveexec_b64 s[92:93], vcc
	s_cbranch_execnz .LBB810_509
.LBB810_540:                            ;   in Loop: Header=BB810_392 Depth=2
	s_or_b64 exec, exec, s[92:93]
	v_cmp_lt_u32_e32 vcc, v149, v182
	s_and_saveexec_b64 s[92:93], vcc
	s_cbranch_execz .LBB810_510
.LBB810_541:                            ;   in Loop: Header=BB810_392 Depth=2
	global_load_dwordx2 v[36:37], v[64:65], off offset:3584
	s_or_b64 exec, exec, s[92:93]
	v_cmp_lt_u32_e32 vcc, v150, v182
	s_and_saveexec_b64 s[92:93], vcc
	s_cbranch_execnz .LBB810_511
.LBB810_542:                            ;   in Loop: Header=BB810_392 Depth=2
	s_or_b64 exec, exec, s[92:93]
	v_cmp_lt_u32_e32 vcc, v151, v182
	s_and_saveexec_b64 s[92:93], vcc
	s_cbranch_execz .LBB810_512
.LBB810_543:                            ;   in Loop: Header=BB810_392 Depth=2
	v_add_co_u32_e32 v54, vcc, 0x1000, v64
	v_addc_co_u32_e32 v55, vcc, 0, v65, vcc
	global_load_dwordx2 v[54:55], v[54:55], off offset:512
	s_or_b64 exec, exec, s[92:93]
	v_cmp_lt_u32_e32 vcc, v152, v182
	s_and_saveexec_b64 s[92:93], vcc
	s_cbranch_execnz .LBB810_513
.LBB810_544:                            ;   in Loop: Header=BB810_392 Depth=2
	s_or_b64 exec, exec, s[92:93]
	v_cmp_lt_u32_e32 vcc, v153, v182
	s_and_saveexec_b64 s[92:93], vcc
	s_cbranch_execz .LBB810_514
.LBB810_545:                            ;   in Loop: Header=BB810_392 Depth=2
	v_add_co_u32_e32 v46, vcc, 0x1000, v64
	v_addc_co_u32_e32 v47, vcc, 0, v65, vcc
	global_load_dwordx2 v[46:47], v[46:47], off offset:1536
	s_or_b64 exec, exec, s[92:93]
	v_cmp_lt_u32_e32 vcc, v154, v182
	s_and_saveexec_b64 s[92:93], vcc
	s_cbranch_execnz .LBB810_515
.LBB810_546:                            ;   in Loop: Header=BB810_392 Depth=2
	s_or_b64 exec, exec, s[92:93]
	v_cmp_lt_u32_e32 vcc, v155, v182
	s_and_saveexec_b64 s[92:93], vcc
	s_cbranch_execz .LBB810_516
.LBB810_547:                            ;   in Loop: Header=BB810_392 Depth=2
	v_add_co_u32_e32 v38, vcc, 0x1000, v64
	v_addc_co_u32_e32 v39, vcc, 0, v65, vcc
	global_load_dwordx2 v[38:39], v[38:39], off offset:2560
	s_or_b64 exec, exec, s[92:93]
	v_cmp_lt_u32_e32 vcc, v156, v182
	s_and_saveexec_b64 s[92:93], vcc
	s_cbranch_execnz .LBB810_517
.LBB810_548:                            ;   in Loop: Header=BB810_392 Depth=2
	s_or_b64 exec, exec, s[92:93]
	v_cmp_lt_u32_e32 vcc, v157, v182
	s_and_saveexec_b64 s[92:93], vcc
	s_cbranch_execz .LBB810_518
.LBB810_549:                            ;   in Loop: Header=BB810_392 Depth=2
	v_add_co_u32_e32 v0, vcc, 0x1000, v64
	v_addc_co_u32_e32 v1, vcc, 0, v65, vcc
	global_load_dwordx2 v[0:1], v[0:1], off offset:3584
	s_or_b64 exec, exec, s[92:93]
	s_and_saveexec_b64 s[92:93], s[36:37]
	s_cbranch_execnz .LBB810_519
.LBB810_550:                            ;   in Loop: Header=BB810_392 Depth=2
	s_or_b64 exec, exec, s[92:93]
	s_and_saveexec_b64 s[92:93], s[38:39]
	s_cbranch_execz .LBB810_520
.LBB810_551:                            ;   in Loop: Header=BB810_392 Depth=2
	ds_read_b64 v[64:65], v104 offset:2048
	s_waitcnt lgkmcnt(0)
	v_lshrrev_b64 v[64:65], s33, v[64:65]
	v_and_b32_e32 v178, s69, v64
	s_or_b64 exec, exec, s[92:93]
	s_and_saveexec_b64 s[92:93], s[40:41]
	s_cbranch_execnz .LBB810_521
.LBB810_552:                            ;   in Loop: Header=BB810_392 Depth=2
	s_or_b64 exec, exec, s[92:93]
	s_and_saveexec_b64 s[92:93], s[42:43]
	s_cbranch_execz .LBB810_522
.LBB810_553:                            ;   in Loop: Header=BB810_392 Depth=2
	ds_read_b64 v[64:65], v104 offset:6144
	s_waitcnt lgkmcnt(0)
	v_lshrrev_b64 v[64:65], s33, v[64:65]
	v_and_b32_e32 v175, s69, v64
	s_or_b64 exec, exec, s[92:93]
	s_and_saveexec_b64 s[92:93], s[44:45]
	s_cbranch_execnz .LBB810_523
.LBB810_554:                            ;   in Loop: Header=BB810_392 Depth=2
	s_or_b64 exec, exec, s[92:93]
	s_and_saveexec_b64 s[92:93], s[46:47]
	s_cbranch_execz .LBB810_524
.LBB810_555:                            ;   in Loop: Header=BB810_392 Depth=2
	ds_read_b64 v[64:65], v104 offset:10240
	s_waitcnt lgkmcnt(0)
	v_lshrrev_b64 v[64:65], s33, v[64:65]
	v_and_b32_e32 v173, s69, v64
	s_or_b64 exec, exec, s[92:93]
	s_and_saveexec_b64 s[92:93], s[48:49]
	s_cbranch_execnz .LBB810_525
.LBB810_556:                            ;   in Loop: Header=BB810_392 Depth=2
	s_or_b64 exec, exec, s[92:93]
	s_and_saveexec_b64 s[92:93], s[50:51]
	s_cbranch_execz .LBB810_526
.LBB810_557:                            ;   in Loop: Header=BB810_392 Depth=2
	ds_read_b64 v[64:65], v104 offset:14336
	s_waitcnt lgkmcnt(0)
	v_lshrrev_b64 v[64:65], s33, v[64:65]
	v_and_b32_e32 v171, s69, v64
	s_or_b64 exec, exec, s[92:93]
	s_and_saveexec_b64 s[92:93], s[52:53]
	s_cbranch_execnz .LBB810_527
.LBB810_558:                            ;   in Loop: Header=BB810_392 Depth=2
	s_or_b64 exec, exec, s[92:93]
	s_and_saveexec_b64 s[92:93], s[54:55]
	s_cbranch_execz .LBB810_528
.LBB810_559:                            ;   in Loop: Header=BB810_392 Depth=2
	ds_read_b64 v[64:65], v104 offset:18432
	s_waitcnt lgkmcnt(0)
	v_lshrrev_b64 v[64:65], s33, v[64:65]
	v_and_b32_e32 v169, s69, v64
	s_or_b64 exec, exec, s[92:93]
	s_and_saveexec_b64 s[92:93], s[56:57]
	s_cbranch_execnz .LBB810_529
.LBB810_560:                            ;   in Loop: Header=BB810_392 Depth=2
	s_or_b64 exec, exec, s[92:93]
	s_and_saveexec_b64 s[92:93], s[58:59]
	s_cbranch_execz .LBB810_530
.LBB810_561:                            ;   in Loop: Header=BB810_392 Depth=2
	ds_read_b64 v[64:65], v104 offset:22528
	s_waitcnt lgkmcnt(0)
	v_lshrrev_b64 v[64:65], s33, v[64:65]
	v_and_b32_e32 v167, s69, v64
	s_or_b64 exec, exec, s[92:93]
	s_and_saveexec_b64 s[92:93], s[60:61]
	s_cbranch_execnz .LBB810_531
.LBB810_562:                            ;   in Loop: Header=BB810_392 Depth=2
	s_or_b64 exec, exec, s[92:93]
	s_and_saveexec_b64 s[92:93], s[62:63]
	s_cbranch_execz .LBB810_532
.LBB810_563:                            ;   in Loop: Header=BB810_392 Depth=2
	ds_read_b64 v[64:65], v104 offset:26624
	s_waitcnt lgkmcnt(0)
	v_lshrrev_b64 v[64:65], s33, v[64:65]
	v_and_b32_e32 v165, s69, v64
	s_or_b64 exec, exec, s[92:93]
	s_and_saveexec_b64 s[92:93], s[64:65]
	s_cbranch_execnz .LBB810_533
.LBB810_564:                            ;   in Loop: Header=BB810_392 Depth=2
	s_or_b64 exec, exec, s[92:93]
	s_and_saveexec_b64 s[92:93], s[66:67]
	s_cbranch_execz .LBB810_566
.LBB810_565:                            ;   in Loop: Header=BB810_392 Depth=2
	ds_read_b64 v[64:65], v104 offset:30720
	s_waitcnt lgkmcnt(0)
	v_lshrrev_b64 v[64:65], s33, v[64:65]
	v_and_b32_e32 v163, s69, v64
.LBB810_566:                            ;   in Loop: Header=BB810_392 Depth=2
	s_or_b64 exec, exec, s[92:93]
	v_add_u32_e32 v64, 0x400, v96
	v_add_u32_e32 v65, 0x400, v97
	;; [unrolled: 1-line block ×16, first 2 shown]
	s_barrier
	s_waitcnt vmcnt(0)
	ds_write_b64 v64, v[62:63]
	ds_write_b64 v65, v[60:61]
	;; [unrolled: 1-line block ×16, first 2 shown]
	s_waitcnt lgkmcnt(0)
	s_barrier
	s_and_saveexec_b64 s[92:93], s[36:37]
	s_cbranch_execz .LBB810_582
; %bb.567:                              ;   in Loop: Header=BB810_392 Depth=2
	v_lshlrev_b32_e32 v64, 2, v180
	ds_read_b32 v66, v64
	v_add_u32_e32 v64, v33, v3
	ds_read_b64 v[64:65], v64 offset:1024
	v_mov_b32_e32 v67, v4
	v_mov_b32_e32 v68, s83
	s_waitcnt lgkmcnt(1)
	v_add_u32_e32 v66, v66, v2
	v_lshlrev_b64 v[66:67], 3, v[66:67]
	v_add_co_u32_e32 v66, vcc, s82, v66
	v_addc_co_u32_e32 v67, vcc, v68, v67, vcc
	s_waitcnt lgkmcnt(0)
	global_store_dwordx2 v[66:67], v[64:65], off
	s_or_b64 exec, exec, s[92:93]
	s_and_saveexec_b64 s[36:37], s[38:39]
	s_cbranch_execnz .LBB810_583
.LBB810_568:                            ;   in Loop: Header=BB810_392 Depth=2
	s_or_b64 exec, exec, s[36:37]
	s_and_saveexec_b64 s[36:37], s[40:41]
	s_cbranch_execz .LBB810_584
.LBB810_569:                            ;   in Loop: Header=BB810_392 Depth=2
	v_lshlrev_b32_e32 v64, 2, v177
	ds_read_b32 v66, v64
	ds_read_b64 v[64:65], v104 offset:4096
	v_mov_b32_e32 v67, v4
	v_mov_b32_e32 v68, s83
	s_waitcnt lgkmcnt(1)
	v_add_u32_e32 v66, v66, v6
	v_lshlrev_b64 v[66:67], 3, v[66:67]
	v_add_co_u32_e32 v66, vcc, s82, v66
	v_addc_co_u32_e32 v67, vcc, v68, v67, vcc
	s_waitcnt lgkmcnt(0)
	global_store_dwordx2 v[66:67], v[64:65], off
	s_or_b64 exec, exec, s[36:37]
	s_and_saveexec_b64 s[36:37], s[42:43]
	s_cbranch_execnz .LBB810_585
.LBB810_570:                            ;   in Loop: Header=BB810_392 Depth=2
	s_or_b64 exec, exec, s[36:37]
	s_and_saveexec_b64 s[36:37], s[44:45]
	s_cbranch_execz .LBB810_586
.LBB810_571:                            ;   in Loop: Header=BB810_392 Depth=2
	v_lshlrev_b32_e32 v64, 2, v174
	ds_read_b32 v66, v64
	ds_read_b64 v[64:65], v104 offset:8192
	v_mov_b32_e32 v67, v4
	v_mov_b32_e32 v68, s83
	s_waitcnt lgkmcnt(1)
	v_add_u32_e32 v66, v66, v10
	v_lshlrev_b64 v[66:67], 3, v[66:67]
	v_add_co_u32_e32 v66, vcc, s82, v66
	v_addc_co_u32_e32 v67, vcc, v68, v67, vcc
	s_waitcnt lgkmcnt(0)
	global_store_dwordx2 v[66:67], v[64:65], off
	s_or_b64 exec, exec, s[36:37]
	s_and_saveexec_b64 s[36:37], s[46:47]
	s_cbranch_execnz .LBB810_587
.LBB810_572:                            ;   in Loop: Header=BB810_392 Depth=2
	s_or_b64 exec, exec, s[36:37]
	s_and_saveexec_b64 s[36:37], s[48:49]
	s_cbranch_execz .LBB810_588
.LBB810_573:                            ;   in Loop: Header=BB810_392 Depth=2
	v_lshlrev_b32_e32 v64, 2, v172
	ds_read_b32 v66, v64
	ds_read_b64 v[64:65], v104 offset:12288
	v_mov_b32_e32 v67, v4
	v_mov_b32_e32 v68, s83
	s_waitcnt lgkmcnt(1)
	v_add_u32_e32 v66, v66, v14
	v_lshlrev_b64 v[66:67], 3, v[66:67]
	v_add_co_u32_e32 v66, vcc, s82, v66
	v_addc_co_u32_e32 v67, vcc, v68, v67, vcc
	s_waitcnt lgkmcnt(0)
	global_store_dwordx2 v[66:67], v[64:65], off
	s_or_b64 exec, exec, s[36:37]
	s_and_saveexec_b64 s[36:37], s[50:51]
	s_cbranch_execnz .LBB810_589
.LBB810_574:                            ;   in Loop: Header=BB810_392 Depth=2
	s_or_b64 exec, exec, s[36:37]
	s_and_saveexec_b64 s[36:37], s[52:53]
	s_cbranch_execz .LBB810_590
.LBB810_575:                            ;   in Loop: Header=BB810_392 Depth=2
	v_lshlrev_b32_e32 v64, 2, v170
	ds_read_b32 v66, v64
	ds_read_b64 v[64:65], v104 offset:16384
	v_mov_b32_e32 v67, v4
	v_mov_b32_e32 v68, s83
	s_waitcnt lgkmcnt(1)
	v_add_u32_e32 v66, v66, v18
	v_lshlrev_b64 v[66:67], 3, v[66:67]
	v_add_co_u32_e32 v66, vcc, s82, v66
	v_addc_co_u32_e32 v67, vcc, v68, v67, vcc
	s_waitcnt lgkmcnt(0)
	global_store_dwordx2 v[66:67], v[64:65], off
	s_or_b64 exec, exec, s[36:37]
	s_and_saveexec_b64 s[36:37], s[54:55]
	s_cbranch_execnz .LBB810_591
.LBB810_576:                            ;   in Loop: Header=BB810_392 Depth=2
	s_or_b64 exec, exec, s[36:37]
	s_and_saveexec_b64 s[36:37], s[56:57]
	s_cbranch_execz .LBB810_592
.LBB810_577:                            ;   in Loop: Header=BB810_392 Depth=2
	v_lshlrev_b32_e32 v64, 2, v168
	ds_read_b32 v66, v64
	ds_read_b64 v[64:65], v104 offset:20480
	v_mov_b32_e32 v67, v4
	v_mov_b32_e32 v68, s83
	s_waitcnt lgkmcnt(1)
	v_add_u32_e32 v66, v66, v22
	v_lshlrev_b64 v[66:67], 3, v[66:67]
	v_add_co_u32_e32 v66, vcc, s82, v66
	v_addc_co_u32_e32 v67, vcc, v68, v67, vcc
	s_waitcnt lgkmcnt(0)
	global_store_dwordx2 v[66:67], v[64:65], off
	s_or_b64 exec, exec, s[36:37]
	s_and_saveexec_b64 s[36:37], s[58:59]
	s_cbranch_execnz .LBB810_593
.LBB810_578:                            ;   in Loop: Header=BB810_392 Depth=2
	s_or_b64 exec, exec, s[36:37]
	s_and_saveexec_b64 s[36:37], s[60:61]
	s_cbranch_execz .LBB810_594
.LBB810_579:                            ;   in Loop: Header=BB810_392 Depth=2
	v_lshlrev_b32_e32 v64, 2, v166
	ds_read_b32 v66, v64
	ds_read_b64 v[64:65], v104 offset:24576
	v_mov_b32_e32 v67, v4
	v_mov_b32_e32 v68, s83
	s_waitcnt lgkmcnt(1)
	v_add_u32_e32 v66, v66, v26
	v_lshlrev_b64 v[66:67], 3, v[66:67]
	v_add_co_u32_e32 v66, vcc, s82, v66
	v_addc_co_u32_e32 v67, vcc, v68, v67, vcc
	s_waitcnt lgkmcnt(0)
	global_store_dwordx2 v[66:67], v[64:65], off
	s_or_b64 exec, exec, s[36:37]
	s_and_saveexec_b64 s[36:37], s[62:63]
	s_cbranch_execnz .LBB810_595
.LBB810_580:                            ;   in Loop: Header=BB810_392 Depth=2
	s_or_b64 exec, exec, s[36:37]
	s_and_saveexec_b64 s[36:37], s[64:65]
	s_cbranch_execz .LBB810_596
.LBB810_581:                            ;   in Loop: Header=BB810_392 Depth=2
	v_lshlrev_b32_e32 v64, 2, v164
	ds_read_b32 v66, v64
	ds_read_b64 v[64:65], v104 offset:28672
	v_mov_b32_e32 v67, v4
	v_mov_b32_e32 v68, s83
	s_waitcnt lgkmcnt(1)
	v_add_u32_e32 v66, v66, v30
	v_lshlrev_b64 v[66:67], 3, v[66:67]
	v_add_co_u32_e32 v66, vcc, s82, v66
	v_addc_co_u32_e32 v67, vcc, v68, v67, vcc
	s_waitcnt lgkmcnt(0)
	global_store_dwordx2 v[66:67], v[64:65], off
	s_or_b64 exec, exec, s[36:37]
	s_and_saveexec_b64 s[36:37], s[66:67]
	s_cbranch_execnz .LBB810_597
	s_branch .LBB810_598
.LBB810_582:                            ;   in Loop: Header=BB810_392 Depth=2
	s_or_b64 exec, exec, s[92:93]
	s_and_saveexec_b64 s[36:37], s[38:39]
	s_cbranch_execz .LBB810_568
.LBB810_583:                            ;   in Loop: Header=BB810_392 Depth=2
	v_lshlrev_b32_e32 v64, 2, v178
	ds_read_b32 v66, v64
	ds_read_b64 v[64:65], v104 offset:2048
	v_mov_b32_e32 v67, v4
	v_mov_b32_e32 v68, s83
	s_waitcnt lgkmcnt(1)
	v_add_u32_e32 v66, v66, v7
	v_lshlrev_b64 v[66:67], 3, v[66:67]
	v_add_co_u32_e32 v66, vcc, s82, v66
	v_addc_co_u32_e32 v67, vcc, v68, v67, vcc
	s_waitcnt lgkmcnt(0)
	global_store_dwordx2 v[66:67], v[64:65], off
	s_or_b64 exec, exec, s[36:37]
	s_and_saveexec_b64 s[36:37], s[40:41]
	s_cbranch_execnz .LBB810_569
.LBB810_584:                            ;   in Loop: Header=BB810_392 Depth=2
	s_or_b64 exec, exec, s[36:37]
	s_and_saveexec_b64 s[36:37], s[42:43]
	s_cbranch_execz .LBB810_570
.LBB810_585:                            ;   in Loop: Header=BB810_392 Depth=2
	v_lshlrev_b32_e32 v64, 2, v175
	ds_read_b32 v66, v64
	ds_read_b64 v[64:65], v104 offset:6144
	v_mov_b32_e32 v67, v4
	v_mov_b32_e32 v68, s83
	s_waitcnt lgkmcnt(1)
	v_add_u32_e32 v66, v66, v8
	v_lshlrev_b64 v[66:67], 3, v[66:67]
	v_add_co_u32_e32 v66, vcc, s82, v66
	v_addc_co_u32_e32 v67, vcc, v68, v67, vcc
	s_waitcnt lgkmcnt(0)
	global_store_dwordx2 v[66:67], v[64:65], off
	s_or_b64 exec, exec, s[36:37]
	s_and_saveexec_b64 s[36:37], s[44:45]
	s_cbranch_execnz .LBB810_571
.LBB810_586:                            ;   in Loop: Header=BB810_392 Depth=2
	s_or_b64 exec, exec, s[36:37]
	s_and_saveexec_b64 s[36:37], s[46:47]
	s_cbranch_execz .LBB810_572
.LBB810_587:                            ;   in Loop: Header=BB810_392 Depth=2
	v_lshlrev_b32_e32 v64, 2, v173
	ds_read_b32 v66, v64
	ds_read_b64 v[64:65], v104 offset:10240
	v_mov_b32_e32 v67, v4
	v_mov_b32_e32 v68, s83
	s_waitcnt lgkmcnt(1)
	v_add_u32_e32 v66, v66, v12
	v_lshlrev_b64 v[66:67], 3, v[66:67]
	v_add_co_u32_e32 v66, vcc, s82, v66
	v_addc_co_u32_e32 v67, vcc, v68, v67, vcc
	s_waitcnt lgkmcnt(0)
	global_store_dwordx2 v[66:67], v[64:65], off
	s_or_b64 exec, exec, s[36:37]
	s_and_saveexec_b64 s[36:37], s[48:49]
	s_cbranch_execnz .LBB810_573
.LBB810_588:                            ;   in Loop: Header=BB810_392 Depth=2
	s_or_b64 exec, exec, s[36:37]
	s_and_saveexec_b64 s[36:37], s[50:51]
	s_cbranch_execz .LBB810_574
.LBB810_589:                            ;   in Loop: Header=BB810_392 Depth=2
	v_lshlrev_b32_e32 v64, 2, v171
	ds_read_b32 v66, v64
	ds_read_b64 v[64:65], v104 offset:14336
	v_mov_b32_e32 v67, v4
	v_mov_b32_e32 v68, s83
	s_waitcnt lgkmcnt(1)
	v_add_u32_e32 v66, v66, v16
	v_lshlrev_b64 v[66:67], 3, v[66:67]
	v_add_co_u32_e32 v66, vcc, s82, v66
	v_addc_co_u32_e32 v67, vcc, v68, v67, vcc
	s_waitcnt lgkmcnt(0)
	global_store_dwordx2 v[66:67], v[64:65], off
	s_or_b64 exec, exec, s[36:37]
	s_and_saveexec_b64 s[36:37], s[52:53]
	s_cbranch_execnz .LBB810_575
.LBB810_590:                            ;   in Loop: Header=BB810_392 Depth=2
	s_or_b64 exec, exec, s[36:37]
	s_and_saveexec_b64 s[36:37], s[54:55]
	s_cbranch_execz .LBB810_576
.LBB810_591:                            ;   in Loop: Header=BB810_392 Depth=2
	v_lshlrev_b32_e32 v64, 2, v169
	ds_read_b32 v66, v64
	ds_read_b64 v[64:65], v104 offset:18432
	v_mov_b32_e32 v67, v4
	v_mov_b32_e32 v68, s83
	s_waitcnt lgkmcnt(1)
	v_add_u32_e32 v66, v66, v20
	v_lshlrev_b64 v[66:67], 3, v[66:67]
	v_add_co_u32_e32 v66, vcc, s82, v66
	v_addc_co_u32_e32 v67, vcc, v68, v67, vcc
	s_waitcnt lgkmcnt(0)
	global_store_dwordx2 v[66:67], v[64:65], off
	s_or_b64 exec, exec, s[36:37]
	s_and_saveexec_b64 s[36:37], s[56:57]
	s_cbranch_execnz .LBB810_577
.LBB810_592:                            ;   in Loop: Header=BB810_392 Depth=2
	s_or_b64 exec, exec, s[36:37]
	s_and_saveexec_b64 s[36:37], s[58:59]
	s_cbranch_execz .LBB810_578
.LBB810_593:                            ;   in Loop: Header=BB810_392 Depth=2
	v_lshlrev_b32_e32 v64, 2, v167
	ds_read_b32 v66, v64
	ds_read_b64 v[64:65], v104 offset:22528
	v_mov_b32_e32 v67, v4
	v_mov_b32_e32 v68, s83
	s_waitcnt lgkmcnt(1)
	v_add_u32_e32 v66, v66, v24
	v_lshlrev_b64 v[66:67], 3, v[66:67]
	v_add_co_u32_e32 v66, vcc, s82, v66
	v_addc_co_u32_e32 v67, vcc, v68, v67, vcc
	s_waitcnt lgkmcnt(0)
	global_store_dwordx2 v[66:67], v[64:65], off
	s_or_b64 exec, exec, s[36:37]
	s_and_saveexec_b64 s[36:37], s[60:61]
	s_cbranch_execnz .LBB810_579
.LBB810_594:                            ;   in Loop: Header=BB810_392 Depth=2
	s_or_b64 exec, exec, s[36:37]
	s_and_saveexec_b64 s[36:37], s[62:63]
	s_cbranch_execz .LBB810_580
.LBB810_595:                            ;   in Loop: Header=BB810_392 Depth=2
	v_lshlrev_b32_e32 v64, 2, v165
	ds_read_b32 v66, v64
	ds_read_b64 v[64:65], v104 offset:26624
	v_mov_b32_e32 v67, v4
	v_mov_b32_e32 v68, s83
	s_waitcnt lgkmcnt(1)
	v_add_u32_e32 v66, v66, v28
	v_lshlrev_b64 v[66:67], 3, v[66:67]
	v_add_co_u32_e32 v66, vcc, s82, v66
	v_addc_co_u32_e32 v67, vcc, v68, v67, vcc
	s_waitcnt lgkmcnt(0)
	global_store_dwordx2 v[66:67], v[64:65], off
	s_or_b64 exec, exec, s[36:37]
	s_and_saveexec_b64 s[36:37], s[64:65]
	s_cbranch_execnz .LBB810_581
.LBB810_596:                            ;   in Loop: Header=BB810_392 Depth=2
	s_or_b64 exec, exec, s[36:37]
	s_and_saveexec_b64 s[36:37], s[66:67]
	s_cbranch_execz .LBB810_598
.LBB810_597:                            ;   in Loop: Header=BB810_392 Depth=2
	v_lshlrev_b32_e32 v64, 2, v163
	ds_read_b32 v66, v64
	ds_read_b64 v[64:65], v104 offset:30720
	v_mov_b32_e32 v67, v4
	v_mov_b32_e32 v68, s83
	s_waitcnt lgkmcnt(1)
	v_add_u32_e32 v66, v66, v32
	v_lshlrev_b64 v[66:67], 3, v[66:67]
	v_add_co_u32_e32 v66, vcc, s82, v66
	v_addc_co_u32_e32 v67, vcc, v68, v67, vcc
	s_waitcnt lgkmcnt(0)
	global_store_dwordx2 v[66:67], v[64:65], off
.LBB810_598:                            ;   in Loop: Header=BB810_392 Depth=2
	s_or_b64 exec, exec, s[36:37]
	s_barrier
	s_and_saveexec_b64 s[36:37], s[4:5]
	s_cbranch_execz .LBB810_391
; %bb.599:                              ;   in Loop: Header=BB810_392 Depth=2
	ds_read_b32 v64, v3
	s_waitcnt lgkmcnt(0)
	v_add_u32_e32 v5, v64, v5
	ds_write_b32 v3, v5
	s_branch .LBB810_391
.LBB810_600:                            ;   in Loop: Header=BB810_12 Depth=1
	v_readlane_b32 s50, v235, 2
	s_waitcnt lgkmcnt(0)
	s_barrier
.LBB810_601:                            ;   in Loop: Header=BB810_12 Depth=1
	s_mov_b64 s[16:17], 0
.LBB810_602:                            ;   in Loop: Header=BB810_12 Depth=1
	s_andn2_b64 vcc, exec, s[16:17]
	s_cbranch_vccnz .LBB810_11
; %bb.603:                              ;   in Loop: Header=BB810_12 Depth=1
	s_lshl_b32 s16, -1, s68
	s_not_b32 s68, s16
	s_mov_b64 s[16:17], -1
	s_and_b64 vcc, exec, s[70:71]
	s_cbranch_vccz .LBB810_897
; %bb.604:                              ;   in Loop: Header=BB810_12 Depth=1
	s_mov_b32 s22, s85
	s_mov_b32 s88, s50
	s_barrier
	s_waitcnt lgkmcnt(0)
                                        ; implicit-def: $vgpr62_vgpr63
                                        ; implicit-def: $vgpr0_vgpr1
                                        ; implicit-def: $vgpr34_vgpr35
                                        ; implicit-def: $vgpr36_vgpr37
                                        ; implicit-def: $vgpr38_vgpr39
                                        ; implicit-def: $vgpr40_vgpr41
                                        ; implicit-def: $vgpr42_vgpr43
                                        ; implicit-def: $vgpr44_vgpr45
                                        ; implicit-def: $vgpr46_vgpr47
                                        ; implicit-def: $vgpr48_vgpr49
                                        ; implicit-def: $vgpr50_vgpr51
                                        ; implicit-def: $vgpr52_vgpr53
                                        ; implicit-def: $vgpr54_vgpr55
                                        ; implicit-def: $vgpr56_vgpr57
                                        ; implicit-def: $vgpr58_vgpr59
                                        ; implicit-def: $vgpr60_vgpr61
	s_branch .LBB810_606
.LBB810_605:                            ;   in Loop: Header=BB810_606 Depth=2
	s_or_b64 exec, exec, s[16:17]
	s_addk_i32 s22, 0xf000
	s_cmp_ge_u32 s23, s94
	s_mov_b32 s88, s23
	s_cbranch_scc1 .LBB810_676
.LBB810_606:                            ;   Parent Loop BB810_12 Depth=1
                                        ; =>  This Inner Loop Header: Depth=2
	s_add_i32 s23, s88, 0x1000
	s_cmp_gt_u32 s23, s94
	s_cbranch_scc1 .LBB810_609
; %bb.607:                              ;   in Loop: Header=BB810_606 Depth=2
	s_lshl_b64 s[16:17], s[88:89], 3
	v_mov_b32_e32 v5, s17
	v_add_co_u32_e32 v64, vcc, s16, v111
	v_addc_co_u32_e32 v65, vcc, v112, v5, vcc
	s_waitcnt vmcnt(11)
	v_add_co_u32_e32 v72, vcc, 0x1000, v64
	v_addc_co_u32_e32 v73, vcc, 0, v65, vcc
	s_waitcnt vmcnt(5)
	;; [unrolled: 3-line block ×3, first 2 shown]
	v_add_co_u32_e32 v82, vcc, s96, v64
	v_addc_co_u32_e32 v83, vcc, 0, v65, vcc
	v_add_co_u32_e32 v86, vcc, s97, v64
	v_addc_co_u32_e32 v87, vcc, 0, v65, vcc
	;; [unrolled: 2-line block ×4, first 2 shown]
	global_load_dwordx2 v[66:67], v[64:65], off
	global_load_dwordx2 v[68:69], v[64:65], off offset:2048
	global_load_dwordx2 v[70:71], v[72:73], off
	s_nop 0
	global_load_dwordx2 v[72:73], v[72:73], off offset:2048
	s_nop 0
	global_load_dwordx2 v[74:75], v[82:83], off
	global_load_dwordx2 v[76:77], v[82:83], off offset:2048
	global_load_dwordx2 v[80:81], v[88:89], off offset:-4096
	global_load_dwordx2 v[84:85], v[88:89], off
	s_nop 0
	global_load_dwordx2 v[88:89], v[88:89], off offset:2048
	s_nop 0
	global_load_dwordx2 v[78:79], v[78:79], off offset:2048
	;; [unrolled: 2-line block ×3, first 2 shown]
	s_nop 0
	global_load_dwordx2 v[90:91], v[92:93], off
	s_nop 0
	global_load_dwordx2 v[92:93], v[92:93], off offset:2048
	s_waitcnt vmcnt(13)
	v_add_co_u32_e32 v94, vcc, 0x7000, v64
	v_addc_co_u32_e32 v95, vcc, 0, v65, vcc
	global_load_dwordx2 v[82:83], v[82:83], off offset:-4096
	s_nop 0
	global_load_dwordx2 v[94:95], v[94:95], off
	v_add_co_u32_e32 v64, vcc, 0x7800, v64
	s_movk_i32 s24, 0x1000
	v_addc_co_u32_e32 v65, vcc, 0, v65, vcc
	s_mov_b64 s[16:17], -1
	s_cbranch_execz .LBB810_610
; %bb.608:                              ;   in Loop: Header=BB810_606 Depth=2
                                        ; implicit-def: $vgpr60_vgpr61
                                        ; implicit-def: $vgpr58_vgpr59
                                        ; implicit-def: $vgpr56_vgpr57
                                        ; implicit-def: $vgpr54_vgpr55
                                        ; implicit-def: $vgpr52_vgpr53
                                        ; implicit-def: $vgpr50_vgpr51
                                        ; implicit-def: $vgpr48_vgpr49
                                        ; implicit-def: $vgpr46_vgpr47
                                        ; implicit-def: $vgpr44_vgpr45
                                        ; implicit-def: $vgpr42_vgpr43
                                        ; implicit-def: $vgpr40_vgpr41
                                        ; implicit-def: $vgpr38_vgpr39
                                        ; implicit-def: $vgpr36_vgpr37
                                        ; implicit-def: $vgpr34_vgpr35
                                        ; implicit-def: $vgpr0_vgpr1
                                        ; implicit-def: $vgpr62_vgpr63
	v_mov_b32_e32 v5, s22
	s_and_saveexec_b64 s[18:19], s[16:17]
	s_cbranch_execnz .LBB810_629
	s_branch .LBB810_630
.LBB810_609:                            ;   in Loop: Header=BB810_606 Depth=2
	s_mov_b64 s[16:17], 0
                                        ; implicit-def: $sgpr24
                                        ; implicit-def: $vgpr66_vgpr67
                                        ; implicit-def: $vgpr68_vgpr69
                                        ; implicit-def: $vgpr70_vgpr71
                                        ; implicit-def: $vgpr72_vgpr73
                                        ; implicit-def: $vgpr82_vgpr83
                                        ; implicit-def: $vgpr78_vgpr79
                                        ; implicit-def: $vgpr74_vgpr75
                                        ; implicit-def: $vgpr76_vgpr77
                                        ; implicit-def: $vgpr80_vgpr81
                                        ; implicit-def: $vgpr86_vgpr87
                                        ; implicit-def: $vgpr84_vgpr85
                                        ; implicit-def: $vgpr88_vgpr89
                                        ; implicit-def: $vgpr90_vgpr91
                                        ; implicit-def: $vgpr92_vgpr93
                                        ; implicit-def: $vgpr94_vgpr95
                                        ; implicit-def: $vgpr64_vgpr65
.LBB810_610:                            ;   in Loop: Header=BB810_606 Depth=2
	s_lshl_b64 s[18:19], s[88:89], 3
	s_add_u32 s18, s72, s18
	s_addc_u32 s19, s73, s19
	v_cmp_gt_u32_e32 vcc, s22, v2
	s_and_saveexec_b64 s[20:21], vcc
	s_cbranch_execz .LBB810_662
; %bb.611:                              ;   in Loop: Header=BB810_606 Depth=2
	global_load_dwordx2 v[60:61], v118, s[18:19]
	s_or_b64 exec, exec, s[20:21]
	v_cmp_gt_u32_e32 vcc, s22, v7
	s_and_saveexec_b64 s[20:21], vcc
	s_cbranch_execnz .LBB810_663
.LBB810_612:                            ;   in Loop: Header=BB810_606 Depth=2
	s_or_b64 exec, exec, s[20:21]
	v_cmp_gt_u32_e32 vcc, s22, v6
	s_and_saveexec_b64 s[20:21], vcc
	s_cbranch_execz .LBB810_664
.LBB810_613:                            ;   in Loop: Header=BB810_606 Depth=2
	global_load_dwordx2 v[56:57], v119, s[18:19]
	s_or_b64 exec, exec, s[20:21]
	v_cmp_gt_u32_e32 vcc, s22, v8
	s_and_saveexec_b64 s[20:21], vcc
	s_cbranch_execnz .LBB810_665
.LBB810_614:                            ;   in Loop: Header=BB810_606 Depth=2
	s_or_b64 exec, exec, s[20:21]
	v_cmp_gt_u32_e32 vcc, s22, v10
	s_and_saveexec_b64 s[20:21], vcc
	s_cbranch_execz .LBB810_666
.LBB810_615:                            ;   in Loop: Header=BB810_606 Depth=2
	global_load_dwordx2 v[52:53], v121, s[18:19]
	s_or_b64 exec, exec, s[20:21]
	v_cmp_gt_u32_e32 vcc, s22, v12
	s_and_saveexec_b64 s[20:21], vcc
	s_cbranch_execnz .LBB810_667
.LBB810_616:                            ;   in Loop: Header=BB810_606 Depth=2
	s_or_b64 exec, exec, s[20:21]
	v_cmp_gt_u32_e32 vcc, s22, v14
	s_and_saveexec_b64 s[20:21], vcc
	s_cbranch_execz .LBB810_668
.LBB810_617:                            ;   in Loop: Header=BB810_606 Depth=2
	global_load_dwordx2 v[48:49], v123, s[18:19]
	s_or_b64 exec, exec, s[20:21]
	v_cmp_gt_u32_e32 vcc, s22, v16
	s_and_saveexec_b64 s[20:21], vcc
	s_cbranch_execnz .LBB810_669
.LBB810_618:                            ;   in Loop: Header=BB810_606 Depth=2
	s_or_b64 exec, exec, s[20:21]
	v_cmp_gt_u32_e32 vcc, s22, v18
	s_and_saveexec_b64 s[20:21], vcc
	s_cbranch_execz .LBB810_670
.LBB810_619:                            ;   in Loop: Header=BB810_606 Depth=2
	global_load_dwordx2 v[44:45], v125, s[18:19]
	s_or_b64 exec, exec, s[20:21]
	v_cmp_gt_u32_e32 vcc, s22, v20
	s_and_saveexec_b64 s[20:21], vcc
	s_cbranch_execnz .LBB810_671
.LBB810_620:                            ;   in Loop: Header=BB810_606 Depth=2
	s_or_b64 exec, exec, s[20:21]
	v_cmp_gt_u32_e32 vcc, s22, v22
	s_and_saveexec_b64 s[20:21], vcc
	s_cbranch_execz .LBB810_672
.LBB810_621:                            ;   in Loop: Header=BB810_606 Depth=2
	global_load_dwordx2 v[40:41], v127, s[18:19]
	s_or_b64 exec, exec, s[20:21]
	v_cmp_gt_u32_e32 vcc, s22, v24
	s_and_saveexec_b64 s[20:21], vcc
	s_cbranch_execnz .LBB810_673
.LBB810_622:                            ;   in Loop: Header=BB810_606 Depth=2
	s_or_b64 exec, exec, s[20:21]
	v_cmp_gt_u32_e32 vcc, s22, v26
	s_and_saveexec_b64 s[20:21], vcc
	s_cbranch_execz .LBB810_674
.LBB810_623:                            ;   in Loop: Header=BB810_606 Depth=2
	global_load_dwordx2 v[36:37], v129, s[18:19]
	s_or_b64 exec, exec, s[20:21]
	v_cmp_gt_u32_e32 vcc, s22, v28
	s_and_saveexec_b64 s[20:21], vcc
	s_cbranch_execnz .LBB810_675
.LBB810_624:                            ;   in Loop: Header=BB810_606 Depth=2
	s_or_b64 exec, exec, s[20:21]
	v_cmp_gt_u32_e32 vcc, s22, v30
	s_and_saveexec_b64 s[20:21], vcc
	s_cbranch_execz .LBB810_626
.LBB810_625:                            ;   in Loop: Header=BB810_606 Depth=2
	global_load_dwordx2 v[0:1], v131, s[18:19]
.LBB810_626:                            ;   in Loop: Header=BB810_606 Depth=2
	s_or_b64 exec, exec, s[20:21]
	v_cmp_gt_u32_e32 vcc, s22, v32
                                        ; implicit-def: $sgpr24
                                        ; implicit-def: $vgpr64_vgpr65
	s_and_saveexec_b64 s[20:21], vcc
; %bb.627:                              ;   in Loop: Header=BB810_606 Depth=2
	v_mov_b32_e32 v5, s19
	v_add_co_u32_e32 v64, vcc, s18, v132
	s_sub_i32 s24, s94, s88
	v_addc_co_u32_e32 v65, vcc, 0, v5, vcc
	s_or_b64 s[16:17], s[16:17], exec
                                        ; implicit-def: $vgpr62_vgpr63
; %bb.628:                              ;   in Loop: Header=BB810_606 Depth=2
	s_or_b64 exec, exec, s[20:21]
	s_waitcnt vmcnt(0)
	v_pk_mov_b32 v[66:67], v[60:61], v[60:61] op_sel:[0,1]
	v_pk_mov_b32 v[68:69], v[58:59], v[58:59] op_sel:[0,1]
	;; [unrolled: 1-line block ×15, first 2 shown]
	v_mov_b32_e32 v5, s22
	s_and_saveexec_b64 s[18:19], s[16:17]
	s_cbranch_execz .LBB810_630
.LBB810_629:                            ;   in Loop: Header=BB810_606 Depth=2
	global_load_dwordx2 v[62:63], v[64:65], off
	v_mov_b32_e32 v5, s24
	s_waitcnt vmcnt(1)
	v_pk_mov_b32 v[0:1], v[94:95], v[94:95] op_sel:[0,1]
	v_pk_mov_b32 v[34:35], v[92:93], v[92:93] op_sel:[0,1]
	;; [unrolled: 1-line block ×15, first 2 shown]
.LBB810_630:                            ;   in Loop: Header=BB810_606 Depth=2
	s_or_b64 exec, exec, s[18:19]
	v_cmp_lt_u32_e32 vcc, v2, v5
	s_and_saveexec_b64 s[16:17], vcc
	s_cbranch_execz .LBB810_646
; %bb.631:                              ;   in Loop: Header=BB810_606 Depth=2
	v_xor_b32_e32 v65, 0x80000000, v61
	v_mov_b32_e32 v64, v60
	v_lshrrev_b64 v[64:65], s84, v[64:65]
	v_and_b32_e32 v64, s68, v64
	v_lshl_or_b32 v64, v64, 4, v133
	ds_add_u32 v64, v117
	s_or_b64 exec, exec, s[16:17]
	v_cmp_lt_u32_e32 vcc, v7, v5
	s_and_saveexec_b64 s[16:17], vcc
	s_cbranch_execnz .LBB810_647
.LBB810_632:                            ;   in Loop: Header=BB810_606 Depth=2
	s_or_b64 exec, exec, s[16:17]
	v_cmp_lt_u32_e32 vcc, v6, v5
	s_and_saveexec_b64 s[16:17], vcc
	s_cbranch_execz .LBB810_648
.LBB810_633:                            ;   in Loop: Header=BB810_606 Depth=2
	v_xor_b32_e32 v65, 0x80000000, v57
	v_mov_b32_e32 v64, v56
	v_lshrrev_b64 v[64:65], s84, v[64:65]
	v_and_b32_e32 v64, s68, v64
	v_lshl_or_b32 v64, v64, 4, v133
	ds_add_u32 v64, v117
	s_or_b64 exec, exec, s[16:17]
	v_cmp_lt_u32_e32 vcc, v8, v5
	s_and_saveexec_b64 s[16:17], vcc
	s_cbranch_execnz .LBB810_649
.LBB810_634:                            ;   in Loop: Header=BB810_606 Depth=2
	s_or_b64 exec, exec, s[16:17]
	v_cmp_lt_u32_e32 vcc, v10, v5
	s_and_saveexec_b64 s[16:17], vcc
	s_cbranch_execz .LBB810_650
.LBB810_635:                            ;   in Loop: Header=BB810_606 Depth=2
	v_xor_b32_e32 v65, 0x80000000, v53
	v_mov_b32_e32 v64, v52
	v_lshrrev_b64 v[64:65], s84, v[64:65]
	v_and_b32_e32 v64, s68, v64
	v_lshl_or_b32 v64, v64, 4, v133
	ds_add_u32 v64, v117
	s_or_b64 exec, exec, s[16:17]
	v_cmp_lt_u32_e32 vcc, v12, v5
	s_and_saveexec_b64 s[16:17], vcc
	s_cbranch_execnz .LBB810_651
.LBB810_636:                            ;   in Loop: Header=BB810_606 Depth=2
	s_or_b64 exec, exec, s[16:17]
	v_cmp_lt_u32_e32 vcc, v14, v5
	s_and_saveexec_b64 s[16:17], vcc
	s_cbranch_execz .LBB810_652
.LBB810_637:                            ;   in Loop: Header=BB810_606 Depth=2
	v_xor_b32_e32 v65, 0x80000000, v49
	v_mov_b32_e32 v64, v48
	v_lshrrev_b64 v[64:65], s84, v[64:65]
	v_and_b32_e32 v64, s68, v64
	v_lshl_or_b32 v64, v64, 4, v133
	ds_add_u32 v64, v117
	s_or_b64 exec, exec, s[16:17]
	v_cmp_lt_u32_e32 vcc, v16, v5
	s_and_saveexec_b64 s[16:17], vcc
	s_cbranch_execnz .LBB810_653
.LBB810_638:                            ;   in Loop: Header=BB810_606 Depth=2
	s_or_b64 exec, exec, s[16:17]
	v_cmp_lt_u32_e32 vcc, v18, v5
	s_and_saveexec_b64 s[16:17], vcc
	s_cbranch_execz .LBB810_654
.LBB810_639:                            ;   in Loop: Header=BB810_606 Depth=2
	v_xor_b32_e32 v65, 0x80000000, v45
	v_mov_b32_e32 v64, v44
	v_lshrrev_b64 v[64:65], s84, v[64:65]
	v_and_b32_e32 v64, s68, v64
	v_lshl_or_b32 v64, v64, 4, v133
	ds_add_u32 v64, v117
	s_or_b64 exec, exec, s[16:17]
	v_cmp_lt_u32_e32 vcc, v20, v5
	s_and_saveexec_b64 s[16:17], vcc
	s_cbranch_execnz .LBB810_655
.LBB810_640:                            ;   in Loop: Header=BB810_606 Depth=2
	s_or_b64 exec, exec, s[16:17]
	v_cmp_lt_u32_e32 vcc, v22, v5
	s_and_saveexec_b64 s[16:17], vcc
	s_cbranch_execz .LBB810_656
.LBB810_641:                            ;   in Loop: Header=BB810_606 Depth=2
	v_xor_b32_e32 v65, 0x80000000, v41
	v_mov_b32_e32 v64, v40
	v_lshrrev_b64 v[64:65], s84, v[64:65]
	v_and_b32_e32 v64, s68, v64
	v_lshl_or_b32 v64, v64, 4, v133
	ds_add_u32 v64, v117
	s_or_b64 exec, exec, s[16:17]
	v_cmp_lt_u32_e32 vcc, v24, v5
	s_and_saveexec_b64 s[16:17], vcc
	s_cbranch_execnz .LBB810_657
.LBB810_642:                            ;   in Loop: Header=BB810_606 Depth=2
	s_or_b64 exec, exec, s[16:17]
	v_cmp_lt_u32_e32 vcc, v26, v5
	s_and_saveexec_b64 s[16:17], vcc
	s_cbranch_execz .LBB810_658
.LBB810_643:                            ;   in Loop: Header=BB810_606 Depth=2
	v_xor_b32_e32 v65, 0x80000000, v37
	v_mov_b32_e32 v64, v36
	v_lshrrev_b64 v[64:65], s84, v[64:65]
	v_and_b32_e32 v64, s68, v64
	v_lshl_or_b32 v64, v64, 4, v133
	ds_add_u32 v64, v117
	s_or_b64 exec, exec, s[16:17]
	v_cmp_lt_u32_e32 vcc, v28, v5
	s_and_saveexec_b64 s[16:17], vcc
	s_cbranch_execnz .LBB810_659
.LBB810_644:                            ;   in Loop: Header=BB810_606 Depth=2
	s_or_b64 exec, exec, s[16:17]
	v_cmp_lt_u32_e32 vcc, v30, v5
	s_and_saveexec_b64 s[16:17], vcc
	s_cbranch_execz .LBB810_660
.LBB810_645:                            ;   in Loop: Header=BB810_606 Depth=2
	v_xor_b32_e32 v65, 0x80000000, v1
	v_mov_b32_e32 v64, v0
	v_lshrrev_b64 v[64:65], s84, v[64:65]
	v_and_b32_e32 v64, s68, v64
	v_lshl_or_b32 v64, v64, 4, v133
	ds_add_u32 v64, v117
	s_or_b64 exec, exec, s[16:17]
	v_cmp_lt_u32_e32 vcc, v32, v5
	s_and_saveexec_b64 s[16:17], vcc
	s_cbranch_execz .LBB810_605
	s_branch .LBB810_661
.LBB810_646:                            ;   in Loop: Header=BB810_606 Depth=2
	s_or_b64 exec, exec, s[16:17]
	v_cmp_lt_u32_e32 vcc, v7, v5
	s_and_saveexec_b64 s[16:17], vcc
	s_cbranch_execz .LBB810_632
.LBB810_647:                            ;   in Loop: Header=BB810_606 Depth=2
	v_xor_b32_e32 v65, 0x80000000, v59
	v_mov_b32_e32 v64, v58
	v_lshrrev_b64 v[64:65], s84, v[64:65]
	v_and_b32_e32 v64, s68, v64
	v_lshl_or_b32 v64, v64, 4, v133
	ds_add_u32 v64, v117
	s_or_b64 exec, exec, s[16:17]
	v_cmp_lt_u32_e32 vcc, v6, v5
	s_and_saveexec_b64 s[16:17], vcc
	s_cbranch_execnz .LBB810_633
.LBB810_648:                            ;   in Loop: Header=BB810_606 Depth=2
	s_or_b64 exec, exec, s[16:17]
	v_cmp_lt_u32_e32 vcc, v8, v5
	s_and_saveexec_b64 s[16:17], vcc
	s_cbranch_execz .LBB810_634
.LBB810_649:                            ;   in Loop: Header=BB810_606 Depth=2
	v_xor_b32_e32 v65, 0x80000000, v55
	v_mov_b32_e32 v64, v54
	v_lshrrev_b64 v[64:65], s84, v[64:65]
	v_and_b32_e32 v64, s68, v64
	v_lshl_or_b32 v64, v64, 4, v133
	ds_add_u32 v64, v117
	s_or_b64 exec, exec, s[16:17]
	v_cmp_lt_u32_e32 vcc, v10, v5
	s_and_saveexec_b64 s[16:17], vcc
	s_cbranch_execnz .LBB810_635
.LBB810_650:                            ;   in Loop: Header=BB810_606 Depth=2
	s_or_b64 exec, exec, s[16:17]
	v_cmp_lt_u32_e32 vcc, v12, v5
	s_and_saveexec_b64 s[16:17], vcc
	s_cbranch_execz .LBB810_636
.LBB810_651:                            ;   in Loop: Header=BB810_606 Depth=2
	v_xor_b32_e32 v65, 0x80000000, v51
	v_mov_b32_e32 v64, v50
	v_lshrrev_b64 v[64:65], s84, v[64:65]
	v_and_b32_e32 v64, s68, v64
	v_lshl_or_b32 v64, v64, 4, v133
	ds_add_u32 v64, v117
	s_or_b64 exec, exec, s[16:17]
	v_cmp_lt_u32_e32 vcc, v14, v5
	s_and_saveexec_b64 s[16:17], vcc
	s_cbranch_execnz .LBB810_637
.LBB810_652:                            ;   in Loop: Header=BB810_606 Depth=2
	s_or_b64 exec, exec, s[16:17]
	v_cmp_lt_u32_e32 vcc, v16, v5
	s_and_saveexec_b64 s[16:17], vcc
	s_cbranch_execz .LBB810_638
.LBB810_653:                            ;   in Loop: Header=BB810_606 Depth=2
	v_xor_b32_e32 v65, 0x80000000, v47
	v_mov_b32_e32 v64, v46
	v_lshrrev_b64 v[64:65], s84, v[64:65]
	v_and_b32_e32 v64, s68, v64
	v_lshl_or_b32 v64, v64, 4, v133
	ds_add_u32 v64, v117
	s_or_b64 exec, exec, s[16:17]
	v_cmp_lt_u32_e32 vcc, v18, v5
	s_and_saveexec_b64 s[16:17], vcc
	s_cbranch_execnz .LBB810_639
.LBB810_654:                            ;   in Loop: Header=BB810_606 Depth=2
	s_or_b64 exec, exec, s[16:17]
	v_cmp_lt_u32_e32 vcc, v20, v5
	s_and_saveexec_b64 s[16:17], vcc
	s_cbranch_execz .LBB810_640
.LBB810_655:                            ;   in Loop: Header=BB810_606 Depth=2
	v_xor_b32_e32 v65, 0x80000000, v43
	v_mov_b32_e32 v64, v42
	v_lshrrev_b64 v[64:65], s84, v[64:65]
	v_and_b32_e32 v64, s68, v64
	v_lshl_or_b32 v64, v64, 4, v133
	ds_add_u32 v64, v117
	s_or_b64 exec, exec, s[16:17]
	v_cmp_lt_u32_e32 vcc, v22, v5
	s_and_saveexec_b64 s[16:17], vcc
	s_cbranch_execnz .LBB810_641
.LBB810_656:                            ;   in Loop: Header=BB810_606 Depth=2
	s_or_b64 exec, exec, s[16:17]
	v_cmp_lt_u32_e32 vcc, v24, v5
	s_and_saveexec_b64 s[16:17], vcc
	s_cbranch_execz .LBB810_642
.LBB810_657:                            ;   in Loop: Header=BB810_606 Depth=2
	v_xor_b32_e32 v65, 0x80000000, v39
	v_mov_b32_e32 v64, v38
	v_lshrrev_b64 v[64:65], s84, v[64:65]
	v_and_b32_e32 v64, s68, v64
	v_lshl_or_b32 v64, v64, 4, v133
	ds_add_u32 v64, v117
	s_or_b64 exec, exec, s[16:17]
	v_cmp_lt_u32_e32 vcc, v26, v5
	s_and_saveexec_b64 s[16:17], vcc
	s_cbranch_execnz .LBB810_643
.LBB810_658:                            ;   in Loop: Header=BB810_606 Depth=2
	s_or_b64 exec, exec, s[16:17]
	v_cmp_lt_u32_e32 vcc, v28, v5
	s_and_saveexec_b64 s[16:17], vcc
	s_cbranch_execz .LBB810_644
.LBB810_659:                            ;   in Loop: Header=BB810_606 Depth=2
	v_xor_b32_e32 v65, 0x80000000, v35
	v_mov_b32_e32 v64, v34
	v_lshrrev_b64 v[64:65], s84, v[64:65]
	v_and_b32_e32 v64, s68, v64
	v_lshl_or_b32 v64, v64, 4, v133
	ds_add_u32 v64, v117
	s_or_b64 exec, exec, s[16:17]
	v_cmp_lt_u32_e32 vcc, v30, v5
	s_and_saveexec_b64 s[16:17], vcc
	s_cbranch_execnz .LBB810_645
.LBB810_660:                            ;   in Loop: Header=BB810_606 Depth=2
	s_or_b64 exec, exec, s[16:17]
	v_cmp_lt_u32_e32 vcc, v32, v5
	s_and_saveexec_b64 s[16:17], vcc
	s_cbranch_execz .LBB810_605
.LBB810_661:                            ;   in Loop: Header=BB810_606 Depth=2
	s_waitcnt vmcnt(0)
	v_xor_b32_e32 v65, 0x80000000, v63
	v_mov_b32_e32 v64, v62
	v_lshrrev_b64 v[64:65], s84, v[64:65]
	v_and_b32_e32 v5, s68, v64
	v_lshl_or_b32 v5, v5, 4, v133
	ds_add_u32 v5, v117
	s_branch .LBB810_605
.LBB810_662:                            ;   in Loop: Header=BB810_606 Depth=2
	s_or_b64 exec, exec, s[20:21]
	v_cmp_gt_u32_e32 vcc, s22, v7
	s_and_saveexec_b64 s[20:21], vcc
	s_cbranch_execz .LBB810_612
.LBB810_663:                            ;   in Loop: Header=BB810_606 Depth=2
	global_load_dwordx2 v[58:59], v118, s[18:19] offset:2048
	s_or_b64 exec, exec, s[20:21]
	v_cmp_gt_u32_e32 vcc, s22, v6
	s_and_saveexec_b64 s[20:21], vcc
	s_cbranch_execnz .LBB810_613
.LBB810_664:                            ;   in Loop: Header=BB810_606 Depth=2
	s_or_b64 exec, exec, s[20:21]
	v_cmp_gt_u32_e32 vcc, s22, v8
	s_and_saveexec_b64 s[20:21], vcc
	s_cbranch_execz .LBB810_614
.LBB810_665:                            ;   in Loop: Header=BB810_606 Depth=2
	global_load_dwordx2 v[54:55], v120, s[18:19]
	s_or_b64 exec, exec, s[20:21]
	v_cmp_gt_u32_e32 vcc, s22, v10
	s_and_saveexec_b64 s[20:21], vcc
	s_cbranch_execnz .LBB810_615
.LBB810_666:                            ;   in Loop: Header=BB810_606 Depth=2
	s_or_b64 exec, exec, s[20:21]
	v_cmp_gt_u32_e32 vcc, s22, v12
	s_and_saveexec_b64 s[20:21], vcc
	s_cbranch_execz .LBB810_616
.LBB810_667:                            ;   in Loop: Header=BB810_606 Depth=2
	global_load_dwordx2 v[50:51], v122, s[18:19]
	s_or_b64 exec, exec, s[20:21]
	v_cmp_gt_u32_e32 vcc, s22, v14
	s_and_saveexec_b64 s[20:21], vcc
	s_cbranch_execnz .LBB810_617
.LBB810_668:                            ;   in Loop: Header=BB810_606 Depth=2
	s_or_b64 exec, exec, s[20:21]
	v_cmp_gt_u32_e32 vcc, s22, v16
	s_and_saveexec_b64 s[20:21], vcc
	s_cbranch_execz .LBB810_618
.LBB810_669:                            ;   in Loop: Header=BB810_606 Depth=2
	global_load_dwordx2 v[46:47], v124, s[18:19]
	s_or_b64 exec, exec, s[20:21]
	v_cmp_gt_u32_e32 vcc, s22, v18
	s_and_saveexec_b64 s[20:21], vcc
	s_cbranch_execnz .LBB810_619
.LBB810_670:                            ;   in Loop: Header=BB810_606 Depth=2
	s_or_b64 exec, exec, s[20:21]
	v_cmp_gt_u32_e32 vcc, s22, v20
	s_and_saveexec_b64 s[20:21], vcc
	s_cbranch_execz .LBB810_620
.LBB810_671:                            ;   in Loop: Header=BB810_606 Depth=2
	global_load_dwordx2 v[42:43], v126, s[18:19]
	s_or_b64 exec, exec, s[20:21]
	v_cmp_gt_u32_e32 vcc, s22, v22
	s_and_saveexec_b64 s[20:21], vcc
	s_cbranch_execnz .LBB810_621
.LBB810_672:                            ;   in Loop: Header=BB810_606 Depth=2
	s_or_b64 exec, exec, s[20:21]
	v_cmp_gt_u32_e32 vcc, s22, v24
	s_and_saveexec_b64 s[20:21], vcc
	s_cbranch_execz .LBB810_622
.LBB810_673:                            ;   in Loop: Header=BB810_606 Depth=2
	global_load_dwordx2 v[38:39], v128, s[18:19]
	s_or_b64 exec, exec, s[20:21]
	v_cmp_gt_u32_e32 vcc, s22, v26
	s_and_saveexec_b64 s[20:21], vcc
	s_cbranch_execnz .LBB810_623
.LBB810_674:                            ;   in Loop: Header=BB810_606 Depth=2
	s_or_b64 exec, exec, s[20:21]
	v_cmp_gt_u32_e32 vcc, s22, v28
	s_and_saveexec_b64 s[20:21], vcc
	s_cbranch_execz .LBB810_624
.LBB810_675:                            ;   in Loop: Header=BB810_606 Depth=2
	global_load_dwordx2 v[34:35], v130, s[18:19]
	s_or_b64 exec, exec, s[20:21]
	v_cmp_gt_u32_e32 vcc, s22, v30
	s_and_saveexec_b64 s[20:21], vcc
	s_cbranch_execz .LBB810_626
	s_branch .LBB810_625
.LBB810_676:                            ;   in Loop: Header=BB810_12 Depth=1
	v_mov_b32_e32 v0, 0
	s_waitcnt lgkmcnt(0)
	s_barrier
	s_and_saveexec_b64 s[16:17], s[4:5]
	s_cbranch_execz .LBB810_678
; %bb.677:                              ;   in Loop: Header=BB810_12 Depth=1
	ds_read2_b64 v[34:37], v13 offset1:1
	s_waitcnt lgkmcnt(0)
	v_add_u32_e32 v0, v35, v34
	v_add3_u32 v0, v0, v36, v37
.LBB810_678:                            ;   in Loop: Header=BB810_12 Depth=1
	s_or_b64 exec, exec, s[16:17]
	s_nop 0
	v_mov_b32_dpp v1, v0 row_shr:1 row_mask:0xf bank_mask:0xf
	v_cmp_eq_u32_e64 s[16:17], 0, v135
	v_cndmask_b32_e64 v1, v1, 0, s[16:17]
	v_add_u32_e32 v0, v1, v0
	v_cmp_lt_u32_e64 s[18:19], 1, v135
	v_cmp_lt_u32_e64 s[20:21], 3, v135
	v_mov_b32_dpp v1, v0 row_shr:2 row_mask:0xf bank_mask:0xf
	v_cndmask_b32_e64 v1, 0, v1, s[18:19]
	v_add_u32_e32 v0, v0, v1
	v_cmp_lt_u32_e64 s[22:23], 7, v135
	v_cmp_lt_u32_e64 s[26:27], 31, v134
	v_mov_b32_dpp v1, v0 row_shr:4 row_mask:0xf bank_mask:0xf
	v_cndmask_b32_e64 v1, 0, v1, s[20:21]
	v_add_u32_e32 v0, v0, v1
	v_cmp_eq_u32_e64 s[24:25], 0, v137
	s_nop 0
	v_mov_b32_dpp v1, v0 row_shr:8 row_mask:0xf bank_mask:0xf
	v_cndmask_b32_e64 v1, 0, v1, s[22:23]
	v_add_u32_e32 v0, v0, v1
	s_nop 1
	v_mov_b32_dpp v1, v0 row_bcast:15 row_mask:0xf bank_mask:0xf
	v_and_b32_e32 v1, v136, v1
	v_add_u32_e32 v0, v0, v1
	s_nop 1
	v_mov_b32_dpp v1, v0 row_bcast:31 row_mask:0xf bank_mask:0xf
	v_cndmask_b32_e64 v1, 0, v1, s[26:27]
	v_add_u32_e32 v0, v0, v1
	s_and_saveexec_b64 s[28:29], s[6:7]
	v_readlane_b32 s38, v235, 2
	s_cbranch_execz .LBB810_680
; %bb.679:                              ;   in Loop: Header=BB810_12 Depth=1
	ds_write_b32 v17, v0
.LBB810_680:                            ;   in Loop: Header=BB810_12 Depth=1
	s_or_b64 exec, exec, s[28:29]
	s_waitcnt lgkmcnt(0)
	s_barrier
	s_and_saveexec_b64 s[28:29], s[8:9]
	s_cbranch_execz .LBB810_682
; %bb.681:                              ;   in Loop: Header=BB810_12 Depth=1
	ds_read_b32 v1, v19
	v_cmp_ne_u32_e32 vcc, 0, v138
	s_waitcnt lgkmcnt(0)
	v_mov_b32_dpp v5, v1 row_shr:1 row_mask:0xf bank_mask:0xf
	v_cndmask_b32_e32 v5, 0, v5, vcc
	v_add_u32_e32 v1, v5, v1
	v_cmp_lt_u32_e32 vcc, 1, v138
	s_nop 0
	v_mov_b32_dpp v5, v1 row_shr:2 row_mask:0xf bank_mask:0xf
	v_cndmask_b32_e32 v5, 0, v5, vcc
	v_add_u32_e32 v1, v1, v5
	ds_write_b32 v19, v1
.LBB810_682:                            ;   in Loop: Header=BB810_12 Depth=1
	s_or_b64 exec, exec, s[28:29]
	v_mov_b32_e32 v1, 0
	s_waitcnt lgkmcnt(0)
	s_barrier
	s_and_saveexec_b64 s[28:29], s[10:11]
	s_cbranch_execz .LBB810_684
; %bb.683:                              ;   in Loop: Header=BB810_12 Depth=1
	ds_read_b32 v1, v21
.LBB810_684:                            ;   in Loop: Header=BB810_12 Depth=1
	s_or_b64 exec, exec, s[28:29]
	v_cmp_lt_i32_e32 vcc, v139, v140
	v_cndmask_b32_e32 v5, v139, v134, vcc
	s_waitcnt lgkmcnt(0)
	v_add_u32_e32 v0, v1, v0
	v_lshlrev_b32_e32 v158, 2, v5
	ds_bpermute_b32 v0, v158, v0
	v_cmp_eq_u32_e64 s[28:29], 0, v134
	s_waitcnt lgkmcnt(0)
	s_barrier
	s_and_saveexec_b64 s[30:31], s[4:5]
	s_cbranch_execz .LBB810_686
; %bb.685:                              ;   in Loop: Header=BB810_12 Depth=1
	v_cndmask_b32_e64 v0, v0, v1, s[28:29]
	v_add_u32_e32 v0, s38, v0
	ds_write_b32 v3, v0
.LBB810_686:                            ;   in Loop: Header=BB810_12 Depth=1
	s_or_b64 exec, exec, s[30:31]
	s_load_dwordx2 s[30:31], s[90:91], 0x0
	v_readlane_b32 s34, v235, 1
	v_add_co_u32_e32 v159, vcc, v113, v141
	v_addc_co_u32_e32 v160, vcc, 0, v114, vcc
	s_waitcnt lgkmcnt(0)
	s_cmp_lt_u32 s34, s30
	v_readlane_b32 s30, v235, 0
	s_cselect_b32 s34, 12, 18
	s_cmp_lt_u32 s30, s31
	s_cselect_b32 s30, 14, 20
	s_add_u32 s30, s90, s30
	s_addc_u32 s31, s91, 0
	s_add_u32 s34, s90, s34
	global_load_ushort v5, v4, s[30:31]
	s_addc_u32 s35, s91, 0
	global_load_ushort v64, v4, s[34:35]
	v_add_co_u32_e32 v161, vcc, v115, v141
	v_addc_co_u32_e32 v162, vcc, 0, v116, vcc
	v_add_co_u32_e32 v176, vcc, 0x1e00, v161
	v_cmp_eq_u32_e64 s[30:31], 0, v138
	v_cmp_lt_u32_e64 s[34:35], 1, v138
	s_mov_b32 s69, s85
	v_addc_co_u32_e32 v179, vcc, 0, v162, vcc
	s_mov_b32 s88, s38
                                        ; implicit-def: $vgpr0_vgpr1
                                        ; implicit-def: $vgpr34_vgpr35
                                        ; implicit-def: $vgpr36_vgpr37
                                        ; implicit-def: $vgpr40_vgpr41
                                        ; implicit-def: $vgpr44_vgpr45
                                        ; implicit-def: $vgpr48_vgpr49
                                        ; implicit-def: $vgpr52_vgpr53
                                        ; implicit-def: $vgpr56_vgpr57
                                        ; implicit-def: $vgpr38_vgpr39
                                        ; implicit-def: $vgpr42_vgpr43
                                        ; implicit-def: $vgpr46_vgpr47
                                        ; implicit-def: $vgpr50_vgpr51
                                        ; implicit-def: $vgpr54_vgpr55
                                        ; implicit-def: $vgpr58_vgpr59
                                        ; implicit-def: $vgpr60_vgpr61
                                        ; implicit-def: $vgpr62_vgpr63
                                        ; implicit-def: $vgpr163
                                        ; implicit-def: $vgpr164
                                        ; implicit-def: $vgpr165
                                        ; implicit-def: $vgpr166
                                        ; implicit-def: $vgpr167
                                        ; implicit-def: $vgpr168
                                        ; implicit-def: $vgpr169
                                        ; implicit-def: $vgpr170
                                        ; implicit-def: $vgpr171
                                        ; implicit-def: $vgpr172
                                        ; implicit-def: $vgpr173
                                        ; implicit-def: $vgpr174
                                        ; implicit-def: $vgpr175
                                        ; implicit-def: $vgpr177
                                        ; implicit-def: $vgpr178
                                        ; implicit-def: $vgpr180
	s_waitcnt vmcnt(1)
	v_mad_u32_u24 v5, v23, v5, v25
	s_waitcnt vmcnt(0)
	v_mad_u64_u32 v[64:65], s[36:37], v5, v64, v[2:3]
	v_lshrrev_b32_e32 v181, 6, v64
	s_branch .LBB810_688
.LBB810_687:                            ;   in Loop: Header=BB810_688 Depth=2
	s_or_b64 exec, exec, s[36:37]
	s_addk_i32 s69, 0xf000
	s_cmp_lt_u32 s86, s94
	s_mov_b32 s88, s86
	s_cbranch_scc0 .LBB810_896
.LBB810_688:                            ;   Parent Loop BB810_12 Depth=1
                                        ; =>  This Inner Loop Header: Depth=2
	s_add_i32 s86, s88, 0x1000
	s_cmp_gt_u32 s86, s94
	s_cbranch_scc1 .LBB810_690
; %bb.689:                              ;   in Loop: Header=BB810_688 Depth=2
	s_lshl_b64 s[36:37], s[88:89], 3
	v_mov_b32_e32 v5, s37
	v_add_co_u32_e32 v80, vcc, s36, v161
	v_addc_co_u32_e32 v81, vcc, v162, v5, vcc
	v_add_co_u32_e32 v92, vcc, 0x1000, v80
	global_load_dwordx2 v[64:65], v[80:81], off
	global_load_dwordx2 v[66:67], v[80:81], off offset:512
	global_load_dwordx2 v[68:69], v[80:81], off offset:1024
	;; [unrolled: 1-line block ×7, first 2 shown]
	v_addc_co_u32_e32 v93, vcc, 0, v81, vcc
	global_load_dwordx2 v[80:81], v[92:93], off
	global_load_dwordx2 v[82:83], v[92:93], off offset:512
	global_load_dwordx2 v[84:85], v[92:93], off offset:1024
	;; [unrolled: 1-line block ×5, first 2 shown]
	s_nop 0
	global_load_dwordx2 v[92:93], v[92:93], off offset:3072
	s_movk_i32 s40, 0x1000
	s_mov_b64 s[36:37], -1
	s_cbranch_execz .LBB810_691
	s_branch .LBB810_722
.LBB810_690:                            ;   in Loop: Header=BB810_688 Depth=2
	s_mov_b64 s[36:37], 0
                                        ; implicit-def: $sgpr40
                                        ; implicit-def: $vgpr64_vgpr65
                                        ; implicit-def: $vgpr66_vgpr67
                                        ; implicit-def: $vgpr68_vgpr69
                                        ; implicit-def: $vgpr70_vgpr71
                                        ; implicit-def: $vgpr72_vgpr73
                                        ; implicit-def: $vgpr74_vgpr75
                                        ; implicit-def: $vgpr76_vgpr77
                                        ; implicit-def: $vgpr78_vgpr79
                                        ; implicit-def: $vgpr80_vgpr81
                                        ; implicit-def: $vgpr82_vgpr83
                                        ; implicit-def: $vgpr84_vgpr85
                                        ; implicit-def: $vgpr86_vgpr87
                                        ; implicit-def: $vgpr88_vgpr89
                                        ; implicit-def: $vgpr90_vgpr91
                                        ; implicit-def: $vgpr92_vgpr93
.LBB810_691:                            ;   in Loop: Header=BB810_688 Depth=2
	s_lshl_b64 s[36:37], s[88:89], 3
	v_mov_b32_e32 v5, s37
	v_add_co_u32_e32 v94, vcc, s36, v161
	v_addc_co_u32_e32 v95, vcc, v162, v5, vcc
	v_cmp_gt_u32_e32 vcc, s69, v142
	s_waitcnt vmcnt(14)
	v_pk_mov_b32 v[64:65], s[78:79], s[78:79] op_sel:[0,1]
	s_and_saveexec_b64 s[36:37], vcc
	s_cbranch_execz .LBB810_693
; %bb.692:                              ;   in Loop: Header=BB810_688 Depth=2
	global_load_dwordx2 v[64:65], v[94:95], off
.LBB810_693:                            ;   in Loop: Header=BB810_688 Depth=2
	s_or_b64 exec, exec, s[36:37]
	v_cmp_gt_u32_e32 vcc, s69, v143
	s_waitcnt vmcnt(13)
	v_pk_mov_b32 v[66:67], s[78:79], s[78:79] op_sel:[0,1]
	s_and_saveexec_b64 s[36:37], vcc
	s_cbranch_execz .LBB810_695
; %bb.694:                              ;   in Loop: Header=BB810_688 Depth=2
	global_load_dwordx2 v[66:67], v[94:95], off offset:512
.LBB810_695:                            ;   in Loop: Header=BB810_688 Depth=2
	s_or_b64 exec, exec, s[36:37]
	v_cmp_gt_u32_e32 vcc, s69, v144
	s_waitcnt vmcnt(12)
	v_pk_mov_b32 v[68:69], s[78:79], s[78:79] op_sel:[0,1]
	s_and_saveexec_b64 s[36:37], vcc
	s_cbranch_execz .LBB810_697
; %bb.696:                              ;   in Loop: Header=BB810_688 Depth=2
	global_load_dwordx2 v[68:69], v[94:95], off offset:1024
.LBB810_697:                            ;   in Loop: Header=BB810_688 Depth=2
	;; [unrolled: 9-line block ×7, first 2 shown]
	s_or_b64 exec, exec, s[36:37]
	v_cmp_gt_u32_e32 vcc, s69, v150
	s_waitcnt vmcnt(6)
	v_pk_mov_b32 v[80:81], s[78:79], s[78:79] op_sel:[0,1]
	s_and_saveexec_b64 s[36:37], vcc
	s_cbranch_execz .LBB810_709
; %bb.708:                              ;   in Loop: Header=BB810_688 Depth=2
	v_add_co_u32_e32 v80, vcc, 0x1000, v94
	v_addc_co_u32_e32 v81, vcc, 0, v95, vcc
	global_load_dwordx2 v[80:81], v[80:81], off
.LBB810_709:                            ;   in Loop: Header=BB810_688 Depth=2
	s_or_b64 exec, exec, s[36:37]
	v_cmp_gt_u32_e32 vcc, s69, v151
	s_waitcnt vmcnt(5)
	v_pk_mov_b32 v[82:83], s[78:79], s[78:79] op_sel:[0,1]
	s_and_saveexec_b64 s[36:37], vcc
	s_cbranch_execz .LBB810_711
; %bb.710:                              ;   in Loop: Header=BB810_688 Depth=2
	v_add_co_u32_e32 v82, vcc, 0x1000, v94
	v_addc_co_u32_e32 v83, vcc, 0, v95, vcc
	global_load_dwordx2 v[82:83], v[82:83], off offset:512
.LBB810_711:                            ;   in Loop: Header=BB810_688 Depth=2
	s_or_b64 exec, exec, s[36:37]
	v_cmp_gt_u32_e32 vcc, s69, v152
	s_waitcnt vmcnt(4)
	v_pk_mov_b32 v[84:85], s[78:79], s[78:79] op_sel:[0,1]
	s_and_saveexec_b64 s[36:37], vcc
	s_cbranch_execz .LBB810_713
; %bb.712:                              ;   in Loop: Header=BB810_688 Depth=2
	v_add_co_u32_e32 v84, vcc, 0x1000, v94
	v_addc_co_u32_e32 v85, vcc, 0, v95, vcc
	global_load_dwordx2 v[84:85], v[84:85], off offset:1024
.LBB810_713:                            ;   in Loop: Header=BB810_688 Depth=2
	;; [unrolled: 11-line block ×6, first 2 shown]
	s_or_b64 exec, exec, s[36:37]
	s_sub_i32 s40, s94, s88
	v_cmp_gt_u32_e64 s[36:37], s69, v157
.LBB810_722:                            ;   in Loop: Header=BB810_688 Depth=2
	v_pk_mov_b32 v[94:95], s[78:79], s[78:79] op_sel:[0,1]
	v_mov_b32_e32 v182, s69
	s_and_saveexec_b64 s[38:39], s[36:37]
	s_cbranch_execz .LBB810_724
; %bb.723:                              ;   in Loop: Header=BB810_688 Depth=2
	s_lshl_b64 s[36:37], s[88:89], 3
	v_mov_b32_e32 v5, s37
	v_add_co_u32_e32 v94, vcc, s36, v176
	v_addc_co_u32_e32 v95, vcc, v179, v5, vcc
	global_load_dwordx2 v[94:95], v[94:95], off
	v_mov_b32_e32 v182, s40
.LBB810_724:                            ;   in Loop: Header=BB810_688 Depth=2
	s_or_b64 exec, exec, s[38:39]
	s_waitcnt vmcnt(14)
	v_xor_b32_e32 v65, 0x80000000, v65
	v_lshrrev_b64 v[96:97], s84, v[64:65]
	v_add_u32_e32 v5, 0x410, v27
	v_and_b32_e32 v96, s68, v96
	ds_write2_b32 v5, v4, v4 offset1:1
	ds_write2_b32 v31, v4, v4 offset0:2 offset1:3
	ds_write_b32 v31, v4 offset:16
	v_mad_u32_u24 v5, v96, 5, v181
	v_lshl_add_u32 v183, v5, 2, v29
	v_and_b32_e32 v5, 1, v96
	v_add_co_u32_e32 v97, vcc, -1, v5
	v_addc_co_u32_e64 v98, s[36:37], 0, -1, vcc
	v_cmp_ne_u32_e32 vcc, 0, v5
	v_xor_b32_e32 v5, vcc_hi, v98
	v_and_b32_e32 v98, exec_hi, v5
	v_lshlrev_b32_e32 v5, 30, v96
	v_xor_b32_e32 v97, vcc_lo, v97
	v_cmp_gt_i64_e32 vcc, 0, v[4:5]
	v_not_b32_e32 v5, v5
	v_ashrrev_i32_e32 v5, 31, v5
	v_and_b32_e32 v97, exec_lo, v97
	v_xor_b32_e32 v99, vcc_hi, v5
	v_xor_b32_e32 v5, vcc_lo, v5
	v_and_b32_e32 v97, v97, v5
	v_lshlrev_b32_e32 v5, 29, v96
	v_cmp_gt_i64_e32 vcc, 0, v[4:5]
	v_not_b32_e32 v5, v5
	v_ashrrev_i32_e32 v5, 31, v5
	v_and_b32_e32 v98, v98, v99
	v_xor_b32_e32 v99, vcc_hi, v5
	v_xor_b32_e32 v5, vcc_lo, v5
	v_and_b32_e32 v97, v97, v5
	v_lshlrev_b32_e32 v5, 28, v96
	v_cmp_gt_i64_e32 vcc, 0, v[4:5]
	v_not_b32_e32 v5, v5
	v_ashrrev_i32_e32 v5, 31, v5
	v_and_b32_e32 v98, v98, v99
	;; [unrolled: 8-line block ×5, first 2 shown]
	v_xor_b32_e32 v99, vcc_hi, v5
	v_xor_b32_e32 v5, vcc_lo, v5
	v_and_b32_e32 v98, v98, v99
	v_and_b32_e32 v99, v97, v5
	v_lshlrev_b32_e32 v5, 24, v96
	v_cmp_gt_i64_e32 vcc, 0, v[4:5]
	v_not_b32_e32 v5, v5
	v_ashrrev_i32_e32 v5, 31, v5
	v_xor_b32_e32 v96, vcc_hi, v5
	v_xor_b32_e32 v5, vcc_lo, v5
	v_and_b32_e32 v97, v98, v96
	v_and_b32_e32 v96, v99, v5
	v_mbcnt_lo_u32_b32 v5, v96, 0
	v_mbcnt_hi_u32_b32 v184, v97, v5
	v_cmp_eq_u32_e32 vcc, 0, v184
	v_cmp_ne_u64_e64 s[36:37], 0, v[96:97]
	s_and_b64 s[38:39], s[36:37], vcc
	s_waitcnt lgkmcnt(0)
	s_barrier
	s_waitcnt lgkmcnt(0)
	; wave barrier
	s_and_saveexec_b64 s[36:37], s[38:39]
	s_cbranch_execz .LBB810_726
; %bb.725:                              ;   in Loop: Header=BB810_688 Depth=2
	v_bcnt_u32_b32 v5, v96, 0
	v_bcnt_u32_b32 v5, v97, v5
	ds_write_b32 v183, v5
.LBB810_726:                            ;   in Loop: Header=BB810_688 Depth=2
	s_or_b64 exec, exec, s[36:37]
	s_waitcnt vmcnt(13)
	v_xor_b32_e32 v67, 0x80000000, v67
	v_lshrrev_b64 v[96:97], s84, v[66:67]
	v_and_b32_e32 v96, s68, v96
	v_mul_u32_u24_e32 v5, 5, v96
	v_add_lshl_u32 v5, v5, v181, 2
	; wave barrier
	v_add_u32_e32 v186, 0x410, v5
	ds_read_b32 v185, v5 offset:1040
	v_and_b32_e32 v5, 1, v96
	v_add_co_u32_e32 v97, vcc, -1, v5
	v_addc_co_u32_e64 v98, s[36:37], 0, -1, vcc
	v_cmp_ne_u32_e32 vcc, 0, v5
	v_xor_b32_e32 v5, vcc_hi, v98
	v_and_b32_e32 v98, exec_hi, v5
	v_lshlrev_b32_e32 v5, 30, v96
	v_xor_b32_e32 v97, vcc_lo, v97
	v_cmp_gt_i64_e32 vcc, 0, v[4:5]
	v_not_b32_e32 v5, v5
	v_ashrrev_i32_e32 v5, 31, v5
	v_and_b32_e32 v97, exec_lo, v97
	v_xor_b32_e32 v99, vcc_hi, v5
	v_xor_b32_e32 v5, vcc_lo, v5
	v_and_b32_e32 v97, v97, v5
	v_lshlrev_b32_e32 v5, 29, v96
	v_cmp_gt_i64_e32 vcc, 0, v[4:5]
	v_not_b32_e32 v5, v5
	v_ashrrev_i32_e32 v5, 31, v5
	v_and_b32_e32 v98, v98, v99
	v_xor_b32_e32 v99, vcc_hi, v5
	v_xor_b32_e32 v5, vcc_lo, v5
	v_and_b32_e32 v97, v97, v5
	v_lshlrev_b32_e32 v5, 28, v96
	v_cmp_gt_i64_e32 vcc, 0, v[4:5]
	v_not_b32_e32 v5, v5
	v_ashrrev_i32_e32 v5, 31, v5
	v_and_b32_e32 v98, v98, v99
	;; [unrolled: 8-line block ×5, first 2 shown]
	v_xor_b32_e32 v99, vcc_hi, v5
	v_xor_b32_e32 v5, vcc_lo, v5
	v_and_b32_e32 v98, v98, v99
	v_and_b32_e32 v99, v97, v5
	v_lshlrev_b32_e32 v5, 24, v96
	v_cmp_gt_i64_e32 vcc, 0, v[4:5]
	v_not_b32_e32 v5, v5
	v_ashrrev_i32_e32 v5, 31, v5
	v_xor_b32_e32 v96, vcc_hi, v5
	v_xor_b32_e32 v5, vcc_lo, v5
	v_and_b32_e32 v97, v98, v96
	v_and_b32_e32 v96, v99, v5
	v_mbcnt_lo_u32_b32 v5, v96, 0
	v_mbcnt_hi_u32_b32 v187, v97, v5
	v_cmp_eq_u32_e32 vcc, 0, v187
	v_cmp_ne_u64_e64 s[36:37], 0, v[96:97]
	s_and_b64 s[38:39], s[36:37], vcc
	; wave barrier
	s_and_saveexec_b64 s[36:37], s[38:39]
	s_cbranch_execz .LBB810_728
; %bb.727:                              ;   in Loop: Header=BB810_688 Depth=2
	v_bcnt_u32_b32 v5, v96, 0
	v_bcnt_u32_b32 v5, v97, v5
	s_waitcnt lgkmcnt(0)
	v_add_u32_e32 v5, v185, v5
	ds_write_b32 v186, v5
.LBB810_728:                            ;   in Loop: Header=BB810_688 Depth=2
	s_or_b64 exec, exec, s[36:37]
	s_waitcnt vmcnt(12)
	v_xor_b32_e32 v69, 0x80000000, v69
	v_lshrrev_b64 v[96:97], s84, v[68:69]
	v_and_b32_e32 v96, s68, v96
	v_mul_u32_u24_e32 v5, 5, v96
	v_add_lshl_u32 v5, v5, v181, 2
	; wave barrier
	v_add_u32_e32 v189, 0x410, v5
	ds_read_b32 v188, v5 offset:1040
	v_and_b32_e32 v5, 1, v96
	v_add_co_u32_e32 v97, vcc, -1, v5
	v_addc_co_u32_e64 v98, s[36:37], 0, -1, vcc
	v_cmp_ne_u32_e32 vcc, 0, v5
	v_xor_b32_e32 v5, vcc_hi, v98
	v_and_b32_e32 v98, exec_hi, v5
	v_lshlrev_b32_e32 v5, 30, v96
	v_xor_b32_e32 v97, vcc_lo, v97
	v_cmp_gt_i64_e32 vcc, 0, v[4:5]
	v_not_b32_e32 v5, v5
	v_ashrrev_i32_e32 v5, 31, v5
	v_and_b32_e32 v97, exec_lo, v97
	v_xor_b32_e32 v99, vcc_hi, v5
	v_xor_b32_e32 v5, vcc_lo, v5
	v_and_b32_e32 v97, v97, v5
	v_lshlrev_b32_e32 v5, 29, v96
	v_cmp_gt_i64_e32 vcc, 0, v[4:5]
	v_not_b32_e32 v5, v5
	v_ashrrev_i32_e32 v5, 31, v5
	v_and_b32_e32 v98, v98, v99
	v_xor_b32_e32 v99, vcc_hi, v5
	v_xor_b32_e32 v5, vcc_lo, v5
	v_and_b32_e32 v97, v97, v5
	v_lshlrev_b32_e32 v5, 28, v96
	v_cmp_gt_i64_e32 vcc, 0, v[4:5]
	v_not_b32_e32 v5, v5
	v_ashrrev_i32_e32 v5, 31, v5
	v_and_b32_e32 v98, v98, v99
	;; [unrolled: 8-line block ×5, first 2 shown]
	v_xor_b32_e32 v99, vcc_hi, v5
	v_xor_b32_e32 v5, vcc_lo, v5
	v_and_b32_e32 v98, v98, v99
	v_and_b32_e32 v99, v97, v5
	v_lshlrev_b32_e32 v5, 24, v96
	v_cmp_gt_i64_e32 vcc, 0, v[4:5]
	v_not_b32_e32 v5, v5
	v_ashrrev_i32_e32 v5, 31, v5
	v_xor_b32_e32 v96, vcc_hi, v5
	v_xor_b32_e32 v5, vcc_lo, v5
	v_and_b32_e32 v97, v98, v96
	v_and_b32_e32 v96, v99, v5
	v_mbcnt_lo_u32_b32 v5, v96, 0
	v_mbcnt_hi_u32_b32 v190, v97, v5
	v_cmp_eq_u32_e32 vcc, 0, v190
	v_cmp_ne_u64_e64 s[36:37], 0, v[96:97]
	s_and_b64 s[38:39], s[36:37], vcc
	; wave barrier
	s_and_saveexec_b64 s[36:37], s[38:39]
	s_cbranch_execz .LBB810_730
; %bb.729:                              ;   in Loop: Header=BB810_688 Depth=2
	v_bcnt_u32_b32 v5, v96, 0
	v_bcnt_u32_b32 v5, v97, v5
	s_waitcnt lgkmcnt(0)
	v_add_u32_e32 v5, v188, v5
	ds_write_b32 v189, v5
.LBB810_730:                            ;   in Loop: Header=BB810_688 Depth=2
	s_or_b64 exec, exec, s[36:37]
	s_waitcnt vmcnt(11)
	v_xor_b32_e32 v71, 0x80000000, v71
	v_lshrrev_b64 v[96:97], s84, v[70:71]
	v_and_b32_e32 v96, s68, v96
	v_mul_u32_u24_e32 v5, 5, v96
	v_add_lshl_u32 v5, v5, v181, 2
	; wave barrier
	v_add_u32_e32 v192, 0x410, v5
	ds_read_b32 v191, v5 offset:1040
	v_and_b32_e32 v5, 1, v96
	v_add_co_u32_e32 v97, vcc, -1, v5
	v_addc_co_u32_e64 v98, s[36:37], 0, -1, vcc
	v_cmp_ne_u32_e32 vcc, 0, v5
	v_xor_b32_e32 v5, vcc_hi, v98
	v_and_b32_e32 v98, exec_hi, v5
	v_lshlrev_b32_e32 v5, 30, v96
	v_xor_b32_e32 v97, vcc_lo, v97
	v_cmp_gt_i64_e32 vcc, 0, v[4:5]
	v_not_b32_e32 v5, v5
	v_ashrrev_i32_e32 v5, 31, v5
	v_and_b32_e32 v97, exec_lo, v97
	v_xor_b32_e32 v99, vcc_hi, v5
	v_xor_b32_e32 v5, vcc_lo, v5
	v_and_b32_e32 v97, v97, v5
	v_lshlrev_b32_e32 v5, 29, v96
	v_cmp_gt_i64_e32 vcc, 0, v[4:5]
	v_not_b32_e32 v5, v5
	v_ashrrev_i32_e32 v5, 31, v5
	v_and_b32_e32 v98, v98, v99
	v_xor_b32_e32 v99, vcc_hi, v5
	v_xor_b32_e32 v5, vcc_lo, v5
	v_and_b32_e32 v97, v97, v5
	v_lshlrev_b32_e32 v5, 28, v96
	v_cmp_gt_i64_e32 vcc, 0, v[4:5]
	v_not_b32_e32 v5, v5
	v_ashrrev_i32_e32 v5, 31, v5
	v_and_b32_e32 v98, v98, v99
	;; [unrolled: 8-line block ×5, first 2 shown]
	v_xor_b32_e32 v99, vcc_hi, v5
	v_xor_b32_e32 v5, vcc_lo, v5
	v_and_b32_e32 v98, v98, v99
	v_and_b32_e32 v99, v97, v5
	v_lshlrev_b32_e32 v5, 24, v96
	v_cmp_gt_i64_e32 vcc, 0, v[4:5]
	v_not_b32_e32 v5, v5
	v_ashrrev_i32_e32 v5, 31, v5
	v_xor_b32_e32 v96, vcc_hi, v5
	v_xor_b32_e32 v5, vcc_lo, v5
	v_and_b32_e32 v97, v98, v96
	v_and_b32_e32 v96, v99, v5
	v_mbcnt_lo_u32_b32 v5, v96, 0
	v_mbcnt_hi_u32_b32 v193, v97, v5
	v_cmp_eq_u32_e32 vcc, 0, v193
	v_cmp_ne_u64_e64 s[36:37], 0, v[96:97]
	s_and_b64 s[38:39], s[36:37], vcc
	; wave barrier
	s_and_saveexec_b64 s[36:37], s[38:39]
	s_cbranch_execz .LBB810_732
; %bb.731:                              ;   in Loop: Header=BB810_688 Depth=2
	v_bcnt_u32_b32 v5, v96, 0
	v_bcnt_u32_b32 v5, v97, v5
	s_waitcnt lgkmcnt(0)
	v_add_u32_e32 v5, v191, v5
	ds_write_b32 v192, v5
.LBB810_732:                            ;   in Loop: Header=BB810_688 Depth=2
	s_or_b64 exec, exec, s[36:37]
	s_waitcnt vmcnt(10)
	v_xor_b32_e32 v73, 0x80000000, v73
	v_lshrrev_b64 v[96:97], s84, v[72:73]
	v_and_b32_e32 v96, s68, v96
	v_mul_u32_u24_e32 v5, 5, v96
	v_add_lshl_u32 v5, v5, v181, 2
	; wave barrier
	v_add_u32_e32 v195, 0x410, v5
	ds_read_b32 v194, v5 offset:1040
	v_and_b32_e32 v5, 1, v96
	v_add_co_u32_e32 v97, vcc, -1, v5
	v_addc_co_u32_e64 v98, s[36:37], 0, -1, vcc
	v_cmp_ne_u32_e32 vcc, 0, v5
	v_xor_b32_e32 v5, vcc_hi, v98
	v_and_b32_e32 v98, exec_hi, v5
	v_lshlrev_b32_e32 v5, 30, v96
	v_xor_b32_e32 v97, vcc_lo, v97
	v_cmp_gt_i64_e32 vcc, 0, v[4:5]
	v_not_b32_e32 v5, v5
	v_ashrrev_i32_e32 v5, 31, v5
	v_and_b32_e32 v97, exec_lo, v97
	v_xor_b32_e32 v99, vcc_hi, v5
	v_xor_b32_e32 v5, vcc_lo, v5
	v_and_b32_e32 v97, v97, v5
	v_lshlrev_b32_e32 v5, 29, v96
	v_cmp_gt_i64_e32 vcc, 0, v[4:5]
	v_not_b32_e32 v5, v5
	v_ashrrev_i32_e32 v5, 31, v5
	v_and_b32_e32 v98, v98, v99
	v_xor_b32_e32 v99, vcc_hi, v5
	v_xor_b32_e32 v5, vcc_lo, v5
	v_and_b32_e32 v97, v97, v5
	v_lshlrev_b32_e32 v5, 28, v96
	v_cmp_gt_i64_e32 vcc, 0, v[4:5]
	v_not_b32_e32 v5, v5
	v_ashrrev_i32_e32 v5, 31, v5
	v_and_b32_e32 v98, v98, v99
	;; [unrolled: 8-line block ×5, first 2 shown]
	v_xor_b32_e32 v99, vcc_hi, v5
	v_xor_b32_e32 v5, vcc_lo, v5
	v_and_b32_e32 v98, v98, v99
	v_and_b32_e32 v99, v97, v5
	v_lshlrev_b32_e32 v5, 24, v96
	v_cmp_gt_i64_e32 vcc, 0, v[4:5]
	v_not_b32_e32 v5, v5
	v_ashrrev_i32_e32 v5, 31, v5
	v_xor_b32_e32 v96, vcc_hi, v5
	v_xor_b32_e32 v5, vcc_lo, v5
	v_and_b32_e32 v97, v98, v96
	v_and_b32_e32 v96, v99, v5
	v_mbcnt_lo_u32_b32 v5, v96, 0
	v_mbcnt_hi_u32_b32 v196, v97, v5
	v_cmp_eq_u32_e32 vcc, 0, v196
	v_cmp_ne_u64_e64 s[36:37], 0, v[96:97]
	s_and_b64 s[38:39], s[36:37], vcc
	; wave barrier
	s_and_saveexec_b64 s[36:37], s[38:39]
	s_cbranch_execz .LBB810_734
; %bb.733:                              ;   in Loop: Header=BB810_688 Depth=2
	v_bcnt_u32_b32 v5, v96, 0
	v_bcnt_u32_b32 v5, v97, v5
	s_waitcnt lgkmcnt(0)
	v_add_u32_e32 v5, v194, v5
	ds_write_b32 v195, v5
.LBB810_734:                            ;   in Loop: Header=BB810_688 Depth=2
	s_or_b64 exec, exec, s[36:37]
	s_waitcnt vmcnt(9)
	v_xor_b32_e32 v75, 0x80000000, v75
	v_lshrrev_b64 v[96:97], s84, v[74:75]
	v_and_b32_e32 v96, s68, v96
	v_mul_u32_u24_e32 v5, 5, v96
	v_add_lshl_u32 v5, v5, v181, 2
	; wave barrier
	v_add_u32_e32 v198, 0x410, v5
	ds_read_b32 v197, v5 offset:1040
	v_and_b32_e32 v5, 1, v96
	v_add_co_u32_e32 v97, vcc, -1, v5
	v_addc_co_u32_e64 v98, s[36:37], 0, -1, vcc
	v_cmp_ne_u32_e32 vcc, 0, v5
	v_xor_b32_e32 v5, vcc_hi, v98
	v_and_b32_e32 v98, exec_hi, v5
	v_lshlrev_b32_e32 v5, 30, v96
	v_xor_b32_e32 v97, vcc_lo, v97
	v_cmp_gt_i64_e32 vcc, 0, v[4:5]
	v_not_b32_e32 v5, v5
	v_ashrrev_i32_e32 v5, 31, v5
	v_and_b32_e32 v97, exec_lo, v97
	v_xor_b32_e32 v99, vcc_hi, v5
	v_xor_b32_e32 v5, vcc_lo, v5
	v_and_b32_e32 v97, v97, v5
	v_lshlrev_b32_e32 v5, 29, v96
	v_cmp_gt_i64_e32 vcc, 0, v[4:5]
	v_not_b32_e32 v5, v5
	v_ashrrev_i32_e32 v5, 31, v5
	v_and_b32_e32 v98, v98, v99
	v_xor_b32_e32 v99, vcc_hi, v5
	v_xor_b32_e32 v5, vcc_lo, v5
	v_and_b32_e32 v97, v97, v5
	v_lshlrev_b32_e32 v5, 28, v96
	v_cmp_gt_i64_e32 vcc, 0, v[4:5]
	v_not_b32_e32 v5, v5
	v_ashrrev_i32_e32 v5, 31, v5
	v_and_b32_e32 v98, v98, v99
	;; [unrolled: 8-line block ×5, first 2 shown]
	v_xor_b32_e32 v99, vcc_hi, v5
	v_xor_b32_e32 v5, vcc_lo, v5
	v_and_b32_e32 v98, v98, v99
	v_and_b32_e32 v99, v97, v5
	v_lshlrev_b32_e32 v5, 24, v96
	v_cmp_gt_i64_e32 vcc, 0, v[4:5]
	v_not_b32_e32 v5, v5
	v_ashrrev_i32_e32 v5, 31, v5
	v_xor_b32_e32 v96, vcc_hi, v5
	v_xor_b32_e32 v5, vcc_lo, v5
	v_and_b32_e32 v97, v98, v96
	v_and_b32_e32 v96, v99, v5
	v_mbcnt_lo_u32_b32 v5, v96, 0
	v_mbcnt_hi_u32_b32 v199, v97, v5
	v_cmp_eq_u32_e32 vcc, 0, v199
	v_cmp_ne_u64_e64 s[36:37], 0, v[96:97]
	s_and_b64 s[38:39], s[36:37], vcc
	; wave barrier
	s_and_saveexec_b64 s[36:37], s[38:39]
	s_cbranch_execz .LBB810_736
; %bb.735:                              ;   in Loop: Header=BB810_688 Depth=2
	v_bcnt_u32_b32 v5, v96, 0
	v_bcnt_u32_b32 v5, v97, v5
	s_waitcnt lgkmcnt(0)
	v_add_u32_e32 v5, v197, v5
	ds_write_b32 v198, v5
.LBB810_736:                            ;   in Loop: Header=BB810_688 Depth=2
	s_or_b64 exec, exec, s[36:37]
	s_waitcnt vmcnt(8)
	v_xor_b32_e32 v77, 0x80000000, v77
	v_lshrrev_b64 v[96:97], s84, v[76:77]
	v_and_b32_e32 v96, s68, v96
	v_mul_u32_u24_e32 v5, 5, v96
	v_add_lshl_u32 v5, v5, v181, 2
	; wave barrier
	v_add_u32_e32 v201, 0x410, v5
	ds_read_b32 v200, v5 offset:1040
	v_and_b32_e32 v5, 1, v96
	v_add_co_u32_e32 v97, vcc, -1, v5
	v_addc_co_u32_e64 v98, s[36:37], 0, -1, vcc
	v_cmp_ne_u32_e32 vcc, 0, v5
	v_xor_b32_e32 v5, vcc_hi, v98
	v_and_b32_e32 v98, exec_hi, v5
	v_lshlrev_b32_e32 v5, 30, v96
	v_xor_b32_e32 v97, vcc_lo, v97
	v_cmp_gt_i64_e32 vcc, 0, v[4:5]
	v_not_b32_e32 v5, v5
	v_ashrrev_i32_e32 v5, 31, v5
	v_and_b32_e32 v97, exec_lo, v97
	v_xor_b32_e32 v99, vcc_hi, v5
	v_xor_b32_e32 v5, vcc_lo, v5
	v_and_b32_e32 v97, v97, v5
	v_lshlrev_b32_e32 v5, 29, v96
	v_cmp_gt_i64_e32 vcc, 0, v[4:5]
	v_not_b32_e32 v5, v5
	v_ashrrev_i32_e32 v5, 31, v5
	v_and_b32_e32 v98, v98, v99
	v_xor_b32_e32 v99, vcc_hi, v5
	v_xor_b32_e32 v5, vcc_lo, v5
	v_and_b32_e32 v97, v97, v5
	v_lshlrev_b32_e32 v5, 28, v96
	v_cmp_gt_i64_e32 vcc, 0, v[4:5]
	v_not_b32_e32 v5, v5
	v_ashrrev_i32_e32 v5, 31, v5
	v_and_b32_e32 v98, v98, v99
	;; [unrolled: 8-line block ×5, first 2 shown]
	v_xor_b32_e32 v99, vcc_hi, v5
	v_xor_b32_e32 v5, vcc_lo, v5
	v_and_b32_e32 v98, v98, v99
	v_and_b32_e32 v99, v97, v5
	v_lshlrev_b32_e32 v5, 24, v96
	v_cmp_gt_i64_e32 vcc, 0, v[4:5]
	v_not_b32_e32 v5, v5
	v_ashrrev_i32_e32 v5, 31, v5
	v_xor_b32_e32 v96, vcc_hi, v5
	v_xor_b32_e32 v5, vcc_lo, v5
	v_and_b32_e32 v97, v98, v96
	v_and_b32_e32 v96, v99, v5
	v_mbcnt_lo_u32_b32 v5, v96, 0
	v_mbcnt_hi_u32_b32 v202, v97, v5
	v_cmp_eq_u32_e32 vcc, 0, v202
	v_cmp_ne_u64_e64 s[36:37], 0, v[96:97]
	s_and_b64 s[38:39], s[36:37], vcc
	; wave barrier
	s_and_saveexec_b64 s[36:37], s[38:39]
	s_cbranch_execz .LBB810_738
; %bb.737:                              ;   in Loop: Header=BB810_688 Depth=2
	v_bcnt_u32_b32 v5, v96, 0
	v_bcnt_u32_b32 v5, v97, v5
	s_waitcnt lgkmcnt(0)
	v_add_u32_e32 v5, v200, v5
	ds_write_b32 v201, v5
.LBB810_738:                            ;   in Loop: Header=BB810_688 Depth=2
	s_or_b64 exec, exec, s[36:37]
	s_waitcnt vmcnt(7)
	v_xor_b32_e32 v79, 0x80000000, v79
	v_lshrrev_b64 v[96:97], s84, v[78:79]
	v_and_b32_e32 v96, s68, v96
	v_mul_u32_u24_e32 v5, 5, v96
	v_add_lshl_u32 v5, v5, v181, 2
	; wave barrier
	v_add_u32_e32 v204, 0x410, v5
	ds_read_b32 v203, v5 offset:1040
	v_and_b32_e32 v5, 1, v96
	v_add_co_u32_e32 v97, vcc, -1, v5
	v_addc_co_u32_e64 v98, s[36:37], 0, -1, vcc
	v_cmp_ne_u32_e32 vcc, 0, v5
	v_xor_b32_e32 v5, vcc_hi, v98
	v_and_b32_e32 v98, exec_hi, v5
	v_lshlrev_b32_e32 v5, 30, v96
	v_xor_b32_e32 v97, vcc_lo, v97
	v_cmp_gt_i64_e32 vcc, 0, v[4:5]
	v_not_b32_e32 v5, v5
	v_ashrrev_i32_e32 v5, 31, v5
	v_and_b32_e32 v97, exec_lo, v97
	v_xor_b32_e32 v99, vcc_hi, v5
	v_xor_b32_e32 v5, vcc_lo, v5
	v_and_b32_e32 v97, v97, v5
	v_lshlrev_b32_e32 v5, 29, v96
	v_cmp_gt_i64_e32 vcc, 0, v[4:5]
	v_not_b32_e32 v5, v5
	v_ashrrev_i32_e32 v5, 31, v5
	v_and_b32_e32 v98, v98, v99
	v_xor_b32_e32 v99, vcc_hi, v5
	v_xor_b32_e32 v5, vcc_lo, v5
	v_and_b32_e32 v97, v97, v5
	v_lshlrev_b32_e32 v5, 28, v96
	v_cmp_gt_i64_e32 vcc, 0, v[4:5]
	v_not_b32_e32 v5, v5
	v_ashrrev_i32_e32 v5, 31, v5
	v_and_b32_e32 v98, v98, v99
	;; [unrolled: 8-line block ×5, first 2 shown]
	v_xor_b32_e32 v99, vcc_hi, v5
	v_xor_b32_e32 v5, vcc_lo, v5
	v_and_b32_e32 v98, v98, v99
	v_and_b32_e32 v99, v97, v5
	v_lshlrev_b32_e32 v5, 24, v96
	v_cmp_gt_i64_e32 vcc, 0, v[4:5]
	v_not_b32_e32 v5, v5
	v_ashrrev_i32_e32 v5, 31, v5
	v_xor_b32_e32 v96, vcc_hi, v5
	v_xor_b32_e32 v5, vcc_lo, v5
	v_and_b32_e32 v97, v98, v96
	v_and_b32_e32 v96, v99, v5
	v_mbcnt_lo_u32_b32 v5, v96, 0
	v_mbcnt_hi_u32_b32 v205, v97, v5
	v_cmp_eq_u32_e32 vcc, 0, v205
	v_cmp_ne_u64_e64 s[36:37], 0, v[96:97]
	s_and_b64 s[38:39], s[36:37], vcc
	; wave barrier
	s_and_saveexec_b64 s[36:37], s[38:39]
	s_cbranch_execz .LBB810_740
; %bb.739:                              ;   in Loop: Header=BB810_688 Depth=2
	v_bcnt_u32_b32 v5, v96, 0
	v_bcnt_u32_b32 v5, v97, v5
	s_waitcnt lgkmcnt(0)
	v_add_u32_e32 v5, v203, v5
	ds_write_b32 v204, v5
.LBB810_740:                            ;   in Loop: Header=BB810_688 Depth=2
	s_or_b64 exec, exec, s[36:37]
	s_waitcnt vmcnt(6)
	v_xor_b32_e32 v81, 0x80000000, v81
	v_lshrrev_b64 v[96:97], s84, v[80:81]
	v_and_b32_e32 v96, s68, v96
	v_mul_u32_u24_e32 v5, 5, v96
	v_add_lshl_u32 v5, v5, v181, 2
	; wave barrier
	v_add_u32_e32 v207, 0x410, v5
	ds_read_b32 v206, v5 offset:1040
	v_and_b32_e32 v5, 1, v96
	v_add_co_u32_e32 v97, vcc, -1, v5
	v_addc_co_u32_e64 v98, s[36:37], 0, -1, vcc
	v_cmp_ne_u32_e32 vcc, 0, v5
	v_xor_b32_e32 v5, vcc_hi, v98
	v_and_b32_e32 v98, exec_hi, v5
	v_lshlrev_b32_e32 v5, 30, v96
	v_xor_b32_e32 v97, vcc_lo, v97
	v_cmp_gt_i64_e32 vcc, 0, v[4:5]
	v_not_b32_e32 v5, v5
	v_ashrrev_i32_e32 v5, 31, v5
	v_and_b32_e32 v97, exec_lo, v97
	v_xor_b32_e32 v99, vcc_hi, v5
	v_xor_b32_e32 v5, vcc_lo, v5
	v_and_b32_e32 v97, v97, v5
	v_lshlrev_b32_e32 v5, 29, v96
	v_cmp_gt_i64_e32 vcc, 0, v[4:5]
	v_not_b32_e32 v5, v5
	v_ashrrev_i32_e32 v5, 31, v5
	v_and_b32_e32 v98, v98, v99
	v_xor_b32_e32 v99, vcc_hi, v5
	v_xor_b32_e32 v5, vcc_lo, v5
	v_and_b32_e32 v97, v97, v5
	v_lshlrev_b32_e32 v5, 28, v96
	v_cmp_gt_i64_e32 vcc, 0, v[4:5]
	v_not_b32_e32 v5, v5
	v_ashrrev_i32_e32 v5, 31, v5
	v_and_b32_e32 v98, v98, v99
	;; [unrolled: 8-line block ×5, first 2 shown]
	v_xor_b32_e32 v99, vcc_hi, v5
	v_xor_b32_e32 v5, vcc_lo, v5
	v_and_b32_e32 v98, v98, v99
	v_and_b32_e32 v99, v97, v5
	v_lshlrev_b32_e32 v5, 24, v96
	v_cmp_gt_i64_e32 vcc, 0, v[4:5]
	v_not_b32_e32 v5, v5
	v_ashrrev_i32_e32 v5, 31, v5
	v_xor_b32_e32 v96, vcc_hi, v5
	v_xor_b32_e32 v5, vcc_lo, v5
	v_and_b32_e32 v97, v98, v96
	v_and_b32_e32 v96, v99, v5
	v_mbcnt_lo_u32_b32 v5, v96, 0
	v_mbcnt_hi_u32_b32 v208, v97, v5
	v_cmp_eq_u32_e32 vcc, 0, v208
	v_cmp_ne_u64_e64 s[36:37], 0, v[96:97]
	s_and_b64 s[38:39], s[36:37], vcc
	; wave barrier
	s_and_saveexec_b64 s[36:37], s[38:39]
	s_cbranch_execz .LBB810_742
; %bb.741:                              ;   in Loop: Header=BB810_688 Depth=2
	v_bcnt_u32_b32 v5, v96, 0
	v_bcnt_u32_b32 v5, v97, v5
	s_waitcnt lgkmcnt(0)
	v_add_u32_e32 v5, v206, v5
	ds_write_b32 v207, v5
.LBB810_742:                            ;   in Loop: Header=BB810_688 Depth=2
	s_or_b64 exec, exec, s[36:37]
	s_waitcnt vmcnt(5)
	v_xor_b32_e32 v83, 0x80000000, v83
	v_lshrrev_b64 v[96:97], s84, v[82:83]
	v_and_b32_e32 v96, s68, v96
	v_mul_u32_u24_e32 v5, 5, v96
	v_add_lshl_u32 v5, v5, v181, 2
	; wave barrier
	v_add_u32_e32 v210, 0x410, v5
	ds_read_b32 v209, v5 offset:1040
	v_and_b32_e32 v5, 1, v96
	v_add_co_u32_e32 v97, vcc, -1, v5
	v_addc_co_u32_e64 v98, s[36:37], 0, -1, vcc
	v_cmp_ne_u32_e32 vcc, 0, v5
	v_xor_b32_e32 v5, vcc_hi, v98
	v_and_b32_e32 v98, exec_hi, v5
	v_lshlrev_b32_e32 v5, 30, v96
	v_xor_b32_e32 v97, vcc_lo, v97
	v_cmp_gt_i64_e32 vcc, 0, v[4:5]
	v_not_b32_e32 v5, v5
	v_ashrrev_i32_e32 v5, 31, v5
	v_and_b32_e32 v97, exec_lo, v97
	v_xor_b32_e32 v99, vcc_hi, v5
	v_xor_b32_e32 v5, vcc_lo, v5
	v_and_b32_e32 v97, v97, v5
	v_lshlrev_b32_e32 v5, 29, v96
	v_cmp_gt_i64_e32 vcc, 0, v[4:5]
	v_not_b32_e32 v5, v5
	v_ashrrev_i32_e32 v5, 31, v5
	v_and_b32_e32 v98, v98, v99
	v_xor_b32_e32 v99, vcc_hi, v5
	v_xor_b32_e32 v5, vcc_lo, v5
	v_and_b32_e32 v97, v97, v5
	v_lshlrev_b32_e32 v5, 28, v96
	v_cmp_gt_i64_e32 vcc, 0, v[4:5]
	v_not_b32_e32 v5, v5
	v_ashrrev_i32_e32 v5, 31, v5
	v_and_b32_e32 v98, v98, v99
	;; [unrolled: 8-line block ×5, first 2 shown]
	v_xor_b32_e32 v99, vcc_hi, v5
	v_xor_b32_e32 v5, vcc_lo, v5
	v_and_b32_e32 v98, v98, v99
	v_and_b32_e32 v99, v97, v5
	v_lshlrev_b32_e32 v5, 24, v96
	v_cmp_gt_i64_e32 vcc, 0, v[4:5]
	v_not_b32_e32 v5, v5
	v_ashrrev_i32_e32 v5, 31, v5
	v_xor_b32_e32 v96, vcc_hi, v5
	v_xor_b32_e32 v5, vcc_lo, v5
	v_and_b32_e32 v97, v98, v96
	v_and_b32_e32 v96, v99, v5
	v_mbcnt_lo_u32_b32 v5, v96, 0
	v_mbcnt_hi_u32_b32 v211, v97, v5
	v_cmp_eq_u32_e32 vcc, 0, v211
	v_cmp_ne_u64_e64 s[36:37], 0, v[96:97]
	s_and_b64 s[38:39], s[36:37], vcc
	; wave barrier
	s_and_saveexec_b64 s[36:37], s[38:39]
	s_cbranch_execz .LBB810_744
; %bb.743:                              ;   in Loop: Header=BB810_688 Depth=2
	v_bcnt_u32_b32 v5, v96, 0
	v_bcnt_u32_b32 v5, v97, v5
	s_waitcnt lgkmcnt(0)
	v_add_u32_e32 v5, v209, v5
	ds_write_b32 v210, v5
.LBB810_744:                            ;   in Loop: Header=BB810_688 Depth=2
	s_or_b64 exec, exec, s[36:37]
	s_waitcnt vmcnt(4)
	v_xor_b32_e32 v85, 0x80000000, v85
	v_lshrrev_b64 v[96:97], s84, v[84:85]
	v_and_b32_e32 v96, s68, v96
	v_mul_u32_u24_e32 v5, 5, v96
	v_add_lshl_u32 v5, v5, v181, 2
	; wave barrier
	v_add_u32_e32 v213, 0x410, v5
	ds_read_b32 v212, v5 offset:1040
	v_and_b32_e32 v5, 1, v96
	v_add_co_u32_e32 v97, vcc, -1, v5
	v_addc_co_u32_e64 v98, s[36:37], 0, -1, vcc
	v_cmp_ne_u32_e32 vcc, 0, v5
	v_xor_b32_e32 v5, vcc_hi, v98
	v_and_b32_e32 v98, exec_hi, v5
	v_lshlrev_b32_e32 v5, 30, v96
	v_xor_b32_e32 v97, vcc_lo, v97
	v_cmp_gt_i64_e32 vcc, 0, v[4:5]
	v_not_b32_e32 v5, v5
	v_ashrrev_i32_e32 v5, 31, v5
	v_and_b32_e32 v97, exec_lo, v97
	v_xor_b32_e32 v99, vcc_hi, v5
	v_xor_b32_e32 v5, vcc_lo, v5
	v_and_b32_e32 v97, v97, v5
	v_lshlrev_b32_e32 v5, 29, v96
	v_cmp_gt_i64_e32 vcc, 0, v[4:5]
	v_not_b32_e32 v5, v5
	v_ashrrev_i32_e32 v5, 31, v5
	v_and_b32_e32 v98, v98, v99
	v_xor_b32_e32 v99, vcc_hi, v5
	v_xor_b32_e32 v5, vcc_lo, v5
	v_and_b32_e32 v97, v97, v5
	v_lshlrev_b32_e32 v5, 28, v96
	v_cmp_gt_i64_e32 vcc, 0, v[4:5]
	v_not_b32_e32 v5, v5
	v_ashrrev_i32_e32 v5, 31, v5
	v_and_b32_e32 v98, v98, v99
	;; [unrolled: 8-line block ×5, first 2 shown]
	v_xor_b32_e32 v99, vcc_hi, v5
	v_xor_b32_e32 v5, vcc_lo, v5
	v_and_b32_e32 v98, v98, v99
	v_and_b32_e32 v99, v97, v5
	v_lshlrev_b32_e32 v5, 24, v96
	v_cmp_gt_i64_e32 vcc, 0, v[4:5]
	v_not_b32_e32 v5, v5
	v_ashrrev_i32_e32 v5, 31, v5
	v_xor_b32_e32 v96, vcc_hi, v5
	v_xor_b32_e32 v5, vcc_lo, v5
	v_and_b32_e32 v97, v98, v96
	v_and_b32_e32 v96, v99, v5
	v_mbcnt_lo_u32_b32 v5, v96, 0
	v_mbcnt_hi_u32_b32 v214, v97, v5
	v_cmp_eq_u32_e32 vcc, 0, v214
	v_cmp_ne_u64_e64 s[36:37], 0, v[96:97]
	s_and_b64 s[38:39], s[36:37], vcc
	; wave barrier
	s_and_saveexec_b64 s[36:37], s[38:39]
	s_cbranch_execz .LBB810_746
; %bb.745:                              ;   in Loop: Header=BB810_688 Depth=2
	v_bcnt_u32_b32 v5, v96, 0
	v_bcnt_u32_b32 v5, v97, v5
	s_waitcnt lgkmcnt(0)
	v_add_u32_e32 v5, v212, v5
	ds_write_b32 v213, v5
.LBB810_746:                            ;   in Loop: Header=BB810_688 Depth=2
	s_or_b64 exec, exec, s[36:37]
	s_waitcnt vmcnt(3)
	v_xor_b32_e32 v87, 0x80000000, v87
	v_lshrrev_b64 v[96:97], s84, v[86:87]
	v_and_b32_e32 v96, s68, v96
	v_mul_u32_u24_e32 v5, 5, v96
	v_add_lshl_u32 v5, v5, v181, 2
	; wave barrier
	v_add_u32_e32 v216, 0x410, v5
	ds_read_b32 v215, v5 offset:1040
	v_and_b32_e32 v5, 1, v96
	v_add_co_u32_e32 v97, vcc, -1, v5
	v_addc_co_u32_e64 v98, s[36:37], 0, -1, vcc
	v_cmp_ne_u32_e32 vcc, 0, v5
	v_xor_b32_e32 v5, vcc_hi, v98
	v_and_b32_e32 v98, exec_hi, v5
	v_lshlrev_b32_e32 v5, 30, v96
	v_xor_b32_e32 v97, vcc_lo, v97
	v_cmp_gt_i64_e32 vcc, 0, v[4:5]
	v_not_b32_e32 v5, v5
	v_ashrrev_i32_e32 v5, 31, v5
	v_and_b32_e32 v97, exec_lo, v97
	v_xor_b32_e32 v99, vcc_hi, v5
	v_xor_b32_e32 v5, vcc_lo, v5
	v_and_b32_e32 v97, v97, v5
	v_lshlrev_b32_e32 v5, 29, v96
	v_cmp_gt_i64_e32 vcc, 0, v[4:5]
	v_not_b32_e32 v5, v5
	v_ashrrev_i32_e32 v5, 31, v5
	v_and_b32_e32 v98, v98, v99
	v_xor_b32_e32 v99, vcc_hi, v5
	v_xor_b32_e32 v5, vcc_lo, v5
	v_and_b32_e32 v97, v97, v5
	v_lshlrev_b32_e32 v5, 28, v96
	v_cmp_gt_i64_e32 vcc, 0, v[4:5]
	v_not_b32_e32 v5, v5
	v_ashrrev_i32_e32 v5, 31, v5
	v_and_b32_e32 v98, v98, v99
	;; [unrolled: 8-line block ×5, first 2 shown]
	v_xor_b32_e32 v99, vcc_hi, v5
	v_xor_b32_e32 v5, vcc_lo, v5
	v_and_b32_e32 v98, v98, v99
	v_and_b32_e32 v99, v97, v5
	v_lshlrev_b32_e32 v5, 24, v96
	v_cmp_gt_i64_e32 vcc, 0, v[4:5]
	v_not_b32_e32 v5, v5
	v_ashrrev_i32_e32 v5, 31, v5
	v_xor_b32_e32 v96, vcc_hi, v5
	v_xor_b32_e32 v5, vcc_lo, v5
	v_and_b32_e32 v97, v98, v96
	v_and_b32_e32 v96, v99, v5
	v_mbcnt_lo_u32_b32 v5, v96, 0
	v_mbcnt_hi_u32_b32 v217, v97, v5
	v_cmp_eq_u32_e32 vcc, 0, v217
	v_cmp_ne_u64_e64 s[36:37], 0, v[96:97]
	s_and_b64 s[38:39], s[36:37], vcc
	; wave barrier
	s_and_saveexec_b64 s[36:37], s[38:39]
	s_cbranch_execz .LBB810_748
; %bb.747:                              ;   in Loop: Header=BB810_688 Depth=2
	v_bcnt_u32_b32 v5, v96, 0
	v_bcnt_u32_b32 v5, v97, v5
	s_waitcnt lgkmcnt(0)
	v_add_u32_e32 v5, v215, v5
	ds_write_b32 v216, v5
.LBB810_748:                            ;   in Loop: Header=BB810_688 Depth=2
	s_or_b64 exec, exec, s[36:37]
	s_waitcnt vmcnt(2)
	v_xor_b32_e32 v89, 0x80000000, v89
	v_lshrrev_b64 v[96:97], s84, v[88:89]
	v_and_b32_e32 v96, s68, v96
	v_mul_u32_u24_e32 v5, 5, v96
	v_add_lshl_u32 v5, v5, v181, 2
	; wave barrier
	v_add_u32_e32 v219, 0x410, v5
	ds_read_b32 v218, v5 offset:1040
	v_and_b32_e32 v5, 1, v96
	v_add_co_u32_e32 v97, vcc, -1, v5
	v_addc_co_u32_e64 v98, s[36:37], 0, -1, vcc
	v_cmp_ne_u32_e32 vcc, 0, v5
	v_xor_b32_e32 v5, vcc_hi, v98
	v_and_b32_e32 v98, exec_hi, v5
	v_lshlrev_b32_e32 v5, 30, v96
	v_xor_b32_e32 v97, vcc_lo, v97
	v_cmp_gt_i64_e32 vcc, 0, v[4:5]
	v_not_b32_e32 v5, v5
	v_ashrrev_i32_e32 v5, 31, v5
	v_and_b32_e32 v97, exec_lo, v97
	v_xor_b32_e32 v99, vcc_hi, v5
	v_xor_b32_e32 v5, vcc_lo, v5
	v_and_b32_e32 v97, v97, v5
	v_lshlrev_b32_e32 v5, 29, v96
	v_cmp_gt_i64_e32 vcc, 0, v[4:5]
	v_not_b32_e32 v5, v5
	v_ashrrev_i32_e32 v5, 31, v5
	v_and_b32_e32 v98, v98, v99
	v_xor_b32_e32 v99, vcc_hi, v5
	v_xor_b32_e32 v5, vcc_lo, v5
	v_and_b32_e32 v97, v97, v5
	v_lshlrev_b32_e32 v5, 28, v96
	v_cmp_gt_i64_e32 vcc, 0, v[4:5]
	v_not_b32_e32 v5, v5
	v_ashrrev_i32_e32 v5, 31, v5
	v_and_b32_e32 v98, v98, v99
	;; [unrolled: 8-line block ×5, first 2 shown]
	v_xor_b32_e32 v99, vcc_hi, v5
	v_xor_b32_e32 v5, vcc_lo, v5
	v_and_b32_e32 v98, v98, v99
	v_and_b32_e32 v99, v97, v5
	v_lshlrev_b32_e32 v5, 24, v96
	v_cmp_gt_i64_e32 vcc, 0, v[4:5]
	v_not_b32_e32 v5, v5
	v_ashrrev_i32_e32 v5, 31, v5
	v_xor_b32_e32 v96, vcc_hi, v5
	v_xor_b32_e32 v5, vcc_lo, v5
	v_and_b32_e32 v97, v98, v96
	v_and_b32_e32 v96, v99, v5
	v_mbcnt_lo_u32_b32 v5, v96, 0
	v_mbcnt_hi_u32_b32 v220, v97, v5
	v_cmp_eq_u32_e32 vcc, 0, v220
	v_cmp_ne_u64_e64 s[36:37], 0, v[96:97]
	s_and_b64 s[38:39], s[36:37], vcc
	; wave barrier
	s_and_saveexec_b64 s[36:37], s[38:39]
	s_cbranch_execz .LBB810_750
; %bb.749:                              ;   in Loop: Header=BB810_688 Depth=2
	v_bcnt_u32_b32 v5, v96, 0
	v_bcnt_u32_b32 v5, v97, v5
	s_waitcnt lgkmcnt(0)
	v_add_u32_e32 v5, v218, v5
	ds_write_b32 v219, v5
.LBB810_750:                            ;   in Loop: Header=BB810_688 Depth=2
	s_or_b64 exec, exec, s[36:37]
	s_waitcnt vmcnt(1)
	v_xor_b32_e32 v91, 0x80000000, v91
	v_lshrrev_b64 v[96:97], s84, v[90:91]
	v_and_b32_e32 v96, s68, v96
	v_mul_u32_u24_e32 v5, 5, v96
	v_add_lshl_u32 v5, v5, v181, 2
	; wave barrier
	v_add_u32_e32 v222, 0x410, v5
	ds_read_b32 v221, v5 offset:1040
	v_and_b32_e32 v5, 1, v96
	v_add_co_u32_e32 v97, vcc, -1, v5
	v_addc_co_u32_e64 v98, s[36:37], 0, -1, vcc
	v_cmp_ne_u32_e32 vcc, 0, v5
	v_xor_b32_e32 v5, vcc_hi, v98
	v_and_b32_e32 v98, exec_hi, v5
	v_lshlrev_b32_e32 v5, 30, v96
	v_xor_b32_e32 v97, vcc_lo, v97
	v_cmp_gt_i64_e32 vcc, 0, v[4:5]
	v_not_b32_e32 v5, v5
	v_ashrrev_i32_e32 v5, 31, v5
	v_and_b32_e32 v97, exec_lo, v97
	v_xor_b32_e32 v99, vcc_hi, v5
	v_xor_b32_e32 v5, vcc_lo, v5
	v_and_b32_e32 v97, v97, v5
	v_lshlrev_b32_e32 v5, 29, v96
	v_cmp_gt_i64_e32 vcc, 0, v[4:5]
	v_not_b32_e32 v5, v5
	v_ashrrev_i32_e32 v5, 31, v5
	v_and_b32_e32 v98, v98, v99
	v_xor_b32_e32 v99, vcc_hi, v5
	v_xor_b32_e32 v5, vcc_lo, v5
	v_and_b32_e32 v97, v97, v5
	v_lshlrev_b32_e32 v5, 28, v96
	v_cmp_gt_i64_e32 vcc, 0, v[4:5]
	v_not_b32_e32 v5, v5
	v_ashrrev_i32_e32 v5, 31, v5
	v_and_b32_e32 v98, v98, v99
	;; [unrolled: 8-line block ×5, first 2 shown]
	v_xor_b32_e32 v99, vcc_hi, v5
	v_xor_b32_e32 v5, vcc_lo, v5
	v_and_b32_e32 v98, v98, v99
	v_and_b32_e32 v99, v97, v5
	v_lshlrev_b32_e32 v5, 24, v96
	v_cmp_gt_i64_e32 vcc, 0, v[4:5]
	v_not_b32_e32 v5, v5
	v_ashrrev_i32_e32 v5, 31, v5
	v_xor_b32_e32 v96, vcc_hi, v5
	v_xor_b32_e32 v5, vcc_lo, v5
	v_and_b32_e32 v97, v98, v96
	v_and_b32_e32 v96, v99, v5
	v_mbcnt_lo_u32_b32 v5, v96, 0
	v_mbcnt_hi_u32_b32 v223, v97, v5
	v_cmp_eq_u32_e32 vcc, 0, v223
	v_cmp_ne_u64_e64 s[36:37], 0, v[96:97]
	s_and_b64 s[38:39], s[36:37], vcc
	; wave barrier
	s_and_saveexec_b64 s[36:37], s[38:39]
	s_cbranch_execz .LBB810_752
; %bb.751:                              ;   in Loop: Header=BB810_688 Depth=2
	v_bcnt_u32_b32 v5, v96, 0
	v_bcnt_u32_b32 v5, v97, v5
	s_waitcnt lgkmcnt(0)
	v_add_u32_e32 v5, v221, v5
	ds_write_b32 v222, v5
.LBB810_752:                            ;   in Loop: Header=BB810_688 Depth=2
	s_or_b64 exec, exec, s[36:37]
	s_waitcnt vmcnt(0)
	v_xor_b32_e32 v93, 0x80000000, v93
	v_lshrrev_b64 v[96:97], s84, v[92:93]
	v_and_b32_e32 v96, s68, v96
	v_mul_u32_u24_e32 v5, 5, v96
	v_add_lshl_u32 v5, v5, v181, 2
	; wave barrier
	v_add_u32_e32 v225, 0x410, v5
	ds_read_b32 v224, v5 offset:1040
	v_and_b32_e32 v5, 1, v96
	v_add_co_u32_e32 v97, vcc, -1, v5
	v_addc_co_u32_e64 v98, s[36:37], 0, -1, vcc
	v_cmp_ne_u32_e32 vcc, 0, v5
	v_xor_b32_e32 v5, vcc_hi, v98
	v_and_b32_e32 v98, exec_hi, v5
	v_lshlrev_b32_e32 v5, 30, v96
	v_xor_b32_e32 v97, vcc_lo, v97
	v_cmp_gt_i64_e32 vcc, 0, v[4:5]
	v_not_b32_e32 v5, v5
	v_ashrrev_i32_e32 v5, 31, v5
	v_and_b32_e32 v97, exec_lo, v97
	v_xor_b32_e32 v99, vcc_hi, v5
	v_xor_b32_e32 v5, vcc_lo, v5
	v_and_b32_e32 v97, v97, v5
	v_lshlrev_b32_e32 v5, 29, v96
	v_cmp_gt_i64_e32 vcc, 0, v[4:5]
	v_not_b32_e32 v5, v5
	v_ashrrev_i32_e32 v5, 31, v5
	v_and_b32_e32 v98, v98, v99
	v_xor_b32_e32 v99, vcc_hi, v5
	v_xor_b32_e32 v5, vcc_lo, v5
	v_and_b32_e32 v97, v97, v5
	v_lshlrev_b32_e32 v5, 28, v96
	v_cmp_gt_i64_e32 vcc, 0, v[4:5]
	v_not_b32_e32 v5, v5
	v_ashrrev_i32_e32 v5, 31, v5
	v_and_b32_e32 v98, v98, v99
	;; [unrolled: 8-line block ×5, first 2 shown]
	v_xor_b32_e32 v99, vcc_hi, v5
	v_xor_b32_e32 v5, vcc_lo, v5
	v_and_b32_e32 v98, v98, v99
	v_and_b32_e32 v99, v97, v5
	v_lshlrev_b32_e32 v5, 24, v96
	v_cmp_gt_i64_e32 vcc, 0, v[4:5]
	v_not_b32_e32 v5, v5
	v_ashrrev_i32_e32 v5, 31, v5
	v_xor_b32_e32 v96, vcc_hi, v5
	v_xor_b32_e32 v5, vcc_lo, v5
	v_and_b32_e32 v97, v98, v96
	v_and_b32_e32 v96, v99, v5
	v_mbcnt_lo_u32_b32 v5, v96, 0
	v_mbcnt_hi_u32_b32 v226, v97, v5
	v_cmp_eq_u32_e32 vcc, 0, v226
	v_cmp_ne_u64_e64 s[36:37], 0, v[96:97]
	s_and_b64 s[38:39], s[36:37], vcc
	; wave barrier
	s_and_saveexec_b64 s[36:37], s[38:39]
	s_cbranch_execz .LBB810_754
; %bb.753:                              ;   in Loop: Header=BB810_688 Depth=2
	v_bcnt_u32_b32 v5, v96, 0
	v_bcnt_u32_b32 v5, v97, v5
	s_waitcnt lgkmcnt(0)
	v_add_u32_e32 v5, v224, v5
	ds_write_b32 v225, v5
.LBB810_754:                            ;   in Loop: Header=BB810_688 Depth=2
	s_or_b64 exec, exec, s[36:37]
	v_xor_b32_e32 v95, 0x80000000, v95
	v_lshrrev_b64 v[96:97], s84, v[94:95]
	v_and_b32_e32 v96, s68, v96
	v_mul_u32_u24_e32 v5, 5, v96
	v_add_lshl_u32 v5, v5, v181, 2
	; wave barrier
	v_add_u32_e32 v228, 0x410, v5
	ds_read_b32 v227, v5 offset:1040
	v_and_b32_e32 v5, 1, v96
	v_add_co_u32_e32 v97, vcc, -1, v5
	v_addc_co_u32_e64 v98, s[36:37], 0, -1, vcc
	v_cmp_ne_u32_e32 vcc, 0, v5
	v_xor_b32_e32 v5, vcc_hi, v98
	v_and_b32_e32 v98, exec_hi, v5
	v_lshlrev_b32_e32 v5, 30, v96
	v_xor_b32_e32 v97, vcc_lo, v97
	v_cmp_gt_i64_e32 vcc, 0, v[4:5]
	v_not_b32_e32 v5, v5
	v_ashrrev_i32_e32 v5, 31, v5
	v_and_b32_e32 v97, exec_lo, v97
	v_xor_b32_e32 v99, vcc_hi, v5
	v_xor_b32_e32 v5, vcc_lo, v5
	v_and_b32_e32 v97, v97, v5
	v_lshlrev_b32_e32 v5, 29, v96
	v_cmp_gt_i64_e32 vcc, 0, v[4:5]
	v_not_b32_e32 v5, v5
	v_ashrrev_i32_e32 v5, 31, v5
	v_and_b32_e32 v98, v98, v99
	v_xor_b32_e32 v99, vcc_hi, v5
	v_xor_b32_e32 v5, vcc_lo, v5
	v_and_b32_e32 v97, v97, v5
	v_lshlrev_b32_e32 v5, 28, v96
	v_cmp_gt_i64_e32 vcc, 0, v[4:5]
	v_not_b32_e32 v5, v5
	v_ashrrev_i32_e32 v5, 31, v5
	v_and_b32_e32 v98, v98, v99
	;; [unrolled: 8-line block ×5, first 2 shown]
	v_xor_b32_e32 v99, vcc_hi, v5
	v_xor_b32_e32 v5, vcc_lo, v5
	v_and_b32_e32 v98, v98, v99
	v_and_b32_e32 v99, v97, v5
	v_lshlrev_b32_e32 v5, 24, v96
	v_cmp_gt_i64_e32 vcc, 0, v[4:5]
	v_not_b32_e32 v5, v5
	v_ashrrev_i32_e32 v5, 31, v5
	v_xor_b32_e32 v96, vcc_hi, v5
	v_xor_b32_e32 v5, vcc_lo, v5
	v_and_b32_e32 v97, v98, v96
	v_and_b32_e32 v96, v99, v5
	v_mbcnt_lo_u32_b32 v5, v96, 0
	v_mbcnt_hi_u32_b32 v229, v97, v5
	v_cmp_eq_u32_e32 vcc, 0, v229
	v_cmp_ne_u64_e64 s[36:37], 0, v[96:97]
	s_and_b64 s[38:39], s[36:37], vcc
	; wave barrier
	s_and_saveexec_b64 s[36:37], s[38:39]
	s_cbranch_execz .LBB810_756
; %bb.755:                              ;   in Loop: Header=BB810_688 Depth=2
	v_bcnt_u32_b32 v5, v96, 0
	v_bcnt_u32_b32 v5, v97, v5
	s_waitcnt lgkmcnt(0)
	v_add_u32_e32 v5, v227, v5
	ds_write_b32 v228, v5
.LBB810_756:                            ;   in Loop: Header=BB810_688 Depth=2
	s_or_b64 exec, exec, s[36:37]
	; wave barrier
	s_waitcnt lgkmcnt(0)
	s_barrier
	ds_read_b32 v5, v27 offset:1040
	ds_read2_b32 v[98:99], v31 offset0:1 offset1:2
	ds_read2_b32 v[96:97], v31 offset0:3 offset1:4
	s_waitcnt lgkmcnt(1)
	v_add3_u32 v230, v98, v5, v99
	s_waitcnt lgkmcnt(0)
	v_add3_u32 v97, v230, v96, v97
	s_nop 1
	v_mov_b32_dpp v230, v97 row_shr:1 row_mask:0xf bank_mask:0xf
	v_cndmask_b32_e64 v230, v230, 0, s[16:17]
	v_add_u32_e32 v97, v230, v97
	s_nop 1
	v_mov_b32_dpp v230, v97 row_shr:2 row_mask:0xf bank_mask:0xf
	v_cndmask_b32_e64 v230, 0, v230, s[18:19]
	v_add_u32_e32 v97, v97, v230
	;; [unrolled: 4-line block ×4, first 2 shown]
	s_nop 1
	v_mov_b32_dpp v230, v97 row_bcast:15 row_mask:0xf bank_mask:0xf
	v_cndmask_b32_e64 v230, v230, 0, s[24:25]
	v_add_u32_e32 v97, v97, v230
	s_nop 1
	v_mov_b32_dpp v230, v97 row_bcast:31 row_mask:0xf bank_mask:0xf
	v_cndmask_b32_e64 v230, 0, v230, s[26:27]
	v_add_u32_e32 v97, v97, v230
	s_and_saveexec_b64 s[36:37], s[6:7]
	s_cbranch_execz .LBB810_758
; %bb.757:                              ;   in Loop: Header=BB810_688 Depth=2
	ds_write_b32 v15, v97 offset:1024
.LBB810_758:                            ;   in Loop: Header=BB810_688 Depth=2
	s_or_b64 exec, exec, s[36:37]
	s_waitcnt lgkmcnt(0)
	s_barrier
	s_and_saveexec_b64 s[36:37], s[8:9]
	s_cbranch_execz .LBB810_760
; %bb.759:                              ;   in Loop: Header=BB810_688 Depth=2
	ds_read_b32 v230, v33 offset:1024
	s_waitcnt lgkmcnt(0)
	s_nop 0
	v_mov_b32_dpp v231, v230 row_shr:1 row_mask:0xf bank_mask:0xf
	v_cndmask_b32_e64 v231, v231, 0, s[30:31]
	v_add_u32_e32 v230, v231, v230
	s_nop 1
	v_mov_b32_dpp v231, v230 row_shr:2 row_mask:0xf bank_mask:0xf
	v_cndmask_b32_e64 v231, 0, v231, s[34:35]
	v_add_u32_e32 v230, v230, v231
	ds_write_b32 v33, v230 offset:1024
.LBB810_760:                            ;   in Loop: Header=BB810_688 Depth=2
	s_or_b64 exec, exec, s[36:37]
	v_mov_b32_e32 v230, 0
	s_waitcnt lgkmcnt(0)
	s_barrier
	s_and_saveexec_b64 s[36:37], s[10:11]
	s_cbranch_execz .LBB810_762
; %bb.761:                              ;   in Loop: Header=BB810_688 Depth=2
	ds_read_b32 v230, v15 offset:1020
.LBB810_762:                            ;   in Loop: Header=BB810_688 Depth=2
	s_or_b64 exec, exec, s[36:37]
	s_waitcnt lgkmcnt(0)
	v_add_u32_e32 v97, v230, v97
	ds_bpermute_b32 v97, v158, v97
	s_waitcnt lgkmcnt(0)
	v_cndmask_b32_e64 v97, v97, v230, s[28:29]
	v_cndmask_b32_e64 v97, v97, 0, s[12:13]
	v_add_u32_e32 v5, v97, v5
	ds_write_b32 v27, v97 offset:1040
	v_add_u32_e32 v97, v5, v98
	v_add_u32_e32 v98, v97, v99
	ds_write2_b32 v31, v5, v97 offset0:1 offset1:2
	v_add_u32_e32 v5, v98, v96
	ds_write2_b32 v31, v98, v5 offset0:3 offset1:4
	s_waitcnt lgkmcnt(0)
	s_barrier
	ds_read_b32 v97, v186
	ds_read_b32 v234, v189
	;; [unrolled: 1-line block ×16, first 2 shown]
	ds_read_b32 v183, v27 offset:1040
	v_mov_b32_e32 v5, 0x1000
	s_and_saveexec_b64 s[36:37], s[14:15]
	s_cbranch_execz .LBB810_764
; %bb.763:                              ;   in Loop: Header=BB810_688 Depth=2
	ds_read_b32 v5, v27 offset:1060
.LBB810_764:                            ;   in Loop: Header=BB810_688 Depth=2
	s_or_b64 exec, exec, s[36:37]
	s_waitcnt lgkmcnt(0)
	s_barrier
	s_and_saveexec_b64 s[36:37], s[4:5]
	s_cbranch_execz .LBB810_766
; %bb.765:                              ;   in Loop: Header=BB810_688 Depth=2
	ds_read_b32 v207, v3
	s_waitcnt lgkmcnt(0)
	v_sub_u32_e32 v183, v207, v183
	ds_write_b32 v3, v183
.LBB810_766:                            ;   in Loop: Header=BB810_688 Depth=2
	s_or_b64 exec, exec, s[36:37]
	v_add_u32_e32 v185, v187, v185
	v_add_u32_e32 v191, v193, v191
	;; [unrolled: 1-line block ×3, first 2 shown]
	v_add_lshl_u32 v96, v96, v184, 3
	v_add_lshl_u32 v97, v185, v97, 3
	v_add_u32_e32 v203, v205, v203
	v_add_u32_e32 v200, v202, v200
	;; [unrolled: 1-line block ×4, first 2 shown]
	ds_write_b64 v96, v[64:65] offset:1024
	ds_write_b64 v97, v[66:67] offset:1024
	v_add_lshl_u32 v66, v188, v234, 3
	v_add_lshl_u32 v67, v191, v233, 3
	v_add_u32_e32 v183, v229, v227
	v_add_u32_e32 v207, v226, v224
	;; [unrolled: 1-line block ×8, first 2 shown]
	ds_write_b64 v66, v[68:69] offset:1024
	ds_write_b64 v67, v[70:71] offset:1024
	v_add_lshl_u32 v68, v194, v232, 3
	v_add_lshl_u32 v69, v197, v231, 3
	;; [unrolled: 1-line block ×4, first 2 shown]
	ds_write_b64 v68, v[72:73] offset:1024
	ds_write_b64 v69, v[74:75] offset:1024
	;; [unrolled: 1-line block ×4, first 2 shown]
	v_add_lshl_u32 v72, v206, v201, 3
	v_add_lshl_u32 v73, v209, v198, 3
	;; [unrolled: 1-line block ×8, first 2 shown]
	v_cmp_lt_u32_e64 s[36:37], v2, v182
	ds_write_b64 v72, v[80:81] offset:1024
	ds_write_b64 v73, v[82:83] offset:1024
	;; [unrolled: 1-line block ×8, first 2 shown]
	s_waitcnt lgkmcnt(0)
	s_barrier
	s_and_saveexec_b64 s[38:39], s[36:37]
	s_cbranch_execz .LBB810_782
; %bb.767:                              ;   in Loop: Header=BB810_688 Depth=2
	v_add_u32_e32 v64, v33, v3
	ds_read_b64 v[64:65], v64 offset:1024
	v_mov_b32_e32 v82, s75
	s_waitcnt lgkmcnt(0)
	v_lshrrev_b64 v[80:81], s84, v[64:65]
	v_and_b32_e32 v80, s68, v80
	v_lshlrev_b32_e32 v80, 2, v80
	ds_read_b32 v80, v80
	v_mov_b32_e32 v81, v4
	v_xor_b32_e32 v65, 0x80000000, v65
	s_waitcnt lgkmcnt(0)
	v_add_u32_e32 v80, v80, v2
	v_lshlrev_b64 v[80:81], 3, v[80:81]
	v_add_co_u32_e32 v80, vcc, s74, v80
	v_addc_co_u32_e32 v81, vcc, v82, v81, vcc
	global_store_dwordx2 v[80:81], v[64:65], off
	s_or_b64 exec, exec, s[38:39]
	v_cmp_lt_u32_e64 s[38:39], v7, v182
	s_and_saveexec_b64 s[40:41], s[38:39]
	s_cbranch_execnz .LBB810_783
.LBB810_768:                            ;   in Loop: Header=BB810_688 Depth=2
	s_or_b64 exec, exec, s[40:41]
	v_cmp_lt_u32_e64 s[40:41], v6, v182
	s_and_saveexec_b64 s[42:43], s[40:41]
	s_cbranch_execz .LBB810_784
.LBB810_769:                            ;   in Loop: Header=BB810_688 Depth=2
	ds_read_b64 v[64:65], v104 offset:4096
	v_mov_b32_e32 v82, s75
	s_waitcnt lgkmcnt(0)
	v_lshrrev_b64 v[80:81], s84, v[64:65]
	v_and_b32_e32 v80, s68, v80
	v_lshlrev_b32_e32 v80, 2, v80
	ds_read_b32 v80, v80
	v_mov_b32_e32 v81, v4
	v_xor_b32_e32 v65, 0x80000000, v65
	s_waitcnt lgkmcnt(0)
	v_add_u32_e32 v80, v80, v6
	v_lshlrev_b64 v[80:81], 3, v[80:81]
	v_add_co_u32_e32 v80, vcc, s74, v80
	v_addc_co_u32_e32 v81, vcc, v82, v81, vcc
	global_store_dwordx2 v[80:81], v[64:65], off
	s_or_b64 exec, exec, s[42:43]
	v_cmp_lt_u32_e64 s[42:43], v8, v182
	s_and_saveexec_b64 s[44:45], s[42:43]
	s_cbranch_execnz .LBB810_785
.LBB810_770:                            ;   in Loop: Header=BB810_688 Depth=2
	s_or_b64 exec, exec, s[44:45]
	v_cmp_lt_u32_e64 s[44:45], v10, v182
	s_and_saveexec_b64 s[46:47], s[44:45]
	s_cbranch_execz .LBB810_786
.LBB810_771:                            ;   in Loop: Header=BB810_688 Depth=2
	ds_read_b64 v[64:65], v104 offset:8192
	v_mov_b32_e32 v82, s75
	s_waitcnt lgkmcnt(0)
	v_lshrrev_b64 v[80:81], s84, v[64:65]
	v_and_b32_e32 v80, s68, v80
	v_lshlrev_b32_e32 v80, 2, v80
	ds_read_b32 v80, v80
	v_mov_b32_e32 v81, v4
	v_xor_b32_e32 v65, 0x80000000, v65
	s_waitcnt lgkmcnt(0)
	v_add_u32_e32 v80, v80, v10
	v_lshlrev_b64 v[80:81], 3, v[80:81]
	v_add_co_u32_e32 v80, vcc, s74, v80
	v_addc_co_u32_e32 v81, vcc, v82, v81, vcc
	global_store_dwordx2 v[80:81], v[64:65], off
	s_or_b64 exec, exec, s[46:47]
	v_cmp_lt_u32_e64 s[46:47], v12, v182
	s_and_saveexec_b64 s[48:49], s[46:47]
	s_cbranch_execnz .LBB810_787
.LBB810_772:                            ;   in Loop: Header=BB810_688 Depth=2
	s_or_b64 exec, exec, s[48:49]
	v_cmp_lt_u32_e64 s[48:49], v14, v182
	s_and_saveexec_b64 s[50:51], s[48:49]
	s_cbranch_execz .LBB810_788
.LBB810_773:                            ;   in Loop: Header=BB810_688 Depth=2
	ds_read_b64 v[64:65], v104 offset:12288
	v_mov_b32_e32 v82, s75
	s_waitcnt lgkmcnt(0)
	v_lshrrev_b64 v[80:81], s84, v[64:65]
	v_and_b32_e32 v80, s68, v80
	v_lshlrev_b32_e32 v80, 2, v80
	ds_read_b32 v80, v80
	v_mov_b32_e32 v81, v4
	v_xor_b32_e32 v65, 0x80000000, v65
	s_waitcnt lgkmcnt(0)
	v_add_u32_e32 v80, v80, v14
	v_lshlrev_b64 v[80:81], 3, v[80:81]
	v_add_co_u32_e32 v80, vcc, s74, v80
	v_addc_co_u32_e32 v81, vcc, v82, v81, vcc
	global_store_dwordx2 v[80:81], v[64:65], off
	s_or_b64 exec, exec, s[50:51]
	v_cmp_lt_u32_e64 s[50:51], v16, v182
	s_and_saveexec_b64 s[52:53], s[50:51]
	s_cbranch_execnz .LBB810_789
.LBB810_774:                            ;   in Loop: Header=BB810_688 Depth=2
	s_or_b64 exec, exec, s[52:53]
	v_cmp_lt_u32_e64 s[52:53], v18, v182
	s_and_saveexec_b64 s[54:55], s[52:53]
	s_cbranch_execz .LBB810_790
.LBB810_775:                            ;   in Loop: Header=BB810_688 Depth=2
	ds_read_b64 v[64:65], v104 offset:16384
	v_mov_b32_e32 v82, s75
	s_waitcnt lgkmcnt(0)
	v_lshrrev_b64 v[80:81], s84, v[64:65]
	v_and_b32_e32 v80, s68, v80
	v_lshlrev_b32_e32 v80, 2, v80
	ds_read_b32 v80, v80
	v_mov_b32_e32 v81, v4
	v_xor_b32_e32 v65, 0x80000000, v65
	s_waitcnt lgkmcnt(0)
	v_add_u32_e32 v80, v80, v18
	v_lshlrev_b64 v[80:81], 3, v[80:81]
	v_add_co_u32_e32 v80, vcc, s74, v80
	v_addc_co_u32_e32 v81, vcc, v82, v81, vcc
	global_store_dwordx2 v[80:81], v[64:65], off
	s_or_b64 exec, exec, s[54:55]
	v_cmp_lt_u32_e64 s[54:55], v20, v182
	s_and_saveexec_b64 s[56:57], s[54:55]
	s_cbranch_execnz .LBB810_791
.LBB810_776:                            ;   in Loop: Header=BB810_688 Depth=2
	s_or_b64 exec, exec, s[56:57]
	v_cmp_lt_u32_e64 s[56:57], v22, v182
	s_and_saveexec_b64 s[58:59], s[56:57]
	s_cbranch_execz .LBB810_792
.LBB810_777:                            ;   in Loop: Header=BB810_688 Depth=2
	ds_read_b64 v[64:65], v104 offset:20480
	v_mov_b32_e32 v82, s75
	s_waitcnt lgkmcnt(0)
	v_lshrrev_b64 v[80:81], s84, v[64:65]
	v_and_b32_e32 v80, s68, v80
	v_lshlrev_b32_e32 v80, 2, v80
	ds_read_b32 v80, v80
	v_mov_b32_e32 v81, v4
	v_xor_b32_e32 v65, 0x80000000, v65
	s_waitcnt lgkmcnt(0)
	v_add_u32_e32 v80, v80, v22
	v_lshlrev_b64 v[80:81], 3, v[80:81]
	v_add_co_u32_e32 v80, vcc, s74, v80
	v_addc_co_u32_e32 v81, vcc, v82, v81, vcc
	global_store_dwordx2 v[80:81], v[64:65], off
	s_or_b64 exec, exec, s[58:59]
	v_cmp_lt_u32_e64 s[58:59], v24, v182
	s_and_saveexec_b64 s[60:61], s[58:59]
	s_cbranch_execnz .LBB810_793
.LBB810_778:                            ;   in Loop: Header=BB810_688 Depth=2
	s_or_b64 exec, exec, s[60:61]
	v_cmp_lt_u32_e64 s[60:61], v26, v182
	s_and_saveexec_b64 s[62:63], s[60:61]
	s_cbranch_execz .LBB810_794
.LBB810_779:                            ;   in Loop: Header=BB810_688 Depth=2
	ds_read_b64 v[64:65], v104 offset:24576
	v_mov_b32_e32 v82, s75
	s_waitcnt lgkmcnt(0)
	v_lshrrev_b64 v[80:81], s84, v[64:65]
	v_and_b32_e32 v80, s68, v80
	v_lshlrev_b32_e32 v80, 2, v80
	ds_read_b32 v80, v80
	v_mov_b32_e32 v81, v4
	v_xor_b32_e32 v65, 0x80000000, v65
	s_waitcnt lgkmcnt(0)
	v_add_u32_e32 v80, v80, v26
	v_lshlrev_b64 v[80:81], 3, v[80:81]
	v_add_co_u32_e32 v80, vcc, s74, v80
	v_addc_co_u32_e32 v81, vcc, v82, v81, vcc
	global_store_dwordx2 v[80:81], v[64:65], off
	s_or_b64 exec, exec, s[62:63]
	v_cmp_lt_u32_e64 s[62:63], v28, v182
	s_and_saveexec_b64 s[64:65], s[62:63]
	s_cbranch_execnz .LBB810_795
.LBB810_780:                            ;   in Loop: Header=BB810_688 Depth=2
	s_or_b64 exec, exec, s[64:65]
	v_cmp_lt_u32_e64 s[64:65], v30, v182
	s_and_saveexec_b64 s[66:67], s[64:65]
	s_cbranch_execz .LBB810_796
.LBB810_781:                            ;   in Loop: Header=BB810_688 Depth=2
	ds_read_b64 v[64:65], v104 offset:28672
	v_mov_b32_e32 v82, s75
	s_waitcnt lgkmcnt(0)
	v_lshrrev_b64 v[80:81], s84, v[64:65]
	v_and_b32_e32 v80, s68, v80
	v_lshlrev_b32_e32 v80, 2, v80
	ds_read_b32 v80, v80
	v_mov_b32_e32 v81, v4
	v_xor_b32_e32 v65, 0x80000000, v65
	s_waitcnt lgkmcnt(0)
	v_add_u32_e32 v80, v80, v30
	v_lshlrev_b64 v[80:81], 3, v[80:81]
	v_add_co_u32_e32 v80, vcc, s74, v80
	v_addc_co_u32_e32 v81, vcc, v82, v81, vcc
	global_store_dwordx2 v[80:81], v[64:65], off
	s_or_b64 exec, exec, s[66:67]
	v_cmp_lt_u32_e64 s[66:67], v32, v182
	s_and_saveexec_b64 s[92:93], s[66:67]
	s_cbranch_execnz .LBB810_797
	s_branch .LBB810_798
.LBB810_782:                            ;   in Loop: Header=BB810_688 Depth=2
	s_or_b64 exec, exec, s[38:39]
	v_cmp_lt_u32_e64 s[38:39], v7, v182
	s_and_saveexec_b64 s[40:41], s[38:39]
	s_cbranch_execz .LBB810_768
.LBB810_783:                            ;   in Loop: Header=BB810_688 Depth=2
	ds_read_b64 v[64:65], v104 offset:2048
	v_mov_b32_e32 v82, s75
	s_waitcnt lgkmcnt(0)
	v_lshrrev_b64 v[80:81], s84, v[64:65]
	v_and_b32_e32 v80, s68, v80
	v_lshlrev_b32_e32 v80, 2, v80
	ds_read_b32 v80, v80
	v_mov_b32_e32 v81, v4
	v_xor_b32_e32 v65, 0x80000000, v65
	s_waitcnt lgkmcnt(0)
	v_add_u32_e32 v80, v80, v7
	v_lshlrev_b64 v[80:81], 3, v[80:81]
	v_add_co_u32_e32 v80, vcc, s74, v80
	v_addc_co_u32_e32 v81, vcc, v82, v81, vcc
	global_store_dwordx2 v[80:81], v[64:65], off
	s_or_b64 exec, exec, s[40:41]
	v_cmp_lt_u32_e64 s[40:41], v6, v182
	s_and_saveexec_b64 s[42:43], s[40:41]
	s_cbranch_execnz .LBB810_769
.LBB810_784:                            ;   in Loop: Header=BB810_688 Depth=2
	s_or_b64 exec, exec, s[42:43]
	v_cmp_lt_u32_e64 s[42:43], v8, v182
	s_and_saveexec_b64 s[44:45], s[42:43]
	s_cbranch_execz .LBB810_770
.LBB810_785:                            ;   in Loop: Header=BB810_688 Depth=2
	ds_read_b64 v[64:65], v104 offset:6144
	v_mov_b32_e32 v82, s75
	s_waitcnt lgkmcnt(0)
	v_lshrrev_b64 v[80:81], s84, v[64:65]
	v_and_b32_e32 v80, s68, v80
	v_lshlrev_b32_e32 v80, 2, v80
	ds_read_b32 v80, v80
	v_mov_b32_e32 v81, v4
	v_xor_b32_e32 v65, 0x80000000, v65
	s_waitcnt lgkmcnt(0)
	v_add_u32_e32 v80, v80, v8
	v_lshlrev_b64 v[80:81], 3, v[80:81]
	v_add_co_u32_e32 v80, vcc, s74, v80
	v_addc_co_u32_e32 v81, vcc, v82, v81, vcc
	global_store_dwordx2 v[80:81], v[64:65], off
	s_or_b64 exec, exec, s[44:45]
	v_cmp_lt_u32_e64 s[44:45], v10, v182
	s_and_saveexec_b64 s[46:47], s[44:45]
	s_cbranch_execnz .LBB810_771
.LBB810_786:                            ;   in Loop: Header=BB810_688 Depth=2
	s_or_b64 exec, exec, s[46:47]
	v_cmp_lt_u32_e64 s[46:47], v12, v182
	s_and_saveexec_b64 s[48:49], s[46:47]
	s_cbranch_execz .LBB810_772
.LBB810_787:                            ;   in Loop: Header=BB810_688 Depth=2
	ds_read_b64 v[64:65], v104 offset:10240
	v_mov_b32_e32 v82, s75
	s_waitcnt lgkmcnt(0)
	v_lshrrev_b64 v[80:81], s84, v[64:65]
	v_and_b32_e32 v80, s68, v80
	v_lshlrev_b32_e32 v80, 2, v80
	ds_read_b32 v80, v80
	v_mov_b32_e32 v81, v4
	v_xor_b32_e32 v65, 0x80000000, v65
	s_waitcnt lgkmcnt(0)
	v_add_u32_e32 v80, v80, v12
	v_lshlrev_b64 v[80:81], 3, v[80:81]
	v_add_co_u32_e32 v80, vcc, s74, v80
	v_addc_co_u32_e32 v81, vcc, v82, v81, vcc
	global_store_dwordx2 v[80:81], v[64:65], off
	s_or_b64 exec, exec, s[48:49]
	v_cmp_lt_u32_e64 s[48:49], v14, v182
	s_and_saveexec_b64 s[50:51], s[48:49]
	s_cbranch_execnz .LBB810_773
.LBB810_788:                            ;   in Loop: Header=BB810_688 Depth=2
	s_or_b64 exec, exec, s[50:51]
	v_cmp_lt_u32_e64 s[50:51], v16, v182
	s_and_saveexec_b64 s[52:53], s[50:51]
	s_cbranch_execz .LBB810_774
.LBB810_789:                            ;   in Loop: Header=BB810_688 Depth=2
	ds_read_b64 v[64:65], v104 offset:14336
	v_mov_b32_e32 v82, s75
	s_waitcnt lgkmcnt(0)
	v_lshrrev_b64 v[80:81], s84, v[64:65]
	v_and_b32_e32 v80, s68, v80
	v_lshlrev_b32_e32 v80, 2, v80
	ds_read_b32 v80, v80
	v_mov_b32_e32 v81, v4
	v_xor_b32_e32 v65, 0x80000000, v65
	s_waitcnt lgkmcnt(0)
	v_add_u32_e32 v80, v80, v16
	v_lshlrev_b64 v[80:81], 3, v[80:81]
	v_add_co_u32_e32 v80, vcc, s74, v80
	v_addc_co_u32_e32 v81, vcc, v82, v81, vcc
	global_store_dwordx2 v[80:81], v[64:65], off
	s_or_b64 exec, exec, s[52:53]
	v_cmp_lt_u32_e64 s[52:53], v18, v182
	s_and_saveexec_b64 s[54:55], s[52:53]
	s_cbranch_execnz .LBB810_775
.LBB810_790:                            ;   in Loop: Header=BB810_688 Depth=2
	s_or_b64 exec, exec, s[54:55]
	v_cmp_lt_u32_e64 s[54:55], v20, v182
	s_and_saveexec_b64 s[56:57], s[54:55]
	s_cbranch_execz .LBB810_776
.LBB810_791:                            ;   in Loop: Header=BB810_688 Depth=2
	ds_read_b64 v[64:65], v104 offset:18432
	v_mov_b32_e32 v82, s75
	s_waitcnt lgkmcnt(0)
	v_lshrrev_b64 v[80:81], s84, v[64:65]
	v_and_b32_e32 v80, s68, v80
	v_lshlrev_b32_e32 v80, 2, v80
	ds_read_b32 v80, v80
	v_mov_b32_e32 v81, v4
	v_xor_b32_e32 v65, 0x80000000, v65
	s_waitcnt lgkmcnt(0)
	v_add_u32_e32 v80, v80, v20
	v_lshlrev_b64 v[80:81], 3, v[80:81]
	v_add_co_u32_e32 v80, vcc, s74, v80
	v_addc_co_u32_e32 v81, vcc, v82, v81, vcc
	global_store_dwordx2 v[80:81], v[64:65], off
	s_or_b64 exec, exec, s[56:57]
	v_cmp_lt_u32_e64 s[56:57], v22, v182
	s_and_saveexec_b64 s[58:59], s[56:57]
	s_cbranch_execnz .LBB810_777
.LBB810_792:                            ;   in Loop: Header=BB810_688 Depth=2
	s_or_b64 exec, exec, s[58:59]
	v_cmp_lt_u32_e64 s[58:59], v24, v182
	s_and_saveexec_b64 s[60:61], s[58:59]
	s_cbranch_execz .LBB810_778
.LBB810_793:                            ;   in Loop: Header=BB810_688 Depth=2
	ds_read_b64 v[64:65], v104 offset:22528
	v_mov_b32_e32 v82, s75
	s_waitcnt lgkmcnt(0)
	v_lshrrev_b64 v[80:81], s84, v[64:65]
	v_and_b32_e32 v80, s68, v80
	v_lshlrev_b32_e32 v80, 2, v80
	ds_read_b32 v80, v80
	v_mov_b32_e32 v81, v4
	v_xor_b32_e32 v65, 0x80000000, v65
	s_waitcnt lgkmcnt(0)
	v_add_u32_e32 v80, v80, v24
	v_lshlrev_b64 v[80:81], 3, v[80:81]
	v_add_co_u32_e32 v80, vcc, s74, v80
	v_addc_co_u32_e32 v81, vcc, v82, v81, vcc
	global_store_dwordx2 v[80:81], v[64:65], off
	s_or_b64 exec, exec, s[60:61]
	v_cmp_lt_u32_e64 s[60:61], v26, v182
	s_and_saveexec_b64 s[62:63], s[60:61]
	s_cbranch_execnz .LBB810_779
.LBB810_794:                            ;   in Loop: Header=BB810_688 Depth=2
	s_or_b64 exec, exec, s[62:63]
	v_cmp_lt_u32_e64 s[62:63], v28, v182
	s_and_saveexec_b64 s[64:65], s[62:63]
	s_cbranch_execz .LBB810_780
.LBB810_795:                            ;   in Loop: Header=BB810_688 Depth=2
	ds_read_b64 v[64:65], v104 offset:26624
	v_mov_b32_e32 v82, s75
	s_waitcnt lgkmcnt(0)
	v_lshrrev_b64 v[80:81], s84, v[64:65]
	v_and_b32_e32 v80, s68, v80
	v_lshlrev_b32_e32 v80, 2, v80
	ds_read_b32 v80, v80
	v_mov_b32_e32 v81, v4
	v_xor_b32_e32 v65, 0x80000000, v65
	s_waitcnt lgkmcnt(0)
	v_add_u32_e32 v80, v80, v28
	v_lshlrev_b64 v[80:81], 3, v[80:81]
	v_add_co_u32_e32 v80, vcc, s74, v80
	v_addc_co_u32_e32 v81, vcc, v82, v81, vcc
	global_store_dwordx2 v[80:81], v[64:65], off
	s_or_b64 exec, exec, s[64:65]
	v_cmp_lt_u32_e64 s[64:65], v30, v182
	s_and_saveexec_b64 s[66:67], s[64:65]
	s_cbranch_execnz .LBB810_781
.LBB810_796:                            ;   in Loop: Header=BB810_688 Depth=2
	s_or_b64 exec, exec, s[66:67]
	v_cmp_lt_u32_e64 s[66:67], v32, v182
	s_and_saveexec_b64 s[92:93], s[66:67]
	s_cbranch_execz .LBB810_798
.LBB810_797:                            ;   in Loop: Header=BB810_688 Depth=2
	ds_read_b64 v[64:65], v104 offset:30720
	v_mov_b32_e32 v82, s75
	s_waitcnt lgkmcnt(0)
	v_lshrrev_b64 v[80:81], s84, v[64:65]
	v_and_b32_e32 v80, s68, v80
	v_lshlrev_b32_e32 v80, 2, v80
	ds_read_b32 v80, v80
	v_mov_b32_e32 v81, v4
	v_xor_b32_e32 v65, 0x80000000, v65
	s_waitcnt lgkmcnt(0)
	v_add_u32_e32 v80, v80, v32
	v_lshlrev_b64 v[80:81], 3, v[80:81]
	v_add_co_u32_e32 v80, vcc, s74, v80
	v_addc_co_u32_e32 v81, vcc, v82, v81, vcc
	global_store_dwordx2 v[80:81], v[64:65], off
.LBB810_798:                            ;   in Loop: Header=BB810_688 Depth=2
	s_or_b64 exec, exec, s[92:93]
	s_lshl_b64 s[92:93], s[88:89], 3
	v_mov_b32_e32 v65, s93
	v_add_co_u32_e32 v64, vcc, s92, v159
	v_addc_co_u32_e32 v65, vcc, v160, v65, vcc
	v_cmp_lt_u32_e32 vcc, v142, v182
	s_and_saveexec_b64 s[92:93], vcc
	s_xor_b64 s[92:93], exec, s[92:93]
	s_cbranch_execz .LBB810_830
; %bb.799:                              ;   in Loop: Header=BB810_688 Depth=2
	global_load_dwordx2 v[62:63], v[64:65], off
	s_or_b64 exec, exec, s[92:93]
	v_cmp_lt_u32_e32 vcc, v143, v182
	s_and_saveexec_b64 s[92:93], vcc
	s_cbranch_execnz .LBB810_831
.LBB810_800:                            ;   in Loop: Header=BB810_688 Depth=2
	s_or_b64 exec, exec, s[92:93]
	v_cmp_lt_u32_e32 vcc, v144, v182
	s_and_saveexec_b64 s[92:93], vcc
	s_cbranch_execz .LBB810_832
.LBB810_801:                            ;   in Loop: Header=BB810_688 Depth=2
	global_load_dwordx2 v[58:59], v[64:65], off offset:1024
	s_or_b64 exec, exec, s[92:93]
	v_cmp_lt_u32_e32 vcc, v145, v182
	s_and_saveexec_b64 s[92:93], vcc
	s_cbranch_execnz .LBB810_833
.LBB810_802:                            ;   in Loop: Header=BB810_688 Depth=2
	s_or_b64 exec, exec, s[92:93]
	v_cmp_lt_u32_e32 vcc, v146, v182
	s_and_saveexec_b64 s[92:93], vcc
	s_cbranch_execz .LBB810_834
.LBB810_803:                            ;   in Loop: Header=BB810_688 Depth=2
	global_load_dwordx2 v[50:51], v[64:65], off offset:2048
	s_or_b64 exec, exec, s[92:93]
	v_cmp_lt_u32_e32 vcc, v147, v182
	s_and_saveexec_b64 s[92:93], vcc
	s_cbranch_execnz .LBB810_835
.LBB810_804:                            ;   in Loop: Header=BB810_688 Depth=2
	s_or_b64 exec, exec, s[92:93]
	v_cmp_lt_u32_e32 vcc, v148, v182
	s_and_saveexec_b64 s[92:93], vcc
	s_cbranch_execz .LBB810_836
.LBB810_805:                            ;   in Loop: Header=BB810_688 Depth=2
	global_load_dwordx2 v[42:43], v[64:65], off offset:3072
	s_or_b64 exec, exec, s[92:93]
	v_cmp_lt_u32_e32 vcc, v149, v182
	s_and_saveexec_b64 s[92:93], vcc
	s_cbranch_execnz .LBB810_837
.LBB810_806:                            ;   in Loop: Header=BB810_688 Depth=2
	s_or_b64 exec, exec, s[92:93]
	v_cmp_lt_u32_e32 vcc, v150, v182
	s_and_saveexec_b64 s[92:93], vcc
	s_cbranch_execz .LBB810_838
.LBB810_807:                            ;   in Loop: Header=BB810_688 Depth=2
	v_add_co_u32_e32 v56, vcc, 0x1000, v64
	v_addc_co_u32_e32 v57, vcc, 0, v65, vcc
	global_load_dwordx2 v[56:57], v[56:57], off
	s_or_b64 exec, exec, s[92:93]
	v_cmp_lt_u32_e32 vcc, v151, v182
	s_and_saveexec_b64 s[92:93], vcc
	s_cbranch_execnz .LBB810_839
.LBB810_808:                            ;   in Loop: Header=BB810_688 Depth=2
	s_or_b64 exec, exec, s[92:93]
	v_cmp_lt_u32_e32 vcc, v152, v182
	s_and_saveexec_b64 s[92:93], vcc
	s_cbranch_execz .LBB810_840
.LBB810_809:                            ;   in Loop: Header=BB810_688 Depth=2
	v_add_co_u32_e32 v48, vcc, 0x1000, v64
	v_addc_co_u32_e32 v49, vcc, 0, v65, vcc
	global_load_dwordx2 v[48:49], v[48:49], off offset:1024
	s_or_b64 exec, exec, s[92:93]
	v_cmp_lt_u32_e32 vcc, v153, v182
	s_and_saveexec_b64 s[92:93], vcc
	s_cbranch_execnz .LBB810_841
.LBB810_810:                            ;   in Loop: Header=BB810_688 Depth=2
	s_or_b64 exec, exec, s[92:93]
	v_cmp_lt_u32_e32 vcc, v154, v182
	s_and_saveexec_b64 s[92:93], vcc
	s_cbranch_execz .LBB810_842
.LBB810_811:                            ;   in Loop: Header=BB810_688 Depth=2
	v_add_co_u32_e32 v40, vcc, 0x1000, v64
	v_addc_co_u32_e32 v41, vcc, 0, v65, vcc
	global_load_dwordx2 v[40:41], v[40:41], off offset:2048
	s_or_b64 exec, exec, s[92:93]
	v_cmp_lt_u32_e32 vcc, v155, v182
	s_and_saveexec_b64 s[92:93], vcc
	s_cbranch_execnz .LBB810_843
.LBB810_812:                            ;   in Loop: Header=BB810_688 Depth=2
	s_or_b64 exec, exec, s[92:93]
	v_cmp_lt_u32_e32 vcc, v156, v182
	s_and_saveexec_b64 s[92:93], vcc
	s_cbranch_execz .LBB810_844
.LBB810_813:                            ;   in Loop: Header=BB810_688 Depth=2
	v_add_co_u32_e32 v34, vcc, 0x1000, v64
	v_addc_co_u32_e32 v35, vcc, 0, v65, vcc
	global_load_dwordx2 v[34:35], v[34:35], off offset:3072
	s_or_b64 exec, exec, s[92:93]
	v_cmp_lt_u32_e32 vcc, v157, v182
	s_and_saveexec_b64 s[92:93], vcc
	s_cbranch_execnz .LBB810_845
.LBB810_814:                            ;   in Loop: Header=BB810_688 Depth=2
	s_or_b64 exec, exec, s[92:93]
	s_and_saveexec_b64 s[92:93], s[36:37]
	s_cbranch_execz .LBB810_846
.LBB810_815:                            ;   in Loop: Header=BB810_688 Depth=2
	v_add_u32_e32 v64, v33, v3
	ds_read_b64 v[64:65], v64 offset:1024
	s_waitcnt lgkmcnt(0)
	v_lshrrev_b64 v[64:65], s84, v[64:65]
	v_and_b32_e32 v180, s68, v64
	s_or_b64 exec, exec, s[92:93]
	s_and_saveexec_b64 s[92:93], s[38:39]
	s_cbranch_execnz .LBB810_847
.LBB810_816:                            ;   in Loop: Header=BB810_688 Depth=2
	s_or_b64 exec, exec, s[92:93]
	s_and_saveexec_b64 s[92:93], s[40:41]
	s_cbranch_execz .LBB810_848
.LBB810_817:                            ;   in Loop: Header=BB810_688 Depth=2
	ds_read_b64 v[64:65], v104 offset:4096
	s_waitcnt lgkmcnt(0)
	v_lshrrev_b64 v[64:65], s84, v[64:65]
	v_and_b32_e32 v177, s68, v64
	s_or_b64 exec, exec, s[92:93]
	s_and_saveexec_b64 s[92:93], s[42:43]
	s_cbranch_execnz .LBB810_849
.LBB810_818:                            ;   in Loop: Header=BB810_688 Depth=2
	s_or_b64 exec, exec, s[92:93]
	s_and_saveexec_b64 s[92:93], s[44:45]
	s_cbranch_execz .LBB810_850
.LBB810_819:                            ;   in Loop: Header=BB810_688 Depth=2
	ds_read_b64 v[64:65], v104 offset:8192
	s_waitcnt lgkmcnt(0)
	v_lshrrev_b64 v[64:65], s84, v[64:65]
	v_and_b32_e32 v174, s68, v64
	s_or_b64 exec, exec, s[92:93]
	s_and_saveexec_b64 s[92:93], s[46:47]
	s_cbranch_execnz .LBB810_851
.LBB810_820:                            ;   in Loop: Header=BB810_688 Depth=2
	s_or_b64 exec, exec, s[92:93]
	s_and_saveexec_b64 s[92:93], s[48:49]
	s_cbranch_execz .LBB810_852
.LBB810_821:                            ;   in Loop: Header=BB810_688 Depth=2
	ds_read_b64 v[64:65], v104 offset:12288
	s_waitcnt lgkmcnt(0)
	v_lshrrev_b64 v[64:65], s84, v[64:65]
	v_and_b32_e32 v172, s68, v64
	s_or_b64 exec, exec, s[92:93]
	s_and_saveexec_b64 s[92:93], s[50:51]
	s_cbranch_execnz .LBB810_853
.LBB810_822:                            ;   in Loop: Header=BB810_688 Depth=2
	s_or_b64 exec, exec, s[92:93]
	s_and_saveexec_b64 s[92:93], s[52:53]
	s_cbranch_execz .LBB810_854
.LBB810_823:                            ;   in Loop: Header=BB810_688 Depth=2
	ds_read_b64 v[64:65], v104 offset:16384
	s_waitcnt lgkmcnt(0)
	v_lshrrev_b64 v[64:65], s84, v[64:65]
	v_and_b32_e32 v170, s68, v64
	s_or_b64 exec, exec, s[92:93]
	s_and_saveexec_b64 s[92:93], s[54:55]
	s_cbranch_execnz .LBB810_855
.LBB810_824:                            ;   in Loop: Header=BB810_688 Depth=2
	s_or_b64 exec, exec, s[92:93]
	s_and_saveexec_b64 s[92:93], s[56:57]
	s_cbranch_execz .LBB810_856
.LBB810_825:                            ;   in Loop: Header=BB810_688 Depth=2
	ds_read_b64 v[64:65], v104 offset:20480
	s_waitcnt lgkmcnt(0)
	v_lshrrev_b64 v[64:65], s84, v[64:65]
	v_and_b32_e32 v168, s68, v64
	s_or_b64 exec, exec, s[92:93]
	s_and_saveexec_b64 s[92:93], s[58:59]
	s_cbranch_execnz .LBB810_857
.LBB810_826:                            ;   in Loop: Header=BB810_688 Depth=2
	s_or_b64 exec, exec, s[92:93]
	s_and_saveexec_b64 s[92:93], s[60:61]
	s_cbranch_execz .LBB810_858
.LBB810_827:                            ;   in Loop: Header=BB810_688 Depth=2
	ds_read_b64 v[64:65], v104 offset:24576
	s_waitcnt lgkmcnt(0)
	v_lshrrev_b64 v[64:65], s84, v[64:65]
	v_and_b32_e32 v166, s68, v64
	s_or_b64 exec, exec, s[92:93]
	s_and_saveexec_b64 s[92:93], s[62:63]
	s_cbranch_execnz .LBB810_859
.LBB810_828:                            ;   in Loop: Header=BB810_688 Depth=2
	s_or_b64 exec, exec, s[92:93]
	s_and_saveexec_b64 s[92:93], s[64:65]
	s_cbranch_execz .LBB810_860
.LBB810_829:                            ;   in Loop: Header=BB810_688 Depth=2
	ds_read_b64 v[64:65], v104 offset:28672
	s_waitcnt lgkmcnt(0)
	v_lshrrev_b64 v[64:65], s84, v[64:65]
	v_and_b32_e32 v164, s68, v64
	s_or_b64 exec, exec, s[92:93]
	s_and_saveexec_b64 s[92:93], s[66:67]
	s_cbranch_execnz .LBB810_861
	s_branch .LBB810_862
.LBB810_830:                            ;   in Loop: Header=BB810_688 Depth=2
	s_or_b64 exec, exec, s[92:93]
	v_cmp_lt_u32_e32 vcc, v143, v182
	s_and_saveexec_b64 s[92:93], vcc
	s_cbranch_execz .LBB810_800
.LBB810_831:                            ;   in Loop: Header=BB810_688 Depth=2
	global_load_dwordx2 v[60:61], v[64:65], off offset:512
	s_or_b64 exec, exec, s[92:93]
	v_cmp_lt_u32_e32 vcc, v144, v182
	s_and_saveexec_b64 s[92:93], vcc
	s_cbranch_execnz .LBB810_801
.LBB810_832:                            ;   in Loop: Header=BB810_688 Depth=2
	s_or_b64 exec, exec, s[92:93]
	v_cmp_lt_u32_e32 vcc, v145, v182
	s_and_saveexec_b64 s[92:93], vcc
	s_cbranch_execz .LBB810_802
.LBB810_833:                            ;   in Loop: Header=BB810_688 Depth=2
	global_load_dwordx2 v[54:55], v[64:65], off offset:1536
	s_or_b64 exec, exec, s[92:93]
	v_cmp_lt_u32_e32 vcc, v146, v182
	s_and_saveexec_b64 s[92:93], vcc
	s_cbranch_execnz .LBB810_803
.LBB810_834:                            ;   in Loop: Header=BB810_688 Depth=2
	s_or_b64 exec, exec, s[92:93]
	v_cmp_lt_u32_e32 vcc, v147, v182
	s_and_saveexec_b64 s[92:93], vcc
	s_cbranch_execz .LBB810_804
.LBB810_835:                            ;   in Loop: Header=BB810_688 Depth=2
	global_load_dwordx2 v[46:47], v[64:65], off offset:2560
	s_or_b64 exec, exec, s[92:93]
	v_cmp_lt_u32_e32 vcc, v148, v182
	s_and_saveexec_b64 s[92:93], vcc
	s_cbranch_execnz .LBB810_805
.LBB810_836:                            ;   in Loop: Header=BB810_688 Depth=2
	s_or_b64 exec, exec, s[92:93]
	v_cmp_lt_u32_e32 vcc, v149, v182
	s_and_saveexec_b64 s[92:93], vcc
	s_cbranch_execz .LBB810_806
.LBB810_837:                            ;   in Loop: Header=BB810_688 Depth=2
	global_load_dwordx2 v[38:39], v[64:65], off offset:3584
	s_or_b64 exec, exec, s[92:93]
	v_cmp_lt_u32_e32 vcc, v150, v182
	s_and_saveexec_b64 s[92:93], vcc
	s_cbranch_execnz .LBB810_807
.LBB810_838:                            ;   in Loop: Header=BB810_688 Depth=2
	s_or_b64 exec, exec, s[92:93]
	v_cmp_lt_u32_e32 vcc, v151, v182
	s_and_saveexec_b64 s[92:93], vcc
	s_cbranch_execz .LBB810_808
.LBB810_839:                            ;   in Loop: Header=BB810_688 Depth=2
	v_add_co_u32_e32 v52, vcc, 0x1000, v64
	v_addc_co_u32_e32 v53, vcc, 0, v65, vcc
	global_load_dwordx2 v[52:53], v[52:53], off offset:512
	s_or_b64 exec, exec, s[92:93]
	v_cmp_lt_u32_e32 vcc, v152, v182
	s_and_saveexec_b64 s[92:93], vcc
	s_cbranch_execnz .LBB810_809
.LBB810_840:                            ;   in Loop: Header=BB810_688 Depth=2
	s_or_b64 exec, exec, s[92:93]
	v_cmp_lt_u32_e32 vcc, v153, v182
	s_and_saveexec_b64 s[92:93], vcc
	s_cbranch_execz .LBB810_810
.LBB810_841:                            ;   in Loop: Header=BB810_688 Depth=2
	v_add_co_u32_e32 v44, vcc, 0x1000, v64
	v_addc_co_u32_e32 v45, vcc, 0, v65, vcc
	global_load_dwordx2 v[44:45], v[44:45], off offset:1536
	s_or_b64 exec, exec, s[92:93]
	v_cmp_lt_u32_e32 vcc, v154, v182
	s_and_saveexec_b64 s[92:93], vcc
	s_cbranch_execnz .LBB810_811
.LBB810_842:                            ;   in Loop: Header=BB810_688 Depth=2
	s_or_b64 exec, exec, s[92:93]
	v_cmp_lt_u32_e32 vcc, v155, v182
	s_and_saveexec_b64 s[92:93], vcc
	s_cbranch_execz .LBB810_812
.LBB810_843:                            ;   in Loop: Header=BB810_688 Depth=2
	v_add_co_u32_e32 v36, vcc, 0x1000, v64
	v_addc_co_u32_e32 v37, vcc, 0, v65, vcc
	global_load_dwordx2 v[36:37], v[36:37], off offset:2560
	s_or_b64 exec, exec, s[92:93]
	v_cmp_lt_u32_e32 vcc, v156, v182
	s_and_saveexec_b64 s[92:93], vcc
	s_cbranch_execnz .LBB810_813
.LBB810_844:                            ;   in Loop: Header=BB810_688 Depth=2
	s_or_b64 exec, exec, s[92:93]
	v_cmp_lt_u32_e32 vcc, v157, v182
	s_and_saveexec_b64 s[92:93], vcc
	s_cbranch_execz .LBB810_814
.LBB810_845:                            ;   in Loop: Header=BB810_688 Depth=2
	v_add_co_u32_e32 v0, vcc, 0x1000, v64
	v_addc_co_u32_e32 v1, vcc, 0, v65, vcc
	global_load_dwordx2 v[0:1], v[0:1], off offset:3584
	s_or_b64 exec, exec, s[92:93]
	s_and_saveexec_b64 s[92:93], s[36:37]
	s_cbranch_execnz .LBB810_815
.LBB810_846:                            ;   in Loop: Header=BB810_688 Depth=2
	s_or_b64 exec, exec, s[92:93]
	s_and_saveexec_b64 s[92:93], s[38:39]
	s_cbranch_execz .LBB810_816
.LBB810_847:                            ;   in Loop: Header=BB810_688 Depth=2
	ds_read_b64 v[64:65], v104 offset:2048
	s_waitcnt lgkmcnt(0)
	v_lshrrev_b64 v[64:65], s84, v[64:65]
	v_and_b32_e32 v178, s68, v64
	s_or_b64 exec, exec, s[92:93]
	s_and_saveexec_b64 s[92:93], s[40:41]
	s_cbranch_execnz .LBB810_817
.LBB810_848:                            ;   in Loop: Header=BB810_688 Depth=2
	s_or_b64 exec, exec, s[92:93]
	s_and_saveexec_b64 s[92:93], s[42:43]
	s_cbranch_execz .LBB810_818
.LBB810_849:                            ;   in Loop: Header=BB810_688 Depth=2
	ds_read_b64 v[64:65], v104 offset:6144
	s_waitcnt lgkmcnt(0)
	v_lshrrev_b64 v[64:65], s84, v[64:65]
	v_and_b32_e32 v175, s68, v64
	s_or_b64 exec, exec, s[92:93]
	s_and_saveexec_b64 s[92:93], s[44:45]
	s_cbranch_execnz .LBB810_819
.LBB810_850:                            ;   in Loop: Header=BB810_688 Depth=2
	s_or_b64 exec, exec, s[92:93]
	s_and_saveexec_b64 s[92:93], s[46:47]
	s_cbranch_execz .LBB810_820
.LBB810_851:                            ;   in Loop: Header=BB810_688 Depth=2
	ds_read_b64 v[64:65], v104 offset:10240
	s_waitcnt lgkmcnt(0)
	v_lshrrev_b64 v[64:65], s84, v[64:65]
	v_and_b32_e32 v173, s68, v64
	s_or_b64 exec, exec, s[92:93]
	s_and_saveexec_b64 s[92:93], s[48:49]
	s_cbranch_execnz .LBB810_821
.LBB810_852:                            ;   in Loop: Header=BB810_688 Depth=2
	s_or_b64 exec, exec, s[92:93]
	s_and_saveexec_b64 s[92:93], s[50:51]
	s_cbranch_execz .LBB810_822
.LBB810_853:                            ;   in Loop: Header=BB810_688 Depth=2
	ds_read_b64 v[64:65], v104 offset:14336
	s_waitcnt lgkmcnt(0)
	v_lshrrev_b64 v[64:65], s84, v[64:65]
	v_and_b32_e32 v171, s68, v64
	s_or_b64 exec, exec, s[92:93]
	s_and_saveexec_b64 s[92:93], s[52:53]
	s_cbranch_execnz .LBB810_823
.LBB810_854:                            ;   in Loop: Header=BB810_688 Depth=2
	s_or_b64 exec, exec, s[92:93]
	s_and_saveexec_b64 s[92:93], s[54:55]
	s_cbranch_execz .LBB810_824
.LBB810_855:                            ;   in Loop: Header=BB810_688 Depth=2
	ds_read_b64 v[64:65], v104 offset:18432
	s_waitcnt lgkmcnt(0)
	v_lshrrev_b64 v[64:65], s84, v[64:65]
	v_and_b32_e32 v169, s68, v64
	s_or_b64 exec, exec, s[92:93]
	s_and_saveexec_b64 s[92:93], s[56:57]
	s_cbranch_execnz .LBB810_825
.LBB810_856:                            ;   in Loop: Header=BB810_688 Depth=2
	s_or_b64 exec, exec, s[92:93]
	s_and_saveexec_b64 s[92:93], s[58:59]
	s_cbranch_execz .LBB810_826
.LBB810_857:                            ;   in Loop: Header=BB810_688 Depth=2
	ds_read_b64 v[64:65], v104 offset:22528
	s_waitcnt lgkmcnt(0)
	v_lshrrev_b64 v[64:65], s84, v[64:65]
	v_and_b32_e32 v167, s68, v64
	s_or_b64 exec, exec, s[92:93]
	s_and_saveexec_b64 s[92:93], s[60:61]
	s_cbranch_execnz .LBB810_827
.LBB810_858:                            ;   in Loop: Header=BB810_688 Depth=2
	s_or_b64 exec, exec, s[92:93]
	s_and_saveexec_b64 s[92:93], s[62:63]
	s_cbranch_execz .LBB810_828
.LBB810_859:                            ;   in Loop: Header=BB810_688 Depth=2
	ds_read_b64 v[64:65], v104 offset:26624
	s_waitcnt lgkmcnt(0)
	v_lshrrev_b64 v[64:65], s84, v[64:65]
	v_and_b32_e32 v165, s68, v64
	s_or_b64 exec, exec, s[92:93]
	s_and_saveexec_b64 s[92:93], s[64:65]
	s_cbranch_execnz .LBB810_829
.LBB810_860:                            ;   in Loop: Header=BB810_688 Depth=2
	s_or_b64 exec, exec, s[92:93]
	s_and_saveexec_b64 s[92:93], s[66:67]
	s_cbranch_execz .LBB810_862
.LBB810_861:                            ;   in Loop: Header=BB810_688 Depth=2
	ds_read_b64 v[64:65], v104 offset:30720
	s_waitcnt lgkmcnt(0)
	v_lshrrev_b64 v[64:65], s84, v[64:65]
	v_and_b32_e32 v163, s68, v64
.LBB810_862:                            ;   in Loop: Header=BB810_688 Depth=2
	s_or_b64 exec, exec, s[92:93]
	v_add_u32_e32 v64, 0x400, v96
	v_add_u32_e32 v65, 0x400, v97
	v_add_u32_e32 v66, 0x400, v66
	v_add_u32_e32 v67, 0x400, v67
	v_add_u32_e32 v68, 0x400, v68
	v_add_u32_e32 v69, 0x400, v69
	v_add_u32_e32 v70, 0x400, v70
	v_add_u32_e32 v71, 0x400, v71
	v_add_u32_e32 v72, 0x400, v72
	v_add_u32_e32 v73, 0x400, v73
	v_add_u32_e32 v74, 0x400, v74
	v_add_u32_e32 v75, 0x400, v75
	v_add_u32_e32 v76, 0x400, v76
	v_add_u32_e32 v77, 0x400, v77
	v_add_u32_e32 v78, 0x400, v78
	v_add_u32_e32 v79, 0x400, v79
	s_barrier
	s_waitcnt vmcnt(0)
	ds_write_b64 v64, v[62:63]
	ds_write_b64 v65, v[60:61]
	;; [unrolled: 1-line block ×16, first 2 shown]
	s_waitcnt lgkmcnt(0)
	s_barrier
	s_and_saveexec_b64 s[92:93], s[36:37]
	s_cbranch_execz .LBB810_878
; %bb.863:                              ;   in Loop: Header=BB810_688 Depth=2
	v_lshlrev_b32_e32 v64, 2, v180
	ds_read_b32 v66, v64
	v_add_u32_e32 v64, v33, v3
	ds_read_b64 v[64:65], v64 offset:1024
	v_mov_b32_e32 v67, v4
	v_mov_b32_e32 v68, s81
	s_waitcnt lgkmcnt(1)
	v_add_u32_e32 v66, v66, v2
	v_lshlrev_b64 v[66:67], 3, v[66:67]
	v_add_co_u32_e32 v66, vcc, s80, v66
	v_addc_co_u32_e32 v67, vcc, v68, v67, vcc
	s_waitcnt lgkmcnt(0)
	global_store_dwordx2 v[66:67], v[64:65], off
	s_or_b64 exec, exec, s[92:93]
	s_and_saveexec_b64 s[36:37], s[38:39]
	s_cbranch_execnz .LBB810_879
.LBB810_864:                            ;   in Loop: Header=BB810_688 Depth=2
	s_or_b64 exec, exec, s[36:37]
	s_and_saveexec_b64 s[36:37], s[40:41]
	s_cbranch_execz .LBB810_880
.LBB810_865:                            ;   in Loop: Header=BB810_688 Depth=2
	v_lshlrev_b32_e32 v64, 2, v177
	ds_read_b32 v66, v64
	ds_read_b64 v[64:65], v104 offset:4096
	v_mov_b32_e32 v67, v4
	v_mov_b32_e32 v68, s81
	s_waitcnt lgkmcnt(1)
	v_add_u32_e32 v66, v66, v6
	v_lshlrev_b64 v[66:67], 3, v[66:67]
	v_add_co_u32_e32 v66, vcc, s80, v66
	v_addc_co_u32_e32 v67, vcc, v68, v67, vcc
	s_waitcnt lgkmcnt(0)
	global_store_dwordx2 v[66:67], v[64:65], off
	s_or_b64 exec, exec, s[36:37]
	s_and_saveexec_b64 s[36:37], s[42:43]
	s_cbranch_execnz .LBB810_881
.LBB810_866:                            ;   in Loop: Header=BB810_688 Depth=2
	s_or_b64 exec, exec, s[36:37]
	s_and_saveexec_b64 s[36:37], s[44:45]
	s_cbranch_execz .LBB810_882
.LBB810_867:                            ;   in Loop: Header=BB810_688 Depth=2
	v_lshlrev_b32_e32 v64, 2, v174
	ds_read_b32 v66, v64
	ds_read_b64 v[64:65], v104 offset:8192
	v_mov_b32_e32 v67, v4
	v_mov_b32_e32 v68, s81
	s_waitcnt lgkmcnt(1)
	v_add_u32_e32 v66, v66, v10
	v_lshlrev_b64 v[66:67], 3, v[66:67]
	v_add_co_u32_e32 v66, vcc, s80, v66
	v_addc_co_u32_e32 v67, vcc, v68, v67, vcc
	s_waitcnt lgkmcnt(0)
	global_store_dwordx2 v[66:67], v[64:65], off
	s_or_b64 exec, exec, s[36:37]
	s_and_saveexec_b64 s[36:37], s[46:47]
	s_cbranch_execnz .LBB810_883
.LBB810_868:                            ;   in Loop: Header=BB810_688 Depth=2
	s_or_b64 exec, exec, s[36:37]
	s_and_saveexec_b64 s[36:37], s[48:49]
	s_cbranch_execz .LBB810_884
.LBB810_869:                            ;   in Loop: Header=BB810_688 Depth=2
	v_lshlrev_b32_e32 v64, 2, v172
	ds_read_b32 v66, v64
	ds_read_b64 v[64:65], v104 offset:12288
	v_mov_b32_e32 v67, v4
	v_mov_b32_e32 v68, s81
	s_waitcnt lgkmcnt(1)
	v_add_u32_e32 v66, v66, v14
	v_lshlrev_b64 v[66:67], 3, v[66:67]
	v_add_co_u32_e32 v66, vcc, s80, v66
	v_addc_co_u32_e32 v67, vcc, v68, v67, vcc
	s_waitcnt lgkmcnt(0)
	global_store_dwordx2 v[66:67], v[64:65], off
	s_or_b64 exec, exec, s[36:37]
	s_and_saveexec_b64 s[36:37], s[50:51]
	s_cbranch_execnz .LBB810_885
.LBB810_870:                            ;   in Loop: Header=BB810_688 Depth=2
	s_or_b64 exec, exec, s[36:37]
	s_and_saveexec_b64 s[36:37], s[52:53]
	s_cbranch_execz .LBB810_886
.LBB810_871:                            ;   in Loop: Header=BB810_688 Depth=2
	v_lshlrev_b32_e32 v64, 2, v170
	ds_read_b32 v66, v64
	ds_read_b64 v[64:65], v104 offset:16384
	v_mov_b32_e32 v67, v4
	v_mov_b32_e32 v68, s81
	s_waitcnt lgkmcnt(1)
	v_add_u32_e32 v66, v66, v18
	v_lshlrev_b64 v[66:67], 3, v[66:67]
	v_add_co_u32_e32 v66, vcc, s80, v66
	v_addc_co_u32_e32 v67, vcc, v68, v67, vcc
	s_waitcnt lgkmcnt(0)
	global_store_dwordx2 v[66:67], v[64:65], off
	s_or_b64 exec, exec, s[36:37]
	s_and_saveexec_b64 s[36:37], s[54:55]
	s_cbranch_execnz .LBB810_887
.LBB810_872:                            ;   in Loop: Header=BB810_688 Depth=2
	s_or_b64 exec, exec, s[36:37]
	s_and_saveexec_b64 s[36:37], s[56:57]
	s_cbranch_execz .LBB810_888
.LBB810_873:                            ;   in Loop: Header=BB810_688 Depth=2
	v_lshlrev_b32_e32 v64, 2, v168
	ds_read_b32 v66, v64
	ds_read_b64 v[64:65], v104 offset:20480
	v_mov_b32_e32 v67, v4
	v_mov_b32_e32 v68, s81
	s_waitcnt lgkmcnt(1)
	v_add_u32_e32 v66, v66, v22
	v_lshlrev_b64 v[66:67], 3, v[66:67]
	v_add_co_u32_e32 v66, vcc, s80, v66
	v_addc_co_u32_e32 v67, vcc, v68, v67, vcc
	s_waitcnt lgkmcnt(0)
	global_store_dwordx2 v[66:67], v[64:65], off
	s_or_b64 exec, exec, s[36:37]
	s_and_saveexec_b64 s[36:37], s[58:59]
	s_cbranch_execnz .LBB810_889
.LBB810_874:                            ;   in Loop: Header=BB810_688 Depth=2
	s_or_b64 exec, exec, s[36:37]
	s_and_saveexec_b64 s[36:37], s[60:61]
	s_cbranch_execz .LBB810_890
.LBB810_875:                            ;   in Loop: Header=BB810_688 Depth=2
	v_lshlrev_b32_e32 v64, 2, v166
	ds_read_b32 v66, v64
	ds_read_b64 v[64:65], v104 offset:24576
	v_mov_b32_e32 v67, v4
	v_mov_b32_e32 v68, s81
	s_waitcnt lgkmcnt(1)
	v_add_u32_e32 v66, v66, v26
	v_lshlrev_b64 v[66:67], 3, v[66:67]
	v_add_co_u32_e32 v66, vcc, s80, v66
	v_addc_co_u32_e32 v67, vcc, v68, v67, vcc
	s_waitcnt lgkmcnt(0)
	global_store_dwordx2 v[66:67], v[64:65], off
	s_or_b64 exec, exec, s[36:37]
	s_and_saveexec_b64 s[36:37], s[62:63]
	s_cbranch_execnz .LBB810_891
.LBB810_876:                            ;   in Loop: Header=BB810_688 Depth=2
	s_or_b64 exec, exec, s[36:37]
	s_and_saveexec_b64 s[36:37], s[64:65]
	s_cbranch_execz .LBB810_892
.LBB810_877:                            ;   in Loop: Header=BB810_688 Depth=2
	v_lshlrev_b32_e32 v64, 2, v164
	ds_read_b32 v66, v64
	ds_read_b64 v[64:65], v104 offset:28672
	v_mov_b32_e32 v67, v4
	v_mov_b32_e32 v68, s81
	s_waitcnt lgkmcnt(1)
	v_add_u32_e32 v66, v66, v30
	v_lshlrev_b64 v[66:67], 3, v[66:67]
	v_add_co_u32_e32 v66, vcc, s80, v66
	v_addc_co_u32_e32 v67, vcc, v68, v67, vcc
	s_waitcnt lgkmcnt(0)
	global_store_dwordx2 v[66:67], v[64:65], off
	s_or_b64 exec, exec, s[36:37]
	s_and_saveexec_b64 s[36:37], s[66:67]
	s_cbranch_execnz .LBB810_893
	s_branch .LBB810_894
.LBB810_878:                            ;   in Loop: Header=BB810_688 Depth=2
	s_or_b64 exec, exec, s[92:93]
	s_and_saveexec_b64 s[36:37], s[38:39]
	s_cbranch_execz .LBB810_864
.LBB810_879:                            ;   in Loop: Header=BB810_688 Depth=2
	v_lshlrev_b32_e32 v64, 2, v178
	ds_read_b32 v66, v64
	ds_read_b64 v[64:65], v104 offset:2048
	v_mov_b32_e32 v67, v4
	v_mov_b32_e32 v68, s81
	s_waitcnt lgkmcnt(1)
	v_add_u32_e32 v66, v66, v7
	v_lshlrev_b64 v[66:67], 3, v[66:67]
	v_add_co_u32_e32 v66, vcc, s80, v66
	v_addc_co_u32_e32 v67, vcc, v68, v67, vcc
	s_waitcnt lgkmcnt(0)
	global_store_dwordx2 v[66:67], v[64:65], off
	s_or_b64 exec, exec, s[36:37]
	s_and_saveexec_b64 s[36:37], s[40:41]
	s_cbranch_execnz .LBB810_865
.LBB810_880:                            ;   in Loop: Header=BB810_688 Depth=2
	s_or_b64 exec, exec, s[36:37]
	s_and_saveexec_b64 s[36:37], s[42:43]
	s_cbranch_execz .LBB810_866
.LBB810_881:                            ;   in Loop: Header=BB810_688 Depth=2
	v_lshlrev_b32_e32 v64, 2, v175
	ds_read_b32 v66, v64
	ds_read_b64 v[64:65], v104 offset:6144
	v_mov_b32_e32 v67, v4
	v_mov_b32_e32 v68, s81
	s_waitcnt lgkmcnt(1)
	v_add_u32_e32 v66, v66, v8
	v_lshlrev_b64 v[66:67], 3, v[66:67]
	v_add_co_u32_e32 v66, vcc, s80, v66
	v_addc_co_u32_e32 v67, vcc, v68, v67, vcc
	s_waitcnt lgkmcnt(0)
	global_store_dwordx2 v[66:67], v[64:65], off
	s_or_b64 exec, exec, s[36:37]
	s_and_saveexec_b64 s[36:37], s[44:45]
	s_cbranch_execnz .LBB810_867
.LBB810_882:                            ;   in Loop: Header=BB810_688 Depth=2
	s_or_b64 exec, exec, s[36:37]
	s_and_saveexec_b64 s[36:37], s[46:47]
	s_cbranch_execz .LBB810_868
.LBB810_883:                            ;   in Loop: Header=BB810_688 Depth=2
	v_lshlrev_b32_e32 v64, 2, v173
	ds_read_b32 v66, v64
	ds_read_b64 v[64:65], v104 offset:10240
	v_mov_b32_e32 v67, v4
	v_mov_b32_e32 v68, s81
	s_waitcnt lgkmcnt(1)
	v_add_u32_e32 v66, v66, v12
	v_lshlrev_b64 v[66:67], 3, v[66:67]
	v_add_co_u32_e32 v66, vcc, s80, v66
	v_addc_co_u32_e32 v67, vcc, v68, v67, vcc
	s_waitcnt lgkmcnt(0)
	global_store_dwordx2 v[66:67], v[64:65], off
	s_or_b64 exec, exec, s[36:37]
	s_and_saveexec_b64 s[36:37], s[48:49]
	s_cbranch_execnz .LBB810_869
.LBB810_884:                            ;   in Loop: Header=BB810_688 Depth=2
	s_or_b64 exec, exec, s[36:37]
	s_and_saveexec_b64 s[36:37], s[50:51]
	s_cbranch_execz .LBB810_870
.LBB810_885:                            ;   in Loop: Header=BB810_688 Depth=2
	v_lshlrev_b32_e32 v64, 2, v171
	ds_read_b32 v66, v64
	ds_read_b64 v[64:65], v104 offset:14336
	v_mov_b32_e32 v67, v4
	v_mov_b32_e32 v68, s81
	s_waitcnt lgkmcnt(1)
	v_add_u32_e32 v66, v66, v16
	v_lshlrev_b64 v[66:67], 3, v[66:67]
	v_add_co_u32_e32 v66, vcc, s80, v66
	v_addc_co_u32_e32 v67, vcc, v68, v67, vcc
	s_waitcnt lgkmcnt(0)
	global_store_dwordx2 v[66:67], v[64:65], off
	s_or_b64 exec, exec, s[36:37]
	s_and_saveexec_b64 s[36:37], s[52:53]
	s_cbranch_execnz .LBB810_871
.LBB810_886:                            ;   in Loop: Header=BB810_688 Depth=2
	s_or_b64 exec, exec, s[36:37]
	s_and_saveexec_b64 s[36:37], s[54:55]
	s_cbranch_execz .LBB810_872
.LBB810_887:                            ;   in Loop: Header=BB810_688 Depth=2
	v_lshlrev_b32_e32 v64, 2, v169
	ds_read_b32 v66, v64
	ds_read_b64 v[64:65], v104 offset:18432
	v_mov_b32_e32 v67, v4
	v_mov_b32_e32 v68, s81
	s_waitcnt lgkmcnt(1)
	v_add_u32_e32 v66, v66, v20
	v_lshlrev_b64 v[66:67], 3, v[66:67]
	v_add_co_u32_e32 v66, vcc, s80, v66
	v_addc_co_u32_e32 v67, vcc, v68, v67, vcc
	s_waitcnt lgkmcnt(0)
	global_store_dwordx2 v[66:67], v[64:65], off
	s_or_b64 exec, exec, s[36:37]
	s_and_saveexec_b64 s[36:37], s[56:57]
	s_cbranch_execnz .LBB810_873
.LBB810_888:                            ;   in Loop: Header=BB810_688 Depth=2
	s_or_b64 exec, exec, s[36:37]
	s_and_saveexec_b64 s[36:37], s[58:59]
	s_cbranch_execz .LBB810_874
.LBB810_889:                            ;   in Loop: Header=BB810_688 Depth=2
	v_lshlrev_b32_e32 v64, 2, v167
	ds_read_b32 v66, v64
	ds_read_b64 v[64:65], v104 offset:22528
	v_mov_b32_e32 v67, v4
	v_mov_b32_e32 v68, s81
	s_waitcnt lgkmcnt(1)
	v_add_u32_e32 v66, v66, v24
	v_lshlrev_b64 v[66:67], 3, v[66:67]
	v_add_co_u32_e32 v66, vcc, s80, v66
	v_addc_co_u32_e32 v67, vcc, v68, v67, vcc
	s_waitcnt lgkmcnt(0)
	global_store_dwordx2 v[66:67], v[64:65], off
	s_or_b64 exec, exec, s[36:37]
	s_and_saveexec_b64 s[36:37], s[60:61]
	s_cbranch_execnz .LBB810_875
.LBB810_890:                            ;   in Loop: Header=BB810_688 Depth=2
	s_or_b64 exec, exec, s[36:37]
	s_and_saveexec_b64 s[36:37], s[62:63]
	s_cbranch_execz .LBB810_876
.LBB810_891:                            ;   in Loop: Header=BB810_688 Depth=2
	v_lshlrev_b32_e32 v64, 2, v165
	ds_read_b32 v66, v64
	ds_read_b64 v[64:65], v104 offset:26624
	v_mov_b32_e32 v67, v4
	v_mov_b32_e32 v68, s81
	s_waitcnt lgkmcnt(1)
	v_add_u32_e32 v66, v66, v28
	v_lshlrev_b64 v[66:67], 3, v[66:67]
	v_add_co_u32_e32 v66, vcc, s80, v66
	v_addc_co_u32_e32 v67, vcc, v68, v67, vcc
	s_waitcnt lgkmcnt(0)
	global_store_dwordx2 v[66:67], v[64:65], off
	s_or_b64 exec, exec, s[36:37]
	s_and_saveexec_b64 s[36:37], s[64:65]
	s_cbranch_execnz .LBB810_877
.LBB810_892:                            ;   in Loop: Header=BB810_688 Depth=2
	s_or_b64 exec, exec, s[36:37]
	s_and_saveexec_b64 s[36:37], s[66:67]
	s_cbranch_execz .LBB810_894
.LBB810_893:                            ;   in Loop: Header=BB810_688 Depth=2
	v_lshlrev_b32_e32 v64, 2, v163
	ds_read_b32 v66, v64
	ds_read_b64 v[64:65], v104 offset:30720
	v_mov_b32_e32 v67, v4
	v_mov_b32_e32 v68, s81
	s_waitcnt lgkmcnt(1)
	v_add_u32_e32 v66, v66, v32
	v_lshlrev_b64 v[66:67], 3, v[66:67]
	v_add_co_u32_e32 v66, vcc, s80, v66
	v_addc_co_u32_e32 v67, vcc, v68, v67, vcc
	s_waitcnt lgkmcnt(0)
	global_store_dwordx2 v[66:67], v[64:65], off
.LBB810_894:                            ;   in Loop: Header=BB810_688 Depth=2
	s_or_b64 exec, exec, s[36:37]
	s_barrier
	s_and_saveexec_b64 s[36:37], s[4:5]
	s_cbranch_execz .LBB810_687
; %bb.895:                              ;   in Loop: Header=BB810_688 Depth=2
	ds_read_b32 v64, v3
	s_waitcnt lgkmcnt(0)
	v_add_u32_e32 v5, v64, v5
	ds_write_b32 v3, v5
	s_branch .LBB810_687
.LBB810_896:                            ;   in Loop: Header=BB810_12 Depth=1
	s_waitcnt lgkmcnt(0)
	s_barrier
	s_mov_b64 s[16:17], 0
	v_readlane_b32 s50, v235, 2
.LBB810_897:                            ;   in Loop: Header=BB810_12 Depth=1
	s_and_b64 vcc, exec, s[16:17]
	s_cbranch_vccz .LBB810_11
; %bb.898:                              ;   in Loop: Header=BB810_12 Depth=1
	s_mov_b32 s22, s85
	s_mov_b32 s88, s50
	s_barrier
	s_waitcnt lgkmcnt(0)
                                        ; implicit-def: $vgpr62_vgpr63
                                        ; implicit-def: $vgpr0_vgpr1
                                        ; implicit-def: $vgpr34_vgpr35
                                        ; implicit-def: $vgpr36_vgpr37
                                        ; implicit-def: $vgpr38_vgpr39
                                        ; implicit-def: $vgpr40_vgpr41
                                        ; implicit-def: $vgpr42_vgpr43
                                        ; implicit-def: $vgpr44_vgpr45
                                        ; implicit-def: $vgpr46_vgpr47
                                        ; implicit-def: $vgpr48_vgpr49
                                        ; implicit-def: $vgpr50_vgpr51
                                        ; implicit-def: $vgpr52_vgpr53
                                        ; implicit-def: $vgpr54_vgpr55
                                        ; implicit-def: $vgpr56_vgpr57
                                        ; implicit-def: $vgpr58_vgpr59
                                        ; implicit-def: $vgpr60_vgpr61
	s_branch .LBB810_900
.LBB810_899:                            ;   in Loop: Header=BB810_900 Depth=2
	s_or_b64 exec, exec, s[16:17]
	s_addk_i32 s22, 0xf000
	s_cmp_ge_u32 s23, s94
	s_mov_b32 s88, s23
	s_cbranch_scc1 .LBB810_970
.LBB810_900:                            ;   Parent Loop BB810_12 Depth=1
                                        ; =>  This Inner Loop Header: Depth=2
	s_add_i32 s23, s88, 0x1000
	s_cmp_gt_u32 s23, s94
	s_cbranch_scc1 .LBB810_903
; %bb.901:                              ;   in Loop: Header=BB810_900 Depth=2
	s_lshl_b64 s[16:17], s[88:89], 3
	v_mov_b32_e32 v5, s17
	v_add_co_u32_e32 v64, vcc, s16, v111
	v_addc_co_u32_e32 v65, vcc, v112, v5, vcc
	s_waitcnt vmcnt(11)
	v_add_co_u32_e32 v72, vcc, 0x1000, v64
	v_addc_co_u32_e32 v73, vcc, 0, v65, vcc
	s_waitcnt vmcnt(5)
	v_add_co_u32_e32 v78, vcc, s95, v64
	v_addc_co_u32_e32 v79, vcc, 0, v65, vcc
	s_waitcnt vmcnt(1)
	v_add_co_u32_e32 v82, vcc, s96, v64
	v_addc_co_u32_e32 v83, vcc, 0, v65, vcc
	v_add_co_u32_e32 v86, vcc, s97, v64
	v_addc_co_u32_e32 v87, vcc, 0, v65, vcc
	;; [unrolled: 2-line block ×4, first 2 shown]
	global_load_dwordx2 v[66:67], v[64:65], off
	global_load_dwordx2 v[68:69], v[64:65], off offset:2048
	global_load_dwordx2 v[70:71], v[72:73], off
	s_nop 0
	global_load_dwordx2 v[72:73], v[72:73], off offset:2048
	s_nop 0
	global_load_dwordx2 v[74:75], v[82:83], off
	global_load_dwordx2 v[76:77], v[82:83], off offset:2048
	global_load_dwordx2 v[80:81], v[88:89], off offset:-4096
	global_load_dwordx2 v[84:85], v[88:89], off
	s_nop 0
	global_load_dwordx2 v[88:89], v[88:89], off offset:2048
	s_nop 0
	global_load_dwordx2 v[78:79], v[78:79], off offset:2048
	;; [unrolled: 2-line block ×3, first 2 shown]
	s_nop 0
	global_load_dwordx2 v[90:91], v[92:93], off
	s_nop 0
	global_load_dwordx2 v[92:93], v[92:93], off offset:2048
	s_waitcnt vmcnt(13)
	v_add_co_u32_e32 v94, vcc, 0x7000, v64
	v_addc_co_u32_e32 v95, vcc, 0, v65, vcc
	global_load_dwordx2 v[82:83], v[82:83], off offset:-4096
	s_nop 0
	global_load_dwordx2 v[94:95], v[94:95], off
	v_add_co_u32_e32 v64, vcc, 0x7800, v64
	s_movk_i32 s24, 0x1000
	v_addc_co_u32_e32 v65, vcc, 0, v65, vcc
	s_mov_b64 s[16:17], -1
	s_cbranch_execz .LBB810_904
; %bb.902:                              ;   in Loop: Header=BB810_900 Depth=2
                                        ; implicit-def: $vgpr60_vgpr61
                                        ; implicit-def: $vgpr58_vgpr59
                                        ; implicit-def: $vgpr56_vgpr57
                                        ; implicit-def: $vgpr54_vgpr55
                                        ; implicit-def: $vgpr52_vgpr53
                                        ; implicit-def: $vgpr50_vgpr51
                                        ; implicit-def: $vgpr48_vgpr49
                                        ; implicit-def: $vgpr46_vgpr47
                                        ; implicit-def: $vgpr44_vgpr45
                                        ; implicit-def: $vgpr42_vgpr43
                                        ; implicit-def: $vgpr40_vgpr41
                                        ; implicit-def: $vgpr38_vgpr39
                                        ; implicit-def: $vgpr36_vgpr37
                                        ; implicit-def: $vgpr34_vgpr35
                                        ; implicit-def: $vgpr0_vgpr1
                                        ; implicit-def: $vgpr62_vgpr63
	v_mov_b32_e32 v5, s22
	s_and_saveexec_b64 s[18:19], s[16:17]
	s_cbranch_execnz .LBB810_923
	s_branch .LBB810_924
.LBB810_903:                            ;   in Loop: Header=BB810_900 Depth=2
	s_mov_b64 s[16:17], 0
                                        ; implicit-def: $sgpr24
                                        ; implicit-def: $vgpr66_vgpr67
                                        ; implicit-def: $vgpr68_vgpr69
                                        ; implicit-def: $vgpr70_vgpr71
                                        ; implicit-def: $vgpr72_vgpr73
                                        ; implicit-def: $vgpr82_vgpr83
                                        ; implicit-def: $vgpr78_vgpr79
                                        ; implicit-def: $vgpr74_vgpr75
                                        ; implicit-def: $vgpr76_vgpr77
                                        ; implicit-def: $vgpr80_vgpr81
                                        ; implicit-def: $vgpr86_vgpr87
                                        ; implicit-def: $vgpr84_vgpr85
                                        ; implicit-def: $vgpr88_vgpr89
                                        ; implicit-def: $vgpr90_vgpr91
                                        ; implicit-def: $vgpr92_vgpr93
                                        ; implicit-def: $vgpr94_vgpr95
                                        ; implicit-def: $vgpr64_vgpr65
.LBB810_904:                            ;   in Loop: Header=BB810_900 Depth=2
	s_lshl_b64 s[18:19], s[88:89], 3
	s_add_u32 s18, s72, s18
	s_addc_u32 s19, s73, s19
	v_cmp_gt_u32_e32 vcc, s22, v2
	s_and_saveexec_b64 s[20:21], vcc
	s_cbranch_execz .LBB810_956
; %bb.905:                              ;   in Loop: Header=BB810_900 Depth=2
	global_load_dwordx2 v[60:61], v118, s[18:19]
	s_or_b64 exec, exec, s[20:21]
	v_cmp_gt_u32_e32 vcc, s22, v7
	s_and_saveexec_b64 s[20:21], vcc
	s_cbranch_execnz .LBB810_957
.LBB810_906:                            ;   in Loop: Header=BB810_900 Depth=2
	s_or_b64 exec, exec, s[20:21]
	v_cmp_gt_u32_e32 vcc, s22, v6
	s_and_saveexec_b64 s[20:21], vcc
	s_cbranch_execz .LBB810_958
.LBB810_907:                            ;   in Loop: Header=BB810_900 Depth=2
	global_load_dwordx2 v[56:57], v119, s[18:19]
	s_or_b64 exec, exec, s[20:21]
	v_cmp_gt_u32_e32 vcc, s22, v8
	s_and_saveexec_b64 s[20:21], vcc
	s_cbranch_execnz .LBB810_959
.LBB810_908:                            ;   in Loop: Header=BB810_900 Depth=2
	s_or_b64 exec, exec, s[20:21]
	v_cmp_gt_u32_e32 vcc, s22, v10
	s_and_saveexec_b64 s[20:21], vcc
	s_cbranch_execz .LBB810_960
.LBB810_909:                            ;   in Loop: Header=BB810_900 Depth=2
	global_load_dwordx2 v[52:53], v121, s[18:19]
	s_or_b64 exec, exec, s[20:21]
	v_cmp_gt_u32_e32 vcc, s22, v12
	s_and_saveexec_b64 s[20:21], vcc
	s_cbranch_execnz .LBB810_961
.LBB810_910:                            ;   in Loop: Header=BB810_900 Depth=2
	s_or_b64 exec, exec, s[20:21]
	v_cmp_gt_u32_e32 vcc, s22, v14
	s_and_saveexec_b64 s[20:21], vcc
	s_cbranch_execz .LBB810_962
.LBB810_911:                            ;   in Loop: Header=BB810_900 Depth=2
	global_load_dwordx2 v[48:49], v123, s[18:19]
	s_or_b64 exec, exec, s[20:21]
	v_cmp_gt_u32_e32 vcc, s22, v16
	s_and_saveexec_b64 s[20:21], vcc
	s_cbranch_execnz .LBB810_963
.LBB810_912:                            ;   in Loop: Header=BB810_900 Depth=2
	s_or_b64 exec, exec, s[20:21]
	v_cmp_gt_u32_e32 vcc, s22, v18
	s_and_saveexec_b64 s[20:21], vcc
	s_cbranch_execz .LBB810_964
.LBB810_913:                            ;   in Loop: Header=BB810_900 Depth=2
	global_load_dwordx2 v[44:45], v125, s[18:19]
	s_or_b64 exec, exec, s[20:21]
	v_cmp_gt_u32_e32 vcc, s22, v20
	s_and_saveexec_b64 s[20:21], vcc
	s_cbranch_execnz .LBB810_965
.LBB810_914:                            ;   in Loop: Header=BB810_900 Depth=2
	s_or_b64 exec, exec, s[20:21]
	v_cmp_gt_u32_e32 vcc, s22, v22
	s_and_saveexec_b64 s[20:21], vcc
	s_cbranch_execz .LBB810_966
.LBB810_915:                            ;   in Loop: Header=BB810_900 Depth=2
	global_load_dwordx2 v[40:41], v127, s[18:19]
	s_or_b64 exec, exec, s[20:21]
	v_cmp_gt_u32_e32 vcc, s22, v24
	s_and_saveexec_b64 s[20:21], vcc
	s_cbranch_execnz .LBB810_967
.LBB810_916:                            ;   in Loop: Header=BB810_900 Depth=2
	s_or_b64 exec, exec, s[20:21]
	v_cmp_gt_u32_e32 vcc, s22, v26
	s_and_saveexec_b64 s[20:21], vcc
	s_cbranch_execz .LBB810_968
.LBB810_917:                            ;   in Loop: Header=BB810_900 Depth=2
	global_load_dwordx2 v[36:37], v129, s[18:19]
	s_or_b64 exec, exec, s[20:21]
	v_cmp_gt_u32_e32 vcc, s22, v28
	s_and_saveexec_b64 s[20:21], vcc
	s_cbranch_execnz .LBB810_969
.LBB810_918:                            ;   in Loop: Header=BB810_900 Depth=2
	s_or_b64 exec, exec, s[20:21]
	v_cmp_gt_u32_e32 vcc, s22, v30
	s_and_saveexec_b64 s[20:21], vcc
	s_cbranch_execz .LBB810_920
.LBB810_919:                            ;   in Loop: Header=BB810_900 Depth=2
	global_load_dwordx2 v[0:1], v131, s[18:19]
.LBB810_920:                            ;   in Loop: Header=BB810_900 Depth=2
	s_or_b64 exec, exec, s[20:21]
	v_cmp_gt_u32_e32 vcc, s22, v32
                                        ; implicit-def: $sgpr24
                                        ; implicit-def: $vgpr64_vgpr65
	s_and_saveexec_b64 s[20:21], vcc
; %bb.921:                              ;   in Loop: Header=BB810_900 Depth=2
	v_mov_b32_e32 v5, s19
	v_add_co_u32_e32 v64, vcc, s18, v132
	s_sub_i32 s24, s94, s88
	v_addc_co_u32_e32 v65, vcc, 0, v5, vcc
	s_or_b64 s[16:17], s[16:17], exec
                                        ; implicit-def: $vgpr62_vgpr63
; %bb.922:                              ;   in Loop: Header=BB810_900 Depth=2
	s_or_b64 exec, exec, s[20:21]
	s_waitcnt vmcnt(0)
	v_pk_mov_b32 v[66:67], v[60:61], v[60:61] op_sel:[0,1]
	v_pk_mov_b32 v[68:69], v[58:59], v[58:59] op_sel:[0,1]
	;; [unrolled: 1-line block ×15, first 2 shown]
	v_mov_b32_e32 v5, s22
	s_and_saveexec_b64 s[18:19], s[16:17]
	s_cbranch_execz .LBB810_924
.LBB810_923:                            ;   in Loop: Header=BB810_900 Depth=2
	global_load_dwordx2 v[62:63], v[64:65], off
	v_mov_b32_e32 v5, s24
	s_waitcnt vmcnt(1)
	v_pk_mov_b32 v[0:1], v[94:95], v[94:95] op_sel:[0,1]
	v_pk_mov_b32 v[34:35], v[92:93], v[92:93] op_sel:[0,1]
	;; [unrolled: 1-line block ×15, first 2 shown]
.LBB810_924:                            ;   in Loop: Header=BB810_900 Depth=2
	s_or_b64 exec, exec, s[18:19]
	v_cmp_lt_u32_e32 vcc, v2, v5
	s_and_saveexec_b64 s[16:17], vcc
	s_cbranch_execz .LBB810_940
; %bb.925:                              ;   in Loop: Header=BB810_900 Depth=2
	v_xor_b32_e32 v65, 0x80000000, v61
	v_mov_b32_e32 v64, v60
	v_lshrrev_b64 v[64:65], s84, v[64:65]
	v_and_b32_e32 v64, s68, v64
	v_lshl_or_b32 v64, v64, 4, v133
	ds_add_u32 v64, v117
	s_or_b64 exec, exec, s[16:17]
	v_cmp_lt_u32_e32 vcc, v7, v5
	s_and_saveexec_b64 s[16:17], vcc
	s_cbranch_execnz .LBB810_941
.LBB810_926:                            ;   in Loop: Header=BB810_900 Depth=2
	s_or_b64 exec, exec, s[16:17]
	v_cmp_lt_u32_e32 vcc, v6, v5
	s_and_saveexec_b64 s[16:17], vcc
	s_cbranch_execz .LBB810_942
.LBB810_927:                            ;   in Loop: Header=BB810_900 Depth=2
	v_xor_b32_e32 v65, 0x80000000, v57
	v_mov_b32_e32 v64, v56
	v_lshrrev_b64 v[64:65], s84, v[64:65]
	v_and_b32_e32 v64, s68, v64
	v_lshl_or_b32 v64, v64, 4, v133
	ds_add_u32 v64, v117
	s_or_b64 exec, exec, s[16:17]
	v_cmp_lt_u32_e32 vcc, v8, v5
	s_and_saveexec_b64 s[16:17], vcc
	s_cbranch_execnz .LBB810_943
.LBB810_928:                            ;   in Loop: Header=BB810_900 Depth=2
	s_or_b64 exec, exec, s[16:17]
	v_cmp_lt_u32_e32 vcc, v10, v5
	s_and_saveexec_b64 s[16:17], vcc
	s_cbranch_execz .LBB810_944
.LBB810_929:                            ;   in Loop: Header=BB810_900 Depth=2
	v_xor_b32_e32 v65, 0x80000000, v53
	v_mov_b32_e32 v64, v52
	v_lshrrev_b64 v[64:65], s84, v[64:65]
	v_and_b32_e32 v64, s68, v64
	v_lshl_or_b32 v64, v64, 4, v133
	ds_add_u32 v64, v117
	s_or_b64 exec, exec, s[16:17]
	v_cmp_lt_u32_e32 vcc, v12, v5
	s_and_saveexec_b64 s[16:17], vcc
	s_cbranch_execnz .LBB810_945
.LBB810_930:                            ;   in Loop: Header=BB810_900 Depth=2
	s_or_b64 exec, exec, s[16:17]
	v_cmp_lt_u32_e32 vcc, v14, v5
	s_and_saveexec_b64 s[16:17], vcc
	s_cbranch_execz .LBB810_946
.LBB810_931:                            ;   in Loop: Header=BB810_900 Depth=2
	v_xor_b32_e32 v65, 0x80000000, v49
	v_mov_b32_e32 v64, v48
	v_lshrrev_b64 v[64:65], s84, v[64:65]
	v_and_b32_e32 v64, s68, v64
	v_lshl_or_b32 v64, v64, 4, v133
	ds_add_u32 v64, v117
	s_or_b64 exec, exec, s[16:17]
	v_cmp_lt_u32_e32 vcc, v16, v5
	s_and_saveexec_b64 s[16:17], vcc
	s_cbranch_execnz .LBB810_947
.LBB810_932:                            ;   in Loop: Header=BB810_900 Depth=2
	s_or_b64 exec, exec, s[16:17]
	v_cmp_lt_u32_e32 vcc, v18, v5
	s_and_saveexec_b64 s[16:17], vcc
	s_cbranch_execz .LBB810_948
.LBB810_933:                            ;   in Loop: Header=BB810_900 Depth=2
	v_xor_b32_e32 v65, 0x80000000, v45
	v_mov_b32_e32 v64, v44
	v_lshrrev_b64 v[64:65], s84, v[64:65]
	v_and_b32_e32 v64, s68, v64
	v_lshl_or_b32 v64, v64, 4, v133
	ds_add_u32 v64, v117
	s_or_b64 exec, exec, s[16:17]
	v_cmp_lt_u32_e32 vcc, v20, v5
	s_and_saveexec_b64 s[16:17], vcc
	s_cbranch_execnz .LBB810_949
.LBB810_934:                            ;   in Loop: Header=BB810_900 Depth=2
	s_or_b64 exec, exec, s[16:17]
	v_cmp_lt_u32_e32 vcc, v22, v5
	s_and_saveexec_b64 s[16:17], vcc
	s_cbranch_execz .LBB810_950
.LBB810_935:                            ;   in Loop: Header=BB810_900 Depth=2
	v_xor_b32_e32 v65, 0x80000000, v41
	v_mov_b32_e32 v64, v40
	v_lshrrev_b64 v[64:65], s84, v[64:65]
	v_and_b32_e32 v64, s68, v64
	v_lshl_or_b32 v64, v64, 4, v133
	ds_add_u32 v64, v117
	s_or_b64 exec, exec, s[16:17]
	v_cmp_lt_u32_e32 vcc, v24, v5
	s_and_saveexec_b64 s[16:17], vcc
	s_cbranch_execnz .LBB810_951
.LBB810_936:                            ;   in Loop: Header=BB810_900 Depth=2
	s_or_b64 exec, exec, s[16:17]
	v_cmp_lt_u32_e32 vcc, v26, v5
	s_and_saveexec_b64 s[16:17], vcc
	s_cbranch_execz .LBB810_952
.LBB810_937:                            ;   in Loop: Header=BB810_900 Depth=2
	v_xor_b32_e32 v65, 0x80000000, v37
	v_mov_b32_e32 v64, v36
	v_lshrrev_b64 v[64:65], s84, v[64:65]
	v_and_b32_e32 v64, s68, v64
	v_lshl_or_b32 v64, v64, 4, v133
	ds_add_u32 v64, v117
	s_or_b64 exec, exec, s[16:17]
	v_cmp_lt_u32_e32 vcc, v28, v5
	s_and_saveexec_b64 s[16:17], vcc
	s_cbranch_execnz .LBB810_953
.LBB810_938:                            ;   in Loop: Header=BB810_900 Depth=2
	s_or_b64 exec, exec, s[16:17]
	v_cmp_lt_u32_e32 vcc, v30, v5
	s_and_saveexec_b64 s[16:17], vcc
	s_cbranch_execz .LBB810_954
.LBB810_939:                            ;   in Loop: Header=BB810_900 Depth=2
	v_xor_b32_e32 v65, 0x80000000, v1
	v_mov_b32_e32 v64, v0
	v_lshrrev_b64 v[64:65], s84, v[64:65]
	v_and_b32_e32 v64, s68, v64
	v_lshl_or_b32 v64, v64, 4, v133
	ds_add_u32 v64, v117
	s_or_b64 exec, exec, s[16:17]
	v_cmp_lt_u32_e32 vcc, v32, v5
	s_and_saveexec_b64 s[16:17], vcc
	s_cbranch_execz .LBB810_899
	s_branch .LBB810_955
.LBB810_940:                            ;   in Loop: Header=BB810_900 Depth=2
	s_or_b64 exec, exec, s[16:17]
	v_cmp_lt_u32_e32 vcc, v7, v5
	s_and_saveexec_b64 s[16:17], vcc
	s_cbranch_execz .LBB810_926
.LBB810_941:                            ;   in Loop: Header=BB810_900 Depth=2
	v_xor_b32_e32 v65, 0x80000000, v59
	v_mov_b32_e32 v64, v58
	v_lshrrev_b64 v[64:65], s84, v[64:65]
	v_and_b32_e32 v64, s68, v64
	v_lshl_or_b32 v64, v64, 4, v133
	ds_add_u32 v64, v117
	s_or_b64 exec, exec, s[16:17]
	v_cmp_lt_u32_e32 vcc, v6, v5
	s_and_saveexec_b64 s[16:17], vcc
	s_cbranch_execnz .LBB810_927
.LBB810_942:                            ;   in Loop: Header=BB810_900 Depth=2
	s_or_b64 exec, exec, s[16:17]
	v_cmp_lt_u32_e32 vcc, v8, v5
	s_and_saveexec_b64 s[16:17], vcc
	s_cbranch_execz .LBB810_928
.LBB810_943:                            ;   in Loop: Header=BB810_900 Depth=2
	v_xor_b32_e32 v65, 0x80000000, v55
	v_mov_b32_e32 v64, v54
	v_lshrrev_b64 v[64:65], s84, v[64:65]
	v_and_b32_e32 v64, s68, v64
	v_lshl_or_b32 v64, v64, 4, v133
	ds_add_u32 v64, v117
	s_or_b64 exec, exec, s[16:17]
	v_cmp_lt_u32_e32 vcc, v10, v5
	s_and_saveexec_b64 s[16:17], vcc
	s_cbranch_execnz .LBB810_929
.LBB810_944:                            ;   in Loop: Header=BB810_900 Depth=2
	s_or_b64 exec, exec, s[16:17]
	v_cmp_lt_u32_e32 vcc, v12, v5
	s_and_saveexec_b64 s[16:17], vcc
	s_cbranch_execz .LBB810_930
.LBB810_945:                            ;   in Loop: Header=BB810_900 Depth=2
	v_xor_b32_e32 v65, 0x80000000, v51
	v_mov_b32_e32 v64, v50
	v_lshrrev_b64 v[64:65], s84, v[64:65]
	v_and_b32_e32 v64, s68, v64
	v_lshl_or_b32 v64, v64, 4, v133
	ds_add_u32 v64, v117
	s_or_b64 exec, exec, s[16:17]
	v_cmp_lt_u32_e32 vcc, v14, v5
	s_and_saveexec_b64 s[16:17], vcc
	s_cbranch_execnz .LBB810_931
.LBB810_946:                            ;   in Loop: Header=BB810_900 Depth=2
	s_or_b64 exec, exec, s[16:17]
	v_cmp_lt_u32_e32 vcc, v16, v5
	s_and_saveexec_b64 s[16:17], vcc
	s_cbranch_execz .LBB810_932
.LBB810_947:                            ;   in Loop: Header=BB810_900 Depth=2
	v_xor_b32_e32 v65, 0x80000000, v47
	v_mov_b32_e32 v64, v46
	v_lshrrev_b64 v[64:65], s84, v[64:65]
	v_and_b32_e32 v64, s68, v64
	v_lshl_or_b32 v64, v64, 4, v133
	ds_add_u32 v64, v117
	s_or_b64 exec, exec, s[16:17]
	v_cmp_lt_u32_e32 vcc, v18, v5
	s_and_saveexec_b64 s[16:17], vcc
	s_cbranch_execnz .LBB810_933
.LBB810_948:                            ;   in Loop: Header=BB810_900 Depth=2
	s_or_b64 exec, exec, s[16:17]
	v_cmp_lt_u32_e32 vcc, v20, v5
	s_and_saveexec_b64 s[16:17], vcc
	s_cbranch_execz .LBB810_934
.LBB810_949:                            ;   in Loop: Header=BB810_900 Depth=2
	v_xor_b32_e32 v65, 0x80000000, v43
	v_mov_b32_e32 v64, v42
	v_lshrrev_b64 v[64:65], s84, v[64:65]
	v_and_b32_e32 v64, s68, v64
	v_lshl_or_b32 v64, v64, 4, v133
	ds_add_u32 v64, v117
	s_or_b64 exec, exec, s[16:17]
	v_cmp_lt_u32_e32 vcc, v22, v5
	s_and_saveexec_b64 s[16:17], vcc
	s_cbranch_execnz .LBB810_935
.LBB810_950:                            ;   in Loop: Header=BB810_900 Depth=2
	s_or_b64 exec, exec, s[16:17]
	v_cmp_lt_u32_e32 vcc, v24, v5
	s_and_saveexec_b64 s[16:17], vcc
	s_cbranch_execz .LBB810_936
.LBB810_951:                            ;   in Loop: Header=BB810_900 Depth=2
	v_xor_b32_e32 v65, 0x80000000, v39
	v_mov_b32_e32 v64, v38
	v_lshrrev_b64 v[64:65], s84, v[64:65]
	v_and_b32_e32 v64, s68, v64
	v_lshl_or_b32 v64, v64, 4, v133
	ds_add_u32 v64, v117
	s_or_b64 exec, exec, s[16:17]
	v_cmp_lt_u32_e32 vcc, v26, v5
	s_and_saveexec_b64 s[16:17], vcc
	s_cbranch_execnz .LBB810_937
.LBB810_952:                            ;   in Loop: Header=BB810_900 Depth=2
	s_or_b64 exec, exec, s[16:17]
	v_cmp_lt_u32_e32 vcc, v28, v5
	s_and_saveexec_b64 s[16:17], vcc
	s_cbranch_execz .LBB810_938
.LBB810_953:                            ;   in Loop: Header=BB810_900 Depth=2
	v_xor_b32_e32 v65, 0x80000000, v35
	v_mov_b32_e32 v64, v34
	v_lshrrev_b64 v[64:65], s84, v[64:65]
	v_and_b32_e32 v64, s68, v64
	v_lshl_or_b32 v64, v64, 4, v133
	ds_add_u32 v64, v117
	s_or_b64 exec, exec, s[16:17]
	v_cmp_lt_u32_e32 vcc, v30, v5
	s_and_saveexec_b64 s[16:17], vcc
	s_cbranch_execnz .LBB810_939
.LBB810_954:                            ;   in Loop: Header=BB810_900 Depth=2
	s_or_b64 exec, exec, s[16:17]
	v_cmp_lt_u32_e32 vcc, v32, v5
	s_and_saveexec_b64 s[16:17], vcc
	s_cbranch_execz .LBB810_899
.LBB810_955:                            ;   in Loop: Header=BB810_900 Depth=2
	s_waitcnt vmcnt(0)
	v_xor_b32_e32 v65, 0x80000000, v63
	v_mov_b32_e32 v64, v62
	v_lshrrev_b64 v[64:65], s84, v[64:65]
	v_and_b32_e32 v5, s68, v64
	v_lshl_or_b32 v5, v5, 4, v133
	ds_add_u32 v5, v117
	s_branch .LBB810_899
.LBB810_956:                            ;   in Loop: Header=BB810_900 Depth=2
	s_or_b64 exec, exec, s[20:21]
	v_cmp_gt_u32_e32 vcc, s22, v7
	s_and_saveexec_b64 s[20:21], vcc
	s_cbranch_execz .LBB810_906
.LBB810_957:                            ;   in Loop: Header=BB810_900 Depth=2
	global_load_dwordx2 v[58:59], v118, s[18:19] offset:2048
	s_or_b64 exec, exec, s[20:21]
	v_cmp_gt_u32_e32 vcc, s22, v6
	s_and_saveexec_b64 s[20:21], vcc
	s_cbranch_execnz .LBB810_907
.LBB810_958:                            ;   in Loop: Header=BB810_900 Depth=2
	s_or_b64 exec, exec, s[20:21]
	v_cmp_gt_u32_e32 vcc, s22, v8
	s_and_saveexec_b64 s[20:21], vcc
	s_cbranch_execz .LBB810_908
.LBB810_959:                            ;   in Loop: Header=BB810_900 Depth=2
	global_load_dwordx2 v[54:55], v120, s[18:19]
	s_or_b64 exec, exec, s[20:21]
	v_cmp_gt_u32_e32 vcc, s22, v10
	s_and_saveexec_b64 s[20:21], vcc
	s_cbranch_execnz .LBB810_909
.LBB810_960:                            ;   in Loop: Header=BB810_900 Depth=2
	s_or_b64 exec, exec, s[20:21]
	v_cmp_gt_u32_e32 vcc, s22, v12
	s_and_saveexec_b64 s[20:21], vcc
	s_cbranch_execz .LBB810_910
.LBB810_961:                            ;   in Loop: Header=BB810_900 Depth=2
	global_load_dwordx2 v[50:51], v122, s[18:19]
	s_or_b64 exec, exec, s[20:21]
	v_cmp_gt_u32_e32 vcc, s22, v14
	s_and_saveexec_b64 s[20:21], vcc
	s_cbranch_execnz .LBB810_911
.LBB810_962:                            ;   in Loop: Header=BB810_900 Depth=2
	s_or_b64 exec, exec, s[20:21]
	v_cmp_gt_u32_e32 vcc, s22, v16
	s_and_saveexec_b64 s[20:21], vcc
	s_cbranch_execz .LBB810_912
.LBB810_963:                            ;   in Loop: Header=BB810_900 Depth=2
	global_load_dwordx2 v[46:47], v124, s[18:19]
	s_or_b64 exec, exec, s[20:21]
	v_cmp_gt_u32_e32 vcc, s22, v18
	s_and_saveexec_b64 s[20:21], vcc
	s_cbranch_execnz .LBB810_913
.LBB810_964:                            ;   in Loop: Header=BB810_900 Depth=2
	s_or_b64 exec, exec, s[20:21]
	v_cmp_gt_u32_e32 vcc, s22, v20
	s_and_saveexec_b64 s[20:21], vcc
	s_cbranch_execz .LBB810_914
.LBB810_965:                            ;   in Loop: Header=BB810_900 Depth=2
	global_load_dwordx2 v[42:43], v126, s[18:19]
	s_or_b64 exec, exec, s[20:21]
	v_cmp_gt_u32_e32 vcc, s22, v22
	s_and_saveexec_b64 s[20:21], vcc
	s_cbranch_execnz .LBB810_915
.LBB810_966:                            ;   in Loop: Header=BB810_900 Depth=2
	s_or_b64 exec, exec, s[20:21]
	v_cmp_gt_u32_e32 vcc, s22, v24
	s_and_saveexec_b64 s[20:21], vcc
	s_cbranch_execz .LBB810_916
.LBB810_967:                            ;   in Loop: Header=BB810_900 Depth=2
	global_load_dwordx2 v[38:39], v128, s[18:19]
	s_or_b64 exec, exec, s[20:21]
	v_cmp_gt_u32_e32 vcc, s22, v26
	s_and_saveexec_b64 s[20:21], vcc
	s_cbranch_execnz .LBB810_917
.LBB810_968:                            ;   in Loop: Header=BB810_900 Depth=2
	s_or_b64 exec, exec, s[20:21]
	v_cmp_gt_u32_e32 vcc, s22, v28
	s_and_saveexec_b64 s[20:21], vcc
	s_cbranch_execz .LBB810_918
.LBB810_969:                            ;   in Loop: Header=BB810_900 Depth=2
	global_load_dwordx2 v[34:35], v130, s[18:19]
	s_or_b64 exec, exec, s[20:21]
	v_cmp_gt_u32_e32 vcc, s22, v30
	s_and_saveexec_b64 s[20:21], vcc
	s_cbranch_execz .LBB810_920
	s_branch .LBB810_919
.LBB810_970:                            ;   in Loop: Header=BB810_12 Depth=1
	v_mov_b32_e32 v0, 0
	s_waitcnt lgkmcnt(0)
	s_barrier
	s_and_saveexec_b64 s[16:17], s[4:5]
	s_cbranch_execz .LBB810_972
; %bb.971:                              ;   in Loop: Header=BB810_12 Depth=1
	ds_read2_b64 v[34:37], v13 offset1:1
	s_waitcnt lgkmcnt(0)
	v_add_u32_e32 v0, v35, v34
	v_add3_u32 v0, v0, v36, v37
.LBB810_972:                            ;   in Loop: Header=BB810_12 Depth=1
	s_or_b64 exec, exec, s[16:17]
	s_nop 0
	v_mov_b32_dpp v1, v0 row_shr:1 row_mask:0xf bank_mask:0xf
	v_cmp_eq_u32_e64 s[16:17], 0, v135
	v_cndmask_b32_e64 v1, v1, 0, s[16:17]
	v_add_u32_e32 v0, v1, v0
	v_cmp_lt_u32_e64 s[18:19], 1, v135
	v_cmp_lt_u32_e64 s[20:21], 3, v135
	v_mov_b32_dpp v1, v0 row_shr:2 row_mask:0xf bank_mask:0xf
	v_cndmask_b32_e64 v1, 0, v1, s[18:19]
	v_add_u32_e32 v0, v0, v1
	v_cmp_lt_u32_e64 s[22:23], 7, v135
	v_cmp_lt_u32_e64 s[26:27], 31, v134
	v_mov_b32_dpp v1, v0 row_shr:4 row_mask:0xf bank_mask:0xf
	v_cndmask_b32_e64 v1, 0, v1, s[20:21]
	v_add_u32_e32 v0, v0, v1
	v_cmp_eq_u32_e64 s[24:25], 0, v137
	s_nop 0
	v_mov_b32_dpp v1, v0 row_shr:8 row_mask:0xf bank_mask:0xf
	v_cndmask_b32_e64 v1, 0, v1, s[22:23]
	v_add_u32_e32 v0, v0, v1
	s_nop 1
	v_mov_b32_dpp v1, v0 row_bcast:15 row_mask:0xf bank_mask:0xf
	v_and_b32_e32 v1, v136, v1
	v_add_u32_e32 v0, v0, v1
	s_nop 1
	v_mov_b32_dpp v1, v0 row_bcast:31 row_mask:0xf bank_mask:0xf
	v_cndmask_b32_e64 v1, 0, v1, s[26:27]
	v_add_u32_e32 v0, v0, v1
	s_and_saveexec_b64 s[28:29], s[6:7]
	v_readlane_b32 s38, v235, 2
	s_cbranch_execz .LBB810_974
; %bb.973:                              ;   in Loop: Header=BB810_12 Depth=1
	ds_write_b32 v17, v0
.LBB810_974:                            ;   in Loop: Header=BB810_12 Depth=1
	s_or_b64 exec, exec, s[28:29]
	s_waitcnt lgkmcnt(0)
	s_barrier
	s_and_saveexec_b64 s[28:29], s[8:9]
	s_cbranch_execz .LBB810_976
; %bb.975:                              ;   in Loop: Header=BB810_12 Depth=1
	ds_read_b32 v1, v19
	v_cmp_ne_u32_e32 vcc, 0, v138
	s_waitcnt lgkmcnt(0)
	v_mov_b32_dpp v5, v1 row_shr:1 row_mask:0xf bank_mask:0xf
	v_cndmask_b32_e32 v5, 0, v5, vcc
	v_add_u32_e32 v1, v5, v1
	v_cmp_lt_u32_e32 vcc, 1, v138
	s_nop 0
	v_mov_b32_dpp v5, v1 row_shr:2 row_mask:0xf bank_mask:0xf
	v_cndmask_b32_e32 v5, 0, v5, vcc
	v_add_u32_e32 v1, v1, v5
	ds_write_b32 v19, v1
.LBB810_976:                            ;   in Loop: Header=BB810_12 Depth=1
	s_or_b64 exec, exec, s[28:29]
	v_mov_b32_e32 v1, 0
	s_waitcnt lgkmcnt(0)
	s_barrier
	s_and_saveexec_b64 s[28:29], s[10:11]
	s_cbranch_execz .LBB810_978
; %bb.977:                              ;   in Loop: Header=BB810_12 Depth=1
	ds_read_b32 v1, v21
.LBB810_978:                            ;   in Loop: Header=BB810_12 Depth=1
	s_or_b64 exec, exec, s[28:29]
	v_cmp_lt_i32_e32 vcc, v139, v140
	v_cndmask_b32_e32 v5, v139, v134, vcc
	s_waitcnt lgkmcnt(0)
	v_add_u32_e32 v0, v1, v0
	v_lshlrev_b32_e32 v158, 2, v5
	ds_bpermute_b32 v0, v158, v0
	v_cmp_eq_u32_e64 s[28:29], 0, v134
	s_waitcnt lgkmcnt(0)
	s_barrier
	s_and_saveexec_b64 s[30:31], s[4:5]
	s_cbranch_execz .LBB810_980
; %bb.979:                              ;   in Loop: Header=BB810_12 Depth=1
	v_cndmask_b32_e64 v0, v0, v1, s[28:29]
	v_add_u32_e32 v0, s38, v0
	ds_write_b32 v3, v0
.LBB810_980:                            ;   in Loop: Header=BB810_12 Depth=1
	s_or_b64 exec, exec, s[30:31]
	s_load_dwordx2 s[30:31], s[90:91], 0x0
	v_readlane_b32 s34, v235, 1
	v_add_co_u32_e32 v159, vcc, v113, v141
	v_addc_co_u32_e32 v160, vcc, 0, v114, vcc
	s_waitcnt lgkmcnt(0)
	s_cmp_lt_u32 s34, s30
	v_readlane_b32 s30, v235, 0
	s_cselect_b32 s34, 12, 18
	s_cmp_lt_u32 s30, s31
	s_cselect_b32 s30, 14, 20
	s_add_u32 s30, s90, s30
	s_addc_u32 s31, s91, 0
	s_add_u32 s34, s90, s34
	global_load_ushort v5, v4, s[30:31]
	s_addc_u32 s35, s91, 0
	global_load_ushort v64, v4, s[34:35]
	v_add_co_u32_e32 v161, vcc, v115, v141
	v_addc_co_u32_e32 v162, vcc, 0, v116, vcc
	v_add_co_u32_e32 v176, vcc, 0x1e00, v161
	v_cmp_eq_u32_e64 s[30:31], 0, v138
	v_cmp_lt_u32_e64 s[34:35], 1, v138
	s_mov_b32 s69, s85
	v_addc_co_u32_e32 v179, vcc, 0, v162, vcc
	s_mov_b32 s88, s38
                                        ; implicit-def: $vgpr0_vgpr1
                                        ; implicit-def: $vgpr34_vgpr35
                                        ; implicit-def: $vgpr36_vgpr37
                                        ; implicit-def: $vgpr40_vgpr41
                                        ; implicit-def: $vgpr44_vgpr45
                                        ; implicit-def: $vgpr48_vgpr49
                                        ; implicit-def: $vgpr52_vgpr53
                                        ; implicit-def: $vgpr56_vgpr57
                                        ; implicit-def: $vgpr38_vgpr39
                                        ; implicit-def: $vgpr42_vgpr43
                                        ; implicit-def: $vgpr46_vgpr47
                                        ; implicit-def: $vgpr50_vgpr51
                                        ; implicit-def: $vgpr54_vgpr55
                                        ; implicit-def: $vgpr58_vgpr59
                                        ; implicit-def: $vgpr60_vgpr61
                                        ; implicit-def: $vgpr62_vgpr63
                                        ; implicit-def: $vgpr163
                                        ; implicit-def: $vgpr164
                                        ; implicit-def: $vgpr165
                                        ; implicit-def: $vgpr166
                                        ; implicit-def: $vgpr167
                                        ; implicit-def: $vgpr168
                                        ; implicit-def: $vgpr169
                                        ; implicit-def: $vgpr170
                                        ; implicit-def: $vgpr171
                                        ; implicit-def: $vgpr172
                                        ; implicit-def: $vgpr173
                                        ; implicit-def: $vgpr174
                                        ; implicit-def: $vgpr175
                                        ; implicit-def: $vgpr177
                                        ; implicit-def: $vgpr178
                                        ; implicit-def: $vgpr180
	s_waitcnt vmcnt(1)
	v_mad_u32_u24 v5, v23, v5, v25
	s_waitcnt vmcnt(0)
	v_mad_u64_u32 v[64:65], s[36:37], v5, v64, v[2:3]
	v_lshrrev_b32_e32 v181, 6, v64
	s_branch .LBB810_982
.LBB810_981:                            ;   in Loop: Header=BB810_982 Depth=2
	s_or_b64 exec, exec, s[36:37]
	s_addk_i32 s69, 0xf000
	s_cmp_lt_u32 s86, s94
	s_mov_b32 s88, s86
	s_cbranch_scc0 .LBB810_10
.LBB810_982:                            ;   Parent Loop BB810_12 Depth=1
                                        ; =>  This Inner Loop Header: Depth=2
	s_add_i32 s86, s88, 0x1000
	s_cmp_gt_u32 s86, s94
	s_cbranch_scc1 .LBB810_984
; %bb.983:                              ;   in Loop: Header=BB810_982 Depth=2
	s_lshl_b64 s[36:37], s[88:89], 3
	v_mov_b32_e32 v5, s37
	v_add_co_u32_e32 v80, vcc, s36, v161
	v_addc_co_u32_e32 v81, vcc, v162, v5, vcc
	v_add_co_u32_e32 v92, vcc, 0x1000, v80
	global_load_dwordx2 v[64:65], v[80:81], off
	global_load_dwordx2 v[66:67], v[80:81], off offset:512
	global_load_dwordx2 v[68:69], v[80:81], off offset:1024
	;; [unrolled: 1-line block ×7, first 2 shown]
	v_addc_co_u32_e32 v93, vcc, 0, v81, vcc
	global_load_dwordx2 v[80:81], v[92:93], off
	global_load_dwordx2 v[82:83], v[92:93], off offset:512
	global_load_dwordx2 v[84:85], v[92:93], off offset:1024
	;; [unrolled: 1-line block ×5, first 2 shown]
	s_nop 0
	global_load_dwordx2 v[92:93], v[92:93], off offset:3072
	s_movk_i32 s40, 0x1000
	s_mov_b64 s[36:37], -1
	s_cbranch_execz .LBB810_985
	s_branch .LBB810_1016
.LBB810_984:                            ;   in Loop: Header=BB810_982 Depth=2
	s_mov_b64 s[36:37], 0
                                        ; implicit-def: $sgpr40
                                        ; implicit-def: $vgpr64_vgpr65
                                        ; implicit-def: $vgpr66_vgpr67
                                        ; implicit-def: $vgpr68_vgpr69
                                        ; implicit-def: $vgpr70_vgpr71
                                        ; implicit-def: $vgpr72_vgpr73
                                        ; implicit-def: $vgpr74_vgpr75
                                        ; implicit-def: $vgpr76_vgpr77
                                        ; implicit-def: $vgpr78_vgpr79
                                        ; implicit-def: $vgpr80_vgpr81
                                        ; implicit-def: $vgpr82_vgpr83
                                        ; implicit-def: $vgpr84_vgpr85
                                        ; implicit-def: $vgpr86_vgpr87
                                        ; implicit-def: $vgpr88_vgpr89
                                        ; implicit-def: $vgpr90_vgpr91
                                        ; implicit-def: $vgpr92_vgpr93
.LBB810_985:                            ;   in Loop: Header=BB810_982 Depth=2
	s_lshl_b64 s[36:37], s[88:89], 3
	v_mov_b32_e32 v5, s37
	v_add_co_u32_e32 v94, vcc, s36, v161
	v_addc_co_u32_e32 v95, vcc, v162, v5, vcc
	v_cmp_gt_u32_e32 vcc, s69, v142
	s_waitcnt vmcnt(14)
	v_pk_mov_b32 v[64:65], s[78:79], s[78:79] op_sel:[0,1]
	s_and_saveexec_b64 s[36:37], vcc
	s_cbranch_execz .LBB810_987
; %bb.986:                              ;   in Loop: Header=BB810_982 Depth=2
	global_load_dwordx2 v[64:65], v[94:95], off
.LBB810_987:                            ;   in Loop: Header=BB810_982 Depth=2
	s_or_b64 exec, exec, s[36:37]
	v_cmp_gt_u32_e32 vcc, s69, v143
	s_waitcnt vmcnt(13)
	v_pk_mov_b32 v[66:67], s[78:79], s[78:79] op_sel:[0,1]
	s_and_saveexec_b64 s[36:37], vcc
	s_cbranch_execz .LBB810_989
; %bb.988:                              ;   in Loop: Header=BB810_982 Depth=2
	global_load_dwordx2 v[66:67], v[94:95], off offset:512
.LBB810_989:                            ;   in Loop: Header=BB810_982 Depth=2
	s_or_b64 exec, exec, s[36:37]
	v_cmp_gt_u32_e32 vcc, s69, v144
	s_waitcnt vmcnt(12)
	v_pk_mov_b32 v[68:69], s[78:79], s[78:79] op_sel:[0,1]
	s_and_saveexec_b64 s[36:37], vcc
	s_cbranch_execz .LBB810_991
; %bb.990:                              ;   in Loop: Header=BB810_982 Depth=2
	global_load_dwordx2 v[68:69], v[94:95], off offset:1024
.LBB810_991:                            ;   in Loop: Header=BB810_982 Depth=2
	;; [unrolled: 9-line block ×6, first 2 shown]
	s_or_b64 exec, exec, s[36:37]
	v_cmp_gt_u32_e32 vcc, s69, v149
	s_waitcnt vmcnt(7)
	v_pk_mov_b32 v[78:79], s[78:79], s[78:79] op_sel:[0,1]
	s_and_saveexec_b64 s[36:37], vcc
	s_cbranch_execz .LBB810_1001
; %bb.1000:                             ;   in Loop: Header=BB810_982 Depth=2
	global_load_dwordx2 v[78:79], v[94:95], off offset:3584
.LBB810_1001:                           ;   in Loop: Header=BB810_982 Depth=2
	s_or_b64 exec, exec, s[36:37]
	v_cmp_gt_u32_e32 vcc, s69, v150
	s_waitcnt vmcnt(6)
	v_pk_mov_b32 v[80:81], s[78:79], s[78:79] op_sel:[0,1]
	s_and_saveexec_b64 s[36:37], vcc
	s_cbranch_execz .LBB810_1003
; %bb.1002:                             ;   in Loop: Header=BB810_982 Depth=2
	v_add_co_u32_e32 v80, vcc, 0x1000, v94
	v_addc_co_u32_e32 v81, vcc, 0, v95, vcc
	global_load_dwordx2 v[80:81], v[80:81], off
.LBB810_1003:                           ;   in Loop: Header=BB810_982 Depth=2
	s_or_b64 exec, exec, s[36:37]
	v_cmp_gt_u32_e32 vcc, s69, v151
	s_waitcnt vmcnt(5)
	v_pk_mov_b32 v[82:83], s[78:79], s[78:79] op_sel:[0,1]
	s_and_saveexec_b64 s[36:37], vcc
	s_cbranch_execz .LBB810_1005
; %bb.1004:                             ;   in Loop: Header=BB810_982 Depth=2
	v_add_co_u32_e32 v82, vcc, 0x1000, v94
	v_addc_co_u32_e32 v83, vcc, 0, v95, vcc
	global_load_dwordx2 v[82:83], v[82:83], off offset:512
.LBB810_1005:                           ;   in Loop: Header=BB810_982 Depth=2
	s_or_b64 exec, exec, s[36:37]
	v_cmp_gt_u32_e32 vcc, s69, v152
	s_waitcnt vmcnt(4)
	v_pk_mov_b32 v[84:85], s[78:79], s[78:79] op_sel:[0,1]
	s_and_saveexec_b64 s[36:37], vcc
	s_cbranch_execz .LBB810_1007
; %bb.1006:                             ;   in Loop: Header=BB810_982 Depth=2
	v_add_co_u32_e32 v84, vcc, 0x1000, v94
	v_addc_co_u32_e32 v85, vcc, 0, v95, vcc
	global_load_dwordx2 v[84:85], v[84:85], off offset:1024
.LBB810_1007:                           ;   in Loop: Header=BB810_982 Depth=2
	;; [unrolled: 11-line block ×6, first 2 shown]
	s_or_b64 exec, exec, s[36:37]
	s_sub_i32 s40, s94, s88
	v_cmp_gt_u32_e64 s[36:37], s69, v157
.LBB810_1016:                           ;   in Loop: Header=BB810_982 Depth=2
	v_pk_mov_b32 v[94:95], s[78:79], s[78:79] op_sel:[0,1]
	v_mov_b32_e32 v182, s69
	s_and_saveexec_b64 s[38:39], s[36:37]
	s_cbranch_execz .LBB810_1018
; %bb.1017:                             ;   in Loop: Header=BB810_982 Depth=2
	s_lshl_b64 s[36:37], s[88:89], 3
	v_mov_b32_e32 v5, s37
	v_add_co_u32_e32 v94, vcc, s36, v176
	v_addc_co_u32_e32 v95, vcc, v179, v5, vcc
	global_load_dwordx2 v[94:95], v[94:95], off
	v_mov_b32_e32 v182, s40
.LBB810_1018:                           ;   in Loop: Header=BB810_982 Depth=2
	s_or_b64 exec, exec, s[38:39]
	s_waitcnt vmcnt(14)
	v_xor_b32_e32 v65, 0x80000000, v65
	v_lshrrev_b64 v[96:97], s84, v[64:65]
	v_add_u32_e32 v5, 0x410, v27
	v_and_b32_e32 v96, s68, v96
	ds_write2_b32 v5, v4, v4 offset1:1
	ds_write2_b32 v31, v4, v4 offset0:2 offset1:3
	ds_write_b32 v31, v4 offset:16
	v_mad_u32_u24 v5, v96, 5, v181
	v_lshl_add_u32 v183, v5, 2, v29
	v_and_b32_e32 v5, 1, v96
	v_add_co_u32_e32 v97, vcc, -1, v5
	v_addc_co_u32_e64 v98, s[36:37], 0, -1, vcc
	v_cmp_ne_u32_e32 vcc, 0, v5
	v_xor_b32_e32 v5, vcc_hi, v98
	v_and_b32_e32 v98, exec_hi, v5
	v_lshlrev_b32_e32 v5, 30, v96
	v_xor_b32_e32 v97, vcc_lo, v97
	v_cmp_gt_i64_e32 vcc, 0, v[4:5]
	v_not_b32_e32 v5, v5
	v_ashrrev_i32_e32 v5, 31, v5
	v_and_b32_e32 v97, exec_lo, v97
	v_xor_b32_e32 v99, vcc_hi, v5
	v_xor_b32_e32 v5, vcc_lo, v5
	v_and_b32_e32 v97, v97, v5
	v_lshlrev_b32_e32 v5, 29, v96
	v_cmp_gt_i64_e32 vcc, 0, v[4:5]
	v_not_b32_e32 v5, v5
	v_ashrrev_i32_e32 v5, 31, v5
	v_and_b32_e32 v98, v98, v99
	v_xor_b32_e32 v99, vcc_hi, v5
	v_xor_b32_e32 v5, vcc_lo, v5
	v_and_b32_e32 v97, v97, v5
	v_lshlrev_b32_e32 v5, 28, v96
	v_cmp_gt_i64_e32 vcc, 0, v[4:5]
	v_not_b32_e32 v5, v5
	v_ashrrev_i32_e32 v5, 31, v5
	v_and_b32_e32 v98, v98, v99
	;; [unrolled: 8-line block ×5, first 2 shown]
	v_xor_b32_e32 v99, vcc_hi, v5
	v_xor_b32_e32 v5, vcc_lo, v5
	v_and_b32_e32 v98, v98, v99
	v_and_b32_e32 v99, v97, v5
	v_lshlrev_b32_e32 v5, 24, v96
	v_cmp_gt_i64_e32 vcc, 0, v[4:5]
	v_not_b32_e32 v5, v5
	v_ashrrev_i32_e32 v5, 31, v5
	v_xor_b32_e32 v96, vcc_hi, v5
	v_xor_b32_e32 v5, vcc_lo, v5
	v_and_b32_e32 v97, v98, v96
	v_and_b32_e32 v96, v99, v5
	v_mbcnt_lo_u32_b32 v5, v96, 0
	v_mbcnt_hi_u32_b32 v184, v97, v5
	v_cmp_eq_u32_e32 vcc, 0, v184
	v_cmp_ne_u64_e64 s[36:37], 0, v[96:97]
	s_and_b64 s[38:39], s[36:37], vcc
	s_waitcnt lgkmcnt(0)
	s_barrier
	s_waitcnt lgkmcnt(0)
	; wave barrier
	s_and_saveexec_b64 s[36:37], s[38:39]
	s_cbranch_execz .LBB810_1020
; %bb.1019:                             ;   in Loop: Header=BB810_982 Depth=2
	v_bcnt_u32_b32 v5, v96, 0
	v_bcnt_u32_b32 v5, v97, v5
	ds_write_b32 v183, v5
.LBB810_1020:                           ;   in Loop: Header=BB810_982 Depth=2
	s_or_b64 exec, exec, s[36:37]
	s_waitcnt vmcnt(13)
	v_xor_b32_e32 v67, 0x80000000, v67
	v_lshrrev_b64 v[96:97], s84, v[66:67]
	v_and_b32_e32 v96, s68, v96
	v_mul_u32_u24_e32 v5, 5, v96
	v_add_lshl_u32 v5, v5, v181, 2
	; wave barrier
	v_add_u32_e32 v186, 0x410, v5
	ds_read_b32 v185, v5 offset:1040
	v_and_b32_e32 v5, 1, v96
	v_add_co_u32_e32 v97, vcc, -1, v5
	v_addc_co_u32_e64 v98, s[36:37], 0, -1, vcc
	v_cmp_ne_u32_e32 vcc, 0, v5
	v_xor_b32_e32 v5, vcc_hi, v98
	v_and_b32_e32 v98, exec_hi, v5
	v_lshlrev_b32_e32 v5, 30, v96
	v_xor_b32_e32 v97, vcc_lo, v97
	v_cmp_gt_i64_e32 vcc, 0, v[4:5]
	v_not_b32_e32 v5, v5
	v_ashrrev_i32_e32 v5, 31, v5
	v_and_b32_e32 v97, exec_lo, v97
	v_xor_b32_e32 v99, vcc_hi, v5
	v_xor_b32_e32 v5, vcc_lo, v5
	v_and_b32_e32 v97, v97, v5
	v_lshlrev_b32_e32 v5, 29, v96
	v_cmp_gt_i64_e32 vcc, 0, v[4:5]
	v_not_b32_e32 v5, v5
	v_ashrrev_i32_e32 v5, 31, v5
	v_and_b32_e32 v98, v98, v99
	v_xor_b32_e32 v99, vcc_hi, v5
	v_xor_b32_e32 v5, vcc_lo, v5
	v_and_b32_e32 v97, v97, v5
	v_lshlrev_b32_e32 v5, 28, v96
	v_cmp_gt_i64_e32 vcc, 0, v[4:5]
	v_not_b32_e32 v5, v5
	v_ashrrev_i32_e32 v5, 31, v5
	v_and_b32_e32 v98, v98, v99
	;; [unrolled: 8-line block ×5, first 2 shown]
	v_xor_b32_e32 v99, vcc_hi, v5
	v_xor_b32_e32 v5, vcc_lo, v5
	v_and_b32_e32 v98, v98, v99
	v_and_b32_e32 v99, v97, v5
	v_lshlrev_b32_e32 v5, 24, v96
	v_cmp_gt_i64_e32 vcc, 0, v[4:5]
	v_not_b32_e32 v5, v5
	v_ashrrev_i32_e32 v5, 31, v5
	v_xor_b32_e32 v96, vcc_hi, v5
	v_xor_b32_e32 v5, vcc_lo, v5
	v_and_b32_e32 v97, v98, v96
	v_and_b32_e32 v96, v99, v5
	v_mbcnt_lo_u32_b32 v5, v96, 0
	v_mbcnt_hi_u32_b32 v187, v97, v5
	v_cmp_eq_u32_e32 vcc, 0, v187
	v_cmp_ne_u64_e64 s[36:37], 0, v[96:97]
	s_and_b64 s[38:39], s[36:37], vcc
	; wave barrier
	s_and_saveexec_b64 s[36:37], s[38:39]
	s_cbranch_execz .LBB810_1022
; %bb.1021:                             ;   in Loop: Header=BB810_982 Depth=2
	v_bcnt_u32_b32 v5, v96, 0
	v_bcnt_u32_b32 v5, v97, v5
	s_waitcnt lgkmcnt(0)
	v_add_u32_e32 v5, v185, v5
	ds_write_b32 v186, v5
.LBB810_1022:                           ;   in Loop: Header=BB810_982 Depth=2
	s_or_b64 exec, exec, s[36:37]
	s_waitcnt vmcnt(12)
	v_xor_b32_e32 v69, 0x80000000, v69
	v_lshrrev_b64 v[96:97], s84, v[68:69]
	v_and_b32_e32 v96, s68, v96
	v_mul_u32_u24_e32 v5, 5, v96
	v_add_lshl_u32 v5, v5, v181, 2
	; wave barrier
	v_add_u32_e32 v189, 0x410, v5
	ds_read_b32 v188, v5 offset:1040
	v_and_b32_e32 v5, 1, v96
	v_add_co_u32_e32 v97, vcc, -1, v5
	v_addc_co_u32_e64 v98, s[36:37], 0, -1, vcc
	v_cmp_ne_u32_e32 vcc, 0, v5
	v_xor_b32_e32 v5, vcc_hi, v98
	v_and_b32_e32 v98, exec_hi, v5
	v_lshlrev_b32_e32 v5, 30, v96
	v_xor_b32_e32 v97, vcc_lo, v97
	v_cmp_gt_i64_e32 vcc, 0, v[4:5]
	v_not_b32_e32 v5, v5
	v_ashrrev_i32_e32 v5, 31, v5
	v_and_b32_e32 v97, exec_lo, v97
	v_xor_b32_e32 v99, vcc_hi, v5
	v_xor_b32_e32 v5, vcc_lo, v5
	v_and_b32_e32 v97, v97, v5
	v_lshlrev_b32_e32 v5, 29, v96
	v_cmp_gt_i64_e32 vcc, 0, v[4:5]
	v_not_b32_e32 v5, v5
	v_ashrrev_i32_e32 v5, 31, v5
	v_and_b32_e32 v98, v98, v99
	v_xor_b32_e32 v99, vcc_hi, v5
	v_xor_b32_e32 v5, vcc_lo, v5
	v_and_b32_e32 v97, v97, v5
	v_lshlrev_b32_e32 v5, 28, v96
	v_cmp_gt_i64_e32 vcc, 0, v[4:5]
	v_not_b32_e32 v5, v5
	v_ashrrev_i32_e32 v5, 31, v5
	v_and_b32_e32 v98, v98, v99
	;; [unrolled: 8-line block ×5, first 2 shown]
	v_xor_b32_e32 v99, vcc_hi, v5
	v_xor_b32_e32 v5, vcc_lo, v5
	v_and_b32_e32 v98, v98, v99
	v_and_b32_e32 v99, v97, v5
	v_lshlrev_b32_e32 v5, 24, v96
	v_cmp_gt_i64_e32 vcc, 0, v[4:5]
	v_not_b32_e32 v5, v5
	v_ashrrev_i32_e32 v5, 31, v5
	v_xor_b32_e32 v96, vcc_hi, v5
	v_xor_b32_e32 v5, vcc_lo, v5
	v_and_b32_e32 v97, v98, v96
	v_and_b32_e32 v96, v99, v5
	v_mbcnt_lo_u32_b32 v5, v96, 0
	v_mbcnt_hi_u32_b32 v190, v97, v5
	v_cmp_eq_u32_e32 vcc, 0, v190
	v_cmp_ne_u64_e64 s[36:37], 0, v[96:97]
	s_and_b64 s[38:39], s[36:37], vcc
	; wave barrier
	s_and_saveexec_b64 s[36:37], s[38:39]
	s_cbranch_execz .LBB810_1024
; %bb.1023:                             ;   in Loop: Header=BB810_982 Depth=2
	v_bcnt_u32_b32 v5, v96, 0
	v_bcnt_u32_b32 v5, v97, v5
	s_waitcnt lgkmcnt(0)
	v_add_u32_e32 v5, v188, v5
	ds_write_b32 v189, v5
.LBB810_1024:                           ;   in Loop: Header=BB810_982 Depth=2
	s_or_b64 exec, exec, s[36:37]
	s_waitcnt vmcnt(11)
	v_xor_b32_e32 v71, 0x80000000, v71
	v_lshrrev_b64 v[96:97], s84, v[70:71]
	v_and_b32_e32 v96, s68, v96
	v_mul_u32_u24_e32 v5, 5, v96
	v_add_lshl_u32 v5, v5, v181, 2
	; wave barrier
	v_add_u32_e32 v192, 0x410, v5
	ds_read_b32 v191, v5 offset:1040
	v_and_b32_e32 v5, 1, v96
	v_add_co_u32_e32 v97, vcc, -1, v5
	v_addc_co_u32_e64 v98, s[36:37], 0, -1, vcc
	v_cmp_ne_u32_e32 vcc, 0, v5
	v_xor_b32_e32 v5, vcc_hi, v98
	v_and_b32_e32 v98, exec_hi, v5
	v_lshlrev_b32_e32 v5, 30, v96
	v_xor_b32_e32 v97, vcc_lo, v97
	v_cmp_gt_i64_e32 vcc, 0, v[4:5]
	v_not_b32_e32 v5, v5
	v_ashrrev_i32_e32 v5, 31, v5
	v_and_b32_e32 v97, exec_lo, v97
	v_xor_b32_e32 v99, vcc_hi, v5
	v_xor_b32_e32 v5, vcc_lo, v5
	v_and_b32_e32 v97, v97, v5
	v_lshlrev_b32_e32 v5, 29, v96
	v_cmp_gt_i64_e32 vcc, 0, v[4:5]
	v_not_b32_e32 v5, v5
	v_ashrrev_i32_e32 v5, 31, v5
	v_and_b32_e32 v98, v98, v99
	v_xor_b32_e32 v99, vcc_hi, v5
	v_xor_b32_e32 v5, vcc_lo, v5
	v_and_b32_e32 v97, v97, v5
	v_lshlrev_b32_e32 v5, 28, v96
	v_cmp_gt_i64_e32 vcc, 0, v[4:5]
	v_not_b32_e32 v5, v5
	v_ashrrev_i32_e32 v5, 31, v5
	v_and_b32_e32 v98, v98, v99
	;; [unrolled: 8-line block ×5, first 2 shown]
	v_xor_b32_e32 v99, vcc_hi, v5
	v_xor_b32_e32 v5, vcc_lo, v5
	v_and_b32_e32 v98, v98, v99
	v_and_b32_e32 v99, v97, v5
	v_lshlrev_b32_e32 v5, 24, v96
	v_cmp_gt_i64_e32 vcc, 0, v[4:5]
	v_not_b32_e32 v5, v5
	v_ashrrev_i32_e32 v5, 31, v5
	v_xor_b32_e32 v96, vcc_hi, v5
	v_xor_b32_e32 v5, vcc_lo, v5
	v_and_b32_e32 v97, v98, v96
	v_and_b32_e32 v96, v99, v5
	v_mbcnt_lo_u32_b32 v5, v96, 0
	v_mbcnt_hi_u32_b32 v193, v97, v5
	v_cmp_eq_u32_e32 vcc, 0, v193
	v_cmp_ne_u64_e64 s[36:37], 0, v[96:97]
	s_and_b64 s[38:39], s[36:37], vcc
	; wave barrier
	s_and_saveexec_b64 s[36:37], s[38:39]
	s_cbranch_execz .LBB810_1026
; %bb.1025:                             ;   in Loop: Header=BB810_982 Depth=2
	v_bcnt_u32_b32 v5, v96, 0
	v_bcnt_u32_b32 v5, v97, v5
	s_waitcnt lgkmcnt(0)
	v_add_u32_e32 v5, v191, v5
	ds_write_b32 v192, v5
.LBB810_1026:                           ;   in Loop: Header=BB810_982 Depth=2
	s_or_b64 exec, exec, s[36:37]
	s_waitcnt vmcnt(10)
	v_xor_b32_e32 v73, 0x80000000, v73
	v_lshrrev_b64 v[96:97], s84, v[72:73]
	v_and_b32_e32 v96, s68, v96
	v_mul_u32_u24_e32 v5, 5, v96
	v_add_lshl_u32 v5, v5, v181, 2
	; wave barrier
	v_add_u32_e32 v195, 0x410, v5
	ds_read_b32 v194, v5 offset:1040
	v_and_b32_e32 v5, 1, v96
	v_add_co_u32_e32 v97, vcc, -1, v5
	v_addc_co_u32_e64 v98, s[36:37], 0, -1, vcc
	v_cmp_ne_u32_e32 vcc, 0, v5
	v_xor_b32_e32 v5, vcc_hi, v98
	v_and_b32_e32 v98, exec_hi, v5
	v_lshlrev_b32_e32 v5, 30, v96
	v_xor_b32_e32 v97, vcc_lo, v97
	v_cmp_gt_i64_e32 vcc, 0, v[4:5]
	v_not_b32_e32 v5, v5
	v_ashrrev_i32_e32 v5, 31, v5
	v_and_b32_e32 v97, exec_lo, v97
	v_xor_b32_e32 v99, vcc_hi, v5
	v_xor_b32_e32 v5, vcc_lo, v5
	v_and_b32_e32 v97, v97, v5
	v_lshlrev_b32_e32 v5, 29, v96
	v_cmp_gt_i64_e32 vcc, 0, v[4:5]
	v_not_b32_e32 v5, v5
	v_ashrrev_i32_e32 v5, 31, v5
	v_and_b32_e32 v98, v98, v99
	v_xor_b32_e32 v99, vcc_hi, v5
	v_xor_b32_e32 v5, vcc_lo, v5
	v_and_b32_e32 v97, v97, v5
	v_lshlrev_b32_e32 v5, 28, v96
	v_cmp_gt_i64_e32 vcc, 0, v[4:5]
	v_not_b32_e32 v5, v5
	v_ashrrev_i32_e32 v5, 31, v5
	v_and_b32_e32 v98, v98, v99
	;; [unrolled: 8-line block ×5, first 2 shown]
	v_xor_b32_e32 v99, vcc_hi, v5
	v_xor_b32_e32 v5, vcc_lo, v5
	v_and_b32_e32 v98, v98, v99
	v_and_b32_e32 v99, v97, v5
	v_lshlrev_b32_e32 v5, 24, v96
	v_cmp_gt_i64_e32 vcc, 0, v[4:5]
	v_not_b32_e32 v5, v5
	v_ashrrev_i32_e32 v5, 31, v5
	v_xor_b32_e32 v96, vcc_hi, v5
	v_xor_b32_e32 v5, vcc_lo, v5
	v_and_b32_e32 v97, v98, v96
	v_and_b32_e32 v96, v99, v5
	v_mbcnt_lo_u32_b32 v5, v96, 0
	v_mbcnt_hi_u32_b32 v196, v97, v5
	v_cmp_eq_u32_e32 vcc, 0, v196
	v_cmp_ne_u64_e64 s[36:37], 0, v[96:97]
	s_and_b64 s[38:39], s[36:37], vcc
	; wave barrier
	s_and_saveexec_b64 s[36:37], s[38:39]
	s_cbranch_execz .LBB810_1028
; %bb.1027:                             ;   in Loop: Header=BB810_982 Depth=2
	v_bcnt_u32_b32 v5, v96, 0
	v_bcnt_u32_b32 v5, v97, v5
	s_waitcnt lgkmcnt(0)
	v_add_u32_e32 v5, v194, v5
	ds_write_b32 v195, v5
.LBB810_1028:                           ;   in Loop: Header=BB810_982 Depth=2
	s_or_b64 exec, exec, s[36:37]
	s_waitcnt vmcnt(9)
	v_xor_b32_e32 v75, 0x80000000, v75
	v_lshrrev_b64 v[96:97], s84, v[74:75]
	v_and_b32_e32 v96, s68, v96
	v_mul_u32_u24_e32 v5, 5, v96
	v_add_lshl_u32 v5, v5, v181, 2
	; wave barrier
	v_add_u32_e32 v198, 0x410, v5
	ds_read_b32 v197, v5 offset:1040
	v_and_b32_e32 v5, 1, v96
	v_add_co_u32_e32 v97, vcc, -1, v5
	v_addc_co_u32_e64 v98, s[36:37], 0, -1, vcc
	v_cmp_ne_u32_e32 vcc, 0, v5
	v_xor_b32_e32 v5, vcc_hi, v98
	v_and_b32_e32 v98, exec_hi, v5
	v_lshlrev_b32_e32 v5, 30, v96
	v_xor_b32_e32 v97, vcc_lo, v97
	v_cmp_gt_i64_e32 vcc, 0, v[4:5]
	v_not_b32_e32 v5, v5
	v_ashrrev_i32_e32 v5, 31, v5
	v_and_b32_e32 v97, exec_lo, v97
	v_xor_b32_e32 v99, vcc_hi, v5
	v_xor_b32_e32 v5, vcc_lo, v5
	v_and_b32_e32 v97, v97, v5
	v_lshlrev_b32_e32 v5, 29, v96
	v_cmp_gt_i64_e32 vcc, 0, v[4:5]
	v_not_b32_e32 v5, v5
	v_ashrrev_i32_e32 v5, 31, v5
	v_and_b32_e32 v98, v98, v99
	v_xor_b32_e32 v99, vcc_hi, v5
	v_xor_b32_e32 v5, vcc_lo, v5
	v_and_b32_e32 v97, v97, v5
	v_lshlrev_b32_e32 v5, 28, v96
	v_cmp_gt_i64_e32 vcc, 0, v[4:5]
	v_not_b32_e32 v5, v5
	v_ashrrev_i32_e32 v5, 31, v5
	v_and_b32_e32 v98, v98, v99
	;; [unrolled: 8-line block ×5, first 2 shown]
	v_xor_b32_e32 v99, vcc_hi, v5
	v_xor_b32_e32 v5, vcc_lo, v5
	v_and_b32_e32 v98, v98, v99
	v_and_b32_e32 v99, v97, v5
	v_lshlrev_b32_e32 v5, 24, v96
	v_cmp_gt_i64_e32 vcc, 0, v[4:5]
	v_not_b32_e32 v5, v5
	v_ashrrev_i32_e32 v5, 31, v5
	v_xor_b32_e32 v96, vcc_hi, v5
	v_xor_b32_e32 v5, vcc_lo, v5
	v_and_b32_e32 v97, v98, v96
	v_and_b32_e32 v96, v99, v5
	v_mbcnt_lo_u32_b32 v5, v96, 0
	v_mbcnt_hi_u32_b32 v199, v97, v5
	v_cmp_eq_u32_e32 vcc, 0, v199
	v_cmp_ne_u64_e64 s[36:37], 0, v[96:97]
	s_and_b64 s[38:39], s[36:37], vcc
	; wave barrier
	s_and_saveexec_b64 s[36:37], s[38:39]
	s_cbranch_execz .LBB810_1030
; %bb.1029:                             ;   in Loop: Header=BB810_982 Depth=2
	v_bcnt_u32_b32 v5, v96, 0
	v_bcnt_u32_b32 v5, v97, v5
	s_waitcnt lgkmcnt(0)
	v_add_u32_e32 v5, v197, v5
	ds_write_b32 v198, v5
.LBB810_1030:                           ;   in Loop: Header=BB810_982 Depth=2
	s_or_b64 exec, exec, s[36:37]
	s_waitcnt vmcnt(8)
	v_xor_b32_e32 v77, 0x80000000, v77
	v_lshrrev_b64 v[96:97], s84, v[76:77]
	v_and_b32_e32 v96, s68, v96
	v_mul_u32_u24_e32 v5, 5, v96
	v_add_lshl_u32 v5, v5, v181, 2
	; wave barrier
	v_add_u32_e32 v201, 0x410, v5
	ds_read_b32 v200, v5 offset:1040
	v_and_b32_e32 v5, 1, v96
	v_add_co_u32_e32 v97, vcc, -1, v5
	v_addc_co_u32_e64 v98, s[36:37], 0, -1, vcc
	v_cmp_ne_u32_e32 vcc, 0, v5
	v_xor_b32_e32 v5, vcc_hi, v98
	v_and_b32_e32 v98, exec_hi, v5
	v_lshlrev_b32_e32 v5, 30, v96
	v_xor_b32_e32 v97, vcc_lo, v97
	v_cmp_gt_i64_e32 vcc, 0, v[4:5]
	v_not_b32_e32 v5, v5
	v_ashrrev_i32_e32 v5, 31, v5
	v_and_b32_e32 v97, exec_lo, v97
	v_xor_b32_e32 v99, vcc_hi, v5
	v_xor_b32_e32 v5, vcc_lo, v5
	v_and_b32_e32 v97, v97, v5
	v_lshlrev_b32_e32 v5, 29, v96
	v_cmp_gt_i64_e32 vcc, 0, v[4:5]
	v_not_b32_e32 v5, v5
	v_ashrrev_i32_e32 v5, 31, v5
	v_and_b32_e32 v98, v98, v99
	v_xor_b32_e32 v99, vcc_hi, v5
	v_xor_b32_e32 v5, vcc_lo, v5
	v_and_b32_e32 v97, v97, v5
	v_lshlrev_b32_e32 v5, 28, v96
	v_cmp_gt_i64_e32 vcc, 0, v[4:5]
	v_not_b32_e32 v5, v5
	v_ashrrev_i32_e32 v5, 31, v5
	v_and_b32_e32 v98, v98, v99
	;; [unrolled: 8-line block ×5, first 2 shown]
	v_xor_b32_e32 v99, vcc_hi, v5
	v_xor_b32_e32 v5, vcc_lo, v5
	v_and_b32_e32 v98, v98, v99
	v_and_b32_e32 v99, v97, v5
	v_lshlrev_b32_e32 v5, 24, v96
	v_cmp_gt_i64_e32 vcc, 0, v[4:5]
	v_not_b32_e32 v5, v5
	v_ashrrev_i32_e32 v5, 31, v5
	v_xor_b32_e32 v96, vcc_hi, v5
	v_xor_b32_e32 v5, vcc_lo, v5
	v_and_b32_e32 v97, v98, v96
	v_and_b32_e32 v96, v99, v5
	v_mbcnt_lo_u32_b32 v5, v96, 0
	v_mbcnt_hi_u32_b32 v202, v97, v5
	v_cmp_eq_u32_e32 vcc, 0, v202
	v_cmp_ne_u64_e64 s[36:37], 0, v[96:97]
	s_and_b64 s[38:39], s[36:37], vcc
	; wave barrier
	s_and_saveexec_b64 s[36:37], s[38:39]
	s_cbranch_execz .LBB810_1032
; %bb.1031:                             ;   in Loop: Header=BB810_982 Depth=2
	v_bcnt_u32_b32 v5, v96, 0
	v_bcnt_u32_b32 v5, v97, v5
	s_waitcnt lgkmcnt(0)
	v_add_u32_e32 v5, v200, v5
	ds_write_b32 v201, v5
.LBB810_1032:                           ;   in Loop: Header=BB810_982 Depth=2
	s_or_b64 exec, exec, s[36:37]
	s_waitcnt vmcnt(7)
	v_xor_b32_e32 v79, 0x80000000, v79
	v_lshrrev_b64 v[96:97], s84, v[78:79]
	v_and_b32_e32 v96, s68, v96
	v_mul_u32_u24_e32 v5, 5, v96
	v_add_lshl_u32 v5, v5, v181, 2
	; wave barrier
	v_add_u32_e32 v204, 0x410, v5
	ds_read_b32 v203, v5 offset:1040
	v_and_b32_e32 v5, 1, v96
	v_add_co_u32_e32 v97, vcc, -1, v5
	v_addc_co_u32_e64 v98, s[36:37], 0, -1, vcc
	v_cmp_ne_u32_e32 vcc, 0, v5
	v_xor_b32_e32 v5, vcc_hi, v98
	v_and_b32_e32 v98, exec_hi, v5
	v_lshlrev_b32_e32 v5, 30, v96
	v_xor_b32_e32 v97, vcc_lo, v97
	v_cmp_gt_i64_e32 vcc, 0, v[4:5]
	v_not_b32_e32 v5, v5
	v_ashrrev_i32_e32 v5, 31, v5
	v_and_b32_e32 v97, exec_lo, v97
	v_xor_b32_e32 v99, vcc_hi, v5
	v_xor_b32_e32 v5, vcc_lo, v5
	v_and_b32_e32 v97, v97, v5
	v_lshlrev_b32_e32 v5, 29, v96
	v_cmp_gt_i64_e32 vcc, 0, v[4:5]
	v_not_b32_e32 v5, v5
	v_ashrrev_i32_e32 v5, 31, v5
	v_and_b32_e32 v98, v98, v99
	v_xor_b32_e32 v99, vcc_hi, v5
	v_xor_b32_e32 v5, vcc_lo, v5
	v_and_b32_e32 v97, v97, v5
	v_lshlrev_b32_e32 v5, 28, v96
	v_cmp_gt_i64_e32 vcc, 0, v[4:5]
	v_not_b32_e32 v5, v5
	v_ashrrev_i32_e32 v5, 31, v5
	v_and_b32_e32 v98, v98, v99
	;; [unrolled: 8-line block ×5, first 2 shown]
	v_xor_b32_e32 v99, vcc_hi, v5
	v_xor_b32_e32 v5, vcc_lo, v5
	v_and_b32_e32 v98, v98, v99
	v_and_b32_e32 v99, v97, v5
	v_lshlrev_b32_e32 v5, 24, v96
	v_cmp_gt_i64_e32 vcc, 0, v[4:5]
	v_not_b32_e32 v5, v5
	v_ashrrev_i32_e32 v5, 31, v5
	v_xor_b32_e32 v96, vcc_hi, v5
	v_xor_b32_e32 v5, vcc_lo, v5
	v_and_b32_e32 v97, v98, v96
	v_and_b32_e32 v96, v99, v5
	v_mbcnt_lo_u32_b32 v5, v96, 0
	v_mbcnt_hi_u32_b32 v205, v97, v5
	v_cmp_eq_u32_e32 vcc, 0, v205
	v_cmp_ne_u64_e64 s[36:37], 0, v[96:97]
	s_and_b64 s[38:39], s[36:37], vcc
	; wave barrier
	s_and_saveexec_b64 s[36:37], s[38:39]
	s_cbranch_execz .LBB810_1034
; %bb.1033:                             ;   in Loop: Header=BB810_982 Depth=2
	v_bcnt_u32_b32 v5, v96, 0
	v_bcnt_u32_b32 v5, v97, v5
	s_waitcnt lgkmcnt(0)
	v_add_u32_e32 v5, v203, v5
	ds_write_b32 v204, v5
.LBB810_1034:                           ;   in Loop: Header=BB810_982 Depth=2
	s_or_b64 exec, exec, s[36:37]
	s_waitcnt vmcnt(6)
	v_xor_b32_e32 v81, 0x80000000, v81
	v_lshrrev_b64 v[96:97], s84, v[80:81]
	v_and_b32_e32 v96, s68, v96
	v_mul_u32_u24_e32 v5, 5, v96
	v_add_lshl_u32 v5, v5, v181, 2
	; wave barrier
	v_add_u32_e32 v207, 0x410, v5
	ds_read_b32 v206, v5 offset:1040
	v_and_b32_e32 v5, 1, v96
	v_add_co_u32_e32 v97, vcc, -1, v5
	v_addc_co_u32_e64 v98, s[36:37], 0, -1, vcc
	v_cmp_ne_u32_e32 vcc, 0, v5
	v_xor_b32_e32 v5, vcc_hi, v98
	v_and_b32_e32 v98, exec_hi, v5
	v_lshlrev_b32_e32 v5, 30, v96
	v_xor_b32_e32 v97, vcc_lo, v97
	v_cmp_gt_i64_e32 vcc, 0, v[4:5]
	v_not_b32_e32 v5, v5
	v_ashrrev_i32_e32 v5, 31, v5
	v_and_b32_e32 v97, exec_lo, v97
	v_xor_b32_e32 v99, vcc_hi, v5
	v_xor_b32_e32 v5, vcc_lo, v5
	v_and_b32_e32 v97, v97, v5
	v_lshlrev_b32_e32 v5, 29, v96
	v_cmp_gt_i64_e32 vcc, 0, v[4:5]
	v_not_b32_e32 v5, v5
	v_ashrrev_i32_e32 v5, 31, v5
	v_and_b32_e32 v98, v98, v99
	v_xor_b32_e32 v99, vcc_hi, v5
	v_xor_b32_e32 v5, vcc_lo, v5
	v_and_b32_e32 v97, v97, v5
	v_lshlrev_b32_e32 v5, 28, v96
	v_cmp_gt_i64_e32 vcc, 0, v[4:5]
	v_not_b32_e32 v5, v5
	v_ashrrev_i32_e32 v5, 31, v5
	v_and_b32_e32 v98, v98, v99
	;; [unrolled: 8-line block ×5, first 2 shown]
	v_xor_b32_e32 v99, vcc_hi, v5
	v_xor_b32_e32 v5, vcc_lo, v5
	v_and_b32_e32 v98, v98, v99
	v_and_b32_e32 v99, v97, v5
	v_lshlrev_b32_e32 v5, 24, v96
	v_cmp_gt_i64_e32 vcc, 0, v[4:5]
	v_not_b32_e32 v5, v5
	v_ashrrev_i32_e32 v5, 31, v5
	v_xor_b32_e32 v96, vcc_hi, v5
	v_xor_b32_e32 v5, vcc_lo, v5
	v_and_b32_e32 v97, v98, v96
	v_and_b32_e32 v96, v99, v5
	v_mbcnt_lo_u32_b32 v5, v96, 0
	v_mbcnt_hi_u32_b32 v208, v97, v5
	v_cmp_eq_u32_e32 vcc, 0, v208
	v_cmp_ne_u64_e64 s[36:37], 0, v[96:97]
	s_and_b64 s[38:39], s[36:37], vcc
	; wave barrier
	s_and_saveexec_b64 s[36:37], s[38:39]
	s_cbranch_execz .LBB810_1036
; %bb.1035:                             ;   in Loop: Header=BB810_982 Depth=2
	v_bcnt_u32_b32 v5, v96, 0
	v_bcnt_u32_b32 v5, v97, v5
	s_waitcnt lgkmcnt(0)
	v_add_u32_e32 v5, v206, v5
	ds_write_b32 v207, v5
.LBB810_1036:                           ;   in Loop: Header=BB810_982 Depth=2
	s_or_b64 exec, exec, s[36:37]
	s_waitcnt vmcnt(5)
	v_xor_b32_e32 v83, 0x80000000, v83
	v_lshrrev_b64 v[96:97], s84, v[82:83]
	v_and_b32_e32 v96, s68, v96
	v_mul_u32_u24_e32 v5, 5, v96
	v_add_lshl_u32 v5, v5, v181, 2
	; wave barrier
	v_add_u32_e32 v210, 0x410, v5
	ds_read_b32 v209, v5 offset:1040
	v_and_b32_e32 v5, 1, v96
	v_add_co_u32_e32 v97, vcc, -1, v5
	v_addc_co_u32_e64 v98, s[36:37], 0, -1, vcc
	v_cmp_ne_u32_e32 vcc, 0, v5
	v_xor_b32_e32 v5, vcc_hi, v98
	v_and_b32_e32 v98, exec_hi, v5
	v_lshlrev_b32_e32 v5, 30, v96
	v_xor_b32_e32 v97, vcc_lo, v97
	v_cmp_gt_i64_e32 vcc, 0, v[4:5]
	v_not_b32_e32 v5, v5
	v_ashrrev_i32_e32 v5, 31, v5
	v_and_b32_e32 v97, exec_lo, v97
	v_xor_b32_e32 v99, vcc_hi, v5
	v_xor_b32_e32 v5, vcc_lo, v5
	v_and_b32_e32 v97, v97, v5
	v_lshlrev_b32_e32 v5, 29, v96
	v_cmp_gt_i64_e32 vcc, 0, v[4:5]
	v_not_b32_e32 v5, v5
	v_ashrrev_i32_e32 v5, 31, v5
	v_and_b32_e32 v98, v98, v99
	v_xor_b32_e32 v99, vcc_hi, v5
	v_xor_b32_e32 v5, vcc_lo, v5
	v_and_b32_e32 v97, v97, v5
	v_lshlrev_b32_e32 v5, 28, v96
	v_cmp_gt_i64_e32 vcc, 0, v[4:5]
	v_not_b32_e32 v5, v5
	v_ashrrev_i32_e32 v5, 31, v5
	v_and_b32_e32 v98, v98, v99
	;; [unrolled: 8-line block ×5, first 2 shown]
	v_xor_b32_e32 v99, vcc_hi, v5
	v_xor_b32_e32 v5, vcc_lo, v5
	v_and_b32_e32 v98, v98, v99
	v_and_b32_e32 v99, v97, v5
	v_lshlrev_b32_e32 v5, 24, v96
	v_cmp_gt_i64_e32 vcc, 0, v[4:5]
	v_not_b32_e32 v5, v5
	v_ashrrev_i32_e32 v5, 31, v5
	v_xor_b32_e32 v96, vcc_hi, v5
	v_xor_b32_e32 v5, vcc_lo, v5
	v_and_b32_e32 v97, v98, v96
	v_and_b32_e32 v96, v99, v5
	v_mbcnt_lo_u32_b32 v5, v96, 0
	v_mbcnt_hi_u32_b32 v211, v97, v5
	v_cmp_eq_u32_e32 vcc, 0, v211
	v_cmp_ne_u64_e64 s[36:37], 0, v[96:97]
	s_and_b64 s[38:39], s[36:37], vcc
	; wave barrier
	s_and_saveexec_b64 s[36:37], s[38:39]
	s_cbranch_execz .LBB810_1038
; %bb.1037:                             ;   in Loop: Header=BB810_982 Depth=2
	v_bcnt_u32_b32 v5, v96, 0
	v_bcnt_u32_b32 v5, v97, v5
	s_waitcnt lgkmcnt(0)
	v_add_u32_e32 v5, v209, v5
	ds_write_b32 v210, v5
.LBB810_1038:                           ;   in Loop: Header=BB810_982 Depth=2
	s_or_b64 exec, exec, s[36:37]
	s_waitcnt vmcnt(4)
	v_xor_b32_e32 v85, 0x80000000, v85
	v_lshrrev_b64 v[96:97], s84, v[84:85]
	v_and_b32_e32 v96, s68, v96
	v_mul_u32_u24_e32 v5, 5, v96
	v_add_lshl_u32 v5, v5, v181, 2
	; wave barrier
	v_add_u32_e32 v213, 0x410, v5
	ds_read_b32 v212, v5 offset:1040
	v_and_b32_e32 v5, 1, v96
	v_add_co_u32_e32 v97, vcc, -1, v5
	v_addc_co_u32_e64 v98, s[36:37], 0, -1, vcc
	v_cmp_ne_u32_e32 vcc, 0, v5
	v_xor_b32_e32 v5, vcc_hi, v98
	v_and_b32_e32 v98, exec_hi, v5
	v_lshlrev_b32_e32 v5, 30, v96
	v_xor_b32_e32 v97, vcc_lo, v97
	v_cmp_gt_i64_e32 vcc, 0, v[4:5]
	v_not_b32_e32 v5, v5
	v_ashrrev_i32_e32 v5, 31, v5
	v_and_b32_e32 v97, exec_lo, v97
	v_xor_b32_e32 v99, vcc_hi, v5
	v_xor_b32_e32 v5, vcc_lo, v5
	v_and_b32_e32 v97, v97, v5
	v_lshlrev_b32_e32 v5, 29, v96
	v_cmp_gt_i64_e32 vcc, 0, v[4:5]
	v_not_b32_e32 v5, v5
	v_ashrrev_i32_e32 v5, 31, v5
	v_and_b32_e32 v98, v98, v99
	v_xor_b32_e32 v99, vcc_hi, v5
	v_xor_b32_e32 v5, vcc_lo, v5
	v_and_b32_e32 v97, v97, v5
	v_lshlrev_b32_e32 v5, 28, v96
	v_cmp_gt_i64_e32 vcc, 0, v[4:5]
	v_not_b32_e32 v5, v5
	v_ashrrev_i32_e32 v5, 31, v5
	v_and_b32_e32 v98, v98, v99
	;; [unrolled: 8-line block ×5, first 2 shown]
	v_xor_b32_e32 v99, vcc_hi, v5
	v_xor_b32_e32 v5, vcc_lo, v5
	v_and_b32_e32 v98, v98, v99
	v_and_b32_e32 v99, v97, v5
	v_lshlrev_b32_e32 v5, 24, v96
	v_cmp_gt_i64_e32 vcc, 0, v[4:5]
	v_not_b32_e32 v5, v5
	v_ashrrev_i32_e32 v5, 31, v5
	v_xor_b32_e32 v96, vcc_hi, v5
	v_xor_b32_e32 v5, vcc_lo, v5
	v_and_b32_e32 v97, v98, v96
	v_and_b32_e32 v96, v99, v5
	v_mbcnt_lo_u32_b32 v5, v96, 0
	v_mbcnt_hi_u32_b32 v214, v97, v5
	v_cmp_eq_u32_e32 vcc, 0, v214
	v_cmp_ne_u64_e64 s[36:37], 0, v[96:97]
	s_and_b64 s[38:39], s[36:37], vcc
	; wave barrier
	s_and_saveexec_b64 s[36:37], s[38:39]
	s_cbranch_execz .LBB810_1040
; %bb.1039:                             ;   in Loop: Header=BB810_982 Depth=2
	v_bcnt_u32_b32 v5, v96, 0
	v_bcnt_u32_b32 v5, v97, v5
	s_waitcnt lgkmcnt(0)
	v_add_u32_e32 v5, v212, v5
	ds_write_b32 v213, v5
.LBB810_1040:                           ;   in Loop: Header=BB810_982 Depth=2
	s_or_b64 exec, exec, s[36:37]
	s_waitcnt vmcnt(3)
	v_xor_b32_e32 v87, 0x80000000, v87
	v_lshrrev_b64 v[96:97], s84, v[86:87]
	v_and_b32_e32 v96, s68, v96
	v_mul_u32_u24_e32 v5, 5, v96
	v_add_lshl_u32 v5, v5, v181, 2
	; wave barrier
	v_add_u32_e32 v216, 0x410, v5
	ds_read_b32 v215, v5 offset:1040
	v_and_b32_e32 v5, 1, v96
	v_add_co_u32_e32 v97, vcc, -1, v5
	v_addc_co_u32_e64 v98, s[36:37], 0, -1, vcc
	v_cmp_ne_u32_e32 vcc, 0, v5
	v_xor_b32_e32 v5, vcc_hi, v98
	v_and_b32_e32 v98, exec_hi, v5
	v_lshlrev_b32_e32 v5, 30, v96
	v_xor_b32_e32 v97, vcc_lo, v97
	v_cmp_gt_i64_e32 vcc, 0, v[4:5]
	v_not_b32_e32 v5, v5
	v_ashrrev_i32_e32 v5, 31, v5
	v_and_b32_e32 v97, exec_lo, v97
	v_xor_b32_e32 v99, vcc_hi, v5
	v_xor_b32_e32 v5, vcc_lo, v5
	v_and_b32_e32 v97, v97, v5
	v_lshlrev_b32_e32 v5, 29, v96
	v_cmp_gt_i64_e32 vcc, 0, v[4:5]
	v_not_b32_e32 v5, v5
	v_ashrrev_i32_e32 v5, 31, v5
	v_and_b32_e32 v98, v98, v99
	v_xor_b32_e32 v99, vcc_hi, v5
	v_xor_b32_e32 v5, vcc_lo, v5
	v_and_b32_e32 v97, v97, v5
	v_lshlrev_b32_e32 v5, 28, v96
	v_cmp_gt_i64_e32 vcc, 0, v[4:5]
	v_not_b32_e32 v5, v5
	v_ashrrev_i32_e32 v5, 31, v5
	v_and_b32_e32 v98, v98, v99
	;; [unrolled: 8-line block ×5, first 2 shown]
	v_xor_b32_e32 v99, vcc_hi, v5
	v_xor_b32_e32 v5, vcc_lo, v5
	v_and_b32_e32 v98, v98, v99
	v_and_b32_e32 v99, v97, v5
	v_lshlrev_b32_e32 v5, 24, v96
	v_cmp_gt_i64_e32 vcc, 0, v[4:5]
	v_not_b32_e32 v5, v5
	v_ashrrev_i32_e32 v5, 31, v5
	v_xor_b32_e32 v96, vcc_hi, v5
	v_xor_b32_e32 v5, vcc_lo, v5
	v_and_b32_e32 v97, v98, v96
	v_and_b32_e32 v96, v99, v5
	v_mbcnt_lo_u32_b32 v5, v96, 0
	v_mbcnt_hi_u32_b32 v217, v97, v5
	v_cmp_eq_u32_e32 vcc, 0, v217
	v_cmp_ne_u64_e64 s[36:37], 0, v[96:97]
	s_and_b64 s[38:39], s[36:37], vcc
	; wave barrier
	s_and_saveexec_b64 s[36:37], s[38:39]
	s_cbranch_execz .LBB810_1042
; %bb.1041:                             ;   in Loop: Header=BB810_982 Depth=2
	v_bcnt_u32_b32 v5, v96, 0
	v_bcnt_u32_b32 v5, v97, v5
	s_waitcnt lgkmcnt(0)
	v_add_u32_e32 v5, v215, v5
	ds_write_b32 v216, v5
.LBB810_1042:                           ;   in Loop: Header=BB810_982 Depth=2
	s_or_b64 exec, exec, s[36:37]
	s_waitcnt vmcnt(2)
	v_xor_b32_e32 v89, 0x80000000, v89
	v_lshrrev_b64 v[96:97], s84, v[88:89]
	v_and_b32_e32 v96, s68, v96
	v_mul_u32_u24_e32 v5, 5, v96
	v_add_lshl_u32 v5, v5, v181, 2
	; wave barrier
	v_add_u32_e32 v219, 0x410, v5
	ds_read_b32 v218, v5 offset:1040
	v_and_b32_e32 v5, 1, v96
	v_add_co_u32_e32 v97, vcc, -1, v5
	v_addc_co_u32_e64 v98, s[36:37], 0, -1, vcc
	v_cmp_ne_u32_e32 vcc, 0, v5
	v_xor_b32_e32 v5, vcc_hi, v98
	v_and_b32_e32 v98, exec_hi, v5
	v_lshlrev_b32_e32 v5, 30, v96
	v_xor_b32_e32 v97, vcc_lo, v97
	v_cmp_gt_i64_e32 vcc, 0, v[4:5]
	v_not_b32_e32 v5, v5
	v_ashrrev_i32_e32 v5, 31, v5
	v_and_b32_e32 v97, exec_lo, v97
	v_xor_b32_e32 v99, vcc_hi, v5
	v_xor_b32_e32 v5, vcc_lo, v5
	v_and_b32_e32 v97, v97, v5
	v_lshlrev_b32_e32 v5, 29, v96
	v_cmp_gt_i64_e32 vcc, 0, v[4:5]
	v_not_b32_e32 v5, v5
	v_ashrrev_i32_e32 v5, 31, v5
	v_and_b32_e32 v98, v98, v99
	v_xor_b32_e32 v99, vcc_hi, v5
	v_xor_b32_e32 v5, vcc_lo, v5
	v_and_b32_e32 v97, v97, v5
	v_lshlrev_b32_e32 v5, 28, v96
	v_cmp_gt_i64_e32 vcc, 0, v[4:5]
	v_not_b32_e32 v5, v5
	v_ashrrev_i32_e32 v5, 31, v5
	v_and_b32_e32 v98, v98, v99
	;; [unrolled: 8-line block ×5, first 2 shown]
	v_xor_b32_e32 v99, vcc_hi, v5
	v_xor_b32_e32 v5, vcc_lo, v5
	v_and_b32_e32 v98, v98, v99
	v_and_b32_e32 v99, v97, v5
	v_lshlrev_b32_e32 v5, 24, v96
	v_cmp_gt_i64_e32 vcc, 0, v[4:5]
	v_not_b32_e32 v5, v5
	v_ashrrev_i32_e32 v5, 31, v5
	v_xor_b32_e32 v96, vcc_hi, v5
	v_xor_b32_e32 v5, vcc_lo, v5
	v_and_b32_e32 v97, v98, v96
	v_and_b32_e32 v96, v99, v5
	v_mbcnt_lo_u32_b32 v5, v96, 0
	v_mbcnt_hi_u32_b32 v220, v97, v5
	v_cmp_eq_u32_e32 vcc, 0, v220
	v_cmp_ne_u64_e64 s[36:37], 0, v[96:97]
	s_and_b64 s[38:39], s[36:37], vcc
	; wave barrier
	s_and_saveexec_b64 s[36:37], s[38:39]
	s_cbranch_execz .LBB810_1044
; %bb.1043:                             ;   in Loop: Header=BB810_982 Depth=2
	v_bcnt_u32_b32 v5, v96, 0
	v_bcnt_u32_b32 v5, v97, v5
	s_waitcnt lgkmcnt(0)
	v_add_u32_e32 v5, v218, v5
	ds_write_b32 v219, v5
.LBB810_1044:                           ;   in Loop: Header=BB810_982 Depth=2
	s_or_b64 exec, exec, s[36:37]
	s_waitcnt vmcnt(1)
	v_xor_b32_e32 v91, 0x80000000, v91
	v_lshrrev_b64 v[96:97], s84, v[90:91]
	v_and_b32_e32 v96, s68, v96
	v_mul_u32_u24_e32 v5, 5, v96
	v_add_lshl_u32 v5, v5, v181, 2
	; wave barrier
	v_add_u32_e32 v222, 0x410, v5
	ds_read_b32 v221, v5 offset:1040
	v_and_b32_e32 v5, 1, v96
	v_add_co_u32_e32 v97, vcc, -1, v5
	v_addc_co_u32_e64 v98, s[36:37], 0, -1, vcc
	v_cmp_ne_u32_e32 vcc, 0, v5
	v_xor_b32_e32 v5, vcc_hi, v98
	v_and_b32_e32 v98, exec_hi, v5
	v_lshlrev_b32_e32 v5, 30, v96
	v_xor_b32_e32 v97, vcc_lo, v97
	v_cmp_gt_i64_e32 vcc, 0, v[4:5]
	v_not_b32_e32 v5, v5
	v_ashrrev_i32_e32 v5, 31, v5
	v_and_b32_e32 v97, exec_lo, v97
	v_xor_b32_e32 v99, vcc_hi, v5
	v_xor_b32_e32 v5, vcc_lo, v5
	v_and_b32_e32 v97, v97, v5
	v_lshlrev_b32_e32 v5, 29, v96
	v_cmp_gt_i64_e32 vcc, 0, v[4:5]
	v_not_b32_e32 v5, v5
	v_ashrrev_i32_e32 v5, 31, v5
	v_and_b32_e32 v98, v98, v99
	v_xor_b32_e32 v99, vcc_hi, v5
	v_xor_b32_e32 v5, vcc_lo, v5
	v_and_b32_e32 v97, v97, v5
	v_lshlrev_b32_e32 v5, 28, v96
	v_cmp_gt_i64_e32 vcc, 0, v[4:5]
	v_not_b32_e32 v5, v5
	v_ashrrev_i32_e32 v5, 31, v5
	v_and_b32_e32 v98, v98, v99
	;; [unrolled: 8-line block ×5, first 2 shown]
	v_xor_b32_e32 v99, vcc_hi, v5
	v_xor_b32_e32 v5, vcc_lo, v5
	v_and_b32_e32 v98, v98, v99
	v_and_b32_e32 v99, v97, v5
	v_lshlrev_b32_e32 v5, 24, v96
	v_cmp_gt_i64_e32 vcc, 0, v[4:5]
	v_not_b32_e32 v5, v5
	v_ashrrev_i32_e32 v5, 31, v5
	v_xor_b32_e32 v96, vcc_hi, v5
	v_xor_b32_e32 v5, vcc_lo, v5
	v_and_b32_e32 v97, v98, v96
	v_and_b32_e32 v96, v99, v5
	v_mbcnt_lo_u32_b32 v5, v96, 0
	v_mbcnt_hi_u32_b32 v223, v97, v5
	v_cmp_eq_u32_e32 vcc, 0, v223
	v_cmp_ne_u64_e64 s[36:37], 0, v[96:97]
	s_and_b64 s[38:39], s[36:37], vcc
	; wave barrier
	s_and_saveexec_b64 s[36:37], s[38:39]
	s_cbranch_execz .LBB810_1046
; %bb.1045:                             ;   in Loop: Header=BB810_982 Depth=2
	v_bcnt_u32_b32 v5, v96, 0
	v_bcnt_u32_b32 v5, v97, v5
	s_waitcnt lgkmcnt(0)
	v_add_u32_e32 v5, v221, v5
	ds_write_b32 v222, v5
.LBB810_1046:                           ;   in Loop: Header=BB810_982 Depth=2
	s_or_b64 exec, exec, s[36:37]
	s_waitcnt vmcnt(0)
	v_xor_b32_e32 v93, 0x80000000, v93
	v_lshrrev_b64 v[96:97], s84, v[92:93]
	v_and_b32_e32 v96, s68, v96
	v_mul_u32_u24_e32 v5, 5, v96
	v_add_lshl_u32 v5, v5, v181, 2
	; wave barrier
	v_add_u32_e32 v225, 0x410, v5
	ds_read_b32 v224, v5 offset:1040
	v_and_b32_e32 v5, 1, v96
	v_add_co_u32_e32 v97, vcc, -1, v5
	v_addc_co_u32_e64 v98, s[36:37], 0, -1, vcc
	v_cmp_ne_u32_e32 vcc, 0, v5
	v_xor_b32_e32 v5, vcc_hi, v98
	v_and_b32_e32 v98, exec_hi, v5
	v_lshlrev_b32_e32 v5, 30, v96
	v_xor_b32_e32 v97, vcc_lo, v97
	v_cmp_gt_i64_e32 vcc, 0, v[4:5]
	v_not_b32_e32 v5, v5
	v_ashrrev_i32_e32 v5, 31, v5
	v_and_b32_e32 v97, exec_lo, v97
	v_xor_b32_e32 v99, vcc_hi, v5
	v_xor_b32_e32 v5, vcc_lo, v5
	v_and_b32_e32 v97, v97, v5
	v_lshlrev_b32_e32 v5, 29, v96
	v_cmp_gt_i64_e32 vcc, 0, v[4:5]
	v_not_b32_e32 v5, v5
	v_ashrrev_i32_e32 v5, 31, v5
	v_and_b32_e32 v98, v98, v99
	v_xor_b32_e32 v99, vcc_hi, v5
	v_xor_b32_e32 v5, vcc_lo, v5
	v_and_b32_e32 v97, v97, v5
	v_lshlrev_b32_e32 v5, 28, v96
	v_cmp_gt_i64_e32 vcc, 0, v[4:5]
	v_not_b32_e32 v5, v5
	v_ashrrev_i32_e32 v5, 31, v5
	v_and_b32_e32 v98, v98, v99
	;; [unrolled: 8-line block ×5, first 2 shown]
	v_xor_b32_e32 v99, vcc_hi, v5
	v_xor_b32_e32 v5, vcc_lo, v5
	v_and_b32_e32 v98, v98, v99
	v_and_b32_e32 v99, v97, v5
	v_lshlrev_b32_e32 v5, 24, v96
	v_cmp_gt_i64_e32 vcc, 0, v[4:5]
	v_not_b32_e32 v5, v5
	v_ashrrev_i32_e32 v5, 31, v5
	v_xor_b32_e32 v96, vcc_hi, v5
	v_xor_b32_e32 v5, vcc_lo, v5
	v_and_b32_e32 v97, v98, v96
	v_and_b32_e32 v96, v99, v5
	v_mbcnt_lo_u32_b32 v5, v96, 0
	v_mbcnt_hi_u32_b32 v226, v97, v5
	v_cmp_eq_u32_e32 vcc, 0, v226
	v_cmp_ne_u64_e64 s[36:37], 0, v[96:97]
	s_and_b64 s[38:39], s[36:37], vcc
	; wave barrier
	s_and_saveexec_b64 s[36:37], s[38:39]
	s_cbranch_execz .LBB810_1048
; %bb.1047:                             ;   in Loop: Header=BB810_982 Depth=2
	v_bcnt_u32_b32 v5, v96, 0
	v_bcnt_u32_b32 v5, v97, v5
	s_waitcnt lgkmcnt(0)
	v_add_u32_e32 v5, v224, v5
	ds_write_b32 v225, v5
.LBB810_1048:                           ;   in Loop: Header=BB810_982 Depth=2
	s_or_b64 exec, exec, s[36:37]
	v_xor_b32_e32 v95, 0x80000000, v95
	v_lshrrev_b64 v[96:97], s84, v[94:95]
	v_and_b32_e32 v96, s68, v96
	v_mul_u32_u24_e32 v5, 5, v96
	v_add_lshl_u32 v5, v5, v181, 2
	; wave barrier
	v_add_u32_e32 v228, 0x410, v5
	ds_read_b32 v227, v5 offset:1040
	v_and_b32_e32 v5, 1, v96
	v_add_co_u32_e32 v97, vcc, -1, v5
	v_addc_co_u32_e64 v98, s[36:37], 0, -1, vcc
	v_cmp_ne_u32_e32 vcc, 0, v5
	v_xor_b32_e32 v5, vcc_hi, v98
	v_and_b32_e32 v98, exec_hi, v5
	v_lshlrev_b32_e32 v5, 30, v96
	v_xor_b32_e32 v97, vcc_lo, v97
	v_cmp_gt_i64_e32 vcc, 0, v[4:5]
	v_not_b32_e32 v5, v5
	v_ashrrev_i32_e32 v5, 31, v5
	v_and_b32_e32 v97, exec_lo, v97
	v_xor_b32_e32 v99, vcc_hi, v5
	v_xor_b32_e32 v5, vcc_lo, v5
	v_and_b32_e32 v97, v97, v5
	v_lshlrev_b32_e32 v5, 29, v96
	v_cmp_gt_i64_e32 vcc, 0, v[4:5]
	v_not_b32_e32 v5, v5
	v_ashrrev_i32_e32 v5, 31, v5
	v_and_b32_e32 v98, v98, v99
	v_xor_b32_e32 v99, vcc_hi, v5
	v_xor_b32_e32 v5, vcc_lo, v5
	v_and_b32_e32 v97, v97, v5
	v_lshlrev_b32_e32 v5, 28, v96
	v_cmp_gt_i64_e32 vcc, 0, v[4:5]
	v_not_b32_e32 v5, v5
	v_ashrrev_i32_e32 v5, 31, v5
	v_and_b32_e32 v98, v98, v99
	;; [unrolled: 8-line block ×5, first 2 shown]
	v_xor_b32_e32 v99, vcc_hi, v5
	v_xor_b32_e32 v5, vcc_lo, v5
	v_and_b32_e32 v98, v98, v99
	v_and_b32_e32 v99, v97, v5
	v_lshlrev_b32_e32 v5, 24, v96
	v_cmp_gt_i64_e32 vcc, 0, v[4:5]
	v_not_b32_e32 v5, v5
	v_ashrrev_i32_e32 v5, 31, v5
	v_xor_b32_e32 v96, vcc_hi, v5
	v_xor_b32_e32 v5, vcc_lo, v5
	v_and_b32_e32 v97, v98, v96
	v_and_b32_e32 v96, v99, v5
	v_mbcnt_lo_u32_b32 v5, v96, 0
	v_mbcnt_hi_u32_b32 v229, v97, v5
	v_cmp_eq_u32_e32 vcc, 0, v229
	v_cmp_ne_u64_e64 s[36:37], 0, v[96:97]
	s_and_b64 s[38:39], s[36:37], vcc
	; wave barrier
	s_and_saveexec_b64 s[36:37], s[38:39]
	s_cbranch_execz .LBB810_1050
; %bb.1049:                             ;   in Loop: Header=BB810_982 Depth=2
	v_bcnt_u32_b32 v5, v96, 0
	v_bcnt_u32_b32 v5, v97, v5
	s_waitcnt lgkmcnt(0)
	v_add_u32_e32 v5, v227, v5
	ds_write_b32 v228, v5
.LBB810_1050:                           ;   in Loop: Header=BB810_982 Depth=2
	s_or_b64 exec, exec, s[36:37]
	; wave barrier
	s_waitcnt lgkmcnt(0)
	s_barrier
	ds_read_b32 v5, v27 offset:1040
	ds_read2_b32 v[98:99], v31 offset0:1 offset1:2
	ds_read2_b32 v[96:97], v31 offset0:3 offset1:4
	s_waitcnt lgkmcnt(1)
	v_add3_u32 v230, v98, v5, v99
	s_waitcnt lgkmcnt(0)
	v_add3_u32 v97, v230, v96, v97
	s_nop 1
	v_mov_b32_dpp v230, v97 row_shr:1 row_mask:0xf bank_mask:0xf
	v_cndmask_b32_e64 v230, v230, 0, s[16:17]
	v_add_u32_e32 v97, v230, v97
	s_nop 1
	v_mov_b32_dpp v230, v97 row_shr:2 row_mask:0xf bank_mask:0xf
	v_cndmask_b32_e64 v230, 0, v230, s[18:19]
	v_add_u32_e32 v97, v97, v230
	;; [unrolled: 4-line block ×4, first 2 shown]
	s_nop 1
	v_mov_b32_dpp v230, v97 row_bcast:15 row_mask:0xf bank_mask:0xf
	v_cndmask_b32_e64 v230, v230, 0, s[24:25]
	v_add_u32_e32 v97, v97, v230
	s_nop 1
	v_mov_b32_dpp v230, v97 row_bcast:31 row_mask:0xf bank_mask:0xf
	v_cndmask_b32_e64 v230, 0, v230, s[26:27]
	v_add_u32_e32 v97, v97, v230
	s_and_saveexec_b64 s[36:37], s[6:7]
	s_cbranch_execz .LBB810_1052
; %bb.1051:                             ;   in Loop: Header=BB810_982 Depth=2
	ds_write_b32 v15, v97 offset:1024
.LBB810_1052:                           ;   in Loop: Header=BB810_982 Depth=2
	s_or_b64 exec, exec, s[36:37]
	s_waitcnt lgkmcnt(0)
	s_barrier
	s_and_saveexec_b64 s[36:37], s[8:9]
	s_cbranch_execz .LBB810_1054
; %bb.1053:                             ;   in Loop: Header=BB810_982 Depth=2
	ds_read_b32 v230, v33 offset:1024
	s_waitcnt lgkmcnt(0)
	s_nop 0
	v_mov_b32_dpp v231, v230 row_shr:1 row_mask:0xf bank_mask:0xf
	v_cndmask_b32_e64 v231, v231, 0, s[30:31]
	v_add_u32_e32 v230, v231, v230
	s_nop 1
	v_mov_b32_dpp v231, v230 row_shr:2 row_mask:0xf bank_mask:0xf
	v_cndmask_b32_e64 v231, 0, v231, s[34:35]
	v_add_u32_e32 v230, v230, v231
	ds_write_b32 v33, v230 offset:1024
.LBB810_1054:                           ;   in Loop: Header=BB810_982 Depth=2
	s_or_b64 exec, exec, s[36:37]
	v_mov_b32_e32 v230, 0
	s_waitcnt lgkmcnt(0)
	s_barrier
	s_and_saveexec_b64 s[36:37], s[10:11]
	s_cbranch_execz .LBB810_1056
; %bb.1055:                             ;   in Loop: Header=BB810_982 Depth=2
	ds_read_b32 v230, v15 offset:1020
.LBB810_1056:                           ;   in Loop: Header=BB810_982 Depth=2
	s_or_b64 exec, exec, s[36:37]
	s_waitcnt lgkmcnt(0)
	v_add_u32_e32 v97, v230, v97
	ds_bpermute_b32 v97, v158, v97
	s_waitcnt lgkmcnt(0)
	v_cndmask_b32_e64 v97, v97, v230, s[28:29]
	v_cndmask_b32_e64 v97, v97, 0, s[12:13]
	v_add_u32_e32 v5, v97, v5
	ds_write_b32 v27, v97 offset:1040
	v_add_u32_e32 v97, v5, v98
	v_add_u32_e32 v98, v97, v99
	ds_write2_b32 v31, v5, v97 offset0:1 offset1:2
	v_add_u32_e32 v5, v98, v96
	ds_write2_b32 v31, v98, v5 offset0:3 offset1:4
	s_waitcnt lgkmcnt(0)
	s_barrier
	ds_read_b32 v97, v186
	ds_read_b32 v234, v189
	;; [unrolled: 1-line block ×16, first 2 shown]
	ds_read_b32 v183, v27 offset:1040
	v_mov_b32_e32 v5, 0x1000
	s_and_saveexec_b64 s[36:37], s[14:15]
	s_cbranch_execz .LBB810_1058
; %bb.1057:                             ;   in Loop: Header=BB810_982 Depth=2
	ds_read_b32 v5, v27 offset:1060
.LBB810_1058:                           ;   in Loop: Header=BB810_982 Depth=2
	s_or_b64 exec, exec, s[36:37]
	s_waitcnt lgkmcnt(0)
	s_barrier
	s_and_saveexec_b64 s[36:37], s[4:5]
	s_cbranch_execz .LBB810_1060
; %bb.1059:                             ;   in Loop: Header=BB810_982 Depth=2
	ds_read_b32 v207, v3
	s_waitcnt lgkmcnt(0)
	v_sub_u32_e32 v183, v207, v183
	ds_write_b32 v3, v183
.LBB810_1060:                           ;   in Loop: Header=BB810_982 Depth=2
	s_or_b64 exec, exec, s[36:37]
	v_add_u32_e32 v185, v187, v185
	v_add_u32_e32 v188, v190, v188
	v_add_lshl_u32 v96, v96, v184, 3
	v_add_lshl_u32 v97, v185, v97, 3
	v_add_u32_e32 v194, v196, v194
	v_add_u32_e32 v191, v193, v191
	ds_write_b64 v96, v[64:65] offset:1024
	ds_write_b64 v97, v[66:67] offset:1024
	v_add_lshl_u32 v67, v188, v234, 3
	v_add_u32_e32 v206, v208, v206
	v_add_u32_e32 v203, v205, v203
	;; [unrolled: 1-line block ×4, first 2 shown]
	ds_write_b64 v67, v[68:69] offset:1024
	v_add_lshl_u32 v68, v191, v233, 3
	v_add_lshl_u32 v69, v194, v232, 3
	v_add_u32_e32 v183, v229, v227
	v_add_u32_e32 v207, v226, v224
	;; [unrolled: 1-line block ×7, first 2 shown]
	ds_write_b64 v68, v[70:71] offset:1024
	ds_write_b64 v69, v[72:73] offset:1024
	v_add_lshl_u32 v70, v197, v231, 3
	v_add_lshl_u32 v71, v200, v230, 3
	;; [unrolled: 1-line block ×4, first 2 shown]
	ds_write_b64 v70, v[74:75] offset:1024
	ds_write_b64 v71, v[76:77] offset:1024
	;; [unrolled: 1-line block ×4, first 2 shown]
	v_add_lshl_u32 v74, v209, v198, 3
	v_add_lshl_u32 v75, v212, v195, 3
	;; [unrolled: 1-line block ×7, first 2 shown]
	v_cmp_lt_u32_e64 s[36:37], v2, v182
	v_add_u32_e32 v66, v33, v3
	ds_write_b64 v74, v[82:83] offset:1024
	ds_write_b64 v75, v[84:85] offset:1024
	;; [unrolled: 1-line block ×7, first 2 shown]
	s_waitcnt lgkmcnt(0)
	s_barrier
	s_and_saveexec_b64 s[38:39], s[36:37]
	s_cbranch_execz .LBB810_1076
; %bb.1061:                             ;   in Loop: Header=BB810_982 Depth=2
	ds_read_b64 v[64:65], v66 offset:1024
	v_mov_b32_e32 v84, s77
	s_waitcnt lgkmcnt(0)
	v_lshrrev_b64 v[82:83], s84, v[64:65]
	v_and_b32_e32 v81, s68, v82
	v_lshlrev_b32_e32 v81, 2, v81
	ds_read_b32 v81, v81
	v_mov_b32_e32 v83, v4
	v_xor_b32_e32 v65, 0x80000000, v65
	s_waitcnt lgkmcnt(0)
	v_add_u32_e32 v82, v81, v2
	v_lshlrev_b64 v[82:83], 3, v[82:83]
	v_add_co_u32_e32 v82, vcc, s76, v82
	v_addc_co_u32_e32 v83, vcc, v84, v83, vcc
	global_store_dwordx2 v[82:83], v[64:65], off
	s_or_b64 exec, exec, s[38:39]
	v_cmp_lt_u32_e64 s[38:39], v7, v182
	s_and_saveexec_b64 s[40:41], s[38:39]
	s_cbranch_execnz .LBB810_1077
.LBB810_1062:                           ;   in Loop: Header=BB810_982 Depth=2
	s_or_b64 exec, exec, s[40:41]
	v_cmp_lt_u32_e64 s[40:41], v6, v182
	s_and_saveexec_b64 s[42:43], s[40:41]
	s_cbranch_execz .LBB810_1078
.LBB810_1063:                           ;   in Loop: Header=BB810_982 Depth=2
	ds_read_b64 v[64:65], v104 offset:4096
	v_mov_b32_e32 v84, s77
	s_waitcnt lgkmcnt(0)
	v_lshrrev_b64 v[82:83], s84, v[64:65]
	v_and_b32_e32 v81, s68, v82
	v_lshlrev_b32_e32 v81, 2, v81
	ds_read_b32 v81, v81
	v_mov_b32_e32 v83, v4
	v_xor_b32_e32 v65, 0x80000000, v65
	s_waitcnt lgkmcnt(0)
	v_add_u32_e32 v82, v81, v6
	v_lshlrev_b64 v[82:83], 3, v[82:83]
	v_add_co_u32_e32 v82, vcc, s76, v82
	v_addc_co_u32_e32 v83, vcc, v84, v83, vcc
	global_store_dwordx2 v[82:83], v[64:65], off
	s_or_b64 exec, exec, s[42:43]
	v_cmp_lt_u32_e64 s[42:43], v8, v182
	s_and_saveexec_b64 s[44:45], s[42:43]
	s_cbranch_execnz .LBB810_1079
.LBB810_1064:                           ;   in Loop: Header=BB810_982 Depth=2
	s_or_b64 exec, exec, s[44:45]
	v_cmp_lt_u32_e64 s[44:45], v10, v182
	s_and_saveexec_b64 s[46:47], s[44:45]
	s_cbranch_execz .LBB810_1080
.LBB810_1065:                           ;   in Loop: Header=BB810_982 Depth=2
	ds_read_b64 v[64:65], v104 offset:8192
	v_mov_b32_e32 v84, s77
	s_waitcnt lgkmcnt(0)
	v_lshrrev_b64 v[82:83], s84, v[64:65]
	v_and_b32_e32 v81, s68, v82
	v_lshlrev_b32_e32 v81, 2, v81
	ds_read_b32 v81, v81
	v_mov_b32_e32 v83, v4
	v_xor_b32_e32 v65, 0x80000000, v65
	s_waitcnt lgkmcnt(0)
	v_add_u32_e32 v82, v81, v10
	v_lshlrev_b64 v[82:83], 3, v[82:83]
	v_add_co_u32_e32 v82, vcc, s76, v82
	v_addc_co_u32_e32 v83, vcc, v84, v83, vcc
	global_store_dwordx2 v[82:83], v[64:65], off
	s_or_b64 exec, exec, s[46:47]
	v_cmp_lt_u32_e64 s[46:47], v12, v182
	s_and_saveexec_b64 s[48:49], s[46:47]
	s_cbranch_execnz .LBB810_1081
.LBB810_1066:                           ;   in Loop: Header=BB810_982 Depth=2
	s_or_b64 exec, exec, s[48:49]
	v_cmp_lt_u32_e64 s[48:49], v14, v182
	s_and_saveexec_b64 s[50:51], s[48:49]
	s_cbranch_execz .LBB810_1082
.LBB810_1067:                           ;   in Loop: Header=BB810_982 Depth=2
	ds_read_b64 v[64:65], v104 offset:12288
	v_mov_b32_e32 v84, s77
	s_waitcnt lgkmcnt(0)
	v_lshrrev_b64 v[82:83], s84, v[64:65]
	v_and_b32_e32 v81, s68, v82
	v_lshlrev_b32_e32 v81, 2, v81
	ds_read_b32 v81, v81
	v_mov_b32_e32 v83, v4
	v_xor_b32_e32 v65, 0x80000000, v65
	s_waitcnt lgkmcnt(0)
	v_add_u32_e32 v82, v81, v14
	v_lshlrev_b64 v[82:83], 3, v[82:83]
	v_add_co_u32_e32 v82, vcc, s76, v82
	v_addc_co_u32_e32 v83, vcc, v84, v83, vcc
	global_store_dwordx2 v[82:83], v[64:65], off
	s_or_b64 exec, exec, s[50:51]
	v_cmp_lt_u32_e64 s[50:51], v16, v182
	s_and_saveexec_b64 s[52:53], s[50:51]
	s_cbranch_execnz .LBB810_1083
.LBB810_1068:                           ;   in Loop: Header=BB810_982 Depth=2
	s_or_b64 exec, exec, s[52:53]
	v_cmp_lt_u32_e64 s[52:53], v18, v182
	s_and_saveexec_b64 s[54:55], s[52:53]
	s_cbranch_execz .LBB810_1084
.LBB810_1069:                           ;   in Loop: Header=BB810_982 Depth=2
	ds_read_b64 v[64:65], v104 offset:16384
	v_mov_b32_e32 v84, s77
	s_waitcnt lgkmcnt(0)
	v_lshrrev_b64 v[82:83], s84, v[64:65]
	v_and_b32_e32 v81, s68, v82
	v_lshlrev_b32_e32 v81, 2, v81
	ds_read_b32 v81, v81
	v_mov_b32_e32 v83, v4
	v_xor_b32_e32 v65, 0x80000000, v65
	s_waitcnt lgkmcnt(0)
	v_add_u32_e32 v82, v81, v18
	v_lshlrev_b64 v[82:83], 3, v[82:83]
	v_add_co_u32_e32 v82, vcc, s76, v82
	v_addc_co_u32_e32 v83, vcc, v84, v83, vcc
	global_store_dwordx2 v[82:83], v[64:65], off
	s_or_b64 exec, exec, s[54:55]
	v_cmp_lt_u32_e64 s[54:55], v20, v182
	s_and_saveexec_b64 s[56:57], s[54:55]
	s_cbranch_execnz .LBB810_1085
.LBB810_1070:                           ;   in Loop: Header=BB810_982 Depth=2
	s_or_b64 exec, exec, s[56:57]
	v_cmp_lt_u32_e64 s[56:57], v22, v182
	s_and_saveexec_b64 s[58:59], s[56:57]
	s_cbranch_execz .LBB810_1086
.LBB810_1071:                           ;   in Loop: Header=BB810_982 Depth=2
	ds_read_b64 v[64:65], v104 offset:20480
	v_mov_b32_e32 v84, s77
	s_waitcnt lgkmcnt(0)
	v_lshrrev_b64 v[82:83], s84, v[64:65]
	v_and_b32_e32 v81, s68, v82
	v_lshlrev_b32_e32 v81, 2, v81
	ds_read_b32 v81, v81
	v_mov_b32_e32 v83, v4
	v_xor_b32_e32 v65, 0x80000000, v65
	s_waitcnt lgkmcnt(0)
	v_add_u32_e32 v82, v81, v22
	v_lshlrev_b64 v[82:83], 3, v[82:83]
	v_add_co_u32_e32 v82, vcc, s76, v82
	v_addc_co_u32_e32 v83, vcc, v84, v83, vcc
	global_store_dwordx2 v[82:83], v[64:65], off
	s_or_b64 exec, exec, s[58:59]
	v_cmp_lt_u32_e64 s[58:59], v24, v182
	s_and_saveexec_b64 s[60:61], s[58:59]
	s_cbranch_execnz .LBB810_1087
.LBB810_1072:                           ;   in Loop: Header=BB810_982 Depth=2
	s_or_b64 exec, exec, s[60:61]
	v_cmp_lt_u32_e64 s[60:61], v26, v182
	s_and_saveexec_b64 s[62:63], s[60:61]
	s_cbranch_execz .LBB810_1088
.LBB810_1073:                           ;   in Loop: Header=BB810_982 Depth=2
	ds_read_b64 v[64:65], v104 offset:24576
	v_mov_b32_e32 v84, s77
	s_waitcnt lgkmcnt(0)
	v_lshrrev_b64 v[82:83], s84, v[64:65]
	v_and_b32_e32 v81, s68, v82
	v_lshlrev_b32_e32 v81, 2, v81
	ds_read_b32 v81, v81
	v_mov_b32_e32 v83, v4
	v_xor_b32_e32 v65, 0x80000000, v65
	s_waitcnt lgkmcnt(0)
	v_add_u32_e32 v82, v81, v26
	v_lshlrev_b64 v[82:83], 3, v[82:83]
	v_add_co_u32_e32 v82, vcc, s76, v82
	v_addc_co_u32_e32 v83, vcc, v84, v83, vcc
	global_store_dwordx2 v[82:83], v[64:65], off
	s_or_b64 exec, exec, s[62:63]
	v_cmp_lt_u32_e64 s[62:63], v28, v182
	s_and_saveexec_b64 s[64:65], s[62:63]
	s_cbranch_execnz .LBB810_1089
.LBB810_1074:                           ;   in Loop: Header=BB810_982 Depth=2
	s_or_b64 exec, exec, s[64:65]
	v_cmp_lt_u32_e64 s[64:65], v30, v182
	s_and_saveexec_b64 s[66:67], s[64:65]
	s_cbranch_execz .LBB810_1090
.LBB810_1075:                           ;   in Loop: Header=BB810_982 Depth=2
	ds_read_b64 v[64:65], v104 offset:28672
	v_mov_b32_e32 v84, s77
	s_waitcnt lgkmcnt(0)
	v_lshrrev_b64 v[82:83], s84, v[64:65]
	v_and_b32_e32 v81, s68, v82
	v_lshlrev_b32_e32 v81, 2, v81
	ds_read_b32 v81, v81
	v_mov_b32_e32 v83, v4
	v_xor_b32_e32 v65, 0x80000000, v65
	s_waitcnt lgkmcnt(0)
	v_add_u32_e32 v82, v81, v30
	v_lshlrev_b64 v[82:83], 3, v[82:83]
	v_add_co_u32_e32 v82, vcc, s76, v82
	v_addc_co_u32_e32 v83, vcc, v84, v83, vcc
	global_store_dwordx2 v[82:83], v[64:65], off
	s_or_b64 exec, exec, s[66:67]
	v_cmp_lt_u32_e64 s[66:67], v32, v182
	s_and_saveexec_b64 s[92:93], s[66:67]
	s_cbranch_execnz .LBB810_1091
	s_branch .LBB810_1092
.LBB810_1076:                           ;   in Loop: Header=BB810_982 Depth=2
	s_or_b64 exec, exec, s[38:39]
	v_cmp_lt_u32_e64 s[38:39], v7, v182
	s_and_saveexec_b64 s[40:41], s[38:39]
	s_cbranch_execz .LBB810_1062
.LBB810_1077:                           ;   in Loop: Header=BB810_982 Depth=2
	ds_read_b64 v[64:65], v104 offset:2048
	v_mov_b32_e32 v84, s77
	s_waitcnt lgkmcnt(0)
	v_lshrrev_b64 v[82:83], s84, v[64:65]
	v_and_b32_e32 v81, s68, v82
	v_lshlrev_b32_e32 v81, 2, v81
	ds_read_b32 v81, v81
	v_mov_b32_e32 v83, v4
	v_xor_b32_e32 v65, 0x80000000, v65
	s_waitcnt lgkmcnt(0)
	v_add_u32_e32 v82, v81, v7
	v_lshlrev_b64 v[82:83], 3, v[82:83]
	v_add_co_u32_e32 v82, vcc, s76, v82
	v_addc_co_u32_e32 v83, vcc, v84, v83, vcc
	global_store_dwordx2 v[82:83], v[64:65], off
	s_or_b64 exec, exec, s[40:41]
	v_cmp_lt_u32_e64 s[40:41], v6, v182
	s_and_saveexec_b64 s[42:43], s[40:41]
	s_cbranch_execnz .LBB810_1063
.LBB810_1078:                           ;   in Loop: Header=BB810_982 Depth=2
	s_or_b64 exec, exec, s[42:43]
	v_cmp_lt_u32_e64 s[42:43], v8, v182
	s_and_saveexec_b64 s[44:45], s[42:43]
	s_cbranch_execz .LBB810_1064
.LBB810_1079:                           ;   in Loop: Header=BB810_982 Depth=2
	ds_read_b64 v[64:65], v104 offset:6144
	v_mov_b32_e32 v84, s77
	s_waitcnt lgkmcnt(0)
	v_lshrrev_b64 v[82:83], s84, v[64:65]
	v_and_b32_e32 v81, s68, v82
	v_lshlrev_b32_e32 v81, 2, v81
	ds_read_b32 v81, v81
	v_mov_b32_e32 v83, v4
	v_xor_b32_e32 v65, 0x80000000, v65
	s_waitcnt lgkmcnt(0)
	v_add_u32_e32 v82, v81, v8
	v_lshlrev_b64 v[82:83], 3, v[82:83]
	v_add_co_u32_e32 v82, vcc, s76, v82
	v_addc_co_u32_e32 v83, vcc, v84, v83, vcc
	global_store_dwordx2 v[82:83], v[64:65], off
	s_or_b64 exec, exec, s[44:45]
	v_cmp_lt_u32_e64 s[44:45], v10, v182
	s_and_saveexec_b64 s[46:47], s[44:45]
	s_cbranch_execnz .LBB810_1065
.LBB810_1080:                           ;   in Loop: Header=BB810_982 Depth=2
	s_or_b64 exec, exec, s[46:47]
	v_cmp_lt_u32_e64 s[46:47], v12, v182
	s_and_saveexec_b64 s[48:49], s[46:47]
	s_cbranch_execz .LBB810_1066
.LBB810_1081:                           ;   in Loop: Header=BB810_982 Depth=2
	ds_read_b64 v[64:65], v104 offset:10240
	v_mov_b32_e32 v84, s77
	s_waitcnt lgkmcnt(0)
	v_lshrrev_b64 v[82:83], s84, v[64:65]
	v_and_b32_e32 v81, s68, v82
	v_lshlrev_b32_e32 v81, 2, v81
	ds_read_b32 v81, v81
	v_mov_b32_e32 v83, v4
	v_xor_b32_e32 v65, 0x80000000, v65
	s_waitcnt lgkmcnt(0)
	v_add_u32_e32 v82, v81, v12
	v_lshlrev_b64 v[82:83], 3, v[82:83]
	v_add_co_u32_e32 v82, vcc, s76, v82
	v_addc_co_u32_e32 v83, vcc, v84, v83, vcc
	global_store_dwordx2 v[82:83], v[64:65], off
	s_or_b64 exec, exec, s[48:49]
	v_cmp_lt_u32_e64 s[48:49], v14, v182
	s_and_saveexec_b64 s[50:51], s[48:49]
	s_cbranch_execnz .LBB810_1067
.LBB810_1082:                           ;   in Loop: Header=BB810_982 Depth=2
	s_or_b64 exec, exec, s[50:51]
	v_cmp_lt_u32_e64 s[50:51], v16, v182
	s_and_saveexec_b64 s[52:53], s[50:51]
	s_cbranch_execz .LBB810_1068
.LBB810_1083:                           ;   in Loop: Header=BB810_982 Depth=2
	ds_read_b64 v[64:65], v104 offset:14336
	v_mov_b32_e32 v84, s77
	s_waitcnt lgkmcnt(0)
	v_lshrrev_b64 v[82:83], s84, v[64:65]
	v_and_b32_e32 v81, s68, v82
	v_lshlrev_b32_e32 v81, 2, v81
	ds_read_b32 v81, v81
	v_mov_b32_e32 v83, v4
	v_xor_b32_e32 v65, 0x80000000, v65
	s_waitcnt lgkmcnt(0)
	v_add_u32_e32 v82, v81, v16
	v_lshlrev_b64 v[82:83], 3, v[82:83]
	v_add_co_u32_e32 v82, vcc, s76, v82
	v_addc_co_u32_e32 v83, vcc, v84, v83, vcc
	global_store_dwordx2 v[82:83], v[64:65], off
	s_or_b64 exec, exec, s[52:53]
	v_cmp_lt_u32_e64 s[52:53], v18, v182
	s_and_saveexec_b64 s[54:55], s[52:53]
	s_cbranch_execnz .LBB810_1069
.LBB810_1084:                           ;   in Loop: Header=BB810_982 Depth=2
	s_or_b64 exec, exec, s[54:55]
	v_cmp_lt_u32_e64 s[54:55], v20, v182
	s_and_saveexec_b64 s[56:57], s[54:55]
	s_cbranch_execz .LBB810_1070
.LBB810_1085:                           ;   in Loop: Header=BB810_982 Depth=2
	ds_read_b64 v[64:65], v104 offset:18432
	v_mov_b32_e32 v84, s77
	s_waitcnt lgkmcnt(0)
	v_lshrrev_b64 v[82:83], s84, v[64:65]
	v_and_b32_e32 v81, s68, v82
	v_lshlrev_b32_e32 v81, 2, v81
	ds_read_b32 v81, v81
	v_mov_b32_e32 v83, v4
	v_xor_b32_e32 v65, 0x80000000, v65
	s_waitcnt lgkmcnt(0)
	v_add_u32_e32 v82, v81, v20
	v_lshlrev_b64 v[82:83], 3, v[82:83]
	v_add_co_u32_e32 v82, vcc, s76, v82
	v_addc_co_u32_e32 v83, vcc, v84, v83, vcc
	global_store_dwordx2 v[82:83], v[64:65], off
	s_or_b64 exec, exec, s[56:57]
	v_cmp_lt_u32_e64 s[56:57], v22, v182
	s_and_saveexec_b64 s[58:59], s[56:57]
	s_cbranch_execnz .LBB810_1071
.LBB810_1086:                           ;   in Loop: Header=BB810_982 Depth=2
	s_or_b64 exec, exec, s[58:59]
	v_cmp_lt_u32_e64 s[58:59], v24, v182
	s_and_saveexec_b64 s[60:61], s[58:59]
	s_cbranch_execz .LBB810_1072
.LBB810_1087:                           ;   in Loop: Header=BB810_982 Depth=2
	ds_read_b64 v[64:65], v104 offset:22528
	v_mov_b32_e32 v84, s77
	s_waitcnt lgkmcnt(0)
	v_lshrrev_b64 v[82:83], s84, v[64:65]
	v_and_b32_e32 v81, s68, v82
	v_lshlrev_b32_e32 v81, 2, v81
	ds_read_b32 v81, v81
	v_mov_b32_e32 v83, v4
	v_xor_b32_e32 v65, 0x80000000, v65
	s_waitcnt lgkmcnt(0)
	v_add_u32_e32 v82, v81, v24
	v_lshlrev_b64 v[82:83], 3, v[82:83]
	v_add_co_u32_e32 v82, vcc, s76, v82
	v_addc_co_u32_e32 v83, vcc, v84, v83, vcc
	global_store_dwordx2 v[82:83], v[64:65], off
	s_or_b64 exec, exec, s[60:61]
	v_cmp_lt_u32_e64 s[60:61], v26, v182
	s_and_saveexec_b64 s[62:63], s[60:61]
	s_cbranch_execnz .LBB810_1073
.LBB810_1088:                           ;   in Loop: Header=BB810_982 Depth=2
	s_or_b64 exec, exec, s[62:63]
	v_cmp_lt_u32_e64 s[62:63], v28, v182
	s_and_saveexec_b64 s[64:65], s[62:63]
	s_cbranch_execz .LBB810_1074
.LBB810_1089:                           ;   in Loop: Header=BB810_982 Depth=2
	ds_read_b64 v[64:65], v104 offset:26624
	v_mov_b32_e32 v84, s77
	s_waitcnt lgkmcnt(0)
	v_lshrrev_b64 v[82:83], s84, v[64:65]
	v_and_b32_e32 v81, s68, v82
	v_lshlrev_b32_e32 v81, 2, v81
	ds_read_b32 v81, v81
	v_mov_b32_e32 v83, v4
	v_xor_b32_e32 v65, 0x80000000, v65
	s_waitcnt lgkmcnt(0)
	v_add_u32_e32 v82, v81, v28
	v_lshlrev_b64 v[82:83], 3, v[82:83]
	v_add_co_u32_e32 v82, vcc, s76, v82
	v_addc_co_u32_e32 v83, vcc, v84, v83, vcc
	global_store_dwordx2 v[82:83], v[64:65], off
	s_or_b64 exec, exec, s[64:65]
	v_cmp_lt_u32_e64 s[64:65], v30, v182
	s_and_saveexec_b64 s[66:67], s[64:65]
	s_cbranch_execnz .LBB810_1075
.LBB810_1090:                           ;   in Loop: Header=BB810_982 Depth=2
	s_or_b64 exec, exec, s[66:67]
	v_cmp_lt_u32_e64 s[66:67], v32, v182
	s_and_saveexec_b64 s[92:93], s[66:67]
	s_cbranch_execz .LBB810_1092
.LBB810_1091:                           ;   in Loop: Header=BB810_982 Depth=2
	ds_read_b64 v[64:65], v104 offset:30720
	s_waitcnt lgkmcnt(0)
	v_lshrrev_b64 v[82:83], s84, v[64:65]
	v_and_b32_e32 v81, s68, v82
	v_lshlrev_b32_e32 v81, 2, v81
	ds_read_b32 v81, v81
	v_mov_b32_e32 v83, v4
	v_xor_b32_e32 v65, 0x80000000, v65
	s_waitcnt lgkmcnt(0)
	v_add_u32_e32 v82, v81, v32
	v_lshlrev_b64 v[82:83], 3, v[82:83]
	v_add_co_u32_e32 v82, vcc, s76, v82
	v_mov_b32_e32 v81, s77
	v_addc_co_u32_e32 v83, vcc, v81, v83, vcc
	global_store_dwordx2 v[82:83], v[64:65], off
.LBB810_1092:                           ;   in Loop: Header=BB810_982 Depth=2
	s_or_b64 exec, exec, s[92:93]
	s_lshl_b64 s[92:93], s[88:89], 3
	v_mov_b32_e32 v65, s93
	v_add_co_u32_e32 v64, vcc, s92, v159
	v_addc_co_u32_e32 v65, vcc, v160, v65, vcc
	v_cmp_lt_u32_e32 vcc, v142, v182
	s_and_saveexec_b64 s[92:93], vcc
	s_xor_b64 s[92:93], exec, s[92:93]
	s_cbranch_execz .LBB810_1124
; %bb.1093:                             ;   in Loop: Header=BB810_982 Depth=2
	global_load_dwordx2 v[62:63], v[64:65], off
	s_or_b64 exec, exec, s[92:93]
	v_cmp_lt_u32_e32 vcc, v143, v182
	s_and_saveexec_b64 s[92:93], vcc
	s_cbranch_execnz .LBB810_1125
.LBB810_1094:                           ;   in Loop: Header=BB810_982 Depth=2
	s_or_b64 exec, exec, s[92:93]
	v_cmp_lt_u32_e32 vcc, v144, v182
	s_and_saveexec_b64 s[92:93], vcc
	s_cbranch_execz .LBB810_1126
.LBB810_1095:                           ;   in Loop: Header=BB810_982 Depth=2
	global_load_dwordx2 v[58:59], v[64:65], off offset:1024
	s_or_b64 exec, exec, s[92:93]
	v_cmp_lt_u32_e32 vcc, v145, v182
	s_and_saveexec_b64 s[92:93], vcc
	s_cbranch_execnz .LBB810_1127
.LBB810_1096:                           ;   in Loop: Header=BB810_982 Depth=2
	s_or_b64 exec, exec, s[92:93]
	v_cmp_lt_u32_e32 vcc, v146, v182
	s_and_saveexec_b64 s[92:93], vcc
	s_cbranch_execz .LBB810_1128
.LBB810_1097:                           ;   in Loop: Header=BB810_982 Depth=2
	global_load_dwordx2 v[50:51], v[64:65], off offset:2048
	s_or_b64 exec, exec, s[92:93]
	v_cmp_lt_u32_e32 vcc, v147, v182
	s_and_saveexec_b64 s[92:93], vcc
	s_cbranch_execnz .LBB810_1129
.LBB810_1098:                           ;   in Loop: Header=BB810_982 Depth=2
	s_or_b64 exec, exec, s[92:93]
	v_cmp_lt_u32_e32 vcc, v148, v182
	s_and_saveexec_b64 s[92:93], vcc
	s_cbranch_execz .LBB810_1130
.LBB810_1099:                           ;   in Loop: Header=BB810_982 Depth=2
	global_load_dwordx2 v[42:43], v[64:65], off offset:3072
	s_or_b64 exec, exec, s[92:93]
	v_cmp_lt_u32_e32 vcc, v149, v182
	s_and_saveexec_b64 s[92:93], vcc
	s_cbranch_execnz .LBB810_1131
.LBB810_1100:                           ;   in Loop: Header=BB810_982 Depth=2
	s_or_b64 exec, exec, s[92:93]
	v_cmp_lt_u32_e32 vcc, v150, v182
	s_and_saveexec_b64 s[92:93], vcc
	s_cbranch_execz .LBB810_1132
.LBB810_1101:                           ;   in Loop: Header=BB810_982 Depth=2
	v_add_co_u32_e32 v56, vcc, 0x1000, v64
	v_addc_co_u32_e32 v57, vcc, 0, v65, vcc
	global_load_dwordx2 v[56:57], v[56:57], off
	s_or_b64 exec, exec, s[92:93]
	v_cmp_lt_u32_e32 vcc, v151, v182
	s_and_saveexec_b64 s[92:93], vcc
	s_cbranch_execnz .LBB810_1133
.LBB810_1102:                           ;   in Loop: Header=BB810_982 Depth=2
	s_or_b64 exec, exec, s[92:93]
	v_cmp_lt_u32_e32 vcc, v152, v182
	s_and_saveexec_b64 s[92:93], vcc
	s_cbranch_execz .LBB810_1134
.LBB810_1103:                           ;   in Loop: Header=BB810_982 Depth=2
	v_add_co_u32_e32 v48, vcc, 0x1000, v64
	v_addc_co_u32_e32 v49, vcc, 0, v65, vcc
	global_load_dwordx2 v[48:49], v[48:49], off offset:1024
	s_or_b64 exec, exec, s[92:93]
	v_cmp_lt_u32_e32 vcc, v153, v182
	s_and_saveexec_b64 s[92:93], vcc
	s_cbranch_execnz .LBB810_1135
.LBB810_1104:                           ;   in Loop: Header=BB810_982 Depth=2
	s_or_b64 exec, exec, s[92:93]
	v_cmp_lt_u32_e32 vcc, v154, v182
	s_and_saveexec_b64 s[92:93], vcc
	s_cbranch_execz .LBB810_1136
.LBB810_1105:                           ;   in Loop: Header=BB810_982 Depth=2
	v_add_co_u32_e32 v40, vcc, 0x1000, v64
	v_addc_co_u32_e32 v41, vcc, 0, v65, vcc
	global_load_dwordx2 v[40:41], v[40:41], off offset:2048
	s_or_b64 exec, exec, s[92:93]
	v_cmp_lt_u32_e32 vcc, v155, v182
	s_and_saveexec_b64 s[92:93], vcc
	s_cbranch_execnz .LBB810_1137
.LBB810_1106:                           ;   in Loop: Header=BB810_982 Depth=2
	s_or_b64 exec, exec, s[92:93]
	v_cmp_lt_u32_e32 vcc, v156, v182
	s_and_saveexec_b64 s[92:93], vcc
	s_cbranch_execz .LBB810_1138
.LBB810_1107:                           ;   in Loop: Header=BB810_982 Depth=2
	v_add_co_u32_e32 v34, vcc, 0x1000, v64
	v_addc_co_u32_e32 v35, vcc, 0, v65, vcc
	global_load_dwordx2 v[34:35], v[34:35], off offset:3072
	s_or_b64 exec, exec, s[92:93]
	v_cmp_lt_u32_e32 vcc, v157, v182
	s_and_saveexec_b64 s[92:93], vcc
	s_cbranch_execnz .LBB810_1139
.LBB810_1108:                           ;   in Loop: Header=BB810_982 Depth=2
	s_or_b64 exec, exec, s[92:93]
	s_and_saveexec_b64 s[92:93], s[36:37]
	s_cbranch_execz .LBB810_1140
.LBB810_1109:                           ;   in Loop: Header=BB810_982 Depth=2
	ds_read_b64 v[64:65], v66 offset:1024
	s_waitcnt lgkmcnt(0)
	v_lshrrev_b64 v[64:65], s84, v[64:65]
	v_and_b32_e32 v180, s68, v64
	s_or_b64 exec, exec, s[92:93]
	s_and_saveexec_b64 s[92:93], s[38:39]
	s_cbranch_execnz .LBB810_1141
.LBB810_1110:                           ;   in Loop: Header=BB810_982 Depth=2
	s_or_b64 exec, exec, s[92:93]
	s_and_saveexec_b64 s[92:93], s[40:41]
	s_cbranch_execz .LBB810_1142
.LBB810_1111:                           ;   in Loop: Header=BB810_982 Depth=2
	ds_read_b64 v[64:65], v104 offset:4096
	s_waitcnt lgkmcnt(0)
	v_lshrrev_b64 v[64:65], s84, v[64:65]
	v_and_b32_e32 v177, s68, v64
	s_or_b64 exec, exec, s[92:93]
	s_and_saveexec_b64 s[92:93], s[42:43]
	s_cbranch_execnz .LBB810_1143
.LBB810_1112:                           ;   in Loop: Header=BB810_982 Depth=2
	s_or_b64 exec, exec, s[92:93]
	s_and_saveexec_b64 s[92:93], s[44:45]
	s_cbranch_execz .LBB810_1144
.LBB810_1113:                           ;   in Loop: Header=BB810_982 Depth=2
	ds_read_b64 v[64:65], v104 offset:8192
	s_waitcnt lgkmcnt(0)
	v_lshrrev_b64 v[64:65], s84, v[64:65]
	v_and_b32_e32 v174, s68, v64
	s_or_b64 exec, exec, s[92:93]
	s_and_saveexec_b64 s[92:93], s[46:47]
	s_cbranch_execnz .LBB810_1145
.LBB810_1114:                           ;   in Loop: Header=BB810_982 Depth=2
	s_or_b64 exec, exec, s[92:93]
	s_and_saveexec_b64 s[92:93], s[48:49]
	s_cbranch_execz .LBB810_1146
.LBB810_1115:                           ;   in Loop: Header=BB810_982 Depth=2
	ds_read_b64 v[64:65], v104 offset:12288
	s_waitcnt lgkmcnt(0)
	v_lshrrev_b64 v[64:65], s84, v[64:65]
	v_and_b32_e32 v172, s68, v64
	s_or_b64 exec, exec, s[92:93]
	s_and_saveexec_b64 s[92:93], s[50:51]
	s_cbranch_execnz .LBB810_1147
.LBB810_1116:                           ;   in Loop: Header=BB810_982 Depth=2
	s_or_b64 exec, exec, s[92:93]
	s_and_saveexec_b64 s[92:93], s[52:53]
	s_cbranch_execz .LBB810_1148
.LBB810_1117:                           ;   in Loop: Header=BB810_982 Depth=2
	ds_read_b64 v[64:65], v104 offset:16384
	s_waitcnt lgkmcnt(0)
	v_lshrrev_b64 v[64:65], s84, v[64:65]
	v_and_b32_e32 v170, s68, v64
	s_or_b64 exec, exec, s[92:93]
	s_and_saveexec_b64 s[92:93], s[54:55]
	s_cbranch_execnz .LBB810_1149
.LBB810_1118:                           ;   in Loop: Header=BB810_982 Depth=2
	s_or_b64 exec, exec, s[92:93]
	s_and_saveexec_b64 s[92:93], s[56:57]
	s_cbranch_execz .LBB810_1150
.LBB810_1119:                           ;   in Loop: Header=BB810_982 Depth=2
	ds_read_b64 v[64:65], v104 offset:20480
	s_waitcnt lgkmcnt(0)
	v_lshrrev_b64 v[64:65], s84, v[64:65]
	v_and_b32_e32 v168, s68, v64
	s_or_b64 exec, exec, s[92:93]
	s_and_saveexec_b64 s[92:93], s[58:59]
	s_cbranch_execnz .LBB810_1151
.LBB810_1120:                           ;   in Loop: Header=BB810_982 Depth=2
	s_or_b64 exec, exec, s[92:93]
	s_and_saveexec_b64 s[92:93], s[60:61]
	s_cbranch_execz .LBB810_1152
.LBB810_1121:                           ;   in Loop: Header=BB810_982 Depth=2
	ds_read_b64 v[64:65], v104 offset:24576
	s_waitcnt lgkmcnt(0)
	v_lshrrev_b64 v[64:65], s84, v[64:65]
	v_and_b32_e32 v166, s68, v64
	s_or_b64 exec, exec, s[92:93]
	s_and_saveexec_b64 s[92:93], s[62:63]
	s_cbranch_execnz .LBB810_1153
.LBB810_1122:                           ;   in Loop: Header=BB810_982 Depth=2
	s_or_b64 exec, exec, s[92:93]
	s_and_saveexec_b64 s[92:93], s[64:65]
	s_cbranch_execz .LBB810_1154
.LBB810_1123:                           ;   in Loop: Header=BB810_982 Depth=2
	ds_read_b64 v[64:65], v104 offset:28672
	s_waitcnt lgkmcnt(0)
	v_lshrrev_b64 v[64:65], s84, v[64:65]
	v_and_b32_e32 v164, s68, v64
	s_or_b64 exec, exec, s[92:93]
	s_and_saveexec_b64 s[92:93], s[66:67]
	s_cbranch_execnz .LBB810_1155
	s_branch .LBB810_1156
.LBB810_1124:                           ;   in Loop: Header=BB810_982 Depth=2
	s_or_b64 exec, exec, s[92:93]
	v_cmp_lt_u32_e32 vcc, v143, v182
	s_and_saveexec_b64 s[92:93], vcc
	s_cbranch_execz .LBB810_1094
.LBB810_1125:                           ;   in Loop: Header=BB810_982 Depth=2
	global_load_dwordx2 v[60:61], v[64:65], off offset:512
	s_or_b64 exec, exec, s[92:93]
	v_cmp_lt_u32_e32 vcc, v144, v182
	s_and_saveexec_b64 s[92:93], vcc
	s_cbranch_execnz .LBB810_1095
.LBB810_1126:                           ;   in Loop: Header=BB810_982 Depth=2
	s_or_b64 exec, exec, s[92:93]
	v_cmp_lt_u32_e32 vcc, v145, v182
	s_and_saveexec_b64 s[92:93], vcc
	s_cbranch_execz .LBB810_1096
.LBB810_1127:                           ;   in Loop: Header=BB810_982 Depth=2
	global_load_dwordx2 v[54:55], v[64:65], off offset:1536
	s_or_b64 exec, exec, s[92:93]
	v_cmp_lt_u32_e32 vcc, v146, v182
	s_and_saveexec_b64 s[92:93], vcc
	s_cbranch_execnz .LBB810_1097
.LBB810_1128:                           ;   in Loop: Header=BB810_982 Depth=2
	s_or_b64 exec, exec, s[92:93]
	v_cmp_lt_u32_e32 vcc, v147, v182
	s_and_saveexec_b64 s[92:93], vcc
	s_cbranch_execz .LBB810_1098
.LBB810_1129:                           ;   in Loop: Header=BB810_982 Depth=2
	global_load_dwordx2 v[46:47], v[64:65], off offset:2560
	s_or_b64 exec, exec, s[92:93]
	v_cmp_lt_u32_e32 vcc, v148, v182
	s_and_saveexec_b64 s[92:93], vcc
	s_cbranch_execnz .LBB810_1099
.LBB810_1130:                           ;   in Loop: Header=BB810_982 Depth=2
	s_or_b64 exec, exec, s[92:93]
	v_cmp_lt_u32_e32 vcc, v149, v182
	s_and_saveexec_b64 s[92:93], vcc
	s_cbranch_execz .LBB810_1100
.LBB810_1131:                           ;   in Loop: Header=BB810_982 Depth=2
	global_load_dwordx2 v[38:39], v[64:65], off offset:3584
	s_or_b64 exec, exec, s[92:93]
	v_cmp_lt_u32_e32 vcc, v150, v182
	s_and_saveexec_b64 s[92:93], vcc
	s_cbranch_execnz .LBB810_1101
.LBB810_1132:                           ;   in Loop: Header=BB810_982 Depth=2
	s_or_b64 exec, exec, s[92:93]
	v_cmp_lt_u32_e32 vcc, v151, v182
	s_and_saveexec_b64 s[92:93], vcc
	s_cbranch_execz .LBB810_1102
.LBB810_1133:                           ;   in Loop: Header=BB810_982 Depth=2
	v_add_co_u32_e32 v52, vcc, 0x1000, v64
	v_addc_co_u32_e32 v53, vcc, 0, v65, vcc
	global_load_dwordx2 v[52:53], v[52:53], off offset:512
	s_or_b64 exec, exec, s[92:93]
	v_cmp_lt_u32_e32 vcc, v152, v182
	s_and_saveexec_b64 s[92:93], vcc
	s_cbranch_execnz .LBB810_1103
.LBB810_1134:                           ;   in Loop: Header=BB810_982 Depth=2
	s_or_b64 exec, exec, s[92:93]
	v_cmp_lt_u32_e32 vcc, v153, v182
	s_and_saveexec_b64 s[92:93], vcc
	s_cbranch_execz .LBB810_1104
.LBB810_1135:                           ;   in Loop: Header=BB810_982 Depth=2
	v_add_co_u32_e32 v44, vcc, 0x1000, v64
	v_addc_co_u32_e32 v45, vcc, 0, v65, vcc
	global_load_dwordx2 v[44:45], v[44:45], off offset:1536
	s_or_b64 exec, exec, s[92:93]
	v_cmp_lt_u32_e32 vcc, v154, v182
	s_and_saveexec_b64 s[92:93], vcc
	s_cbranch_execnz .LBB810_1105
.LBB810_1136:                           ;   in Loop: Header=BB810_982 Depth=2
	s_or_b64 exec, exec, s[92:93]
	v_cmp_lt_u32_e32 vcc, v155, v182
	s_and_saveexec_b64 s[92:93], vcc
	s_cbranch_execz .LBB810_1106
.LBB810_1137:                           ;   in Loop: Header=BB810_982 Depth=2
	v_add_co_u32_e32 v36, vcc, 0x1000, v64
	v_addc_co_u32_e32 v37, vcc, 0, v65, vcc
	global_load_dwordx2 v[36:37], v[36:37], off offset:2560
	s_or_b64 exec, exec, s[92:93]
	v_cmp_lt_u32_e32 vcc, v156, v182
	s_and_saveexec_b64 s[92:93], vcc
	s_cbranch_execnz .LBB810_1107
.LBB810_1138:                           ;   in Loop: Header=BB810_982 Depth=2
	s_or_b64 exec, exec, s[92:93]
	v_cmp_lt_u32_e32 vcc, v157, v182
	s_and_saveexec_b64 s[92:93], vcc
	s_cbranch_execz .LBB810_1108
.LBB810_1139:                           ;   in Loop: Header=BB810_982 Depth=2
	v_add_co_u32_e32 v0, vcc, 0x1000, v64
	v_addc_co_u32_e32 v1, vcc, 0, v65, vcc
	global_load_dwordx2 v[0:1], v[0:1], off offset:3584
	s_or_b64 exec, exec, s[92:93]
	s_and_saveexec_b64 s[92:93], s[36:37]
	s_cbranch_execnz .LBB810_1109
.LBB810_1140:                           ;   in Loop: Header=BB810_982 Depth=2
	s_or_b64 exec, exec, s[92:93]
	s_and_saveexec_b64 s[92:93], s[38:39]
	s_cbranch_execz .LBB810_1110
.LBB810_1141:                           ;   in Loop: Header=BB810_982 Depth=2
	ds_read_b64 v[64:65], v104 offset:2048
	s_waitcnt lgkmcnt(0)
	v_lshrrev_b64 v[64:65], s84, v[64:65]
	v_and_b32_e32 v178, s68, v64
	s_or_b64 exec, exec, s[92:93]
	s_and_saveexec_b64 s[92:93], s[40:41]
	s_cbranch_execnz .LBB810_1111
.LBB810_1142:                           ;   in Loop: Header=BB810_982 Depth=2
	s_or_b64 exec, exec, s[92:93]
	s_and_saveexec_b64 s[92:93], s[42:43]
	s_cbranch_execz .LBB810_1112
.LBB810_1143:                           ;   in Loop: Header=BB810_982 Depth=2
	ds_read_b64 v[64:65], v104 offset:6144
	s_waitcnt lgkmcnt(0)
	v_lshrrev_b64 v[64:65], s84, v[64:65]
	v_and_b32_e32 v175, s68, v64
	s_or_b64 exec, exec, s[92:93]
	s_and_saveexec_b64 s[92:93], s[44:45]
	s_cbranch_execnz .LBB810_1113
.LBB810_1144:                           ;   in Loop: Header=BB810_982 Depth=2
	s_or_b64 exec, exec, s[92:93]
	s_and_saveexec_b64 s[92:93], s[46:47]
	s_cbranch_execz .LBB810_1114
.LBB810_1145:                           ;   in Loop: Header=BB810_982 Depth=2
	ds_read_b64 v[64:65], v104 offset:10240
	s_waitcnt lgkmcnt(0)
	v_lshrrev_b64 v[64:65], s84, v[64:65]
	v_and_b32_e32 v173, s68, v64
	s_or_b64 exec, exec, s[92:93]
	s_and_saveexec_b64 s[92:93], s[48:49]
	s_cbranch_execnz .LBB810_1115
.LBB810_1146:                           ;   in Loop: Header=BB810_982 Depth=2
	s_or_b64 exec, exec, s[92:93]
	s_and_saveexec_b64 s[92:93], s[50:51]
	s_cbranch_execz .LBB810_1116
.LBB810_1147:                           ;   in Loop: Header=BB810_982 Depth=2
	ds_read_b64 v[64:65], v104 offset:14336
	s_waitcnt lgkmcnt(0)
	v_lshrrev_b64 v[64:65], s84, v[64:65]
	v_and_b32_e32 v171, s68, v64
	s_or_b64 exec, exec, s[92:93]
	s_and_saveexec_b64 s[92:93], s[52:53]
	s_cbranch_execnz .LBB810_1117
.LBB810_1148:                           ;   in Loop: Header=BB810_982 Depth=2
	s_or_b64 exec, exec, s[92:93]
	s_and_saveexec_b64 s[92:93], s[54:55]
	s_cbranch_execz .LBB810_1118
.LBB810_1149:                           ;   in Loop: Header=BB810_982 Depth=2
	ds_read_b64 v[64:65], v104 offset:18432
	s_waitcnt lgkmcnt(0)
	v_lshrrev_b64 v[64:65], s84, v[64:65]
	v_and_b32_e32 v169, s68, v64
	s_or_b64 exec, exec, s[92:93]
	s_and_saveexec_b64 s[92:93], s[56:57]
	s_cbranch_execnz .LBB810_1119
.LBB810_1150:                           ;   in Loop: Header=BB810_982 Depth=2
	s_or_b64 exec, exec, s[92:93]
	s_and_saveexec_b64 s[92:93], s[58:59]
	s_cbranch_execz .LBB810_1120
.LBB810_1151:                           ;   in Loop: Header=BB810_982 Depth=2
	ds_read_b64 v[64:65], v104 offset:22528
	s_waitcnt lgkmcnt(0)
	v_lshrrev_b64 v[64:65], s84, v[64:65]
	v_and_b32_e32 v167, s68, v64
	s_or_b64 exec, exec, s[92:93]
	s_and_saveexec_b64 s[92:93], s[60:61]
	s_cbranch_execnz .LBB810_1121
.LBB810_1152:                           ;   in Loop: Header=BB810_982 Depth=2
	s_or_b64 exec, exec, s[92:93]
	s_and_saveexec_b64 s[92:93], s[62:63]
	s_cbranch_execz .LBB810_1122
.LBB810_1153:                           ;   in Loop: Header=BB810_982 Depth=2
	ds_read_b64 v[64:65], v104 offset:26624
	s_waitcnt lgkmcnt(0)
	v_lshrrev_b64 v[64:65], s84, v[64:65]
	v_and_b32_e32 v165, s68, v64
	s_or_b64 exec, exec, s[92:93]
	s_and_saveexec_b64 s[92:93], s[64:65]
	s_cbranch_execnz .LBB810_1123
.LBB810_1154:                           ;   in Loop: Header=BB810_982 Depth=2
	s_or_b64 exec, exec, s[92:93]
	s_and_saveexec_b64 s[92:93], s[66:67]
	s_cbranch_execz .LBB810_1156
.LBB810_1155:                           ;   in Loop: Header=BB810_982 Depth=2
	ds_read_b64 v[64:65], v104 offset:30720
	s_waitcnt lgkmcnt(0)
	v_lshrrev_b64 v[64:65], s84, v[64:65]
	v_and_b32_e32 v163, s68, v64
.LBB810_1156:                           ;   in Loop: Header=BB810_982 Depth=2
	s_or_b64 exec, exec, s[92:93]
	v_add_u32_e32 v64, 0x400, v96
	v_add_u32_e32 v65, 0x400, v97
	;; [unrolled: 1-line block ×16, first 2 shown]
	s_barrier
	s_waitcnt vmcnt(0)
	ds_write_b64 v64, v[62:63]
	ds_write_b64 v65, v[60:61]
	;; [unrolled: 1-line block ×16, first 2 shown]
	s_waitcnt lgkmcnt(0)
	s_barrier
	s_and_saveexec_b64 s[92:93], s[36:37]
	s_cbranch_execz .LBB810_1172
; %bb.1157:                             ;   in Loop: Header=BB810_982 Depth=2
	v_lshlrev_b32_e32 v64, 2, v180
	ds_read_b32 v68, v64
	ds_read_b64 v[64:65], v66 offset:1024
	v_mov_b32_e32 v67, v4
	v_mov_b32_e32 v69, s83
	s_waitcnt lgkmcnt(1)
	v_add_u32_e32 v66, v68, v2
	v_lshlrev_b64 v[66:67], 3, v[66:67]
	v_add_co_u32_e32 v66, vcc, s82, v66
	v_addc_co_u32_e32 v67, vcc, v69, v67, vcc
	s_waitcnt lgkmcnt(0)
	global_store_dwordx2 v[66:67], v[64:65], off
	s_or_b64 exec, exec, s[92:93]
	s_and_saveexec_b64 s[36:37], s[38:39]
	s_cbranch_execnz .LBB810_1173
.LBB810_1158:                           ;   in Loop: Header=BB810_982 Depth=2
	s_or_b64 exec, exec, s[36:37]
	s_and_saveexec_b64 s[36:37], s[40:41]
	s_cbranch_execz .LBB810_1174
.LBB810_1159:                           ;   in Loop: Header=BB810_982 Depth=2
	v_lshlrev_b32_e32 v64, 2, v177
	ds_read_b32 v66, v64
	ds_read_b64 v[64:65], v104 offset:4096
	v_mov_b32_e32 v67, v4
	v_mov_b32_e32 v68, s83
	s_waitcnt lgkmcnt(1)
	v_add_u32_e32 v66, v66, v6
	v_lshlrev_b64 v[66:67], 3, v[66:67]
	v_add_co_u32_e32 v66, vcc, s82, v66
	v_addc_co_u32_e32 v67, vcc, v68, v67, vcc
	s_waitcnt lgkmcnt(0)
	global_store_dwordx2 v[66:67], v[64:65], off
	s_or_b64 exec, exec, s[36:37]
	s_and_saveexec_b64 s[36:37], s[42:43]
	s_cbranch_execnz .LBB810_1175
.LBB810_1160:                           ;   in Loop: Header=BB810_982 Depth=2
	s_or_b64 exec, exec, s[36:37]
	s_and_saveexec_b64 s[36:37], s[44:45]
	s_cbranch_execz .LBB810_1176
.LBB810_1161:                           ;   in Loop: Header=BB810_982 Depth=2
	v_lshlrev_b32_e32 v64, 2, v174
	ds_read_b32 v66, v64
	ds_read_b64 v[64:65], v104 offset:8192
	v_mov_b32_e32 v67, v4
	v_mov_b32_e32 v68, s83
	s_waitcnt lgkmcnt(1)
	v_add_u32_e32 v66, v66, v10
	v_lshlrev_b64 v[66:67], 3, v[66:67]
	v_add_co_u32_e32 v66, vcc, s82, v66
	v_addc_co_u32_e32 v67, vcc, v68, v67, vcc
	s_waitcnt lgkmcnt(0)
	global_store_dwordx2 v[66:67], v[64:65], off
	s_or_b64 exec, exec, s[36:37]
	s_and_saveexec_b64 s[36:37], s[46:47]
	s_cbranch_execnz .LBB810_1177
.LBB810_1162:                           ;   in Loop: Header=BB810_982 Depth=2
	s_or_b64 exec, exec, s[36:37]
	s_and_saveexec_b64 s[36:37], s[48:49]
	s_cbranch_execz .LBB810_1178
.LBB810_1163:                           ;   in Loop: Header=BB810_982 Depth=2
	v_lshlrev_b32_e32 v64, 2, v172
	ds_read_b32 v66, v64
	ds_read_b64 v[64:65], v104 offset:12288
	v_mov_b32_e32 v67, v4
	v_mov_b32_e32 v68, s83
	s_waitcnt lgkmcnt(1)
	v_add_u32_e32 v66, v66, v14
	v_lshlrev_b64 v[66:67], 3, v[66:67]
	v_add_co_u32_e32 v66, vcc, s82, v66
	v_addc_co_u32_e32 v67, vcc, v68, v67, vcc
	s_waitcnt lgkmcnt(0)
	global_store_dwordx2 v[66:67], v[64:65], off
	s_or_b64 exec, exec, s[36:37]
	s_and_saveexec_b64 s[36:37], s[50:51]
	s_cbranch_execnz .LBB810_1179
.LBB810_1164:                           ;   in Loop: Header=BB810_982 Depth=2
	s_or_b64 exec, exec, s[36:37]
	s_and_saveexec_b64 s[36:37], s[52:53]
	s_cbranch_execz .LBB810_1180
.LBB810_1165:                           ;   in Loop: Header=BB810_982 Depth=2
	v_lshlrev_b32_e32 v64, 2, v170
	ds_read_b32 v66, v64
	ds_read_b64 v[64:65], v104 offset:16384
	v_mov_b32_e32 v67, v4
	v_mov_b32_e32 v68, s83
	s_waitcnt lgkmcnt(1)
	v_add_u32_e32 v66, v66, v18
	v_lshlrev_b64 v[66:67], 3, v[66:67]
	v_add_co_u32_e32 v66, vcc, s82, v66
	v_addc_co_u32_e32 v67, vcc, v68, v67, vcc
	s_waitcnt lgkmcnt(0)
	global_store_dwordx2 v[66:67], v[64:65], off
	s_or_b64 exec, exec, s[36:37]
	s_and_saveexec_b64 s[36:37], s[54:55]
	s_cbranch_execnz .LBB810_1181
.LBB810_1166:                           ;   in Loop: Header=BB810_982 Depth=2
	s_or_b64 exec, exec, s[36:37]
	s_and_saveexec_b64 s[36:37], s[56:57]
	s_cbranch_execz .LBB810_1182
.LBB810_1167:                           ;   in Loop: Header=BB810_982 Depth=2
	v_lshlrev_b32_e32 v64, 2, v168
	ds_read_b32 v66, v64
	ds_read_b64 v[64:65], v104 offset:20480
	v_mov_b32_e32 v67, v4
	v_mov_b32_e32 v68, s83
	s_waitcnt lgkmcnt(1)
	v_add_u32_e32 v66, v66, v22
	v_lshlrev_b64 v[66:67], 3, v[66:67]
	v_add_co_u32_e32 v66, vcc, s82, v66
	v_addc_co_u32_e32 v67, vcc, v68, v67, vcc
	s_waitcnt lgkmcnt(0)
	global_store_dwordx2 v[66:67], v[64:65], off
	s_or_b64 exec, exec, s[36:37]
	s_and_saveexec_b64 s[36:37], s[58:59]
	s_cbranch_execnz .LBB810_1183
.LBB810_1168:                           ;   in Loop: Header=BB810_982 Depth=2
	s_or_b64 exec, exec, s[36:37]
	s_and_saveexec_b64 s[36:37], s[60:61]
	s_cbranch_execz .LBB810_1184
.LBB810_1169:                           ;   in Loop: Header=BB810_982 Depth=2
	v_lshlrev_b32_e32 v64, 2, v166
	ds_read_b32 v66, v64
	ds_read_b64 v[64:65], v104 offset:24576
	v_mov_b32_e32 v67, v4
	v_mov_b32_e32 v68, s83
	s_waitcnt lgkmcnt(1)
	v_add_u32_e32 v66, v66, v26
	v_lshlrev_b64 v[66:67], 3, v[66:67]
	v_add_co_u32_e32 v66, vcc, s82, v66
	v_addc_co_u32_e32 v67, vcc, v68, v67, vcc
	s_waitcnt lgkmcnt(0)
	global_store_dwordx2 v[66:67], v[64:65], off
	s_or_b64 exec, exec, s[36:37]
	s_and_saveexec_b64 s[36:37], s[62:63]
	s_cbranch_execnz .LBB810_1185
.LBB810_1170:                           ;   in Loop: Header=BB810_982 Depth=2
	s_or_b64 exec, exec, s[36:37]
	s_and_saveexec_b64 s[36:37], s[64:65]
	s_cbranch_execz .LBB810_1186
.LBB810_1171:                           ;   in Loop: Header=BB810_982 Depth=2
	v_lshlrev_b32_e32 v64, 2, v164
	ds_read_b32 v66, v64
	ds_read_b64 v[64:65], v104 offset:28672
	v_mov_b32_e32 v67, v4
	v_mov_b32_e32 v68, s83
	s_waitcnt lgkmcnt(1)
	v_add_u32_e32 v66, v66, v30
	v_lshlrev_b64 v[66:67], 3, v[66:67]
	v_add_co_u32_e32 v66, vcc, s82, v66
	v_addc_co_u32_e32 v67, vcc, v68, v67, vcc
	s_waitcnt lgkmcnt(0)
	global_store_dwordx2 v[66:67], v[64:65], off
	s_or_b64 exec, exec, s[36:37]
	s_and_saveexec_b64 s[36:37], s[66:67]
	s_cbranch_execnz .LBB810_1187
	s_branch .LBB810_1188
.LBB810_1172:                           ;   in Loop: Header=BB810_982 Depth=2
	s_or_b64 exec, exec, s[92:93]
	s_and_saveexec_b64 s[36:37], s[38:39]
	s_cbranch_execz .LBB810_1158
.LBB810_1173:                           ;   in Loop: Header=BB810_982 Depth=2
	v_lshlrev_b32_e32 v64, 2, v178
	ds_read_b32 v66, v64
	ds_read_b64 v[64:65], v104 offset:2048
	v_mov_b32_e32 v67, v4
	v_mov_b32_e32 v68, s83
	s_waitcnt lgkmcnt(1)
	v_add_u32_e32 v66, v66, v7
	v_lshlrev_b64 v[66:67], 3, v[66:67]
	v_add_co_u32_e32 v66, vcc, s82, v66
	v_addc_co_u32_e32 v67, vcc, v68, v67, vcc
	s_waitcnt lgkmcnt(0)
	global_store_dwordx2 v[66:67], v[64:65], off
	s_or_b64 exec, exec, s[36:37]
	s_and_saveexec_b64 s[36:37], s[40:41]
	s_cbranch_execnz .LBB810_1159
.LBB810_1174:                           ;   in Loop: Header=BB810_982 Depth=2
	s_or_b64 exec, exec, s[36:37]
	s_and_saveexec_b64 s[36:37], s[42:43]
	s_cbranch_execz .LBB810_1160
.LBB810_1175:                           ;   in Loop: Header=BB810_982 Depth=2
	v_lshlrev_b32_e32 v64, 2, v175
	ds_read_b32 v66, v64
	ds_read_b64 v[64:65], v104 offset:6144
	v_mov_b32_e32 v67, v4
	v_mov_b32_e32 v68, s83
	s_waitcnt lgkmcnt(1)
	v_add_u32_e32 v66, v66, v8
	v_lshlrev_b64 v[66:67], 3, v[66:67]
	v_add_co_u32_e32 v66, vcc, s82, v66
	v_addc_co_u32_e32 v67, vcc, v68, v67, vcc
	s_waitcnt lgkmcnt(0)
	global_store_dwordx2 v[66:67], v[64:65], off
	s_or_b64 exec, exec, s[36:37]
	s_and_saveexec_b64 s[36:37], s[44:45]
	s_cbranch_execnz .LBB810_1161
.LBB810_1176:                           ;   in Loop: Header=BB810_982 Depth=2
	s_or_b64 exec, exec, s[36:37]
	s_and_saveexec_b64 s[36:37], s[46:47]
	s_cbranch_execz .LBB810_1162
.LBB810_1177:                           ;   in Loop: Header=BB810_982 Depth=2
	v_lshlrev_b32_e32 v64, 2, v173
	ds_read_b32 v66, v64
	ds_read_b64 v[64:65], v104 offset:10240
	v_mov_b32_e32 v67, v4
	v_mov_b32_e32 v68, s83
	s_waitcnt lgkmcnt(1)
	v_add_u32_e32 v66, v66, v12
	v_lshlrev_b64 v[66:67], 3, v[66:67]
	v_add_co_u32_e32 v66, vcc, s82, v66
	v_addc_co_u32_e32 v67, vcc, v68, v67, vcc
	s_waitcnt lgkmcnt(0)
	global_store_dwordx2 v[66:67], v[64:65], off
	s_or_b64 exec, exec, s[36:37]
	s_and_saveexec_b64 s[36:37], s[48:49]
	s_cbranch_execnz .LBB810_1163
.LBB810_1178:                           ;   in Loop: Header=BB810_982 Depth=2
	s_or_b64 exec, exec, s[36:37]
	s_and_saveexec_b64 s[36:37], s[50:51]
	s_cbranch_execz .LBB810_1164
.LBB810_1179:                           ;   in Loop: Header=BB810_982 Depth=2
	v_lshlrev_b32_e32 v64, 2, v171
	ds_read_b32 v66, v64
	ds_read_b64 v[64:65], v104 offset:14336
	v_mov_b32_e32 v67, v4
	v_mov_b32_e32 v68, s83
	s_waitcnt lgkmcnt(1)
	v_add_u32_e32 v66, v66, v16
	v_lshlrev_b64 v[66:67], 3, v[66:67]
	v_add_co_u32_e32 v66, vcc, s82, v66
	v_addc_co_u32_e32 v67, vcc, v68, v67, vcc
	s_waitcnt lgkmcnt(0)
	global_store_dwordx2 v[66:67], v[64:65], off
	s_or_b64 exec, exec, s[36:37]
	s_and_saveexec_b64 s[36:37], s[52:53]
	s_cbranch_execnz .LBB810_1165
.LBB810_1180:                           ;   in Loop: Header=BB810_982 Depth=2
	s_or_b64 exec, exec, s[36:37]
	s_and_saveexec_b64 s[36:37], s[54:55]
	s_cbranch_execz .LBB810_1166
.LBB810_1181:                           ;   in Loop: Header=BB810_982 Depth=2
	v_lshlrev_b32_e32 v64, 2, v169
	ds_read_b32 v66, v64
	ds_read_b64 v[64:65], v104 offset:18432
	v_mov_b32_e32 v67, v4
	v_mov_b32_e32 v68, s83
	s_waitcnt lgkmcnt(1)
	v_add_u32_e32 v66, v66, v20
	v_lshlrev_b64 v[66:67], 3, v[66:67]
	v_add_co_u32_e32 v66, vcc, s82, v66
	v_addc_co_u32_e32 v67, vcc, v68, v67, vcc
	s_waitcnt lgkmcnt(0)
	global_store_dwordx2 v[66:67], v[64:65], off
	s_or_b64 exec, exec, s[36:37]
	s_and_saveexec_b64 s[36:37], s[56:57]
	s_cbranch_execnz .LBB810_1167
.LBB810_1182:                           ;   in Loop: Header=BB810_982 Depth=2
	s_or_b64 exec, exec, s[36:37]
	s_and_saveexec_b64 s[36:37], s[58:59]
	s_cbranch_execz .LBB810_1168
.LBB810_1183:                           ;   in Loop: Header=BB810_982 Depth=2
	v_lshlrev_b32_e32 v64, 2, v167
	ds_read_b32 v66, v64
	ds_read_b64 v[64:65], v104 offset:22528
	v_mov_b32_e32 v67, v4
	v_mov_b32_e32 v68, s83
	s_waitcnt lgkmcnt(1)
	v_add_u32_e32 v66, v66, v24
	v_lshlrev_b64 v[66:67], 3, v[66:67]
	v_add_co_u32_e32 v66, vcc, s82, v66
	v_addc_co_u32_e32 v67, vcc, v68, v67, vcc
	s_waitcnt lgkmcnt(0)
	global_store_dwordx2 v[66:67], v[64:65], off
	s_or_b64 exec, exec, s[36:37]
	s_and_saveexec_b64 s[36:37], s[60:61]
	s_cbranch_execnz .LBB810_1169
.LBB810_1184:                           ;   in Loop: Header=BB810_982 Depth=2
	s_or_b64 exec, exec, s[36:37]
	s_and_saveexec_b64 s[36:37], s[62:63]
	s_cbranch_execz .LBB810_1170
.LBB810_1185:                           ;   in Loop: Header=BB810_982 Depth=2
	v_lshlrev_b32_e32 v64, 2, v165
	ds_read_b32 v66, v64
	ds_read_b64 v[64:65], v104 offset:26624
	v_mov_b32_e32 v67, v4
	v_mov_b32_e32 v68, s83
	s_waitcnt lgkmcnt(1)
	v_add_u32_e32 v66, v66, v28
	v_lshlrev_b64 v[66:67], 3, v[66:67]
	v_add_co_u32_e32 v66, vcc, s82, v66
	v_addc_co_u32_e32 v67, vcc, v68, v67, vcc
	s_waitcnt lgkmcnt(0)
	global_store_dwordx2 v[66:67], v[64:65], off
	s_or_b64 exec, exec, s[36:37]
	s_and_saveexec_b64 s[36:37], s[64:65]
	s_cbranch_execnz .LBB810_1171
.LBB810_1186:                           ;   in Loop: Header=BB810_982 Depth=2
	s_or_b64 exec, exec, s[36:37]
	s_and_saveexec_b64 s[36:37], s[66:67]
	s_cbranch_execz .LBB810_1188
.LBB810_1187:                           ;   in Loop: Header=BB810_982 Depth=2
	v_lshlrev_b32_e32 v64, 2, v163
	ds_read_b32 v66, v64
	ds_read_b64 v[64:65], v104 offset:30720
	v_mov_b32_e32 v67, v4
	v_mov_b32_e32 v68, s83
	s_waitcnt lgkmcnt(1)
	v_add_u32_e32 v66, v66, v32
	v_lshlrev_b64 v[66:67], 3, v[66:67]
	v_add_co_u32_e32 v66, vcc, s82, v66
	v_addc_co_u32_e32 v67, vcc, v68, v67, vcc
	s_waitcnt lgkmcnt(0)
	global_store_dwordx2 v[66:67], v[64:65], off
.LBB810_1188:                           ;   in Loop: Header=BB810_982 Depth=2
	s_or_b64 exec, exec, s[36:37]
	s_barrier
	s_and_saveexec_b64 s[36:37], s[4:5]
	s_cbranch_execz .LBB810_981
; %bb.1189:                             ;   in Loop: Header=BB810_982 Depth=2
	ds_read_b32 v64, v3
	s_waitcnt lgkmcnt(0)
	v_add_u32_e32 v5, v64, v5
	ds_write_b32 v3, v5
	s_branch .LBB810_981
.LBB810_1190:
	s_endpgm
	.section	.rodata,"a",@progbits
	.p2align	6, 0x0
	.amdhsa_kernel _ZN7rocprim17ROCPRIM_400000_NS6detail17trampoline_kernelINS0_14default_configENS1_36segmented_radix_sort_config_selectorIllEEZNS1_25segmented_radix_sort_implIS3_Lb0EPKlPlS8_S9_N2at6native12_GLOBAL__N_18offset_tEEE10hipError_tPvRmT1_PNSt15iterator_traitsISH_E10value_typeET2_T3_PNSI_ISN_E10value_typeET4_jRbjT5_ST_jjP12ihipStream_tbEUlT_E_NS1_11comp_targetILNS1_3genE4ELNS1_11target_archE910ELNS1_3gpuE8ELNS1_3repE0EEENS1_30default_config_static_selectorELNS0_4arch9wavefront6targetE1EEEvSH_
		.amdhsa_group_segment_fixed_size 33808
		.amdhsa_private_segment_fixed_size 128
		.amdhsa_kernarg_size 352
		.amdhsa_user_sgpr_count 8
		.amdhsa_user_sgpr_private_segment_buffer 1
		.amdhsa_user_sgpr_dispatch_ptr 0
		.amdhsa_user_sgpr_queue_ptr 0
		.amdhsa_user_sgpr_kernarg_segment_ptr 1
		.amdhsa_user_sgpr_dispatch_id 0
		.amdhsa_user_sgpr_flat_scratch_init 1
		.amdhsa_user_sgpr_kernarg_preload_length 0
		.amdhsa_user_sgpr_kernarg_preload_offset 0
		.amdhsa_user_sgpr_private_segment_size 0
		.amdhsa_uses_dynamic_stack 0
		.amdhsa_system_sgpr_private_segment_wavefront_offset 1
		.amdhsa_system_sgpr_workgroup_id_x 1
		.amdhsa_system_sgpr_workgroup_id_y 1
		.amdhsa_system_sgpr_workgroup_id_z 0
		.amdhsa_system_sgpr_workgroup_info 0
		.amdhsa_system_vgpr_workitem_id 2
		.amdhsa_next_free_vgpr 280
		.amdhsa_next_free_sgpr 100
		.amdhsa_accum_offset 248
		.amdhsa_reserve_vcc 1
		.amdhsa_reserve_flat_scratch 1
		.amdhsa_float_round_mode_32 0
		.amdhsa_float_round_mode_16_64 0
		.amdhsa_float_denorm_mode_32 3
		.amdhsa_float_denorm_mode_16_64 3
		.amdhsa_dx10_clamp 1
		.amdhsa_ieee_mode 1
		.amdhsa_fp16_overflow 0
		.amdhsa_tg_split 0
		.amdhsa_exception_fp_ieee_invalid_op 0
		.amdhsa_exception_fp_denorm_src 0
		.amdhsa_exception_fp_ieee_div_zero 0
		.amdhsa_exception_fp_ieee_overflow 0
		.amdhsa_exception_fp_ieee_underflow 0
		.amdhsa_exception_fp_ieee_inexact 0
		.amdhsa_exception_int_div_zero 0
	.end_amdhsa_kernel
	.section	.text._ZN7rocprim17ROCPRIM_400000_NS6detail17trampoline_kernelINS0_14default_configENS1_36segmented_radix_sort_config_selectorIllEEZNS1_25segmented_radix_sort_implIS3_Lb0EPKlPlS8_S9_N2at6native12_GLOBAL__N_18offset_tEEE10hipError_tPvRmT1_PNSt15iterator_traitsISH_E10value_typeET2_T3_PNSI_ISN_E10value_typeET4_jRbjT5_ST_jjP12ihipStream_tbEUlT_E_NS1_11comp_targetILNS1_3genE4ELNS1_11target_archE910ELNS1_3gpuE8ELNS1_3repE0EEENS1_30default_config_static_selectorELNS0_4arch9wavefront6targetE1EEEvSH_,"axG",@progbits,_ZN7rocprim17ROCPRIM_400000_NS6detail17trampoline_kernelINS0_14default_configENS1_36segmented_radix_sort_config_selectorIllEEZNS1_25segmented_radix_sort_implIS3_Lb0EPKlPlS8_S9_N2at6native12_GLOBAL__N_18offset_tEEE10hipError_tPvRmT1_PNSt15iterator_traitsISH_E10value_typeET2_T3_PNSI_ISN_E10value_typeET4_jRbjT5_ST_jjP12ihipStream_tbEUlT_E_NS1_11comp_targetILNS1_3genE4ELNS1_11target_archE910ELNS1_3gpuE8ELNS1_3repE0EEENS1_30default_config_static_selectorELNS0_4arch9wavefront6targetE1EEEvSH_,comdat
.Lfunc_end810:
	.size	_ZN7rocprim17ROCPRIM_400000_NS6detail17trampoline_kernelINS0_14default_configENS1_36segmented_radix_sort_config_selectorIllEEZNS1_25segmented_radix_sort_implIS3_Lb0EPKlPlS8_S9_N2at6native12_GLOBAL__N_18offset_tEEE10hipError_tPvRmT1_PNSt15iterator_traitsISH_E10value_typeET2_T3_PNSI_ISN_E10value_typeET4_jRbjT5_ST_jjP12ihipStream_tbEUlT_E_NS1_11comp_targetILNS1_3genE4ELNS1_11target_archE910ELNS1_3gpuE8ELNS1_3repE0EEENS1_30default_config_static_selectorELNS0_4arch9wavefront6targetE1EEEvSH_, .Lfunc_end810-_ZN7rocprim17ROCPRIM_400000_NS6detail17trampoline_kernelINS0_14default_configENS1_36segmented_radix_sort_config_selectorIllEEZNS1_25segmented_radix_sort_implIS3_Lb0EPKlPlS8_S9_N2at6native12_GLOBAL__N_18offset_tEEE10hipError_tPvRmT1_PNSt15iterator_traitsISH_E10value_typeET2_T3_PNSI_ISN_E10value_typeET4_jRbjT5_ST_jjP12ihipStream_tbEUlT_E_NS1_11comp_targetILNS1_3genE4ELNS1_11target_archE910ELNS1_3gpuE8ELNS1_3repE0EEENS1_30default_config_static_selectorELNS0_4arch9wavefront6targetE1EEEvSH_
                                        ; -- End function
	.section	.AMDGPU.csdata,"",@progbits
; Kernel info:
; codeLenInByte = 66676
; NumSgprs: 106
; NumVgprs: 248
; NumAgprs: 32
; TotalNumVgprs: 280
; ScratchSize: 128
; MemoryBound: 0
; FloatMode: 240
; IeeeMode: 1
; LDSByteSize: 33808 bytes/workgroup (compile time only)
; SGPRBlocks: 13
; VGPRBlocks: 34
; NumSGPRsForWavesPerEU: 106
; NumVGPRsForWavesPerEU: 280
; AccumOffset: 248
; Occupancy: 1
; WaveLimiterHint : 1
; COMPUTE_PGM_RSRC2:SCRATCH_EN: 1
; COMPUTE_PGM_RSRC2:USER_SGPR: 8
; COMPUTE_PGM_RSRC2:TRAP_HANDLER: 0
; COMPUTE_PGM_RSRC2:TGID_X_EN: 1
; COMPUTE_PGM_RSRC2:TGID_Y_EN: 1
; COMPUTE_PGM_RSRC2:TGID_Z_EN: 0
; COMPUTE_PGM_RSRC2:TIDIG_COMP_CNT: 2
; COMPUTE_PGM_RSRC3_GFX90A:ACCUM_OFFSET: 61
; COMPUTE_PGM_RSRC3_GFX90A:TG_SPLIT: 0
	.section	.text._ZN7rocprim17ROCPRIM_400000_NS6detail17trampoline_kernelINS0_14default_configENS1_36segmented_radix_sort_config_selectorIllEEZNS1_25segmented_radix_sort_implIS3_Lb0EPKlPlS8_S9_N2at6native12_GLOBAL__N_18offset_tEEE10hipError_tPvRmT1_PNSt15iterator_traitsISH_E10value_typeET2_T3_PNSI_ISN_E10value_typeET4_jRbjT5_ST_jjP12ihipStream_tbEUlT_E_NS1_11comp_targetILNS1_3genE3ELNS1_11target_archE908ELNS1_3gpuE7ELNS1_3repE0EEENS1_30default_config_static_selectorELNS0_4arch9wavefront6targetE1EEEvSH_,"axG",@progbits,_ZN7rocprim17ROCPRIM_400000_NS6detail17trampoline_kernelINS0_14default_configENS1_36segmented_radix_sort_config_selectorIllEEZNS1_25segmented_radix_sort_implIS3_Lb0EPKlPlS8_S9_N2at6native12_GLOBAL__N_18offset_tEEE10hipError_tPvRmT1_PNSt15iterator_traitsISH_E10value_typeET2_T3_PNSI_ISN_E10value_typeET4_jRbjT5_ST_jjP12ihipStream_tbEUlT_E_NS1_11comp_targetILNS1_3genE3ELNS1_11target_archE908ELNS1_3gpuE7ELNS1_3repE0EEENS1_30default_config_static_selectorELNS0_4arch9wavefront6targetE1EEEvSH_,comdat
	.globl	_ZN7rocprim17ROCPRIM_400000_NS6detail17trampoline_kernelINS0_14default_configENS1_36segmented_radix_sort_config_selectorIllEEZNS1_25segmented_radix_sort_implIS3_Lb0EPKlPlS8_S9_N2at6native12_GLOBAL__N_18offset_tEEE10hipError_tPvRmT1_PNSt15iterator_traitsISH_E10value_typeET2_T3_PNSI_ISN_E10value_typeET4_jRbjT5_ST_jjP12ihipStream_tbEUlT_E_NS1_11comp_targetILNS1_3genE3ELNS1_11target_archE908ELNS1_3gpuE7ELNS1_3repE0EEENS1_30default_config_static_selectorELNS0_4arch9wavefront6targetE1EEEvSH_ ; -- Begin function _ZN7rocprim17ROCPRIM_400000_NS6detail17trampoline_kernelINS0_14default_configENS1_36segmented_radix_sort_config_selectorIllEEZNS1_25segmented_radix_sort_implIS3_Lb0EPKlPlS8_S9_N2at6native12_GLOBAL__N_18offset_tEEE10hipError_tPvRmT1_PNSt15iterator_traitsISH_E10value_typeET2_T3_PNSI_ISN_E10value_typeET4_jRbjT5_ST_jjP12ihipStream_tbEUlT_E_NS1_11comp_targetILNS1_3genE3ELNS1_11target_archE908ELNS1_3gpuE7ELNS1_3repE0EEENS1_30default_config_static_selectorELNS0_4arch9wavefront6targetE1EEEvSH_
	.p2align	8
	.type	_ZN7rocprim17ROCPRIM_400000_NS6detail17trampoline_kernelINS0_14default_configENS1_36segmented_radix_sort_config_selectorIllEEZNS1_25segmented_radix_sort_implIS3_Lb0EPKlPlS8_S9_N2at6native12_GLOBAL__N_18offset_tEEE10hipError_tPvRmT1_PNSt15iterator_traitsISH_E10value_typeET2_T3_PNSI_ISN_E10value_typeET4_jRbjT5_ST_jjP12ihipStream_tbEUlT_E_NS1_11comp_targetILNS1_3genE3ELNS1_11target_archE908ELNS1_3gpuE7ELNS1_3repE0EEENS1_30default_config_static_selectorELNS0_4arch9wavefront6targetE1EEEvSH_,@function
_ZN7rocprim17ROCPRIM_400000_NS6detail17trampoline_kernelINS0_14default_configENS1_36segmented_radix_sort_config_selectorIllEEZNS1_25segmented_radix_sort_implIS3_Lb0EPKlPlS8_S9_N2at6native12_GLOBAL__N_18offset_tEEE10hipError_tPvRmT1_PNSt15iterator_traitsISH_E10value_typeET2_T3_PNSI_ISN_E10value_typeET4_jRbjT5_ST_jjP12ihipStream_tbEUlT_E_NS1_11comp_targetILNS1_3genE3ELNS1_11target_archE908ELNS1_3gpuE7ELNS1_3repE0EEENS1_30default_config_static_selectorELNS0_4arch9wavefront6targetE1EEEvSH_: ; @_ZN7rocprim17ROCPRIM_400000_NS6detail17trampoline_kernelINS0_14default_configENS1_36segmented_radix_sort_config_selectorIllEEZNS1_25segmented_radix_sort_implIS3_Lb0EPKlPlS8_S9_N2at6native12_GLOBAL__N_18offset_tEEE10hipError_tPvRmT1_PNSt15iterator_traitsISH_E10value_typeET2_T3_PNSI_ISN_E10value_typeET4_jRbjT5_ST_jjP12ihipStream_tbEUlT_E_NS1_11comp_targetILNS1_3genE3ELNS1_11target_archE908ELNS1_3gpuE7ELNS1_3repE0EEENS1_30default_config_static_selectorELNS0_4arch9wavefront6targetE1EEEvSH_
; %bb.0:
	.section	.rodata,"a",@progbits
	.p2align	6, 0x0
	.amdhsa_kernel _ZN7rocprim17ROCPRIM_400000_NS6detail17trampoline_kernelINS0_14default_configENS1_36segmented_radix_sort_config_selectorIllEEZNS1_25segmented_radix_sort_implIS3_Lb0EPKlPlS8_S9_N2at6native12_GLOBAL__N_18offset_tEEE10hipError_tPvRmT1_PNSt15iterator_traitsISH_E10value_typeET2_T3_PNSI_ISN_E10value_typeET4_jRbjT5_ST_jjP12ihipStream_tbEUlT_E_NS1_11comp_targetILNS1_3genE3ELNS1_11target_archE908ELNS1_3gpuE7ELNS1_3repE0EEENS1_30default_config_static_selectorELNS0_4arch9wavefront6targetE1EEEvSH_
		.amdhsa_group_segment_fixed_size 0
		.amdhsa_private_segment_fixed_size 0
		.amdhsa_kernarg_size 96
		.amdhsa_user_sgpr_count 6
		.amdhsa_user_sgpr_private_segment_buffer 1
		.amdhsa_user_sgpr_dispatch_ptr 0
		.amdhsa_user_sgpr_queue_ptr 0
		.amdhsa_user_sgpr_kernarg_segment_ptr 1
		.amdhsa_user_sgpr_dispatch_id 0
		.amdhsa_user_sgpr_flat_scratch_init 0
		.amdhsa_user_sgpr_kernarg_preload_length 0
		.amdhsa_user_sgpr_kernarg_preload_offset 0
		.amdhsa_user_sgpr_private_segment_size 0
		.amdhsa_uses_dynamic_stack 0
		.amdhsa_system_sgpr_private_segment_wavefront_offset 0
		.amdhsa_system_sgpr_workgroup_id_x 1
		.amdhsa_system_sgpr_workgroup_id_y 0
		.amdhsa_system_sgpr_workgroup_id_z 0
		.amdhsa_system_sgpr_workgroup_info 0
		.amdhsa_system_vgpr_workitem_id 0
		.amdhsa_next_free_vgpr 1
		.amdhsa_next_free_sgpr 0
		.amdhsa_accum_offset 4
		.amdhsa_reserve_vcc 0
		.amdhsa_reserve_flat_scratch 0
		.amdhsa_float_round_mode_32 0
		.amdhsa_float_round_mode_16_64 0
		.amdhsa_float_denorm_mode_32 3
		.amdhsa_float_denorm_mode_16_64 3
		.amdhsa_dx10_clamp 1
		.amdhsa_ieee_mode 1
		.amdhsa_fp16_overflow 0
		.amdhsa_tg_split 0
		.amdhsa_exception_fp_ieee_invalid_op 0
		.amdhsa_exception_fp_denorm_src 0
		.amdhsa_exception_fp_ieee_div_zero 0
		.amdhsa_exception_fp_ieee_overflow 0
		.amdhsa_exception_fp_ieee_underflow 0
		.amdhsa_exception_fp_ieee_inexact 0
		.amdhsa_exception_int_div_zero 0
	.end_amdhsa_kernel
	.section	.text._ZN7rocprim17ROCPRIM_400000_NS6detail17trampoline_kernelINS0_14default_configENS1_36segmented_radix_sort_config_selectorIllEEZNS1_25segmented_radix_sort_implIS3_Lb0EPKlPlS8_S9_N2at6native12_GLOBAL__N_18offset_tEEE10hipError_tPvRmT1_PNSt15iterator_traitsISH_E10value_typeET2_T3_PNSI_ISN_E10value_typeET4_jRbjT5_ST_jjP12ihipStream_tbEUlT_E_NS1_11comp_targetILNS1_3genE3ELNS1_11target_archE908ELNS1_3gpuE7ELNS1_3repE0EEENS1_30default_config_static_selectorELNS0_4arch9wavefront6targetE1EEEvSH_,"axG",@progbits,_ZN7rocprim17ROCPRIM_400000_NS6detail17trampoline_kernelINS0_14default_configENS1_36segmented_radix_sort_config_selectorIllEEZNS1_25segmented_radix_sort_implIS3_Lb0EPKlPlS8_S9_N2at6native12_GLOBAL__N_18offset_tEEE10hipError_tPvRmT1_PNSt15iterator_traitsISH_E10value_typeET2_T3_PNSI_ISN_E10value_typeET4_jRbjT5_ST_jjP12ihipStream_tbEUlT_E_NS1_11comp_targetILNS1_3genE3ELNS1_11target_archE908ELNS1_3gpuE7ELNS1_3repE0EEENS1_30default_config_static_selectorELNS0_4arch9wavefront6targetE1EEEvSH_,comdat
.Lfunc_end811:
	.size	_ZN7rocprim17ROCPRIM_400000_NS6detail17trampoline_kernelINS0_14default_configENS1_36segmented_radix_sort_config_selectorIllEEZNS1_25segmented_radix_sort_implIS3_Lb0EPKlPlS8_S9_N2at6native12_GLOBAL__N_18offset_tEEE10hipError_tPvRmT1_PNSt15iterator_traitsISH_E10value_typeET2_T3_PNSI_ISN_E10value_typeET4_jRbjT5_ST_jjP12ihipStream_tbEUlT_E_NS1_11comp_targetILNS1_3genE3ELNS1_11target_archE908ELNS1_3gpuE7ELNS1_3repE0EEENS1_30default_config_static_selectorELNS0_4arch9wavefront6targetE1EEEvSH_, .Lfunc_end811-_ZN7rocprim17ROCPRIM_400000_NS6detail17trampoline_kernelINS0_14default_configENS1_36segmented_radix_sort_config_selectorIllEEZNS1_25segmented_radix_sort_implIS3_Lb0EPKlPlS8_S9_N2at6native12_GLOBAL__N_18offset_tEEE10hipError_tPvRmT1_PNSt15iterator_traitsISH_E10value_typeET2_T3_PNSI_ISN_E10value_typeET4_jRbjT5_ST_jjP12ihipStream_tbEUlT_E_NS1_11comp_targetILNS1_3genE3ELNS1_11target_archE908ELNS1_3gpuE7ELNS1_3repE0EEENS1_30default_config_static_selectorELNS0_4arch9wavefront6targetE1EEEvSH_
                                        ; -- End function
	.section	.AMDGPU.csdata,"",@progbits
; Kernel info:
; codeLenInByte = 0
; NumSgprs: 4
; NumVgprs: 0
; NumAgprs: 0
; TotalNumVgprs: 0
; ScratchSize: 0
; MemoryBound: 0
; FloatMode: 240
; IeeeMode: 1
; LDSByteSize: 0 bytes/workgroup (compile time only)
; SGPRBlocks: 0
; VGPRBlocks: 0
; NumSGPRsForWavesPerEU: 4
; NumVGPRsForWavesPerEU: 1
; AccumOffset: 4
; Occupancy: 8
; WaveLimiterHint : 0
; COMPUTE_PGM_RSRC2:SCRATCH_EN: 0
; COMPUTE_PGM_RSRC2:USER_SGPR: 6
; COMPUTE_PGM_RSRC2:TRAP_HANDLER: 0
; COMPUTE_PGM_RSRC2:TGID_X_EN: 1
; COMPUTE_PGM_RSRC2:TGID_Y_EN: 0
; COMPUTE_PGM_RSRC2:TGID_Z_EN: 0
; COMPUTE_PGM_RSRC2:TIDIG_COMP_CNT: 0
; COMPUTE_PGM_RSRC3_GFX90A:ACCUM_OFFSET: 0
; COMPUTE_PGM_RSRC3_GFX90A:TG_SPLIT: 0
	.section	.text._ZN7rocprim17ROCPRIM_400000_NS6detail17trampoline_kernelINS0_14default_configENS1_36segmented_radix_sort_config_selectorIllEEZNS1_25segmented_radix_sort_implIS3_Lb0EPKlPlS8_S9_N2at6native12_GLOBAL__N_18offset_tEEE10hipError_tPvRmT1_PNSt15iterator_traitsISH_E10value_typeET2_T3_PNSI_ISN_E10value_typeET4_jRbjT5_ST_jjP12ihipStream_tbEUlT_E_NS1_11comp_targetILNS1_3genE2ELNS1_11target_archE906ELNS1_3gpuE6ELNS1_3repE0EEENS1_30default_config_static_selectorELNS0_4arch9wavefront6targetE1EEEvSH_,"axG",@progbits,_ZN7rocprim17ROCPRIM_400000_NS6detail17trampoline_kernelINS0_14default_configENS1_36segmented_radix_sort_config_selectorIllEEZNS1_25segmented_radix_sort_implIS3_Lb0EPKlPlS8_S9_N2at6native12_GLOBAL__N_18offset_tEEE10hipError_tPvRmT1_PNSt15iterator_traitsISH_E10value_typeET2_T3_PNSI_ISN_E10value_typeET4_jRbjT5_ST_jjP12ihipStream_tbEUlT_E_NS1_11comp_targetILNS1_3genE2ELNS1_11target_archE906ELNS1_3gpuE6ELNS1_3repE0EEENS1_30default_config_static_selectorELNS0_4arch9wavefront6targetE1EEEvSH_,comdat
	.globl	_ZN7rocprim17ROCPRIM_400000_NS6detail17trampoline_kernelINS0_14default_configENS1_36segmented_radix_sort_config_selectorIllEEZNS1_25segmented_radix_sort_implIS3_Lb0EPKlPlS8_S9_N2at6native12_GLOBAL__N_18offset_tEEE10hipError_tPvRmT1_PNSt15iterator_traitsISH_E10value_typeET2_T3_PNSI_ISN_E10value_typeET4_jRbjT5_ST_jjP12ihipStream_tbEUlT_E_NS1_11comp_targetILNS1_3genE2ELNS1_11target_archE906ELNS1_3gpuE6ELNS1_3repE0EEENS1_30default_config_static_selectorELNS0_4arch9wavefront6targetE1EEEvSH_ ; -- Begin function _ZN7rocprim17ROCPRIM_400000_NS6detail17trampoline_kernelINS0_14default_configENS1_36segmented_radix_sort_config_selectorIllEEZNS1_25segmented_radix_sort_implIS3_Lb0EPKlPlS8_S9_N2at6native12_GLOBAL__N_18offset_tEEE10hipError_tPvRmT1_PNSt15iterator_traitsISH_E10value_typeET2_T3_PNSI_ISN_E10value_typeET4_jRbjT5_ST_jjP12ihipStream_tbEUlT_E_NS1_11comp_targetILNS1_3genE2ELNS1_11target_archE906ELNS1_3gpuE6ELNS1_3repE0EEENS1_30default_config_static_selectorELNS0_4arch9wavefront6targetE1EEEvSH_
	.p2align	8
	.type	_ZN7rocprim17ROCPRIM_400000_NS6detail17trampoline_kernelINS0_14default_configENS1_36segmented_radix_sort_config_selectorIllEEZNS1_25segmented_radix_sort_implIS3_Lb0EPKlPlS8_S9_N2at6native12_GLOBAL__N_18offset_tEEE10hipError_tPvRmT1_PNSt15iterator_traitsISH_E10value_typeET2_T3_PNSI_ISN_E10value_typeET4_jRbjT5_ST_jjP12ihipStream_tbEUlT_E_NS1_11comp_targetILNS1_3genE2ELNS1_11target_archE906ELNS1_3gpuE6ELNS1_3repE0EEENS1_30default_config_static_selectorELNS0_4arch9wavefront6targetE1EEEvSH_,@function
_ZN7rocprim17ROCPRIM_400000_NS6detail17trampoline_kernelINS0_14default_configENS1_36segmented_radix_sort_config_selectorIllEEZNS1_25segmented_radix_sort_implIS3_Lb0EPKlPlS8_S9_N2at6native12_GLOBAL__N_18offset_tEEE10hipError_tPvRmT1_PNSt15iterator_traitsISH_E10value_typeET2_T3_PNSI_ISN_E10value_typeET4_jRbjT5_ST_jjP12ihipStream_tbEUlT_E_NS1_11comp_targetILNS1_3genE2ELNS1_11target_archE906ELNS1_3gpuE6ELNS1_3repE0EEENS1_30default_config_static_selectorELNS0_4arch9wavefront6targetE1EEEvSH_: ; @_ZN7rocprim17ROCPRIM_400000_NS6detail17trampoline_kernelINS0_14default_configENS1_36segmented_radix_sort_config_selectorIllEEZNS1_25segmented_radix_sort_implIS3_Lb0EPKlPlS8_S9_N2at6native12_GLOBAL__N_18offset_tEEE10hipError_tPvRmT1_PNSt15iterator_traitsISH_E10value_typeET2_T3_PNSI_ISN_E10value_typeET4_jRbjT5_ST_jjP12ihipStream_tbEUlT_E_NS1_11comp_targetILNS1_3genE2ELNS1_11target_archE906ELNS1_3gpuE6ELNS1_3repE0EEENS1_30default_config_static_selectorELNS0_4arch9wavefront6targetE1EEEvSH_
; %bb.0:
	.section	.rodata,"a",@progbits
	.p2align	6, 0x0
	.amdhsa_kernel _ZN7rocprim17ROCPRIM_400000_NS6detail17trampoline_kernelINS0_14default_configENS1_36segmented_radix_sort_config_selectorIllEEZNS1_25segmented_radix_sort_implIS3_Lb0EPKlPlS8_S9_N2at6native12_GLOBAL__N_18offset_tEEE10hipError_tPvRmT1_PNSt15iterator_traitsISH_E10value_typeET2_T3_PNSI_ISN_E10value_typeET4_jRbjT5_ST_jjP12ihipStream_tbEUlT_E_NS1_11comp_targetILNS1_3genE2ELNS1_11target_archE906ELNS1_3gpuE6ELNS1_3repE0EEENS1_30default_config_static_selectorELNS0_4arch9wavefront6targetE1EEEvSH_
		.amdhsa_group_segment_fixed_size 0
		.amdhsa_private_segment_fixed_size 0
		.amdhsa_kernarg_size 96
		.amdhsa_user_sgpr_count 6
		.amdhsa_user_sgpr_private_segment_buffer 1
		.amdhsa_user_sgpr_dispatch_ptr 0
		.amdhsa_user_sgpr_queue_ptr 0
		.amdhsa_user_sgpr_kernarg_segment_ptr 1
		.amdhsa_user_sgpr_dispatch_id 0
		.amdhsa_user_sgpr_flat_scratch_init 0
		.amdhsa_user_sgpr_kernarg_preload_length 0
		.amdhsa_user_sgpr_kernarg_preload_offset 0
		.amdhsa_user_sgpr_private_segment_size 0
		.amdhsa_uses_dynamic_stack 0
		.amdhsa_system_sgpr_private_segment_wavefront_offset 0
		.amdhsa_system_sgpr_workgroup_id_x 1
		.amdhsa_system_sgpr_workgroup_id_y 0
		.amdhsa_system_sgpr_workgroup_id_z 0
		.amdhsa_system_sgpr_workgroup_info 0
		.amdhsa_system_vgpr_workitem_id 0
		.amdhsa_next_free_vgpr 1
		.amdhsa_next_free_sgpr 0
		.amdhsa_accum_offset 4
		.amdhsa_reserve_vcc 0
		.amdhsa_reserve_flat_scratch 0
		.amdhsa_float_round_mode_32 0
		.amdhsa_float_round_mode_16_64 0
		.amdhsa_float_denorm_mode_32 3
		.amdhsa_float_denorm_mode_16_64 3
		.amdhsa_dx10_clamp 1
		.amdhsa_ieee_mode 1
		.amdhsa_fp16_overflow 0
		.amdhsa_tg_split 0
		.amdhsa_exception_fp_ieee_invalid_op 0
		.amdhsa_exception_fp_denorm_src 0
		.amdhsa_exception_fp_ieee_div_zero 0
		.amdhsa_exception_fp_ieee_overflow 0
		.amdhsa_exception_fp_ieee_underflow 0
		.amdhsa_exception_fp_ieee_inexact 0
		.amdhsa_exception_int_div_zero 0
	.end_amdhsa_kernel
	.section	.text._ZN7rocprim17ROCPRIM_400000_NS6detail17trampoline_kernelINS0_14default_configENS1_36segmented_radix_sort_config_selectorIllEEZNS1_25segmented_radix_sort_implIS3_Lb0EPKlPlS8_S9_N2at6native12_GLOBAL__N_18offset_tEEE10hipError_tPvRmT1_PNSt15iterator_traitsISH_E10value_typeET2_T3_PNSI_ISN_E10value_typeET4_jRbjT5_ST_jjP12ihipStream_tbEUlT_E_NS1_11comp_targetILNS1_3genE2ELNS1_11target_archE906ELNS1_3gpuE6ELNS1_3repE0EEENS1_30default_config_static_selectorELNS0_4arch9wavefront6targetE1EEEvSH_,"axG",@progbits,_ZN7rocprim17ROCPRIM_400000_NS6detail17trampoline_kernelINS0_14default_configENS1_36segmented_radix_sort_config_selectorIllEEZNS1_25segmented_radix_sort_implIS3_Lb0EPKlPlS8_S9_N2at6native12_GLOBAL__N_18offset_tEEE10hipError_tPvRmT1_PNSt15iterator_traitsISH_E10value_typeET2_T3_PNSI_ISN_E10value_typeET4_jRbjT5_ST_jjP12ihipStream_tbEUlT_E_NS1_11comp_targetILNS1_3genE2ELNS1_11target_archE906ELNS1_3gpuE6ELNS1_3repE0EEENS1_30default_config_static_selectorELNS0_4arch9wavefront6targetE1EEEvSH_,comdat
.Lfunc_end812:
	.size	_ZN7rocprim17ROCPRIM_400000_NS6detail17trampoline_kernelINS0_14default_configENS1_36segmented_radix_sort_config_selectorIllEEZNS1_25segmented_radix_sort_implIS3_Lb0EPKlPlS8_S9_N2at6native12_GLOBAL__N_18offset_tEEE10hipError_tPvRmT1_PNSt15iterator_traitsISH_E10value_typeET2_T3_PNSI_ISN_E10value_typeET4_jRbjT5_ST_jjP12ihipStream_tbEUlT_E_NS1_11comp_targetILNS1_3genE2ELNS1_11target_archE906ELNS1_3gpuE6ELNS1_3repE0EEENS1_30default_config_static_selectorELNS0_4arch9wavefront6targetE1EEEvSH_, .Lfunc_end812-_ZN7rocprim17ROCPRIM_400000_NS6detail17trampoline_kernelINS0_14default_configENS1_36segmented_radix_sort_config_selectorIllEEZNS1_25segmented_radix_sort_implIS3_Lb0EPKlPlS8_S9_N2at6native12_GLOBAL__N_18offset_tEEE10hipError_tPvRmT1_PNSt15iterator_traitsISH_E10value_typeET2_T3_PNSI_ISN_E10value_typeET4_jRbjT5_ST_jjP12ihipStream_tbEUlT_E_NS1_11comp_targetILNS1_3genE2ELNS1_11target_archE906ELNS1_3gpuE6ELNS1_3repE0EEENS1_30default_config_static_selectorELNS0_4arch9wavefront6targetE1EEEvSH_
                                        ; -- End function
	.section	.AMDGPU.csdata,"",@progbits
; Kernel info:
; codeLenInByte = 0
; NumSgprs: 4
; NumVgprs: 0
; NumAgprs: 0
; TotalNumVgprs: 0
; ScratchSize: 0
; MemoryBound: 0
; FloatMode: 240
; IeeeMode: 1
; LDSByteSize: 0 bytes/workgroup (compile time only)
; SGPRBlocks: 0
; VGPRBlocks: 0
; NumSGPRsForWavesPerEU: 4
; NumVGPRsForWavesPerEU: 1
; AccumOffset: 4
; Occupancy: 8
; WaveLimiterHint : 0
; COMPUTE_PGM_RSRC2:SCRATCH_EN: 0
; COMPUTE_PGM_RSRC2:USER_SGPR: 6
; COMPUTE_PGM_RSRC2:TRAP_HANDLER: 0
; COMPUTE_PGM_RSRC2:TGID_X_EN: 1
; COMPUTE_PGM_RSRC2:TGID_Y_EN: 0
; COMPUTE_PGM_RSRC2:TGID_Z_EN: 0
; COMPUTE_PGM_RSRC2:TIDIG_COMP_CNT: 0
; COMPUTE_PGM_RSRC3_GFX90A:ACCUM_OFFSET: 0
; COMPUTE_PGM_RSRC3_GFX90A:TG_SPLIT: 0
	.section	.text._ZN7rocprim17ROCPRIM_400000_NS6detail17trampoline_kernelINS0_14default_configENS1_36segmented_radix_sort_config_selectorIllEEZNS1_25segmented_radix_sort_implIS3_Lb0EPKlPlS8_S9_N2at6native12_GLOBAL__N_18offset_tEEE10hipError_tPvRmT1_PNSt15iterator_traitsISH_E10value_typeET2_T3_PNSI_ISN_E10value_typeET4_jRbjT5_ST_jjP12ihipStream_tbEUlT_E_NS1_11comp_targetILNS1_3genE10ELNS1_11target_archE1201ELNS1_3gpuE5ELNS1_3repE0EEENS1_30default_config_static_selectorELNS0_4arch9wavefront6targetE1EEEvSH_,"axG",@progbits,_ZN7rocprim17ROCPRIM_400000_NS6detail17trampoline_kernelINS0_14default_configENS1_36segmented_radix_sort_config_selectorIllEEZNS1_25segmented_radix_sort_implIS3_Lb0EPKlPlS8_S9_N2at6native12_GLOBAL__N_18offset_tEEE10hipError_tPvRmT1_PNSt15iterator_traitsISH_E10value_typeET2_T3_PNSI_ISN_E10value_typeET4_jRbjT5_ST_jjP12ihipStream_tbEUlT_E_NS1_11comp_targetILNS1_3genE10ELNS1_11target_archE1201ELNS1_3gpuE5ELNS1_3repE0EEENS1_30default_config_static_selectorELNS0_4arch9wavefront6targetE1EEEvSH_,comdat
	.globl	_ZN7rocprim17ROCPRIM_400000_NS6detail17trampoline_kernelINS0_14default_configENS1_36segmented_radix_sort_config_selectorIllEEZNS1_25segmented_radix_sort_implIS3_Lb0EPKlPlS8_S9_N2at6native12_GLOBAL__N_18offset_tEEE10hipError_tPvRmT1_PNSt15iterator_traitsISH_E10value_typeET2_T3_PNSI_ISN_E10value_typeET4_jRbjT5_ST_jjP12ihipStream_tbEUlT_E_NS1_11comp_targetILNS1_3genE10ELNS1_11target_archE1201ELNS1_3gpuE5ELNS1_3repE0EEENS1_30default_config_static_selectorELNS0_4arch9wavefront6targetE1EEEvSH_ ; -- Begin function _ZN7rocprim17ROCPRIM_400000_NS6detail17trampoline_kernelINS0_14default_configENS1_36segmented_radix_sort_config_selectorIllEEZNS1_25segmented_radix_sort_implIS3_Lb0EPKlPlS8_S9_N2at6native12_GLOBAL__N_18offset_tEEE10hipError_tPvRmT1_PNSt15iterator_traitsISH_E10value_typeET2_T3_PNSI_ISN_E10value_typeET4_jRbjT5_ST_jjP12ihipStream_tbEUlT_E_NS1_11comp_targetILNS1_3genE10ELNS1_11target_archE1201ELNS1_3gpuE5ELNS1_3repE0EEENS1_30default_config_static_selectorELNS0_4arch9wavefront6targetE1EEEvSH_
	.p2align	8
	.type	_ZN7rocprim17ROCPRIM_400000_NS6detail17trampoline_kernelINS0_14default_configENS1_36segmented_radix_sort_config_selectorIllEEZNS1_25segmented_radix_sort_implIS3_Lb0EPKlPlS8_S9_N2at6native12_GLOBAL__N_18offset_tEEE10hipError_tPvRmT1_PNSt15iterator_traitsISH_E10value_typeET2_T3_PNSI_ISN_E10value_typeET4_jRbjT5_ST_jjP12ihipStream_tbEUlT_E_NS1_11comp_targetILNS1_3genE10ELNS1_11target_archE1201ELNS1_3gpuE5ELNS1_3repE0EEENS1_30default_config_static_selectorELNS0_4arch9wavefront6targetE1EEEvSH_,@function
_ZN7rocprim17ROCPRIM_400000_NS6detail17trampoline_kernelINS0_14default_configENS1_36segmented_radix_sort_config_selectorIllEEZNS1_25segmented_radix_sort_implIS3_Lb0EPKlPlS8_S9_N2at6native12_GLOBAL__N_18offset_tEEE10hipError_tPvRmT1_PNSt15iterator_traitsISH_E10value_typeET2_T3_PNSI_ISN_E10value_typeET4_jRbjT5_ST_jjP12ihipStream_tbEUlT_E_NS1_11comp_targetILNS1_3genE10ELNS1_11target_archE1201ELNS1_3gpuE5ELNS1_3repE0EEENS1_30default_config_static_selectorELNS0_4arch9wavefront6targetE1EEEvSH_: ; @_ZN7rocprim17ROCPRIM_400000_NS6detail17trampoline_kernelINS0_14default_configENS1_36segmented_radix_sort_config_selectorIllEEZNS1_25segmented_radix_sort_implIS3_Lb0EPKlPlS8_S9_N2at6native12_GLOBAL__N_18offset_tEEE10hipError_tPvRmT1_PNSt15iterator_traitsISH_E10value_typeET2_T3_PNSI_ISN_E10value_typeET4_jRbjT5_ST_jjP12ihipStream_tbEUlT_E_NS1_11comp_targetILNS1_3genE10ELNS1_11target_archE1201ELNS1_3gpuE5ELNS1_3repE0EEENS1_30default_config_static_selectorELNS0_4arch9wavefront6targetE1EEEvSH_
; %bb.0:
	.section	.rodata,"a",@progbits
	.p2align	6, 0x0
	.amdhsa_kernel _ZN7rocprim17ROCPRIM_400000_NS6detail17trampoline_kernelINS0_14default_configENS1_36segmented_radix_sort_config_selectorIllEEZNS1_25segmented_radix_sort_implIS3_Lb0EPKlPlS8_S9_N2at6native12_GLOBAL__N_18offset_tEEE10hipError_tPvRmT1_PNSt15iterator_traitsISH_E10value_typeET2_T3_PNSI_ISN_E10value_typeET4_jRbjT5_ST_jjP12ihipStream_tbEUlT_E_NS1_11comp_targetILNS1_3genE10ELNS1_11target_archE1201ELNS1_3gpuE5ELNS1_3repE0EEENS1_30default_config_static_selectorELNS0_4arch9wavefront6targetE1EEEvSH_
		.amdhsa_group_segment_fixed_size 0
		.amdhsa_private_segment_fixed_size 0
		.amdhsa_kernarg_size 96
		.amdhsa_user_sgpr_count 6
		.amdhsa_user_sgpr_private_segment_buffer 1
		.amdhsa_user_sgpr_dispatch_ptr 0
		.amdhsa_user_sgpr_queue_ptr 0
		.amdhsa_user_sgpr_kernarg_segment_ptr 1
		.amdhsa_user_sgpr_dispatch_id 0
		.amdhsa_user_sgpr_flat_scratch_init 0
		.amdhsa_user_sgpr_kernarg_preload_length 0
		.amdhsa_user_sgpr_kernarg_preload_offset 0
		.amdhsa_user_sgpr_private_segment_size 0
		.amdhsa_uses_dynamic_stack 0
		.amdhsa_system_sgpr_private_segment_wavefront_offset 0
		.amdhsa_system_sgpr_workgroup_id_x 1
		.amdhsa_system_sgpr_workgroup_id_y 0
		.amdhsa_system_sgpr_workgroup_id_z 0
		.amdhsa_system_sgpr_workgroup_info 0
		.amdhsa_system_vgpr_workitem_id 0
		.amdhsa_next_free_vgpr 1
		.amdhsa_next_free_sgpr 0
		.amdhsa_accum_offset 4
		.amdhsa_reserve_vcc 0
		.amdhsa_reserve_flat_scratch 0
		.amdhsa_float_round_mode_32 0
		.amdhsa_float_round_mode_16_64 0
		.amdhsa_float_denorm_mode_32 3
		.amdhsa_float_denorm_mode_16_64 3
		.amdhsa_dx10_clamp 1
		.amdhsa_ieee_mode 1
		.amdhsa_fp16_overflow 0
		.amdhsa_tg_split 0
		.amdhsa_exception_fp_ieee_invalid_op 0
		.amdhsa_exception_fp_denorm_src 0
		.amdhsa_exception_fp_ieee_div_zero 0
		.amdhsa_exception_fp_ieee_overflow 0
		.amdhsa_exception_fp_ieee_underflow 0
		.amdhsa_exception_fp_ieee_inexact 0
		.amdhsa_exception_int_div_zero 0
	.end_amdhsa_kernel
	.section	.text._ZN7rocprim17ROCPRIM_400000_NS6detail17trampoline_kernelINS0_14default_configENS1_36segmented_radix_sort_config_selectorIllEEZNS1_25segmented_radix_sort_implIS3_Lb0EPKlPlS8_S9_N2at6native12_GLOBAL__N_18offset_tEEE10hipError_tPvRmT1_PNSt15iterator_traitsISH_E10value_typeET2_T3_PNSI_ISN_E10value_typeET4_jRbjT5_ST_jjP12ihipStream_tbEUlT_E_NS1_11comp_targetILNS1_3genE10ELNS1_11target_archE1201ELNS1_3gpuE5ELNS1_3repE0EEENS1_30default_config_static_selectorELNS0_4arch9wavefront6targetE1EEEvSH_,"axG",@progbits,_ZN7rocprim17ROCPRIM_400000_NS6detail17trampoline_kernelINS0_14default_configENS1_36segmented_radix_sort_config_selectorIllEEZNS1_25segmented_radix_sort_implIS3_Lb0EPKlPlS8_S9_N2at6native12_GLOBAL__N_18offset_tEEE10hipError_tPvRmT1_PNSt15iterator_traitsISH_E10value_typeET2_T3_PNSI_ISN_E10value_typeET4_jRbjT5_ST_jjP12ihipStream_tbEUlT_E_NS1_11comp_targetILNS1_3genE10ELNS1_11target_archE1201ELNS1_3gpuE5ELNS1_3repE0EEENS1_30default_config_static_selectorELNS0_4arch9wavefront6targetE1EEEvSH_,comdat
.Lfunc_end813:
	.size	_ZN7rocprim17ROCPRIM_400000_NS6detail17trampoline_kernelINS0_14default_configENS1_36segmented_radix_sort_config_selectorIllEEZNS1_25segmented_radix_sort_implIS3_Lb0EPKlPlS8_S9_N2at6native12_GLOBAL__N_18offset_tEEE10hipError_tPvRmT1_PNSt15iterator_traitsISH_E10value_typeET2_T3_PNSI_ISN_E10value_typeET4_jRbjT5_ST_jjP12ihipStream_tbEUlT_E_NS1_11comp_targetILNS1_3genE10ELNS1_11target_archE1201ELNS1_3gpuE5ELNS1_3repE0EEENS1_30default_config_static_selectorELNS0_4arch9wavefront6targetE1EEEvSH_, .Lfunc_end813-_ZN7rocprim17ROCPRIM_400000_NS6detail17trampoline_kernelINS0_14default_configENS1_36segmented_radix_sort_config_selectorIllEEZNS1_25segmented_radix_sort_implIS3_Lb0EPKlPlS8_S9_N2at6native12_GLOBAL__N_18offset_tEEE10hipError_tPvRmT1_PNSt15iterator_traitsISH_E10value_typeET2_T3_PNSI_ISN_E10value_typeET4_jRbjT5_ST_jjP12ihipStream_tbEUlT_E_NS1_11comp_targetILNS1_3genE10ELNS1_11target_archE1201ELNS1_3gpuE5ELNS1_3repE0EEENS1_30default_config_static_selectorELNS0_4arch9wavefront6targetE1EEEvSH_
                                        ; -- End function
	.section	.AMDGPU.csdata,"",@progbits
; Kernel info:
; codeLenInByte = 0
; NumSgprs: 4
; NumVgprs: 0
; NumAgprs: 0
; TotalNumVgprs: 0
; ScratchSize: 0
; MemoryBound: 0
; FloatMode: 240
; IeeeMode: 1
; LDSByteSize: 0 bytes/workgroup (compile time only)
; SGPRBlocks: 0
; VGPRBlocks: 0
; NumSGPRsForWavesPerEU: 4
; NumVGPRsForWavesPerEU: 1
; AccumOffset: 4
; Occupancy: 8
; WaveLimiterHint : 0
; COMPUTE_PGM_RSRC2:SCRATCH_EN: 0
; COMPUTE_PGM_RSRC2:USER_SGPR: 6
; COMPUTE_PGM_RSRC2:TRAP_HANDLER: 0
; COMPUTE_PGM_RSRC2:TGID_X_EN: 1
; COMPUTE_PGM_RSRC2:TGID_Y_EN: 0
; COMPUTE_PGM_RSRC2:TGID_Z_EN: 0
; COMPUTE_PGM_RSRC2:TIDIG_COMP_CNT: 0
; COMPUTE_PGM_RSRC3_GFX90A:ACCUM_OFFSET: 0
; COMPUTE_PGM_RSRC3_GFX90A:TG_SPLIT: 0
	.section	.text._ZN7rocprim17ROCPRIM_400000_NS6detail17trampoline_kernelINS0_14default_configENS1_36segmented_radix_sort_config_selectorIllEEZNS1_25segmented_radix_sort_implIS3_Lb0EPKlPlS8_S9_N2at6native12_GLOBAL__N_18offset_tEEE10hipError_tPvRmT1_PNSt15iterator_traitsISH_E10value_typeET2_T3_PNSI_ISN_E10value_typeET4_jRbjT5_ST_jjP12ihipStream_tbEUlT_E_NS1_11comp_targetILNS1_3genE10ELNS1_11target_archE1200ELNS1_3gpuE4ELNS1_3repE0EEENS1_30default_config_static_selectorELNS0_4arch9wavefront6targetE1EEEvSH_,"axG",@progbits,_ZN7rocprim17ROCPRIM_400000_NS6detail17trampoline_kernelINS0_14default_configENS1_36segmented_radix_sort_config_selectorIllEEZNS1_25segmented_radix_sort_implIS3_Lb0EPKlPlS8_S9_N2at6native12_GLOBAL__N_18offset_tEEE10hipError_tPvRmT1_PNSt15iterator_traitsISH_E10value_typeET2_T3_PNSI_ISN_E10value_typeET4_jRbjT5_ST_jjP12ihipStream_tbEUlT_E_NS1_11comp_targetILNS1_3genE10ELNS1_11target_archE1200ELNS1_3gpuE4ELNS1_3repE0EEENS1_30default_config_static_selectorELNS0_4arch9wavefront6targetE1EEEvSH_,comdat
	.globl	_ZN7rocprim17ROCPRIM_400000_NS6detail17trampoline_kernelINS0_14default_configENS1_36segmented_radix_sort_config_selectorIllEEZNS1_25segmented_radix_sort_implIS3_Lb0EPKlPlS8_S9_N2at6native12_GLOBAL__N_18offset_tEEE10hipError_tPvRmT1_PNSt15iterator_traitsISH_E10value_typeET2_T3_PNSI_ISN_E10value_typeET4_jRbjT5_ST_jjP12ihipStream_tbEUlT_E_NS1_11comp_targetILNS1_3genE10ELNS1_11target_archE1200ELNS1_3gpuE4ELNS1_3repE0EEENS1_30default_config_static_selectorELNS0_4arch9wavefront6targetE1EEEvSH_ ; -- Begin function _ZN7rocprim17ROCPRIM_400000_NS6detail17trampoline_kernelINS0_14default_configENS1_36segmented_radix_sort_config_selectorIllEEZNS1_25segmented_radix_sort_implIS3_Lb0EPKlPlS8_S9_N2at6native12_GLOBAL__N_18offset_tEEE10hipError_tPvRmT1_PNSt15iterator_traitsISH_E10value_typeET2_T3_PNSI_ISN_E10value_typeET4_jRbjT5_ST_jjP12ihipStream_tbEUlT_E_NS1_11comp_targetILNS1_3genE10ELNS1_11target_archE1200ELNS1_3gpuE4ELNS1_3repE0EEENS1_30default_config_static_selectorELNS0_4arch9wavefront6targetE1EEEvSH_
	.p2align	8
	.type	_ZN7rocprim17ROCPRIM_400000_NS6detail17trampoline_kernelINS0_14default_configENS1_36segmented_radix_sort_config_selectorIllEEZNS1_25segmented_radix_sort_implIS3_Lb0EPKlPlS8_S9_N2at6native12_GLOBAL__N_18offset_tEEE10hipError_tPvRmT1_PNSt15iterator_traitsISH_E10value_typeET2_T3_PNSI_ISN_E10value_typeET4_jRbjT5_ST_jjP12ihipStream_tbEUlT_E_NS1_11comp_targetILNS1_3genE10ELNS1_11target_archE1200ELNS1_3gpuE4ELNS1_3repE0EEENS1_30default_config_static_selectorELNS0_4arch9wavefront6targetE1EEEvSH_,@function
_ZN7rocprim17ROCPRIM_400000_NS6detail17trampoline_kernelINS0_14default_configENS1_36segmented_radix_sort_config_selectorIllEEZNS1_25segmented_radix_sort_implIS3_Lb0EPKlPlS8_S9_N2at6native12_GLOBAL__N_18offset_tEEE10hipError_tPvRmT1_PNSt15iterator_traitsISH_E10value_typeET2_T3_PNSI_ISN_E10value_typeET4_jRbjT5_ST_jjP12ihipStream_tbEUlT_E_NS1_11comp_targetILNS1_3genE10ELNS1_11target_archE1200ELNS1_3gpuE4ELNS1_3repE0EEENS1_30default_config_static_selectorELNS0_4arch9wavefront6targetE1EEEvSH_: ; @_ZN7rocprim17ROCPRIM_400000_NS6detail17trampoline_kernelINS0_14default_configENS1_36segmented_radix_sort_config_selectorIllEEZNS1_25segmented_radix_sort_implIS3_Lb0EPKlPlS8_S9_N2at6native12_GLOBAL__N_18offset_tEEE10hipError_tPvRmT1_PNSt15iterator_traitsISH_E10value_typeET2_T3_PNSI_ISN_E10value_typeET4_jRbjT5_ST_jjP12ihipStream_tbEUlT_E_NS1_11comp_targetILNS1_3genE10ELNS1_11target_archE1200ELNS1_3gpuE4ELNS1_3repE0EEENS1_30default_config_static_selectorELNS0_4arch9wavefront6targetE1EEEvSH_
; %bb.0:
	.section	.rodata,"a",@progbits
	.p2align	6, 0x0
	.amdhsa_kernel _ZN7rocprim17ROCPRIM_400000_NS6detail17trampoline_kernelINS0_14default_configENS1_36segmented_radix_sort_config_selectorIllEEZNS1_25segmented_radix_sort_implIS3_Lb0EPKlPlS8_S9_N2at6native12_GLOBAL__N_18offset_tEEE10hipError_tPvRmT1_PNSt15iterator_traitsISH_E10value_typeET2_T3_PNSI_ISN_E10value_typeET4_jRbjT5_ST_jjP12ihipStream_tbEUlT_E_NS1_11comp_targetILNS1_3genE10ELNS1_11target_archE1200ELNS1_3gpuE4ELNS1_3repE0EEENS1_30default_config_static_selectorELNS0_4arch9wavefront6targetE1EEEvSH_
		.amdhsa_group_segment_fixed_size 0
		.amdhsa_private_segment_fixed_size 0
		.amdhsa_kernarg_size 96
		.amdhsa_user_sgpr_count 6
		.amdhsa_user_sgpr_private_segment_buffer 1
		.amdhsa_user_sgpr_dispatch_ptr 0
		.amdhsa_user_sgpr_queue_ptr 0
		.amdhsa_user_sgpr_kernarg_segment_ptr 1
		.amdhsa_user_sgpr_dispatch_id 0
		.amdhsa_user_sgpr_flat_scratch_init 0
		.amdhsa_user_sgpr_kernarg_preload_length 0
		.amdhsa_user_sgpr_kernarg_preload_offset 0
		.amdhsa_user_sgpr_private_segment_size 0
		.amdhsa_uses_dynamic_stack 0
		.amdhsa_system_sgpr_private_segment_wavefront_offset 0
		.amdhsa_system_sgpr_workgroup_id_x 1
		.amdhsa_system_sgpr_workgroup_id_y 0
		.amdhsa_system_sgpr_workgroup_id_z 0
		.amdhsa_system_sgpr_workgroup_info 0
		.amdhsa_system_vgpr_workitem_id 0
		.amdhsa_next_free_vgpr 1
		.amdhsa_next_free_sgpr 0
		.amdhsa_accum_offset 4
		.amdhsa_reserve_vcc 0
		.amdhsa_reserve_flat_scratch 0
		.amdhsa_float_round_mode_32 0
		.amdhsa_float_round_mode_16_64 0
		.amdhsa_float_denorm_mode_32 3
		.amdhsa_float_denorm_mode_16_64 3
		.amdhsa_dx10_clamp 1
		.amdhsa_ieee_mode 1
		.amdhsa_fp16_overflow 0
		.amdhsa_tg_split 0
		.amdhsa_exception_fp_ieee_invalid_op 0
		.amdhsa_exception_fp_denorm_src 0
		.amdhsa_exception_fp_ieee_div_zero 0
		.amdhsa_exception_fp_ieee_overflow 0
		.amdhsa_exception_fp_ieee_underflow 0
		.amdhsa_exception_fp_ieee_inexact 0
		.amdhsa_exception_int_div_zero 0
	.end_amdhsa_kernel
	.section	.text._ZN7rocprim17ROCPRIM_400000_NS6detail17trampoline_kernelINS0_14default_configENS1_36segmented_radix_sort_config_selectorIllEEZNS1_25segmented_radix_sort_implIS3_Lb0EPKlPlS8_S9_N2at6native12_GLOBAL__N_18offset_tEEE10hipError_tPvRmT1_PNSt15iterator_traitsISH_E10value_typeET2_T3_PNSI_ISN_E10value_typeET4_jRbjT5_ST_jjP12ihipStream_tbEUlT_E_NS1_11comp_targetILNS1_3genE10ELNS1_11target_archE1200ELNS1_3gpuE4ELNS1_3repE0EEENS1_30default_config_static_selectorELNS0_4arch9wavefront6targetE1EEEvSH_,"axG",@progbits,_ZN7rocprim17ROCPRIM_400000_NS6detail17trampoline_kernelINS0_14default_configENS1_36segmented_radix_sort_config_selectorIllEEZNS1_25segmented_radix_sort_implIS3_Lb0EPKlPlS8_S9_N2at6native12_GLOBAL__N_18offset_tEEE10hipError_tPvRmT1_PNSt15iterator_traitsISH_E10value_typeET2_T3_PNSI_ISN_E10value_typeET4_jRbjT5_ST_jjP12ihipStream_tbEUlT_E_NS1_11comp_targetILNS1_3genE10ELNS1_11target_archE1200ELNS1_3gpuE4ELNS1_3repE0EEENS1_30default_config_static_selectorELNS0_4arch9wavefront6targetE1EEEvSH_,comdat
.Lfunc_end814:
	.size	_ZN7rocprim17ROCPRIM_400000_NS6detail17trampoline_kernelINS0_14default_configENS1_36segmented_radix_sort_config_selectorIllEEZNS1_25segmented_radix_sort_implIS3_Lb0EPKlPlS8_S9_N2at6native12_GLOBAL__N_18offset_tEEE10hipError_tPvRmT1_PNSt15iterator_traitsISH_E10value_typeET2_T3_PNSI_ISN_E10value_typeET4_jRbjT5_ST_jjP12ihipStream_tbEUlT_E_NS1_11comp_targetILNS1_3genE10ELNS1_11target_archE1200ELNS1_3gpuE4ELNS1_3repE0EEENS1_30default_config_static_selectorELNS0_4arch9wavefront6targetE1EEEvSH_, .Lfunc_end814-_ZN7rocprim17ROCPRIM_400000_NS6detail17trampoline_kernelINS0_14default_configENS1_36segmented_radix_sort_config_selectorIllEEZNS1_25segmented_radix_sort_implIS3_Lb0EPKlPlS8_S9_N2at6native12_GLOBAL__N_18offset_tEEE10hipError_tPvRmT1_PNSt15iterator_traitsISH_E10value_typeET2_T3_PNSI_ISN_E10value_typeET4_jRbjT5_ST_jjP12ihipStream_tbEUlT_E_NS1_11comp_targetILNS1_3genE10ELNS1_11target_archE1200ELNS1_3gpuE4ELNS1_3repE0EEENS1_30default_config_static_selectorELNS0_4arch9wavefront6targetE1EEEvSH_
                                        ; -- End function
	.section	.AMDGPU.csdata,"",@progbits
; Kernel info:
; codeLenInByte = 0
; NumSgprs: 4
; NumVgprs: 0
; NumAgprs: 0
; TotalNumVgprs: 0
; ScratchSize: 0
; MemoryBound: 0
; FloatMode: 240
; IeeeMode: 1
; LDSByteSize: 0 bytes/workgroup (compile time only)
; SGPRBlocks: 0
; VGPRBlocks: 0
; NumSGPRsForWavesPerEU: 4
; NumVGPRsForWavesPerEU: 1
; AccumOffset: 4
; Occupancy: 8
; WaveLimiterHint : 0
; COMPUTE_PGM_RSRC2:SCRATCH_EN: 0
; COMPUTE_PGM_RSRC2:USER_SGPR: 6
; COMPUTE_PGM_RSRC2:TRAP_HANDLER: 0
; COMPUTE_PGM_RSRC2:TGID_X_EN: 1
; COMPUTE_PGM_RSRC2:TGID_Y_EN: 0
; COMPUTE_PGM_RSRC2:TGID_Z_EN: 0
; COMPUTE_PGM_RSRC2:TIDIG_COMP_CNT: 0
; COMPUTE_PGM_RSRC3_GFX90A:ACCUM_OFFSET: 0
; COMPUTE_PGM_RSRC3_GFX90A:TG_SPLIT: 0
	.section	.text._ZN7rocprim17ROCPRIM_400000_NS6detail17trampoline_kernelINS0_14default_configENS1_36segmented_radix_sort_config_selectorIllEEZNS1_25segmented_radix_sort_implIS3_Lb0EPKlPlS8_S9_N2at6native12_GLOBAL__N_18offset_tEEE10hipError_tPvRmT1_PNSt15iterator_traitsISH_E10value_typeET2_T3_PNSI_ISN_E10value_typeET4_jRbjT5_ST_jjP12ihipStream_tbEUlT_E_NS1_11comp_targetILNS1_3genE9ELNS1_11target_archE1100ELNS1_3gpuE3ELNS1_3repE0EEENS1_30default_config_static_selectorELNS0_4arch9wavefront6targetE1EEEvSH_,"axG",@progbits,_ZN7rocprim17ROCPRIM_400000_NS6detail17trampoline_kernelINS0_14default_configENS1_36segmented_radix_sort_config_selectorIllEEZNS1_25segmented_radix_sort_implIS3_Lb0EPKlPlS8_S9_N2at6native12_GLOBAL__N_18offset_tEEE10hipError_tPvRmT1_PNSt15iterator_traitsISH_E10value_typeET2_T3_PNSI_ISN_E10value_typeET4_jRbjT5_ST_jjP12ihipStream_tbEUlT_E_NS1_11comp_targetILNS1_3genE9ELNS1_11target_archE1100ELNS1_3gpuE3ELNS1_3repE0EEENS1_30default_config_static_selectorELNS0_4arch9wavefront6targetE1EEEvSH_,comdat
	.globl	_ZN7rocprim17ROCPRIM_400000_NS6detail17trampoline_kernelINS0_14default_configENS1_36segmented_radix_sort_config_selectorIllEEZNS1_25segmented_radix_sort_implIS3_Lb0EPKlPlS8_S9_N2at6native12_GLOBAL__N_18offset_tEEE10hipError_tPvRmT1_PNSt15iterator_traitsISH_E10value_typeET2_T3_PNSI_ISN_E10value_typeET4_jRbjT5_ST_jjP12ihipStream_tbEUlT_E_NS1_11comp_targetILNS1_3genE9ELNS1_11target_archE1100ELNS1_3gpuE3ELNS1_3repE0EEENS1_30default_config_static_selectorELNS0_4arch9wavefront6targetE1EEEvSH_ ; -- Begin function _ZN7rocprim17ROCPRIM_400000_NS6detail17trampoline_kernelINS0_14default_configENS1_36segmented_radix_sort_config_selectorIllEEZNS1_25segmented_radix_sort_implIS3_Lb0EPKlPlS8_S9_N2at6native12_GLOBAL__N_18offset_tEEE10hipError_tPvRmT1_PNSt15iterator_traitsISH_E10value_typeET2_T3_PNSI_ISN_E10value_typeET4_jRbjT5_ST_jjP12ihipStream_tbEUlT_E_NS1_11comp_targetILNS1_3genE9ELNS1_11target_archE1100ELNS1_3gpuE3ELNS1_3repE0EEENS1_30default_config_static_selectorELNS0_4arch9wavefront6targetE1EEEvSH_
	.p2align	8
	.type	_ZN7rocprim17ROCPRIM_400000_NS6detail17trampoline_kernelINS0_14default_configENS1_36segmented_radix_sort_config_selectorIllEEZNS1_25segmented_radix_sort_implIS3_Lb0EPKlPlS8_S9_N2at6native12_GLOBAL__N_18offset_tEEE10hipError_tPvRmT1_PNSt15iterator_traitsISH_E10value_typeET2_T3_PNSI_ISN_E10value_typeET4_jRbjT5_ST_jjP12ihipStream_tbEUlT_E_NS1_11comp_targetILNS1_3genE9ELNS1_11target_archE1100ELNS1_3gpuE3ELNS1_3repE0EEENS1_30default_config_static_selectorELNS0_4arch9wavefront6targetE1EEEvSH_,@function
_ZN7rocprim17ROCPRIM_400000_NS6detail17trampoline_kernelINS0_14default_configENS1_36segmented_radix_sort_config_selectorIllEEZNS1_25segmented_radix_sort_implIS3_Lb0EPKlPlS8_S9_N2at6native12_GLOBAL__N_18offset_tEEE10hipError_tPvRmT1_PNSt15iterator_traitsISH_E10value_typeET2_T3_PNSI_ISN_E10value_typeET4_jRbjT5_ST_jjP12ihipStream_tbEUlT_E_NS1_11comp_targetILNS1_3genE9ELNS1_11target_archE1100ELNS1_3gpuE3ELNS1_3repE0EEENS1_30default_config_static_selectorELNS0_4arch9wavefront6targetE1EEEvSH_: ; @_ZN7rocprim17ROCPRIM_400000_NS6detail17trampoline_kernelINS0_14default_configENS1_36segmented_radix_sort_config_selectorIllEEZNS1_25segmented_radix_sort_implIS3_Lb0EPKlPlS8_S9_N2at6native12_GLOBAL__N_18offset_tEEE10hipError_tPvRmT1_PNSt15iterator_traitsISH_E10value_typeET2_T3_PNSI_ISN_E10value_typeET4_jRbjT5_ST_jjP12ihipStream_tbEUlT_E_NS1_11comp_targetILNS1_3genE9ELNS1_11target_archE1100ELNS1_3gpuE3ELNS1_3repE0EEENS1_30default_config_static_selectorELNS0_4arch9wavefront6targetE1EEEvSH_
; %bb.0:
	.section	.rodata,"a",@progbits
	.p2align	6, 0x0
	.amdhsa_kernel _ZN7rocprim17ROCPRIM_400000_NS6detail17trampoline_kernelINS0_14default_configENS1_36segmented_radix_sort_config_selectorIllEEZNS1_25segmented_radix_sort_implIS3_Lb0EPKlPlS8_S9_N2at6native12_GLOBAL__N_18offset_tEEE10hipError_tPvRmT1_PNSt15iterator_traitsISH_E10value_typeET2_T3_PNSI_ISN_E10value_typeET4_jRbjT5_ST_jjP12ihipStream_tbEUlT_E_NS1_11comp_targetILNS1_3genE9ELNS1_11target_archE1100ELNS1_3gpuE3ELNS1_3repE0EEENS1_30default_config_static_selectorELNS0_4arch9wavefront6targetE1EEEvSH_
		.amdhsa_group_segment_fixed_size 0
		.amdhsa_private_segment_fixed_size 0
		.amdhsa_kernarg_size 96
		.amdhsa_user_sgpr_count 6
		.amdhsa_user_sgpr_private_segment_buffer 1
		.amdhsa_user_sgpr_dispatch_ptr 0
		.amdhsa_user_sgpr_queue_ptr 0
		.amdhsa_user_sgpr_kernarg_segment_ptr 1
		.amdhsa_user_sgpr_dispatch_id 0
		.amdhsa_user_sgpr_flat_scratch_init 0
		.amdhsa_user_sgpr_kernarg_preload_length 0
		.amdhsa_user_sgpr_kernarg_preload_offset 0
		.amdhsa_user_sgpr_private_segment_size 0
		.amdhsa_uses_dynamic_stack 0
		.amdhsa_system_sgpr_private_segment_wavefront_offset 0
		.amdhsa_system_sgpr_workgroup_id_x 1
		.amdhsa_system_sgpr_workgroup_id_y 0
		.amdhsa_system_sgpr_workgroup_id_z 0
		.amdhsa_system_sgpr_workgroup_info 0
		.amdhsa_system_vgpr_workitem_id 0
		.amdhsa_next_free_vgpr 1
		.amdhsa_next_free_sgpr 0
		.amdhsa_accum_offset 4
		.amdhsa_reserve_vcc 0
		.amdhsa_reserve_flat_scratch 0
		.amdhsa_float_round_mode_32 0
		.amdhsa_float_round_mode_16_64 0
		.amdhsa_float_denorm_mode_32 3
		.amdhsa_float_denorm_mode_16_64 3
		.amdhsa_dx10_clamp 1
		.amdhsa_ieee_mode 1
		.amdhsa_fp16_overflow 0
		.amdhsa_tg_split 0
		.amdhsa_exception_fp_ieee_invalid_op 0
		.amdhsa_exception_fp_denorm_src 0
		.amdhsa_exception_fp_ieee_div_zero 0
		.amdhsa_exception_fp_ieee_overflow 0
		.amdhsa_exception_fp_ieee_underflow 0
		.amdhsa_exception_fp_ieee_inexact 0
		.amdhsa_exception_int_div_zero 0
	.end_amdhsa_kernel
	.section	.text._ZN7rocprim17ROCPRIM_400000_NS6detail17trampoline_kernelINS0_14default_configENS1_36segmented_radix_sort_config_selectorIllEEZNS1_25segmented_radix_sort_implIS3_Lb0EPKlPlS8_S9_N2at6native12_GLOBAL__N_18offset_tEEE10hipError_tPvRmT1_PNSt15iterator_traitsISH_E10value_typeET2_T3_PNSI_ISN_E10value_typeET4_jRbjT5_ST_jjP12ihipStream_tbEUlT_E_NS1_11comp_targetILNS1_3genE9ELNS1_11target_archE1100ELNS1_3gpuE3ELNS1_3repE0EEENS1_30default_config_static_selectorELNS0_4arch9wavefront6targetE1EEEvSH_,"axG",@progbits,_ZN7rocprim17ROCPRIM_400000_NS6detail17trampoline_kernelINS0_14default_configENS1_36segmented_radix_sort_config_selectorIllEEZNS1_25segmented_radix_sort_implIS3_Lb0EPKlPlS8_S9_N2at6native12_GLOBAL__N_18offset_tEEE10hipError_tPvRmT1_PNSt15iterator_traitsISH_E10value_typeET2_T3_PNSI_ISN_E10value_typeET4_jRbjT5_ST_jjP12ihipStream_tbEUlT_E_NS1_11comp_targetILNS1_3genE9ELNS1_11target_archE1100ELNS1_3gpuE3ELNS1_3repE0EEENS1_30default_config_static_selectorELNS0_4arch9wavefront6targetE1EEEvSH_,comdat
.Lfunc_end815:
	.size	_ZN7rocprim17ROCPRIM_400000_NS6detail17trampoline_kernelINS0_14default_configENS1_36segmented_radix_sort_config_selectorIllEEZNS1_25segmented_radix_sort_implIS3_Lb0EPKlPlS8_S9_N2at6native12_GLOBAL__N_18offset_tEEE10hipError_tPvRmT1_PNSt15iterator_traitsISH_E10value_typeET2_T3_PNSI_ISN_E10value_typeET4_jRbjT5_ST_jjP12ihipStream_tbEUlT_E_NS1_11comp_targetILNS1_3genE9ELNS1_11target_archE1100ELNS1_3gpuE3ELNS1_3repE0EEENS1_30default_config_static_selectorELNS0_4arch9wavefront6targetE1EEEvSH_, .Lfunc_end815-_ZN7rocprim17ROCPRIM_400000_NS6detail17trampoline_kernelINS0_14default_configENS1_36segmented_radix_sort_config_selectorIllEEZNS1_25segmented_radix_sort_implIS3_Lb0EPKlPlS8_S9_N2at6native12_GLOBAL__N_18offset_tEEE10hipError_tPvRmT1_PNSt15iterator_traitsISH_E10value_typeET2_T3_PNSI_ISN_E10value_typeET4_jRbjT5_ST_jjP12ihipStream_tbEUlT_E_NS1_11comp_targetILNS1_3genE9ELNS1_11target_archE1100ELNS1_3gpuE3ELNS1_3repE0EEENS1_30default_config_static_selectorELNS0_4arch9wavefront6targetE1EEEvSH_
                                        ; -- End function
	.section	.AMDGPU.csdata,"",@progbits
; Kernel info:
; codeLenInByte = 0
; NumSgprs: 4
; NumVgprs: 0
; NumAgprs: 0
; TotalNumVgprs: 0
; ScratchSize: 0
; MemoryBound: 0
; FloatMode: 240
; IeeeMode: 1
; LDSByteSize: 0 bytes/workgroup (compile time only)
; SGPRBlocks: 0
; VGPRBlocks: 0
; NumSGPRsForWavesPerEU: 4
; NumVGPRsForWavesPerEU: 1
; AccumOffset: 4
; Occupancy: 8
; WaveLimiterHint : 0
; COMPUTE_PGM_RSRC2:SCRATCH_EN: 0
; COMPUTE_PGM_RSRC2:USER_SGPR: 6
; COMPUTE_PGM_RSRC2:TRAP_HANDLER: 0
; COMPUTE_PGM_RSRC2:TGID_X_EN: 1
; COMPUTE_PGM_RSRC2:TGID_Y_EN: 0
; COMPUTE_PGM_RSRC2:TGID_Z_EN: 0
; COMPUTE_PGM_RSRC2:TIDIG_COMP_CNT: 0
; COMPUTE_PGM_RSRC3_GFX90A:ACCUM_OFFSET: 0
; COMPUTE_PGM_RSRC3_GFX90A:TG_SPLIT: 0
	.section	.text._ZN7rocprim17ROCPRIM_400000_NS6detail17trampoline_kernelINS0_14default_configENS1_36segmented_radix_sort_config_selectorIllEEZNS1_25segmented_radix_sort_implIS3_Lb0EPKlPlS8_S9_N2at6native12_GLOBAL__N_18offset_tEEE10hipError_tPvRmT1_PNSt15iterator_traitsISH_E10value_typeET2_T3_PNSI_ISN_E10value_typeET4_jRbjT5_ST_jjP12ihipStream_tbEUlT_E_NS1_11comp_targetILNS1_3genE8ELNS1_11target_archE1030ELNS1_3gpuE2ELNS1_3repE0EEENS1_30default_config_static_selectorELNS0_4arch9wavefront6targetE1EEEvSH_,"axG",@progbits,_ZN7rocprim17ROCPRIM_400000_NS6detail17trampoline_kernelINS0_14default_configENS1_36segmented_radix_sort_config_selectorIllEEZNS1_25segmented_radix_sort_implIS3_Lb0EPKlPlS8_S9_N2at6native12_GLOBAL__N_18offset_tEEE10hipError_tPvRmT1_PNSt15iterator_traitsISH_E10value_typeET2_T3_PNSI_ISN_E10value_typeET4_jRbjT5_ST_jjP12ihipStream_tbEUlT_E_NS1_11comp_targetILNS1_3genE8ELNS1_11target_archE1030ELNS1_3gpuE2ELNS1_3repE0EEENS1_30default_config_static_selectorELNS0_4arch9wavefront6targetE1EEEvSH_,comdat
	.globl	_ZN7rocprim17ROCPRIM_400000_NS6detail17trampoline_kernelINS0_14default_configENS1_36segmented_radix_sort_config_selectorIllEEZNS1_25segmented_radix_sort_implIS3_Lb0EPKlPlS8_S9_N2at6native12_GLOBAL__N_18offset_tEEE10hipError_tPvRmT1_PNSt15iterator_traitsISH_E10value_typeET2_T3_PNSI_ISN_E10value_typeET4_jRbjT5_ST_jjP12ihipStream_tbEUlT_E_NS1_11comp_targetILNS1_3genE8ELNS1_11target_archE1030ELNS1_3gpuE2ELNS1_3repE0EEENS1_30default_config_static_selectorELNS0_4arch9wavefront6targetE1EEEvSH_ ; -- Begin function _ZN7rocprim17ROCPRIM_400000_NS6detail17trampoline_kernelINS0_14default_configENS1_36segmented_radix_sort_config_selectorIllEEZNS1_25segmented_radix_sort_implIS3_Lb0EPKlPlS8_S9_N2at6native12_GLOBAL__N_18offset_tEEE10hipError_tPvRmT1_PNSt15iterator_traitsISH_E10value_typeET2_T3_PNSI_ISN_E10value_typeET4_jRbjT5_ST_jjP12ihipStream_tbEUlT_E_NS1_11comp_targetILNS1_3genE8ELNS1_11target_archE1030ELNS1_3gpuE2ELNS1_3repE0EEENS1_30default_config_static_selectorELNS0_4arch9wavefront6targetE1EEEvSH_
	.p2align	8
	.type	_ZN7rocprim17ROCPRIM_400000_NS6detail17trampoline_kernelINS0_14default_configENS1_36segmented_radix_sort_config_selectorIllEEZNS1_25segmented_radix_sort_implIS3_Lb0EPKlPlS8_S9_N2at6native12_GLOBAL__N_18offset_tEEE10hipError_tPvRmT1_PNSt15iterator_traitsISH_E10value_typeET2_T3_PNSI_ISN_E10value_typeET4_jRbjT5_ST_jjP12ihipStream_tbEUlT_E_NS1_11comp_targetILNS1_3genE8ELNS1_11target_archE1030ELNS1_3gpuE2ELNS1_3repE0EEENS1_30default_config_static_selectorELNS0_4arch9wavefront6targetE1EEEvSH_,@function
_ZN7rocprim17ROCPRIM_400000_NS6detail17trampoline_kernelINS0_14default_configENS1_36segmented_radix_sort_config_selectorIllEEZNS1_25segmented_radix_sort_implIS3_Lb0EPKlPlS8_S9_N2at6native12_GLOBAL__N_18offset_tEEE10hipError_tPvRmT1_PNSt15iterator_traitsISH_E10value_typeET2_T3_PNSI_ISN_E10value_typeET4_jRbjT5_ST_jjP12ihipStream_tbEUlT_E_NS1_11comp_targetILNS1_3genE8ELNS1_11target_archE1030ELNS1_3gpuE2ELNS1_3repE0EEENS1_30default_config_static_selectorELNS0_4arch9wavefront6targetE1EEEvSH_: ; @_ZN7rocprim17ROCPRIM_400000_NS6detail17trampoline_kernelINS0_14default_configENS1_36segmented_radix_sort_config_selectorIllEEZNS1_25segmented_radix_sort_implIS3_Lb0EPKlPlS8_S9_N2at6native12_GLOBAL__N_18offset_tEEE10hipError_tPvRmT1_PNSt15iterator_traitsISH_E10value_typeET2_T3_PNSI_ISN_E10value_typeET4_jRbjT5_ST_jjP12ihipStream_tbEUlT_E_NS1_11comp_targetILNS1_3genE8ELNS1_11target_archE1030ELNS1_3gpuE2ELNS1_3repE0EEENS1_30default_config_static_selectorELNS0_4arch9wavefront6targetE1EEEvSH_
; %bb.0:
	.section	.rodata,"a",@progbits
	.p2align	6, 0x0
	.amdhsa_kernel _ZN7rocprim17ROCPRIM_400000_NS6detail17trampoline_kernelINS0_14default_configENS1_36segmented_radix_sort_config_selectorIllEEZNS1_25segmented_radix_sort_implIS3_Lb0EPKlPlS8_S9_N2at6native12_GLOBAL__N_18offset_tEEE10hipError_tPvRmT1_PNSt15iterator_traitsISH_E10value_typeET2_T3_PNSI_ISN_E10value_typeET4_jRbjT5_ST_jjP12ihipStream_tbEUlT_E_NS1_11comp_targetILNS1_3genE8ELNS1_11target_archE1030ELNS1_3gpuE2ELNS1_3repE0EEENS1_30default_config_static_selectorELNS0_4arch9wavefront6targetE1EEEvSH_
		.amdhsa_group_segment_fixed_size 0
		.amdhsa_private_segment_fixed_size 0
		.amdhsa_kernarg_size 96
		.amdhsa_user_sgpr_count 6
		.amdhsa_user_sgpr_private_segment_buffer 1
		.amdhsa_user_sgpr_dispatch_ptr 0
		.amdhsa_user_sgpr_queue_ptr 0
		.amdhsa_user_sgpr_kernarg_segment_ptr 1
		.amdhsa_user_sgpr_dispatch_id 0
		.amdhsa_user_sgpr_flat_scratch_init 0
		.amdhsa_user_sgpr_kernarg_preload_length 0
		.amdhsa_user_sgpr_kernarg_preload_offset 0
		.amdhsa_user_sgpr_private_segment_size 0
		.amdhsa_uses_dynamic_stack 0
		.amdhsa_system_sgpr_private_segment_wavefront_offset 0
		.amdhsa_system_sgpr_workgroup_id_x 1
		.amdhsa_system_sgpr_workgroup_id_y 0
		.amdhsa_system_sgpr_workgroup_id_z 0
		.amdhsa_system_sgpr_workgroup_info 0
		.amdhsa_system_vgpr_workitem_id 0
		.amdhsa_next_free_vgpr 1
		.amdhsa_next_free_sgpr 0
		.amdhsa_accum_offset 4
		.amdhsa_reserve_vcc 0
		.amdhsa_reserve_flat_scratch 0
		.amdhsa_float_round_mode_32 0
		.amdhsa_float_round_mode_16_64 0
		.amdhsa_float_denorm_mode_32 3
		.amdhsa_float_denorm_mode_16_64 3
		.amdhsa_dx10_clamp 1
		.amdhsa_ieee_mode 1
		.amdhsa_fp16_overflow 0
		.amdhsa_tg_split 0
		.amdhsa_exception_fp_ieee_invalid_op 0
		.amdhsa_exception_fp_denorm_src 0
		.amdhsa_exception_fp_ieee_div_zero 0
		.amdhsa_exception_fp_ieee_overflow 0
		.amdhsa_exception_fp_ieee_underflow 0
		.amdhsa_exception_fp_ieee_inexact 0
		.amdhsa_exception_int_div_zero 0
	.end_amdhsa_kernel
	.section	.text._ZN7rocprim17ROCPRIM_400000_NS6detail17trampoline_kernelINS0_14default_configENS1_36segmented_radix_sort_config_selectorIllEEZNS1_25segmented_radix_sort_implIS3_Lb0EPKlPlS8_S9_N2at6native12_GLOBAL__N_18offset_tEEE10hipError_tPvRmT1_PNSt15iterator_traitsISH_E10value_typeET2_T3_PNSI_ISN_E10value_typeET4_jRbjT5_ST_jjP12ihipStream_tbEUlT_E_NS1_11comp_targetILNS1_3genE8ELNS1_11target_archE1030ELNS1_3gpuE2ELNS1_3repE0EEENS1_30default_config_static_selectorELNS0_4arch9wavefront6targetE1EEEvSH_,"axG",@progbits,_ZN7rocprim17ROCPRIM_400000_NS6detail17trampoline_kernelINS0_14default_configENS1_36segmented_radix_sort_config_selectorIllEEZNS1_25segmented_radix_sort_implIS3_Lb0EPKlPlS8_S9_N2at6native12_GLOBAL__N_18offset_tEEE10hipError_tPvRmT1_PNSt15iterator_traitsISH_E10value_typeET2_T3_PNSI_ISN_E10value_typeET4_jRbjT5_ST_jjP12ihipStream_tbEUlT_E_NS1_11comp_targetILNS1_3genE8ELNS1_11target_archE1030ELNS1_3gpuE2ELNS1_3repE0EEENS1_30default_config_static_selectorELNS0_4arch9wavefront6targetE1EEEvSH_,comdat
.Lfunc_end816:
	.size	_ZN7rocprim17ROCPRIM_400000_NS6detail17trampoline_kernelINS0_14default_configENS1_36segmented_radix_sort_config_selectorIllEEZNS1_25segmented_radix_sort_implIS3_Lb0EPKlPlS8_S9_N2at6native12_GLOBAL__N_18offset_tEEE10hipError_tPvRmT1_PNSt15iterator_traitsISH_E10value_typeET2_T3_PNSI_ISN_E10value_typeET4_jRbjT5_ST_jjP12ihipStream_tbEUlT_E_NS1_11comp_targetILNS1_3genE8ELNS1_11target_archE1030ELNS1_3gpuE2ELNS1_3repE0EEENS1_30default_config_static_selectorELNS0_4arch9wavefront6targetE1EEEvSH_, .Lfunc_end816-_ZN7rocprim17ROCPRIM_400000_NS6detail17trampoline_kernelINS0_14default_configENS1_36segmented_radix_sort_config_selectorIllEEZNS1_25segmented_radix_sort_implIS3_Lb0EPKlPlS8_S9_N2at6native12_GLOBAL__N_18offset_tEEE10hipError_tPvRmT1_PNSt15iterator_traitsISH_E10value_typeET2_T3_PNSI_ISN_E10value_typeET4_jRbjT5_ST_jjP12ihipStream_tbEUlT_E_NS1_11comp_targetILNS1_3genE8ELNS1_11target_archE1030ELNS1_3gpuE2ELNS1_3repE0EEENS1_30default_config_static_selectorELNS0_4arch9wavefront6targetE1EEEvSH_
                                        ; -- End function
	.section	.AMDGPU.csdata,"",@progbits
; Kernel info:
; codeLenInByte = 0
; NumSgprs: 4
; NumVgprs: 0
; NumAgprs: 0
; TotalNumVgprs: 0
; ScratchSize: 0
; MemoryBound: 0
; FloatMode: 240
; IeeeMode: 1
; LDSByteSize: 0 bytes/workgroup (compile time only)
; SGPRBlocks: 0
; VGPRBlocks: 0
; NumSGPRsForWavesPerEU: 4
; NumVGPRsForWavesPerEU: 1
; AccumOffset: 4
; Occupancy: 8
; WaveLimiterHint : 0
; COMPUTE_PGM_RSRC2:SCRATCH_EN: 0
; COMPUTE_PGM_RSRC2:USER_SGPR: 6
; COMPUTE_PGM_RSRC2:TRAP_HANDLER: 0
; COMPUTE_PGM_RSRC2:TGID_X_EN: 1
; COMPUTE_PGM_RSRC2:TGID_Y_EN: 0
; COMPUTE_PGM_RSRC2:TGID_Z_EN: 0
; COMPUTE_PGM_RSRC2:TIDIG_COMP_CNT: 0
; COMPUTE_PGM_RSRC3_GFX90A:ACCUM_OFFSET: 0
; COMPUTE_PGM_RSRC3_GFX90A:TG_SPLIT: 0
	.section	.text._ZN7rocprim17ROCPRIM_400000_NS6detail17trampoline_kernelINS0_14default_configENS1_36segmented_radix_sort_config_selectorIllEEZNS1_25segmented_radix_sort_implIS3_Lb0EPKlPlS8_S9_N2at6native12_GLOBAL__N_18offset_tEEE10hipError_tPvRmT1_PNSt15iterator_traitsISH_E10value_typeET2_T3_PNSI_ISN_E10value_typeET4_jRbjT5_ST_jjP12ihipStream_tbEUlT_E0_NS1_11comp_targetILNS1_3genE0ELNS1_11target_archE4294967295ELNS1_3gpuE0ELNS1_3repE0EEENS1_60segmented_radix_sort_warp_sort_medium_config_static_selectorELNS0_4arch9wavefront6targetE1EEEvSH_,"axG",@progbits,_ZN7rocprim17ROCPRIM_400000_NS6detail17trampoline_kernelINS0_14default_configENS1_36segmented_radix_sort_config_selectorIllEEZNS1_25segmented_radix_sort_implIS3_Lb0EPKlPlS8_S9_N2at6native12_GLOBAL__N_18offset_tEEE10hipError_tPvRmT1_PNSt15iterator_traitsISH_E10value_typeET2_T3_PNSI_ISN_E10value_typeET4_jRbjT5_ST_jjP12ihipStream_tbEUlT_E0_NS1_11comp_targetILNS1_3genE0ELNS1_11target_archE4294967295ELNS1_3gpuE0ELNS1_3repE0EEENS1_60segmented_radix_sort_warp_sort_medium_config_static_selectorELNS0_4arch9wavefront6targetE1EEEvSH_,comdat
	.globl	_ZN7rocprim17ROCPRIM_400000_NS6detail17trampoline_kernelINS0_14default_configENS1_36segmented_radix_sort_config_selectorIllEEZNS1_25segmented_radix_sort_implIS3_Lb0EPKlPlS8_S9_N2at6native12_GLOBAL__N_18offset_tEEE10hipError_tPvRmT1_PNSt15iterator_traitsISH_E10value_typeET2_T3_PNSI_ISN_E10value_typeET4_jRbjT5_ST_jjP12ihipStream_tbEUlT_E0_NS1_11comp_targetILNS1_3genE0ELNS1_11target_archE4294967295ELNS1_3gpuE0ELNS1_3repE0EEENS1_60segmented_radix_sort_warp_sort_medium_config_static_selectorELNS0_4arch9wavefront6targetE1EEEvSH_ ; -- Begin function _ZN7rocprim17ROCPRIM_400000_NS6detail17trampoline_kernelINS0_14default_configENS1_36segmented_radix_sort_config_selectorIllEEZNS1_25segmented_radix_sort_implIS3_Lb0EPKlPlS8_S9_N2at6native12_GLOBAL__N_18offset_tEEE10hipError_tPvRmT1_PNSt15iterator_traitsISH_E10value_typeET2_T3_PNSI_ISN_E10value_typeET4_jRbjT5_ST_jjP12ihipStream_tbEUlT_E0_NS1_11comp_targetILNS1_3genE0ELNS1_11target_archE4294967295ELNS1_3gpuE0ELNS1_3repE0EEENS1_60segmented_radix_sort_warp_sort_medium_config_static_selectorELNS0_4arch9wavefront6targetE1EEEvSH_
	.p2align	8
	.type	_ZN7rocprim17ROCPRIM_400000_NS6detail17trampoline_kernelINS0_14default_configENS1_36segmented_radix_sort_config_selectorIllEEZNS1_25segmented_radix_sort_implIS3_Lb0EPKlPlS8_S9_N2at6native12_GLOBAL__N_18offset_tEEE10hipError_tPvRmT1_PNSt15iterator_traitsISH_E10value_typeET2_T3_PNSI_ISN_E10value_typeET4_jRbjT5_ST_jjP12ihipStream_tbEUlT_E0_NS1_11comp_targetILNS1_3genE0ELNS1_11target_archE4294967295ELNS1_3gpuE0ELNS1_3repE0EEENS1_60segmented_radix_sort_warp_sort_medium_config_static_selectorELNS0_4arch9wavefront6targetE1EEEvSH_,@function
_ZN7rocprim17ROCPRIM_400000_NS6detail17trampoline_kernelINS0_14default_configENS1_36segmented_radix_sort_config_selectorIllEEZNS1_25segmented_radix_sort_implIS3_Lb0EPKlPlS8_S9_N2at6native12_GLOBAL__N_18offset_tEEE10hipError_tPvRmT1_PNSt15iterator_traitsISH_E10value_typeET2_T3_PNSI_ISN_E10value_typeET4_jRbjT5_ST_jjP12ihipStream_tbEUlT_E0_NS1_11comp_targetILNS1_3genE0ELNS1_11target_archE4294967295ELNS1_3gpuE0ELNS1_3repE0EEENS1_60segmented_radix_sort_warp_sort_medium_config_static_selectorELNS0_4arch9wavefront6targetE1EEEvSH_: ; @_ZN7rocprim17ROCPRIM_400000_NS6detail17trampoline_kernelINS0_14default_configENS1_36segmented_radix_sort_config_selectorIllEEZNS1_25segmented_radix_sort_implIS3_Lb0EPKlPlS8_S9_N2at6native12_GLOBAL__N_18offset_tEEE10hipError_tPvRmT1_PNSt15iterator_traitsISH_E10value_typeET2_T3_PNSI_ISN_E10value_typeET4_jRbjT5_ST_jjP12ihipStream_tbEUlT_E0_NS1_11comp_targetILNS1_3genE0ELNS1_11target_archE4294967295ELNS1_3gpuE0ELNS1_3repE0EEENS1_60segmented_radix_sort_warp_sort_medium_config_static_selectorELNS0_4arch9wavefront6targetE1EEEvSH_
; %bb.0:
	.section	.rodata,"a",@progbits
	.p2align	6, 0x0
	.amdhsa_kernel _ZN7rocprim17ROCPRIM_400000_NS6detail17trampoline_kernelINS0_14default_configENS1_36segmented_radix_sort_config_selectorIllEEZNS1_25segmented_radix_sort_implIS3_Lb0EPKlPlS8_S9_N2at6native12_GLOBAL__N_18offset_tEEE10hipError_tPvRmT1_PNSt15iterator_traitsISH_E10value_typeET2_T3_PNSI_ISN_E10value_typeET4_jRbjT5_ST_jjP12ihipStream_tbEUlT_E0_NS1_11comp_targetILNS1_3genE0ELNS1_11target_archE4294967295ELNS1_3gpuE0ELNS1_3repE0EEENS1_60segmented_radix_sort_warp_sort_medium_config_static_selectorELNS0_4arch9wavefront6targetE1EEEvSH_
		.amdhsa_group_segment_fixed_size 0
		.amdhsa_private_segment_fixed_size 0
		.amdhsa_kernarg_size 88
		.amdhsa_user_sgpr_count 6
		.amdhsa_user_sgpr_private_segment_buffer 1
		.amdhsa_user_sgpr_dispatch_ptr 0
		.amdhsa_user_sgpr_queue_ptr 0
		.amdhsa_user_sgpr_kernarg_segment_ptr 1
		.amdhsa_user_sgpr_dispatch_id 0
		.amdhsa_user_sgpr_flat_scratch_init 0
		.amdhsa_user_sgpr_kernarg_preload_length 0
		.amdhsa_user_sgpr_kernarg_preload_offset 0
		.amdhsa_user_sgpr_private_segment_size 0
		.amdhsa_uses_dynamic_stack 0
		.amdhsa_system_sgpr_private_segment_wavefront_offset 0
		.amdhsa_system_sgpr_workgroup_id_x 1
		.amdhsa_system_sgpr_workgroup_id_y 0
		.amdhsa_system_sgpr_workgroup_id_z 0
		.amdhsa_system_sgpr_workgroup_info 0
		.amdhsa_system_vgpr_workitem_id 0
		.amdhsa_next_free_vgpr 1
		.amdhsa_next_free_sgpr 0
		.amdhsa_accum_offset 4
		.amdhsa_reserve_vcc 0
		.amdhsa_reserve_flat_scratch 0
		.amdhsa_float_round_mode_32 0
		.amdhsa_float_round_mode_16_64 0
		.amdhsa_float_denorm_mode_32 3
		.amdhsa_float_denorm_mode_16_64 3
		.amdhsa_dx10_clamp 1
		.amdhsa_ieee_mode 1
		.amdhsa_fp16_overflow 0
		.amdhsa_tg_split 0
		.amdhsa_exception_fp_ieee_invalid_op 0
		.amdhsa_exception_fp_denorm_src 0
		.amdhsa_exception_fp_ieee_div_zero 0
		.amdhsa_exception_fp_ieee_overflow 0
		.amdhsa_exception_fp_ieee_underflow 0
		.amdhsa_exception_fp_ieee_inexact 0
		.amdhsa_exception_int_div_zero 0
	.end_amdhsa_kernel
	.section	.text._ZN7rocprim17ROCPRIM_400000_NS6detail17trampoline_kernelINS0_14default_configENS1_36segmented_radix_sort_config_selectorIllEEZNS1_25segmented_radix_sort_implIS3_Lb0EPKlPlS8_S9_N2at6native12_GLOBAL__N_18offset_tEEE10hipError_tPvRmT1_PNSt15iterator_traitsISH_E10value_typeET2_T3_PNSI_ISN_E10value_typeET4_jRbjT5_ST_jjP12ihipStream_tbEUlT_E0_NS1_11comp_targetILNS1_3genE0ELNS1_11target_archE4294967295ELNS1_3gpuE0ELNS1_3repE0EEENS1_60segmented_radix_sort_warp_sort_medium_config_static_selectorELNS0_4arch9wavefront6targetE1EEEvSH_,"axG",@progbits,_ZN7rocprim17ROCPRIM_400000_NS6detail17trampoline_kernelINS0_14default_configENS1_36segmented_radix_sort_config_selectorIllEEZNS1_25segmented_radix_sort_implIS3_Lb0EPKlPlS8_S9_N2at6native12_GLOBAL__N_18offset_tEEE10hipError_tPvRmT1_PNSt15iterator_traitsISH_E10value_typeET2_T3_PNSI_ISN_E10value_typeET4_jRbjT5_ST_jjP12ihipStream_tbEUlT_E0_NS1_11comp_targetILNS1_3genE0ELNS1_11target_archE4294967295ELNS1_3gpuE0ELNS1_3repE0EEENS1_60segmented_radix_sort_warp_sort_medium_config_static_selectorELNS0_4arch9wavefront6targetE1EEEvSH_,comdat
.Lfunc_end817:
	.size	_ZN7rocprim17ROCPRIM_400000_NS6detail17trampoline_kernelINS0_14default_configENS1_36segmented_radix_sort_config_selectorIllEEZNS1_25segmented_radix_sort_implIS3_Lb0EPKlPlS8_S9_N2at6native12_GLOBAL__N_18offset_tEEE10hipError_tPvRmT1_PNSt15iterator_traitsISH_E10value_typeET2_T3_PNSI_ISN_E10value_typeET4_jRbjT5_ST_jjP12ihipStream_tbEUlT_E0_NS1_11comp_targetILNS1_3genE0ELNS1_11target_archE4294967295ELNS1_3gpuE0ELNS1_3repE0EEENS1_60segmented_radix_sort_warp_sort_medium_config_static_selectorELNS0_4arch9wavefront6targetE1EEEvSH_, .Lfunc_end817-_ZN7rocprim17ROCPRIM_400000_NS6detail17trampoline_kernelINS0_14default_configENS1_36segmented_radix_sort_config_selectorIllEEZNS1_25segmented_radix_sort_implIS3_Lb0EPKlPlS8_S9_N2at6native12_GLOBAL__N_18offset_tEEE10hipError_tPvRmT1_PNSt15iterator_traitsISH_E10value_typeET2_T3_PNSI_ISN_E10value_typeET4_jRbjT5_ST_jjP12ihipStream_tbEUlT_E0_NS1_11comp_targetILNS1_3genE0ELNS1_11target_archE4294967295ELNS1_3gpuE0ELNS1_3repE0EEENS1_60segmented_radix_sort_warp_sort_medium_config_static_selectorELNS0_4arch9wavefront6targetE1EEEvSH_
                                        ; -- End function
	.section	.AMDGPU.csdata,"",@progbits
; Kernel info:
; codeLenInByte = 0
; NumSgprs: 4
; NumVgprs: 0
; NumAgprs: 0
; TotalNumVgprs: 0
; ScratchSize: 0
; MemoryBound: 0
; FloatMode: 240
; IeeeMode: 1
; LDSByteSize: 0 bytes/workgroup (compile time only)
; SGPRBlocks: 0
; VGPRBlocks: 0
; NumSGPRsForWavesPerEU: 4
; NumVGPRsForWavesPerEU: 1
; AccumOffset: 4
; Occupancy: 8
; WaveLimiterHint : 0
; COMPUTE_PGM_RSRC2:SCRATCH_EN: 0
; COMPUTE_PGM_RSRC2:USER_SGPR: 6
; COMPUTE_PGM_RSRC2:TRAP_HANDLER: 0
; COMPUTE_PGM_RSRC2:TGID_X_EN: 1
; COMPUTE_PGM_RSRC2:TGID_Y_EN: 0
; COMPUTE_PGM_RSRC2:TGID_Z_EN: 0
; COMPUTE_PGM_RSRC2:TIDIG_COMP_CNT: 0
; COMPUTE_PGM_RSRC3_GFX90A:ACCUM_OFFSET: 0
; COMPUTE_PGM_RSRC3_GFX90A:TG_SPLIT: 0
	.section	.text._ZN7rocprim17ROCPRIM_400000_NS6detail17trampoline_kernelINS0_14default_configENS1_36segmented_radix_sort_config_selectorIllEEZNS1_25segmented_radix_sort_implIS3_Lb0EPKlPlS8_S9_N2at6native12_GLOBAL__N_18offset_tEEE10hipError_tPvRmT1_PNSt15iterator_traitsISH_E10value_typeET2_T3_PNSI_ISN_E10value_typeET4_jRbjT5_ST_jjP12ihipStream_tbEUlT_E0_NS1_11comp_targetILNS1_3genE5ELNS1_11target_archE942ELNS1_3gpuE9ELNS1_3repE0EEENS1_60segmented_radix_sort_warp_sort_medium_config_static_selectorELNS0_4arch9wavefront6targetE1EEEvSH_,"axG",@progbits,_ZN7rocprim17ROCPRIM_400000_NS6detail17trampoline_kernelINS0_14default_configENS1_36segmented_radix_sort_config_selectorIllEEZNS1_25segmented_radix_sort_implIS3_Lb0EPKlPlS8_S9_N2at6native12_GLOBAL__N_18offset_tEEE10hipError_tPvRmT1_PNSt15iterator_traitsISH_E10value_typeET2_T3_PNSI_ISN_E10value_typeET4_jRbjT5_ST_jjP12ihipStream_tbEUlT_E0_NS1_11comp_targetILNS1_3genE5ELNS1_11target_archE942ELNS1_3gpuE9ELNS1_3repE0EEENS1_60segmented_radix_sort_warp_sort_medium_config_static_selectorELNS0_4arch9wavefront6targetE1EEEvSH_,comdat
	.globl	_ZN7rocprim17ROCPRIM_400000_NS6detail17trampoline_kernelINS0_14default_configENS1_36segmented_radix_sort_config_selectorIllEEZNS1_25segmented_radix_sort_implIS3_Lb0EPKlPlS8_S9_N2at6native12_GLOBAL__N_18offset_tEEE10hipError_tPvRmT1_PNSt15iterator_traitsISH_E10value_typeET2_T3_PNSI_ISN_E10value_typeET4_jRbjT5_ST_jjP12ihipStream_tbEUlT_E0_NS1_11comp_targetILNS1_3genE5ELNS1_11target_archE942ELNS1_3gpuE9ELNS1_3repE0EEENS1_60segmented_radix_sort_warp_sort_medium_config_static_selectorELNS0_4arch9wavefront6targetE1EEEvSH_ ; -- Begin function _ZN7rocprim17ROCPRIM_400000_NS6detail17trampoline_kernelINS0_14default_configENS1_36segmented_radix_sort_config_selectorIllEEZNS1_25segmented_radix_sort_implIS3_Lb0EPKlPlS8_S9_N2at6native12_GLOBAL__N_18offset_tEEE10hipError_tPvRmT1_PNSt15iterator_traitsISH_E10value_typeET2_T3_PNSI_ISN_E10value_typeET4_jRbjT5_ST_jjP12ihipStream_tbEUlT_E0_NS1_11comp_targetILNS1_3genE5ELNS1_11target_archE942ELNS1_3gpuE9ELNS1_3repE0EEENS1_60segmented_radix_sort_warp_sort_medium_config_static_selectorELNS0_4arch9wavefront6targetE1EEEvSH_
	.p2align	8
	.type	_ZN7rocprim17ROCPRIM_400000_NS6detail17trampoline_kernelINS0_14default_configENS1_36segmented_radix_sort_config_selectorIllEEZNS1_25segmented_radix_sort_implIS3_Lb0EPKlPlS8_S9_N2at6native12_GLOBAL__N_18offset_tEEE10hipError_tPvRmT1_PNSt15iterator_traitsISH_E10value_typeET2_T3_PNSI_ISN_E10value_typeET4_jRbjT5_ST_jjP12ihipStream_tbEUlT_E0_NS1_11comp_targetILNS1_3genE5ELNS1_11target_archE942ELNS1_3gpuE9ELNS1_3repE0EEENS1_60segmented_radix_sort_warp_sort_medium_config_static_selectorELNS0_4arch9wavefront6targetE1EEEvSH_,@function
_ZN7rocprim17ROCPRIM_400000_NS6detail17trampoline_kernelINS0_14default_configENS1_36segmented_radix_sort_config_selectorIllEEZNS1_25segmented_radix_sort_implIS3_Lb0EPKlPlS8_S9_N2at6native12_GLOBAL__N_18offset_tEEE10hipError_tPvRmT1_PNSt15iterator_traitsISH_E10value_typeET2_T3_PNSI_ISN_E10value_typeET4_jRbjT5_ST_jjP12ihipStream_tbEUlT_E0_NS1_11comp_targetILNS1_3genE5ELNS1_11target_archE942ELNS1_3gpuE9ELNS1_3repE0EEENS1_60segmented_radix_sort_warp_sort_medium_config_static_selectorELNS0_4arch9wavefront6targetE1EEEvSH_: ; @_ZN7rocprim17ROCPRIM_400000_NS6detail17trampoline_kernelINS0_14default_configENS1_36segmented_radix_sort_config_selectorIllEEZNS1_25segmented_radix_sort_implIS3_Lb0EPKlPlS8_S9_N2at6native12_GLOBAL__N_18offset_tEEE10hipError_tPvRmT1_PNSt15iterator_traitsISH_E10value_typeET2_T3_PNSI_ISN_E10value_typeET4_jRbjT5_ST_jjP12ihipStream_tbEUlT_E0_NS1_11comp_targetILNS1_3genE5ELNS1_11target_archE942ELNS1_3gpuE9ELNS1_3repE0EEENS1_60segmented_radix_sort_warp_sort_medium_config_static_selectorELNS0_4arch9wavefront6targetE1EEEvSH_
; %bb.0:
	.section	.rodata,"a",@progbits
	.p2align	6, 0x0
	.amdhsa_kernel _ZN7rocprim17ROCPRIM_400000_NS6detail17trampoline_kernelINS0_14default_configENS1_36segmented_radix_sort_config_selectorIllEEZNS1_25segmented_radix_sort_implIS3_Lb0EPKlPlS8_S9_N2at6native12_GLOBAL__N_18offset_tEEE10hipError_tPvRmT1_PNSt15iterator_traitsISH_E10value_typeET2_T3_PNSI_ISN_E10value_typeET4_jRbjT5_ST_jjP12ihipStream_tbEUlT_E0_NS1_11comp_targetILNS1_3genE5ELNS1_11target_archE942ELNS1_3gpuE9ELNS1_3repE0EEENS1_60segmented_radix_sort_warp_sort_medium_config_static_selectorELNS0_4arch9wavefront6targetE1EEEvSH_
		.amdhsa_group_segment_fixed_size 0
		.amdhsa_private_segment_fixed_size 0
		.amdhsa_kernarg_size 88
		.amdhsa_user_sgpr_count 6
		.amdhsa_user_sgpr_private_segment_buffer 1
		.amdhsa_user_sgpr_dispatch_ptr 0
		.amdhsa_user_sgpr_queue_ptr 0
		.amdhsa_user_sgpr_kernarg_segment_ptr 1
		.amdhsa_user_sgpr_dispatch_id 0
		.amdhsa_user_sgpr_flat_scratch_init 0
		.amdhsa_user_sgpr_kernarg_preload_length 0
		.amdhsa_user_sgpr_kernarg_preload_offset 0
		.amdhsa_user_sgpr_private_segment_size 0
		.amdhsa_uses_dynamic_stack 0
		.amdhsa_system_sgpr_private_segment_wavefront_offset 0
		.amdhsa_system_sgpr_workgroup_id_x 1
		.amdhsa_system_sgpr_workgroup_id_y 0
		.amdhsa_system_sgpr_workgroup_id_z 0
		.amdhsa_system_sgpr_workgroup_info 0
		.amdhsa_system_vgpr_workitem_id 0
		.amdhsa_next_free_vgpr 1
		.amdhsa_next_free_sgpr 0
		.amdhsa_accum_offset 4
		.amdhsa_reserve_vcc 0
		.amdhsa_reserve_flat_scratch 0
		.amdhsa_float_round_mode_32 0
		.amdhsa_float_round_mode_16_64 0
		.amdhsa_float_denorm_mode_32 3
		.amdhsa_float_denorm_mode_16_64 3
		.amdhsa_dx10_clamp 1
		.amdhsa_ieee_mode 1
		.amdhsa_fp16_overflow 0
		.amdhsa_tg_split 0
		.amdhsa_exception_fp_ieee_invalid_op 0
		.amdhsa_exception_fp_denorm_src 0
		.amdhsa_exception_fp_ieee_div_zero 0
		.amdhsa_exception_fp_ieee_overflow 0
		.amdhsa_exception_fp_ieee_underflow 0
		.amdhsa_exception_fp_ieee_inexact 0
		.amdhsa_exception_int_div_zero 0
	.end_amdhsa_kernel
	.section	.text._ZN7rocprim17ROCPRIM_400000_NS6detail17trampoline_kernelINS0_14default_configENS1_36segmented_radix_sort_config_selectorIllEEZNS1_25segmented_radix_sort_implIS3_Lb0EPKlPlS8_S9_N2at6native12_GLOBAL__N_18offset_tEEE10hipError_tPvRmT1_PNSt15iterator_traitsISH_E10value_typeET2_T3_PNSI_ISN_E10value_typeET4_jRbjT5_ST_jjP12ihipStream_tbEUlT_E0_NS1_11comp_targetILNS1_3genE5ELNS1_11target_archE942ELNS1_3gpuE9ELNS1_3repE0EEENS1_60segmented_radix_sort_warp_sort_medium_config_static_selectorELNS0_4arch9wavefront6targetE1EEEvSH_,"axG",@progbits,_ZN7rocprim17ROCPRIM_400000_NS6detail17trampoline_kernelINS0_14default_configENS1_36segmented_radix_sort_config_selectorIllEEZNS1_25segmented_radix_sort_implIS3_Lb0EPKlPlS8_S9_N2at6native12_GLOBAL__N_18offset_tEEE10hipError_tPvRmT1_PNSt15iterator_traitsISH_E10value_typeET2_T3_PNSI_ISN_E10value_typeET4_jRbjT5_ST_jjP12ihipStream_tbEUlT_E0_NS1_11comp_targetILNS1_3genE5ELNS1_11target_archE942ELNS1_3gpuE9ELNS1_3repE0EEENS1_60segmented_radix_sort_warp_sort_medium_config_static_selectorELNS0_4arch9wavefront6targetE1EEEvSH_,comdat
.Lfunc_end818:
	.size	_ZN7rocprim17ROCPRIM_400000_NS6detail17trampoline_kernelINS0_14default_configENS1_36segmented_radix_sort_config_selectorIllEEZNS1_25segmented_radix_sort_implIS3_Lb0EPKlPlS8_S9_N2at6native12_GLOBAL__N_18offset_tEEE10hipError_tPvRmT1_PNSt15iterator_traitsISH_E10value_typeET2_T3_PNSI_ISN_E10value_typeET4_jRbjT5_ST_jjP12ihipStream_tbEUlT_E0_NS1_11comp_targetILNS1_3genE5ELNS1_11target_archE942ELNS1_3gpuE9ELNS1_3repE0EEENS1_60segmented_radix_sort_warp_sort_medium_config_static_selectorELNS0_4arch9wavefront6targetE1EEEvSH_, .Lfunc_end818-_ZN7rocprim17ROCPRIM_400000_NS6detail17trampoline_kernelINS0_14default_configENS1_36segmented_radix_sort_config_selectorIllEEZNS1_25segmented_radix_sort_implIS3_Lb0EPKlPlS8_S9_N2at6native12_GLOBAL__N_18offset_tEEE10hipError_tPvRmT1_PNSt15iterator_traitsISH_E10value_typeET2_T3_PNSI_ISN_E10value_typeET4_jRbjT5_ST_jjP12ihipStream_tbEUlT_E0_NS1_11comp_targetILNS1_3genE5ELNS1_11target_archE942ELNS1_3gpuE9ELNS1_3repE0EEENS1_60segmented_radix_sort_warp_sort_medium_config_static_selectorELNS0_4arch9wavefront6targetE1EEEvSH_
                                        ; -- End function
	.section	.AMDGPU.csdata,"",@progbits
; Kernel info:
; codeLenInByte = 0
; NumSgprs: 4
; NumVgprs: 0
; NumAgprs: 0
; TotalNumVgprs: 0
; ScratchSize: 0
; MemoryBound: 0
; FloatMode: 240
; IeeeMode: 1
; LDSByteSize: 0 bytes/workgroup (compile time only)
; SGPRBlocks: 0
; VGPRBlocks: 0
; NumSGPRsForWavesPerEU: 4
; NumVGPRsForWavesPerEU: 1
; AccumOffset: 4
; Occupancy: 8
; WaveLimiterHint : 0
; COMPUTE_PGM_RSRC2:SCRATCH_EN: 0
; COMPUTE_PGM_RSRC2:USER_SGPR: 6
; COMPUTE_PGM_RSRC2:TRAP_HANDLER: 0
; COMPUTE_PGM_RSRC2:TGID_X_EN: 1
; COMPUTE_PGM_RSRC2:TGID_Y_EN: 0
; COMPUTE_PGM_RSRC2:TGID_Z_EN: 0
; COMPUTE_PGM_RSRC2:TIDIG_COMP_CNT: 0
; COMPUTE_PGM_RSRC3_GFX90A:ACCUM_OFFSET: 0
; COMPUTE_PGM_RSRC3_GFX90A:TG_SPLIT: 0
	.text
	.p2align	2                               ; -- Begin function _ZN7rocprim17ROCPRIM_400000_NS6detail26segmented_warp_sort_helperINS1_20WarpSortHelperConfigILj16ELj8ELj256EEEllLi256ELb0EvE4sortIPKlPlS8_S9_EEvT_T0_T1_T2_jjjjRNS5_12storage_typeE
	.type	_ZN7rocprim17ROCPRIM_400000_NS6detail26segmented_warp_sort_helperINS1_20WarpSortHelperConfigILj16ELj8ELj256EEEllLi256ELb0EvE4sortIPKlPlS8_S9_EEvT_T0_T1_T2_jjjjRNS5_12storage_typeE,@function
_ZN7rocprim17ROCPRIM_400000_NS6detail26segmented_warp_sort_helperINS1_20WarpSortHelperConfigILj16ELj8ELj256EEEllLi256ELb0EvE4sortIPKlPlS8_S9_EEvT_T0_T1_T2_jjjjRNS5_12storage_typeE: ; @_ZN7rocprim17ROCPRIM_400000_NS6detail26segmented_warp_sort_helperINS1_20WarpSortHelperConfigILj16ELj8ELj256EEEllLi256ELb0EvE4sortIPKlPlS8_S9_EEvT_T0_T1_T2_jjjjRNS5_12storage_typeE
; %bb.0:
	s_waitcnt vmcnt(0) expcnt(0) lgkmcnt(0)
	s_or_saveexec_b64 s[4:5], -1
	buffer_store_dword v40, off, s[0:3], s32 ; 4-byte Folded Spill
	s_mov_b64 exec, s[4:5]
	v_writelane_b32 v40, s34, 0
	v_writelane_b32 v40, s35, 1
	;; [unrolled: 1-line block ×10, first 2 shown]
	v_mbcnt_lo_u32_b32 v13, -1, 0
	v_sub_u32_e32 v12, v9, v8
	v_mov_b32_e32 v9, 0
	v_mbcnt_hi_u32_b32 v13, -1, v13
	v_lshlrev_b64 v[8:9], 3, v[8:9]
	v_lshlrev_b32_e32 v69, 3, v13
	v_add_co_u32_e32 v0, vcc, v0, v8
	v_and_b32_e32 v70, 0x78, v69
	v_addc_co_u32_e32 v1, vcc, v1, v9, vcc
	v_lshlrev_b32_e32 v68, 3, v70
	s_mov_b32 s6, -1
	v_add_co_u32_e32 v0, vcc, v0, v68
	s_brev_b32 s7, -2
	v_addc_co_u32_e32 v1, vcc, 0, v1, vcc
	v_cmp_lt_u32_e32 vcc, v70, v12
	v_pk_mov_b32 v[28:29], s[6:7], s[6:7] op_sel:[0,1]
	s_and_saveexec_b64 s[4:5], vcc
	s_cbranch_execz .LBB819_2
; %bb.1:
	flat_load_dwordx2 v[28:29], v[0:1]
.LBB819_2:
	s_or_b64 exec, exec, s[4:5]
	v_or_b32_e32 v13, 1, v70
	v_cmp_lt_u32_e64 s[4:5], v13, v12
	v_pk_mov_b32 v[34:35], s[6:7], s[6:7] op_sel:[0,1]
	s_and_saveexec_b64 s[6:7], s[4:5]
	s_cbranch_execz .LBB819_4
; %bb.3:
	flat_load_dwordx2 v[34:35], v[0:1] offset:8
.LBB819_4:
	s_or_b64 exec, exec, s[6:7]
	s_mov_b32 s10, -1
	v_or_b32_e32 v13, 2, v70
	s_brev_b32 s11, -2
	v_cmp_lt_u32_e64 s[6:7], v13, v12
	v_pk_mov_b32 v[38:39], s[10:11], s[10:11] op_sel:[0,1]
	s_and_saveexec_b64 s[14:15], s[6:7]
	s_cbranch_execz .LBB819_6
; %bb.5:
	flat_load_dwordx2 v[38:39], v[0:1] offset:16
.LBB819_6:
	s_or_b64 exec, exec, s[14:15]
	v_or_b32_e32 v13, 3, v70
	v_cmp_lt_u32_e64 s[18:19], v13, v12
	v_pk_mov_b32 v[48:49], s[10:11], s[10:11] op_sel:[0,1]
	s_and_saveexec_b64 s[10:11], s[18:19]
	s_cbranch_execz .LBB819_8
; %bb.7:
	flat_load_dwordx2 v[48:49], v[0:1] offset:24
.LBB819_8:
	s_or_b64 exec, exec, s[10:11]
	s_mov_b32 s14, -1
	v_or_b32_e32 v13, 4, v70
	s_brev_b32 s15, -2
	v_cmp_lt_u32_e64 s[10:11], v13, v12
	v_pk_mov_b32 v[50:51], s[14:15], s[14:15] op_sel:[0,1]
	s_and_saveexec_b64 s[16:17], s[10:11]
	s_cbranch_execz .LBB819_10
; %bb.9:
	flat_load_dwordx2 v[50:51], v[0:1] offset:32
.LBB819_10:
	;; [unrolled: 20-line block ×3, first 2 shown]
	s_or_b64 exec, exec, s[16:17]
	v_or_b32_e32 v13, 7, v70
	v_cmp_lt_u32_e64 s[16:17], v13, v12
	v_pk_mov_b32 v[32:33], s[20:21], s[20:21] op_sel:[0,1]
	s_and_saveexec_b64 s[20:21], s[16:17]
	s_cbranch_execz .LBB819_16
; %bb.15:
	flat_load_dwordx2 v[32:33], v[0:1] offset:56
.LBB819_16:
	s_or_b64 exec, exec, s[20:21]
	v_add_co_u32_e64 v0, s[20:21], v4, v8
	v_addc_co_u32_e64 v1, s[20:21], v5, v9, s[20:21]
	v_add_co_u32_e64 v54, s[20:21], v0, v68
	v_addc_co_u32_e64 v55, s[20:21], 0, v1, s[20:21]
	; wave barrier
                                        ; implicit-def: $vgpr0_vgpr1
	s_and_saveexec_b64 s[20:21], vcc
	s_cbranch_execnz .LBB819_244
; %bb.17:
	s_or_b64 exec, exec, s[20:21]
	s_and_saveexec_b64 s[20:21], s[4:5]
                                        ; implicit-def: $vgpr12_vgpr13_vgpr14_vgpr15
	s_cbranch_execnz .LBB819_245
.LBB819_18:
	s_or_b64 exec, exec, s[20:21]
                                        ; implicit-def: $vgpr4_vgpr5
	s_and_saveexec_b64 s[20:21], s[6:7]
	s_cbranch_execnz .LBB819_246
.LBB819_19:
	s_or_b64 exec, exec, s[20:21]
	s_and_saveexec_b64 s[20:21], s[18:19]
                                        ; implicit-def: $vgpr16_vgpr17_vgpr18_vgpr19
	s_cbranch_execnz .LBB819_247
.LBB819_20:
	s_or_b64 exec, exec, s[20:21]
                                        ; implicit-def: $vgpr12_vgpr13
	s_and_saveexec_b64 s[20:21], s[10:11]
	s_cbranch_execnz .LBB819_248
.LBB819_21:
	s_or_b64 exec, exec, s[20:21]
	s_and_saveexec_b64 s[20:21], s[26:27]
                                        ; implicit-def: $vgpr20_vgpr21_vgpr22_vgpr23
	s_cbranch_execnz .LBB819_249
.LBB819_22:
	s_or_b64 exec, exec, s[20:21]
                                        ; implicit-def: $vgpr16_vgpr17
	s_and_saveexec_b64 s[20:21], s[14:15]
	s_cbranch_execnz .LBB819_250
.LBB819_23:
	s_or_b64 exec, exec, s[20:21]
	s_and_saveexec_b64 s[20:21], s[16:17]
                                        ; implicit-def: $vgpr24_vgpr25_vgpr26_vgpr27
	s_cbranch_execz .LBB819_25
.LBB819_24:
	flat_load_dwordx2 v[26:27], v[54:55] offset:56
.LBB819_25:
	s_or_b64 exec, exec, s[20:21]
	v_cmp_ne_u32_e64 s[20:21], 0, v10
	v_cmp_ne_u32_e64 s[22:23], 64, v11
	s_or_b64 s[20:21], s[20:21], s[22:23]
	v_bfe_u32 v20, v31, 10, 10
	v_bfe_u32 v21, v31, 20, 10
	; wave barrier
	s_and_saveexec_b64 s[22:23], s[20:21]
	s_xor_b64 s[38:39], exec, s[22:23]
	s_cbranch_execz .LBB819_125
; %bb.26:
	s_load_dwordx2 s[20:21], s[8:9], 0x0
	v_mov_b32_e32 v24, 0
	v_and_b32_e32 v31, 0x3ff, v31
	s_waitcnt lgkmcnt(0)
	s_cmp_lt_u32 s12, s20
	s_cselect_b32 s22, 12, 18
	s_cmp_lt_u32 s13, s21
	s_cselect_b32 s20, 14, 20
	s_add_u32 s20, s8, s20
	s_addc_u32 s21, s9, 0
	s_add_u32 s22, s8, s22
	s_addc_u32 s23, s9, 0
	global_load_ushort v30, v24, s[20:21]
	global_load_ushort v54, v24, s[22:23]
	v_lshlrev_b64 v[24:25], v11, -1
	v_lshlrev_b64 v[10:11], v10, -1
	s_movk_i32 s20, 0x800
	v_xor_b32_e32 v11, v25, v11
	v_xor_b32_e32 v10, v24, v10
	s_waitcnt vmcnt(0)
	v_mad_u32_u24 v20, v21, v30, v20
	v_mul_lo_u32 v20, v20, v54
	v_add_lshl_u32 v71, v20, v31, 3
	v_cmp_gt_u32_e64 s[20:21], s20, v71
	s_and_saveexec_b64 s[22:23], s[20:21]
	s_cbranch_execz .LBB819_84
; %bb.27:
	v_and_b32_e32 v21, v35, v11
	v_and_b32_e32 v20, v34, v10
	v_and_b32_e32 v25, v29, v11
	v_and_b32_e32 v24, v28, v10
	v_cmp_gt_u64_e64 s[20:21], v[24:25], v[20:21]
	v_pk_mov_b32 v[20:21], v[34:35], v[34:35] op_sel:[0,1]
	v_pk_mov_b32 v[24:25], v[14:15], v[14:15] op_sel:[0,1]
	s_and_saveexec_b64 s[24:25], s[20:21]
; %bb.28:
	v_pk_mov_b32 v[20:21], v[28:29], v[28:29] op_sel:[0,1]
	v_pk_mov_b32 v[28:29], v[34:35], v[34:35] op_sel:[0,1]
	v_pk_mov_b32 v[24:25], v[0:1], v[0:1] op_sel:[0,1]
	v_pk_mov_b32 v[0:1], v[14:15], v[14:15] op_sel:[0,1]
; %bb.29:
	s_or_b64 exec, exec, s[24:25]
	v_and_b32_e32 v15, v49, v11
	v_and_b32_e32 v14, v48, v10
	v_and_b32_e32 v31, v39, v11
	v_and_b32_e32 v30, v38, v10
	v_cmp_gt_u64_e64 s[20:21], v[30:31], v[14:15]
	v_pk_mov_b32 v[64:65], v[48:49], v[48:49] op_sel:[0,1]
	v_pk_mov_b32 v[30:31], v[18:19], v[18:19] op_sel:[0,1]
	s_and_saveexec_b64 s[24:25], s[20:21]
; %bb.30:
	v_pk_mov_b32 v[64:65], v[38:39], v[38:39] op_sel:[0,1]
	v_pk_mov_b32 v[38:39], v[48:49], v[48:49] op_sel:[0,1]
	v_pk_mov_b32 v[30:31], v[4:5], v[4:5] op_sel:[0,1]
	v_pk_mov_b32 v[4:5], v[18:19], v[18:19] op_sel:[0,1]
; %bb.31:
	s_or_b64 exec, exec, s[24:25]
	;; [unrolled: 15-line block ×4, first 2 shown]
	v_and_b32_e32 v23, v39, v11
	v_and_b32_e32 v22, v38, v10
	;; [unrolled: 1-line block ×4, first 2 shown]
	v_cmp_gt_u64_e64 s[20:21], v[26:27], v[22:23]
	v_pk_mov_b32 v[22:23], v[38:39], v[38:39] op_sel:[0,1]
	v_pk_mov_b32 v[26:27], v[4:5], v[4:5] op_sel:[0,1]
	s_and_saveexec_b64 s[24:25], s[20:21]
	s_xor_b64 s[20:21], exec, s[24:25]
; %bb.36:
	v_pk_mov_b32 v[22:23], v[20:21], v[20:21] op_sel:[0,1]
	v_pk_mov_b32 v[20:21], v[38:39], v[38:39] op_sel:[0,1]
	v_pk_mov_b32 v[26:27], v[24:25], v[24:25] op_sel:[0,1]
	v_pk_mov_b32 v[24:25], v[4:5], v[4:5] op_sel:[0,1]
; %bb.37:
	s_or_b64 exec, exec, s[20:21]
	v_and_b32_e32 v5, v55, v11
	v_and_b32_e32 v4, v54, v10
	v_and_b32_e32 v39, v65, v11
	v_and_b32_e32 v38, v64, v10
	v_cmp_gt_u64_e64 s[20:21], v[38:39], v[4:5]
	v_pk_mov_b32 v[4:5], v[64:65], v[64:65] op_sel:[0,1]
	v_pk_mov_b32 v[38:39], v[12:13], v[12:13] op_sel:[0,1]
	s_and_saveexec_b64 s[24:25], s[20:21]
; %bb.38:
	v_pk_mov_b32 v[4:5], v[54:55], v[54:55] op_sel:[0,1]
	v_pk_mov_b32 v[38:39], v[30:31], v[30:31] op_sel:[0,1]
	v_pk_mov_b32 v[30:31], v[12:13], v[12:13] op_sel:[0,1]
	v_pk_mov_b32 v[54:55], v[64:65], v[64:65] op_sel:[0,1]
; %bb.39:
	s_or_b64 exec, exec, s[24:25]
	v_and_b32_e32 v13, v35, v11
	v_and_b32_e32 v12, v34, v10
	v_and_b32_e32 v49, v37, v11
	v_and_b32_e32 v48, v36, v10
	v_cmp_gt_u64_e64 s[20:21], v[48:49], v[12:13]
	v_pk_mov_b32 v[12:13], v[16:17], v[16:17] op_sel:[0,1]
	v_pk_mov_b32 v[48:49], v[36:37], v[36:37] op_sel:[0,1]
	s_and_saveexec_b64 s[24:25], s[20:21]
; %bb.40:
	v_pk_mov_b32 v[12:13], v[18:19], v[18:19] op_sel:[0,1]
	v_pk_mov_b32 v[18:19], v[16:17], v[16:17] op_sel:[0,1]
	v_pk_mov_b32 v[48:49], v[34:35], v[34:35] op_sel:[0,1]
	v_pk_mov_b32 v[34:35], v[36:37], v[36:37] op_sel:[0,1]
; %bb.41:
	s_or_b64 exec, exec, s[24:25]
	v_and_b32_e32 v17, v21, v11
	v_and_b32_e32 v16, v20, v10
	v_and_b32_e32 v37, v29, v11
	v_and_b32_e32 v36, v28, v10
	v_cmp_gt_u64_e64 s[20:21], v[36:37], v[16:17]
	v_pk_mov_b32 v[16:17], v[20:21], v[20:21] op_sel:[0,1]
	v_pk_mov_b32 v[36:37], v[24:25], v[24:25] op_sel:[0,1]
	s_and_saveexec_b64 s[24:25], s[20:21]
; %bb.42:
	v_pk_mov_b32 v[16:17], v[28:29], v[28:29] op_sel:[0,1]
	v_pk_mov_b32 v[28:29], v[20:21], v[20:21] op_sel:[0,1]
	v_pk_mov_b32 v[36:37], v[0:1], v[0:1] op_sel:[0,1]
	v_pk_mov_b32 v[0:1], v[24:25], v[24:25] op_sel:[0,1]
; %bb.43:
	s_or_b64 exec, exec, s[24:25]
	v_and_b32_e32 v21, v5, v11
	v_and_b32_e32 v20, v4, v10
	v_and_b32_e32 v25, v23, v11
	v_and_b32_e32 v24, v22, v10
	v_cmp_gt_u64_e64 s[20:21], v[24:25], v[20:21]
	v_pk_mov_b32 v[50:51], v[4:5], v[4:5] op_sel:[0,1]
	v_pk_mov_b32 v[24:25], v[30:31], v[30:31] op_sel:[0,1]
	s_and_saveexec_b64 s[24:25], s[20:21]
; %bb.44:
	v_pk_mov_b32 v[50:51], v[22:23], v[22:23] op_sel:[0,1]
	v_pk_mov_b32 v[22:23], v[4:5], v[4:5] op_sel:[0,1]
	v_pk_mov_b32 v[24:25], v[26:27], v[26:27] op_sel:[0,1]
	v_pk_mov_b32 v[26:27], v[30:31], v[30:31] op_sel:[0,1]
; %bb.45:
	s_or_b64 exec, exec, s[24:25]
	v_and_b32_e32 v5, v49, v11
	v_and_b32_e32 v4, v48, v10
	v_and_b32_e32 v21, v55, v11
	v_and_b32_e32 v20, v54, v10
	v_cmp_gt_u64_e64 s[20:21], v[20:21], v[4:5]
	v_pk_mov_b32 v[20:21], v[18:19], v[18:19] op_sel:[0,1]
	v_pk_mov_b32 v[52:53], v[54:55], v[54:55] op_sel:[0,1]
	s_and_saveexec_b64 s[24:25], s[20:21]
; %bb.46:
	v_pk_mov_b32 v[20:21], v[38:39], v[38:39] op_sel:[0,1]
	v_pk_mov_b32 v[38:39], v[18:19], v[18:19] op_sel:[0,1]
	v_pk_mov_b32 v[52:53], v[48:49], v[48:49] op_sel:[0,1]
	v_pk_mov_b32 v[48:49], v[54:55], v[54:55] op_sel:[0,1]
; %bb.47:
	s_or_b64 exec, exec, s[24:25]
	v_and_b32_e32 v5, v33, v11
	v_and_b32_e32 v4, v32, v10
	v_and_b32_e32 v19, v35, v11
	v_and_b32_e32 v18, v34, v10
	v_cmp_gt_u64_e64 s[20:21], v[18:19], v[4:5]
	v_pk_mov_b32 v[4:5], v[14:15], v[14:15] op_sel:[0,1]
	v_pk_mov_b32 v[30:31], v[34:35], v[34:35] op_sel:[0,1]
	s_and_saveexec_b64 s[24:25], s[20:21]
; %bb.48:
	v_pk_mov_b32 v[4:5], v[12:13], v[12:13] op_sel:[0,1]
	v_pk_mov_b32 v[12:13], v[14:15], v[14:15] op_sel:[0,1]
	v_pk_mov_b32 v[30:31], v[32:33], v[32:33] op_sel:[0,1]
	v_pk_mov_b32 v[32:33], v[34:35], v[34:35] op_sel:[0,1]
; %bb.49:
	s_or_b64 exec, exec, s[24:25]
	v_and_b32_e32 v15, v23, v11
	v_and_b32_e32 v14, v22, v10
	v_and_b32_e32 v19, v17, v11
	v_and_b32_e32 v18, v16, v10
	v_cmp_gt_u64_e64 s[20:21], v[18:19], v[14:15]
	v_pk_mov_b32 v[14:15], v[22:23], v[22:23] op_sel:[0,1]
	v_pk_mov_b32 v[34:35], v[26:27], v[26:27] op_sel:[0,1]
	s_and_saveexec_b64 s[24:25], s[20:21]
; %bb.50:
	v_pk_mov_b32 v[14:15], v[16:17], v[16:17] op_sel:[0,1]
	v_pk_mov_b32 v[16:17], v[22:23], v[22:23] op_sel:[0,1]
	v_pk_mov_b32 v[34:35], v[36:37], v[36:37] op_sel:[0,1]
	v_pk_mov_b32 v[36:37], v[26:27], v[26:27] op_sel:[0,1]
; %bb.51:
	s_or_b64 exec, exec, s[24:25]
	v_and_b32_e32 v19, v53, v11
	v_and_b32_e32 v18, v52, v10
	v_and_b32_e32 v23, v51, v11
	v_and_b32_e32 v22, v50, v10
	v_cmp_gt_u64_e64 s[20:21], v[22:23], v[18:19]
	v_pk_mov_b32 v[54:55], v[50:51], v[50:51] op_sel:[0,1]
	v_pk_mov_b32 v[26:27], v[38:39], v[38:39] op_sel:[0,1]
	s_and_saveexec_b64 s[24:25], s[20:21]
; %bb.52:
	v_pk_mov_b32 v[54:55], v[52:53], v[52:53] op_sel:[0,1]
	v_pk_mov_b32 v[26:27], v[24:25], v[24:25] op_sel:[0,1]
	v_pk_mov_b32 v[24:25], v[38:39], v[38:39] op_sel:[0,1]
	v_pk_mov_b32 v[52:53], v[50:51], v[50:51] op_sel:[0,1]
; %bb.53:
	s_or_b64 exec, exec, s[24:25]
	v_and_b32_e32 v19, v31, v11
	v_and_b32_e32 v18, v30, v10
	v_and_b32_e32 v23, v49, v11
	v_and_b32_e32 v22, v48, v10
	v_cmp_gt_u64_e64 s[20:21], v[22:23], v[18:19]
	v_pk_mov_b32 v[18:19], v[12:13], v[12:13] op_sel:[0,1]
	v_pk_mov_b32 v[38:39], v[48:49], v[48:49] op_sel:[0,1]
	s_and_saveexec_b64 s[24:25], s[20:21]
; %bb.54:
	v_pk_mov_b32 v[18:19], v[20:21], v[20:21] op_sel:[0,1]
	v_pk_mov_b32 v[20:21], v[12:13], v[12:13] op_sel:[0,1]
	v_pk_mov_b32 v[38:39], v[30:31], v[30:31] op_sel:[0,1]
	v_pk_mov_b32 v[30:31], v[48:49], v[48:49] op_sel:[0,1]
; %bb.55:
	s_or_b64 exec, exec, s[24:25]
	v_and_b32_e32 v13, v17, v11
	v_and_b32_e32 v12, v16, v10
	v_and_b32_e32 v23, v29, v11
	v_and_b32_e32 v22, v28, v10
	v_cmp_gt_u64_e64 s[20:21], v[22:23], v[12:13]
	v_pk_mov_b32 v[22:23], v[16:17], v[16:17] op_sel:[0,1]
	v_pk_mov_b32 v[48:49], v[36:37], v[36:37] op_sel:[0,1]
	s_and_saveexec_b64 s[24:25], s[20:21]
; %bb.56:
	v_pk_mov_b32 v[22:23], v[28:29], v[28:29] op_sel:[0,1]
	v_pk_mov_b32 v[28:29], v[16:17], v[16:17] op_sel:[0,1]
	v_pk_mov_b32 v[48:49], v[0:1], v[0:1] op_sel:[0,1]
	v_pk_mov_b32 v[0:1], v[36:37], v[36:37] op_sel:[0,1]
; %bb.57:
	s_or_b64 exec, exec, s[24:25]
	v_and_b32_e32 v13, v55, v11
	v_and_b32_e32 v12, v54, v10
	v_and_b32_e32 v17, v15, v11
	v_and_b32_e32 v16, v14, v10
	v_cmp_gt_u64_e64 s[20:21], v[16:17], v[12:13]
	v_pk_mov_b32 v[16:17], v[54:55], v[54:55] op_sel:[0,1]
	v_pk_mov_b32 v[50:51], v[24:25], v[24:25] op_sel:[0,1]
	s_and_saveexec_b64 s[24:25], s[20:21]
; %bb.58:
	v_pk_mov_b32 v[16:17], v[14:15], v[14:15] op_sel:[0,1]
	v_pk_mov_b32 v[14:15], v[54:55], v[54:55] op_sel:[0,1]
	v_pk_mov_b32 v[50:51], v[34:35], v[34:35] op_sel:[0,1]
	v_pk_mov_b32 v[34:35], v[24:25], v[24:25] op_sel:[0,1]
; %bb.59:
	s_or_b64 exec, exec, s[24:25]
	v_and_b32_e32 v13, v39, v11
	v_and_b32_e32 v12, v38, v10
	v_and_b32_e32 v25, v53, v11
	v_and_b32_e32 v24, v52, v10
	v_cmp_gt_u64_e64 s[20:21], v[24:25], v[12:13]
	v_pk_mov_b32 v[24:25], v[20:21], v[20:21] op_sel:[0,1]
	v_pk_mov_b32 v[64:65], v[52:53], v[52:53] op_sel:[0,1]
	s_and_saveexec_b64 s[24:25], s[20:21]
; %bb.60:
	v_pk_mov_b32 v[24:25], v[26:27], v[26:27] op_sel:[0,1]
	v_pk_mov_b32 v[26:27], v[20:21], v[20:21] op_sel:[0,1]
	v_pk_mov_b32 v[64:65], v[38:39], v[38:39] op_sel:[0,1]
	v_pk_mov_b32 v[38:39], v[52:53], v[52:53] op_sel:[0,1]
; %bb.61:
	s_or_b64 exec, exec, s[24:25]
	v_and_b32_e32 v13, v33, v11
	v_and_b32_e32 v12, v32, v10
	v_and_b32_e32 v21, v31, v11
	v_and_b32_e32 v20, v30, v10
	v_cmp_gt_u64_e64 s[20:21], v[20:21], v[12:13]
	v_pk_mov_b32 v[12:13], v[4:5], v[4:5] op_sel:[0,1]
	v_pk_mov_b32 v[52:53], v[30:31], v[30:31] op_sel:[0,1]
	s_and_saveexec_b64 s[24:25], s[20:21]
; %bb.62:
	v_pk_mov_b32 v[12:13], v[18:19], v[18:19] op_sel:[0,1]
	v_pk_mov_b32 v[18:19], v[4:5], v[4:5] op_sel:[0,1]
	v_pk_mov_b32 v[52:53], v[32:33], v[32:33] op_sel:[0,1]
	v_pk_mov_b32 v[32:33], v[30:31], v[30:31] op_sel:[0,1]
; %bb.63:
	s_or_b64 exec, exec, s[24:25]
	v_and_b32_e32 v5, v15, v11
	v_and_b32_e32 v4, v14, v10
	v_and_b32_e32 v21, v23, v11
	v_and_b32_e32 v20, v22, v10
	v_cmp_gt_u64_e64 s[20:21], v[20:21], v[4:5]
	v_pk_mov_b32 v[20:21], v[14:15], v[14:15] op_sel:[0,1]
	v_pk_mov_b32 v[54:55], v[34:35], v[34:35] op_sel:[0,1]
	s_and_saveexec_b64 s[24:25], s[20:21]
; %bb.64:
	v_pk_mov_b32 v[20:21], v[22:23], v[22:23] op_sel:[0,1]
	v_pk_mov_b32 v[22:23], v[14:15], v[14:15] op_sel:[0,1]
	v_pk_mov_b32 v[54:55], v[48:49], v[48:49] op_sel:[0,1]
	v_pk_mov_b32 v[48:49], v[34:35], v[34:35] op_sel:[0,1]
; %bb.65:
	s_or_b64 exec, exec, s[24:25]
	v_and_b32_e32 v5, v65, v11
	v_and_b32_e32 v4, v64, v10
	v_and_b32_e32 v15, v17, v11
	v_and_b32_e32 v14, v16, v10
	v_cmp_gt_u64_e64 s[20:21], v[14:15], v[4:5]
	v_pk_mov_b32 v[4:5], v[16:17], v[16:17] op_sel:[0,1]
	v_pk_mov_b32 v[30:31], v[26:27], v[26:27] op_sel:[0,1]
	s_and_saveexec_b64 s[24:25], s[20:21]
; %bb.66:
	v_pk_mov_b32 v[4:5], v[64:65], v[64:65] op_sel:[0,1]
	v_pk_mov_b32 v[30:31], v[50:51], v[50:51] op_sel:[0,1]
	v_pk_mov_b32 v[50:51], v[26:27], v[26:27] op_sel:[0,1]
	v_pk_mov_b32 v[64:65], v[16:17], v[16:17] op_sel:[0,1]
; %bb.67:
	s_or_b64 exec, exec, s[24:25]
	v_and_b32_e32 v15, v53, v11
	v_and_b32_e32 v14, v52, v10
	v_and_b32_e32 v17, v39, v11
	v_and_b32_e32 v16, v38, v10
	v_cmp_gt_u64_e64 s[20:21], v[16:17], v[14:15]
	v_pk_mov_b32 v[16:17], v[18:19], v[18:19] op_sel:[0,1]
	v_pk_mov_b32 v[36:37], v[38:39], v[38:39] op_sel:[0,1]
	s_and_saveexec_b64 s[24:25], s[20:21]
; %bb.68:
	v_pk_mov_b32 v[16:17], v[24:25], v[24:25] op_sel:[0,1]
	v_pk_mov_b32 v[24:25], v[18:19], v[18:19] op_sel:[0,1]
	v_pk_mov_b32 v[36:37], v[52:53], v[52:53] op_sel:[0,1]
	v_pk_mov_b32 v[52:53], v[38:39], v[38:39] op_sel:[0,1]
; %bb.69:
	s_or_b64 exec, exec, s[24:25]
	v_and_b32_e32 v15, v23, v11
	v_and_b32_e32 v14, v22, v10
	v_and_b32_e32 v19, v29, v11
	v_and_b32_e32 v18, v28, v10
	v_cmp_gt_u64_e64 s[20:21], v[18:19], v[14:15]
	v_pk_mov_b32 v[34:35], v[22:23], v[22:23] op_sel:[0,1]
	v_pk_mov_b32 v[14:15], v[48:49], v[48:49] op_sel:[0,1]
	s_and_saveexec_b64 s[24:25], s[20:21]
; %bb.70:
	v_pk_mov_b32 v[34:35], v[28:29], v[28:29] op_sel:[0,1]
	v_pk_mov_b32 v[28:29], v[22:23], v[22:23] op_sel:[0,1]
	v_pk_mov_b32 v[14:15], v[0:1], v[0:1] op_sel:[0,1]
	v_pk_mov_b32 v[0:1], v[48:49], v[48:49] op_sel:[0,1]
; %bb.71:
	s_or_b64 exec, exec, s[24:25]
	v_and_b32_e32 v19, v5, v11
	v_and_b32_e32 v18, v4, v10
	v_and_b32_e32 v23, v21, v11
	v_and_b32_e32 v22, v20, v10
	v_cmp_gt_u64_e64 s[20:21], v[22:23], v[18:19]
	v_pk_mov_b32 v[22:23], v[4:5], v[4:5] op_sel:[0,1]
	v_pk_mov_b32 v[18:19], v[50:51], v[50:51] op_sel:[0,1]
	s_and_saveexec_b64 s[24:25], s[20:21]
; %bb.72:
	v_pk_mov_b32 v[22:23], v[20:21], v[20:21] op_sel:[0,1]
	v_pk_mov_b32 v[20:21], v[4:5], v[4:5] op_sel:[0,1]
	v_pk_mov_b32 v[18:19], v[54:55], v[54:55] op_sel:[0,1]
	v_pk_mov_b32 v[54:55], v[50:51], v[50:51] op_sel:[0,1]
; %bb.73:
	s_or_b64 exec, exec, s[24:25]
	v_and_b32_e32 v5, v37, v11
	v_and_b32_e32 v4, v36, v10
	v_and_b32_e32 v27, v65, v11
	v_and_b32_e32 v26, v64, v10
	v_cmp_gt_u64_e64 s[20:21], v[26:27], v[4:5]
	v_pk_mov_b32 v[66:67], v[24:25], v[24:25] op_sel:[0,1]
	v_pk_mov_b32 v[50:51], v[64:65], v[64:65] op_sel:[0,1]
	s_and_saveexec_b64 s[24:25], s[20:21]
; %bb.74:
	v_pk_mov_b32 v[66:67], v[30:31], v[30:31] op_sel:[0,1]
	v_pk_mov_b32 v[30:31], v[24:25], v[24:25] op_sel:[0,1]
	v_pk_mov_b32 v[50:51], v[36:37], v[36:37] op_sel:[0,1]
	v_pk_mov_b32 v[36:37], v[64:65], v[64:65] op_sel:[0,1]
; %bb.75:
	s_or_b64 exec, exec, s[24:25]
	v_and_b32_e32 v5, v33, v11
	v_and_b32_e32 v4, v32, v10
	v_and_b32_e32 v25, v53, v11
	v_and_b32_e32 v24, v52, v10
	v_cmp_gt_u64_e64 s[20:21], v[24:25], v[4:5]
	v_pk_mov_b32 v[26:27], v[12:13], v[12:13] op_sel:[0,1]
	v_pk_mov_b32 v[24:25], v[52:53], v[52:53] op_sel:[0,1]
	s_and_saveexec_b64 s[24:25], s[20:21]
; %bb.76:
	v_pk_mov_b32 v[26:27], v[16:17], v[16:17] op_sel:[0,1]
	v_pk_mov_b32 v[16:17], v[12:13], v[12:13] op_sel:[0,1]
	v_pk_mov_b32 v[24:25], v[32:33], v[32:33] op_sel:[0,1]
	v_pk_mov_b32 v[32:33], v[52:53], v[52:53] op_sel:[0,1]
; %bb.77:
	s_or_b64 exec, exec, s[24:25]
	v_and_b32_e32 v5, v21, v11
	v_and_b32_e32 v4, v20, v10
	v_and_b32_e32 v13, v35, v11
	v_and_b32_e32 v12, v34, v10
	v_cmp_gt_u64_e64 s[20:21], v[12:13], v[4:5]
	v_pk_mov_b32 v[38:39], v[20:21], v[20:21] op_sel:[0,1]
	v_pk_mov_b32 v[4:5], v[54:55], v[54:55] op_sel:[0,1]
	s_and_saveexec_b64 s[24:25], s[20:21]
; %bb.78:
	v_pk_mov_b32 v[38:39], v[34:35], v[34:35] op_sel:[0,1]
	v_pk_mov_b32 v[34:35], v[20:21], v[20:21] op_sel:[0,1]
	v_pk_mov_b32 v[4:5], v[14:15], v[14:15] op_sel:[0,1]
	v_pk_mov_b32 v[14:15], v[54:55], v[54:55] op_sel:[0,1]
; %bb.79:
	s_or_b64 exec, exec, s[24:25]
	v_and_b32_e32 v13, v51, v11
	v_and_b32_e32 v12, v50, v10
	v_and_b32_e32 v21, v23, v11
	v_and_b32_e32 v20, v22, v10
	v_cmp_gt_u64_e64 s[20:21], v[20:21], v[12:13]
	v_pk_mov_b32 v[48:49], v[22:23], v[22:23] op_sel:[0,1]
	v_pk_mov_b32 v[12:13], v[30:31], v[30:31] op_sel:[0,1]
	s_and_saveexec_b64 s[24:25], s[20:21]
; %bb.80:
	v_pk_mov_b32 v[48:49], v[50:51], v[50:51] op_sel:[0,1]
	v_pk_mov_b32 v[12:13], v[18:19], v[18:19] op_sel:[0,1]
	v_pk_mov_b32 v[18:19], v[30:31], v[30:31] op_sel:[0,1]
	v_pk_mov_b32 v[50:51], v[22:23], v[22:23] op_sel:[0,1]
; %bb.81:
	s_or_b64 exec, exec, s[24:25]
	v_and_b32_e32 v21, v25, v11
	v_and_b32_e32 v20, v24, v10
	v_and_b32_e32 v23, v37, v11
	v_and_b32_e32 v22, v36, v10
	v_cmp_gt_u64_e64 s[20:21], v[22:23], v[20:21]
	v_pk_mov_b32 v[52:53], v[24:25], v[24:25] op_sel:[0,1]
	v_pk_mov_b32 v[22:23], v[66:67], v[66:67] op_sel:[0,1]
	s_and_saveexec_b64 s[24:25], s[20:21]
; %bb.82:
	v_pk_mov_b32 v[52:53], v[36:37], v[36:37] op_sel:[0,1]
	v_pk_mov_b32 v[36:37], v[24:25], v[24:25] op_sel:[0,1]
	;; [unrolled: 1-line block ×4, first 2 shown]
; %bb.83:
	s_or_b64 exec, exec, s[24:25]
.LBB819_84:
	s_or_b64 exec, exec, s[22:23]
	v_and_b32_e32 v20, 0xfffffe00, v71
	v_lshlrev_b32_e32 v24, 3, v20
	s_movk_i32 s20, 0x800
	v_lshl_add_u32 v31, v69, 3, v24
	v_sub_u32_e64 v25, s20, v20 clamp
	v_add_u32_e32 v20, 0x4010, v31
	v_add_u32_e32 v30, 0x4000, v31
	ds_write2_b64 v31, v[28:29], v[34:35] offset1:1
	ds_write2_b64 v30, v[0:1], v[14:15] offset1:1
	ds_write2_b64 v31, v[38:39], v[48:49] offset0:2 offset1:3
	ds_write2_b64 v20, v[4:5], v[18:19] offset1:1
	v_add_u32_e32 v20, 0x4020, v31
	ds_write2_b64 v31, v[50:51], v[36:37] offset0:4 offset1:5
	ds_write2_b64 v20, v[12:13], v[22:23] offset1:1
	v_add_u32_e32 v20, 0x4030, v31
	ds_write2_b64 v31, v[52:53], v[32:33] offset0:6 offset1:7
	ds_write2_b64 v20, v[16:17], v[26:27] offset1:1
	v_or_b32_e32 v20, 8, v69
	v_min_u32_e32 v54, v25, v20
	v_add_u32_e32 v20, 8, v54
	v_and_b32_e32 v64, 0x3f0, v69
	v_min_u32_e32 v55, v25, v20
	v_and_b32_e32 v20, 8, v69
	v_min_u32_e32 v65, v25, v20
	v_sub_u32_e32 v66, v54, v64
	v_sub_u32_e32 v21, v55, v54
	v_sub_u32_e64 v21, v65, v21 clamp
	v_min_u32_e32 v66, v65, v66
	v_lshl_add_u32 v20, v64, 3, v24
	v_cmp_lt_u32_e64 s[20:21], v21, v66
	; wave barrier
	s_and_saveexec_b64 s[22:23], s[20:21]
	s_cbranch_execz .LBB819_88
; %bb.85:
	v_lshlrev_b32_e32 v67, 3, v54
	v_lshlrev_b32_e32 v71, 3, v65
	v_add3_u32 v67, v24, v67, v71
	s_mov_b64 s[24:25], 0
.LBB819_86:                             ; =>This Inner Loop Header: Depth=1
	v_add_u32_e32 v71, v66, v21
	v_lshrrev_b32_e32 v71, 1, v71
	v_not_b32_e32 v82, v71
	v_lshl_add_u32 v80, v71, 3, v20
	v_lshl_add_u32 v82, v82, 3, v67
	ds_read_b64 v[80:81], v80
	ds_read_b64 v[82:83], v82
	v_add_u32_e32 v84, 1, v71
	s_waitcnt lgkmcnt(1)
	v_and_b32_e32 v81, v81, v11
	v_and_b32_e32 v80, v80, v10
	s_waitcnt lgkmcnt(0)
	v_and_b32_e32 v83, v83, v11
	v_and_b32_e32 v82, v82, v10
	v_cmp_gt_u64_e64 s[20:21], v[80:81], v[82:83]
	v_cndmask_b32_e64 v66, v66, v71, s[20:21]
	v_cndmask_b32_e64 v21, v84, v21, s[20:21]
	v_cmp_ge_u32_e64 s[20:21], v21, v66
	s_or_b64 s[24:25], s[20:21], s[24:25]
	s_andn2_b64 exec, exec, s[24:25]
	s_cbranch_execnz .LBB819_86
; %bb.87:
	s_or_b64 exec, exec, s[24:25]
.LBB819_88:
	s_or_b64 exec, exec, s[22:23]
	v_add_u32_e32 v65, v54, v65
	v_add_u32_e32 v64, v21, v64
	v_sub_u32_e32 v65, v65, v21
	v_cmp_le_u32_e64 s[20:21], v64, v54
	v_cmp_le_u32_e64 s[22:23], v65, v55
	s_or_b64 s[20:21], s[20:21], s[22:23]
	s_and_saveexec_b64 s[40:41], s[20:21]
	s_cbranch_execz .LBB819_94
; %bb.89:
	v_cmp_lt_u32_e64 s[20:21], v64, v54
                                        ; implicit-def: $vgpr16_vgpr17
	s_and_saveexec_b64 s[22:23], s[20:21]
	s_cbranch_execz .LBB819_91
; %bb.90:
	v_lshl_add_u32 v0, v21, 3, v20
	ds_read_b64 v[16:17], v0
.LBB819_91:
	s_or_b64 exec, exec, s[22:23]
	v_cmp_ge_u32_e64 s[22:23], v65, v55
	v_cmp_lt_u32_e64 s[24:25], v65, v55
                                        ; implicit-def: $vgpr20_vgpr21
	s_and_saveexec_b64 s[28:29], s[24:25]
	s_cbranch_execz .LBB819_93
; %bb.92:
	v_lshl_add_u32 v0, v65, 3, v24
	ds_read_b64 v[20:21], v0
.LBB819_93:
	s_or_b64 exec, exec, s[28:29]
	s_waitcnt lgkmcnt(0)
	v_and_b32_e32 v1, v21, v11
	v_and_b32_e32 v0, v20, v10
	v_and_b32_e32 v5, v17, v11
	v_and_b32_e32 v4, v16, v10
	v_cmp_le_u64_e64 s[24:25], v[4:5], v[0:1]
	s_and_b64 s[20:21], s[20:21], s[24:25]
	s_or_b64 s[20:21], s[22:23], s[20:21]
	v_cndmask_b32_e64 v12, v65, v64, s[20:21]
	v_cndmask_b32_e64 v0, v55, v54, s[20:21]
	v_add_u32_e32 v4, 1, v12
	v_add_u32_e32 v0, -1, v0
	v_min_u32_e32 v0, v4, v0
	v_lshl_add_u32 v0, v0, 3, v24
	ds_read_b64 v[0:1], v0
	v_cndmask_b32_e64 v13, v4, v65, s[20:21]
	v_cndmask_b32_e64 v14, v64, v4, s[20:21]
	v_cmp_lt_u32_e64 s[24:25], v14, v54
	v_cmp_ge_u32_e64 s[22:23], v13, v55
	s_waitcnt lgkmcnt(0)
	v_cndmask_b32_e64 v26, v1, v21, s[20:21]
	v_cndmask_b32_e64 v27, v0, v20, s[20:21]
	;; [unrolled: 1-line block ×4, first 2 shown]
	v_and_b32_e32 v1, v26, v11
	v_and_b32_e32 v0, v27, v10
	v_and_b32_e32 v5, v32, v11
	v_and_b32_e32 v4, v33, v10
	v_cmp_le_u64_e64 s[28:29], v[4:5], v[0:1]
	s_and_b64 s[24:25], s[24:25], s[28:29]
	s_or_b64 s[24:25], s[22:23], s[24:25]
	v_cndmask_b32_e64 v15, v13, v14, s[24:25]
	v_cndmask_b32_e64 v0, v55, v54, s[24:25]
	v_add_u32_e32 v4, 1, v15
	v_add_u32_e32 v0, -1, v0
	v_min_u32_e32 v0, v4, v0
	v_lshl_add_u32 v0, v0, 3, v24
	ds_read_b64 v[0:1], v0
	v_cndmask_b32_e64 v13, v4, v13, s[24:25]
	v_cndmask_b32_e64 v18, v14, v4, s[24:25]
	v_cmp_lt_u32_e64 s[28:29], v18, v54
	v_cmp_ge_u32_e64 s[22:23], v13, v55
	s_waitcnt lgkmcnt(0)
	v_cndmask_b32_e64 v36, v1, v26, s[24:25]
	v_cndmask_b32_e64 v37, v0, v27, s[24:25]
	;; [unrolled: 1-line block ×4, first 2 shown]
	v_and_b32_e32 v1, v36, v11
	v_and_b32_e32 v0, v37, v10
	;; [unrolled: 1-line block ×4, first 2 shown]
	v_cmp_le_u64_e64 s[30:31], v[4:5], v[0:1]
	s_and_b64 s[28:29], s[28:29], s[30:31]
	s_or_b64 s[22:23], s[22:23], s[28:29]
	v_cndmask_b32_e64 v19, v13, v18, s[22:23]
	v_cndmask_b32_e64 v0, v55, v54, s[22:23]
	v_add_u32_e32 v22, 1, v19
	v_add_u32_e32 v0, -1, v0
	v_min_u32_e32 v0, v22, v0
	v_lshl_add_u32 v0, v0, 3, v24
	ds_read_b64 v[4:5], v0
	v_lshl_add_u32 v0, v12, 3, v24
	v_lshl_add_u32 v12, v15, 3, v24
	ds_read_b64 v[14:15], v12 offset:16384
	v_cndmask_b32_e64 v23, v22, v13, s[22:23]
	s_waitcnt lgkmcnt(1)
	v_cndmask_b32_e64 v49, v5, v36, s[22:23]
	v_cndmask_b32_e64 v50, v4, v37, s[22:23]
	;; [unrolled: 1-line block ×5, first 2 shown]
	v_and_b32_e32 v5, v49, v11
	v_and_b32_e32 v4, v50, v10
	;; [unrolled: 1-line block ×4, first 2 shown]
	v_cmp_lt_u32_e64 s[30:31], v22, v54
	v_cmp_le_u64_e64 s[34:35], v[12:13], v[4:5]
	v_cmp_ge_u32_e64 s[28:29], v23, v55
	s_and_b64 s[30:31], s[30:31], s[34:35]
	s_or_b64 s[28:29], s[28:29], s[30:31]
	v_cndmask_b32_e64 v18, v23, v22, s[28:29]
	v_cndmask_b32_e64 v4, v55, v54, s[28:29]
	v_add_u32_e32 v28, 1, v18
	v_add_u32_e32 v4, -1, v4
	v_min_u32_e32 v4, v28, v4
	v_lshl_add_u32 v4, v4, 3, v24
	ds_read_b64 v[0:1], v0 offset:16384
	ds_read_b64 v[12:13], v4
	v_cndmask_b32_e64 v39, v28, v23, s[28:29]
	v_cndmask_b32_e64 v67, v22, v28, s[28:29]
	v_cmp_lt_u32_e64 s[34:35], v67, v54
	v_cmp_ge_u32_e64 s[30:31], v39, v55
	s_waitcnt lgkmcnt(0)
	v_cndmask_b32_e64 v53, v13, v49, s[28:29]
	v_cndmask_b32_e64 v64, v12, v50, s[28:29]
	;; [unrolled: 1-line block ×4, first 2 shown]
	v_and_b32_e32 v13, v53, v11
	v_and_b32_e32 v12, v64, v10
	;; [unrolled: 1-line block ×4, first 2 shown]
	v_cmp_le_u64_e64 s[36:37], v[22:23], v[12:13]
	s_and_b64 s[34:35], s[34:35], s[36:37]
	s_or_b64 s[30:31], s[30:31], s[34:35]
	v_cndmask_b32_e64 v12, v39, v67, s[30:31]
	v_cndmask_b32_e64 v13, v55, v54, s[30:31]
	v_lshl_add_u32 v22, v12, 3, v24
	v_add_u32_e32 v71, 1, v12
	v_add_u32_e32 v12, -1, v13
	v_min_u32_e32 v12, v71, v12
	v_lshl_add_u32 v4, v19, 3, v24
	v_lshl_add_u32 v18, v18, 3, v24
	;; [unrolled: 1-line block ×3, first 2 shown]
	ds_read_b64 v[4:5], v4 offset:16384
	ds_read_b64 v[18:19], v18 offset:16384
	;; [unrolled: 1-line block ×3, first 2 shown]
	ds_read_b64 v[22:23], v23
	v_cndmask_b32_e64 v35, v26, v32, s[24:25]
	v_cndmask_b32_e64 v34, v27, v33, s[24:25]
	;; [unrolled: 1-line block ×4, first 2 shown]
	s_waitcnt lgkmcnt(0)
	v_cndmask_b32_e64 v26, v23, v53, s[30:31]
	v_cndmask_b32_e64 v27, v22, v64, s[30:31]
	;; [unrolled: 1-line block ×5, first 2 shown]
	v_and_b32_e32 v17, v26, v11
	v_and_b32_e32 v16, v27, v10
	;; [unrolled: 1-line block ×4, first 2 shown]
	v_cndmask_b32_e64 v80, v71, v39, s[30:31]
	v_cmp_lt_u32_e64 s[24:25], v67, v54
	v_cmp_le_u64_e64 s[34:35], v[20:21], v[16:17]
	v_cmp_ge_u32_e64 s[20:21], v80, v55
	s_and_b64 s[24:25], s[24:25], s[34:35]
	s_or_b64 s[20:21], s[20:21], s[24:25]
	v_cndmask_b32_e64 v16, v80, v67, s[20:21]
	v_cndmask_b32_e64 v17, v55, v54, s[20:21]
	v_lshl_add_u32 v20, v16, 3, v24
	v_add_u32_e32 v21, 1, v16
	v_add_u32_e32 v16, -1, v17
	v_min_u32_e32 v16, v21, v16
	v_lshl_add_u32 v16, v16, 3, v24
	ds_read_b64 v[22:23], v20 offset:16384
	ds_read_b64 v[16:17], v16
	v_cndmask_b32_e64 v39, v36, v38, s[22:23]
	v_cndmask_b32_e64 v38, v37, v48, s[22:23]
	v_cndmask_b32_e64 v48, v50, v52, s[28:29]
	v_cndmask_b32_e64 v80, v21, v80, s[20:21]
	s_waitcnt lgkmcnt(0)
	v_cndmask_b32_e64 v52, v17, v26, s[20:21]
	v_cndmask_b32_e64 v71, v16, v27, s[20:21]
	;; [unrolled: 1-line block ×5, first 2 shown]
	v_and_b32_e32 v17, v52, v11
	v_and_b32_e32 v16, v71, v10
	v_and_b32_e32 v21, v81, v11
	v_and_b32_e32 v20, v82, v10
	v_cndmask_b32_e64 v49, v49, v51, s[28:29]
	v_cmp_lt_u32_e64 s[24:25], v67, v54
	v_cmp_le_u64_e64 s[28:29], v[20:21], v[16:17]
	v_cmp_ge_u32_e64 s[22:23], v80, v55
	s_and_b64 s[24:25], s[24:25], s[28:29]
	s_or_b64 s[22:23], s[22:23], s[24:25]
	v_cndmask_b32_e64 v16, v80, v67, s[22:23]
	v_cndmask_b32_e64 v17, v55, v54, s[22:23]
	v_lshl_add_u32 v20, v16, 3, v24
	v_add_u32_e32 v83, 1, v16
	v_add_u32_e32 v16, -1, v17
	v_min_u32_e32 v16, v83, v16
	v_lshl_add_u32 v21, v16, 3, v24
	ds_read_b64 v[16:17], v20 offset:16384
	ds_read_b64 v[20:21], v21
	v_cndmask_b32_e64 v51, v53, v65, s[30:31]
	v_cndmask_b32_e64 v50, v64, v66, s[30:31]
	;; [unrolled: 1-line block ×4, first 2 shown]
	s_waitcnt lgkmcnt(0)
	v_cndmask_b32_e64 v32, v21, v52, s[22:23]
	v_cndmask_b32_e64 v64, v20, v71, s[22:23]
	;; [unrolled: 1-line block ×5, first 2 shown]
	v_and_b32_e32 v21, v32, v11
	v_and_b32_e32 v20, v64, v10
	;; [unrolled: 1-line block ×4, first 2 shown]
	v_cndmask_b32_e64 v53, v83, v80, s[22:23]
	v_cmp_lt_u32_e64 s[24:25], v66, v54
	v_cmp_le_u64_e64 s[28:29], v[26:27], v[20:21]
	v_cmp_ge_u32_e64 s[20:21], v53, v55
	s_and_b64 s[24:25], s[24:25], s[28:29]
	s_or_b64 s[20:21], s[20:21], s[24:25]
	v_cndmask_b32_e64 v20, v53, v66, s[20:21]
	v_lshl_add_u32 v20, v20, 3, v24
	ds_read_b64 v[26:27], v20 offset:16384
	v_cndmask_b32_e64 v53, v52, v81, s[22:23]
	v_cndmask_b32_e64 v52, v71, v82, s[22:23]
	;; [unrolled: 1-line block ×4, first 2 shown]
.LBB819_94:
	s_or_b64 exec, exec, s[40:41]
	v_add_u32_e32 v20, 0x4000, v31
	v_and_b32_e32 v64, 0x3e0, v69
	; wave barrier
	ds_write2_b64 v31, v[28:29], v[34:35] offset1:1
	ds_write2_b64 v20, v[0:1], v[14:15] offset1:1
	ds_write2_b64 v31, v[38:39], v[48:49] offset0:2 offset1:3
	ds_write2_b64 v30, v[4:5], v[18:19] offset0:2 offset1:3
	ds_write2_b64 v31, v[50:51], v[36:37] offset0:4 offset1:5
	ds_write2_b64 v30, v[12:13], v[22:23] offset0:4 offset1:5
	ds_write2_b64 v31, v[52:53], v[32:33] offset0:6 offset1:7
	s_waitcnt lgkmcnt(7)
	ds_write2_b64 v30, v[16:17], v[26:27] offset0:6 offset1:7
	v_or_b32_e32 v20, 16, v64
	v_min_u32_e32 v54, v25, v20
	v_add_u32_e32 v20, 16, v54
	v_min_u32_e32 v55, v25, v20
	v_and_b32_e32 v20, 24, v69
	v_min_u32_e32 v65, v25, v20
	v_sub_u32_e32 v66, v54, v64
	v_sub_u32_e32 v21, v55, v54
	v_sub_u32_e64 v21, v65, v21 clamp
	v_min_u32_e32 v66, v65, v66
	v_lshl_add_u32 v20, v64, 3, v24
	v_cmp_lt_u32_e64 s[20:21], v21, v66
	; wave barrier
	s_and_saveexec_b64 s[22:23], s[20:21]
	s_cbranch_execz .LBB819_98
; %bb.95:
	v_lshlrev_b32_e32 v67, 3, v54
	v_lshlrev_b32_e32 v71, 3, v65
	v_add3_u32 v67, v24, v67, v71
	s_mov_b64 s[24:25], 0
.LBB819_96:                             ; =>This Inner Loop Header: Depth=1
	v_add_u32_e32 v71, v66, v21
	v_lshrrev_b32_e32 v71, 1, v71
	v_not_b32_e32 v82, v71
	v_lshl_add_u32 v80, v71, 3, v20
	v_lshl_add_u32 v82, v82, 3, v67
	ds_read_b64 v[80:81], v80
	ds_read_b64 v[82:83], v82
	v_add_u32_e32 v84, 1, v71
	s_waitcnt lgkmcnt(1)
	v_and_b32_e32 v81, v81, v11
	v_and_b32_e32 v80, v80, v10
	s_waitcnt lgkmcnt(0)
	v_and_b32_e32 v83, v83, v11
	v_and_b32_e32 v82, v82, v10
	v_cmp_gt_u64_e64 s[20:21], v[80:81], v[82:83]
	v_cndmask_b32_e64 v66, v66, v71, s[20:21]
	v_cndmask_b32_e64 v21, v84, v21, s[20:21]
	v_cmp_ge_u32_e64 s[20:21], v21, v66
	s_or_b64 s[24:25], s[20:21], s[24:25]
	s_andn2_b64 exec, exec, s[24:25]
	s_cbranch_execnz .LBB819_96
; %bb.97:
	s_or_b64 exec, exec, s[24:25]
.LBB819_98:
	s_or_b64 exec, exec, s[22:23]
	v_add_u32_e32 v65, v54, v65
	v_add_u32_e32 v64, v21, v64
	v_sub_u32_e32 v65, v65, v21
	v_cmp_le_u32_e64 s[20:21], v64, v54
	v_cmp_le_u32_e64 s[22:23], v65, v55
	s_or_b64 s[20:21], s[20:21], s[22:23]
	s_and_saveexec_b64 s[40:41], s[20:21]
	s_cbranch_execz .LBB819_104
; %bb.99:
	v_cmp_lt_u32_e64 s[20:21], v64, v54
                                        ; implicit-def: $vgpr16_vgpr17
	s_and_saveexec_b64 s[22:23], s[20:21]
	s_cbranch_execz .LBB819_101
; %bb.100:
	v_lshl_add_u32 v0, v21, 3, v20
	ds_read_b64 v[16:17], v0
.LBB819_101:
	s_or_b64 exec, exec, s[22:23]
	v_cmp_ge_u32_e64 s[22:23], v65, v55
	v_cmp_lt_u32_e64 s[24:25], v65, v55
                                        ; implicit-def: $vgpr20_vgpr21
	s_and_saveexec_b64 s[28:29], s[24:25]
	s_cbranch_execz .LBB819_103
; %bb.102:
	v_lshl_add_u32 v0, v65, 3, v24
	ds_read_b64 v[20:21], v0
.LBB819_103:
	s_or_b64 exec, exec, s[28:29]
	s_waitcnt lgkmcnt(0)
	v_and_b32_e32 v1, v21, v11
	v_and_b32_e32 v0, v20, v10
	;; [unrolled: 1-line block ×4, first 2 shown]
	v_cmp_le_u64_e64 s[24:25], v[4:5], v[0:1]
	s_and_b64 s[20:21], s[20:21], s[24:25]
	s_or_b64 s[20:21], s[22:23], s[20:21]
	v_cndmask_b32_e64 v12, v65, v64, s[20:21]
	v_cndmask_b32_e64 v0, v55, v54, s[20:21]
	v_add_u32_e32 v4, 1, v12
	v_add_u32_e32 v0, -1, v0
	v_min_u32_e32 v0, v4, v0
	v_lshl_add_u32 v0, v0, 3, v24
	ds_read_b64 v[0:1], v0
	v_cndmask_b32_e64 v13, v4, v65, s[20:21]
	v_cndmask_b32_e64 v14, v64, v4, s[20:21]
	v_cmp_lt_u32_e64 s[24:25], v14, v54
	v_cmp_ge_u32_e64 s[22:23], v13, v55
	s_waitcnt lgkmcnt(0)
	v_cndmask_b32_e64 v26, v1, v21, s[20:21]
	v_cndmask_b32_e64 v27, v0, v20, s[20:21]
	;; [unrolled: 1-line block ×4, first 2 shown]
	v_and_b32_e32 v1, v26, v11
	v_and_b32_e32 v0, v27, v10
	;; [unrolled: 1-line block ×4, first 2 shown]
	v_cmp_le_u64_e64 s[28:29], v[4:5], v[0:1]
	s_and_b64 s[24:25], s[24:25], s[28:29]
	s_or_b64 s[24:25], s[22:23], s[24:25]
	v_cndmask_b32_e64 v15, v13, v14, s[24:25]
	v_cndmask_b32_e64 v0, v55, v54, s[24:25]
	v_add_u32_e32 v4, 1, v15
	v_add_u32_e32 v0, -1, v0
	v_min_u32_e32 v0, v4, v0
	v_lshl_add_u32 v0, v0, 3, v24
	ds_read_b64 v[0:1], v0
	v_cndmask_b32_e64 v13, v4, v13, s[24:25]
	v_cndmask_b32_e64 v18, v14, v4, s[24:25]
	v_cmp_lt_u32_e64 s[28:29], v18, v54
	v_cmp_ge_u32_e64 s[22:23], v13, v55
	s_waitcnt lgkmcnt(0)
	v_cndmask_b32_e64 v36, v1, v26, s[24:25]
	v_cndmask_b32_e64 v37, v0, v27, s[24:25]
	v_cndmask_b32_e64 v38, v32, v1, s[24:25]
	v_cndmask_b32_e64 v48, v33, v0, s[24:25]
	v_and_b32_e32 v1, v36, v11
	v_and_b32_e32 v0, v37, v10
	;; [unrolled: 1-line block ×4, first 2 shown]
	v_cmp_le_u64_e64 s[30:31], v[4:5], v[0:1]
	s_and_b64 s[28:29], s[28:29], s[30:31]
	s_or_b64 s[22:23], s[22:23], s[28:29]
	v_cndmask_b32_e64 v19, v13, v18, s[22:23]
	v_cndmask_b32_e64 v0, v55, v54, s[22:23]
	v_add_u32_e32 v22, 1, v19
	v_add_u32_e32 v0, -1, v0
	v_min_u32_e32 v0, v22, v0
	v_lshl_add_u32 v0, v0, 3, v24
	ds_read_b64 v[4:5], v0
	v_lshl_add_u32 v0, v12, 3, v24
	v_lshl_add_u32 v12, v15, 3, v24
	ds_read_b64 v[14:15], v12 offset:16384
	v_cndmask_b32_e64 v23, v22, v13, s[22:23]
	s_waitcnt lgkmcnt(1)
	v_cndmask_b32_e64 v49, v5, v36, s[22:23]
	v_cndmask_b32_e64 v50, v4, v37, s[22:23]
	v_cndmask_b32_e64 v51, v38, v5, s[22:23]
	v_cndmask_b32_e64 v52, v48, v4, s[22:23]
	v_cndmask_b32_e64 v22, v18, v22, s[22:23]
	v_and_b32_e32 v5, v49, v11
	v_and_b32_e32 v4, v50, v10
	;; [unrolled: 1-line block ×4, first 2 shown]
	v_cmp_lt_u32_e64 s[30:31], v22, v54
	v_cmp_le_u64_e64 s[34:35], v[12:13], v[4:5]
	v_cmp_ge_u32_e64 s[28:29], v23, v55
	s_and_b64 s[30:31], s[30:31], s[34:35]
	s_or_b64 s[28:29], s[28:29], s[30:31]
	v_cndmask_b32_e64 v18, v23, v22, s[28:29]
	v_cndmask_b32_e64 v4, v55, v54, s[28:29]
	v_add_u32_e32 v28, 1, v18
	v_add_u32_e32 v4, -1, v4
	v_min_u32_e32 v4, v28, v4
	v_lshl_add_u32 v4, v4, 3, v24
	ds_read_b64 v[0:1], v0 offset:16384
	ds_read_b64 v[12:13], v4
	v_cndmask_b32_e64 v39, v28, v23, s[28:29]
	v_cndmask_b32_e64 v67, v22, v28, s[28:29]
	v_cmp_lt_u32_e64 s[34:35], v67, v54
	v_cmp_ge_u32_e64 s[30:31], v39, v55
	s_waitcnt lgkmcnt(0)
	v_cndmask_b32_e64 v53, v13, v49, s[28:29]
	v_cndmask_b32_e64 v64, v12, v50, s[28:29]
	;; [unrolled: 1-line block ×4, first 2 shown]
	v_and_b32_e32 v13, v53, v11
	v_and_b32_e32 v12, v64, v10
	;; [unrolled: 1-line block ×4, first 2 shown]
	v_cmp_le_u64_e64 s[36:37], v[22:23], v[12:13]
	s_and_b64 s[34:35], s[34:35], s[36:37]
	s_or_b64 s[30:31], s[30:31], s[34:35]
	v_cndmask_b32_e64 v12, v39, v67, s[30:31]
	v_cndmask_b32_e64 v13, v55, v54, s[30:31]
	v_lshl_add_u32 v22, v12, 3, v24
	v_add_u32_e32 v71, 1, v12
	v_add_u32_e32 v12, -1, v13
	v_min_u32_e32 v12, v71, v12
	v_lshl_add_u32 v4, v19, 3, v24
	v_lshl_add_u32 v18, v18, 3, v24
	;; [unrolled: 1-line block ×3, first 2 shown]
	ds_read_b64 v[4:5], v4 offset:16384
	ds_read_b64 v[18:19], v18 offset:16384
	;; [unrolled: 1-line block ×3, first 2 shown]
	ds_read_b64 v[22:23], v23
	v_cndmask_b32_e64 v35, v26, v32, s[24:25]
	v_cndmask_b32_e64 v34, v27, v33, s[24:25]
	;; [unrolled: 1-line block ×4, first 2 shown]
	s_waitcnt lgkmcnt(0)
	v_cndmask_b32_e64 v26, v23, v53, s[30:31]
	v_cndmask_b32_e64 v27, v22, v64, s[30:31]
	;; [unrolled: 1-line block ×5, first 2 shown]
	v_and_b32_e32 v17, v26, v11
	v_and_b32_e32 v16, v27, v10
	;; [unrolled: 1-line block ×4, first 2 shown]
	v_cndmask_b32_e64 v80, v71, v39, s[30:31]
	v_cmp_lt_u32_e64 s[24:25], v67, v54
	v_cmp_le_u64_e64 s[34:35], v[20:21], v[16:17]
	v_cmp_ge_u32_e64 s[20:21], v80, v55
	s_and_b64 s[24:25], s[24:25], s[34:35]
	s_or_b64 s[20:21], s[20:21], s[24:25]
	v_cndmask_b32_e64 v16, v80, v67, s[20:21]
	v_cndmask_b32_e64 v17, v55, v54, s[20:21]
	v_lshl_add_u32 v20, v16, 3, v24
	v_add_u32_e32 v21, 1, v16
	v_add_u32_e32 v16, -1, v17
	v_min_u32_e32 v16, v21, v16
	v_lshl_add_u32 v16, v16, 3, v24
	ds_read_b64 v[22:23], v20 offset:16384
	ds_read_b64 v[16:17], v16
	v_cndmask_b32_e64 v39, v36, v38, s[22:23]
	v_cndmask_b32_e64 v38, v37, v48, s[22:23]
	;; [unrolled: 1-line block ×4, first 2 shown]
	s_waitcnt lgkmcnt(0)
	v_cndmask_b32_e64 v52, v17, v26, s[20:21]
	v_cndmask_b32_e64 v71, v16, v27, s[20:21]
	;; [unrolled: 1-line block ×5, first 2 shown]
	v_and_b32_e32 v17, v52, v11
	v_and_b32_e32 v16, v71, v10
	;; [unrolled: 1-line block ×4, first 2 shown]
	v_cndmask_b32_e64 v49, v49, v51, s[28:29]
	v_cmp_lt_u32_e64 s[24:25], v67, v54
	v_cmp_le_u64_e64 s[28:29], v[20:21], v[16:17]
	v_cmp_ge_u32_e64 s[22:23], v80, v55
	s_and_b64 s[24:25], s[24:25], s[28:29]
	s_or_b64 s[22:23], s[22:23], s[24:25]
	v_cndmask_b32_e64 v16, v80, v67, s[22:23]
	v_cndmask_b32_e64 v17, v55, v54, s[22:23]
	v_lshl_add_u32 v20, v16, 3, v24
	v_add_u32_e32 v83, 1, v16
	v_add_u32_e32 v16, -1, v17
	v_min_u32_e32 v16, v83, v16
	v_lshl_add_u32 v21, v16, 3, v24
	ds_read_b64 v[16:17], v20 offset:16384
	ds_read_b64 v[20:21], v21
	v_cndmask_b32_e64 v51, v53, v65, s[30:31]
	v_cndmask_b32_e64 v50, v64, v66, s[30:31]
	v_cndmask_b32_e64 v37, v26, v32, s[20:21]
	v_cndmask_b32_e64 v36, v27, v33, s[20:21]
	s_waitcnt lgkmcnt(0)
	v_cndmask_b32_e64 v32, v21, v52, s[22:23]
	v_cndmask_b32_e64 v64, v20, v71, s[22:23]
	;; [unrolled: 1-line block ×5, first 2 shown]
	v_and_b32_e32 v21, v32, v11
	v_and_b32_e32 v20, v64, v10
	;; [unrolled: 1-line block ×4, first 2 shown]
	v_cndmask_b32_e64 v53, v83, v80, s[22:23]
	v_cmp_lt_u32_e64 s[24:25], v66, v54
	v_cmp_le_u64_e64 s[28:29], v[26:27], v[20:21]
	v_cmp_ge_u32_e64 s[20:21], v53, v55
	s_and_b64 s[24:25], s[24:25], s[28:29]
	s_or_b64 s[20:21], s[20:21], s[24:25]
	v_cndmask_b32_e64 v20, v53, v66, s[20:21]
	v_lshl_add_u32 v20, v20, 3, v24
	ds_read_b64 v[26:27], v20 offset:16384
	v_cndmask_b32_e64 v53, v52, v81, s[22:23]
	v_cndmask_b32_e64 v52, v71, v82, s[22:23]
	;; [unrolled: 1-line block ×4, first 2 shown]
.LBB819_104:
	s_or_b64 exec, exec, s[40:41]
	v_add_u32_e32 v20, 0x4000, v31
	v_and_b32_e32 v64, 0x3c0, v69
	; wave barrier
	ds_write2_b64 v31, v[28:29], v[34:35] offset1:1
	ds_write2_b64 v20, v[0:1], v[14:15] offset1:1
	ds_write2_b64 v31, v[38:39], v[48:49] offset0:2 offset1:3
	ds_write2_b64 v30, v[4:5], v[18:19] offset0:2 offset1:3
	;; [unrolled: 1-line block ×5, first 2 shown]
	s_waitcnt lgkmcnt(7)
	ds_write2_b64 v30, v[16:17], v[26:27] offset0:6 offset1:7
	v_or_b32_e32 v20, 32, v64
	v_min_u32_e32 v54, v25, v20
	v_add_u32_e32 v20, 32, v54
	v_min_u32_e32 v55, v25, v20
	v_and_b32_e32 v20, 56, v69
	v_min_u32_e32 v65, v25, v20
	v_sub_u32_e32 v66, v54, v64
	v_sub_u32_e32 v21, v55, v54
	v_sub_u32_e64 v21, v65, v21 clamp
	v_min_u32_e32 v66, v65, v66
	v_lshl_add_u32 v20, v64, 3, v24
	v_cmp_lt_u32_e64 s[20:21], v21, v66
	; wave barrier
	s_and_saveexec_b64 s[22:23], s[20:21]
	s_cbranch_execz .LBB819_108
; %bb.105:
	v_lshlrev_b32_e32 v67, 3, v54
	v_lshlrev_b32_e32 v71, 3, v65
	v_add3_u32 v67, v24, v67, v71
	s_mov_b64 s[24:25], 0
.LBB819_106:                            ; =>This Inner Loop Header: Depth=1
	v_add_u32_e32 v71, v66, v21
	v_lshrrev_b32_e32 v71, 1, v71
	v_not_b32_e32 v82, v71
	v_lshl_add_u32 v80, v71, 3, v20
	v_lshl_add_u32 v82, v82, 3, v67
	ds_read_b64 v[80:81], v80
	ds_read_b64 v[82:83], v82
	v_add_u32_e32 v84, 1, v71
	s_waitcnt lgkmcnt(1)
	v_and_b32_e32 v81, v81, v11
	v_and_b32_e32 v80, v80, v10
	s_waitcnt lgkmcnt(0)
	v_and_b32_e32 v83, v83, v11
	v_and_b32_e32 v82, v82, v10
	v_cmp_gt_u64_e64 s[20:21], v[80:81], v[82:83]
	v_cndmask_b32_e64 v66, v66, v71, s[20:21]
	v_cndmask_b32_e64 v21, v84, v21, s[20:21]
	v_cmp_ge_u32_e64 s[20:21], v21, v66
	s_or_b64 s[24:25], s[20:21], s[24:25]
	s_andn2_b64 exec, exec, s[24:25]
	s_cbranch_execnz .LBB819_106
; %bb.107:
	s_or_b64 exec, exec, s[24:25]
.LBB819_108:
	s_or_b64 exec, exec, s[22:23]
	v_add_u32_e32 v65, v54, v65
	v_add_u32_e32 v64, v21, v64
	v_sub_u32_e32 v65, v65, v21
	v_cmp_le_u32_e64 s[20:21], v64, v54
	v_cmp_le_u32_e64 s[22:23], v65, v55
	s_or_b64 s[20:21], s[20:21], s[22:23]
	s_and_saveexec_b64 s[40:41], s[20:21]
	s_cbranch_execz .LBB819_114
; %bb.109:
	v_cmp_lt_u32_e64 s[20:21], v64, v54
                                        ; implicit-def: $vgpr16_vgpr17
	s_and_saveexec_b64 s[22:23], s[20:21]
	s_cbranch_execz .LBB819_111
; %bb.110:
	v_lshl_add_u32 v0, v21, 3, v20
	ds_read_b64 v[16:17], v0
.LBB819_111:
	s_or_b64 exec, exec, s[22:23]
	v_cmp_ge_u32_e64 s[22:23], v65, v55
	v_cmp_lt_u32_e64 s[24:25], v65, v55
                                        ; implicit-def: $vgpr20_vgpr21
	s_and_saveexec_b64 s[28:29], s[24:25]
	s_cbranch_execz .LBB819_113
; %bb.112:
	v_lshl_add_u32 v0, v65, 3, v24
	ds_read_b64 v[20:21], v0
.LBB819_113:
	s_or_b64 exec, exec, s[28:29]
	s_waitcnt lgkmcnt(0)
	v_and_b32_e32 v1, v21, v11
	v_and_b32_e32 v0, v20, v10
	;; [unrolled: 1-line block ×4, first 2 shown]
	v_cmp_le_u64_e64 s[24:25], v[4:5], v[0:1]
	s_and_b64 s[20:21], s[20:21], s[24:25]
	s_or_b64 s[20:21], s[22:23], s[20:21]
	v_cndmask_b32_e64 v12, v65, v64, s[20:21]
	v_cndmask_b32_e64 v0, v55, v54, s[20:21]
	v_add_u32_e32 v4, 1, v12
	v_add_u32_e32 v0, -1, v0
	v_min_u32_e32 v0, v4, v0
	v_lshl_add_u32 v0, v0, 3, v24
	ds_read_b64 v[0:1], v0
	v_cndmask_b32_e64 v13, v4, v65, s[20:21]
	v_cndmask_b32_e64 v14, v64, v4, s[20:21]
	v_cmp_lt_u32_e64 s[24:25], v14, v54
	v_cmp_ge_u32_e64 s[22:23], v13, v55
	s_waitcnt lgkmcnt(0)
	v_cndmask_b32_e64 v26, v1, v21, s[20:21]
	v_cndmask_b32_e64 v27, v0, v20, s[20:21]
	;; [unrolled: 1-line block ×4, first 2 shown]
	v_and_b32_e32 v1, v26, v11
	v_and_b32_e32 v0, v27, v10
	;; [unrolled: 1-line block ×4, first 2 shown]
	v_cmp_le_u64_e64 s[28:29], v[4:5], v[0:1]
	s_and_b64 s[24:25], s[24:25], s[28:29]
	s_or_b64 s[24:25], s[22:23], s[24:25]
	v_cndmask_b32_e64 v15, v13, v14, s[24:25]
	v_cndmask_b32_e64 v0, v55, v54, s[24:25]
	v_add_u32_e32 v4, 1, v15
	v_add_u32_e32 v0, -1, v0
	v_min_u32_e32 v0, v4, v0
	v_lshl_add_u32 v0, v0, 3, v24
	ds_read_b64 v[0:1], v0
	v_cndmask_b32_e64 v13, v4, v13, s[24:25]
	v_cndmask_b32_e64 v18, v14, v4, s[24:25]
	v_cmp_lt_u32_e64 s[28:29], v18, v54
	v_cmp_ge_u32_e64 s[22:23], v13, v55
	s_waitcnt lgkmcnt(0)
	v_cndmask_b32_e64 v36, v1, v26, s[24:25]
	v_cndmask_b32_e64 v37, v0, v27, s[24:25]
	;; [unrolled: 1-line block ×4, first 2 shown]
	v_and_b32_e32 v1, v36, v11
	v_and_b32_e32 v0, v37, v10
	;; [unrolled: 1-line block ×4, first 2 shown]
	v_cmp_le_u64_e64 s[30:31], v[4:5], v[0:1]
	s_and_b64 s[28:29], s[28:29], s[30:31]
	s_or_b64 s[22:23], s[22:23], s[28:29]
	v_cndmask_b32_e64 v19, v13, v18, s[22:23]
	v_cndmask_b32_e64 v0, v55, v54, s[22:23]
	v_add_u32_e32 v22, 1, v19
	v_add_u32_e32 v0, -1, v0
	v_min_u32_e32 v0, v22, v0
	v_lshl_add_u32 v0, v0, 3, v24
	ds_read_b64 v[4:5], v0
	v_lshl_add_u32 v0, v12, 3, v24
	v_lshl_add_u32 v12, v15, 3, v24
	ds_read_b64 v[14:15], v12 offset:16384
	v_cndmask_b32_e64 v23, v22, v13, s[22:23]
	s_waitcnt lgkmcnt(1)
	v_cndmask_b32_e64 v49, v5, v36, s[22:23]
	v_cndmask_b32_e64 v50, v4, v37, s[22:23]
	;; [unrolled: 1-line block ×5, first 2 shown]
	v_and_b32_e32 v5, v49, v11
	v_and_b32_e32 v4, v50, v10
	;; [unrolled: 1-line block ×4, first 2 shown]
	v_cmp_lt_u32_e64 s[30:31], v22, v54
	v_cmp_le_u64_e64 s[34:35], v[12:13], v[4:5]
	v_cmp_ge_u32_e64 s[28:29], v23, v55
	s_and_b64 s[30:31], s[30:31], s[34:35]
	s_or_b64 s[28:29], s[28:29], s[30:31]
	v_cndmask_b32_e64 v18, v23, v22, s[28:29]
	v_cndmask_b32_e64 v4, v55, v54, s[28:29]
	v_add_u32_e32 v28, 1, v18
	v_add_u32_e32 v4, -1, v4
	v_min_u32_e32 v4, v28, v4
	v_lshl_add_u32 v4, v4, 3, v24
	ds_read_b64 v[0:1], v0 offset:16384
	ds_read_b64 v[12:13], v4
	v_cndmask_b32_e64 v39, v28, v23, s[28:29]
	v_cndmask_b32_e64 v67, v22, v28, s[28:29]
	v_cmp_lt_u32_e64 s[34:35], v67, v54
	v_cmp_ge_u32_e64 s[30:31], v39, v55
	s_waitcnt lgkmcnt(0)
	v_cndmask_b32_e64 v53, v13, v49, s[28:29]
	v_cndmask_b32_e64 v64, v12, v50, s[28:29]
	;; [unrolled: 1-line block ×4, first 2 shown]
	v_and_b32_e32 v13, v53, v11
	v_and_b32_e32 v12, v64, v10
	;; [unrolled: 1-line block ×4, first 2 shown]
	v_cmp_le_u64_e64 s[36:37], v[22:23], v[12:13]
	s_and_b64 s[34:35], s[34:35], s[36:37]
	s_or_b64 s[30:31], s[30:31], s[34:35]
	v_cndmask_b32_e64 v12, v39, v67, s[30:31]
	v_cndmask_b32_e64 v13, v55, v54, s[30:31]
	v_lshl_add_u32 v22, v12, 3, v24
	v_add_u32_e32 v71, 1, v12
	v_add_u32_e32 v12, -1, v13
	v_min_u32_e32 v12, v71, v12
	v_lshl_add_u32 v4, v19, 3, v24
	v_lshl_add_u32 v18, v18, 3, v24
	;; [unrolled: 1-line block ×3, first 2 shown]
	ds_read_b64 v[4:5], v4 offset:16384
	ds_read_b64 v[18:19], v18 offset:16384
	;; [unrolled: 1-line block ×3, first 2 shown]
	ds_read_b64 v[22:23], v23
	v_cndmask_b32_e64 v35, v26, v32, s[24:25]
	v_cndmask_b32_e64 v34, v27, v33, s[24:25]
	v_cndmask_b32_e64 v29, v21, v17, s[20:21]
	v_cndmask_b32_e64 v28, v20, v16, s[20:21]
	s_waitcnt lgkmcnt(0)
	v_cndmask_b32_e64 v26, v23, v53, s[30:31]
	v_cndmask_b32_e64 v27, v22, v64, s[30:31]
	;; [unrolled: 1-line block ×5, first 2 shown]
	v_and_b32_e32 v17, v26, v11
	v_and_b32_e32 v16, v27, v10
	;; [unrolled: 1-line block ×4, first 2 shown]
	v_cndmask_b32_e64 v80, v71, v39, s[30:31]
	v_cmp_lt_u32_e64 s[24:25], v67, v54
	v_cmp_le_u64_e64 s[34:35], v[20:21], v[16:17]
	v_cmp_ge_u32_e64 s[20:21], v80, v55
	s_and_b64 s[24:25], s[24:25], s[34:35]
	s_or_b64 s[20:21], s[20:21], s[24:25]
	v_cndmask_b32_e64 v16, v80, v67, s[20:21]
	v_cndmask_b32_e64 v17, v55, v54, s[20:21]
	v_lshl_add_u32 v20, v16, 3, v24
	v_add_u32_e32 v21, 1, v16
	v_add_u32_e32 v16, -1, v17
	v_min_u32_e32 v16, v21, v16
	v_lshl_add_u32 v16, v16, 3, v24
	ds_read_b64 v[22:23], v20 offset:16384
	ds_read_b64 v[16:17], v16
	v_cndmask_b32_e64 v39, v36, v38, s[22:23]
	v_cndmask_b32_e64 v38, v37, v48, s[22:23]
	;; [unrolled: 1-line block ×4, first 2 shown]
	s_waitcnt lgkmcnt(0)
	v_cndmask_b32_e64 v52, v17, v26, s[20:21]
	v_cndmask_b32_e64 v71, v16, v27, s[20:21]
	;; [unrolled: 1-line block ×5, first 2 shown]
	v_and_b32_e32 v17, v52, v11
	v_and_b32_e32 v16, v71, v10
	;; [unrolled: 1-line block ×4, first 2 shown]
	v_cndmask_b32_e64 v49, v49, v51, s[28:29]
	v_cmp_lt_u32_e64 s[24:25], v67, v54
	v_cmp_le_u64_e64 s[28:29], v[20:21], v[16:17]
	v_cmp_ge_u32_e64 s[22:23], v80, v55
	s_and_b64 s[24:25], s[24:25], s[28:29]
	s_or_b64 s[22:23], s[22:23], s[24:25]
	v_cndmask_b32_e64 v16, v80, v67, s[22:23]
	v_cndmask_b32_e64 v17, v55, v54, s[22:23]
	v_lshl_add_u32 v20, v16, 3, v24
	v_add_u32_e32 v83, 1, v16
	v_add_u32_e32 v16, -1, v17
	v_min_u32_e32 v16, v83, v16
	v_lshl_add_u32 v21, v16, 3, v24
	ds_read_b64 v[16:17], v20 offset:16384
	ds_read_b64 v[20:21], v21
	v_cndmask_b32_e64 v51, v53, v65, s[30:31]
	v_cndmask_b32_e64 v50, v64, v66, s[30:31]
	;; [unrolled: 1-line block ×4, first 2 shown]
	s_waitcnt lgkmcnt(0)
	v_cndmask_b32_e64 v32, v21, v52, s[22:23]
	v_cndmask_b32_e64 v64, v20, v71, s[22:23]
	;; [unrolled: 1-line block ×5, first 2 shown]
	v_and_b32_e32 v21, v32, v11
	v_and_b32_e32 v20, v64, v10
	;; [unrolled: 1-line block ×4, first 2 shown]
	v_cndmask_b32_e64 v53, v83, v80, s[22:23]
	v_cmp_lt_u32_e64 s[24:25], v66, v54
	v_cmp_le_u64_e64 s[28:29], v[26:27], v[20:21]
	v_cmp_ge_u32_e64 s[20:21], v53, v55
	s_and_b64 s[24:25], s[24:25], s[28:29]
	s_or_b64 s[20:21], s[20:21], s[24:25]
	v_cndmask_b32_e64 v20, v53, v66, s[20:21]
	v_lshl_add_u32 v20, v20, 3, v24
	ds_read_b64 v[26:27], v20 offset:16384
	v_cndmask_b32_e64 v53, v52, v81, s[22:23]
	v_cndmask_b32_e64 v52, v71, v82, s[22:23]
	;; [unrolled: 1-line block ×4, first 2 shown]
.LBB819_114:
	s_or_b64 exec, exec, s[40:41]
	v_add_u32_e32 v20, 0x4000, v31
	v_and_b32_e32 v54, 0x380, v69
	; wave barrier
	ds_write2_b64 v31, v[28:29], v[34:35] offset1:1
	ds_write2_b64 v20, v[0:1], v[14:15] offset1:1
	ds_write2_b64 v31, v[38:39], v[48:49] offset0:2 offset1:3
	ds_write2_b64 v30, v[4:5], v[18:19] offset0:2 offset1:3
	;; [unrolled: 1-line block ×5, first 2 shown]
	s_waitcnt lgkmcnt(7)
	ds_write2_b64 v30, v[16:17], v[26:27] offset0:6 offset1:7
	v_or_b32_e32 v20, 64, v54
	v_min_u32_e32 v30, v25, v20
	v_add_u32_e32 v20, 64, v30
	v_min_u32_e32 v31, v25, v20
	v_min_u32_e32 v55, v25, v70
	v_sub_u32_e32 v25, v30, v54
	v_sub_u32_e32 v21, v31, v30
	v_sub_u32_e64 v21, v55, v21 clamp
	v_min_u32_e32 v25, v55, v25
	v_lshl_add_u32 v20, v54, 3, v24
	v_cmp_lt_u32_e64 s[20:21], v21, v25
	; wave barrier
	s_and_saveexec_b64 s[22:23], s[20:21]
	s_cbranch_execz .LBB819_118
; %bb.115:
	v_lshlrev_b32_e32 v64, 3, v30
	v_lshlrev_b32_e32 v65, 3, v55
	v_add3_u32 v64, v24, v64, v65
	s_mov_b64 s[24:25], 0
.LBB819_116:                            ; =>This Inner Loop Header: Depth=1
	v_add_u32_e32 v65, v25, v21
	v_lshrrev_b32_e32 v65, 1, v65
	v_not_b32_e32 v69, v65
	v_lshl_add_u32 v66, v65, 3, v20
	v_lshl_add_u32 v69, v69, 3, v64
	ds_read_b64 v[66:67], v66
	ds_read_b64 v[70:71], v69
	v_add_u32_e32 v80, 1, v65
	s_waitcnt lgkmcnt(1)
	v_and_b32_e32 v67, v67, v11
	v_and_b32_e32 v66, v66, v10
	s_waitcnt lgkmcnt(0)
	v_and_b32_e32 v71, v71, v11
	v_and_b32_e32 v70, v70, v10
	v_cmp_gt_u64_e64 s[20:21], v[66:67], v[70:71]
	v_cndmask_b32_e64 v25, v25, v65, s[20:21]
	v_cndmask_b32_e64 v21, v80, v21, s[20:21]
	v_cmp_ge_u32_e64 s[20:21], v21, v25
	s_or_b64 s[24:25], s[20:21], s[24:25]
	s_andn2_b64 exec, exec, s[24:25]
	s_cbranch_execnz .LBB819_116
; %bb.117:
	s_or_b64 exec, exec, s[24:25]
.LBB819_118:
	s_or_b64 exec, exec, s[22:23]
	v_add_u32_e32 v25, v21, v54
	v_add_u32_e32 v54, v30, v55
	v_sub_u32_e32 v54, v54, v21
	v_cmp_le_u32_e64 s[20:21], v25, v30
	v_cmp_le_u32_e64 s[22:23], v54, v31
	s_or_b64 s[20:21], s[20:21], s[22:23]
	s_and_saveexec_b64 s[40:41], s[20:21]
	s_cbranch_execz .LBB819_124
; %bb.119:
	v_cmp_lt_u32_e64 s[20:21], v25, v30
                                        ; implicit-def: $vgpr16_vgpr17
	s_and_saveexec_b64 s[22:23], s[20:21]
	s_cbranch_execz .LBB819_121
; %bb.120:
	v_lshl_add_u32 v0, v21, 3, v20
	ds_read_b64 v[16:17], v0
.LBB819_121:
	s_or_b64 exec, exec, s[22:23]
	v_cmp_ge_u32_e64 s[22:23], v54, v31
	v_cmp_lt_u32_e64 s[24:25], v54, v31
                                        ; implicit-def: $vgpr20_vgpr21
	s_and_saveexec_b64 s[28:29], s[24:25]
	s_cbranch_execz .LBB819_123
; %bb.122:
	v_lshl_add_u32 v0, v54, 3, v24
	ds_read_b64 v[20:21], v0
.LBB819_123:
	s_or_b64 exec, exec, s[28:29]
	s_waitcnt lgkmcnt(0)
	v_and_b32_e32 v1, v21, v11
	v_and_b32_e32 v0, v20, v10
	;; [unrolled: 1-line block ×4, first 2 shown]
	v_cmp_le_u64_e64 s[24:25], v[4:5], v[0:1]
	s_and_b64 s[20:21], s[20:21], s[24:25]
	s_or_b64 s[20:21], s[22:23], s[20:21]
	v_cndmask_b32_e64 v12, v54, v25, s[20:21]
	v_cndmask_b32_e64 v0, v31, v30, s[20:21]
	v_add_u32_e32 v4, 1, v12
	v_add_u32_e32 v0, -1, v0
	v_min_u32_e32 v0, v4, v0
	v_lshl_add_u32 v0, v0, 3, v24
	ds_read_b64 v[0:1], v0
	v_cndmask_b32_e64 v13, v4, v54, s[20:21]
	v_cndmask_b32_e64 v14, v25, v4, s[20:21]
	v_cmp_lt_u32_e64 s[24:25], v14, v30
	v_cmp_ge_u32_e64 s[22:23], v13, v31
	s_waitcnt lgkmcnt(0)
	v_cndmask_b32_e64 v26, v1, v21, s[20:21]
	v_cndmask_b32_e64 v27, v0, v20, s[20:21]
	;; [unrolled: 1-line block ×4, first 2 shown]
	v_and_b32_e32 v1, v26, v11
	v_and_b32_e32 v0, v27, v10
	;; [unrolled: 1-line block ×4, first 2 shown]
	v_cmp_le_u64_e64 s[28:29], v[4:5], v[0:1]
	s_and_b64 s[24:25], s[24:25], s[28:29]
	s_or_b64 s[24:25], s[22:23], s[24:25]
	v_cndmask_b32_e64 v15, v13, v14, s[24:25]
	v_cndmask_b32_e64 v0, v31, v30, s[24:25]
	v_add_u32_e32 v4, 1, v15
	v_add_u32_e32 v0, -1, v0
	v_min_u32_e32 v0, v4, v0
	v_lshl_add_u32 v0, v0, 3, v24
	ds_read_b64 v[0:1], v0
	v_cndmask_b32_e64 v13, v4, v13, s[24:25]
	v_cndmask_b32_e64 v18, v14, v4, s[24:25]
	v_cmp_lt_u32_e64 s[28:29], v18, v30
	v_cmp_ge_u32_e64 s[22:23], v13, v31
	s_waitcnt lgkmcnt(0)
	v_cndmask_b32_e64 v25, v1, v26, s[24:25]
	v_cndmask_b32_e64 v36, v0, v27, s[24:25]
	;; [unrolled: 1-line block ×4, first 2 shown]
	v_and_b32_e32 v1, v25, v11
	v_and_b32_e32 v0, v36, v10
	;; [unrolled: 1-line block ×4, first 2 shown]
	v_cmp_le_u64_e64 s[30:31], v[4:5], v[0:1]
	s_and_b64 s[28:29], s[28:29], s[30:31]
	s_or_b64 s[22:23], s[22:23], s[28:29]
	v_cndmask_b32_e64 v19, v13, v18, s[22:23]
	v_cndmask_b32_e64 v0, v31, v30, s[22:23]
	v_add_u32_e32 v22, 1, v19
	v_add_u32_e32 v0, -1, v0
	v_min_u32_e32 v0, v22, v0
	v_lshl_add_u32 v0, v0, 3, v24
	ds_read_b64 v[4:5], v0
	v_lshl_add_u32 v0, v12, 3, v24
	v_lshl_add_u32 v12, v15, 3, v24
	ds_read_b64 v[14:15], v12 offset:16384
	v_cndmask_b32_e64 v23, v22, v13, s[22:23]
	s_waitcnt lgkmcnt(1)
	v_cndmask_b32_e64 v48, v5, v25, s[22:23]
	v_cndmask_b32_e64 v50, v4, v36, s[22:23]
	;; [unrolled: 1-line block ×5, first 2 shown]
	v_and_b32_e32 v5, v48, v11
	v_and_b32_e32 v4, v50, v10
	;; [unrolled: 1-line block ×4, first 2 shown]
	v_cmp_lt_u32_e64 s[30:31], v22, v30
	v_cmp_le_u64_e64 s[34:35], v[12:13], v[4:5]
	v_cmp_ge_u32_e64 s[28:29], v23, v31
	s_and_b64 s[30:31], s[30:31], s[34:35]
	s_or_b64 s[28:29], s[28:29], s[30:31]
	v_cndmask_b32_e64 v18, v23, v22, s[28:29]
	v_cndmask_b32_e64 v4, v31, v30, s[28:29]
	v_add_u32_e32 v28, 1, v18
	v_add_u32_e32 v4, -1, v4
	v_min_u32_e32 v4, v28, v4
	v_lshl_add_u32 v4, v4, 3, v24
	ds_read_b64 v[0:1], v0 offset:16384
	ds_read_b64 v[12:13], v4
	v_cndmask_b32_e64 v39, v28, v23, s[28:29]
	v_cndmask_b32_e64 v64, v22, v28, s[28:29]
	v_cmp_lt_u32_e64 s[34:35], v64, v30
	v_cmp_ge_u32_e64 s[30:31], v39, v31
	s_waitcnt lgkmcnt(0)
	v_cndmask_b32_e64 v52, v13, v48, s[28:29]
	v_cndmask_b32_e64 v53, v12, v50, s[28:29]
	;; [unrolled: 1-line block ×4, first 2 shown]
	v_and_b32_e32 v13, v52, v11
	v_and_b32_e32 v12, v53, v10
	;; [unrolled: 1-line block ×4, first 2 shown]
	v_cmp_le_u64_e64 s[36:37], v[22:23], v[12:13]
	s_and_b64 s[34:35], s[34:35], s[36:37]
	s_or_b64 s[30:31], s[30:31], s[34:35]
	v_cndmask_b32_e64 v12, v39, v64, s[30:31]
	v_cndmask_b32_e64 v13, v31, v30, s[30:31]
	v_lshl_add_u32 v22, v12, 3, v24
	v_add_u32_e32 v65, 1, v12
	v_add_u32_e32 v12, -1, v13
	v_min_u32_e32 v12, v65, v12
	v_lshl_add_u32 v4, v19, 3, v24
	v_lshl_add_u32 v18, v18, 3, v24
	;; [unrolled: 1-line block ×3, first 2 shown]
	ds_read_b64 v[4:5], v4 offset:16384
	ds_read_b64 v[18:19], v18 offset:16384
	ds_read_b64 v[12:13], v22 offset:16384
	ds_read_b64 v[22:23], v23
	v_cndmask_b32_e64 v35, v26, v32, s[24:25]
	v_cndmask_b32_e64 v34, v27, v33, s[24:25]
	;; [unrolled: 1-line block ×4, first 2 shown]
	s_waitcnt lgkmcnt(0)
	v_cndmask_b32_e64 v26, v23, v52, s[30:31]
	v_cndmask_b32_e64 v27, v22, v53, s[30:31]
	;; [unrolled: 1-line block ×5, first 2 shown]
	v_and_b32_e32 v17, v26, v11
	v_and_b32_e32 v16, v27, v10
	;; [unrolled: 1-line block ×4, first 2 shown]
	v_cndmask_b32_e64 v66, v65, v39, s[30:31]
	v_cmp_lt_u32_e64 s[24:25], v64, v30
	v_cmp_le_u64_e64 s[34:35], v[20:21], v[16:17]
	v_cmp_ge_u32_e64 s[20:21], v66, v31
	s_and_b64 s[24:25], s[24:25], s[34:35]
	s_or_b64 s[20:21], s[20:21], s[24:25]
	v_cndmask_b32_e64 v16, v66, v64, s[20:21]
	v_cndmask_b32_e64 v17, v31, v30, s[20:21]
	v_lshl_add_u32 v20, v16, 3, v24
	v_add_u32_e32 v21, 1, v16
	v_add_u32_e32 v16, -1, v17
	v_min_u32_e32 v16, v21, v16
	v_lshl_add_u32 v16, v16, 3, v24
	ds_read_b64 v[22:23], v20 offset:16384
	ds_read_b64 v[16:17], v16
	v_cndmask_b32_e64 v39, v25, v37, s[22:23]
	v_cndmask_b32_e64 v66, v21, v66, s[20:21]
	;; [unrolled: 1-line block ×4, first 2 shown]
	s_waitcnt lgkmcnt(0)
	v_cndmask_b32_e64 v25, v17, v26, s[20:21]
	v_cndmask_b32_e64 v65, v16, v27, s[20:21]
	;; [unrolled: 1-line block ×4, first 2 shown]
	v_and_b32_e32 v17, v25, v11
	v_and_b32_e32 v16, v65, v10
	;; [unrolled: 1-line block ×4, first 2 shown]
	v_cndmask_b32_e64 v48, v50, v51, s[28:29]
	v_cmp_lt_u32_e64 s[24:25], v64, v30
	v_cmp_le_u64_e64 s[28:29], v[20:21], v[16:17]
	v_cndmask_b32_e64 v38, v36, v38, s[22:23]
	v_cmp_ge_u32_e64 s[22:23], v66, v31
	s_and_b64 s[24:25], s[24:25], s[28:29]
	s_or_b64 s[22:23], s[22:23], s[24:25]
	v_cndmask_b32_e64 v16, v66, v64, s[22:23]
	v_cndmask_b32_e64 v17, v31, v30, s[22:23]
	v_lshl_add_u32 v20, v16, 3, v24
	v_add_u32_e32 v70, 1, v16
	v_add_u32_e32 v16, -1, v17
	v_min_u32_e32 v16, v70, v16
	v_lshl_add_u32 v21, v16, 3, v24
	ds_read_b64 v[16:17], v20 offset:16384
	ds_read_b64 v[20:21], v21
	v_cndmask_b32_e64 v51, v52, v54, s[30:31]
	v_cndmask_b32_e64 v50, v53, v55, s[30:31]
	;; [unrolled: 1-line block ×4, first 2 shown]
	s_waitcnt lgkmcnt(0)
	v_cndmask_b32_e64 v32, v21, v25, s[22:23]
	v_cndmask_b32_e64 v54, v20, v65, s[22:23]
	;; [unrolled: 1-line block ×5, first 2 shown]
	v_and_b32_e32 v21, v32, v11
	v_and_b32_e32 v20, v54, v10
	v_and_b32_e32 v11, v33, v11
	v_and_b32_e32 v10, v55, v10
	v_cndmask_b32_e64 v26, v70, v66, s[22:23]
	v_cmp_lt_u32_e64 s[24:25], v27, v30
	v_cmp_le_u64_e64 s[28:29], v[10:11], v[20:21]
	v_cmp_ge_u32_e64 s[20:21], v26, v31
	s_and_b64 s[24:25], s[24:25], s[28:29]
	s_or_b64 s[20:21], s[20:21], s[24:25]
	v_cndmask_b32_e64 v10, v26, v27, s[20:21]
	v_lshl_add_u32 v10, v10, 3, v24
	ds_read_b64 v[26:27], v10 offset:16384
	v_cndmask_b32_e64 v53, v25, v67, s[22:23]
	v_cndmask_b32_e64 v52, v65, v69, s[22:23]
	;; [unrolled: 1-line block ×4, first 2 shown]
.LBB819_124:
	s_or_b64 exec, exec, s[40:41]
	; wave barrier
	s_waitcnt lgkmcnt(0)
	s_barrier
                                        ; implicit-def: $vgpr69
                                        ; implicit-def: $vgpr70
                                        ; implicit-def: $vgpr31
                                        ; implicit-def: $vgpr20
                                        ; implicit-def: $vgpr21
.LBB819_125:
	s_andn2_saveexec_b64 s[34:35], s[38:39]
	s_cbranch_execz .LBB819_225
; %bb.126:
	s_load_dwordx2 s[20:21], s[8:9], 0x0
	v_mov_b32_e32 v10, 0
	s_waitcnt lgkmcnt(0)
	s_cmp_lt_u32 s12, s20
	s_cselect_b32 s20, 12, 18
	s_cmp_lt_u32 s13, s21
	s_cselect_b32 s12, 14, 20
	s_add_u32 s12, s8, s12
	s_addc_u32 s13, s9, 0
	s_add_u32 s8, s8, s20
	s_addc_u32 s9, s9, 0
	global_load_ushort v11, v10, s[12:13]
	global_load_ushort v24, v10, s[8:9]
	v_and_b32_e32 v10, 0x3ff, v31
	s_movk_i32 s8, 0x800
	s_waitcnt vmcnt(0)
	v_mad_u32_u24 v11, v21, v11, v20
	v_mul_lo_u32 v11, v11, v24
	v_add_lshl_u32 v71, v11, v10, 3
	v_cmp_gt_u32_e64 s[8:9], s8, v71
	s_and_saveexec_b64 s[12:13], s[8:9]
	s_cbranch_execz .LBB819_184
; %bb.127:
	v_cmp_gt_i64_e64 s[8:9], v[28:29], v[34:35]
	v_pk_mov_b32 v[10:11], v[34:35], v[34:35] op_sel:[0,1]
	v_pk_mov_b32 v[24:25], v[14:15], v[14:15] op_sel:[0,1]
	s_and_saveexec_b64 s[20:21], s[8:9]
; %bb.128:
	v_pk_mov_b32 v[10:11], v[28:29], v[28:29] op_sel:[0,1]
	v_pk_mov_b32 v[28:29], v[34:35], v[34:35] op_sel:[0,1]
	v_pk_mov_b32 v[24:25], v[0:1], v[0:1] op_sel:[0,1]
	v_pk_mov_b32 v[0:1], v[14:15], v[14:15] op_sel:[0,1]
; %bb.129:
	s_or_b64 exec, exec, s[20:21]
	v_cmp_gt_i64_e64 s[8:9], v[38:39], v[48:49]
	v_pk_mov_b32 v[64:65], v[48:49], v[48:49] op_sel:[0,1]
	v_pk_mov_b32 v[30:31], v[18:19], v[18:19] op_sel:[0,1]
	s_and_saveexec_b64 s[20:21], s[8:9]
; %bb.130:
	v_pk_mov_b32 v[64:65], v[38:39], v[38:39] op_sel:[0,1]
	v_pk_mov_b32 v[38:39], v[48:49], v[48:49] op_sel:[0,1]
	v_pk_mov_b32 v[30:31], v[4:5], v[4:5] op_sel:[0,1]
	v_pk_mov_b32 v[4:5], v[18:19], v[18:19] op_sel:[0,1]
; %bb.131:
	s_or_b64 exec, exec, s[20:21]
	;; [unrolled: 11-line block ×4, first 2 shown]
	v_cmp_gt_i64_e64 s[8:9], v[10:11], v[38:39]
	v_pk_mov_b32 v[20:21], v[38:39], v[38:39] op_sel:[0,1]
	v_pk_mov_b32 v[26:27], v[4:5], v[4:5] op_sel:[0,1]
	s_and_saveexec_b64 s[20:21], s[8:9]
	s_xor_b64 s[8:9], exec, s[20:21]
; %bb.136:
	v_pk_mov_b32 v[20:21], v[10:11], v[10:11] op_sel:[0,1]
	v_pk_mov_b32 v[10:11], v[38:39], v[38:39] op_sel:[0,1]
	v_pk_mov_b32 v[26:27], v[24:25], v[24:25] op_sel:[0,1]
	v_pk_mov_b32 v[24:25], v[4:5], v[4:5] op_sel:[0,1]
; %bb.137:
	s_or_b64 exec, exec, s[8:9]
	v_cmp_gt_i64_e64 s[8:9], v[64:65], v[54:55]
	v_pk_mov_b32 v[4:5], v[64:65], v[64:65] op_sel:[0,1]
	v_pk_mov_b32 v[34:35], v[12:13], v[12:13] op_sel:[0,1]
	s_and_saveexec_b64 s[20:21], s[8:9]
; %bb.138:
	v_pk_mov_b32 v[4:5], v[54:55], v[54:55] op_sel:[0,1]
	v_pk_mov_b32 v[34:35], v[30:31], v[30:31] op_sel:[0,1]
	v_pk_mov_b32 v[30:31], v[12:13], v[12:13] op_sel:[0,1]
	v_pk_mov_b32 v[54:55], v[64:65], v[64:65] op_sel:[0,1]
; %bb.139:
	s_or_b64 exec, exec, s[20:21]
	v_cmp_gt_i64_e64 s[8:9], v[36:37], v[22:23]
	v_pk_mov_b32 v[12:13], v[16:17], v[16:17] op_sel:[0,1]
	v_pk_mov_b32 v[38:39], v[36:37], v[36:37] op_sel:[0,1]
	s_and_saveexec_b64 s[20:21], s[8:9]
	;; [unrolled: 11-line block ×23, first 2 shown]
; %bb.182:
	v_pk_mov_b32 v[52:53], v[36:37], v[36:37] op_sel:[0,1]
	v_pk_mov_b32 v[36:37], v[20:21], v[20:21] op_sel:[0,1]
	;; [unrolled: 1-line block ×4, first 2 shown]
; %bb.183:
	s_or_b64 exec, exec, s[20:21]
.LBB819_184:
	s_or_b64 exec, exec, s[12:13]
	v_and_b32_e32 v10, 0xfffffe00, v71
	v_lshlrev_b32_e32 v20, 3, v10
	s_movk_i32 s8, 0x800
	v_lshl_add_u32 v25, v69, 3, v20
	v_sub_u32_e64 v21, s8, v10 clamp
	v_add_u32_e32 v10, 0x4010, v25
	v_or_b32_e32 v11, 8, v69
	v_add_u32_e32 v24, 0x4000, v25
	ds_write2_b64 v25, v[28:29], v[34:35] offset1:1
	ds_write2_b64 v24, v[0:1], v[14:15] offset1:1
	ds_write2_b64 v25, v[38:39], v[48:49] offset0:2 offset1:3
	ds_write2_b64 v10, v[4:5], v[18:19] offset1:1
	v_add_u32_e32 v10, 0x4020, v25
	v_min_u32_e32 v30, v21, v11
	ds_write2_b64 v25, v[50:51], v[36:37] offset0:4 offset1:5
	ds_write2_b64 v10, v[12:13], v[22:23] offset1:1
	v_add_u32_e32 v10, 0x4030, v25
	v_add_u32_e32 v11, 8, v30
	ds_write2_b64 v25, v[52:53], v[32:33] offset0:6 offset1:7
	ds_write2_b64 v10, v[16:17], v[26:27] offset1:1
	v_and_b32_e32 v10, 0x3f0, v69
	v_min_u32_e32 v31, v21, v11
	v_and_b32_e32 v11, 8, v69
	v_min_u32_e32 v11, v21, v11
	v_sub_u32_e32 v64, v30, v10
	v_sub_u32_e32 v55, v31, v30
	v_sub_u32_e64 v55, v11, v55 clamp
	v_min_u32_e32 v64, v11, v64
	v_lshl_add_u32 v54, v10, 3, v20
	v_cmp_lt_u32_e64 s[8:9], v55, v64
	; wave barrier
	s_and_saveexec_b64 s[12:13], s[8:9]
	s_cbranch_execz .LBB819_188
; %bb.185:
	v_lshlrev_b32_e32 v65, 3, v30
	v_lshlrev_b32_e32 v66, 3, v11
	v_add3_u32 v65, v20, v65, v66
	s_mov_b64 s[20:21], 0
.LBB819_186:                            ; =>This Inner Loop Header: Depth=1
	v_add_u32_e32 v66, v64, v55
	v_lshrrev_b32_e32 v71, 1, v66
	v_not_b32_e32 v66, v71
	v_lshl_add_u32 v67, v71, 3, v54
	v_lshl_add_u32 v80, v66, 3, v65
	ds_read_b64 v[66:67], v67
	ds_read_b64 v[80:81], v80
	v_add_u32_e32 v82, 1, v71
	s_waitcnt lgkmcnt(0)
	v_cmp_gt_i64_e64 s[8:9], v[66:67], v[80:81]
	v_cndmask_b32_e64 v64, v64, v71, s[8:9]
	v_cndmask_b32_e64 v55, v82, v55, s[8:9]
	v_cmp_ge_u32_e64 s[8:9], v55, v64
	s_or_b64 s[20:21], s[8:9], s[20:21]
	s_andn2_b64 exec, exec, s[20:21]
	s_cbranch_execnz .LBB819_186
; %bb.187:
	s_or_b64 exec, exec, s[20:21]
.LBB819_188:
	s_or_b64 exec, exec, s[12:13]
	v_add_u32_e32 v64, v55, v10
	v_add_u32_e32 v10, v30, v11
	v_sub_u32_e32 v65, v10, v55
	v_cmp_le_u32_e64 s[8:9], v64, v30
	v_cmp_le_u32_e64 s[12:13], v65, v31
	s_or_b64 s[8:9], s[8:9], s[12:13]
	s_and_saveexec_b64 s[36:37], s[8:9]
	s_cbranch_execz .LBB819_194
; %bb.189:
	v_cmp_lt_u32_e64 s[8:9], v64, v30
                                        ; implicit-def: $vgpr10_vgpr11
	s_and_saveexec_b64 s[12:13], s[8:9]
	s_cbranch_execz .LBB819_191
; %bb.190:
	v_lshl_add_u32 v0, v55, 3, v54
	ds_read_b64 v[10:11], v0
.LBB819_191:
	s_or_b64 exec, exec, s[12:13]
	v_cmp_ge_u32_e64 s[20:21], v65, v31
	v_cmp_lt_u32_e64 s[12:13], v65, v31
                                        ; implicit-def: $vgpr16_vgpr17
	s_and_saveexec_b64 s[22:23], s[12:13]
	s_cbranch_execz .LBB819_193
; %bb.192:
	v_lshl_add_u32 v0, v65, 3, v20
	ds_read_b64 v[16:17], v0
.LBB819_193:
	s_or_b64 exec, exec, s[22:23]
	s_waitcnt lgkmcnt(0)
	v_cmp_le_i64_e64 s[12:13], v[10:11], v[16:17]
	s_and_b64 s[8:9], s[8:9], s[12:13]
	s_or_b64 s[8:9], s[20:21], s[8:9]
	v_cndmask_b32_e64 v12, v65, v64, s[8:9]
	v_cndmask_b32_e64 v0, v31, v30, s[8:9]
	v_add_u32_e32 v4, 1, v12
	v_add_u32_e32 v0, -1, v0
	v_min_u32_e32 v0, v4, v0
	v_lshl_add_u32 v0, v0, 3, v20
	ds_read_b64 v[0:1], v0
	v_cndmask_b32_e64 v5, v4, v65, s[8:9]
	v_cndmask_b32_e64 v4, v64, v4, s[8:9]
	v_cmp_lt_u32_e64 s[20:21], v4, v30
	v_cmp_ge_u32_e64 s[12:13], v5, v31
	s_waitcnt lgkmcnt(0)
	v_cndmask_b32_e64 v23, v1, v17, s[8:9]
	v_cndmask_b32_e64 v22, v0, v16, s[8:9]
	v_cndmask_b32_e64 v27, v11, v1, s[8:9]
	v_cndmask_b32_e64 v26, v10, v0, s[8:9]
	v_cmp_le_i64_e64 s[22:23], v[26:27], v[22:23]
	s_and_b64 s[20:21], s[20:21], s[22:23]
	s_or_b64 s[22:23], s[12:13], s[20:21]
	v_cndmask_b32_e64 v13, v5, v4, s[22:23]
	v_cndmask_b32_e64 v0, v31, v30, s[22:23]
	v_add_u32_e32 v14, 1, v13
	v_add_u32_e32 v0, -1, v0
	v_min_u32_e32 v0, v14, v0
	v_lshl_add_u32 v0, v0, 3, v20
	ds_read_b64 v[0:1], v0
	v_cndmask_b32_e64 v19, v4, v14, s[22:23]
	v_cndmask_b32_e64 v18, v14, v5, s[22:23]
	v_cmp_lt_u32_e64 s[20:21], v19, v30
	v_cmp_ge_u32_e64 s[12:13], v18, v31
	s_waitcnt lgkmcnt(0)
	v_cndmask_b32_e64 v33, v1, v23, s[22:23]
	v_cndmask_b32_e64 v32, v0, v22, s[22:23]
	v_cndmask_b32_e64 v37, v27, v1, s[22:23]
	v_cndmask_b32_e64 v36, v26, v0, s[22:23]
	;; [unrolled: 19-line block ×3, first 2 shown]
	v_cmp_le_i64_e64 s[28:29], v[50:51], v[48:49]
	s_and_b64 s[24:25], s[24:25], s[28:29]
	s_or_b64 s[12:13], s[12:13], s[24:25]
	v_cndmask_b32_e64 v18, v34, v29, s[12:13]
	v_cndmask_b32_e64 v4, v31, v30, s[12:13]
	v_add_u32_e32 v35, 1, v18
	v_add_u32_e32 v4, -1, v4
	v_min_u32_e32 v4, v35, v4
	v_lshl_add_u32 v0, v12, 3, v20
	v_lshl_add_u32 v12, v13, 3, v20
	;; [unrolled: 1-line block ×3, first 2 shown]
	ds_read_b64 v[0:1], v0 offset:16384
	ds_read_b64 v[14:15], v12 offset:16384
	ds_read_b64 v[12:13], v4
	v_lshl_add_u32 v18, v18, 3, v20
	ds_read_b64 v[18:19], v18 offset:16384
	v_cndmask_b32_e64 v65, v29, v35, s[12:13]
	v_cndmask_b32_e64 v64, v35, v34, s[12:13]
	s_waitcnt lgkmcnt(1)
	v_cndmask_b32_e64 v53, v13, v49, s[12:13]
	v_cndmask_b32_e64 v52, v12, v48, s[12:13]
	;; [unrolled: 1-line block ×4, first 2 shown]
	v_cmp_lt_u32_e64 s[28:29], v65, v30
	v_cmp_le_i64_e64 s[30:31], v[54:55], v[52:53]
	v_cmp_ge_u32_e64 s[24:25], v64, v31
	s_and_b64 s[28:29], s[28:29], s[30:31]
	s_or_b64 s[24:25], s[24:25], s[28:29]
	v_cndmask_b32_e64 v12, v64, v65, s[24:25]
	v_cndmask_b32_e64 v13, v31, v30, s[24:25]
	v_lshl_add_u32 v4, v28, 3, v20
	v_lshl_add_u32 v28, v12, 3, v20
	v_add_u32_e32 v66, 1, v12
	v_add_u32_e32 v12, -1, v13
	v_min_u32_e32 v12, v66, v12
	ds_read_b64 v[4:5], v4 offset:16384
	v_lshl_add_u32 v29, v12, 3, v20
	ds_read_b64 v[12:13], v28 offset:16384
	ds_read_b64 v[38:39], v29
	v_cndmask_b32_e64 v29, v17, v11, s[8:9]
	v_cndmask_b32_e64 v28, v16, v10, s[8:9]
	;; [unrolled: 1-line block ×4, first 2 shown]
	s_waitcnt lgkmcnt(0)
	v_cndmask_b32_e64 v11, v39, v53, s[24:25]
	v_cndmask_b32_e64 v10, v38, v52, s[24:25]
	;; [unrolled: 1-line block ×6, first 2 shown]
	v_cmp_lt_u32_e64 s[22:23], v66, v30
	v_cmp_le_i64_e64 s[28:29], v[26:27], v[10:11]
	v_cmp_ge_u32_e64 s[8:9], v67, v31
	s_and_b64 s[22:23], s[22:23], s[28:29]
	s_or_b64 s[8:9], s[8:9], s[22:23]
	v_cndmask_b32_e64 v16, v67, v66, s[8:9]
	v_cndmask_b32_e64 v17, v31, v30, s[8:9]
	v_lshl_add_u32 v22, v16, 3, v20
	v_add_u32_e32 v71, 1, v16
	v_add_u32_e32 v16, -1, v17
	v_min_u32_e32 v16, v71, v16
	v_lshl_add_u32 v16, v16, 3, v20
	ds_read_b64 v[22:23], v22 offset:16384
	ds_read_b64 v[16:17], v16
	v_cndmask_b32_e64 v39, v33, v37, s[20:21]
	v_cndmask_b32_e64 v38, v32, v36, s[20:21]
	;; [unrolled: 1-line block ×4, first 2 shown]
	s_waitcnt lgkmcnt(0)
	v_cndmask_b32_e64 v33, v17, v11, s[8:9]
	v_cndmask_b32_e64 v32, v16, v10, s[8:9]
	;; [unrolled: 1-line block ×4, first 2 shown]
	v_cmp_lt_u32_e64 s[20:21], v71, v30
	v_cmp_le_i64_e64 s[22:23], v[64:65], v[32:33]
	v_cndmask_b32_e64 v49, v49, v51, s[12:13]
	v_cndmask_b32_e64 v48, v48, v50, s[12:13]
	v_cmp_ge_u32_e64 s[12:13], v80, v31
	s_and_b64 s[20:21], s[20:21], s[22:23]
	s_or_b64 s[12:13], s[12:13], s[20:21]
	v_cndmask_b32_e64 v16, v80, v71, s[12:13]
	v_cndmask_b32_e64 v17, v31, v30, s[12:13]
	v_lshl_add_u32 v36, v16, 3, v20
	v_add_u32_e32 v81, 1, v16
	v_add_u32_e32 v16, -1, v17
	v_min_u32_e32 v16, v81, v16
	v_lshl_add_u32 v37, v16, 3, v20
	ds_read_b64 v[16:17], v36 offset:16384
	ds_read_b64 v[66:67], v37
	v_cndmask_b32_e64 v51, v53, v55, s[24:25]
	v_cndmask_b32_e64 v50, v52, v54, s[24:25]
	;; [unrolled: 1-line block ×4, first 2 shown]
	s_waitcnt lgkmcnt(0)
	v_cndmask_b32_e64 v11, v67, v33, s[12:13]
	v_cndmask_b32_e64 v10, v66, v32, s[12:13]
	;; [unrolled: 1-line block ×6, first 2 shown]
	v_cmp_lt_u32_e64 s[20:21], v27, v30
	v_cmp_le_i64_e64 s[22:23], v[54:55], v[10:11]
	v_cmp_ge_u32_e64 s[8:9], v26, v31
	s_and_b64 s[20:21], s[20:21], s[22:23]
	s_or_b64 s[8:9], s[8:9], s[20:21]
	v_cndmask_b32_e64 v26, v26, v27, s[8:9]
	v_lshl_add_u32 v26, v26, 3, v20
	ds_read_b64 v[26:27], v26 offset:16384
	v_cndmask_b32_e64 v53, v33, v65, s[12:13]
	v_cndmask_b32_e64 v52, v32, v64, s[12:13]
	;; [unrolled: 1-line block ×4, first 2 shown]
.LBB819_194:
	s_or_b64 exec, exec, s[36:37]
	v_add_u32_e32 v10, 0x4000, v25
	; wave barrier
	ds_write2_b64 v25, v[28:29], v[34:35] offset1:1
	ds_write2_b64 v10, v[0:1], v[14:15] offset1:1
	ds_write2_b64 v25, v[38:39], v[48:49] offset0:2 offset1:3
	ds_write2_b64 v24, v[4:5], v[18:19] offset0:2 offset1:3
	;; [unrolled: 1-line block ×5, first 2 shown]
	s_waitcnt lgkmcnt(7)
	ds_write2_b64 v24, v[16:17], v[26:27] offset0:6 offset1:7
	v_and_b32_e32 v10, 0x3e0, v69
	v_or_b32_e32 v11, 16, v10
	v_min_u32_e32 v30, v21, v11
	v_add_u32_e32 v11, 16, v30
	v_min_u32_e32 v31, v21, v11
	v_and_b32_e32 v11, 24, v69
	v_min_u32_e32 v11, v21, v11
	v_sub_u32_e32 v64, v30, v10
	v_sub_u32_e32 v55, v31, v30
	v_sub_u32_e64 v55, v11, v55 clamp
	v_min_u32_e32 v64, v11, v64
	v_lshl_add_u32 v54, v10, 3, v20
	v_cmp_lt_u32_e64 s[8:9], v55, v64
	; wave barrier
	s_and_saveexec_b64 s[12:13], s[8:9]
	s_cbranch_execz .LBB819_198
; %bb.195:
	v_lshlrev_b32_e32 v65, 3, v30
	v_lshlrev_b32_e32 v66, 3, v11
	v_add3_u32 v65, v20, v65, v66
	s_mov_b64 s[20:21], 0
.LBB819_196:                            ; =>This Inner Loop Header: Depth=1
	v_add_u32_e32 v66, v64, v55
	v_lshrrev_b32_e32 v71, 1, v66
	v_not_b32_e32 v66, v71
	v_lshl_add_u32 v67, v71, 3, v54
	v_lshl_add_u32 v80, v66, 3, v65
	ds_read_b64 v[66:67], v67
	ds_read_b64 v[80:81], v80
	v_add_u32_e32 v82, 1, v71
	s_waitcnt lgkmcnt(0)
	v_cmp_gt_i64_e64 s[8:9], v[66:67], v[80:81]
	v_cndmask_b32_e64 v64, v64, v71, s[8:9]
	v_cndmask_b32_e64 v55, v82, v55, s[8:9]
	v_cmp_ge_u32_e64 s[8:9], v55, v64
	s_or_b64 s[20:21], s[8:9], s[20:21]
	s_andn2_b64 exec, exec, s[20:21]
	s_cbranch_execnz .LBB819_196
; %bb.197:
	s_or_b64 exec, exec, s[20:21]
.LBB819_198:
	s_or_b64 exec, exec, s[12:13]
	v_add_u32_e32 v64, v55, v10
	v_add_u32_e32 v10, v30, v11
	v_sub_u32_e32 v65, v10, v55
	v_cmp_le_u32_e64 s[8:9], v64, v30
	v_cmp_le_u32_e64 s[12:13], v65, v31
	s_or_b64 s[8:9], s[8:9], s[12:13]
	s_and_saveexec_b64 s[36:37], s[8:9]
	s_cbranch_execz .LBB819_204
; %bb.199:
	v_cmp_lt_u32_e64 s[8:9], v64, v30
                                        ; implicit-def: $vgpr10_vgpr11
	s_and_saveexec_b64 s[12:13], s[8:9]
	s_cbranch_execz .LBB819_201
; %bb.200:
	v_lshl_add_u32 v0, v55, 3, v54
	ds_read_b64 v[10:11], v0
.LBB819_201:
	s_or_b64 exec, exec, s[12:13]
	v_cmp_ge_u32_e64 s[20:21], v65, v31
	v_cmp_lt_u32_e64 s[12:13], v65, v31
                                        ; implicit-def: $vgpr16_vgpr17
	s_and_saveexec_b64 s[22:23], s[12:13]
	s_cbranch_execz .LBB819_203
; %bb.202:
	v_lshl_add_u32 v0, v65, 3, v20
	ds_read_b64 v[16:17], v0
.LBB819_203:
	s_or_b64 exec, exec, s[22:23]
	s_waitcnt lgkmcnt(0)
	v_cmp_le_i64_e64 s[12:13], v[10:11], v[16:17]
	s_and_b64 s[8:9], s[8:9], s[12:13]
	s_or_b64 s[8:9], s[20:21], s[8:9]
	v_cndmask_b32_e64 v12, v65, v64, s[8:9]
	v_cndmask_b32_e64 v0, v31, v30, s[8:9]
	v_add_u32_e32 v4, 1, v12
	v_add_u32_e32 v0, -1, v0
	v_min_u32_e32 v0, v4, v0
	v_lshl_add_u32 v0, v0, 3, v20
	ds_read_b64 v[0:1], v0
	v_cndmask_b32_e64 v5, v4, v65, s[8:9]
	v_cndmask_b32_e64 v4, v64, v4, s[8:9]
	v_cmp_lt_u32_e64 s[20:21], v4, v30
	v_cmp_ge_u32_e64 s[12:13], v5, v31
	s_waitcnt lgkmcnt(0)
	v_cndmask_b32_e64 v23, v1, v17, s[8:9]
	v_cndmask_b32_e64 v22, v0, v16, s[8:9]
	v_cndmask_b32_e64 v27, v11, v1, s[8:9]
	v_cndmask_b32_e64 v26, v10, v0, s[8:9]
	v_cmp_le_i64_e64 s[22:23], v[26:27], v[22:23]
	s_and_b64 s[20:21], s[20:21], s[22:23]
	s_or_b64 s[22:23], s[12:13], s[20:21]
	v_cndmask_b32_e64 v13, v5, v4, s[22:23]
	v_cndmask_b32_e64 v0, v31, v30, s[22:23]
	v_add_u32_e32 v14, 1, v13
	v_add_u32_e32 v0, -1, v0
	v_min_u32_e32 v0, v14, v0
	v_lshl_add_u32 v0, v0, 3, v20
	ds_read_b64 v[0:1], v0
	v_cndmask_b32_e64 v19, v4, v14, s[22:23]
	v_cndmask_b32_e64 v18, v14, v5, s[22:23]
	v_cmp_lt_u32_e64 s[20:21], v19, v30
	v_cmp_ge_u32_e64 s[12:13], v18, v31
	s_waitcnt lgkmcnt(0)
	v_cndmask_b32_e64 v33, v1, v23, s[22:23]
	v_cndmask_b32_e64 v32, v0, v22, s[22:23]
	v_cndmask_b32_e64 v37, v27, v1, s[22:23]
	v_cndmask_b32_e64 v36, v26, v0, s[22:23]
	;; [unrolled: 19-line block ×3, first 2 shown]
	v_cmp_le_i64_e64 s[28:29], v[50:51], v[48:49]
	s_and_b64 s[24:25], s[24:25], s[28:29]
	s_or_b64 s[12:13], s[12:13], s[24:25]
	v_cndmask_b32_e64 v18, v34, v29, s[12:13]
	v_cndmask_b32_e64 v4, v31, v30, s[12:13]
	v_add_u32_e32 v35, 1, v18
	v_add_u32_e32 v4, -1, v4
	v_min_u32_e32 v4, v35, v4
	v_lshl_add_u32 v0, v12, 3, v20
	v_lshl_add_u32 v12, v13, 3, v20
	;; [unrolled: 1-line block ×3, first 2 shown]
	ds_read_b64 v[0:1], v0 offset:16384
	ds_read_b64 v[14:15], v12 offset:16384
	ds_read_b64 v[12:13], v4
	v_lshl_add_u32 v18, v18, 3, v20
	ds_read_b64 v[18:19], v18 offset:16384
	v_cndmask_b32_e64 v65, v29, v35, s[12:13]
	v_cndmask_b32_e64 v64, v35, v34, s[12:13]
	s_waitcnt lgkmcnt(1)
	v_cndmask_b32_e64 v53, v13, v49, s[12:13]
	v_cndmask_b32_e64 v52, v12, v48, s[12:13]
	;; [unrolled: 1-line block ×4, first 2 shown]
	v_cmp_lt_u32_e64 s[28:29], v65, v30
	v_cmp_le_i64_e64 s[30:31], v[54:55], v[52:53]
	v_cmp_ge_u32_e64 s[24:25], v64, v31
	s_and_b64 s[28:29], s[28:29], s[30:31]
	s_or_b64 s[24:25], s[24:25], s[28:29]
	v_cndmask_b32_e64 v12, v64, v65, s[24:25]
	v_cndmask_b32_e64 v13, v31, v30, s[24:25]
	v_lshl_add_u32 v4, v28, 3, v20
	v_lshl_add_u32 v28, v12, 3, v20
	v_add_u32_e32 v66, 1, v12
	v_add_u32_e32 v12, -1, v13
	v_min_u32_e32 v12, v66, v12
	ds_read_b64 v[4:5], v4 offset:16384
	v_lshl_add_u32 v29, v12, 3, v20
	ds_read_b64 v[12:13], v28 offset:16384
	ds_read_b64 v[38:39], v29
	v_cndmask_b32_e64 v29, v17, v11, s[8:9]
	v_cndmask_b32_e64 v28, v16, v10, s[8:9]
	;; [unrolled: 1-line block ×4, first 2 shown]
	s_waitcnt lgkmcnt(0)
	v_cndmask_b32_e64 v11, v39, v53, s[24:25]
	v_cndmask_b32_e64 v10, v38, v52, s[24:25]
	;; [unrolled: 1-line block ×6, first 2 shown]
	v_cmp_lt_u32_e64 s[22:23], v66, v30
	v_cmp_le_i64_e64 s[28:29], v[26:27], v[10:11]
	v_cmp_ge_u32_e64 s[8:9], v67, v31
	s_and_b64 s[22:23], s[22:23], s[28:29]
	s_or_b64 s[8:9], s[8:9], s[22:23]
	v_cndmask_b32_e64 v16, v67, v66, s[8:9]
	v_cndmask_b32_e64 v17, v31, v30, s[8:9]
	v_lshl_add_u32 v22, v16, 3, v20
	v_add_u32_e32 v71, 1, v16
	v_add_u32_e32 v16, -1, v17
	v_min_u32_e32 v16, v71, v16
	v_lshl_add_u32 v16, v16, 3, v20
	ds_read_b64 v[22:23], v22 offset:16384
	ds_read_b64 v[16:17], v16
	v_cndmask_b32_e64 v39, v33, v37, s[20:21]
	v_cndmask_b32_e64 v38, v32, v36, s[20:21]
	;; [unrolled: 1-line block ×4, first 2 shown]
	s_waitcnt lgkmcnt(0)
	v_cndmask_b32_e64 v33, v17, v11, s[8:9]
	v_cndmask_b32_e64 v32, v16, v10, s[8:9]
	;; [unrolled: 1-line block ×4, first 2 shown]
	v_cmp_lt_u32_e64 s[20:21], v71, v30
	v_cmp_le_i64_e64 s[22:23], v[64:65], v[32:33]
	v_cndmask_b32_e64 v49, v49, v51, s[12:13]
	v_cndmask_b32_e64 v48, v48, v50, s[12:13]
	v_cmp_ge_u32_e64 s[12:13], v80, v31
	s_and_b64 s[20:21], s[20:21], s[22:23]
	s_or_b64 s[12:13], s[12:13], s[20:21]
	v_cndmask_b32_e64 v16, v80, v71, s[12:13]
	v_cndmask_b32_e64 v17, v31, v30, s[12:13]
	v_lshl_add_u32 v36, v16, 3, v20
	v_add_u32_e32 v81, 1, v16
	v_add_u32_e32 v16, -1, v17
	v_min_u32_e32 v16, v81, v16
	v_lshl_add_u32 v37, v16, 3, v20
	ds_read_b64 v[16:17], v36 offset:16384
	ds_read_b64 v[66:67], v37
	v_cndmask_b32_e64 v51, v53, v55, s[24:25]
	v_cndmask_b32_e64 v50, v52, v54, s[24:25]
	v_cndmask_b32_e64 v37, v11, v27, s[8:9]
	v_cndmask_b32_e64 v36, v10, v26, s[8:9]
	s_waitcnt lgkmcnt(0)
	v_cndmask_b32_e64 v11, v67, v33, s[12:13]
	v_cndmask_b32_e64 v10, v66, v32, s[12:13]
	;; [unrolled: 1-line block ×6, first 2 shown]
	v_cmp_lt_u32_e64 s[20:21], v27, v30
	v_cmp_le_i64_e64 s[22:23], v[54:55], v[10:11]
	v_cmp_ge_u32_e64 s[8:9], v26, v31
	s_and_b64 s[20:21], s[20:21], s[22:23]
	s_or_b64 s[8:9], s[8:9], s[20:21]
	v_cndmask_b32_e64 v26, v26, v27, s[8:9]
	v_lshl_add_u32 v26, v26, 3, v20
	ds_read_b64 v[26:27], v26 offset:16384
	v_cndmask_b32_e64 v53, v33, v65, s[12:13]
	v_cndmask_b32_e64 v52, v32, v64, s[12:13]
	;; [unrolled: 1-line block ×4, first 2 shown]
.LBB819_204:
	s_or_b64 exec, exec, s[36:37]
	v_add_u32_e32 v10, 0x4000, v25
	; wave barrier
	ds_write2_b64 v25, v[28:29], v[34:35] offset1:1
	ds_write2_b64 v10, v[0:1], v[14:15] offset1:1
	ds_write2_b64 v25, v[38:39], v[48:49] offset0:2 offset1:3
	ds_write2_b64 v24, v[4:5], v[18:19] offset0:2 offset1:3
	;; [unrolled: 1-line block ×5, first 2 shown]
	s_waitcnt lgkmcnt(7)
	ds_write2_b64 v24, v[16:17], v[26:27] offset0:6 offset1:7
	v_and_b32_e32 v10, 0x3c0, v69
	v_or_b32_e32 v11, 32, v10
	v_min_u32_e32 v30, v21, v11
	v_add_u32_e32 v11, 32, v30
	v_min_u32_e32 v31, v21, v11
	v_and_b32_e32 v11, 56, v69
	v_min_u32_e32 v11, v21, v11
	v_sub_u32_e32 v64, v30, v10
	v_sub_u32_e32 v55, v31, v30
	v_sub_u32_e64 v55, v11, v55 clamp
	v_min_u32_e32 v64, v11, v64
	v_lshl_add_u32 v54, v10, 3, v20
	v_cmp_lt_u32_e64 s[8:9], v55, v64
	; wave barrier
	s_and_saveexec_b64 s[12:13], s[8:9]
	s_cbranch_execz .LBB819_208
; %bb.205:
	v_lshlrev_b32_e32 v65, 3, v30
	v_lshlrev_b32_e32 v66, 3, v11
	v_add3_u32 v65, v20, v65, v66
	s_mov_b64 s[20:21], 0
.LBB819_206:                            ; =>This Inner Loop Header: Depth=1
	v_add_u32_e32 v66, v64, v55
	v_lshrrev_b32_e32 v71, 1, v66
	v_not_b32_e32 v66, v71
	v_lshl_add_u32 v67, v71, 3, v54
	v_lshl_add_u32 v80, v66, 3, v65
	ds_read_b64 v[66:67], v67
	ds_read_b64 v[80:81], v80
	v_add_u32_e32 v82, 1, v71
	s_waitcnt lgkmcnt(0)
	v_cmp_gt_i64_e64 s[8:9], v[66:67], v[80:81]
	v_cndmask_b32_e64 v64, v64, v71, s[8:9]
	v_cndmask_b32_e64 v55, v82, v55, s[8:9]
	v_cmp_ge_u32_e64 s[8:9], v55, v64
	s_or_b64 s[20:21], s[8:9], s[20:21]
	s_andn2_b64 exec, exec, s[20:21]
	s_cbranch_execnz .LBB819_206
; %bb.207:
	s_or_b64 exec, exec, s[20:21]
.LBB819_208:
	s_or_b64 exec, exec, s[12:13]
	v_add_u32_e32 v64, v55, v10
	v_add_u32_e32 v10, v30, v11
	v_sub_u32_e32 v65, v10, v55
	v_cmp_le_u32_e64 s[8:9], v64, v30
	v_cmp_le_u32_e64 s[12:13], v65, v31
	s_or_b64 s[8:9], s[8:9], s[12:13]
	s_and_saveexec_b64 s[36:37], s[8:9]
	s_cbranch_execz .LBB819_214
; %bb.209:
	v_cmp_lt_u32_e64 s[8:9], v64, v30
                                        ; implicit-def: $vgpr10_vgpr11
	s_and_saveexec_b64 s[12:13], s[8:9]
	s_cbranch_execz .LBB819_211
; %bb.210:
	v_lshl_add_u32 v0, v55, 3, v54
	ds_read_b64 v[10:11], v0
.LBB819_211:
	s_or_b64 exec, exec, s[12:13]
	v_cmp_ge_u32_e64 s[20:21], v65, v31
	v_cmp_lt_u32_e64 s[12:13], v65, v31
                                        ; implicit-def: $vgpr16_vgpr17
	s_and_saveexec_b64 s[22:23], s[12:13]
	s_cbranch_execz .LBB819_213
; %bb.212:
	v_lshl_add_u32 v0, v65, 3, v20
	ds_read_b64 v[16:17], v0
.LBB819_213:
	s_or_b64 exec, exec, s[22:23]
	s_waitcnt lgkmcnt(0)
	v_cmp_le_i64_e64 s[12:13], v[10:11], v[16:17]
	s_and_b64 s[8:9], s[8:9], s[12:13]
	s_or_b64 s[8:9], s[20:21], s[8:9]
	v_cndmask_b32_e64 v12, v65, v64, s[8:9]
	v_cndmask_b32_e64 v0, v31, v30, s[8:9]
	v_add_u32_e32 v4, 1, v12
	v_add_u32_e32 v0, -1, v0
	v_min_u32_e32 v0, v4, v0
	v_lshl_add_u32 v0, v0, 3, v20
	ds_read_b64 v[0:1], v0
	v_cndmask_b32_e64 v5, v4, v65, s[8:9]
	v_cndmask_b32_e64 v4, v64, v4, s[8:9]
	v_cmp_lt_u32_e64 s[20:21], v4, v30
	v_cmp_ge_u32_e64 s[12:13], v5, v31
	s_waitcnt lgkmcnt(0)
	v_cndmask_b32_e64 v23, v1, v17, s[8:9]
	v_cndmask_b32_e64 v22, v0, v16, s[8:9]
	v_cndmask_b32_e64 v27, v11, v1, s[8:9]
	v_cndmask_b32_e64 v26, v10, v0, s[8:9]
	v_cmp_le_i64_e64 s[22:23], v[26:27], v[22:23]
	s_and_b64 s[20:21], s[20:21], s[22:23]
	s_or_b64 s[22:23], s[12:13], s[20:21]
	v_cndmask_b32_e64 v13, v5, v4, s[22:23]
	v_cndmask_b32_e64 v0, v31, v30, s[22:23]
	v_add_u32_e32 v14, 1, v13
	v_add_u32_e32 v0, -1, v0
	v_min_u32_e32 v0, v14, v0
	v_lshl_add_u32 v0, v0, 3, v20
	ds_read_b64 v[0:1], v0
	v_cndmask_b32_e64 v19, v4, v14, s[22:23]
	v_cndmask_b32_e64 v18, v14, v5, s[22:23]
	v_cmp_lt_u32_e64 s[20:21], v19, v30
	v_cmp_ge_u32_e64 s[12:13], v18, v31
	s_waitcnt lgkmcnt(0)
	v_cndmask_b32_e64 v33, v1, v23, s[22:23]
	v_cndmask_b32_e64 v32, v0, v22, s[22:23]
	v_cndmask_b32_e64 v37, v27, v1, s[22:23]
	v_cndmask_b32_e64 v36, v26, v0, s[22:23]
	;; [unrolled: 19-line block ×3, first 2 shown]
	v_cmp_le_i64_e64 s[28:29], v[50:51], v[48:49]
	s_and_b64 s[24:25], s[24:25], s[28:29]
	s_or_b64 s[12:13], s[12:13], s[24:25]
	v_cndmask_b32_e64 v18, v34, v29, s[12:13]
	v_cndmask_b32_e64 v4, v31, v30, s[12:13]
	v_add_u32_e32 v35, 1, v18
	v_add_u32_e32 v4, -1, v4
	v_min_u32_e32 v4, v35, v4
	v_lshl_add_u32 v0, v12, 3, v20
	v_lshl_add_u32 v12, v13, 3, v20
	;; [unrolled: 1-line block ×3, first 2 shown]
	ds_read_b64 v[0:1], v0 offset:16384
	ds_read_b64 v[14:15], v12 offset:16384
	ds_read_b64 v[12:13], v4
	v_lshl_add_u32 v18, v18, 3, v20
	ds_read_b64 v[18:19], v18 offset:16384
	v_cndmask_b32_e64 v65, v29, v35, s[12:13]
	v_cndmask_b32_e64 v64, v35, v34, s[12:13]
	s_waitcnt lgkmcnt(1)
	v_cndmask_b32_e64 v53, v13, v49, s[12:13]
	v_cndmask_b32_e64 v52, v12, v48, s[12:13]
	;; [unrolled: 1-line block ×4, first 2 shown]
	v_cmp_lt_u32_e64 s[28:29], v65, v30
	v_cmp_le_i64_e64 s[30:31], v[54:55], v[52:53]
	v_cmp_ge_u32_e64 s[24:25], v64, v31
	s_and_b64 s[28:29], s[28:29], s[30:31]
	s_or_b64 s[24:25], s[24:25], s[28:29]
	v_cndmask_b32_e64 v12, v64, v65, s[24:25]
	v_cndmask_b32_e64 v13, v31, v30, s[24:25]
	v_lshl_add_u32 v4, v28, 3, v20
	v_lshl_add_u32 v28, v12, 3, v20
	v_add_u32_e32 v66, 1, v12
	v_add_u32_e32 v12, -1, v13
	v_min_u32_e32 v12, v66, v12
	ds_read_b64 v[4:5], v4 offset:16384
	v_lshl_add_u32 v29, v12, 3, v20
	ds_read_b64 v[12:13], v28 offset:16384
	ds_read_b64 v[38:39], v29
	v_cndmask_b32_e64 v29, v17, v11, s[8:9]
	v_cndmask_b32_e64 v28, v16, v10, s[8:9]
	;; [unrolled: 1-line block ×4, first 2 shown]
	s_waitcnt lgkmcnt(0)
	v_cndmask_b32_e64 v11, v39, v53, s[24:25]
	v_cndmask_b32_e64 v10, v38, v52, s[24:25]
	;; [unrolled: 1-line block ×6, first 2 shown]
	v_cmp_lt_u32_e64 s[22:23], v66, v30
	v_cmp_le_i64_e64 s[28:29], v[26:27], v[10:11]
	v_cmp_ge_u32_e64 s[8:9], v67, v31
	s_and_b64 s[22:23], s[22:23], s[28:29]
	s_or_b64 s[8:9], s[8:9], s[22:23]
	v_cndmask_b32_e64 v16, v67, v66, s[8:9]
	v_cndmask_b32_e64 v17, v31, v30, s[8:9]
	v_lshl_add_u32 v22, v16, 3, v20
	v_add_u32_e32 v71, 1, v16
	v_add_u32_e32 v16, -1, v17
	v_min_u32_e32 v16, v71, v16
	v_lshl_add_u32 v16, v16, 3, v20
	ds_read_b64 v[22:23], v22 offset:16384
	ds_read_b64 v[16:17], v16
	v_cndmask_b32_e64 v39, v33, v37, s[20:21]
	v_cndmask_b32_e64 v38, v32, v36, s[20:21]
	v_cndmask_b32_e64 v80, v71, v67, s[8:9]
	v_cndmask_b32_e64 v71, v66, v71, s[8:9]
	s_waitcnt lgkmcnt(0)
	v_cndmask_b32_e64 v33, v17, v11, s[8:9]
	v_cndmask_b32_e64 v32, v16, v10, s[8:9]
	;; [unrolled: 1-line block ×4, first 2 shown]
	v_cmp_lt_u32_e64 s[20:21], v71, v30
	v_cmp_le_i64_e64 s[22:23], v[64:65], v[32:33]
	v_cndmask_b32_e64 v49, v49, v51, s[12:13]
	v_cndmask_b32_e64 v48, v48, v50, s[12:13]
	v_cmp_ge_u32_e64 s[12:13], v80, v31
	s_and_b64 s[20:21], s[20:21], s[22:23]
	s_or_b64 s[12:13], s[12:13], s[20:21]
	v_cndmask_b32_e64 v16, v80, v71, s[12:13]
	v_cndmask_b32_e64 v17, v31, v30, s[12:13]
	v_lshl_add_u32 v36, v16, 3, v20
	v_add_u32_e32 v81, 1, v16
	v_add_u32_e32 v16, -1, v17
	v_min_u32_e32 v16, v81, v16
	v_lshl_add_u32 v37, v16, 3, v20
	ds_read_b64 v[16:17], v36 offset:16384
	ds_read_b64 v[66:67], v37
	v_cndmask_b32_e64 v51, v53, v55, s[24:25]
	v_cndmask_b32_e64 v50, v52, v54, s[24:25]
	;; [unrolled: 1-line block ×4, first 2 shown]
	s_waitcnt lgkmcnt(0)
	v_cndmask_b32_e64 v11, v67, v33, s[12:13]
	v_cndmask_b32_e64 v10, v66, v32, s[12:13]
	;; [unrolled: 1-line block ×6, first 2 shown]
	v_cmp_lt_u32_e64 s[20:21], v27, v30
	v_cmp_le_i64_e64 s[22:23], v[54:55], v[10:11]
	v_cmp_ge_u32_e64 s[8:9], v26, v31
	s_and_b64 s[20:21], s[20:21], s[22:23]
	s_or_b64 s[8:9], s[8:9], s[20:21]
	v_cndmask_b32_e64 v26, v26, v27, s[8:9]
	v_lshl_add_u32 v26, v26, 3, v20
	ds_read_b64 v[26:27], v26 offset:16384
	v_cndmask_b32_e64 v53, v33, v65, s[12:13]
	v_cndmask_b32_e64 v52, v32, v64, s[12:13]
	;; [unrolled: 1-line block ×4, first 2 shown]
.LBB819_214:
	s_or_b64 exec, exec, s[36:37]
	v_add_u32_e32 v10, 0x4000, v25
	; wave barrier
	ds_write2_b64 v25, v[28:29], v[34:35] offset1:1
	ds_write2_b64 v10, v[0:1], v[14:15] offset1:1
	ds_write2_b64 v25, v[38:39], v[48:49] offset0:2 offset1:3
	ds_write2_b64 v24, v[4:5], v[18:19] offset0:2 offset1:3
	;; [unrolled: 1-line block ×5, first 2 shown]
	s_waitcnt lgkmcnt(7)
	ds_write2_b64 v24, v[16:17], v[26:27] offset0:6 offset1:7
	v_and_b32_e32 v10, 0x380, v69
	v_or_b32_e32 v11, 64, v10
	v_min_u32_e32 v24, v21, v11
	v_add_u32_e32 v11, 64, v24
	v_min_u32_e32 v25, v21, v11
	v_min_u32_e32 v11, v21, v70
	v_sub_u32_e32 v31, v24, v10
	v_sub_u32_e32 v30, v25, v24
	v_sub_u32_e64 v30, v11, v30 clamp
	v_min_u32_e32 v31, v11, v31
	v_lshl_add_u32 v21, v10, 3, v20
	v_cmp_lt_u32_e64 s[8:9], v30, v31
	; wave barrier
	s_and_saveexec_b64 s[12:13], s[8:9]
	s_cbranch_execz .LBB819_218
; %bb.215:
	v_lshlrev_b32_e32 v54, 3, v24
	v_lshlrev_b32_e32 v55, 3, v11
	v_add3_u32 v54, v20, v54, v55
	s_mov_b64 s[20:21], 0
.LBB819_216:                            ; =>This Inner Loop Header: Depth=1
	v_add_u32_e32 v55, v31, v30
	v_lshrrev_b32_e32 v55, 1, v55
	v_not_b32_e32 v64, v55
	v_lshl_add_u32 v65, v55, 3, v21
	v_lshl_add_u32 v66, v64, 3, v54
	ds_read_b64 v[64:65], v65
	ds_read_b64 v[66:67], v66
	v_add_u32_e32 v69, 1, v55
	s_waitcnt lgkmcnt(0)
	v_cmp_gt_i64_e64 s[8:9], v[64:65], v[66:67]
	v_cndmask_b32_e64 v31, v31, v55, s[8:9]
	v_cndmask_b32_e64 v30, v69, v30, s[8:9]
	v_cmp_ge_u32_e64 s[8:9], v30, v31
	s_or_b64 s[20:21], s[8:9], s[20:21]
	s_andn2_b64 exec, exec, s[20:21]
	s_cbranch_execnz .LBB819_216
; %bb.217:
	s_or_b64 exec, exec, s[20:21]
.LBB819_218:
	s_or_b64 exec, exec, s[12:13]
	v_add_u32_e32 v31, v30, v10
	v_add_u32_e32 v10, v24, v11
	v_sub_u32_e32 v54, v10, v30
	v_cmp_le_u32_e64 s[8:9], v31, v24
	v_cmp_le_u32_e64 s[12:13], v54, v25
	s_or_b64 s[8:9], s[8:9], s[12:13]
	s_and_saveexec_b64 s[36:37], s[8:9]
	s_cbranch_execz .LBB819_224
; %bb.219:
	v_cmp_lt_u32_e64 s[8:9], v31, v24
                                        ; implicit-def: $vgpr10_vgpr11
	s_and_saveexec_b64 s[12:13], s[8:9]
	s_cbranch_execz .LBB819_221
; %bb.220:
	v_lshl_add_u32 v0, v30, 3, v21
	ds_read_b64 v[10:11], v0
.LBB819_221:
	s_or_b64 exec, exec, s[12:13]
	v_cmp_ge_u32_e64 s[20:21], v54, v25
	v_cmp_lt_u32_e64 s[12:13], v54, v25
                                        ; implicit-def: $vgpr16_vgpr17
	s_and_saveexec_b64 s[22:23], s[12:13]
	s_cbranch_execz .LBB819_223
; %bb.222:
	v_lshl_add_u32 v0, v54, 3, v20
	ds_read_b64 v[16:17], v0
.LBB819_223:
	s_or_b64 exec, exec, s[22:23]
	s_waitcnt lgkmcnt(0)
	v_cmp_le_i64_e64 s[12:13], v[10:11], v[16:17]
	s_and_b64 s[8:9], s[8:9], s[12:13]
	s_or_b64 s[8:9], s[20:21], s[8:9]
	v_cndmask_b32_e64 v12, v54, v31, s[8:9]
	v_cndmask_b32_e64 v0, v25, v24, s[8:9]
	v_add_u32_e32 v4, 1, v12
	v_add_u32_e32 v0, -1, v0
	v_min_u32_e32 v0, v4, v0
	v_lshl_add_u32 v0, v0, 3, v20
	ds_read_b64 v[0:1], v0
	v_cndmask_b32_e64 v5, v4, v54, s[8:9]
	v_cndmask_b32_e64 v4, v31, v4, s[8:9]
	v_cmp_lt_u32_e64 s[20:21], v4, v24
	v_cmp_ge_u32_e64 s[12:13], v5, v25
	s_waitcnt lgkmcnt(0)
	v_cndmask_b32_e64 v23, v1, v17, s[8:9]
	v_cndmask_b32_e64 v22, v0, v16, s[8:9]
	v_cndmask_b32_e64 v27, v11, v1, s[8:9]
	v_cndmask_b32_e64 v26, v10, v0, s[8:9]
	v_cmp_le_i64_e64 s[22:23], v[26:27], v[22:23]
	s_and_b64 s[20:21], s[20:21], s[22:23]
	s_or_b64 s[22:23], s[12:13], s[20:21]
	v_cndmask_b32_e64 v13, v5, v4, s[22:23]
	v_cndmask_b32_e64 v0, v25, v24, s[22:23]
	v_add_u32_e32 v14, 1, v13
	v_add_u32_e32 v0, -1, v0
	v_min_u32_e32 v0, v14, v0
	v_lshl_add_u32 v0, v0, 3, v20
	ds_read_b64 v[0:1], v0
	v_cndmask_b32_e64 v19, v4, v14, s[22:23]
	v_cndmask_b32_e64 v18, v14, v5, s[22:23]
	v_cmp_lt_u32_e64 s[20:21], v19, v24
	v_cmp_ge_u32_e64 s[12:13], v18, v25
	s_waitcnt lgkmcnt(0)
	v_cndmask_b32_e64 v31, v1, v23, s[22:23]
	v_cndmask_b32_e64 v30, v0, v22, s[22:23]
	v_cndmask_b32_e64 v33, v27, v1, s[22:23]
	v_cndmask_b32_e64 v32, v26, v0, s[22:23]
	;; [unrolled: 19-line block ×3, first 2 shown]
	v_cmp_le_i64_e64 s[28:29], v[48:49], v[36:37]
	s_and_b64 s[24:25], s[24:25], s[28:29]
	s_or_b64 s[12:13], s[12:13], s[24:25]
	v_cndmask_b32_e64 v18, v29, v28, s[12:13]
	v_cndmask_b32_e64 v4, v25, v24, s[12:13]
	v_add_u32_e32 v34, 1, v18
	v_add_u32_e32 v4, -1, v4
	v_min_u32_e32 v4, v34, v4
	v_lshl_add_u32 v0, v12, 3, v20
	v_lshl_add_u32 v12, v13, 3, v20
	;; [unrolled: 1-line block ×3, first 2 shown]
	ds_read_b64 v[0:1], v0 offset:16384
	ds_read_b64 v[14:15], v12 offset:16384
	ds_read_b64 v[12:13], v4
	v_lshl_add_u32 v18, v18, 3, v20
	ds_read_b64 v[18:19], v18 offset:16384
	v_cndmask_b32_e64 v54, v28, v34, s[12:13]
	v_lshl_add_u32 v4, v21, 3, v20
	s_waitcnt lgkmcnt(1)
	v_cndmask_b32_e64 v51, v13, v37, s[12:13]
	v_cndmask_b32_e64 v50, v12, v36, s[12:13]
	;; [unrolled: 1-line block ×5, first 2 shown]
	v_cmp_lt_u32_e64 s[28:29], v54, v24
	v_cmp_le_i64_e64 s[30:31], v[52:53], v[50:51]
	v_cmp_ge_u32_e64 s[24:25], v21, v25
	s_and_b64 s[28:29], s[28:29], s[30:31]
	s_or_b64 s[24:25], s[24:25], s[28:29]
	v_cndmask_b32_e64 v12, v21, v54, s[24:25]
	v_cndmask_b32_e64 v13, v25, v24, s[24:25]
	v_lshl_add_u32 v28, v12, 3, v20
	v_add_u32_e32 v55, 1, v12
	v_add_u32_e32 v12, -1, v13
	v_min_u32_e32 v12, v55, v12
	ds_read_b64 v[4:5], v4 offset:16384
	v_lshl_add_u32 v29, v12, 3, v20
	ds_read_b64 v[12:13], v28 offset:16384
	ds_read_b64 v[38:39], v29
	v_cndmask_b32_e64 v29, v17, v11, s[8:9]
	v_cndmask_b32_e64 v28, v16, v10, s[8:9]
	;; [unrolled: 1-line block ×4, first 2 shown]
	s_waitcnt lgkmcnt(0)
	v_cndmask_b32_e64 v11, v39, v51, s[24:25]
	v_cndmask_b32_e64 v10, v38, v50, s[24:25]
	;; [unrolled: 1-line block ×6, first 2 shown]
	v_cmp_lt_u32_e64 s[22:23], v54, v24
	v_cmp_le_i64_e64 s[28:29], v[26:27], v[10:11]
	v_cmp_ge_u32_e64 s[8:9], v21, v25
	s_and_b64 s[22:23], s[22:23], s[28:29]
	s_or_b64 s[8:9], s[8:9], s[22:23]
	v_cndmask_b32_e64 v16, v21, v54, s[8:9]
	v_cndmask_b32_e64 v17, v25, v24, s[8:9]
	v_lshl_add_u32 v22, v16, 3, v20
	v_add_u32_e32 v55, 1, v16
	v_add_u32_e32 v16, -1, v17
	v_min_u32_e32 v16, v55, v16
	v_lshl_add_u32 v16, v16, 3, v20
	ds_read_b64 v[22:23], v22 offset:16384
	ds_read_b64 v[16:17], v16
	v_cndmask_b32_e64 v39, v31, v33, s[20:21]
	v_cndmask_b32_e64 v38, v30, v32, s[20:21]
	;; [unrolled: 1-line block ×4, first 2 shown]
	s_waitcnt lgkmcnt(0)
	v_cndmask_b32_e64 v31, v17, v11, s[8:9]
	v_cndmask_b32_e64 v30, v16, v10, s[8:9]
	;; [unrolled: 1-line block ×4, first 2 shown]
	v_cmp_lt_u32_e64 s[20:21], v64, v24
	v_cmp_le_i64_e64 s[22:23], v[32:33], v[30:31]
	v_cndmask_b32_e64 v49, v37, v49, s[12:13]
	v_cndmask_b32_e64 v48, v36, v48, s[12:13]
	v_cmp_ge_u32_e64 s[12:13], v21, v25
	s_and_b64 s[20:21], s[20:21], s[22:23]
	s_or_b64 s[12:13], s[12:13], s[20:21]
	v_cndmask_b32_e64 v16, v21, v64, s[12:13]
	v_cndmask_b32_e64 v17, v25, v24, s[12:13]
	v_lshl_add_u32 v36, v16, 3, v20
	v_add_u32_e32 v65, 1, v16
	v_add_u32_e32 v16, -1, v17
	v_min_u32_e32 v16, v65, v16
	v_lshl_add_u32 v37, v16, 3, v20
	ds_read_b64 v[16:17], v36 offset:16384
	ds_read_b64 v[54:55], v37
	v_cndmask_b32_e64 v37, v11, v27, s[8:9]
	v_cndmask_b32_e64 v36, v10, v26, s[8:9]
	;; [unrolled: 1-line block ×4, first 2 shown]
	s_waitcnt lgkmcnt(0)
	v_cndmask_b32_e64 v11, v55, v31, s[12:13]
	v_cndmask_b32_e64 v10, v54, v30, s[12:13]
	;; [unrolled: 1-line block ×4, first 2 shown]
	v_cmp_lt_u32_e64 s[20:21], v26, v24
	v_cmp_le_i64_e64 s[22:23], v[54:55], v[10:11]
	v_cmp_ge_u32_e64 s[8:9], v21, v25
	s_and_b64 s[20:21], s[20:21], s[22:23]
	s_or_b64 s[8:9], s[8:9], s[20:21]
	v_cndmask_b32_e64 v21, v21, v26, s[8:9]
	v_lshl_add_u32 v20, v21, 3, v20
	ds_read_b64 v[26:27], v20 offset:16384
	v_cndmask_b32_e64 v51, v51, v53, s[24:25]
	v_cndmask_b32_e64 v50, v50, v52, s[24:25]
	;; [unrolled: 1-line block ×6, first 2 shown]
.LBB819_224:
	s_or_b64 exec, exec, s[36:37]
	; wave barrier
	s_waitcnt lgkmcnt(0)
	s_barrier
.LBB819_225:
	s_or_b64 exec, exec, s[34:35]
	v_add_co_u32_e64 v2, s[8:9], v2, v8
	v_addc_co_u32_e64 v3, s[8:9], v3, v9, s[8:9]
	v_add_co_u32_e64 v2, s[8:9], v2, v68
	v_addc_co_u32_e64 v3, s[8:9], 0, v3, s[8:9]
	s_waitcnt lgkmcnt(0)
	; wave barrier
	s_and_saveexec_b64 s[8:9], vcc
	s_cbranch_execnz .LBB819_251
; %bb.226:
	s_or_b64 exec, exec, s[8:9]
	s_and_saveexec_b64 s[8:9], s[4:5]
	s_cbranch_execnz .LBB819_252
.LBB819_227:
	s_or_b64 exec, exec, s[8:9]
	s_and_saveexec_b64 s[8:9], s[6:7]
	s_cbranch_execnz .LBB819_253
.LBB819_228:
	s_or_b64 exec, exec, s[8:9]
	s_and_saveexec_b64 s[8:9], s[18:19]
	s_cbranch_execnz .LBB819_254
.LBB819_229:
	s_or_b64 exec, exec, s[8:9]
	s_and_saveexec_b64 s[8:9], s[10:11]
	s_cbranch_execnz .LBB819_255
.LBB819_230:
	s_or_b64 exec, exec, s[8:9]
	s_and_saveexec_b64 s[8:9], s[26:27]
	s_cbranch_execnz .LBB819_256
.LBB819_231:
	s_or_b64 exec, exec, s[8:9]
	s_and_saveexec_b64 s[8:9], s[14:15]
	s_cbranch_execnz .LBB819_257
.LBB819_232:
	s_or_b64 exec, exec, s[8:9]
	s_and_saveexec_b64 s[8:9], s[16:17]
	s_cbranch_execz .LBB819_234
.LBB819_233:
	s_waitcnt vmcnt(0) lgkmcnt(0)
	flat_store_dwordx2 v[2:3], v[32:33] offset:56
.LBB819_234:
	s_or_b64 exec, exec, s[8:9]
	v_add_co_u32_e64 v2, s[8:9], v6, v8
	v_addc_co_u32_e64 v3, s[8:9], v7, v9, s[8:9]
	v_add_co_u32_e64 v2, s[8:9], v2, v68
	v_addc_co_u32_e64 v3, s[8:9], 0, v3, s[8:9]
	; wave barrier
	s_and_saveexec_b64 s[8:9], vcc
	s_cbranch_execnz .LBB819_258
; %bb.235:
	s_or_b64 exec, exec, s[8:9]
	s_and_saveexec_b64 s[8:9], s[4:5]
	s_cbranch_execnz .LBB819_259
.LBB819_236:
	s_or_b64 exec, exec, s[8:9]
	s_and_saveexec_b64 s[4:5], s[6:7]
	s_cbranch_execnz .LBB819_260
.LBB819_237:
	s_or_b64 exec, exec, s[4:5]
	s_and_saveexec_b64 s[4:5], s[18:19]
	s_cbranch_execnz .LBB819_261
.LBB819_238:
	s_or_b64 exec, exec, s[4:5]
	s_and_saveexec_b64 s[4:5], s[10:11]
	s_cbranch_execnz .LBB819_262
.LBB819_239:
	s_or_b64 exec, exec, s[4:5]
	s_and_saveexec_b64 s[4:5], s[26:27]
	s_cbranch_execnz .LBB819_263
.LBB819_240:
	s_or_b64 exec, exec, s[4:5]
	s_and_saveexec_b64 s[4:5], s[14:15]
	s_cbranch_execnz .LBB819_264
.LBB819_241:
	s_or_b64 exec, exec, s[4:5]
	s_and_saveexec_b64 s[4:5], s[16:17]
	s_cbranch_execz .LBB819_243
.LBB819_242:
	s_waitcnt vmcnt(0) lgkmcnt(0)
	flat_store_dwordx2 v[2:3], v[26:27] offset:56
.LBB819_243:
	s_or_b64 exec, exec, s[4:5]
	v_readlane_b32 s30, v40, 8
	v_readlane_b32 s31, v40, 9
	;; [unrolled: 1-line block ×10, first 2 shown]
	s_or_saveexec_b64 s[4:5], -1
	buffer_load_dword v40, off, s[0:3], s32 ; 4-byte Folded Reload
	s_mov_b64 exec, s[4:5]
	s_waitcnt vmcnt(0) lgkmcnt(0)
	s_setpc_b64 s[30:31]
.LBB819_244:
	flat_load_dwordx2 v[0:1], v[54:55]
	s_or_b64 exec, exec, s[20:21]
	s_and_saveexec_b64 s[20:21], s[4:5]
                                        ; implicit-def: $vgpr12_vgpr13_vgpr14_vgpr15
	s_cbranch_execz .LBB819_18
.LBB819_245:
	flat_load_dwordx2 v[14:15], v[54:55] offset:8
	s_or_b64 exec, exec, s[20:21]
                                        ; implicit-def: $vgpr4_vgpr5
	s_and_saveexec_b64 s[20:21], s[6:7]
	s_cbranch_execz .LBB819_19
.LBB819_246:
	flat_load_dwordx2 v[4:5], v[54:55] offset:16
	s_or_b64 exec, exec, s[20:21]
	s_and_saveexec_b64 s[20:21], s[18:19]
                                        ; implicit-def: $vgpr16_vgpr17_vgpr18_vgpr19
	s_cbranch_execz .LBB819_20
.LBB819_247:
	flat_load_dwordx2 v[18:19], v[54:55] offset:24
	s_or_b64 exec, exec, s[20:21]
                                        ; implicit-def: $vgpr12_vgpr13
	s_and_saveexec_b64 s[20:21], s[10:11]
	s_cbranch_execz .LBB819_21
.LBB819_248:
	flat_load_dwordx2 v[12:13], v[54:55] offset:32
	s_or_b64 exec, exec, s[20:21]
	s_and_saveexec_b64 s[20:21], s[26:27]
                                        ; implicit-def: $vgpr20_vgpr21_vgpr22_vgpr23
	s_cbranch_execz .LBB819_22
.LBB819_249:
	flat_load_dwordx2 v[22:23], v[54:55] offset:40
	s_or_b64 exec, exec, s[20:21]
                                        ; implicit-def: $vgpr16_vgpr17
	s_and_saveexec_b64 s[20:21], s[14:15]
	s_cbranch_execz .LBB819_23
.LBB819_250:
	flat_load_dwordx2 v[16:17], v[54:55] offset:48
	s_or_b64 exec, exec, s[20:21]
	s_and_saveexec_b64 s[20:21], s[16:17]
                                        ; implicit-def: $vgpr24_vgpr25_vgpr26_vgpr27
	s_cbranch_execnz .LBB819_24
	s_branch .LBB819_25
.LBB819_251:
	s_waitcnt vmcnt(0) lgkmcnt(0)
	flat_store_dwordx2 v[2:3], v[28:29]
	s_or_b64 exec, exec, s[8:9]
	s_and_saveexec_b64 s[8:9], s[4:5]
	s_cbranch_execz .LBB819_227
.LBB819_252:
	s_waitcnt vmcnt(0) lgkmcnt(0)
	flat_store_dwordx2 v[2:3], v[34:35] offset:8
	s_or_b64 exec, exec, s[8:9]
	s_and_saveexec_b64 s[8:9], s[6:7]
	s_cbranch_execz .LBB819_228
.LBB819_253:
	s_waitcnt vmcnt(0) lgkmcnt(0)
	flat_store_dwordx2 v[2:3], v[38:39] offset:16
	s_or_b64 exec, exec, s[8:9]
	s_and_saveexec_b64 s[8:9], s[18:19]
	s_cbranch_execz .LBB819_229
.LBB819_254:
	s_waitcnt vmcnt(0) lgkmcnt(0)
	flat_store_dwordx2 v[2:3], v[48:49] offset:24
	s_or_b64 exec, exec, s[8:9]
	s_and_saveexec_b64 s[8:9], s[10:11]
	s_cbranch_execz .LBB819_230
.LBB819_255:
	s_waitcnt vmcnt(0) lgkmcnt(0)
	flat_store_dwordx2 v[2:3], v[50:51] offset:32
	s_or_b64 exec, exec, s[8:9]
	s_and_saveexec_b64 s[8:9], s[26:27]
	s_cbranch_execz .LBB819_231
.LBB819_256:
	s_waitcnt vmcnt(0) lgkmcnt(0)
	flat_store_dwordx2 v[2:3], v[36:37] offset:40
	s_or_b64 exec, exec, s[8:9]
	s_and_saveexec_b64 s[8:9], s[14:15]
	s_cbranch_execz .LBB819_232
.LBB819_257:
	s_waitcnt vmcnt(0) lgkmcnt(0)
	flat_store_dwordx2 v[2:3], v[52:53] offset:48
	s_or_b64 exec, exec, s[8:9]
	s_and_saveexec_b64 s[8:9], s[16:17]
	s_cbranch_execnz .LBB819_233
	s_branch .LBB819_234
.LBB819_258:
	s_waitcnt vmcnt(0) lgkmcnt(0)
	flat_store_dwordx2 v[2:3], v[0:1]
	s_or_b64 exec, exec, s[8:9]
	s_and_saveexec_b64 s[8:9], s[4:5]
	s_cbranch_execz .LBB819_236
.LBB819_259:
	s_waitcnt vmcnt(0) lgkmcnt(0)
	flat_store_dwordx2 v[2:3], v[14:15] offset:8
	s_or_b64 exec, exec, s[8:9]
	s_and_saveexec_b64 s[4:5], s[6:7]
	s_cbranch_execz .LBB819_237
.LBB819_260:
	s_waitcnt vmcnt(0) lgkmcnt(0)
	flat_store_dwordx2 v[2:3], v[4:5] offset:16
	s_or_b64 exec, exec, s[4:5]
	s_and_saveexec_b64 s[4:5], s[18:19]
	s_cbranch_execz .LBB819_238
.LBB819_261:
	s_waitcnt vmcnt(0) lgkmcnt(0)
	flat_store_dwordx2 v[2:3], v[18:19] offset:24
	s_or_b64 exec, exec, s[4:5]
	s_and_saveexec_b64 s[4:5], s[10:11]
	s_cbranch_execz .LBB819_239
.LBB819_262:
	s_waitcnt vmcnt(0) lgkmcnt(0)
	flat_store_dwordx2 v[2:3], v[12:13] offset:32
	s_or_b64 exec, exec, s[4:5]
	s_and_saveexec_b64 s[4:5], s[26:27]
	s_cbranch_execz .LBB819_240
.LBB819_263:
	s_waitcnt vmcnt(0) lgkmcnt(0)
	flat_store_dwordx2 v[2:3], v[22:23] offset:40
	s_or_b64 exec, exec, s[4:5]
	s_and_saveexec_b64 s[4:5], s[14:15]
	s_cbranch_execz .LBB819_241
.LBB819_264:
	s_waitcnt vmcnt(0) lgkmcnt(0)
	flat_store_dwordx2 v[2:3], v[16:17] offset:48
	s_or_b64 exec, exec, s[4:5]
	s_and_saveexec_b64 s[4:5], s[16:17]
	s_cbranch_execnz .LBB819_242
	s_branch .LBB819_243
.Lfunc_end819:
	.size	_ZN7rocprim17ROCPRIM_400000_NS6detail26segmented_warp_sort_helperINS1_20WarpSortHelperConfigILj16ELj8ELj256EEEllLi256ELb0EvE4sortIPKlPlS8_S9_EEvT_T0_T1_T2_jjjjRNS5_12storage_typeE, .Lfunc_end819-_ZN7rocprim17ROCPRIM_400000_NS6detail26segmented_warp_sort_helperINS1_20WarpSortHelperConfigILj16ELj8ELj256EEEllLi256ELb0EvE4sortIPKlPlS8_S9_EEvT_T0_T1_T2_jjjjRNS5_12storage_typeE
                                        ; -- End function
	.section	.AMDGPU.csdata,"",@progbits
; Function info:
; codeLenInByte = 19236
; NumSgprs: 46
; NumVgprs: 85
; NumAgprs: 0
; TotalNumVgprs: 85
; ScratchSize: 8
; MemoryBound: 0
	.section	.text._ZN7rocprim17ROCPRIM_400000_NS6detail17trampoline_kernelINS0_14default_configENS1_36segmented_radix_sort_config_selectorIllEEZNS1_25segmented_radix_sort_implIS3_Lb0EPKlPlS8_S9_N2at6native12_GLOBAL__N_18offset_tEEE10hipError_tPvRmT1_PNSt15iterator_traitsISH_E10value_typeET2_T3_PNSI_ISN_E10value_typeET4_jRbjT5_ST_jjP12ihipStream_tbEUlT_E0_NS1_11comp_targetILNS1_3genE4ELNS1_11target_archE910ELNS1_3gpuE8ELNS1_3repE0EEENS1_60segmented_radix_sort_warp_sort_medium_config_static_selectorELNS0_4arch9wavefront6targetE1EEEvSH_,"axG",@progbits,_ZN7rocprim17ROCPRIM_400000_NS6detail17trampoline_kernelINS0_14default_configENS1_36segmented_radix_sort_config_selectorIllEEZNS1_25segmented_radix_sort_implIS3_Lb0EPKlPlS8_S9_N2at6native12_GLOBAL__N_18offset_tEEE10hipError_tPvRmT1_PNSt15iterator_traitsISH_E10value_typeET2_T3_PNSI_ISN_E10value_typeET4_jRbjT5_ST_jjP12ihipStream_tbEUlT_E0_NS1_11comp_targetILNS1_3genE4ELNS1_11target_archE910ELNS1_3gpuE8ELNS1_3repE0EEENS1_60segmented_radix_sort_warp_sort_medium_config_static_selectorELNS0_4arch9wavefront6targetE1EEEvSH_,comdat
	.globl	_ZN7rocprim17ROCPRIM_400000_NS6detail17trampoline_kernelINS0_14default_configENS1_36segmented_radix_sort_config_selectorIllEEZNS1_25segmented_radix_sort_implIS3_Lb0EPKlPlS8_S9_N2at6native12_GLOBAL__N_18offset_tEEE10hipError_tPvRmT1_PNSt15iterator_traitsISH_E10value_typeET2_T3_PNSI_ISN_E10value_typeET4_jRbjT5_ST_jjP12ihipStream_tbEUlT_E0_NS1_11comp_targetILNS1_3genE4ELNS1_11target_archE910ELNS1_3gpuE8ELNS1_3repE0EEENS1_60segmented_radix_sort_warp_sort_medium_config_static_selectorELNS0_4arch9wavefront6targetE1EEEvSH_ ; -- Begin function _ZN7rocprim17ROCPRIM_400000_NS6detail17trampoline_kernelINS0_14default_configENS1_36segmented_radix_sort_config_selectorIllEEZNS1_25segmented_radix_sort_implIS3_Lb0EPKlPlS8_S9_N2at6native12_GLOBAL__N_18offset_tEEE10hipError_tPvRmT1_PNSt15iterator_traitsISH_E10value_typeET2_T3_PNSI_ISN_E10value_typeET4_jRbjT5_ST_jjP12ihipStream_tbEUlT_E0_NS1_11comp_targetILNS1_3genE4ELNS1_11target_archE910ELNS1_3gpuE8ELNS1_3repE0EEENS1_60segmented_radix_sort_warp_sort_medium_config_static_selectorELNS0_4arch9wavefront6targetE1EEEvSH_
	.p2align	8
	.type	_ZN7rocprim17ROCPRIM_400000_NS6detail17trampoline_kernelINS0_14default_configENS1_36segmented_radix_sort_config_selectorIllEEZNS1_25segmented_radix_sort_implIS3_Lb0EPKlPlS8_S9_N2at6native12_GLOBAL__N_18offset_tEEE10hipError_tPvRmT1_PNSt15iterator_traitsISH_E10value_typeET2_T3_PNSI_ISN_E10value_typeET4_jRbjT5_ST_jjP12ihipStream_tbEUlT_E0_NS1_11comp_targetILNS1_3genE4ELNS1_11target_archE910ELNS1_3gpuE8ELNS1_3repE0EEENS1_60segmented_radix_sort_warp_sort_medium_config_static_selectorELNS0_4arch9wavefront6targetE1EEEvSH_,@function
_ZN7rocprim17ROCPRIM_400000_NS6detail17trampoline_kernelINS0_14default_configENS1_36segmented_radix_sort_config_selectorIllEEZNS1_25segmented_radix_sort_implIS3_Lb0EPKlPlS8_S9_N2at6native12_GLOBAL__N_18offset_tEEE10hipError_tPvRmT1_PNSt15iterator_traitsISH_E10value_typeET2_T3_PNSI_ISN_E10value_typeET4_jRbjT5_ST_jjP12ihipStream_tbEUlT_E0_NS1_11comp_targetILNS1_3genE4ELNS1_11target_archE910ELNS1_3gpuE8ELNS1_3repE0EEENS1_60segmented_radix_sort_warp_sort_medium_config_static_selectorELNS0_4arch9wavefront6targetE1EEEvSH_: ; @_ZN7rocprim17ROCPRIM_400000_NS6detail17trampoline_kernelINS0_14default_configENS1_36segmented_radix_sort_config_selectorIllEEZNS1_25segmented_radix_sort_implIS3_Lb0EPKlPlS8_S9_N2at6native12_GLOBAL__N_18offset_tEEE10hipError_tPvRmT1_PNSt15iterator_traitsISH_E10value_typeET2_T3_PNSI_ISN_E10value_typeET4_jRbjT5_ST_jjP12ihipStream_tbEUlT_E0_NS1_11comp_targetILNS1_3genE4ELNS1_11target_archE910ELNS1_3gpuE8ELNS1_3repE0EEENS1_60segmented_radix_sort_warp_sort_medium_config_static_selectorELNS0_4arch9wavefront6targetE1EEEvSH_
; %bb.0:
	s_add_u32 flat_scratch_lo, s6, s10
	s_addc_u32 flat_scratch_hi, s7, 0
	s_add_u32 s0, s0, s10
	s_load_dword s6, s[4:5], 0x64
	s_load_dword s10, s[4:5], 0x34
	s_addc_u32 s1, s1, 0
	v_bfe_u32 v1, v0, 10, 10
	v_bfe_u32 v2, v0, 20, 10
	s_waitcnt lgkmcnt(0)
	s_lshr_b32 s7, s6, 16
	s_and_b32 s6, s6, 0xffff
	v_mad_u32_u24 v1, v2, s7, v1
	v_and_b32_e32 v2, 0x3ff, v0
	v_mad_u64_u32 v[2:3], s[6:7], v1, s6, v[2:3]
	v_lshrrev_b32_e32 v1, 4, v2
	v_lshl_add_u32 v2, s8, 4, v1
	v_cmp_gt_u32_e32 vcc, s10, v2
	s_mov_b32 s32, 0
	s_and_saveexec_b64 s[6:7], vcc
	s_cbranch_execz .LBB820_6
; %bb.1:
	s_load_dwordx2 s[6:7], s[4:5], 0x38
	s_load_dwordx4 s[12:15], s[4:5], 0x40
	v_mov_b32_e32 v3, 0
	v_lshlrev_b64 v[2:3], 2, v[2:3]
	s_waitcnt lgkmcnt(0)
	v_mov_b32_e32 v1, s7
	v_add_co_u32_e32 v2, vcc, s6, v2
	v_addc_co_u32_e32 v3, vcc, v1, v3, vcc
	global_load_dword v1, v[2:3], off
	s_waitcnt vmcnt(0)
	v_add_u32_e32 v2, s13, v1
	v_add_u32_e32 v1, s15, v1
	v_mul_lo_u32 v41, v2, s12
	v_mul_lo_u32 v42, v1, s14
	v_cmp_gt_u32_e32 vcc, v42, v41
	s_and_b64 exec, exec, vcc
	s_cbranch_execz .LBB820_6
; %bb.2:
	s_load_dwordx4 s[52:55], s[4:5], 0x20
	s_load_dword s6, s[4:5], 0x30
	s_load_dwordx8 s[44:51], s[4:5], 0x0
	s_load_dwordx2 s[56:57], s[4:5], 0x50
	s_mov_b32 s42, s8
	s_mov_b32 s33, s9
	s_waitcnt lgkmcnt(0)
	s_bitcmp0_b32 s6, 0
	s_mov_b64 s[6:7], -1
	s_cbranch_scc0 .LBB820_4
; %bb.3:
	s_add_u32 s8, s4, 0x58
	s_addc_u32 s9, s5, 0
	s_mov_b32 s12, s42
	s_mov_b32 s13, s33
	v_mov_b32_e32 v31, v0
	v_mov_b32_e32 v43, v0
	;; [unrolled: 1-line block ×14, first 2 shown]
	s_getpc_b64 s[6:7]
	s_add_u32 s6, s6, _ZN7rocprim17ROCPRIM_400000_NS6detail26segmented_warp_sort_helperINS1_20WarpSortHelperConfigILj16ELj8ELj256EEEllLi256ELb0EvE4sortIPKlPlS8_S9_EEvT_T0_T1_T2_jjjjRNS5_12storage_typeE@rel32@lo+4
	s_addc_u32 s7, s7, _ZN7rocprim17ROCPRIM_400000_NS6detail26segmented_warp_sort_helperINS1_20WarpSortHelperConfigILj16ELj8ELj256EEEllLi256ELb0EvE4sortIPKlPlS8_S9_EEvT_T0_T1_T2_jjjjRNS5_12storage_typeE@rel32@hi+12
	s_mov_b64 s[46:47], s[4:5]
	s_swappc_b64 s[30:31], s[6:7]
	v_mov_b32_e32 v0, v43
	s_mov_b64 s[4:5], s[46:47]
	s_mov_b64 s[6:7], 0
.LBB820_4:
	s_andn2_b64 vcc, exec, s[6:7]
	s_cbranch_vccnz .LBB820_6
; %bb.5:
	s_add_u32 s8, s4, 0x58
	s_addc_u32 s9, s5, 0
	s_mov_b32 s12, s42
	s_mov_b32 s13, s33
	v_mov_b32_e32 v31, v0
	v_mov_b32_e32 v0, s44
	;; [unrolled: 1-line block ×13, first 2 shown]
	s_getpc_b64 s[4:5]
	s_add_u32 s4, s4, _ZN7rocprim17ROCPRIM_400000_NS6detail26segmented_warp_sort_helperINS1_20WarpSortHelperConfigILj16ELj8ELj256EEEllLi256ELb0EvE4sortIPKlPlS8_S9_EEvT_T0_T1_T2_jjjjRNS5_12storage_typeE@rel32@lo+4
	s_addc_u32 s5, s5, _ZN7rocprim17ROCPRIM_400000_NS6detail26segmented_warp_sort_helperINS1_20WarpSortHelperConfigILj16ELj8ELj256EEEllLi256ELb0EvE4sortIPKlPlS8_S9_EEvT_T0_T1_T2_jjjjRNS5_12storage_typeE@rel32@hi+12
	s_swappc_b64 s[30:31], s[4:5]
.LBB820_6:
	s_endpgm
	.section	.rodata,"a",@progbits
	.p2align	6, 0x0
	.amdhsa_kernel _ZN7rocprim17ROCPRIM_400000_NS6detail17trampoline_kernelINS0_14default_configENS1_36segmented_radix_sort_config_selectorIllEEZNS1_25segmented_radix_sort_implIS3_Lb0EPKlPlS8_S9_N2at6native12_GLOBAL__N_18offset_tEEE10hipError_tPvRmT1_PNSt15iterator_traitsISH_E10value_typeET2_T3_PNSI_ISN_E10value_typeET4_jRbjT5_ST_jjP12ihipStream_tbEUlT_E0_NS1_11comp_targetILNS1_3genE4ELNS1_11target_archE910ELNS1_3gpuE8ELNS1_3repE0EEENS1_60segmented_radix_sort_warp_sort_medium_config_static_selectorELNS0_4arch9wavefront6targetE1EEEvSH_
		.amdhsa_group_segment_fixed_size 32768
		.amdhsa_private_segment_fixed_size 8
		.amdhsa_kernarg_size 344
		.amdhsa_user_sgpr_count 8
		.amdhsa_user_sgpr_private_segment_buffer 1
		.amdhsa_user_sgpr_dispatch_ptr 0
		.amdhsa_user_sgpr_queue_ptr 0
		.amdhsa_user_sgpr_kernarg_segment_ptr 1
		.amdhsa_user_sgpr_dispatch_id 0
		.amdhsa_user_sgpr_flat_scratch_init 1
		.amdhsa_user_sgpr_kernarg_preload_length 0
		.amdhsa_user_sgpr_kernarg_preload_offset 0
		.amdhsa_user_sgpr_private_segment_size 0
		.amdhsa_uses_dynamic_stack 0
		.amdhsa_system_sgpr_private_segment_wavefront_offset 1
		.amdhsa_system_sgpr_workgroup_id_x 1
		.amdhsa_system_sgpr_workgroup_id_y 1
		.amdhsa_system_sgpr_workgroup_id_z 0
		.amdhsa_system_sgpr_workgroup_info 0
		.amdhsa_system_vgpr_workitem_id 2
		.amdhsa_next_free_vgpr 85
		.amdhsa_next_free_sgpr 58
		.amdhsa_accum_offset 88
		.amdhsa_reserve_vcc 1
		.amdhsa_reserve_flat_scratch 1
		.amdhsa_float_round_mode_32 0
		.amdhsa_float_round_mode_16_64 0
		.amdhsa_float_denorm_mode_32 3
		.amdhsa_float_denorm_mode_16_64 3
		.amdhsa_dx10_clamp 1
		.amdhsa_ieee_mode 1
		.amdhsa_fp16_overflow 0
		.amdhsa_tg_split 0
		.amdhsa_exception_fp_ieee_invalid_op 0
		.amdhsa_exception_fp_denorm_src 0
		.amdhsa_exception_fp_ieee_div_zero 0
		.amdhsa_exception_fp_ieee_overflow 0
		.amdhsa_exception_fp_ieee_underflow 0
		.amdhsa_exception_fp_ieee_inexact 0
		.amdhsa_exception_int_div_zero 0
	.end_amdhsa_kernel
	.section	.text._ZN7rocprim17ROCPRIM_400000_NS6detail17trampoline_kernelINS0_14default_configENS1_36segmented_radix_sort_config_selectorIllEEZNS1_25segmented_radix_sort_implIS3_Lb0EPKlPlS8_S9_N2at6native12_GLOBAL__N_18offset_tEEE10hipError_tPvRmT1_PNSt15iterator_traitsISH_E10value_typeET2_T3_PNSI_ISN_E10value_typeET4_jRbjT5_ST_jjP12ihipStream_tbEUlT_E0_NS1_11comp_targetILNS1_3genE4ELNS1_11target_archE910ELNS1_3gpuE8ELNS1_3repE0EEENS1_60segmented_radix_sort_warp_sort_medium_config_static_selectorELNS0_4arch9wavefront6targetE1EEEvSH_,"axG",@progbits,_ZN7rocprim17ROCPRIM_400000_NS6detail17trampoline_kernelINS0_14default_configENS1_36segmented_radix_sort_config_selectorIllEEZNS1_25segmented_radix_sort_implIS3_Lb0EPKlPlS8_S9_N2at6native12_GLOBAL__N_18offset_tEEE10hipError_tPvRmT1_PNSt15iterator_traitsISH_E10value_typeET2_T3_PNSI_ISN_E10value_typeET4_jRbjT5_ST_jjP12ihipStream_tbEUlT_E0_NS1_11comp_targetILNS1_3genE4ELNS1_11target_archE910ELNS1_3gpuE8ELNS1_3repE0EEENS1_60segmented_radix_sort_warp_sort_medium_config_static_selectorELNS0_4arch9wavefront6targetE1EEEvSH_,comdat
.Lfunc_end820:
	.size	_ZN7rocprim17ROCPRIM_400000_NS6detail17trampoline_kernelINS0_14default_configENS1_36segmented_radix_sort_config_selectorIllEEZNS1_25segmented_radix_sort_implIS3_Lb0EPKlPlS8_S9_N2at6native12_GLOBAL__N_18offset_tEEE10hipError_tPvRmT1_PNSt15iterator_traitsISH_E10value_typeET2_T3_PNSI_ISN_E10value_typeET4_jRbjT5_ST_jjP12ihipStream_tbEUlT_E0_NS1_11comp_targetILNS1_3genE4ELNS1_11target_archE910ELNS1_3gpuE8ELNS1_3repE0EEENS1_60segmented_radix_sort_warp_sort_medium_config_static_selectorELNS0_4arch9wavefront6targetE1EEEvSH_, .Lfunc_end820-_ZN7rocprim17ROCPRIM_400000_NS6detail17trampoline_kernelINS0_14default_configENS1_36segmented_radix_sort_config_selectorIllEEZNS1_25segmented_radix_sort_implIS3_Lb0EPKlPlS8_S9_N2at6native12_GLOBAL__N_18offset_tEEE10hipError_tPvRmT1_PNSt15iterator_traitsISH_E10value_typeET2_T3_PNSI_ISN_E10value_typeET4_jRbjT5_ST_jjP12ihipStream_tbEUlT_E0_NS1_11comp_targetILNS1_3genE4ELNS1_11target_archE910ELNS1_3gpuE8ELNS1_3repE0EEENS1_60segmented_radix_sort_warp_sort_medium_config_static_selectorELNS0_4arch9wavefront6targetE1EEEvSH_
                                        ; -- End function
	.section	.AMDGPU.csdata,"",@progbits
; Kernel info:
; codeLenInByte = 488
; NumSgprs: 64
; NumVgprs: 85
; NumAgprs: 0
; TotalNumVgprs: 85
; ScratchSize: 8
; MemoryBound: 0
; FloatMode: 240
; IeeeMode: 1
; LDSByteSize: 32768 bytes/workgroup (compile time only)
; SGPRBlocks: 7
; VGPRBlocks: 10
; NumSGPRsForWavesPerEU: 64
; NumVGPRsForWavesPerEU: 85
; AccumOffset: 88
; Occupancy: 2
; WaveLimiterHint : 0
; COMPUTE_PGM_RSRC2:SCRATCH_EN: 1
; COMPUTE_PGM_RSRC2:USER_SGPR: 8
; COMPUTE_PGM_RSRC2:TRAP_HANDLER: 0
; COMPUTE_PGM_RSRC2:TGID_X_EN: 1
; COMPUTE_PGM_RSRC2:TGID_Y_EN: 1
; COMPUTE_PGM_RSRC2:TGID_Z_EN: 0
; COMPUTE_PGM_RSRC2:TIDIG_COMP_CNT: 2
; COMPUTE_PGM_RSRC3_GFX90A:ACCUM_OFFSET: 21
; COMPUTE_PGM_RSRC3_GFX90A:TG_SPLIT: 0
	.section	.text._ZN7rocprim17ROCPRIM_400000_NS6detail17trampoline_kernelINS0_14default_configENS1_36segmented_radix_sort_config_selectorIllEEZNS1_25segmented_radix_sort_implIS3_Lb0EPKlPlS8_S9_N2at6native12_GLOBAL__N_18offset_tEEE10hipError_tPvRmT1_PNSt15iterator_traitsISH_E10value_typeET2_T3_PNSI_ISN_E10value_typeET4_jRbjT5_ST_jjP12ihipStream_tbEUlT_E0_NS1_11comp_targetILNS1_3genE3ELNS1_11target_archE908ELNS1_3gpuE7ELNS1_3repE0EEENS1_60segmented_radix_sort_warp_sort_medium_config_static_selectorELNS0_4arch9wavefront6targetE1EEEvSH_,"axG",@progbits,_ZN7rocprim17ROCPRIM_400000_NS6detail17trampoline_kernelINS0_14default_configENS1_36segmented_radix_sort_config_selectorIllEEZNS1_25segmented_radix_sort_implIS3_Lb0EPKlPlS8_S9_N2at6native12_GLOBAL__N_18offset_tEEE10hipError_tPvRmT1_PNSt15iterator_traitsISH_E10value_typeET2_T3_PNSI_ISN_E10value_typeET4_jRbjT5_ST_jjP12ihipStream_tbEUlT_E0_NS1_11comp_targetILNS1_3genE3ELNS1_11target_archE908ELNS1_3gpuE7ELNS1_3repE0EEENS1_60segmented_radix_sort_warp_sort_medium_config_static_selectorELNS0_4arch9wavefront6targetE1EEEvSH_,comdat
	.globl	_ZN7rocprim17ROCPRIM_400000_NS6detail17trampoline_kernelINS0_14default_configENS1_36segmented_radix_sort_config_selectorIllEEZNS1_25segmented_radix_sort_implIS3_Lb0EPKlPlS8_S9_N2at6native12_GLOBAL__N_18offset_tEEE10hipError_tPvRmT1_PNSt15iterator_traitsISH_E10value_typeET2_T3_PNSI_ISN_E10value_typeET4_jRbjT5_ST_jjP12ihipStream_tbEUlT_E0_NS1_11comp_targetILNS1_3genE3ELNS1_11target_archE908ELNS1_3gpuE7ELNS1_3repE0EEENS1_60segmented_radix_sort_warp_sort_medium_config_static_selectorELNS0_4arch9wavefront6targetE1EEEvSH_ ; -- Begin function _ZN7rocprim17ROCPRIM_400000_NS6detail17trampoline_kernelINS0_14default_configENS1_36segmented_radix_sort_config_selectorIllEEZNS1_25segmented_radix_sort_implIS3_Lb0EPKlPlS8_S9_N2at6native12_GLOBAL__N_18offset_tEEE10hipError_tPvRmT1_PNSt15iterator_traitsISH_E10value_typeET2_T3_PNSI_ISN_E10value_typeET4_jRbjT5_ST_jjP12ihipStream_tbEUlT_E0_NS1_11comp_targetILNS1_3genE3ELNS1_11target_archE908ELNS1_3gpuE7ELNS1_3repE0EEENS1_60segmented_radix_sort_warp_sort_medium_config_static_selectorELNS0_4arch9wavefront6targetE1EEEvSH_
	.p2align	8
	.type	_ZN7rocprim17ROCPRIM_400000_NS6detail17trampoline_kernelINS0_14default_configENS1_36segmented_radix_sort_config_selectorIllEEZNS1_25segmented_radix_sort_implIS3_Lb0EPKlPlS8_S9_N2at6native12_GLOBAL__N_18offset_tEEE10hipError_tPvRmT1_PNSt15iterator_traitsISH_E10value_typeET2_T3_PNSI_ISN_E10value_typeET4_jRbjT5_ST_jjP12ihipStream_tbEUlT_E0_NS1_11comp_targetILNS1_3genE3ELNS1_11target_archE908ELNS1_3gpuE7ELNS1_3repE0EEENS1_60segmented_radix_sort_warp_sort_medium_config_static_selectorELNS0_4arch9wavefront6targetE1EEEvSH_,@function
_ZN7rocprim17ROCPRIM_400000_NS6detail17trampoline_kernelINS0_14default_configENS1_36segmented_radix_sort_config_selectorIllEEZNS1_25segmented_radix_sort_implIS3_Lb0EPKlPlS8_S9_N2at6native12_GLOBAL__N_18offset_tEEE10hipError_tPvRmT1_PNSt15iterator_traitsISH_E10value_typeET2_T3_PNSI_ISN_E10value_typeET4_jRbjT5_ST_jjP12ihipStream_tbEUlT_E0_NS1_11comp_targetILNS1_3genE3ELNS1_11target_archE908ELNS1_3gpuE7ELNS1_3repE0EEENS1_60segmented_radix_sort_warp_sort_medium_config_static_selectorELNS0_4arch9wavefront6targetE1EEEvSH_: ; @_ZN7rocprim17ROCPRIM_400000_NS6detail17trampoline_kernelINS0_14default_configENS1_36segmented_radix_sort_config_selectorIllEEZNS1_25segmented_radix_sort_implIS3_Lb0EPKlPlS8_S9_N2at6native12_GLOBAL__N_18offset_tEEE10hipError_tPvRmT1_PNSt15iterator_traitsISH_E10value_typeET2_T3_PNSI_ISN_E10value_typeET4_jRbjT5_ST_jjP12ihipStream_tbEUlT_E0_NS1_11comp_targetILNS1_3genE3ELNS1_11target_archE908ELNS1_3gpuE7ELNS1_3repE0EEENS1_60segmented_radix_sort_warp_sort_medium_config_static_selectorELNS0_4arch9wavefront6targetE1EEEvSH_
; %bb.0:
	.section	.rodata,"a",@progbits
	.p2align	6, 0x0
	.amdhsa_kernel _ZN7rocprim17ROCPRIM_400000_NS6detail17trampoline_kernelINS0_14default_configENS1_36segmented_radix_sort_config_selectorIllEEZNS1_25segmented_radix_sort_implIS3_Lb0EPKlPlS8_S9_N2at6native12_GLOBAL__N_18offset_tEEE10hipError_tPvRmT1_PNSt15iterator_traitsISH_E10value_typeET2_T3_PNSI_ISN_E10value_typeET4_jRbjT5_ST_jjP12ihipStream_tbEUlT_E0_NS1_11comp_targetILNS1_3genE3ELNS1_11target_archE908ELNS1_3gpuE7ELNS1_3repE0EEENS1_60segmented_radix_sort_warp_sort_medium_config_static_selectorELNS0_4arch9wavefront6targetE1EEEvSH_
		.amdhsa_group_segment_fixed_size 0
		.amdhsa_private_segment_fixed_size 0
		.amdhsa_kernarg_size 88
		.amdhsa_user_sgpr_count 6
		.amdhsa_user_sgpr_private_segment_buffer 1
		.amdhsa_user_sgpr_dispatch_ptr 0
		.amdhsa_user_sgpr_queue_ptr 0
		.amdhsa_user_sgpr_kernarg_segment_ptr 1
		.amdhsa_user_sgpr_dispatch_id 0
		.amdhsa_user_sgpr_flat_scratch_init 0
		.amdhsa_user_sgpr_kernarg_preload_length 0
		.amdhsa_user_sgpr_kernarg_preload_offset 0
		.amdhsa_user_sgpr_private_segment_size 0
		.amdhsa_uses_dynamic_stack 0
		.amdhsa_system_sgpr_private_segment_wavefront_offset 0
		.amdhsa_system_sgpr_workgroup_id_x 1
		.amdhsa_system_sgpr_workgroup_id_y 0
		.amdhsa_system_sgpr_workgroup_id_z 0
		.amdhsa_system_sgpr_workgroup_info 0
		.amdhsa_system_vgpr_workitem_id 0
		.amdhsa_next_free_vgpr 1
		.amdhsa_next_free_sgpr 0
		.amdhsa_accum_offset 4
		.amdhsa_reserve_vcc 0
		.amdhsa_reserve_flat_scratch 0
		.amdhsa_float_round_mode_32 0
		.amdhsa_float_round_mode_16_64 0
		.amdhsa_float_denorm_mode_32 3
		.amdhsa_float_denorm_mode_16_64 3
		.amdhsa_dx10_clamp 1
		.amdhsa_ieee_mode 1
		.amdhsa_fp16_overflow 0
		.amdhsa_tg_split 0
		.amdhsa_exception_fp_ieee_invalid_op 0
		.amdhsa_exception_fp_denorm_src 0
		.amdhsa_exception_fp_ieee_div_zero 0
		.amdhsa_exception_fp_ieee_overflow 0
		.amdhsa_exception_fp_ieee_underflow 0
		.amdhsa_exception_fp_ieee_inexact 0
		.amdhsa_exception_int_div_zero 0
	.end_amdhsa_kernel
	.section	.text._ZN7rocprim17ROCPRIM_400000_NS6detail17trampoline_kernelINS0_14default_configENS1_36segmented_radix_sort_config_selectorIllEEZNS1_25segmented_radix_sort_implIS3_Lb0EPKlPlS8_S9_N2at6native12_GLOBAL__N_18offset_tEEE10hipError_tPvRmT1_PNSt15iterator_traitsISH_E10value_typeET2_T3_PNSI_ISN_E10value_typeET4_jRbjT5_ST_jjP12ihipStream_tbEUlT_E0_NS1_11comp_targetILNS1_3genE3ELNS1_11target_archE908ELNS1_3gpuE7ELNS1_3repE0EEENS1_60segmented_radix_sort_warp_sort_medium_config_static_selectorELNS0_4arch9wavefront6targetE1EEEvSH_,"axG",@progbits,_ZN7rocprim17ROCPRIM_400000_NS6detail17trampoline_kernelINS0_14default_configENS1_36segmented_radix_sort_config_selectorIllEEZNS1_25segmented_radix_sort_implIS3_Lb0EPKlPlS8_S9_N2at6native12_GLOBAL__N_18offset_tEEE10hipError_tPvRmT1_PNSt15iterator_traitsISH_E10value_typeET2_T3_PNSI_ISN_E10value_typeET4_jRbjT5_ST_jjP12ihipStream_tbEUlT_E0_NS1_11comp_targetILNS1_3genE3ELNS1_11target_archE908ELNS1_3gpuE7ELNS1_3repE0EEENS1_60segmented_radix_sort_warp_sort_medium_config_static_selectorELNS0_4arch9wavefront6targetE1EEEvSH_,comdat
.Lfunc_end821:
	.size	_ZN7rocprim17ROCPRIM_400000_NS6detail17trampoline_kernelINS0_14default_configENS1_36segmented_radix_sort_config_selectorIllEEZNS1_25segmented_radix_sort_implIS3_Lb0EPKlPlS8_S9_N2at6native12_GLOBAL__N_18offset_tEEE10hipError_tPvRmT1_PNSt15iterator_traitsISH_E10value_typeET2_T3_PNSI_ISN_E10value_typeET4_jRbjT5_ST_jjP12ihipStream_tbEUlT_E0_NS1_11comp_targetILNS1_3genE3ELNS1_11target_archE908ELNS1_3gpuE7ELNS1_3repE0EEENS1_60segmented_radix_sort_warp_sort_medium_config_static_selectorELNS0_4arch9wavefront6targetE1EEEvSH_, .Lfunc_end821-_ZN7rocprim17ROCPRIM_400000_NS6detail17trampoline_kernelINS0_14default_configENS1_36segmented_radix_sort_config_selectorIllEEZNS1_25segmented_radix_sort_implIS3_Lb0EPKlPlS8_S9_N2at6native12_GLOBAL__N_18offset_tEEE10hipError_tPvRmT1_PNSt15iterator_traitsISH_E10value_typeET2_T3_PNSI_ISN_E10value_typeET4_jRbjT5_ST_jjP12ihipStream_tbEUlT_E0_NS1_11comp_targetILNS1_3genE3ELNS1_11target_archE908ELNS1_3gpuE7ELNS1_3repE0EEENS1_60segmented_radix_sort_warp_sort_medium_config_static_selectorELNS0_4arch9wavefront6targetE1EEEvSH_
                                        ; -- End function
	.section	.AMDGPU.csdata,"",@progbits
; Kernel info:
; codeLenInByte = 0
; NumSgprs: 4
; NumVgprs: 0
; NumAgprs: 0
; TotalNumVgprs: 0
; ScratchSize: 0
; MemoryBound: 0
; FloatMode: 240
; IeeeMode: 1
; LDSByteSize: 0 bytes/workgroup (compile time only)
; SGPRBlocks: 0
; VGPRBlocks: 0
; NumSGPRsForWavesPerEU: 4
; NumVGPRsForWavesPerEU: 1
; AccumOffset: 4
; Occupancy: 8
; WaveLimiterHint : 0
; COMPUTE_PGM_RSRC2:SCRATCH_EN: 0
; COMPUTE_PGM_RSRC2:USER_SGPR: 6
; COMPUTE_PGM_RSRC2:TRAP_HANDLER: 0
; COMPUTE_PGM_RSRC2:TGID_X_EN: 1
; COMPUTE_PGM_RSRC2:TGID_Y_EN: 0
; COMPUTE_PGM_RSRC2:TGID_Z_EN: 0
; COMPUTE_PGM_RSRC2:TIDIG_COMP_CNT: 0
; COMPUTE_PGM_RSRC3_GFX90A:ACCUM_OFFSET: 0
; COMPUTE_PGM_RSRC3_GFX90A:TG_SPLIT: 0
	.section	.text._ZN7rocprim17ROCPRIM_400000_NS6detail17trampoline_kernelINS0_14default_configENS1_36segmented_radix_sort_config_selectorIllEEZNS1_25segmented_radix_sort_implIS3_Lb0EPKlPlS8_S9_N2at6native12_GLOBAL__N_18offset_tEEE10hipError_tPvRmT1_PNSt15iterator_traitsISH_E10value_typeET2_T3_PNSI_ISN_E10value_typeET4_jRbjT5_ST_jjP12ihipStream_tbEUlT_E0_NS1_11comp_targetILNS1_3genE2ELNS1_11target_archE906ELNS1_3gpuE6ELNS1_3repE0EEENS1_60segmented_radix_sort_warp_sort_medium_config_static_selectorELNS0_4arch9wavefront6targetE1EEEvSH_,"axG",@progbits,_ZN7rocprim17ROCPRIM_400000_NS6detail17trampoline_kernelINS0_14default_configENS1_36segmented_radix_sort_config_selectorIllEEZNS1_25segmented_radix_sort_implIS3_Lb0EPKlPlS8_S9_N2at6native12_GLOBAL__N_18offset_tEEE10hipError_tPvRmT1_PNSt15iterator_traitsISH_E10value_typeET2_T3_PNSI_ISN_E10value_typeET4_jRbjT5_ST_jjP12ihipStream_tbEUlT_E0_NS1_11comp_targetILNS1_3genE2ELNS1_11target_archE906ELNS1_3gpuE6ELNS1_3repE0EEENS1_60segmented_radix_sort_warp_sort_medium_config_static_selectorELNS0_4arch9wavefront6targetE1EEEvSH_,comdat
	.globl	_ZN7rocprim17ROCPRIM_400000_NS6detail17trampoline_kernelINS0_14default_configENS1_36segmented_radix_sort_config_selectorIllEEZNS1_25segmented_radix_sort_implIS3_Lb0EPKlPlS8_S9_N2at6native12_GLOBAL__N_18offset_tEEE10hipError_tPvRmT1_PNSt15iterator_traitsISH_E10value_typeET2_T3_PNSI_ISN_E10value_typeET4_jRbjT5_ST_jjP12ihipStream_tbEUlT_E0_NS1_11comp_targetILNS1_3genE2ELNS1_11target_archE906ELNS1_3gpuE6ELNS1_3repE0EEENS1_60segmented_radix_sort_warp_sort_medium_config_static_selectorELNS0_4arch9wavefront6targetE1EEEvSH_ ; -- Begin function _ZN7rocprim17ROCPRIM_400000_NS6detail17trampoline_kernelINS0_14default_configENS1_36segmented_radix_sort_config_selectorIllEEZNS1_25segmented_radix_sort_implIS3_Lb0EPKlPlS8_S9_N2at6native12_GLOBAL__N_18offset_tEEE10hipError_tPvRmT1_PNSt15iterator_traitsISH_E10value_typeET2_T3_PNSI_ISN_E10value_typeET4_jRbjT5_ST_jjP12ihipStream_tbEUlT_E0_NS1_11comp_targetILNS1_3genE2ELNS1_11target_archE906ELNS1_3gpuE6ELNS1_3repE0EEENS1_60segmented_radix_sort_warp_sort_medium_config_static_selectorELNS0_4arch9wavefront6targetE1EEEvSH_
	.p2align	8
	.type	_ZN7rocprim17ROCPRIM_400000_NS6detail17trampoline_kernelINS0_14default_configENS1_36segmented_radix_sort_config_selectorIllEEZNS1_25segmented_radix_sort_implIS3_Lb0EPKlPlS8_S9_N2at6native12_GLOBAL__N_18offset_tEEE10hipError_tPvRmT1_PNSt15iterator_traitsISH_E10value_typeET2_T3_PNSI_ISN_E10value_typeET4_jRbjT5_ST_jjP12ihipStream_tbEUlT_E0_NS1_11comp_targetILNS1_3genE2ELNS1_11target_archE906ELNS1_3gpuE6ELNS1_3repE0EEENS1_60segmented_radix_sort_warp_sort_medium_config_static_selectorELNS0_4arch9wavefront6targetE1EEEvSH_,@function
_ZN7rocprim17ROCPRIM_400000_NS6detail17trampoline_kernelINS0_14default_configENS1_36segmented_radix_sort_config_selectorIllEEZNS1_25segmented_radix_sort_implIS3_Lb0EPKlPlS8_S9_N2at6native12_GLOBAL__N_18offset_tEEE10hipError_tPvRmT1_PNSt15iterator_traitsISH_E10value_typeET2_T3_PNSI_ISN_E10value_typeET4_jRbjT5_ST_jjP12ihipStream_tbEUlT_E0_NS1_11comp_targetILNS1_3genE2ELNS1_11target_archE906ELNS1_3gpuE6ELNS1_3repE0EEENS1_60segmented_radix_sort_warp_sort_medium_config_static_selectorELNS0_4arch9wavefront6targetE1EEEvSH_: ; @_ZN7rocprim17ROCPRIM_400000_NS6detail17trampoline_kernelINS0_14default_configENS1_36segmented_radix_sort_config_selectorIllEEZNS1_25segmented_radix_sort_implIS3_Lb0EPKlPlS8_S9_N2at6native12_GLOBAL__N_18offset_tEEE10hipError_tPvRmT1_PNSt15iterator_traitsISH_E10value_typeET2_T3_PNSI_ISN_E10value_typeET4_jRbjT5_ST_jjP12ihipStream_tbEUlT_E0_NS1_11comp_targetILNS1_3genE2ELNS1_11target_archE906ELNS1_3gpuE6ELNS1_3repE0EEENS1_60segmented_radix_sort_warp_sort_medium_config_static_selectorELNS0_4arch9wavefront6targetE1EEEvSH_
; %bb.0:
	.section	.rodata,"a",@progbits
	.p2align	6, 0x0
	.amdhsa_kernel _ZN7rocprim17ROCPRIM_400000_NS6detail17trampoline_kernelINS0_14default_configENS1_36segmented_radix_sort_config_selectorIllEEZNS1_25segmented_radix_sort_implIS3_Lb0EPKlPlS8_S9_N2at6native12_GLOBAL__N_18offset_tEEE10hipError_tPvRmT1_PNSt15iterator_traitsISH_E10value_typeET2_T3_PNSI_ISN_E10value_typeET4_jRbjT5_ST_jjP12ihipStream_tbEUlT_E0_NS1_11comp_targetILNS1_3genE2ELNS1_11target_archE906ELNS1_3gpuE6ELNS1_3repE0EEENS1_60segmented_radix_sort_warp_sort_medium_config_static_selectorELNS0_4arch9wavefront6targetE1EEEvSH_
		.amdhsa_group_segment_fixed_size 0
		.amdhsa_private_segment_fixed_size 0
		.amdhsa_kernarg_size 88
		.amdhsa_user_sgpr_count 6
		.amdhsa_user_sgpr_private_segment_buffer 1
		.amdhsa_user_sgpr_dispatch_ptr 0
		.amdhsa_user_sgpr_queue_ptr 0
		.amdhsa_user_sgpr_kernarg_segment_ptr 1
		.amdhsa_user_sgpr_dispatch_id 0
		.amdhsa_user_sgpr_flat_scratch_init 0
		.amdhsa_user_sgpr_kernarg_preload_length 0
		.amdhsa_user_sgpr_kernarg_preload_offset 0
		.amdhsa_user_sgpr_private_segment_size 0
		.amdhsa_uses_dynamic_stack 0
		.amdhsa_system_sgpr_private_segment_wavefront_offset 0
		.amdhsa_system_sgpr_workgroup_id_x 1
		.amdhsa_system_sgpr_workgroup_id_y 0
		.amdhsa_system_sgpr_workgroup_id_z 0
		.amdhsa_system_sgpr_workgroup_info 0
		.amdhsa_system_vgpr_workitem_id 0
		.amdhsa_next_free_vgpr 1
		.amdhsa_next_free_sgpr 0
		.amdhsa_accum_offset 4
		.amdhsa_reserve_vcc 0
		.amdhsa_reserve_flat_scratch 0
		.amdhsa_float_round_mode_32 0
		.amdhsa_float_round_mode_16_64 0
		.amdhsa_float_denorm_mode_32 3
		.amdhsa_float_denorm_mode_16_64 3
		.amdhsa_dx10_clamp 1
		.amdhsa_ieee_mode 1
		.amdhsa_fp16_overflow 0
		.amdhsa_tg_split 0
		.amdhsa_exception_fp_ieee_invalid_op 0
		.amdhsa_exception_fp_denorm_src 0
		.amdhsa_exception_fp_ieee_div_zero 0
		.amdhsa_exception_fp_ieee_overflow 0
		.amdhsa_exception_fp_ieee_underflow 0
		.amdhsa_exception_fp_ieee_inexact 0
		.amdhsa_exception_int_div_zero 0
	.end_amdhsa_kernel
	.section	.text._ZN7rocprim17ROCPRIM_400000_NS6detail17trampoline_kernelINS0_14default_configENS1_36segmented_radix_sort_config_selectorIllEEZNS1_25segmented_radix_sort_implIS3_Lb0EPKlPlS8_S9_N2at6native12_GLOBAL__N_18offset_tEEE10hipError_tPvRmT1_PNSt15iterator_traitsISH_E10value_typeET2_T3_PNSI_ISN_E10value_typeET4_jRbjT5_ST_jjP12ihipStream_tbEUlT_E0_NS1_11comp_targetILNS1_3genE2ELNS1_11target_archE906ELNS1_3gpuE6ELNS1_3repE0EEENS1_60segmented_radix_sort_warp_sort_medium_config_static_selectorELNS0_4arch9wavefront6targetE1EEEvSH_,"axG",@progbits,_ZN7rocprim17ROCPRIM_400000_NS6detail17trampoline_kernelINS0_14default_configENS1_36segmented_radix_sort_config_selectorIllEEZNS1_25segmented_radix_sort_implIS3_Lb0EPKlPlS8_S9_N2at6native12_GLOBAL__N_18offset_tEEE10hipError_tPvRmT1_PNSt15iterator_traitsISH_E10value_typeET2_T3_PNSI_ISN_E10value_typeET4_jRbjT5_ST_jjP12ihipStream_tbEUlT_E0_NS1_11comp_targetILNS1_3genE2ELNS1_11target_archE906ELNS1_3gpuE6ELNS1_3repE0EEENS1_60segmented_radix_sort_warp_sort_medium_config_static_selectorELNS0_4arch9wavefront6targetE1EEEvSH_,comdat
.Lfunc_end822:
	.size	_ZN7rocprim17ROCPRIM_400000_NS6detail17trampoline_kernelINS0_14default_configENS1_36segmented_radix_sort_config_selectorIllEEZNS1_25segmented_radix_sort_implIS3_Lb0EPKlPlS8_S9_N2at6native12_GLOBAL__N_18offset_tEEE10hipError_tPvRmT1_PNSt15iterator_traitsISH_E10value_typeET2_T3_PNSI_ISN_E10value_typeET4_jRbjT5_ST_jjP12ihipStream_tbEUlT_E0_NS1_11comp_targetILNS1_3genE2ELNS1_11target_archE906ELNS1_3gpuE6ELNS1_3repE0EEENS1_60segmented_radix_sort_warp_sort_medium_config_static_selectorELNS0_4arch9wavefront6targetE1EEEvSH_, .Lfunc_end822-_ZN7rocprim17ROCPRIM_400000_NS6detail17trampoline_kernelINS0_14default_configENS1_36segmented_radix_sort_config_selectorIllEEZNS1_25segmented_radix_sort_implIS3_Lb0EPKlPlS8_S9_N2at6native12_GLOBAL__N_18offset_tEEE10hipError_tPvRmT1_PNSt15iterator_traitsISH_E10value_typeET2_T3_PNSI_ISN_E10value_typeET4_jRbjT5_ST_jjP12ihipStream_tbEUlT_E0_NS1_11comp_targetILNS1_3genE2ELNS1_11target_archE906ELNS1_3gpuE6ELNS1_3repE0EEENS1_60segmented_radix_sort_warp_sort_medium_config_static_selectorELNS0_4arch9wavefront6targetE1EEEvSH_
                                        ; -- End function
	.section	.AMDGPU.csdata,"",@progbits
; Kernel info:
; codeLenInByte = 0
; NumSgprs: 4
; NumVgprs: 0
; NumAgprs: 0
; TotalNumVgprs: 0
; ScratchSize: 0
; MemoryBound: 0
; FloatMode: 240
; IeeeMode: 1
; LDSByteSize: 0 bytes/workgroup (compile time only)
; SGPRBlocks: 0
; VGPRBlocks: 0
; NumSGPRsForWavesPerEU: 4
; NumVGPRsForWavesPerEU: 1
; AccumOffset: 4
; Occupancy: 8
; WaveLimiterHint : 0
; COMPUTE_PGM_RSRC2:SCRATCH_EN: 0
; COMPUTE_PGM_RSRC2:USER_SGPR: 6
; COMPUTE_PGM_RSRC2:TRAP_HANDLER: 0
; COMPUTE_PGM_RSRC2:TGID_X_EN: 1
; COMPUTE_PGM_RSRC2:TGID_Y_EN: 0
; COMPUTE_PGM_RSRC2:TGID_Z_EN: 0
; COMPUTE_PGM_RSRC2:TIDIG_COMP_CNT: 0
; COMPUTE_PGM_RSRC3_GFX90A:ACCUM_OFFSET: 0
; COMPUTE_PGM_RSRC3_GFX90A:TG_SPLIT: 0
	.section	.text._ZN7rocprim17ROCPRIM_400000_NS6detail17trampoline_kernelINS0_14default_configENS1_36segmented_radix_sort_config_selectorIllEEZNS1_25segmented_radix_sort_implIS3_Lb0EPKlPlS8_S9_N2at6native12_GLOBAL__N_18offset_tEEE10hipError_tPvRmT1_PNSt15iterator_traitsISH_E10value_typeET2_T3_PNSI_ISN_E10value_typeET4_jRbjT5_ST_jjP12ihipStream_tbEUlT_E0_NS1_11comp_targetILNS1_3genE10ELNS1_11target_archE1201ELNS1_3gpuE5ELNS1_3repE0EEENS1_60segmented_radix_sort_warp_sort_medium_config_static_selectorELNS0_4arch9wavefront6targetE1EEEvSH_,"axG",@progbits,_ZN7rocprim17ROCPRIM_400000_NS6detail17trampoline_kernelINS0_14default_configENS1_36segmented_radix_sort_config_selectorIllEEZNS1_25segmented_radix_sort_implIS3_Lb0EPKlPlS8_S9_N2at6native12_GLOBAL__N_18offset_tEEE10hipError_tPvRmT1_PNSt15iterator_traitsISH_E10value_typeET2_T3_PNSI_ISN_E10value_typeET4_jRbjT5_ST_jjP12ihipStream_tbEUlT_E0_NS1_11comp_targetILNS1_3genE10ELNS1_11target_archE1201ELNS1_3gpuE5ELNS1_3repE0EEENS1_60segmented_radix_sort_warp_sort_medium_config_static_selectorELNS0_4arch9wavefront6targetE1EEEvSH_,comdat
	.globl	_ZN7rocprim17ROCPRIM_400000_NS6detail17trampoline_kernelINS0_14default_configENS1_36segmented_radix_sort_config_selectorIllEEZNS1_25segmented_radix_sort_implIS3_Lb0EPKlPlS8_S9_N2at6native12_GLOBAL__N_18offset_tEEE10hipError_tPvRmT1_PNSt15iterator_traitsISH_E10value_typeET2_T3_PNSI_ISN_E10value_typeET4_jRbjT5_ST_jjP12ihipStream_tbEUlT_E0_NS1_11comp_targetILNS1_3genE10ELNS1_11target_archE1201ELNS1_3gpuE5ELNS1_3repE0EEENS1_60segmented_radix_sort_warp_sort_medium_config_static_selectorELNS0_4arch9wavefront6targetE1EEEvSH_ ; -- Begin function _ZN7rocprim17ROCPRIM_400000_NS6detail17trampoline_kernelINS0_14default_configENS1_36segmented_radix_sort_config_selectorIllEEZNS1_25segmented_radix_sort_implIS3_Lb0EPKlPlS8_S9_N2at6native12_GLOBAL__N_18offset_tEEE10hipError_tPvRmT1_PNSt15iterator_traitsISH_E10value_typeET2_T3_PNSI_ISN_E10value_typeET4_jRbjT5_ST_jjP12ihipStream_tbEUlT_E0_NS1_11comp_targetILNS1_3genE10ELNS1_11target_archE1201ELNS1_3gpuE5ELNS1_3repE0EEENS1_60segmented_radix_sort_warp_sort_medium_config_static_selectorELNS0_4arch9wavefront6targetE1EEEvSH_
	.p2align	8
	.type	_ZN7rocprim17ROCPRIM_400000_NS6detail17trampoline_kernelINS0_14default_configENS1_36segmented_radix_sort_config_selectorIllEEZNS1_25segmented_radix_sort_implIS3_Lb0EPKlPlS8_S9_N2at6native12_GLOBAL__N_18offset_tEEE10hipError_tPvRmT1_PNSt15iterator_traitsISH_E10value_typeET2_T3_PNSI_ISN_E10value_typeET4_jRbjT5_ST_jjP12ihipStream_tbEUlT_E0_NS1_11comp_targetILNS1_3genE10ELNS1_11target_archE1201ELNS1_3gpuE5ELNS1_3repE0EEENS1_60segmented_radix_sort_warp_sort_medium_config_static_selectorELNS0_4arch9wavefront6targetE1EEEvSH_,@function
_ZN7rocprim17ROCPRIM_400000_NS6detail17trampoline_kernelINS0_14default_configENS1_36segmented_radix_sort_config_selectorIllEEZNS1_25segmented_radix_sort_implIS3_Lb0EPKlPlS8_S9_N2at6native12_GLOBAL__N_18offset_tEEE10hipError_tPvRmT1_PNSt15iterator_traitsISH_E10value_typeET2_T3_PNSI_ISN_E10value_typeET4_jRbjT5_ST_jjP12ihipStream_tbEUlT_E0_NS1_11comp_targetILNS1_3genE10ELNS1_11target_archE1201ELNS1_3gpuE5ELNS1_3repE0EEENS1_60segmented_radix_sort_warp_sort_medium_config_static_selectorELNS0_4arch9wavefront6targetE1EEEvSH_: ; @_ZN7rocprim17ROCPRIM_400000_NS6detail17trampoline_kernelINS0_14default_configENS1_36segmented_radix_sort_config_selectorIllEEZNS1_25segmented_radix_sort_implIS3_Lb0EPKlPlS8_S9_N2at6native12_GLOBAL__N_18offset_tEEE10hipError_tPvRmT1_PNSt15iterator_traitsISH_E10value_typeET2_T3_PNSI_ISN_E10value_typeET4_jRbjT5_ST_jjP12ihipStream_tbEUlT_E0_NS1_11comp_targetILNS1_3genE10ELNS1_11target_archE1201ELNS1_3gpuE5ELNS1_3repE0EEENS1_60segmented_radix_sort_warp_sort_medium_config_static_selectorELNS0_4arch9wavefront6targetE1EEEvSH_
; %bb.0:
	.section	.rodata,"a",@progbits
	.p2align	6, 0x0
	.amdhsa_kernel _ZN7rocprim17ROCPRIM_400000_NS6detail17trampoline_kernelINS0_14default_configENS1_36segmented_radix_sort_config_selectorIllEEZNS1_25segmented_radix_sort_implIS3_Lb0EPKlPlS8_S9_N2at6native12_GLOBAL__N_18offset_tEEE10hipError_tPvRmT1_PNSt15iterator_traitsISH_E10value_typeET2_T3_PNSI_ISN_E10value_typeET4_jRbjT5_ST_jjP12ihipStream_tbEUlT_E0_NS1_11comp_targetILNS1_3genE10ELNS1_11target_archE1201ELNS1_3gpuE5ELNS1_3repE0EEENS1_60segmented_radix_sort_warp_sort_medium_config_static_selectorELNS0_4arch9wavefront6targetE1EEEvSH_
		.amdhsa_group_segment_fixed_size 0
		.amdhsa_private_segment_fixed_size 0
		.amdhsa_kernarg_size 88
		.amdhsa_user_sgpr_count 6
		.amdhsa_user_sgpr_private_segment_buffer 1
		.amdhsa_user_sgpr_dispatch_ptr 0
		.amdhsa_user_sgpr_queue_ptr 0
		.amdhsa_user_sgpr_kernarg_segment_ptr 1
		.amdhsa_user_sgpr_dispatch_id 0
		.amdhsa_user_sgpr_flat_scratch_init 0
		.amdhsa_user_sgpr_kernarg_preload_length 0
		.amdhsa_user_sgpr_kernarg_preload_offset 0
		.amdhsa_user_sgpr_private_segment_size 0
		.amdhsa_uses_dynamic_stack 0
		.amdhsa_system_sgpr_private_segment_wavefront_offset 0
		.amdhsa_system_sgpr_workgroup_id_x 1
		.amdhsa_system_sgpr_workgroup_id_y 0
		.amdhsa_system_sgpr_workgroup_id_z 0
		.amdhsa_system_sgpr_workgroup_info 0
		.amdhsa_system_vgpr_workitem_id 0
		.amdhsa_next_free_vgpr 1
		.amdhsa_next_free_sgpr 0
		.amdhsa_accum_offset 4
		.amdhsa_reserve_vcc 0
		.amdhsa_reserve_flat_scratch 0
		.amdhsa_float_round_mode_32 0
		.amdhsa_float_round_mode_16_64 0
		.amdhsa_float_denorm_mode_32 3
		.amdhsa_float_denorm_mode_16_64 3
		.amdhsa_dx10_clamp 1
		.amdhsa_ieee_mode 1
		.amdhsa_fp16_overflow 0
		.amdhsa_tg_split 0
		.amdhsa_exception_fp_ieee_invalid_op 0
		.amdhsa_exception_fp_denorm_src 0
		.amdhsa_exception_fp_ieee_div_zero 0
		.amdhsa_exception_fp_ieee_overflow 0
		.amdhsa_exception_fp_ieee_underflow 0
		.amdhsa_exception_fp_ieee_inexact 0
		.amdhsa_exception_int_div_zero 0
	.end_amdhsa_kernel
	.section	.text._ZN7rocprim17ROCPRIM_400000_NS6detail17trampoline_kernelINS0_14default_configENS1_36segmented_radix_sort_config_selectorIllEEZNS1_25segmented_radix_sort_implIS3_Lb0EPKlPlS8_S9_N2at6native12_GLOBAL__N_18offset_tEEE10hipError_tPvRmT1_PNSt15iterator_traitsISH_E10value_typeET2_T3_PNSI_ISN_E10value_typeET4_jRbjT5_ST_jjP12ihipStream_tbEUlT_E0_NS1_11comp_targetILNS1_3genE10ELNS1_11target_archE1201ELNS1_3gpuE5ELNS1_3repE0EEENS1_60segmented_radix_sort_warp_sort_medium_config_static_selectorELNS0_4arch9wavefront6targetE1EEEvSH_,"axG",@progbits,_ZN7rocprim17ROCPRIM_400000_NS6detail17trampoline_kernelINS0_14default_configENS1_36segmented_radix_sort_config_selectorIllEEZNS1_25segmented_radix_sort_implIS3_Lb0EPKlPlS8_S9_N2at6native12_GLOBAL__N_18offset_tEEE10hipError_tPvRmT1_PNSt15iterator_traitsISH_E10value_typeET2_T3_PNSI_ISN_E10value_typeET4_jRbjT5_ST_jjP12ihipStream_tbEUlT_E0_NS1_11comp_targetILNS1_3genE10ELNS1_11target_archE1201ELNS1_3gpuE5ELNS1_3repE0EEENS1_60segmented_radix_sort_warp_sort_medium_config_static_selectorELNS0_4arch9wavefront6targetE1EEEvSH_,comdat
.Lfunc_end823:
	.size	_ZN7rocprim17ROCPRIM_400000_NS6detail17trampoline_kernelINS0_14default_configENS1_36segmented_radix_sort_config_selectorIllEEZNS1_25segmented_radix_sort_implIS3_Lb0EPKlPlS8_S9_N2at6native12_GLOBAL__N_18offset_tEEE10hipError_tPvRmT1_PNSt15iterator_traitsISH_E10value_typeET2_T3_PNSI_ISN_E10value_typeET4_jRbjT5_ST_jjP12ihipStream_tbEUlT_E0_NS1_11comp_targetILNS1_3genE10ELNS1_11target_archE1201ELNS1_3gpuE5ELNS1_3repE0EEENS1_60segmented_radix_sort_warp_sort_medium_config_static_selectorELNS0_4arch9wavefront6targetE1EEEvSH_, .Lfunc_end823-_ZN7rocprim17ROCPRIM_400000_NS6detail17trampoline_kernelINS0_14default_configENS1_36segmented_radix_sort_config_selectorIllEEZNS1_25segmented_radix_sort_implIS3_Lb0EPKlPlS8_S9_N2at6native12_GLOBAL__N_18offset_tEEE10hipError_tPvRmT1_PNSt15iterator_traitsISH_E10value_typeET2_T3_PNSI_ISN_E10value_typeET4_jRbjT5_ST_jjP12ihipStream_tbEUlT_E0_NS1_11comp_targetILNS1_3genE10ELNS1_11target_archE1201ELNS1_3gpuE5ELNS1_3repE0EEENS1_60segmented_radix_sort_warp_sort_medium_config_static_selectorELNS0_4arch9wavefront6targetE1EEEvSH_
                                        ; -- End function
	.section	.AMDGPU.csdata,"",@progbits
; Kernel info:
; codeLenInByte = 0
; NumSgprs: 4
; NumVgprs: 0
; NumAgprs: 0
; TotalNumVgprs: 0
; ScratchSize: 0
; MemoryBound: 0
; FloatMode: 240
; IeeeMode: 1
; LDSByteSize: 0 bytes/workgroup (compile time only)
; SGPRBlocks: 0
; VGPRBlocks: 0
; NumSGPRsForWavesPerEU: 4
; NumVGPRsForWavesPerEU: 1
; AccumOffset: 4
; Occupancy: 8
; WaveLimiterHint : 0
; COMPUTE_PGM_RSRC2:SCRATCH_EN: 0
; COMPUTE_PGM_RSRC2:USER_SGPR: 6
; COMPUTE_PGM_RSRC2:TRAP_HANDLER: 0
; COMPUTE_PGM_RSRC2:TGID_X_EN: 1
; COMPUTE_PGM_RSRC2:TGID_Y_EN: 0
; COMPUTE_PGM_RSRC2:TGID_Z_EN: 0
; COMPUTE_PGM_RSRC2:TIDIG_COMP_CNT: 0
; COMPUTE_PGM_RSRC3_GFX90A:ACCUM_OFFSET: 0
; COMPUTE_PGM_RSRC3_GFX90A:TG_SPLIT: 0
	.section	.text._ZN7rocprim17ROCPRIM_400000_NS6detail17trampoline_kernelINS0_14default_configENS1_36segmented_radix_sort_config_selectorIllEEZNS1_25segmented_radix_sort_implIS3_Lb0EPKlPlS8_S9_N2at6native12_GLOBAL__N_18offset_tEEE10hipError_tPvRmT1_PNSt15iterator_traitsISH_E10value_typeET2_T3_PNSI_ISN_E10value_typeET4_jRbjT5_ST_jjP12ihipStream_tbEUlT_E0_NS1_11comp_targetILNS1_3genE10ELNS1_11target_archE1200ELNS1_3gpuE4ELNS1_3repE0EEENS1_60segmented_radix_sort_warp_sort_medium_config_static_selectorELNS0_4arch9wavefront6targetE1EEEvSH_,"axG",@progbits,_ZN7rocprim17ROCPRIM_400000_NS6detail17trampoline_kernelINS0_14default_configENS1_36segmented_radix_sort_config_selectorIllEEZNS1_25segmented_radix_sort_implIS3_Lb0EPKlPlS8_S9_N2at6native12_GLOBAL__N_18offset_tEEE10hipError_tPvRmT1_PNSt15iterator_traitsISH_E10value_typeET2_T3_PNSI_ISN_E10value_typeET4_jRbjT5_ST_jjP12ihipStream_tbEUlT_E0_NS1_11comp_targetILNS1_3genE10ELNS1_11target_archE1200ELNS1_3gpuE4ELNS1_3repE0EEENS1_60segmented_radix_sort_warp_sort_medium_config_static_selectorELNS0_4arch9wavefront6targetE1EEEvSH_,comdat
	.globl	_ZN7rocprim17ROCPRIM_400000_NS6detail17trampoline_kernelINS0_14default_configENS1_36segmented_radix_sort_config_selectorIllEEZNS1_25segmented_radix_sort_implIS3_Lb0EPKlPlS8_S9_N2at6native12_GLOBAL__N_18offset_tEEE10hipError_tPvRmT1_PNSt15iterator_traitsISH_E10value_typeET2_T3_PNSI_ISN_E10value_typeET4_jRbjT5_ST_jjP12ihipStream_tbEUlT_E0_NS1_11comp_targetILNS1_3genE10ELNS1_11target_archE1200ELNS1_3gpuE4ELNS1_3repE0EEENS1_60segmented_radix_sort_warp_sort_medium_config_static_selectorELNS0_4arch9wavefront6targetE1EEEvSH_ ; -- Begin function _ZN7rocprim17ROCPRIM_400000_NS6detail17trampoline_kernelINS0_14default_configENS1_36segmented_radix_sort_config_selectorIllEEZNS1_25segmented_radix_sort_implIS3_Lb0EPKlPlS8_S9_N2at6native12_GLOBAL__N_18offset_tEEE10hipError_tPvRmT1_PNSt15iterator_traitsISH_E10value_typeET2_T3_PNSI_ISN_E10value_typeET4_jRbjT5_ST_jjP12ihipStream_tbEUlT_E0_NS1_11comp_targetILNS1_3genE10ELNS1_11target_archE1200ELNS1_3gpuE4ELNS1_3repE0EEENS1_60segmented_radix_sort_warp_sort_medium_config_static_selectorELNS0_4arch9wavefront6targetE1EEEvSH_
	.p2align	8
	.type	_ZN7rocprim17ROCPRIM_400000_NS6detail17trampoline_kernelINS0_14default_configENS1_36segmented_radix_sort_config_selectorIllEEZNS1_25segmented_radix_sort_implIS3_Lb0EPKlPlS8_S9_N2at6native12_GLOBAL__N_18offset_tEEE10hipError_tPvRmT1_PNSt15iterator_traitsISH_E10value_typeET2_T3_PNSI_ISN_E10value_typeET4_jRbjT5_ST_jjP12ihipStream_tbEUlT_E0_NS1_11comp_targetILNS1_3genE10ELNS1_11target_archE1200ELNS1_3gpuE4ELNS1_3repE0EEENS1_60segmented_radix_sort_warp_sort_medium_config_static_selectorELNS0_4arch9wavefront6targetE1EEEvSH_,@function
_ZN7rocprim17ROCPRIM_400000_NS6detail17trampoline_kernelINS0_14default_configENS1_36segmented_radix_sort_config_selectorIllEEZNS1_25segmented_radix_sort_implIS3_Lb0EPKlPlS8_S9_N2at6native12_GLOBAL__N_18offset_tEEE10hipError_tPvRmT1_PNSt15iterator_traitsISH_E10value_typeET2_T3_PNSI_ISN_E10value_typeET4_jRbjT5_ST_jjP12ihipStream_tbEUlT_E0_NS1_11comp_targetILNS1_3genE10ELNS1_11target_archE1200ELNS1_3gpuE4ELNS1_3repE0EEENS1_60segmented_radix_sort_warp_sort_medium_config_static_selectorELNS0_4arch9wavefront6targetE1EEEvSH_: ; @_ZN7rocprim17ROCPRIM_400000_NS6detail17trampoline_kernelINS0_14default_configENS1_36segmented_radix_sort_config_selectorIllEEZNS1_25segmented_radix_sort_implIS3_Lb0EPKlPlS8_S9_N2at6native12_GLOBAL__N_18offset_tEEE10hipError_tPvRmT1_PNSt15iterator_traitsISH_E10value_typeET2_T3_PNSI_ISN_E10value_typeET4_jRbjT5_ST_jjP12ihipStream_tbEUlT_E0_NS1_11comp_targetILNS1_3genE10ELNS1_11target_archE1200ELNS1_3gpuE4ELNS1_3repE0EEENS1_60segmented_radix_sort_warp_sort_medium_config_static_selectorELNS0_4arch9wavefront6targetE1EEEvSH_
; %bb.0:
	.section	.rodata,"a",@progbits
	.p2align	6, 0x0
	.amdhsa_kernel _ZN7rocprim17ROCPRIM_400000_NS6detail17trampoline_kernelINS0_14default_configENS1_36segmented_radix_sort_config_selectorIllEEZNS1_25segmented_radix_sort_implIS3_Lb0EPKlPlS8_S9_N2at6native12_GLOBAL__N_18offset_tEEE10hipError_tPvRmT1_PNSt15iterator_traitsISH_E10value_typeET2_T3_PNSI_ISN_E10value_typeET4_jRbjT5_ST_jjP12ihipStream_tbEUlT_E0_NS1_11comp_targetILNS1_3genE10ELNS1_11target_archE1200ELNS1_3gpuE4ELNS1_3repE0EEENS1_60segmented_radix_sort_warp_sort_medium_config_static_selectorELNS0_4arch9wavefront6targetE1EEEvSH_
		.amdhsa_group_segment_fixed_size 0
		.amdhsa_private_segment_fixed_size 0
		.amdhsa_kernarg_size 88
		.amdhsa_user_sgpr_count 6
		.amdhsa_user_sgpr_private_segment_buffer 1
		.amdhsa_user_sgpr_dispatch_ptr 0
		.amdhsa_user_sgpr_queue_ptr 0
		.amdhsa_user_sgpr_kernarg_segment_ptr 1
		.amdhsa_user_sgpr_dispatch_id 0
		.amdhsa_user_sgpr_flat_scratch_init 0
		.amdhsa_user_sgpr_kernarg_preload_length 0
		.amdhsa_user_sgpr_kernarg_preload_offset 0
		.amdhsa_user_sgpr_private_segment_size 0
		.amdhsa_uses_dynamic_stack 0
		.amdhsa_system_sgpr_private_segment_wavefront_offset 0
		.amdhsa_system_sgpr_workgroup_id_x 1
		.amdhsa_system_sgpr_workgroup_id_y 0
		.amdhsa_system_sgpr_workgroup_id_z 0
		.amdhsa_system_sgpr_workgroup_info 0
		.amdhsa_system_vgpr_workitem_id 0
		.amdhsa_next_free_vgpr 1
		.amdhsa_next_free_sgpr 0
		.amdhsa_accum_offset 4
		.amdhsa_reserve_vcc 0
		.amdhsa_reserve_flat_scratch 0
		.amdhsa_float_round_mode_32 0
		.amdhsa_float_round_mode_16_64 0
		.amdhsa_float_denorm_mode_32 3
		.amdhsa_float_denorm_mode_16_64 3
		.amdhsa_dx10_clamp 1
		.amdhsa_ieee_mode 1
		.amdhsa_fp16_overflow 0
		.amdhsa_tg_split 0
		.amdhsa_exception_fp_ieee_invalid_op 0
		.amdhsa_exception_fp_denorm_src 0
		.amdhsa_exception_fp_ieee_div_zero 0
		.amdhsa_exception_fp_ieee_overflow 0
		.amdhsa_exception_fp_ieee_underflow 0
		.amdhsa_exception_fp_ieee_inexact 0
		.amdhsa_exception_int_div_zero 0
	.end_amdhsa_kernel
	.section	.text._ZN7rocprim17ROCPRIM_400000_NS6detail17trampoline_kernelINS0_14default_configENS1_36segmented_radix_sort_config_selectorIllEEZNS1_25segmented_radix_sort_implIS3_Lb0EPKlPlS8_S9_N2at6native12_GLOBAL__N_18offset_tEEE10hipError_tPvRmT1_PNSt15iterator_traitsISH_E10value_typeET2_T3_PNSI_ISN_E10value_typeET4_jRbjT5_ST_jjP12ihipStream_tbEUlT_E0_NS1_11comp_targetILNS1_3genE10ELNS1_11target_archE1200ELNS1_3gpuE4ELNS1_3repE0EEENS1_60segmented_radix_sort_warp_sort_medium_config_static_selectorELNS0_4arch9wavefront6targetE1EEEvSH_,"axG",@progbits,_ZN7rocprim17ROCPRIM_400000_NS6detail17trampoline_kernelINS0_14default_configENS1_36segmented_radix_sort_config_selectorIllEEZNS1_25segmented_radix_sort_implIS3_Lb0EPKlPlS8_S9_N2at6native12_GLOBAL__N_18offset_tEEE10hipError_tPvRmT1_PNSt15iterator_traitsISH_E10value_typeET2_T3_PNSI_ISN_E10value_typeET4_jRbjT5_ST_jjP12ihipStream_tbEUlT_E0_NS1_11comp_targetILNS1_3genE10ELNS1_11target_archE1200ELNS1_3gpuE4ELNS1_3repE0EEENS1_60segmented_radix_sort_warp_sort_medium_config_static_selectorELNS0_4arch9wavefront6targetE1EEEvSH_,comdat
.Lfunc_end824:
	.size	_ZN7rocprim17ROCPRIM_400000_NS6detail17trampoline_kernelINS0_14default_configENS1_36segmented_radix_sort_config_selectorIllEEZNS1_25segmented_radix_sort_implIS3_Lb0EPKlPlS8_S9_N2at6native12_GLOBAL__N_18offset_tEEE10hipError_tPvRmT1_PNSt15iterator_traitsISH_E10value_typeET2_T3_PNSI_ISN_E10value_typeET4_jRbjT5_ST_jjP12ihipStream_tbEUlT_E0_NS1_11comp_targetILNS1_3genE10ELNS1_11target_archE1200ELNS1_3gpuE4ELNS1_3repE0EEENS1_60segmented_radix_sort_warp_sort_medium_config_static_selectorELNS0_4arch9wavefront6targetE1EEEvSH_, .Lfunc_end824-_ZN7rocprim17ROCPRIM_400000_NS6detail17trampoline_kernelINS0_14default_configENS1_36segmented_radix_sort_config_selectorIllEEZNS1_25segmented_radix_sort_implIS3_Lb0EPKlPlS8_S9_N2at6native12_GLOBAL__N_18offset_tEEE10hipError_tPvRmT1_PNSt15iterator_traitsISH_E10value_typeET2_T3_PNSI_ISN_E10value_typeET4_jRbjT5_ST_jjP12ihipStream_tbEUlT_E0_NS1_11comp_targetILNS1_3genE10ELNS1_11target_archE1200ELNS1_3gpuE4ELNS1_3repE0EEENS1_60segmented_radix_sort_warp_sort_medium_config_static_selectorELNS0_4arch9wavefront6targetE1EEEvSH_
                                        ; -- End function
	.section	.AMDGPU.csdata,"",@progbits
; Kernel info:
; codeLenInByte = 0
; NumSgprs: 4
; NumVgprs: 0
; NumAgprs: 0
; TotalNumVgprs: 0
; ScratchSize: 0
; MemoryBound: 0
; FloatMode: 240
; IeeeMode: 1
; LDSByteSize: 0 bytes/workgroup (compile time only)
; SGPRBlocks: 0
; VGPRBlocks: 0
; NumSGPRsForWavesPerEU: 4
; NumVGPRsForWavesPerEU: 1
; AccumOffset: 4
; Occupancy: 8
; WaveLimiterHint : 0
; COMPUTE_PGM_RSRC2:SCRATCH_EN: 0
; COMPUTE_PGM_RSRC2:USER_SGPR: 6
; COMPUTE_PGM_RSRC2:TRAP_HANDLER: 0
; COMPUTE_PGM_RSRC2:TGID_X_EN: 1
; COMPUTE_PGM_RSRC2:TGID_Y_EN: 0
; COMPUTE_PGM_RSRC2:TGID_Z_EN: 0
; COMPUTE_PGM_RSRC2:TIDIG_COMP_CNT: 0
; COMPUTE_PGM_RSRC3_GFX90A:ACCUM_OFFSET: 0
; COMPUTE_PGM_RSRC3_GFX90A:TG_SPLIT: 0
	.section	.text._ZN7rocprim17ROCPRIM_400000_NS6detail17trampoline_kernelINS0_14default_configENS1_36segmented_radix_sort_config_selectorIllEEZNS1_25segmented_radix_sort_implIS3_Lb0EPKlPlS8_S9_N2at6native12_GLOBAL__N_18offset_tEEE10hipError_tPvRmT1_PNSt15iterator_traitsISH_E10value_typeET2_T3_PNSI_ISN_E10value_typeET4_jRbjT5_ST_jjP12ihipStream_tbEUlT_E0_NS1_11comp_targetILNS1_3genE9ELNS1_11target_archE1100ELNS1_3gpuE3ELNS1_3repE0EEENS1_60segmented_radix_sort_warp_sort_medium_config_static_selectorELNS0_4arch9wavefront6targetE1EEEvSH_,"axG",@progbits,_ZN7rocprim17ROCPRIM_400000_NS6detail17trampoline_kernelINS0_14default_configENS1_36segmented_radix_sort_config_selectorIllEEZNS1_25segmented_radix_sort_implIS3_Lb0EPKlPlS8_S9_N2at6native12_GLOBAL__N_18offset_tEEE10hipError_tPvRmT1_PNSt15iterator_traitsISH_E10value_typeET2_T3_PNSI_ISN_E10value_typeET4_jRbjT5_ST_jjP12ihipStream_tbEUlT_E0_NS1_11comp_targetILNS1_3genE9ELNS1_11target_archE1100ELNS1_3gpuE3ELNS1_3repE0EEENS1_60segmented_radix_sort_warp_sort_medium_config_static_selectorELNS0_4arch9wavefront6targetE1EEEvSH_,comdat
	.globl	_ZN7rocprim17ROCPRIM_400000_NS6detail17trampoline_kernelINS0_14default_configENS1_36segmented_radix_sort_config_selectorIllEEZNS1_25segmented_radix_sort_implIS3_Lb0EPKlPlS8_S9_N2at6native12_GLOBAL__N_18offset_tEEE10hipError_tPvRmT1_PNSt15iterator_traitsISH_E10value_typeET2_T3_PNSI_ISN_E10value_typeET4_jRbjT5_ST_jjP12ihipStream_tbEUlT_E0_NS1_11comp_targetILNS1_3genE9ELNS1_11target_archE1100ELNS1_3gpuE3ELNS1_3repE0EEENS1_60segmented_radix_sort_warp_sort_medium_config_static_selectorELNS0_4arch9wavefront6targetE1EEEvSH_ ; -- Begin function _ZN7rocprim17ROCPRIM_400000_NS6detail17trampoline_kernelINS0_14default_configENS1_36segmented_radix_sort_config_selectorIllEEZNS1_25segmented_radix_sort_implIS3_Lb0EPKlPlS8_S9_N2at6native12_GLOBAL__N_18offset_tEEE10hipError_tPvRmT1_PNSt15iterator_traitsISH_E10value_typeET2_T3_PNSI_ISN_E10value_typeET4_jRbjT5_ST_jjP12ihipStream_tbEUlT_E0_NS1_11comp_targetILNS1_3genE9ELNS1_11target_archE1100ELNS1_3gpuE3ELNS1_3repE0EEENS1_60segmented_radix_sort_warp_sort_medium_config_static_selectorELNS0_4arch9wavefront6targetE1EEEvSH_
	.p2align	8
	.type	_ZN7rocprim17ROCPRIM_400000_NS6detail17trampoline_kernelINS0_14default_configENS1_36segmented_radix_sort_config_selectorIllEEZNS1_25segmented_radix_sort_implIS3_Lb0EPKlPlS8_S9_N2at6native12_GLOBAL__N_18offset_tEEE10hipError_tPvRmT1_PNSt15iterator_traitsISH_E10value_typeET2_T3_PNSI_ISN_E10value_typeET4_jRbjT5_ST_jjP12ihipStream_tbEUlT_E0_NS1_11comp_targetILNS1_3genE9ELNS1_11target_archE1100ELNS1_3gpuE3ELNS1_3repE0EEENS1_60segmented_radix_sort_warp_sort_medium_config_static_selectorELNS0_4arch9wavefront6targetE1EEEvSH_,@function
_ZN7rocprim17ROCPRIM_400000_NS6detail17trampoline_kernelINS0_14default_configENS1_36segmented_radix_sort_config_selectorIllEEZNS1_25segmented_radix_sort_implIS3_Lb0EPKlPlS8_S9_N2at6native12_GLOBAL__N_18offset_tEEE10hipError_tPvRmT1_PNSt15iterator_traitsISH_E10value_typeET2_T3_PNSI_ISN_E10value_typeET4_jRbjT5_ST_jjP12ihipStream_tbEUlT_E0_NS1_11comp_targetILNS1_3genE9ELNS1_11target_archE1100ELNS1_3gpuE3ELNS1_3repE0EEENS1_60segmented_radix_sort_warp_sort_medium_config_static_selectorELNS0_4arch9wavefront6targetE1EEEvSH_: ; @_ZN7rocprim17ROCPRIM_400000_NS6detail17trampoline_kernelINS0_14default_configENS1_36segmented_radix_sort_config_selectorIllEEZNS1_25segmented_radix_sort_implIS3_Lb0EPKlPlS8_S9_N2at6native12_GLOBAL__N_18offset_tEEE10hipError_tPvRmT1_PNSt15iterator_traitsISH_E10value_typeET2_T3_PNSI_ISN_E10value_typeET4_jRbjT5_ST_jjP12ihipStream_tbEUlT_E0_NS1_11comp_targetILNS1_3genE9ELNS1_11target_archE1100ELNS1_3gpuE3ELNS1_3repE0EEENS1_60segmented_radix_sort_warp_sort_medium_config_static_selectorELNS0_4arch9wavefront6targetE1EEEvSH_
; %bb.0:
	.section	.rodata,"a",@progbits
	.p2align	6, 0x0
	.amdhsa_kernel _ZN7rocprim17ROCPRIM_400000_NS6detail17trampoline_kernelINS0_14default_configENS1_36segmented_radix_sort_config_selectorIllEEZNS1_25segmented_radix_sort_implIS3_Lb0EPKlPlS8_S9_N2at6native12_GLOBAL__N_18offset_tEEE10hipError_tPvRmT1_PNSt15iterator_traitsISH_E10value_typeET2_T3_PNSI_ISN_E10value_typeET4_jRbjT5_ST_jjP12ihipStream_tbEUlT_E0_NS1_11comp_targetILNS1_3genE9ELNS1_11target_archE1100ELNS1_3gpuE3ELNS1_3repE0EEENS1_60segmented_radix_sort_warp_sort_medium_config_static_selectorELNS0_4arch9wavefront6targetE1EEEvSH_
		.amdhsa_group_segment_fixed_size 0
		.amdhsa_private_segment_fixed_size 0
		.amdhsa_kernarg_size 88
		.amdhsa_user_sgpr_count 6
		.amdhsa_user_sgpr_private_segment_buffer 1
		.amdhsa_user_sgpr_dispatch_ptr 0
		.amdhsa_user_sgpr_queue_ptr 0
		.amdhsa_user_sgpr_kernarg_segment_ptr 1
		.amdhsa_user_sgpr_dispatch_id 0
		.amdhsa_user_sgpr_flat_scratch_init 0
		.amdhsa_user_sgpr_kernarg_preload_length 0
		.amdhsa_user_sgpr_kernarg_preload_offset 0
		.amdhsa_user_sgpr_private_segment_size 0
		.amdhsa_uses_dynamic_stack 0
		.amdhsa_system_sgpr_private_segment_wavefront_offset 0
		.amdhsa_system_sgpr_workgroup_id_x 1
		.amdhsa_system_sgpr_workgroup_id_y 0
		.amdhsa_system_sgpr_workgroup_id_z 0
		.amdhsa_system_sgpr_workgroup_info 0
		.amdhsa_system_vgpr_workitem_id 0
		.amdhsa_next_free_vgpr 1
		.amdhsa_next_free_sgpr 0
		.amdhsa_accum_offset 4
		.amdhsa_reserve_vcc 0
		.amdhsa_reserve_flat_scratch 0
		.amdhsa_float_round_mode_32 0
		.amdhsa_float_round_mode_16_64 0
		.amdhsa_float_denorm_mode_32 3
		.amdhsa_float_denorm_mode_16_64 3
		.amdhsa_dx10_clamp 1
		.amdhsa_ieee_mode 1
		.amdhsa_fp16_overflow 0
		.amdhsa_tg_split 0
		.amdhsa_exception_fp_ieee_invalid_op 0
		.amdhsa_exception_fp_denorm_src 0
		.amdhsa_exception_fp_ieee_div_zero 0
		.amdhsa_exception_fp_ieee_overflow 0
		.amdhsa_exception_fp_ieee_underflow 0
		.amdhsa_exception_fp_ieee_inexact 0
		.amdhsa_exception_int_div_zero 0
	.end_amdhsa_kernel
	.section	.text._ZN7rocprim17ROCPRIM_400000_NS6detail17trampoline_kernelINS0_14default_configENS1_36segmented_radix_sort_config_selectorIllEEZNS1_25segmented_radix_sort_implIS3_Lb0EPKlPlS8_S9_N2at6native12_GLOBAL__N_18offset_tEEE10hipError_tPvRmT1_PNSt15iterator_traitsISH_E10value_typeET2_T3_PNSI_ISN_E10value_typeET4_jRbjT5_ST_jjP12ihipStream_tbEUlT_E0_NS1_11comp_targetILNS1_3genE9ELNS1_11target_archE1100ELNS1_3gpuE3ELNS1_3repE0EEENS1_60segmented_radix_sort_warp_sort_medium_config_static_selectorELNS0_4arch9wavefront6targetE1EEEvSH_,"axG",@progbits,_ZN7rocprim17ROCPRIM_400000_NS6detail17trampoline_kernelINS0_14default_configENS1_36segmented_radix_sort_config_selectorIllEEZNS1_25segmented_radix_sort_implIS3_Lb0EPKlPlS8_S9_N2at6native12_GLOBAL__N_18offset_tEEE10hipError_tPvRmT1_PNSt15iterator_traitsISH_E10value_typeET2_T3_PNSI_ISN_E10value_typeET4_jRbjT5_ST_jjP12ihipStream_tbEUlT_E0_NS1_11comp_targetILNS1_3genE9ELNS1_11target_archE1100ELNS1_3gpuE3ELNS1_3repE0EEENS1_60segmented_radix_sort_warp_sort_medium_config_static_selectorELNS0_4arch9wavefront6targetE1EEEvSH_,comdat
.Lfunc_end825:
	.size	_ZN7rocprim17ROCPRIM_400000_NS6detail17trampoline_kernelINS0_14default_configENS1_36segmented_radix_sort_config_selectorIllEEZNS1_25segmented_radix_sort_implIS3_Lb0EPKlPlS8_S9_N2at6native12_GLOBAL__N_18offset_tEEE10hipError_tPvRmT1_PNSt15iterator_traitsISH_E10value_typeET2_T3_PNSI_ISN_E10value_typeET4_jRbjT5_ST_jjP12ihipStream_tbEUlT_E0_NS1_11comp_targetILNS1_3genE9ELNS1_11target_archE1100ELNS1_3gpuE3ELNS1_3repE0EEENS1_60segmented_radix_sort_warp_sort_medium_config_static_selectorELNS0_4arch9wavefront6targetE1EEEvSH_, .Lfunc_end825-_ZN7rocprim17ROCPRIM_400000_NS6detail17trampoline_kernelINS0_14default_configENS1_36segmented_radix_sort_config_selectorIllEEZNS1_25segmented_radix_sort_implIS3_Lb0EPKlPlS8_S9_N2at6native12_GLOBAL__N_18offset_tEEE10hipError_tPvRmT1_PNSt15iterator_traitsISH_E10value_typeET2_T3_PNSI_ISN_E10value_typeET4_jRbjT5_ST_jjP12ihipStream_tbEUlT_E0_NS1_11comp_targetILNS1_3genE9ELNS1_11target_archE1100ELNS1_3gpuE3ELNS1_3repE0EEENS1_60segmented_radix_sort_warp_sort_medium_config_static_selectorELNS0_4arch9wavefront6targetE1EEEvSH_
                                        ; -- End function
	.section	.AMDGPU.csdata,"",@progbits
; Kernel info:
; codeLenInByte = 0
; NumSgprs: 4
; NumVgprs: 0
; NumAgprs: 0
; TotalNumVgprs: 0
; ScratchSize: 0
; MemoryBound: 0
; FloatMode: 240
; IeeeMode: 1
; LDSByteSize: 0 bytes/workgroup (compile time only)
; SGPRBlocks: 0
; VGPRBlocks: 0
; NumSGPRsForWavesPerEU: 4
; NumVGPRsForWavesPerEU: 1
; AccumOffset: 4
; Occupancy: 8
; WaveLimiterHint : 0
; COMPUTE_PGM_RSRC2:SCRATCH_EN: 0
; COMPUTE_PGM_RSRC2:USER_SGPR: 6
; COMPUTE_PGM_RSRC2:TRAP_HANDLER: 0
; COMPUTE_PGM_RSRC2:TGID_X_EN: 1
; COMPUTE_PGM_RSRC2:TGID_Y_EN: 0
; COMPUTE_PGM_RSRC2:TGID_Z_EN: 0
; COMPUTE_PGM_RSRC2:TIDIG_COMP_CNT: 0
; COMPUTE_PGM_RSRC3_GFX90A:ACCUM_OFFSET: 0
; COMPUTE_PGM_RSRC3_GFX90A:TG_SPLIT: 0
	.section	.text._ZN7rocprim17ROCPRIM_400000_NS6detail17trampoline_kernelINS0_14default_configENS1_36segmented_radix_sort_config_selectorIllEEZNS1_25segmented_radix_sort_implIS3_Lb0EPKlPlS8_S9_N2at6native12_GLOBAL__N_18offset_tEEE10hipError_tPvRmT1_PNSt15iterator_traitsISH_E10value_typeET2_T3_PNSI_ISN_E10value_typeET4_jRbjT5_ST_jjP12ihipStream_tbEUlT_E0_NS1_11comp_targetILNS1_3genE8ELNS1_11target_archE1030ELNS1_3gpuE2ELNS1_3repE0EEENS1_60segmented_radix_sort_warp_sort_medium_config_static_selectorELNS0_4arch9wavefront6targetE1EEEvSH_,"axG",@progbits,_ZN7rocprim17ROCPRIM_400000_NS6detail17trampoline_kernelINS0_14default_configENS1_36segmented_radix_sort_config_selectorIllEEZNS1_25segmented_radix_sort_implIS3_Lb0EPKlPlS8_S9_N2at6native12_GLOBAL__N_18offset_tEEE10hipError_tPvRmT1_PNSt15iterator_traitsISH_E10value_typeET2_T3_PNSI_ISN_E10value_typeET4_jRbjT5_ST_jjP12ihipStream_tbEUlT_E0_NS1_11comp_targetILNS1_3genE8ELNS1_11target_archE1030ELNS1_3gpuE2ELNS1_3repE0EEENS1_60segmented_radix_sort_warp_sort_medium_config_static_selectorELNS0_4arch9wavefront6targetE1EEEvSH_,comdat
	.globl	_ZN7rocprim17ROCPRIM_400000_NS6detail17trampoline_kernelINS0_14default_configENS1_36segmented_radix_sort_config_selectorIllEEZNS1_25segmented_radix_sort_implIS3_Lb0EPKlPlS8_S9_N2at6native12_GLOBAL__N_18offset_tEEE10hipError_tPvRmT1_PNSt15iterator_traitsISH_E10value_typeET2_T3_PNSI_ISN_E10value_typeET4_jRbjT5_ST_jjP12ihipStream_tbEUlT_E0_NS1_11comp_targetILNS1_3genE8ELNS1_11target_archE1030ELNS1_3gpuE2ELNS1_3repE0EEENS1_60segmented_radix_sort_warp_sort_medium_config_static_selectorELNS0_4arch9wavefront6targetE1EEEvSH_ ; -- Begin function _ZN7rocprim17ROCPRIM_400000_NS6detail17trampoline_kernelINS0_14default_configENS1_36segmented_radix_sort_config_selectorIllEEZNS1_25segmented_radix_sort_implIS3_Lb0EPKlPlS8_S9_N2at6native12_GLOBAL__N_18offset_tEEE10hipError_tPvRmT1_PNSt15iterator_traitsISH_E10value_typeET2_T3_PNSI_ISN_E10value_typeET4_jRbjT5_ST_jjP12ihipStream_tbEUlT_E0_NS1_11comp_targetILNS1_3genE8ELNS1_11target_archE1030ELNS1_3gpuE2ELNS1_3repE0EEENS1_60segmented_radix_sort_warp_sort_medium_config_static_selectorELNS0_4arch9wavefront6targetE1EEEvSH_
	.p2align	8
	.type	_ZN7rocprim17ROCPRIM_400000_NS6detail17trampoline_kernelINS0_14default_configENS1_36segmented_radix_sort_config_selectorIllEEZNS1_25segmented_radix_sort_implIS3_Lb0EPKlPlS8_S9_N2at6native12_GLOBAL__N_18offset_tEEE10hipError_tPvRmT1_PNSt15iterator_traitsISH_E10value_typeET2_T3_PNSI_ISN_E10value_typeET4_jRbjT5_ST_jjP12ihipStream_tbEUlT_E0_NS1_11comp_targetILNS1_3genE8ELNS1_11target_archE1030ELNS1_3gpuE2ELNS1_3repE0EEENS1_60segmented_radix_sort_warp_sort_medium_config_static_selectorELNS0_4arch9wavefront6targetE1EEEvSH_,@function
_ZN7rocprim17ROCPRIM_400000_NS6detail17trampoline_kernelINS0_14default_configENS1_36segmented_radix_sort_config_selectorIllEEZNS1_25segmented_radix_sort_implIS3_Lb0EPKlPlS8_S9_N2at6native12_GLOBAL__N_18offset_tEEE10hipError_tPvRmT1_PNSt15iterator_traitsISH_E10value_typeET2_T3_PNSI_ISN_E10value_typeET4_jRbjT5_ST_jjP12ihipStream_tbEUlT_E0_NS1_11comp_targetILNS1_3genE8ELNS1_11target_archE1030ELNS1_3gpuE2ELNS1_3repE0EEENS1_60segmented_radix_sort_warp_sort_medium_config_static_selectorELNS0_4arch9wavefront6targetE1EEEvSH_: ; @_ZN7rocprim17ROCPRIM_400000_NS6detail17trampoline_kernelINS0_14default_configENS1_36segmented_radix_sort_config_selectorIllEEZNS1_25segmented_radix_sort_implIS3_Lb0EPKlPlS8_S9_N2at6native12_GLOBAL__N_18offset_tEEE10hipError_tPvRmT1_PNSt15iterator_traitsISH_E10value_typeET2_T3_PNSI_ISN_E10value_typeET4_jRbjT5_ST_jjP12ihipStream_tbEUlT_E0_NS1_11comp_targetILNS1_3genE8ELNS1_11target_archE1030ELNS1_3gpuE2ELNS1_3repE0EEENS1_60segmented_radix_sort_warp_sort_medium_config_static_selectorELNS0_4arch9wavefront6targetE1EEEvSH_
; %bb.0:
	.section	.rodata,"a",@progbits
	.p2align	6, 0x0
	.amdhsa_kernel _ZN7rocprim17ROCPRIM_400000_NS6detail17trampoline_kernelINS0_14default_configENS1_36segmented_radix_sort_config_selectorIllEEZNS1_25segmented_radix_sort_implIS3_Lb0EPKlPlS8_S9_N2at6native12_GLOBAL__N_18offset_tEEE10hipError_tPvRmT1_PNSt15iterator_traitsISH_E10value_typeET2_T3_PNSI_ISN_E10value_typeET4_jRbjT5_ST_jjP12ihipStream_tbEUlT_E0_NS1_11comp_targetILNS1_3genE8ELNS1_11target_archE1030ELNS1_3gpuE2ELNS1_3repE0EEENS1_60segmented_radix_sort_warp_sort_medium_config_static_selectorELNS0_4arch9wavefront6targetE1EEEvSH_
		.amdhsa_group_segment_fixed_size 0
		.amdhsa_private_segment_fixed_size 0
		.amdhsa_kernarg_size 88
		.amdhsa_user_sgpr_count 6
		.amdhsa_user_sgpr_private_segment_buffer 1
		.amdhsa_user_sgpr_dispatch_ptr 0
		.amdhsa_user_sgpr_queue_ptr 0
		.amdhsa_user_sgpr_kernarg_segment_ptr 1
		.amdhsa_user_sgpr_dispatch_id 0
		.amdhsa_user_sgpr_flat_scratch_init 0
		.amdhsa_user_sgpr_kernarg_preload_length 0
		.amdhsa_user_sgpr_kernarg_preload_offset 0
		.amdhsa_user_sgpr_private_segment_size 0
		.amdhsa_uses_dynamic_stack 0
		.amdhsa_system_sgpr_private_segment_wavefront_offset 0
		.amdhsa_system_sgpr_workgroup_id_x 1
		.amdhsa_system_sgpr_workgroup_id_y 0
		.amdhsa_system_sgpr_workgroup_id_z 0
		.amdhsa_system_sgpr_workgroup_info 0
		.amdhsa_system_vgpr_workitem_id 0
		.amdhsa_next_free_vgpr 1
		.amdhsa_next_free_sgpr 0
		.amdhsa_accum_offset 4
		.amdhsa_reserve_vcc 0
		.amdhsa_reserve_flat_scratch 0
		.amdhsa_float_round_mode_32 0
		.amdhsa_float_round_mode_16_64 0
		.amdhsa_float_denorm_mode_32 3
		.amdhsa_float_denorm_mode_16_64 3
		.amdhsa_dx10_clamp 1
		.amdhsa_ieee_mode 1
		.amdhsa_fp16_overflow 0
		.amdhsa_tg_split 0
		.amdhsa_exception_fp_ieee_invalid_op 0
		.amdhsa_exception_fp_denorm_src 0
		.amdhsa_exception_fp_ieee_div_zero 0
		.amdhsa_exception_fp_ieee_overflow 0
		.amdhsa_exception_fp_ieee_underflow 0
		.amdhsa_exception_fp_ieee_inexact 0
		.amdhsa_exception_int_div_zero 0
	.end_amdhsa_kernel
	.section	.text._ZN7rocprim17ROCPRIM_400000_NS6detail17trampoline_kernelINS0_14default_configENS1_36segmented_radix_sort_config_selectorIllEEZNS1_25segmented_radix_sort_implIS3_Lb0EPKlPlS8_S9_N2at6native12_GLOBAL__N_18offset_tEEE10hipError_tPvRmT1_PNSt15iterator_traitsISH_E10value_typeET2_T3_PNSI_ISN_E10value_typeET4_jRbjT5_ST_jjP12ihipStream_tbEUlT_E0_NS1_11comp_targetILNS1_3genE8ELNS1_11target_archE1030ELNS1_3gpuE2ELNS1_3repE0EEENS1_60segmented_radix_sort_warp_sort_medium_config_static_selectorELNS0_4arch9wavefront6targetE1EEEvSH_,"axG",@progbits,_ZN7rocprim17ROCPRIM_400000_NS6detail17trampoline_kernelINS0_14default_configENS1_36segmented_radix_sort_config_selectorIllEEZNS1_25segmented_radix_sort_implIS3_Lb0EPKlPlS8_S9_N2at6native12_GLOBAL__N_18offset_tEEE10hipError_tPvRmT1_PNSt15iterator_traitsISH_E10value_typeET2_T3_PNSI_ISN_E10value_typeET4_jRbjT5_ST_jjP12ihipStream_tbEUlT_E0_NS1_11comp_targetILNS1_3genE8ELNS1_11target_archE1030ELNS1_3gpuE2ELNS1_3repE0EEENS1_60segmented_radix_sort_warp_sort_medium_config_static_selectorELNS0_4arch9wavefront6targetE1EEEvSH_,comdat
.Lfunc_end826:
	.size	_ZN7rocprim17ROCPRIM_400000_NS6detail17trampoline_kernelINS0_14default_configENS1_36segmented_radix_sort_config_selectorIllEEZNS1_25segmented_radix_sort_implIS3_Lb0EPKlPlS8_S9_N2at6native12_GLOBAL__N_18offset_tEEE10hipError_tPvRmT1_PNSt15iterator_traitsISH_E10value_typeET2_T3_PNSI_ISN_E10value_typeET4_jRbjT5_ST_jjP12ihipStream_tbEUlT_E0_NS1_11comp_targetILNS1_3genE8ELNS1_11target_archE1030ELNS1_3gpuE2ELNS1_3repE0EEENS1_60segmented_radix_sort_warp_sort_medium_config_static_selectorELNS0_4arch9wavefront6targetE1EEEvSH_, .Lfunc_end826-_ZN7rocprim17ROCPRIM_400000_NS6detail17trampoline_kernelINS0_14default_configENS1_36segmented_radix_sort_config_selectorIllEEZNS1_25segmented_radix_sort_implIS3_Lb0EPKlPlS8_S9_N2at6native12_GLOBAL__N_18offset_tEEE10hipError_tPvRmT1_PNSt15iterator_traitsISH_E10value_typeET2_T3_PNSI_ISN_E10value_typeET4_jRbjT5_ST_jjP12ihipStream_tbEUlT_E0_NS1_11comp_targetILNS1_3genE8ELNS1_11target_archE1030ELNS1_3gpuE2ELNS1_3repE0EEENS1_60segmented_radix_sort_warp_sort_medium_config_static_selectorELNS0_4arch9wavefront6targetE1EEEvSH_
                                        ; -- End function
	.section	.AMDGPU.csdata,"",@progbits
; Kernel info:
; codeLenInByte = 0
; NumSgprs: 4
; NumVgprs: 0
; NumAgprs: 0
; TotalNumVgprs: 0
; ScratchSize: 0
; MemoryBound: 0
; FloatMode: 240
; IeeeMode: 1
; LDSByteSize: 0 bytes/workgroup (compile time only)
; SGPRBlocks: 0
; VGPRBlocks: 0
; NumSGPRsForWavesPerEU: 4
; NumVGPRsForWavesPerEU: 1
; AccumOffset: 4
; Occupancy: 8
; WaveLimiterHint : 0
; COMPUTE_PGM_RSRC2:SCRATCH_EN: 0
; COMPUTE_PGM_RSRC2:USER_SGPR: 6
; COMPUTE_PGM_RSRC2:TRAP_HANDLER: 0
; COMPUTE_PGM_RSRC2:TGID_X_EN: 1
; COMPUTE_PGM_RSRC2:TGID_Y_EN: 0
; COMPUTE_PGM_RSRC2:TGID_Z_EN: 0
; COMPUTE_PGM_RSRC2:TIDIG_COMP_CNT: 0
; COMPUTE_PGM_RSRC3_GFX90A:ACCUM_OFFSET: 0
; COMPUTE_PGM_RSRC3_GFX90A:TG_SPLIT: 0
	.section	.text._ZN7rocprim17ROCPRIM_400000_NS6detail17trampoline_kernelINS0_14default_configENS1_36segmented_radix_sort_config_selectorIllEEZNS1_25segmented_radix_sort_implIS3_Lb0EPKlPlS8_S9_N2at6native12_GLOBAL__N_18offset_tEEE10hipError_tPvRmT1_PNSt15iterator_traitsISH_E10value_typeET2_T3_PNSI_ISN_E10value_typeET4_jRbjT5_ST_jjP12ihipStream_tbEUlT_E1_NS1_11comp_targetILNS1_3genE0ELNS1_11target_archE4294967295ELNS1_3gpuE0ELNS1_3repE0EEENS1_59segmented_radix_sort_warp_sort_small_config_static_selectorELNS0_4arch9wavefront6targetE1EEEvSH_,"axG",@progbits,_ZN7rocprim17ROCPRIM_400000_NS6detail17trampoline_kernelINS0_14default_configENS1_36segmented_radix_sort_config_selectorIllEEZNS1_25segmented_radix_sort_implIS3_Lb0EPKlPlS8_S9_N2at6native12_GLOBAL__N_18offset_tEEE10hipError_tPvRmT1_PNSt15iterator_traitsISH_E10value_typeET2_T3_PNSI_ISN_E10value_typeET4_jRbjT5_ST_jjP12ihipStream_tbEUlT_E1_NS1_11comp_targetILNS1_3genE0ELNS1_11target_archE4294967295ELNS1_3gpuE0ELNS1_3repE0EEENS1_59segmented_radix_sort_warp_sort_small_config_static_selectorELNS0_4arch9wavefront6targetE1EEEvSH_,comdat
	.globl	_ZN7rocprim17ROCPRIM_400000_NS6detail17trampoline_kernelINS0_14default_configENS1_36segmented_radix_sort_config_selectorIllEEZNS1_25segmented_radix_sort_implIS3_Lb0EPKlPlS8_S9_N2at6native12_GLOBAL__N_18offset_tEEE10hipError_tPvRmT1_PNSt15iterator_traitsISH_E10value_typeET2_T3_PNSI_ISN_E10value_typeET4_jRbjT5_ST_jjP12ihipStream_tbEUlT_E1_NS1_11comp_targetILNS1_3genE0ELNS1_11target_archE4294967295ELNS1_3gpuE0ELNS1_3repE0EEENS1_59segmented_radix_sort_warp_sort_small_config_static_selectorELNS0_4arch9wavefront6targetE1EEEvSH_ ; -- Begin function _ZN7rocprim17ROCPRIM_400000_NS6detail17trampoline_kernelINS0_14default_configENS1_36segmented_radix_sort_config_selectorIllEEZNS1_25segmented_radix_sort_implIS3_Lb0EPKlPlS8_S9_N2at6native12_GLOBAL__N_18offset_tEEE10hipError_tPvRmT1_PNSt15iterator_traitsISH_E10value_typeET2_T3_PNSI_ISN_E10value_typeET4_jRbjT5_ST_jjP12ihipStream_tbEUlT_E1_NS1_11comp_targetILNS1_3genE0ELNS1_11target_archE4294967295ELNS1_3gpuE0ELNS1_3repE0EEENS1_59segmented_radix_sort_warp_sort_small_config_static_selectorELNS0_4arch9wavefront6targetE1EEEvSH_
	.p2align	8
	.type	_ZN7rocprim17ROCPRIM_400000_NS6detail17trampoline_kernelINS0_14default_configENS1_36segmented_radix_sort_config_selectorIllEEZNS1_25segmented_radix_sort_implIS3_Lb0EPKlPlS8_S9_N2at6native12_GLOBAL__N_18offset_tEEE10hipError_tPvRmT1_PNSt15iterator_traitsISH_E10value_typeET2_T3_PNSI_ISN_E10value_typeET4_jRbjT5_ST_jjP12ihipStream_tbEUlT_E1_NS1_11comp_targetILNS1_3genE0ELNS1_11target_archE4294967295ELNS1_3gpuE0ELNS1_3repE0EEENS1_59segmented_radix_sort_warp_sort_small_config_static_selectorELNS0_4arch9wavefront6targetE1EEEvSH_,@function
_ZN7rocprim17ROCPRIM_400000_NS6detail17trampoline_kernelINS0_14default_configENS1_36segmented_radix_sort_config_selectorIllEEZNS1_25segmented_radix_sort_implIS3_Lb0EPKlPlS8_S9_N2at6native12_GLOBAL__N_18offset_tEEE10hipError_tPvRmT1_PNSt15iterator_traitsISH_E10value_typeET2_T3_PNSI_ISN_E10value_typeET4_jRbjT5_ST_jjP12ihipStream_tbEUlT_E1_NS1_11comp_targetILNS1_3genE0ELNS1_11target_archE4294967295ELNS1_3gpuE0ELNS1_3repE0EEENS1_59segmented_radix_sort_warp_sort_small_config_static_selectorELNS0_4arch9wavefront6targetE1EEEvSH_: ; @_ZN7rocprim17ROCPRIM_400000_NS6detail17trampoline_kernelINS0_14default_configENS1_36segmented_radix_sort_config_selectorIllEEZNS1_25segmented_radix_sort_implIS3_Lb0EPKlPlS8_S9_N2at6native12_GLOBAL__N_18offset_tEEE10hipError_tPvRmT1_PNSt15iterator_traitsISH_E10value_typeET2_T3_PNSI_ISN_E10value_typeET4_jRbjT5_ST_jjP12ihipStream_tbEUlT_E1_NS1_11comp_targetILNS1_3genE0ELNS1_11target_archE4294967295ELNS1_3gpuE0ELNS1_3repE0EEENS1_59segmented_radix_sort_warp_sort_small_config_static_selectorELNS0_4arch9wavefront6targetE1EEEvSH_
; %bb.0:
	.section	.rodata,"a",@progbits
	.p2align	6, 0x0
	.amdhsa_kernel _ZN7rocprim17ROCPRIM_400000_NS6detail17trampoline_kernelINS0_14default_configENS1_36segmented_radix_sort_config_selectorIllEEZNS1_25segmented_radix_sort_implIS3_Lb0EPKlPlS8_S9_N2at6native12_GLOBAL__N_18offset_tEEE10hipError_tPvRmT1_PNSt15iterator_traitsISH_E10value_typeET2_T3_PNSI_ISN_E10value_typeET4_jRbjT5_ST_jjP12ihipStream_tbEUlT_E1_NS1_11comp_targetILNS1_3genE0ELNS1_11target_archE4294967295ELNS1_3gpuE0ELNS1_3repE0EEENS1_59segmented_radix_sort_warp_sort_small_config_static_selectorELNS0_4arch9wavefront6targetE1EEEvSH_
		.amdhsa_group_segment_fixed_size 0
		.amdhsa_private_segment_fixed_size 0
		.amdhsa_kernarg_size 88
		.amdhsa_user_sgpr_count 6
		.amdhsa_user_sgpr_private_segment_buffer 1
		.amdhsa_user_sgpr_dispatch_ptr 0
		.amdhsa_user_sgpr_queue_ptr 0
		.amdhsa_user_sgpr_kernarg_segment_ptr 1
		.amdhsa_user_sgpr_dispatch_id 0
		.amdhsa_user_sgpr_flat_scratch_init 0
		.amdhsa_user_sgpr_kernarg_preload_length 0
		.amdhsa_user_sgpr_kernarg_preload_offset 0
		.amdhsa_user_sgpr_private_segment_size 0
		.amdhsa_uses_dynamic_stack 0
		.amdhsa_system_sgpr_private_segment_wavefront_offset 0
		.amdhsa_system_sgpr_workgroup_id_x 1
		.amdhsa_system_sgpr_workgroup_id_y 0
		.amdhsa_system_sgpr_workgroup_id_z 0
		.amdhsa_system_sgpr_workgroup_info 0
		.amdhsa_system_vgpr_workitem_id 0
		.amdhsa_next_free_vgpr 1
		.amdhsa_next_free_sgpr 0
		.amdhsa_accum_offset 4
		.amdhsa_reserve_vcc 0
		.amdhsa_reserve_flat_scratch 0
		.amdhsa_float_round_mode_32 0
		.amdhsa_float_round_mode_16_64 0
		.amdhsa_float_denorm_mode_32 3
		.amdhsa_float_denorm_mode_16_64 3
		.amdhsa_dx10_clamp 1
		.amdhsa_ieee_mode 1
		.amdhsa_fp16_overflow 0
		.amdhsa_tg_split 0
		.amdhsa_exception_fp_ieee_invalid_op 0
		.amdhsa_exception_fp_denorm_src 0
		.amdhsa_exception_fp_ieee_div_zero 0
		.amdhsa_exception_fp_ieee_overflow 0
		.amdhsa_exception_fp_ieee_underflow 0
		.amdhsa_exception_fp_ieee_inexact 0
		.amdhsa_exception_int_div_zero 0
	.end_amdhsa_kernel
	.section	.text._ZN7rocprim17ROCPRIM_400000_NS6detail17trampoline_kernelINS0_14default_configENS1_36segmented_radix_sort_config_selectorIllEEZNS1_25segmented_radix_sort_implIS3_Lb0EPKlPlS8_S9_N2at6native12_GLOBAL__N_18offset_tEEE10hipError_tPvRmT1_PNSt15iterator_traitsISH_E10value_typeET2_T3_PNSI_ISN_E10value_typeET4_jRbjT5_ST_jjP12ihipStream_tbEUlT_E1_NS1_11comp_targetILNS1_3genE0ELNS1_11target_archE4294967295ELNS1_3gpuE0ELNS1_3repE0EEENS1_59segmented_radix_sort_warp_sort_small_config_static_selectorELNS0_4arch9wavefront6targetE1EEEvSH_,"axG",@progbits,_ZN7rocprim17ROCPRIM_400000_NS6detail17trampoline_kernelINS0_14default_configENS1_36segmented_radix_sort_config_selectorIllEEZNS1_25segmented_radix_sort_implIS3_Lb0EPKlPlS8_S9_N2at6native12_GLOBAL__N_18offset_tEEE10hipError_tPvRmT1_PNSt15iterator_traitsISH_E10value_typeET2_T3_PNSI_ISN_E10value_typeET4_jRbjT5_ST_jjP12ihipStream_tbEUlT_E1_NS1_11comp_targetILNS1_3genE0ELNS1_11target_archE4294967295ELNS1_3gpuE0ELNS1_3repE0EEENS1_59segmented_radix_sort_warp_sort_small_config_static_selectorELNS0_4arch9wavefront6targetE1EEEvSH_,comdat
.Lfunc_end827:
	.size	_ZN7rocprim17ROCPRIM_400000_NS6detail17trampoline_kernelINS0_14default_configENS1_36segmented_radix_sort_config_selectorIllEEZNS1_25segmented_radix_sort_implIS3_Lb0EPKlPlS8_S9_N2at6native12_GLOBAL__N_18offset_tEEE10hipError_tPvRmT1_PNSt15iterator_traitsISH_E10value_typeET2_T3_PNSI_ISN_E10value_typeET4_jRbjT5_ST_jjP12ihipStream_tbEUlT_E1_NS1_11comp_targetILNS1_3genE0ELNS1_11target_archE4294967295ELNS1_3gpuE0ELNS1_3repE0EEENS1_59segmented_radix_sort_warp_sort_small_config_static_selectorELNS0_4arch9wavefront6targetE1EEEvSH_, .Lfunc_end827-_ZN7rocprim17ROCPRIM_400000_NS6detail17trampoline_kernelINS0_14default_configENS1_36segmented_radix_sort_config_selectorIllEEZNS1_25segmented_radix_sort_implIS3_Lb0EPKlPlS8_S9_N2at6native12_GLOBAL__N_18offset_tEEE10hipError_tPvRmT1_PNSt15iterator_traitsISH_E10value_typeET2_T3_PNSI_ISN_E10value_typeET4_jRbjT5_ST_jjP12ihipStream_tbEUlT_E1_NS1_11comp_targetILNS1_3genE0ELNS1_11target_archE4294967295ELNS1_3gpuE0ELNS1_3repE0EEENS1_59segmented_radix_sort_warp_sort_small_config_static_selectorELNS0_4arch9wavefront6targetE1EEEvSH_
                                        ; -- End function
	.section	.AMDGPU.csdata,"",@progbits
; Kernel info:
; codeLenInByte = 0
; NumSgprs: 4
; NumVgprs: 0
; NumAgprs: 0
; TotalNumVgprs: 0
; ScratchSize: 0
; MemoryBound: 0
; FloatMode: 240
; IeeeMode: 1
; LDSByteSize: 0 bytes/workgroup (compile time only)
; SGPRBlocks: 0
; VGPRBlocks: 0
; NumSGPRsForWavesPerEU: 4
; NumVGPRsForWavesPerEU: 1
; AccumOffset: 4
; Occupancy: 8
; WaveLimiterHint : 0
; COMPUTE_PGM_RSRC2:SCRATCH_EN: 0
; COMPUTE_PGM_RSRC2:USER_SGPR: 6
; COMPUTE_PGM_RSRC2:TRAP_HANDLER: 0
; COMPUTE_PGM_RSRC2:TGID_X_EN: 1
; COMPUTE_PGM_RSRC2:TGID_Y_EN: 0
; COMPUTE_PGM_RSRC2:TGID_Z_EN: 0
; COMPUTE_PGM_RSRC2:TIDIG_COMP_CNT: 0
; COMPUTE_PGM_RSRC3_GFX90A:ACCUM_OFFSET: 0
; COMPUTE_PGM_RSRC3_GFX90A:TG_SPLIT: 0
	.section	.text._ZN7rocprim17ROCPRIM_400000_NS6detail17trampoline_kernelINS0_14default_configENS1_36segmented_radix_sort_config_selectorIllEEZNS1_25segmented_radix_sort_implIS3_Lb0EPKlPlS8_S9_N2at6native12_GLOBAL__N_18offset_tEEE10hipError_tPvRmT1_PNSt15iterator_traitsISH_E10value_typeET2_T3_PNSI_ISN_E10value_typeET4_jRbjT5_ST_jjP12ihipStream_tbEUlT_E1_NS1_11comp_targetILNS1_3genE5ELNS1_11target_archE942ELNS1_3gpuE9ELNS1_3repE0EEENS1_59segmented_radix_sort_warp_sort_small_config_static_selectorELNS0_4arch9wavefront6targetE1EEEvSH_,"axG",@progbits,_ZN7rocprim17ROCPRIM_400000_NS6detail17trampoline_kernelINS0_14default_configENS1_36segmented_radix_sort_config_selectorIllEEZNS1_25segmented_radix_sort_implIS3_Lb0EPKlPlS8_S9_N2at6native12_GLOBAL__N_18offset_tEEE10hipError_tPvRmT1_PNSt15iterator_traitsISH_E10value_typeET2_T3_PNSI_ISN_E10value_typeET4_jRbjT5_ST_jjP12ihipStream_tbEUlT_E1_NS1_11comp_targetILNS1_3genE5ELNS1_11target_archE942ELNS1_3gpuE9ELNS1_3repE0EEENS1_59segmented_radix_sort_warp_sort_small_config_static_selectorELNS0_4arch9wavefront6targetE1EEEvSH_,comdat
	.globl	_ZN7rocprim17ROCPRIM_400000_NS6detail17trampoline_kernelINS0_14default_configENS1_36segmented_radix_sort_config_selectorIllEEZNS1_25segmented_radix_sort_implIS3_Lb0EPKlPlS8_S9_N2at6native12_GLOBAL__N_18offset_tEEE10hipError_tPvRmT1_PNSt15iterator_traitsISH_E10value_typeET2_T3_PNSI_ISN_E10value_typeET4_jRbjT5_ST_jjP12ihipStream_tbEUlT_E1_NS1_11comp_targetILNS1_3genE5ELNS1_11target_archE942ELNS1_3gpuE9ELNS1_3repE0EEENS1_59segmented_radix_sort_warp_sort_small_config_static_selectorELNS0_4arch9wavefront6targetE1EEEvSH_ ; -- Begin function _ZN7rocprim17ROCPRIM_400000_NS6detail17trampoline_kernelINS0_14default_configENS1_36segmented_radix_sort_config_selectorIllEEZNS1_25segmented_radix_sort_implIS3_Lb0EPKlPlS8_S9_N2at6native12_GLOBAL__N_18offset_tEEE10hipError_tPvRmT1_PNSt15iterator_traitsISH_E10value_typeET2_T3_PNSI_ISN_E10value_typeET4_jRbjT5_ST_jjP12ihipStream_tbEUlT_E1_NS1_11comp_targetILNS1_3genE5ELNS1_11target_archE942ELNS1_3gpuE9ELNS1_3repE0EEENS1_59segmented_radix_sort_warp_sort_small_config_static_selectorELNS0_4arch9wavefront6targetE1EEEvSH_
	.p2align	8
	.type	_ZN7rocprim17ROCPRIM_400000_NS6detail17trampoline_kernelINS0_14default_configENS1_36segmented_radix_sort_config_selectorIllEEZNS1_25segmented_radix_sort_implIS3_Lb0EPKlPlS8_S9_N2at6native12_GLOBAL__N_18offset_tEEE10hipError_tPvRmT1_PNSt15iterator_traitsISH_E10value_typeET2_T3_PNSI_ISN_E10value_typeET4_jRbjT5_ST_jjP12ihipStream_tbEUlT_E1_NS1_11comp_targetILNS1_3genE5ELNS1_11target_archE942ELNS1_3gpuE9ELNS1_3repE0EEENS1_59segmented_radix_sort_warp_sort_small_config_static_selectorELNS0_4arch9wavefront6targetE1EEEvSH_,@function
_ZN7rocprim17ROCPRIM_400000_NS6detail17trampoline_kernelINS0_14default_configENS1_36segmented_radix_sort_config_selectorIllEEZNS1_25segmented_radix_sort_implIS3_Lb0EPKlPlS8_S9_N2at6native12_GLOBAL__N_18offset_tEEE10hipError_tPvRmT1_PNSt15iterator_traitsISH_E10value_typeET2_T3_PNSI_ISN_E10value_typeET4_jRbjT5_ST_jjP12ihipStream_tbEUlT_E1_NS1_11comp_targetILNS1_3genE5ELNS1_11target_archE942ELNS1_3gpuE9ELNS1_3repE0EEENS1_59segmented_radix_sort_warp_sort_small_config_static_selectorELNS0_4arch9wavefront6targetE1EEEvSH_: ; @_ZN7rocprim17ROCPRIM_400000_NS6detail17trampoline_kernelINS0_14default_configENS1_36segmented_radix_sort_config_selectorIllEEZNS1_25segmented_radix_sort_implIS3_Lb0EPKlPlS8_S9_N2at6native12_GLOBAL__N_18offset_tEEE10hipError_tPvRmT1_PNSt15iterator_traitsISH_E10value_typeET2_T3_PNSI_ISN_E10value_typeET4_jRbjT5_ST_jjP12ihipStream_tbEUlT_E1_NS1_11comp_targetILNS1_3genE5ELNS1_11target_archE942ELNS1_3gpuE9ELNS1_3repE0EEENS1_59segmented_radix_sort_warp_sort_small_config_static_selectorELNS0_4arch9wavefront6targetE1EEEvSH_
; %bb.0:
	.section	.rodata,"a",@progbits
	.p2align	6, 0x0
	.amdhsa_kernel _ZN7rocprim17ROCPRIM_400000_NS6detail17trampoline_kernelINS0_14default_configENS1_36segmented_radix_sort_config_selectorIllEEZNS1_25segmented_radix_sort_implIS3_Lb0EPKlPlS8_S9_N2at6native12_GLOBAL__N_18offset_tEEE10hipError_tPvRmT1_PNSt15iterator_traitsISH_E10value_typeET2_T3_PNSI_ISN_E10value_typeET4_jRbjT5_ST_jjP12ihipStream_tbEUlT_E1_NS1_11comp_targetILNS1_3genE5ELNS1_11target_archE942ELNS1_3gpuE9ELNS1_3repE0EEENS1_59segmented_radix_sort_warp_sort_small_config_static_selectorELNS0_4arch9wavefront6targetE1EEEvSH_
		.amdhsa_group_segment_fixed_size 0
		.amdhsa_private_segment_fixed_size 0
		.amdhsa_kernarg_size 88
		.amdhsa_user_sgpr_count 6
		.amdhsa_user_sgpr_private_segment_buffer 1
		.amdhsa_user_sgpr_dispatch_ptr 0
		.amdhsa_user_sgpr_queue_ptr 0
		.amdhsa_user_sgpr_kernarg_segment_ptr 1
		.amdhsa_user_sgpr_dispatch_id 0
		.amdhsa_user_sgpr_flat_scratch_init 0
		.amdhsa_user_sgpr_kernarg_preload_length 0
		.amdhsa_user_sgpr_kernarg_preload_offset 0
		.amdhsa_user_sgpr_private_segment_size 0
		.amdhsa_uses_dynamic_stack 0
		.amdhsa_system_sgpr_private_segment_wavefront_offset 0
		.amdhsa_system_sgpr_workgroup_id_x 1
		.amdhsa_system_sgpr_workgroup_id_y 0
		.amdhsa_system_sgpr_workgroup_id_z 0
		.amdhsa_system_sgpr_workgroup_info 0
		.amdhsa_system_vgpr_workitem_id 0
		.amdhsa_next_free_vgpr 1
		.amdhsa_next_free_sgpr 0
		.amdhsa_accum_offset 4
		.amdhsa_reserve_vcc 0
		.amdhsa_reserve_flat_scratch 0
		.amdhsa_float_round_mode_32 0
		.amdhsa_float_round_mode_16_64 0
		.amdhsa_float_denorm_mode_32 3
		.amdhsa_float_denorm_mode_16_64 3
		.amdhsa_dx10_clamp 1
		.amdhsa_ieee_mode 1
		.amdhsa_fp16_overflow 0
		.amdhsa_tg_split 0
		.amdhsa_exception_fp_ieee_invalid_op 0
		.amdhsa_exception_fp_denorm_src 0
		.amdhsa_exception_fp_ieee_div_zero 0
		.amdhsa_exception_fp_ieee_overflow 0
		.amdhsa_exception_fp_ieee_underflow 0
		.amdhsa_exception_fp_ieee_inexact 0
		.amdhsa_exception_int_div_zero 0
	.end_amdhsa_kernel
	.section	.text._ZN7rocprim17ROCPRIM_400000_NS6detail17trampoline_kernelINS0_14default_configENS1_36segmented_radix_sort_config_selectorIllEEZNS1_25segmented_radix_sort_implIS3_Lb0EPKlPlS8_S9_N2at6native12_GLOBAL__N_18offset_tEEE10hipError_tPvRmT1_PNSt15iterator_traitsISH_E10value_typeET2_T3_PNSI_ISN_E10value_typeET4_jRbjT5_ST_jjP12ihipStream_tbEUlT_E1_NS1_11comp_targetILNS1_3genE5ELNS1_11target_archE942ELNS1_3gpuE9ELNS1_3repE0EEENS1_59segmented_radix_sort_warp_sort_small_config_static_selectorELNS0_4arch9wavefront6targetE1EEEvSH_,"axG",@progbits,_ZN7rocprim17ROCPRIM_400000_NS6detail17trampoline_kernelINS0_14default_configENS1_36segmented_radix_sort_config_selectorIllEEZNS1_25segmented_radix_sort_implIS3_Lb0EPKlPlS8_S9_N2at6native12_GLOBAL__N_18offset_tEEE10hipError_tPvRmT1_PNSt15iterator_traitsISH_E10value_typeET2_T3_PNSI_ISN_E10value_typeET4_jRbjT5_ST_jjP12ihipStream_tbEUlT_E1_NS1_11comp_targetILNS1_3genE5ELNS1_11target_archE942ELNS1_3gpuE9ELNS1_3repE0EEENS1_59segmented_radix_sort_warp_sort_small_config_static_selectorELNS0_4arch9wavefront6targetE1EEEvSH_,comdat
.Lfunc_end828:
	.size	_ZN7rocprim17ROCPRIM_400000_NS6detail17trampoline_kernelINS0_14default_configENS1_36segmented_radix_sort_config_selectorIllEEZNS1_25segmented_radix_sort_implIS3_Lb0EPKlPlS8_S9_N2at6native12_GLOBAL__N_18offset_tEEE10hipError_tPvRmT1_PNSt15iterator_traitsISH_E10value_typeET2_T3_PNSI_ISN_E10value_typeET4_jRbjT5_ST_jjP12ihipStream_tbEUlT_E1_NS1_11comp_targetILNS1_3genE5ELNS1_11target_archE942ELNS1_3gpuE9ELNS1_3repE0EEENS1_59segmented_radix_sort_warp_sort_small_config_static_selectorELNS0_4arch9wavefront6targetE1EEEvSH_, .Lfunc_end828-_ZN7rocprim17ROCPRIM_400000_NS6detail17trampoline_kernelINS0_14default_configENS1_36segmented_radix_sort_config_selectorIllEEZNS1_25segmented_radix_sort_implIS3_Lb0EPKlPlS8_S9_N2at6native12_GLOBAL__N_18offset_tEEE10hipError_tPvRmT1_PNSt15iterator_traitsISH_E10value_typeET2_T3_PNSI_ISN_E10value_typeET4_jRbjT5_ST_jjP12ihipStream_tbEUlT_E1_NS1_11comp_targetILNS1_3genE5ELNS1_11target_archE942ELNS1_3gpuE9ELNS1_3repE0EEENS1_59segmented_radix_sort_warp_sort_small_config_static_selectorELNS0_4arch9wavefront6targetE1EEEvSH_
                                        ; -- End function
	.section	.AMDGPU.csdata,"",@progbits
; Kernel info:
; codeLenInByte = 0
; NumSgprs: 4
; NumVgprs: 0
; NumAgprs: 0
; TotalNumVgprs: 0
; ScratchSize: 0
; MemoryBound: 0
; FloatMode: 240
; IeeeMode: 1
; LDSByteSize: 0 bytes/workgroup (compile time only)
; SGPRBlocks: 0
; VGPRBlocks: 0
; NumSGPRsForWavesPerEU: 4
; NumVGPRsForWavesPerEU: 1
; AccumOffset: 4
; Occupancy: 8
; WaveLimiterHint : 0
; COMPUTE_PGM_RSRC2:SCRATCH_EN: 0
; COMPUTE_PGM_RSRC2:USER_SGPR: 6
; COMPUTE_PGM_RSRC2:TRAP_HANDLER: 0
; COMPUTE_PGM_RSRC2:TGID_X_EN: 1
; COMPUTE_PGM_RSRC2:TGID_Y_EN: 0
; COMPUTE_PGM_RSRC2:TGID_Z_EN: 0
; COMPUTE_PGM_RSRC2:TIDIG_COMP_CNT: 0
; COMPUTE_PGM_RSRC3_GFX90A:ACCUM_OFFSET: 0
; COMPUTE_PGM_RSRC3_GFX90A:TG_SPLIT: 0
	.text
	.p2align	2                               ; -- Begin function _ZN7rocprim17ROCPRIM_400000_NS6detail26segmented_warp_sort_helperINS1_20WarpSortHelperConfigILj8ELj4ELj256EEEllLi256ELb0EvE4sortIPKlPlS8_S9_EEvT_T0_T1_T2_jjjjRNS5_12storage_typeE
	.type	_ZN7rocprim17ROCPRIM_400000_NS6detail26segmented_warp_sort_helperINS1_20WarpSortHelperConfigILj8ELj4ELj256EEEllLi256ELb0EvE4sortIPKlPlS8_S9_EEvT_T0_T1_T2_jjjjRNS5_12storage_typeE,@function
_ZN7rocprim17ROCPRIM_400000_NS6detail26segmented_warp_sort_helperINS1_20WarpSortHelperConfigILj8ELj4ELj256EEEllLi256ELb0EvE4sortIPKlPlS8_S9_EEvT_T0_T1_T2_jjjjRNS5_12storage_typeE: ; @_ZN7rocprim17ROCPRIM_400000_NS6detail26segmented_warp_sort_helperINS1_20WarpSortHelperConfigILj8ELj4ELj256EEEllLi256ELb0EvE4sortIPKlPlS8_S9_EEvT_T0_T1_T2_jjjjRNS5_12storage_typeE
; %bb.0:
	s_waitcnt vmcnt(0) expcnt(0) lgkmcnt(0)
	v_sub_u32_e32 v18, v9, v8
	v_mov_b32_e32 v9, 0
	v_lshlrev_b64 v[80:81], 3, v[8:9]
	v_mbcnt_lo_u32_b32 v8, -1, 0
	v_mbcnt_hi_u32_b32 v8, -1, v8
	v_lshlrev_b32_e32 v83, 2, v8
	v_add_co_u32_e32 v0, vcc, v0, v80
	v_and_b32_e32 v84, 28, v83
	v_addc_co_u32_e32 v1, vcc, v1, v81, vcc
	s_mov_b32 s10, -1
	v_lshlrev_b32_e32 v82, 3, v84
	s_brev_b32 s11, -2
	v_add_co_u32_e32 v16, vcc, v0, v82
	v_addc_co_u32_e32 v17, vcc, 0, v1, vcc
	v_cmp_lt_u32_e64 s[4:5], v84, v18
	v_pk_mov_b32 v[8:9], s[10:11], s[10:11] op_sel:[0,1]
	s_and_saveexec_b64 s[6:7], s[4:5]
	s_cbranch_execz .LBB829_2
; %bb.1:
	flat_load_dwordx2 v[8:9], v[16:17]
.LBB829_2:
	s_or_b64 exec, exec, s[6:7]
	v_or_b32_e32 v0, 1, v84
	v_mov_b32_e32 v50, s10
	v_mov_b32_e32 v51, s11
	v_mov_b32_e32 v26, s10
	v_mov_b32_e32 v27, s11
	v_mov_b32_e32 v38, s10
	v_mov_b32_e32 v39, s11
	v_cmp_lt_u32_e64 s[6:7], v0, v18
	v_pk_mov_b32 v[0:1], s[10:11], s[10:11] op_sel:[0,1]
	s_and_saveexec_b64 s[10:11], s[6:7]
	s_cbranch_execz .LBB829_4
; %bb.3:
	flat_load_dwordx2 v[50:51], v[16:17] offset:8
	s_mov_b32 s14, -1
	s_brev_b32 s15, -2
	v_mov_b32_e32 v26, s14
	v_mov_b32_e32 v27, s15
	;; [unrolled: 1-line block ×4, first 2 shown]
	s_waitcnt vmcnt(0) lgkmcnt(0)
	v_pk_mov_b32 v[0:1], v[50:51], v[50:51] op_sel:[0,1]
.LBB829_4:
	s_or_b64 exec, exec, s[10:11]
	s_mov_b32 s14, -1
	v_or_b32_e32 v14, 2, v84
	s_brev_b32 s15, -2
	v_cmp_lt_u32_e64 s[16:17], v14, v18
	v_pk_mov_b32 v[14:15], s[14:15], s[14:15] op_sel:[0,1]
	s_and_saveexec_b64 s[10:11], s[16:17]
	s_cbranch_execz .LBB829_6
; %bb.5:
	flat_load_dwordx2 v[26:27], v[16:17] offset:16
	v_mov_b32_e32 v38, s14
	v_mov_b32_e32 v39, s15
	s_waitcnt vmcnt(0) lgkmcnt(0)
	v_pk_mov_b32 v[14:15], v[26:27], v[26:27] op_sel:[0,1]
.LBB829_6:
	s_or_b64 exec, exec, s[10:11]
	v_or_b32_e32 v19, 3, v84
	v_cmp_lt_u32_e64 s[10:11], v19, v18
	v_pk_mov_b32 v[20:21], s[14:15], s[14:15] op_sel:[0,1]
	s_and_saveexec_b64 s[14:15], s[10:11]
	s_cbranch_execz .LBB829_8
; %bb.7:
	flat_load_dwordx2 v[38:39], v[16:17] offset:24
	s_waitcnt vmcnt(0) lgkmcnt(0)
	v_pk_mov_b32 v[20:21], v[38:39], v[38:39] op_sel:[0,1]
.LBB829_8:
	s_or_b64 exec, exec, s[14:15]
	v_add_co_u32_e32 v4, vcc, v4, v80
	v_addc_co_u32_e32 v5, vcc, v5, v81, vcc
	v_add_co_u32_e32 v4, vcc, v4, v82
	v_addc_co_u32_e32 v5, vcc, 0, v5, vcc
	; wave barrier
                                        ; implicit-def: $vgpr64_vgpr65
	s_and_saveexec_b64 s[14:15], s[4:5]
	s_cbranch_execnz .LBB829_107
; %bb.9:
	s_or_b64 exec, exec, s[14:15]
	s_and_saveexec_b64 s[14:15], s[6:7]
	s_cbranch_execnz .LBB829_108
.LBB829_10:
	s_or_b64 exec, exec, s[14:15]
                                        ; implicit-def: $vgpr68_vgpr69
	s_and_saveexec_b64 s[14:15], s[16:17]
	s_cbranch_execnz .LBB829_109
.LBB829_11:
	s_or_b64 exec, exec, s[14:15]
	s_and_saveexec_b64 s[14:15], s[10:11]
	s_cbranch_execz .LBB829_13
.LBB829_12:
	flat_load_dwordx2 v[70:71], v[4:5] offset:24
.LBB829_13:
	s_or_b64 exec, exec, s[14:15]
	v_cmp_ne_u32_e32 vcc, 0, v10
	v_cmp_ne_u32_e64 s[14:15], 64, v11
	s_or_b64 s[14:15], vcc, s[14:15]
	v_bfe_u32 v16, v31, 10, 10
	v_bfe_u32 v17, v31, 20, 10
	; wave barrier
	s_and_saveexec_b64 s[18:19], s[14:15]
	s_xor_b64 s[26:27], exec, s[18:19]
	s_cbranch_execz .LBB829_55
; %bb.14:
	s_load_dwordx2 s[14:15], s[8:9], 0x0
	v_mov_b32_e32 v4, 0
	v_and_b32_e32 v22, 0x3ff, v31
	s_waitcnt lgkmcnt(0)
	s_cmp_lt_u32 s12, s14
	s_cselect_b32 s18, 12, 18
	s_cmp_lt_u32 s13, s15
	s_cselect_b32 s14, 14, 20
	s_add_u32 s14, s8, s14
	s_addc_u32 s15, s9, 0
	s_add_u32 s18, s8, s18
	s_addc_u32 s19, s9, 0
	global_load_ushort v18, v4, s[14:15]
	global_load_ushort v19, v4, s[18:19]
	v_lshlrev_b64 v[4:5], v11, -1
	v_lshlrev_b64 v[10:11], v10, -1
	v_xor_b32_e32 v4, v4, v10
	s_movk_i32 s14, 0x400
	v_xor_b32_e32 v5, v5, v11
	s_waitcnt vmcnt(0)
	v_mad_u32_u24 v10, v17, v18, v16
	v_mul_lo_u32 v10, v10, v19
	v_add_lshl_u32 v36, v10, v22, 2
	v_cmp_gt_u32_e32 vcc, s14, v36
	s_and_saveexec_b64 s[20:21], vcc
	s_cbranch_execz .LBB829_24
; %bb.15:
	v_and_b32_e32 v1, v1, v5
	v_and_b32_e32 v0, v0, v4
	;; [unrolled: 1-line block ×4, first 2 shown]
	v_cmp_gt_u64_e32 vcc, v[10:11], v[0:1]
	v_cndmask_b32_e32 v31, v51, v9, vcc
	v_cndmask_b32_e32 v30, v50, v8, vcc
	;; [unrolled: 1-line block ×4, first 2 shown]
	v_and_b32_e32 v1, v39, v5
	v_and_b32_e32 v0, v38, v4
	;; [unrolled: 1-line block ×4, first 2 shown]
	v_pk_mov_b32 v[34:35], v[38:39], v[38:39] op_sel:[0,1]
	v_cmp_gt_u64_e64 s[14:15], v[8:9], v[0:1]
	v_pk_mov_b32 v[10:11], v[68:69], v[68:69] op_sel:[0,1]
	v_pk_mov_b32 v[32:33], v[26:27], v[26:27] op_sel:[0,1]
	s_and_saveexec_b64 s[18:19], s[14:15]
; %bb.16:
	v_pk_mov_b32 v[14:15], v[26:27], v[26:27] op_sel:[0,1]
	v_pk_mov_b32 v[10:11], v[70:71], v[70:71] op_sel:[0,1]
	;; [unrolled: 1-line block ×7, first 2 shown]
; %bb.17:
	s_or_b64 exec, exec, s[18:19]
	v_cndmask_b32_e32 v1, v67, v65, vcc
	v_cndmask_b32_e32 v0, v66, v64, vcc
	v_and_b32_e32 v25, v31, v5
	v_and_b32_e32 v24, v30, v4
	v_pk_mov_b32 v[14:15], v[28:29], v[28:29] op_sel:[0,1]
	v_cmp_gt_i64_e64 s[14:15], v[24:25], v[8:9]
	v_pk_mov_b32 v[16:17], v[30:31], v[30:31] op_sel:[0,1]
	v_pk_mov_b32 v[18:19], v[32:33], v[32:33] op_sel:[0,1]
	;; [unrolled: 1-line block ×4, first 2 shown]
	s_and_saveexec_b64 s[18:19], s[14:15]
	s_xor_b64 s[14:15], exec, s[18:19]
	s_cbranch_execz .LBB829_19
; %bb.18:
	v_pk_mov_b32 v[14:15], v[28:29], v[28:29] op_sel:[0,1]
	v_pk_mov_b32 v[16:17], v[30:31], v[30:31] op_sel:[0,1]
	;; [unrolled: 1-line block ×4, first 2 shown]
	v_and_b32_e32 v25, v27, v5
	v_and_b32_e32 v24, v26, v4
	v_mov_b32_e32 v16, v26
	v_mov_b32_e32 v17, v27
	v_mov_b32_e32 v18, v30
	v_mov_b32_e32 v19, v31
	v_mov_b32_e32 v20, v34
	v_mov_b32_e32 v21, v35
	v_pk_mov_b32 v[22:23], v[10:11], v[10:11] op_sel:[0,1]
	v_pk_mov_b32 v[10:11], v[0:1], v[0:1] op_sel:[0,1]
	;; [unrolled: 1-line block ×3, first 2 shown]
.LBB829_19:
	s_or_b64 exec, exec, s[14:15]
	v_and_b32_e32 v1, v29, v5
	v_and_b32_e32 v0, v28, v4
	v_cmp_gt_i64_e64 s[14:15], v[0:1], v[24:25]
	v_and_b32_e32 v25, v21, v5
	v_and_b32_e32 v24, v20, v4
	v_and_b32_e32 v27, v19, v5
	v_and_b32_e32 v26, v18, v4
	v_cndmask_b32_e64 v1, v17, v15, s[14:15]
	v_cndmask_b32_e64 v0, v16, v14, s[14:15]
	;; [unrolled: 1-line block ×4, first 2 shown]
	v_cmp_gt_u64_e64 s[18:19], v[26:27], v[24:25]
	v_pk_mov_b32 v[16:17], v[10:11], v[10:11] op_sel:[0,1]
	v_pk_mov_b32 v[14:15], v[18:19], v[18:19] op_sel:[0,1]
	s_and_saveexec_b64 s[22:23], s[18:19]
; %bb.20:
	v_pk_mov_b32 v[28:29], v[18:19], v[18:19] op_sel:[0,1]
	v_pk_mov_b32 v[16:17], v[70:71], v[70:71] op_sel:[0,1]
	;; [unrolled: 1-line block ×7, first 2 shown]
; %bb.21:
	s_or_b64 exec, exec, s[22:23]
	v_cndmask_b32_e32 v10, v64, v66, vcc
	v_cndmask_b32_e32 v11, v65, v67, vcc
	v_cndmask_b32_e64 v65, v11, v23, s[14:15]
	v_cndmask_b32_e64 v64, v10, v22, s[14:15]
	;; [unrolled: 1-line block ×4, first 2 shown]
	v_and_b32_e32 v11, v1, v5
	v_and_b32_e32 v10, v0, v4
	v_cmp_gt_i64_e32 vcc, v[10:11], v[26:27]
	v_pk_mov_b32 v[68:69], v[16:17], v[16:17] op_sel:[0,1]
	s_and_saveexec_b64 s[14:15], vcc
; %bb.22:
	v_pk_mov_b32 v[14:15], v[0:1], v[0:1] op_sel:[0,1]
	v_pk_mov_b32 v[0:1], v[18:19], v[18:19] op_sel:[0,1]
	;; [unrolled: 1-line block ×4, first 2 shown]
; %bb.23:
	s_or_b64 exec, exec, s[14:15]
.LBB829_24:
	s_or_b64 exec, exec, s[20:21]
	v_and_b32_e32 v22, 0xffffff00, v36
	v_mov_b32_e32 v23, 0
	v_lshlrev_b64 v[10:11], 3, v[22:23]
	v_add_co_u32_e32 v26, vcc, v12, v10
	v_addc_co_u32_e32 v27, vcc, v13, v11, vcc
	v_add_co_u32_e32 v24, vcc, 0x2000, v26
	v_addc_co_u32_e32 v25, vcc, 0, v27, vcc
	v_lshlrev_b32_e32 v10, 3, v83
	v_add_co_u32_e32 v18, vcc, v26, v10
	v_addc_co_u32_e32 v19, vcc, 0, v27, vcc
	s_movk_i32 s14, 0x400
	v_add_co_u32_e32 v12, vcc, v24, v10
	v_mov_b32_e32 v10, v0
	v_mov_b32_e32 v11, v1
	v_sub_u32_e64 v28, s14, v22 clamp
	v_addc_co_u32_e32 v13, vcc, 0, v25, vcc
	flat_store_dwordx4 v[18:19], v[8:11]
	flat_store_dwordx4 v[12:13], v[64:67]
	v_or_b32_e32 v11, 4, v83
	v_min_u32_e32 v29, v28, v11
	v_add_u32_e32 v11, 4, v29
	v_mov_b32_e32 v16, v20
	v_mov_b32_e32 v17, v21
	v_and_b32_e32 v10, 0x1f8, v83
	v_min_u32_e32 v30, v28, v11
	v_and_b32_e32 v11, 4, v83
	flat_store_dwordx4 v[18:19], v[14:17] offset:16
	flat_store_dwordx4 v[12:13], v[68:71] offset:16
	v_min_u32_e32 v11, v28, v11
	v_sub_u32_e32 v17, v29, v10
	v_sub_u32_e32 v16, v30, v29
	v_sub_u32_e64 v16, v11, v16 clamp
	v_min_u32_e32 v17, v11, v17
	v_cmp_lt_u32_e32 vcc, v16, v17
	; wave barrier
	s_and_saveexec_b64 s[14:15], vcc
	s_cbranch_execz .LBB829_28
; %bb.25:
	v_lshlrev_b32_e32 v22, 3, v10
	v_add_co_u32_e32 v31, vcc, v26, v22
	v_addc_co_u32_e32 v32, vcc, 0, v27, vcc
	v_lshlrev_b32_e32 v22, 3, v29
	v_add_co_u32_e32 v33, vcc, v26, v22
	v_addc_co_u32_e32 v34, vcc, 0, v27, vcc
	s_mov_b64 s[18:19], 0
.LBB829_26:                             ; =>This Inner Loop Header: Depth=1
	v_add_u32_e32 v22, v17, v16
	v_lshrrev_b32_e32 v22, 1, v22
	v_lshlrev_b64 v[38:39], 3, v[22:23]
	v_mov_b32_e32 v37, v23
	v_xad_u32 v36, v22, -1, v11
	v_add_co_u32_e32 v38, vcc, v31, v38
	v_addc_co_u32_e32 v39, vcc, v32, v39, vcc
	v_lshlrev_b64 v[36:37], 3, v[36:37]
	v_add_co_u32_e32 v36, vcc, v33, v36
	v_addc_co_u32_e32 v37, vcc, v34, v37, vcc
	flat_load_dwordx2 v[38:39], v[38:39]
	v_add_u32_e32 v35, 1, v22
	flat_load_dwordx2 v[36:37], v[36:37]
	s_waitcnt vmcnt(0) lgkmcnt(0)
	v_and_b32_e32 v39, v39, v5
	v_and_b32_e32 v38, v38, v4
	;; [unrolled: 1-line block ×4, first 2 shown]
	v_cmp_gt_u64_e32 vcc, v[38:39], v[36:37]
	v_cndmask_b32_e32 v17, v17, v22, vcc
	v_cndmask_b32_e32 v16, v35, v16, vcc
	v_cmp_ge_u32_e32 vcc, v16, v17
	s_or_b64 s[18:19], vcc, s[18:19]
	s_andn2_b64 exec, exec, s[18:19]
	s_cbranch_execnz .LBB829_26
; %bb.27:
	s_or_b64 exec, exec, s[18:19]
.LBB829_28:
	s_or_b64 exec, exec, s[14:15]
	v_add_u32_e32 v11, v29, v11
	v_add_u32_e32 v10, v16, v10
	v_sub_u32_e32 v16, v11, v16
	v_cmp_le_u32_e32 vcc, v10, v29
	v_cmp_le_u32_e64 s[14:15], v16, v30
	s_or_b64 s[14:15], vcc, s[14:15]
	s_and_saveexec_b64 s[28:29], s[14:15]
	s_cbranch_execz .LBB829_34
; %bb.29:
	v_cmp_lt_u32_e32 vcc, v10, v29
                                        ; implicit-def: $vgpr0_vgpr1
	s_and_saveexec_b64 s[18:19], vcc
	s_cbranch_execz .LBB829_31
; %bb.30:
	v_mov_b32_e32 v11, 0
	v_lshlrev_b64 v[0:1], 3, v[10:11]
	v_add_co_u32_e64 v0, s[14:15], v26, v0
	v_addc_co_u32_e64 v1, s[14:15], v27, v1, s[14:15]
	flat_load_dwordx2 v[0:1], v[0:1]
.LBB829_31:
	s_or_b64 exec, exec, s[18:19]
	v_cmp_ge_u32_e64 s[14:15], v16, v30
	v_cmp_lt_u32_e64 s[18:19], v16, v30
                                        ; implicit-def: $vgpr8_vgpr9
	s_and_saveexec_b64 s[20:21], s[18:19]
	s_cbranch_execz .LBB829_33
; %bb.32:
	v_mov_b32_e32 v17, 0
	v_lshlrev_b64 v[8:9], 3, v[16:17]
	v_add_co_u32_e64 v8, s[18:19], v26, v8
	v_addc_co_u32_e64 v9, s[18:19], v27, v9, s[18:19]
	flat_load_dwordx2 v[8:9], v[8:9]
.LBB829_33:
	s_or_b64 exec, exec, s[20:21]
	s_waitcnt vmcnt(0) lgkmcnt(0)
	v_and_b32_e32 v15, v9, v5
	v_and_b32_e32 v14, v8, v4
	;; [unrolled: 1-line block ×4, first 2 shown]
	v_cmp_le_u64_e64 s[18:19], v[20:21], v[14:15]
	s_and_b64 s[18:19], vcc, s[18:19]
	s_or_b64 vcc, s[14:15], s[18:19]
	v_cndmask_b32_e32 v14, v16, v10, vcc
	v_cndmask_b32_e32 v11, v30, v29, vcc
	v_mov_b32_e32 v15, 0
	v_add_u32_e32 v17, 1, v14
	v_add_u32_e32 v11, -1, v11
	v_lshlrev_b64 v[20:21], 3, v[14:15]
	v_min_u32_e32 v14, v17, v11
	v_lshlrev_b64 v[22:23], 3, v[14:15]
	v_add_co_u32_e64 v22, s[14:15], v26, v22
	v_addc_co_u32_e64 v23, s[14:15], v27, v23, s[14:15]
	flat_load_dwordx2 v[22:23], v[22:23]
	v_cndmask_b32_e32 v31, v17, v16, vcc
	v_cndmask_b32_e32 v32, v10, v17, vcc
	v_cmp_lt_u32_e64 s[18:19], v32, v29
	v_cmp_ge_u32_e64 s[14:15], v31, v30
	s_waitcnt vmcnt(0) lgkmcnt(0)
	v_cndmask_b32_e32 v33, v23, v9, vcc
	v_cndmask_b32_e32 v34, v22, v8, vcc
	;; [unrolled: 1-line block ×4, first 2 shown]
	v_and_b32_e32 v11, v33, v5
	v_and_b32_e32 v10, v34, v4
	;; [unrolled: 1-line block ×4, first 2 shown]
	v_cmp_le_u64_e64 s[20:21], v[16:17], v[10:11]
	s_and_b64 s[18:19], s[18:19], s[20:21]
	s_or_b64 s[14:15], s[14:15], s[18:19]
	v_cndmask_b32_e64 v14, v31, v32, s[14:15]
	v_cndmask_b32_e64 v16, v30, v29, s[14:15]
	v_lshlrev_b64 v[10:11], 3, v[14:15]
	v_add_u32_e32 v22, 1, v14
	v_add_u32_e32 v14, -1, v16
	v_min_u32_e32 v14, v22, v14
	v_lshlrev_b64 v[16:17], 3, v[14:15]
	v_add_co_u32_e64 v16, s[18:19], v26, v16
	v_addc_co_u32_e64 v17, s[18:19], v27, v17, s[18:19]
	flat_load_dwordx2 v[16:17], v[16:17]
	v_cndmask_b32_e64 v31, v22, v31, s[14:15]
	v_cndmask_b32_e64 v32, v32, v22, s[14:15]
	v_cmp_lt_u32_e64 s[20:21], v32, v29
	v_cmp_ge_u32_e64 s[18:19], v31, v30
	v_cndmask_b32_e32 v9, v9, v1, vcc
	v_cndmask_b32_e32 v8, v8, v0, vcc
	v_cndmask_b32_e64 v1, v33, v35, s[14:15]
	v_cndmask_b32_e64 v0, v34, v36, s[14:15]
	s_waitcnt vmcnt(0) lgkmcnt(0)
	v_cndmask_b32_e64 v37, v17, v33, s[14:15]
	v_cndmask_b32_e64 v38, v16, v34, s[14:15]
	v_cndmask_b32_e64 v39, v35, v17, s[14:15]
	v_cndmask_b32_e64 v48, v36, v16, s[14:15]
	v_and_b32_e32 v17, v37, v5
	v_and_b32_e32 v16, v38, v4
	;; [unrolled: 1-line block ×4, first 2 shown]
	v_cmp_le_u64_e64 s[22:23], v[22:23], v[16:17]
	s_and_b64 s[20:21], s[20:21], s[22:23]
	s_or_b64 s[18:19], s[18:19], s[20:21]
	v_cndmask_b32_e64 v14, v31, v32, s[18:19]
	v_cndmask_b32_e64 v22, v30, v29, s[18:19]
	v_lshlrev_b64 v[16:17], 3, v[14:15]
	v_add_u32_e32 v49, 1, v14
	v_add_u32_e32 v14, -1, v22
	v_min_u32_e32 v14, v49, v14
	v_lshlrev_b64 v[22:23], 3, v[14:15]
	v_add_co_u32_e64 v22, s[20:21], v26, v22
	v_addc_co_u32_e64 v23, s[20:21], v27, v23, s[20:21]
	flat_load_dwordx2 v[22:23], v[22:23]
	v_add_co_u32_e64 v20, s[20:21], v24, v20
	v_addc_co_u32_e64 v21, s[20:21], v25, v21, s[20:21]
	v_add_co_u32_e64 v10, s[20:21], v24, v10
	v_addc_co_u32_e64 v11, s[20:21], v25, v11, s[20:21]
	flat_load_dwordx2 v[64:65], v[20:21]
	flat_load_dwordx2 v[66:67], v[10:11]
	v_add_co_u32_e64 v10, s[20:21], v24, v16
	v_addc_co_u32_e64 v11, s[20:21], v25, v17, s[20:21]
	v_cndmask_b32_e64 v20, v32, v49, s[18:19]
	flat_load_dwordx2 v[68:69], v[10:11]
	v_cmp_lt_u32_e64 s[22:23], v20, v29
	v_cndmask_b32_e64 v14, v49, v31, s[18:19]
	v_cmp_ge_u32_e64 s[20:21], v14, v30
	s_waitcnt vmcnt(0) lgkmcnt(0)
	v_cndmask_b32_e64 v21, v23, v37, s[18:19]
	v_cndmask_b32_e64 v29, v22, v38, s[18:19]
	v_cndmask_b32_e64 v23, v39, v23, s[18:19]
	v_cndmask_b32_e64 v22, v48, v22, s[18:19]
	v_and_b32_e32 v11, v21, v5
	v_and_b32_e32 v10, v29, v4
	;; [unrolled: 1-line block ×4, first 2 shown]
	v_cmp_le_u64_e64 s[24:25], v[16:17], v[10:11]
	s_and_b64 s[22:23], s[22:23], s[24:25]
	s_or_b64 s[20:21], s[20:21], s[22:23]
	v_cndmask_b32_e64 v14, v14, v20, s[20:21]
	v_lshlrev_b64 v[10:11], 3, v[14:15]
	v_add_co_u32_e64 v10, s[22:23], v24, v10
	v_addc_co_u32_e64 v11, s[22:23], v25, v11, s[22:23]
	flat_load_dwordx2 v[70:71], v[10:11]
	v_cndmask_b32_e64 v15, v37, v39, s[18:19]
	v_cndmask_b32_e64 v14, v38, v48, s[18:19]
	;; [unrolled: 1-line block ×4, first 2 shown]
.LBB829_34:
	s_or_b64 exec, exec, s[28:29]
	v_mov_b32_e32 v10, v0
	v_mov_b32_e32 v11, v1
	;; [unrolled: 1-line block ×4, first 2 shown]
	; wave barrier
	flat_store_dwordx4 v[18:19], v[8:11]
	flat_store_dwordx4 v[12:13], v[64:67]
	flat_store_dwordx4 v[18:19], v[14:17] offset:16
	s_waitcnt vmcnt(0) lgkmcnt(0)
	flat_store_dwordx4 v[12:13], v[68:71] offset:16
	v_and_b32_e32 v16, 0x1f0, v83
	v_or_b32_e32 v10, 8, v16
	v_min_u32_e32 v22, v28, v10
	v_add_u32_e32 v10, 8, v22
	v_min_u32_e32 v23, v28, v10
	v_and_b32_e32 v10, 12, v83
	v_min_u32_e32 v17, v28, v10
	v_sub_u32_e32 v10, v22, v16
	v_sub_u32_e32 v11, v23, v22
	v_sub_u32_e64 v29, v17, v11 clamp
	v_min_u32_e32 v30, v17, v10
	v_cmp_lt_u32_e32 vcc, v29, v30
	; wave barrier
	s_and_saveexec_b64 s[14:15], vcc
	s_cbranch_execz .LBB829_38
; %bb.35:
	v_lshlrev_b32_e32 v10, 3, v16
	v_add_co_u32_e32 v31, vcc, v26, v10
	v_addc_co_u32_e32 v32, vcc, 0, v27, vcc
	v_lshlrev_b32_e32 v10, 3, v22
	v_add_co_u32_e32 v33, vcc, v26, v10
	v_addc_co_u32_e32 v34, vcc, 0, v27, vcc
	s_mov_b64 s[18:19], 0
	v_mov_b32_e32 v11, 0
.LBB829_36:                             ; =>This Inner Loop Header: Depth=1
	v_add_u32_e32 v10, v30, v29
	v_lshrrev_b32_e32 v10, 1, v10
	v_lshlrev_b64 v[38:39], 3, v[10:11]
	v_mov_b32_e32 v37, v11
	v_xad_u32 v36, v10, -1, v17
	v_add_co_u32_e32 v38, vcc, v31, v38
	v_addc_co_u32_e32 v39, vcc, v32, v39, vcc
	v_lshlrev_b64 v[36:37], 3, v[36:37]
	v_add_co_u32_e32 v36, vcc, v33, v36
	v_addc_co_u32_e32 v37, vcc, v34, v37, vcc
	flat_load_dwordx2 v[38:39], v[38:39]
	v_add_u32_e32 v35, 1, v10
	flat_load_dwordx2 v[36:37], v[36:37]
	s_waitcnt vmcnt(0) lgkmcnt(0)
	v_and_b32_e32 v39, v39, v5
	v_and_b32_e32 v38, v38, v4
	v_and_b32_e32 v37, v37, v5
	v_and_b32_e32 v36, v36, v4
	v_cmp_gt_u64_e32 vcc, v[38:39], v[36:37]
	v_cndmask_b32_e32 v30, v30, v10, vcc
	v_cndmask_b32_e32 v29, v35, v29, vcc
	v_cmp_ge_u32_e32 vcc, v29, v30
	s_or_b64 s[18:19], vcc, s[18:19]
	s_andn2_b64 exec, exec, s[18:19]
	s_cbranch_execnz .LBB829_36
; %bb.37:
	s_or_b64 exec, exec, s[18:19]
.LBB829_38:
	s_or_b64 exec, exec, s[14:15]
	v_add_u32_e32 v11, v22, v17
	v_add_u32_e32 v10, v29, v16
	v_sub_u32_e32 v16, v11, v29
	v_cmp_le_u32_e32 vcc, v10, v22
	v_cmp_le_u32_e64 s[14:15], v16, v23
	s_or_b64 s[14:15], vcc, s[14:15]
	s_and_saveexec_b64 s[28:29], s[14:15]
	s_cbranch_execz .LBB829_44
; %bb.39:
	v_cmp_lt_u32_e32 vcc, v10, v22
                                        ; implicit-def: $vgpr0_vgpr1
	s_and_saveexec_b64 s[18:19], vcc
	s_cbranch_execz .LBB829_41
; %bb.40:
	v_mov_b32_e32 v11, 0
	v_lshlrev_b64 v[0:1], 3, v[10:11]
	v_add_co_u32_e64 v0, s[14:15], v26, v0
	v_addc_co_u32_e64 v1, s[14:15], v27, v1, s[14:15]
	flat_load_dwordx2 v[0:1], v[0:1]
.LBB829_41:
	s_or_b64 exec, exec, s[18:19]
	v_cmp_ge_u32_e64 s[14:15], v16, v23
	v_cmp_lt_u32_e64 s[18:19], v16, v23
                                        ; implicit-def: $vgpr8_vgpr9
	s_and_saveexec_b64 s[20:21], s[18:19]
	s_cbranch_execz .LBB829_43
; %bb.42:
	v_mov_b32_e32 v17, 0
	v_lshlrev_b64 v[8:9], 3, v[16:17]
	v_add_co_u32_e64 v8, s[18:19], v26, v8
	v_addc_co_u32_e64 v9, s[18:19], v27, v9, s[18:19]
	flat_load_dwordx2 v[8:9], v[8:9]
.LBB829_43:
	s_or_b64 exec, exec, s[20:21]
	s_waitcnt vmcnt(0) lgkmcnt(0)
	v_and_b32_e32 v15, v9, v5
	v_and_b32_e32 v14, v8, v4
	;; [unrolled: 1-line block ×4, first 2 shown]
	v_cmp_le_u64_e64 s[18:19], v[20:21], v[14:15]
	s_and_b64 s[18:19], vcc, s[18:19]
	s_or_b64 vcc, s[14:15], s[18:19]
	v_cndmask_b32_e32 v14, v16, v10, vcc
	v_cndmask_b32_e32 v11, v23, v22, vcc
	v_mov_b32_e32 v15, 0
	v_add_u32_e32 v17, 1, v14
	v_add_u32_e32 v11, -1, v11
	v_lshlrev_b64 v[20:21], 3, v[14:15]
	v_min_u32_e32 v14, v17, v11
	v_lshlrev_b64 v[30:31], 3, v[14:15]
	v_add_co_u32_e64 v30, s[14:15], v26, v30
	v_addc_co_u32_e64 v31, s[14:15], v27, v31, s[14:15]
	flat_load_dwordx2 v[30:31], v[30:31]
	v_cndmask_b32_e32 v29, v17, v16, vcc
	v_cndmask_b32_e32 v32, v10, v17, vcc
	v_cmp_lt_u32_e64 s[18:19], v32, v22
	v_cmp_ge_u32_e64 s[14:15], v29, v23
	s_waitcnt vmcnt(0) lgkmcnt(0)
	v_cndmask_b32_e32 v33, v31, v9, vcc
	v_cndmask_b32_e32 v34, v30, v8, vcc
	;; [unrolled: 1-line block ×4, first 2 shown]
	v_and_b32_e32 v11, v33, v5
	v_and_b32_e32 v10, v34, v4
	;; [unrolled: 1-line block ×4, first 2 shown]
	v_cmp_le_u64_e64 s[20:21], v[16:17], v[10:11]
	s_and_b64 s[18:19], s[18:19], s[20:21]
	s_or_b64 s[14:15], s[14:15], s[18:19]
	v_cndmask_b32_e64 v14, v29, v32, s[14:15]
	v_cndmask_b32_e64 v16, v23, v22, s[14:15]
	v_lshlrev_b64 v[10:11], 3, v[14:15]
	v_add_u32_e32 v30, 1, v14
	v_add_u32_e32 v14, -1, v16
	v_min_u32_e32 v14, v30, v14
	v_lshlrev_b64 v[16:17], 3, v[14:15]
	v_add_co_u32_e64 v16, s[18:19], v26, v16
	v_addc_co_u32_e64 v17, s[18:19], v27, v17, s[18:19]
	flat_load_dwordx2 v[16:17], v[16:17]
	v_cndmask_b32_e64 v29, v30, v29, s[14:15]
	v_cndmask_b32_e64 v32, v32, v30, s[14:15]
	v_cmp_lt_u32_e64 s[20:21], v32, v22
	v_cmp_ge_u32_e64 s[18:19], v29, v23
	v_cndmask_b32_e32 v9, v9, v1, vcc
	v_cndmask_b32_e32 v8, v8, v0, vcc
	v_cndmask_b32_e64 v1, v33, v35, s[14:15]
	v_cndmask_b32_e64 v0, v34, v36, s[14:15]
	s_waitcnt vmcnt(0) lgkmcnt(0)
	v_cndmask_b32_e64 v37, v17, v33, s[14:15]
	v_cndmask_b32_e64 v38, v16, v34, s[14:15]
	v_cndmask_b32_e64 v39, v35, v17, s[14:15]
	v_cndmask_b32_e64 v48, v36, v16, s[14:15]
	v_and_b32_e32 v17, v37, v5
	v_and_b32_e32 v16, v38, v4
	;; [unrolled: 1-line block ×4, first 2 shown]
	v_cmp_le_u64_e64 s[22:23], v[30:31], v[16:17]
	s_and_b64 s[20:21], s[20:21], s[22:23]
	s_or_b64 s[18:19], s[18:19], s[20:21]
	v_cndmask_b32_e64 v14, v29, v32, s[18:19]
	v_cndmask_b32_e64 v30, v23, v22, s[18:19]
	v_lshlrev_b64 v[16:17], 3, v[14:15]
	v_add_u32_e32 v49, 1, v14
	v_add_u32_e32 v14, -1, v30
	v_min_u32_e32 v14, v49, v14
	v_lshlrev_b64 v[30:31], 3, v[14:15]
	v_add_co_u32_e64 v30, s[20:21], v26, v30
	v_addc_co_u32_e64 v31, s[20:21], v27, v31, s[20:21]
	flat_load_dwordx2 v[30:31], v[30:31]
	v_add_co_u32_e64 v20, s[20:21], v24, v20
	v_addc_co_u32_e64 v21, s[20:21], v25, v21, s[20:21]
	v_add_co_u32_e64 v10, s[20:21], v24, v10
	v_addc_co_u32_e64 v11, s[20:21], v25, v11, s[20:21]
	flat_load_dwordx2 v[64:65], v[20:21]
	flat_load_dwordx2 v[66:67], v[10:11]
	v_add_co_u32_e64 v10, s[20:21], v24, v16
	v_addc_co_u32_e64 v11, s[20:21], v25, v17, s[20:21]
	v_cndmask_b32_e64 v14, v49, v29, s[18:19]
	v_cndmask_b32_e64 v20, v32, v49, s[18:19]
	flat_load_dwordx2 v[68:69], v[10:11]
	v_cmp_ge_u32_e64 s[20:21], v14, v23
	v_cmp_lt_u32_e64 s[22:23], v20, v22
	s_waitcnt vmcnt(0) lgkmcnt(0)
	v_cndmask_b32_e64 v21, v31, v37, s[18:19]
	v_cndmask_b32_e64 v22, v30, v38, s[18:19]
	;; [unrolled: 1-line block ×4, first 2 shown]
	v_and_b32_e32 v11, v21, v5
	v_and_b32_e32 v10, v22, v4
	;; [unrolled: 1-line block ×4, first 2 shown]
	v_cmp_le_u64_e64 s[24:25], v[16:17], v[10:11]
	s_and_b64 s[22:23], s[22:23], s[24:25]
	s_or_b64 s[20:21], s[20:21], s[22:23]
	v_cndmask_b32_e64 v14, v14, v20, s[20:21]
	v_lshlrev_b64 v[10:11], 3, v[14:15]
	v_add_co_u32_e64 v10, s[22:23], v24, v10
	v_addc_co_u32_e64 v11, s[22:23], v25, v11, s[22:23]
	flat_load_dwordx2 v[70:71], v[10:11]
	v_cndmask_b32_e64 v15, v37, v39, s[18:19]
	v_cndmask_b32_e64 v14, v38, v48, s[18:19]
	;; [unrolled: 1-line block ×4, first 2 shown]
.LBB829_44:
	s_or_b64 exec, exec, s[28:29]
	v_mov_b32_e32 v10, v0
	v_mov_b32_e32 v11, v1
	v_mov_b32_e32 v16, v20
	v_mov_b32_e32 v17, v21
	; wave barrier
	flat_store_dwordx4 v[18:19], v[8:11]
	flat_store_dwordx4 v[12:13], v[64:67]
	flat_store_dwordx4 v[18:19], v[14:17] offset:16
	s_waitcnt vmcnt(0) lgkmcnt(0)
	flat_store_dwordx4 v[12:13], v[68:71] offset:16
	v_and_b32_e32 v12, 0x1e0, v83
	v_or_b32_e32 v10, 16, v12
	v_min_u32_e32 v16, v28, v10
	v_add_u32_e32 v10, 16, v16
	v_min_u32_e32 v17, v28, v10
	v_min_u32_e32 v13, v28, v84
	v_sub_u32_e32 v10, v16, v12
	v_sub_u32_e32 v11, v17, v16
	v_sub_u32_e64 v18, v13, v11 clamp
	v_min_u32_e32 v19, v13, v10
	v_cmp_lt_u32_e32 vcc, v18, v19
	; wave barrier
	s_and_saveexec_b64 s[14:15], vcc
	s_cbranch_execz .LBB829_48
; %bb.45:
	v_lshlrev_b32_e32 v10, 3, v12
	v_add_co_u32_e32 v22, vcc, v26, v10
	v_addc_co_u32_e32 v23, vcc, 0, v27, vcc
	v_lshlrev_b32_e32 v10, 3, v16
	v_add_co_u32_e32 v28, vcc, v26, v10
	v_addc_co_u32_e32 v29, vcc, 0, v27, vcc
	s_mov_b64 s[18:19], 0
	v_mov_b32_e32 v11, 0
.LBB829_46:                             ; =>This Inner Loop Header: Depth=1
	v_add_u32_e32 v10, v19, v18
	v_lshrrev_b32_e32 v10, 1, v10
	v_lshlrev_b64 v[32:33], 3, v[10:11]
	v_mov_b32_e32 v31, v11
	v_xad_u32 v30, v10, -1, v13
	v_add_co_u32_e32 v32, vcc, v22, v32
	v_addc_co_u32_e32 v33, vcc, v23, v33, vcc
	v_lshlrev_b64 v[30:31], 3, v[30:31]
	v_add_co_u32_e32 v30, vcc, v28, v30
	v_addc_co_u32_e32 v31, vcc, v29, v31, vcc
	flat_load_dwordx2 v[32:33], v[32:33]
	v_add_u32_e32 v34, 1, v10
	flat_load_dwordx2 v[30:31], v[30:31]
	s_waitcnt vmcnt(0) lgkmcnt(0)
	v_and_b32_e32 v33, v33, v5
	v_and_b32_e32 v32, v32, v4
	;; [unrolled: 1-line block ×4, first 2 shown]
	v_cmp_gt_u64_e32 vcc, v[32:33], v[30:31]
	v_cndmask_b32_e32 v19, v19, v10, vcc
	v_cndmask_b32_e32 v18, v34, v18, vcc
	v_cmp_ge_u32_e32 vcc, v18, v19
	s_or_b64 s[18:19], vcc, s[18:19]
	s_andn2_b64 exec, exec, s[18:19]
	s_cbranch_execnz .LBB829_46
; %bb.47:
	s_or_b64 exec, exec, s[18:19]
.LBB829_48:
	s_or_b64 exec, exec, s[14:15]
	v_add_u32_e32 v11, v16, v13
	v_add_u32_e32 v10, v18, v12
	v_sub_u32_e32 v12, v11, v18
	v_cmp_le_u32_e32 vcc, v10, v16
	v_cmp_le_u32_e64 s[14:15], v12, v17
	s_or_b64 s[14:15], vcc, s[14:15]
	s_and_saveexec_b64 s[28:29], s[14:15]
	s_cbranch_execz .LBB829_54
; %bb.49:
	v_cmp_lt_u32_e32 vcc, v10, v16
                                        ; implicit-def: $vgpr0_vgpr1
	s_and_saveexec_b64 s[18:19], vcc
	s_cbranch_execz .LBB829_51
; %bb.50:
	v_mov_b32_e32 v11, 0
	v_lshlrev_b64 v[0:1], 3, v[10:11]
	v_add_co_u32_e64 v0, s[14:15], v26, v0
	v_addc_co_u32_e64 v1, s[14:15], v27, v1, s[14:15]
	flat_load_dwordx2 v[0:1], v[0:1]
.LBB829_51:
	s_or_b64 exec, exec, s[18:19]
	v_cmp_ge_u32_e64 s[14:15], v12, v17
	v_cmp_lt_u32_e64 s[18:19], v12, v17
                                        ; implicit-def: $vgpr8_vgpr9
	s_and_saveexec_b64 s[20:21], s[18:19]
	s_cbranch_execz .LBB829_53
; %bb.52:
	v_mov_b32_e32 v13, 0
	v_lshlrev_b64 v[8:9], 3, v[12:13]
	v_add_co_u32_e64 v8, s[18:19], v26, v8
	v_addc_co_u32_e64 v9, s[18:19], v27, v9, s[18:19]
	flat_load_dwordx2 v[8:9], v[8:9]
.LBB829_53:
	s_or_b64 exec, exec, s[20:21]
	s_waitcnt vmcnt(0) lgkmcnt(0)
	v_and_b32_e32 v15, v9, v5
	v_and_b32_e32 v14, v8, v4
	;; [unrolled: 1-line block ×4, first 2 shown]
	v_cmp_le_u64_e64 s[18:19], v[18:19], v[14:15]
	s_and_b64 s[18:19], vcc, s[18:19]
	s_or_b64 vcc, s[14:15], s[18:19]
	v_cndmask_b32_e32 v14, v12, v10, vcc
	v_cndmask_b32_e32 v11, v17, v16, vcc
	v_mov_b32_e32 v15, 0
	v_add_u32_e32 v13, 1, v14
	v_add_u32_e32 v11, -1, v11
	v_lshlrev_b64 v[18:19], 3, v[14:15]
	v_min_u32_e32 v14, v13, v11
	v_lshlrev_b64 v[20:21], 3, v[14:15]
	v_add_co_u32_e64 v20, s[14:15], v26, v20
	v_addc_co_u32_e64 v21, s[14:15], v27, v21, s[14:15]
	flat_load_dwordx2 v[20:21], v[20:21]
	v_cndmask_b32_e32 v22, v13, v12, vcc
	v_cndmask_b32_e32 v23, v10, v13, vcc
	v_cmp_lt_u32_e64 s[18:19], v23, v16
	v_cmp_ge_u32_e64 s[14:15], v22, v17
	s_waitcnt vmcnt(0) lgkmcnt(0)
	v_cndmask_b32_e32 v28, v21, v9, vcc
	v_cndmask_b32_e32 v29, v20, v8, vcc
	;; [unrolled: 1-line block ×4, first 2 shown]
	v_and_b32_e32 v11, v28, v5
	v_and_b32_e32 v10, v29, v4
	;; [unrolled: 1-line block ×4, first 2 shown]
	v_cmp_le_u64_e64 s[20:21], v[12:13], v[10:11]
	s_and_b64 s[18:19], s[18:19], s[20:21]
	s_or_b64 s[14:15], s[14:15], s[18:19]
	v_cndmask_b32_e64 v14, v22, v23, s[14:15]
	v_cndmask_b32_e64 v12, v17, v16, s[14:15]
	v_add_u32_e32 v20, 1, v14
	v_add_u32_e32 v12, -1, v12
	v_lshlrev_b64 v[10:11], 3, v[14:15]
	v_min_u32_e32 v14, v20, v12
	v_lshlrev_b64 v[12:13], 3, v[14:15]
	v_add_co_u32_e64 v12, s[18:19], v26, v12
	v_addc_co_u32_e64 v13, s[18:19], v27, v13, s[18:19]
	flat_load_dwordx2 v[12:13], v[12:13]
	v_cndmask_b32_e64 v22, v20, v22, s[14:15]
	v_cndmask_b32_e64 v23, v23, v20, s[14:15]
	v_cmp_lt_u32_e64 s[20:21], v23, v16
	v_cmp_ge_u32_e64 s[18:19], v22, v17
	v_cndmask_b32_e32 v9, v9, v1, vcc
	v_cndmask_b32_e32 v8, v8, v0, vcc
	v_cndmask_b32_e64 v1, v28, v30, s[14:15]
	v_cndmask_b32_e64 v0, v29, v31, s[14:15]
	s_waitcnt vmcnt(0) lgkmcnt(0)
	v_cndmask_b32_e64 v32, v13, v28, s[14:15]
	v_cndmask_b32_e64 v33, v12, v29, s[14:15]
	;; [unrolled: 1-line block ×4, first 2 shown]
	v_and_b32_e32 v13, v32, v5
	v_and_b32_e32 v12, v33, v4
	v_and_b32_e32 v21, v34, v5
	v_and_b32_e32 v20, v35, v4
	v_cmp_le_u64_e64 s[22:23], v[20:21], v[12:13]
	s_and_b64 s[20:21], s[20:21], s[22:23]
	s_or_b64 s[18:19], s[18:19], s[20:21]
	v_cndmask_b32_e64 v14, v22, v23, s[18:19]
	v_cndmask_b32_e64 v20, v17, v16, s[18:19]
	v_lshlrev_b64 v[12:13], 3, v[14:15]
	v_add_u32_e32 v36, 1, v14
	v_add_u32_e32 v14, -1, v20
	v_min_u32_e32 v14, v36, v14
	v_lshlrev_b64 v[20:21], 3, v[14:15]
	v_add_co_u32_e64 v20, s[20:21], v26, v20
	v_addc_co_u32_e64 v21, s[20:21], v27, v21, s[20:21]
	flat_load_dwordx2 v[20:21], v[20:21]
	v_add_co_u32_e64 v18, s[20:21], v24, v18
	v_addc_co_u32_e64 v19, s[20:21], v25, v19, s[20:21]
	v_add_co_u32_e64 v10, s[20:21], v24, v10
	v_addc_co_u32_e64 v11, s[20:21], v25, v11, s[20:21]
	flat_load_dwordx2 v[64:65], v[18:19]
	flat_load_dwordx2 v[66:67], v[10:11]
	v_add_co_u32_e64 v10, s[20:21], v24, v12
	v_addc_co_u32_e64 v11, s[20:21], v25, v13, s[20:21]
	v_cndmask_b32_e64 v12, v36, v22, s[18:19]
	v_cndmask_b32_e64 v13, v23, v36, s[18:19]
	flat_load_dwordx2 v[68:69], v[10:11]
	v_cmp_ge_u32_e64 s[20:21], v12, v17
	v_cmp_lt_u32_e64 s[22:23], v13, v16
	s_waitcnt vmcnt(0) lgkmcnt(0)
	v_cndmask_b32_e64 v16, v21, v32, s[18:19]
	v_cndmask_b32_e64 v17, v20, v33, s[18:19]
	;; [unrolled: 1-line block ×4, first 2 shown]
	v_and_b32_e32 v11, v16, v5
	v_and_b32_e32 v10, v17, v4
	;; [unrolled: 1-line block ×4, first 2 shown]
	v_cmp_le_u64_e64 s[24:25], v[4:5], v[10:11]
	s_and_b64 s[22:23], s[22:23], s[24:25]
	s_or_b64 s[20:21], s[20:21], s[22:23]
	v_cndmask_b32_e64 v14, v12, v13, s[20:21]
	v_lshlrev_b64 v[4:5], 3, v[14:15]
	v_add_co_u32_e64 v4, s[22:23], v24, v4
	v_addc_co_u32_e64 v5, s[22:23], v25, v5, s[22:23]
	flat_load_dwordx2 v[70:71], v[4:5]
	v_cndmask_b32_e64 v15, v32, v34, s[18:19]
	v_cndmask_b32_e64 v14, v33, v35, s[18:19]
	;; [unrolled: 1-line block ×4, first 2 shown]
.LBB829_54:
	s_or_b64 exec, exec, s[28:29]
	; wave barrier
	s_waitcnt lgkmcnt(0)
	s_barrier
                                        ; implicit-def: $vgpr83
                                        ; implicit-def: $vgpr12
                                        ; implicit-def: $vgpr13
                                        ; implicit-def: $vgpr84
                                        ; implicit-def: $vgpr31
                                        ; implicit-def: $vgpr16
                                        ; implicit-def: $vgpr17
                                        ; implicit-def: $vgpr48_vgpr49_vgpr50_vgpr51_vgpr52_vgpr53_vgpr54_vgpr55
                                        ; implicit-def: $vgpr22_vgpr23_vgpr24_vgpr25_vgpr26_vgpr27_vgpr28_vgpr29
                                        ; implicit-def: $vgpr32_vgpr33_vgpr34_vgpr35_vgpr36_vgpr37_vgpr38_vgpr39
.LBB829_55:
	s_andn2_saveexec_b64 s[22:23], s[26:27]
	s_cbranch_execz .LBB829_97
; %bb.56:
	s_load_dwordx2 s[14:15], s[8:9], 0x0
	v_mov_b32_e32 v4, 0
	s_waitcnt lgkmcnt(0)
	s_cmp_lt_u32 s12, s14
	s_cselect_b32 s14, 12, 18
	s_cmp_lt_u32 s13, s15
	s_cselect_b32 s12, 14, 20
	s_add_u32 s12, s8, s12
	s_addc_u32 s13, s9, 0
	s_add_u32 s8, s8, s14
	s_addc_u32 s9, s9, 0
	global_load_ushort v5, v4, s[12:13]
	global_load_ushort v10, v4, s[8:9]
	v_and_b32_e32 v4, 0x3ff, v31
	s_movk_i32 s8, 0x400
	s_waitcnt vmcnt(0)
	v_mad_u32_u24 v5, v17, v5, v16
	v_mul_lo_u32 v5, v5, v10
	v_add_lshl_u32 v22, v5, v4, 2
	v_cmp_gt_u32_e32 vcc, s8, v22
	s_and_saveexec_b64 s[14:15], vcc
	s_cbranch_execz .LBB829_66
; %bb.57:
	v_cmp_gt_i64_e32 vcc, v[8:9], v[0:1]
	v_cndmask_b32_e32 v31, v51, v9, vcc
	v_cndmask_b32_e32 v30, v50, v8, vcc
	;; [unrolled: 1-line block ×4, first 2 shown]
	v_pk_mov_b32 v[34:35], v[38:39], v[38:39] op_sel:[0,1]
	v_cmp_gt_i64_e64 s[8:9], v[26:27], v[38:39]
	v_pk_mov_b32 v[4:5], v[68:69], v[68:69] op_sel:[0,1]
	v_pk_mov_b32 v[32:33], v[26:27], v[26:27] op_sel:[0,1]
	s_and_saveexec_b64 s[12:13], s[8:9]
; %bb.58:
	v_pk_mov_b32 v[0:1], v[26:27], v[26:27] op_sel:[0,1]
	v_pk_mov_b32 v[4:5], v[70:71], v[70:71] op_sel:[0,1]
	v_pk_mov_b32 v[70:71], v[68:69], v[68:69] op_sel:[0,1]
	v_pk_mov_b32 v[26:27], v[34:35], v[34:35] op_sel:[0,1]
	v_pk_mov_b32 v[32:33], v[38:39], v[38:39] op_sel:[0,1]
	v_pk_mov_b32 v[34:35], v[0:1], v[0:1] op_sel:[0,1]
; %bb.59:
	s_or_b64 exec, exec, s[12:13]
	v_cndmask_b32_e32 v1, v67, v65, vcc
	v_cndmask_b32_e32 v0, v66, v64, vcc
	v_pk_mov_b32 v[14:15], v[28:29], v[28:29] op_sel:[0,1]
	v_cmp_gt_i64_e64 s[8:9], v[30:31], v[26:27]
	v_pk_mov_b32 v[16:17], v[30:31], v[30:31] op_sel:[0,1]
	v_pk_mov_b32 v[18:19], v[32:33], v[32:33] op_sel:[0,1]
	;; [unrolled: 1-line block ×4, first 2 shown]
	s_and_saveexec_b64 s[12:13], s[8:9]
	s_xor_b64 s[8:9], exec, s[12:13]
	s_cbranch_execz .LBB829_61
; %bb.60:
	v_pk_mov_b32 v[14:15], v[28:29], v[28:29] op_sel:[0,1]
	v_pk_mov_b32 v[16:17], v[30:31], v[30:31] op_sel:[0,1]
	;; [unrolled: 1-line block ×4, first 2 shown]
	v_mov_b32_e32 v16, v26
	v_mov_b32_e32 v17, v27
	;; [unrolled: 1-line block ×6, first 2 shown]
	v_pk_mov_b32 v[10:11], v[4:5], v[4:5] op_sel:[0,1]
	v_pk_mov_b32 v[4:5], v[0:1], v[0:1] op_sel:[0,1]
	;; [unrolled: 1-line block ×3, first 2 shown]
.LBB829_61:
	s_or_b64 exec, exec, s[8:9]
	v_cmp_gt_i64_e64 s[8:9], v[28:29], v[30:31]
	v_cndmask_b32_e64 v1, v17, v15, s[8:9]
	v_cndmask_b32_e64 v0, v16, v14, s[8:9]
	;; [unrolled: 1-line block ×4, first 2 shown]
	v_cmp_gt_i64_e64 s[12:13], v[18:19], v[20:21]
	v_pk_mov_b32 v[16:17], v[4:5], v[4:5] op_sel:[0,1]
	v_pk_mov_b32 v[14:15], v[18:19], v[18:19] op_sel:[0,1]
	s_and_saveexec_b64 s[18:19], s[12:13]
; %bb.62:
	v_pk_mov_b32 v[24:25], v[18:19], v[18:19] op_sel:[0,1]
	v_pk_mov_b32 v[16:17], v[70:71], v[70:71] op_sel:[0,1]
	;; [unrolled: 1-line block ×6, first 2 shown]
; %bb.63:
	s_or_b64 exec, exec, s[18:19]
	v_cndmask_b32_e32 v4, v64, v66, vcc
	v_cndmask_b32_e32 v5, v65, v67, vcc
	v_cndmask_b32_e64 v65, v5, v11, s[8:9]
	v_cndmask_b32_e64 v64, v4, v10, s[8:9]
	;; [unrolled: 1-line block ×4, first 2 shown]
	v_cmp_gt_i64_e32 vcc, v[0:1], v[18:19]
	v_pk_mov_b32 v[68:69], v[16:17], v[16:17] op_sel:[0,1]
	s_and_saveexec_b64 s[8:9], vcc
; %bb.64:
	v_pk_mov_b32 v[14:15], v[0:1], v[0:1] op_sel:[0,1]
	v_pk_mov_b32 v[0:1], v[18:19], v[18:19] op_sel:[0,1]
	;; [unrolled: 1-line block ×4, first 2 shown]
; %bb.65:
	s_or_b64 exec, exec, s[8:9]
.LBB829_66:
	s_or_b64 exec, exec, s[14:15]
	v_and_b32_e32 v18, 0xffffff00, v22
	v_mov_b32_e32 v19, 0
	v_lshlrev_b64 v[4:5], 3, v[18:19]
	v_add_co_u32_e32 v24, vcc, v12, v4
	v_addc_co_u32_e32 v25, vcc, v13, v5, vcc
	v_add_co_u32_e32 v22, vcc, 0x2000, v24
	v_addc_co_u32_e32 v23, vcc, 0, v25, vcc
	v_lshlrev_b32_e32 v4, 3, v83
	v_add_co_u32_e32 v12, vcc, v24, v4
	v_addc_co_u32_e32 v13, vcc, 0, v25, vcc
	s_movk_i32 s8, 0x400
	v_add_co_u32_e32 v4, vcc, v22, v4
	v_mov_b32_e32 v10, v0
	v_mov_b32_e32 v11, v1
	v_sub_u32_e64 v26, s8, v18 clamp
	v_addc_co_u32_e32 v5, vcc, 0, v23, vcc
	flat_store_dwordx4 v[12:13], v[8:11]
	flat_store_dwordx4 v[4:5], v[64:67]
	v_or_b32_e32 v11, 4, v83
	v_min_u32_e32 v27, v26, v11
	v_add_u32_e32 v11, 4, v27
	v_mov_b32_e32 v16, v20
	v_mov_b32_e32 v17, v21
	v_and_b32_e32 v10, 0x1f8, v83
	v_min_u32_e32 v28, v26, v11
	v_and_b32_e32 v11, 4, v83
	flat_store_dwordx4 v[12:13], v[14:17] offset:16
	flat_store_dwordx4 v[4:5], v[68:71] offset:16
	v_min_u32_e32 v11, v26, v11
	v_sub_u32_e32 v17, v27, v10
	v_sub_u32_e32 v16, v28, v27
	v_sub_u32_e64 v16, v11, v16 clamp
	v_min_u32_e32 v17, v11, v17
	v_cmp_lt_u32_e32 vcc, v16, v17
	; wave barrier
	s_and_saveexec_b64 s[8:9], vcc
	s_cbranch_execz .LBB829_70
; %bb.67:
	v_lshlrev_b32_e32 v18, 3, v10
	v_add_co_u32_e32 v29, vcc, v24, v18
	v_addc_co_u32_e32 v30, vcc, 0, v25, vcc
	v_lshlrev_b32_e32 v18, 3, v27
	v_add_co_u32_e32 v31, vcc, v24, v18
	v_addc_co_u32_e32 v32, vcc, 0, v25, vcc
	s_mov_b64 s[12:13], 0
.LBB829_68:                             ; =>This Inner Loop Header: Depth=1
	v_add_u32_e32 v18, v17, v16
	v_lshrrev_b32_e32 v18, 1, v18
	v_lshlrev_b64 v[36:37], 3, v[18:19]
	v_mov_b32_e32 v35, v19
	v_xad_u32 v34, v18, -1, v11
	v_add_co_u32_e32 v36, vcc, v29, v36
	v_addc_co_u32_e32 v37, vcc, v30, v37, vcc
	v_lshlrev_b64 v[34:35], 3, v[34:35]
	v_add_co_u32_e32 v34, vcc, v31, v34
	v_addc_co_u32_e32 v35, vcc, v32, v35, vcc
	flat_load_dwordx2 v[38:39], v[36:37]
	flat_load_dwordx2 v[48:49], v[34:35]
	v_add_u32_e32 v33, 1, v18
	s_waitcnt vmcnt(0) lgkmcnt(0)
	v_cmp_gt_i64_e32 vcc, v[38:39], v[48:49]
	v_cndmask_b32_e32 v17, v17, v18, vcc
	v_cndmask_b32_e32 v16, v33, v16, vcc
	v_cmp_ge_u32_e32 vcc, v16, v17
	s_or_b64 s[12:13], vcc, s[12:13]
	s_andn2_b64 exec, exec, s[12:13]
	s_cbranch_execnz .LBB829_68
; %bb.69:
	s_or_b64 exec, exec, s[12:13]
.LBB829_70:
	s_or_b64 exec, exec, s[8:9]
	v_add_u32_e32 v11, v27, v11
	v_add_u32_e32 v10, v16, v10
	v_sub_u32_e32 v16, v11, v16
	v_cmp_le_u32_e32 vcc, v10, v27
	v_cmp_le_u32_e64 s[8:9], v16, v28
	s_or_b64 s[8:9], vcc, s[8:9]
	s_and_saveexec_b64 s[24:25], s[8:9]
	s_cbranch_execz .LBB829_76
; %bb.71:
	v_cmp_lt_u32_e32 vcc, v10, v27
                                        ; implicit-def: $vgpr0_vgpr1
	s_and_saveexec_b64 s[12:13], vcc
	s_cbranch_execz .LBB829_73
; %bb.72:
	v_mov_b32_e32 v11, 0
	v_lshlrev_b64 v[0:1], 3, v[10:11]
	v_add_co_u32_e64 v0, s[8:9], v24, v0
	v_addc_co_u32_e64 v1, s[8:9], v25, v1, s[8:9]
	flat_load_dwordx2 v[0:1], v[0:1]
.LBB829_73:
	s_or_b64 exec, exec, s[12:13]
	v_cmp_ge_u32_e64 s[8:9], v16, v28
	v_cmp_lt_u32_e64 s[12:13], v16, v28
                                        ; implicit-def: $vgpr8_vgpr9
	s_and_saveexec_b64 s[14:15], s[12:13]
	s_cbranch_execz .LBB829_75
; %bb.74:
	v_mov_b32_e32 v17, 0
	v_lshlrev_b64 v[8:9], 3, v[16:17]
	v_add_co_u32_e64 v8, s[12:13], v24, v8
	v_addc_co_u32_e64 v9, s[12:13], v25, v9, s[12:13]
	flat_load_dwordx2 v[8:9], v[8:9]
.LBB829_75:
	s_or_b64 exec, exec, s[14:15]
	s_waitcnt vmcnt(0) lgkmcnt(0)
	v_cmp_le_i64_e64 s[12:13], v[0:1], v[8:9]
	s_and_b64 s[12:13], vcc, s[12:13]
	s_or_b64 vcc, s[8:9], s[12:13]
	v_cndmask_b32_e32 v14, v16, v10, vcc
	v_cndmask_b32_e32 v11, v28, v27, vcc
	v_mov_b32_e32 v15, 0
	v_add_u32_e32 v17, 1, v14
	v_add_u32_e32 v11, -1, v11
	v_lshlrev_b64 v[18:19], 3, v[14:15]
	v_min_u32_e32 v14, v17, v11
	v_lshlrev_b64 v[20:21], 3, v[14:15]
	v_add_co_u32_e64 v20, s[8:9], v24, v20
	v_addc_co_u32_e64 v21, s[8:9], v25, v21, s[8:9]
	flat_load_dwordx2 v[20:21], v[20:21]
	v_cndmask_b32_e32 v29, v17, v16, vcc
	v_cndmask_b32_e32 v32, v10, v17, vcc
	v_cmp_lt_u32_e64 s[12:13], v32, v27
	v_cmp_ge_u32_e64 s[8:9], v29, v28
	s_waitcnt vmcnt(0) lgkmcnt(0)
	v_cndmask_b32_e32 v11, v21, v9, vcc
	v_cndmask_b32_e32 v10, v20, v8, vcc
	;; [unrolled: 1-line block ×4, first 2 shown]
	v_cmp_le_i64_e64 s[14:15], v[16:17], v[10:11]
	s_and_b64 s[12:13], s[12:13], s[14:15]
	s_or_b64 s[8:9], s[8:9], s[12:13]
	v_cndmask_b32_e64 v14, v29, v32, s[8:9]
	v_cndmask_b32_e64 v30, v28, v27, s[8:9]
	v_lshlrev_b64 v[20:21], 3, v[14:15]
	v_add_u32_e32 v33, 1, v14
	v_add_u32_e32 v14, -1, v30
	v_min_u32_e32 v14, v33, v14
	v_lshlrev_b64 v[30:31], 3, v[14:15]
	v_add_co_u32_e64 v30, s[12:13], v24, v30
	v_addc_co_u32_e64 v31, s[12:13], v25, v31, s[12:13]
	flat_load_dwordx2 v[30:31], v[30:31]
	v_cndmask_b32_e64 v29, v33, v29, s[8:9]
	v_cndmask_b32_e64 v38, v32, v33, s[8:9]
	v_cmp_lt_u32_e64 s[14:15], v38, v27
	v_cmp_ge_u32_e64 s[12:13], v29, v28
	v_cndmask_b32_e32 v9, v9, v1, vcc
	v_cndmask_b32_e32 v8, v8, v0, vcc
	v_cndmask_b32_e64 v1, v11, v17, s[8:9]
	v_cndmask_b32_e64 v0, v10, v16, s[8:9]
	s_waitcnt vmcnt(0) lgkmcnt(0)
	v_cndmask_b32_e64 v33, v31, v11, s[8:9]
	v_cndmask_b32_e64 v32, v30, v10, s[8:9]
	;; [unrolled: 1-line block ×4, first 2 shown]
	v_cmp_le_i64_e64 s[18:19], v[30:31], v[32:33]
	s_and_b64 s[14:15], s[14:15], s[18:19]
	s_or_b64 s[12:13], s[12:13], s[14:15]
	v_cndmask_b32_e64 v14, v29, v38, s[12:13]
	v_cndmask_b32_e64 v36, v28, v27, s[12:13]
	v_lshlrev_b64 v[34:35], 3, v[14:15]
	v_add_u32_e32 v39, 1, v14
	v_add_u32_e32 v14, -1, v36
	v_min_u32_e32 v14, v39, v14
	v_lshlrev_b64 v[36:37], 3, v[14:15]
	v_add_co_u32_e64 v36, s[14:15], v24, v36
	v_addc_co_u32_e64 v37, s[14:15], v25, v37, s[14:15]
	flat_load_dwordx2 v[36:37], v[36:37]
	v_add_co_u32_e64 v18, s[14:15], v22, v18
	v_addc_co_u32_e64 v19, s[14:15], v23, v19, s[14:15]
	flat_load_dwordx2 v[64:65], v[18:19]
	;; [unrolled: 3-line block ×4, first 2 shown]
	v_cndmask_b32_e64 v14, v39, v29, s[12:13]
	v_cndmask_b32_e64 v29, v38, v39, s[12:13]
	v_cmp_lt_u32_e64 s[18:19], v29, v27
	v_cmp_ge_u32_e64 s[14:15], v14, v28
	s_waitcnt vmcnt(0) lgkmcnt(0)
	v_cndmask_b32_e64 v19, v37, v33, s[12:13]
	v_cndmask_b32_e64 v18, v36, v32, s[12:13]
	;; [unrolled: 1-line block ×4, first 2 shown]
	v_cmp_le_i64_e64 s[20:21], v[20:21], v[18:19]
	s_and_b64 s[18:19], s[18:19], s[20:21]
	s_or_b64 s[14:15], s[14:15], s[18:19]
	v_cndmask_b32_e64 v14, v14, v29, s[14:15]
	v_lshlrev_b64 v[14:15], 3, v[14:15]
	v_add_co_u32_e64 v14, s[18:19], v22, v14
	v_addc_co_u32_e64 v15, s[18:19], v23, v15, s[18:19]
	flat_load_dwordx2 v[70:71], v[14:15]
	v_cndmask_b32_e64 v15, v33, v31, s[12:13]
	v_cndmask_b32_e64 v14, v32, v30, s[12:13]
	;; [unrolled: 1-line block ×4, first 2 shown]
.LBB829_76:
	s_or_b64 exec, exec, s[24:25]
	v_mov_b32_e32 v10, v0
	v_mov_b32_e32 v11, v1
	;; [unrolled: 1-line block ×4, first 2 shown]
	; wave barrier
	flat_store_dwordx4 v[12:13], v[8:11]
	flat_store_dwordx4 v[4:5], v[64:67]
	flat_store_dwordx4 v[12:13], v[14:17] offset:16
	s_waitcnt vmcnt(0) lgkmcnt(0)
	flat_store_dwordx4 v[4:5], v[68:71] offset:16
	v_and_b32_e32 v16, 0x1f0, v83
	v_or_b32_e32 v10, 8, v16
	v_min_u32_e32 v18, v26, v10
	v_add_u32_e32 v10, 8, v18
	v_min_u32_e32 v19, v26, v10
	v_and_b32_e32 v10, 12, v83
	v_min_u32_e32 v17, v26, v10
	v_sub_u32_e32 v10, v18, v16
	v_sub_u32_e32 v11, v19, v18
	v_sub_u32_e64 v27, v17, v11 clamp
	v_min_u32_e32 v28, v17, v10
	v_cmp_lt_u32_e32 vcc, v27, v28
	; wave barrier
	s_and_saveexec_b64 s[8:9], vcc
	s_cbranch_execz .LBB829_80
; %bb.77:
	v_lshlrev_b32_e32 v10, 3, v16
	v_add_co_u32_e32 v29, vcc, v24, v10
	v_addc_co_u32_e32 v30, vcc, 0, v25, vcc
	v_lshlrev_b32_e32 v10, 3, v18
	v_add_co_u32_e32 v31, vcc, v24, v10
	v_addc_co_u32_e32 v32, vcc, 0, v25, vcc
	s_mov_b64 s[12:13], 0
	v_mov_b32_e32 v11, 0
.LBB829_78:                             ; =>This Inner Loop Header: Depth=1
	v_add_u32_e32 v10, v28, v27
	v_lshrrev_b32_e32 v10, 1, v10
	v_lshlrev_b64 v[36:37], 3, v[10:11]
	v_mov_b32_e32 v35, v11
	v_xad_u32 v34, v10, -1, v17
	v_add_co_u32_e32 v36, vcc, v29, v36
	v_addc_co_u32_e32 v37, vcc, v30, v37, vcc
	v_lshlrev_b64 v[34:35], 3, v[34:35]
	v_add_co_u32_e32 v34, vcc, v31, v34
	v_addc_co_u32_e32 v35, vcc, v32, v35, vcc
	flat_load_dwordx2 v[38:39], v[36:37]
	flat_load_dwordx2 v[48:49], v[34:35]
	v_add_u32_e32 v33, 1, v10
	s_waitcnt vmcnt(0) lgkmcnt(0)
	v_cmp_gt_i64_e32 vcc, v[38:39], v[48:49]
	v_cndmask_b32_e32 v28, v28, v10, vcc
	v_cndmask_b32_e32 v27, v33, v27, vcc
	v_cmp_ge_u32_e32 vcc, v27, v28
	s_or_b64 s[12:13], vcc, s[12:13]
	s_andn2_b64 exec, exec, s[12:13]
	s_cbranch_execnz .LBB829_78
; %bb.79:
	s_or_b64 exec, exec, s[12:13]
.LBB829_80:
	s_or_b64 exec, exec, s[8:9]
	v_add_u32_e32 v11, v18, v17
	v_add_u32_e32 v10, v27, v16
	v_sub_u32_e32 v16, v11, v27
	v_cmp_le_u32_e32 vcc, v10, v18
	v_cmp_le_u32_e64 s[8:9], v16, v19
	s_or_b64 s[8:9], vcc, s[8:9]
	s_and_saveexec_b64 s[24:25], s[8:9]
	s_cbranch_execz .LBB829_86
; %bb.81:
	v_cmp_lt_u32_e32 vcc, v10, v18
                                        ; implicit-def: $vgpr0_vgpr1
	s_and_saveexec_b64 s[12:13], vcc
	s_cbranch_execz .LBB829_83
; %bb.82:
	v_mov_b32_e32 v11, 0
	v_lshlrev_b64 v[0:1], 3, v[10:11]
	v_add_co_u32_e64 v0, s[8:9], v24, v0
	v_addc_co_u32_e64 v1, s[8:9], v25, v1, s[8:9]
	flat_load_dwordx2 v[0:1], v[0:1]
.LBB829_83:
	s_or_b64 exec, exec, s[12:13]
	v_cmp_ge_u32_e64 s[8:9], v16, v19
	v_cmp_lt_u32_e64 s[12:13], v16, v19
                                        ; implicit-def: $vgpr8_vgpr9
	s_and_saveexec_b64 s[14:15], s[12:13]
	s_cbranch_execz .LBB829_85
; %bb.84:
	v_mov_b32_e32 v17, 0
	v_lshlrev_b64 v[8:9], 3, v[16:17]
	v_add_co_u32_e64 v8, s[12:13], v24, v8
	v_addc_co_u32_e64 v9, s[12:13], v25, v9, s[12:13]
	flat_load_dwordx2 v[8:9], v[8:9]
.LBB829_85:
	s_or_b64 exec, exec, s[14:15]
	s_waitcnt vmcnt(0) lgkmcnt(0)
	v_cmp_le_i64_e64 s[12:13], v[0:1], v[8:9]
	s_and_b64 s[12:13], vcc, s[12:13]
	s_or_b64 vcc, s[8:9], s[12:13]
	v_cndmask_b32_e32 v14, v16, v10, vcc
	v_cndmask_b32_e32 v11, v19, v18, vcc
	v_mov_b32_e32 v15, 0
	v_add_u32_e32 v17, 1, v14
	v_add_u32_e32 v11, -1, v11
	v_lshlrev_b64 v[20:21], 3, v[14:15]
	v_min_u32_e32 v14, v17, v11
	v_lshlrev_b64 v[28:29], 3, v[14:15]
	v_add_co_u32_e64 v28, s[8:9], v24, v28
	v_addc_co_u32_e64 v29, s[8:9], v25, v29, s[8:9]
	flat_load_dwordx2 v[28:29], v[28:29]
	v_cndmask_b32_e32 v27, v17, v16, vcc
	v_cndmask_b32_e32 v32, v10, v17, vcc
	v_cmp_lt_u32_e64 s[12:13], v32, v18
	v_cmp_ge_u32_e64 s[8:9], v27, v19
	s_waitcnt vmcnt(0) lgkmcnt(0)
	v_cndmask_b32_e32 v11, v29, v9, vcc
	v_cndmask_b32_e32 v10, v28, v8, vcc
	;; [unrolled: 1-line block ×4, first 2 shown]
	v_cmp_le_i64_e64 s[14:15], v[16:17], v[10:11]
	s_and_b64 s[12:13], s[12:13], s[14:15]
	s_or_b64 s[8:9], s[8:9], s[12:13]
	v_cndmask_b32_e64 v14, v27, v32, s[8:9]
	v_cndmask_b32_e64 v30, v19, v18, s[8:9]
	v_lshlrev_b64 v[28:29], 3, v[14:15]
	v_add_u32_e32 v33, 1, v14
	v_add_u32_e32 v14, -1, v30
	v_min_u32_e32 v14, v33, v14
	v_lshlrev_b64 v[30:31], 3, v[14:15]
	v_add_co_u32_e64 v30, s[12:13], v24, v30
	v_addc_co_u32_e64 v31, s[12:13], v25, v31, s[12:13]
	flat_load_dwordx2 v[30:31], v[30:31]
	v_cndmask_b32_e64 v27, v33, v27, s[8:9]
	v_cndmask_b32_e64 v38, v32, v33, s[8:9]
	v_cmp_lt_u32_e64 s[14:15], v38, v18
	v_cmp_ge_u32_e64 s[12:13], v27, v19
	v_cndmask_b32_e32 v9, v9, v1, vcc
	v_cndmask_b32_e32 v8, v8, v0, vcc
	v_cndmask_b32_e64 v1, v11, v17, s[8:9]
	v_cndmask_b32_e64 v0, v10, v16, s[8:9]
	s_waitcnt vmcnt(0) lgkmcnt(0)
	v_cndmask_b32_e64 v33, v31, v11, s[8:9]
	v_cndmask_b32_e64 v32, v30, v10, s[8:9]
	;; [unrolled: 1-line block ×4, first 2 shown]
	v_cmp_le_i64_e64 s[18:19], v[30:31], v[32:33]
	s_and_b64 s[14:15], s[14:15], s[18:19]
	s_or_b64 s[12:13], s[12:13], s[14:15]
	v_cndmask_b32_e64 v14, v27, v38, s[12:13]
	v_cndmask_b32_e64 v36, v19, v18, s[12:13]
	v_lshlrev_b64 v[34:35], 3, v[14:15]
	v_add_u32_e32 v39, 1, v14
	v_add_u32_e32 v14, -1, v36
	v_min_u32_e32 v14, v39, v14
	v_lshlrev_b64 v[36:37], 3, v[14:15]
	v_add_co_u32_e64 v36, s[14:15], v24, v36
	v_addc_co_u32_e64 v37, s[14:15], v25, v37, s[14:15]
	flat_load_dwordx2 v[36:37], v[36:37]
	v_add_co_u32_e64 v20, s[14:15], v22, v20
	v_addc_co_u32_e64 v21, s[14:15], v23, v21, s[14:15]
	flat_load_dwordx2 v[64:65], v[20:21]
	;; [unrolled: 3-line block ×3, first 2 shown]
	v_add_co_u32_e64 v20, s[14:15], v22, v34
	v_addc_co_u32_e64 v21, s[14:15], v23, v35, s[14:15]
	v_cndmask_b32_e64 v14, v39, v27, s[12:13]
	v_cndmask_b32_e64 v27, v38, v39, s[12:13]
	flat_load_dwordx2 v[68:69], v[20:21]
	v_cmp_ge_u32_e64 s[14:15], v14, v19
	v_cmp_lt_u32_e64 s[18:19], v27, v18
	s_waitcnt vmcnt(0) lgkmcnt(0)
	v_cndmask_b32_e64 v19, v37, v33, s[12:13]
	v_cndmask_b32_e64 v18, v36, v32, s[12:13]
	;; [unrolled: 1-line block ×4, first 2 shown]
	v_cmp_le_i64_e64 s[20:21], v[20:21], v[18:19]
	s_and_b64 s[18:19], s[18:19], s[20:21]
	s_or_b64 s[14:15], s[14:15], s[18:19]
	v_cndmask_b32_e64 v14, v14, v27, s[14:15]
	v_lshlrev_b64 v[14:15], 3, v[14:15]
	v_add_co_u32_e64 v14, s[18:19], v22, v14
	v_addc_co_u32_e64 v15, s[18:19], v23, v15, s[18:19]
	flat_load_dwordx2 v[70:71], v[14:15]
	v_cndmask_b32_e64 v15, v33, v31, s[12:13]
	v_cndmask_b32_e64 v14, v32, v30, s[12:13]
	;; [unrolled: 1-line block ×4, first 2 shown]
.LBB829_86:
	s_or_b64 exec, exec, s[24:25]
	v_mov_b32_e32 v10, v0
	v_mov_b32_e32 v11, v1
	; wave barrier
	flat_store_dwordx4 v[12:13], v[8:11]
	flat_store_dwordx4 v[4:5], v[64:67]
	v_mov_b32_e32 v16, v20
	v_mov_b32_e32 v17, v21
	v_and_b32_e32 v10, 0x1e0, v83
	flat_store_dwordx4 v[12:13], v[14:17] offset:16
	s_waitcnt vmcnt(0) lgkmcnt(0)
	flat_store_dwordx4 v[4:5], v[68:71] offset:16
	v_or_b32_e32 v4, 16, v10
	v_min_u32_e32 v16, v26, v4
	v_add_u32_e32 v4, 16, v16
	v_min_u32_e32 v17, v26, v4
	v_min_u32_e32 v11, v26, v84
	v_sub_u32_e32 v4, v16, v10
	v_sub_u32_e32 v5, v17, v16
	v_sub_u32_e64 v12, v11, v5 clamp
	v_min_u32_e32 v13, v11, v4
	v_cmp_lt_u32_e32 vcc, v12, v13
	; wave barrier
	s_and_saveexec_b64 s[8:9], vcc
	s_cbranch_execz .LBB829_90
; %bb.87:
	v_lshlrev_b32_e32 v4, 3, v10
	v_add_co_u32_e32 v18, vcc, v24, v4
	v_addc_co_u32_e32 v19, vcc, 0, v25, vcc
	v_lshlrev_b32_e32 v4, 3, v16
	v_add_co_u32_e32 v26, vcc, v24, v4
	v_addc_co_u32_e32 v27, vcc, 0, v25, vcc
	s_mov_b64 s[12:13], 0
	v_mov_b32_e32 v5, 0
.LBB829_88:                             ; =>This Inner Loop Header: Depth=1
	v_add_u32_e32 v4, v13, v12
	v_lshrrev_b32_e32 v4, 1, v4
	v_lshlrev_b64 v[30:31], 3, v[4:5]
	v_mov_b32_e32 v29, v5
	v_xad_u32 v28, v4, -1, v11
	v_add_co_u32_e32 v30, vcc, v18, v30
	v_addc_co_u32_e32 v31, vcc, v19, v31, vcc
	v_lshlrev_b64 v[28:29], 3, v[28:29]
	v_add_co_u32_e32 v28, vcc, v26, v28
	v_addc_co_u32_e32 v29, vcc, v27, v29, vcc
	flat_load_dwordx2 v[32:33], v[30:31]
	flat_load_dwordx2 v[34:35], v[28:29]
	v_add_u32_e32 v28, 1, v4
	s_waitcnt vmcnt(0) lgkmcnt(0)
	v_cmp_gt_i64_e32 vcc, v[32:33], v[34:35]
	v_cndmask_b32_e32 v13, v13, v4, vcc
	v_cndmask_b32_e32 v12, v28, v12, vcc
	v_cmp_ge_u32_e32 vcc, v12, v13
	s_or_b64 s[12:13], vcc, s[12:13]
	s_andn2_b64 exec, exec, s[12:13]
	s_cbranch_execnz .LBB829_88
; %bb.89:
	s_or_b64 exec, exec, s[12:13]
.LBB829_90:
	s_or_b64 exec, exec, s[8:9]
	v_add_u32_e32 v4, v16, v11
	v_add_u32_e32 v10, v12, v10
	v_sub_u32_e32 v12, v4, v12
	v_cmp_le_u32_e32 vcc, v10, v16
	v_cmp_le_u32_e64 s[8:9], v12, v17
	s_or_b64 s[8:9], vcc, s[8:9]
	s_and_saveexec_b64 s[24:25], s[8:9]
	s_cbranch_execz .LBB829_96
; %bb.91:
	v_cmp_lt_u32_e32 vcc, v10, v16
                                        ; implicit-def: $vgpr0_vgpr1
	s_and_saveexec_b64 s[12:13], vcc
	s_cbranch_execz .LBB829_93
; %bb.92:
	v_mov_b32_e32 v11, 0
	v_lshlrev_b64 v[0:1], 3, v[10:11]
	v_add_co_u32_e64 v0, s[8:9], v24, v0
	v_addc_co_u32_e64 v1, s[8:9], v25, v1, s[8:9]
	flat_load_dwordx2 v[0:1], v[0:1]
.LBB829_93:
	s_or_b64 exec, exec, s[12:13]
	v_cmp_ge_u32_e64 s[8:9], v12, v17
	v_cmp_lt_u32_e64 s[12:13], v12, v17
                                        ; implicit-def: $vgpr4_vgpr5
	s_and_saveexec_b64 s[14:15], s[12:13]
	s_cbranch_execz .LBB829_95
; %bb.94:
	v_mov_b32_e32 v13, 0
	v_lshlrev_b64 v[4:5], 3, v[12:13]
	v_add_co_u32_e64 v4, s[12:13], v24, v4
	v_addc_co_u32_e64 v5, s[12:13], v25, v5, s[12:13]
	flat_load_dwordx2 v[4:5], v[4:5]
.LBB829_95:
	s_or_b64 exec, exec, s[14:15]
	s_waitcnt vmcnt(0) lgkmcnt(0)
	v_cmp_le_i64_e64 s[12:13], v[0:1], v[4:5]
	s_and_b64 s[12:13], vcc, s[12:13]
	s_or_b64 vcc, s[8:9], s[12:13]
	v_cndmask_b32_e32 v8, v12, v10, vcc
	v_cndmask_b32_e32 v11, v17, v16, vcc
	v_mov_b32_e32 v9, 0
	v_lshlrev_b64 v[14:15], 3, v[8:9]
	v_add_u32_e32 v13, 1, v8
	v_add_u32_e32 v8, -1, v11
	v_min_u32_e32 v8, v13, v8
	v_lshlrev_b64 v[18:19], 3, v[8:9]
	v_add_co_u32_e64 v18, s[8:9], v24, v18
	v_addc_co_u32_e64 v19, s[8:9], v25, v19, s[8:9]
	flat_load_dwordx2 v[18:19], v[18:19]
	v_cndmask_b32_e32 v26, v13, v12, vcc
	v_cndmask_b32_e32 v27, v10, v13, vcc
	v_cmp_lt_u32_e64 s[12:13], v27, v16
	v_cmp_ge_u32_e64 s[8:9], v26, v17
	s_waitcnt vmcnt(0) lgkmcnt(0)
	v_cndmask_b32_e32 v11, v19, v5, vcc
	v_cndmask_b32_e32 v10, v18, v4, vcc
	;; [unrolled: 1-line block ×4, first 2 shown]
	v_cmp_le_i64_e64 s[14:15], v[12:13], v[10:11]
	s_and_b64 s[12:13], s[12:13], s[14:15]
	s_or_b64 s[8:9], s[8:9], s[12:13]
	v_cndmask_b32_e64 v8, v26, v27, s[8:9]
	v_cndmask_b32_e64 v20, v17, v16, s[8:9]
	v_lshlrev_b64 v[18:19], 3, v[8:9]
	v_add_u32_e32 v28, 1, v8
	v_add_u32_e32 v8, -1, v20
	v_min_u32_e32 v8, v28, v8
	v_lshlrev_b64 v[20:21], 3, v[8:9]
	v_add_co_u32_e64 v20, s[12:13], v24, v20
	v_addc_co_u32_e64 v21, s[12:13], v25, v21, s[12:13]
	flat_load_dwordx2 v[20:21], v[20:21]
	v_cndmask_b32_e64 v32, v28, v26, s[8:9]
	v_cndmask_b32_e64 v33, v27, v28, s[8:9]
	v_cmp_lt_u32_e64 s[14:15], v33, v16
	v_cmp_ge_u32_e64 s[12:13], v32, v17
	s_waitcnt vmcnt(0) lgkmcnt(0)
	v_cndmask_b32_e64 v27, v21, v11, s[8:9]
	v_cndmask_b32_e64 v26, v20, v10, s[8:9]
	;; [unrolled: 1-line block ×4, first 2 shown]
	v_cmp_le_i64_e64 s[18:19], v[20:21], v[26:27]
	s_and_b64 s[14:15], s[14:15], s[18:19]
	s_or_b64 s[12:13], s[12:13], s[14:15]
	v_cndmask_b32_e64 v8, v32, v33, s[12:13]
	v_cndmask_b32_e64 v30, v17, v16, s[12:13]
	v_lshlrev_b64 v[28:29], 3, v[8:9]
	v_add_u32_e32 v34, 1, v8
	v_add_u32_e32 v8, -1, v30
	v_min_u32_e32 v8, v34, v8
	v_lshlrev_b64 v[30:31], 3, v[8:9]
	v_add_co_u32_e64 v24, s[14:15], v24, v30
	v_addc_co_u32_e64 v25, s[14:15], v25, v31, s[14:15]
	flat_load_dwordx2 v[24:25], v[24:25]
	v_add_co_u32_e64 v14, s[14:15], v22, v14
	v_addc_co_u32_e64 v15, s[14:15], v23, v15, s[14:15]
	flat_load_dwordx2 v[64:65], v[14:15]
	;; [unrolled: 3-line block ×4, first 2 shown]
	v_cndmask_b32_e64 v8, v34, v32, s[12:13]
	v_cndmask_b32_e64 v14, v33, v34, s[12:13]
	v_cmp_ge_u32_e64 s[14:15], v8, v17
	v_cmp_lt_u32_e64 s[18:19], v14, v16
	v_cndmask_b32_e64 v15, v27, v21, s[12:13]
	s_waitcnt vmcnt(0) lgkmcnt(0)
	v_cndmask_b32_e64 v17, v25, v27, s[12:13]
	v_cndmask_b32_e64 v16, v24, v26, s[12:13]
	;; [unrolled: 1-line block ×4, first 2 shown]
	v_cmp_le_i64_e64 s[20:21], v[18:19], v[16:17]
	s_and_b64 s[18:19], s[18:19], s[20:21]
	s_or_b64 s[14:15], s[14:15], s[18:19]
	v_cndmask_b32_e64 v8, v8, v14, s[14:15]
	v_lshlrev_b64 v[8:9], 3, v[8:9]
	v_add_co_u32_e64 v8, s[18:19], v22, v8
	v_addc_co_u32_e64 v9, s[18:19], v23, v9, s[18:19]
	flat_load_dwordx2 v[70:71], v[8:9]
	v_cndmask_b32_e32 v9, v5, v1, vcc
	v_cndmask_b32_e32 v8, v4, v0, vcc
	v_cndmask_b32_e64 v1, v11, v13, s[8:9]
	v_cndmask_b32_e64 v0, v10, v12, s[8:9]
	;; [unrolled: 1-line block ×5, first 2 shown]
.LBB829_96:
	s_or_b64 exec, exec, s[24:25]
	; wave barrier
	s_waitcnt lgkmcnt(0)
	s_barrier
.LBB829_97:
	s_or_b64 exec, exec, s[22:23]
	v_add_co_u32_e32 v2, vcc, v2, v80
	v_addc_co_u32_e32 v3, vcc, v3, v81, vcc
	v_add_co_u32_e32 v2, vcc, v2, v82
	v_addc_co_u32_e32 v3, vcc, 0, v3, vcc
	s_waitcnt lgkmcnt(0)
	; wave barrier
	s_and_saveexec_b64 s[8:9], s[4:5]
	s_cbranch_execnz .LBB829_110
; %bb.98:
	s_or_b64 exec, exec, s[8:9]
	s_and_saveexec_b64 s[8:9], s[6:7]
	s_cbranch_execnz .LBB829_111
.LBB829_99:
	s_or_b64 exec, exec, s[8:9]
	s_and_saveexec_b64 s[8:9], s[16:17]
	s_cbranch_execnz .LBB829_112
.LBB829_100:
	s_or_b64 exec, exec, s[8:9]
	s_and_saveexec_b64 s[8:9], s[10:11]
	s_cbranch_execz .LBB829_102
.LBB829_101:
	flat_store_dwordx2 v[2:3], v[20:21] offset:24
.LBB829_102:
	s_or_b64 exec, exec, s[8:9]
	v_add_co_u32_e32 v0, vcc, v6, v80
	v_addc_co_u32_e32 v1, vcc, v7, v81, vcc
	v_add_co_u32_e32 v0, vcc, v0, v82
	v_addc_co_u32_e32 v1, vcc, 0, v1, vcc
	; wave barrier
	s_and_saveexec_b64 s[8:9], s[4:5]
	s_cbranch_execnz .LBB829_113
; %bb.103:
	s_or_b64 exec, exec, s[8:9]
	s_and_saveexec_b64 s[4:5], s[6:7]
	s_cbranch_execnz .LBB829_114
.LBB829_104:
	s_or_b64 exec, exec, s[4:5]
	s_and_saveexec_b64 s[4:5], s[16:17]
	s_cbranch_execnz .LBB829_115
.LBB829_105:
	s_or_b64 exec, exec, s[4:5]
	s_and_saveexec_b64 s[4:5], s[10:11]
	s_cbranch_execnz .LBB829_116
.LBB829_106:
	s_or_b64 exec, exec, s[4:5]
	s_waitcnt vmcnt(0) lgkmcnt(0)
	s_setpc_b64 s[30:31]
.LBB829_107:
	flat_load_dwordx2 v[64:65], v[4:5]
	s_or_b64 exec, exec, s[14:15]
	s_and_saveexec_b64 s[14:15], s[6:7]
	s_cbranch_execz .LBB829_10
.LBB829_108:
	flat_load_dwordx2 v[66:67], v[4:5] offset:8
	s_or_b64 exec, exec, s[14:15]
                                        ; implicit-def: $vgpr68_vgpr69
	s_and_saveexec_b64 s[14:15], s[16:17]
	s_cbranch_execz .LBB829_11
.LBB829_109:
	flat_load_dwordx2 v[68:69], v[4:5] offset:16
	s_or_b64 exec, exec, s[14:15]
	s_and_saveexec_b64 s[14:15], s[10:11]
	s_cbranch_execnz .LBB829_12
	s_branch .LBB829_13
.LBB829_110:
	s_waitcnt vmcnt(0) lgkmcnt(0)
	flat_store_dwordx2 v[2:3], v[8:9]
	s_or_b64 exec, exec, s[8:9]
	s_and_saveexec_b64 s[8:9], s[6:7]
	s_cbranch_execz .LBB829_99
.LBB829_111:
	flat_store_dwordx2 v[2:3], v[0:1] offset:8
	s_or_b64 exec, exec, s[8:9]
	s_and_saveexec_b64 s[8:9], s[16:17]
	s_cbranch_execz .LBB829_100
.LBB829_112:
	flat_store_dwordx2 v[2:3], v[14:15] offset:16
	s_or_b64 exec, exec, s[8:9]
	s_and_saveexec_b64 s[8:9], s[10:11]
	s_cbranch_execnz .LBB829_101
	s_branch .LBB829_102
.LBB829_113:
	s_waitcnt vmcnt(0) lgkmcnt(0)
	flat_store_dwordx2 v[0:1], v[64:65]
	s_or_b64 exec, exec, s[8:9]
	s_and_saveexec_b64 s[4:5], s[6:7]
	s_cbranch_execz .LBB829_104
.LBB829_114:
	s_waitcnt vmcnt(0) lgkmcnt(0)
	flat_store_dwordx2 v[0:1], v[66:67] offset:8
	s_or_b64 exec, exec, s[4:5]
	s_and_saveexec_b64 s[4:5], s[16:17]
	s_cbranch_execz .LBB829_105
.LBB829_115:
	s_waitcnt vmcnt(0) lgkmcnt(0)
	flat_store_dwordx2 v[0:1], v[68:69] offset:16
	s_or_b64 exec, exec, s[4:5]
	s_and_saveexec_b64 s[4:5], s[10:11]
	s_cbranch_execz .LBB829_106
.LBB829_116:
	s_waitcnt vmcnt(0) lgkmcnt(0)
	flat_store_dwordx2 v[0:1], v[70:71] offset:24
	s_or_b64 exec, exec, s[4:5]
	s_waitcnt vmcnt(0) lgkmcnt(0)
	s_setpc_b64 s[30:31]
.Lfunc_end829:
	.size	_ZN7rocprim17ROCPRIM_400000_NS6detail26segmented_warp_sort_helperINS1_20WarpSortHelperConfigILj8ELj4ELj256EEEllLi256ELb0EvE4sortIPKlPlS8_S9_EEvT_T0_T1_T2_jjjjRNS5_12storage_typeE, .Lfunc_end829-_ZN7rocprim17ROCPRIM_400000_NS6detail26segmented_warp_sort_helperINS1_20WarpSortHelperConfigILj8ELj4ELj256EEEllLi256ELb0EvE4sortIPKlPlS8_S9_EEvT_T0_T1_T2_jjjjRNS5_12storage_typeE
                                        ; -- End function
	.section	.AMDGPU.csdata,"",@progbits
; Function info:
; codeLenInByte = 8704
; NumSgprs: 36
; NumVgprs: 85
; NumAgprs: 0
; TotalNumVgprs: 85
; ScratchSize: 0
; MemoryBound: 1
	.section	.text._ZN7rocprim17ROCPRIM_400000_NS6detail17trampoline_kernelINS0_14default_configENS1_36segmented_radix_sort_config_selectorIllEEZNS1_25segmented_radix_sort_implIS3_Lb0EPKlPlS8_S9_N2at6native12_GLOBAL__N_18offset_tEEE10hipError_tPvRmT1_PNSt15iterator_traitsISH_E10value_typeET2_T3_PNSI_ISN_E10value_typeET4_jRbjT5_ST_jjP12ihipStream_tbEUlT_E1_NS1_11comp_targetILNS1_3genE4ELNS1_11target_archE910ELNS1_3gpuE8ELNS1_3repE0EEENS1_59segmented_radix_sort_warp_sort_small_config_static_selectorELNS0_4arch9wavefront6targetE1EEEvSH_,"axG",@progbits,_ZN7rocprim17ROCPRIM_400000_NS6detail17trampoline_kernelINS0_14default_configENS1_36segmented_radix_sort_config_selectorIllEEZNS1_25segmented_radix_sort_implIS3_Lb0EPKlPlS8_S9_N2at6native12_GLOBAL__N_18offset_tEEE10hipError_tPvRmT1_PNSt15iterator_traitsISH_E10value_typeET2_T3_PNSI_ISN_E10value_typeET4_jRbjT5_ST_jjP12ihipStream_tbEUlT_E1_NS1_11comp_targetILNS1_3genE4ELNS1_11target_archE910ELNS1_3gpuE8ELNS1_3repE0EEENS1_59segmented_radix_sort_warp_sort_small_config_static_selectorELNS0_4arch9wavefront6targetE1EEEvSH_,comdat
	.globl	_ZN7rocprim17ROCPRIM_400000_NS6detail17trampoline_kernelINS0_14default_configENS1_36segmented_radix_sort_config_selectorIllEEZNS1_25segmented_radix_sort_implIS3_Lb0EPKlPlS8_S9_N2at6native12_GLOBAL__N_18offset_tEEE10hipError_tPvRmT1_PNSt15iterator_traitsISH_E10value_typeET2_T3_PNSI_ISN_E10value_typeET4_jRbjT5_ST_jjP12ihipStream_tbEUlT_E1_NS1_11comp_targetILNS1_3genE4ELNS1_11target_archE910ELNS1_3gpuE8ELNS1_3repE0EEENS1_59segmented_radix_sort_warp_sort_small_config_static_selectorELNS0_4arch9wavefront6targetE1EEEvSH_ ; -- Begin function _ZN7rocprim17ROCPRIM_400000_NS6detail17trampoline_kernelINS0_14default_configENS1_36segmented_radix_sort_config_selectorIllEEZNS1_25segmented_radix_sort_implIS3_Lb0EPKlPlS8_S9_N2at6native12_GLOBAL__N_18offset_tEEE10hipError_tPvRmT1_PNSt15iterator_traitsISH_E10value_typeET2_T3_PNSI_ISN_E10value_typeET4_jRbjT5_ST_jjP12ihipStream_tbEUlT_E1_NS1_11comp_targetILNS1_3genE4ELNS1_11target_archE910ELNS1_3gpuE8ELNS1_3repE0EEENS1_59segmented_radix_sort_warp_sort_small_config_static_selectorELNS0_4arch9wavefront6targetE1EEEvSH_
	.p2align	8
	.type	_ZN7rocprim17ROCPRIM_400000_NS6detail17trampoline_kernelINS0_14default_configENS1_36segmented_radix_sort_config_selectorIllEEZNS1_25segmented_radix_sort_implIS3_Lb0EPKlPlS8_S9_N2at6native12_GLOBAL__N_18offset_tEEE10hipError_tPvRmT1_PNSt15iterator_traitsISH_E10value_typeET2_T3_PNSI_ISN_E10value_typeET4_jRbjT5_ST_jjP12ihipStream_tbEUlT_E1_NS1_11comp_targetILNS1_3genE4ELNS1_11target_archE910ELNS1_3gpuE8ELNS1_3repE0EEENS1_59segmented_radix_sort_warp_sort_small_config_static_selectorELNS0_4arch9wavefront6targetE1EEEvSH_,@function
_ZN7rocprim17ROCPRIM_400000_NS6detail17trampoline_kernelINS0_14default_configENS1_36segmented_radix_sort_config_selectorIllEEZNS1_25segmented_radix_sort_implIS3_Lb0EPKlPlS8_S9_N2at6native12_GLOBAL__N_18offset_tEEE10hipError_tPvRmT1_PNSt15iterator_traitsISH_E10value_typeET2_T3_PNSI_ISN_E10value_typeET4_jRbjT5_ST_jjP12ihipStream_tbEUlT_E1_NS1_11comp_targetILNS1_3genE4ELNS1_11target_archE910ELNS1_3gpuE8ELNS1_3repE0EEENS1_59segmented_radix_sort_warp_sort_small_config_static_selectorELNS0_4arch9wavefront6targetE1EEEvSH_: ; @_ZN7rocprim17ROCPRIM_400000_NS6detail17trampoline_kernelINS0_14default_configENS1_36segmented_radix_sort_config_selectorIllEEZNS1_25segmented_radix_sort_implIS3_Lb0EPKlPlS8_S9_N2at6native12_GLOBAL__N_18offset_tEEE10hipError_tPvRmT1_PNSt15iterator_traitsISH_E10value_typeET2_T3_PNSI_ISN_E10value_typeET4_jRbjT5_ST_jjP12ihipStream_tbEUlT_E1_NS1_11comp_targetILNS1_3genE4ELNS1_11target_archE910ELNS1_3gpuE8ELNS1_3repE0EEENS1_59segmented_radix_sort_warp_sort_small_config_static_selectorELNS0_4arch9wavefront6targetE1EEEvSH_
; %bb.0:
	s_add_u32 flat_scratch_lo, s6, s10
	s_addc_u32 flat_scratch_hi, s7, 0
	s_add_u32 s0, s0, s10
	s_load_dword s6, s[4:5], 0x64
	s_load_dword s10, s[4:5], 0x34
	s_addc_u32 s1, s1, 0
	v_bfe_u32 v1, v0, 10, 10
	v_bfe_u32 v2, v0, 20, 10
	s_waitcnt lgkmcnt(0)
	s_lshr_b32 s7, s6, 16
	s_and_b32 s6, s6, 0xffff
	v_mad_u32_u24 v1, v2, s7, v1
	v_and_b32_e32 v2, 0x3ff, v0
	v_mad_u64_u32 v[2:3], s[6:7], v1, s6, v[2:3]
	v_lshrrev_b32_e32 v1, 3, v2
	v_lshl_add_u32 v2, s8, 5, v1
	v_cmp_gt_u32_e32 vcc, s10, v2
	s_mov_b32 s32, 0
	s_and_saveexec_b64 s[6:7], vcc
	s_cbranch_execz .LBB830_6
; %bb.1:
	s_load_dwordx2 s[6:7], s[4:5], 0x38
	s_load_dwordx4 s[12:15], s[4:5], 0x40
	v_mov_b32_e32 v3, 0
	v_lshlrev_b64 v[2:3], 2, v[2:3]
	s_waitcnt lgkmcnt(0)
	v_mov_b32_e32 v1, s7
	v_sub_co_u32_e32 v2, vcc, s6, v2
	v_subb_co_u32_e32 v3, vcc, v1, v3, vcc
	global_load_dword v1, v[2:3], off offset:-4
	s_waitcnt vmcnt(0)
	v_add_u32_e32 v2, s13, v1
	v_add_u32_e32 v1, s15, v1
	v_mul_lo_u32 v40, v2, s12
	v_mul_lo_u32 v41, v1, s14
	v_cmp_gt_u32_e32 vcc, v41, v40
	s_and_b64 exec, exec, vcc
	s_cbranch_execz .LBB830_6
; %bb.2:
	s_load_dwordx4 s[44:47], s[4:5], 0x20
	s_load_dword s6, s[4:5], 0x30
	s_load_dwordx8 s[36:43], s[4:5], 0x0
	s_load_dwordx2 s[48:49], s[4:5], 0x50
	s_mov_b32 s34, s8
	s_mov_b32 s33, s9
	s_waitcnt lgkmcnt(0)
	s_bitcmp0_b32 s6, 0
	s_mov_b64 s[6:7], -1
	s_cbranch_scc0 .LBB830_4
; %bb.3:
	s_add_u32 s8, s4, 0x58
	s_mov_b64 s[6:7], src_shared_base
	s_addc_u32 s9, s5, 0
	s_mov_b32 s12, s34
	s_mov_b32 s13, s33
	v_mov_b32_e32 v31, v0
	v_mov_b32_e32 v42, v0
	;; [unrolled: 1-line block ×16, first 2 shown]
	s_getpc_b64 s[10:11]
	s_add_u32 s10, s10, _ZN7rocprim17ROCPRIM_400000_NS6detail26segmented_warp_sort_helperINS1_20WarpSortHelperConfigILj8ELj4ELj256EEEllLi256ELb0EvE4sortIPKlPlS8_S9_EEvT_T0_T1_T2_jjjjRNS5_12storage_typeE@rel32@lo+4
	s_addc_u32 s11, s11, _ZN7rocprim17ROCPRIM_400000_NS6detail26segmented_warp_sort_helperINS1_20WarpSortHelperConfigILj8ELj4ELj256EEEllLi256ELb0EvE4sortIPKlPlS8_S9_EEvT_T0_T1_T2_jjjjRNS5_12storage_typeE@rel32@hi+12
	s_mov_b64 s[38:39], s[4:5]
	s_swappc_b64 s[30:31], s[10:11]
	v_mov_b32_e32 v0, v42
	s_mov_b64 s[4:5], s[38:39]
	s_mov_b64 s[6:7], 0
.LBB830_4:
	s_andn2_b64 vcc, exec, s[6:7]
	s_cbranch_vccnz .LBB830_6
; %bb.5:
	s_add_u32 s8, s4, 0x58
	s_addc_u32 s9, s5, 0
	s_mov_b64 s[4:5], src_shared_base
	s_mov_b32 s12, s34
	s_mov_b32 s13, s33
	v_mov_b32_e32 v31, v0
	v_mov_b32_e32 v0, s36
	;; [unrolled: 1-line block ×15, first 2 shown]
	s_getpc_b64 s[6:7]
	s_add_u32 s6, s6, _ZN7rocprim17ROCPRIM_400000_NS6detail26segmented_warp_sort_helperINS1_20WarpSortHelperConfigILj8ELj4ELj256EEEllLi256ELb0EvE4sortIPKlPlS8_S9_EEvT_T0_T1_T2_jjjjRNS5_12storage_typeE@rel32@lo+4
	s_addc_u32 s7, s7, _ZN7rocprim17ROCPRIM_400000_NS6detail26segmented_warp_sort_helperINS1_20WarpSortHelperConfigILj8ELj4ELj256EEEllLi256ELb0EvE4sortIPKlPlS8_S9_EEvT_T0_T1_T2_jjjjRNS5_12storage_typeE@rel32@hi+12
	s_swappc_b64 s[30:31], s[6:7]
.LBB830_6:
	s_endpgm
	.section	.rodata,"a",@progbits
	.p2align	6, 0x0
	.amdhsa_kernel _ZN7rocprim17ROCPRIM_400000_NS6detail17trampoline_kernelINS0_14default_configENS1_36segmented_radix_sort_config_selectorIllEEZNS1_25segmented_radix_sort_implIS3_Lb0EPKlPlS8_S9_N2at6native12_GLOBAL__N_18offset_tEEE10hipError_tPvRmT1_PNSt15iterator_traitsISH_E10value_typeET2_T3_PNSI_ISN_E10value_typeET4_jRbjT5_ST_jjP12ihipStream_tbEUlT_E1_NS1_11comp_targetILNS1_3genE4ELNS1_11target_archE910ELNS1_3gpuE8ELNS1_3repE0EEENS1_59segmented_radix_sort_warp_sort_small_config_static_selectorELNS0_4arch9wavefront6targetE1EEEvSH_
		.amdhsa_group_segment_fixed_size 16384
		.amdhsa_private_segment_fixed_size 0
		.amdhsa_kernarg_size 344
		.amdhsa_user_sgpr_count 8
		.amdhsa_user_sgpr_private_segment_buffer 1
		.amdhsa_user_sgpr_dispatch_ptr 0
		.amdhsa_user_sgpr_queue_ptr 0
		.amdhsa_user_sgpr_kernarg_segment_ptr 1
		.amdhsa_user_sgpr_dispatch_id 0
		.amdhsa_user_sgpr_flat_scratch_init 1
		.amdhsa_user_sgpr_kernarg_preload_length 0
		.amdhsa_user_sgpr_kernarg_preload_offset 0
		.amdhsa_user_sgpr_private_segment_size 0
		.amdhsa_uses_dynamic_stack 0
		.amdhsa_system_sgpr_private_segment_wavefront_offset 0
		.amdhsa_system_sgpr_workgroup_id_x 1
		.amdhsa_system_sgpr_workgroup_id_y 1
		.amdhsa_system_sgpr_workgroup_id_z 0
		.amdhsa_system_sgpr_workgroup_info 0
		.amdhsa_system_vgpr_workitem_id 2
		.amdhsa_next_free_vgpr 85
		.amdhsa_next_free_sgpr 50
		.amdhsa_accum_offset 88
		.amdhsa_reserve_vcc 1
		.amdhsa_reserve_flat_scratch 1
		.amdhsa_float_round_mode_32 0
		.amdhsa_float_round_mode_16_64 0
		.amdhsa_float_denorm_mode_32 3
		.amdhsa_float_denorm_mode_16_64 3
		.amdhsa_dx10_clamp 1
		.amdhsa_ieee_mode 1
		.amdhsa_fp16_overflow 0
		.amdhsa_tg_split 0
		.amdhsa_exception_fp_ieee_invalid_op 0
		.amdhsa_exception_fp_denorm_src 0
		.amdhsa_exception_fp_ieee_div_zero 0
		.amdhsa_exception_fp_ieee_overflow 0
		.amdhsa_exception_fp_ieee_underflow 0
		.amdhsa_exception_fp_ieee_inexact 0
		.amdhsa_exception_int_div_zero 0
	.end_amdhsa_kernel
	.section	.text._ZN7rocprim17ROCPRIM_400000_NS6detail17trampoline_kernelINS0_14default_configENS1_36segmented_radix_sort_config_selectorIllEEZNS1_25segmented_radix_sort_implIS3_Lb0EPKlPlS8_S9_N2at6native12_GLOBAL__N_18offset_tEEE10hipError_tPvRmT1_PNSt15iterator_traitsISH_E10value_typeET2_T3_PNSI_ISN_E10value_typeET4_jRbjT5_ST_jjP12ihipStream_tbEUlT_E1_NS1_11comp_targetILNS1_3genE4ELNS1_11target_archE910ELNS1_3gpuE8ELNS1_3repE0EEENS1_59segmented_radix_sort_warp_sort_small_config_static_selectorELNS0_4arch9wavefront6targetE1EEEvSH_,"axG",@progbits,_ZN7rocprim17ROCPRIM_400000_NS6detail17trampoline_kernelINS0_14default_configENS1_36segmented_radix_sort_config_selectorIllEEZNS1_25segmented_radix_sort_implIS3_Lb0EPKlPlS8_S9_N2at6native12_GLOBAL__N_18offset_tEEE10hipError_tPvRmT1_PNSt15iterator_traitsISH_E10value_typeET2_T3_PNSI_ISN_E10value_typeET4_jRbjT5_ST_jjP12ihipStream_tbEUlT_E1_NS1_11comp_targetILNS1_3genE4ELNS1_11target_archE910ELNS1_3gpuE8ELNS1_3repE0EEENS1_59segmented_radix_sort_warp_sort_small_config_static_selectorELNS0_4arch9wavefront6targetE1EEEvSH_,comdat
.Lfunc_end830:
	.size	_ZN7rocprim17ROCPRIM_400000_NS6detail17trampoline_kernelINS0_14default_configENS1_36segmented_radix_sort_config_selectorIllEEZNS1_25segmented_radix_sort_implIS3_Lb0EPKlPlS8_S9_N2at6native12_GLOBAL__N_18offset_tEEE10hipError_tPvRmT1_PNSt15iterator_traitsISH_E10value_typeET2_T3_PNSI_ISN_E10value_typeET4_jRbjT5_ST_jjP12ihipStream_tbEUlT_E1_NS1_11comp_targetILNS1_3genE4ELNS1_11target_archE910ELNS1_3gpuE8ELNS1_3repE0EEENS1_59segmented_radix_sort_warp_sort_small_config_static_selectorELNS0_4arch9wavefront6targetE1EEEvSH_, .Lfunc_end830-_ZN7rocprim17ROCPRIM_400000_NS6detail17trampoline_kernelINS0_14default_configENS1_36segmented_radix_sort_config_selectorIllEEZNS1_25segmented_radix_sort_implIS3_Lb0EPKlPlS8_S9_N2at6native12_GLOBAL__N_18offset_tEEE10hipError_tPvRmT1_PNSt15iterator_traitsISH_E10value_typeET2_T3_PNSI_ISN_E10value_typeET4_jRbjT5_ST_jjP12ihipStream_tbEUlT_E1_NS1_11comp_targetILNS1_3genE4ELNS1_11target_archE910ELNS1_3gpuE8ELNS1_3repE0EEENS1_59segmented_radix_sort_warp_sort_small_config_static_selectorELNS0_4arch9wavefront6targetE1EEEvSH_
                                        ; -- End function
	.section	.AMDGPU.csdata,"",@progbits
; Kernel info:
; codeLenInByte = 512
; NumSgprs: 56
; NumVgprs: 85
; NumAgprs: 0
; TotalNumVgprs: 85
; ScratchSize: 0
; MemoryBound: 0
; FloatMode: 240
; IeeeMode: 1
; LDSByteSize: 16384 bytes/workgroup (compile time only)
; SGPRBlocks: 6
; VGPRBlocks: 10
; NumSGPRsForWavesPerEU: 56
; NumVGPRsForWavesPerEU: 85
; AccumOffset: 88
; Occupancy: 4
; WaveLimiterHint : 0
; COMPUTE_PGM_RSRC2:SCRATCH_EN: 0
; COMPUTE_PGM_RSRC2:USER_SGPR: 8
; COMPUTE_PGM_RSRC2:TRAP_HANDLER: 0
; COMPUTE_PGM_RSRC2:TGID_X_EN: 1
; COMPUTE_PGM_RSRC2:TGID_Y_EN: 1
; COMPUTE_PGM_RSRC2:TGID_Z_EN: 0
; COMPUTE_PGM_RSRC2:TIDIG_COMP_CNT: 2
; COMPUTE_PGM_RSRC3_GFX90A:ACCUM_OFFSET: 21
; COMPUTE_PGM_RSRC3_GFX90A:TG_SPLIT: 0
	.section	.text._ZN7rocprim17ROCPRIM_400000_NS6detail17trampoline_kernelINS0_14default_configENS1_36segmented_radix_sort_config_selectorIllEEZNS1_25segmented_radix_sort_implIS3_Lb0EPKlPlS8_S9_N2at6native12_GLOBAL__N_18offset_tEEE10hipError_tPvRmT1_PNSt15iterator_traitsISH_E10value_typeET2_T3_PNSI_ISN_E10value_typeET4_jRbjT5_ST_jjP12ihipStream_tbEUlT_E1_NS1_11comp_targetILNS1_3genE3ELNS1_11target_archE908ELNS1_3gpuE7ELNS1_3repE0EEENS1_59segmented_radix_sort_warp_sort_small_config_static_selectorELNS0_4arch9wavefront6targetE1EEEvSH_,"axG",@progbits,_ZN7rocprim17ROCPRIM_400000_NS6detail17trampoline_kernelINS0_14default_configENS1_36segmented_radix_sort_config_selectorIllEEZNS1_25segmented_radix_sort_implIS3_Lb0EPKlPlS8_S9_N2at6native12_GLOBAL__N_18offset_tEEE10hipError_tPvRmT1_PNSt15iterator_traitsISH_E10value_typeET2_T3_PNSI_ISN_E10value_typeET4_jRbjT5_ST_jjP12ihipStream_tbEUlT_E1_NS1_11comp_targetILNS1_3genE3ELNS1_11target_archE908ELNS1_3gpuE7ELNS1_3repE0EEENS1_59segmented_radix_sort_warp_sort_small_config_static_selectorELNS0_4arch9wavefront6targetE1EEEvSH_,comdat
	.globl	_ZN7rocprim17ROCPRIM_400000_NS6detail17trampoline_kernelINS0_14default_configENS1_36segmented_radix_sort_config_selectorIllEEZNS1_25segmented_radix_sort_implIS3_Lb0EPKlPlS8_S9_N2at6native12_GLOBAL__N_18offset_tEEE10hipError_tPvRmT1_PNSt15iterator_traitsISH_E10value_typeET2_T3_PNSI_ISN_E10value_typeET4_jRbjT5_ST_jjP12ihipStream_tbEUlT_E1_NS1_11comp_targetILNS1_3genE3ELNS1_11target_archE908ELNS1_3gpuE7ELNS1_3repE0EEENS1_59segmented_radix_sort_warp_sort_small_config_static_selectorELNS0_4arch9wavefront6targetE1EEEvSH_ ; -- Begin function _ZN7rocprim17ROCPRIM_400000_NS6detail17trampoline_kernelINS0_14default_configENS1_36segmented_radix_sort_config_selectorIllEEZNS1_25segmented_radix_sort_implIS3_Lb0EPKlPlS8_S9_N2at6native12_GLOBAL__N_18offset_tEEE10hipError_tPvRmT1_PNSt15iterator_traitsISH_E10value_typeET2_T3_PNSI_ISN_E10value_typeET4_jRbjT5_ST_jjP12ihipStream_tbEUlT_E1_NS1_11comp_targetILNS1_3genE3ELNS1_11target_archE908ELNS1_3gpuE7ELNS1_3repE0EEENS1_59segmented_radix_sort_warp_sort_small_config_static_selectorELNS0_4arch9wavefront6targetE1EEEvSH_
	.p2align	8
	.type	_ZN7rocprim17ROCPRIM_400000_NS6detail17trampoline_kernelINS0_14default_configENS1_36segmented_radix_sort_config_selectorIllEEZNS1_25segmented_radix_sort_implIS3_Lb0EPKlPlS8_S9_N2at6native12_GLOBAL__N_18offset_tEEE10hipError_tPvRmT1_PNSt15iterator_traitsISH_E10value_typeET2_T3_PNSI_ISN_E10value_typeET4_jRbjT5_ST_jjP12ihipStream_tbEUlT_E1_NS1_11comp_targetILNS1_3genE3ELNS1_11target_archE908ELNS1_3gpuE7ELNS1_3repE0EEENS1_59segmented_radix_sort_warp_sort_small_config_static_selectorELNS0_4arch9wavefront6targetE1EEEvSH_,@function
_ZN7rocprim17ROCPRIM_400000_NS6detail17trampoline_kernelINS0_14default_configENS1_36segmented_radix_sort_config_selectorIllEEZNS1_25segmented_radix_sort_implIS3_Lb0EPKlPlS8_S9_N2at6native12_GLOBAL__N_18offset_tEEE10hipError_tPvRmT1_PNSt15iterator_traitsISH_E10value_typeET2_T3_PNSI_ISN_E10value_typeET4_jRbjT5_ST_jjP12ihipStream_tbEUlT_E1_NS1_11comp_targetILNS1_3genE3ELNS1_11target_archE908ELNS1_3gpuE7ELNS1_3repE0EEENS1_59segmented_radix_sort_warp_sort_small_config_static_selectorELNS0_4arch9wavefront6targetE1EEEvSH_: ; @_ZN7rocprim17ROCPRIM_400000_NS6detail17trampoline_kernelINS0_14default_configENS1_36segmented_radix_sort_config_selectorIllEEZNS1_25segmented_radix_sort_implIS3_Lb0EPKlPlS8_S9_N2at6native12_GLOBAL__N_18offset_tEEE10hipError_tPvRmT1_PNSt15iterator_traitsISH_E10value_typeET2_T3_PNSI_ISN_E10value_typeET4_jRbjT5_ST_jjP12ihipStream_tbEUlT_E1_NS1_11comp_targetILNS1_3genE3ELNS1_11target_archE908ELNS1_3gpuE7ELNS1_3repE0EEENS1_59segmented_radix_sort_warp_sort_small_config_static_selectorELNS0_4arch9wavefront6targetE1EEEvSH_
; %bb.0:
	.section	.rodata,"a",@progbits
	.p2align	6, 0x0
	.amdhsa_kernel _ZN7rocprim17ROCPRIM_400000_NS6detail17trampoline_kernelINS0_14default_configENS1_36segmented_radix_sort_config_selectorIllEEZNS1_25segmented_radix_sort_implIS3_Lb0EPKlPlS8_S9_N2at6native12_GLOBAL__N_18offset_tEEE10hipError_tPvRmT1_PNSt15iterator_traitsISH_E10value_typeET2_T3_PNSI_ISN_E10value_typeET4_jRbjT5_ST_jjP12ihipStream_tbEUlT_E1_NS1_11comp_targetILNS1_3genE3ELNS1_11target_archE908ELNS1_3gpuE7ELNS1_3repE0EEENS1_59segmented_radix_sort_warp_sort_small_config_static_selectorELNS0_4arch9wavefront6targetE1EEEvSH_
		.amdhsa_group_segment_fixed_size 0
		.amdhsa_private_segment_fixed_size 0
		.amdhsa_kernarg_size 88
		.amdhsa_user_sgpr_count 6
		.amdhsa_user_sgpr_private_segment_buffer 1
		.amdhsa_user_sgpr_dispatch_ptr 0
		.amdhsa_user_sgpr_queue_ptr 0
		.amdhsa_user_sgpr_kernarg_segment_ptr 1
		.amdhsa_user_sgpr_dispatch_id 0
		.amdhsa_user_sgpr_flat_scratch_init 0
		.amdhsa_user_sgpr_kernarg_preload_length 0
		.amdhsa_user_sgpr_kernarg_preload_offset 0
		.amdhsa_user_sgpr_private_segment_size 0
		.amdhsa_uses_dynamic_stack 0
		.amdhsa_system_sgpr_private_segment_wavefront_offset 0
		.amdhsa_system_sgpr_workgroup_id_x 1
		.amdhsa_system_sgpr_workgroup_id_y 0
		.amdhsa_system_sgpr_workgroup_id_z 0
		.amdhsa_system_sgpr_workgroup_info 0
		.amdhsa_system_vgpr_workitem_id 0
		.amdhsa_next_free_vgpr 1
		.amdhsa_next_free_sgpr 0
		.amdhsa_accum_offset 4
		.amdhsa_reserve_vcc 0
		.amdhsa_reserve_flat_scratch 0
		.amdhsa_float_round_mode_32 0
		.amdhsa_float_round_mode_16_64 0
		.amdhsa_float_denorm_mode_32 3
		.amdhsa_float_denorm_mode_16_64 3
		.amdhsa_dx10_clamp 1
		.amdhsa_ieee_mode 1
		.amdhsa_fp16_overflow 0
		.amdhsa_tg_split 0
		.amdhsa_exception_fp_ieee_invalid_op 0
		.amdhsa_exception_fp_denorm_src 0
		.amdhsa_exception_fp_ieee_div_zero 0
		.amdhsa_exception_fp_ieee_overflow 0
		.amdhsa_exception_fp_ieee_underflow 0
		.amdhsa_exception_fp_ieee_inexact 0
		.amdhsa_exception_int_div_zero 0
	.end_amdhsa_kernel
	.section	.text._ZN7rocprim17ROCPRIM_400000_NS6detail17trampoline_kernelINS0_14default_configENS1_36segmented_radix_sort_config_selectorIllEEZNS1_25segmented_radix_sort_implIS3_Lb0EPKlPlS8_S9_N2at6native12_GLOBAL__N_18offset_tEEE10hipError_tPvRmT1_PNSt15iterator_traitsISH_E10value_typeET2_T3_PNSI_ISN_E10value_typeET4_jRbjT5_ST_jjP12ihipStream_tbEUlT_E1_NS1_11comp_targetILNS1_3genE3ELNS1_11target_archE908ELNS1_3gpuE7ELNS1_3repE0EEENS1_59segmented_radix_sort_warp_sort_small_config_static_selectorELNS0_4arch9wavefront6targetE1EEEvSH_,"axG",@progbits,_ZN7rocprim17ROCPRIM_400000_NS6detail17trampoline_kernelINS0_14default_configENS1_36segmented_radix_sort_config_selectorIllEEZNS1_25segmented_radix_sort_implIS3_Lb0EPKlPlS8_S9_N2at6native12_GLOBAL__N_18offset_tEEE10hipError_tPvRmT1_PNSt15iterator_traitsISH_E10value_typeET2_T3_PNSI_ISN_E10value_typeET4_jRbjT5_ST_jjP12ihipStream_tbEUlT_E1_NS1_11comp_targetILNS1_3genE3ELNS1_11target_archE908ELNS1_3gpuE7ELNS1_3repE0EEENS1_59segmented_radix_sort_warp_sort_small_config_static_selectorELNS0_4arch9wavefront6targetE1EEEvSH_,comdat
.Lfunc_end831:
	.size	_ZN7rocprim17ROCPRIM_400000_NS6detail17trampoline_kernelINS0_14default_configENS1_36segmented_radix_sort_config_selectorIllEEZNS1_25segmented_radix_sort_implIS3_Lb0EPKlPlS8_S9_N2at6native12_GLOBAL__N_18offset_tEEE10hipError_tPvRmT1_PNSt15iterator_traitsISH_E10value_typeET2_T3_PNSI_ISN_E10value_typeET4_jRbjT5_ST_jjP12ihipStream_tbEUlT_E1_NS1_11comp_targetILNS1_3genE3ELNS1_11target_archE908ELNS1_3gpuE7ELNS1_3repE0EEENS1_59segmented_radix_sort_warp_sort_small_config_static_selectorELNS0_4arch9wavefront6targetE1EEEvSH_, .Lfunc_end831-_ZN7rocprim17ROCPRIM_400000_NS6detail17trampoline_kernelINS0_14default_configENS1_36segmented_radix_sort_config_selectorIllEEZNS1_25segmented_radix_sort_implIS3_Lb0EPKlPlS8_S9_N2at6native12_GLOBAL__N_18offset_tEEE10hipError_tPvRmT1_PNSt15iterator_traitsISH_E10value_typeET2_T3_PNSI_ISN_E10value_typeET4_jRbjT5_ST_jjP12ihipStream_tbEUlT_E1_NS1_11comp_targetILNS1_3genE3ELNS1_11target_archE908ELNS1_3gpuE7ELNS1_3repE0EEENS1_59segmented_radix_sort_warp_sort_small_config_static_selectorELNS0_4arch9wavefront6targetE1EEEvSH_
                                        ; -- End function
	.section	.AMDGPU.csdata,"",@progbits
; Kernel info:
; codeLenInByte = 0
; NumSgprs: 4
; NumVgprs: 0
; NumAgprs: 0
; TotalNumVgprs: 0
; ScratchSize: 0
; MemoryBound: 0
; FloatMode: 240
; IeeeMode: 1
; LDSByteSize: 0 bytes/workgroup (compile time only)
; SGPRBlocks: 0
; VGPRBlocks: 0
; NumSGPRsForWavesPerEU: 4
; NumVGPRsForWavesPerEU: 1
; AccumOffset: 4
; Occupancy: 8
; WaveLimiterHint : 0
; COMPUTE_PGM_RSRC2:SCRATCH_EN: 0
; COMPUTE_PGM_RSRC2:USER_SGPR: 6
; COMPUTE_PGM_RSRC2:TRAP_HANDLER: 0
; COMPUTE_PGM_RSRC2:TGID_X_EN: 1
; COMPUTE_PGM_RSRC2:TGID_Y_EN: 0
; COMPUTE_PGM_RSRC2:TGID_Z_EN: 0
; COMPUTE_PGM_RSRC2:TIDIG_COMP_CNT: 0
; COMPUTE_PGM_RSRC3_GFX90A:ACCUM_OFFSET: 0
; COMPUTE_PGM_RSRC3_GFX90A:TG_SPLIT: 0
	.section	.text._ZN7rocprim17ROCPRIM_400000_NS6detail17trampoline_kernelINS0_14default_configENS1_36segmented_radix_sort_config_selectorIllEEZNS1_25segmented_radix_sort_implIS3_Lb0EPKlPlS8_S9_N2at6native12_GLOBAL__N_18offset_tEEE10hipError_tPvRmT1_PNSt15iterator_traitsISH_E10value_typeET2_T3_PNSI_ISN_E10value_typeET4_jRbjT5_ST_jjP12ihipStream_tbEUlT_E1_NS1_11comp_targetILNS1_3genE2ELNS1_11target_archE906ELNS1_3gpuE6ELNS1_3repE0EEENS1_59segmented_radix_sort_warp_sort_small_config_static_selectorELNS0_4arch9wavefront6targetE1EEEvSH_,"axG",@progbits,_ZN7rocprim17ROCPRIM_400000_NS6detail17trampoline_kernelINS0_14default_configENS1_36segmented_radix_sort_config_selectorIllEEZNS1_25segmented_radix_sort_implIS3_Lb0EPKlPlS8_S9_N2at6native12_GLOBAL__N_18offset_tEEE10hipError_tPvRmT1_PNSt15iterator_traitsISH_E10value_typeET2_T3_PNSI_ISN_E10value_typeET4_jRbjT5_ST_jjP12ihipStream_tbEUlT_E1_NS1_11comp_targetILNS1_3genE2ELNS1_11target_archE906ELNS1_3gpuE6ELNS1_3repE0EEENS1_59segmented_radix_sort_warp_sort_small_config_static_selectorELNS0_4arch9wavefront6targetE1EEEvSH_,comdat
	.globl	_ZN7rocprim17ROCPRIM_400000_NS6detail17trampoline_kernelINS0_14default_configENS1_36segmented_radix_sort_config_selectorIllEEZNS1_25segmented_radix_sort_implIS3_Lb0EPKlPlS8_S9_N2at6native12_GLOBAL__N_18offset_tEEE10hipError_tPvRmT1_PNSt15iterator_traitsISH_E10value_typeET2_T3_PNSI_ISN_E10value_typeET4_jRbjT5_ST_jjP12ihipStream_tbEUlT_E1_NS1_11comp_targetILNS1_3genE2ELNS1_11target_archE906ELNS1_3gpuE6ELNS1_3repE0EEENS1_59segmented_radix_sort_warp_sort_small_config_static_selectorELNS0_4arch9wavefront6targetE1EEEvSH_ ; -- Begin function _ZN7rocprim17ROCPRIM_400000_NS6detail17trampoline_kernelINS0_14default_configENS1_36segmented_radix_sort_config_selectorIllEEZNS1_25segmented_radix_sort_implIS3_Lb0EPKlPlS8_S9_N2at6native12_GLOBAL__N_18offset_tEEE10hipError_tPvRmT1_PNSt15iterator_traitsISH_E10value_typeET2_T3_PNSI_ISN_E10value_typeET4_jRbjT5_ST_jjP12ihipStream_tbEUlT_E1_NS1_11comp_targetILNS1_3genE2ELNS1_11target_archE906ELNS1_3gpuE6ELNS1_3repE0EEENS1_59segmented_radix_sort_warp_sort_small_config_static_selectorELNS0_4arch9wavefront6targetE1EEEvSH_
	.p2align	8
	.type	_ZN7rocprim17ROCPRIM_400000_NS6detail17trampoline_kernelINS0_14default_configENS1_36segmented_radix_sort_config_selectorIllEEZNS1_25segmented_radix_sort_implIS3_Lb0EPKlPlS8_S9_N2at6native12_GLOBAL__N_18offset_tEEE10hipError_tPvRmT1_PNSt15iterator_traitsISH_E10value_typeET2_T3_PNSI_ISN_E10value_typeET4_jRbjT5_ST_jjP12ihipStream_tbEUlT_E1_NS1_11comp_targetILNS1_3genE2ELNS1_11target_archE906ELNS1_3gpuE6ELNS1_3repE0EEENS1_59segmented_radix_sort_warp_sort_small_config_static_selectorELNS0_4arch9wavefront6targetE1EEEvSH_,@function
_ZN7rocprim17ROCPRIM_400000_NS6detail17trampoline_kernelINS0_14default_configENS1_36segmented_radix_sort_config_selectorIllEEZNS1_25segmented_radix_sort_implIS3_Lb0EPKlPlS8_S9_N2at6native12_GLOBAL__N_18offset_tEEE10hipError_tPvRmT1_PNSt15iterator_traitsISH_E10value_typeET2_T3_PNSI_ISN_E10value_typeET4_jRbjT5_ST_jjP12ihipStream_tbEUlT_E1_NS1_11comp_targetILNS1_3genE2ELNS1_11target_archE906ELNS1_3gpuE6ELNS1_3repE0EEENS1_59segmented_radix_sort_warp_sort_small_config_static_selectorELNS0_4arch9wavefront6targetE1EEEvSH_: ; @_ZN7rocprim17ROCPRIM_400000_NS6detail17trampoline_kernelINS0_14default_configENS1_36segmented_radix_sort_config_selectorIllEEZNS1_25segmented_radix_sort_implIS3_Lb0EPKlPlS8_S9_N2at6native12_GLOBAL__N_18offset_tEEE10hipError_tPvRmT1_PNSt15iterator_traitsISH_E10value_typeET2_T3_PNSI_ISN_E10value_typeET4_jRbjT5_ST_jjP12ihipStream_tbEUlT_E1_NS1_11comp_targetILNS1_3genE2ELNS1_11target_archE906ELNS1_3gpuE6ELNS1_3repE0EEENS1_59segmented_radix_sort_warp_sort_small_config_static_selectorELNS0_4arch9wavefront6targetE1EEEvSH_
; %bb.0:
	.section	.rodata,"a",@progbits
	.p2align	6, 0x0
	.amdhsa_kernel _ZN7rocprim17ROCPRIM_400000_NS6detail17trampoline_kernelINS0_14default_configENS1_36segmented_radix_sort_config_selectorIllEEZNS1_25segmented_radix_sort_implIS3_Lb0EPKlPlS8_S9_N2at6native12_GLOBAL__N_18offset_tEEE10hipError_tPvRmT1_PNSt15iterator_traitsISH_E10value_typeET2_T3_PNSI_ISN_E10value_typeET4_jRbjT5_ST_jjP12ihipStream_tbEUlT_E1_NS1_11comp_targetILNS1_3genE2ELNS1_11target_archE906ELNS1_3gpuE6ELNS1_3repE0EEENS1_59segmented_radix_sort_warp_sort_small_config_static_selectorELNS0_4arch9wavefront6targetE1EEEvSH_
		.amdhsa_group_segment_fixed_size 0
		.amdhsa_private_segment_fixed_size 0
		.amdhsa_kernarg_size 88
		.amdhsa_user_sgpr_count 6
		.amdhsa_user_sgpr_private_segment_buffer 1
		.amdhsa_user_sgpr_dispatch_ptr 0
		.amdhsa_user_sgpr_queue_ptr 0
		.amdhsa_user_sgpr_kernarg_segment_ptr 1
		.amdhsa_user_sgpr_dispatch_id 0
		.amdhsa_user_sgpr_flat_scratch_init 0
		.amdhsa_user_sgpr_kernarg_preload_length 0
		.amdhsa_user_sgpr_kernarg_preload_offset 0
		.amdhsa_user_sgpr_private_segment_size 0
		.amdhsa_uses_dynamic_stack 0
		.amdhsa_system_sgpr_private_segment_wavefront_offset 0
		.amdhsa_system_sgpr_workgroup_id_x 1
		.amdhsa_system_sgpr_workgroup_id_y 0
		.amdhsa_system_sgpr_workgroup_id_z 0
		.amdhsa_system_sgpr_workgroup_info 0
		.amdhsa_system_vgpr_workitem_id 0
		.amdhsa_next_free_vgpr 1
		.amdhsa_next_free_sgpr 0
		.amdhsa_accum_offset 4
		.amdhsa_reserve_vcc 0
		.amdhsa_reserve_flat_scratch 0
		.amdhsa_float_round_mode_32 0
		.amdhsa_float_round_mode_16_64 0
		.amdhsa_float_denorm_mode_32 3
		.amdhsa_float_denorm_mode_16_64 3
		.amdhsa_dx10_clamp 1
		.amdhsa_ieee_mode 1
		.amdhsa_fp16_overflow 0
		.amdhsa_tg_split 0
		.amdhsa_exception_fp_ieee_invalid_op 0
		.amdhsa_exception_fp_denorm_src 0
		.amdhsa_exception_fp_ieee_div_zero 0
		.amdhsa_exception_fp_ieee_overflow 0
		.amdhsa_exception_fp_ieee_underflow 0
		.amdhsa_exception_fp_ieee_inexact 0
		.amdhsa_exception_int_div_zero 0
	.end_amdhsa_kernel
	.section	.text._ZN7rocprim17ROCPRIM_400000_NS6detail17trampoline_kernelINS0_14default_configENS1_36segmented_radix_sort_config_selectorIllEEZNS1_25segmented_radix_sort_implIS3_Lb0EPKlPlS8_S9_N2at6native12_GLOBAL__N_18offset_tEEE10hipError_tPvRmT1_PNSt15iterator_traitsISH_E10value_typeET2_T3_PNSI_ISN_E10value_typeET4_jRbjT5_ST_jjP12ihipStream_tbEUlT_E1_NS1_11comp_targetILNS1_3genE2ELNS1_11target_archE906ELNS1_3gpuE6ELNS1_3repE0EEENS1_59segmented_radix_sort_warp_sort_small_config_static_selectorELNS0_4arch9wavefront6targetE1EEEvSH_,"axG",@progbits,_ZN7rocprim17ROCPRIM_400000_NS6detail17trampoline_kernelINS0_14default_configENS1_36segmented_radix_sort_config_selectorIllEEZNS1_25segmented_radix_sort_implIS3_Lb0EPKlPlS8_S9_N2at6native12_GLOBAL__N_18offset_tEEE10hipError_tPvRmT1_PNSt15iterator_traitsISH_E10value_typeET2_T3_PNSI_ISN_E10value_typeET4_jRbjT5_ST_jjP12ihipStream_tbEUlT_E1_NS1_11comp_targetILNS1_3genE2ELNS1_11target_archE906ELNS1_3gpuE6ELNS1_3repE0EEENS1_59segmented_radix_sort_warp_sort_small_config_static_selectorELNS0_4arch9wavefront6targetE1EEEvSH_,comdat
.Lfunc_end832:
	.size	_ZN7rocprim17ROCPRIM_400000_NS6detail17trampoline_kernelINS0_14default_configENS1_36segmented_radix_sort_config_selectorIllEEZNS1_25segmented_radix_sort_implIS3_Lb0EPKlPlS8_S9_N2at6native12_GLOBAL__N_18offset_tEEE10hipError_tPvRmT1_PNSt15iterator_traitsISH_E10value_typeET2_T3_PNSI_ISN_E10value_typeET4_jRbjT5_ST_jjP12ihipStream_tbEUlT_E1_NS1_11comp_targetILNS1_3genE2ELNS1_11target_archE906ELNS1_3gpuE6ELNS1_3repE0EEENS1_59segmented_radix_sort_warp_sort_small_config_static_selectorELNS0_4arch9wavefront6targetE1EEEvSH_, .Lfunc_end832-_ZN7rocprim17ROCPRIM_400000_NS6detail17trampoline_kernelINS0_14default_configENS1_36segmented_radix_sort_config_selectorIllEEZNS1_25segmented_radix_sort_implIS3_Lb0EPKlPlS8_S9_N2at6native12_GLOBAL__N_18offset_tEEE10hipError_tPvRmT1_PNSt15iterator_traitsISH_E10value_typeET2_T3_PNSI_ISN_E10value_typeET4_jRbjT5_ST_jjP12ihipStream_tbEUlT_E1_NS1_11comp_targetILNS1_3genE2ELNS1_11target_archE906ELNS1_3gpuE6ELNS1_3repE0EEENS1_59segmented_radix_sort_warp_sort_small_config_static_selectorELNS0_4arch9wavefront6targetE1EEEvSH_
                                        ; -- End function
	.section	.AMDGPU.csdata,"",@progbits
; Kernel info:
; codeLenInByte = 0
; NumSgprs: 4
; NumVgprs: 0
; NumAgprs: 0
; TotalNumVgprs: 0
; ScratchSize: 0
; MemoryBound: 0
; FloatMode: 240
; IeeeMode: 1
; LDSByteSize: 0 bytes/workgroup (compile time only)
; SGPRBlocks: 0
; VGPRBlocks: 0
; NumSGPRsForWavesPerEU: 4
; NumVGPRsForWavesPerEU: 1
; AccumOffset: 4
; Occupancy: 8
; WaveLimiterHint : 0
; COMPUTE_PGM_RSRC2:SCRATCH_EN: 0
; COMPUTE_PGM_RSRC2:USER_SGPR: 6
; COMPUTE_PGM_RSRC2:TRAP_HANDLER: 0
; COMPUTE_PGM_RSRC2:TGID_X_EN: 1
; COMPUTE_PGM_RSRC2:TGID_Y_EN: 0
; COMPUTE_PGM_RSRC2:TGID_Z_EN: 0
; COMPUTE_PGM_RSRC2:TIDIG_COMP_CNT: 0
; COMPUTE_PGM_RSRC3_GFX90A:ACCUM_OFFSET: 0
; COMPUTE_PGM_RSRC3_GFX90A:TG_SPLIT: 0
	.section	.text._ZN7rocprim17ROCPRIM_400000_NS6detail17trampoline_kernelINS0_14default_configENS1_36segmented_radix_sort_config_selectorIllEEZNS1_25segmented_radix_sort_implIS3_Lb0EPKlPlS8_S9_N2at6native12_GLOBAL__N_18offset_tEEE10hipError_tPvRmT1_PNSt15iterator_traitsISH_E10value_typeET2_T3_PNSI_ISN_E10value_typeET4_jRbjT5_ST_jjP12ihipStream_tbEUlT_E1_NS1_11comp_targetILNS1_3genE10ELNS1_11target_archE1201ELNS1_3gpuE5ELNS1_3repE0EEENS1_59segmented_radix_sort_warp_sort_small_config_static_selectorELNS0_4arch9wavefront6targetE1EEEvSH_,"axG",@progbits,_ZN7rocprim17ROCPRIM_400000_NS6detail17trampoline_kernelINS0_14default_configENS1_36segmented_radix_sort_config_selectorIllEEZNS1_25segmented_radix_sort_implIS3_Lb0EPKlPlS8_S9_N2at6native12_GLOBAL__N_18offset_tEEE10hipError_tPvRmT1_PNSt15iterator_traitsISH_E10value_typeET2_T3_PNSI_ISN_E10value_typeET4_jRbjT5_ST_jjP12ihipStream_tbEUlT_E1_NS1_11comp_targetILNS1_3genE10ELNS1_11target_archE1201ELNS1_3gpuE5ELNS1_3repE0EEENS1_59segmented_radix_sort_warp_sort_small_config_static_selectorELNS0_4arch9wavefront6targetE1EEEvSH_,comdat
	.globl	_ZN7rocprim17ROCPRIM_400000_NS6detail17trampoline_kernelINS0_14default_configENS1_36segmented_radix_sort_config_selectorIllEEZNS1_25segmented_radix_sort_implIS3_Lb0EPKlPlS8_S9_N2at6native12_GLOBAL__N_18offset_tEEE10hipError_tPvRmT1_PNSt15iterator_traitsISH_E10value_typeET2_T3_PNSI_ISN_E10value_typeET4_jRbjT5_ST_jjP12ihipStream_tbEUlT_E1_NS1_11comp_targetILNS1_3genE10ELNS1_11target_archE1201ELNS1_3gpuE5ELNS1_3repE0EEENS1_59segmented_radix_sort_warp_sort_small_config_static_selectorELNS0_4arch9wavefront6targetE1EEEvSH_ ; -- Begin function _ZN7rocprim17ROCPRIM_400000_NS6detail17trampoline_kernelINS0_14default_configENS1_36segmented_radix_sort_config_selectorIllEEZNS1_25segmented_radix_sort_implIS3_Lb0EPKlPlS8_S9_N2at6native12_GLOBAL__N_18offset_tEEE10hipError_tPvRmT1_PNSt15iterator_traitsISH_E10value_typeET2_T3_PNSI_ISN_E10value_typeET4_jRbjT5_ST_jjP12ihipStream_tbEUlT_E1_NS1_11comp_targetILNS1_3genE10ELNS1_11target_archE1201ELNS1_3gpuE5ELNS1_3repE0EEENS1_59segmented_radix_sort_warp_sort_small_config_static_selectorELNS0_4arch9wavefront6targetE1EEEvSH_
	.p2align	8
	.type	_ZN7rocprim17ROCPRIM_400000_NS6detail17trampoline_kernelINS0_14default_configENS1_36segmented_radix_sort_config_selectorIllEEZNS1_25segmented_radix_sort_implIS3_Lb0EPKlPlS8_S9_N2at6native12_GLOBAL__N_18offset_tEEE10hipError_tPvRmT1_PNSt15iterator_traitsISH_E10value_typeET2_T3_PNSI_ISN_E10value_typeET4_jRbjT5_ST_jjP12ihipStream_tbEUlT_E1_NS1_11comp_targetILNS1_3genE10ELNS1_11target_archE1201ELNS1_3gpuE5ELNS1_3repE0EEENS1_59segmented_radix_sort_warp_sort_small_config_static_selectorELNS0_4arch9wavefront6targetE1EEEvSH_,@function
_ZN7rocprim17ROCPRIM_400000_NS6detail17trampoline_kernelINS0_14default_configENS1_36segmented_radix_sort_config_selectorIllEEZNS1_25segmented_radix_sort_implIS3_Lb0EPKlPlS8_S9_N2at6native12_GLOBAL__N_18offset_tEEE10hipError_tPvRmT1_PNSt15iterator_traitsISH_E10value_typeET2_T3_PNSI_ISN_E10value_typeET4_jRbjT5_ST_jjP12ihipStream_tbEUlT_E1_NS1_11comp_targetILNS1_3genE10ELNS1_11target_archE1201ELNS1_3gpuE5ELNS1_3repE0EEENS1_59segmented_radix_sort_warp_sort_small_config_static_selectorELNS0_4arch9wavefront6targetE1EEEvSH_: ; @_ZN7rocprim17ROCPRIM_400000_NS6detail17trampoline_kernelINS0_14default_configENS1_36segmented_radix_sort_config_selectorIllEEZNS1_25segmented_radix_sort_implIS3_Lb0EPKlPlS8_S9_N2at6native12_GLOBAL__N_18offset_tEEE10hipError_tPvRmT1_PNSt15iterator_traitsISH_E10value_typeET2_T3_PNSI_ISN_E10value_typeET4_jRbjT5_ST_jjP12ihipStream_tbEUlT_E1_NS1_11comp_targetILNS1_3genE10ELNS1_11target_archE1201ELNS1_3gpuE5ELNS1_3repE0EEENS1_59segmented_radix_sort_warp_sort_small_config_static_selectorELNS0_4arch9wavefront6targetE1EEEvSH_
; %bb.0:
	.section	.rodata,"a",@progbits
	.p2align	6, 0x0
	.amdhsa_kernel _ZN7rocprim17ROCPRIM_400000_NS6detail17trampoline_kernelINS0_14default_configENS1_36segmented_radix_sort_config_selectorIllEEZNS1_25segmented_radix_sort_implIS3_Lb0EPKlPlS8_S9_N2at6native12_GLOBAL__N_18offset_tEEE10hipError_tPvRmT1_PNSt15iterator_traitsISH_E10value_typeET2_T3_PNSI_ISN_E10value_typeET4_jRbjT5_ST_jjP12ihipStream_tbEUlT_E1_NS1_11comp_targetILNS1_3genE10ELNS1_11target_archE1201ELNS1_3gpuE5ELNS1_3repE0EEENS1_59segmented_radix_sort_warp_sort_small_config_static_selectorELNS0_4arch9wavefront6targetE1EEEvSH_
		.amdhsa_group_segment_fixed_size 0
		.amdhsa_private_segment_fixed_size 0
		.amdhsa_kernarg_size 88
		.amdhsa_user_sgpr_count 6
		.amdhsa_user_sgpr_private_segment_buffer 1
		.amdhsa_user_sgpr_dispatch_ptr 0
		.amdhsa_user_sgpr_queue_ptr 0
		.amdhsa_user_sgpr_kernarg_segment_ptr 1
		.amdhsa_user_sgpr_dispatch_id 0
		.amdhsa_user_sgpr_flat_scratch_init 0
		.amdhsa_user_sgpr_kernarg_preload_length 0
		.amdhsa_user_sgpr_kernarg_preload_offset 0
		.amdhsa_user_sgpr_private_segment_size 0
		.amdhsa_uses_dynamic_stack 0
		.amdhsa_system_sgpr_private_segment_wavefront_offset 0
		.amdhsa_system_sgpr_workgroup_id_x 1
		.amdhsa_system_sgpr_workgroup_id_y 0
		.amdhsa_system_sgpr_workgroup_id_z 0
		.amdhsa_system_sgpr_workgroup_info 0
		.amdhsa_system_vgpr_workitem_id 0
		.amdhsa_next_free_vgpr 1
		.amdhsa_next_free_sgpr 0
		.amdhsa_accum_offset 4
		.amdhsa_reserve_vcc 0
		.amdhsa_reserve_flat_scratch 0
		.amdhsa_float_round_mode_32 0
		.amdhsa_float_round_mode_16_64 0
		.amdhsa_float_denorm_mode_32 3
		.amdhsa_float_denorm_mode_16_64 3
		.amdhsa_dx10_clamp 1
		.amdhsa_ieee_mode 1
		.amdhsa_fp16_overflow 0
		.amdhsa_tg_split 0
		.amdhsa_exception_fp_ieee_invalid_op 0
		.amdhsa_exception_fp_denorm_src 0
		.amdhsa_exception_fp_ieee_div_zero 0
		.amdhsa_exception_fp_ieee_overflow 0
		.amdhsa_exception_fp_ieee_underflow 0
		.amdhsa_exception_fp_ieee_inexact 0
		.amdhsa_exception_int_div_zero 0
	.end_amdhsa_kernel
	.section	.text._ZN7rocprim17ROCPRIM_400000_NS6detail17trampoline_kernelINS0_14default_configENS1_36segmented_radix_sort_config_selectorIllEEZNS1_25segmented_radix_sort_implIS3_Lb0EPKlPlS8_S9_N2at6native12_GLOBAL__N_18offset_tEEE10hipError_tPvRmT1_PNSt15iterator_traitsISH_E10value_typeET2_T3_PNSI_ISN_E10value_typeET4_jRbjT5_ST_jjP12ihipStream_tbEUlT_E1_NS1_11comp_targetILNS1_3genE10ELNS1_11target_archE1201ELNS1_3gpuE5ELNS1_3repE0EEENS1_59segmented_radix_sort_warp_sort_small_config_static_selectorELNS0_4arch9wavefront6targetE1EEEvSH_,"axG",@progbits,_ZN7rocprim17ROCPRIM_400000_NS6detail17trampoline_kernelINS0_14default_configENS1_36segmented_radix_sort_config_selectorIllEEZNS1_25segmented_radix_sort_implIS3_Lb0EPKlPlS8_S9_N2at6native12_GLOBAL__N_18offset_tEEE10hipError_tPvRmT1_PNSt15iterator_traitsISH_E10value_typeET2_T3_PNSI_ISN_E10value_typeET4_jRbjT5_ST_jjP12ihipStream_tbEUlT_E1_NS1_11comp_targetILNS1_3genE10ELNS1_11target_archE1201ELNS1_3gpuE5ELNS1_3repE0EEENS1_59segmented_radix_sort_warp_sort_small_config_static_selectorELNS0_4arch9wavefront6targetE1EEEvSH_,comdat
.Lfunc_end833:
	.size	_ZN7rocprim17ROCPRIM_400000_NS6detail17trampoline_kernelINS0_14default_configENS1_36segmented_radix_sort_config_selectorIllEEZNS1_25segmented_radix_sort_implIS3_Lb0EPKlPlS8_S9_N2at6native12_GLOBAL__N_18offset_tEEE10hipError_tPvRmT1_PNSt15iterator_traitsISH_E10value_typeET2_T3_PNSI_ISN_E10value_typeET4_jRbjT5_ST_jjP12ihipStream_tbEUlT_E1_NS1_11comp_targetILNS1_3genE10ELNS1_11target_archE1201ELNS1_3gpuE5ELNS1_3repE0EEENS1_59segmented_radix_sort_warp_sort_small_config_static_selectorELNS0_4arch9wavefront6targetE1EEEvSH_, .Lfunc_end833-_ZN7rocprim17ROCPRIM_400000_NS6detail17trampoline_kernelINS0_14default_configENS1_36segmented_radix_sort_config_selectorIllEEZNS1_25segmented_radix_sort_implIS3_Lb0EPKlPlS8_S9_N2at6native12_GLOBAL__N_18offset_tEEE10hipError_tPvRmT1_PNSt15iterator_traitsISH_E10value_typeET2_T3_PNSI_ISN_E10value_typeET4_jRbjT5_ST_jjP12ihipStream_tbEUlT_E1_NS1_11comp_targetILNS1_3genE10ELNS1_11target_archE1201ELNS1_3gpuE5ELNS1_3repE0EEENS1_59segmented_radix_sort_warp_sort_small_config_static_selectorELNS0_4arch9wavefront6targetE1EEEvSH_
                                        ; -- End function
	.section	.AMDGPU.csdata,"",@progbits
; Kernel info:
; codeLenInByte = 0
; NumSgprs: 4
; NumVgprs: 0
; NumAgprs: 0
; TotalNumVgprs: 0
; ScratchSize: 0
; MemoryBound: 0
; FloatMode: 240
; IeeeMode: 1
; LDSByteSize: 0 bytes/workgroup (compile time only)
; SGPRBlocks: 0
; VGPRBlocks: 0
; NumSGPRsForWavesPerEU: 4
; NumVGPRsForWavesPerEU: 1
; AccumOffset: 4
; Occupancy: 8
; WaveLimiterHint : 0
; COMPUTE_PGM_RSRC2:SCRATCH_EN: 0
; COMPUTE_PGM_RSRC2:USER_SGPR: 6
; COMPUTE_PGM_RSRC2:TRAP_HANDLER: 0
; COMPUTE_PGM_RSRC2:TGID_X_EN: 1
; COMPUTE_PGM_RSRC2:TGID_Y_EN: 0
; COMPUTE_PGM_RSRC2:TGID_Z_EN: 0
; COMPUTE_PGM_RSRC2:TIDIG_COMP_CNT: 0
; COMPUTE_PGM_RSRC3_GFX90A:ACCUM_OFFSET: 0
; COMPUTE_PGM_RSRC3_GFX90A:TG_SPLIT: 0
	.section	.text._ZN7rocprim17ROCPRIM_400000_NS6detail17trampoline_kernelINS0_14default_configENS1_36segmented_radix_sort_config_selectorIllEEZNS1_25segmented_radix_sort_implIS3_Lb0EPKlPlS8_S9_N2at6native12_GLOBAL__N_18offset_tEEE10hipError_tPvRmT1_PNSt15iterator_traitsISH_E10value_typeET2_T3_PNSI_ISN_E10value_typeET4_jRbjT5_ST_jjP12ihipStream_tbEUlT_E1_NS1_11comp_targetILNS1_3genE10ELNS1_11target_archE1200ELNS1_3gpuE4ELNS1_3repE0EEENS1_59segmented_radix_sort_warp_sort_small_config_static_selectorELNS0_4arch9wavefront6targetE1EEEvSH_,"axG",@progbits,_ZN7rocprim17ROCPRIM_400000_NS6detail17trampoline_kernelINS0_14default_configENS1_36segmented_radix_sort_config_selectorIllEEZNS1_25segmented_radix_sort_implIS3_Lb0EPKlPlS8_S9_N2at6native12_GLOBAL__N_18offset_tEEE10hipError_tPvRmT1_PNSt15iterator_traitsISH_E10value_typeET2_T3_PNSI_ISN_E10value_typeET4_jRbjT5_ST_jjP12ihipStream_tbEUlT_E1_NS1_11comp_targetILNS1_3genE10ELNS1_11target_archE1200ELNS1_3gpuE4ELNS1_3repE0EEENS1_59segmented_radix_sort_warp_sort_small_config_static_selectorELNS0_4arch9wavefront6targetE1EEEvSH_,comdat
	.globl	_ZN7rocprim17ROCPRIM_400000_NS6detail17trampoline_kernelINS0_14default_configENS1_36segmented_radix_sort_config_selectorIllEEZNS1_25segmented_radix_sort_implIS3_Lb0EPKlPlS8_S9_N2at6native12_GLOBAL__N_18offset_tEEE10hipError_tPvRmT1_PNSt15iterator_traitsISH_E10value_typeET2_T3_PNSI_ISN_E10value_typeET4_jRbjT5_ST_jjP12ihipStream_tbEUlT_E1_NS1_11comp_targetILNS1_3genE10ELNS1_11target_archE1200ELNS1_3gpuE4ELNS1_3repE0EEENS1_59segmented_radix_sort_warp_sort_small_config_static_selectorELNS0_4arch9wavefront6targetE1EEEvSH_ ; -- Begin function _ZN7rocprim17ROCPRIM_400000_NS6detail17trampoline_kernelINS0_14default_configENS1_36segmented_radix_sort_config_selectorIllEEZNS1_25segmented_radix_sort_implIS3_Lb0EPKlPlS8_S9_N2at6native12_GLOBAL__N_18offset_tEEE10hipError_tPvRmT1_PNSt15iterator_traitsISH_E10value_typeET2_T3_PNSI_ISN_E10value_typeET4_jRbjT5_ST_jjP12ihipStream_tbEUlT_E1_NS1_11comp_targetILNS1_3genE10ELNS1_11target_archE1200ELNS1_3gpuE4ELNS1_3repE0EEENS1_59segmented_radix_sort_warp_sort_small_config_static_selectorELNS0_4arch9wavefront6targetE1EEEvSH_
	.p2align	8
	.type	_ZN7rocprim17ROCPRIM_400000_NS6detail17trampoline_kernelINS0_14default_configENS1_36segmented_radix_sort_config_selectorIllEEZNS1_25segmented_radix_sort_implIS3_Lb0EPKlPlS8_S9_N2at6native12_GLOBAL__N_18offset_tEEE10hipError_tPvRmT1_PNSt15iterator_traitsISH_E10value_typeET2_T3_PNSI_ISN_E10value_typeET4_jRbjT5_ST_jjP12ihipStream_tbEUlT_E1_NS1_11comp_targetILNS1_3genE10ELNS1_11target_archE1200ELNS1_3gpuE4ELNS1_3repE0EEENS1_59segmented_radix_sort_warp_sort_small_config_static_selectorELNS0_4arch9wavefront6targetE1EEEvSH_,@function
_ZN7rocprim17ROCPRIM_400000_NS6detail17trampoline_kernelINS0_14default_configENS1_36segmented_radix_sort_config_selectorIllEEZNS1_25segmented_radix_sort_implIS3_Lb0EPKlPlS8_S9_N2at6native12_GLOBAL__N_18offset_tEEE10hipError_tPvRmT1_PNSt15iterator_traitsISH_E10value_typeET2_T3_PNSI_ISN_E10value_typeET4_jRbjT5_ST_jjP12ihipStream_tbEUlT_E1_NS1_11comp_targetILNS1_3genE10ELNS1_11target_archE1200ELNS1_3gpuE4ELNS1_3repE0EEENS1_59segmented_radix_sort_warp_sort_small_config_static_selectorELNS0_4arch9wavefront6targetE1EEEvSH_: ; @_ZN7rocprim17ROCPRIM_400000_NS6detail17trampoline_kernelINS0_14default_configENS1_36segmented_radix_sort_config_selectorIllEEZNS1_25segmented_radix_sort_implIS3_Lb0EPKlPlS8_S9_N2at6native12_GLOBAL__N_18offset_tEEE10hipError_tPvRmT1_PNSt15iterator_traitsISH_E10value_typeET2_T3_PNSI_ISN_E10value_typeET4_jRbjT5_ST_jjP12ihipStream_tbEUlT_E1_NS1_11comp_targetILNS1_3genE10ELNS1_11target_archE1200ELNS1_3gpuE4ELNS1_3repE0EEENS1_59segmented_radix_sort_warp_sort_small_config_static_selectorELNS0_4arch9wavefront6targetE1EEEvSH_
; %bb.0:
	.section	.rodata,"a",@progbits
	.p2align	6, 0x0
	.amdhsa_kernel _ZN7rocprim17ROCPRIM_400000_NS6detail17trampoline_kernelINS0_14default_configENS1_36segmented_radix_sort_config_selectorIllEEZNS1_25segmented_radix_sort_implIS3_Lb0EPKlPlS8_S9_N2at6native12_GLOBAL__N_18offset_tEEE10hipError_tPvRmT1_PNSt15iterator_traitsISH_E10value_typeET2_T3_PNSI_ISN_E10value_typeET4_jRbjT5_ST_jjP12ihipStream_tbEUlT_E1_NS1_11comp_targetILNS1_3genE10ELNS1_11target_archE1200ELNS1_3gpuE4ELNS1_3repE0EEENS1_59segmented_radix_sort_warp_sort_small_config_static_selectorELNS0_4arch9wavefront6targetE1EEEvSH_
		.amdhsa_group_segment_fixed_size 0
		.amdhsa_private_segment_fixed_size 0
		.amdhsa_kernarg_size 88
		.amdhsa_user_sgpr_count 6
		.amdhsa_user_sgpr_private_segment_buffer 1
		.amdhsa_user_sgpr_dispatch_ptr 0
		.amdhsa_user_sgpr_queue_ptr 0
		.amdhsa_user_sgpr_kernarg_segment_ptr 1
		.amdhsa_user_sgpr_dispatch_id 0
		.amdhsa_user_sgpr_flat_scratch_init 0
		.amdhsa_user_sgpr_kernarg_preload_length 0
		.amdhsa_user_sgpr_kernarg_preload_offset 0
		.amdhsa_user_sgpr_private_segment_size 0
		.amdhsa_uses_dynamic_stack 0
		.amdhsa_system_sgpr_private_segment_wavefront_offset 0
		.amdhsa_system_sgpr_workgroup_id_x 1
		.amdhsa_system_sgpr_workgroup_id_y 0
		.amdhsa_system_sgpr_workgroup_id_z 0
		.amdhsa_system_sgpr_workgroup_info 0
		.amdhsa_system_vgpr_workitem_id 0
		.amdhsa_next_free_vgpr 1
		.amdhsa_next_free_sgpr 0
		.amdhsa_accum_offset 4
		.amdhsa_reserve_vcc 0
		.amdhsa_reserve_flat_scratch 0
		.amdhsa_float_round_mode_32 0
		.amdhsa_float_round_mode_16_64 0
		.amdhsa_float_denorm_mode_32 3
		.amdhsa_float_denorm_mode_16_64 3
		.amdhsa_dx10_clamp 1
		.amdhsa_ieee_mode 1
		.amdhsa_fp16_overflow 0
		.amdhsa_tg_split 0
		.amdhsa_exception_fp_ieee_invalid_op 0
		.amdhsa_exception_fp_denorm_src 0
		.amdhsa_exception_fp_ieee_div_zero 0
		.amdhsa_exception_fp_ieee_overflow 0
		.amdhsa_exception_fp_ieee_underflow 0
		.amdhsa_exception_fp_ieee_inexact 0
		.amdhsa_exception_int_div_zero 0
	.end_amdhsa_kernel
	.section	.text._ZN7rocprim17ROCPRIM_400000_NS6detail17trampoline_kernelINS0_14default_configENS1_36segmented_radix_sort_config_selectorIllEEZNS1_25segmented_radix_sort_implIS3_Lb0EPKlPlS8_S9_N2at6native12_GLOBAL__N_18offset_tEEE10hipError_tPvRmT1_PNSt15iterator_traitsISH_E10value_typeET2_T3_PNSI_ISN_E10value_typeET4_jRbjT5_ST_jjP12ihipStream_tbEUlT_E1_NS1_11comp_targetILNS1_3genE10ELNS1_11target_archE1200ELNS1_3gpuE4ELNS1_3repE0EEENS1_59segmented_radix_sort_warp_sort_small_config_static_selectorELNS0_4arch9wavefront6targetE1EEEvSH_,"axG",@progbits,_ZN7rocprim17ROCPRIM_400000_NS6detail17trampoline_kernelINS0_14default_configENS1_36segmented_radix_sort_config_selectorIllEEZNS1_25segmented_radix_sort_implIS3_Lb0EPKlPlS8_S9_N2at6native12_GLOBAL__N_18offset_tEEE10hipError_tPvRmT1_PNSt15iterator_traitsISH_E10value_typeET2_T3_PNSI_ISN_E10value_typeET4_jRbjT5_ST_jjP12ihipStream_tbEUlT_E1_NS1_11comp_targetILNS1_3genE10ELNS1_11target_archE1200ELNS1_3gpuE4ELNS1_3repE0EEENS1_59segmented_radix_sort_warp_sort_small_config_static_selectorELNS0_4arch9wavefront6targetE1EEEvSH_,comdat
.Lfunc_end834:
	.size	_ZN7rocprim17ROCPRIM_400000_NS6detail17trampoline_kernelINS0_14default_configENS1_36segmented_radix_sort_config_selectorIllEEZNS1_25segmented_radix_sort_implIS3_Lb0EPKlPlS8_S9_N2at6native12_GLOBAL__N_18offset_tEEE10hipError_tPvRmT1_PNSt15iterator_traitsISH_E10value_typeET2_T3_PNSI_ISN_E10value_typeET4_jRbjT5_ST_jjP12ihipStream_tbEUlT_E1_NS1_11comp_targetILNS1_3genE10ELNS1_11target_archE1200ELNS1_3gpuE4ELNS1_3repE0EEENS1_59segmented_radix_sort_warp_sort_small_config_static_selectorELNS0_4arch9wavefront6targetE1EEEvSH_, .Lfunc_end834-_ZN7rocprim17ROCPRIM_400000_NS6detail17trampoline_kernelINS0_14default_configENS1_36segmented_radix_sort_config_selectorIllEEZNS1_25segmented_radix_sort_implIS3_Lb0EPKlPlS8_S9_N2at6native12_GLOBAL__N_18offset_tEEE10hipError_tPvRmT1_PNSt15iterator_traitsISH_E10value_typeET2_T3_PNSI_ISN_E10value_typeET4_jRbjT5_ST_jjP12ihipStream_tbEUlT_E1_NS1_11comp_targetILNS1_3genE10ELNS1_11target_archE1200ELNS1_3gpuE4ELNS1_3repE0EEENS1_59segmented_radix_sort_warp_sort_small_config_static_selectorELNS0_4arch9wavefront6targetE1EEEvSH_
                                        ; -- End function
	.section	.AMDGPU.csdata,"",@progbits
; Kernel info:
; codeLenInByte = 0
; NumSgprs: 4
; NumVgprs: 0
; NumAgprs: 0
; TotalNumVgprs: 0
; ScratchSize: 0
; MemoryBound: 0
; FloatMode: 240
; IeeeMode: 1
; LDSByteSize: 0 bytes/workgroup (compile time only)
; SGPRBlocks: 0
; VGPRBlocks: 0
; NumSGPRsForWavesPerEU: 4
; NumVGPRsForWavesPerEU: 1
; AccumOffset: 4
; Occupancy: 8
; WaveLimiterHint : 0
; COMPUTE_PGM_RSRC2:SCRATCH_EN: 0
; COMPUTE_PGM_RSRC2:USER_SGPR: 6
; COMPUTE_PGM_RSRC2:TRAP_HANDLER: 0
; COMPUTE_PGM_RSRC2:TGID_X_EN: 1
; COMPUTE_PGM_RSRC2:TGID_Y_EN: 0
; COMPUTE_PGM_RSRC2:TGID_Z_EN: 0
; COMPUTE_PGM_RSRC2:TIDIG_COMP_CNT: 0
; COMPUTE_PGM_RSRC3_GFX90A:ACCUM_OFFSET: 0
; COMPUTE_PGM_RSRC3_GFX90A:TG_SPLIT: 0
	.section	.text._ZN7rocprim17ROCPRIM_400000_NS6detail17trampoline_kernelINS0_14default_configENS1_36segmented_radix_sort_config_selectorIllEEZNS1_25segmented_radix_sort_implIS3_Lb0EPKlPlS8_S9_N2at6native12_GLOBAL__N_18offset_tEEE10hipError_tPvRmT1_PNSt15iterator_traitsISH_E10value_typeET2_T3_PNSI_ISN_E10value_typeET4_jRbjT5_ST_jjP12ihipStream_tbEUlT_E1_NS1_11comp_targetILNS1_3genE9ELNS1_11target_archE1100ELNS1_3gpuE3ELNS1_3repE0EEENS1_59segmented_radix_sort_warp_sort_small_config_static_selectorELNS0_4arch9wavefront6targetE1EEEvSH_,"axG",@progbits,_ZN7rocprim17ROCPRIM_400000_NS6detail17trampoline_kernelINS0_14default_configENS1_36segmented_radix_sort_config_selectorIllEEZNS1_25segmented_radix_sort_implIS3_Lb0EPKlPlS8_S9_N2at6native12_GLOBAL__N_18offset_tEEE10hipError_tPvRmT1_PNSt15iterator_traitsISH_E10value_typeET2_T3_PNSI_ISN_E10value_typeET4_jRbjT5_ST_jjP12ihipStream_tbEUlT_E1_NS1_11comp_targetILNS1_3genE9ELNS1_11target_archE1100ELNS1_3gpuE3ELNS1_3repE0EEENS1_59segmented_radix_sort_warp_sort_small_config_static_selectorELNS0_4arch9wavefront6targetE1EEEvSH_,comdat
	.globl	_ZN7rocprim17ROCPRIM_400000_NS6detail17trampoline_kernelINS0_14default_configENS1_36segmented_radix_sort_config_selectorIllEEZNS1_25segmented_radix_sort_implIS3_Lb0EPKlPlS8_S9_N2at6native12_GLOBAL__N_18offset_tEEE10hipError_tPvRmT1_PNSt15iterator_traitsISH_E10value_typeET2_T3_PNSI_ISN_E10value_typeET4_jRbjT5_ST_jjP12ihipStream_tbEUlT_E1_NS1_11comp_targetILNS1_3genE9ELNS1_11target_archE1100ELNS1_3gpuE3ELNS1_3repE0EEENS1_59segmented_radix_sort_warp_sort_small_config_static_selectorELNS0_4arch9wavefront6targetE1EEEvSH_ ; -- Begin function _ZN7rocprim17ROCPRIM_400000_NS6detail17trampoline_kernelINS0_14default_configENS1_36segmented_radix_sort_config_selectorIllEEZNS1_25segmented_radix_sort_implIS3_Lb0EPKlPlS8_S9_N2at6native12_GLOBAL__N_18offset_tEEE10hipError_tPvRmT1_PNSt15iterator_traitsISH_E10value_typeET2_T3_PNSI_ISN_E10value_typeET4_jRbjT5_ST_jjP12ihipStream_tbEUlT_E1_NS1_11comp_targetILNS1_3genE9ELNS1_11target_archE1100ELNS1_3gpuE3ELNS1_3repE0EEENS1_59segmented_radix_sort_warp_sort_small_config_static_selectorELNS0_4arch9wavefront6targetE1EEEvSH_
	.p2align	8
	.type	_ZN7rocprim17ROCPRIM_400000_NS6detail17trampoline_kernelINS0_14default_configENS1_36segmented_radix_sort_config_selectorIllEEZNS1_25segmented_radix_sort_implIS3_Lb0EPKlPlS8_S9_N2at6native12_GLOBAL__N_18offset_tEEE10hipError_tPvRmT1_PNSt15iterator_traitsISH_E10value_typeET2_T3_PNSI_ISN_E10value_typeET4_jRbjT5_ST_jjP12ihipStream_tbEUlT_E1_NS1_11comp_targetILNS1_3genE9ELNS1_11target_archE1100ELNS1_3gpuE3ELNS1_3repE0EEENS1_59segmented_radix_sort_warp_sort_small_config_static_selectorELNS0_4arch9wavefront6targetE1EEEvSH_,@function
_ZN7rocprim17ROCPRIM_400000_NS6detail17trampoline_kernelINS0_14default_configENS1_36segmented_radix_sort_config_selectorIllEEZNS1_25segmented_radix_sort_implIS3_Lb0EPKlPlS8_S9_N2at6native12_GLOBAL__N_18offset_tEEE10hipError_tPvRmT1_PNSt15iterator_traitsISH_E10value_typeET2_T3_PNSI_ISN_E10value_typeET4_jRbjT5_ST_jjP12ihipStream_tbEUlT_E1_NS1_11comp_targetILNS1_3genE9ELNS1_11target_archE1100ELNS1_3gpuE3ELNS1_3repE0EEENS1_59segmented_radix_sort_warp_sort_small_config_static_selectorELNS0_4arch9wavefront6targetE1EEEvSH_: ; @_ZN7rocprim17ROCPRIM_400000_NS6detail17trampoline_kernelINS0_14default_configENS1_36segmented_radix_sort_config_selectorIllEEZNS1_25segmented_radix_sort_implIS3_Lb0EPKlPlS8_S9_N2at6native12_GLOBAL__N_18offset_tEEE10hipError_tPvRmT1_PNSt15iterator_traitsISH_E10value_typeET2_T3_PNSI_ISN_E10value_typeET4_jRbjT5_ST_jjP12ihipStream_tbEUlT_E1_NS1_11comp_targetILNS1_3genE9ELNS1_11target_archE1100ELNS1_3gpuE3ELNS1_3repE0EEENS1_59segmented_radix_sort_warp_sort_small_config_static_selectorELNS0_4arch9wavefront6targetE1EEEvSH_
; %bb.0:
	.section	.rodata,"a",@progbits
	.p2align	6, 0x0
	.amdhsa_kernel _ZN7rocprim17ROCPRIM_400000_NS6detail17trampoline_kernelINS0_14default_configENS1_36segmented_radix_sort_config_selectorIllEEZNS1_25segmented_radix_sort_implIS3_Lb0EPKlPlS8_S9_N2at6native12_GLOBAL__N_18offset_tEEE10hipError_tPvRmT1_PNSt15iterator_traitsISH_E10value_typeET2_T3_PNSI_ISN_E10value_typeET4_jRbjT5_ST_jjP12ihipStream_tbEUlT_E1_NS1_11comp_targetILNS1_3genE9ELNS1_11target_archE1100ELNS1_3gpuE3ELNS1_3repE0EEENS1_59segmented_radix_sort_warp_sort_small_config_static_selectorELNS0_4arch9wavefront6targetE1EEEvSH_
		.amdhsa_group_segment_fixed_size 0
		.amdhsa_private_segment_fixed_size 0
		.amdhsa_kernarg_size 88
		.amdhsa_user_sgpr_count 6
		.amdhsa_user_sgpr_private_segment_buffer 1
		.amdhsa_user_sgpr_dispatch_ptr 0
		.amdhsa_user_sgpr_queue_ptr 0
		.amdhsa_user_sgpr_kernarg_segment_ptr 1
		.amdhsa_user_sgpr_dispatch_id 0
		.amdhsa_user_sgpr_flat_scratch_init 0
		.amdhsa_user_sgpr_kernarg_preload_length 0
		.amdhsa_user_sgpr_kernarg_preload_offset 0
		.amdhsa_user_sgpr_private_segment_size 0
		.amdhsa_uses_dynamic_stack 0
		.amdhsa_system_sgpr_private_segment_wavefront_offset 0
		.amdhsa_system_sgpr_workgroup_id_x 1
		.amdhsa_system_sgpr_workgroup_id_y 0
		.amdhsa_system_sgpr_workgroup_id_z 0
		.amdhsa_system_sgpr_workgroup_info 0
		.amdhsa_system_vgpr_workitem_id 0
		.amdhsa_next_free_vgpr 1
		.amdhsa_next_free_sgpr 0
		.amdhsa_accum_offset 4
		.amdhsa_reserve_vcc 0
		.amdhsa_reserve_flat_scratch 0
		.amdhsa_float_round_mode_32 0
		.amdhsa_float_round_mode_16_64 0
		.amdhsa_float_denorm_mode_32 3
		.amdhsa_float_denorm_mode_16_64 3
		.amdhsa_dx10_clamp 1
		.amdhsa_ieee_mode 1
		.amdhsa_fp16_overflow 0
		.amdhsa_tg_split 0
		.amdhsa_exception_fp_ieee_invalid_op 0
		.amdhsa_exception_fp_denorm_src 0
		.amdhsa_exception_fp_ieee_div_zero 0
		.amdhsa_exception_fp_ieee_overflow 0
		.amdhsa_exception_fp_ieee_underflow 0
		.amdhsa_exception_fp_ieee_inexact 0
		.amdhsa_exception_int_div_zero 0
	.end_amdhsa_kernel
	.section	.text._ZN7rocprim17ROCPRIM_400000_NS6detail17trampoline_kernelINS0_14default_configENS1_36segmented_radix_sort_config_selectorIllEEZNS1_25segmented_radix_sort_implIS3_Lb0EPKlPlS8_S9_N2at6native12_GLOBAL__N_18offset_tEEE10hipError_tPvRmT1_PNSt15iterator_traitsISH_E10value_typeET2_T3_PNSI_ISN_E10value_typeET4_jRbjT5_ST_jjP12ihipStream_tbEUlT_E1_NS1_11comp_targetILNS1_3genE9ELNS1_11target_archE1100ELNS1_3gpuE3ELNS1_3repE0EEENS1_59segmented_radix_sort_warp_sort_small_config_static_selectorELNS0_4arch9wavefront6targetE1EEEvSH_,"axG",@progbits,_ZN7rocprim17ROCPRIM_400000_NS6detail17trampoline_kernelINS0_14default_configENS1_36segmented_radix_sort_config_selectorIllEEZNS1_25segmented_radix_sort_implIS3_Lb0EPKlPlS8_S9_N2at6native12_GLOBAL__N_18offset_tEEE10hipError_tPvRmT1_PNSt15iterator_traitsISH_E10value_typeET2_T3_PNSI_ISN_E10value_typeET4_jRbjT5_ST_jjP12ihipStream_tbEUlT_E1_NS1_11comp_targetILNS1_3genE9ELNS1_11target_archE1100ELNS1_3gpuE3ELNS1_3repE0EEENS1_59segmented_radix_sort_warp_sort_small_config_static_selectorELNS0_4arch9wavefront6targetE1EEEvSH_,comdat
.Lfunc_end835:
	.size	_ZN7rocprim17ROCPRIM_400000_NS6detail17trampoline_kernelINS0_14default_configENS1_36segmented_radix_sort_config_selectorIllEEZNS1_25segmented_radix_sort_implIS3_Lb0EPKlPlS8_S9_N2at6native12_GLOBAL__N_18offset_tEEE10hipError_tPvRmT1_PNSt15iterator_traitsISH_E10value_typeET2_T3_PNSI_ISN_E10value_typeET4_jRbjT5_ST_jjP12ihipStream_tbEUlT_E1_NS1_11comp_targetILNS1_3genE9ELNS1_11target_archE1100ELNS1_3gpuE3ELNS1_3repE0EEENS1_59segmented_radix_sort_warp_sort_small_config_static_selectorELNS0_4arch9wavefront6targetE1EEEvSH_, .Lfunc_end835-_ZN7rocprim17ROCPRIM_400000_NS6detail17trampoline_kernelINS0_14default_configENS1_36segmented_radix_sort_config_selectorIllEEZNS1_25segmented_radix_sort_implIS3_Lb0EPKlPlS8_S9_N2at6native12_GLOBAL__N_18offset_tEEE10hipError_tPvRmT1_PNSt15iterator_traitsISH_E10value_typeET2_T3_PNSI_ISN_E10value_typeET4_jRbjT5_ST_jjP12ihipStream_tbEUlT_E1_NS1_11comp_targetILNS1_3genE9ELNS1_11target_archE1100ELNS1_3gpuE3ELNS1_3repE0EEENS1_59segmented_radix_sort_warp_sort_small_config_static_selectorELNS0_4arch9wavefront6targetE1EEEvSH_
                                        ; -- End function
	.section	.AMDGPU.csdata,"",@progbits
; Kernel info:
; codeLenInByte = 0
; NumSgprs: 4
; NumVgprs: 0
; NumAgprs: 0
; TotalNumVgprs: 0
; ScratchSize: 0
; MemoryBound: 0
; FloatMode: 240
; IeeeMode: 1
; LDSByteSize: 0 bytes/workgroup (compile time only)
; SGPRBlocks: 0
; VGPRBlocks: 0
; NumSGPRsForWavesPerEU: 4
; NumVGPRsForWavesPerEU: 1
; AccumOffset: 4
; Occupancy: 8
; WaveLimiterHint : 0
; COMPUTE_PGM_RSRC2:SCRATCH_EN: 0
; COMPUTE_PGM_RSRC2:USER_SGPR: 6
; COMPUTE_PGM_RSRC2:TRAP_HANDLER: 0
; COMPUTE_PGM_RSRC2:TGID_X_EN: 1
; COMPUTE_PGM_RSRC2:TGID_Y_EN: 0
; COMPUTE_PGM_RSRC2:TGID_Z_EN: 0
; COMPUTE_PGM_RSRC2:TIDIG_COMP_CNT: 0
; COMPUTE_PGM_RSRC3_GFX90A:ACCUM_OFFSET: 0
; COMPUTE_PGM_RSRC3_GFX90A:TG_SPLIT: 0
	.section	.text._ZN7rocprim17ROCPRIM_400000_NS6detail17trampoline_kernelINS0_14default_configENS1_36segmented_radix_sort_config_selectorIllEEZNS1_25segmented_radix_sort_implIS3_Lb0EPKlPlS8_S9_N2at6native12_GLOBAL__N_18offset_tEEE10hipError_tPvRmT1_PNSt15iterator_traitsISH_E10value_typeET2_T3_PNSI_ISN_E10value_typeET4_jRbjT5_ST_jjP12ihipStream_tbEUlT_E1_NS1_11comp_targetILNS1_3genE8ELNS1_11target_archE1030ELNS1_3gpuE2ELNS1_3repE0EEENS1_59segmented_radix_sort_warp_sort_small_config_static_selectorELNS0_4arch9wavefront6targetE1EEEvSH_,"axG",@progbits,_ZN7rocprim17ROCPRIM_400000_NS6detail17trampoline_kernelINS0_14default_configENS1_36segmented_radix_sort_config_selectorIllEEZNS1_25segmented_radix_sort_implIS3_Lb0EPKlPlS8_S9_N2at6native12_GLOBAL__N_18offset_tEEE10hipError_tPvRmT1_PNSt15iterator_traitsISH_E10value_typeET2_T3_PNSI_ISN_E10value_typeET4_jRbjT5_ST_jjP12ihipStream_tbEUlT_E1_NS1_11comp_targetILNS1_3genE8ELNS1_11target_archE1030ELNS1_3gpuE2ELNS1_3repE0EEENS1_59segmented_radix_sort_warp_sort_small_config_static_selectorELNS0_4arch9wavefront6targetE1EEEvSH_,comdat
	.globl	_ZN7rocprim17ROCPRIM_400000_NS6detail17trampoline_kernelINS0_14default_configENS1_36segmented_radix_sort_config_selectorIllEEZNS1_25segmented_radix_sort_implIS3_Lb0EPKlPlS8_S9_N2at6native12_GLOBAL__N_18offset_tEEE10hipError_tPvRmT1_PNSt15iterator_traitsISH_E10value_typeET2_T3_PNSI_ISN_E10value_typeET4_jRbjT5_ST_jjP12ihipStream_tbEUlT_E1_NS1_11comp_targetILNS1_3genE8ELNS1_11target_archE1030ELNS1_3gpuE2ELNS1_3repE0EEENS1_59segmented_radix_sort_warp_sort_small_config_static_selectorELNS0_4arch9wavefront6targetE1EEEvSH_ ; -- Begin function _ZN7rocprim17ROCPRIM_400000_NS6detail17trampoline_kernelINS0_14default_configENS1_36segmented_radix_sort_config_selectorIllEEZNS1_25segmented_radix_sort_implIS3_Lb0EPKlPlS8_S9_N2at6native12_GLOBAL__N_18offset_tEEE10hipError_tPvRmT1_PNSt15iterator_traitsISH_E10value_typeET2_T3_PNSI_ISN_E10value_typeET4_jRbjT5_ST_jjP12ihipStream_tbEUlT_E1_NS1_11comp_targetILNS1_3genE8ELNS1_11target_archE1030ELNS1_3gpuE2ELNS1_3repE0EEENS1_59segmented_radix_sort_warp_sort_small_config_static_selectorELNS0_4arch9wavefront6targetE1EEEvSH_
	.p2align	8
	.type	_ZN7rocprim17ROCPRIM_400000_NS6detail17trampoline_kernelINS0_14default_configENS1_36segmented_radix_sort_config_selectorIllEEZNS1_25segmented_radix_sort_implIS3_Lb0EPKlPlS8_S9_N2at6native12_GLOBAL__N_18offset_tEEE10hipError_tPvRmT1_PNSt15iterator_traitsISH_E10value_typeET2_T3_PNSI_ISN_E10value_typeET4_jRbjT5_ST_jjP12ihipStream_tbEUlT_E1_NS1_11comp_targetILNS1_3genE8ELNS1_11target_archE1030ELNS1_3gpuE2ELNS1_3repE0EEENS1_59segmented_radix_sort_warp_sort_small_config_static_selectorELNS0_4arch9wavefront6targetE1EEEvSH_,@function
_ZN7rocprim17ROCPRIM_400000_NS6detail17trampoline_kernelINS0_14default_configENS1_36segmented_radix_sort_config_selectorIllEEZNS1_25segmented_radix_sort_implIS3_Lb0EPKlPlS8_S9_N2at6native12_GLOBAL__N_18offset_tEEE10hipError_tPvRmT1_PNSt15iterator_traitsISH_E10value_typeET2_T3_PNSI_ISN_E10value_typeET4_jRbjT5_ST_jjP12ihipStream_tbEUlT_E1_NS1_11comp_targetILNS1_3genE8ELNS1_11target_archE1030ELNS1_3gpuE2ELNS1_3repE0EEENS1_59segmented_radix_sort_warp_sort_small_config_static_selectorELNS0_4arch9wavefront6targetE1EEEvSH_: ; @_ZN7rocprim17ROCPRIM_400000_NS6detail17trampoline_kernelINS0_14default_configENS1_36segmented_radix_sort_config_selectorIllEEZNS1_25segmented_radix_sort_implIS3_Lb0EPKlPlS8_S9_N2at6native12_GLOBAL__N_18offset_tEEE10hipError_tPvRmT1_PNSt15iterator_traitsISH_E10value_typeET2_T3_PNSI_ISN_E10value_typeET4_jRbjT5_ST_jjP12ihipStream_tbEUlT_E1_NS1_11comp_targetILNS1_3genE8ELNS1_11target_archE1030ELNS1_3gpuE2ELNS1_3repE0EEENS1_59segmented_radix_sort_warp_sort_small_config_static_selectorELNS0_4arch9wavefront6targetE1EEEvSH_
; %bb.0:
	.section	.rodata,"a",@progbits
	.p2align	6, 0x0
	.amdhsa_kernel _ZN7rocprim17ROCPRIM_400000_NS6detail17trampoline_kernelINS0_14default_configENS1_36segmented_radix_sort_config_selectorIllEEZNS1_25segmented_radix_sort_implIS3_Lb0EPKlPlS8_S9_N2at6native12_GLOBAL__N_18offset_tEEE10hipError_tPvRmT1_PNSt15iterator_traitsISH_E10value_typeET2_T3_PNSI_ISN_E10value_typeET4_jRbjT5_ST_jjP12ihipStream_tbEUlT_E1_NS1_11comp_targetILNS1_3genE8ELNS1_11target_archE1030ELNS1_3gpuE2ELNS1_3repE0EEENS1_59segmented_radix_sort_warp_sort_small_config_static_selectorELNS0_4arch9wavefront6targetE1EEEvSH_
		.amdhsa_group_segment_fixed_size 0
		.amdhsa_private_segment_fixed_size 0
		.amdhsa_kernarg_size 88
		.amdhsa_user_sgpr_count 6
		.amdhsa_user_sgpr_private_segment_buffer 1
		.amdhsa_user_sgpr_dispatch_ptr 0
		.amdhsa_user_sgpr_queue_ptr 0
		.amdhsa_user_sgpr_kernarg_segment_ptr 1
		.amdhsa_user_sgpr_dispatch_id 0
		.amdhsa_user_sgpr_flat_scratch_init 0
		.amdhsa_user_sgpr_kernarg_preload_length 0
		.amdhsa_user_sgpr_kernarg_preload_offset 0
		.amdhsa_user_sgpr_private_segment_size 0
		.amdhsa_uses_dynamic_stack 0
		.amdhsa_system_sgpr_private_segment_wavefront_offset 0
		.amdhsa_system_sgpr_workgroup_id_x 1
		.amdhsa_system_sgpr_workgroup_id_y 0
		.amdhsa_system_sgpr_workgroup_id_z 0
		.amdhsa_system_sgpr_workgroup_info 0
		.amdhsa_system_vgpr_workitem_id 0
		.amdhsa_next_free_vgpr 1
		.amdhsa_next_free_sgpr 0
		.amdhsa_accum_offset 4
		.amdhsa_reserve_vcc 0
		.amdhsa_reserve_flat_scratch 0
		.amdhsa_float_round_mode_32 0
		.amdhsa_float_round_mode_16_64 0
		.amdhsa_float_denorm_mode_32 3
		.amdhsa_float_denorm_mode_16_64 3
		.amdhsa_dx10_clamp 1
		.amdhsa_ieee_mode 1
		.amdhsa_fp16_overflow 0
		.amdhsa_tg_split 0
		.amdhsa_exception_fp_ieee_invalid_op 0
		.amdhsa_exception_fp_denorm_src 0
		.amdhsa_exception_fp_ieee_div_zero 0
		.amdhsa_exception_fp_ieee_overflow 0
		.amdhsa_exception_fp_ieee_underflow 0
		.amdhsa_exception_fp_ieee_inexact 0
		.amdhsa_exception_int_div_zero 0
	.end_amdhsa_kernel
	.section	.text._ZN7rocprim17ROCPRIM_400000_NS6detail17trampoline_kernelINS0_14default_configENS1_36segmented_radix_sort_config_selectorIllEEZNS1_25segmented_radix_sort_implIS3_Lb0EPKlPlS8_S9_N2at6native12_GLOBAL__N_18offset_tEEE10hipError_tPvRmT1_PNSt15iterator_traitsISH_E10value_typeET2_T3_PNSI_ISN_E10value_typeET4_jRbjT5_ST_jjP12ihipStream_tbEUlT_E1_NS1_11comp_targetILNS1_3genE8ELNS1_11target_archE1030ELNS1_3gpuE2ELNS1_3repE0EEENS1_59segmented_radix_sort_warp_sort_small_config_static_selectorELNS0_4arch9wavefront6targetE1EEEvSH_,"axG",@progbits,_ZN7rocprim17ROCPRIM_400000_NS6detail17trampoline_kernelINS0_14default_configENS1_36segmented_radix_sort_config_selectorIllEEZNS1_25segmented_radix_sort_implIS3_Lb0EPKlPlS8_S9_N2at6native12_GLOBAL__N_18offset_tEEE10hipError_tPvRmT1_PNSt15iterator_traitsISH_E10value_typeET2_T3_PNSI_ISN_E10value_typeET4_jRbjT5_ST_jjP12ihipStream_tbEUlT_E1_NS1_11comp_targetILNS1_3genE8ELNS1_11target_archE1030ELNS1_3gpuE2ELNS1_3repE0EEENS1_59segmented_radix_sort_warp_sort_small_config_static_selectorELNS0_4arch9wavefront6targetE1EEEvSH_,comdat
.Lfunc_end836:
	.size	_ZN7rocprim17ROCPRIM_400000_NS6detail17trampoline_kernelINS0_14default_configENS1_36segmented_radix_sort_config_selectorIllEEZNS1_25segmented_radix_sort_implIS3_Lb0EPKlPlS8_S9_N2at6native12_GLOBAL__N_18offset_tEEE10hipError_tPvRmT1_PNSt15iterator_traitsISH_E10value_typeET2_T3_PNSI_ISN_E10value_typeET4_jRbjT5_ST_jjP12ihipStream_tbEUlT_E1_NS1_11comp_targetILNS1_3genE8ELNS1_11target_archE1030ELNS1_3gpuE2ELNS1_3repE0EEENS1_59segmented_radix_sort_warp_sort_small_config_static_selectorELNS0_4arch9wavefront6targetE1EEEvSH_, .Lfunc_end836-_ZN7rocprim17ROCPRIM_400000_NS6detail17trampoline_kernelINS0_14default_configENS1_36segmented_radix_sort_config_selectorIllEEZNS1_25segmented_radix_sort_implIS3_Lb0EPKlPlS8_S9_N2at6native12_GLOBAL__N_18offset_tEEE10hipError_tPvRmT1_PNSt15iterator_traitsISH_E10value_typeET2_T3_PNSI_ISN_E10value_typeET4_jRbjT5_ST_jjP12ihipStream_tbEUlT_E1_NS1_11comp_targetILNS1_3genE8ELNS1_11target_archE1030ELNS1_3gpuE2ELNS1_3repE0EEENS1_59segmented_radix_sort_warp_sort_small_config_static_selectorELNS0_4arch9wavefront6targetE1EEEvSH_
                                        ; -- End function
	.section	.AMDGPU.csdata,"",@progbits
; Kernel info:
; codeLenInByte = 0
; NumSgprs: 4
; NumVgprs: 0
; NumAgprs: 0
; TotalNumVgprs: 0
; ScratchSize: 0
; MemoryBound: 0
; FloatMode: 240
; IeeeMode: 1
; LDSByteSize: 0 bytes/workgroup (compile time only)
; SGPRBlocks: 0
; VGPRBlocks: 0
; NumSGPRsForWavesPerEU: 4
; NumVGPRsForWavesPerEU: 1
; AccumOffset: 4
; Occupancy: 8
; WaveLimiterHint : 0
; COMPUTE_PGM_RSRC2:SCRATCH_EN: 0
; COMPUTE_PGM_RSRC2:USER_SGPR: 6
; COMPUTE_PGM_RSRC2:TRAP_HANDLER: 0
; COMPUTE_PGM_RSRC2:TGID_X_EN: 1
; COMPUTE_PGM_RSRC2:TGID_Y_EN: 0
; COMPUTE_PGM_RSRC2:TGID_Z_EN: 0
; COMPUTE_PGM_RSRC2:TIDIG_COMP_CNT: 0
; COMPUTE_PGM_RSRC3_GFX90A:ACCUM_OFFSET: 0
; COMPUTE_PGM_RSRC3_GFX90A:TG_SPLIT: 0
	.section	.text._ZN7rocprim17ROCPRIM_400000_NS6detail17trampoline_kernelINS0_14default_configENS1_36segmented_radix_sort_config_selectorIllEEZNS1_25segmented_radix_sort_implIS3_Lb0EPKlPlS8_S9_N2at6native12_GLOBAL__N_18offset_tEEE10hipError_tPvRmT1_PNSt15iterator_traitsISH_E10value_typeET2_T3_PNSI_ISN_E10value_typeET4_jRbjT5_ST_jjP12ihipStream_tbEUlT_E2_NS1_11comp_targetILNS1_3genE0ELNS1_11target_archE4294967295ELNS1_3gpuE0ELNS1_3repE0EEENS1_30default_config_static_selectorELNS0_4arch9wavefront6targetE1EEEvSH_,"axG",@progbits,_ZN7rocprim17ROCPRIM_400000_NS6detail17trampoline_kernelINS0_14default_configENS1_36segmented_radix_sort_config_selectorIllEEZNS1_25segmented_radix_sort_implIS3_Lb0EPKlPlS8_S9_N2at6native12_GLOBAL__N_18offset_tEEE10hipError_tPvRmT1_PNSt15iterator_traitsISH_E10value_typeET2_T3_PNSI_ISN_E10value_typeET4_jRbjT5_ST_jjP12ihipStream_tbEUlT_E2_NS1_11comp_targetILNS1_3genE0ELNS1_11target_archE4294967295ELNS1_3gpuE0ELNS1_3repE0EEENS1_30default_config_static_selectorELNS0_4arch9wavefront6targetE1EEEvSH_,comdat
	.globl	_ZN7rocprim17ROCPRIM_400000_NS6detail17trampoline_kernelINS0_14default_configENS1_36segmented_radix_sort_config_selectorIllEEZNS1_25segmented_radix_sort_implIS3_Lb0EPKlPlS8_S9_N2at6native12_GLOBAL__N_18offset_tEEE10hipError_tPvRmT1_PNSt15iterator_traitsISH_E10value_typeET2_T3_PNSI_ISN_E10value_typeET4_jRbjT5_ST_jjP12ihipStream_tbEUlT_E2_NS1_11comp_targetILNS1_3genE0ELNS1_11target_archE4294967295ELNS1_3gpuE0ELNS1_3repE0EEENS1_30default_config_static_selectorELNS0_4arch9wavefront6targetE1EEEvSH_ ; -- Begin function _ZN7rocprim17ROCPRIM_400000_NS6detail17trampoline_kernelINS0_14default_configENS1_36segmented_radix_sort_config_selectorIllEEZNS1_25segmented_radix_sort_implIS3_Lb0EPKlPlS8_S9_N2at6native12_GLOBAL__N_18offset_tEEE10hipError_tPvRmT1_PNSt15iterator_traitsISH_E10value_typeET2_T3_PNSI_ISN_E10value_typeET4_jRbjT5_ST_jjP12ihipStream_tbEUlT_E2_NS1_11comp_targetILNS1_3genE0ELNS1_11target_archE4294967295ELNS1_3gpuE0ELNS1_3repE0EEENS1_30default_config_static_selectorELNS0_4arch9wavefront6targetE1EEEvSH_
	.p2align	8
	.type	_ZN7rocprim17ROCPRIM_400000_NS6detail17trampoline_kernelINS0_14default_configENS1_36segmented_radix_sort_config_selectorIllEEZNS1_25segmented_radix_sort_implIS3_Lb0EPKlPlS8_S9_N2at6native12_GLOBAL__N_18offset_tEEE10hipError_tPvRmT1_PNSt15iterator_traitsISH_E10value_typeET2_T3_PNSI_ISN_E10value_typeET4_jRbjT5_ST_jjP12ihipStream_tbEUlT_E2_NS1_11comp_targetILNS1_3genE0ELNS1_11target_archE4294967295ELNS1_3gpuE0ELNS1_3repE0EEENS1_30default_config_static_selectorELNS0_4arch9wavefront6targetE1EEEvSH_,@function
_ZN7rocprim17ROCPRIM_400000_NS6detail17trampoline_kernelINS0_14default_configENS1_36segmented_radix_sort_config_selectorIllEEZNS1_25segmented_radix_sort_implIS3_Lb0EPKlPlS8_S9_N2at6native12_GLOBAL__N_18offset_tEEE10hipError_tPvRmT1_PNSt15iterator_traitsISH_E10value_typeET2_T3_PNSI_ISN_E10value_typeET4_jRbjT5_ST_jjP12ihipStream_tbEUlT_E2_NS1_11comp_targetILNS1_3genE0ELNS1_11target_archE4294967295ELNS1_3gpuE0ELNS1_3repE0EEENS1_30default_config_static_selectorELNS0_4arch9wavefront6targetE1EEEvSH_: ; @_ZN7rocprim17ROCPRIM_400000_NS6detail17trampoline_kernelINS0_14default_configENS1_36segmented_radix_sort_config_selectorIllEEZNS1_25segmented_radix_sort_implIS3_Lb0EPKlPlS8_S9_N2at6native12_GLOBAL__N_18offset_tEEE10hipError_tPvRmT1_PNSt15iterator_traitsISH_E10value_typeET2_T3_PNSI_ISN_E10value_typeET4_jRbjT5_ST_jjP12ihipStream_tbEUlT_E2_NS1_11comp_targetILNS1_3genE0ELNS1_11target_archE4294967295ELNS1_3gpuE0ELNS1_3repE0EEENS1_30default_config_static_selectorELNS0_4arch9wavefront6targetE1EEEvSH_
; %bb.0:
	.section	.rodata,"a",@progbits
	.p2align	6, 0x0
	.amdhsa_kernel _ZN7rocprim17ROCPRIM_400000_NS6detail17trampoline_kernelINS0_14default_configENS1_36segmented_radix_sort_config_selectorIllEEZNS1_25segmented_radix_sort_implIS3_Lb0EPKlPlS8_S9_N2at6native12_GLOBAL__N_18offset_tEEE10hipError_tPvRmT1_PNSt15iterator_traitsISH_E10value_typeET2_T3_PNSI_ISN_E10value_typeET4_jRbjT5_ST_jjP12ihipStream_tbEUlT_E2_NS1_11comp_targetILNS1_3genE0ELNS1_11target_archE4294967295ELNS1_3gpuE0ELNS1_3repE0EEENS1_30default_config_static_selectorELNS0_4arch9wavefront6targetE1EEEvSH_
		.amdhsa_group_segment_fixed_size 0
		.amdhsa_private_segment_fixed_size 0
		.amdhsa_kernarg_size 80
		.amdhsa_user_sgpr_count 6
		.amdhsa_user_sgpr_private_segment_buffer 1
		.amdhsa_user_sgpr_dispatch_ptr 0
		.amdhsa_user_sgpr_queue_ptr 0
		.amdhsa_user_sgpr_kernarg_segment_ptr 1
		.amdhsa_user_sgpr_dispatch_id 0
		.amdhsa_user_sgpr_flat_scratch_init 0
		.amdhsa_user_sgpr_kernarg_preload_length 0
		.amdhsa_user_sgpr_kernarg_preload_offset 0
		.amdhsa_user_sgpr_private_segment_size 0
		.amdhsa_uses_dynamic_stack 0
		.amdhsa_system_sgpr_private_segment_wavefront_offset 0
		.amdhsa_system_sgpr_workgroup_id_x 1
		.amdhsa_system_sgpr_workgroup_id_y 0
		.amdhsa_system_sgpr_workgroup_id_z 0
		.amdhsa_system_sgpr_workgroup_info 0
		.amdhsa_system_vgpr_workitem_id 0
		.amdhsa_next_free_vgpr 1
		.amdhsa_next_free_sgpr 0
		.amdhsa_accum_offset 4
		.amdhsa_reserve_vcc 0
		.amdhsa_reserve_flat_scratch 0
		.amdhsa_float_round_mode_32 0
		.amdhsa_float_round_mode_16_64 0
		.amdhsa_float_denorm_mode_32 3
		.amdhsa_float_denorm_mode_16_64 3
		.amdhsa_dx10_clamp 1
		.amdhsa_ieee_mode 1
		.amdhsa_fp16_overflow 0
		.amdhsa_tg_split 0
		.amdhsa_exception_fp_ieee_invalid_op 0
		.amdhsa_exception_fp_denorm_src 0
		.amdhsa_exception_fp_ieee_div_zero 0
		.amdhsa_exception_fp_ieee_overflow 0
		.amdhsa_exception_fp_ieee_underflow 0
		.amdhsa_exception_fp_ieee_inexact 0
		.amdhsa_exception_int_div_zero 0
	.end_amdhsa_kernel
	.section	.text._ZN7rocprim17ROCPRIM_400000_NS6detail17trampoline_kernelINS0_14default_configENS1_36segmented_radix_sort_config_selectorIllEEZNS1_25segmented_radix_sort_implIS3_Lb0EPKlPlS8_S9_N2at6native12_GLOBAL__N_18offset_tEEE10hipError_tPvRmT1_PNSt15iterator_traitsISH_E10value_typeET2_T3_PNSI_ISN_E10value_typeET4_jRbjT5_ST_jjP12ihipStream_tbEUlT_E2_NS1_11comp_targetILNS1_3genE0ELNS1_11target_archE4294967295ELNS1_3gpuE0ELNS1_3repE0EEENS1_30default_config_static_selectorELNS0_4arch9wavefront6targetE1EEEvSH_,"axG",@progbits,_ZN7rocprim17ROCPRIM_400000_NS6detail17trampoline_kernelINS0_14default_configENS1_36segmented_radix_sort_config_selectorIllEEZNS1_25segmented_radix_sort_implIS3_Lb0EPKlPlS8_S9_N2at6native12_GLOBAL__N_18offset_tEEE10hipError_tPvRmT1_PNSt15iterator_traitsISH_E10value_typeET2_T3_PNSI_ISN_E10value_typeET4_jRbjT5_ST_jjP12ihipStream_tbEUlT_E2_NS1_11comp_targetILNS1_3genE0ELNS1_11target_archE4294967295ELNS1_3gpuE0ELNS1_3repE0EEENS1_30default_config_static_selectorELNS0_4arch9wavefront6targetE1EEEvSH_,comdat
.Lfunc_end837:
	.size	_ZN7rocprim17ROCPRIM_400000_NS6detail17trampoline_kernelINS0_14default_configENS1_36segmented_radix_sort_config_selectorIllEEZNS1_25segmented_radix_sort_implIS3_Lb0EPKlPlS8_S9_N2at6native12_GLOBAL__N_18offset_tEEE10hipError_tPvRmT1_PNSt15iterator_traitsISH_E10value_typeET2_T3_PNSI_ISN_E10value_typeET4_jRbjT5_ST_jjP12ihipStream_tbEUlT_E2_NS1_11comp_targetILNS1_3genE0ELNS1_11target_archE4294967295ELNS1_3gpuE0ELNS1_3repE0EEENS1_30default_config_static_selectorELNS0_4arch9wavefront6targetE1EEEvSH_, .Lfunc_end837-_ZN7rocprim17ROCPRIM_400000_NS6detail17trampoline_kernelINS0_14default_configENS1_36segmented_radix_sort_config_selectorIllEEZNS1_25segmented_radix_sort_implIS3_Lb0EPKlPlS8_S9_N2at6native12_GLOBAL__N_18offset_tEEE10hipError_tPvRmT1_PNSt15iterator_traitsISH_E10value_typeET2_T3_PNSI_ISN_E10value_typeET4_jRbjT5_ST_jjP12ihipStream_tbEUlT_E2_NS1_11comp_targetILNS1_3genE0ELNS1_11target_archE4294967295ELNS1_3gpuE0ELNS1_3repE0EEENS1_30default_config_static_selectorELNS0_4arch9wavefront6targetE1EEEvSH_
                                        ; -- End function
	.section	.AMDGPU.csdata,"",@progbits
; Kernel info:
; codeLenInByte = 0
; NumSgprs: 4
; NumVgprs: 0
; NumAgprs: 0
; TotalNumVgprs: 0
; ScratchSize: 0
; MemoryBound: 0
; FloatMode: 240
; IeeeMode: 1
; LDSByteSize: 0 bytes/workgroup (compile time only)
; SGPRBlocks: 0
; VGPRBlocks: 0
; NumSGPRsForWavesPerEU: 4
; NumVGPRsForWavesPerEU: 1
; AccumOffset: 4
; Occupancy: 8
; WaveLimiterHint : 0
; COMPUTE_PGM_RSRC2:SCRATCH_EN: 0
; COMPUTE_PGM_RSRC2:USER_SGPR: 6
; COMPUTE_PGM_RSRC2:TRAP_HANDLER: 0
; COMPUTE_PGM_RSRC2:TGID_X_EN: 1
; COMPUTE_PGM_RSRC2:TGID_Y_EN: 0
; COMPUTE_PGM_RSRC2:TGID_Z_EN: 0
; COMPUTE_PGM_RSRC2:TIDIG_COMP_CNT: 0
; COMPUTE_PGM_RSRC3_GFX90A:ACCUM_OFFSET: 0
; COMPUTE_PGM_RSRC3_GFX90A:TG_SPLIT: 0
	.section	.text._ZN7rocprim17ROCPRIM_400000_NS6detail17trampoline_kernelINS0_14default_configENS1_36segmented_radix_sort_config_selectorIllEEZNS1_25segmented_radix_sort_implIS3_Lb0EPKlPlS8_S9_N2at6native12_GLOBAL__N_18offset_tEEE10hipError_tPvRmT1_PNSt15iterator_traitsISH_E10value_typeET2_T3_PNSI_ISN_E10value_typeET4_jRbjT5_ST_jjP12ihipStream_tbEUlT_E2_NS1_11comp_targetILNS1_3genE5ELNS1_11target_archE942ELNS1_3gpuE9ELNS1_3repE0EEENS1_30default_config_static_selectorELNS0_4arch9wavefront6targetE1EEEvSH_,"axG",@progbits,_ZN7rocprim17ROCPRIM_400000_NS6detail17trampoline_kernelINS0_14default_configENS1_36segmented_radix_sort_config_selectorIllEEZNS1_25segmented_radix_sort_implIS3_Lb0EPKlPlS8_S9_N2at6native12_GLOBAL__N_18offset_tEEE10hipError_tPvRmT1_PNSt15iterator_traitsISH_E10value_typeET2_T3_PNSI_ISN_E10value_typeET4_jRbjT5_ST_jjP12ihipStream_tbEUlT_E2_NS1_11comp_targetILNS1_3genE5ELNS1_11target_archE942ELNS1_3gpuE9ELNS1_3repE0EEENS1_30default_config_static_selectorELNS0_4arch9wavefront6targetE1EEEvSH_,comdat
	.globl	_ZN7rocprim17ROCPRIM_400000_NS6detail17trampoline_kernelINS0_14default_configENS1_36segmented_radix_sort_config_selectorIllEEZNS1_25segmented_radix_sort_implIS3_Lb0EPKlPlS8_S9_N2at6native12_GLOBAL__N_18offset_tEEE10hipError_tPvRmT1_PNSt15iterator_traitsISH_E10value_typeET2_T3_PNSI_ISN_E10value_typeET4_jRbjT5_ST_jjP12ihipStream_tbEUlT_E2_NS1_11comp_targetILNS1_3genE5ELNS1_11target_archE942ELNS1_3gpuE9ELNS1_3repE0EEENS1_30default_config_static_selectorELNS0_4arch9wavefront6targetE1EEEvSH_ ; -- Begin function _ZN7rocprim17ROCPRIM_400000_NS6detail17trampoline_kernelINS0_14default_configENS1_36segmented_radix_sort_config_selectorIllEEZNS1_25segmented_radix_sort_implIS3_Lb0EPKlPlS8_S9_N2at6native12_GLOBAL__N_18offset_tEEE10hipError_tPvRmT1_PNSt15iterator_traitsISH_E10value_typeET2_T3_PNSI_ISN_E10value_typeET4_jRbjT5_ST_jjP12ihipStream_tbEUlT_E2_NS1_11comp_targetILNS1_3genE5ELNS1_11target_archE942ELNS1_3gpuE9ELNS1_3repE0EEENS1_30default_config_static_selectorELNS0_4arch9wavefront6targetE1EEEvSH_
	.p2align	8
	.type	_ZN7rocprim17ROCPRIM_400000_NS6detail17trampoline_kernelINS0_14default_configENS1_36segmented_radix_sort_config_selectorIllEEZNS1_25segmented_radix_sort_implIS3_Lb0EPKlPlS8_S9_N2at6native12_GLOBAL__N_18offset_tEEE10hipError_tPvRmT1_PNSt15iterator_traitsISH_E10value_typeET2_T3_PNSI_ISN_E10value_typeET4_jRbjT5_ST_jjP12ihipStream_tbEUlT_E2_NS1_11comp_targetILNS1_3genE5ELNS1_11target_archE942ELNS1_3gpuE9ELNS1_3repE0EEENS1_30default_config_static_selectorELNS0_4arch9wavefront6targetE1EEEvSH_,@function
_ZN7rocprim17ROCPRIM_400000_NS6detail17trampoline_kernelINS0_14default_configENS1_36segmented_radix_sort_config_selectorIllEEZNS1_25segmented_radix_sort_implIS3_Lb0EPKlPlS8_S9_N2at6native12_GLOBAL__N_18offset_tEEE10hipError_tPvRmT1_PNSt15iterator_traitsISH_E10value_typeET2_T3_PNSI_ISN_E10value_typeET4_jRbjT5_ST_jjP12ihipStream_tbEUlT_E2_NS1_11comp_targetILNS1_3genE5ELNS1_11target_archE942ELNS1_3gpuE9ELNS1_3repE0EEENS1_30default_config_static_selectorELNS0_4arch9wavefront6targetE1EEEvSH_: ; @_ZN7rocprim17ROCPRIM_400000_NS6detail17trampoline_kernelINS0_14default_configENS1_36segmented_radix_sort_config_selectorIllEEZNS1_25segmented_radix_sort_implIS3_Lb0EPKlPlS8_S9_N2at6native12_GLOBAL__N_18offset_tEEE10hipError_tPvRmT1_PNSt15iterator_traitsISH_E10value_typeET2_T3_PNSI_ISN_E10value_typeET4_jRbjT5_ST_jjP12ihipStream_tbEUlT_E2_NS1_11comp_targetILNS1_3genE5ELNS1_11target_archE942ELNS1_3gpuE9ELNS1_3repE0EEENS1_30default_config_static_selectorELNS0_4arch9wavefront6targetE1EEEvSH_
; %bb.0:
	.section	.rodata,"a",@progbits
	.p2align	6, 0x0
	.amdhsa_kernel _ZN7rocprim17ROCPRIM_400000_NS6detail17trampoline_kernelINS0_14default_configENS1_36segmented_radix_sort_config_selectorIllEEZNS1_25segmented_radix_sort_implIS3_Lb0EPKlPlS8_S9_N2at6native12_GLOBAL__N_18offset_tEEE10hipError_tPvRmT1_PNSt15iterator_traitsISH_E10value_typeET2_T3_PNSI_ISN_E10value_typeET4_jRbjT5_ST_jjP12ihipStream_tbEUlT_E2_NS1_11comp_targetILNS1_3genE5ELNS1_11target_archE942ELNS1_3gpuE9ELNS1_3repE0EEENS1_30default_config_static_selectorELNS0_4arch9wavefront6targetE1EEEvSH_
		.amdhsa_group_segment_fixed_size 0
		.amdhsa_private_segment_fixed_size 0
		.amdhsa_kernarg_size 80
		.amdhsa_user_sgpr_count 6
		.amdhsa_user_sgpr_private_segment_buffer 1
		.amdhsa_user_sgpr_dispatch_ptr 0
		.amdhsa_user_sgpr_queue_ptr 0
		.amdhsa_user_sgpr_kernarg_segment_ptr 1
		.amdhsa_user_sgpr_dispatch_id 0
		.amdhsa_user_sgpr_flat_scratch_init 0
		.amdhsa_user_sgpr_kernarg_preload_length 0
		.amdhsa_user_sgpr_kernarg_preload_offset 0
		.amdhsa_user_sgpr_private_segment_size 0
		.amdhsa_uses_dynamic_stack 0
		.amdhsa_system_sgpr_private_segment_wavefront_offset 0
		.amdhsa_system_sgpr_workgroup_id_x 1
		.amdhsa_system_sgpr_workgroup_id_y 0
		.amdhsa_system_sgpr_workgroup_id_z 0
		.amdhsa_system_sgpr_workgroup_info 0
		.amdhsa_system_vgpr_workitem_id 0
		.amdhsa_next_free_vgpr 1
		.amdhsa_next_free_sgpr 0
		.amdhsa_accum_offset 4
		.amdhsa_reserve_vcc 0
		.amdhsa_reserve_flat_scratch 0
		.amdhsa_float_round_mode_32 0
		.amdhsa_float_round_mode_16_64 0
		.amdhsa_float_denorm_mode_32 3
		.amdhsa_float_denorm_mode_16_64 3
		.amdhsa_dx10_clamp 1
		.amdhsa_ieee_mode 1
		.amdhsa_fp16_overflow 0
		.amdhsa_tg_split 0
		.amdhsa_exception_fp_ieee_invalid_op 0
		.amdhsa_exception_fp_denorm_src 0
		.amdhsa_exception_fp_ieee_div_zero 0
		.amdhsa_exception_fp_ieee_overflow 0
		.amdhsa_exception_fp_ieee_underflow 0
		.amdhsa_exception_fp_ieee_inexact 0
		.amdhsa_exception_int_div_zero 0
	.end_amdhsa_kernel
	.section	.text._ZN7rocprim17ROCPRIM_400000_NS6detail17trampoline_kernelINS0_14default_configENS1_36segmented_radix_sort_config_selectorIllEEZNS1_25segmented_radix_sort_implIS3_Lb0EPKlPlS8_S9_N2at6native12_GLOBAL__N_18offset_tEEE10hipError_tPvRmT1_PNSt15iterator_traitsISH_E10value_typeET2_T3_PNSI_ISN_E10value_typeET4_jRbjT5_ST_jjP12ihipStream_tbEUlT_E2_NS1_11comp_targetILNS1_3genE5ELNS1_11target_archE942ELNS1_3gpuE9ELNS1_3repE0EEENS1_30default_config_static_selectorELNS0_4arch9wavefront6targetE1EEEvSH_,"axG",@progbits,_ZN7rocprim17ROCPRIM_400000_NS6detail17trampoline_kernelINS0_14default_configENS1_36segmented_radix_sort_config_selectorIllEEZNS1_25segmented_radix_sort_implIS3_Lb0EPKlPlS8_S9_N2at6native12_GLOBAL__N_18offset_tEEE10hipError_tPvRmT1_PNSt15iterator_traitsISH_E10value_typeET2_T3_PNSI_ISN_E10value_typeET4_jRbjT5_ST_jjP12ihipStream_tbEUlT_E2_NS1_11comp_targetILNS1_3genE5ELNS1_11target_archE942ELNS1_3gpuE9ELNS1_3repE0EEENS1_30default_config_static_selectorELNS0_4arch9wavefront6targetE1EEEvSH_,comdat
.Lfunc_end838:
	.size	_ZN7rocprim17ROCPRIM_400000_NS6detail17trampoline_kernelINS0_14default_configENS1_36segmented_radix_sort_config_selectorIllEEZNS1_25segmented_radix_sort_implIS3_Lb0EPKlPlS8_S9_N2at6native12_GLOBAL__N_18offset_tEEE10hipError_tPvRmT1_PNSt15iterator_traitsISH_E10value_typeET2_T3_PNSI_ISN_E10value_typeET4_jRbjT5_ST_jjP12ihipStream_tbEUlT_E2_NS1_11comp_targetILNS1_3genE5ELNS1_11target_archE942ELNS1_3gpuE9ELNS1_3repE0EEENS1_30default_config_static_selectorELNS0_4arch9wavefront6targetE1EEEvSH_, .Lfunc_end838-_ZN7rocprim17ROCPRIM_400000_NS6detail17trampoline_kernelINS0_14default_configENS1_36segmented_radix_sort_config_selectorIllEEZNS1_25segmented_radix_sort_implIS3_Lb0EPKlPlS8_S9_N2at6native12_GLOBAL__N_18offset_tEEE10hipError_tPvRmT1_PNSt15iterator_traitsISH_E10value_typeET2_T3_PNSI_ISN_E10value_typeET4_jRbjT5_ST_jjP12ihipStream_tbEUlT_E2_NS1_11comp_targetILNS1_3genE5ELNS1_11target_archE942ELNS1_3gpuE9ELNS1_3repE0EEENS1_30default_config_static_selectorELNS0_4arch9wavefront6targetE1EEEvSH_
                                        ; -- End function
	.section	.AMDGPU.csdata,"",@progbits
; Kernel info:
; codeLenInByte = 0
; NumSgprs: 4
; NumVgprs: 0
; NumAgprs: 0
; TotalNumVgprs: 0
; ScratchSize: 0
; MemoryBound: 0
; FloatMode: 240
; IeeeMode: 1
; LDSByteSize: 0 bytes/workgroup (compile time only)
; SGPRBlocks: 0
; VGPRBlocks: 0
; NumSGPRsForWavesPerEU: 4
; NumVGPRsForWavesPerEU: 1
; AccumOffset: 4
; Occupancy: 8
; WaveLimiterHint : 0
; COMPUTE_PGM_RSRC2:SCRATCH_EN: 0
; COMPUTE_PGM_RSRC2:USER_SGPR: 6
; COMPUTE_PGM_RSRC2:TRAP_HANDLER: 0
; COMPUTE_PGM_RSRC2:TGID_X_EN: 1
; COMPUTE_PGM_RSRC2:TGID_Y_EN: 0
; COMPUTE_PGM_RSRC2:TGID_Z_EN: 0
; COMPUTE_PGM_RSRC2:TIDIG_COMP_CNT: 0
; COMPUTE_PGM_RSRC3_GFX90A:ACCUM_OFFSET: 0
; COMPUTE_PGM_RSRC3_GFX90A:TG_SPLIT: 0
	.section	.text._ZN7rocprim17ROCPRIM_400000_NS6detail17trampoline_kernelINS0_14default_configENS1_36segmented_radix_sort_config_selectorIllEEZNS1_25segmented_radix_sort_implIS3_Lb0EPKlPlS8_S9_N2at6native12_GLOBAL__N_18offset_tEEE10hipError_tPvRmT1_PNSt15iterator_traitsISH_E10value_typeET2_T3_PNSI_ISN_E10value_typeET4_jRbjT5_ST_jjP12ihipStream_tbEUlT_E2_NS1_11comp_targetILNS1_3genE4ELNS1_11target_archE910ELNS1_3gpuE8ELNS1_3repE0EEENS1_30default_config_static_selectorELNS0_4arch9wavefront6targetE1EEEvSH_,"axG",@progbits,_ZN7rocprim17ROCPRIM_400000_NS6detail17trampoline_kernelINS0_14default_configENS1_36segmented_radix_sort_config_selectorIllEEZNS1_25segmented_radix_sort_implIS3_Lb0EPKlPlS8_S9_N2at6native12_GLOBAL__N_18offset_tEEE10hipError_tPvRmT1_PNSt15iterator_traitsISH_E10value_typeET2_T3_PNSI_ISN_E10value_typeET4_jRbjT5_ST_jjP12ihipStream_tbEUlT_E2_NS1_11comp_targetILNS1_3genE4ELNS1_11target_archE910ELNS1_3gpuE8ELNS1_3repE0EEENS1_30default_config_static_selectorELNS0_4arch9wavefront6targetE1EEEvSH_,comdat
	.globl	_ZN7rocprim17ROCPRIM_400000_NS6detail17trampoline_kernelINS0_14default_configENS1_36segmented_radix_sort_config_selectorIllEEZNS1_25segmented_radix_sort_implIS3_Lb0EPKlPlS8_S9_N2at6native12_GLOBAL__N_18offset_tEEE10hipError_tPvRmT1_PNSt15iterator_traitsISH_E10value_typeET2_T3_PNSI_ISN_E10value_typeET4_jRbjT5_ST_jjP12ihipStream_tbEUlT_E2_NS1_11comp_targetILNS1_3genE4ELNS1_11target_archE910ELNS1_3gpuE8ELNS1_3repE0EEENS1_30default_config_static_selectorELNS0_4arch9wavefront6targetE1EEEvSH_ ; -- Begin function _ZN7rocprim17ROCPRIM_400000_NS6detail17trampoline_kernelINS0_14default_configENS1_36segmented_radix_sort_config_selectorIllEEZNS1_25segmented_radix_sort_implIS3_Lb0EPKlPlS8_S9_N2at6native12_GLOBAL__N_18offset_tEEE10hipError_tPvRmT1_PNSt15iterator_traitsISH_E10value_typeET2_T3_PNSI_ISN_E10value_typeET4_jRbjT5_ST_jjP12ihipStream_tbEUlT_E2_NS1_11comp_targetILNS1_3genE4ELNS1_11target_archE910ELNS1_3gpuE8ELNS1_3repE0EEENS1_30default_config_static_selectorELNS0_4arch9wavefront6targetE1EEEvSH_
	.p2align	8
	.type	_ZN7rocprim17ROCPRIM_400000_NS6detail17trampoline_kernelINS0_14default_configENS1_36segmented_radix_sort_config_selectorIllEEZNS1_25segmented_radix_sort_implIS3_Lb0EPKlPlS8_S9_N2at6native12_GLOBAL__N_18offset_tEEE10hipError_tPvRmT1_PNSt15iterator_traitsISH_E10value_typeET2_T3_PNSI_ISN_E10value_typeET4_jRbjT5_ST_jjP12ihipStream_tbEUlT_E2_NS1_11comp_targetILNS1_3genE4ELNS1_11target_archE910ELNS1_3gpuE8ELNS1_3repE0EEENS1_30default_config_static_selectorELNS0_4arch9wavefront6targetE1EEEvSH_,@function
_ZN7rocprim17ROCPRIM_400000_NS6detail17trampoline_kernelINS0_14default_configENS1_36segmented_radix_sort_config_selectorIllEEZNS1_25segmented_radix_sort_implIS3_Lb0EPKlPlS8_S9_N2at6native12_GLOBAL__N_18offset_tEEE10hipError_tPvRmT1_PNSt15iterator_traitsISH_E10value_typeET2_T3_PNSI_ISN_E10value_typeET4_jRbjT5_ST_jjP12ihipStream_tbEUlT_E2_NS1_11comp_targetILNS1_3genE4ELNS1_11target_archE910ELNS1_3gpuE8ELNS1_3repE0EEENS1_30default_config_static_selectorELNS0_4arch9wavefront6targetE1EEEvSH_: ; @_ZN7rocprim17ROCPRIM_400000_NS6detail17trampoline_kernelINS0_14default_configENS1_36segmented_radix_sort_config_selectorIllEEZNS1_25segmented_radix_sort_implIS3_Lb0EPKlPlS8_S9_N2at6native12_GLOBAL__N_18offset_tEEE10hipError_tPvRmT1_PNSt15iterator_traitsISH_E10value_typeET2_T3_PNSI_ISN_E10value_typeET4_jRbjT5_ST_jjP12ihipStream_tbEUlT_E2_NS1_11comp_targetILNS1_3genE4ELNS1_11target_archE910ELNS1_3gpuE8ELNS1_3repE0EEENS1_30default_config_static_selectorELNS0_4arch9wavefront6targetE1EEEvSH_
; %bb.0:
	s_load_dwordx4 s[12:15], s[4:5], 0x34
	s_add_u32 flat_scratch_lo, s6, s10
	s_addc_u32 flat_scratch_hi, s7, 0
	s_add_u32 s0, s0, s10
	s_addc_u32 s1, s1, 0
	s_waitcnt lgkmcnt(0)
	s_add_i32 s6, s13, s8
	s_add_i32 s94, s15, s8
                                        ; implicit-def: $vgpr235 : SGPR spill to VGPR lane
	s_mul_i32 s50, s6, s12
	s_mul_i32 s94, s94, s14
	v_writelane_b32 v235, s9, 0
	s_cmp_le_u32 s94, s50
	s_mov_b32 s32, 0
	v_writelane_b32 v235, s8, 1
	s_cbranch_scc1 .LBB839_1198
; %bb.1:
	s_load_dword s6, s[4:5], 0x30
	s_load_dwordx4 s[80:83], s[4:5], 0x20
	s_load_dwordx4 s[52:55], s[4:5], 0x44
	s_load_dwordx8 s[72:79], s[4:5], 0x0
	s_waitcnt lgkmcnt(0)
	s_bitcmp1_b32 s6, 0
	s_cselect_b64 s[70:71], -1, 0
	s_sub_i32 s85, s94, s50
	s_cmpk_lt_u32 s85, 0x1001
	s_mov_b64 s[6:7], -1
	s_cbranch_scc0 .LBB839_15
; %bb.2:
	s_cmp_lt_u32 s85, 33
	s_cbranch_scc0 .LBB839_9
; %bb.3:
	s_load_dword s6, s[4:5], 0x5c
	v_bfe_u32 v1, v0, 10, 10
	v_bfe_u32 v3, v0, 20, 10
	v_and_b32_e32 v2, 0x3ff, v0
	s_waitcnt lgkmcnt(0)
	s_lshr_b32 s7, s6, 16
	s_and_b32 s6, s6, 0xffff
	v_mad_u32_u24 v1, v3, s7, v1
	v_mad_u64_u32 v[2:3], s[6:7], v1, s6, v[2:3]
	v_cmp_gt_u32_e32 vcc, 8, v2
	s_and_saveexec_b64 s[34:35], vcc
	s_cbranch_execz .LBB839_8
; %bb.4:
	s_and_b32 s6, s52, 1
	v_cndmask_b32_e64 v1, 0, 1, s[70:71]
	v_cmp_ne_u32_e32 vcc, s6, v1
	s_mov_b64 s[6:7], -1
	s_cbranch_vccnz .LBB839_6
; %bb.5:
	s_add_u32 s8, s4, 0x50
	s_mov_b64 s[6:7], src_shared_base
	s_addc_u32 s9, s5, 0
	v_readlane_b32 s12, v235, 1
	v_readlane_b32 s13, v235, 0
	v_mov_b32_e32 v31, v0
	v_mov_b32_e32 v40, v0
	;; [unrolled: 1-line block ×16, first 2 shown]
	s_getpc_b64 s[10:11]
	s_add_u32 s10, s10, _ZN7rocprim17ROCPRIM_400000_NS6detail26segmented_warp_sort_helperINS1_20WarpSortHelperConfigILj8ELj4ELj256EEEllLi256ELb0EvE4sortIPKlPlS8_S9_EEvT_T0_T1_T2_jjjjRNS5_12storage_typeE@rel32@lo+4
	s_addc_u32 s11, s11, _ZN7rocprim17ROCPRIM_400000_NS6detail26segmented_warp_sort_helperINS1_20WarpSortHelperConfigILj8ELj4ELj256EEEllLi256ELb0EvE4sortIPKlPlS8_S9_EEvT_T0_T1_T2_jjjjRNS5_12storage_typeE@rel32@hi+12
	s_mov_b64 s[36:37], s[4:5]
	s_swappc_b64 s[30:31], s[10:11]
	v_mov_b32_e32 v0, v40
	s_mov_b64 s[4:5], s[36:37]
	s_mov_b64 s[6:7], 0
.LBB839_6:
	s_andn2_b64 vcc, exec, s[6:7]
	s_cbranch_vccnz .LBB839_8
; %bb.7:
	s_add_u32 s8, s4, 0x50
	s_mov_b64 s[6:7], src_shared_base
	s_addc_u32 s9, s5, 0
	v_readlane_b32 s12, v235, 1
	v_readlane_b32 s13, v235, 0
	v_mov_b32_e32 v31, v0
	v_mov_b32_e32 v40, v0
	v_mov_b32_e32 v0, s72
	v_mov_b32_e32 v1, s73
	v_mov_b32_e32 v2, s74
	v_mov_b32_e32 v3, s75
	v_mov_b32_e32 v4, s78
	v_mov_b32_e32 v5, s79
	v_mov_b32_e32 v6, s80
	v_mov_b32_e32 v7, s81
	v_mov_b32_e32 v8, s50
	v_mov_b32_e32 v9, s94
	v_mov_b32_e32 v10, s53
	v_mov_b32_e32 v11, s54
	v_mov_b32_e32 v12, 0
	v_mov_b32_e32 v13, s7
	s_getpc_b64 s[10:11]
	s_add_u32 s10, s10, _ZN7rocprim17ROCPRIM_400000_NS6detail26segmented_warp_sort_helperINS1_20WarpSortHelperConfigILj8ELj4ELj256EEEllLi256ELb0EvE4sortIPKlPlS8_S9_EEvT_T0_T1_T2_jjjjRNS5_12storage_typeE@rel32@lo+4
	s_addc_u32 s11, s11, _ZN7rocprim17ROCPRIM_400000_NS6detail26segmented_warp_sort_helperINS1_20WarpSortHelperConfigILj8ELj4ELj256EEEllLi256ELb0EvE4sortIPKlPlS8_S9_EEvT_T0_T1_T2_jjjjRNS5_12storage_typeE@rel32@hi+12
	s_mov_b64 s[36:37], s[4:5]
	s_swappc_b64 s[30:31], s[10:11]
	v_mov_b32_e32 v0, v40
	s_mov_b64 s[4:5], s[36:37]
.LBB839_8:
	s_or_b64 exec, exec, s[34:35]
	s_mov_b64 s[6:7], 0
.LBB839_9:
	s_andn2_b64 vcc, exec, s[6:7]
	s_cbranch_vccnz .LBB839_14
; %bb.10:
	s_and_b32 s6, s52, 1
	v_cndmask_b32_e64 v1, 0, 1, s[70:71]
	v_cmp_ne_u32_e32 vcc, s6, v1
	s_mov_b64 s[6:7], -1
	s_cbranch_vccnz .LBB839_12
; %bb.11:
	s_add_u32 s8, s4, 0x50
	s_mov_b64 s[6:7], src_shared_base
	s_addc_u32 s9, s5, 0
	v_readlane_b32 s12, v235, 1
	v_readlane_b32 s13, v235, 0
	v_mov_b32_e32 v31, v0
	v_mov_b32_e32 v40, v0
	;; [unrolled: 1-line block ×16, first 2 shown]
	s_getpc_b64 s[10:11]
	s_add_u32 s10, s10, _ZN7rocprim17ROCPRIM_400000_NS6detail40segmented_radix_sort_single_block_helperIllLj256ELj16ELb0EE4sortIPKlPlS6_S7_EEbT_T0_T1_T2_jjjjRNS3_12storage_typeE@rel32@lo+4
	s_addc_u32 s11, s11, _ZN7rocprim17ROCPRIM_400000_NS6detail40segmented_radix_sort_single_block_helperIllLj256ELj16ELb0EE4sortIPKlPlS6_S7_EEbT_T0_T1_T2_jjjjRNS3_12storage_typeE@rel32@hi+12
	s_mov_b64 s[48:49], s[4:5]
	s_swappc_b64 s[30:31], s[10:11]
	v_mov_b32_e32 v0, v40
	s_mov_b64 s[4:5], s[48:49]
	s_mov_b64 s[6:7], 0
.LBB839_12:
	s_andn2_b64 vcc, exec, s[6:7]
	s_cbranch_vccnz .LBB839_14
; %bb.13:
	s_add_u32 s8, s4, 0x50
	s_mov_b64 s[6:7], src_shared_base
	s_addc_u32 s9, s5, 0
	v_readlane_b32 s12, v235, 1
	v_readlane_b32 s13, v235, 0
	v_mov_b32_e32 v31, v0
	v_mov_b32_e32 v40, v0
	;; [unrolled: 1-line block ×16, first 2 shown]
	s_getpc_b64 s[10:11]
	s_add_u32 s10, s10, _ZN7rocprim17ROCPRIM_400000_NS6detail40segmented_radix_sort_single_block_helperIllLj256ELj16ELb0EE4sortIPKlPlS6_S7_EEbT_T0_T1_T2_jjjjRNS3_12storage_typeE@rel32@lo+4
	s_addc_u32 s11, s11, _ZN7rocprim17ROCPRIM_400000_NS6detail40segmented_radix_sort_single_block_helperIllLj256ELj16ELb0EE4sortIPKlPlS6_S7_EEbT_T0_T1_T2_jjjjRNS3_12storage_typeE@rel32@hi+12
	s_mov_b64 s[48:49], s[4:5]
	s_swappc_b64 s[30:31], s[10:11]
	v_mov_b32_e32 v0, v40
	s_mov_b64 s[4:5], s[48:49]
.LBB839_14:
	s_mov_b64 s[6:7], 0
.LBB839_15:
	s_andn2_b64 vcc, exec, s[6:7]
	s_cbranch_vccnz .LBB839_1198
; %bb.16:
	s_cmp_ge_u32 s53, s54
	s_cbranch_scc1 .LBB839_1198
; %bb.17:
	v_and_b32_e32 v2, 0x3ff, v0
	v_lshlrev_b32_e32 v5, 3, v2
	v_lshlrev_b32_e32 v33, 4, v2
	v_mov_b32_e32 v10, s77
	v_add_co_u32_e32 v9, vcc, s76, v5
	v_and_b32_e32 v34, 0xc00, v33
	v_bfe_u32 v23, v0, 20, 10
	v_bfe_u32 v25, v0, 10, 10
	v_mul_u32_u24_e32 v0, 5, v2
	v_mov_b32_e32 v29, 0x410
	v_addc_co_u32_e32 v11, vcc, 0, v10, vcc
	v_lshl_add_u32 v31, v0, 2, v29
	v_lshlrev_b32_e32 v0, 3, v34
	v_mov_b32_e32 v35, s83
	v_add_co_u32_e32 v100, vcc, s82, v0
	v_addc_co_u32_e32 v101, vcc, 0, v35, vcc
	v_mov_b32_e32 v35, s77
	v_add_co_u32_e32 v102, vcc, s76, v0
	v_addc_co_u32_e32 v103, vcc, 0, v35, vcc
	;; [unrolled: 3-line block ×6, first 2 shown]
	v_add_u32_e32 v104, 0x400, v5
	v_mov_b32_e32 v5, s79
	v_add_co_u32_e32 v113, vcc, s78, v0
	v_addc_co_u32_e32 v114, vcc, 0, v5, vcc
	v_add_co_u32_e32 v115, vcc, s72, v0
	v_mbcnt_lo_u32_b32 v0, -1, 0
	v_lshlrev_b32_e32 v3, 2, v2
	s_movk_i32 s6, 0x100
	v_or_b32_e32 v15, 63, v2
	v_mbcnt_hi_u32_b32 v134, -1, v0
	v_writelane_b32 v235, s50, 2
	s_mov_b64 s[12:13], s[4:5]
	v_cmp_gt_u32_e64 s[4:5], s6, v2
	v_mad_u32_u24 v13, v2, 12, v3
	v_cmp_eq_u32_e64 s[6:7], v15, v2
	v_lshrrev_b32_e32 v15, 4, v2
	s_mov_b32 s84, s53
	v_and_b32_e32 v0, 63, v134
	s_mov_b32 s33, s53
	v_writelane_b32 v235, s52, 3
	v_or_b32_e32 v6, 0x200, v2
	v_or_b32_e32 v8, 0x300, v2
	v_and_b32_e32 v1, 3, v2
	v_or_b32_e32 v10, 0x400, v2
	v_or_b32_e32 v12, 0x500, v2
	v_or_b32_e32 v14, 0x600, v2
	v_or_b32_e32 v16, 0x700, v2
	v_or_b32_e32 v18, 0x800, v2
	v_or_b32_e32 v20, 0x900, v2
	v_or_b32_e32 v22, 0xa00, v2
	v_or_b32_e32 v24, 0xb00, v2
	v_or_b32_e32 v26, 0xc00, v2
	v_or_b32_e32 v28, 0xd00, v2
	v_or_b32_e32 v30, 0xe00, v2
	v_or_b32_e32 v32, 0xf00, v2
	v_and_b32_e32 v15, 12, v15
	s_add_u32 s90, s12, 0x50
	v_add_u32_e32 v27, v13, v3
	s_movk_i32 s14, 0xff
	v_mov_b32_e32 v5, s73
	s_mov_b32 s78, -1
	v_or_b32_e32 v142, v0, v34
	v_writelane_b32 v235, s53, 4
	s_mov_b32 s89, 0
	v_mov_b32_e32 v4, 0
	v_or_b32_e32 v7, 0x100, v2
	v_or_b32_e32 v17, 0x8400, v15
	v_cmp_gt_u32_e64 s[8:9], 4, v2
	v_add_u32_e32 v19, 0x8400, v3
	v_cmp_lt_u32_e64 s[10:11], 63, v2
	v_add_u32_e32 v21, 0x83fc, v15
	s_addc_u32 s91, s13, 0
	v_sub_u32_e32 v33, v27, v33
	v_cmp_eq_u32_e64 s[12:13], 0, v2
	v_cmp_ne_u32_e64 s[14:15], s14, v2
	v_addc_co_u32_e32 v116, vcc, 0, v5, vcc
	s_brev_b32 s79, -2
	s_movk_i32 s95, 0x2000
	s_movk_i32 s96, 0x3000
	;; [unrolled: 1-line block ×5, first 2 shown]
	v_mov_b32_e32 v117, 1
	v_lshlrev_b32_e32 v118, 3, v2
	v_lshlrev_b32_e32 v119, 3, v6
	;; [unrolled: 1-line block ×16, first 2 shown]
	v_and_b32_e32 v135, 15, v134
	v_bfe_i32 v136, v134, 4, 1
	v_and_b32_e32 v137, 16, v134
	v_and_b32_e32 v138, 3, v134
	v_add_u32_e32 v139, -1, v134
	v_and_b32_e32 v140, 64, v134
	v_lshlrev_b32_e32 v141, 3, v0
	v_or_b32_e32 v143, 64, v142
	v_or_b32_e32 v144, 0x80, v142
	v_or_b32_e32 v145, 0xc0, v142
	v_or_b32_e32 v146, 0x100, v142
	v_or_b32_e32 v147, 0x140, v142
	v_or_b32_e32 v148, 0x180, v142
	v_or_b32_e32 v149, 0x1c0, v142
	v_or_b32_e32 v150, 0x200, v142
	v_or_b32_e32 v151, 0x240, v142
	v_or_b32_e32 v152, 0x280, v142
	v_or_b32_e32 v153, 0x2c0, v142
	v_or_b32_e32 v154, 0x300, v142
	v_or_b32_e32 v155, 0x340, v142
	v_or_b32_e32 v156, 0x380, v142
	v_or_b32_e32 v157, 0x3c0, v142
	v_writelane_b32 v235, s54, 5
	v_writelane_b32 v235, s55, 6
	s_branch .LBB839_20
.LBB839_18:                             ;   in Loop: Header=BB839_20 Depth=1
	v_readlane_b32 s50, v235, 2
	s_waitcnt lgkmcnt(0)
	s_barrier
.LBB839_19:                             ;   in Loop: Header=BB839_20 Depth=1
	v_readlane_b32 s52, v235, 3
	s_add_i32 s33, s33, 8
	v_readlane_b32 s54, v235, 5
	v_readlane_b32 s53, v235, 4
	s_cmp_ge_u32 s33, s54
	v_readlane_b32 s55, v235, 6
	s_cbranch_scc1 .LBB839_1198
.LBB839_20:                             ; =>This Loop Header: Depth=1
                                        ;     Child Loop BB839_24 Depth 2
                                        ;     Child Loop BB839_106 Depth 2
	;; [unrolled: 1-line block ×8, first 2 shown]
	s_sub_i32 s16, s54, s33
	s_xor_b64 s[70:71], s[70:71], -1
	s_min_u32 s68, s16, 8
	s_cmp_lg_u32 s33, s53
	s_mov_b64 s[16:17], -1
	ds_write2st64_b32 v3, v4, v4 offset1:4
	ds_write2st64_b32 v3, v4, v4 offset0:8 offset1:12
	s_waitcnt lgkmcnt(0)
	s_cbranch_scc0 .LBB839_610
; %bb.21:                               ;   in Loop: Header=BB839_20 Depth=1
	s_lshl_b32 s16, -1, s68
	s_not_b32 s69, s16
	s_mov_b64 s[16:17], -1
	s_and_b64 vcc, exec, s[70:71]
	s_cbranch_vccz .LBB839_315
; %bb.22:                               ;   in Loop: Header=BB839_20 Depth=1
	s_mov_b32 s22, s85
	s_mov_b32 s88, s50
	s_barrier
	s_waitcnt lgkmcnt(0)
                                        ; implicit-def: $vgpr62_vgpr63
                                        ; implicit-def: $vgpr0_vgpr1
                                        ; implicit-def: $vgpr34_vgpr35
                                        ; implicit-def: $vgpr36_vgpr37
                                        ; implicit-def: $vgpr38_vgpr39
                                        ; implicit-def: $vgpr40_vgpr41
                                        ; implicit-def: $vgpr42_vgpr43
                                        ; implicit-def: $vgpr44_vgpr45
                                        ; implicit-def: $vgpr46_vgpr47
                                        ; implicit-def: $vgpr48_vgpr49
                                        ; implicit-def: $vgpr50_vgpr51
                                        ; implicit-def: $vgpr52_vgpr53
                                        ; implicit-def: $vgpr54_vgpr55
                                        ; implicit-def: $vgpr56_vgpr57
                                        ; implicit-def: $vgpr58_vgpr59
                                        ; implicit-def: $vgpr60_vgpr61
	s_branch .LBB839_24
.LBB839_23:                             ;   in Loop: Header=BB839_24 Depth=2
	s_or_b64 exec, exec, s[16:17]
	s_addk_i32 s22, 0xf000
	s_cmp_ge_u32 s23, s94
	s_mov_b32 s88, s23
	s_cbranch_scc1 .LBB839_94
.LBB839_24:                             ;   Parent Loop BB839_20 Depth=1
                                        ; =>  This Inner Loop Header: Depth=2
	s_add_i32 s23, s88, 0x1000
	s_cmp_gt_u32 s23, s94
	s_cbranch_scc1 .LBB839_27
; %bb.25:                               ;   in Loop: Header=BB839_24 Depth=2
	s_lshl_b64 s[16:17], s[88:89], 3
	v_mov_b32_e32 v5, s17
	v_add_co_u32_e32 v64, vcc, s16, v9
	v_addc_co_u32_e32 v65, vcc, v11, v5, vcc
	s_waitcnt vmcnt(11)
	v_add_co_u32_e32 v72, vcc, 0x1000, v64
	v_addc_co_u32_e32 v73, vcc, 0, v65, vcc
	s_waitcnt vmcnt(5)
	;; [unrolled: 3-line block ×3, first 2 shown]
	v_add_co_u32_e32 v82, vcc, s96, v64
	v_addc_co_u32_e32 v83, vcc, 0, v65, vcc
	v_add_co_u32_e32 v86, vcc, s97, v64
	v_addc_co_u32_e32 v87, vcc, 0, v65, vcc
	;; [unrolled: 2-line block ×4, first 2 shown]
	global_load_dwordx2 v[66:67], v[64:65], off
	global_load_dwordx2 v[68:69], v[64:65], off offset:2048
	global_load_dwordx2 v[70:71], v[72:73], off
	s_nop 0
	global_load_dwordx2 v[72:73], v[72:73], off offset:2048
	s_nop 0
	global_load_dwordx2 v[74:75], v[82:83], off
	global_load_dwordx2 v[76:77], v[82:83], off offset:2048
	global_load_dwordx2 v[80:81], v[88:89], off offset:-4096
	global_load_dwordx2 v[84:85], v[88:89], off
	s_nop 0
	global_load_dwordx2 v[88:89], v[88:89], off offset:2048
	s_nop 0
	global_load_dwordx2 v[78:79], v[78:79], off offset:2048
	;; [unrolled: 2-line block ×3, first 2 shown]
	s_nop 0
	global_load_dwordx2 v[90:91], v[92:93], off
	s_nop 0
	global_load_dwordx2 v[92:93], v[92:93], off offset:2048
	s_waitcnt vmcnt(13)
	v_add_co_u32_e32 v94, vcc, 0x7000, v64
	v_addc_co_u32_e32 v95, vcc, 0, v65, vcc
	global_load_dwordx2 v[82:83], v[82:83], off offset:-4096
	s_nop 0
	global_load_dwordx2 v[94:95], v[94:95], off
	v_add_co_u32_e32 v64, vcc, 0x7800, v64
	s_movk_i32 s24, 0x1000
	v_addc_co_u32_e32 v65, vcc, 0, v65, vcc
	s_mov_b64 s[16:17], -1
	s_cbranch_execz .LBB839_28
; %bb.26:                               ;   in Loop: Header=BB839_24 Depth=2
                                        ; implicit-def: $vgpr60_vgpr61
                                        ; implicit-def: $vgpr58_vgpr59
                                        ; implicit-def: $vgpr56_vgpr57
                                        ; implicit-def: $vgpr54_vgpr55
                                        ; implicit-def: $vgpr52_vgpr53
                                        ; implicit-def: $vgpr50_vgpr51
                                        ; implicit-def: $vgpr48_vgpr49
                                        ; implicit-def: $vgpr46_vgpr47
                                        ; implicit-def: $vgpr44_vgpr45
                                        ; implicit-def: $vgpr42_vgpr43
                                        ; implicit-def: $vgpr40_vgpr41
                                        ; implicit-def: $vgpr38_vgpr39
                                        ; implicit-def: $vgpr36_vgpr37
                                        ; implicit-def: $vgpr34_vgpr35
                                        ; implicit-def: $vgpr0_vgpr1
                                        ; implicit-def: $vgpr62_vgpr63
	v_mov_b32_e32 v5, s22
	s_and_saveexec_b64 s[18:19], s[16:17]
	s_cbranch_execnz .LBB839_47
	s_branch .LBB839_48
.LBB839_27:                             ;   in Loop: Header=BB839_24 Depth=2
	s_mov_b64 s[16:17], 0
                                        ; implicit-def: $sgpr24
                                        ; implicit-def: $vgpr66_vgpr67
                                        ; implicit-def: $vgpr68_vgpr69
                                        ; implicit-def: $vgpr70_vgpr71
                                        ; implicit-def: $vgpr72_vgpr73
                                        ; implicit-def: $vgpr82_vgpr83
                                        ; implicit-def: $vgpr78_vgpr79
                                        ; implicit-def: $vgpr74_vgpr75
                                        ; implicit-def: $vgpr76_vgpr77
                                        ; implicit-def: $vgpr80_vgpr81
                                        ; implicit-def: $vgpr86_vgpr87
                                        ; implicit-def: $vgpr84_vgpr85
                                        ; implicit-def: $vgpr88_vgpr89
                                        ; implicit-def: $vgpr90_vgpr91
                                        ; implicit-def: $vgpr92_vgpr93
                                        ; implicit-def: $vgpr94_vgpr95
                                        ; implicit-def: $vgpr64_vgpr65
.LBB839_28:                             ;   in Loop: Header=BB839_24 Depth=2
	s_lshl_b64 s[18:19], s[88:89], 3
	s_add_u32 s18, s76, s18
	s_addc_u32 s19, s77, s19
	v_cmp_gt_u32_e32 vcc, s22, v2
	s_and_saveexec_b64 s[20:21], vcc
	s_cbranch_execz .LBB839_80
; %bb.29:                               ;   in Loop: Header=BB839_24 Depth=2
	global_load_dwordx2 v[60:61], v118, s[18:19]
	s_or_b64 exec, exec, s[20:21]
	v_cmp_gt_u32_e32 vcc, s22, v7
	s_and_saveexec_b64 s[20:21], vcc
	s_cbranch_execnz .LBB839_81
.LBB839_30:                             ;   in Loop: Header=BB839_24 Depth=2
	s_or_b64 exec, exec, s[20:21]
	v_cmp_gt_u32_e32 vcc, s22, v6
	s_and_saveexec_b64 s[20:21], vcc
	s_cbranch_execz .LBB839_82
.LBB839_31:                             ;   in Loop: Header=BB839_24 Depth=2
	global_load_dwordx2 v[56:57], v119, s[18:19]
	s_or_b64 exec, exec, s[20:21]
	v_cmp_gt_u32_e32 vcc, s22, v8
	s_and_saveexec_b64 s[20:21], vcc
	s_cbranch_execnz .LBB839_83
.LBB839_32:                             ;   in Loop: Header=BB839_24 Depth=2
	s_or_b64 exec, exec, s[20:21]
	v_cmp_gt_u32_e32 vcc, s22, v10
	s_and_saveexec_b64 s[20:21], vcc
	s_cbranch_execz .LBB839_84
.LBB839_33:                             ;   in Loop: Header=BB839_24 Depth=2
	global_load_dwordx2 v[52:53], v121, s[18:19]
	s_or_b64 exec, exec, s[20:21]
	v_cmp_gt_u32_e32 vcc, s22, v12
	s_and_saveexec_b64 s[20:21], vcc
	s_cbranch_execnz .LBB839_85
.LBB839_34:                             ;   in Loop: Header=BB839_24 Depth=2
	s_or_b64 exec, exec, s[20:21]
	v_cmp_gt_u32_e32 vcc, s22, v14
	s_and_saveexec_b64 s[20:21], vcc
	s_cbranch_execz .LBB839_86
.LBB839_35:                             ;   in Loop: Header=BB839_24 Depth=2
	global_load_dwordx2 v[48:49], v123, s[18:19]
	s_or_b64 exec, exec, s[20:21]
	v_cmp_gt_u32_e32 vcc, s22, v16
	s_and_saveexec_b64 s[20:21], vcc
	s_cbranch_execnz .LBB839_87
.LBB839_36:                             ;   in Loop: Header=BB839_24 Depth=2
	s_or_b64 exec, exec, s[20:21]
	v_cmp_gt_u32_e32 vcc, s22, v18
	s_and_saveexec_b64 s[20:21], vcc
	s_cbranch_execz .LBB839_88
.LBB839_37:                             ;   in Loop: Header=BB839_24 Depth=2
	global_load_dwordx2 v[44:45], v125, s[18:19]
	s_or_b64 exec, exec, s[20:21]
	v_cmp_gt_u32_e32 vcc, s22, v20
	s_and_saveexec_b64 s[20:21], vcc
	s_cbranch_execnz .LBB839_89
.LBB839_38:                             ;   in Loop: Header=BB839_24 Depth=2
	s_or_b64 exec, exec, s[20:21]
	v_cmp_gt_u32_e32 vcc, s22, v22
	s_and_saveexec_b64 s[20:21], vcc
	s_cbranch_execz .LBB839_90
.LBB839_39:                             ;   in Loop: Header=BB839_24 Depth=2
	global_load_dwordx2 v[40:41], v127, s[18:19]
	s_or_b64 exec, exec, s[20:21]
	v_cmp_gt_u32_e32 vcc, s22, v24
	s_and_saveexec_b64 s[20:21], vcc
	s_cbranch_execnz .LBB839_91
.LBB839_40:                             ;   in Loop: Header=BB839_24 Depth=2
	s_or_b64 exec, exec, s[20:21]
	v_cmp_gt_u32_e32 vcc, s22, v26
	s_and_saveexec_b64 s[20:21], vcc
	s_cbranch_execz .LBB839_92
.LBB839_41:                             ;   in Loop: Header=BB839_24 Depth=2
	global_load_dwordx2 v[36:37], v129, s[18:19]
	s_or_b64 exec, exec, s[20:21]
	v_cmp_gt_u32_e32 vcc, s22, v28
	s_and_saveexec_b64 s[20:21], vcc
	s_cbranch_execnz .LBB839_93
.LBB839_42:                             ;   in Loop: Header=BB839_24 Depth=2
	s_or_b64 exec, exec, s[20:21]
	v_cmp_gt_u32_e32 vcc, s22, v30
	s_and_saveexec_b64 s[20:21], vcc
	s_cbranch_execz .LBB839_44
.LBB839_43:                             ;   in Loop: Header=BB839_24 Depth=2
	global_load_dwordx2 v[0:1], v131, s[18:19]
.LBB839_44:                             ;   in Loop: Header=BB839_24 Depth=2
	s_or_b64 exec, exec, s[20:21]
	v_cmp_gt_u32_e32 vcc, s22, v32
                                        ; implicit-def: $sgpr24
                                        ; implicit-def: $vgpr64_vgpr65
	s_and_saveexec_b64 s[20:21], vcc
; %bb.45:                               ;   in Loop: Header=BB839_24 Depth=2
	v_mov_b32_e32 v5, s19
	v_add_co_u32_e32 v64, vcc, s18, v132
	s_sub_i32 s24, s94, s88
	v_addc_co_u32_e32 v65, vcc, 0, v5, vcc
	s_or_b64 s[16:17], s[16:17], exec
                                        ; implicit-def: $vgpr62_vgpr63
; %bb.46:                               ;   in Loop: Header=BB839_24 Depth=2
	s_or_b64 exec, exec, s[20:21]
	s_waitcnt vmcnt(0)
	v_pk_mov_b32 v[66:67], v[60:61], v[60:61] op_sel:[0,1]
	v_pk_mov_b32 v[68:69], v[58:59], v[58:59] op_sel:[0,1]
	;; [unrolled: 1-line block ×15, first 2 shown]
	v_mov_b32_e32 v5, s22
	s_and_saveexec_b64 s[18:19], s[16:17]
	s_cbranch_execz .LBB839_48
.LBB839_47:                             ;   in Loop: Header=BB839_24 Depth=2
	global_load_dwordx2 v[62:63], v[64:65], off
	v_mov_b32_e32 v5, s24
	s_waitcnt vmcnt(1)
	v_pk_mov_b32 v[0:1], v[94:95], v[94:95] op_sel:[0,1]
	v_pk_mov_b32 v[34:35], v[92:93], v[92:93] op_sel:[0,1]
	;; [unrolled: 1-line block ×15, first 2 shown]
.LBB839_48:                             ;   in Loop: Header=BB839_24 Depth=2
	s_or_b64 exec, exec, s[18:19]
	v_cmp_lt_u32_e32 vcc, v2, v5
	s_and_saveexec_b64 s[16:17], vcc
	s_cbranch_execz .LBB839_64
; %bb.49:                               ;   in Loop: Header=BB839_24 Depth=2
	v_xor_b32_e32 v65, 0x80000000, v61
	v_mov_b32_e32 v64, v60
	v_lshrrev_b64 v[64:65], s33, v[64:65]
	v_and_b32_e32 v64, s69, v64
	v_lshl_or_b32 v64, v64, 4, v133
	ds_add_u32 v64, v117
	s_or_b64 exec, exec, s[16:17]
	v_cmp_lt_u32_e32 vcc, v7, v5
	s_and_saveexec_b64 s[16:17], vcc
	s_cbranch_execnz .LBB839_65
.LBB839_50:                             ;   in Loop: Header=BB839_24 Depth=2
	s_or_b64 exec, exec, s[16:17]
	v_cmp_lt_u32_e32 vcc, v6, v5
	s_and_saveexec_b64 s[16:17], vcc
	s_cbranch_execz .LBB839_66
.LBB839_51:                             ;   in Loop: Header=BB839_24 Depth=2
	v_xor_b32_e32 v65, 0x80000000, v57
	v_mov_b32_e32 v64, v56
	v_lshrrev_b64 v[64:65], s33, v[64:65]
	v_and_b32_e32 v64, s69, v64
	v_lshl_or_b32 v64, v64, 4, v133
	ds_add_u32 v64, v117
	s_or_b64 exec, exec, s[16:17]
	v_cmp_lt_u32_e32 vcc, v8, v5
	s_and_saveexec_b64 s[16:17], vcc
	s_cbranch_execnz .LBB839_67
.LBB839_52:                             ;   in Loop: Header=BB839_24 Depth=2
	s_or_b64 exec, exec, s[16:17]
	v_cmp_lt_u32_e32 vcc, v10, v5
	s_and_saveexec_b64 s[16:17], vcc
	s_cbranch_execz .LBB839_68
.LBB839_53:                             ;   in Loop: Header=BB839_24 Depth=2
	v_xor_b32_e32 v65, 0x80000000, v53
	v_mov_b32_e32 v64, v52
	v_lshrrev_b64 v[64:65], s33, v[64:65]
	v_and_b32_e32 v64, s69, v64
	v_lshl_or_b32 v64, v64, 4, v133
	ds_add_u32 v64, v117
	s_or_b64 exec, exec, s[16:17]
	v_cmp_lt_u32_e32 vcc, v12, v5
	s_and_saveexec_b64 s[16:17], vcc
	s_cbranch_execnz .LBB839_69
.LBB839_54:                             ;   in Loop: Header=BB839_24 Depth=2
	s_or_b64 exec, exec, s[16:17]
	v_cmp_lt_u32_e32 vcc, v14, v5
	s_and_saveexec_b64 s[16:17], vcc
	s_cbranch_execz .LBB839_70
.LBB839_55:                             ;   in Loop: Header=BB839_24 Depth=2
	v_xor_b32_e32 v65, 0x80000000, v49
	v_mov_b32_e32 v64, v48
	v_lshrrev_b64 v[64:65], s33, v[64:65]
	v_and_b32_e32 v64, s69, v64
	v_lshl_or_b32 v64, v64, 4, v133
	ds_add_u32 v64, v117
	s_or_b64 exec, exec, s[16:17]
	v_cmp_lt_u32_e32 vcc, v16, v5
	s_and_saveexec_b64 s[16:17], vcc
	s_cbranch_execnz .LBB839_71
.LBB839_56:                             ;   in Loop: Header=BB839_24 Depth=2
	s_or_b64 exec, exec, s[16:17]
	v_cmp_lt_u32_e32 vcc, v18, v5
	s_and_saveexec_b64 s[16:17], vcc
	s_cbranch_execz .LBB839_72
.LBB839_57:                             ;   in Loop: Header=BB839_24 Depth=2
	v_xor_b32_e32 v65, 0x80000000, v45
	v_mov_b32_e32 v64, v44
	v_lshrrev_b64 v[64:65], s33, v[64:65]
	v_and_b32_e32 v64, s69, v64
	v_lshl_or_b32 v64, v64, 4, v133
	ds_add_u32 v64, v117
	s_or_b64 exec, exec, s[16:17]
	v_cmp_lt_u32_e32 vcc, v20, v5
	s_and_saveexec_b64 s[16:17], vcc
	s_cbranch_execnz .LBB839_73
.LBB839_58:                             ;   in Loop: Header=BB839_24 Depth=2
	s_or_b64 exec, exec, s[16:17]
	v_cmp_lt_u32_e32 vcc, v22, v5
	s_and_saveexec_b64 s[16:17], vcc
	s_cbranch_execz .LBB839_74
.LBB839_59:                             ;   in Loop: Header=BB839_24 Depth=2
	v_xor_b32_e32 v65, 0x80000000, v41
	v_mov_b32_e32 v64, v40
	v_lshrrev_b64 v[64:65], s33, v[64:65]
	v_and_b32_e32 v64, s69, v64
	v_lshl_or_b32 v64, v64, 4, v133
	ds_add_u32 v64, v117
	s_or_b64 exec, exec, s[16:17]
	v_cmp_lt_u32_e32 vcc, v24, v5
	s_and_saveexec_b64 s[16:17], vcc
	s_cbranch_execnz .LBB839_75
.LBB839_60:                             ;   in Loop: Header=BB839_24 Depth=2
	s_or_b64 exec, exec, s[16:17]
	v_cmp_lt_u32_e32 vcc, v26, v5
	s_and_saveexec_b64 s[16:17], vcc
	s_cbranch_execz .LBB839_76
.LBB839_61:                             ;   in Loop: Header=BB839_24 Depth=2
	v_xor_b32_e32 v65, 0x80000000, v37
	v_mov_b32_e32 v64, v36
	v_lshrrev_b64 v[64:65], s33, v[64:65]
	v_and_b32_e32 v64, s69, v64
	v_lshl_or_b32 v64, v64, 4, v133
	ds_add_u32 v64, v117
	s_or_b64 exec, exec, s[16:17]
	v_cmp_lt_u32_e32 vcc, v28, v5
	s_and_saveexec_b64 s[16:17], vcc
	s_cbranch_execnz .LBB839_77
.LBB839_62:                             ;   in Loop: Header=BB839_24 Depth=2
	s_or_b64 exec, exec, s[16:17]
	v_cmp_lt_u32_e32 vcc, v30, v5
	s_and_saveexec_b64 s[16:17], vcc
	s_cbranch_execz .LBB839_78
.LBB839_63:                             ;   in Loop: Header=BB839_24 Depth=2
	v_xor_b32_e32 v65, 0x80000000, v1
	v_mov_b32_e32 v64, v0
	v_lshrrev_b64 v[64:65], s33, v[64:65]
	v_and_b32_e32 v64, s69, v64
	v_lshl_or_b32 v64, v64, 4, v133
	ds_add_u32 v64, v117
	s_or_b64 exec, exec, s[16:17]
	v_cmp_lt_u32_e32 vcc, v32, v5
	s_and_saveexec_b64 s[16:17], vcc
	s_cbranch_execz .LBB839_23
	s_branch .LBB839_79
.LBB839_64:                             ;   in Loop: Header=BB839_24 Depth=2
	s_or_b64 exec, exec, s[16:17]
	v_cmp_lt_u32_e32 vcc, v7, v5
	s_and_saveexec_b64 s[16:17], vcc
	s_cbranch_execz .LBB839_50
.LBB839_65:                             ;   in Loop: Header=BB839_24 Depth=2
	v_xor_b32_e32 v65, 0x80000000, v59
	v_mov_b32_e32 v64, v58
	v_lshrrev_b64 v[64:65], s33, v[64:65]
	v_and_b32_e32 v64, s69, v64
	v_lshl_or_b32 v64, v64, 4, v133
	ds_add_u32 v64, v117
	s_or_b64 exec, exec, s[16:17]
	v_cmp_lt_u32_e32 vcc, v6, v5
	s_and_saveexec_b64 s[16:17], vcc
	s_cbranch_execnz .LBB839_51
.LBB839_66:                             ;   in Loop: Header=BB839_24 Depth=2
	s_or_b64 exec, exec, s[16:17]
	v_cmp_lt_u32_e32 vcc, v8, v5
	s_and_saveexec_b64 s[16:17], vcc
	s_cbranch_execz .LBB839_52
.LBB839_67:                             ;   in Loop: Header=BB839_24 Depth=2
	v_xor_b32_e32 v65, 0x80000000, v55
	v_mov_b32_e32 v64, v54
	v_lshrrev_b64 v[64:65], s33, v[64:65]
	v_and_b32_e32 v64, s69, v64
	v_lshl_or_b32 v64, v64, 4, v133
	ds_add_u32 v64, v117
	s_or_b64 exec, exec, s[16:17]
	v_cmp_lt_u32_e32 vcc, v10, v5
	s_and_saveexec_b64 s[16:17], vcc
	s_cbranch_execnz .LBB839_53
.LBB839_68:                             ;   in Loop: Header=BB839_24 Depth=2
	s_or_b64 exec, exec, s[16:17]
	v_cmp_lt_u32_e32 vcc, v12, v5
	s_and_saveexec_b64 s[16:17], vcc
	s_cbranch_execz .LBB839_54
.LBB839_69:                             ;   in Loop: Header=BB839_24 Depth=2
	v_xor_b32_e32 v65, 0x80000000, v51
	v_mov_b32_e32 v64, v50
	v_lshrrev_b64 v[64:65], s33, v[64:65]
	v_and_b32_e32 v64, s69, v64
	v_lshl_or_b32 v64, v64, 4, v133
	ds_add_u32 v64, v117
	s_or_b64 exec, exec, s[16:17]
	v_cmp_lt_u32_e32 vcc, v14, v5
	s_and_saveexec_b64 s[16:17], vcc
	s_cbranch_execnz .LBB839_55
.LBB839_70:                             ;   in Loop: Header=BB839_24 Depth=2
	s_or_b64 exec, exec, s[16:17]
	v_cmp_lt_u32_e32 vcc, v16, v5
	s_and_saveexec_b64 s[16:17], vcc
	s_cbranch_execz .LBB839_56
.LBB839_71:                             ;   in Loop: Header=BB839_24 Depth=2
	v_xor_b32_e32 v65, 0x80000000, v47
	v_mov_b32_e32 v64, v46
	v_lshrrev_b64 v[64:65], s33, v[64:65]
	v_and_b32_e32 v64, s69, v64
	v_lshl_or_b32 v64, v64, 4, v133
	ds_add_u32 v64, v117
	s_or_b64 exec, exec, s[16:17]
	v_cmp_lt_u32_e32 vcc, v18, v5
	s_and_saveexec_b64 s[16:17], vcc
	s_cbranch_execnz .LBB839_57
.LBB839_72:                             ;   in Loop: Header=BB839_24 Depth=2
	s_or_b64 exec, exec, s[16:17]
	v_cmp_lt_u32_e32 vcc, v20, v5
	s_and_saveexec_b64 s[16:17], vcc
	s_cbranch_execz .LBB839_58
.LBB839_73:                             ;   in Loop: Header=BB839_24 Depth=2
	v_xor_b32_e32 v65, 0x80000000, v43
	v_mov_b32_e32 v64, v42
	v_lshrrev_b64 v[64:65], s33, v[64:65]
	v_and_b32_e32 v64, s69, v64
	v_lshl_or_b32 v64, v64, 4, v133
	ds_add_u32 v64, v117
	s_or_b64 exec, exec, s[16:17]
	v_cmp_lt_u32_e32 vcc, v22, v5
	s_and_saveexec_b64 s[16:17], vcc
	s_cbranch_execnz .LBB839_59
.LBB839_74:                             ;   in Loop: Header=BB839_24 Depth=2
	s_or_b64 exec, exec, s[16:17]
	v_cmp_lt_u32_e32 vcc, v24, v5
	s_and_saveexec_b64 s[16:17], vcc
	s_cbranch_execz .LBB839_60
.LBB839_75:                             ;   in Loop: Header=BB839_24 Depth=2
	v_xor_b32_e32 v65, 0x80000000, v39
	v_mov_b32_e32 v64, v38
	v_lshrrev_b64 v[64:65], s33, v[64:65]
	v_and_b32_e32 v64, s69, v64
	v_lshl_or_b32 v64, v64, 4, v133
	ds_add_u32 v64, v117
	s_or_b64 exec, exec, s[16:17]
	v_cmp_lt_u32_e32 vcc, v26, v5
	s_and_saveexec_b64 s[16:17], vcc
	s_cbranch_execnz .LBB839_61
.LBB839_76:                             ;   in Loop: Header=BB839_24 Depth=2
	s_or_b64 exec, exec, s[16:17]
	v_cmp_lt_u32_e32 vcc, v28, v5
	s_and_saveexec_b64 s[16:17], vcc
	s_cbranch_execz .LBB839_62
.LBB839_77:                             ;   in Loop: Header=BB839_24 Depth=2
	v_xor_b32_e32 v65, 0x80000000, v35
	v_mov_b32_e32 v64, v34
	v_lshrrev_b64 v[64:65], s33, v[64:65]
	v_and_b32_e32 v64, s69, v64
	v_lshl_or_b32 v64, v64, 4, v133
	ds_add_u32 v64, v117
	s_or_b64 exec, exec, s[16:17]
	v_cmp_lt_u32_e32 vcc, v30, v5
	s_and_saveexec_b64 s[16:17], vcc
	s_cbranch_execnz .LBB839_63
.LBB839_78:                             ;   in Loop: Header=BB839_24 Depth=2
	s_or_b64 exec, exec, s[16:17]
	v_cmp_lt_u32_e32 vcc, v32, v5
	s_and_saveexec_b64 s[16:17], vcc
	s_cbranch_execz .LBB839_23
.LBB839_79:                             ;   in Loop: Header=BB839_24 Depth=2
	s_waitcnt vmcnt(0)
	v_xor_b32_e32 v65, 0x80000000, v63
	v_mov_b32_e32 v64, v62
	v_lshrrev_b64 v[64:65], s33, v[64:65]
	v_and_b32_e32 v5, s69, v64
	v_lshl_or_b32 v5, v5, 4, v133
	ds_add_u32 v5, v117
	s_branch .LBB839_23
.LBB839_80:                             ;   in Loop: Header=BB839_24 Depth=2
	s_or_b64 exec, exec, s[20:21]
	v_cmp_gt_u32_e32 vcc, s22, v7
	s_and_saveexec_b64 s[20:21], vcc
	s_cbranch_execz .LBB839_30
.LBB839_81:                             ;   in Loop: Header=BB839_24 Depth=2
	global_load_dwordx2 v[58:59], v118, s[18:19] offset:2048
	s_or_b64 exec, exec, s[20:21]
	v_cmp_gt_u32_e32 vcc, s22, v6
	s_and_saveexec_b64 s[20:21], vcc
	s_cbranch_execnz .LBB839_31
.LBB839_82:                             ;   in Loop: Header=BB839_24 Depth=2
	s_or_b64 exec, exec, s[20:21]
	v_cmp_gt_u32_e32 vcc, s22, v8
	s_and_saveexec_b64 s[20:21], vcc
	s_cbranch_execz .LBB839_32
.LBB839_83:                             ;   in Loop: Header=BB839_24 Depth=2
	global_load_dwordx2 v[54:55], v120, s[18:19]
	s_or_b64 exec, exec, s[20:21]
	v_cmp_gt_u32_e32 vcc, s22, v10
	s_and_saveexec_b64 s[20:21], vcc
	s_cbranch_execnz .LBB839_33
.LBB839_84:                             ;   in Loop: Header=BB839_24 Depth=2
	s_or_b64 exec, exec, s[20:21]
	v_cmp_gt_u32_e32 vcc, s22, v12
	s_and_saveexec_b64 s[20:21], vcc
	s_cbranch_execz .LBB839_34
.LBB839_85:                             ;   in Loop: Header=BB839_24 Depth=2
	global_load_dwordx2 v[50:51], v122, s[18:19]
	s_or_b64 exec, exec, s[20:21]
	v_cmp_gt_u32_e32 vcc, s22, v14
	s_and_saveexec_b64 s[20:21], vcc
	s_cbranch_execnz .LBB839_35
.LBB839_86:                             ;   in Loop: Header=BB839_24 Depth=2
	s_or_b64 exec, exec, s[20:21]
	v_cmp_gt_u32_e32 vcc, s22, v16
	s_and_saveexec_b64 s[20:21], vcc
	s_cbranch_execz .LBB839_36
.LBB839_87:                             ;   in Loop: Header=BB839_24 Depth=2
	global_load_dwordx2 v[46:47], v124, s[18:19]
	s_or_b64 exec, exec, s[20:21]
	v_cmp_gt_u32_e32 vcc, s22, v18
	s_and_saveexec_b64 s[20:21], vcc
	s_cbranch_execnz .LBB839_37
.LBB839_88:                             ;   in Loop: Header=BB839_24 Depth=2
	s_or_b64 exec, exec, s[20:21]
	v_cmp_gt_u32_e32 vcc, s22, v20
	s_and_saveexec_b64 s[20:21], vcc
	s_cbranch_execz .LBB839_38
.LBB839_89:                             ;   in Loop: Header=BB839_24 Depth=2
	global_load_dwordx2 v[42:43], v126, s[18:19]
	s_or_b64 exec, exec, s[20:21]
	v_cmp_gt_u32_e32 vcc, s22, v22
	s_and_saveexec_b64 s[20:21], vcc
	s_cbranch_execnz .LBB839_39
.LBB839_90:                             ;   in Loop: Header=BB839_24 Depth=2
	s_or_b64 exec, exec, s[20:21]
	v_cmp_gt_u32_e32 vcc, s22, v24
	s_and_saveexec_b64 s[20:21], vcc
	s_cbranch_execz .LBB839_40
.LBB839_91:                             ;   in Loop: Header=BB839_24 Depth=2
	global_load_dwordx2 v[38:39], v128, s[18:19]
	s_or_b64 exec, exec, s[20:21]
	v_cmp_gt_u32_e32 vcc, s22, v26
	s_and_saveexec_b64 s[20:21], vcc
	s_cbranch_execnz .LBB839_41
.LBB839_92:                             ;   in Loop: Header=BB839_24 Depth=2
	s_or_b64 exec, exec, s[20:21]
	v_cmp_gt_u32_e32 vcc, s22, v28
	s_and_saveexec_b64 s[20:21], vcc
	s_cbranch_execz .LBB839_42
.LBB839_93:                             ;   in Loop: Header=BB839_24 Depth=2
	global_load_dwordx2 v[34:35], v130, s[18:19]
	s_or_b64 exec, exec, s[20:21]
	v_cmp_gt_u32_e32 vcc, s22, v30
	s_and_saveexec_b64 s[20:21], vcc
	s_cbranch_execz .LBB839_44
	s_branch .LBB839_43
.LBB839_94:                             ;   in Loop: Header=BB839_20 Depth=1
	v_mov_b32_e32 v0, 0
	s_waitcnt lgkmcnt(0)
	s_barrier
	s_and_saveexec_b64 s[16:17], s[4:5]
	s_cbranch_execz .LBB839_96
; %bb.95:                               ;   in Loop: Header=BB839_20 Depth=1
	ds_read2_b64 v[34:37], v13 offset1:1
	s_waitcnt lgkmcnt(0)
	v_add_u32_e32 v0, v35, v34
	v_add3_u32 v0, v0, v36, v37
.LBB839_96:                             ;   in Loop: Header=BB839_20 Depth=1
	s_or_b64 exec, exec, s[16:17]
	s_nop 0
	v_mov_b32_dpp v1, v0 row_shr:1 row_mask:0xf bank_mask:0xf
	v_cmp_eq_u32_e64 s[16:17], 0, v135
	v_cndmask_b32_e64 v1, v1, 0, s[16:17]
	v_add_u32_e32 v0, v1, v0
	v_cmp_lt_u32_e64 s[18:19], 1, v135
	v_cmp_lt_u32_e64 s[20:21], 3, v135
	v_mov_b32_dpp v1, v0 row_shr:2 row_mask:0xf bank_mask:0xf
	v_cndmask_b32_e64 v1, 0, v1, s[18:19]
	v_add_u32_e32 v0, v0, v1
	v_cmp_lt_u32_e64 s[22:23], 7, v135
	v_cmp_lt_u32_e64 s[26:27], 31, v134
	v_mov_b32_dpp v1, v0 row_shr:4 row_mask:0xf bank_mask:0xf
	v_cndmask_b32_e64 v1, 0, v1, s[20:21]
	v_add_u32_e32 v0, v0, v1
	v_cmp_eq_u32_e64 s[24:25], 0, v137
	s_nop 0
	v_mov_b32_dpp v1, v0 row_shr:8 row_mask:0xf bank_mask:0xf
	v_cndmask_b32_e64 v1, 0, v1, s[22:23]
	v_add_u32_e32 v0, v0, v1
	s_nop 1
	v_mov_b32_dpp v1, v0 row_bcast:15 row_mask:0xf bank_mask:0xf
	v_and_b32_e32 v1, v136, v1
	v_add_u32_e32 v0, v0, v1
	s_nop 1
	v_mov_b32_dpp v1, v0 row_bcast:31 row_mask:0xf bank_mask:0xf
	v_cndmask_b32_e64 v1, 0, v1, s[26:27]
	v_add_u32_e32 v0, v0, v1
	s_and_saveexec_b64 s[28:29], s[6:7]
	v_readlane_b32 s38, v235, 2
	s_cbranch_execz .LBB839_98
; %bb.97:                               ;   in Loop: Header=BB839_20 Depth=1
	ds_write_b32 v17, v0
.LBB839_98:                             ;   in Loop: Header=BB839_20 Depth=1
	s_or_b64 exec, exec, s[28:29]
	s_waitcnt lgkmcnt(0)
	s_barrier
	s_and_saveexec_b64 s[28:29], s[8:9]
	s_cbranch_execz .LBB839_100
; %bb.99:                               ;   in Loop: Header=BB839_20 Depth=1
	ds_read_b32 v1, v19
	v_cmp_ne_u32_e32 vcc, 0, v138
	s_waitcnt lgkmcnt(0)
	v_mov_b32_dpp v5, v1 row_shr:1 row_mask:0xf bank_mask:0xf
	v_cndmask_b32_e32 v5, 0, v5, vcc
	v_add_u32_e32 v1, v5, v1
	v_cmp_lt_u32_e32 vcc, 1, v138
	s_nop 0
	v_mov_b32_dpp v5, v1 row_shr:2 row_mask:0xf bank_mask:0xf
	v_cndmask_b32_e32 v5, 0, v5, vcc
	v_add_u32_e32 v1, v1, v5
	ds_write_b32 v19, v1
.LBB839_100:                            ;   in Loop: Header=BB839_20 Depth=1
	s_or_b64 exec, exec, s[28:29]
	v_mov_b32_e32 v1, 0
	s_waitcnt lgkmcnt(0)
	s_barrier
	s_and_saveexec_b64 s[28:29], s[10:11]
	s_cbranch_execz .LBB839_102
; %bb.101:                              ;   in Loop: Header=BB839_20 Depth=1
	ds_read_b32 v1, v21
.LBB839_102:                            ;   in Loop: Header=BB839_20 Depth=1
	s_or_b64 exec, exec, s[28:29]
	v_cmp_lt_i32_e32 vcc, v139, v140
	v_cndmask_b32_e32 v5, v139, v134, vcc
	s_waitcnt lgkmcnt(0)
	v_add_u32_e32 v0, v1, v0
	v_lshlrev_b32_e32 v158, 2, v5
	ds_bpermute_b32 v0, v158, v0
	v_cmp_eq_u32_e64 s[28:29], 0, v134
	s_waitcnt lgkmcnt(0)
	s_barrier
	s_and_saveexec_b64 s[30:31], s[4:5]
	s_cbranch_execz .LBB839_104
; %bb.103:                              ;   in Loop: Header=BB839_20 Depth=1
	v_cndmask_b32_e64 v0, v0, v1, s[28:29]
	v_add_u32_e32 v0, s38, v0
	ds_write_b32 v3, v0
.LBB839_104:                            ;   in Loop: Header=BB839_20 Depth=1
	s_or_b64 exec, exec, s[30:31]
	s_load_dword s30, s[90:91], 0x4
	s_load_dword s36, s[90:91], 0xc
	v_readlane_b32 s31, v235, 0
	v_add_co_u32_e32 v159, vcc, v100, v141
	s_waitcnt lgkmcnt(0)
	s_cmp_lt_u32 s31, s30
	s_cselect_b32 s30, 14, 20
	s_add_u32 s30, s90, s30
	s_addc_u32 s31, s91, 0
	global_load_ushort v5, v4, s[30:31]
	v_addc_co_u32_e32 v160, vcc, 0, v101, vcc
	v_add_co_u32_e32 v161, vcc, v102, v141
	v_addc_co_u32_e32 v162, vcc, 0, v103, vcc
	s_and_b32 s36, s36, 0xffff
	v_add_co_u32_e32 v176, vcc, 0x1e00, v161
	v_cmp_eq_u32_e64 s[30:31], 0, v138
	v_cmp_lt_u32_e64 s[34:35], 1, v138
	s_mov_b32 s87, s85
	v_addc_co_u32_e32 v179, vcc, 0, v162, vcc
	s_mov_b32 s88, s38
                                        ; implicit-def: $vgpr0_vgpr1
                                        ; implicit-def: $vgpr34_vgpr35
                                        ; implicit-def: $vgpr38_vgpr39
                                        ; implicit-def: $vgpr42_vgpr43
                                        ; implicit-def: $vgpr46_vgpr47
                                        ; implicit-def: $vgpr50_vgpr51
                                        ; implicit-def: $vgpr54_vgpr55
                                        ; implicit-def: $vgpr58_vgpr59
                                        ; implicit-def: $vgpr36_vgpr37
                                        ; implicit-def: $vgpr40_vgpr41
                                        ; implicit-def: $vgpr44_vgpr45
                                        ; implicit-def: $vgpr48_vgpr49
                                        ; implicit-def: $vgpr52_vgpr53
                                        ; implicit-def: $vgpr56_vgpr57
                                        ; implicit-def: $vgpr60_vgpr61
                                        ; implicit-def: $vgpr62_vgpr63
                                        ; implicit-def: $vgpr163
                                        ; implicit-def: $vgpr164
                                        ; implicit-def: $vgpr165
                                        ; implicit-def: $vgpr166
                                        ; implicit-def: $vgpr167
                                        ; implicit-def: $vgpr168
                                        ; implicit-def: $vgpr169
                                        ; implicit-def: $vgpr170
                                        ; implicit-def: $vgpr171
                                        ; implicit-def: $vgpr172
                                        ; implicit-def: $vgpr173
                                        ; implicit-def: $vgpr174
                                        ; implicit-def: $vgpr175
                                        ; implicit-def: $vgpr177
                                        ; implicit-def: $vgpr178
                                        ; implicit-def: $vgpr180
	s_waitcnt vmcnt(0)
	v_mad_u32_u24 v5, v23, v5, v25
	v_mad_u64_u32 v[64:65], s[36:37], v5, s36, v[2:3]
	v_lshrrev_b32_e32 v181, 6, v64
	s_branch .LBB839_106
.LBB839_105:                            ;   in Loop: Header=BB839_106 Depth=2
	s_or_b64 exec, exec, s[36:37]
	s_addk_i32 s87, 0xf000
	s_cmp_lt_u32 s86, s94
	s_mov_b32 s88, s86
	s_cbranch_scc0 .LBB839_314
.LBB839_106:                            ;   Parent Loop BB839_20 Depth=1
                                        ; =>  This Inner Loop Header: Depth=2
	s_add_i32 s86, s88, 0x1000
	s_cmp_gt_u32 s86, s94
	s_cbranch_scc1 .LBB839_108
; %bb.107:                              ;   in Loop: Header=BB839_106 Depth=2
	s_lshl_b64 s[36:37], s[88:89], 3
	v_mov_b32_e32 v5, s37
	v_add_co_u32_e32 v80, vcc, s36, v161
	v_addc_co_u32_e32 v81, vcc, v162, v5, vcc
	v_add_co_u32_e32 v92, vcc, 0x1000, v80
	global_load_dwordx2 v[64:65], v[80:81], off
	global_load_dwordx2 v[66:67], v[80:81], off offset:512
	global_load_dwordx2 v[68:69], v[80:81], off offset:1024
	;; [unrolled: 1-line block ×7, first 2 shown]
	v_addc_co_u32_e32 v93, vcc, 0, v81, vcc
	global_load_dwordx2 v[80:81], v[92:93], off
	global_load_dwordx2 v[82:83], v[92:93], off offset:512
	global_load_dwordx2 v[84:85], v[92:93], off offset:1024
	global_load_dwordx2 v[86:87], v[92:93], off offset:1536
	global_load_dwordx2 v[88:89], v[92:93], off offset:2048
	global_load_dwordx2 v[90:91], v[92:93], off offset:2560
	s_nop 0
	global_load_dwordx2 v[92:93], v[92:93], off offset:3072
	s_movk_i32 s40, 0x1000
	s_mov_b64 s[36:37], -1
	s_cbranch_execz .LBB839_109
	s_branch .LBB839_140
.LBB839_108:                            ;   in Loop: Header=BB839_106 Depth=2
	s_mov_b64 s[36:37], 0
                                        ; implicit-def: $sgpr40
                                        ; implicit-def: $vgpr64_vgpr65
                                        ; implicit-def: $vgpr66_vgpr67
                                        ; implicit-def: $vgpr68_vgpr69
                                        ; implicit-def: $vgpr70_vgpr71
                                        ; implicit-def: $vgpr72_vgpr73
                                        ; implicit-def: $vgpr74_vgpr75
                                        ; implicit-def: $vgpr76_vgpr77
                                        ; implicit-def: $vgpr78_vgpr79
                                        ; implicit-def: $vgpr80_vgpr81
                                        ; implicit-def: $vgpr82_vgpr83
                                        ; implicit-def: $vgpr84_vgpr85
                                        ; implicit-def: $vgpr86_vgpr87
                                        ; implicit-def: $vgpr88_vgpr89
                                        ; implicit-def: $vgpr90_vgpr91
                                        ; implicit-def: $vgpr92_vgpr93
.LBB839_109:                            ;   in Loop: Header=BB839_106 Depth=2
	s_lshl_b64 s[36:37], s[88:89], 3
	v_mov_b32_e32 v5, s37
	v_add_co_u32_e32 v94, vcc, s36, v161
	v_addc_co_u32_e32 v95, vcc, v162, v5, vcc
	v_cmp_gt_u32_e32 vcc, s87, v142
	s_waitcnt vmcnt(14)
	v_pk_mov_b32 v[64:65], s[78:79], s[78:79] op_sel:[0,1]
	s_and_saveexec_b64 s[36:37], vcc
	s_cbranch_execz .LBB839_111
; %bb.110:                              ;   in Loop: Header=BB839_106 Depth=2
	global_load_dwordx2 v[64:65], v[94:95], off
.LBB839_111:                            ;   in Loop: Header=BB839_106 Depth=2
	s_or_b64 exec, exec, s[36:37]
	v_cmp_gt_u32_e32 vcc, s87, v143
	s_waitcnt vmcnt(13)
	v_pk_mov_b32 v[66:67], s[78:79], s[78:79] op_sel:[0,1]
	s_and_saveexec_b64 s[36:37], vcc
	s_cbranch_execz .LBB839_113
; %bb.112:                              ;   in Loop: Header=BB839_106 Depth=2
	global_load_dwordx2 v[66:67], v[94:95], off offset:512
.LBB839_113:                            ;   in Loop: Header=BB839_106 Depth=2
	s_or_b64 exec, exec, s[36:37]
	v_cmp_gt_u32_e32 vcc, s87, v144
	s_waitcnt vmcnt(12)
	v_pk_mov_b32 v[68:69], s[78:79], s[78:79] op_sel:[0,1]
	s_and_saveexec_b64 s[36:37], vcc
	s_cbranch_execz .LBB839_115
; %bb.114:                              ;   in Loop: Header=BB839_106 Depth=2
	global_load_dwordx2 v[68:69], v[94:95], off offset:1024
.LBB839_115:                            ;   in Loop: Header=BB839_106 Depth=2
	;; [unrolled: 9-line block ×7, first 2 shown]
	s_or_b64 exec, exec, s[36:37]
	v_cmp_gt_u32_e32 vcc, s87, v150
	s_waitcnt vmcnt(6)
	v_pk_mov_b32 v[80:81], s[78:79], s[78:79] op_sel:[0,1]
	s_and_saveexec_b64 s[36:37], vcc
	s_cbranch_execz .LBB839_127
; %bb.126:                              ;   in Loop: Header=BB839_106 Depth=2
	v_add_co_u32_e32 v80, vcc, 0x1000, v94
	v_addc_co_u32_e32 v81, vcc, 0, v95, vcc
	global_load_dwordx2 v[80:81], v[80:81], off
.LBB839_127:                            ;   in Loop: Header=BB839_106 Depth=2
	s_or_b64 exec, exec, s[36:37]
	v_cmp_gt_u32_e32 vcc, s87, v151
	s_waitcnt vmcnt(5)
	v_pk_mov_b32 v[82:83], s[78:79], s[78:79] op_sel:[0,1]
	s_and_saveexec_b64 s[36:37], vcc
	s_cbranch_execz .LBB839_129
; %bb.128:                              ;   in Loop: Header=BB839_106 Depth=2
	v_add_co_u32_e32 v82, vcc, 0x1000, v94
	v_addc_co_u32_e32 v83, vcc, 0, v95, vcc
	global_load_dwordx2 v[82:83], v[82:83], off offset:512
.LBB839_129:                            ;   in Loop: Header=BB839_106 Depth=2
	s_or_b64 exec, exec, s[36:37]
	v_cmp_gt_u32_e32 vcc, s87, v152
	s_waitcnt vmcnt(4)
	v_pk_mov_b32 v[84:85], s[78:79], s[78:79] op_sel:[0,1]
	s_and_saveexec_b64 s[36:37], vcc
	s_cbranch_execz .LBB839_131
; %bb.130:                              ;   in Loop: Header=BB839_106 Depth=2
	v_add_co_u32_e32 v84, vcc, 0x1000, v94
	v_addc_co_u32_e32 v85, vcc, 0, v95, vcc
	global_load_dwordx2 v[84:85], v[84:85], off offset:1024
.LBB839_131:                            ;   in Loop: Header=BB839_106 Depth=2
	;; [unrolled: 11-line block ×6, first 2 shown]
	s_or_b64 exec, exec, s[36:37]
	s_sub_i32 s40, s94, s88
	v_cmp_gt_u32_e64 s[36:37], s87, v157
.LBB839_140:                            ;   in Loop: Header=BB839_106 Depth=2
	v_pk_mov_b32 v[94:95], s[78:79], s[78:79] op_sel:[0,1]
	v_mov_b32_e32 v182, s87
	s_and_saveexec_b64 s[38:39], s[36:37]
	s_cbranch_execz .LBB839_142
; %bb.141:                              ;   in Loop: Header=BB839_106 Depth=2
	s_lshl_b64 s[36:37], s[88:89], 3
	v_mov_b32_e32 v5, s37
	v_add_co_u32_e32 v94, vcc, s36, v176
	v_addc_co_u32_e32 v95, vcc, v179, v5, vcc
	global_load_dwordx2 v[94:95], v[94:95], off
	v_mov_b32_e32 v182, s40
.LBB839_142:                            ;   in Loop: Header=BB839_106 Depth=2
	s_or_b64 exec, exec, s[38:39]
	s_waitcnt vmcnt(14)
	v_xor_b32_e32 v65, 0x80000000, v65
	v_lshrrev_b64 v[96:97], s33, v[64:65]
	v_add_u32_e32 v5, 0x410, v27
	v_and_b32_e32 v96, s69, v96
	ds_write2_b32 v5, v4, v4 offset1:1
	ds_write2_b32 v31, v4, v4 offset0:2 offset1:3
	ds_write_b32 v31, v4 offset:16
	v_mad_u32_u24 v5, v96, 5, v181
	v_lshl_add_u32 v183, v5, 2, v29
	v_and_b32_e32 v5, 1, v96
	v_add_co_u32_e32 v97, vcc, -1, v5
	v_addc_co_u32_e64 v98, s[36:37], 0, -1, vcc
	v_cmp_ne_u32_e32 vcc, 0, v5
	v_xor_b32_e32 v5, vcc_hi, v98
	v_and_b32_e32 v98, exec_hi, v5
	v_lshlrev_b32_e32 v5, 30, v96
	v_xor_b32_e32 v97, vcc_lo, v97
	v_cmp_gt_i64_e32 vcc, 0, v[4:5]
	v_not_b32_e32 v5, v5
	v_ashrrev_i32_e32 v5, 31, v5
	v_and_b32_e32 v97, exec_lo, v97
	v_xor_b32_e32 v99, vcc_hi, v5
	v_xor_b32_e32 v5, vcc_lo, v5
	v_and_b32_e32 v97, v97, v5
	v_lshlrev_b32_e32 v5, 29, v96
	v_cmp_gt_i64_e32 vcc, 0, v[4:5]
	v_not_b32_e32 v5, v5
	v_ashrrev_i32_e32 v5, 31, v5
	v_and_b32_e32 v98, v98, v99
	v_xor_b32_e32 v99, vcc_hi, v5
	v_xor_b32_e32 v5, vcc_lo, v5
	v_and_b32_e32 v97, v97, v5
	v_lshlrev_b32_e32 v5, 28, v96
	v_cmp_gt_i64_e32 vcc, 0, v[4:5]
	v_not_b32_e32 v5, v5
	v_ashrrev_i32_e32 v5, 31, v5
	v_and_b32_e32 v98, v98, v99
	v_xor_b32_e32 v99, vcc_hi, v5
	v_xor_b32_e32 v5, vcc_lo, v5
	v_and_b32_e32 v97, v97, v5
	v_lshlrev_b32_e32 v5, 27, v96
	v_cmp_gt_i64_e32 vcc, 0, v[4:5]
	v_not_b32_e32 v5, v5
	v_ashrrev_i32_e32 v5, 31, v5
	v_and_b32_e32 v98, v98, v99
	v_xor_b32_e32 v99, vcc_hi, v5
	v_xor_b32_e32 v5, vcc_lo, v5
	v_and_b32_e32 v97, v97, v5
	v_lshlrev_b32_e32 v5, 26, v96
	v_cmp_gt_i64_e32 vcc, 0, v[4:5]
	v_not_b32_e32 v5, v5
	v_ashrrev_i32_e32 v5, 31, v5
	v_and_b32_e32 v98, v98, v99
	v_xor_b32_e32 v99, vcc_hi, v5
	v_xor_b32_e32 v5, vcc_lo, v5
	v_and_b32_e32 v97, v97, v5
	v_lshlrev_b32_e32 v5, 25, v96
	v_cmp_gt_i64_e32 vcc, 0, v[4:5]
	v_not_b32_e32 v5, v5
	v_ashrrev_i32_e32 v5, 31, v5
	v_and_b32_e32 v98, v98, v99
	v_xor_b32_e32 v99, vcc_hi, v5
	v_xor_b32_e32 v5, vcc_lo, v5
	v_and_b32_e32 v98, v98, v99
	v_and_b32_e32 v99, v97, v5
	v_lshlrev_b32_e32 v5, 24, v96
	v_cmp_gt_i64_e32 vcc, 0, v[4:5]
	v_not_b32_e32 v5, v5
	v_ashrrev_i32_e32 v5, 31, v5
	v_xor_b32_e32 v96, vcc_hi, v5
	v_xor_b32_e32 v5, vcc_lo, v5
	v_and_b32_e32 v97, v98, v96
	v_and_b32_e32 v96, v99, v5
	v_mbcnt_lo_u32_b32 v5, v96, 0
	v_mbcnt_hi_u32_b32 v184, v97, v5
	v_cmp_eq_u32_e32 vcc, 0, v184
	v_cmp_ne_u64_e64 s[36:37], 0, v[96:97]
	s_and_b64 s[38:39], s[36:37], vcc
	s_waitcnt lgkmcnt(0)
	s_barrier
	s_waitcnt lgkmcnt(0)
	; wave barrier
	s_and_saveexec_b64 s[36:37], s[38:39]
	s_cbranch_execz .LBB839_144
; %bb.143:                              ;   in Loop: Header=BB839_106 Depth=2
	v_bcnt_u32_b32 v5, v96, 0
	v_bcnt_u32_b32 v5, v97, v5
	ds_write_b32 v183, v5
.LBB839_144:                            ;   in Loop: Header=BB839_106 Depth=2
	s_or_b64 exec, exec, s[36:37]
	s_waitcnt vmcnt(13)
	v_xor_b32_e32 v67, 0x80000000, v67
	v_lshrrev_b64 v[96:97], s33, v[66:67]
	v_and_b32_e32 v96, s69, v96
	v_mul_u32_u24_e32 v5, 5, v96
	v_add_lshl_u32 v5, v5, v181, 2
	; wave barrier
	v_add_u32_e32 v186, 0x410, v5
	ds_read_b32 v185, v5 offset:1040
	v_and_b32_e32 v5, 1, v96
	v_add_co_u32_e32 v97, vcc, -1, v5
	v_addc_co_u32_e64 v98, s[36:37], 0, -1, vcc
	v_cmp_ne_u32_e32 vcc, 0, v5
	v_xor_b32_e32 v5, vcc_hi, v98
	v_and_b32_e32 v98, exec_hi, v5
	v_lshlrev_b32_e32 v5, 30, v96
	v_xor_b32_e32 v97, vcc_lo, v97
	v_cmp_gt_i64_e32 vcc, 0, v[4:5]
	v_not_b32_e32 v5, v5
	v_ashrrev_i32_e32 v5, 31, v5
	v_and_b32_e32 v97, exec_lo, v97
	v_xor_b32_e32 v99, vcc_hi, v5
	v_xor_b32_e32 v5, vcc_lo, v5
	v_and_b32_e32 v97, v97, v5
	v_lshlrev_b32_e32 v5, 29, v96
	v_cmp_gt_i64_e32 vcc, 0, v[4:5]
	v_not_b32_e32 v5, v5
	v_ashrrev_i32_e32 v5, 31, v5
	v_and_b32_e32 v98, v98, v99
	v_xor_b32_e32 v99, vcc_hi, v5
	v_xor_b32_e32 v5, vcc_lo, v5
	v_and_b32_e32 v97, v97, v5
	v_lshlrev_b32_e32 v5, 28, v96
	v_cmp_gt_i64_e32 vcc, 0, v[4:5]
	v_not_b32_e32 v5, v5
	v_ashrrev_i32_e32 v5, 31, v5
	v_and_b32_e32 v98, v98, v99
	;; [unrolled: 8-line block ×5, first 2 shown]
	v_xor_b32_e32 v99, vcc_hi, v5
	v_xor_b32_e32 v5, vcc_lo, v5
	v_and_b32_e32 v98, v98, v99
	v_and_b32_e32 v99, v97, v5
	v_lshlrev_b32_e32 v5, 24, v96
	v_cmp_gt_i64_e32 vcc, 0, v[4:5]
	v_not_b32_e32 v5, v5
	v_ashrrev_i32_e32 v5, 31, v5
	v_xor_b32_e32 v96, vcc_hi, v5
	v_xor_b32_e32 v5, vcc_lo, v5
	v_and_b32_e32 v97, v98, v96
	v_and_b32_e32 v96, v99, v5
	v_mbcnt_lo_u32_b32 v5, v96, 0
	v_mbcnt_hi_u32_b32 v187, v97, v5
	v_cmp_eq_u32_e32 vcc, 0, v187
	v_cmp_ne_u64_e64 s[36:37], 0, v[96:97]
	s_and_b64 s[38:39], s[36:37], vcc
	; wave barrier
	s_and_saveexec_b64 s[36:37], s[38:39]
	s_cbranch_execz .LBB839_146
; %bb.145:                              ;   in Loop: Header=BB839_106 Depth=2
	v_bcnt_u32_b32 v5, v96, 0
	v_bcnt_u32_b32 v5, v97, v5
	s_waitcnt lgkmcnt(0)
	v_add_u32_e32 v5, v185, v5
	ds_write_b32 v186, v5
.LBB839_146:                            ;   in Loop: Header=BB839_106 Depth=2
	s_or_b64 exec, exec, s[36:37]
	s_waitcnt vmcnt(12)
	v_xor_b32_e32 v69, 0x80000000, v69
	v_lshrrev_b64 v[96:97], s33, v[68:69]
	v_and_b32_e32 v96, s69, v96
	v_mul_u32_u24_e32 v5, 5, v96
	v_add_lshl_u32 v5, v5, v181, 2
	; wave barrier
	v_add_u32_e32 v189, 0x410, v5
	ds_read_b32 v188, v5 offset:1040
	v_and_b32_e32 v5, 1, v96
	v_add_co_u32_e32 v97, vcc, -1, v5
	v_addc_co_u32_e64 v98, s[36:37], 0, -1, vcc
	v_cmp_ne_u32_e32 vcc, 0, v5
	v_xor_b32_e32 v5, vcc_hi, v98
	v_and_b32_e32 v98, exec_hi, v5
	v_lshlrev_b32_e32 v5, 30, v96
	v_xor_b32_e32 v97, vcc_lo, v97
	v_cmp_gt_i64_e32 vcc, 0, v[4:5]
	v_not_b32_e32 v5, v5
	v_ashrrev_i32_e32 v5, 31, v5
	v_and_b32_e32 v97, exec_lo, v97
	v_xor_b32_e32 v99, vcc_hi, v5
	v_xor_b32_e32 v5, vcc_lo, v5
	v_and_b32_e32 v97, v97, v5
	v_lshlrev_b32_e32 v5, 29, v96
	v_cmp_gt_i64_e32 vcc, 0, v[4:5]
	v_not_b32_e32 v5, v5
	v_ashrrev_i32_e32 v5, 31, v5
	v_and_b32_e32 v98, v98, v99
	v_xor_b32_e32 v99, vcc_hi, v5
	v_xor_b32_e32 v5, vcc_lo, v5
	v_and_b32_e32 v97, v97, v5
	v_lshlrev_b32_e32 v5, 28, v96
	v_cmp_gt_i64_e32 vcc, 0, v[4:5]
	v_not_b32_e32 v5, v5
	v_ashrrev_i32_e32 v5, 31, v5
	v_and_b32_e32 v98, v98, v99
	;; [unrolled: 8-line block ×5, first 2 shown]
	v_xor_b32_e32 v99, vcc_hi, v5
	v_xor_b32_e32 v5, vcc_lo, v5
	v_and_b32_e32 v98, v98, v99
	v_and_b32_e32 v99, v97, v5
	v_lshlrev_b32_e32 v5, 24, v96
	v_cmp_gt_i64_e32 vcc, 0, v[4:5]
	v_not_b32_e32 v5, v5
	v_ashrrev_i32_e32 v5, 31, v5
	v_xor_b32_e32 v96, vcc_hi, v5
	v_xor_b32_e32 v5, vcc_lo, v5
	v_and_b32_e32 v97, v98, v96
	v_and_b32_e32 v96, v99, v5
	v_mbcnt_lo_u32_b32 v5, v96, 0
	v_mbcnt_hi_u32_b32 v190, v97, v5
	v_cmp_eq_u32_e32 vcc, 0, v190
	v_cmp_ne_u64_e64 s[36:37], 0, v[96:97]
	s_and_b64 s[38:39], s[36:37], vcc
	; wave barrier
	s_and_saveexec_b64 s[36:37], s[38:39]
	s_cbranch_execz .LBB839_148
; %bb.147:                              ;   in Loop: Header=BB839_106 Depth=2
	v_bcnt_u32_b32 v5, v96, 0
	v_bcnt_u32_b32 v5, v97, v5
	s_waitcnt lgkmcnt(0)
	v_add_u32_e32 v5, v188, v5
	ds_write_b32 v189, v5
.LBB839_148:                            ;   in Loop: Header=BB839_106 Depth=2
	s_or_b64 exec, exec, s[36:37]
	s_waitcnt vmcnt(11)
	v_xor_b32_e32 v71, 0x80000000, v71
	v_lshrrev_b64 v[96:97], s33, v[70:71]
	v_and_b32_e32 v96, s69, v96
	v_mul_u32_u24_e32 v5, 5, v96
	v_add_lshl_u32 v5, v5, v181, 2
	; wave barrier
	v_add_u32_e32 v192, 0x410, v5
	ds_read_b32 v191, v5 offset:1040
	v_and_b32_e32 v5, 1, v96
	v_add_co_u32_e32 v97, vcc, -1, v5
	v_addc_co_u32_e64 v98, s[36:37], 0, -1, vcc
	v_cmp_ne_u32_e32 vcc, 0, v5
	v_xor_b32_e32 v5, vcc_hi, v98
	v_and_b32_e32 v98, exec_hi, v5
	v_lshlrev_b32_e32 v5, 30, v96
	v_xor_b32_e32 v97, vcc_lo, v97
	v_cmp_gt_i64_e32 vcc, 0, v[4:5]
	v_not_b32_e32 v5, v5
	v_ashrrev_i32_e32 v5, 31, v5
	v_and_b32_e32 v97, exec_lo, v97
	v_xor_b32_e32 v99, vcc_hi, v5
	v_xor_b32_e32 v5, vcc_lo, v5
	v_and_b32_e32 v97, v97, v5
	v_lshlrev_b32_e32 v5, 29, v96
	v_cmp_gt_i64_e32 vcc, 0, v[4:5]
	v_not_b32_e32 v5, v5
	v_ashrrev_i32_e32 v5, 31, v5
	v_and_b32_e32 v98, v98, v99
	v_xor_b32_e32 v99, vcc_hi, v5
	v_xor_b32_e32 v5, vcc_lo, v5
	v_and_b32_e32 v97, v97, v5
	v_lshlrev_b32_e32 v5, 28, v96
	v_cmp_gt_i64_e32 vcc, 0, v[4:5]
	v_not_b32_e32 v5, v5
	v_ashrrev_i32_e32 v5, 31, v5
	v_and_b32_e32 v98, v98, v99
	;; [unrolled: 8-line block ×5, first 2 shown]
	v_xor_b32_e32 v99, vcc_hi, v5
	v_xor_b32_e32 v5, vcc_lo, v5
	v_and_b32_e32 v98, v98, v99
	v_and_b32_e32 v99, v97, v5
	v_lshlrev_b32_e32 v5, 24, v96
	v_cmp_gt_i64_e32 vcc, 0, v[4:5]
	v_not_b32_e32 v5, v5
	v_ashrrev_i32_e32 v5, 31, v5
	v_xor_b32_e32 v96, vcc_hi, v5
	v_xor_b32_e32 v5, vcc_lo, v5
	v_and_b32_e32 v97, v98, v96
	v_and_b32_e32 v96, v99, v5
	v_mbcnt_lo_u32_b32 v5, v96, 0
	v_mbcnt_hi_u32_b32 v193, v97, v5
	v_cmp_eq_u32_e32 vcc, 0, v193
	v_cmp_ne_u64_e64 s[36:37], 0, v[96:97]
	s_and_b64 s[38:39], s[36:37], vcc
	; wave barrier
	s_and_saveexec_b64 s[36:37], s[38:39]
	s_cbranch_execz .LBB839_150
; %bb.149:                              ;   in Loop: Header=BB839_106 Depth=2
	v_bcnt_u32_b32 v5, v96, 0
	v_bcnt_u32_b32 v5, v97, v5
	s_waitcnt lgkmcnt(0)
	v_add_u32_e32 v5, v191, v5
	ds_write_b32 v192, v5
.LBB839_150:                            ;   in Loop: Header=BB839_106 Depth=2
	s_or_b64 exec, exec, s[36:37]
	s_waitcnt vmcnt(10)
	v_xor_b32_e32 v73, 0x80000000, v73
	v_lshrrev_b64 v[96:97], s33, v[72:73]
	v_and_b32_e32 v96, s69, v96
	v_mul_u32_u24_e32 v5, 5, v96
	v_add_lshl_u32 v5, v5, v181, 2
	; wave barrier
	v_add_u32_e32 v195, 0x410, v5
	ds_read_b32 v194, v5 offset:1040
	v_and_b32_e32 v5, 1, v96
	v_add_co_u32_e32 v97, vcc, -1, v5
	v_addc_co_u32_e64 v98, s[36:37], 0, -1, vcc
	v_cmp_ne_u32_e32 vcc, 0, v5
	v_xor_b32_e32 v5, vcc_hi, v98
	v_and_b32_e32 v98, exec_hi, v5
	v_lshlrev_b32_e32 v5, 30, v96
	v_xor_b32_e32 v97, vcc_lo, v97
	v_cmp_gt_i64_e32 vcc, 0, v[4:5]
	v_not_b32_e32 v5, v5
	v_ashrrev_i32_e32 v5, 31, v5
	v_and_b32_e32 v97, exec_lo, v97
	v_xor_b32_e32 v99, vcc_hi, v5
	v_xor_b32_e32 v5, vcc_lo, v5
	v_and_b32_e32 v97, v97, v5
	v_lshlrev_b32_e32 v5, 29, v96
	v_cmp_gt_i64_e32 vcc, 0, v[4:5]
	v_not_b32_e32 v5, v5
	v_ashrrev_i32_e32 v5, 31, v5
	v_and_b32_e32 v98, v98, v99
	v_xor_b32_e32 v99, vcc_hi, v5
	v_xor_b32_e32 v5, vcc_lo, v5
	v_and_b32_e32 v97, v97, v5
	v_lshlrev_b32_e32 v5, 28, v96
	v_cmp_gt_i64_e32 vcc, 0, v[4:5]
	v_not_b32_e32 v5, v5
	v_ashrrev_i32_e32 v5, 31, v5
	v_and_b32_e32 v98, v98, v99
	;; [unrolled: 8-line block ×5, first 2 shown]
	v_xor_b32_e32 v99, vcc_hi, v5
	v_xor_b32_e32 v5, vcc_lo, v5
	v_and_b32_e32 v98, v98, v99
	v_and_b32_e32 v99, v97, v5
	v_lshlrev_b32_e32 v5, 24, v96
	v_cmp_gt_i64_e32 vcc, 0, v[4:5]
	v_not_b32_e32 v5, v5
	v_ashrrev_i32_e32 v5, 31, v5
	v_xor_b32_e32 v96, vcc_hi, v5
	v_xor_b32_e32 v5, vcc_lo, v5
	v_and_b32_e32 v97, v98, v96
	v_and_b32_e32 v96, v99, v5
	v_mbcnt_lo_u32_b32 v5, v96, 0
	v_mbcnt_hi_u32_b32 v196, v97, v5
	v_cmp_eq_u32_e32 vcc, 0, v196
	v_cmp_ne_u64_e64 s[36:37], 0, v[96:97]
	s_and_b64 s[38:39], s[36:37], vcc
	; wave barrier
	s_and_saveexec_b64 s[36:37], s[38:39]
	s_cbranch_execz .LBB839_152
; %bb.151:                              ;   in Loop: Header=BB839_106 Depth=2
	v_bcnt_u32_b32 v5, v96, 0
	v_bcnt_u32_b32 v5, v97, v5
	s_waitcnt lgkmcnt(0)
	v_add_u32_e32 v5, v194, v5
	ds_write_b32 v195, v5
.LBB839_152:                            ;   in Loop: Header=BB839_106 Depth=2
	s_or_b64 exec, exec, s[36:37]
	s_waitcnt vmcnt(9)
	v_xor_b32_e32 v75, 0x80000000, v75
	v_lshrrev_b64 v[96:97], s33, v[74:75]
	v_and_b32_e32 v96, s69, v96
	v_mul_u32_u24_e32 v5, 5, v96
	v_add_lshl_u32 v5, v5, v181, 2
	; wave barrier
	v_add_u32_e32 v198, 0x410, v5
	ds_read_b32 v197, v5 offset:1040
	v_and_b32_e32 v5, 1, v96
	v_add_co_u32_e32 v97, vcc, -1, v5
	v_addc_co_u32_e64 v98, s[36:37], 0, -1, vcc
	v_cmp_ne_u32_e32 vcc, 0, v5
	v_xor_b32_e32 v5, vcc_hi, v98
	v_and_b32_e32 v98, exec_hi, v5
	v_lshlrev_b32_e32 v5, 30, v96
	v_xor_b32_e32 v97, vcc_lo, v97
	v_cmp_gt_i64_e32 vcc, 0, v[4:5]
	v_not_b32_e32 v5, v5
	v_ashrrev_i32_e32 v5, 31, v5
	v_and_b32_e32 v97, exec_lo, v97
	v_xor_b32_e32 v99, vcc_hi, v5
	v_xor_b32_e32 v5, vcc_lo, v5
	v_and_b32_e32 v97, v97, v5
	v_lshlrev_b32_e32 v5, 29, v96
	v_cmp_gt_i64_e32 vcc, 0, v[4:5]
	v_not_b32_e32 v5, v5
	v_ashrrev_i32_e32 v5, 31, v5
	v_and_b32_e32 v98, v98, v99
	v_xor_b32_e32 v99, vcc_hi, v5
	v_xor_b32_e32 v5, vcc_lo, v5
	v_and_b32_e32 v97, v97, v5
	v_lshlrev_b32_e32 v5, 28, v96
	v_cmp_gt_i64_e32 vcc, 0, v[4:5]
	v_not_b32_e32 v5, v5
	v_ashrrev_i32_e32 v5, 31, v5
	v_and_b32_e32 v98, v98, v99
	;; [unrolled: 8-line block ×5, first 2 shown]
	v_xor_b32_e32 v99, vcc_hi, v5
	v_xor_b32_e32 v5, vcc_lo, v5
	v_and_b32_e32 v98, v98, v99
	v_and_b32_e32 v99, v97, v5
	v_lshlrev_b32_e32 v5, 24, v96
	v_cmp_gt_i64_e32 vcc, 0, v[4:5]
	v_not_b32_e32 v5, v5
	v_ashrrev_i32_e32 v5, 31, v5
	v_xor_b32_e32 v96, vcc_hi, v5
	v_xor_b32_e32 v5, vcc_lo, v5
	v_and_b32_e32 v97, v98, v96
	v_and_b32_e32 v96, v99, v5
	v_mbcnt_lo_u32_b32 v5, v96, 0
	v_mbcnt_hi_u32_b32 v199, v97, v5
	v_cmp_eq_u32_e32 vcc, 0, v199
	v_cmp_ne_u64_e64 s[36:37], 0, v[96:97]
	s_and_b64 s[38:39], s[36:37], vcc
	; wave barrier
	s_and_saveexec_b64 s[36:37], s[38:39]
	s_cbranch_execz .LBB839_154
; %bb.153:                              ;   in Loop: Header=BB839_106 Depth=2
	v_bcnt_u32_b32 v5, v96, 0
	v_bcnt_u32_b32 v5, v97, v5
	s_waitcnt lgkmcnt(0)
	v_add_u32_e32 v5, v197, v5
	ds_write_b32 v198, v5
.LBB839_154:                            ;   in Loop: Header=BB839_106 Depth=2
	s_or_b64 exec, exec, s[36:37]
	s_waitcnt vmcnt(8)
	v_xor_b32_e32 v77, 0x80000000, v77
	v_lshrrev_b64 v[96:97], s33, v[76:77]
	v_and_b32_e32 v96, s69, v96
	v_mul_u32_u24_e32 v5, 5, v96
	v_add_lshl_u32 v5, v5, v181, 2
	; wave barrier
	v_add_u32_e32 v201, 0x410, v5
	ds_read_b32 v200, v5 offset:1040
	v_and_b32_e32 v5, 1, v96
	v_add_co_u32_e32 v97, vcc, -1, v5
	v_addc_co_u32_e64 v98, s[36:37], 0, -1, vcc
	v_cmp_ne_u32_e32 vcc, 0, v5
	v_xor_b32_e32 v5, vcc_hi, v98
	v_and_b32_e32 v98, exec_hi, v5
	v_lshlrev_b32_e32 v5, 30, v96
	v_xor_b32_e32 v97, vcc_lo, v97
	v_cmp_gt_i64_e32 vcc, 0, v[4:5]
	v_not_b32_e32 v5, v5
	v_ashrrev_i32_e32 v5, 31, v5
	v_and_b32_e32 v97, exec_lo, v97
	v_xor_b32_e32 v99, vcc_hi, v5
	v_xor_b32_e32 v5, vcc_lo, v5
	v_and_b32_e32 v97, v97, v5
	v_lshlrev_b32_e32 v5, 29, v96
	v_cmp_gt_i64_e32 vcc, 0, v[4:5]
	v_not_b32_e32 v5, v5
	v_ashrrev_i32_e32 v5, 31, v5
	v_and_b32_e32 v98, v98, v99
	v_xor_b32_e32 v99, vcc_hi, v5
	v_xor_b32_e32 v5, vcc_lo, v5
	v_and_b32_e32 v97, v97, v5
	v_lshlrev_b32_e32 v5, 28, v96
	v_cmp_gt_i64_e32 vcc, 0, v[4:5]
	v_not_b32_e32 v5, v5
	v_ashrrev_i32_e32 v5, 31, v5
	v_and_b32_e32 v98, v98, v99
	;; [unrolled: 8-line block ×5, first 2 shown]
	v_xor_b32_e32 v99, vcc_hi, v5
	v_xor_b32_e32 v5, vcc_lo, v5
	v_and_b32_e32 v98, v98, v99
	v_and_b32_e32 v99, v97, v5
	v_lshlrev_b32_e32 v5, 24, v96
	v_cmp_gt_i64_e32 vcc, 0, v[4:5]
	v_not_b32_e32 v5, v5
	v_ashrrev_i32_e32 v5, 31, v5
	v_xor_b32_e32 v96, vcc_hi, v5
	v_xor_b32_e32 v5, vcc_lo, v5
	v_and_b32_e32 v97, v98, v96
	v_and_b32_e32 v96, v99, v5
	v_mbcnt_lo_u32_b32 v5, v96, 0
	v_mbcnt_hi_u32_b32 v202, v97, v5
	v_cmp_eq_u32_e32 vcc, 0, v202
	v_cmp_ne_u64_e64 s[36:37], 0, v[96:97]
	s_and_b64 s[38:39], s[36:37], vcc
	; wave barrier
	s_and_saveexec_b64 s[36:37], s[38:39]
	s_cbranch_execz .LBB839_156
; %bb.155:                              ;   in Loop: Header=BB839_106 Depth=2
	v_bcnt_u32_b32 v5, v96, 0
	v_bcnt_u32_b32 v5, v97, v5
	s_waitcnt lgkmcnt(0)
	v_add_u32_e32 v5, v200, v5
	ds_write_b32 v201, v5
.LBB839_156:                            ;   in Loop: Header=BB839_106 Depth=2
	s_or_b64 exec, exec, s[36:37]
	s_waitcnt vmcnt(7)
	v_xor_b32_e32 v79, 0x80000000, v79
	v_lshrrev_b64 v[96:97], s33, v[78:79]
	v_and_b32_e32 v96, s69, v96
	v_mul_u32_u24_e32 v5, 5, v96
	v_add_lshl_u32 v5, v5, v181, 2
	; wave barrier
	v_add_u32_e32 v204, 0x410, v5
	ds_read_b32 v203, v5 offset:1040
	v_and_b32_e32 v5, 1, v96
	v_add_co_u32_e32 v97, vcc, -1, v5
	v_addc_co_u32_e64 v98, s[36:37], 0, -1, vcc
	v_cmp_ne_u32_e32 vcc, 0, v5
	v_xor_b32_e32 v5, vcc_hi, v98
	v_and_b32_e32 v98, exec_hi, v5
	v_lshlrev_b32_e32 v5, 30, v96
	v_xor_b32_e32 v97, vcc_lo, v97
	v_cmp_gt_i64_e32 vcc, 0, v[4:5]
	v_not_b32_e32 v5, v5
	v_ashrrev_i32_e32 v5, 31, v5
	v_and_b32_e32 v97, exec_lo, v97
	v_xor_b32_e32 v99, vcc_hi, v5
	v_xor_b32_e32 v5, vcc_lo, v5
	v_and_b32_e32 v97, v97, v5
	v_lshlrev_b32_e32 v5, 29, v96
	v_cmp_gt_i64_e32 vcc, 0, v[4:5]
	v_not_b32_e32 v5, v5
	v_ashrrev_i32_e32 v5, 31, v5
	v_and_b32_e32 v98, v98, v99
	v_xor_b32_e32 v99, vcc_hi, v5
	v_xor_b32_e32 v5, vcc_lo, v5
	v_and_b32_e32 v97, v97, v5
	v_lshlrev_b32_e32 v5, 28, v96
	v_cmp_gt_i64_e32 vcc, 0, v[4:5]
	v_not_b32_e32 v5, v5
	v_ashrrev_i32_e32 v5, 31, v5
	v_and_b32_e32 v98, v98, v99
	;; [unrolled: 8-line block ×5, first 2 shown]
	v_xor_b32_e32 v99, vcc_hi, v5
	v_xor_b32_e32 v5, vcc_lo, v5
	v_and_b32_e32 v98, v98, v99
	v_and_b32_e32 v99, v97, v5
	v_lshlrev_b32_e32 v5, 24, v96
	v_cmp_gt_i64_e32 vcc, 0, v[4:5]
	v_not_b32_e32 v5, v5
	v_ashrrev_i32_e32 v5, 31, v5
	v_xor_b32_e32 v96, vcc_hi, v5
	v_xor_b32_e32 v5, vcc_lo, v5
	v_and_b32_e32 v97, v98, v96
	v_and_b32_e32 v96, v99, v5
	v_mbcnt_lo_u32_b32 v5, v96, 0
	v_mbcnt_hi_u32_b32 v205, v97, v5
	v_cmp_eq_u32_e32 vcc, 0, v205
	v_cmp_ne_u64_e64 s[36:37], 0, v[96:97]
	s_and_b64 s[38:39], s[36:37], vcc
	; wave barrier
	s_and_saveexec_b64 s[36:37], s[38:39]
	s_cbranch_execz .LBB839_158
; %bb.157:                              ;   in Loop: Header=BB839_106 Depth=2
	v_bcnt_u32_b32 v5, v96, 0
	v_bcnt_u32_b32 v5, v97, v5
	s_waitcnt lgkmcnt(0)
	v_add_u32_e32 v5, v203, v5
	ds_write_b32 v204, v5
.LBB839_158:                            ;   in Loop: Header=BB839_106 Depth=2
	s_or_b64 exec, exec, s[36:37]
	s_waitcnt vmcnt(6)
	v_xor_b32_e32 v81, 0x80000000, v81
	v_lshrrev_b64 v[96:97], s33, v[80:81]
	v_and_b32_e32 v96, s69, v96
	v_mul_u32_u24_e32 v5, 5, v96
	v_add_lshl_u32 v5, v5, v181, 2
	; wave barrier
	v_add_u32_e32 v207, 0x410, v5
	ds_read_b32 v206, v5 offset:1040
	v_and_b32_e32 v5, 1, v96
	v_add_co_u32_e32 v97, vcc, -1, v5
	v_addc_co_u32_e64 v98, s[36:37], 0, -1, vcc
	v_cmp_ne_u32_e32 vcc, 0, v5
	v_xor_b32_e32 v5, vcc_hi, v98
	v_and_b32_e32 v98, exec_hi, v5
	v_lshlrev_b32_e32 v5, 30, v96
	v_xor_b32_e32 v97, vcc_lo, v97
	v_cmp_gt_i64_e32 vcc, 0, v[4:5]
	v_not_b32_e32 v5, v5
	v_ashrrev_i32_e32 v5, 31, v5
	v_and_b32_e32 v97, exec_lo, v97
	v_xor_b32_e32 v99, vcc_hi, v5
	v_xor_b32_e32 v5, vcc_lo, v5
	v_and_b32_e32 v97, v97, v5
	v_lshlrev_b32_e32 v5, 29, v96
	v_cmp_gt_i64_e32 vcc, 0, v[4:5]
	v_not_b32_e32 v5, v5
	v_ashrrev_i32_e32 v5, 31, v5
	v_and_b32_e32 v98, v98, v99
	v_xor_b32_e32 v99, vcc_hi, v5
	v_xor_b32_e32 v5, vcc_lo, v5
	v_and_b32_e32 v97, v97, v5
	v_lshlrev_b32_e32 v5, 28, v96
	v_cmp_gt_i64_e32 vcc, 0, v[4:5]
	v_not_b32_e32 v5, v5
	v_ashrrev_i32_e32 v5, 31, v5
	v_and_b32_e32 v98, v98, v99
	;; [unrolled: 8-line block ×5, first 2 shown]
	v_xor_b32_e32 v99, vcc_hi, v5
	v_xor_b32_e32 v5, vcc_lo, v5
	v_and_b32_e32 v98, v98, v99
	v_and_b32_e32 v99, v97, v5
	v_lshlrev_b32_e32 v5, 24, v96
	v_cmp_gt_i64_e32 vcc, 0, v[4:5]
	v_not_b32_e32 v5, v5
	v_ashrrev_i32_e32 v5, 31, v5
	v_xor_b32_e32 v96, vcc_hi, v5
	v_xor_b32_e32 v5, vcc_lo, v5
	v_and_b32_e32 v97, v98, v96
	v_and_b32_e32 v96, v99, v5
	v_mbcnt_lo_u32_b32 v5, v96, 0
	v_mbcnt_hi_u32_b32 v208, v97, v5
	v_cmp_eq_u32_e32 vcc, 0, v208
	v_cmp_ne_u64_e64 s[36:37], 0, v[96:97]
	s_and_b64 s[38:39], s[36:37], vcc
	; wave barrier
	s_and_saveexec_b64 s[36:37], s[38:39]
	s_cbranch_execz .LBB839_160
; %bb.159:                              ;   in Loop: Header=BB839_106 Depth=2
	v_bcnt_u32_b32 v5, v96, 0
	v_bcnt_u32_b32 v5, v97, v5
	s_waitcnt lgkmcnt(0)
	v_add_u32_e32 v5, v206, v5
	ds_write_b32 v207, v5
.LBB839_160:                            ;   in Loop: Header=BB839_106 Depth=2
	s_or_b64 exec, exec, s[36:37]
	s_waitcnt vmcnt(5)
	v_xor_b32_e32 v83, 0x80000000, v83
	v_lshrrev_b64 v[96:97], s33, v[82:83]
	v_and_b32_e32 v96, s69, v96
	v_mul_u32_u24_e32 v5, 5, v96
	v_add_lshl_u32 v5, v5, v181, 2
	; wave barrier
	v_add_u32_e32 v210, 0x410, v5
	ds_read_b32 v209, v5 offset:1040
	v_and_b32_e32 v5, 1, v96
	v_add_co_u32_e32 v97, vcc, -1, v5
	v_addc_co_u32_e64 v98, s[36:37], 0, -1, vcc
	v_cmp_ne_u32_e32 vcc, 0, v5
	v_xor_b32_e32 v5, vcc_hi, v98
	v_and_b32_e32 v98, exec_hi, v5
	v_lshlrev_b32_e32 v5, 30, v96
	v_xor_b32_e32 v97, vcc_lo, v97
	v_cmp_gt_i64_e32 vcc, 0, v[4:5]
	v_not_b32_e32 v5, v5
	v_ashrrev_i32_e32 v5, 31, v5
	v_and_b32_e32 v97, exec_lo, v97
	v_xor_b32_e32 v99, vcc_hi, v5
	v_xor_b32_e32 v5, vcc_lo, v5
	v_and_b32_e32 v97, v97, v5
	v_lshlrev_b32_e32 v5, 29, v96
	v_cmp_gt_i64_e32 vcc, 0, v[4:5]
	v_not_b32_e32 v5, v5
	v_ashrrev_i32_e32 v5, 31, v5
	v_and_b32_e32 v98, v98, v99
	v_xor_b32_e32 v99, vcc_hi, v5
	v_xor_b32_e32 v5, vcc_lo, v5
	v_and_b32_e32 v97, v97, v5
	v_lshlrev_b32_e32 v5, 28, v96
	v_cmp_gt_i64_e32 vcc, 0, v[4:5]
	v_not_b32_e32 v5, v5
	v_ashrrev_i32_e32 v5, 31, v5
	v_and_b32_e32 v98, v98, v99
	;; [unrolled: 8-line block ×5, first 2 shown]
	v_xor_b32_e32 v99, vcc_hi, v5
	v_xor_b32_e32 v5, vcc_lo, v5
	v_and_b32_e32 v98, v98, v99
	v_and_b32_e32 v99, v97, v5
	v_lshlrev_b32_e32 v5, 24, v96
	v_cmp_gt_i64_e32 vcc, 0, v[4:5]
	v_not_b32_e32 v5, v5
	v_ashrrev_i32_e32 v5, 31, v5
	v_xor_b32_e32 v96, vcc_hi, v5
	v_xor_b32_e32 v5, vcc_lo, v5
	v_and_b32_e32 v97, v98, v96
	v_and_b32_e32 v96, v99, v5
	v_mbcnt_lo_u32_b32 v5, v96, 0
	v_mbcnt_hi_u32_b32 v211, v97, v5
	v_cmp_eq_u32_e32 vcc, 0, v211
	v_cmp_ne_u64_e64 s[36:37], 0, v[96:97]
	s_and_b64 s[38:39], s[36:37], vcc
	; wave barrier
	s_and_saveexec_b64 s[36:37], s[38:39]
	s_cbranch_execz .LBB839_162
; %bb.161:                              ;   in Loop: Header=BB839_106 Depth=2
	v_bcnt_u32_b32 v5, v96, 0
	v_bcnt_u32_b32 v5, v97, v5
	s_waitcnt lgkmcnt(0)
	v_add_u32_e32 v5, v209, v5
	ds_write_b32 v210, v5
.LBB839_162:                            ;   in Loop: Header=BB839_106 Depth=2
	s_or_b64 exec, exec, s[36:37]
	s_waitcnt vmcnt(4)
	v_xor_b32_e32 v85, 0x80000000, v85
	v_lshrrev_b64 v[96:97], s33, v[84:85]
	v_and_b32_e32 v96, s69, v96
	v_mul_u32_u24_e32 v5, 5, v96
	v_add_lshl_u32 v5, v5, v181, 2
	; wave barrier
	v_add_u32_e32 v213, 0x410, v5
	ds_read_b32 v212, v5 offset:1040
	v_and_b32_e32 v5, 1, v96
	v_add_co_u32_e32 v97, vcc, -1, v5
	v_addc_co_u32_e64 v98, s[36:37], 0, -1, vcc
	v_cmp_ne_u32_e32 vcc, 0, v5
	v_xor_b32_e32 v5, vcc_hi, v98
	v_and_b32_e32 v98, exec_hi, v5
	v_lshlrev_b32_e32 v5, 30, v96
	v_xor_b32_e32 v97, vcc_lo, v97
	v_cmp_gt_i64_e32 vcc, 0, v[4:5]
	v_not_b32_e32 v5, v5
	v_ashrrev_i32_e32 v5, 31, v5
	v_and_b32_e32 v97, exec_lo, v97
	v_xor_b32_e32 v99, vcc_hi, v5
	v_xor_b32_e32 v5, vcc_lo, v5
	v_and_b32_e32 v97, v97, v5
	v_lshlrev_b32_e32 v5, 29, v96
	v_cmp_gt_i64_e32 vcc, 0, v[4:5]
	v_not_b32_e32 v5, v5
	v_ashrrev_i32_e32 v5, 31, v5
	v_and_b32_e32 v98, v98, v99
	v_xor_b32_e32 v99, vcc_hi, v5
	v_xor_b32_e32 v5, vcc_lo, v5
	v_and_b32_e32 v97, v97, v5
	v_lshlrev_b32_e32 v5, 28, v96
	v_cmp_gt_i64_e32 vcc, 0, v[4:5]
	v_not_b32_e32 v5, v5
	v_ashrrev_i32_e32 v5, 31, v5
	v_and_b32_e32 v98, v98, v99
	;; [unrolled: 8-line block ×5, first 2 shown]
	v_xor_b32_e32 v99, vcc_hi, v5
	v_xor_b32_e32 v5, vcc_lo, v5
	v_and_b32_e32 v98, v98, v99
	v_and_b32_e32 v99, v97, v5
	v_lshlrev_b32_e32 v5, 24, v96
	v_cmp_gt_i64_e32 vcc, 0, v[4:5]
	v_not_b32_e32 v5, v5
	v_ashrrev_i32_e32 v5, 31, v5
	v_xor_b32_e32 v96, vcc_hi, v5
	v_xor_b32_e32 v5, vcc_lo, v5
	v_and_b32_e32 v97, v98, v96
	v_and_b32_e32 v96, v99, v5
	v_mbcnt_lo_u32_b32 v5, v96, 0
	v_mbcnt_hi_u32_b32 v214, v97, v5
	v_cmp_eq_u32_e32 vcc, 0, v214
	v_cmp_ne_u64_e64 s[36:37], 0, v[96:97]
	s_and_b64 s[38:39], s[36:37], vcc
	; wave barrier
	s_and_saveexec_b64 s[36:37], s[38:39]
	s_cbranch_execz .LBB839_164
; %bb.163:                              ;   in Loop: Header=BB839_106 Depth=2
	v_bcnt_u32_b32 v5, v96, 0
	v_bcnt_u32_b32 v5, v97, v5
	s_waitcnt lgkmcnt(0)
	v_add_u32_e32 v5, v212, v5
	ds_write_b32 v213, v5
.LBB839_164:                            ;   in Loop: Header=BB839_106 Depth=2
	s_or_b64 exec, exec, s[36:37]
	s_waitcnt vmcnt(3)
	v_xor_b32_e32 v87, 0x80000000, v87
	v_lshrrev_b64 v[96:97], s33, v[86:87]
	v_and_b32_e32 v96, s69, v96
	v_mul_u32_u24_e32 v5, 5, v96
	v_add_lshl_u32 v5, v5, v181, 2
	; wave barrier
	v_add_u32_e32 v216, 0x410, v5
	ds_read_b32 v215, v5 offset:1040
	v_and_b32_e32 v5, 1, v96
	v_add_co_u32_e32 v97, vcc, -1, v5
	v_addc_co_u32_e64 v98, s[36:37], 0, -1, vcc
	v_cmp_ne_u32_e32 vcc, 0, v5
	v_xor_b32_e32 v5, vcc_hi, v98
	v_and_b32_e32 v98, exec_hi, v5
	v_lshlrev_b32_e32 v5, 30, v96
	v_xor_b32_e32 v97, vcc_lo, v97
	v_cmp_gt_i64_e32 vcc, 0, v[4:5]
	v_not_b32_e32 v5, v5
	v_ashrrev_i32_e32 v5, 31, v5
	v_and_b32_e32 v97, exec_lo, v97
	v_xor_b32_e32 v99, vcc_hi, v5
	v_xor_b32_e32 v5, vcc_lo, v5
	v_and_b32_e32 v97, v97, v5
	v_lshlrev_b32_e32 v5, 29, v96
	v_cmp_gt_i64_e32 vcc, 0, v[4:5]
	v_not_b32_e32 v5, v5
	v_ashrrev_i32_e32 v5, 31, v5
	v_and_b32_e32 v98, v98, v99
	v_xor_b32_e32 v99, vcc_hi, v5
	v_xor_b32_e32 v5, vcc_lo, v5
	v_and_b32_e32 v97, v97, v5
	v_lshlrev_b32_e32 v5, 28, v96
	v_cmp_gt_i64_e32 vcc, 0, v[4:5]
	v_not_b32_e32 v5, v5
	v_ashrrev_i32_e32 v5, 31, v5
	v_and_b32_e32 v98, v98, v99
	;; [unrolled: 8-line block ×5, first 2 shown]
	v_xor_b32_e32 v99, vcc_hi, v5
	v_xor_b32_e32 v5, vcc_lo, v5
	v_and_b32_e32 v98, v98, v99
	v_and_b32_e32 v99, v97, v5
	v_lshlrev_b32_e32 v5, 24, v96
	v_cmp_gt_i64_e32 vcc, 0, v[4:5]
	v_not_b32_e32 v5, v5
	v_ashrrev_i32_e32 v5, 31, v5
	v_xor_b32_e32 v96, vcc_hi, v5
	v_xor_b32_e32 v5, vcc_lo, v5
	v_and_b32_e32 v97, v98, v96
	v_and_b32_e32 v96, v99, v5
	v_mbcnt_lo_u32_b32 v5, v96, 0
	v_mbcnt_hi_u32_b32 v217, v97, v5
	v_cmp_eq_u32_e32 vcc, 0, v217
	v_cmp_ne_u64_e64 s[36:37], 0, v[96:97]
	s_and_b64 s[38:39], s[36:37], vcc
	; wave barrier
	s_and_saveexec_b64 s[36:37], s[38:39]
	s_cbranch_execz .LBB839_166
; %bb.165:                              ;   in Loop: Header=BB839_106 Depth=2
	v_bcnt_u32_b32 v5, v96, 0
	v_bcnt_u32_b32 v5, v97, v5
	s_waitcnt lgkmcnt(0)
	v_add_u32_e32 v5, v215, v5
	ds_write_b32 v216, v5
.LBB839_166:                            ;   in Loop: Header=BB839_106 Depth=2
	s_or_b64 exec, exec, s[36:37]
	s_waitcnt vmcnt(2)
	v_xor_b32_e32 v89, 0x80000000, v89
	v_lshrrev_b64 v[96:97], s33, v[88:89]
	v_and_b32_e32 v96, s69, v96
	v_mul_u32_u24_e32 v5, 5, v96
	v_add_lshl_u32 v5, v5, v181, 2
	; wave barrier
	v_add_u32_e32 v219, 0x410, v5
	ds_read_b32 v218, v5 offset:1040
	v_and_b32_e32 v5, 1, v96
	v_add_co_u32_e32 v97, vcc, -1, v5
	v_addc_co_u32_e64 v98, s[36:37], 0, -1, vcc
	v_cmp_ne_u32_e32 vcc, 0, v5
	v_xor_b32_e32 v5, vcc_hi, v98
	v_and_b32_e32 v98, exec_hi, v5
	v_lshlrev_b32_e32 v5, 30, v96
	v_xor_b32_e32 v97, vcc_lo, v97
	v_cmp_gt_i64_e32 vcc, 0, v[4:5]
	v_not_b32_e32 v5, v5
	v_ashrrev_i32_e32 v5, 31, v5
	v_and_b32_e32 v97, exec_lo, v97
	v_xor_b32_e32 v99, vcc_hi, v5
	v_xor_b32_e32 v5, vcc_lo, v5
	v_and_b32_e32 v97, v97, v5
	v_lshlrev_b32_e32 v5, 29, v96
	v_cmp_gt_i64_e32 vcc, 0, v[4:5]
	v_not_b32_e32 v5, v5
	v_ashrrev_i32_e32 v5, 31, v5
	v_and_b32_e32 v98, v98, v99
	v_xor_b32_e32 v99, vcc_hi, v5
	v_xor_b32_e32 v5, vcc_lo, v5
	v_and_b32_e32 v97, v97, v5
	v_lshlrev_b32_e32 v5, 28, v96
	v_cmp_gt_i64_e32 vcc, 0, v[4:5]
	v_not_b32_e32 v5, v5
	v_ashrrev_i32_e32 v5, 31, v5
	v_and_b32_e32 v98, v98, v99
	;; [unrolled: 8-line block ×5, first 2 shown]
	v_xor_b32_e32 v99, vcc_hi, v5
	v_xor_b32_e32 v5, vcc_lo, v5
	v_and_b32_e32 v98, v98, v99
	v_and_b32_e32 v99, v97, v5
	v_lshlrev_b32_e32 v5, 24, v96
	v_cmp_gt_i64_e32 vcc, 0, v[4:5]
	v_not_b32_e32 v5, v5
	v_ashrrev_i32_e32 v5, 31, v5
	v_xor_b32_e32 v96, vcc_hi, v5
	v_xor_b32_e32 v5, vcc_lo, v5
	v_and_b32_e32 v97, v98, v96
	v_and_b32_e32 v96, v99, v5
	v_mbcnt_lo_u32_b32 v5, v96, 0
	v_mbcnt_hi_u32_b32 v220, v97, v5
	v_cmp_eq_u32_e32 vcc, 0, v220
	v_cmp_ne_u64_e64 s[36:37], 0, v[96:97]
	s_and_b64 s[38:39], s[36:37], vcc
	; wave barrier
	s_and_saveexec_b64 s[36:37], s[38:39]
	s_cbranch_execz .LBB839_168
; %bb.167:                              ;   in Loop: Header=BB839_106 Depth=2
	v_bcnt_u32_b32 v5, v96, 0
	v_bcnt_u32_b32 v5, v97, v5
	s_waitcnt lgkmcnt(0)
	v_add_u32_e32 v5, v218, v5
	ds_write_b32 v219, v5
.LBB839_168:                            ;   in Loop: Header=BB839_106 Depth=2
	s_or_b64 exec, exec, s[36:37]
	s_waitcnt vmcnt(1)
	v_xor_b32_e32 v91, 0x80000000, v91
	v_lshrrev_b64 v[96:97], s33, v[90:91]
	v_and_b32_e32 v96, s69, v96
	v_mul_u32_u24_e32 v5, 5, v96
	v_add_lshl_u32 v5, v5, v181, 2
	; wave barrier
	v_add_u32_e32 v222, 0x410, v5
	ds_read_b32 v221, v5 offset:1040
	v_and_b32_e32 v5, 1, v96
	v_add_co_u32_e32 v97, vcc, -1, v5
	v_addc_co_u32_e64 v98, s[36:37], 0, -1, vcc
	v_cmp_ne_u32_e32 vcc, 0, v5
	v_xor_b32_e32 v5, vcc_hi, v98
	v_and_b32_e32 v98, exec_hi, v5
	v_lshlrev_b32_e32 v5, 30, v96
	v_xor_b32_e32 v97, vcc_lo, v97
	v_cmp_gt_i64_e32 vcc, 0, v[4:5]
	v_not_b32_e32 v5, v5
	v_ashrrev_i32_e32 v5, 31, v5
	v_and_b32_e32 v97, exec_lo, v97
	v_xor_b32_e32 v99, vcc_hi, v5
	v_xor_b32_e32 v5, vcc_lo, v5
	v_and_b32_e32 v97, v97, v5
	v_lshlrev_b32_e32 v5, 29, v96
	v_cmp_gt_i64_e32 vcc, 0, v[4:5]
	v_not_b32_e32 v5, v5
	v_ashrrev_i32_e32 v5, 31, v5
	v_and_b32_e32 v98, v98, v99
	v_xor_b32_e32 v99, vcc_hi, v5
	v_xor_b32_e32 v5, vcc_lo, v5
	v_and_b32_e32 v97, v97, v5
	v_lshlrev_b32_e32 v5, 28, v96
	v_cmp_gt_i64_e32 vcc, 0, v[4:5]
	v_not_b32_e32 v5, v5
	v_ashrrev_i32_e32 v5, 31, v5
	v_and_b32_e32 v98, v98, v99
	;; [unrolled: 8-line block ×5, first 2 shown]
	v_xor_b32_e32 v99, vcc_hi, v5
	v_xor_b32_e32 v5, vcc_lo, v5
	v_and_b32_e32 v98, v98, v99
	v_and_b32_e32 v99, v97, v5
	v_lshlrev_b32_e32 v5, 24, v96
	v_cmp_gt_i64_e32 vcc, 0, v[4:5]
	v_not_b32_e32 v5, v5
	v_ashrrev_i32_e32 v5, 31, v5
	v_xor_b32_e32 v96, vcc_hi, v5
	v_xor_b32_e32 v5, vcc_lo, v5
	v_and_b32_e32 v97, v98, v96
	v_and_b32_e32 v96, v99, v5
	v_mbcnt_lo_u32_b32 v5, v96, 0
	v_mbcnt_hi_u32_b32 v223, v97, v5
	v_cmp_eq_u32_e32 vcc, 0, v223
	v_cmp_ne_u64_e64 s[36:37], 0, v[96:97]
	s_and_b64 s[38:39], s[36:37], vcc
	; wave barrier
	s_and_saveexec_b64 s[36:37], s[38:39]
	s_cbranch_execz .LBB839_170
; %bb.169:                              ;   in Loop: Header=BB839_106 Depth=2
	v_bcnt_u32_b32 v5, v96, 0
	v_bcnt_u32_b32 v5, v97, v5
	s_waitcnt lgkmcnt(0)
	v_add_u32_e32 v5, v221, v5
	ds_write_b32 v222, v5
.LBB839_170:                            ;   in Loop: Header=BB839_106 Depth=2
	s_or_b64 exec, exec, s[36:37]
	s_waitcnt vmcnt(0)
	v_xor_b32_e32 v93, 0x80000000, v93
	v_lshrrev_b64 v[96:97], s33, v[92:93]
	v_and_b32_e32 v96, s69, v96
	v_mul_u32_u24_e32 v5, 5, v96
	v_add_lshl_u32 v5, v5, v181, 2
	; wave barrier
	v_add_u32_e32 v225, 0x410, v5
	ds_read_b32 v224, v5 offset:1040
	v_and_b32_e32 v5, 1, v96
	v_add_co_u32_e32 v97, vcc, -1, v5
	v_addc_co_u32_e64 v98, s[36:37], 0, -1, vcc
	v_cmp_ne_u32_e32 vcc, 0, v5
	v_xor_b32_e32 v5, vcc_hi, v98
	v_and_b32_e32 v98, exec_hi, v5
	v_lshlrev_b32_e32 v5, 30, v96
	v_xor_b32_e32 v97, vcc_lo, v97
	v_cmp_gt_i64_e32 vcc, 0, v[4:5]
	v_not_b32_e32 v5, v5
	v_ashrrev_i32_e32 v5, 31, v5
	v_and_b32_e32 v97, exec_lo, v97
	v_xor_b32_e32 v99, vcc_hi, v5
	v_xor_b32_e32 v5, vcc_lo, v5
	v_and_b32_e32 v97, v97, v5
	v_lshlrev_b32_e32 v5, 29, v96
	v_cmp_gt_i64_e32 vcc, 0, v[4:5]
	v_not_b32_e32 v5, v5
	v_ashrrev_i32_e32 v5, 31, v5
	v_and_b32_e32 v98, v98, v99
	v_xor_b32_e32 v99, vcc_hi, v5
	v_xor_b32_e32 v5, vcc_lo, v5
	v_and_b32_e32 v97, v97, v5
	v_lshlrev_b32_e32 v5, 28, v96
	v_cmp_gt_i64_e32 vcc, 0, v[4:5]
	v_not_b32_e32 v5, v5
	v_ashrrev_i32_e32 v5, 31, v5
	v_and_b32_e32 v98, v98, v99
	;; [unrolled: 8-line block ×5, first 2 shown]
	v_xor_b32_e32 v99, vcc_hi, v5
	v_xor_b32_e32 v5, vcc_lo, v5
	v_and_b32_e32 v98, v98, v99
	v_and_b32_e32 v99, v97, v5
	v_lshlrev_b32_e32 v5, 24, v96
	v_cmp_gt_i64_e32 vcc, 0, v[4:5]
	v_not_b32_e32 v5, v5
	v_ashrrev_i32_e32 v5, 31, v5
	v_xor_b32_e32 v96, vcc_hi, v5
	v_xor_b32_e32 v5, vcc_lo, v5
	v_and_b32_e32 v97, v98, v96
	v_and_b32_e32 v96, v99, v5
	v_mbcnt_lo_u32_b32 v5, v96, 0
	v_mbcnt_hi_u32_b32 v226, v97, v5
	v_cmp_eq_u32_e32 vcc, 0, v226
	v_cmp_ne_u64_e64 s[36:37], 0, v[96:97]
	s_and_b64 s[38:39], s[36:37], vcc
	; wave barrier
	s_and_saveexec_b64 s[36:37], s[38:39]
	s_cbranch_execz .LBB839_172
; %bb.171:                              ;   in Loop: Header=BB839_106 Depth=2
	v_bcnt_u32_b32 v5, v96, 0
	v_bcnt_u32_b32 v5, v97, v5
	s_waitcnt lgkmcnt(0)
	v_add_u32_e32 v5, v224, v5
	ds_write_b32 v225, v5
.LBB839_172:                            ;   in Loop: Header=BB839_106 Depth=2
	s_or_b64 exec, exec, s[36:37]
	v_xor_b32_e32 v95, 0x80000000, v95
	v_lshrrev_b64 v[96:97], s33, v[94:95]
	v_and_b32_e32 v96, s69, v96
	v_mul_u32_u24_e32 v5, 5, v96
	v_add_lshl_u32 v5, v5, v181, 2
	; wave barrier
	v_add_u32_e32 v228, 0x410, v5
	ds_read_b32 v227, v5 offset:1040
	v_and_b32_e32 v5, 1, v96
	v_add_co_u32_e32 v97, vcc, -1, v5
	v_addc_co_u32_e64 v98, s[36:37], 0, -1, vcc
	v_cmp_ne_u32_e32 vcc, 0, v5
	v_xor_b32_e32 v5, vcc_hi, v98
	v_and_b32_e32 v98, exec_hi, v5
	v_lshlrev_b32_e32 v5, 30, v96
	v_xor_b32_e32 v97, vcc_lo, v97
	v_cmp_gt_i64_e32 vcc, 0, v[4:5]
	v_not_b32_e32 v5, v5
	v_ashrrev_i32_e32 v5, 31, v5
	v_and_b32_e32 v97, exec_lo, v97
	v_xor_b32_e32 v99, vcc_hi, v5
	v_xor_b32_e32 v5, vcc_lo, v5
	v_and_b32_e32 v97, v97, v5
	v_lshlrev_b32_e32 v5, 29, v96
	v_cmp_gt_i64_e32 vcc, 0, v[4:5]
	v_not_b32_e32 v5, v5
	v_ashrrev_i32_e32 v5, 31, v5
	v_and_b32_e32 v98, v98, v99
	v_xor_b32_e32 v99, vcc_hi, v5
	v_xor_b32_e32 v5, vcc_lo, v5
	v_and_b32_e32 v97, v97, v5
	v_lshlrev_b32_e32 v5, 28, v96
	v_cmp_gt_i64_e32 vcc, 0, v[4:5]
	v_not_b32_e32 v5, v5
	v_ashrrev_i32_e32 v5, 31, v5
	v_and_b32_e32 v98, v98, v99
	;; [unrolled: 8-line block ×5, first 2 shown]
	v_xor_b32_e32 v99, vcc_hi, v5
	v_xor_b32_e32 v5, vcc_lo, v5
	v_and_b32_e32 v98, v98, v99
	v_and_b32_e32 v99, v97, v5
	v_lshlrev_b32_e32 v5, 24, v96
	v_cmp_gt_i64_e32 vcc, 0, v[4:5]
	v_not_b32_e32 v5, v5
	v_ashrrev_i32_e32 v5, 31, v5
	v_xor_b32_e32 v96, vcc_hi, v5
	v_xor_b32_e32 v5, vcc_lo, v5
	v_and_b32_e32 v97, v98, v96
	v_and_b32_e32 v96, v99, v5
	v_mbcnt_lo_u32_b32 v5, v96, 0
	v_mbcnt_hi_u32_b32 v229, v97, v5
	v_cmp_eq_u32_e32 vcc, 0, v229
	v_cmp_ne_u64_e64 s[36:37], 0, v[96:97]
	s_and_b64 s[38:39], s[36:37], vcc
	; wave barrier
	s_and_saveexec_b64 s[36:37], s[38:39]
	s_cbranch_execz .LBB839_174
; %bb.173:                              ;   in Loop: Header=BB839_106 Depth=2
	v_bcnt_u32_b32 v5, v96, 0
	v_bcnt_u32_b32 v5, v97, v5
	s_waitcnt lgkmcnt(0)
	v_add_u32_e32 v5, v227, v5
	ds_write_b32 v228, v5
.LBB839_174:                            ;   in Loop: Header=BB839_106 Depth=2
	s_or_b64 exec, exec, s[36:37]
	; wave barrier
	s_waitcnt lgkmcnt(0)
	s_barrier
	ds_read_b32 v5, v27 offset:1040
	ds_read2_b32 v[98:99], v31 offset0:1 offset1:2
	ds_read2_b32 v[96:97], v31 offset0:3 offset1:4
	s_waitcnt lgkmcnt(1)
	v_add3_u32 v230, v98, v5, v99
	s_waitcnt lgkmcnt(0)
	v_add3_u32 v97, v230, v96, v97
	s_nop 1
	v_mov_b32_dpp v230, v97 row_shr:1 row_mask:0xf bank_mask:0xf
	v_cndmask_b32_e64 v230, v230, 0, s[16:17]
	v_add_u32_e32 v97, v230, v97
	s_nop 1
	v_mov_b32_dpp v230, v97 row_shr:2 row_mask:0xf bank_mask:0xf
	v_cndmask_b32_e64 v230, 0, v230, s[18:19]
	v_add_u32_e32 v97, v97, v230
	;; [unrolled: 4-line block ×4, first 2 shown]
	s_nop 1
	v_mov_b32_dpp v230, v97 row_bcast:15 row_mask:0xf bank_mask:0xf
	v_cndmask_b32_e64 v230, v230, 0, s[24:25]
	v_add_u32_e32 v97, v97, v230
	s_nop 1
	v_mov_b32_dpp v230, v97 row_bcast:31 row_mask:0xf bank_mask:0xf
	v_cndmask_b32_e64 v230, 0, v230, s[26:27]
	v_add_u32_e32 v97, v97, v230
	s_and_saveexec_b64 s[36:37], s[6:7]
	s_cbranch_execz .LBB839_176
; %bb.175:                              ;   in Loop: Header=BB839_106 Depth=2
	ds_write_b32 v15, v97 offset:1024
.LBB839_176:                            ;   in Loop: Header=BB839_106 Depth=2
	s_or_b64 exec, exec, s[36:37]
	s_waitcnt lgkmcnt(0)
	s_barrier
	s_and_saveexec_b64 s[36:37], s[8:9]
	s_cbranch_execz .LBB839_178
; %bb.177:                              ;   in Loop: Header=BB839_106 Depth=2
	ds_read_b32 v230, v33 offset:1024
	s_waitcnt lgkmcnt(0)
	s_nop 0
	v_mov_b32_dpp v231, v230 row_shr:1 row_mask:0xf bank_mask:0xf
	v_cndmask_b32_e64 v231, v231, 0, s[30:31]
	v_add_u32_e32 v230, v231, v230
	s_nop 1
	v_mov_b32_dpp v231, v230 row_shr:2 row_mask:0xf bank_mask:0xf
	v_cndmask_b32_e64 v231, 0, v231, s[34:35]
	v_add_u32_e32 v230, v230, v231
	ds_write_b32 v33, v230 offset:1024
.LBB839_178:                            ;   in Loop: Header=BB839_106 Depth=2
	s_or_b64 exec, exec, s[36:37]
	v_mov_b32_e32 v230, 0
	s_waitcnt lgkmcnt(0)
	s_barrier
	s_and_saveexec_b64 s[36:37], s[10:11]
	s_cbranch_execz .LBB839_180
; %bb.179:                              ;   in Loop: Header=BB839_106 Depth=2
	ds_read_b32 v230, v15 offset:1020
.LBB839_180:                            ;   in Loop: Header=BB839_106 Depth=2
	s_or_b64 exec, exec, s[36:37]
	s_waitcnt lgkmcnt(0)
	v_add_u32_e32 v97, v230, v97
	ds_bpermute_b32 v97, v158, v97
	s_waitcnt lgkmcnt(0)
	v_cndmask_b32_e64 v97, v97, v230, s[28:29]
	v_cndmask_b32_e64 v97, v97, 0, s[12:13]
	v_add_u32_e32 v5, v97, v5
	ds_write_b32 v27, v97 offset:1040
	v_add_u32_e32 v97, v5, v98
	v_add_u32_e32 v98, v97, v99
	ds_write2_b32 v31, v5, v97 offset0:1 offset1:2
	v_add_u32_e32 v5, v98, v96
	ds_write2_b32 v31, v98, v5 offset0:3 offset1:4
	s_waitcnt lgkmcnt(0)
	s_barrier
	ds_read_b32 v97, v186
	ds_read_b32 v234, v189
	;; [unrolled: 1-line block ×16, first 2 shown]
	ds_read_b32 v183, v27 offset:1040
	v_mov_b32_e32 v5, 0x1000
	s_and_saveexec_b64 s[36:37], s[14:15]
	s_cbranch_execz .LBB839_182
; %bb.181:                              ;   in Loop: Header=BB839_106 Depth=2
	ds_read_b32 v5, v27 offset:1060
.LBB839_182:                            ;   in Loop: Header=BB839_106 Depth=2
	s_or_b64 exec, exec, s[36:37]
	s_waitcnt lgkmcnt(0)
	s_barrier
	s_and_saveexec_b64 s[36:37], s[4:5]
	s_cbranch_execz .LBB839_184
; %bb.183:                              ;   in Loop: Header=BB839_106 Depth=2
	ds_read_b32 v207, v3
	s_waitcnt lgkmcnt(0)
	v_sub_u32_e32 v183, v207, v183
	ds_write_b32 v3, v183
.LBB839_184:                            ;   in Loop: Header=BB839_106 Depth=2
	s_or_b64 exec, exec, s[36:37]
	v_add_u32_e32 v185, v187, v185
	v_add_u32_e32 v191, v193, v191
	;; [unrolled: 1-line block ×3, first 2 shown]
	v_add_lshl_u32 v96, v96, v184, 3
	v_add_lshl_u32 v97, v185, v97, 3
	v_add_u32_e32 v203, v205, v203
	v_add_u32_e32 v200, v202, v200
	;; [unrolled: 1-line block ×4, first 2 shown]
	ds_write_b64 v96, v[64:65] offset:1024
	ds_write_b64 v97, v[66:67] offset:1024
	v_add_lshl_u32 v66, v188, v234, 3
	v_add_lshl_u32 v67, v191, v233, 3
	v_add_u32_e32 v183, v229, v227
	v_add_u32_e32 v207, v226, v224
	;; [unrolled: 1-line block ×8, first 2 shown]
	ds_write_b64 v66, v[68:69] offset:1024
	ds_write_b64 v67, v[70:71] offset:1024
	v_add_lshl_u32 v68, v194, v232, 3
	v_add_lshl_u32 v69, v197, v231, 3
	;; [unrolled: 1-line block ×4, first 2 shown]
	ds_write_b64 v68, v[72:73] offset:1024
	ds_write_b64 v69, v[74:75] offset:1024
	;; [unrolled: 1-line block ×4, first 2 shown]
	v_add_lshl_u32 v72, v206, v201, 3
	v_add_lshl_u32 v73, v209, v198, 3
	;; [unrolled: 1-line block ×8, first 2 shown]
	v_cmp_lt_u32_e64 s[36:37], v2, v182
	ds_write_b64 v72, v[80:81] offset:1024
	ds_write_b64 v73, v[82:83] offset:1024
	;; [unrolled: 1-line block ×8, first 2 shown]
	s_waitcnt lgkmcnt(0)
	s_barrier
	s_and_saveexec_b64 s[38:39], s[36:37]
	s_cbranch_execz .LBB839_200
; %bb.185:                              ;   in Loop: Header=BB839_106 Depth=2
	v_add_u32_e32 v64, v33, v3
	ds_read_b64 v[64:65], v64 offset:1024
	v_mov_b32_e32 v82, s75
	s_waitcnt lgkmcnt(0)
	v_lshrrev_b64 v[80:81], s33, v[64:65]
	v_and_b32_e32 v80, s69, v80
	v_lshlrev_b32_e32 v80, 2, v80
	ds_read_b32 v80, v80
	v_mov_b32_e32 v81, v4
	v_xor_b32_e32 v65, 0x80000000, v65
	s_waitcnt lgkmcnt(0)
	v_add_u32_e32 v80, v80, v2
	v_lshlrev_b64 v[80:81], 3, v[80:81]
	v_add_co_u32_e32 v80, vcc, s74, v80
	v_addc_co_u32_e32 v81, vcc, v82, v81, vcc
	global_store_dwordx2 v[80:81], v[64:65], off
	s_or_b64 exec, exec, s[38:39]
	v_cmp_lt_u32_e64 s[38:39], v7, v182
	s_and_saveexec_b64 s[40:41], s[38:39]
	s_cbranch_execnz .LBB839_201
.LBB839_186:                            ;   in Loop: Header=BB839_106 Depth=2
	s_or_b64 exec, exec, s[40:41]
	v_cmp_lt_u32_e64 s[40:41], v6, v182
	s_and_saveexec_b64 s[42:43], s[40:41]
	s_cbranch_execz .LBB839_202
.LBB839_187:                            ;   in Loop: Header=BB839_106 Depth=2
	ds_read_b64 v[64:65], v104 offset:4096
	v_mov_b32_e32 v82, s75
	s_waitcnt lgkmcnt(0)
	v_lshrrev_b64 v[80:81], s33, v[64:65]
	v_and_b32_e32 v80, s69, v80
	v_lshlrev_b32_e32 v80, 2, v80
	ds_read_b32 v80, v80
	v_mov_b32_e32 v81, v4
	v_xor_b32_e32 v65, 0x80000000, v65
	s_waitcnt lgkmcnt(0)
	v_add_u32_e32 v80, v80, v6
	v_lshlrev_b64 v[80:81], 3, v[80:81]
	v_add_co_u32_e32 v80, vcc, s74, v80
	v_addc_co_u32_e32 v81, vcc, v82, v81, vcc
	global_store_dwordx2 v[80:81], v[64:65], off
	s_or_b64 exec, exec, s[42:43]
	v_cmp_lt_u32_e64 s[42:43], v8, v182
	s_and_saveexec_b64 s[44:45], s[42:43]
	s_cbranch_execnz .LBB839_203
.LBB839_188:                            ;   in Loop: Header=BB839_106 Depth=2
	s_or_b64 exec, exec, s[44:45]
	v_cmp_lt_u32_e64 s[44:45], v10, v182
	s_and_saveexec_b64 s[46:47], s[44:45]
	s_cbranch_execz .LBB839_204
.LBB839_189:                            ;   in Loop: Header=BB839_106 Depth=2
	ds_read_b64 v[64:65], v104 offset:8192
	v_mov_b32_e32 v82, s75
	s_waitcnt lgkmcnt(0)
	v_lshrrev_b64 v[80:81], s33, v[64:65]
	v_and_b32_e32 v80, s69, v80
	v_lshlrev_b32_e32 v80, 2, v80
	ds_read_b32 v80, v80
	v_mov_b32_e32 v81, v4
	v_xor_b32_e32 v65, 0x80000000, v65
	s_waitcnt lgkmcnt(0)
	v_add_u32_e32 v80, v80, v10
	v_lshlrev_b64 v[80:81], 3, v[80:81]
	v_add_co_u32_e32 v80, vcc, s74, v80
	v_addc_co_u32_e32 v81, vcc, v82, v81, vcc
	global_store_dwordx2 v[80:81], v[64:65], off
	s_or_b64 exec, exec, s[46:47]
	v_cmp_lt_u32_e64 s[46:47], v12, v182
	s_and_saveexec_b64 s[48:49], s[46:47]
	s_cbranch_execnz .LBB839_205
.LBB839_190:                            ;   in Loop: Header=BB839_106 Depth=2
	s_or_b64 exec, exec, s[48:49]
	v_cmp_lt_u32_e64 s[48:49], v14, v182
	s_and_saveexec_b64 s[50:51], s[48:49]
	s_cbranch_execz .LBB839_206
.LBB839_191:                            ;   in Loop: Header=BB839_106 Depth=2
	ds_read_b64 v[64:65], v104 offset:12288
	v_mov_b32_e32 v82, s75
	s_waitcnt lgkmcnt(0)
	v_lshrrev_b64 v[80:81], s33, v[64:65]
	v_and_b32_e32 v80, s69, v80
	v_lshlrev_b32_e32 v80, 2, v80
	ds_read_b32 v80, v80
	v_mov_b32_e32 v81, v4
	v_xor_b32_e32 v65, 0x80000000, v65
	s_waitcnt lgkmcnt(0)
	v_add_u32_e32 v80, v80, v14
	v_lshlrev_b64 v[80:81], 3, v[80:81]
	v_add_co_u32_e32 v80, vcc, s74, v80
	v_addc_co_u32_e32 v81, vcc, v82, v81, vcc
	global_store_dwordx2 v[80:81], v[64:65], off
	s_or_b64 exec, exec, s[50:51]
	v_cmp_lt_u32_e64 s[50:51], v16, v182
	s_and_saveexec_b64 s[52:53], s[50:51]
	s_cbranch_execnz .LBB839_207
.LBB839_192:                            ;   in Loop: Header=BB839_106 Depth=2
	s_or_b64 exec, exec, s[52:53]
	v_cmp_lt_u32_e64 s[52:53], v18, v182
	s_and_saveexec_b64 s[54:55], s[52:53]
	s_cbranch_execz .LBB839_208
.LBB839_193:                            ;   in Loop: Header=BB839_106 Depth=2
	ds_read_b64 v[64:65], v104 offset:16384
	v_mov_b32_e32 v82, s75
	s_waitcnt lgkmcnt(0)
	v_lshrrev_b64 v[80:81], s33, v[64:65]
	v_and_b32_e32 v80, s69, v80
	v_lshlrev_b32_e32 v80, 2, v80
	ds_read_b32 v80, v80
	v_mov_b32_e32 v81, v4
	v_xor_b32_e32 v65, 0x80000000, v65
	s_waitcnt lgkmcnt(0)
	v_add_u32_e32 v80, v80, v18
	v_lshlrev_b64 v[80:81], 3, v[80:81]
	v_add_co_u32_e32 v80, vcc, s74, v80
	v_addc_co_u32_e32 v81, vcc, v82, v81, vcc
	global_store_dwordx2 v[80:81], v[64:65], off
	s_or_b64 exec, exec, s[54:55]
	v_cmp_lt_u32_e64 s[54:55], v20, v182
	s_and_saveexec_b64 s[56:57], s[54:55]
	s_cbranch_execnz .LBB839_209
.LBB839_194:                            ;   in Loop: Header=BB839_106 Depth=2
	s_or_b64 exec, exec, s[56:57]
	v_cmp_lt_u32_e64 s[56:57], v22, v182
	s_and_saveexec_b64 s[58:59], s[56:57]
	s_cbranch_execz .LBB839_210
.LBB839_195:                            ;   in Loop: Header=BB839_106 Depth=2
	ds_read_b64 v[64:65], v104 offset:20480
	v_mov_b32_e32 v82, s75
	s_waitcnt lgkmcnt(0)
	v_lshrrev_b64 v[80:81], s33, v[64:65]
	v_and_b32_e32 v80, s69, v80
	v_lshlrev_b32_e32 v80, 2, v80
	ds_read_b32 v80, v80
	v_mov_b32_e32 v81, v4
	v_xor_b32_e32 v65, 0x80000000, v65
	s_waitcnt lgkmcnt(0)
	v_add_u32_e32 v80, v80, v22
	v_lshlrev_b64 v[80:81], 3, v[80:81]
	v_add_co_u32_e32 v80, vcc, s74, v80
	v_addc_co_u32_e32 v81, vcc, v82, v81, vcc
	global_store_dwordx2 v[80:81], v[64:65], off
	s_or_b64 exec, exec, s[58:59]
	v_cmp_lt_u32_e64 s[58:59], v24, v182
	s_and_saveexec_b64 s[60:61], s[58:59]
	s_cbranch_execnz .LBB839_211
.LBB839_196:                            ;   in Loop: Header=BB839_106 Depth=2
	s_or_b64 exec, exec, s[60:61]
	v_cmp_lt_u32_e64 s[60:61], v26, v182
	s_and_saveexec_b64 s[62:63], s[60:61]
	s_cbranch_execz .LBB839_212
.LBB839_197:                            ;   in Loop: Header=BB839_106 Depth=2
	ds_read_b64 v[64:65], v104 offset:24576
	v_mov_b32_e32 v82, s75
	s_waitcnt lgkmcnt(0)
	v_lshrrev_b64 v[80:81], s33, v[64:65]
	v_and_b32_e32 v80, s69, v80
	v_lshlrev_b32_e32 v80, 2, v80
	ds_read_b32 v80, v80
	v_mov_b32_e32 v81, v4
	v_xor_b32_e32 v65, 0x80000000, v65
	s_waitcnt lgkmcnt(0)
	v_add_u32_e32 v80, v80, v26
	v_lshlrev_b64 v[80:81], 3, v[80:81]
	v_add_co_u32_e32 v80, vcc, s74, v80
	v_addc_co_u32_e32 v81, vcc, v82, v81, vcc
	global_store_dwordx2 v[80:81], v[64:65], off
	s_or_b64 exec, exec, s[62:63]
	v_cmp_lt_u32_e64 s[62:63], v28, v182
	s_and_saveexec_b64 s[64:65], s[62:63]
	s_cbranch_execnz .LBB839_213
.LBB839_198:                            ;   in Loop: Header=BB839_106 Depth=2
	s_or_b64 exec, exec, s[64:65]
	v_cmp_lt_u32_e64 s[64:65], v30, v182
	s_and_saveexec_b64 s[66:67], s[64:65]
	s_cbranch_execz .LBB839_214
.LBB839_199:                            ;   in Loop: Header=BB839_106 Depth=2
	ds_read_b64 v[64:65], v104 offset:28672
	v_mov_b32_e32 v82, s75
	s_waitcnt lgkmcnt(0)
	v_lshrrev_b64 v[80:81], s33, v[64:65]
	v_and_b32_e32 v80, s69, v80
	v_lshlrev_b32_e32 v80, 2, v80
	ds_read_b32 v80, v80
	v_mov_b32_e32 v81, v4
	v_xor_b32_e32 v65, 0x80000000, v65
	s_waitcnt lgkmcnt(0)
	v_add_u32_e32 v80, v80, v30
	v_lshlrev_b64 v[80:81], 3, v[80:81]
	v_add_co_u32_e32 v80, vcc, s74, v80
	v_addc_co_u32_e32 v81, vcc, v82, v81, vcc
	global_store_dwordx2 v[80:81], v[64:65], off
	s_or_b64 exec, exec, s[66:67]
	v_cmp_lt_u32_e64 s[66:67], v32, v182
	s_and_saveexec_b64 s[92:93], s[66:67]
	s_cbranch_execnz .LBB839_215
	s_branch .LBB839_216
.LBB839_200:                            ;   in Loop: Header=BB839_106 Depth=2
	s_or_b64 exec, exec, s[38:39]
	v_cmp_lt_u32_e64 s[38:39], v7, v182
	s_and_saveexec_b64 s[40:41], s[38:39]
	s_cbranch_execz .LBB839_186
.LBB839_201:                            ;   in Loop: Header=BB839_106 Depth=2
	ds_read_b64 v[64:65], v104 offset:2048
	v_mov_b32_e32 v82, s75
	s_waitcnt lgkmcnt(0)
	v_lshrrev_b64 v[80:81], s33, v[64:65]
	v_and_b32_e32 v80, s69, v80
	v_lshlrev_b32_e32 v80, 2, v80
	ds_read_b32 v80, v80
	v_mov_b32_e32 v81, v4
	v_xor_b32_e32 v65, 0x80000000, v65
	s_waitcnt lgkmcnt(0)
	v_add_u32_e32 v80, v80, v7
	v_lshlrev_b64 v[80:81], 3, v[80:81]
	v_add_co_u32_e32 v80, vcc, s74, v80
	v_addc_co_u32_e32 v81, vcc, v82, v81, vcc
	global_store_dwordx2 v[80:81], v[64:65], off
	s_or_b64 exec, exec, s[40:41]
	v_cmp_lt_u32_e64 s[40:41], v6, v182
	s_and_saveexec_b64 s[42:43], s[40:41]
	s_cbranch_execnz .LBB839_187
.LBB839_202:                            ;   in Loop: Header=BB839_106 Depth=2
	s_or_b64 exec, exec, s[42:43]
	v_cmp_lt_u32_e64 s[42:43], v8, v182
	s_and_saveexec_b64 s[44:45], s[42:43]
	s_cbranch_execz .LBB839_188
.LBB839_203:                            ;   in Loop: Header=BB839_106 Depth=2
	ds_read_b64 v[64:65], v104 offset:6144
	v_mov_b32_e32 v82, s75
	s_waitcnt lgkmcnt(0)
	v_lshrrev_b64 v[80:81], s33, v[64:65]
	v_and_b32_e32 v80, s69, v80
	v_lshlrev_b32_e32 v80, 2, v80
	ds_read_b32 v80, v80
	v_mov_b32_e32 v81, v4
	v_xor_b32_e32 v65, 0x80000000, v65
	s_waitcnt lgkmcnt(0)
	v_add_u32_e32 v80, v80, v8
	v_lshlrev_b64 v[80:81], 3, v[80:81]
	v_add_co_u32_e32 v80, vcc, s74, v80
	v_addc_co_u32_e32 v81, vcc, v82, v81, vcc
	global_store_dwordx2 v[80:81], v[64:65], off
	s_or_b64 exec, exec, s[44:45]
	v_cmp_lt_u32_e64 s[44:45], v10, v182
	s_and_saveexec_b64 s[46:47], s[44:45]
	s_cbranch_execnz .LBB839_189
.LBB839_204:                            ;   in Loop: Header=BB839_106 Depth=2
	s_or_b64 exec, exec, s[46:47]
	v_cmp_lt_u32_e64 s[46:47], v12, v182
	s_and_saveexec_b64 s[48:49], s[46:47]
	s_cbranch_execz .LBB839_190
.LBB839_205:                            ;   in Loop: Header=BB839_106 Depth=2
	ds_read_b64 v[64:65], v104 offset:10240
	v_mov_b32_e32 v82, s75
	s_waitcnt lgkmcnt(0)
	v_lshrrev_b64 v[80:81], s33, v[64:65]
	v_and_b32_e32 v80, s69, v80
	v_lshlrev_b32_e32 v80, 2, v80
	ds_read_b32 v80, v80
	v_mov_b32_e32 v81, v4
	v_xor_b32_e32 v65, 0x80000000, v65
	s_waitcnt lgkmcnt(0)
	v_add_u32_e32 v80, v80, v12
	v_lshlrev_b64 v[80:81], 3, v[80:81]
	v_add_co_u32_e32 v80, vcc, s74, v80
	v_addc_co_u32_e32 v81, vcc, v82, v81, vcc
	global_store_dwordx2 v[80:81], v[64:65], off
	s_or_b64 exec, exec, s[48:49]
	v_cmp_lt_u32_e64 s[48:49], v14, v182
	s_and_saveexec_b64 s[50:51], s[48:49]
	s_cbranch_execnz .LBB839_191
.LBB839_206:                            ;   in Loop: Header=BB839_106 Depth=2
	s_or_b64 exec, exec, s[50:51]
	v_cmp_lt_u32_e64 s[50:51], v16, v182
	s_and_saveexec_b64 s[52:53], s[50:51]
	s_cbranch_execz .LBB839_192
.LBB839_207:                            ;   in Loop: Header=BB839_106 Depth=2
	ds_read_b64 v[64:65], v104 offset:14336
	v_mov_b32_e32 v82, s75
	s_waitcnt lgkmcnt(0)
	v_lshrrev_b64 v[80:81], s33, v[64:65]
	v_and_b32_e32 v80, s69, v80
	v_lshlrev_b32_e32 v80, 2, v80
	ds_read_b32 v80, v80
	v_mov_b32_e32 v81, v4
	v_xor_b32_e32 v65, 0x80000000, v65
	s_waitcnt lgkmcnt(0)
	v_add_u32_e32 v80, v80, v16
	v_lshlrev_b64 v[80:81], 3, v[80:81]
	v_add_co_u32_e32 v80, vcc, s74, v80
	v_addc_co_u32_e32 v81, vcc, v82, v81, vcc
	global_store_dwordx2 v[80:81], v[64:65], off
	s_or_b64 exec, exec, s[52:53]
	v_cmp_lt_u32_e64 s[52:53], v18, v182
	s_and_saveexec_b64 s[54:55], s[52:53]
	s_cbranch_execnz .LBB839_193
.LBB839_208:                            ;   in Loop: Header=BB839_106 Depth=2
	s_or_b64 exec, exec, s[54:55]
	v_cmp_lt_u32_e64 s[54:55], v20, v182
	s_and_saveexec_b64 s[56:57], s[54:55]
	s_cbranch_execz .LBB839_194
.LBB839_209:                            ;   in Loop: Header=BB839_106 Depth=2
	ds_read_b64 v[64:65], v104 offset:18432
	v_mov_b32_e32 v82, s75
	s_waitcnt lgkmcnt(0)
	v_lshrrev_b64 v[80:81], s33, v[64:65]
	v_and_b32_e32 v80, s69, v80
	v_lshlrev_b32_e32 v80, 2, v80
	ds_read_b32 v80, v80
	v_mov_b32_e32 v81, v4
	v_xor_b32_e32 v65, 0x80000000, v65
	s_waitcnt lgkmcnt(0)
	v_add_u32_e32 v80, v80, v20
	v_lshlrev_b64 v[80:81], 3, v[80:81]
	v_add_co_u32_e32 v80, vcc, s74, v80
	v_addc_co_u32_e32 v81, vcc, v82, v81, vcc
	global_store_dwordx2 v[80:81], v[64:65], off
	s_or_b64 exec, exec, s[56:57]
	v_cmp_lt_u32_e64 s[56:57], v22, v182
	s_and_saveexec_b64 s[58:59], s[56:57]
	s_cbranch_execnz .LBB839_195
.LBB839_210:                            ;   in Loop: Header=BB839_106 Depth=2
	s_or_b64 exec, exec, s[58:59]
	v_cmp_lt_u32_e64 s[58:59], v24, v182
	s_and_saveexec_b64 s[60:61], s[58:59]
	s_cbranch_execz .LBB839_196
.LBB839_211:                            ;   in Loop: Header=BB839_106 Depth=2
	ds_read_b64 v[64:65], v104 offset:22528
	v_mov_b32_e32 v82, s75
	s_waitcnt lgkmcnt(0)
	v_lshrrev_b64 v[80:81], s33, v[64:65]
	v_and_b32_e32 v80, s69, v80
	v_lshlrev_b32_e32 v80, 2, v80
	ds_read_b32 v80, v80
	v_mov_b32_e32 v81, v4
	v_xor_b32_e32 v65, 0x80000000, v65
	s_waitcnt lgkmcnt(0)
	v_add_u32_e32 v80, v80, v24
	v_lshlrev_b64 v[80:81], 3, v[80:81]
	v_add_co_u32_e32 v80, vcc, s74, v80
	v_addc_co_u32_e32 v81, vcc, v82, v81, vcc
	global_store_dwordx2 v[80:81], v[64:65], off
	s_or_b64 exec, exec, s[60:61]
	v_cmp_lt_u32_e64 s[60:61], v26, v182
	s_and_saveexec_b64 s[62:63], s[60:61]
	s_cbranch_execnz .LBB839_197
.LBB839_212:                            ;   in Loop: Header=BB839_106 Depth=2
	s_or_b64 exec, exec, s[62:63]
	v_cmp_lt_u32_e64 s[62:63], v28, v182
	s_and_saveexec_b64 s[64:65], s[62:63]
	s_cbranch_execz .LBB839_198
.LBB839_213:                            ;   in Loop: Header=BB839_106 Depth=2
	ds_read_b64 v[64:65], v104 offset:26624
	v_mov_b32_e32 v82, s75
	s_waitcnt lgkmcnt(0)
	v_lshrrev_b64 v[80:81], s33, v[64:65]
	v_and_b32_e32 v80, s69, v80
	v_lshlrev_b32_e32 v80, 2, v80
	ds_read_b32 v80, v80
	v_mov_b32_e32 v81, v4
	v_xor_b32_e32 v65, 0x80000000, v65
	s_waitcnt lgkmcnt(0)
	v_add_u32_e32 v80, v80, v28
	v_lshlrev_b64 v[80:81], 3, v[80:81]
	v_add_co_u32_e32 v80, vcc, s74, v80
	v_addc_co_u32_e32 v81, vcc, v82, v81, vcc
	global_store_dwordx2 v[80:81], v[64:65], off
	s_or_b64 exec, exec, s[64:65]
	v_cmp_lt_u32_e64 s[64:65], v30, v182
	s_and_saveexec_b64 s[66:67], s[64:65]
	s_cbranch_execnz .LBB839_199
.LBB839_214:                            ;   in Loop: Header=BB839_106 Depth=2
	s_or_b64 exec, exec, s[66:67]
	v_cmp_lt_u32_e64 s[66:67], v32, v182
	s_and_saveexec_b64 s[92:93], s[66:67]
	s_cbranch_execz .LBB839_216
.LBB839_215:                            ;   in Loop: Header=BB839_106 Depth=2
	ds_read_b64 v[64:65], v104 offset:30720
	v_mov_b32_e32 v82, s75
	s_waitcnt lgkmcnt(0)
	v_lshrrev_b64 v[80:81], s33, v[64:65]
	v_and_b32_e32 v80, s69, v80
	v_lshlrev_b32_e32 v80, 2, v80
	ds_read_b32 v80, v80
	v_mov_b32_e32 v81, v4
	v_xor_b32_e32 v65, 0x80000000, v65
	s_waitcnt lgkmcnt(0)
	v_add_u32_e32 v80, v80, v32
	v_lshlrev_b64 v[80:81], 3, v[80:81]
	v_add_co_u32_e32 v80, vcc, s74, v80
	v_addc_co_u32_e32 v81, vcc, v82, v81, vcc
	global_store_dwordx2 v[80:81], v[64:65], off
.LBB839_216:                            ;   in Loop: Header=BB839_106 Depth=2
	s_or_b64 exec, exec, s[92:93]
	s_lshl_b64 s[92:93], s[88:89], 3
	v_mov_b32_e32 v65, s93
	v_add_co_u32_e32 v64, vcc, s92, v159
	v_addc_co_u32_e32 v65, vcc, v160, v65, vcc
	v_cmp_lt_u32_e32 vcc, v142, v182
	s_and_saveexec_b64 s[92:93], vcc
	s_xor_b64 s[92:93], exec, s[92:93]
	s_cbranch_execz .LBB839_248
; %bb.217:                              ;   in Loop: Header=BB839_106 Depth=2
	global_load_dwordx2 v[62:63], v[64:65], off
	s_or_b64 exec, exec, s[92:93]
	v_cmp_lt_u32_e32 vcc, v143, v182
	s_and_saveexec_b64 s[92:93], vcc
	s_cbranch_execnz .LBB839_249
.LBB839_218:                            ;   in Loop: Header=BB839_106 Depth=2
	s_or_b64 exec, exec, s[92:93]
	v_cmp_lt_u32_e32 vcc, v144, v182
	s_and_saveexec_b64 s[92:93], vcc
	s_cbranch_execz .LBB839_250
.LBB839_219:                            ;   in Loop: Header=BB839_106 Depth=2
	global_load_dwordx2 v[56:57], v[64:65], off offset:1024
	s_or_b64 exec, exec, s[92:93]
	v_cmp_lt_u32_e32 vcc, v145, v182
	s_and_saveexec_b64 s[92:93], vcc
	s_cbranch_execnz .LBB839_251
.LBB839_220:                            ;   in Loop: Header=BB839_106 Depth=2
	s_or_b64 exec, exec, s[92:93]
	v_cmp_lt_u32_e32 vcc, v146, v182
	s_and_saveexec_b64 s[92:93], vcc
	s_cbranch_execz .LBB839_252
.LBB839_221:                            ;   in Loop: Header=BB839_106 Depth=2
	global_load_dwordx2 v[48:49], v[64:65], off offset:2048
	s_or_b64 exec, exec, s[92:93]
	v_cmp_lt_u32_e32 vcc, v147, v182
	s_and_saveexec_b64 s[92:93], vcc
	s_cbranch_execnz .LBB839_253
.LBB839_222:                            ;   in Loop: Header=BB839_106 Depth=2
	s_or_b64 exec, exec, s[92:93]
	v_cmp_lt_u32_e32 vcc, v148, v182
	s_and_saveexec_b64 s[92:93], vcc
	s_cbranch_execz .LBB839_254
.LBB839_223:                            ;   in Loop: Header=BB839_106 Depth=2
	global_load_dwordx2 v[40:41], v[64:65], off offset:3072
	s_or_b64 exec, exec, s[92:93]
	v_cmp_lt_u32_e32 vcc, v149, v182
	s_and_saveexec_b64 s[92:93], vcc
	s_cbranch_execnz .LBB839_255
.LBB839_224:                            ;   in Loop: Header=BB839_106 Depth=2
	s_or_b64 exec, exec, s[92:93]
	v_cmp_lt_u32_e32 vcc, v150, v182
	s_and_saveexec_b64 s[92:93], vcc
	s_cbranch_execz .LBB839_256
.LBB839_225:                            ;   in Loop: Header=BB839_106 Depth=2
	v_add_co_u32_e32 v58, vcc, 0x1000, v64
	v_addc_co_u32_e32 v59, vcc, 0, v65, vcc
	global_load_dwordx2 v[58:59], v[58:59], off
	s_or_b64 exec, exec, s[92:93]
	v_cmp_lt_u32_e32 vcc, v151, v182
	s_and_saveexec_b64 s[92:93], vcc
	s_cbranch_execnz .LBB839_257
.LBB839_226:                            ;   in Loop: Header=BB839_106 Depth=2
	s_or_b64 exec, exec, s[92:93]
	v_cmp_lt_u32_e32 vcc, v152, v182
	s_and_saveexec_b64 s[92:93], vcc
	s_cbranch_execz .LBB839_258
.LBB839_227:                            ;   in Loop: Header=BB839_106 Depth=2
	v_add_co_u32_e32 v50, vcc, 0x1000, v64
	v_addc_co_u32_e32 v51, vcc, 0, v65, vcc
	global_load_dwordx2 v[50:51], v[50:51], off offset:1024
	s_or_b64 exec, exec, s[92:93]
	v_cmp_lt_u32_e32 vcc, v153, v182
	s_and_saveexec_b64 s[92:93], vcc
	s_cbranch_execnz .LBB839_259
.LBB839_228:                            ;   in Loop: Header=BB839_106 Depth=2
	s_or_b64 exec, exec, s[92:93]
	v_cmp_lt_u32_e32 vcc, v154, v182
	s_and_saveexec_b64 s[92:93], vcc
	s_cbranch_execz .LBB839_260
.LBB839_229:                            ;   in Loop: Header=BB839_106 Depth=2
	v_add_co_u32_e32 v42, vcc, 0x1000, v64
	v_addc_co_u32_e32 v43, vcc, 0, v65, vcc
	global_load_dwordx2 v[42:43], v[42:43], off offset:2048
	s_or_b64 exec, exec, s[92:93]
	v_cmp_lt_u32_e32 vcc, v155, v182
	s_and_saveexec_b64 s[92:93], vcc
	s_cbranch_execnz .LBB839_261
.LBB839_230:                            ;   in Loop: Header=BB839_106 Depth=2
	s_or_b64 exec, exec, s[92:93]
	v_cmp_lt_u32_e32 vcc, v156, v182
	s_and_saveexec_b64 s[92:93], vcc
	s_cbranch_execz .LBB839_262
.LBB839_231:                            ;   in Loop: Header=BB839_106 Depth=2
	v_add_co_u32_e32 v34, vcc, 0x1000, v64
	v_addc_co_u32_e32 v35, vcc, 0, v65, vcc
	global_load_dwordx2 v[34:35], v[34:35], off offset:3072
	s_or_b64 exec, exec, s[92:93]
	v_cmp_lt_u32_e32 vcc, v157, v182
	s_and_saveexec_b64 s[92:93], vcc
	s_cbranch_execnz .LBB839_263
.LBB839_232:                            ;   in Loop: Header=BB839_106 Depth=2
	s_or_b64 exec, exec, s[92:93]
	s_and_saveexec_b64 s[92:93], s[36:37]
	s_cbranch_execz .LBB839_264
.LBB839_233:                            ;   in Loop: Header=BB839_106 Depth=2
	v_add_u32_e32 v64, v33, v3
	ds_read_b64 v[64:65], v64 offset:1024
	s_waitcnt lgkmcnt(0)
	v_lshrrev_b64 v[64:65], s33, v[64:65]
	v_and_b32_e32 v180, s69, v64
	s_or_b64 exec, exec, s[92:93]
	s_and_saveexec_b64 s[92:93], s[38:39]
	s_cbranch_execnz .LBB839_265
.LBB839_234:                            ;   in Loop: Header=BB839_106 Depth=2
	s_or_b64 exec, exec, s[92:93]
	s_and_saveexec_b64 s[92:93], s[40:41]
	s_cbranch_execz .LBB839_266
.LBB839_235:                            ;   in Loop: Header=BB839_106 Depth=2
	ds_read_b64 v[64:65], v104 offset:4096
	s_waitcnt lgkmcnt(0)
	v_lshrrev_b64 v[64:65], s33, v[64:65]
	v_and_b32_e32 v177, s69, v64
	s_or_b64 exec, exec, s[92:93]
	s_and_saveexec_b64 s[92:93], s[42:43]
	s_cbranch_execnz .LBB839_267
.LBB839_236:                            ;   in Loop: Header=BB839_106 Depth=2
	s_or_b64 exec, exec, s[92:93]
	s_and_saveexec_b64 s[92:93], s[44:45]
	s_cbranch_execz .LBB839_268
.LBB839_237:                            ;   in Loop: Header=BB839_106 Depth=2
	ds_read_b64 v[64:65], v104 offset:8192
	s_waitcnt lgkmcnt(0)
	v_lshrrev_b64 v[64:65], s33, v[64:65]
	v_and_b32_e32 v174, s69, v64
	s_or_b64 exec, exec, s[92:93]
	s_and_saveexec_b64 s[92:93], s[46:47]
	s_cbranch_execnz .LBB839_269
.LBB839_238:                            ;   in Loop: Header=BB839_106 Depth=2
	s_or_b64 exec, exec, s[92:93]
	s_and_saveexec_b64 s[92:93], s[48:49]
	s_cbranch_execz .LBB839_270
.LBB839_239:                            ;   in Loop: Header=BB839_106 Depth=2
	ds_read_b64 v[64:65], v104 offset:12288
	s_waitcnt lgkmcnt(0)
	v_lshrrev_b64 v[64:65], s33, v[64:65]
	v_and_b32_e32 v172, s69, v64
	s_or_b64 exec, exec, s[92:93]
	s_and_saveexec_b64 s[92:93], s[50:51]
	s_cbranch_execnz .LBB839_271
.LBB839_240:                            ;   in Loop: Header=BB839_106 Depth=2
	s_or_b64 exec, exec, s[92:93]
	s_and_saveexec_b64 s[92:93], s[52:53]
	s_cbranch_execz .LBB839_272
.LBB839_241:                            ;   in Loop: Header=BB839_106 Depth=2
	ds_read_b64 v[64:65], v104 offset:16384
	s_waitcnt lgkmcnt(0)
	v_lshrrev_b64 v[64:65], s33, v[64:65]
	v_and_b32_e32 v170, s69, v64
	s_or_b64 exec, exec, s[92:93]
	s_and_saveexec_b64 s[92:93], s[54:55]
	s_cbranch_execnz .LBB839_273
.LBB839_242:                            ;   in Loop: Header=BB839_106 Depth=2
	s_or_b64 exec, exec, s[92:93]
	s_and_saveexec_b64 s[92:93], s[56:57]
	s_cbranch_execz .LBB839_274
.LBB839_243:                            ;   in Loop: Header=BB839_106 Depth=2
	ds_read_b64 v[64:65], v104 offset:20480
	s_waitcnt lgkmcnt(0)
	v_lshrrev_b64 v[64:65], s33, v[64:65]
	v_and_b32_e32 v168, s69, v64
	s_or_b64 exec, exec, s[92:93]
	s_and_saveexec_b64 s[92:93], s[58:59]
	s_cbranch_execnz .LBB839_275
.LBB839_244:                            ;   in Loop: Header=BB839_106 Depth=2
	s_or_b64 exec, exec, s[92:93]
	s_and_saveexec_b64 s[92:93], s[60:61]
	s_cbranch_execz .LBB839_276
.LBB839_245:                            ;   in Loop: Header=BB839_106 Depth=2
	ds_read_b64 v[64:65], v104 offset:24576
	s_waitcnt lgkmcnt(0)
	v_lshrrev_b64 v[64:65], s33, v[64:65]
	v_and_b32_e32 v166, s69, v64
	s_or_b64 exec, exec, s[92:93]
	s_and_saveexec_b64 s[92:93], s[62:63]
	s_cbranch_execnz .LBB839_277
.LBB839_246:                            ;   in Loop: Header=BB839_106 Depth=2
	s_or_b64 exec, exec, s[92:93]
	s_and_saveexec_b64 s[92:93], s[64:65]
	s_cbranch_execz .LBB839_278
.LBB839_247:                            ;   in Loop: Header=BB839_106 Depth=2
	ds_read_b64 v[64:65], v104 offset:28672
	s_waitcnt lgkmcnt(0)
	v_lshrrev_b64 v[64:65], s33, v[64:65]
	v_and_b32_e32 v164, s69, v64
	s_or_b64 exec, exec, s[92:93]
	s_and_saveexec_b64 s[92:93], s[66:67]
	s_cbranch_execnz .LBB839_279
	s_branch .LBB839_280
.LBB839_248:                            ;   in Loop: Header=BB839_106 Depth=2
	s_or_b64 exec, exec, s[92:93]
	v_cmp_lt_u32_e32 vcc, v143, v182
	s_and_saveexec_b64 s[92:93], vcc
	s_cbranch_execz .LBB839_218
.LBB839_249:                            ;   in Loop: Header=BB839_106 Depth=2
	global_load_dwordx2 v[60:61], v[64:65], off offset:512
	s_or_b64 exec, exec, s[92:93]
	v_cmp_lt_u32_e32 vcc, v144, v182
	s_and_saveexec_b64 s[92:93], vcc
	s_cbranch_execnz .LBB839_219
.LBB839_250:                            ;   in Loop: Header=BB839_106 Depth=2
	s_or_b64 exec, exec, s[92:93]
	v_cmp_lt_u32_e32 vcc, v145, v182
	s_and_saveexec_b64 s[92:93], vcc
	s_cbranch_execz .LBB839_220
.LBB839_251:                            ;   in Loop: Header=BB839_106 Depth=2
	global_load_dwordx2 v[52:53], v[64:65], off offset:1536
	s_or_b64 exec, exec, s[92:93]
	v_cmp_lt_u32_e32 vcc, v146, v182
	s_and_saveexec_b64 s[92:93], vcc
	s_cbranch_execnz .LBB839_221
.LBB839_252:                            ;   in Loop: Header=BB839_106 Depth=2
	s_or_b64 exec, exec, s[92:93]
	v_cmp_lt_u32_e32 vcc, v147, v182
	s_and_saveexec_b64 s[92:93], vcc
	s_cbranch_execz .LBB839_222
.LBB839_253:                            ;   in Loop: Header=BB839_106 Depth=2
	global_load_dwordx2 v[44:45], v[64:65], off offset:2560
	s_or_b64 exec, exec, s[92:93]
	v_cmp_lt_u32_e32 vcc, v148, v182
	s_and_saveexec_b64 s[92:93], vcc
	s_cbranch_execnz .LBB839_223
.LBB839_254:                            ;   in Loop: Header=BB839_106 Depth=2
	s_or_b64 exec, exec, s[92:93]
	v_cmp_lt_u32_e32 vcc, v149, v182
	s_and_saveexec_b64 s[92:93], vcc
	s_cbranch_execz .LBB839_224
.LBB839_255:                            ;   in Loop: Header=BB839_106 Depth=2
	global_load_dwordx2 v[36:37], v[64:65], off offset:3584
	s_or_b64 exec, exec, s[92:93]
	v_cmp_lt_u32_e32 vcc, v150, v182
	s_and_saveexec_b64 s[92:93], vcc
	s_cbranch_execnz .LBB839_225
.LBB839_256:                            ;   in Loop: Header=BB839_106 Depth=2
	s_or_b64 exec, exec, s[92:93]
	v_cmp_lt_u32_e32 vcc, v151, v182
	s_and_saveexec_b64 s[92:93], vcc
	s_cbranch_execz .LBB839_226
.LBB839_257:                            ;   in Loop: Header=BB839_106 Depth=2
	v_add_co_u32_e32 v54, vcc, 0x1000, v64
	v_addc_co_u32_e32 v55, vcc, 0, v65, vcc
	global_load_dwordx2 v[54:55], v[54:55], off offset:512
	s_or_b64 exec, exec, s[92:93]
	v_cmp_lt_u32_e32 vcc, v152, v182
	s_and_saveexec_b64 s[92:93], vcc
	s_cbranch_execnz .LBB839_227
.LBB839_258:                            ;   in Loop: Header=BB839_106 Depth=2
	s_or_b64 exec, exec, s[92:93]
	v_cmp_lt_u32_e32 vcc, v153, v182
	s_and_saveexec_b64 s[92:93], vcc
	s_cbranch_execz .LBB839_228
.LBB839_259:                            ;   in Loop: Header=BB839_106 Depth=2
	v_add_co_u32_e32 v46, vcc, 0x1000, v64
	v_addc_co_u32_e32 v47, vcc, 0, v65, vcc
	global_load_dwordx2 v[46:47], v[46:47], off offset:1536
	s_or_b64 exec, exec, s[92:93]
	v_cmp_lt_u32_e32 vcc, v154, v182
	s_and_saveexec_b64 s[92:93], vcc
	s_cbranch_execnz .LBB839_229
.LBB839_260:                            ;   in Loop: Header=BB839_106 Depth=2
	s_or_b64 exec, exec, s[92:93]
	v_cmp_lt_u32_e32 vcc, v155, v182
	s_and_saveexec_b64 s[92:93], vcc
	s_cbranch_execz .LBB839_230
.LBB839_261:                            ;   in Loop: Header=BB839_106 Depth=2
	v_add_co_u32_e32 v38, vcc, 0x1000, v64
	v_addc_co_u32_e32 v39, vcc, 0, v65, vcc
	global_load_dwordx2 v[38:39], v[38:39], off offset:2560
	s_or_b64 exec, exec, s[92:93]
	v_cmp_lt_u32_e32 vcc, v156, v182
	s_and_saveexec_b64 s[92:93], vcc
	s_cbranch_execnz .LBB839_231
.LBB839_262:                            ;   in Loop: Header=BB839_106 Depth=2
	s_or_b64 exec, exec, s[92:93]
	v_cmp_lt_u32_e32 vcc, v157, v182
	s_and_saveexec_b64 s[92:93], vcc
	s_cbranch_execz .LBB839_232
.LBB839_263:                            ;   in Loop: Header=BB839_106 Depth=2
	v_add_co_u32_e32 v0, vcc, 0x1000, v64
	v_addc_co_u32_e32 v1, vcc, 0, v65, vcc
	global_load_dwordx2 v[0:1], v[0:1], off offset:3584
	s_or_b64 exec, exec, s[92:93]
	s_and_saveexec_b64 s[92:93], s[36:37]
	s_cbranch_execnz .LBB839_233
.LBB839_264:                            ;   in Loop: Header=BB839_106 Depth=2
	s_or_b64 exec, exec, s[92:93]
	s_and_saveexec_b64 s[92:93], s[38:39]
	s_cbranch_execz .LBB839_234
.LBB839_265:                            ;   in Loop: Header=BB839_106 Depth=2
	ds_read_b64 v[64:65], v104 offset:2048
	s_waitcnt lgkmcnt(0)
	v_lshrrev_b64 v[64:65], s33, v[64:65]
	v_and_b32_e32 v178, s69, v64
	s_or_b64 exec, exec, s[92:93]
	s_and_saveexec_b64 s[92:93], s[40:41]
	s_cbranch_execnz .LBB839_235
.LBB839_266:                            ;   in Loop: Header=BB839_106 Depth=2
	s_or_b64 exec, exec, s[92:93]
	s_and_saveexec_b64 s[92:93], s[42:43]
	s_cbranch_execz .LBB839_236
.LBB839_267:                            ;   in Loop: Header=BB839_106 Depth=2
	ds_read_b64 v[64:65], v104 offset:6144
	s_waitcnt lgkmcnt(0)
	v_lshrrev_b64 v[64:65], s33, v[64:65]
	v_and_b32_e32 v175, s69, v64
	s_or_b64 exec, exec, s[92:93]
	s_and_saveexec_b64 s[92:93], s[44:45]
	s_cbranch_execnz .LBB839_237
.LBB839_268:                            ;   in Loop: Header=BB839_106 Depth=2
	s_or_b64 exec, exec, s[92:93]
	s_and_saveexec_b64 s[92:93], s[46:47]
	s_cbranch_execz .LBB839_238
.LBB839_269:                            ;   in Loop: Header=BB839_106 Depth=2
	ds_read_b64 v[64:65], v104 offset:10240
	s_waitcnt lgkmcnt(0)
	v_lshrrev_b64 v[64:65], s33, v[64:65]
	v_and_b32_e32 v173, s69, v64
	s_or_b64 exec, exec, s[92:93]
	s_and_saveexec_b64 s[92:93], s[48:49]
	s_cbranch_execnz .LBB839_239
.LBB839_270:                            ;   in Loop: Header=BB839_106 Depth=2
	s_or_b64 exec, exec, s[92:93]
	s_and_saveexec_b64 s[92:93], s[50:51]
	s_cbranch_execz .LBB839_240
.LBB839_271:                            ;   in Loop: Header=BB839_106 Depth=2
	ds_read_b64 v[64:65], v104 offset:14336
	s_waitcnt lgkmcnt(0)
	v_lshrrev_b64 v[64:65], s33, v[64:65]
	v_and_b32_e32 v171, s69, v64
	s_or_b64 exec, exec, s[92:93]
	s_and_saveexec_b64 s[92:93], s[52:53]
	s_cbranch_execnz .LBB839_241
.LBB839_272:                            ;   in Loop: Header=BB839_106 Depth=2
	s_or_b64 exec, exec, s[92:93]
	s_and_saveexec_b64 s[92:93], s[54:55]
	s_cbranch_execz .LBB839_242
.LBB839_273:                            ;   in Loop: Header=BB839_106 Depth=2
	ds_read_b64 v[64:65], v104 offset:18432
	s_waitcnt lgkmcnt(0)
	v_lshrrev_b64 v[64:65], s33, v[64:65]
	v_and_b32_e32 v169, s69, v64
	s_or_b64 exec, exec, s[92:93]
	s_and_saveexec_b64 s[92:93], s[56:57]
	s_cbranch_execnz .LBB839_243
.LBB839_274:                            ;   in Loop: Header=BB839_106 Depth=2
	s_or_b64 exec, exec, s[92:93]
	s_and_saveexec_b64 s[92:93], s[58:59]
	s_cbranch_execz .LBB839_244
.LBB839_275:                            ;   in Loop: Header=BB839_106 Depth=2
	ds_read_b64 v[64:65], v104 offset:22528
	s_waitcnt lgkmcnt(0)
	v_lshrrev_b64 v[64:65], s33, v[64:65]
	v_and_b32_e32 v167, s69, v64
	s_or_b64 exec, exec, s[92:93]
	s_and_saveexec_b64 s[92:93], s[60:61]
	s_cbranch_execnz .LBB839_245
.LBB839_276:                            ;   in Loop: Header=BB839_106 Depth=2
	s_or_b64 exec, exec, s[92:93]
	s_and_saveexec_b64 s[92:93], s[62:63]
	s_cbranch_execz .LBB839_246
.LBB839_277:                            ;   in Loop: Header=BB839_106 Depth=2
	ds_read_b64 v[64:65], v104 offset:26624
	s_waitcnt lgkmcnt(0)
	v_lshrrev_b64 v[64:65], s33, v[64:65]
	v_and_b32_e32 v165, s69, v64
	s_or_b64 exec, exec, s[92:93]
	s_and_saveexec_b64 s[92:93], s[64:65]
	s_cbranch_execnz .LBB839_247
.LBB839_278:                            ;   in Loop: Header=BB839_106 Depth=2
	s_or_b64 exec, exec, s[92:93]
	s_and_saveexec_b64 s[92:93], s[66:67]
	s_cbranch_execz .LBB839_280
.LBB839_279:                            ;   in Loop: Header=BB839_106 Depth=2
	ds_read_b64 v[64:65], v104 offset:30720
	s_waitcnt lgkmcnt(0)
	v_lshrrev_b64 v[64:65], s33, v[64:65]
	v_and_b32_e32 v163, s69, v64
.LBB839_280:                            ;   in Loop: Header=BB839_106 Depth=2
	s_or_b64 exec, exec, s[92:93]
	v_add_u32_e32 v64, 0x400, v96
	v_add_u32_e32 v65, 0x400, v97
	;; [unrolled: 1-line block ×16, first 2 shown]
	s_barrier
	s_waitcnt vmcnt(0)
	ds_write_b64 v64, v[62:63]
	ds_write_b64 v65, v[60:61]
	;; [unrolled: 1-line block ×16, first 2 shown]
	s_waitcnt lgkmcnt(0)
	s_barrier
	s_and_saveexec_b64 s[92:93], s[36:37]
	s_cbranch_execz .LBB839_296
; %bb.281:                              ;   in Loop: Header=BB839_106 Depth=2
	v_lshlrev_b32_e32 v64, 2, v180
	ds_read_b32 v66, v64
	v_add_u32_e32 v64, v33, v3
	ds_read_b64 v[64:65], v64 offset:1024
	v_mov_b32_e32 v67, v4
	v_mov_b32_e32 v68, s81
	s_waitcnt lgkmcnt(1)
	v_add_u32_e32 v66, v66, v2
	v_lshlrev_b64 v[66:67], 3, v[66:67]
	v_add_co_u32_e32 v66, vcc, s80, v66
	v_addc_co_u32_e32 v67, vcc, v68, v67, vcc
	s_waitcnt lgkmcnt(0)
	global_store_dwordx2 v[66:67], v[64:65], off
	s_or_b64 exec, exec, s[92:93]
	s_and_saveexec_b64 s[36:37], s[38:39]
	s_cbranch_execnz .LBB839_297
.LBB839_282:                            ;   in Loop: Header=BB839_106 Depth=2
	s_or_b64 exec, exec, s[36:37]
	s_and_saveexec_b64 s[36:37], s[40:41]
	s_cbranch_execz .LBB839_298
.LBB839_283:                            ;   in Loop: Header=BB839_106 Depth=2
	v_lshlrev_b32_e32 v64, 2, v177
	ds_read_b32 v66, v64
	ds_read_b64 v[64:65], v104 offset:4096
	v_mov_b32_e32 v67, v4
	v_mov_b32_e32 v68, s81
	s_waitcnt lgkmcnt(1)
	v_add_u32_e32 v66, v66, v6
	v_lshlrev_b64 v[66:67], 3, v[66:67]
	v_add_co_u32_e32 v66, vcc, s80, v66
	v_addc_co_u32_e32 v67, vcc, v68, v67, vcc
	s_waitcnt lgkmcnt(0)
	global_store_dwordx2 v[66:67], v[64:65], off
	s_or_b64 exec, exec, s[36:37]
	s_and_saveexec_b64 s[36:37], s[42:43]
	s_cbranch_execnz .LBB839_299
.LBB839_284:                            ;   in Loop: Header=BB839_106 Depth=2
	s_or_b64 exec, exec, s[36:37]
	s_and_saveexec_b64 s[36:37], s[44:45]
	s_cbranch_execz .LBB839_300
.LBB839_285:                            ;   in Loop: Header=BB839_106 Depth=2
	v_lshlrev_b32_e32 v64, 2, v174
	ds_read_b32 v66, v64
	ds_read_b64 v[64:65], v104 offset:8192
	v_mov_b32_e32 v67, v4
	v_mov_b32_e32 v68, s81
	s_waitcnt lgkmcnt(1)
	v_add_u32_e32 v66, v66, v10
	v_lshlrev_b64 v[66:67], 3, v[66:67]
	v_add_co_u32_e32 v66, vcc, s80, v66
	v_addc_co_u32_e32 v67, vcc, v68, v67, vcc
	s_waitcnt lgkmcnt(0)
	global_store_dwordx2 v[66:67], v[64:65], off
	s_or_b64 exec, exec, s[36:37]
	s_and_saveexec_b64 s[36:37], s[46:47]
	s_cbranch_execnz .LBB839_301
.LBB839_286:                            ;   in Loop: Header=BB839_106 Depth=2
	s_or_b64 exec, exec, s[36:37]
	s_and_saveexec_b64 s[36:37], s[48:49]
	s_cbranch_execz .LBB839_302
.LBB839_287:                            ;   in Loop: Header=BB839_106 Depth=2
	v_lshlrev_b32_e32 v64, 2, v172
	ds_read_b32 v66, v64
	ds_read_b64 v[64:65], v104 offset:12288
	v_mov_b32_e32 v67, v4
	v_mov_b32_e32 v68, s81
	s_waitcnt lgkmcnt(1)
	v_add_u32_e32 v66, v66, v14
	v_lshlrev_b64 v[66:67], 3, v[66:67]
	v_add_co_u32_e32 v66, vcc, s80, v66
	v_addc_co_u32_e32 v67, vcc, v68, v67, vcc
	s_waitcnt lgkmcnt(0)
	global_store_dwordx2 v[66:67], v[64:65], off
	s_or_b64 exec, exec, s[36:37]
	s_and_saveexec_b64 s[36:37], s[50:51]
	s_cbranch_execnz .LBB839_303
.LBB839_288:                            ;   in Loop: Header=BB839_106 Depth=2
	s_or_b64 exec, exec, s[36:37]
	s_and_saveexec_b64 s[36:37], s[52:53]
	s_cbranch_execz .LBB839_304
.LBB839_289:                            ;   in Loop: Header=BB839_106 Depth=2
	v_lshlrev_b32_e32 v64, 2, v170
	ds_read_b32 v66, v64
	ds_read_b64 v[64:65], v104 offset:16384
	v_mov_b32_e32 v67, v4
	v_mov_b32_e32 v68, s81
	s_waitcnt lgkmcnt(1)
	v_add_u32_e32 v66, v66, v18
	v_lshlrev_b64 v[66:67], 3, v[66:67]
	v_add_co_u32_e32 v66, vcc, s80, v66
	v_addc_co_u32_e32 v67, vcc, v68, v67, vcc
	s_waitcnt lgkmcnt(0)
	global_store_dwordx2 v[66:67], v[64:65], off
	s_or_b64 exec, exec, s[36:37]
	s_and_saveexec_b64 s[36:37], s[54:55]
	s_cbranch_execnz .LBB839_305
.LBB839_290:                            ;   in Loop: Header=BB839_106 Depth=2
	s_or_b64 exec, exec, s[36:37]
	s_and_saveexec_b64 s[36:37], s[56:57]
	s_cbranch_execz .LBB839_306
.LBB839_291:                            ;   in Loop: Header=BB839_106 Depth=2
	v_lshlrev_b32_e32 v64, 2, v168
	ds_read_b32 v66, v64
	ds_read_b64 v[64:65], v104 offset:20480
	v_mov_b32_e32 v67, v4
	v_mov_b32_e32 v68, s81
	s_waitcnt lgkmcnt(1)
	v_add_u32_e32 v66, v66, v22
	v_lshlrev_b64 v[66:67], 3, v[66:67]
	v_add_co_u32_e32 v66, vcc, s80, v66
	v_addc_co_u32_e32 v67, vcc, v68, v67, vcc
	s_waitcnt lgkmcnt(0)
	global_store_dwordx2 v[66:67], v[64:65], off
	s_or_b64 exec, exec, s[36:37]
	s_and_saveexec_b64 s[36:37], s[58:59]
	s_cbranch_execnz .LBB839_307
.LBB839_292:                            ;   in Loop: Header=BB839_106 Depth=2
	s_or_b64 exec, exec, s[36:37]
	s_and_saveexec_b64 s[36:37], s[60:61]
	s_cbranch_execz .LBB839_308
.LBB839_293:                            ;   in Loop: Header=BB839_106 Depth=2
	v_lshlrev_b32_e32 v64, 2, v166
	ds_read_b32 v66, v64
	ds_read_b64 v[64:65], v104 offset:24576
	v_mov_b32_e32 v67, v4
	v_mov_b32_e32 v68, s81
	s_waitcnt lgkmcnt(1)
	v_add_u32_e32 v66, v66, v26
	v_lshlrev_b64 v[66:67], 3, v[66:67]
	v_add_co_u32_e32 v66, vcc, s80, v66
	v_addc_co_u32_e32 v67, vcc, v68, v67, vcc
	s_waitcnt lgkmcnt(0)
	global_store_dwordx2 v[66:67], v[64:65], off
	s_or_b64 exec, exec, s[36:37]
	s_and_saveexec_b64 s[36:37], s[62:63]
	s_cbranch_execnz .LBB839_309
.LBB839_294:                            ;   in Loop: Header=BB839_106 Depth=2
	s_or_b64 exec, exec, s[36:37]
	s_and_saveexec_b64 s[36:37], s[64:65]
	s_cbranch_execz .LBB839_310
.LBB839_295:                            ;   in Loop: Header=BB839_106 Depth=2
	v_lshlrev_b32_e32 v64, 2, v164
	ds_read_b32 v66, v64
	ds_read_b64 v[64:65], v104 offset:28672
	v_mov_b32_e32 v67, v4
	v_mov_b32_e32 v68, s81
	s_waitcnt lgkmcnt(1)
	v_add_u32_e32 v66, v66, v30
	v_lshlrev_b64 v[66:67], 3, v[66:67]
	v_add_co_u32_e32 v66, vcc, s80, v66
	v_addc_co_u32_e32 v67, vcc, v68, v67, vcc
	s_waitcnt lgkmcnt(0)
	global_store_dwordx2 v[66:67], v[64:65], off
	s_or_b64 exec, exec, s[36:37]
	s_and_saveexec_b64 s[36:37], s[66:67]
	s_cbranch_execnz .LBB839_311
	s_branch .LBB839_312
.LBB839_296:                            ;   in Loop: Header=BB839_106 Depth=2
	s_or_b64 exec, exec, s[92:93]
	s_and_saveexec_b64 s[36:37], s[38:39]
	s_cbranch_execz .LBB839_282
.LBB839_297:                            ;   in Loop: Header=BB839_106 Depth=2
	v_lshlrev_b32_e32 v64, 2, v178
	ds_read_b32 v66, v64
	ds_read_b64 v[64:65], v104 offset:2048
	v_mov_b32_e32 v67, v4
	v_mov_b32_e32 v68, s81
	s_waitcnt lgkmcnt(1)
	v_add_u32_e32 v66, v66, v7
	v_lshlrev_b64 v[66:67], 3, v[66:67]
	v_add_co_u32_e32 v66, vcc, s80, v66
	v_addc_co_u32_e32 v67, vcc, v68, v67, vcc
	s_waitcnt lgkmcnt(0)
	global_store_dwordx2 v[66:67], v[64:65], off
	s_or_b64 exec, exec, s[36:37]
	s_and_saveexec_b64 s[36:37], s[40:41]
	s_cbranch_execnz .LBB839_283
.LBB839_298:                            ;   in Loop: Header=BB839_106 Depth=2
	s_or_b64 exec, exec, s[36:37]
	s_and_saveexec_b64 s[36:37], s[42:43]
	s_cbranch_execz .LBB839_284
.LBB839_299:                            ;   in Loop: Header=BB839_106 Depth=2
	v_lshlrev_b32_e32 v64, 2, v175
	ds_read_b32 v66, v64
	ds_read_b64 v[64:65], v104 offset:6144
	v_mov_b32_e32 v67, v4
	v_mov_b32_e32 v68, s81
	s_waitcnt lgkmcnt(1)
	v_add_u32_e32 v66, v66, v8
	v_lshlrev_b64 v[66:67], 3, v[66:67]
	v_add_co_u32_e32 v66, vcc, s80, v66
	v_addc_co_u32_e32 v67, vcc, v68, v67, vcc
	s_waitcnt lgkmcnt(0)
	global_store_dwordx2 v[66:67], v[64:65], off
	s_or_b64 exec, exec, s[36:37]
	s_and_saveexec_b64 s[36:37], s[44:45]
	s_cbranch_execnz .LBB839_285
.LBB839_300:                            ;   in Loop: Header=BB839_106 Depth=2
	s_or_b64 exec, exec, s[36:37]
	s_and_saveexec_b64 s[36:37], s[46:47]
	s_cbranch_execz .LBB839_286
.LBB839_301:                            ;   in Loop: Header=BB839_106 Depth=2
	v_lshlrev_b32_e32 v64, 2, v173
	ds_read_b32 v66, v64
	ds_read_b64 v[64:65], v104 offset:10240
	v_mov_b32_e32 v67, v4
	v_mov_b32_e32 v68, s81
	s_waitcnt lgkmcnt(1)
	v_add_u32_e32 v66, v66, v12
	v_lshlrev_b64 v[66:67], 3, v[66:67]
	v_add_co_u32_e32 v66, vcc, s80, v66
	v_addc_co_u32_e32 v67, vcc, v68, v67, vcc
	s_waitcnt lgkmcnt(0)
	global_store_dwordx2 v[66:67], v[64:65], off
	s_or_b64 exec, exec, s[36:37]
	s_and_saveexec_b64 s[36:37], s[48:49]
	s_cbranch_execnz .LBB839_287
.LBB839_302:                            ;   in Loop: Header=BB839_106 Depth=2
	s_or_b64 exec, exec, s[36:37]
	s_and_saveexec_b64 s[36:37], s[50:51]
	s_cbranch_execz .LBB839_288
.LBB839_303:                            ;   in Loop: Header=BB839_106 Depth=2
	v_lshlrev_b32_e32 v64, 2, v171
	ds_read_b32 v66, v64
	ds_read_b64 v[64:65], v104 offset:14336
	v_mov_b32_e32 v67, v4
	v_mov_b32_e32 v68, s81
	s_waitcnt lgkmcnt(1)
	v_add_u32_e32 v66, v66, v16
	v_lshlrev_b64 v[66:67], 3, v[66:67]
	v_add_co_u32_e32 v66, vcc, s80, v66
	v_addc_co_u32_e32 v67, vcc, v68, v67, vcc
	s_waitcnt lgkmcnt(0)
	global_store_dwordx2 v[66:67], v[64:65], off
	s_or_b64 exec, exec, s[36:37]
	s_and_saveexec_b64 s[36:37], s[52:53]
	s_cbranch_execnz .LBB839_289
.LBB839_304:                            ;   in Loop: Header=BB839_106 Depth=2
	s_or_b64 exec, exec, s[36:37]
	s_and_saveexec_b64 s[36:37], s[54:55]
	s_cbranch_execz .LBB839_290
.LBB839_305:                            ;   in Loop: Header=BB839_106 Depth=2
	v_lshlrev_b32_e32 v64, 2, v169
	ds_read_b32 v66, v64
	ds_read_b64 v[64:65], v104 offset:18432
	v_mov_b32_e32 v67, v4
	v_mov_b32_e32 v68, s81
	s_waitcnt lgkmcnt(1)
	v_add_u32_e32 v66, v66, v20
	v_lshlrev_b64 v[66:67], 3, v[66:67]
	v_add_co_u32_e32 v66, vcc, s80, v66
	v_addc_co_u32_e32 v67, vcc, v68, v67, vcc
	s_waitcnt lgkmcnt(0)
	global_store_dwordx2 v[66:67], v[64:65], off
	s_or_b64 exec, exec, s[36:37]
	s_and_saveexec_b64 s[36:37], s[56:57]
	s_cbranch_execnz .LBB839_291
.LBB839_306:                            ;   in Loop: Header=BB839_106 Depth=2
	s_or_b64 exec, exec, s[36:37]
	s_and_saveexec_b64 s[36:37], s[58:59]
	s_cbranch_execz .LBB839_292
.LBB839_307:                            ;   in Loop: Header=BB839_106 Depth=2
	v_lshlrev_b32_e32 v64, 2, v167
	ds_read_b32 v66, v64
	ds_read_b64 v[64:65], v104 offset:22528
	v_mov_b32_e32 v67, v4
	v_mov_b32_e32 v68, s81
	s_waitcnt lgkmcnt(1)
	v_add_u32_e32 v66, v66, v24
	v_lshlrev_b64 v[66:67], 3, v[66:67]
	v_add_co_u32_e32 v66, vcc, s80, v66
	v_addc_co_u32_e32 v67, vcc, v68, v67, vcc
	s_waitcnt lgkmcnt(0)
	global_store_dwordx2 v[66:67], v[64:65], off
	s_or_b64 exec, exec, s[36:37]
	s_and_saveexec_b64 s[36:37], s[60:61]
	s_cbranch_execnz .LBB839_293
.LBB839_308:                            ;   in Loop: Header=BB839_106 Depth=2
	s_or_b64 exec, exec, s[36:37]
	s_and_saveexec_b64 s[36:37], s[62:63]
	s_cbranch_execz .LBB839_294
.LBB839_309:                            ;   in Loop: Header=BB839_106 Depth=2
	v_lshlrev_b32_e32 v64, 2, v165
	ds_read_b32 v66, v64
	ds_read_b64 v[64:65], v104 offset:26624
	v_mov_b32_e32 v67, v4
	v_mov_b32_e32 v68, s81
	s_waitcnt lgkmcnt(1)
	v_add_u32_e32 v66, v66, v28
	v_lshlrev_b64 v[66:67], 3, v[66:67]
	v_add_co_u32_e32 v66, vcc, s80, v66
	v_addc_co_u32_e32 v67, vcc, v68, v67, vcc
	s_waitcnt lgkmcnt(0)
	global_store_dwordx2 v[66:67], v[64:65], off
	s_or_b64 exec, exec, s[36:37]
	s_and_saveexec_b64 s[36:37], s[64:65]
	s_cbranch_execnz .LBB839_295
.LBB839_310:                            ;   in Loop: Header=BB839_106 Depth=2
	s_or_b64 exec, exec, s[36:37]
	s_and_saveexec_b64 s[36:37], s[66:67]
	s_cbranch_execz .LBB839_312
.LBB839_311:                            ;   in Loop: Header=BB839_106 Depth=2
	v_lshlrev_b32_e32 v64, 2, v163
	ds_read_b32 v66, v64
	ds_read_b64 v[64:65], v104 offset:30720
	v_mov_b32_e32 v67, v4
	v_mov_b32_e32 v68, s81
	s_waitcnt lgkmcnt(1)
	v_add_u32_e32 v66, v66, v32
	v_lshlrev_b64 v[66:67], 3, v[66:67]
	v_add_co_u32_e32 v66, vcc, s80, v66
	v_addc_co_u32_e32 v67, vcc, v68, v67, vcc
	s_waitcnt lgkmcnt(0)
	global_store_dwordx2 v[66:67], v[64:65], off
.LBB839_312:                            ;   in Loop: Header=BB839_106 Depth=2
	s_or_b64 exec, exec, s[36:37]
	s_barrier
	s_and_saveexec_b64 s[36:37], s[4:5]
	s_cbranch_execz .LBB839_105
; %bb.313:                              ;   in Loop: Header=BB839_106 Depth=2
	ds_read_b32 v64, v3
	s_waitcnt lgkmcnt(0)
	v_add_u32_e32 v5, v64, v5
	ds_write_b32 v3, v5
	s_branch .LBB839_105
.LBB839_314:                            ;   in Loop: Header=BB839_20 Depth=1
	s_waitcnt lgkmcnt(0)
	s_barrier
	s_mov_b64 s[16:17], 0
	v_readlane_b32 s50, v235, 2
.LBB839_315:                            ;   in Loop: Header=BB839_20 Depth=1
	s_and_b64 vcc, exec, s[16:17]
	s_cbranch_vccz .LBB839_609
; %bb.316:                              ;   in Loop: Header=BB839_20 Depth=1
	s_mov_b32 s22, s85
	s_mov_b32 s88, s50
	s_barrier
	s_waitcnt lgkmcnt(0)
                                        ; implicit-def: $vgpr62_vgpr63
                                        ; implicit-def: $vgpr0_vgpr1
                                        ; implicit-def: $vgpr34_vgpr35
                                        ; implicit-def: $vgpr36_vgpr37
                                        ; implicit-def: $vgpr38_vgpr39
                                        ; implicit-def: $vgpr40_vgpr41
                                        ; implicit-def: $vgpr42_vgpr43
                                        ; implicit-def: $vgpr44_vgpr45
                                        ; implicit-def: $vgpr46_vgpr47
                                        ; implicit-def: $vgpr48_vgpr49
                                        ; implicit-def: $vgpr50_vgpr51
                                        ; implicit-def: $vgpr52_vgpr53
                                        ; implicit-def: $vgpr54_vgpr55
                                        ; implicit-def: $vgpr56_vgpr57
                                        ; implicit-def: $vgpr58_vgpr59
                                        ; implicit-def: $vgpr60_vgpr61
	s_branch .LBB839_318
.LBB839_317:                            ;   in Loop: Header=BB839_318 Depth=2
	s_or_b64 exec, exec, s[16:17]
	s_addk_i32 s22, 0xf000
	s_cmp_ge_u32 s23, s94
	s_mov_b32 s88, s23
	s_cbranch_scc1 .LBB839_388
.LBB839_318:                            ;   Parent Loop BB839_20 Depth=1
                                        ; =>  This Inner Loop Header: Depth=2
	s_add_i32 s23, s88, 0x1000
	s_cmp_gt_u32 s23, s94
	s_cbranch_scc1 .LBB839_321
; %bb.319:                              ;   in Loop: Header=BB839_318 Depth=2
	s_lshl_b64 s[16:17], s[88:89], 3
	v_mov_b32_e32 v5, s17
	v_add_co_u32_e32 v64, vcc, s16, v105
	v_addc_co_u32_e32 v65, vcc, v106, v5, vcc
	s_waitcnt vmcnt(11)
	v_add_co_u32_e32 v72, vcc, 0x1000, v64
	v_addc_co_u32_e32 v73, vcc, 0, v65, vcc
	s_waitcnt vmcnt(5)
	;; [unrolled: 3-line block ×3, first 2 shown]
	v_add_co_u32_e32 v82, vcc, s96, v64
	v_addc_co_u32_e32 v83, vcc, 0, v65, vcc
	v_add_co_u32_e32 v86, vcc, s97, v64
	v_addc_co_u32_e32 v87, vcc, 0, v65, vcc
	;; [unrolled: 2-line block ×4, first 2 shown]
	global_load_dwordx2 v[66:67], v[64:65], off
	global_load_dwordx2 v[68:69], v[64:65], off offset:2048
	global_load_dwordx2 v[70:71], v[72:73], off
	s_nop 0
	global_load_dwordx2 v[72:73], v[72:73], off offset:2048
	s_nop 0
	global_load_dwordx2 v[74:75], v[82:83], off
	global_load_dwordx2 v[76:77], v[82:83], off offset:2048
	global_load_dwordx2 v[80:81], v[88:89], off offset:-4096
	global_load_dwordx2 v[84:85], v[88:89], off
	s_nop 0
	global_load_dwordx2 v[88:89], v[88:89], off offset:2048
	s_nop 0
	global_load_dwordx2 v[78:79], v[78:79], off offset:2048
	;; [unrolled: 2-line block ×3, first 2 shown]
	s_nop 0
	global_load_dwordx2 v[90:91], v[92:93], off
	s_nop 0
	global_load_dwordx2 v[92:93], v[92:93], off offset:2048
	s_waitcnt vmcnt(13)
	v_add_co_u32_e32 v94, vcc, 0x7000, v64
	v_addc_co_u32_e32 v95, vcc, 0, v65, vcc
	global_load_dwordx2 v[82:83], v[82:83], off offset:-4096
	s_nop 0
	global_load_dwordx2 v[94:95], v[94:95], off
	v_add_co_u32_e32 v64, vcc, 0x7800, v64
	s_movk_i32 s24, 0x1000
	v_addc_co_u32_e32 v65, vcc, 0, v65, vcc
	s_mov_b64 s[16:17], -1
	s_cbranch_execz .LBB839_322
; %bb.320:                              ;   in Loop: Header=BB839_318 Depth=2
                                        ; implicit-def: $vgpr60_vgpr61
                                        ; implicit-def: $vgpr58_vgpr59
                                        ; implicit-def: $vgpr56_vgpr57
                                        ; implicit-def: $vgpr54_vgpr55
                                        ; implicit-def: $vgpr52_vgpr53
                                        ; implicit-def: $vgpr50_vgpr51
                                        ; implicit-def: $vgpr48_vgpr49
                                        ; implicit-def: $vgpr46_vgpr47
                                        ; implicit-def: $vgpr44_vgpr45
                                        ; implicit-def: $vgpr42_vgpr43
                                        ; implicit-def: $vgpr40_vgpr41
                                        ; implicit-def: $vgpr38_vgpr39
                                        ; implicit-def: $vgpr36_vgpr37
                                        ; implicit-def: $vgpr34_vgpr35
                                        ; implicit-def: $vgpr0_vgpr1
                                        ; implicit-def: $vgpr62_vgpr63
	v_mov_b32_e32 v5, s22
	s_and_saveexec_b64 s[18:19], s[16:17]
	s_cbranch_execnz .LBB839_341
	s_branch .LBB839_342
.LBB839_321:                            ;   in Loop: Header=BB839_318 Depth=2
	s_mov_b64 s[16:17], 0
                                        ; implicit-def: $sgpr24
                                        ; implicit-def: $vgpr66_vgpr67
                                        ; implicit-def: $vgpr68_vgpr69
                                        ; implicit-def: $vgpr70_vgpr71
                                        ; implicit-def: $vgpr72_vgpr73
                                        ; implicit-def: $vgpr82_vgpr83
                                        ; implicit-def: $vgpr78_vgpr79
                                        ; implicit-def: $vgpr74_vgpr75
                                        ; implicit-def: $vgpr76_vgpr77
                                        ; implicit-def: $vgpr80_vgpr81
                                        ; implicit-def: $vgpr86_vgpr87
                                        ; implicit-def: $vgpr84_vgpr85
                                        ; implicit-def: $vgpr88_vgpr89
                                        ; implicit-def: $vgpr90_vgpr91
                                        ; implicit-def: $vgpr92_vgpr93
                                        ; implicit-def: $vgpr94_vgpr95
                                        ; implicit-def: $vgpr64_vgpr65
.LBB839_322:                            ;   in Loop: Header=BB839_318 Depth=2
	s_lshl_b64 s[18:19], s[88:89], 3
	s_add_u32 s18, s74, s18
	s_addc_u32 s19, s75, s19
	v_cmp_gt_u32_e32 vcc, s22, v2
	s_and_saveexec_b64 s[20:21], vcc
	s_cbranch_execz .LBB839_374
; %bb.323:                              ;   in Loop: Header=BB839_318 Depth=2
	global_load_dwordx2 v[60:61], v118, s[18:19]
	s_or_b64 exec, exec, s[20:21]
	v_cmp_gt_u32_e32 vcc, s22, v7
	s_and_saveexec_b64 s[20:21], vcc
	s_cbranch_execnz .LBB839_375
.LBB839_324:                            ;   in Loop: Header=BB839_318 Depth=2
	s_or_b64 exec, exec, s[20:21]
	v_cmp_gt_u32_e32 vcc, s22, v6
	s_and_saveexec_b64 s[20:21], vcc
	s_cbranch_execz .LBB839_376
.LBB839_325:                            ;   in Loop: Header=BB839_318 Depth=2
	global_load_dwordx2 v[56:57], v119, s[18:19]
	s_or_b64 exec, exec, s[20:21]
	v_cmp_gt_u32_e32 vcc, s22, v8
	s_and_saveexec_b64 s[20:21], vcc
	s_cbranch_execnz .LBB839_377
.LBB839_326:                            ;   in Loop: Header=BB839_318 Depth=2
	s_or_b64 exec, exec, s[20:21]
	v_cmp_gt_u32_e32 vcc, s22, v10
	s_and_saveexec_b64 s[20:21], vcc
	s_cbranch_execz .LBB839_378
.LBB839_327:                            ;   in Loop: Header=BB839_318 Depth=2
	global_load_dwordx2 v[52:53], v121, s[18:19]
	s_or_b64 exec, exec, s[20:21]
	v_cmp_gt_u32_e32 vcc, s22, v12
	s_and_saveexec_b64 s[20:21], vcc
	s_cbranch_execnz .LBB839_379
.LBB839_328:                            ;   in Loop: Header=BB839_318 Depth=2
	s_or_b64 exec, exec, s[20:21]
	v_cmp_gt_u32_e32 vcc, s22, v14
	s_and_saveexec_b64 s[20:21], vcc
	s_cbranch_execz .LBB839_380
.LBB839_329:                            ;   in Loop: Header=BB839_318 Depth=2
	global_load_dwordx2 v[48:49], v123, s[18:19]
	s_or_b64 exec, exec, s[20:21]
	v_cmp_gt_u32_e32 vcc, s22, v16
	s_and_saveexec_b64 s[20:21], vcc
	s_cbranch_execnz .LBB839_381
.LBB839_330:                            ;   in Loop: Header=BB839_318 Depth=2
	s_or_b64 exec, exec, s[20:21]
	v_cmp_gt_u32_e32 vcc, s22, v18
	s_and_saveexec_b64 s[20:21], vcc
	s_cbranch_execz .LBB839_382
.LBB839_331:                            ;   in Loop: Header=BB839_318 Depth=2
	global_load_dwordx2 v[44:45], v125, s[18:19]
	s_or_b64 exec, exec, s[20:21]
	v_cmp_gt_u32_e32 vcc, s22, v20
	s_and_saveexec_b64 s[20:21], vcc
	s_cbranch_execnz .LBB839_383
.LBB839_332:                            ;   in Loop: Header=BB839_318 Depth=2
	s_or_b64 exec, exec, s[20:21]
	v_cmp_gt_u32_e32 vcc, s22, v22
	s_and_saveexec_b64 s[20:21], vcc
	s_cbranch_execz .LBB839_384
.LBB839_333:                            ;   in Loop: Header=BB839_318 Depth=2
	global_load_dwordx2 v[40:41], v127, s[18:19]
	s_or_b64 exec, exec, s[20:21]
	v_cmp_gt_u32_e32 vcc, s22, v24
	s_and_saveexec_b64 s[20:21], vcc
	s_cbranch_execnz .LBB839_385
.LBB839_334:                            ;   in Loop: Header=BB839_318 Depth=2
	s_or_b64 exec, exec, s[20:21]
	v_cmp_gt_u32_e32 vcc, s22, v26
	s_and_saveexec_b64 s[20:21], vcc
	s_cbranch_execz .LBB839_386
.LBB839_335:                            ;   in Loop: Header=BB839_318 Depth=2
	global_load_dwordx2 v[36:37], v129, s[18:19]
	s_or_b64 exec, exec, s[20:21]
	v_cmp_gt_u32_e32 vcc, s22, v28
	s_and_saveexec_b64 s[20:21], vcc
	s_cbranch_execnz .LBB839_387
.LBB839_336:                            ;   in Loop: Header=BB839_318 Depth=2
	s_or_b64 exec, exec, s[20:21]
	v_cmp_gt_u32_e32 vcc, s22, v30
	s_and_saveexec_b64 s[20:21], vcc
	s_cbranch_execz .LBB839_338
.LBB839_337:                            ;   in Loop: Header=BB839_318 Depth=2
	global_load_dwordx2 v[0:1], v131, s[18:19]
.LBB839_338:                            ;   in Loop: Header=BB839_318 Depth=2
	s_or_b64 exec, exec, s[20:21]
	v_cmp_gt_u32_e32 vcc, s22, v32
                                        ; implicit-def: $sgpr24
                                        ; implicit-def: $vgpr64_vgpr65
	s_and_saveexec_b64 s[20:21], vcc
; %bb.339:                              ;   in Loop: Header=BB839_318 Depth=2
	v_mov_b32_e32 v5, s19
	v_add_co_u32_e32 v64, vcc, s18, v132
	s_sub_i32 s24, s94, s88
	v_addc_co_u32_e32 v65, vcc, 0, v5, vcc
	s_or_b64 s[16:17], s[16:17], exec
                                        ; implicit-def: $vgpr62_vgpr63
; %bb.340:                              ;   in Loop: Header=BB839_318 Depth=2
	s_or_b64 exec, exec, s[20:21]
	s_waitcnt vmcnt(0)
	v_pk_mov_b32 v[66:67], v[60:61], v[60:61] op_sel:[0,1]
	v_pk_mov_b32 v[68:69], v[58:59], v[58:59] op_sel:[0,1]
	;; [unrolled: 1-line block ×15, first 2 shown]
	v_mov_b32_e32 v5, s22
	s_and_saveexec_b64 s[18:19], s[16:17]
	s_cbranch_execz .LBB839_342
.LBB839_341:                            ;   in Loop: Header=BB839_318 Depth=2
	global_load_dwordx2 v[62:63], v[64:65], off
	v_mov_b32_e32 v5, s24
	s_waitcnt vmcnt(1)
	v_pk_mov_b32 v[0:1], v[94:95], v[94:95] op_sel:[0,1]
	v_pk_mov_b32 v[34:35], v[92:93], v[92:93] op_sel:[0,1]
	;; [unrolled: 1-line block ×15, first 2 shown]
.LBB839_342:                            ;   in Loop: Header=BB839_318 Depth=2
	s_or_b64 exec, exec, s[18:19]
	v_cmp_lt_u32_e32 vcc, v2, v5
	s_and_saveexec_b64 s[16:17], vcc
	s_cbranch_execz .LBB839_358
; %bb.343:                              ;   in Loop: Header=BB839_318 Depth=2
	v_xor_b32_e32 v65, 0x80000000, v61
	v_mov_b32_e32 v64, v60
	v_lshrrev_b64 v[64:65], s33, v[64:65]
	v_and_b32_e32 v64, s69, v64
	v_lshl_or_b32 v64, v64, 4, v133
	ds_add_u32 v64, v117
	s_or_b64 exec, exec, s[16:17]
	v_cmp_lt_u32_e32 vcc, v7, v5
	s_and_saveexec_b64 s[16:17], vcc
	s_cbranch_execnz .LBB839_359
.LBB839_344:                            ;   in Loop: Header=BB839_318 Depth=2
	s_or_b64 exec, exec, s[16:17]
	v_cmp_lt_u32_e32 vcc, v6, v5
	s_and_saveexec_b64 s[16:17], vcc
	s_cbranch_execz .LBB839_360
.LBB839_345:                            ;   in Loop: Header=BB839_318 Depth=2
	v_xor_b32_e32 v65, 0x80000000, v57
	v_mov_b32_e32 v64, v56
	v_lshrrev_b64 v[64:65], s33, v[64:65]
	v_and_b32_e32 v64, s69, v64
	v_lshl_or_b32 v64, v64, 4, v133
	ds_add_u32 v64, v117
	s_or_b64 exec, exec, s[16:17]
	v_cmp_lt_u32_e32 vcc, v8, v5
	s_and_saveexec_b64 s[16:17], vcc
	s_cbranch_execnz .LBB839_361
.LBB839_346:                            ;   in Loop: Header=BB839_318 Depth=2
	s_or_b64 exec, exec, s[16:17]
	v_cmp_lt_u32_e32 vcc, v10, v5
	s_and_saveexec_b64 s[16:17], vcc
	s_cbranch_execz .LBB839_362
.LBB839_347:                            ;   in Loop: Header=BB839_318 Depth=2
	v_xor_b32_e32 v65, 0x80000000, v53
	v_mov_b32_e32 v64, v52
	v_lshrrev_b64 v[64:65], s33, v[64:65]
	v_and_b32_e32 v64, s69, v64
	v_lshl_or_b32 v64, v64, 4, v133
	ds_add_u32 v64, v117
	s_or_b64 exec, exec, s[16:17]
	v_cmp_lt_u32_e32 vcc, v12, v5
	s_and_saveexec_b64 s[16:17], vcc
	s_cbranch_execnz .LBB839_363
.LBB839_348:                            ;   in Loop: Header=BB839_318 Depth=2
	s_or_b64 exec, exec, s[16:17]
	v_cmp_lt_u32_e32 vcc, v14, v5
	s_and_saveexec_b64 s[16:17], vcc
	s_cbranch_execz .LBB839_364
.LBB839_349:                            ;   in Loop: Header=BB839_318 Depth=2
	v_xor_b32_e32 v65, 0x80000000, v49
	v_mov_b32_e32 v64, v48
	v_lshrrev_b64 v[64:65], s33, v[64:65]
	v_and_b32_e32 v64, s69, v64
	v_lshl_or_b32 v64, v64, 4, v133
	ds_add_u32 v64, v117
	s_or_b64 exec, exec, s[16:17]
	v_cmp_lt_u32_e32 vcc, v16, v5
	s_and_saveexec_b64 s[16:17], vcc
	s_cbranch_execnz .LBB839_365
.LBB839_350:                            ;   in Loop: Header=BB839_318 Depth=2
	s_or_b64 exec, exec, s[16:17]
	v_cmp_lt_u32_e32 vcc, v18, v5
	s_and_saveexec_b64 s[16:17], vcc
	s_cbranch_execz .LBB839_366
.LBB839_351:                            ;   in Loop: Header=BB839_318 Depth=2
	v_xor_b32_e32 v65, 0x80000000, v45
	v_mov_b32_e32 v64, v44
	v_lshrrev_b64 v[64:65], s33, v[64:65]
	v_and_b32_e32 v64, s69, v64
	v_lshl_or_b32 v64, v64, 4, v133
	ds_add_u32 v64, v117
	s_or_b64 exec, exec, s[16:17]
	v_cmp_lt_u32_e32 vcc, v20, v5
	s_and_saveexec_b64 s[16:17], vcc
	s_cbranch_execnz .LBB839_367
.LBB839_352:                            ;   in Loop: Header=BB839_318 Depth=2
	s_or_b64 exec, exec, s[16:17]
	v_cmp_lt_u32_e32 vcc, v22, v5
	s_and_saveexec_b64 s[16:17], vcc
	s_cbranch_execz .LBB839_368
.LBB839_353:                            ;   in Loop: Header=BB839_318 Depth=2
	v_xor_b32_e32 v65, 0x80000000, v41
	v_mov_b32_e32 v64, v40
	v_lshrrev_b64 v[64:65], s33, v[64:65]
	v_and_b32_e32 v64, s69, v64
	v_lshl_or_b32 v64, v64, 4, v133
	ds_add_u32 v64, v117
	s_or_b64 exec, exec, s[16:17]
	v_cmp_lt_u32_e32 vcc, v24, v5
	s_and_saveexec_b64 s[16:17], vcc
	s_cbranch_execnz .LBB839_369
.LBB839_354:                            ;   in Loop: Header=BB839_318 Depth=2
	s_or_b64 exec, exec, s[16:17]
	v_cmp_lt_u32_e32 vcc, v26, v5
	s_and_saveexec_b64 s[16:17], vcc
	s_cbranch_execz .LBB839_370
.LBB839_355:                            ;   in Loop: Header=BB839_318 Depth=2
	v_xor_b32_e32 v65, 0x80000000, v37
	v_mov_b32_e32 v64, v36
	v_lshrrev_b64 v[64:65], s33, v[64:65]
	v_and_b32_e32 v64, s69, v64
	v_lshl_or_b32 v64, v64, 4, v133
	ds_add_u32 v64, v117
	s_or_b64 exec, exec, s[16:17]
	v_cmp_lt_u32_e32 vcc, v28, v5
	s_and_saveexec_b64 s[16:17], vcc
	s_cbranch_execnz .LBB839_371
.LBB839_356:                            ;   in Loop: Header=BB839_318 Depth=2
	s_or_b64 exec, exec, s[16:17]
	v_cmp_lt_u32_e32 vcc, v30, v5
	s_and_saveexec_b64 s[16:17], vcc
	s_cbranch_execz .LBB839_372
.LBB839_357:                            ;   in Loop: Header=BB839_318 Depth=2
	v_xor_b32_e32 v65, 0x80000000, v1
	v_mov_b32_e32 v64, v0
	v_lshrrev_b64 v[64:65], s33, v[64:65]
	v_and_b32_e32 v64, s69, v64
	v_lshl_or_b32 v64, v64, 4, v133
	ds_add_u32 v64, v117
	s_or_b64 exec, exec, s[16:17]
	v_cmp_lt_u32_e32 vcc, v32, v5
	s_and_saveexec_b64 s[16:17], vcc
	s_cbranch_execz .LBB839_317
	s_branch .LBB839_373
.LBB839_358:                            ;   in Loop: Header=BB839_318 Depth=2
	s_or_b64 exec, exec, s[16:17]
	v_cmp_lt_u32_e32 vcc, v7, v5
	s_and_saveexec_b64 s[16:17], vcc
	s_cbranch_execz .LBB839_344
.LBB839_359:                            ;   in Loop: Header=BB839_318 Depth=2
	v_xor_b32_e32 v65, 0x80000000, v59
	v_mov_b32_e32 v64, v58
	v_lshrrev_b64 v[64:65], s33, v[64:65]
	v_and_b32_e32 v64, s69, v64
	v_lshl_or_b32 v64, v64, 4, v133
	ds_add_u32 v64, v117
	s_or_b64 exec, exec, s[16:17]
	v_cmp_lt_u32_e32 vcc, v6, v5
	s_and_saveexec_b64 s[16:17], vcc
	s_cbranch_execnz .LBB839_345
.LBB839_360:                            ;   in Loop: Header=BB839_318 Depth=2
	s_or_b64 exec, exec, s[16:17]
	v_cmp_lt_u32_e32 vcc, v8, v5
	s_and_saveexec_b64 s[16:17], vcc
	s_cbranch_execz .LBB839_346
.LBB839_361:                            ;   in Loop: Header=BB839_318 Depth=2
	v_xor_b32_e32 v65, 0x80000000, v55
	v_mov_b32_e32 v64, v54
	v_lshrrev_b64 v[64:65], s33, v[64:65]
	v_and_b32_e32 v64, s69, v64
	v_lshl_or_b32 v64, v64, 4, v133
	ds_add_u32 v64, v117
	s_or_b64 exec, exec, s[16:17]
	v_cmp_lt_u32_e32 vcc, v10, v5
	s_and_saveexec_b64 s[16:17], vcc
	s_cbranch_execnz .LBB839_347
.LBB839_362:                            ;   in Loop: Header=BB839_318 Depth=2
	s_or_b64 exec, exec, s[16:17]
	v_cmp_lt_u32_e32 vcc, v12, v5
	s_and_saveexec_b64 s[16:17], vcc
	s_cbranch_execz .LBB839_348
.LBB839_363:                            ;   in Loop: Header=BB839_318 Depth=2
	v_xor_b32_e32 v65, 0x80000000, v51
	v_mov_b32_e32 v64, v50
	v_lshrrev_b64 v[64:65], s33, v[64:65]
	v_and_b32_e32 v64, s69, v64
	v_lshl_or_b32 v64, v64, 4, v133
	ds_add_u32 v64, v117
	s_or_b64 exec, exec, s[16:17]
	v_cmp_lt_u32_e32 vcc, v14, v5
	s_and_saveexec_b64 s[16:17], vcc
	s_cbranch_execnz .LBB839_349
.LBB839_364:                            ;   in Loop: Header=BB839_318 Depth=2
	s_or_b64 exec, exec, s[16:17]
	v_cmp_lt_u32_e32 vcc, v16, v5
	s_and_saveexec_b64 s[16:17], vcc
	s_cbranch_execz .LBB839_350
.LBB839_365:                            ;   in Loop: Header=BB839_318 Depth=2
	v_xor_b32_e32 v65, 0x80000000, v47
	v_mov_b32_e32 v64, v46
	v_lshrrev_b64 v[64:65], s33, v[64:65]
	v_and_b32_e32 v64, s69, v64
	v_lshl_or_b32 v64, v64, 4, v133
	ds_add_u32 v64, v117
	s_or_b64 exec, exec, s[16:17]
	v_cmp_lt_u32_e32 vcc, v18, v5
	s_and_saveexec_b64 s[16:17], vcc
	s_cbranch_execnz .LBB839_351
.LBB839_366:                            ;   in Loop: Header=BB839_318 Depth=2
	s_or_b64 exec, exec, s[16:17]
	v_cmp_lt_u32_e32 vcc, v20, v5
	s_and_saveexec_b64 s[16:17], vcc
	s_cbranch_execz .LBB839_352
.LBB839_367:                            ;   in Loop: Header=BB839_318 Depth=2
	v_xor_b32_e32 v65, 0x80000000, v43
	v_mov_b32_e32 v64, v42
	v_lshrrev_b64 v[64:65], s33, v[64:65]
	v_and_b32_e32 v64, s69, v64
	v_lshl_or_b32 v64, v64, 4, v133
	ds_add_u32 v64, v117
	s_or_b64 exec, exec, s[16:17]
	v_cmp_lt_u32_e32 vcc, v22, v5
	s_and_saveexec_b64 s[16:17], vcc
	s_cbranch_execnz .LBB839_353
.LBB839_368:                            ;   in Loop: Header=BB839_318 Depth=2
	s_or_b64 exec, exec, s[16:17]
	v_cmp_lt_u32_e32 vcc, v24, v5
	s_and_saveexec_b64 s[16:17], vcc
	s_cbranch_execz .LBB839_354
.LBB839_369:                            ;   in Loop: Header=BB839_318 Depth=2
	v_xor_b32_e32 v65, 0x80000000, v39
	v_mov_b32_e32 v64, v38
	v_lshrrev_b64 v[64:65], s33, v[64:65]
	v_and_b32_e32 v64, s69, v64
	v_lshl_or_b32 v64, v64, 4, v133
	ds_add_u32 v64, v117
	s_or_b64 exec, exec, s[16:17]
	v_cmp_lt_u32_e32 vcc, v26, v5
	s_and_saveexec_b64 s[16:17], vcc
	s_cbranch_execnz .LBB839_355
.LBB839_370:                            ;   in Loop: Header=BB839_318 Depth=2
	s_or_b64 exec, exec, s[16:17]
	v_cmp_lt_u32_e32 vcc, v28, v5
	s_and_saveexec_b64 s[16:17], vcc
	s_cbranch_execz .LBB839_356
.LBB839_371:                            ;   in Loop: Header=BB839_318 Depth=2
	v_xor_b32_e32 v65, 0x80000000, v35
	v_mov_b32_e32 v64, v34
	v_lshrrev_b64 v[64:65], s33, v[64:65]
	v_and_b32_e32 v64, s69, v64
	v_lshl_or_b32 v64, v64, 4, v133
	ds_add_u32 v64, v117
	s_or_b64 exec, exec, s[16:17]
	v_cmp_lt_u32_e32 vcc, v30, v5
	s_and_saveexec_b64 s[16:17], vcc
	s_cbranch_execnz .LBB839_357
.LBB839_372:                            ;   in Loop: Header=BB839_318 Depth=2
	s_or_b64 exec, exec, s[16:17]
	v_cmp_lt_u32_e32 vcc, v32, v5
	s_and_saveexec_b64 s[16:17], vcc
	s_cbranch_execz .LBB839_317
.LBB839_373:                            ;   in Loop: Header=BB839_318 Depth=2
	s_waitcnt vmcnt(0)
	v_xor_b32_e32 v65, 0x80000000, v63
	v_mov_b32_e32 v64, v62
	v_lshrrev_b64 v[64:65], s33, v[64:65]
	v_and_b32_e32 v5, s69, v64
	v_lshl_or_b32 v5, v5, 4, v133
	ds_add_u32 v5, v117
	s_branch .LBB839_317
.LBB839_374:                            ;   in Loop: Header=BB839_318 Depth=2
	s_or_b64 exec, exec, s[20:21]
	v_cmp_gt_u32_e32 vcc, s22, v7
	s_and_saveexec_b64 s[20:21], vcc
	s_cbranch_execz .LBB839_324
.LBB839_375:                            ;   in Loop: Header=BB839_318 Depth=2
	global_load_dwordx2 v[58:59], v118, s[18:19] offset:2048
	s_or_b64 exec, exec, s[20:21]
	v_cmp_gt_u32_e32 vcc, s22, v6
	s_and_saveexec_b64 s[20:21], vcc
	s_cbranch_execnz .LBB839_325
.LBB839_376:                            ;   in Loop: Header=BB839_318 Depth=2
	s_or_b64 exec, exec, s[20:21]
	v_cmp_gt_u32_e32 vcc, s22, v8
	s_and_saveexec_b64 s[20:21], vcc
	s_cbranch_execz .LBB839_326
.LBB839_377:                            ;   in Loop: Header=BB839_318 Depth=2
	global_load_dwordx2 v[54:55], v120, s[18:19]
	s_or_b64 exec, exec, s[20:21]
	v_cmp_gt_u32_e32 vcc, s22, v10
	s_and_saveexec_b64 s[20:21], vcc
	s_cbranch_execnz .LBB839_327
.LBB839_378:                            ;   in Loop: Header=BB839_318 Depth=2
	s_or_b64 exec, exec, s[20:21]
	v_cmp_gt_u32_e32 vcc, s22, v12
	s_and_saveexec_b64 s[20:21], vcc
	s_cbranch_execz .LBB839_328
.LBB839_379:                            ;   in Loop: Header=BB839_318 Depth=2
	global_load_dwordx2 v[50:51], v122, s[18:19]
	s_or_b64 exec, exec, s[20:21]
	v_cmp_gt_u32_e32 vcc, s22, v14
	s_and_saveexec_b64 s[20:21], vcc
	s_cbranch_execnz .LBB839_329
.LBB839_380:                            ;   in Loop: Header=BB839_318 Depth=2
	s_or_b64 exec, exec, s[20:21]
	v_cmp_gt_u32_e32 vcc, s22, v16
	s_and_saveexec_b64 s[20:21], vcc
	s_cbranch_execz .LBB839_330
.LBB839_381:                            ;   in Loop: Header=BB839_318 Depth=2
	global_load_dwordx2 v[46:47], v124, s[18:19]
	s_or_b64 exec, exec, s[20:21]
	v_cmp_gt_u32_e32 vcc, s22, v18
	s_and_saveexec_b64 s[20:21], vcc
	s_cbranch_execnz .LBB839_331
.LBB839_382:                            ;   in Loop: Header=BB839_318 Depth=2
	s_or_b64 exec, exec, s[20:21]
	v_cmp_gt_u32_e32 vcc, s22, v20
	s_and_saveexec_b64 s[20:21], vcc
	s_cbranch_execz .LBB839_332
.LBB839_383:                            ;   in Loop: Header=BB839_318 Depth=2
	global_load_dwordx2 v[42:43], v126, s[18:19]
	s_or_b64 exec, exec, s[20:21]
	v_cmp_gt_u32_e32 vcc, s22, v22
	s_and_saveexec_b64 s[20:21], vcc
	s_cbranch_execnz .LBB839_333
.LBB839_384:                            ;   in Loop: Header=BB839_318 Depth=2
	s_or_b64 exec, exec, s[20:21]
	v_cmp_gt_u32_e32 vcc, s22, v24
	s_and_saveexec_b64 s[20:21], vcc
	s_cbranch_execz .LBB839_334
.LBB839_385:                            ;   in Loop: Header=BB839_318 Depth=2
	global_load_dwordx2 v[38:39], v128, s[18:19]
	s_or_b64 exec, exec, s[20:21]
	v_cmp_gt_u32_e32 vcc, s22, v26
	s_and_saveexec_b64 s[20:21], vcc
	s_cbranch_execnz .LBB839_335
.LBB839_386:                            ;   in Loop: Header=BB839_318 Depth=2
	s_or_b64 exec, exec, s[20:21]
	v_cmp_gt_u32_e32 vcc, s22, v28
	s_and_saveexec_b64 s[20:21], vcc
	s_cbranch_execz .LBB839_336
.LBB839_387:                            ;   in Loop: Header=BB839_318 Depth=2
	global_load_dwordx2 v[34:35], v130, s[18:19]
	s_or_b64 exec, exec, s[20:21]
	v_cmp_gt_u32_e32 vcc, s22, v30
	s_and_saveexec_b64 s[20:21], vcc
	s_cbranch_execz .LBB839_338
	s_branch .LBB839_337
.LBB839_388:                            ;   in Loop: Header=BB839_20 Depth=1
	v_mov_b32_e32 v0, 0
	s_waitcnt lgkmcnt(0)
	s_barrier
	s_and_saveexec_b64 s[16:17], s[4:5]
	s_cbranch_execz .LBB839_390
; %bb.389:                              ;   in Loop: Header=BB839_20 Depth=1
	ds_read2_b64 v[34:37], v13 offset1:1
	s_waitcnt lgkmcnt(0)
	v_add_u32_e32 v0, v35, v34
	v_add3_u32 v0, v0, v36, v37
.LBB839_390:                            ;   in Loop: Header=BB839_20 Depth=1
	s_or_b64 exec, exec, s[16:17]
	s_nop 0
	v_mov_b32_dpp v1, v0 row_shr:1 row_mask:0xf bank_mask:0xf
	v_cmp_eq_u32_e64 s[16:17], 0, v135
	v_cndmask_b32_e64 v1, v1, 0, s[16:17]
	v_add_u32_e32 v0, v1, v0
	v_cmp_lt_u32_e64 s[18:19], 1, v135
	v_cmp_lt_u32_e64 s[20:21], 3, v135
	v_mov_b32_dpp v1, v0 row_shr:2 row_mask:0xf bank_mask:0xf
	v_cndmask_b32_e64 v1, 0, v1, s[18:19]
	v_add_u32_e32 v0, v0, v1
	v_cmp_lt_u32_e64 s[22:23], 7, v135
	v_cmp_lt_u32_e64 s[26:27], 31, v134
	v_mov_b32_dpp v1, v0 row_shr:4 row_mask:0xf bank_mask:0xf
	v_cndmask_b32_e64 v1, 0, v1, s[20:21]
	v_add_u32_e32 v0, v0, v1
	v_cmp_eq_u32_e64 s[24:25], 0, v137
	s_nop 0
	v_mov_b32_dpp v1, v0 row_shr:8 row_mask:0xf bank_mask:0xf
	v_cndmask_b32_e64 v1, 0, v1, s[22:23]
	v_add_u32_e32 v0, v0, v1
	s_nop 1
	v_mov_b32_dpp v1, v0 row_bcast:15 row_mask:0xf bank_mask:0xf
	v_and_b32_e32 v1, v136, v1
	v_add_u32_e32 v0, v0, v1
	s_nop 1
	v_mov_b32_dpp v1, v0 row_bcast:31 row_mask:0xf bank_mask:0xf
	v_cndmask_b32_e64 v1, 0, v1, s[26:27]
	v_add_u32_e32 v0, v0, v1
	s_and_saveexec_b64 s[28:29], s[6:7]
	v_readlane_b32 s38, v235, 2
	s_cbranch_execz .LBB839_392
; %bb.391:                              ;   in Loop: Header=BB839_20 Depth=1
	ds_write_b32 v17, v0
.LBB839_392:                            ;   in Loop: Header=BB839_20 Depth=1
	s_or_b64 exec, exec, s[28:29]
	s_waitcnt lgkmcnt(0)
	s_barrier
	s_and_saveexec_b64 s[28:29], s[8:9]
	s_cbranch_execz .LBB839_394
; %bb.393:                              ;   in Loop: Header=BB839_20 Depth=1
	ds_read_b32 v1, v19
	v_cmp_ne_u32_e32 vcc, 0, v138
	s_waitcnt lgkmcnt(0)
	v_mov_b32_dpp v5, v1 row_shr:1 row_mask:0xf bank_mask:0xf
	v_cndmask_b32_e32 v5, 0, v5, vcc
	v_add_u32_e32 v1, v5, v1
	v_cmp_lt_u32_e32 vcc, 1, v138
	s_nop 0
	v_mov_b32_dpp v5, v1 row_shr:2 row_mask:0xf bank_mask:0xf
	v_cndmask_b32_e32 v5, 0, v5, vcc
	v_add_u32_e32 v1, v1, v5
	ds_write_b32 v19, v1
.LBB839_394:                            ;   in Loop: Header=BB839_20 Depth=1
	s_or_b64 exec, exec, s[28:29]
	v_mov_b32_e32 v1, 0
	s_waitcnt lgkmcnt(0)
	s_barrier
	s_and_saveexec_b64 s[28:29], s[10:11]
	s_cbranch_execz .LBB839_396
; %bb.395:                              ;   in Loop: Header=BB839_20 Depth=1
	ds_read_b32 v1, v21
.LBB839_396:                            ;   in Loop: Header=BB839_20 Depth=1
	s_or_b64 exec, exec, s[28:29]
	v_cmp_lt_i32_e32 vcc, v139, v140
	v_cndmask_b32_e32 v5, v139, v134, vcc
	s_waitcnt lgkmcnt(0)
	v_add_u32_e32 v0, v1, v0
	v_lshlrev_b32_e32 v158, 2, v5
	ds_bpermute_b32 v0, v158, v0
	v_cmp_eq_u32_e64 s[28:29], 0, v134
	s_waitcnt lgkmcnt(0)
	s_barrier
	s_and_saveexec_b64 s[30:31], s[4:5]
	s_cbranch_execz .LBB839_398
; %bb.397:                              ;   in Loop: Header=BB839_20 Depth=1
	v_cndmask_b32_e64 v0, v0, v1, s[28:29]
	v_add_u32_e32 v0, s38, v0
	ds_write_b32 v3, v0
.LBB839_398:                            ;   in Loop: Header=BB839_20 Depth=1
	s_or_b64 exec, exec, s[30:31]
	s_load_dwordx2 s[30:31], s[90:91], 0x0
	v_readlane_b32 s34, v235, 1
	v_add_co_u32_e32 v159, vcc, v107, v141
	v_addc_co_u32_e32 v160, vcc, 0, v108, vcc
	s_waitcnt lgkmcnt(0)
	s_cmp_lt_u32 s34, s30
	v_readlane_b32 s30, v235, 0
	s_cselect_b32 s34, 12, 18
	s_cmp_lt_u32 s30, s31
	s_cselect_b32 s30, 14, 20
	s_add_u32 s30, s90, s30
	s_addc_u32 s31, s91, 0
	s_add_u32 s34, s90, s34
	global_load_ushort v5, v4, s[30:31]
	s_addc_u32 s35, s91, 0
	global_load_ushort v64, v4, s[34:35]
	v_add_co_u32_e32 v161, vcc, v109, v141
	v_addc_co_u32_e32 v162, vcc, 0, v110, vcc
	v_add_co_u32_e32 v176, vcc, 0x1e00, v161
	v_cmp_eq_u32_e64 s[30:31], 0, v138
	v_cmp_lt_u32_e64 s[34:35], 1, v138
	s_mov_b32 s86, s85
	v_addc_co_u32_e32 v179, vcc, 0, v162, vcc
	s_mov_b32 s88, s38
                                        ; implicit-def: $vgpr0_vgpr1
                                        ; implicit-def: $vgpr34_vgpr35
                                        ; implicit-def: $vgpr38_vgpr39
                                        ; implicit-def: $vgpr42_vgpr43
                                        ; implicit-def: $vgpr46_vgpr47
                                        ; implicit-def: $vgpr50_vgpr51
                                        ; implicit-def: $vgpr54_vgpr55
                                        ; implicit-def: $vgpr58_vgpr59
                                        ; implicit-def: $vgpr36_vgpr37
                                        ; implicit-def: $vgpr40_vgpr41
                                        ; implicit-def: $vgpr44_vgpr45
                                        ; implicit-def: $vgpr48_vgpr49
                                        ; implicit-def: $vgpr52_vgpr53
                                        ; implicit-def: $vgpr56_vgpr57
                                        ; implicit-def: $vgpr60_vgpr61
                                        ; implicit-def: $vgpr62_vgpr63
                                        ; implicit-def: $vgpr163
                                        ; implicit-def: $vgpr164
                                        ; implicit-def: $vgpr165
                                        ; implicit-def: $vgpr166
                                        ; implicit-def: $vgpr167
                                        ; implicit-def: $vgpr168
                                        ; implicit-def: $vgpr169
                                        ; implicit-def: $vgpr170
                                        ; implicit-def: $vgpr171
                                        ; implicit-def: $vgpr172
                                        ; implicit-def: $vgpr173
                                        ; implicit-def: $vgpr174
                                        ; implicit-def: $vgpr175
                                        ; implicit-def: $vgpr177
                                        ; implicit-def: $vgpr178
                                        ; implicit-def: $vgpr180
	s_waitcnt vmcnt(1)
	v_mad_u32_u24 v5, v23, v5, v25
	s_waitcnt vmcnt(0)
	v_mad_u64_u32 v[64:65], s[36:37], v5, v64, v[2:3]
	v_lshrrev_b32_e32 v181, 6, v64
	s_branch .LBB839_400
.LBB839_399:                            ;   in Loop: Header=BB839_400 Depth=2
	s_or_b64 exec, exec, s[36:37]
	s_addk_i32 s86, 0xf000
	s_cmp_lt_u32 s87, s94
	s_mov_b32 s88, s87
	s_cbranch_scc0 .LBB839_608
.LBB839_400:                            ;   Parent Loop BB839_20 Depth=1
                                        ; =>  This Inner Loop Header: Depth=2
	s_add_i32 s87, s88, 0x1000
	s_cmp_gt_u32 s87, s94
	s_cbranch_scc1 .LBB839_402
; %bb.401:                              ;   in Loop: Header=BB839_400 Depth=2
	s_lshl_b64 s[36:37], s[88:89], 3
	v_mov_b32_e32 v5, s37
	v_add_co_u32_e32 v80, vcc, s36, v161
	v_addc_co_u32_e32 v81, vcc, v162, v5, vcc
	v_add_co_u32_e32 v92, vcc, 0x1000, v80
	global_load_dwordx2 v[64:65], v[80:81], off
	global_load_dwordx2 v[66:67], v[80:81], off offset:512
	global_load_dwordx2 v[68:69], v[80:81], off offset:1024
	;; [unrolled: 1-line block ×7, first 2 shown]
	v_addc_co_u32_e32 v93, vcc, 0, v81, vcc
	global_load_dwordx2 v[80:81], v[92:93], off
	global_load_dwordx2 v[82:83], v[92:93], off offset:512
	global_load_dwordx2 v[84:85], v[92:93], off offset:1024
	;; [unrolled: 1-line block ×5, first 2 shown]
	s_nop 0
	global_load_dwordx2 v[92:93], v[92:93], off offset:3072
	s_movk_i32 s40, 0x1000
	s_mov_b64 s[36:37], -1
	s_cbranch_execz .LBB839_403
	s_branch .LBB839_434
.LBB839_402:                            ;   in Loop: Header=BB839_400 Depth=2
	s_mov_b64 s[36:37], 0
                                        ; implicit-def: $sgpr40
                                        ; implicit-def: $vgpr64_vgpr65
                                        ; implicit-def: $vgpr66_vgpr67
                                        ; implicit-def: $vgpr68_vgpr69
                                        ; implicit-def: $vgpr70_vgpr71
                                        ; implicit-def: $vgpr72_vgpr73
                                        ; implicit-def: $vgpr74_vgpr75
                                        ; implicit-def: $vgpr76_vgpr77
                                        ; implicit-def: $vgpr78_vgpr79
                                        ; implicit-def: $vgpr80_vgpr81
                                        ; implicit-def: $vgpr82_vgpr83
                                        ; implicit-def: $vgpr84_vgpr85
                                        ; implicit-def: $vgpr86_vgpr87
                                        ; implicit-def: $vgpr88_vgpr89
                                        ; implicit-def: $vgpr90_vgpr91
                                        ; implicit-def: $vgpr92_vgpr93
.LBB839_403:                            ;   in Loop: Header=BB839_400 Depth=2
	s_lshl_b64 s[36:37], s[88:89], 3
	v_mov_b32_e32 v5, s37
	v_add_co_u32_e32 v94, vcc, s36, v161
	v_addc_co_u32_e32 v95, vcc, v162, v5, vcc
	v_cmp_gt_u32_e32 vcc, s86, v142
	s_waitcnt vmcnt(14)
	v_pk_mov_b32 v[64:65], s[78:79], s[78:79] op_sel:[0,1]
	s_and_saveexec_b64 s[36:37], vcc
	s_cbranch_execz .LBB839_405
; %bb.404:                              ;   in Loop: Header=BB839_400 Depth=2
	global_load_dwordx2 v[64:65], v[94:95], off
.LBB839_405:                            ;   in Loop: Header=BB839_400 Depth=2
	s_or_b64 exec, exec, s[36:37]
	v_cmp_gt_u32_e32 vcc, s86, v143
	s_waitcnt vmcnt(13)
	v_pk_mov_b32 v[66:67], s[78:79], s[78:79] op_sel:[0,1]
	s_and_saveexec_b64 s[36:37], vcc
	s_cbranch_execz .LBB839_407
; %bb.406:                              ;   in Loop: Header=BB839_400 Depth=2
	global_load_dwordx2 v[66:67], v[94:95], off offset:512
.LBB839_407:                            ;   in Loop: Header=BB839_400 Depth=2
	s_or_b64 exec, exec, s[36:37]
	v_cmp_gt_u32_e32 vcc, s86, v144
	s_waitcnt vmcnt(12)
	v_pk_mov_b32 v[68:69], s[78:79], s[78:79] op_sel:[0,1]
	s_and_saveexec_b64 s[36:37], vcc
	s_cbranch_execz .LBB839_409
; %bb.408:                              ;   in Loop: Header=BB839_400 Depth=2
	global_load_dwordx2 v[68:69], v[94:95], off offset:1024
.LBB839_409:                            ;   in Loop: Header=BB839_400 Depth=2
	;; [unrolled: 9-line block ×7, first 2 shown]
	s_or_b64 exec, exec, s[36:37]
	v_cmp_gt_u32_e32 vcc, s86, v150
	s_waitcnt vmcnt(6)
	v_pk_mov_b32 v[80:81], s[78:79], s[78:79] op_sel:[0,1]
	s_and_saveexec_b64 s[36:37], vcc
	s_cbranch_execz .LBB839_421
; %bb.420:                              ;   in Loop: Header=BB839_400 Depth=2
	v_add_co_u32_e32 v80, vcc, 0x1000, v94
	v_addc_co_u32_e32 v81, vcc, 0, v95, vcc
	global_load_dwordx2 v[80:81], v[80:81], off
.LBB839_421:                            ;   in Loop: Header=BB839_400 Depth=2
	s_or_b64 exec, exec, s[36:37]
	v_cmp_gt_u32_e32 vcc, s86, v151
	s_waitcnt vmcnt(5)
	v_pk_mov_b32 v[82:83], s[78:79], s[78:79] op_sel:[0,1]
	s_and_saveexec_b64 s[36:37], vcc
	s_cbranch_execz .LBB839_423
; %bb.422:                              ;   in Loop: Header=BB839_400 Depth=2
	v_add_co_u32_e32 v82, vcc, 0x1000, v94
	v_addc_co_u32_e32 v83, vcc, 0, v95, vcc
	global_load_dwordx2 v[82:83], v[82:83], off offset:512
.LBB839_423:                            ;   in Loop: Header=BB839_400 Depth=2
	s_or_b64 exec, exec, s[36:37]
	v_cmp_gt_u32_e32 vcc, s86, v152
	s_waitcnt vmcnt(4)
	v_pk_mov_b32 v[84:85], s[78:79], s[78:79] op_sel:[0,1]
	s_and_saveexec_b64 s[36:37], vcc
	s_cbranch_execz .LBB839_425
; %bb.424:                              ;   in Loop: Header=BB839_400 Depth=2
	v_add_co_u32_e32 v84, vcc, 0x1000, v94
	v_addc_co_u32_e32 v85, vcc, 0, v95, vcc
	global_load_dwordx2 v[84:85], v[84:85], off offset:1024
.LBB839_425:                            ;   in Loop: Header=BB839_400 Depth=2
	;; [unrolled: 11-line block ×6, first 2 shown]
	s_or_b64 exec, exec, s[36:37]
	s_sub_i32 s40, s94, s88
	v_cmp_gt_u32_e64 s[36:37], s86, v157
.LBB839_434:                            ;   in Loop: Header=BB839_400 Depth=2
	v_pk_mov_b32 v[94:95], s[78:79], s[78:79] op_sel:[0,1]
	v_mov_b32_e32 v182, s86
	s_and_saveexec_b64 s[38:39], s[36:37]
	s_cbranch_execz .LBB839_436
; %bb.435:                              ;   in Loop: Header=BB839_400 Depth=2
	s_lshl_b64 s[36:37], s[88:89], 3
	v_mov_b32_e32 v5, s37
	v_add_co_u32_e32 v94, vcc, s36, v176
	v_addc_co_u32_e32 v95, vcc, v179, v5, vcc
	global_load_dwordx2 v[94:95], v[94:95], off
	v_mov_b32_e32 v182, s40
.LBB839_436:                            ;   in Loop: Header=BB839_400 Depth=2
	s_or_b64 exec, exec, s[38:39]
	s_waitcnt vmcnt(14)
	v_xor_b32_e32 v65, 0x80000000, v65
	v_lshrrev_b64 v[96:97], s33, v[64:65]
	v_add_u32_e32 v5, 0x410, v27
	v_and_b32_e32 v96, s69, v96
	ds_write2_b32 v5, v4, v4 offset1:1
	ds_write2_b32 v31, v4, v4 offset0:2 offset1:3
	ds_write_b32 v31, v4 offset:16
	v_mad_u32_u24 v5, v96, 5, v181
	v_lshl_add_u32 v183, v5, 2, v29
	v_and_b32_e32 v5, 1, v96
	v_add_co_u32_e32 v97, vcc, -1, v5
	v_addc_co_u32_e64 v98, s[36:37], 0, -1, vcc
	v_cmp_ne_u32_e32 vcc, 0, v5
	v_xor_b32_e32 v5, vcc_hi, v98
	v_and_b32_e32 v98, exec_hi, v5
	v_lshlrev_b32_e32 v5, 30, v96
	v_xor_b32_e32 v97, vcc_lo, v97
	v_cmp_gt_i64_e32 vcc, 0, v[4:5]
	v_not_b32_e32 v5, v5
	v_ashrrev_i32_e32 v5, 31, v5
	v_and_b32_e32 v97, exec_lo, v97
	v_xor_b32_e32 v99, vcc_hi, v5
	v_xor_b32_e32 v5, vcc_lo, v5
	v_and_b32_e32 v97, v97, v5
	v_lshlrev_b32_e32 v5, 29, v96
	v_cmp_gt_i64_e32 vcc, 0, v[4:5]
	v_not_b32_e32 v5, v5
	v_ashrrev_i32_e32 v5, 31, v5
	v_and_b32_e32 v98, v98, v99
	v_xor_b32_e32 v99, vcc_hi, v5
	v_xor_b32_e32 v5, vcc_lo, v5
	v_and_b32_e32 v97, v97, v5
	v_lshlrev_b32_e32 v5, 28, v96
	v_cmp_gt_i64_e32 vcc, 0, v[4:5]
	v_not_b32_e32 v5, v5
	v_ashrrev_i32_e32 v5, 31, v5
	v_and_b32_e32 v98, v98, v99
	;; [unrolled: 8-line block ×5, first 2 shown]
	v_xor_b32_e32 v99, vcc_hi, v5
	v_xor_b32_e32 v5, vcc_lo, v5
	v_and_b32_e32 v98, v98, v99
	v_and_b32_e32 v99, v97, v5
	v_lshlrev_b32_e32 v5, 24, v96
	v_cmp_gt_i64_e32 vcc, 0, v[4:5]
	v_not_b32_e32 v5, v5
	v_ashrrev_i32_e32 v5, 31, v5
	v_xor_b32_e32 v96, vcc_hi, v5
	v_xor_b32_e32 v5, vcc_lo, v5
	v_and_b32_e32 v97, v98, v96
	v_and_b32_e32 v96, v99, v5
	v_mbcnt_lo_u32_b32 v5, v96, 0
	v_mbcnt_hi_u32_b32 v184, v97, v5
	v_cmp_eq_u32_e32 vcc, 0, v184
	v_cmp_ne_u64_e64 s[36:37], 0, v[96:97]
	s_and_b64 s[38:39], s[36:37], vcc
	s_waitcnt lgkmcnt(0)
	s_barrier
	s_waitcnt lgkmcnt(0)
	; wave barrier
	s_and_saveexec_b64 s[36:37], s[38:39]
	s_cbranch_execz .LBB839_438
; %bb.437:                              ;   in Loop: Header=BB839_400 Depth=2
	v_bcnt_u32_b32 v5, v96, 0
	v_bcnt_u32_b32 v5, v97, v5
	ds_write_b32 v183, v5
.LBB839_438:                            ;   in Loop: Header=BB839_400 Depth=2
	s_or_b64 exec, exec, s[36:37]
	s_waitcnt vmcnt(13)
	v_xor_b32_e32 v67, 0x80000000, v67
	v_lshrrev_b64 v[96:97], s33, v[66:67]
	v_and_b32_e32 v96, s69, v96
	v_mul_u32_u24_e32 v5, 5, v96
	v_add_lshl_u32 v5, v5, v181, 2
	; wave barrier
	v_add_u32_e32 v186, 0x410, v5
	ds_read_b32 v185, v5 offset:1040
	v_and_b32_e32 v5, 1, v96
	v_add_co_u32_e32 v97, vcc, -1, v5
	v_addc_co_u32_e64 v98, s[36:37], 0, -1, vcc
	v_cmp_ne_u32_e32 vcc, 0, v5
	v_xor_b32_e32 v5, vcc_hi, v98
	v_and_b32_e32 v98, exec_hi, v5
	v_lshlrev_b32_e32 v5, 30, v96
	v_xor_b32_e32 v97, vcc_lo, v97
	v_cmp_gt_i64_e32 vcc, 0, v[4:5]
	v_not_b32_e32 v5, v5
	v_ashrrev_i32_e32 v5, 31, v5
	v_and_b32_e32 v97, exec_lo, v97
	v_xor_b32_e32 v99, vcc_hi, v5
	v_xor_b32_e32 v5, vcc_lo, v5
	v_and_b32_e32 v97, v97, v5
	v_lshlrev_b32_e32 v5, 29, v96
	v_cmp_gt_i64_e32 vcc, 0, v[4:5]
	v_not_b32_e32 v5, v5
	v_ashrrev_i32_e32 v5, 31, v5
	v_and_b32_e32 v98, v98, v99
	v_xor_b32_e32 v99, vcc_hi, v5
	v_xor_b32_e32 v5, vcc_lo, v5
	v_and_b32_e32 v97, v97, v5
	v_lshlrev_b32_e32 v5, 28, v96
	v_cmp_gt_i64_e32 vcc, 0, v[4:5]
	v_not_b32_e32 v5, v5
	v_ashrrev_i32_e32 v5, 31, v5
	v_and_b32_e32 v98, v98, v99
	;; [unrolled: 8-line block ×5, first 2 shown]
	v_xor_b32_e32 v99, vcc_hi, v5
	v_xor_b32_e32 v5, vcc_lo, v5
	v_and_b32_e32 v98, v98, v99
	v_and_b32_e32 v99, v97, v5
	v_lshlrev_b32_e32 v5, 24, v96
	v_cmp_gt_i64_e32 vcc, 0, v[4:5]
	v_not_b32_e32 v5, v5
	v_ashrrev_i32_e32 v5, 31, v5
	v_xor_b32_e32 v96, vcc_hi, v5
	v_xor_b32_e32 v5, vcc_lo, v5
	v_and_b32_e32 v97, v98, v96
	v_and_b32_e32 v96, v99, v5
	v_mbcnt_lo_u32_b32 v5, v96, 0
	v_mbcnt_hi_u32_b32 v187, v97, v5
	v_cmp_eq_u32_e32 vcc, 0, v187
	v_cmp_ne_u64_e64 s[36:37], 0, v[96:97]
	s_and_b64 s[38:39], s[36:37], vcc
	; wave barrier
	s_and_saveexec_b64 s[36:37], s[38:39]
	s_cbranch_execz .LBB839_440
; %bb.439:                              ;   in Loop: Header=BB839_400 Depth=2
	v_bcnt_u32_b32 v5, v96, 0
	v_bcnt_u32_b32 v5, v97, v5
	s_waitcnt lgkmcnt(0)
	v_add_u32_e32 v5, v185, v5
	ds_write_b32 v186, v5
.LBB839_440:                            ;   in Loop: Header=BB839_400 Depth=2
	s_or_b64 exec, exec, s[36:37]
	s_waitcnt vmcnt(12)
	v_xor_b32_e32 v69, 0x80000000, v69
	v_lshrrev_b64 v[96:97], s33, v[68:69]
	v_and_b32_e32 v96, s69, v96
	v_mul_u32_u24_e32 v5, 5, v96
	v_add_lshl_u32 v5, v5, v181, 2
	; wave barrier
	v_add_u32_e32 v189, 0x410, v5
	ds_read_b32 v188, v5 offset:1040
	v_and_b32_e32 v5, 1, v96
	v_add_co_u32_e32 v97, vcc, -1, v5
	v_addc_co_u32_e64 v98, s[36:37], 0, -1, vcc
	v_cmp_ne_u32_e32 vcc, 0, v5
	v_xor_b32_e32 v5, vcc_hi, v98
	v_and_b32_e32 v98, exec_hi, v5
	v_lshlrev_b32_e32 v5, 30, v96
	v_xor_b32_e32 v97, vcc_lo, v97
	v_cmp_gt_i64_e32 vcc, 0, v[4:5]
	v_not_b32_e32 v5, v5
	v_ashrrev_i32_e32 v5, 31, v5
	v_and_b32_e32 v97, exec_lo, v97
	v_xor_b32_e32 v99, vcc_hi, v5
	v_xor_b32_e32 v5, vcc_lo, v5
	v_and_b32_e32 v97, v97, v5
	v_lshlrev_b32_e32 v5, 29, v96
	v_cmp_gt_i64_e32 vcc, 0, v[4:5]
	v_not_b32_e32 v5, v5
	v_ashrrev_i32_e32 v5, 31, v5
	v_and_b32_e32 v98, v98, v99
	v_xor_b32_e32 v99, vcc_hi, v5
	v_xor_b32_e32 v5, vcc_lo, v5
	v_and_b32_e32 v97, v97, v5
	v_lshlrev_b32_e32 v5, 28, v96
	v_cmp_gt_i64_e32 vcc, 0, v[4:5]
	v_not_b32_e32 v5, v5
	v_ashrrev_i32_e32 v5, 31, v5
	v_and_b32_e32 v98, v98, v99
	;; [unrolled: 8-line block ×5, first 2 shown]
	v_xor_b32_e32 v99, vcc_hi, v5
	v_xor_b32_e32 v5, vcc_lo, v5
	v_and_b32_e32 v98, v98, v99
	v_and_b32_e32 v99, v97, v5
	v_lshlrev_b32_e32 v5, 24, v96
	v_cmp_gt_i64_e32 vcc, 0, v[4:5]
	v_not_b32_e32 v5, v5
	v_ashrrev_i32_e32 v5, 31, v5
	v_xor_b32_e32 v96, vcc_hi, v5
	v_xor_b32_e32 v5, vcc_lo, v5
	v_and_b32_e32 v97, v98, v96
	v_and_b32_e32 v96, v99, v5
	v_mbcnt_lo_u32_b32 v5, v96, 0
	v_mbcnt_hi_u32_b32 v190, v97, v5
	v_cmp_eq_u32_e32 vcc, 0, v190
	v_cmp_ne_u64_e64 s[36:37], 0, v[96:97]
	s_and_b64 s[38:39], s[36:37], vcc
	; wave barrier
	s_and_saveexec_b64 s[36:37], s[38:39]
	s_cbranch_execz .LBB839_442
; %bb.441:                              ;   in Loop: Header=BB839_400 Depth=2
	v_bcnt_u32_b32 v5, v96, 0
	v_bcnt_u32_b32 v5, v97, v5
	s_waitcnt lgkmcnt(0)
	v_add_u32_e32 v5, v188, v5
	ds_write_b32 v189, v5
.LBB839_442:                            ;   in Loop: Header=BB839_400 Depth=2
	s_or_b64 exec, exec, s[36:37]
	s_waitcnt vmcnt(11)
	v_xor_b32_e32 v71, 0x80000000, v71
	v_lshrrev_b64 v[96:97], s33, v[70:71]
	v_and_b32_e32 v96, s69, v96
	v_mul_u32_u24_e32 v5, 5, v96
	v_add_lshl_u32 v5, v5, v181, 2
	; wave barrier
	v_add_u32_e32 v192, 0x410, v5
	ds_read_b32 v191, v5 offset:1040
	v_and_b32_e32 v5, 1, v96
	v_add_co_u32_e32 v97, vcc, -1, v5
	v_addc_co_u32_e64 v98, s[36:37], 0, -1, vcc
	v_cmp_ne_u32_e32 vcc, 0, v5
	v_xor_b32_e32 v5, vcc_hi, v98
	v_and_b32_e32 v98, exec_hi, v5
	v_lshlrev_b32_e32 v5, 30, v96
	v_xor_b32_e32 v97, vcc_lo, v97
	v_cmp_gt_i64_e32 vcc, 0, v[4:5]
	v_not_b32_e32 v5, v5
	v_ashrrev_i32_e32 v5, 31, v5
	v_and_b32_e32 v97, exec_lo, v97
	v_xor_b32_e32 v99, vcc_hi, v5
	v_xor_b32_e32 v5, vcc_lo, v5
	v_and_b32_e32 v97, v97, v5
	v_lshlrev_b32_e32 v5, 29, v96
	v_cmp_gt_i64_e32 vcc, 0, v[4:5]
	v_not_b32_e32 v5, v5
	v_ashrrev_i32_e32 v5, 31, v5
	v_and_b32_e32 v98, v98, v99
	v_xor_b32_e32 v99, vcc_hi, v5
	v_xor_b32_e32 v5, vcc_lo, v5
	v_and_b32_e32 v97, v97, v5
	v_lshlrev_b32_e32 v5, 28, v96
	v_cmp_gt_i64_e32 vcc, 0, v[4:5]
	v_not_b32_e32 v5, v5
	v_ashrrev_i32_e32 v5, 31, v5
	v_and_b32_e32 v98, v98, v99
	;; [unrolled: 8-line block ×5, first 2 shown]
	v_xor_b32_e32 v99, vcc_hi, v5
	v_xor_b32_e32 v5, vcc_lo, v5
	v_and_b32_e32 v98, v98, v99
	v_and_b32_e32 v99, v97, v5
	v_lshlrev_b32_e32 v5, 24, v96
	v_cmp_gt_i64_e32 vcc, 0, v[4:5]
	v_not_b32_e32 v5, v5
	v_ashrrev_i32_e32 v5, 31, v5
	v_xor_b32_e32 v96, vcc_hi, v5
	v_xor_b32_e32 v5, vcc_lo, v5
	v_and_b32_e32 v97, v98, v96
	v_and_b32_e32 v96, v99, v5
	v_mbcnt_lo_u32_b32 v5, v96, 0
	v_mbcnt_hi_u32_b32 v193, v97, v5
	v_cmp_eq_u32_e32 vcc, 0, v193
	v_cmp_ne_u64_e64 s[36:37], 0, v[96:97]
	s_and_b64 s[38:39], s[36:37], vcc
	; wave barrier
	s_and_saveexec_b64 s[36:37], s[38:39]
	s_cbranch_execz .LBB839_444
; %bb.443:                              ;   in Loop: Header=BB839_400 Depth=2
	v_bcnt_u32_b32 v5, v96, 0
	v_bcnt_u32_b32 v5, v97, v5
	s_waitcnt lgkmcnt(0)
	v_add_u32_e32 v5, v191, v5
	ds_write_b32 v192, v5
.LBB839_444:                            ;   in Loop: Header=BB839_400 Depth=2
	s_or_b64 exec, exec, s[36:37]
	s_waitcnt vmcnt(10)
	v_xor_b32_e32 v73, 0x80000000, v73
	v_lshrrev_b64 v[96:97], s33, v[72:73]
	v_and_b32_e32 v96, s69, v96
	v_mul_u32_u24_e32 v5, 5, v96
	v_add_lshl_u32 v5, v5, v181, 2
	; wave barrier
	v_add_u32_e32 v195, 0x410, v5
	ds_read_b32 v194, v5 offset:1040
	v_and_b32_e32 v5, 1, v96
	v_add_co_u32_e32 v97, vcc, -1, v5
	v_addc_co_u32_e64 v98, s[36:37], 0, -1, vcc
	v_cmp_ne_u32_e32 vcc, 0, v5
	v_xor_b32_e32 v5, vcc_hi, v98
	v_and_b32_e32 v98, exec_hi, v5
	v_lshlrev_b32_e32 v5, 30, v96
	v_xor_b32_e32 v97, vcc_lo, v97
	v_cmp_gt_i64_e32 vcc, 0, v[4:5]
	v_not_b32_e32 v5, v5
	v_ashrrev_i32_e32 v5, 31, v5
	v_and_b32_e32 v97, exec_lo, v97
	v_xor_b32_e32 v99, vcc_hi, v5
	v_xor_b32_e32 v5, vcc_lo, v5
	v_and_b32_e32 v97, v97, v5
	v_lshlrev_b32_e32 v5, 29, v96
	v_cmp_gt_i64_e32 vcc, 0, v[4:5]
	v_not_b32_e32 v5, v5
	v_ashrrev_i32_e32 v5, 31, v5
	v_and_b32_e32 v98, v98, v99
	v_xor_b32_e32 v99, vcc_hi, v5
	v_xor_b32_e32 v5, vcc_lo, v5
	v_and_b32_e32 v97, v97, v5
	v_lshlrev_b32_e32 v5, 28, v96
	v_cmp_gt_i64_e32 vcc, 0, v[4:5]
	v_not_b32_e32 v5, v5
	v_ashrrev_i32_e32 v5, 31, v5
	v_and_b32_e32 v98, v98, v99
	;; [unrolled: 8-line block ×5, first 2 shown]
	v_xor_b32_e32 v99, vcc_hi, v5
	v_xor_b32_e32 v5, vcc_lo, v5
	v_and_b32_e32 v98, v98, v99
	v_and_b32_e32 v99, v97, v5
	v_lshlrev_b32_e32 v5, 24, v96
	v_cmp_gt_i64_e32 vcc, 0, v[4:5]
	v_not_b32_e32 v5, v5
	v_ashrrev_i32_e32 v5, 31, v5
	v_xor_b32_e32 v96, vcc_hi, v5
	v_xor_b32_e32 v5, vcc_lo, v5
	v_and_b32_e32 v97, v98, v96
	v_and_b32_e32 v96, v99, v5
	v_mbcnt_lo_u32_b32 v5, v96, 0
	v_mbcnt_hi_u32_b32 v196, v97, v5
	v_cmp_eq_u32_e32 vcc, 0, v196
	v_cmp_ne_u64_e64 s[36:37], 0, v[96:97]
	s_and_b64 s[38:39], s[36:37], vcc
	; wave barrier
	s_and_saveexec_b64 s[36:37], s[38:39]
	s_cbranch_execz .LBB839_446
; %bb.445:                              ;   in Loop: Header=BB839_400 Depth=2
	v_bcnt_u32_b32 v5, v96, 0
	v_bcnt_u32_b32 v5, v97, v5
	s_waitcnt lgkmcnt(0)
	v_add_u32_e32 v5, v194, v5
	ds_write_b32 v195, v5
.LBB839_446:                            ;   in Loop: Header=BB839_400 Depth=2
	s_or_b64 exec, exec, s[36:37]
	s_waitcnt vmcnt(9)
	v_xor_b32_e32 v75, 0x80000000, v75
	v_lshrrev_b64 v[96:97], s33, v[74:75]
	v_and_b32_e32 v96, s69, v96
	v_mul_u32_u24_e32 v5, 5, v96
	v_add_lshl_u32 v5, v5, v181, 2
	; wave barrier
	v_add_u32_e32 v198, 0x410, v5
	ds_read_b32 v197, v5 offset:1040
	v_and_b32_e32 v5, 1, v96
	v_add_co_u32_e32 v97, vcc, -1, v5
	v_addc_co_u32_e64 v98, s[36:37], 0, -1, vcc
	v_cmp_ne_u32_e32 vcc, 0, v5
	v_xor_b32_e32 v5, vcc_hi, v98
	v_and_b32_e32 v98, exec_hi, v5
	v_lshlrev_b32_e32 v5, 30, v96
	v_xor_b32_e32 v97, vcc_lo, v97
	v_cmp_gt_i64_e32 vcc, 0, v[4:5]
	v_not_b32_e32 v5, v5
	v_ashrrev_i32_e32 v5, 31, v5
	v_and_b32_e32 v97, exec_lo, v97
	v_xor_b32_e32 v99, vcc_hi, v5
	v_xor_b32_e32 v5, vcc_lo, v5
	v_and_b32_e32 v97, v97, v5
	v_lshlrev_b32_e32 v5, 29, v96
	v_cmp_gt_i64_e32 vcc, 0, v[4:5]
	v_not_b32_e32 v5, v5
	v_ashrrev_i32_e32 v5, 31, v5
	v_and_b32_e32 v98, v98, v99
	v_xor_b32_e32 v99, vcc_hi, v5
	v_xor_b32_e32 v5, vcc_lo, v5
	v_and_b32_e32 v97, v97, v5
	v_lshlrev_b32_e32 v5, 28, v96
	v_cmp_gt_i64_e32 vcc, 0, v[4:5]
	v_not_b32_e32 v5, v5
	v_ashrrev_i32_e32 v5, 31, v5
	v_and_b32_e32 v98, v98, v99
	;; [unrolled: 8-line block ×5, first 2 shown]
	v_xor_b32_e32 v99, vcc_hi, v5
	v_xor_b32_e32 v5, vcc_lo, v5
	v_and_b32_e32 v98, v98, v99
	v_and_b32_e32 v99, v97, v5
	v_lshlrev_b32_e32 v5, 24, v96
	v_cmp_gt_i64_e32 vcc, 0, v[4:5]
	v_not_b32_e32 v5, v5
	v_ashrrev_i32_e32 v5, 31, v5
	v_xor_b32_e32 v96, vcc_hi, v5
	v_xor_b32_e32 v5, vcc_lo, v5
	v_and_b32_e32 v97, v98, v96
	v_and_b32_e32 v96, v99, v5
	v_mbcnt_lo_u32_b32 v5, v96, 0
	v_mbcnt_hi_u32_b32 v199, v97, v5
	v_cmp_eq_u32_e32 vcc, 0, v199
	v_cmp_ne_u64_e64 s[36:37], 0, v[96:97]
	s_and_b64 s[38:39], s[36:37], vcc
	; wave barrier
	s_and_saveexec_b64 s[36:37], s[38:39]
	s_cbranch_execz .LBB839_448
; %bb.447:                              ;   in Loop: Header=BB839_400 Depth=2
	v_bcnt_u32_b32 v5, v96, 0
	v_bcnt_u32_b32 v5, v97, v5
	s_waitcnt lgkmcnt(0)
	v_add_u32_e32 v5, v197, v5
	ds_write_b32 v198, v5
.LBB839_448:                            ;   in Loop: Header=BB839_400 Depth=2
	s_or_b64 exec, exec, s[36:37]
	s_waitcnt vmcnt(8)
	v_xor_b32_e32 v77, 0x80000000, v77
	v_lshrrev_b64 v[96:97], s33, v[76:77]
	v_and_b32_e32 v96, s69, v96
	v_mul_u32_u24_e32 v5, 5, v96
	v_add_lshl_u32 v5, v5, v181, 2
	; wave barrier
	v_add_u32_e32 v201, 0x410, v5
	ds_read_b32 v200, v5 offset:1040
	v_and_b32_e32 v5, 1, v96
	v_add_co_u32_e32 v97, vcc, -1, v5
	v_addc_co_u32_e64 v98, s[36:37], 0, -1, vcc
	v_cmp_ne_u32_e32 vcc, 0, v5
	v_xor_b32_e32 v5, vcc_hi, v98
	v_and_b32_e32 v98, exec_hi, v5
	v_lshlrev_b32_e32 v5, 30, v96
	v_xor_b32_e32 v97, vcc_lo, v97
	v_cmp_gt_i64_e32 vcc, 0, v[4:5]
	v_not_b32_e32 v5, v5
	v_ashrrev_i32_e32 v5, 31, v5
	v_and_b32_e32 v97, exec_lo, v97
	v_xor_b32_e32 v99, vcc_hi, v5
	v_xor_b32_e32 v5, vcc_lo, v5
	v_and_b32_e32 v97, v97, v5
	v_lshlrev_b32_e32 v5, 29, v96
	v_cmp_gt_i64_e32 vcc, 0, v[4:5]
	v_not_b32_e32 v5, v5
	v_ashrrev_i32_e32 v5, 31, v5
	v_and_b32_e32 v98, v98, v99
	v_xor_b32_e32 v99, vcc_hi, v5
	v_xor_b32_e32 v5, vcc_lo, v5
	v_and_b32_e32 v97, v97, v5
	v_lshlrev_b32_e32 v5, 28, v96
	v_cmp_gt_i64_e32 vcc, 0, v[4:5]
	v_not_b32_e32 v5, v5
	v_ashrrev_i32_e32 v5, 31, v5
	v_and_b32_e32 v98, v98, v99
	;; [unrolled: 8-line block ×5, first 2 shown]
	v_xor_b32_e32 v99, vcc_hi, v5
	v_xor_b32_e32 v5, vcc_lo, v5
	v_and_b32_e32 v98, v98, v99
	v_and_b32_e32 v99, v97, v5
	v_lshlrev_b32_e32 v5, 24, v96
	v_cmp_gt_i64_e32 vcc, 0, v[4:5]
	v_not_b32_e32 v5, v5
	v_ashrrev_i32_e32 v5, 31, v5
	v_xor_b32_e32 v96, vcc_hi, v5
	v_xor_b32_e32 v5, vcc_lo, v5
	v_and_b32_e32 v97, v98, v96
	v_and_b32_e32 v96, v99, v5
	v_mbcnt_lo_u32_b32 v5, v96, 0
	v_mbcnt_hi_u32_b32 v202, v97, v5
	v_cmp_eq_u32_e32 vcc, 0, v202
	v_cmp_ne_u64_e64 s[36:37], 0, v[96:97]
	s_and_b64 s[38:39], s[36:37], vcc
	; wave barrier
	s_and_saveexec_b64 s[36:37], s[38:39]
	s_cbranch_execz .LBB839_450
; %bb.449:                              ;   in Loop: Header=BB839_400 Depth=2
	v_bcnt_u32_b32 v5, v96, 0
	v_bcnt_u32_b32 v5, v97, v5
	s_waitcnt lgkmcnt(0)
	v_add_u32_e32 v5, v200, v5
	ds_write_b32 v201, v5
.LBB839_450:                            ;   in Loop: Header=BB839_400 Depth=2
	s_or_b64 exec, exec, s[36:37]
	s_waitcnt vmcnt(7)
	v_xor_b32_e32 v79, 0x80000000, v79
	v_lshrrev_b64 v[96:97], s33, v[78:79]
	v_and_b32_e32 v96, s69, v96
	v_mul_u32_u24_e32 v5, 5, v96
	v_add_lshl_u32 v5, v5, v181, 2
	; wave barrier
	v_add_u32_e32 v204, 0x410, v5
	ds_read_b32 v203, v5 offset:1040
	v_and_b32_e32 v5, 1, v96
	v_add_co_u32_e32 v97, vcc, -1, v5
	v_addc_co_u32_e64 v98, s[36:37], 0, -1, vcc
	v_cmp_ne_u32_e32 vcc, 0, v5
	v_xor_b32_e32 v5, vcc_hi, v98
	v_and_b32_e32 v98, exec_hi, v5
	v_lshlrev_b32_e32 v5, 30, v96
	v_xor_b32_e32 v97, vcc_lo, v97
	v_cmp_gt_i64_e32 vcc, 0, v[4:5]
	v_not_b32_e32 v5, v5
	v_ashrrev_i32_e32 v5, 31, v5
	v_and_b32_e32 v97, exec_lo, v97
	v_xor_b32_e32 v99, vcc_hi, v5
	v_xor_b32_e32 v5, vcc_lo, v5
	v_and_b32_e32 v97, v97, v5
	v_lshlrev_b32_e32 v5, 29, v96
	v_cmp_gt_i64_e32 vcc, 0, v[4:5]
	v_not_b32_e32 v5, v5
	v_ashrrev_i32_e32 v5, 31, v5
	v_and_b32_e32 v98, v98, v99
	v_xor_b32_e32 v99, vcc_hi, v5
	v_xor_b32_e32 v5, vcc_lo, v5
	v_and_b32_e32 v97, v97, v5
	v_lshlrev_b32_e32 v5, 28, v96
	v_cmp_gt_i64_e32 vcc, 0, v[4:5]
	v_not_b32_e32 v5, v5
	v_ashrrev_i32_e32 v5, 31, v5
	v_and_b32_e32 v98, v98, v99
	;; [unrolled: 8-line block ×5, first 2 shown]
	v_xor_b32_e32 v99, vcc_hi, v5
	v_xor_b32_e32 v5, vcc_lo, v5
	v_and_b32_e32 v98, v98, v99
	v_and_b32_e32 v99, v97, v5
	v_lshlrev_b32_e32 v5, 24, v96
	v_cmp_gt_i64_e32 vcc, 0, v[4:5]
	v_not_b32_e32 v5, v5
	v_ashrrev_i32_e32 v5, 31, v5
	v_xor_b32_e32 v96, vcc_hi, v5
	v_xor_b32_e32 v5, vcc_lo, v5
	v_and_b32_e32 v97, v98, v96
	v_and_b32_e32 v96, v99, v5
	v_mbcnt_lo_u32_b32 v5, v96, 0
	v_mbcnt_hi_u32_b32 v205, v97, v5
	v_cmp_eq_u32_e32 vcc, 0, v205
	v_cmp_ne_u64_e64 s[36:37], 0, v[96:97]
	s_and_b64 s[38:39], s[36:37], vcc
	; wave barrier
	s_and_saveexec_b64 s[36:37], s[38:39]
	s_cbranch_execz .LBB839_452
; %bb.451:                              ;   in Loop: Header=BB839_400 Depth=2
	v_bcnt_u32_b32 v5, v96, 0
	v_bcnt_u32_b32 v5, v97, v5
	s_waitcnt lgkmcnt(0)
	v_add_u32_e32 v5, v203, v5
	ds_write_b32 v204, v5
.LBB839_452:                            ;   in Loop: Header=BB839_400 Depth=2
	s_or_b64 exec, exec, s[36:37]
	s_waitcnt vmcnt(6)
	v_xor_b32_e32 v81, 0x80000000, v81
	v_lshrrev_b64 v[96:97], s33, v[80:81]
	v_and_b32_e32 v96, s69, v96
	v_mul_u32_u24_e32 v5, 5, v96
	v_add_lshl_u32 v5, v5, v181, 2
	; wave barrier
	v_add_u32_e32 v207, 0x410, v5
	ds_read_b32 v206, v5 offset:1040
	v_and_b32_e32 v5, 1, v96
	v_add_co_u32_e32 v97, vcc, -1, v5
	v_addc_co_u32_e64 v98, s[36:37], 0, -1, vcc
	v_cmp_ne_u32_e32 vcc, 0, v5
	v_xor_b32_e32 v5, vcc_hi, v98
	v_and_b32_e32 v98, exec_hi, v5
	v_lshlrev_b32_e32 v5, 30, v96
	v_xor_b32_e32 v97, vcc_lo, v97
	v_cmp_gt_i64_e32 vcc, 0, v[4:5]
	v_not_b32_e32 v5, v5
	v_ashrrev_i32_e32 v5, 31, v5
	v_and_b32_e32 v97, exec_lo, v97
	v_xor_b32_e32 v99, vcc_hi, v5
	v_xor_b32_e32 v5, vcc_lo, v5
	v_and_b32_e32 v97, v97, v5
	v_lshlrev_b32_e32 v5, 29, v96
	v_cmp_gt_i64_e32 vcc, 0, v[4:5]
	v_not_b32_e32 v5, v5
	v_ashrrev_i32_e32 v5, 31, v5
	v_and_b32_e32 v98, v98, v99
	v_xor_b32_e32 v99, vcc_hi, v5
	v_xor_b32_e32 v5, vcc_lo, v5
	v_and_b32_e32 v97, v97, v5
	v_lshlrev_b32_e32 v5, 28, v96
	v_cmp_gt_i64_e32 vcc, 0, v[4:5]
	v_not_b32_e32 v5, v5
	v_ashrrev_i32_e32 v5, 31, v5
	v_and_b32_e32 v98, v98, v99
	;; [unrolled: 8-line block ×5, first 2 shown]
	v_xor_b32_e32 v99, vcc_hi, v5
	v_xor_b32_e32 v5, vcc_lo, v5
	v_and_b32_e32 v98, v98, v99
	v_and_b32_e32 v99, v97, v5
	v_lshlrev_b32_e32 v5, 24, v96
	v_cmp_gt_i64_e32 vcc, 0, v[4:5]
	v_not_b32_e32 v5, v5
	v_ashrrev_i32_e32 v5, 31, v5
	v_xor_b32_e32 v96, vcc_hi, v5
	v_xor_b32_e32 v5, vcc_lo, v5
	v_and_b32_e32 v97, v98, v96
	v_and_b32_e32 v96, v99, v5
	v_mbcnt_lo_u32_b32 v5, v96, 0
	v_mbcnt_hi_u32_b32 v208, v97, v5
	v_cmp_eq_u32_e32 vcc, 0, v208
	v_cmp_ne_u64_e64 s[36:37], 0, v[96:97]
	s_and_b64 s[38:39], s[36:37], vcc
	; wave barrier
	s_and_saveexec_b64 s[36:37], s[38:39]
	s_cbranch_execz .LBB839_454
; %bb.453:                              ;   in Loop: Header=BB839_400 Depth=2
	v_bcnt_u32_b32 v5, v96, 0
	v_bcnt_u32_b32 v5, v97, v5
	s_waitcnt lgkmcnt(0)
	v_add_u32_e32 v5, v206, v5
	ds_write_b32 v207, v5
.LBB839_454:                            ;   in Loop: Header=BB839_400 Depth=2
	s_or_b64 exec, exec, s[36:37]
	s_waitcnt vmcnt(5)
	v_xor_b32_e32 v83, 0x80000000, v83
	v_lshrrev_b64 v[96:97], s33, v[82:83]
	v_and_b32_e32 v96, s69, v96
	v_mul_u32_u24_e32 v5, 5, v96
	v_add_lshl_u32 v5, v5, v181, 2
	; wave barrier
	v_add_u32_e32 v210, 0x410, v5
	ds_read_b32 v209, v5 offset:1040
	v_and_b32_e32 v5, 1, v96
	v_add_co_u32_e32 v97, vcc, -1, v5
	v_addc_co_u32_e64 v98, s[36:37], 0, -1, vcc
	v_cmp_ne_u32_e32 vcc, 0, v5
	v_xor_b32_e32 v5, vcc_hi, v98
	v_and_b32_e32 v98, exec_hi, v5
	v_lshlrev_b32_e32 v5, 30, v96
	v_xor_b32_e32 v97, vcc_lo, v97
	v_cmp_gt_i64_e32 vcc, 0, v[4:5]
	v_not_b32_e32 v5, v5
	v_ashrrev_i32_e32 v5, 31, v5
	v_and_b32_e32 v97, exec_lo, v97
	v_xor_b32_e32 v99, vcc_hi, v5
	v_xor_b32_e32 v5, vcc_lo, v5
	v_and_b32_e32 v97, v97, v5
	v_lshlrev_b32_e32 v5, 29, v96
	v_cmp_gt_i64_e32 vcc, 0, v[4:5]
	v_not_b32_e32 v5, v5
	v_ashrrev_i32_e32 v5, 31, v5
	v_and_b32_e32 v98, v98, v99
	v_xor_b32_e32 v99, vcc_hi, v5
	v_xor_b32_e32 v5, vcc_lo, v5
	v_and_b32_e32 v97, v97, v5
	v_lshlrev_b32_e32 v5, 28, v96
	v_cmp_gt_i64_e32 vcc, 0, v[4:5]
	v_not_b32_e32 v5, v5
	v_ashrrev_i32_e32 v5, 31, v5
	v_and_b32_e32 v98, v98, v99
	;; [unrolled: 8-line block ×5, first 2 shown]
	v_xor_b32_e32 v99, vcc_hi, v5
	v_xor_b32_e32 v5, vcc_lo, v5
	v_and_b32_e32 v98, v98, v99
	v_and_b32_e32 v99, v97, v5
	v_lshlrev_b32_e32 v5, 24, v96
	v_cmp_gt_i64_e32 vcc, 0, v[4:5]
	v_not_b32_e32 v5, v5
	v_ashrrev_i32_e32 v5, 31, v5
	v_xor_b32_e32 v96, vcc_hi, v5
	v_xor_b32_e32 v5, vcc_lo, v5
	v_and_b32_e32 v97, v98, v96
	v_and_b32_e32 v96, v99, v5
	v_mbcnt_lo_u32_b32 v5, v96, 0
	v_mbcnt_hi_u32_b32 v211, v97, v5
	v_cmp_eq_u32_e32 vcc, 0, v211
	v_cmp_ne_u64_e64 s[36:37], 0, v[96:97]
	s_and_b64 s[38:39], s[36:37], vcc
	; wave barrier
	s_and_saveexec_b64 s[36:37], s[38:39]
	s_cbranch_execz .LBB839_456
; %bb.455:                              ;   in Loop: Header=BB839_400 Depth=2
	v_bcnt_u32_b32 v5, v96, 0
	v_bcnt_u32_b32 v5, v97, v5
	s_waitcnt lgkmcnt(0)
	v_add_u32_e32 v5, v209, v5
	ds_write_b32 v210, v5
.LBB839_456:                            ;   in Loop: Header=BB839_400 Depth=2
	s_or_b64 exec, exec, s[36:37]
	s_waitcnt vmcnt(4)
	v_xor_b32_e32 v85, 0x80000000, v85
	v_lshrrev_b64 v[96:97], s33, v[84:85]
	v_and_b32_e32 v96, s69, v96
	v_mul_u32_u24_e32 v5, 5, v96
	v_add_lshl_u32 v5, v5, v181, 2
	; wave barrier
	v_add_u32_e32 v213, 0x410, v5
	ds_read_b32 v212, v5 offset:1040
	v_and_b32_e32 v5, 1, v96
	v_add_co_u32_e32 v97, vcc, -1, v5
	v_addc_co_u32_e64 v98, s[36:37], 0, -1, vcc
	v_cmp_ne_u32_e32 vcc, 0, v5
	v_xor_b32_e32 v5, vcc_hi, v98
	v_and_b32_e32 v98, exec_hi, v5
	v_lshlrev_b32_e32 v5, 30, v96
	v_xor_b32_e32 v97, vcc_lo, v97
	v_cmp_gt_i64_e32 vcc, 0, v[4:5]
	v_not_b32_e32 v5, v5
	v_ashrrev_i32_e32 v5, 31, v5
	v_and_b32_e32 v97, exec_lo, v97
	v_xor_b32_e32 v99, vcc_hi, v5
	v_xor_b32_e32 v5, vcc_lo, v5
	v_and_b32_e32 v97, v97, v5
	v_lshlrev_b32_e32 v5, 29, v96
	v_cmp_gt_i64_e32 vcc, 0, v[4:5]
	v_not_b32_e32 v5, v5
	v_ashrrev_i32_e32 v5, 31, v5
	v_and_b32_e32 v98, v98, v99
	v_xor_b32_e32 v99, vcc_hi, v5
	v_xor_b32_e32 v5, vcc_lo, v5
	v_and_b32_e32 v97, v97, v5
	v_lshlrev_b32_e32 v5, 28, v96
	v_cmp_gt_i64_e32 vcc, 0, v[4:5]
	v_not_b32_e32 v5, v5
	v_ashrrev_i32_e32 v5, 31, v5
	v_and_b32_e32 v98, v98, v99
	;; [unrolled: 8-line block ×5, first 2 shown]
	v_xor_b32_e32 v99, vcc_hi, v5
	v_xor_b32_e32 v5, vcc_lo, v5
	v_and_b32_e32 v98, v98, v99
	v_and_b32_e32 v99, v97, v5
	v_lshlrev_b32_e32 v5, 24, v96
	v_cmp_gt_i64_e32 vcc, 0, v[4:5]
	v_not_b32_e32 v5, v5
	v_ashrrev_i32_e32 v5, 31, v5
	v_xor_b32_e32 v96, vcc_hi, v5
	v_xor_b32_e32 v5, vcc_lo, v5
	v_and_b32_e32 v97, v98, v96
	v_and_b32_e32 v96, v99, v5
	v_mbcnt_lo_u32_b32 v5, v96, 0
	v_mbcnt_hi_u32_b32 v214, v97, v5
	v_cmp_eq_u32_e32 vcc, 0, v214
	v_cmp_ne_u64_e64 s[36:37], 0, v[96:97]
	s_and_b64 s[38:39], s[36:37], vcc
	; wave barrier
	s_and_saveexec_b64 s[36:37], s[38:39]
	s_cbranch_execz .LBB839_458
; %bb.457:                              ;   in Loop: Header=BB839_400 Depth=2
	v_bcnt_u32_b32 v5, v96, 0
	v_bcnt_u32_b32 v5, v97, v5
	s_waitcnt lgkmcnt(0)
	v_add_u32_e32 v5, v212, v5
	ds_write_b32 v213, v5
.LBB839_458:                            ;   in Loop: Header=BB839_400 Depth=2
	s_or_b64 exec, exec, s[36:37]
	s_waitcnt vmcnt(3)
	v_xor_b32_e32 v87, 0x80000000, v87
	v_lshrrev_b64 v[96:97], s33, v[86:87]
	v_and_b32_e32 v96, s69, v96
	v_mul_u32_u24_e32 v5, 5, v96
	v_add_lshl_u32 v5, v5, v181, 2
	; wave barrier
	v_add_u32_e32 v216, 0x410, v5
	ds_read_b32 v215, v5 offset:1040
	v_and_b32_e32 v5, 1, v96
	v_add_co_u32_e32 v97, vcc, -1, v5
	v_addc_co_u32_e64 v98, s[36:37], 0, -1, vcc
	v_cmp_ne_u32_e32 vcc, 0, v5
	v_xor_b32_e32 v5, vcc_hi, v98
	v_and_b32_e32 v98, exec_hi, v5
	v_lshlrev_b32_e32 v5, 30, v96
	v_xor_b32_e32 v97, vcc_lo, v97
	v_cmp_gt_i64_e32 vcc, 0, v[4:5]
	v_not_b32_e32 v5, v5
	v_ashrrev_i32_e32 v5, 31, v5
	v_and_b32_e32 v97, exec_lo, v97
	v_xor_b32_e32 v99, vcc_hi, v5
	v_xor_b32_e32 v5, vcc_lo, v5
	v_and_b32_e32 v97, v97, v5
	v_lshlrev_b32_e32 v5, 29, v96
	v_cmp_gt_i64_e32 vcc, 0, v[4:5]
	v_not_b32_e32 v5, v5
	v_ashrrev_i32_e32 v5, 31, v5
	v_and_b32_e32 v98, v98, v99
	v_xor_b32_e32 v99, vcc_hi, v5
	v_xor_b32_e32 v5, vcc_lo, v5
	v_and_b32_e32 v97, v97, v5
	v_lshlrev_b32_e32 v5, 28, v96
	v_cmp_gt_i64_e32 vcc, 0, v[4:5]
	v_not_b32_e32 v5, v5
	v_ashrrev_i32_e32 v5, 31, v5
	v_and_b32_e32 v98, v98, v99
	v_xor_b32_e32 v99, vcc_hi, v5
	v_xor_b32_e32 v5, vcc_lo, v5
	v_and_b32_e32 v97, v97, v5
	v_lshlrev_b32_e32 v5, 27, v96
	v_cmp_gt_i64_e32 vcc, 0, v[4:5]
	v_not_b32_e32 v5, v5
	v_ashrrev_i32_e32 v5, 31, v5
	v_and_b32_e32 v98, v98, v99
	v_xor_b32_e32 v99, vcc_hi, v5
	v_xor_b32_e32 v5, vcc_lo, v5
	v_and_b32_e32 v97, v97, v5
	v_lshlrev_b32_e32 v5, 26, v96
	v_cmp_gt_i64_e32 vcc, 0, v[4:5]
	v_not_b32_e32 v5, v5
	v_ashrrev_i32_e32 v5, 31, v5
	v_and_b32_e32 v98, v98, v99
	v_xor_b32_e32 v99, vcc_hi, v5
	v_xor_b32_e32 v5, vcc_lo, v5
	v_and_b32_e32 v97, v97, v5
	v_lshlrev_b32_e32 v5, 25, v96
	v_cmp_gt_i64_e32 vcc, 0, v[4:5]
	v_not_b32_e32 v5, v5
	v_ashrrev_i32_e32 v5, 31, v5
	v_and_b32_e32 v98, v98, v99
	v_xor_b32_e32 v99, vcc_hi, v5
	v_xor_b32_e32 v5, vcc_lo, v5
	v_and_b32_e32 v98, v98, v99
	v_and_b32_e32 v99, v97, v5
	v_lshlrev_b32_e32 v5, 24, v96
	v_cmp_gt_i64_e32 vcc, 0, v[4:5]
	v_not_b32_e32 v5, v5
	v_ashrrev_i32_e32 v5, 31, v5
	v_xor_b32_e32 v96, vcc_hi, v5
	v_xor_b32_e32 v5, vcc_lo, v5
	v_and_b32_e32 v97, v98, v96
	v_and_b32_e32 v96, v99, v5
	v_mbcnt_lo_u32_b32 v5, v96, 0
	v_mbcnt_hi_u32_b32 v217, v97, v5
	v_cmp_eq_u32_e32 vcc, 0, v217
	v_cmp_ne_u64_e64 s[36:37], 0, v[96:97]
	s_and_b64 s[38:39], s[36:37], vcc
	; wave barrier
	s_and_saveexec_b64 s[36:37], s[38:39]
	s_cbranch_execz .LBB839_460
; %bb.459:                              ;   in Loop: Header=BB839_400 Depth=2
	v_bcnt_u32_b32 v5, v96, 0
	v_bcnt_u32_b32 v5, v97, v5
	s_waitcnt lgkmcnt(0)
	v_add_u32_e32 v5, v215, v5
	ds_write_b32 v216, v5
.LBB839_460:                            ;   in Loop: Header=BB839_400 Depth=2
	s_or_b64 exec, exec, s[36:37]
	s_waitcnt vmcnt(2)
	v_xor_b32_e32 v89, 0x80000000, v89
	v_lshrrev_b64 v[96:97], s33, v[88:89]
	v_and_b32_e32 v96, s69, v96
	v_mul_u32_u24_e32 v5, 5, v96
	v_add_lshl_u32 v5, v5, v181, 2
	; wave barrier
	v_add_u32_e32 v219, 0x410, v5
	ds_read_b32 v218, v5 offset:1040
	v_and_b32_e32 v5, 1, v96
	v_add_co_u32_e32 v97, vcc, -1, v5
	v_addc_co_u32_e64 v98, s[36:37], 0, -1, vcc
	v_cmp_ne_u32_e32 vcc, 0, v5
	v_xor_b32_e32 v5, vcc_hi, v98
	v_and_b32_e32 v98, exec_hi, v5
	v_lshlrev_b32_e32 v5, 30, v96
	v_xor_b32_e32 v97, vcc_lo, v97
	v_cmp_gt_i64_e32 vcc, 0, v[4:5]
	v_not_b32_e32 v5, v5
	v_ashrrev_i32_e32 v5, 31, v5
	v_and_b32_e32 v97, exec_lo, v97
	v_xor_b32_e32 v99, vcc_hi, v5
	v_xor_b32_e32 v5, vcc_lo, v5
	v_and_b32_e32 v97, v97, v5
	v_lshlrev_b32_e32 v5, 29, v96
	v_cmp_gt_i64_e32 vcc, 0, v[4:5]
	v_not_b32_e32 v5, v5
	v_ashrrev_i32_e32 v5, 31, v5
	v_and_b32_e32 v98, v98, v99
	v_xor_b32_e32 v99, vcc_hi, v5
	v_xor_b32_e32 v5, vcc_lo, v5
	v_and_b32_e32 v97, v97, v5
	v_lshlrev_b32_e32 v5, 28, v96
	v_cmp_gt_i64_e32 vcc, 0, v[4:5]
	v_not_b32_e32 v5, v5
	v_ashrrev_i32_e32 v5, 31, v5
	v_and_b32_e32 v98, v98, v99
	;; [unrolled: 8-line block ×5, first 2 shown]
	v_xor_b32_e32 v99, vcc_hi, v5
	v_xor_b32_e32 v5, vcc_lo, v5
	v_and_b32_e32 v98, v98, v99
	v_and_b32_e32 v99, v97, v5
	v_lshlrev_b32_e32 v5, 24, v96
	v_cmp_gt_i64_e32 vcc, 0, v[4:5]
	v_not_b32_e32 v5, v5
	v_ashrrev_i32_e32 v5, 31, v5
	v_xor_b32_e32 v96, vcc_hi, v5
	v_xor_b32_e32 v5, vcc_lo, v5
	v_and_b32_e32 v97, v98, v96
	v_and_b32_e32 v96, v99, v5
	v_mbcnt_lo_u32_b32 v5, v96, 0
	v_mbcnt_hi_u32_b32 v220, v97, v5
	v_cmp_eq_u32_e32 vcc, 0, v220
	v_cmp_ne_u64_e64 s[36:37], 0, v[96:97]
	s_and_b64 s[38:39], s[36:37], vcc
	; wave barrier
	s_and_saveexec_b64 s[36:37], s[38:39]
	s_cbranch_execz .LBB839_462
; %bb.461:                              ;   in Loop: Header=BB839_400 Depth=2
	v_bcnt_u32_b32 v5, v96, 0
	v_bcnt_u32_b32 v5, v97, v5
	s_waitcnt lgkmcnt(0)
	v_add_u32_e32 v5, v218, v5
	ds_write_b32 v219, v5
.LBB839_462:                            ;   in Loop: Header=BB839_400 Depth=2
	s_or_b64 exec, exec, s[36:37]
	s_waitcnt vmcnt(1)
	v_xor_b32_e32 v91, 0x80000000, v91
	v_lshrrev_b64 v[96:97], s33, v[90:91]
	v_and_b32_e32 v96, s69, v96
	v_mul_u32_u24_e32 v5, 5, v96
	v_add_lshl_u32 v5, v5, v181, 2
	; wave barrier
	v_add_u32_e32 v222, 0x410, v5
	ds_read_b32 v221, v5 offset:1040
	v_and_b32_e32 v5, 1, v96
	v_add_co_u32_e32 v97, vcc, -1, v5
	v_addc_co_u32_e64 v98, s[36:37], 0, -1, vcc
	v_cmp_ne_u32_e32 vcc, 0, v5
	v_xor_b32_e32 v5, vcc_hi, v98
	v_and_b32_e32 v98, exec_hi, v5
	v_lshlrev_b32_e32 v5, 30, v96
	v_xor_b32_e32 v97, vcc_lo, v97
	v_cmp_gt_i64_e32 vcc, 0, v[4:5]
	v_not_b32_e32 v5, v5
	v_ashrrev_i32_e32 v5, 31, v5
	v_and_b32_e32 v97, exec_lo, v97
	v_xor_b32_e32 v99, vcc_hi, v5
	v_xor_b32_e32 v5, vcc_lo, v5
	v_and_b32_e32 v97, v97, v5
	v_lshlrev_b32_e32 v5, 29, v96
	v_cmp_gt_i64_e32 vcc, 0, v[4:5]
	v_not_b32_e32 v5, v5
	v_ashrrev_i32_e32 v5, 31, v5
	v_and_b32_e32 v98, v98, v99
	v_xor_b32_e32 v99, vcc_hi, v5
	v_xor_b32_e32 v5, vcc_lo, v5
	v_and_b32_e32 v97, v97, v5
	v_lshlrev_b32_e32 v5, 28, v96
	v_cmp_gt_i64_e32 vcc, 0, v[4:5]
	v_not_b32_e32 v5, v5
	v_ashrrev_i32_e32 v5, 31, v5
	v_and_b32_e32 v98, v98, v99
	;; [unrolled: 8-line block ×5, first 2 shown]
	v_xor_b32_e32 v99, vcc_hi, v5
	v_xor_b32_e32 v5, vcc_lo, v5
	v_and_b32_e32 v98, v98, v99
	v_and_b32_e32 v99, v97, v5
	v_lshlrev_b32_e32 v5, 24, v96
	v_cmp_gt_i64_e32 vcc, 0, v[4:5]
	v_not_b32_e32 v5, v5
	v_ashrrev_i32_e32 v5, 31, v5
	v_xor_b32_e32 v96, vcc_hi, v5
	v_xor_b32_e32 v5, vcc_lo, v5
	v_and_b32_e32 v97, v98, v96
	v_and_b32_e32 v96, v99, v5
	v_mbcnt_lo_u32_b32 v5, v96, 0
	v_mbcnt_hi_u32_b32 v223, v97, v5
	v_cmp_eq_u32_e32 vcc, 0, v223
	v_cmp_ne_u64_e64 s[36:37], 0, v[96:97]
	s_and_b64 s[38:39], s[36:37], vcc
	; wave barrier
	s_and_saveexec_b64 s[36:37], s[38:39]
	s_cbranch_execz .LBB839_464
; %bb.463:                              ;   in Loop: Header=BB839_400 Depth=2
	v_bcnt_u32_b32 v5, v96, 0
	v_bcnt_u32_b32 v5, v97, v5
	s_waitcnt lgkmcnt(0)
	v_add_u32_e32 v5, v221, v5
	ds_write_b32 v222, v5
.LBB839_464:                            ;   in Loop: Header=BB839_400 Depth=2
	s_or_b64 exec, exec, s[36:37]
	s_waitcnt vmcnt(0)
	v_xor_b32_e32 v93, 0x80000000, v93
	v_lshrrev_b64 v[96:97], s33, v[92:93]
	v_and_b32_e32 v96, s69, v96
	v_mul_u32_u24_e32 v5, 5, v96
	v_add_lshl_u32 v5, v5, v181, 2
	; wave barrier
	v_add_u32_e32 v225, 0x410, v5
	ds_read_b32 v224, v5 offset:1040
	v_and_b32_e32 v5, 1, v96
	v_add_co_u32_e32 v97, vcc, -1, v5
	v_addc_co_u32_e64 v98, s[36:37], 0, -1, vcc
	v_cmp_ne_u32_e32 vcc, 0, v5
	v_xor_b32_e32 v5, vcc_hi, v98
	v_and_b32_e32 v98, exec_hi, v5
	v_lshlrev_b32_e32 v5, 30, v96
	v_xor_b32_e32 v97, vcc_lo, v97
	v_cmp_gt_i64_e32 vcc, 0, v[4:5]
	v_not_b32_e32 v5, v5
	v_ashrrev_i32_e32 v5, 31, v5
	v_and_b32_e32 v97, exec_lo, v97
	v_xor_b32_e32 v99, vcc_hi, v5
	v_xor_b32_e32 v5, vcc_lo, v5
	v_and_b32_e32 v97, v97, v5
	v_lshlrev_b32_e32 v5, 29, v96
	v_cmp_gt_i64_e32 vcc, 0, v[4:5]
	v_not_b32_e32 v5, v5
	v_ashrrev_i32_e32 v5, 31, v5
	v_and_b32_e32 v98, v98, v99
	v_xor_b32_e32 v99, vcc_hi, v5
	v_xor_b32_e32 v5, vcc_lo, v5
	v_and_b32_e32 v97, v97, v5
	v_lshlrev_b32_e32 v5, 28, v96
	v_cmp_gt_i64_e32 vcc, 0, v[4:5]
	v_not_b32_e32 v5, v5
	v_ashrrev_i32_e32 v5, 31, v5
	v_and_b32_e32 v98, v98, v99
	;; [unrolled: 8-line block ×5, first 2 shown]
	v_xor_b32_e32 v99, vcc_hi, v5
	v_xor_b32_e32 v5, vcc_lo, v5
	v_and_b32_e32 v98, v98, v99
	v_and_b32_e32 v99, v97, v5
	v_lshlrev_b32_e32 v5, 24, v96
	v_cmp_gt_i64_e32 vcc, 0, v[4:5]
	v_not_b32_e32 v5, v5
	v_ashrrev_i32_e32 v5, 31, v5
	v_xor_b32_e32 v96, vcc_hi, v5
	v_xor_b32_e32 v5, vcc_lo, v5
	v_and_b32_e32 v97, v98, v96
	v_and_b32_e32 v96, v99, v5
	v_mbcnt_lo_u32_b32 v5, v96, 0
	v_mbcnt_hi_u32_b32 v226, v97, v5
	v_cmp_eq_u32_e32 vcc, 0, v226
	v_cmp_ne_u64_e64 s[36:37], 0, v[96:97]
	s_and_b64 s[38:39], s[36:37], vcc
	; wave barrier
	s_and_saveexec_b64 s[36:37], s[38:39]
	s_cbranch_execz .LBB839_466
; %bb.465:                              ;   in Loop: Header=BB839_400 Depth=2
	v_bcnt_u32_b32 v5, v96, 0
	v_bcnt_u32_b32 v5, v97, v5
	s_waitcnt lgkmcnt(0)
	v_add_u32_e32 v5, v224, v5
	ds_write_b32 v225, v5
.LBB839_466:                            ;   in Loop: Header=BB839_400 Depth=2
	s_or_b64 exec, exec, s[36:37]
	v_xor_b32_e32 v95, 0x80000000, v95
	v_lshrrev_b64 v[96:97], s33, v[94:95]
	v_and_b32_e32 v96, s69, v96
	v_mul_u32_u24_e32 v5, 5, v96
	v_add_lshl_u32 v5, v5, v181, 2
	; wave barrier
	v_add_u32_e32 v228, 0x410, v5
	ds_read_b32 v227, v5 offset:1040
	v_and_b32_e32 v5, 1, v96
	v_add_co_u32_e32 v97, vcc, -1, v5
	v_addc_co_u32_e64 v98, s[36:37], 0, -1, vcc
	v_cmp_ne_u32_e32 vcc, 0, v5
	v_xor_b32_e32 v5, vcc_hi, v98
	v_and_b32_e32 v98, exec_hi, v5
	v_lshlrev_b32_e32 v5, 30, v96
	v_xor_b32_e32 v97, vcc_lo, v97
	v_cmp_gt_i64_e32 vcc, 0, v[4:5]
	v_not_b32_e32 v5, v5
	v_ashrrev_i32_e32 v5, 31, v5
	v_and_b32_e32 v97, exec_lo, v97
	v_xor_b32_e32 v99, vcc_hi, v5
	v_xor_b32_e32 v5, vcc_lo, v5
	v_and_b32_e32 v97, v97, v5
	v_lshlrev_b32_e32 v5, 29, v96
	v_cmp_gt_i64_e32 vcc, 0, v[4:5]
	v_not_b32_e32 v5, v5
	v_ashrrev_i32_e32 v5, 31, v5
	v_and_b32_e32 v98, v98, v99
	v_xor_b32_e32 v99, vcc_hi, v5
	v_xor_b32_e32 v5, vcc_lo, v5
	v_and_b32_e32 v97, v97, v5
	v_lshlrev_b32_e32 v5, 28, v96
	v_cmp_gt_i64_e32 vcc, 0, v[4:5]
	v_not_b32_e32 v5, v5
	v_ashrrev_i32_e32 v5, 31, v5
	v_and_b32_e32 v98, v98, v99
	;; [unrolled: 8-line block ×5, first 2 shown]
	v_xor_b32_e32 v99, vcc_hi, v5
	v_xor_b32_e32 v5, vcc_lo, v5
	v_and_b32_e32 v98, v98, v99
	v_and_b32_e32 v99, v97, v5
	v_lshlrev_b32_e32 v5, 24, v96
	v_cmp_gt_i64_e32 vcc, 0, v[4:5]
	v_not_b32_e32 v5, v5
	v_ashrrev_i32_e32 v5, 31, v5
	v_xor_b32_e32 v96, vcc_hi, v5
	v_xor_b32_e32 v5, vcc_lo, v5
	v_and_b32_e32 v97, v98, v96
	v_and_b32_e32 v96, v99, v5
	v_mbcnt_lo_u32_b32 v5, v96, 0
	v_mbcnt_hi_u32_b32 v229, v97, v5
	v_cmp_eq_u32_e32 vcc, 0, v229
	v_cmp_ne_u64_e64 s[36:37], 0, v[96:97]
	s_and_b64 s[38:39], s[36:37], vcc
	; wave barrier
	s_and_saveexec_b64 s[36:37], s[38:39]
	s_cbranch_execz .LBB839_468
; %bb.467:                              ;   in Loop: Header=BB839_400 Depth=2
	v_bcnt_u32_b32 v5, v96, 0
	v_bcnt_u32_b32 v5, v97, v5
	s_waitcnt lgkmcnt(0)
	v_add_u32_e32 v5, v227, v5
	ds_write_b32 v228, v5
.LBB839_468:                            ;   in Loop: Header=BB839_400 Depth=2
	s_or_b64 exec, exec, s[36:37]
	; wave barrier
	s_waitcnt lgkmcnt(0)
	s_barrier
	ds_read_b32 v5, v27 offset:1040
	ds_read2_b32 v[98:99], v31 offset0:1 offset1:2
	ds_read2_b32 v[96:97], v31 offset0:3 offset1:4
	s_waitcnt lgkmcnt(1)
	v_add3_u32 v230, v98, v5, v99
	s_waitcnt lgkmcnt(0)
	v_add3_u32 v97, v230, v96, v97
	s_nop 1
	v_mov_b32_dpp v230, v97 row_shr:1 row_mask:0xf bank_mask:0xf
	v_cndmask_b32_e64 v230, v230, 0, s[16:17]
	v_add_u32_e32 v97, v230, v97
	s_nop 1
	v_mov_b32_dpp v230, v97 row_shr:2 row_mask:0xf bank_mask:0xf
	v_cndmask_b32_e64 v230, 0, v230, s[18:19]
	v_add_u32_e32 v97, v97, v230
	;; [unrolled: 4-line block ×4, first 2 shown]
	s_nop 1
	v_mov_b32_dpp v230, v97 row_bcast:15 row_mask:0xf bank_mask:0xf
	v_cndmask_b32_e64 v230, v230, 0, s[24:25]
	v_add_u32_e32 v97, v97, v230
	s_nop 1
	v_mov_b32_dpp v230, v97 row_bcast:31 row_mask:0xf bank_mask:0xf
	v_cndmask_b32_e64 v230, 0, v230, s[26:27]
	v_add_u32_e32 v97, v97, v230
	s_and_saveexec_b64 s[36:37], s[6:7]
	s_cbranch_execz .LBB839_470
; %bb.469:                              ;   in Loop: Header=BB839_400 Depth=2
	ds_write_b32 v15, v97 offset:1024
.LBB839_470:                            ;   in Loop: Header=BB839_400 Depth=2
	s_or_b64 exec, exec, s[36:37]
	s_waitcnt lgkmcnt(0)
	s_barrier
	s_and_saveexec_b64 s[36:37], s[8:9]
	s_cbranch_execz .LBB839_472
; %bb.471:                              ;   in Loop: Header=BB839_400 Depth=2
	ds_read_b32 v230, v33 offset:1024
	s_waitcnt lgkmcnt(0)
	s_nop 0
	v_mov_b32_dpp v231, v230 row_shr:1 row_mask:0xf bank_mask:0xf
	v_cndmask_b32_e64 v231, v231, 0, s[30:31]
	v_add_u32_e32 v230, v231, v230
	s_nop 1
	v_mov_b32_dpp v231, v230 row_shr:2 row_mask:0xf bank_mask:0xf
	v_cndmask_b32_e64 v231, 0, v231, s[34:35]
	v_add_u32_e32 v230, v230, v231
	ds_write_b32 v33, v230 offset:1024
.LBB839_472:                            ;   in Loop: Header=BB839_400 Depth=2
	s_or_b64 exec, exec, s[36:37]
	v_mov_b32_e32 v230, 0
	s_waitcnt lgkmcnt(0)
	s_barrier
	s_and_saveexec_b64 s[36:37], s[10:11]
	s_cbranch_execz .LBB839_474
; %bb.473:                              ;   in Loop: Header=BB839_400 Depth=2
	ds_read_b32 v230, v15 offset:1020
.LBB839_474:                            ;   in Loop: Header=BB839_400 Depth=2
	s_or_b64 exec, exec, s[36:37]
	s_waitcnt lgkmcnt(0)
	v_add_u32_e32 v97, v230, v97
	ds_bpermute_b32 v97, v158, v97
	s_waitcnt lgkmcnt(0)
	v_cndmask_b32_e64 v97, v97, v230, s[28:29]
	v_cndmask_b32_e64 v97, v97, 0, s[12:13]
	v_add_u32_e32 v5, v97, v5
	ds_write_b32 v27, v97 offset:1040
	v_add_u32_e32 v97, v5, v98
	v_add_u32_e32 v98, v97, v99
	ds_write2_b32 v31, v5, v97 offset0:1 offset1:2
	v_add_u32_e32 v5, v98, v96
	ds_write2_b32 v31, v98, v5 offset0:3 offset1:4
	s_waitcnt lgkmcnt(0)
	s_barrier
	ds_read_b32 v97, v186
	ds_read_b32 v234, v189
	;; [unrolled: 1-line block ×16, first 2 shown]
	ds_read_b32 v183, v27 offset:1040
	v_mov_b32_e32 v5, 0x1000
	s_and_saveexec_b64 s[36:37], s[14:15]
	s_cbranch_execz .LBB839_476
; %bb.475:                              ;   in Loop: Header=BB839_400 Depth=2
	ds_read_b32 v5, v27 offset:1060
.LBB839_476:                            ;   in Loop: Header=BB839_400 Depth=2
	s_or_b64 exec, exec, s[36:37]
	s_waitcnt lgkmcnt(0)
	s_barrier
	s_and_saveexec_b64 s[36:37], s[4:5]
	s_cbranch_execz .LBB839_478
; %bb.477:                              ;   in Loop: Header=BB839_400 Depth=2
	ds_read_b32 v207, v3
	s_waitcnt lgkmcnt(0)
	v_sub_u32_e32 v183, v207, v183
	ds_write_b32 v3, v183
.LBB839_478:                            ;   in Loop: Header=BB839_400 Depth=2
	s_or_b64 exec, exec, s[36:37]
	v_add_u32_e32 v185, v187, v185
	v_add_u32_e32 v191, v193, v191
	;; [unrolled: 1-line block ×3, first 2 shown]
	v_add_lshl_u32 v96, v96, v184, 3
	v_add_lshl_u32 v97, v185, v97, 3
	v_add_u32_e32 v203, v205, v203
	v_add_u32_e32 v200, v202, v200
	;; [unrolled: 1-line block ×4, first 2 shown]
	ds_write_b64 v96, v[64:65] offset:1024
	ds_write_b64 v97, v[66:67] offset:1024
	v_add_lshl_u32 v66, v188, v234, 3
	v_add_lshl_u32 v67, v191, v233, 3
	v_add_u32_e32 v183, v229, v227
	v_add_u32_e32 v207, v226, v224
	;; [unrolled: 1-line block ×8, first 2 shown]
	ds_write_b64 v66, v[68:69] offset:1024
	ds_write_b64 v67, v[70:71] offset:1024
	v_add_lshl_u32 v68, v194, v232, 3
	v_add_lshl_u32 v69, v197, v231, 3
	;; [unrolled: 1-line block ×4, first 2 shown]
	ds_write_b64 v68, v[72:73] offset:1024
	ds_write_b64 v69, v[74:75] offset:1024
	ds_write_b64 v70, v[76:77] offset:1024
	ds_write_b64 v71, v[78:79] offset:1024
	v_add_lshl_u32 v72, v206, v201, 3
	v_add_lshl_u32 v73, v209, v198, 3
	;; [unrolled: 1-line block ×8, first 2 shown]
	v_cmp_lt_u32_e64 s[36:37], v2, v182
	ds_write_b64 v72, v[80:81] offset:1024
	ds_write_b64 v73, v[82:83] offset:1024
	;; [unrolled: 1-line block ×8, first 2 shown]
	s_waitcnt lgkmcnt(0)
	s_barrier
	s_and_saveexec_b64 s[38:39], s[36:37]
	s_cbranch_execz .LBB839_494
; %bb.479:                              ;   in Loop: Header=BB839_400 Depth=2
	v_add_u32_e32 v64, v33, v3
	ds_read_b64 v[64:65], v64 offset:1024
	v_mov_b32_e32 v82, s77
	s_waitcnt lgkmcnt(0)
	v_lshrrev_b64 v[80:81], s33, v[64:65]
	v_and_b32_e32 v80, s69, v80
	v_lshlrev_b32_e32 v80, 2, v80
	ds_read_b32 v80, v80
	v_mov_b32_e32 v81, v4
	v_xor_b32_e32 v65, 0x80000000, v65
	s_waitcnt lgkmcnt(0)
	v_add_u32_e32 v80, v80, v2
	v_lshlrev_b64 v[80:81], 3, v[80:81]
	v_add_co_u32_e32 v80, vcc, s76, v80
	v_addc_co_u32_e32 v81, vcc, v82, v81, vcc
	global_store_dwordx2 v[80:81], v[64:65], off
	s_or_b64 exec, exec, s[38:39]
	v_cmp_lt_u32_e64 s[38:39], v7, v182
	s_and_saveexec_b64 s[40:41], s[38:39]
	s_cbranch_execnz .LBB839_495
.LBB839_480:                            ;   in Loop: Header=BB839_400 Depth=2
	s_or_b64 exec, exec, s[40:41]
	v_cmp_lt_u32_e64 s[40:41], v6, v182
	s_and_saveexec_b64 s[42:43], s[40:41]
	s_cbranch_execz .LBB839_496
.LBB839_481:                            ;   in Loop: Header=BB839_400 Depth=2
	ds_read_b64 v[64:65], v104 offset:4096
	v_mov_b32_e32 v82, s77
	s_waitcnt lgkmcnt(0)
	v_lshrrev_b64 v[80:81], s33, v[64:65]
	v_and_b32_e32 v80, s69, v80
	v_lshlrev_b32_e32 v80, 2, v80
	ds_read_b32 v80, v80
	v_mov_b32_e32 v81, v4
	v_xor_b32_e32 v65, 0x80000000, v65
	s_waitcnt lgkmcnt(0)
	v_add_u32_e32 v80, v80, v6
	v_lshlrev_b64 v[80:81], 3, v[80:81]
	v_add_co_u32_e32 v80, vcc, s76, v80
	v_addc_co_u32_e32 v81, vcc, v82, v81, vcc
	global_store_dwordx2 v[80:81], v[64:65], off
	s_or_b64 exec, exec, s[42:43]
	v_cmp_lt_u32_e64 s[42:43], v8, v182
	s_and_saveexec_b64 s[44:45], s[42:43]
	s_cbranch_execnz .LBB839_497
.LBB839_482:                            ;   in Loop: Header=BB839_400 Depth=2
	s_or_b64 exec, exec, s[44:45]
	v_cmp_lt_u32_e64 s[44:45], v10, v182
	s_and_saveexec_b64 s[46:47], s[44:45]
	s_cbranch_execz .LBB839_498
.LBB839_483:                            ;   in Loop: Header=BB839_400 Depth=2
	ds_read_b64 v[64:65], v104 offset:8192
	v_mov_b32_e32 v82, s77
	s_waitcnt lgkmcnt(0)
	v_lshrrev_b64 v[80:81], s33, v[64:65]
	v_and_b32_e32 v80, s69, v80
	v_lshlrev_b32_e32 v80, 2, v80
	ds_read_b32 v80, v80
	v_mov_b32_e32 v81, v4
	v_xor_b32_e32 v65, 0x80000000, v65
	s_waitcnt lgkmcnt(0)
	v_add_u32_e32 v80, v80, v10
	v_lshlrev_b64 v[80:81], 3, v[80:81]
	v_add_co_u32_e32 v80, vcc, s76, v80
	v_addc_co_u32_e32 v81, vcc, v82, v81, vcc
	global_store_dwordx2 v[80:81], v[64:65], off
	s_or_b64 exec, exec, s[46:47]
	v_cmp_lt_u32_e64 s[46:47], v12, v182
	s_and_saveexec_b64 s[48:49], s[46:47]
	s_cbranch_execnz .LBB839_499
.LBB839_484:                            ;   in Loop: Header=BB839_400 Depth=2
	s_or_b64 exec, exec, s[48:49]
	v_cmp_lt_u32_e64 s[48:49], v14, v182
	s_and_saveexec_b64 s[50:51], s[48:49]
	s_cbranch_execz .LBB839_500
.LBB839_485:                            ;   in Loop: Header=BB839_400 Depth=2
	ds_read_b64 v[64:65], v104 offset:12288
	v_mov_b32_e32 v82, s77
	s_waitcnt lgkmcnt(0)
	v_lshrrev_b64 v[80:81], s33, v[64:65]
	v_and_b32_e32 v80, s69, v80
	v_lshlrev_b32_e32 v80, 2, v80
	ds_read_b32 v80, v80
	v_mov_b32_e32 v81, v4
	v_xor_b32_e32 v65, 0x80000000, v65
	s_waitcnt lgkmcnt(0)
	v_add_u32_e32 v80, v80, v14
	v_lshlrev_b64 v[80:81], 3, v[80:81]
	v_add_co_u32_e32 v80, vcc, s76, v80
	v_addc_co_u32_e32 v81, vcc, v82, v81, vcc
	global_store_dwordx2 v[80:81], v[64:65], off
	s_or_b64 exec, exec, s[50:51]
	v_cmp_lt_u32_e64 s[50:51], v16, v182
	s_and_saveexec_b64 s[52:53], s[50:51]
	s_cbranch_execnz .LBB839_501
.LBB839_486:                            ;   in Loop: Header=BB839_400 Depth=2
	s_or_b64 exec, exec, s[52:53]
	v_cmp_lt_u32_e64 s[52:53], v18, v182
	s_and_saveexec_b64 s[54:55], s[52:53]
	s_cbranch_execz .LBB839_502
.LBB839_487:                            ;   in Loop: Header=BB839_400 Depth=2
	ds_read_b64 v[64:65], v104 offset:16384
	v_mov_b32_e32 v82, s77
	s_waitcnt lgkmcnt(0)
	v_lshrrev_b64 v[80:81], s33, v[64:65]
	v_and_b32_e32 v80, s69, v80
	v_lshlrev_b32_e32 v80, 2, v80
	ds_read_b32 v80, v80
	v_mov_b32_e32 v81, v4
	v_xor_b32_e32 v65, 0x80000000, v65
	s_waitcnt lgkmcnt(0)
	v_add_u32_e32 v80, v80, v18
	v_lshlrev_b64 v[80:81], 3, v[80:81]
	v_add_co_u32_e32 v80, vcc, s76, v80
	v_addc_co_u32_e32 v81, vcc, v82, v81, vcc
	global_store_dwordx2 v[80:81], v[64:65], off
	s_or_b64 exec, exec, s[54:55]
	v_cmp_lt_u32_e64 s[54:55], v20, v182
	s_and_saveexec_b64 s[56:57], s[54:55]
	s_cbranch_execnz .LBB839_503
.LBB839_488:                            ;   in Loop: Header=BB839_400 Depth=2
	s_or_b64 exec, exec, s[56:57]
	v_cmp_lt_u32_e64 s[56:57], v22, v182
	s_and_saveexec_b64 s[58:59], s[56:57]
	s_cbranch_execz .LBB839_504
.LBB839_489:                            ;   in Loop: Header=BB839_400 Depth=2
	ds_read_b64 v[64:65], v104 offset:20480
	v_mov_b32_e32 v82, s77
	s_waitcnt lgkmcnt(0)
	v_lshrrev_b64 v[80:81], s33, v[64:65]
	v_and_b32_e32 v80, s69, v80
	v_lshlrev_b32_e32 v80, 2, v80
	ds_read_b32 v80, v80
	v_mov_b32_e32 v81, v4
	v_xor_b32_e32 v65, 0x80000000, v65
	s_waitcnt lgkmcnt(0)
	v_add_u32_e32 v80, v80, v22
	v_lshlrev_b64 v[80:81], 3, v[80:81]
	v_add_co_u32_e32 v80, vcc, s76, v80
	v_addc_co_u32_e32 v81, vcc, v82, v81, vcc
	global_store_dwordx2 v[80:81], v[64:65], off
	s_or_b64 exec, exec, s[58:59]
	v_cmp_lt_u32_e64 s[58:59], v24, v182
	s_and_saveexec_b64 s[60:61], s[58:59]
	s_cbranch_execnz .LBB839_505
.LBB839_490:                            ;   in Loop: Header=BB839_400 Depth=2
	s_or_b64 exec, exec, s[60:61]
	v_cmp_lt_u32_e64 s[60:61], v26, v182
	s_and_saveexec_b64 s[62:63], s[60:61]
	s_cbranch_execz .LBB839_506
.LBB839_491:                            ;   in Loop: Header=BB839_400 Depth=2
	ds_read_b64 v[64:65], v104 offset:24576
	v_mov_b32_e32 v82, s77
	s_waitcnt lgkmcnt(0)
	v_lshrrev_b64 v[80:81], s33, v[64:65]
	v_and_b32_e32 v80, s69, v80
	v_lshlrev_b32_e32 v80, 2, v80
	ds_read_b32 v80, v80
	v_mov_b32_e32 v81, v4
	v_xor_b32_e32 v65, 0x80000000, v65
	s_waitcnt lgkmcnt(0)
	v_add_u32_e32 v80, v80, v26
	v_lshlrev_b64 v[80:81], 3, v[80:81]
	v_add_co_u32_e32 v80, vcc, s76, v80
	v_addc_co_u32_e32 v81, vcc, v82, v81, vcc
	global_store_dwordx2 v[80:81], v[64:65], off
	s_or_b64 exec, exec, s[62:63]
	v_cmp_lt_u32_e64 s[62:63], v28, v182
	s_and_saveexec_b64 s[64:65], s[62:63]
	s_cbranch_execnz .LBB839_507
.LBB839_492:                            ;   in Loop: Header=BB839_400 Depth=2
	s_or_b64 exec, exec, s[64:65]
	v_cmp_lt_u32_e64 s[64:65], v30, v182
	s_and_saveexec_b64 s[66:67], s[64:65]
	s_cbranch_execz .LBB839_508
.LBB839_493:                            ;   in Loop: Header=BB839_400 Depth=2
	ds_read_b64 v[64:65], v104 offset:28672
	v_mov_b32_e32 v82, s77
	s_waitcnt lgkmcnt(0)
	v_lshrrev_b64 v[80:81], s33, v[64:65]
	v_and_b32_e32 v80, s69, v80
	v_lshlrev_b32_e32 v80, 2, v80
	ds_read_b32 v80, v80
	v_mov_b32_e32 v81, v4
	v_xor_b32_e32 v65, 0x80000000, v65
	s_waitcnt lgkmcnt(0)
	v_add_u32_e32 v80, v80, v30
	v_lshlrev_b64 v[80:81], 3, v[80:81]
	v_add_co_u32_e32 v80, vcc, s76, v80
	v_addc_co_u32_e32 v81, vcc, v82, v81, vcc
	global_store_dwordx2 v[80:81], v[64:65], off
	s_or_b64 exec, exec, s[66:67]
	v_cmp_lt_u32_e64 s[66:67], v32, v182
	s_and_saveexec_b64 s[92:93], s[66:67]
	s_cbranch_execnz .LBB839_509
	s_branch .LBB839_510
.LBB839_494:                            ;   in Loop: Header=BB839_400 Depth=2
	s_or_b64 exec, exec, s[38:39]
	v_cmp_lt_u32_e64 s[38:39], v7, v182
	s_and_saveexec_b64 s[40:41], s[38:39]
	s_cbranch_execz .LBB839_480
.LBB839_495:                            ;   in Loop: Header=BB839_400 Depth=2
	ds_read_b64 v[64:65], v104 offset:2048
	v_mov_b32_e32 v82, s77
	s_waitcnt lgkmcnt(0)
	v_lshrrev_b64 v[80:81], s33, v[64:65]
	v_and_b32_e32 v80, s69, v80
	v_lshlrev_b32_e32 v80, 2, v80
	ds_read_b32 v80, v80
	v_mov_b32_e32 v81, v4
	v_xor_b32_e32 v65, 0x80000000, v65
	s_waitcnt lgkmcnt(0)
	v_add_u32_e32 v80, v80, v7
	v_lshlrev_b64 v[80:81], 3, v[80:81]
	v_add_co_u32_e32 v80, vcc, s76, v80
	v_addc_co_u32_e32 v81, vcc, v82, v81, vcc
	global_store_dwordx2 v[80:81], v[64:65], off
	s_or_b64 exec, exec, s[40:41]
	v_cmp_lt_u32_e64 s[40:41], v6, v182
	s_and_saveexec_b64 s[42:43], s[40:41]
	s_cbranch_execnz .LBB839_481
.LBB839_496:                            ;   in Loop: Header=BB839_400 Depth=2
	s_or_b64 exec, exec, s[42:43]
	v_cmp_lt_u32_e64 s[42:43], v8, v182
	s_and_saveexec_b64 s[44:45], s[42:43]
	s_cbranch_execz .LBB839_482
.LBB839_497:                            ;   in Loop: Header=BB839_400 Depth=2
	ds_read_b64 v[64:65], v104 offset:6144
	v_mov_b32_e32 v82, s77
	s_waitcnt lgkmcnt(0)
	v_lshrrev_b64 v[80:81], s33, v[64:65]
	v_and_b32_e32 v80, s69, v80
	v_lshlrev_b32_e32 v80, 2, v80
	ds_read_b32 v80, v80
	v_mov_b32_e32 v81, v4
	v_xor_b32_e32 v65, 0x80000000, v65
	s_waitcnt lgkmcnt(0)
	v_add_u32_e32 v80, v80, v8
	v_lshlrev_b64 v[80:81], 3, v[80:81]
	v_add_co_u32_e32 v80, vcc, s76, v80
	v_addc_co_u32_e32 v81, vcc, v82, v81, vcc
	global_store_dwordx2 v[80:81], v[64:65], off
	s_or_b64 exec, exec, s[44:45]
	v_cmp_lt_u32_e64 s[44:45], v10, v182
	s_and_saveexec_b64 s[46:47], s[44:45]
	s_cbranch_execnz .LBB839_483
.LBB839_498:                            ;   in Loop: Header=BB839_400 Depth=2
	s_or_b64 exec, exec, s[46:47]
	v_cmp_lt_u32_e64 s[46:47], v12, v182
	s_and_saveexec_b64 s[48:49], s[46:47]
	s_cbranch_execz .LBB839_484
.LBB839_499:                            ;   in Loop: Header=BB839_400 Depth=2
	ds_read_b64 v[64:65], v104 offset:10240
	v_mov_b32_e32 v82, s77
	s_waitcnt lgkmcnt(0)
	v_lshrrev_b64 v[80:81], s33, v[64:65]
	v_and_b32_e32 v80, s69, v80
	v_lshlrev_b32_e32 v80, 2, v80
	ds_read_b32 v80, v80
	v_mov_b32_e32 v81, v4
	v_xor_b32_e32 v65, 0x80000000, v65
	s_waitcnt lgkmcnt(0)
	v_add_u32_e32 v80, v80, v12
	v_lshlrev_b64 v[80:81], 3, v[80:81]
	v_add_co_u32_e32 v80, vcc, s76, v80
	v_addc_co_u32_e32 v81, vcc, v82, v81, vcc
	global_store_dwordx2 v[80:81], v[64:65], off
	s_or_b64 exec, exec, s[48:49]
	v_cmp_lt_u32_e64 s[48:49], v14, v182
	s_and_saveexec_b64 s[50:51], s[48:49]
	s_cbranch_execnz .LBB839_485
.LBB839_500:                            ;   in Loop: Header=BB839_400 Depth=2
	s_or_b64 exec, exec, s[50:51]
	v_cmp_lt_u32_e64 s[50:51], v16, v182
	s_and_saveexec_b64 s[52:53], s[50:51]
	s_cbranch_execz .LBB839_486
.LBB839_501:                            ;   in Loop: Header=BB839_400 Depth=2
	ds_read_b64 v[64:65], v104 offset:14336
	v_mov_b32_e32 v82, s77
	s_waitcnt lgkmcnt(0)
	v_lshrrev_b64 v[80:81], s33, v[64:65]
	v_and_b32_e32 v80, s69, v80
	v_lshlrev_b32_e32 v80, 2, v80
	ds_read_b32 v80, v80
	v_mov_b32_e32 v81, v4
	v_xor_b32_e32 v65, 0x80000000, v65
	s_waitcnt lgkmcnt(0)
	v_add_u32_e32 v80, v80, v16
	v_lshlrev_b64 v[80:81], 3, v[80:81]
	v_add_co_u32_e32 v80, vcc, s76, v80
	v_addc_co_u32_e32 v81, vcc, v82, v81, vcc
	global_store_dwordx2 v[80:81], v[64:65], off
	s_or_b64 exec, exec, s[52:53]
	v_cmp_lt_u32_e64 s[52:53], v18, v182
	s_and_saveexec_b64 s[54:55], s[52:53]
	s_cbranch_execnz .LBB839_487
.LBB839_502:                            ;   in Loop: Header=BB839_400 Depth=2
	s_or_b64 exec, exec, s[54:55]
	v_cmp_lt_u32_e64 s[54:55], v20, v182
	s_and_saveexec_b64 s[56:57], s[54:55]
	s_cbranch_execz .LBB839_488
.LBB839_503:                            ;   in Loop: Header=BB839_400 Depth=2
	ds_read_b64 v[64:65], v104 offset:18432
	v_mov_b32_e32 v82, s77
	s_waitcnt lgkmcnt(0)
	v_lshrrev_b64 v[80:81], s33, v[64:65]
	v_and_b32_e32 v80, s69, v80
	v_lshlrev_b32_e32 v80, 2, v80
	ds_read_b32 v80, v80
	v_mov_b32_e32 v81, v4
	v_xor_b32_e32 v65, 0x80000000, v65
	s_waitcnt lgkmcnt(0)
	v_add_u32_e32 v80, v80, v20
	v_lshlrev_b64 v[80:81], 3, v[80:81]
	v_add_co_u32_e32 v80, vcc, s76, v80
	v_addc_co_u32_e32 v81, vcc, v82, v81, vcc
	global_store_dwordx2 v[80:81], v[64:65], off
	s_or_b64 exec, exec, s[56:57]
	v_cmp_lt_u32_e64 s[56:57], v22, v182
	s_and_saveexec_b64 s[58:59], s[56:57]
	s_cbranch_execnz .LBB839_489
.LBB839_504:                            ;   in Loop: Header=BB839_400 Depth=2
	s_or_b64 exec, exec, s[58:59]
	v_cmp_lt_u32_e64 s[58:59], v24, v182
	s_and_saveexec_b64 s[60:61], s[58:59]
	s_cbranch_execz .LBB839_490
.LBB839_505:                            ;   in Loop: Header=BB839_400 Depth=2
	ds_read_b64 v[64:65], v104 offset:22528
	v_mov_b32_e32 v82, s77
	s_waitcnt lgkmcnt(0)
	v_lshrrev_b64 v[80:81], s33, v[64:65]
	v_and_b32_e32 v80, s69, v80
	v_lshlrev_b32_e32 v80, 2, v80
	ds_read_b32 v80, v80
	v_mov_b32_e32 v81, v4
	v_xor_b32_e32 v65, 0x80000000, v65
	s_waitcnt lgkmcnt(0)
	v_add_u32_e32 v80, v80, v24
	v_lshlrev_b64 v[80:81], 3, v[80:81]
	v_add_co_u32_e32 v80, vcc, s76, v80
	v_addc_co_u32_e32 v81, vcc, v82, v81, vcc
	global_store_dwordx2 v[80:81], v[64:65], off
	s_or_b64 exec, exec, s[60:61]
	v_cmp_lt_u32_e64 s[60:61], v26, v182
	s_and_saveexec_b64 s[62:63], s[60:61]
	s_cbranch_execnz .LBB839_491
.LBB839_506:                            ;   in Loop: Header=BB839_400 Depth=2
	s_or_b64 exec, exec, s[62:63]
	v_cmp_lt_u32_e64 s[62:63], v28, v182
	s_and_saveexec_b64 s[64:65], s[62:63]
	s_cbranch_execz .LBB839_492
.LBB839_507:                            ;   in Loop: Header=BB839_400 Depth=2
	ds_read_b64 v[64:65], v104 offset:26624
	v_mov_b32_e32 v82, s77
	s_waitcnt lgkmcnt(0)
	v_lshrrev_b64 v[80:81], s33, v[64:65]
	v_and_b32_e32 v80, s69, v80
	v_lshlrev_b32_e32 v80, 2, v80
	ds_read_b32 v80, v80
	v_mov_b32_e32 v81, v4
	v_xor_b32_e32 v65, 0x80000000, v65
	s_waitcnt lgkmcnt(0)
	v_add_u32_e32 v80, v80, v28
	v_lshlrev_b64 v[80:81], 3, v[80:81]
	v_add_co_u32_e32 v80, vcc, s76, v80
	v_addc_co_u32_e32 v81, vcc, v82, v81, vcc
	global_store_dwordx2 v[80:81], v[64:65], off
	s_or_b64 exec, exec, s[64:65]
	v_cmp_lt_u32_e64 s[64:65], v30, v182
	s_and_saveexec_b64 s[66:67], s[64:65]
	s_cbranch_execnz .LBB839_493
.LBB839_508:                            ;   in Loop: Header=BB839_400 Depth=2
	s_or_b64 exec, exec, s[66:67]
	v_cmp_lt_u32_e64 s[66:67], v32, v182
	s_and_saveexec_b64 s[92:93], s[66:67]
	s_cbranch_execz .LBB839_510
.LBB839_509:                            ;   in Loop: Header=BB839_400 Depth=2
	ds_read_b64 v[64:65], v104 offset:30720
	v_mov_b32_e32 v82, s77
	s_waitcnt lgkmcnt(0)
	v_lshrrev_b64 v[80:81], s33, v[64:65]
	v_and_b32_e32 v80, s69, v80
	v_lshlrev_b32_e32 v80, 2, v80
	ds_read_b32 v80, v80
	v_mov_b32_e32 v81, v4
	v_xor_b32_e32 v65, 0x80000000, v65
	s_waitcnt lgkmcnt(0)
	v_add_u32_e32 v80, v80, v32
	v_lshlrev_b64 v[80:81], 3, v[80:81]
	v_add_co_u32_e32 v80, vcc, s76, v80
	v_addc_co_u32_e32 v81, vcc, v82, v81, vcc
	global_store_dwordx2 v[80:81], v[64:65], off
.LBB839_510:                            ;   in Loop: Header=BB839_400 Depth=2
	s_or_b64 exec, exec, s[92:93]
	s_lshl_b64 s[92:93], s[88:89], 3
	v_mov_b32_e32 v65, s93
	v_add_co_u32_e32 v64, vcc, s92, v159
	v_addc_co_u32_e32 v65, vcc, v160, v65, vcc
	v_cmp_lt_u32_e32 vcc, v142, v182
	s_and_saveexec_b64 s[92:93], vcc
	s_xor_b64 s[92:93], exec, s[92:93]
	s_cbranch_execz .LBB839_542
; %bb.511:                              ;   in Loop: Header=BB839_400 Depth=2
	global_load_dwordx2 v[62:63], v[64:65], off
	s_or_b64 exec, exec, s[92:93]
	v_cmp_lt_u32_e32 vcc, v143, v182
	s_and_saveexec_b64 s[92:93], vcc
	s_cbranch_execnz .LBB839_543
.LBB839_512:                            ;   in Loop: Header=BB839_400 Depth=2
	s_or_b64 exec, exec, s[92:93]
	v_cmp_lt_u32_e32 vcc, v144, v182
	s_and_saveexec_b64 s[92:93], vcc
	s_cbranch_execz .LBB839_544
.LBB839_513:                            ;   in Loop: Header=BB839_400 Depth=2
	global_load_dwordx2 v[56:57], v[64:65], off offset:1024
	s_or_b64 exec, exec, s[92:93]
	v_cmp_lt_u32_e32 vcc, v145, v182
	s_and_saveexec_b64 s[92:93], vcc
	s_cbranch_execnz .LBB839_545
.LBB839_514:                            ;   in Loop: Header=BB839_400 Depth=2
	s_or_b64 exec, exec, s[92:93]
	v_cmp_lt_u32_e32 vcc, v146, v182
	s_and_saveexec_b64 s[92:93], vcc
	s_cbranch_execz .LBB839_546
.LBB839_515:                            ;   in Loop: Header=BB839_400 Depth=2
	global_load_dwordx2 v[48:49], v[64:65], off offset:2048
	s_or_b64 exec, exec, s[92:93]
	v_cmp_lt_u32_e32 vcc, v147, v182
	s_and_saveexec_b64 s[92:93], vcc
	s_cbranch_execnz .LBB839_547
.LBB839_516:                            ;   in Loop: Header=BB839_400 Depth=2
	s_or_b64 exec, exec, s[92:93]
	v_cmp_lt_u32_e32 vcc, v148, v182
	s_and_saveexec_b64 s[92:93], vcc
	s_cbranch_execz .LBB839_548
.LBB839_517:                            ;   in Loop: Header=BB839_400 Depth=2
	global_load_dwordx2 v[40:41], v[64:65], off offset:3072
	s_or_b64 exec, exec, s[92:93]
	v_cmp_lt_u32_e32 vcc, v149, v182
	s_and_saveexec_b64 s[92:93], vcc
	s_cbranch_execnz .LBB839_549
.LBB839_518:                            ;   in Loop: Header=BB839_400 Depth=2
	s_or_b64 exec, exec, s[92:93]
	v_cmp_lt_u32_e32 vcc, v150, v182
	s_and_saveexec_b64 s[92:93], vcc
	s_cbranch_execz .LBB839_550
.LBB839_519:                            ;   in Loop: Header=BB839_400 Depth=2
	v_add_co_u32_e32 v58, vcc, 0x1000, v64
	v_addc_co_u32_e32 v59, vcc, 0, v65, vcc
	global_load_dwordx2 v[58:59], v[58:59], off
	s_or_b64 exec, exec, s[92:93]
	v_cmp_lt_u32_e32 vcc, v151, v182
	s_and_saveexec_b64 s[92:93], vcc
	s_cbranch_execnz .LBB839_551
.LBB839_520:                            ;   in Loop: Header=BB839_400 Depth=2
	s_or_b64 exec, exec, s[92:93]
	v_cmp_lt_u32_e32 vcc, v152, v182
	s_and_saveexec_b64 s[92:93], vcc
	s_cbranch_execz .LBB839_552
.LBB839_521:                            ;   in Loop: Header=BB839_400 Depth=2
	v_add_co_u32_e32 v50, vcc, 0x1000, v64
	v_addc_co_u32_e32 v51, vcc, 0, v65, vcc
	global_load_dwordx2 v[50:51], v[50:51], off offset:1024
	s_or_b64 exec, exec, s[92:93]
	v_cmp_lt_u32_e32 vcc, v153, v182
	s_and_saveexec_b64 s[92:93], vcc
	s_cbranch_execnz .LBB839_553
.LBB839_522:                            ;   in Loop: Header=BB839_400 Depth=2
	s_or_b64 exec, exec, s[92:93]
	v_cmp_lt_u32_e32 vcc, v154, v182
	s_and_saveexec_b64 s[92:93], vcc
	s_cbranch_execz .LBB839_554
.LBB839_523:                            ;   in Loop: Header=BB839_400 Depth=2
	v_add_co_u32_e32 v42, vcc, 0x1000, v64
	v_addc_co_u32_e32 v43, vcc, 0, v65, vcc
	global_load_dwordx2 v[42:43], v[42:43], off offset:2048
	s_or_b64 exec, exec, s[92:93]
	v_cmp_lt_u32_e32 vcc, v155, v182
	s_and_saveexec_b64 s[92:93], vcc
	s_cbranch_execnz .LBB839_555
.LBB839_524:                            ;   in Loop: Header=BB839_400 Depth=2
	s_or_b64 exec, exec, s[92:93]
	v_cmp_lt_u32_e32 vcc, v156, v182
	s_and_saveexec_b64 s[92:93], vcc
	s_cbranch_execz .LBB839_556
.LBB839_525:                            ;   in Loop: Header=BB839_400 Depth=2
	v_add_co_u32_e32 v34, vcc, 0x1000, v64
	v_addc_co_u32_e32 v35, vcc, 0, v65, vcc
	global_load_dwordx2 v[34:35], v[34:35], off offset:3072
	s_or_b64 exec, exec, s[92:93]
	v_cmp_lt_u32_e32 vcc, v157, v182
	s_and_saveexec_b64 s[92:93], vcc
	s_cbranch_execnz .LBB839_557
.LBB839_526:                            ;   in Loop: Header=BB839_400 Depth=2
	s_or_b64 exec, exec, s[92:93]
	s_and_saveexec_b64 s[92:93], s[36:37]
	s_cbranch_execz .LBB839_558
.LBB839_527:                            ;   in Loop: Header=BB839_400 Depth=2
	v_add_u32_e32 v64, v33, v3
	ds_read_b64 v[64:65], v64 offset:1024
	s_waitcnt lgkmcnt(0)
	v_lshrrev_b64 v[64:65], s33, v[64:65]
	v_and_b32_e32 v180, s69, v64
	s_or_b64 exec, exec, s[92:93]
	s_and_saveexec_b64 s[92:93], s[38:39]
	s_cbranch_execnz .LBB839_559
.LBB839_528:                            ;   in Loop: Header=BB839_400 Depth=2
	s_or_b64 exec, exec, s[92:93]
	s_and_saveexec_b64 s[92:93], s[40:41]
	s_cbranch_execz .LBB839_560
.LBB839_529:                            ;   in Loop: Header=BB839_400 Depth=2
	ds_read_b64 v[64:65], v104 offset:4096
	s_waitcnt lgkmcnt(0)
	v_lshrrev_b64 v[64:65], s33, v[64:65]
	v_and_b32_e32 v177, s69, v64
	s_or_b64 exec, exec, s[92:93]
	s_and_saveexec_b64 s[92:93], s[42:43]
	s_cbranch_execnz .LBB839_561
.LBB839_530:                            ;   in Loop: Header=BB839_400 Depth=2
	s_or_b64 exec, exec, s[92:93]
	s_and_saveexec_b64 s[92:93], s[44:45]
	s_cbranch_execz .LBB839_562
.LBB839_531:                            ;   in Loop: Header=BB839_400 Depth=2
	ds_read_b64 v[64:65], v104 offset:8192
	s_waitcnt lgkmcnt(0)
	v_lshrrev_b64 v[64:65], s33, v[64:65]
	v_and_b32_e32 v174, s69, v64
	s_or_b64 exec, exec, s[92:93]
	s_and_saveexec_b64 s[92:93], s[46:47]
	s_cbranch_execnz .LBB839_563
.LBB839_532:                            ;   in Loop: Header=BB839_400 Depth=2
	s_or_b64 exec, exec, s[92:93]
	s_and_saveexec_b64 s[92:93], s[48:49]
	s_cbranch_execz .LBB839_564
.LBB839_533:                            ;   in Loop: Header=BB839_400 Depth=2
	ds_read_b64 v[64:65], v104 offset:12288
	s_waitcnt lgkmcnt(0)
	v_lshrrev_b64 v[64:65], s33, v[64:65]
	v_and_b32_e32 v172, s69, v64
	s_or_b64 exec, exec, s[92:93]
	s_and_saveexec_b64 s[92:93], s[50:51]
	s_cbranch_execnz .LBB839_565
.LBB839_534:                            ;   in Loop: Header=BB839_400 Depth=2
	s_or_b64 exec, exec, s[92:93]
	s_and_saveexec_b64 s[92:93], s[52:53]
	s_cbranch_execz .LBB839_566
.LBB839_535:                            ;   in Loop: Header=BB839_400 Depth=2
	ds_read_b64 v[64:65], v104 offset:16384
	s_waitcnt lgkmcnt(0)
	v_lshrrev_b64 v[64:65], s33, v[64:65]
	v_and_b32_e32 v170, s69, v64
	s_or_b64 exec, exec, s[92:93]
	s_and_saveexec_b64 s[92:93], s[54:55]
	s_cbranch_execnz .LBB839_567
.LBB839_536:                            ;   in Loop: Header=BB839_400 Depth=2
	s_or_b64 exec, exec, s[92:93]
	s_and_saveexec_b64 s[92:93], s[56:57]
	s_cbranch_execz .LBB839_568
.LBB839_537:                            ;   in Loop: Header=BB839_400 Depth=2
	ds_read_b64 v[64:65], v104 offset:20480
	s_waitcnt lgkmcnt(0)
	v_lshrrev_b64 v[64:65], s33, v[64:65]
	v_and_b32_e32 v168, s69, v64
	s_or_b64 exec, exec, s[92:93]
	s_and_saveexec_b64 s[92:93], s[58:59]
	s_cbranch_execnz .LBB839_569
.LBB839_538:                            ;   in Loop: Header=BB839_400 Depth=2
	s_or_b64 exec, exec, s[92:93]
	s_and_saveexec_b64 s[92:93], s[60:61]
	s_cbranch_execz .LBB839_570
.LBB839_539:                            ;   in Loop: Header=BB839_400 Depth=2
	ds_read_b64 v[64:65], v104 offset:24576
	s_waitcnt lgkmcnt(0)
	v_lshrrev_b64 v[64:65], s33, v[64:65]
	v_and_b32_e32 v166, s69, v64
	s_or_b64 exec, exec, s[92:93]
	s_and_saveexec_b64 s[92:93], s[62:63]
	s_cbranch_execnz .LBB839_571
.LBB839_540:                            ;   in Loop: Header=BB839_400 Depth=2
	s_or_b64 exec, exec, s[92:93]
	s_and_saveexec_b64 s[92:93], s[64:65]
	s_cbranch_execz .LBB839_572
.LBB839_541:                            ;   in Loop: Header=BB839_400 Depth=2
	ds_read_b64 v[64:65], v104 offset:28672
	s_waitcnt lgkmcnt(0)
	v_lshrrev_b64 v[64:65], s33, v[64:65]
	v_and_b32_e32 v164, s69, v64
	s_or_b64 exec, exec, s[92:93]
	s_and_saveexec_b64 s[92:93], s[66:67]
	s_cbranch_execnz .LBB839_573
	s_branch .LBB839_574
.LBB839_542:                            ;   in Loop: Header=BB839_400 Depth=2
	s_or_b64 exec, exec, s[92:93]
	v_cmp_lt_u32_e32 vcc, v143, v182
	s_and_saveexec_b64 s[92:93], vcc
	s_cbranch_execz .LBB839_512
.LBB839_543:                            ;   in Loop: Header=BB839_400 Depth=2
	global_load_dwordx2 v[60:61], v[64:65], off offset:512
	s_or_b64 exec, exec, s[92:93]
	v_cmp_lt_u32_e32 vcc, v144, v182
	s_and_saveexec_b64 s[92:93], vcc
	s_cbranch_execnz .LBB839_513
.LBB839_544:                            ;   in Loop: Header=BB839_400 Depth=2
	s_or_b64 exec, exec, s[92:93]
	v_cmp_lt_u32_e32 vcc, v145, v182
	s_and_saveexec_b64 s[92:93], vcc
	s_cbranch_execz .LBB839_514
.LBB839_545:                            ;   in Loop: Header=BB839_400 Depth=2
	global_load_dwordx2 v[52:53], v[64:65], off offset:1536
	s_or_b64 exec, exec, s[92:93]
	v_cmp_lt_u32_e32 vcc, v146, v182
	s_and_saveexec_b64 s[92:93], vcc
	s_cbranch_execnz .LBB839_515
.LBB839_546:                            ;   in Loop: Header=BB839_400 Depth=2
	s_or_b64 exec, exec, s[92:93]
	v_cmp_lt_u32_e32 vcc, v147, v182
	s_and_saveexec_b64 s[92:93], vcc
	s_cbranch_execz .LBB839_516
.LBB839_547:                            ;   in Loop: Header=BB839_400 Depth=2
	global_load_dwordx2 v[44:45], v[64:65], off offset:2560
	s_or_b64 exec, exec, s[92:93]
	v_cmp_lt_u32_e32 vcc, v148, v182
	s_and_saveexec_b64 s[92:93], vcc
	s_cbranch_execnz .LBB839_517
.LBB839_548:                            ;   in Loop: Header=BB839_400 Depth=2
	s_or_b64 exec, exec, s[92:93]
	v_cmp_lt_u32_e32 vcc, v149, v182
	s_and_saveexec_b64 s[92:93], vcc
	s_cbranch_execz .LBB839_518
.LBB839_549:                            ;   in Loop: Header=BB839_400 Depth=2
	global_load_dwordx2 v[36:37], v[64:65], off offset:3584
	s_or_b64 exec, exec, s[92:93]
	v_cmp_lt_u32_e32 vcc, v150, v182
	s_and_saveexec_b64 s[92:93], vcc
	s_cbranch_execnz .LBB839_519
.LBB839_550:                            ;   in Loop: Header=BB839_400 Depth=2
	s_or_b64 exec, exec, s[92:93]
	v_cmp_lt_u32_e32 vcc, v151, v182
	s_and_saveexec_b64 s[92:93], vcc
	s_cbranch_execz .LBB839_520
.LBB839_551:                            ;   in Loop: Header=BB839_400 Depth=2
	v_add_co_u32_e32 v54, vcc, 0x1000, v64
	v_addc_co_u32_e32 v55, vcc, 0, v65, vcc
	global_load_dwordx2 v[54:55], v[54:55], off offset:512
	s_or_b64 exec, exec, s[92:93]
	v_cmp_lt_u32_e32 vcc, v152, v182
	s_and_saveexec_b64 s[92:93], vcc
	s_cbranch_execnz .LBB839_521
.LBB839_552:                            ;   in Loop: Header=BB839_400 Depth=2
	s_or_b64 exec, exec, s[92:93]
	v_cmp_lt_u32_e32 vcc, v153, v182
	s_and_saveexec_b64 s[92:93], vcc
	s_cbranch_execz .LBB839_522
.LBB839_553:                            ;   in Loop: Header=BB839_400 Depth=2
	v_add_co_u32_e32 v46, vcc, 0x1000, v64
	v_addc_co_u32_e32 v47, vcc, 0, v65, vcc
	global_load_dwordx2 v[46:47], v[46:47], off offset:1536
	s_or_b64 exec, exec, s[92:93]
	v_cmp_lt_u32_e32 vcc, v154, v182
	s_and_saveexec_b64 s[92:93], vcc
	s_cbranch_execnz .LBB839_523
.LBB839_554:                            ;   in Loop: Header=BB839_400 Depth=2
	s_or_b64 exec, exec, s[92:93]
	v_cmp_lt_u32_e32 vcc, v155, v182
	s_and_saveexec_b64 s[92:93], vcc
	s_cbranch_execz .LBB839_524
.LBB839_555:                            ;   in Loop: Header=BB839_400 Depth=2
	v_add_co_u32_e32 v38, vcc, 0x1000, v64
	v_addc_co_u32_e32 v39, vcc, 0, v65, vcc
	global_load_dwordx2 v[38:39], v[38:39], off offset:2560
	s_or_b64 exec, exec, s[92:93]
	v_cmp_lt_u32_e32 vcc, v156, v182
	s_and_saveexec_b64 s[92:93], vcc
	s_cbranch_execnz .LBB839_525
.LBB839_556:                            ;   in Loop: Header=BB839_400 Depth=2
	s_or_b64 exec, exec, s[92:93]
	v_cmp_lt_u32_e32 vcc, v157, v182
	s_and_saveexec_b64 s[92:93], vcc
	s_cbranch_execz .LBB839_526
.LBB839_557:                            ;   in Loop: Header=BB839_400 Depth=2
	v_add_co_u32_e32 v0, vcc, 0x1000, v64
	v_addc_co_u32_e32 v1, vcc, 0, v65, vcc
	global_load_dwordx2 v[0:1], v[0:1], off offset:3584
	s_or_b64 exec, exec, s[92:93]
	s_and_saveexec_b64 s[92:93], s[36:37]
	s_cbranch_execnz .LBB839_527
.LBB839_558:                            ;   in Loop: Header=BB839_400 Depth=2
	s_or_b64 exec, exec, s[92:93]
	s_and_saveexec_b64 s[92:93], s[38:39]
	s_cbranch_execz .LBB839_528
.LBB839_559:                            ;   in Loop: Header=BB839_400 Depth=2
	ds_read_b64 v[64:65], v104 offset:2048
	s_waitcnt lgkmcnt(0)
	v_lshrrev_b64 v[64:65], s33, v[64:65]
	v_and_b32_e32 v178, s69, v64
	s_or_b64 exec, exec, s[92:93]
	s_and_saveexec_b64 s[92:93], s[40:41]
	s_cbranch_execnz .LBB839_529
.LBB839_560:                            ;   in Loop: Header=BB839_400 Depth=2
	s_or_b64 exec, exec, s[92:93]
	s_and_saveexec_b64 s[92:93], s[42:43]
	s_cbranch_execz .LBB839_530
.LBB839_561:                            ;   in Loop: Header=BB839_400 Depth=2
	ds_read_b64 v[64:65], v104 offset:6144
	s_waitcnt lgkmcnt(0)
	v_lshrrev_b64 v[64:65], s33, v[64:65]
	v_and_b32_e32 v175, s69, v64
	s_or_b64 exec, exec, s[92:93]
	s_and_saveexec_b64 s[92:93], s[44:45]
	s_cbranch_execnz .LBB839_531
.LBB839_562:                            ;   in Loop: Header=BB839_400 Depth=2
	s_or_b64 exec, exec, s[92:93]
	s_and_saveexec_b64 s[92:93], s[46:47]
	s_cbranch_execz .LBB839_532
.LBB839_563:                            ;   in Loop: Header=BB839_400 Depth=2
	ds_read_b64 v[64:65], v104 offset:10240
	s_waitcnt lgkmcnt(0)
	v_lshrrev_b64 v[64:65], s33, v[64:65]
	v_and_b32_e32 v173, s69, v64
	s_or_b64 exec, exec, s[92:93]
	s_and_saveexec_b64 s[92:93], s[48:49]
	s_cbranch_execnz .LBB839_533
.LBB839_564:                            ;   in Loop: Header=BB839_400 Depth=2
	s_or_b64 exec, exec, s[92:93]
	s_and_saveexec_b64 s[92:93], s[50:51]
	s_cbranch_execz .LBB839_534
.LBB839_565:                            ;   in Loop: Header=BB839_400 Depth=2
	ds_read_b64 v[64:65], v104 offset:14336
	s_waitcnt lgkmcnt(0)
	v_lshrrev_b64 v[64:65], s33, v[64:65]
	v_and_b32_e32 v171, s69, v64
	s_or_b64 exec, exec, s[92:93]
	s_and_saveexec_b64 s[92:93], s[52:53]
	s_cbranch_execnz .LBB839_535
.LBB839_566:                            ;   in Loop: Header=BB839_400 Depth=2
	s_or_b64 exec, exec, s[92:93]
	s_and_saveexec_b64 s[92:93], s[54:55]
	s_cbranch_execz .LBB839_536
.LBB839_567:                            ;   in Loop: Header=BB839_400 Depth=2
	ds_read_b64 v[64:65], v104 offset:18432
	s_waitcnt lgkmcnt(0)
	v_lshrrev_b64 v[64:65], s33, v[64:65]
	v_and_b32_e32 v169, s69, v64
	s_or_b64 exec, exec, s[92:93]
	s_and_saveexec_b64 s[92:93], s[56:57]
	s_cbranch_execnz .LBB839_537
.LBB839_568:                            ;   in Loop: Header=BB839_400 Depth=2
	s_or_b64 exec, exec, s[92:93]
	s_and_saveexec_b64 s[92:93], s[58:59]
	s_cbranch_execz .LBB839_538
.LBB839_569:                            ;   in Loop: Header=BB839_400 Depth=2
	ds_read_b64 v[64:65], v104 offset:22528
	s_waitcnt lgkmcnt(0)
	v_lshrrev_b64 v[64:65], s33, v[64:65]
	v_and_b32_e32 v167, s69, v64
	s_or_b64 exec, exec, s[92:93]
	s_and_saveexec_b64 s[92:93], s[60:61]
	s_cbranch_execnz .LBB839_539
.LBB839_570:                            ;   in Loop: Header=BB839_400 Depth=2
	s_or_b64 exec, exec, s[92:93]
	s_and_saveexec_b64 s[92:93], s[62:63]
	s_cbranch_execz .LBB839_540
.LBB839_571:                            ;   in Loop: Header=BB839_400 Depth=2
	ds_read_b64 v[64:65], v104 offset:26624
	s_waitcnt lgkmcnt(0)
	v_lshrrev_b64 v[64:65], s33, v[64:65]
	v_and_b32_e32 v165, s69, v64
	s_or_b64 exec, exec, s[92:93]
	s_and_saveexec_b64 s[92:93], s[64:65]
	s_cbranch_execnz .LBB839_541
.LBB839_572:                            ;   in Loop: Header=BB839_400 Depth=2
	s_or_b64 exec, exec, s[92:93]
	s_and_saveexec_b64 s[92:93], s[66:67]
	s_cbranch_execz .LBB839_574
.LBB839_573:                            ;   in Loop: Header=BB839_400 Depth=2
	ds_read_b64 v[64:65], v104 offset:30720
	s_waitcnt lgkmcnt(0)
	v_lshrrev_b64 v[64:65], s33, v[64:65]
	v_and_b32_e32 v163, s69, v64
.LBB839_574:                            ;   in Loop: Header=BB839_400 Depth=2
	s_or_b64 exec, exec, s[92:93]
	v_add_u32_e32 v64, 0x400, v96
	v_add_u32_e32 v65, 0x400, v97
	;; [unrolled: 1-line block ×16, first 2 shown]
	s_barrier
	s_waitcnt vmcnt(0)
	ds_write_b64 v64, v[62:63]
	ds_write_b64 v65, v[60:61]
	;; [unrolled: 1-line block ×16, first 2 shown]
	s_waitcnt lgkmcnt(0)
	s_barrier
	s_and_saveexec_b64 s[92:93], s[36:37]
	s_cbranch_execz .LBB839_590
; %bb.575:                              ;   in Loop: Header=BB839_400 Depth=2
	v_lshlrev_b32_e32 v64, 2, v180
	ds_read_b32 v66, v64
	v_add_u32_e32 v64, v33, v3
	ds_read_b64 v[64:65], v64 offset:1024
	v_mov_b32_e32 v67, v4
	v_mov_b32_e32 v68, s83
	s_waitcnt lgkmcnt(1)
	v_add_u32_e32 v66, v66, v2
	v_lshlrev_b64 v[66:67], 3, v[66:67]
	v_add_co_u32_e32 v66, vcc, s82, v66
	v_addc_co_u32_e32 v67, vcc, v68, v67, vcc
	s_waitcnt lgkmcnt(0)
	global_store_dwordx2 v[66:67], v[64:65], off
	s_or_b64 exec, exec, s[92:93]
	s_and_saveexec_b64 s[36:37], s[38:39]
	s_cbranch_execnz .LBB839_591
.LBB839_576:                            ;   in Loop: Header=BB839_400 Depth=2
	s_or_b64 exec, exec, s[36:37]
	s_and_saveexec_b64 s[36:37], s[40:41]
	s_cbranch_execz .LBB839_592
.LBB839_577:                            ;   in Loop: Header=BB839_400 Depth=2
	v_lshlrev_b32_e32 v64, 2, v177
	ds_read_b32 v66, v64
	ds_read_b64 v[64:65], v104 offset:4096
	v_mov_b32_e32 v67, v4
	v_mov_b32_e32 v68, s83
	s_waitcnt lgkmcnt(1)
	v_add_u32_e32 v66, v66, v6
	v_lshlrev_b64 v[66:67], 3, v[66:67]
	v_add_co_u32_e32 v66, vcc, s82, v66
	v_addc_co_u32_e32 v67, vcc, v68, v67, vcc
	s_waitcnt lgkmcnt(0)
	global_store_dwordx2 v[66:67], v[64:65], off
	s_or_b64 exec, exec, s[36:37]
	s_and_saveexec_b64 s[36:37], s[42:43]
	s_cbranch_execnz .LBB839_593
.LBB839_578:                            ;   in Loop: Header=BB839_400 Depth=2
	s_or_b64 exec, exec, s[36:37]
	s_and_saveexec_b64 s[36:37], s[44:45]
	s_cbranch_execz .LBB839_594
.LBB839_579:                            ;   in Loop: Header=BB839_400 Depth=2
	v_lshlrev_b32_e32 v64, 2, v174
	ds_read_b32 v66, v64
	ds_read_b64 v[64:65], v104 offset:8192
	v_mov_b32_e32 v67, v4
	v_mov_b32_e32 v68, s83
	s_waitcnt lgkmcnt(1)
	v_add_u32_e32 v66, v66, v10
	v_lshlrev_b64 v[66:67], 3, v[66:67]
	v_add_co_u32_e32 v66, vcc, s82, v66
	v_addc_co_u32_e32 v67, vcc, v68, v67, vcc
	s_waitcnt lgkmcnt(0)
	global_store_dwordx2 v[66:67], v[64:65], off
	s_or_b64 exec, exec, s[36:37]
	s_and_saveexec_b64 s[36:37], s[46:47]
	s_cbranch_execnz .LBB839_595
.LBB839_580:                            ;   in Loop: Header=BB839_400 Depth=2
	s_or_b64 exec, exec, s[36:37]
	s_and_saveexec_b64 s[36:37], s[48:49]
	s_cbranch_execz .LBB839_596
.LBB839_581:                            ;   in Loop: Header=BB839_400 Depth=2
	v_lshlrev_b32_e32 v64, 2, v172
	ds_read_b32 v66, v64
	ds_read_b64 v[64:65], v104 offset:12288
	v_mov_b32_e32 v67, v4
	v_mov_b32_e32 v68, s83
	s_waitcnt lgkmcnt(1)
	v_add_u32_e32 v66, v66, v14
	v_lshlrev_b64 v[66:67], 3, v[66:67]
	v_add_co_u32_e32 v66, vcc, s82, v66
	v_addc_co_u32_e32 v67, vcc, v68, v67, vcc
	s_waitcnt lgkmcnt(0)
	global_store_dwordx2 v[66:67], v[64:65], off
	s_or_b64 exec, exec, s[36:37]
	s_and_saveexec_b64 s[36:37], s[50:51]
	s_cbranch_execnz .LBB839_597
.LBB839_582:                            ;   in Loop: Header=BB839_400 Depth=2
	s_or_b64 exec, exec, s[36:37]
	s_and_saveexec_b64 s[36:37], s[52:53]
	s_cbranch_execz .LBB839_598
.LBB839_583:                            ;   in Loop: Header=BB839_400 Depth=2
	v_lshlrev_b32_e32 v64, 2, v170
	ds_read_b32 v66, v64
	ds_read_b64 v[64:65], v104 offset:16384
	v_mov_b32_e32 v67, v4
	v_mov_b32_e32 v68, s83
	s_waitcnt lgkmcnt(1)
	v_add_u32_e32 v66, v66, v18
	v_lshlrev_b64 v[66:67], 3, v[66:67]
	v_add_co_u32_e32 v66, vcc, s82, v66
	v_addc_co_u32_e32 v67, vcc, v68, v67, vcc
	s_waitcnt lgkmcnt(0)
	global_store_dwordx2 v[66:67], v[64:65], off
	s_or_b64 exec, exec, s[36:37]
	s_and_saveexec_b64 s[36:37], s[54:55]
	s_cbranch_execnz .LBB839_599
.LBB839_584:                            ;   in Loop: Header=BB839_400 Depth=2
	s_or_b64 exec, exec, s[36:37]
	s_and_saveexec_b64 s[36:37], s[56:57]
	s_cbranch_execz .LBB839_600
.LBB839_585:                            ;   in Loop: Header=BB839_400 Depth=2
	v_lshlrev_b32_e32 v64, 2, v168
	ds_read_b32 v66, v64
	ds_read_b64 v[64:65], v104 offset:20480
	v_mov_b32_e32 v67, v4
	v_mov_b32_e32 v68, s83
	s_waitcnt lgkmcnt(1)
	v_add_u32_e32 v66, v66, v22
	v_lshlrev_b64 v[66:67], 3, v[66:67]
	v_add_co_u32_e32 v66, vcc, s82, v66
	v_addc_co_u32_e32 v67, vcc, v68, v67, vcc
	s_waitcnt lgkmcnt(0)
	global_store_dwordx2 v[66:67], v[64:65], off
	s_or_b64 exec, exec, s[36:37]
	s_and_saveexec_b64 s[36:37], s[58:59]
	s_cbranch_execnz .LBB839_601
.LBB839_586:                            ;   in Loop: Header=BB839_400 Depth=2
	s_or_b64 exec, exec, s[36:37]
	s_and_saveexec_b64 s[36:37], s[60:61]
	s_cbranch_execz .LBB839_602
.LBB839_587:                            ;   in Loop: Header=BB839_400 Depth=2
	v_lshlrev_b32_e32 v64, 2, v166
	ds_read_b32 v66, v64
	ds_read_b64 v[64:65], v104 offset:24576
	v_mov_b32_e32 v67, v4
	v_mov_b32_e32 v68, s83
	s_waitcnt lgkmcnt(1)
	v_add_u32_e32 v66, v66, v26
	v_lshlrev_b64 v[66:67], 3, v[66:67]
	v_add_co_u32_e32 v66, vcc, s82, v66
	v_addc_co_u32_e32 v67, vcc, v68, v67, vcc
	s_waitcnt lgkmcnt(0)
	global_store_dwordx2 v[66:67], v[64:65], off
	s_or_b64 exec, exec, s[36:37]
	s_and_saveexec_b64 s[36:37], s[62:63]
	s_cbranch_execnz .LBB839_603
.LBB839_588:                            ;   in Loop: Header=BB839_400 Depth=2
	s_or_b64 exec, exec, s[36:37]
	s_and_saveexec_b64 s[36:37], s[64:65]
	s_cbranch_execz .LBB839_604
.LBB839_589:                            ;   in Loop: Header=BB839_400 Depth=2
	v_lshlrev_b32_e32 v64, 2, v164
	ds_read_b32 v66, v64
	ds_read_b64 v[64:65], v104 offset:28672
	v_mov_b32_e32 v67, v4
	v_mov_b32_e32 v68, s83
	s_waitcnt lgkmcnt(1)
	v_add_u32_e32 v66, v66, v30
	v_lshlrev_b64 v[66:67], 3, v[66:67]
	v_add_co_u32_e32 v66, vcc, s82, v66
	v_addc_co_u32_e32 v67, vcc, v68, v67, vcc
	s_waitcnt lgkmcnt(0)
	global_store_dwordx2 v[66:67], v[64:65], off
	s_or_b64 exec, exec, s[36:37]
	s_and_saveexec_b64 s[36:37], s[66:67]
	s_cbranch_execnz .LBB839_605
	s_branch .LBB839_606
.LBB839_590:                            ;   in Loop: Header=BB839_400 Depth=2
	s_or_b64 exec, exec, s[92:93]
	s_and_saveexec_b64 s[36:37], s[38:39]
	s_cbranch_execz .LBB839_576
.LBB839_591:                            ;   in Loop: Header=BB839_400 Depth=2
	v_lshlrev_b32_e32 v64, 2, v178
	ds_read_b32 v66, v64
	ds_read_b64 v[64:65], v104 offset:2048
	v_mov_b32_e32 v67, v4
	v_mov_b32_e32 v68, s83
	s_waitcnt lgkmcnt(1)
	v_add_u32_e32 v66, v66, v7
	v_lshlrev_b64 v[66:67], 3, v[66:67]
	v_add_co_u32_e32 v66, vcc, s82, v66
	v_addc_co_u32_e32 v67, vcc, v68, v67, vcc
	s_waitcnt lgkmcnt(0)
	global_store_dwordx2 v[66:67], v[64:65], off
	s_or_b64 exec, exec, s[36:37]
	s_and_saveexec_b64 s[36:37], s[40:41]
	s_cbranch_execnz .LBB839_577
.LBB839_592:                            ;   in Loop: Header=BB839_400 Depth=2
	s_or_b64 exec, exec, s[36:37]
	s_and_saveexec_b64 s[36:37], s[42:43]
	s_cbranch_execz .LBB839_578
.LBB839_593:                            ;   in Loop: Header=BB839_400 Depth=2
	v_lshlrev_b32_e32 v64, 2, v175
	ds_read_b32 v66, v64
	ds_read_b64 v[64:65], v104 offset:6144
	v_mov_b32_e32 v67, v4
	v_mov_b32_e32 v68, s83
	s_waitcnt lgkmcnt(1)
	v_add_u32_e32 v66, v66, v8
	v_lshlrev_b64 v[66:67], 3, v[66:67]
	v_add_co_u32_e32 v66, vcc, s82, v66
	v_addc_co_u32_e32 v67, vcc, v68, v67, vcc
	s_waitcnt lgkmcnt(0)
	global_store_dwordx2 v[66:67], v[64:65], off
	s_or_b64 exec, exec, s[36:37]
	s_and_saveexec_b64 s[36:37], s[44:45]
	s_cbranch_execnz .LBB839_579
.LBB839_594:                            ;   in Loop: Header=BB839_400 Depth=2
	s_or_b64 exec, exec, s[36:37]
	s_and_saveexec_b64 s[36:37], s[46:47]
	s_cbranch_execz .LBB839_580
.LBB839_595:                            ;   in Loop: Header=BB839_400 Depth=2
	v_lshlrev_b32_e32 v64, 2, v173
	ds_read_b32 v66, v64
	ds_read_b64 v[64:65], v104 offset:10240
	v_mov_b32_e32 v67, v4
	v_mov_b32_e32 v68, s83
	s_waitcnt lgkmcnt(1)
	v_add_u32_e32 v66, v66, v12
	v_lshlrev_b64 v[66:67], 3, v[66:67]
	v_add_co_u32_e32 v66, vcc, s82, v66
	v_addc_co_u32_e32 v67, vcc, v68, v67, vcc
	s_waitcnt lgkmcnt(0)
	global_store_dwordx2 v[66:67], v[64:65], off
	s_or_b64 exec, exec, s[36:37]
	s_and_saveexec_b64 s[36:37], s[48:49]
	s_cbranch_execnz .LBB839_581
.LBB839_596:                            ;   in Loop: Header=BB839_400 Depth=2
	s_or_b64 exec, exec, s[36:37]
	s_and_saveexec_b64 s[36:37], s[50:51]
	s_cbranch_execz .LBB839_582
.LBB839_597:                            ;   in Loop: Header=BB839_400 Depth=2
	v_lshlrev_b32_e32 v64, 2, v171
	ds_read_b32 v66, v64
	ds_read_b64 v[64:65], v104 offset:14336
	v_mov_b32_e32 v67, v4
	v_mov_b32_e32 v68, s83
	s_waitcnt lgkmcnt(1)
	v_add_u32_e32 v66, v66, v16
	v_lshlrev_b64 v[66:67], 3, v[66:67]
	v_add_co_u32_e32 v66, vcc, s82, v66
	v_addc_co_u32_e32 v67, vcc, v68, v67, vcc
	s_waitcnt lgkmcnt(0)
	global_store_dwordx2 v[66:67], v[64:65], off
	s_or_b64 exec, exec, s[36:37]
	s_and_saveexec_b64 s[36:37], s[52:53]
	s_cbranch_execnz .LBB839_583
.LBB839_598:                            ;   in Loop: Header=BB839_400 Depth=2
	s_or_b64 exec, exec, s[36:37]
	s_and_saveexec_b64 s[36:37], s[54:55]
	s_cbranch_execz .LBB839_584
.LBB839_599:                            ;   in Loop: Header=BB839_400 Depth=2
	v_lshlrev_b32_e32 v64, 2, v169
	ds_read_b32 v66, v64
	ds_read_b64 v[64:65], v104 offset:18432
	v_mov_b32_e32 v67, v4
	v_mov_b32_e32 v68, s83
	s_waitcnt lgkmcnt(1)
	v_add_u32_e32 v66, v66, v20
	v_lshlrev_b64 v[66:67], 3, v[66:67]
	v_add_co_u32_e32 v66, vcc, s82, v66
	v_addc_co_u32_e32 v67, vcc, v68, v67, vcc
	s_waitcnt lgkmcnt(0)
	global_store_dwordx2 v[66:67], v[64:65], off
	s_or_b64 exec, exec, s[36:37]
	s_and_saveexec_b64 s[36:37], s[56:57]
	s_cbranch_execnz .LBB839_585
.LBB839_600:                            ;   in Loop: Header=BB839_400 Depth=2
	s_or_b64 exec, exec, s[36:37]
	s_and_saveexec_b64 s[36:37], s[58:59]
	s_cbranch_execz .LBB839_586
.LBB839_601:                            ;   in Loop: Header=BB839_400 Depth=2
	v_lshlrev_b32_e32 v64, 2, v167
	ds_read_b32 v66, v64
	ds_read_b64 v[64:65], v104 offset:22528
	v_mov_b32_e32 v67, v4
	v_mov_b32_e32 v68, s83
	s_waitcnt lgkmcnt(1)
	v_add_u32_e32 v66, v66, v24
	v_lshlrev_b64 v[66:67], 3, v[66:67]
	v_add_co_u32_e32 v66, vcc, s82, v66
	v_addc_co_u32_e32 v67, vcc, v68, v67, vcc
	s_waitcnt lgkmcnt(0)
	global_store_dwordx2 v[66:67], v[64:65], off
	s_or_b64 exec, exec, s[36:37]
	s_and_saveexec_b64 s[36:37], s[60:61]
	s_cbranch_execnz .LBB839_587
.LBB839_602:                            ;   in Loop: Header=BB839_400 Depth=2
	s_or_b64 exec, exec, s[36:37]
	s_and_saveexec_b64 s[36:37], s[62:63]
	s_cbranch_execz .LBB839_588
.LBB839_603:                            ;   in Loop: Header=BB839_400 Depth=2
	v_lshlrev_b32_e32 v64, 2, v165
	ds_read_b32 v66, v64
	ds_read_b64 v[64:65], v104 offset:26624
	v_mov_b32_e32 v67, v4
	v_mov_b32_e32 v68, s83
	s_waitcnt lgkmcnt(1)
	v_add_u32_e32 v66, v66, v28
	v_lshlrev_b64 v[66:67], 3, v[66:67]
	v_add_co_u32_e32 v66, vcc, s82, v66
	v_addc_co_u32_e32 v67, vcc, v68, v67, vcc
	s_waitcnt lgkmcnt(0)
	global_store_dwordx2 v[66:67], v[64:65], off
	s_or_b64 exec, exec, s[36:37]
	s_and_saveexec_b64 s[36:37], s[64:65]
	s_cbranch_execnz .LBB839_589
.LBB839_604:                            ;   in Loop: Header=BB839_400 Depth=2
	s_or_b64 exec, exec, s[36:37]
	s_and_saveexec_b64 s[36:37], s[66:67]
	s_cbranch_execz .LBB839_606
.LBB839_605:                            ;   in Loop: Header=BB839_400 Depth=2
	v_lshlrev_b32_e32 v64, 2, v163
	ds_read_b32 v66, v64
	ds_read_b64 v[64:65], v104 offset:30720
	v_mov_b32_e32 v67, v4
	v_mov_b32_e32 v68, s83
	s_waitcnt lgkmcnt(1)
	v_add_u32_e32 v66, v66, v32
	v_lshlrev_b64 v[66:67], 3, v[66:67]
	v_add_co_u32_e32 v66, vcc, s82, v66
	v_addc_co_u32_e32 v67, vcc, v68, v67, vcc
	s_waitcnt lgkmcnt(0)
	global_store_dwordx2 v[66:67], v[64:65], off
.LBB839_606:                            ;   in Loop: Header=BB839_400 Depth=2
	s_or_b64 exec, exec, s[36:37]
	s_barrier
	s_and_saveexec_b64 s[36:37], s[4:5]
	s_cbranch_execz .LBB839_399
; %bb.607:                              ;   in Loop: Header=BB839_400 Depth=2
	ds_read_b32 v64, v3
	s_waitcnt lgkmcnt(0)
	v_add_u32_e32 v5, v64, v5
	ds_write_b32 v3, v5
	s_branch .LBB839_399
.LBB839_608:                            ;   in Loop: Header=BB839_20 Depth=1
	v_readlane_b32 s50, v235, 2
	s_waitcnt lgkmcnt(0)
	s_barrier
.LBB839_609:                            ;   in Loop: Header=BB839_20 Depth=1
	s_mov_b64 s[16:17], 0
.LBB839_610:                            ;   in Loop: Header=BB839_20 Depth=1
	s_andn2_b64 vcc, exec, s[16:17]
	s_cbranch_vccnz .LBB839_19
; %bb.611:                              ;   in Loop: Header=BB839_20 Depth=1
	s_lshl_b32 s16, -1, s68
	s_not_b32 s68, s16
	s_mov_b64 s[16:17], -1
	s_and_b64 vcc, exec, s[70:71]
	s_cbranch_vccz .LBB839_905
; %bb.612:                              ;   in Loop: Header=BB839_20 Depth=1
	s_mov_b32 s22, s85
	s_mov_b32 s88, s50
	s_barrier
	s_waitcnt lgkmcnt(0)
                                        ; implicit-def: $vgpr62_vgpr63
                                        ; implicit-def: $vgpr0_vgpr1
                                        ; implicit-def: $vgpr34_vgpr35
                                        ; implicit-def: $vgpr36_vgpr37
                                        ; implicit-def: $vgpr38_vgpr39
                                        ; implicit-def: $vgpr40_vgpr41
                                        ; implicit-def: $vgpr42_vgpr43
                                        ; implicit-def: $vgpr44_vgpr45
                                        ; implicit-def: $vgpr46_vgpr47
                                        ; implicit-def: $vgpr48_vgpr49
                                        ; implicit-def: $vgpr50_vgpr51
                                        ; implicit-def: $vgpr52_vgpr53
                                        ; implicit-def: $vgpr54_vgpr55
                                        ; implicit-def: $vgpr56_vgpr57
                                        ; implicit-def: $vgpr58_vgpr59
                                        ; implicit-def: $vgpr60_vgpr61
	s_branch .LBB839_614
.LBB839_613:                            ;   in Loop: Header=BB839_614 Depth=2
	s_or_b64 exec, exec, s[16:17]
	s_addk_i32 s22, 0xf000
	s_cmp_ge_u32 s23, s94
	s_mov_b32 s88, s23
	s_cbranch_scc1 .LBB839_684
.LBB839_614:                            ;   Parent Loop BB839_20 Depth=1
                                        ; =>  This Inner Loop Header: Depth=2
	s_add_i32 s23, s88, 0x1000
	s_cmp_gt_u32 s23, s94
	s_cbranch_scc1 .LBB839_617
; %bb.615:                              ;   in Loop: Header=BB839_614 Depth=2
	s_lshl_b64 s[16:17], s[88:89], 3
	v_mov_b32_e32 v5, s17
	v_add_co_u32_e32 v64, vcc, s16, v111
	v_addc_co_u32_e32 v65, vcc, v112, v5, vcc
	s_waitcnt vmcnt(11)
	v_add_co_u32_e32 v72, vcc, 0x1000, v64
	v_addc_co_u32_e32 v73, vcc, 0, v65, vcc
	s_waitcnt vmcnt(5)
	;; [unrolled: 3-line block ×3, first 2 shown]
	v_add_co_u32_e32 v82, vcc, s96, v64
	v_addc_co_u32_e32 v83, vcc, 0, v65, vcc
	v_add_co_u32_e32 v86, vcc, s97, v64
	v_addc_co_u32_e32 v87, vcc, 0, v65, vcc
	;; [unrolled: 2-line block ×4, first 2 shown]
	global_load_dwordx2 v[66:67], v[64:65], off
	global_load_dwordx2 v[68:69], v[64:65], off offset:2048
	global_load_dwordx2 v[70:71], v[72:73], off
	s_nop 0
	global_load_dwordx2 v[72:73], v[72:73], off offset:2048
	s_nop 0
	global_load_dwordx2 v[74:75], v[82:83], off
	global_load_dwordx2 v[76:77], v[82:83], off offset:2048
	global_load_dwordx2 v[80:81], v[88:89], off offset:-4096
	global_load_dwordx2 v[84:85], v[88:89], off
	s_nop 0
	global_load_dwordx2 v[88:89], v[88:89], off offset:2048
	s_nop 0
	global_load_dwordx2 v[78:79], v[78:79], off offset:2048
	s_nop 0
	global_load_dwordx2 v[86:87], v[86:87], off offset:2048
	s_nop 0
	global_load_dwordx2 v[90:91], v[92:93], off
	s_nop 0
	global_load_dwordx2 v[92:93], v[92:93], off offset:2048
	s_waitcnt vmcnt(13)
	v_add_co_u32_e32 v94, vcc, 0x7000, v64
	v_addc_co_u32_e32 v95, vcc, 0, v65, vcc
	global_load_dwordx2 v[82:83], v[82:83], off offset:-4096
	s_nop 0
	global_load_dwordx2 v[94:95], v[94:95], off
	v_add_co_u32_e32 v64, vcc, 0x7800, v64
	s_movk_i32 s24, 0x1000
	v_addc_co_u32_e32 v65, vcc, 0, v65, vcc
	s_mov_b64 s[16:17], -1
	s_cbranch_execz .LBB839_618
; %bb.616:                              ;   in Loop: Header=BB839_614 Depth=2
                                        ; implicit-def: $vgpr60_vgpr61
                                        ; implicit-def: $vgpr58_vgpr59
                                        ; implicit-def: $vgpr56_vgpr57
                                        ; implicit-def: $vgpr54_vgpr55
                                        ; implicit-def: $vgpr52_vgpr53
                                        ; implicit-def: $vgpr50_vgpr51
                                        ; implicit-def: $vgpr48_vgpr49
                                        ; implicit-def: $vgpr46_vgpr47
                                        ; implicit-def: $vgpr44_vgpr45
                                        ; implicit-def: $vgpr42_vgpr43
                                        ; implicit-def: $vgpr40_vgpr41
                                        ; implicit-def: $vgpr38_vgpr39
                                        ; implicit-def: $vgpr36_vgpr37
                                        ; implicit-def: $vgpr34_vgpr35
                                        ; implicit-def: $vgpr0_vgpr1
                                        ; implicit-def: $vgpr62_vgpr63
	v_mov_b32_e32 v5, s22
	s_and_saveexec_b64 s[18:19], s[16:17]
	s_cbranch_execnz .LBB839_637
	s_branch .LBB839_638
.LBB839_617:                            ;   in Loop: Header=BB839_614 Depth=2
	s_mov_b64 s[16:17], 0
                                        ; implicit-def: $sgpr24
                                        ; implicit-def: $vgpr66_vgpr67
                                        ; implicit-def: $vgpr68_vgpr69
                                        ; implicit-def: $vgpr70_vgpr71
                                        ; implicit-def: $vgpr72_vgpr73
                                        ; implicit-def: $vgpr82_vgpr83
                                        ; implicit-def: $vgpr78_vgpr79
                                        ; implicit-def: $vgpr74_vgpr75
                                        ; implicit-def: $vgpr76_vgpr77
                                        ; implicit-def: $vgpr80_vgpr81
                                        ; implicit-def: $vgpr86_vgpr87
                                        ; implicit-def: $vgpr84_vgpr85
                                        ; implicit-def: $vgpr88_vgpr89
                                        ; implicit-def: $vgpr90_vgpr91
                                        ; implicit-def: $vgpr92_vgpr93
                                        ; implicit-def: $vgpr94_vgpr95
                                        ; implicit-def: $vgpr64_vgpr65
.LBB839_618:                            ;   in Loop: Header=BB839_614 Depth=2
	s_lshl_b64 s[18:19], s[88:89], 3
	s_add_u32 s18, s72, s18
	s_addc_u32 s19, s73, s19
	v_cmp_gt_u32_e32 vcc, s22, v2
	s_and_saveexec_b64 s[20:21], vcc
	s_cbranch_execz .LBB839_670
; %bb.619:                              ;   in Loop: Header=BB839_614 Depth=2
	global_load_dwordx2 v[60:61], v118, s[18:19]
	s_or_b64 exec, exec, s[20:21]
	v_cmp_gt_u32_e32 vcc, s22, v7
	s_and_saveexec_b64 s[20:21], vcc
	s_cbranch_execnz .LBB839_671
.LBB839_620:                            ;   in Loop: Header=BB839_614 Depth=2
	s_or_b64 exec, exec, s[20:21]
	v_cmp_gt_u32_e32 vcc, s22, v6
	s_and_saveexec_b64 s[20:21], vcc
	s_cbranch_execz .LBB839_672
.LBB839_621:                            ;   in Loop: Header=BB839_614 Depth=2
	global_load_dwordx2 v[56:57], v119, s[18:19]
	s_or_b64 exec, exec, s[20:21]
	v_cmp_gt_u32_e32 vcc, s22, v8
	s_and_saveexec_b64 s[20:21], vcc
	s_cbranch_execnz .LBB839_673
.LBB839_622:                            ;   in Loop: Header=BB839_614 Depth=2
	s_or_b64 exec, exec, s[20:21]
	v_cmp_gt_u32_e32 vcc, s22, v10
	s_and_saveexec_b64 s[20:21], vcc
	s_cbranch_execz .LBB839_674
.LBB839_623:                            ;   in Loop: Header=BB839_614 Depth=2
	global_load_dwordx2 v[52:53], v121, s[18:19]
	s_or_b64 exec, exec, s[20:21]
	v_cmp_gt_u32_e32 vcc, s22, v12
	s_and_saveexec_b64 s[20:21], vcc
	s_cbranch_execnz .LBB839_675
.LBB839_624:                            ;   in Loop: Header=BB839_614 Depth=2
	s_or_b64 exec, exec, s[20:21]
	v_cmp_gt_u32_e32 vcc, s22, v14
	s_and_saveexec_b64 s[20:21], vcc
	s_cbranch_execz .LBB839_676
.LBB839_625:                            ;   in Loop: Header=BB839_614 Depth=2
	global_load_dwordx2 v[48:49], v123, s[18:19]
	s_or_b64 exec, exec, s[20:21]
	v_cmp_gt_u32_e32 vcc, s22, v16
	s_and_saveexec_b64 s[20:21], vcc
	s_cbranch_execnz .LBB839_677
.LBB839_626:                            ;   in Loop: Header=BB839_614 Depth=2
	s_or_b64 exec, exec, s[20:21]
	v_cmp_gt_u32_e32 vcc, s22, v18
	s_and_saveexec_b64 s[20:21], vcc
	s_cbranch_execz .LBB839_678
.LBB839_627:                            ;   in Loop: Header=BB839_614 Depth=2
	global_load_dwordx2 v[44:45], v125, s[18:19]
	s_or_b64 exec, exec, s[20:21]
	v_cmp_gt_u32_e32 vcc, s22, v20
	s_and_saveexec_b64 s[20:21], vcc
	s_cbranch_execnz .LBB839_679
.LBB839_628:                            ;   in Loop: Header=BB839_614 Depth=2
	s_or_b64 exec, exec, s[20:21]
	v_cmp_gt_u32_e32 vcc, s22, v22
	s_and_saveexec_b64 s[20:21], vcc
	s_cbranch_execz .LBB839_680
.LBB839_629:                            ;   in Loop: Header=BB839_614 Depth=2
	global_load_dwordx2 v[40:41], v127, s[18:19]
	s_or_b64 exec, exec, s[20:21]
	v_cmp_gt_u32_e32 vcc, s22, v24
	s_and_saveexec_b64 s[20:21], vcc
	s_cbranch_execnz .LBB839_681
.LBB839_630:                            ;   in Loop: Header=BB839_614 Depth=2
	s_or_b64 exec, exec, s[20:21]
	v_cmp_gt_u32_e32 vcc, s22, v26
	s_and_saveexec_b64 s[20:21], vcc
	s_cbranch_execz .LBB839_682
.LBB839_631:                            ;   in Loop: Header=BB839_614 Depth=2
	global_load_dwordx2 v[36:37], v129, s[18:19]
	s_or_b64 exec, exec, s[20:21]
	v_cmp_gt_u32_e32 vcc, s22, v28
	s_and_saveexec_b64 s[20:21], vcc
	s_cbranch_execnz .LBB839_683
.LBB839_632:                            ;   in Loop: Header=BB839_614 Depth=2
	s_or_b64 exec, exec, s[20:21]
	v_cmp_gt_u32_e32 vcc, s22, v30
	s_and_saveexec_b64 s[20:21], vcc
	s_cbranch_execz .LBB839_634
.LBB839_633:                            ;   in Loop: Header=BB839_614 Depth=2
	global_load_dwordx2 v[0:1], v131, s[18:19]
.LBB839_634:                            ;   in Loop: Header=BB839_614 Depth=2
	s_or_b64 exec, exec, s[20:21]
	v_cmp_gt_u32_e32 vcc, s22, v32
                                        ; implicit-def: $sgpr24
                                        ; implicit-def: $vgpr64_vgpr65
	s_and_saveexec_b64 s[20:21], vcc
; %bb.635:                              ;   in Loop: Header=BB839_614 Depth=2
	v_mov_b32_e32 v5, s19
	v_add_co_u32_e32 v64, vcc, s18, v132
	s_sub_i32 s24, s94, s88
	v_addc_co_u32_e32 v65, vcc, 0, v5, vcc
	s_or_b64 s[16:17], s[16:17], exec
                                        ; implicit-def: $vgpr62_vgpr63
; %bb.636:                              ;   in Loop: Header=BB839_614 Depth=2
	s_or_b64 exec, exec, s[20:21]
	s_waitcnt vmcnt(0)
	v_pk_mov_b32 v[66:67], v[60:61], v[60:61] op_sel:[0,1]
	v_pk_mov_b32 v[68:69], v[58:59], v[58:59] op_sel:[0,1]
	;; [unrolled: 1-line block ×15, first 2 shown]
	v_mov_b32_e32 v5, s22
	s_and_saveexec_b64 s[18:19], s[16:17]
	s_cbranch_execz .LBB839_638
.LBB839_637:                            ;   in Loop: Header=BB839_614 Depth=2
	global_load_dwordx2 v[62:63], v[64:65], off
	v_mov_b32_e32 v5, s24
	s_waitcnt vmcnt(1)
	v_pk_mov_b32 v[0:1], v[94:95], v[94:95] op_sel:[0,1]
	v_pk_mov_b32 v[34:35], v[92:93], v[92:93] op_sel:[0,1]
	;; [unrolled: 1-line block ×15, first 2 shown]
.LBB839_638:                            ;   in Loop: Header=BB839_614 Depth=2
	s_or_b64 exec, exec, s[18:19]
	v_cmp_lt_u32_e32 vcc, v2, v5
	s_and_saveexec_b64 s[16:17], vcc
	s_cbranch_execz .LBB839_654
; %bb.639:                              ;   in Loop: Header=BB839_614 Depth=2
	v_xor_b32_e32 v65, 0x80000000, v61
	v_mov_b32_e32 v64, v60
	v_lshrrev_b64 v[64:65], s84, v[64:65]
	v_and_b32_e32 v64, s68, v64
	v_lshl_or_b32 v64, v64, 4, v133
	ds_add_u32 v64, v117
	s_or_b64 exec, exec, s[16:17]
	v_cmp_lt_u32_e32 vcc, v7, v5
	s_and_saveexec_b64 s[16:17], vcc
	s_cbranch_execnz .LBB839_655
.LBB839_640:                            ;   in Loop: Header=BB839_614 Depth=2
	s_or_b64 exec, exec, s[16:17]
	v_cmp_lt_u32_e32 vcc, v6, v5
	s_and_saveexec_b64 s[16:17], vcc
	s_cbranch_execz .LBB839_656
.LBB839_641:                            ;   in Loop: Header=BB839_614 Depth=2
	v_xor_b32_e32 v65, 0x80000000, v57
	v_mov_b32_e32 v64, v56
	v_lshrrev_b64 v[64:65], s84, v[64:65]
	v_and_b32_e32 v64, s68, v64
	v_lshl_or_b32 v64, v64, 4, v133
	ds_add_u32 v64, v117
	s_or_b64 exec, exec, s[16:17]
	v_cmp_lt_u32_e32 vcc, v8, v5
	s_and_saveexec_b64 s[16:17], vcc
	s_cbranch_execnz .LBB839_657
.LBB839_642:                            ;   in Loop: Header=BB839_614 Depth=2
	s_or_b64 exec, exec, s[16:17]
	v_cmp_lt_u32_e32 vcc, v10, v5
	s_and_saveexec_b64 s[16:17], vcc
	s_cbranch_execz .LBB839_658
.LBB839_643:                            ;   in Loop: Header=BB839_614 Depth=2
	v_xor_b32_e32 v65, 0x80000000, v53
	v_mov_b32_e32 v64, v52
	v_lshrrev_b64 v[64:65], s84, v[64:65]
	v_and_b32_e32 v64, s68, v64
	v_lshl_or_b32 v64, v64, 4, v133
	ds_add_u32 v64, v117
	s_or_b64 exec, exec, s[16:17]
	v_cmp_lt_u32_e32 vcc, v12, v5
	s_and_saveexec_b64 s[16:17], vcc
	s_cbranch_execnz .LBB839_659
.LBB839_644:                            ;   in Loop: Header=BB839_614 Depth=2
	s_or_b64 exec, exec, s[16:17]
	v_cmp_lt_u32_e32 vcc, v14, v5
	s_and_saveexec_b64 s[16:17], vcc
	s_cbranch_execz .LBB839_660
.LBB839_645:                            ;   in Loop: Header=BB839_614 Depth=2
	v_xor_b32_e32 v65, 0x80000000, v49
	v_mov_b32_e32 v64, v48
	v_lshrrev_b64 v[64:65], s84, v[64:65]
	v_and_b32_e32 v64, s68, v64
	v_lshl_or_b32 v64, v64, 4, v133
	ds_add_u32 v64, v117
	s_or_b64 exec, exec, s[16:17]
	v_cmp_lt_u32_e32 vcc, v16, v5
	s_and_saveexec_b64 s[16:17], vcc
	s_cbranch_execnz .LBB839_661
.LBB839_646:                            ;   in Loop: Header=BB839_614 Depth=2
	s_or_b64 exec, exec, s[16:17]
	v_cmp_lt_u32_e32 vcc, v18, v5
	s_and_saveexec_b64 s[16:17], vcc
	s_cbranch_execz .LBB839_662
.LBB839_647:                            ;   in Loop: Header=BB839_614 Depth=2
	v_xor_b32_e32 v65, 0x80000000, v45
	v_mov_b32_e32 v64, v44
	v_lshrrev_b64 v[64:65], s84, v[64:65]
	v_and_b32_e32 v64, s68, v64
	v_lshl_or_b32 v64, v64, 4, v133
	ds_add_u32 v64, v117
	s_or_b64 exec, exec, s[16:17]
	v_cmp_lt_u32_e32 vcc, v20, v5
	s_and_saveexec_b64 s[16:17], vcc
	s_cbranch_execnz .LBB839_663
.LBB839_648:                            ;   in Loop: Header=BB839_614 Depth=2
	s_or_b64 exec, exec, s[16:17]
	v_cmp_lt_u32_e32 vcc, v22, v5
	s_and_saveexec_b64 s[16:17], vcc
	s_cbranch_execz .LBB839_664
.LBB839_649:                            ;   in Loop: Header=BB839_614 Depth=2
	v_xor_b32_e32 v65, 0x80000000, v41
	v_mov_b32_e32 v64, v40
	v_lshrrev_b64 v[64:65], s84, v[64:65]
	v_and_b32_e32 v64, s68, v64
	v_lshl_or_b32 v64, v64, 4, v133
	ds_add_u32 v64, v117
	s_or_b64 exec, exec, s[16:17]
	v_cmp_lt_u32_e32 vcc, v24, v5
	s_and_saveexec_b64 s[16:17], vcc
	s_cbranch_execnz .LBB839_665
.LBB839_650:                            ;   in Loop: Header=BB839_614 Depth=2
	s_or_b64 exec, exec, s[16:17]
	v_cmp_lt_u32_e32 vcc, v26, v5
	s_and_saveexec_b64 s[16:17], vcc
	s_cbranch_execz .LBB839_666
.LBB839_651:                            ;   in Loop: Header=BB839_614 Depth=2
	v_xor_b32_e32 v65, 0x80000000, v37
	v_mov_b32_e32 v64, v36
	v_lshrrev_b64 v[64:65], s84, v[64:65]
	v_and_b32_e32 v64, s68, v64
	v_lshl_or_b32 v64, v64, 4, v133
	ds_add_u32 v64, v117
	s_or_b64 exec, exec, s[16:17]
	v_cmp_lt_u32_e32 vcc, v28, v5
	s_and_saveexec_b64 s[16:17], vcc
	s_cbranch_execnz .LBB839_667
.LBB839_652:                            ;   in Loop: Header=BB839_614 Depth=2
	s_or_b64 exec, exec, s[16:17]
	v_cmp_lt_u32_e32 vcc, v30, v5
	s_and_saveexec_b64 s[16:17], vcc
	s_cbranch_execz .LBB839_668
.LBB839_653:                            ;   in Loop: Header=BB839_614 Depth=2
	v_xor_b32_e32 v65, 0x80000000, v1
	v_mov_b32_e32 v64, v0
	v_lshrrev_b64 v[64:65], s84, v[64:65]
	v_and_b32_e32 v64, s68, v64
	v_lshl_or_b32 v64, v64, 4, v133
	ds_add_u32 v64, v117
	s_or_b64 exec, exec, s[16:17]
	v_cmp_lt_u32_e32 vcc, v32, v5
	s_and_saveexec_b64 s[16:17], vcc
	s_cbranch_execz .LBB839_613
	s_branch .LBB839_669
.LBB839_654:                            ;   in Loop: Header=BB839_614 Depth=2
	s_or_b64 exec, exec, s[16:17]
	v_cmp_lt_u32_e32 vcc, v7, v5
	s_and_saveexec_b64 s[16:17], vcc
	s_cbranch_execz .LBB839_640
.LBB839_655:                            ;   in Loop: Header=BB839_614 Depth=2
	v_xor_b32_e32 v65, 0x80000000, v59
	v_mov_b32_e32 v64, v58
	v_lshrrev_b64 v[64:65], s84, v[64:65]
	v_and_b32_e32 v64, s68, v64
	v_lshl_or_b32 v64, v64, 4, v133
	ds_add_u32 v64, v117
	s_or_b64 exec, exec, s[16:17]
	v_cmp_lt_u32_e32 vcc, v6, v5
	s_and_saveexec_b64 s[16:17], vcc
	s_cbranch_execnz .LBB839_641
.LBB839_656:                            ;   in Loop: Header=BB839_614 Depth=2
	s_or_b64 exec, exec, s[16:17]
	v_cmp_lt_u32_e32 vcc, v8, v5
	s_and_saveexec_b64 s[16:17], vcc
	s_cbranch_execz .LBB839_642
.LBB839_657:                            ;   in Loop: Header=BB839_614 Depth=2
	v_xor_b32_e32 v65, 0x80000000, v55
	v_mov_b32_e32 v64, v54
	v_lshrrev_b64 v[64:65], s84, v[64:65]
	v_and_b32_e32 v64, s68, v64
	v_lshl_or_b32 v64, v64, 4, v133
	ds_add_u32 v64, v117
	s_or_b64 exec, exec, s[16:17]
	v_cmp_lt_u32_e32 vcc, v10, v5
	s_and_saveexec_b64 s[16:17], vcc
	s_cbranch_execnz .LBB839_643
.LBB839_658:                            ;   in Loop: Header=BB839_614 Depth=2
	s_or_b64 exec, exec, s[16:17]
	v_cmp_lt_u32_e32 vcc, v12, v5
	s_and_saveexec_b64 s[16:17], vcc
	s_cbranch_execz .LBB839_644
.LBB839_659:                            ;   in Loop: Header=BB839_614 Depth=2
	v_xor_b32_e32 v65, 0x80000000, v51
	v_mov_b32_e32 v64, v50
	v_lshrrev_b64 v[64:65], s84, v[64:65]
	v_and_b32_e32 v64, s68, v64
	v_lshl_or_b32 v64, v64, 4, v133
	ds_add_u32 v64, v117
	s_or_b64 exec, exec, s[16:17]
	v_cmp_lt_u32_e32 vcc, v14, v5
	s_and_saveexec_b64 s[16:17], vcc
	s_cbranch_execnz .LBB839_645
.LBB839_660:                            ;   in Loop: Header=BB839_614 Depth=2
	s_or_b64 exec, exec, s[16:17]
	v_cmp_lt_u32_e32 vcc, v16, v5
	s_and_saveexec_b64 s[16:17], vcc
	s_cbranch_execz .LBB839_646
.LBB839_661:                            ;   in Loop: Header=BB839_614 Depth=2
	v_xor_b32_e32 v65, 0x80000000, v47
	v_mov_b32_e32 v64, v46
	v_lshrrev_b64 v[64:65], s84, v[64:65]
	v_and_b32_e32 v64, s68, v64
	v_lshl_or_b32 v64, v64, 4, v133
	ds_add_u32 v64, v117
	s_or_b64 exec, exec, s[16:17]
	v_cmp_lt_u32_e32 vcc, v18, v5
	s_and_saveexec_b64 s[16:17], vcc
	s_cbranch_execnz .LBB839_647
.LBB839_662:                            ;   in Loop: Header=BB839_614 Depth=2
	s_or_b64 exec, exec, s[16:17]
	v_cmp_lt_u32_e32 vcc, v20, v5
	s_and_saveexec_b64 s[16:17], vcc
	s_cbranch_execz .LBB839_648
.LBB839_663:                            ;   in Loop: Header=BB839_614 Depth=2
	v_xor_b32_e32 v65, 0x80000000, v43
	v_mov_b32_e32 v64, v42
	v_lshrrev_b64 v[64:65], s84, v[64:65]
	v_and_b32_e32 v64, s68, v64
	v_lshl_or_b32 v64, v64, 4, v133
	ds_add_u32 v64, v117
	s_or_b64 exec, exec, s[16:17]
	v_cmp_lt_u32_e32 vcc, v22, v5
	s_and_saveexec_b64 s[16:17], vcc
	s_cbranch_execnz .LBB839_649
.LBB839_664:                            ;   in Loop: Header=BB839_614 Depth=2
	s_or_b64 exec, exec, s[16:17]
	v_cmp_lt_u32_e32 vcc, v24, v5
	s_and_saveexec_b64 s[16:17], vcc
	s_cbranch_execz .LBB839_650
.LBB839_665:                            ;   in Loop: Header=BB839_614 Depth=2
	v_xor_b32_e32 v65, 0x80000000, v39
	v_mov_b32_e32 v64, v38
	v_lshrrev_b64 v[64:65], s84, v[64:65]
	v_and_b32_e32 v64, s68, v64
	v_lshl_or_b32 v64, v64, 4, v133
	ds_add_u32 v64, v117
	s_or_b64 exec, exec, s[16:17]
	v_cmp_lt_u32_e32 vcc, v26, v5
	s_and_saveexec_b64 s[16:17], vcc
	s_cbranch_execnz .LBB839_651
.LBB839_666:                            ;   in Loop: Header=BB839_614 Depth=2
	s_or_b64 exec, exec, s[16:17]
	v_cmp_lt_u32_e32 vcc, v28, v5
	s_and_saveexec_b64 s[16:17], vcc
	s_cbranch_execz .LBB839_652
.LBB839_667:                            ;   in Loop: Header=BB839_614 Depth=2
	v_xor_b32_e32 v65, 0x80000000, v35
	v_mov_b32_e32 v64, v34
	v_lshrrev_b64 v[64:65], s84, v[64:65]
	v_and_b32_e32 v64, s68, v64
	v_lshl_or_b32 v64, v64, 4, v133
	ds_add_u32 v64, v117
	s_or_b64 exec, exec, s[16:17]
	v_cmp_lt_u32_e32 vcc, v30, v5
	s_and_saveexec_b64 s[16:17], vcc
	s_cbranch_execnz .LBB839_653
.LBB839_668:                            ;   in Loop: Header=BB839_614 Depth=2
	s_or_b64 exec, exec, s[16:17]
	v_cmp_lt_u32_e32 vcc, v32, v5
	s_and_saveexec_b64 s[16:17], vcc
	s_cbranch_execz .LBB839_613
.LBB839_669:                            ;   in Loop: Header=BB839_614 Depth=2
	s_waitcnt vmcnt(0)
	v_xor_b32_e32 v65, 0x80000000, v63
	v_mov_b32_e32 v64, v62
	v_lshrrev_b64 v[64:65], s84, v[64:65]
	v_and_b32_e32 v5, s68, v64
	v_lshl_or_b32 v5, v5, 4, v133
	ds_add_u32 v5, v117
	s_branch .LBB839_613
.LBB839_670:                            ;   in Loop: Header=BB839_614 Depth=2
	s_or_b64 exec, exec, s[20:21]
	v_cmp_gt_u32_e32 vcc, s22, v7
	s_and_saveexec_b64 s[20:21], vcc
	s_cbranch_execz .LBB839_620
.LBB839_671:                            ;   in Loop: Header=BB839_614 Depth=2
	global_load_dwordx2 v[58:59], v118, s[18:19] offset:2048
	s_or_b64 exec, exec, s[20:21]
	v_cmp_gt_u32_e32 vcc, s22, v6
	s_and_saveexec_b64 s[20:21], vcc
	s_cbranch_execnz .LBB839_621
.LBB839_672:                            ;   in Loop: Header=BB839_614 Depth=2
	s_or_b64 exec, exec, s[20:21]
	v_cmp_gt_u32_e32 vcc, s22, v8
	s_and_saveexec_b64 s[20:21], vcc
	s_cbranch_execz .LBB839_622
.LBB839_673:                            ;   in Loop: Header=BB839_614 Depth=2
	global_load_dwordx2 v[54:55], v120, s[18:19]
	s_or_b64 exec, exec, s[20:21]
	v_cmp_gt_u32_e32 vcc, s22, v10
	s_and_saveexec_b64 s[20:21], vcc
	s_cbranch_execnz .LBB839_623
.LBB839_674:                            ;   in Loop: Header=BB839_614 Depth=2
	s_or_b64 exec, exec, s[20:21]
	v_cmp_gt_u32_e32 vcc, s22, v12
	s_and_saveexec_b64 s[20:21], vcc
	s_cbranch_execz .LBB839_624
.LBB839_675:                            ;   in Loop: Header=BB839_614 Depth=2
	global_load_dwordx2 v[50:51], v122, s[18:19]
	s_or_b64 exec, exec, s[20:21]
	v_cmp_gt_u32_e32 vcc, s22, v14
	s_and_saveexec_b64 s[20:21], vcc
	s_cbranch_execnz .LBB839_625
.LBB839_676:                            ;   in Loop: Header=BB839_614 Depth=2
	s_or_b64 exec, exec, s[20:21]
	v_cmp_gt_u32_e32 vcc, s22, v16
	s_and_saveexec_b64 s[20:21], vcc
	s_cbranch_execz .LBB839_626
.LBB839_677:                            ;   in Loop: Header=BB839_614 Depth=2
	global_load_dwordx2 v[46:47], v124, s[18:19]
	s_or_b64 exec, exec, s[20:21]
	v_cmp_gt_u32_e32 vcc, s22, v18
	s_and_saveexec_b64 s[20:21], vcc
	s_cbranch_execnz .LBB839_627
.LBB839_678:                            ;   in Loop: Header=BB839_614 Depth=2
	s_or_b64 exec, exec, s[20:21]
	v_cmp_gt_u32_e32 vcc, s22, v20
	s_and_saveexec_b64 s[20:21], vcc
	s_cbranch_execz .LBB839_628
.LBB839_679:                            ;   in Loop: Header=BB839_614 Depth=2
	global_load_dwordx2 v[42:43], v126, s[18:19]
	s_or_b64 exec, exec, s[20:21]
	v_cmp_gt_u32_e32 vcc, s22, v22
	s_and_saveexec_b64 s[20:21], vcc
	s_cbranch_execnz .LBB839_629
.LBB839_680:                            ;   in Loop: Header=BB839_614 Depth=2
	s_or_b64 exec, exec, s[20:21]
	v_cmp_gt_u32_e32 vcc, s22, v24
	s_and_saveexec_b64 s[20:21], vcc
	s_cbranch_execz .LBB839_630
.LBB839_681:                            ;   in Loop: Header=BB839_614 Depth=2
	global_load_dwordx2 v[38:39], v128, s[18:19]
	s_or_b64 exec, exec, s[20:21]
	v_cmp_gt_u32_e32 vcc, s22, v26
	s_and_saveexec_b64 s[20:21], vcc
	s_cbranch_execnz .LBB839_631
.LBB839_682:                            ;   in Loop: Header=BB839_614 Depth=2
	s_or_b64 exec, exec, s[20:21]
	v_cmp_gt_u32_e32 vcc, s22, v28
	s_and_saveexec_b64 s[20:21], vcc
	s_cbranch_execz .LBB839_632
.LBB839_683:                            ;   in Loop: Header=BB839_614 Depth=2
	global_load_dwordx2 v[34:35], v130, s[18:19]
	s_or_b64 exec, exec, s[20:21]
	v_cmp_gt_u32_e32 vcc, s22, v30
	s_and_saveexec_b64 s[20:21], vcc
	s_cbranch_execz .LBB839_634
	s_branch .LBB839_633
.LBB839_684:                            ;   in Loop: Header=BB839_20 Depth=1
	v_mov_b32_e32 v0, 0
	s_waitcnt lgkmcnt(0)
	s_barrier
	s_and_saveexec_b64 s[16:17], s[4:5]
	s_cbranch_execz .LBB839_686
; %bb.685:                              ;   in Loop: Header=BB839_20 Depth=1
	ds_read2_b64 v[34:37], v13 offset1:1
	s_waitcnt lgkmcnt(0)
	v_add_u32_e32 v0, v35, v34
	v_add3_u32 v0, v0, v36, v37
.LBB839_686:                            ;   in Loop: Header=BB839_20 Depth=1
	s_or_b64 exec, exec, s[16:17]
	s_nop 0
	v_mov_b32_dpp v1, v0 row_shr:1 row_mask:0xf bank_mask:0xf
	v_cmp_eq_u32_e64 s[16:17], 0, v135
	v_cndmask_b32_e64 v1, v1, 0, s[16:17]
	v_add_u32_e32 v0, v1, v0
	v_cmp_lt_u32_e64 s[18:19], 1, v135
	v_cmp_lt_u32_e64 s[20:21], 3, v135
	v_mov_b32_dpp v1, v0 row_shr:2 row_mask:0xf bank_mask:0xf
	v_cndmask_b32_e64 v1, 0, v1, s[18:19]
	v_add_u32_e32 v0, v0, v1
	v_cmp_lt_u32_e64 s[22:23], 7, v135
	v_cmp_lt_u32_e64 s[26:27], 31, v134
	v_mov_b32_dpp v1, v0 row_shr:4 row_mask:0xf bank_mask:0xf
	v_cndmask_b32_e64 v1, 0, v1, s[20:21]
	v_add_u32_e32 v0, v0, v1
	v_cmp_eq_u32_e64 s[24:25], 0, v137
	s_nop 0
	v_mov_b32_dpp v1, v0 row_shr:8 row_mask:0xf bank_mask:0xf
	v_cndmask_b32_e64 v1, 0, v1, s[22:23]
	v_add_u32_e32 v0, v0, v1
	s_nop 1
	v_mov_b32_dpp v1, v0 row_bcast:15 row_mask:0xf bank_mask:0xf
	v_and_b32_e32 v1, v136, v1
	v_add_u32_e32 v0, v0, v1
	s_nop 1
	v_mov_b32_dpp v1, v0 row_bcast:31 row_mask:0xf bank_mask:0xf
	v_cndmask_b32_e64 v1, 0, v1, s[26:27]
	v_add_u32_e32 v0, v0, v1
	s_and_saveexec_b64 s[28:29], s[6:7]
	v_readlane_b32 s38, v235, 2
	s_cbranch_execz .LBB839_688
; %bb.687:                              ;   in Loop: Header=BB839_20 Depth=1
	ds_write_b32 v17, v0
.LBB839_688:                            ;   in Loop: Header=BB839_20 Depth=1
	s_or_b64 exec, exec, s[28:29]
	s_waitcnt lgkmcnt(0)
	s_barrier
	s_and_saveexec_b64 s[28:29], s[8:9]
	s_cbranch_execz .LBB839_690
; %bb.689:                              ;   in Loop: Header=BB839_20 Depth=1
	ds_read_b32 v1, v19
	v_cmp_ne_u32_e32 vcc, 0, v138
	s_waitcnt lgkmcnt(0)
	v_mov_b32_dpp v5, v1 row_shr:1 row_mask:0xf bank_mask:0xf
	v_cndmask_b32_e32 v5, 0, v5, vcc
	v_add_u32_e32 v1, v5, v1
	v_cmp_lt_u32_e32 vcc, 1, v138
	s_nop 0
	v_mov_b32_dpp v5, v1 row_shr:2 row_mask:0xf bank_mask:0xf
	v_cndmask_b32_e32 v5, 0, v5, vcc
	v_add_u32_e32 v1, v1, v5
	ds_write_b32 v19, v1
.LBB839_690:                            ;   in Loop: Header=BB839_20 Depth=1
	s_or_b64 exec, exec, s[28:29]
	v_mov_b32_e32 v1, 0
	s_waitcnt lgkmcnt(0)
	s_barrier
	s_and_saveexec_b64 s[28:29], s[10:11]
	s_cbranch_execz .LBB839_692
; %bb.691:                              ;   in Loop: Header=BB839_20 Depth=1
	ds_read_b32 v1, v21
.LBB839_692:                            ;   in Loop: Header=BB839_20 Depth=1
	s_or_b64 exec, exec, s[28:29]
	v_cmp_lt_i32_e32 vcc, v139, v140
	v_cndmask_b32_e32 v5, v139, v134, vcc
	s_waitcnt lgkmcnt(0)
	v_add_u32_e32 v0, v1, v0
	v_lshlrev_b32_e32 v158, 2, v5
	ds_bpermute_b32 v0, v158, v0
	v_cmp_eq_u32_e64 s[28:29], 0, v134
	s_waitcnt lgkmcnt(0)
	s_barrier
	s_and_saveexec_b64 s[30:31], s[4:5]
	s_cbranch_execz .LBB839_694
; %bb.693:                              ;   in Loop: Header=BB839_20 Depth=1
	v_cndmask_b32_e64 v0, v0, v1, s[28:29]
	v_add_u32_e32 v0, s38, v0
	ds_write_b32 v3, v0
.LBB839_694:                            ;   in Loop: Header=BB839_20 Depth=1
	s_or_b64 exec, exec, s[30:31]
	s_load_dwordx2 s[30:31], s[90:91], 0x0
	v_readlane_b32 s34, v235, 1
	v_add_co_u32_e32 v159, vcc, v113, v141
	v_addc_co_u32_e32 v160, vcc, 0, v114, vcc
	s_waitcnt lgkmcnt(0)
	s_cmp_lt_u32 s34, s30
	v_readlane_b32 s30, v235, 0
	s_cselect_b32 s34, 12, 18
	s_cmp_lt_u32 s30, s31
	s_cselect_b32 s30, 14, 20
	s_add_u32 s30, s90, s30
	s_addc_u32 s31, s91, 0
	s_add_u32 s34, s90, s34
	global_load_ushort v5, v4, s[30:31]
	s_addc_u32 s35, s91, 0
	global_load_ushort v64, v4, s[34:35]
	v_add_co_u32_e32 v161, vcc, v115, v141
	v_addc_co_u32_e32 v162, vcc, 0, v116, vcc
	v_add_co_u32_e32 v176, vcc, 0x1e00, v161
	v_cmp_eq_u32_e64 s[30:31], 0, v138
	v_cmp_lt_u32_e64 s[34:35], 1, v138
	s_mov_b32 s69, s85
	v_addc_co_u32_e32 v179, vcc, 0, v162, vcc
	s_mov_b32 s88, s38
                                        ; implicit-def: $vgpr0_vgpr1
                                        ; implicit-def: $vgpr34_vgpr35
                                        ; implicit-def: $vgpr36_vgpr37
                                        ; implicit-def: $vgpr40_vgpr41
                                        ; implicit-def: $vgpr44_vgpr45
                                        ; implicit-def: $vgpr48_vgpr49
                                        ; implicit-def: $vgpr52_vgpr53
                                        ; implicit-def: $vgpr56_vgpr57
                                        ; implicit-def: $vgpr38_vgpr39
                                        ; implicit-def: $vgpr42_vgpr43
                                        ; implicit-def: $vgpr46_vgpr47
                                        ; implicit-def: $vgpr50_vgpr51
                                        ; implicit-def: $vgpr54_vgpr55
                                        ; implicit-def: $vgpr58_vgpr59
                                        ; implicit-def: $vgpr60_vgpr61
                                        ; implicit-def: $vgpr62_vgpr63
                                        ; implicit-def: $vgpr163
                                        ; implicit-def: $vgpr164
                                        ; implicit-def: $vgpr165
                                        ; implicit-def: $vgpr166
                                        ; implicit-def: $vgpr167
                                        ; implicit-def: $vgpr168
                                        ; implicit-def: $vgpr169
                                        ; implicit-def: $vgpr170
                                        ; implicit-def: $vgpr171
                                        ; implicit-def: $vgpr172
                                        ; implicit-def: $vgpr173
                                        ; implicit-def: $vgpr174
                                        ; implicit-def: $vgpr175
                                        ; implicit-def: $vgpr177
                                        ; implicit-def: $vgpr178
                                        ; implicit-def: $vgpr180
	s_waitcnt vmcnt(1)
	v_mad_u32_u24 v5, v23, v5, v25
	s_waitcnt vmcnt(0)
	v_mad_u64_u32 v[64:65], s[36:37], v5, v64, v[2:3]
	v_lshrrev_b32_e32 v181, 6, v64
	s_branch .LBB839_696
.LBB839_695:                            ;   in Loop: Header=BB839_696 Depth=2
	s_or_b64 exec, exec, s[36:37]
	s_addk_i32 s69, 0xf000
	s_cmp_lt_u32 s86, s94
	s_mov_b32 s88, s86
	s_cbranch_scc0 .LBB839_904
.LBB839_696:                            ;   Parent Loop BB839_20 Depth=1
                                        ; =>  This Inner Loop Header: Depth=2
	s_add_i32 s86, s88, 0x1000
	s_cmp_gt_u32 s86, s94
	s_cbranch_scc1 .LBB839_698
; %bb.697:                              ;   in Loop: Header=BB839_696 Depth=2
	s_lshl_b64 s[36:37], s[88:89], 3
	v_mov_b32_e32 v5, s37
	v_add_co_u32_e32 v80, vcc, s36, v161
	v_addc_co_u32_e32 v81, vcc, v162, v5, vcc
	v_add_co_u32_e32 v92, vcc, 0x1000, v80
	global_load_dwordx2 v[64:65], v[80:81], off
	global_load_dwordx2 v[66:67], v[80:81], off offset:512
	global_load_dwordx2 v[68:69], v[80:81], off offset:1024
	;; [unrolled: 1-line block ×7, first 2 shown]
	v_addc_co_u32_e32 v93, vcc, 0, v81, vcc
	global_load_dwordx2 v[80:81], v[92:93], off
	global_load_dwordx2 v[82:83], v[92:93], off offset:512
	global_load_dwordx2 v[84:85], v[92:93], off offset:1024
	;; [unrolled: 1-line block ×5, first 2 shown]
	s_nop 0
	global_load_dwordx2 v[92:93], v[92:93], off offset:3072
	s_movk_i32 s40, 0x1000
	s_mov_b64 s[36:37], -1
	s_cbranch_execz .LBB839_699
	s_branch .LBB839_730
.LBB839_698:                            ;   in Loop: Header=BB839_696 Depth=2
	s_mov_b64 s[36:37], 0
                                        ; implicit-def: $sgpr40
                                        ; implicit-def: $vgpr64_vgpr65
                                        ; implicit-def: $vgpr66_vgpr67
                                        ; implicit-def: $vgpr68_vgpr69
                                        ; implicit-def: $vgpr70_vgpr71
                                        ; implicit-def: $vgpr72_vgpr73
                                        ; implicit-def: $vgpr74_vgpr75
                                        ; implicit-def: $vgpr76_vgpr77
                                        ; implicit-def: $vgpr78_vgpr79
                                        ; implicit-def: $vgpr80_vgpr81
                                        ; implicit-def: $vgpr82_vgpr83
                                        ; implicit-def: $vgpr84_vgpr85
                                        ; implicit-def: $vgpr86_vgpr87
                                        ; implicit-def: $vgpr88_vgpr89
                                        ; implicit-def: $vgpr90_vgpr91
                                        ; implicit-def: $vgpr92_vgpr93
.LBB839_699:                            ;   in Loop: Header=BB839_696 Depth=2
	s_lshl_b64 s[36:37], s[88:89], 3
	v_mov_b32_e32 v5, s37
	v_add_co_u32_e32 v94, vcc, s36, v161
	v_addc_co_u32_e32 v95, vcc, v162, v5, vcc
	v_cmp_gt_u32_e32 vcc, s69, v142
	s_waitcnt vmcnt(14)
	v_pk_mov_b32 v[64:65], s[78:79], s[78:79] op_sel:[0,1]
	s_and_saveexec_b64 s[36:37], vcc
	s_cbranch_execz .LBB839_701
; %bb.700:                              ;   in Loop: Header=BB839_696 Depth=2
	global_load_dwordx2 v[64:65], v[94:95], off
.LBB839_701:                            ;   in Loop: Header=BB839_696 Depth=2
	s_or_b64 exec, exec, s[36:37]
	v_cmp_gt_u32_e32 vcc, s69, v143
	s_waitcnt vmcnt(13)
	v_pk_mov_b32 v[66:67], s[78:79], s[78:79] op_sel:[0,1]
	s_and_saveexec_b64 s[36:37], vcc
	s_cbranch_execz .LBB839_703
; %bb.702:                              ;   in Loop: Header=BB839_696 Depth=2
	global_load_dwordx2 v[66:67], v[94:95], off offset:512
.LBB839_703:                            ;   in Loop: Header=BB839_696 Depth=2
	s_or_b64 exec, exec, s[36:37]
	v_cmp_gt_u32_e32 vcc, s69, v144
	s_waitcnt vmcnt(12)
	v_pk_mov_b32 v[68:69], s[78:79], s[78:79] op_sel:[0,1]
	s_and_saveexec_b64 s[36:37], vcc
	s_cbranch_execz .LBB839_705
; %bb.704:                              ;   in Loop: Header=BB839_696 Depth=2
	global_load_dwordx2 v[68:69], v[94:95], off offset:1024
.LBB839_705:                            ;   in Loop: Header=BB839_696 Depth=2
	;; [unrolled: 9-line block ×7, first 2 shown]
	s_or_b64 exec, exec, s[36:37]
	v_cmp_gt_u32_e32 vcc, s69, v150
	s_waitcnt vmcnt(6)
	v_pk_mov_b32 v[80:81], s[78:79], s[78:79] op_sel:[0,1]
	s_and_saveexec_b64 s[36:37], vcc
	s_cbranch_execz .LBB839_717
; %bb.716:                              ;   in Loop: Header=BB839_696 Depth=2
	v_add_co_u32_e32 v80, vcc, 0x1000, v94
	v_addc_co_u32_e32 v81, vcc, 0, v95, vcc
	global_load_dwordx2 v[80:81], v[80:81], off
.LBB839_717:                            ;   in Loop: Header=BB839_696 Depth=2
	s_or_b64 exec, exec, s[36:37]
	v_cmp_gt_u32_e32 vcc, s69, v151
	s_waitcnt vmcnt(5)
	v_pk_mov_b32 v[82:83], s[78:79], s[78:79] op_sel:[0,1]
	s_and_saveexec_b64 s[36:37], vcc
	s_cbranch_execz .LBB839_719
; %bb.718:                              ;   in Loop: Header=BB839_696 Depth=2
	v_add_co_u32_e32 v82, vcc, 0x1000, v94
	v_addc_co_u32_e32 v83, vcc, 0, v95, vcc
	global_load_dwordx2 v[82:83], v[82:83], off offset:512
.LBB839_719:                            ;   in Loop: Header=BB839_696 Depth=2
	s_or_b64 exec, exec, s[36:37]
	v_cmp_gt_u32_e32 vcc, s69, v152
	s_waitcnt vmcnt(4)
	v_pk_mov_b32 v[84:85], s[78:79], s[78:79] op_sel:[0,1]
	s_and_saveexec_b64 s[36:37], vcc
	s_cbranch_execz .LBB839_721
; %bb.720:                              ;   in Loop: Header=BB839_696 Depth=2
	v_add_co_u32_e32 v84, vcc, 0x1000, v94
	v_addc_co_u32_e32 v85, vcc, 0, v95, vcc
	global_load_dwordx2 v[84:85], v[84:85], off offset:1024
.LBB839_721:                            ;   in Loop: Header=BB839_696 Depth=2
	;; [unrolled: 11-line block ×6, first 2 shown]
	s_or_b64 exec, exec, s[36:37]
	s_sub_i32 s40, s94, s88
	v_cmp_gt_u32_e64 s[36:37], s69, v157
.LBB839_730:                            ;   in Loop: Header=BB839_696 Depth=2
	v_pk_mov_b32 v[94:95], s[78:79], s[78:79] op_sel:[0,1]
	v_mov_b32_e32 v182, s69
	s_and_saveexec_b64 s[38:39], s[36:37]
	s_cbranch_execz .LBB839_732
; %bb.731:                              ;   in Loop: Header=BB839_696 Depth=2
	s_lshl_b64 s[36:37], s[88:89], 3
	v_mov_b32_e32 v5, s37
	v_add_co_u32_e32 v94, vcc, s36, v176
	v_addc_co_u32_e32 v95, vcc, v179, v5, vcc
	global_load_dwordx2 v[94:95], v[94:95], off
	v_mov_b32_e32 v182, s40
.LBB839_732:                            ;   in Loop: Header=BB839_696 Depth=2
	s_or_b64 exec, exec, s[38:39]
	s_waitcnt vmcnt(14)
	v_xor_b32_e32 v65, 0x80000000, v65
	v_lshrrev_b64 v[96:97], s84, v[64:65]
	v_add_u32_e32 v5, 0x410, v27
	v_and_b32_e32 v96, s68, v96
	ds_write2_b32 v5, v4, v4 offset1:1
	ds_write2_b32 v31, v4, v4 offset0:2 offset1:3
	ds_write_b32 v31, v4 offset:16
	v_mad_u32_u24 v5, v96, 5, v181
	v_lshl_add_u32 v183, v5, 2, v29
	v_and_b32_e32 v5, 1, v96
	v_add_co_u32_e32 v97, vcc, -1, v5
	v_addc_co_u32_e64 v98, s[36:37], 0, -1, vcc
	v_cmp_ne_u32_e32 vcc, 0, v5
	v_xor_b32_e32 v5, vcc_hi, v98
	v_and_b32_e32 v98, exec_hi, v5
	v_lshlrev_b32_e32 v5, 30, v96
	v_xor_b32_e32 v97, vcc_lo, v97
	v_cmp_gt_i64_e32 vcc, 0, v[4:5]
	v_not_b32_e32 v5, v5
	v_ashrrev_i32_e32 v5, 31, v5
	v_and_b32_e32 v97, exec_lo, v97
	v_xor_b32_e32 v99, vcc_hi, v5
	v_xor_b32_e32 v5, vcc_lo, v5
	v_and_b32_e32 v97, v97, v5
	v_lshlrev_b32_e32 v5, 29, v96
	v_cmp_gt_i64_e32 vcc, 0, v[4:5]
	v_not_b32_e32 v5, v5
	v_ashrrev_i32_e32 v5, 31, v5
	v_and_b32_e32 v98, v98, v99
	v_xor_b32_e32 v99, vcc_hi, v5
	v_xor_b32_e32 v5, vcc_lo, v5
	v_and_b32_e32 v97, v97, v5
	v_lshlrev_b32_e32 v5, 28, v96
	v_cmp_gt_i64_e32 vcc, 0, v[4:5]
	v_not_b32_e32 v5, v5
	v_ashrrev_i32_e32 v5, 31, v5
	v_and_b32_e32 v98, v98, v99
	;; [unrolled: 8-line block ×5, first 2 shown]
	v_xor_b32_e32 v99, vcc_hi, v5
	v_xor_b32_e32 v5, vcc_lo, v5
	v_and_b32_e32 v98, v98, v99
	v_and_b32_e32 v99, v97, v5
	v_lshlrev_b32_e32 v5, 24, v96
	v_cmp_gt_i64_e32 vcc, 0, v[4:5]
	v_not_b32_e32 v5, v5
	v_ashrrev_i32_e32 v5, 31, v5
	v_xor_b32_e32 v96, vcc_hi, v5
	v_xor_b32_e32 v5, vcc_lo, v5
	v_and_b32_e32 v97, v98, v96
	v_and_b32_e32 v96, v99, v5
	v_mbcnt_lo_u32_b32 v5, v96, 0
	v_mbcnt_hi_u32_b32 v184, v97, v5
	v_cmp_eq_u32_e32 vcc, 0, v184
	v_cmp_ne_u64_e64 s[36:37], 0, v[96:97]
	s_and_b64 s[38:39], s[36:37], vcc
	s_waitcnt lgkmcnt(0)
	s_barrier
	s_waitcnt lgkmcnt(0)
	; wave barrier
	s_and_saveexec_b64 s[36:37], s[38:39]
	s_cbranch_execz .LBB839_734
; %bb.733:                              ;   in Loop: Header=BB839_696 Depth=2
	v_bcnt_u32_b32 v5, v96, 0
	v_bcnt_u32_b32 v5, v97, v5
	ds_write_b32 v183, v5
.LBB839_734:                            ;   in Loop: Header=BB839_696 Depth=2
	s_or_b64 exec, exec, s[36:37]
	s_waitcnt vmcnt(13)
	v_xor_b32_e32 v67, 0x80000000, v67
	v_lshrrev_b64 v[96:97], s84, v[66:67]
	v_and_b32_e32 v96, s68, v96
	v_mul_u32_u24_e32 v5, 5, v96
	v_add_lshl_u32 v5, v5, v181, 2
	; wave barrier
	v_add_u32_e32 v186, 0x410, v5
	ds_read_b32 v185, v5 offset:1040
	v_and_b32_e32 v5, 1, v96
	v_add_co_u32_e32 v97, vcc, -1, v5
	v_addc_co_u32_e64 v98, s[36:37], 0, -1, vcc
	v_cmp_ne_u32_e32 vcc, 0, v5
	v_xor_b32_e32 v5, vcc_hi, v98
	v_and_b32_e32 v98, exec_hi, v5
	v_lshlrev_b32_e32 v5, 30, v96
	v_xor_b32_e32 v97, vcc_lo, v97
	v_cmp_gt_i64_e32 vcc, 0, v[4:5]
	v_not_b32_e32 v5, v5
	v_ashrrev_i32_e32 v5, 31, v5
	v_and_b32_e32 v97, exec_lo, v97
	v_xor_b32_e32 v99, vcc_hi, v5
	v_xor_b32_e32 v5, vcc_lo, v5
	v_and_b32_e32 v97, v97, v5
	v_lshlrev_b32_e32 v5, 29, v96
	v_cmp_gt_i64_e32 vcc, 0, v[4:5]
	v_not_b32_e32 v5, v5
	v_ashrrev_i32_e32 v5, 31, v5
	v_and_b32_e32 v98, v98, v99
	v_xor_b32_e32 v99, vcc_hi, v5
	v_xor_b32_e32 v5, vcc_lo, v5
	v_and_b32_e32 v97, v97, v5
	v_lshlrev_b32_e32 v5, 28, v96
	v_cmp_gt_i64_e32 vcc, 0, v[4:5]
	v_not_b32_e32 v5, v5
	v_ashrrev_i32_e32 v5, 31, v5
	v_and_b32_e32 v98, v98, v99
	;; [unrolled: 8-line block ×5, first 2 shown]
	v_xor_b32_e32 v99, vcc_hi, v5
	v_xor_b32_e32 v5, vcc_lo, v5
	v_and_b32_e32 v98, v98, v99
	v_and_b32_e32 v99, v97, v5
	v_lshlrev_b32_e32 v5, 24, v96
	v_cmp_gt_i64_e32 vcc, 0, v[4:5]
	v_not_b32_e32 v5, v5
	v_ashrrev_i32_e32 v5, 31, v5
	v_xor_b32_e32 v96, vcc_hi, v5
	v_xor_b32_e32 v5, vcc_lo, v5
	v_and_b32_e32 v97, v98, v96
	v_and_b32_e32 v96, v99, v5
	v_mbcnt_lo_u32_b32 v5, v96, 0
	v_mbcnt_hi_u32_b32 v187, v97, v5
	v_cmp_eq_u32_e32 vcc, 0, v187
	v_cmp_ne_u64_e64 s[36:37], 0, v[96:97]
	s_and_b64 s[38:39], s[36:37], vcc
	; wave barrier
	s_and_saveexec_b64 s[36:37], s[38:39]
	s_cbranch_execz .LBB839_736
; %bb.735:                              ;   in Loop: Header=BB839_696 Depth=2
	v_bcnt_u32_b32 v5, v96, 0
	v_bcnt_u32_b32 v5, v97, v5
	s_waitcnt lgkmcnt(0)
	v_add_u32_e32 v5, v185, v5
	ds_write_b32 v186, v5
.LBB839_736:                            ;   in Loop: Header=BB839_696 Depth=2
	s_or_b64 exec, exec, s[36:37]
	s_waitcnt vmcnt(12)
	v_xor_b32_e32 v69, 0x80000000, v69
	v_lshrrev_b64 v[96:97], s84, v[68:69]
	v_and_b32_e32 v96, s68, v96
	v_mul_u32_u24_e32 v5, 5, v96
	v_add_lshl_u32 v5, v5, v181, 2
	; wave barrier
	v_add_u32_e32 v189, 0x410, v5
	ds_read_b32 v188, v5 offset:1040
	v_and_b32_e32 v5, 1, v96
	v_add_co_u32_e32 v97, vcc, -1, v5
	v_addc_co_u32_e64 v98, s[36:37], 0, -1, vcc
	v_cmp_ne_u32_e32 vcc, 0, v5
	v_xor_b32_e32 v5, vcc_hi, v98
	v_and_b32_e32 v98, exec_hi, v5
	v_lshlrev_b32_e32 v5, 30, v96
	v_xor_b32_e32 v97, vcc_lo, v97
	v_cmp_gt_i64_e32 vcc, 0, v[4:5]
	v_not_b32_e32 v5, v5
	v_ashrrev_i32_e32 v5, 31, v5
	v_and_b32_e32 v97, exec_lo, v97
	v_xor_b32_e32 v99, vcc_hi, v5
	v_xor_b32_e32 v5, vcc_lo, v5
	v_and_b32_e32 v97, v97, v5
	v_lshlrev_b32_e32 v5, 29, v96
	v_cmp_gt_i64_e32 vcc, 0, v[4:5]
	v_not_b32_e32 v5, v5
	v_ashrrev_i32_e32 v5, 31, v5
	v_and_b32_e32 v98, v98, v99
	v_xor_b32_e32 v99, vcc_hi, v5
	v_xor_b32_e32 v5, vcc_lo, v5
	v_and_b32_e32 v97, v97, v5
	v_lshlrev_b32_e32 v5, 28, v96
	v_cmp_gt_i64_e32 vcc, 0, v[4:5]
	v_not_b32_e32 v5, v5
	v_ashrrev_i32_e32 v5, 31, v5
	v_and_b32_e32 v98, v98, v99
	v_xor_b32_e32 v99, vcc_hi, v5
	v_xor_b32_e32 v5, vcc_lo, v5
	v_and_b32_e32 v97, v97, v5
	v_lshlrev_b32_e32 v5, 27, v96
	v_cmp_gt_i64_e32 vcc, 0, v[4:5]
	v_not_b32_e32 v5, v5
	v_ashrrev_i32_e32 v5, 31, v5
	v_and_b32_e32 v98, v98, v99
	v_xor_b32_e32 v99, vcc_hi, v5
	v_xor_b32_e32 v5, vcc_lo, v5
	v_and_b32_e32 v97, v97, v5
	v_lshlrev_b32_e32 v5, 26, v96
	v_cmp_gt_i64_e32 vcc, 0, v[4:5]
	v_not_b32_e32 v5, v5
	v_ashrrev_i32_e32 v5, 31, v5
	v_and_b32_e32 v98, v98, v99
	v_xor_b32_e32 v99, vcc_hi, v5
	v_xor_b32_e32 v5, vcc_lo, v5
	v_and_b32_e32 v97, v97, v5
	v_lshlrev_b32_e32 v5, 25, v96
	v_cmp_gt_i64_e32 vcc, 0, v[4:5]
	v_not_b32_e32 v5, v5
	v_ashrrev_i32_e32 v5, 31, v5
	v_and_b32_e32 v98, v98, v99
	v_xor_b32_e32 v99, vcc_hi, v5
	v_xor_b32_e32 v5, vcc_lo, v5
	v_and_b32_e32 v98, v98, v99
	v_and_b32_e32 v99, v97, v5
	v_lshlrev_b32_e32 v5, 24, v96
	v_cmp_gt_i64_e32 vcc, 0, v[4:5]
	v_not_b32_e32 v5, v5
	v_ashrrev_i32_e32 v5, 31, v5
	v_xor_b32_e32 v96, vcc_hi, v5
	v_xor_b32_e32 v5, vcc_lo, v5
	v_and_b32_e32 v97, v98, v96
	v_and_b32_e32 v96, v99, v5
	v_mbcnt_lo_u32_b32 v5, v96, 0
	v_mbcnt_hi_u32_b32 v190, v97, v5
	v_cmp_eq_u32_e32 vcc, 0, v190
	v_cmp_ne_u64_e64 s[36:37], 0, v[96:97]
	s_and_b64 s[38:39], s[36:37], vcc
	; wave barrier
	s_and_saveexec_b64 s[36:37], s[38:39]
	s_cbranch_execz .LBB839_738
; %bb.737:                              ;   in Loop: Header=BB839_696 Depth=2
	v_bcnt_u32_b32 v5, v96, 0
	v_bcnt_u32_b32 v5, v97, v5
	s_waitcnt lgkmcnt(0)
	v_add_u32_e32 v5, v188, v5
	ds_write_b32 v189, v5
.LBB839_738:                            ;   in Loop: Header=BB839_696 Depth=2
	s_or_b64 exec, exec, s[36:37]
	s_waitcnt vmcnt(11)
	v_xor_b32_e32 v71, 0x80000000, v71
	v_lshrrev_b64 v[96:97], s84, v[70:71]
	v_and_b32_e32 v96, s68, v96
	v_mul_u32_u24_e32 v5, 5, v96
	v_add_lshl_u32 v5, v5, v181, 2
	; wave barrier
	v_add_u32_e32 v192, 0x410, v5
	ds_read_b32 v191, v5 offset:1040
	v_and_b32_e32 v5, 1, v96
	v_add_co_u32_e32 v97, vcc, -1, v5
	v_addc_co_u32_e64 v98, s[36:37], 0, -1, vcc
	v_cmp_ne_u32_e32 vcc, 0, v5
	v_xor_b32_e32 v5, vcc_hi, v98
	v_and_b32_e32 v98, exec_hi, v5
	v_lshlrev_b32_e32 v5, 30, v96
	v_xor_b32_e32 v97, vcc_lo, v97
	v_cmp_gt_i64_e32 vcc, 0, v[4:5]
	v_not_b32_e32 v5, v5
	v_ashrrev_i32_e32 v5, 31, v5
	v_and_b32_e32 v97, exec_lo, v97
	v_xor_b32_e32 v99, vcc_hi, v5
	v_xor_b32_e32 v5, vcc_lo, v5
	v_and_b32_e32 v97, v97, v5
	v_lshlrev_b32_e32 v5, 29, v96
	v_cmp_gt_i64_e32 vcc, 0, v[4:5]
	v_not_b32_e32 v5, v5
	v_ashrrev_i32_e32 v5, 31, v5
	v_and_b32_e32 v98, v98, v99
	v_xor_b32_e32 v99, vcc_hi, v5
	v_xor_b32_e32 v5, vcc_lo, v5
	v_and_b32_e32 v97, v97, v5
	v_lshlrev_b32_e32 v5, 28, v96
	v_cmp_gt_i64_e32 vcc, 0, v[4:5]
	v_not_b32_e32 v5, v5
	v_ashrrev_i32_e32 v5, 31, v5
	v_and_b32_e32 v98, v98, v99
	;; [unrolled: 8-line block ×5, first 2 shown]
	v_xor_b32_e32 v99, vcc_hi, v5
	v_xor_b32_e32 v5, vcc_lo, v5
	v_and_b32_e32 v98, v98, v99
	v_and_b32_e32 v99, v97, v5
	v_lshlrev_b32_e32 v5, 24, v96
	v_cmp_gt_i64_e32 vcc, 0, v[4:5]
	v_not_b32_e32 v5, v5
	v_ashrrev_i32_e32 v5, 31, v5
	v_xor_b32_e32 v96, vcc_hi, v5
	v_xor_b32_e32 v5, vcc_lo, v5
	v_and_b32_e32 v97, v98, v96
	v_and_b32_e32 v96, v99, v5
	v_mbcnt_lo_u32_b32 v5, v96, 0
	v_mbcnt_hi_u32_b32 v193, v97, v5
	v_cmp_eq_u32_e32 vcc, 0, v193
	v_cmp_ne_u64_e64 s[36:37], 0, v[96:97]
	s_and_b64 s[38:39], s[36:37], vcc
	; wave barrier
	s_and_saveexec_b64 s[36:37], s[38:39]
	s_cbranch_execz .LBB839_740
; %bb.739:                              ;   in Loop: Header=BB839_696 Depth=2
	v_bcnt_u32_b32 v5, v96, 0
	v_bcnt_u32_b32 v5, v97, v5
	s_waitcnt lgkmcnt(0)
	v_add_u32_e32 v5, v191, v5
	ds_write_b32 v192, v5
.LBB839_740:                            ;   in Loop: Header=BB839_696 Depth=2
	s_or_b64 exec, exec, s[36:37]
	s_waitcnt vmcnt(10)
	v_xor_b32_e32 v73, 0x80000000, v73
	v_lshrrev_b64 v[96:97], s84, v[72:73]
	v_and_b32_e32 v96, s68, v96
	v_mul_u32_u24_e32 v5, 5, v96
	v_add_lshl_u32 v5, v5, v181, 2
	; wave barrier
	v_add_u32_e32 v195, 0x410, v5
	ds_read_b32 v194, v5 offset:1040
	v_and_b32_e32 v5, 1, v96
	v_add_co_u32_e32 v97, vcc, -1, v5
	v_addc_co_u32_e64 v98, s[36:37], 0, -1, vcc
	v_cmp_ne_u32_e32 vcc, 0, v5
	v_xor_b32_e32 v5, vcc_hi, v98
	v_and_b32_e32 v98, exec_hi, v5
	v_lshlrev_b32_e32 v5, 30, v96
	v_xor_b32_e32 v97, vcc_lo, v97
	v_cmp_gt_i64_e32 vcc, 0, v[4:5]
	v_not_b32_e32 v5, v5
	v_ashrrev_i32_e32 v5, 31, v5
	v_and_b32_e32 v97, exec_lo, v97
	v_xor_b32_e32 v99, vcc_hi, v5
	v_xor_b32_e32 v5, vcc_lo, v5
	v_and_b32_e32 v97, v97, v5
	v_lshlrev_b32_e32 v5, 29, v96
	v_cmp_gt_i64_e32 vcc, 0, v[4:5]
	v_not_b32_e32 v5, v5
	v_ashrrev_i32_e32 v5, 31, v5
	v_and_b32_e32 v98, v98, v99
	v_xor_b32_e32 v99, vcc_hi, v5
	v_xor_b32_e32 v5, vcc_lo, v5
	v_and_b32_e32 v97, v97, v5
	v_lshlrev_b32_e32 v5, 28, v96
	v_cmp_gt_i64_e32 vcc, 0, v[4:5]
	v_not_b32_e32 v5, v5
	v_ashrrev_i32_e32 v5, 31, v5
	v_and_b32_e32 v98, v98, v99
	;; [unrolled: 8-line block ×5, first 2 shown]
	v_xor_b32_e32 v99, vcc_hi, v5
	v_xor_b32_e32 v5, vcc_lo, v5
	v_and_b32_e32 v98, v98, v99
	v_and_b32_e32 v99, v97, v5
	v_lshlrev_b32_e32 v5, 24, v96
	v_cmp_gt_i64_e32 vcc, 0, v[4:5]
	v_not_b32_e32 v5, v5
	v_ashrrev_i32_e32 v5, 31, v5
	v_xor_b32_e32 v96, vcc_hi, v5
	v_xor_b32_e32 v5, vcc_lo, v5
	v_and_b32_e32 v97, v98, v96
	v_and_b32_e32 v96, v99, v5
	v_mbcnt_lo_u32_b32 v5, v96, 0
	v_mbcnt_hi_u32_b32 v196, v97, v5
	v_cmp_eq_u32_e32 vcc, 0, v196
	v_cmp_ne_u64_e64 s[36:37], 0, v[96:97]
	s_and_b64 s[38:39], s[36:37], vcc
	; wave barrier
	s_and_saveexec_b64 s[36:37], s[38:39]
	s_cbranch_execz .LBB839_742
; %bb.741:                              ;   in Loop: Header=BB839_696 Depth=2
	v_bcnt_u32_b32 v5, v96, 0
	v_bcnt_u32_b32 v5, v97, v5
	s_waitcnt lgkmcnt(0)
	v_add_u32_e32 v5, v194, v5
	ds_write_b32 v195, v5
.LBB839_742:                            ;   in Loop: Header=BB839_696 Depth=2
	s_or_b64 exec, exec, s[36:37]
	s_waitcnt vmcnt(9)
	v_xor_b32_e32 v75, 0x80000000, v75
	v_lshrrev_b64 v[96:97], s84, v[74:75]
	v_and_b32_e32 v96, s68, v96
	v_mul_u32_u24_e32 v5, 5, v96
	v_add_lshl_u32 v5, v5, v181, 2
	; wave barrier
	v_add_u32_e32 v198, 0x410, v5
	ds_read_b32 v197, v5 offset:1040
	v_and_b32_e32 v5, 1, v96
	v_add_co_u32_e32 v97, vcc, -1, v5
	v_addc_co_u32_e64 v98, s[36:37], 0, -1, vcc
	v_cmp_ne_u32_e32 vcc, 0, v5
	v_xor_b32_e32 v5, vcc_hi, v98
	v_and_b32_e32 v98, exec_hi, v5
	v_lshlrev_b32_e32 v5, 30, v96
	v_xor_b32_e32 v97, vcc_lo, v97
	v_cmp_gt_i64_e32 vcc, 0, v[4:5]
	v_not_b32_e32 v5, v5
	v_ashrrev_i32_e32 v5, 31, v5
	v_and_b32_e32 v97, exec_lo, v97
	v_xor_b32_e32 v99, vcc_hi, v5
	v_xor_b32_e32 v5, vcc_lo, v5
	v_and_b32_e32 v97, v97, v5
	v_lshlrev_b32_e32 v5, 29, v96
	v_cmp_gt_i64_e32 vcc, 0, v[4:5]
	v_not_b32_e32 v5, v5
	v_ashrrev_i32_e32 v5, 31, v5
	v_and_b32_e32 v98, v98, v99
	v_xor_b32_e32 v99, vcc_hi, v5
	v_xor_b32_e32 v5, vcc_lo, v5
	v_and_b32_e32 v97, v97, v5
	v_lshlrev_b32_e32 v5, 28, v96
	v_cmp_gt_i64_e32 vcc, 0, v[4:5]
	v_not_b32_e32 v5, v5
	v_ashrrev_i32_e32 v5, 31, v5
	v_and_b32_e32 v98, v98, v99
	;; [unrolled: 8-line block ×5, first 2 shown]
	v_xor_b32_e32 v99, vcc_hi, v5
	v_xor_b32_e32 v5, vcc_lo, v5
	v_and_b32_e32 v98, v98, v99
	v_and_b32_e32 v99, v97, v5
	v_lshlrev_b32_e32 v5, 24, v96
	v_cmp_gt_i64_e32 vcc, 0, v[4:5]
	v_not_b32_e32 v5, v5
	v_ashrrev_i32_e32 v5, 31, v5
	v_xor_b32_e32 v96, vcc_hi, v5
	v_xor_b32_e32 v5, vcc_lo, v5
	v_and_b32_e32 v97, v98, v96
	v_and_b32_e32 v96, v99, v5
	v_mbcnt_lo_u32_b32 v5, v96, 0
	v_mbcnt_hi_u32_b32 v199, v97, v5
	v_cmp_eq_u32_e32 vcc, 0, v199
	v_cmp_ne_u64_e64 s[36:37], 0, v[96:97]
	s_and_b64 s[38:39], s[36:37], vcc
	; wave barrier
	s_and_saveexec_b64 s[36:37], s[38:39]
	s_cbranch_execz .LBB839_744
; %bb.743:                              ;   in Loop: Header=BB839_696 Depth=2
	v_bcnt_u32_b32 v5, v96, 0
	v_bcnt_u32_b32 v5, v97, v5
	s_waitcnt lgkmcnt(0)
	v_add_u32_e32 v5, v197, v5
	ds_write_b32 v198, v5
.LBB839_744:                            ;   in Loop: Header=BB839_696 Depth=2
	s_or_b64 exec, exec, s[36:37]
	s_waitcnt vmcnt(8)
	v_xor_b32_e32 v77, 0x80000000, v77
	v_lshrrev_b64 v[96:97], s84, v[76:77]
	v_and_b32_e32 v96, s68, v96
	v_mul_u32_u24_e32 v5, 5, v96
	v_add_lshl_u32 v5, v5, v181, 2
	; wave barrier
	v_add_u32_e32 v201, 0x410, v5
	ds_read_b32 v200, v5 offset:1040
	v_and_b32_e32 v5, 1, v96
	v_add_co_u32_e32 v97, vcc, -1, v5
	v_addc_co_u32_e64 v98, s[36:37], 0, -1, vcc
	v_cmp_ne_u32_e32 vcc, 0, v5
	v_xor_b32_e32 v5, vcc_hi, v98
	v_and_b32_e32 v98, exec_hi, v5
	v_lshlrev_b32_e32 v5, 30, v96
	v_xor_b32_e32 v97, vcc_lo, v97
	v_cmp_gt_i64_e32 vcc, 0, v[4:5]
	v_not_b32_e32 v5, v5
	v_ashrrev_i32_e32 v5, 31, v5
	v_and_b32_e32 v97, exec_lo, v97
	v_xor_b32_e32 v99, vcc_hi, v5
	v_xor_b32_e32 v5, vcc_lo, v5
	v_and_b32_e32 v97, v97, v5
	v_lshlrev_b32_e32 v5, 29, v96
	v_cmp_gt_i64_e32 vcc, 0, v[4:5]
	v_not_b32_e32 v5, v5
	v_ashrrev_i32_e32 v5, 31, v5
	v_and_b32_e32 v98, v98, v99
	v_xor_b32_e32 v99, vcc_hi, v5
	v_xor_b32_e32 v5, vcc_lo, v5
	v_and_b32_e32 v97, v97, v5
	v_lshlrev_b32_e32 v5, 28, v96
	v_cmp_gt_i64_e32 vcc, 0, v[4:5]
	v_not_b32_e32 v5, v5
	v_ashrrev_i32_e32 v5, 31, v5
	v_and_b32_e32 v98, v98, v99
	;; [unrolled: 8-line block ×5, first 2 shown]
	v_xor_b32_e32 v99, vcc_hi, v5
	v_xor_b32_e32 v5, vcc_lo, v5
	v_and_b32_e32 v98, v98, v99
	v_and_b32_e32 v99, v97, v5
	v_lshlrev_b32_e32 v5, 24, v96
	v_cmp_gt_i64_e32 vcc, 0, v[4:5]
	v_not_b32_e32 v5, v5
	v_ashrrev_i32_e32 v5, 31, v5
	v_xor_b32_e32 v96, vcc_hi, v5
	v_xor_b32_e32 v5, vcc_lo, v5
	v_and_b32_e32 v97, v98, v96
	v_and_b32_e32 v96, v99, v5
	v_mbcnt_lo_u32_b32 v5, v96, 0
	v_mbcnt_hi_u32_b32 v202, v97, v5
	v_cmp_eq_u32_e32 vcc, 0, v202
	v_cmp_ne_u64_e64 s[36:37], 0, v[96:97]
	s_and_b64 s[38:39], s[36:37], vcc
	; wave barrier
	s_and_saveexec_b64 s[36:37], s[38:39]
	s_cbranch_execz .LBB839_746
; %bb.745:                              ;   in Loop: Header=BB839_696 Depth=2
	v_bcnt_u32_b32 v5, v96, 0
	v_bcnt_u32_b32 v5, v97, v5
	s_waitcnt lgkmcnt(0)
	v_add_u32_e32 v5, v200, v5
	ds_write_b32 v201, v5
.LBB839_746:                            ;   in Loop: Header=BB839_696 Depth=2
	s_or_b64 exec, exec, s[36:37]
	s_waitcnt vmcnt(7)
	v_xor_b32_e32 v79, 0x80000000, v79
	v_lshrrev_b64 v[96:97], s84, v[78:79]
	v_and_b32_e32 v96, s68, v96
	v_mul_u32_u24_e32 v5, 5, v96
	v_add_lshl_u32 v5, v5, v181, 2
	; wave barrier
	v_add_u32_e32 v204, 0x410, v5
	ds_read_b32 v203, v5 offset:1040
	v_and_b32_e32 v5, 1, v96
	v_add_co_u32_e32 v97, vcc, -1, v5
	v_addc_co_u32_e64 v98, s[36:37], 0, -1, vcc
	v_cmp_ne_u32_e32 vcc, 0, v5
	v_xor_b32_e32 v5, vcc_hi, v98
	v_and_b32_e32 v98, exec_hi, v5
	v_lshlrev_b32_e32 v5, 30, v96
	v_xor_b32_e32 v97, vcc_lo, v97
	v_cmp_gt_i64_e32 vcc, 0, v[4:5]
	v_not_b32_e32 v5, v5
	v_ashrrev_i32_e32 v5, 31, v5
	v_and_b32_e32 v97, exec_lo, v97
	v_xor_b32_e32 v99, vcc_hi, v5
	v_xor_b32_e32 v5, vcc_lo, v5
	v_and_b32_e32 v97, v97, v5
	v_lshlrev_b32_e32 v5, 29, v96
	v_cmp_gt_i64_e32 vcc, 0, v[4:5]
	v_not_b32_e32 v5, v5
	v_ashrrev_i32_e32 v5, 31, v5
	v_and_b32_e32 v98, v98, v99
	v_xor_b32_e32 v99, vcc_hi, v5
	v_xor_b32_e32 v5, vcc_lo, v5
	v_and_b32_e32 v97, v97, v5
	v_lshlrev_b32_e32 v5, 28, v96
	v_cmp_gt_i64_e32 vcc, 0, v[4:5]
	v_not_b32_e32 v5, v5
	v_ashrrev_i32_e32 v5, 31, v5
	v_and_b32_e32 v98, v98, v99
	;; [unrolled: 8-line block ×5, first 2 shown]
	v_xor_b32_e32 v99, vcc_hi, v5
	v_xor_b32_e32 v5, vcc_lo, v5
	v_and_b32_e32 v98, v98, v99
	v_and_b32_e32 v99, v97, v5
	v_lshlrev_b32_e32 v5, 24, v96
	v_cmp_gt_i64_e32 vcc, 0, v[4:5]
	v_not_b32_e32 v5, v5
	v_ashrrev_i32_e32 v5, 31, v5
	v_xor_b32_e32 v96, vcc_hi, v5
	v_xor_b32_e32 v5, vcc_lo, v5
	v_and_b32_e32 v97, v98, v96
	v_and_b32_e32 v96, v99, v5
	v_mbcnt_lo_u32_b32 v5, v96, 0
	v_mbcnt_hi_u32_b32 v205, v97, v5
	v_cmp_eq_u32_e32 vcc, 0, v205
	v_cmp_ne_u64_e64 s[36:37], 0, v[96:97]
	s_and_b64 s[38:39], s[36:37], vcc
	; wave barrier
	s_and_saveexec_b64 s[36:37], s[38:39]
	s_cbranch_execz .LBB839_748
; %bb.747:                              ;   in Loop: Header=BB839_696 Depth=2
	v_bcnt_u32_b32 v5, v96, 0
	v_bcnt_u32_b32 v5, v97, v5
	s_waitcnt lgkmcnt(0)
	v_add_u32_e32 v5, v203, v5
	ds_write_b32 v204, v5
.LBB839_748:                            ;   in Loop: Header=BB839_696 Depth=2
	s_or_b64 exec, exec, s[36:37]
	s_waitcnt vmcnt(6)
	v_xor_b32_e32 v81, 0x80000000, v81
	v_lshrrev_b64 v[96:97], s84, v[80:81]
	v_and_b32_e32 v96, s68, v96
	v_mul_u32_u24_e32 v5, 5, v96
	v_add_lshl_u32 v5, v5, v181, 2
	; wave barrier
	v_add_u32_e32 v207, 0x410, v5
	ds_read_b32 v206, v5 offset:1040
	v_and_b32_e32 v5, 1, v96
	v_add_co_u32_e32 v97, vcc, -1, v5
	v_addc_co_u32_e64 v98, s[36:37], 0, -1, vcc
	v_cmp_ne_u32_e32 vcc, 0, v5
	v_xor_b32_e32 v5, vcc_hi, v98
	v_and_b32_e32 v98, exec_hi, v5
	v_lshlrev_b32_e32 v5, 30, v96
	v_xor_b32_e32 v97, vcc_lo, v97
	v_cmp_gt_i64_e32 vcc, 0, v[4:5]
	v_not_b32_e32 v5, v5
	v_ashrrev_i32_e32 v5, 31, v5
	v_and_b32_e32 v97, exec_lo, v97
	v_xor_b32_e32 v99, vcc_hi, v5
	v_xor_b32_e32 v5, vcc_lo, v5
	v_and_b32_e32 v97, v97, v5
	v_lshlrev_b32_e32 v5, 29, v96
	v_cmp_gt_i64_e32 vcc, 0, v[4:5]
	v_not_b32_e32 v5, v5
	v_ashrrev_i32_e32 v5, 31, v5
	v_and_b32_e32 v98, v98, v99
	v_xor_b32_e32 v99, vcc_hi, v5
	v_xor_b32_e32 v5, vcc_lo, v5
	v_and_b32_e32 v97, v97, v5
	v_lshlrev_b32_e32 v5, 28, v96
	v_cmp_gt_i64_e32 vcc, 0, v[4:5]
	v_not_b32_e32 v5, v5
	v_ashrrev_i32_e32 v5, 31, v5
	v_and_b32_e32 v98, v98, v99
	;; [unrolled: 8-line block ×5, first 2 shown]
	v_xor_b32_e32 v99, vcc_hi, v5
	v_xor_b32_e32 v5, vcc_lo, v5
	v_and_b32_e32 v98, v98, v99
	v_and_b32_e32 v99, v97, v5
	v_lshlrev_b32_e32 v5, 24, v96
	v_cmp_gt_i64_e32 vcc, 0, v[4:5]
	v_not_b32_e32 v5, v5
	v_ashrrev_i32_e32 v5, 31, v5
	v_xor_b32_e32 v96, vcc_hi, v5
	v_xor_b32_e32 v5, vcc_lo, v5
	v_and_b32_e32 v97, v98, v96
	v_and_b32_e32 v96, v99, v5
	v_mbcnt_lo_u32_b32 v5, v96, 0
	v_mbcnt_hi_u32_b32 v208, v97, v5
	v_cmp_eq_u32_e32 vcc, 0, v208
	v_cmp_ne_u64_e64 s[36:37], 0, v[96:97]
	s_and_b64 s[38:39], s[36:37], vcc
	; wave barrier
	s_and_saveexec_b64 s[36:37], s[38:39]
	s_cbranch_execz .LBB839_750
; %bb.749:                              ;   in Loop: Header=BB839_696 Depth=2
	v_bcnt_u32_b32 v5, v96, 0
	v_bcnt_u32_b32 v5, v97, v5
	s_waitcnt lgkmcnt(0)
	v_add_u32_e32 v5, v206, v5
	ds_write_b32 v207, v5
.LBB839_750:                            ;   in Loop: Header=BB839_696 Depth=2
	s_or_b64 exec, exec, s[36:37]
	s_waitcnt vmcnt(5)
	v_xor_b32_e32 v83, 0x80000000, v83
	v_lshrrev_b64 v[96:97], s84, v[82:83]
	v_and_b32_e32 v96, s68, v96
	v_mul_u32_u24_e32 v5, 5, v96
	v_add_lshl_u32 v5, v5, v181, 2
	; wave barrier
	v_add_u32_e32 v210, 0x410, v5
	ds_read_b32 v209, v5 offset:1040
	v_and_b32_e32 v5, 1, v96
	v_add_co_u32_e32 v97, vcc, -1, v5
	v_addc_co_u32_e64 v98, s[36:37], 0, -1, vcc
	v_cmp_ne_u32_e32 vcc, 0, v5
	v_xor_b32_e32 v5, vcc_hi, v98
	v_and_b32_e32 v98, exec_hi, v5
	v_lshlrev_b32_e32 v5, 30, v96
	v_xor_b32_e32 v97, vcc_lo, v97
	v_cmp_gt_i64_e32 vcc, 0, v[4:5]
	v_not_b32_e32 v5, v5
	v_ashrrev_i32_e32 v5, 31, v5
	v_and_b32_e32 v97, exec_lo, v97
	v_xor_b32_e32 v99, vcc_hi, v5
	v_xor_b32_e32 v5, vcc_lo, v5
	v_and_b32_e32 v97, v97, v5
	v_lshlrev_b32_e32 v5, 29, v96
	v_cmp_gt_i64_e32 vcc, 0, v[4:5]
	v_not_b32_e32 v5, v5
	v_ashrrev_i32_e32 v5, 31, v5
	v_and_b32_e32 v98, v98, v99
	v_xor_b32_e32 v99, vcc_hi, v5
	v_xor_b32_e32 v5, vcc_lo, v5
	v_and_b32_e32 v97, v97, v5
	v_lshlrev_b32_e32 v5, 28, v96
	v_cmp_gt_i64_e32 vcc, 0, v[4:5]
	v_not_b32_e32 v5, v5
	v_ashrrev_i32_e32 v5, 31, v5
	v_and_b32_e32 v98, v98, v99
	;; [unrolled: 8-line block ×5, first 2 shown]
	v_xor_b32_e32 v99, vcc_hi, v5
	v_xor_b32_e32 v5, vcc_lo, v5
	v_and_b32_e32 v98, v98, v99
	v_and_b32_e32 v99, v97, v5
	v_lshlrev_b32_e32 v5, 24, v96
	v_cmp_gt_i64_e32 vcc, 0, v[4:5]
	v_not_b32_e32 v5, v5
	v_ashrrev_i32_e32 v5, 31, v5
	v_xor_b32_e32 v96, vcc_hi, v5
	v_xor_b32_e32 v5, vcc_lo, v5
	v_and_b32_e32 v97, v98, v96
	v_and_b32_e32 v96, v99, v5
	v_mbcnt_lo_u32_b32 v5, v96, 0
	v_mbcnt_hi_u32_b32 v211, v97, v5
	v_cmp_eq_u32_e32 vcc, 0, v211
	v_cmp_ne_u64_e64 s[36:37], 0, v[96:97]
	s_and_b64 s[38:39], s[36:37], vcc
	; wave barrier
	s_and_saveexec_b64 s[36:37], s[38:39]
	s_cbranch_execz .LBB839_752
; %bb.751:                              ;   in Loop: Header=BB839_696 Depth=2
	v_bcnt_u32_b32 v5, v96, 0
	v_bcnt_u32_b32 v5, v97, v5
	s_waitcnt lgkmcnt(0)
	v_add_u32_e32 v5, v209, v5
	ds_write_b32 v210, v5
.LBB839_752:                            ;   in Loop: Header=BB839_696 Depth=2
	s_or_b64 exec, exec, s[36:37]
	s_waitcnt vmcnt(4)
	v_xor_b32_e32 v85, 0x80000000, v85
	v_lshrrev_b64 v[96:97], s84, v[84:85]
	v_and_b32_e32 v96, s68, v96
	v_mul_u32_u24_e32 v5, 5, v96
	v_add_lshl_u32 v5, v5, v181, 2
	; wave barrier
	v_add_u32_e32 v213, 0x410, v5
	ds_read_b32 v212, v5 offset:1040
	v_and_b32_e32 v5, 1, v96
	v_add_co_u32_e32 v97, vcc, -1, v5
	v_addc_co_u32_e64 v98, s[36:37], 0, -1, vcc
	v_cmp_ne_u32_e32 vcc, 0, v5
	v_xor_b32_e32 v5, vcc_hi, v98
	v_and_b32_e32 v98, exec_hi, v5
	v_lshlrev_b32_e32 v5, 30, v96
	v_xor_b32_e32 v97, vcc_lo, v97
	v_cmp_gt_i64_e32 vcc, 0, v[4:5]
	v_not_b32_e32 v5, v5
	v_ashrrev_i32_e32 v5, 31, v5
	v_and_b32_e32 v97, exec_lo, v97
	v_xor_b32_e32 v99, vcc_hi, v5
	v_xor_b32_e32 v5, vcc_lo, v5
	v_and_b32_e32 v97, v97, v5
	v_lshlrev_b32_e32 v5, 29, v96
	v_cmp_gt_i64_e32 vcc, 0, v[4:5]
	v_not_b32_e32 v5, v5
	v_ashrrev_i32_e32 v5, 31, v5
	v_and_b32_e32 v98, v98, v99
	v_xor_b32_e32 v99, vcc_hi, v5
	v_xor_b32_e32 v5, vcc_lo, v5
	v_and_b32_e32 v97, v97, v5
	v_lshlrev_b32_e32 v5, 28, v96
	v_cmp_gt_i64_e32 vcc, 0, v[4:5]
	v_not_b32_e32 v5, v5
	v_ashrrev_i32_e32 v5, 31, v5
	v_and_b32_e32 v98, v98, v99
	v_xor_b32_e32 v99, vcc_hi, v5
	v_xor_b32_e32 v5, vcc_lo, v5
	v_and_b32_e32 v97, v97, v5
	v_lshlrev_b32_e32 v5, 27, v96
	v_cmp_gt_i64_e32 vcc, 0, v[4:5]
	v_not_b32_e32 v5, v5
	v_ashrrev_i32_e32 v5, 31, v5
	v_and_b32_e32 v98, v98, v99
	v_xor_b32_e32 v99, vcc_hi, v5
	v_xor_b32_e32 v5, vcc_lo, v5
	v_and_b32_e32 v97, v97, v5
	v_lshlrev_b32_e32 v5, 26, v96
	v_cmp_gt_i64_e32 vcc, 0, v[4:5]
	v_not_b32_e32 v5, v5
	v_ashrrev_i32_e32 v5, 31, v5
	v_and_b32_e32 v98, v98, v99
	v_xor_b32_e32 v99, vcc_hi, v5
	v_xor_b32_e32 v5, vcc_lo, v5
	v_and_b32_e32 v97, v97, v5
	v_lshlrev_b32_e32 v5, 25, v96
	v_cmp_gt_i64_e32 vcc, 0, v[4:5]
	v_not_b32_e32 v5, v5
	v_ashrrev_i32_e32 v5, 31, v5
	v_and_b32_e32 v98, v98, v99
	v_xor_b32_e32 v99, vcc_hi, v5
	v_xor_b32_e32 v5, vcc_lo, v5
	v_and_b32_e32 v98, v98, v99
	v_and_b32_e32 v99, v97, v5
	v_lshlrev_b32_e32 v5, 24, v96
	v_cmp_gt_i64_e32 vcc, 0, v[4:5]
	v_not_b32_e32 v5, v5
	v_ashrrev_i32_e32 v5, 31, v5
	v_xor_b32_e32 v96, vcc_hi, v5
	v_xor_b32_e32 v5, vcc_lo, v5
	v_and_b32_e32 v97, v98, v96
	v_and_b32_e32 v96, v99, v5
	v_mbcnt_lo_u32_b32 v5, v96, 0
	v_mbcnt_hi_u32_b32 v214, v97, v5
	v_cmp_eq_u32_e32 vcc, 0, v214
	v_cmp_ne_u64_e64 s[36:37], 0, v[96:97]
	s_and_b64 s[38:39], s[36:37], vcc
	; wave barrier
	s_and_saveexec_b64 s[36:37], s[38:39]
	s_cbranch_execz .LBB839_754
; %bb.753:                              ;   in Loop: Header=BB839_696 Depth=2
	v_bcnt_u32_b32 v5, v96, 0
	v_bcnt_u32_b32 v5, v97, v5
	s_waitcnt lgkmcnt(0)
	v_add_u32_e32 v5, v212, v5
	ds_write_b32 v213, v5
.LBB839_754:                            ;   in Loop: Header=BB839_696 Depth=2
	s_or_b64 exec, exec, s[36:37]
	s_waitcnt vmcnt(3)
	v_xor_b32_e32 v87, 0x80000000, v87
	v_lshrrev_b64 v[96:97], s84, v[86:87]
	v_and_b32_e32 v96, s68, v96
	v_mul_u32_u24_e32 v5, 5, v96
	v_add_lshl_u32 v5, v5, v181, 2
	; wave barrier
	v_add_u32_e32 v216, 0x410, v5
	ds_read_b32 v215, v5 offset:1040
	v_and_b32_e32 v5, 1, v96
	v_add_co_u32_e32 v97, vcc, -1, v5
	v_addc_co_u32_e64 v98, s[36:37], 0, -1, vcc
	v_cmp_ne_u32_e32 vcc, 0, v5
	v_xor_b32_e32 v5, vcc_hi, v98
	v_and_b32_e32 v98, exec_hi, v5
	v_lshlrev_b32_e32 v5, 30, v96
	v_xor_b32_e32 v97, vcc_lo, v97
	v_cmp_gt_i64_e32 vcc, 0, v[4:5]
	v_not_b32_e32 v5, v5
	v_ashrrev_i32_e32 v5, 31, v5
	v_and_b32_e32 v97, exec_lo, v97
	v_xor_b32_e32 v99, vcc_hi, v5
	v_xor_b32_e32 v5, vcc_lo, v5
	v_and_b32_e32 v97, v97, v5
	v_lshlrev_b32_e32 v5, 29, v96
	v_cmp_gt_i64_e32 vcc, 0, v[4:5]
	v_not_b32_e32 v5, v5
	v_ashrrev_i32_e32 v5, 31, v5
	v_and_b32_e32 v98, v98, v99
	v_xor_b32_e32 v99, vcc_hi, v5
	v_xor_b32_e32 v5, vcc_lo, v5
	v_and_b32_e32 v97, v97, v5
	v_lshlrev_b32_e32 v5, 28, v96
	v_cmp_gt_i64_e32 vcc, 0, v[4:5]
	v_not_b32_e32 v5, v5
	v_ashrrev_i32_e32 v5, 31, v5
	v_and_b32_e32 v98, v98, v99
	;; [unrolled: 8-line block ×5, first 2 shown]
	v_xor_b32_e32 v99, vcc_hi, v5
	v_xor_b32_e32 v5, vcc_lo, v5
	v_and_b32_e32 v98, v98, v99
	v_and_b32_e32 v99, v97, v5
	v_lshlrev_b32_e32 v5, 24, v96
	v_cmp_gt_i64_e32 vcc, 0, v[4:5]
	v_not_b32_e32 v5, v5
	v_ashrrev_i32_e32 v5, 31, v5
	v_xor_b32_e32 v96, vcc_hi, v5
	v_xor_b32_e32 v5, vcc_lo, v5
	v_and_b32_e32 v97, v98, v96
	v_and_b32_e32 v96, v99, v5
	v_mbcnt_lo_u32_b32 v5, v96, 0
	v_mbcnt_hi_u32_b32 v217, v97, v5
	v_cmp_eq_u32_e32 vcc, 0, v217
	v_cmp_ne_u64_e64 s[36:37], 0, v[96:97]
	s_and_b64 s[38:39], s[36:37], vcc
	; wave barrier
	s_and_saveexec_b64 s[36:37], s[38:39]
	s_cbranch_execz .LBB839_756
; %bb.755:                              ;   in Loop: Header=BB839_696 Depth=2
	v_bcnt_u32_b32 v5, v96, 0
	v_bcnt_u32_b32 v5, v97, v5
	s_waitcnt lgkmcnt(0)
	v_add_u32_e32 v5, v215, v5
	ds_write_b32 v216, v5
.LBB839_756:                            ;   in Loop: Header=BB839_696 Depth=2
	s_or_b64 exec, exec, s[36:37]
	s_waitcnt vmcnt(2)
	v_xor_b32_e32 v89, 0x80000000, v89
	v_lshrrev_b64 v[96:97], s84, v[88:89]
	v_and_b32_e32 v96, s68, v96
	v_mul_u32_u24_e32 v5, 5, v96
	v_add_lshl_u32 v5, v5, v181, 2
	; wave barrier
	v_add_u32_e32 v219, 0x410, v5
	ds_read_b32 v218, v5 offset:1040
	v_and_b32_e32 v5, 1, v96
	v_add_co_u32_e32 v97, vcc, -1, v5
	v_addc_co_u32_e64 v98, s[36:37], 0, -1, vcc
	v_cmp_ne_u32_e32 vcc, 0, v5
	v_xor_b32_e32 v5, vcc_hi, v98
	v_and_b32_e32 v98, exec_hi, v5
	v_lshlrev_b32_e32 v5, 30, v96
	v_xor_b32_e32 v97, vcc_lo, v97
	v_cmp_gt_i64_e32 vcc, 0, v[4:5]
	v_not_b32_e32 v5, v5
	v_ashrrev_i32_e32 v5, 31, v5
	v_and_b32_e32 v97, exec_lo, v97
	v_xor_b32_e32 v99, vcc_hi, v5
	v_xor_b32_e32 v5, vcc_lo, v5
	v_and_b32_e32 v97, v97, v5
	v_lshlrev_b32_e32 v5, 29, v96
	v_cmp_gt_i64_e32 vcc, 0, v[4:5]
	v_not_b32_e32 v5, v5
	v_ashrrev_i32_e32 v5, 31, v5
	v_and_b32_e32 v98, v98, v99
	v_xor_b32_e32 v99, vcc_hi, v5
	v_xor_b32_e32 v5, vcc_lo, v5
	v_and_b32_e32 v97, v97, v5
	v_lshlrev_b32_e32 v5, 28, v96
	v_cmp_gt_i64_e32 vcc, 0, v[4:5]
	v_not_b32_e32 v5, v5
	v_ashrrev_i32_e32 v5, 31, v5
	v_and_b32_e32 v98, v98, v99
	;; [unrolled: 8-line block ×5, first 2 shown]
	v_xor_b32_e32 v99, vcc_hi, v5
	v_xor_b32_e32 v5, vcc_lo, v5
	v_and_b32_e32 v98, v98, v99
	v_and_b32_e32 v99, v97, v5
	v_lshlrev_b32_e32 v5, 24, v96
	v_cmp_gt_i64_e32 vcc, 0, v[4:5]
	v_not_b32_e32 v5, v5
	v_ashrrev_i32_e32 v5, 31, v5
	v_xor_b32_e32 v96, vcc_hi, v5
	v_xor_b32_e32 v5, vcc_lo, v5
	v_and_b32_e32 v97, v98, v96
	v_and_b32_e32 v96, v99, v5
	v_mbcnt_lo_u32_b32 v5, v96, 0
	v_mbcnt_hi_u32_b32 v220, v97, v5
	v_cmp_eq_u32_e32 vcc, 0, v220
	v_cmp_ne_u64_e64 s[36:37], 0, v[96:97]
	s_and_b64 s[38:39], s[36:37], vcc
	; wave barrier
	s_and_saveexec_b64 s[36:37], s[38:39]
	s_cbranch_execz .LBB839_758
; %bb.757:                              ;   in Loop: Header=BB839_696 Depth=2
	v_bcnt_u32_b32 v5, v96, 0
	v_bcnt_u32_b32 v5, v97, v5
	s_waitcnt lgkmcnt(0)
	v_add_u32_e32 v5, v218, v5
	ds_write_b32 v219, v5
.LBB839_758:                            ;   in Loop: Header=BB839_696 Depth=2
	s_or_b64 exec, exec, s[36:37]
	s_waitcnt vmcnt(1)
	v_xor_b32_e32 v91, 0x80000000, v91
	v_lshrrev_b64 v[96:97], s84, v[90:91]
	v_and_b32_e32 v96, s68, v96
	v_mul_u32_u24_e32 v5, 5, v96
	v_add_lshl_u32 v5, v5, v181, 2
	; wave barrier
	v_add_u32_e32 v222, 0x410, v5
	ds_read_b32 v221, v5 offset:1040
	v_and_b32_e32 v5, 1, v96
	v_add_co_u32_e32 v97, vcc, -1, v5
	v_addc_co_u32_e64 v98, s[36:37], 0, -1, vcc
	v_cmp_ne_u32_e32 vcc, 0, v5
	v_xor_b32_e32 v5, vcc_hi, v98
	v_and_b32_e32 v98, exec_hi, v5
	v_lshlrev_b32_e32 v5, 30, v96
	v_xor_b32_e32 v97, vcc_lo, v97
	v_cmp_gt_i64_e32 vcc, 0, v[4:5]
	v_not_b32_e32 v5, v5
	v_ashrrev_i32_e32 v5, 31, v5
	v_and_b32_e32 v97, exec_lo, v97
	v_xor_b32_e32 v99, vcc_hi, v5
	v_xor_b32_e32 v5, vcc_lo, v5
	v_and_b32_e32 v97, v97, v5
	v_lshlrev_b32_e32 v5, 29, v96
	v_cmp_gt_i64_e32 vcc, 0, v[4:5]
	v_not_b32_e32 v5, v5
	v_ashrrev_i32_e32 v5, 31, v5
	v_and_b32_e32 v98, v98, v99
	v_xor_b32_e32 v99, vcc_hi, v5
	v_xor_b32_e32 v5, vcc_lo, v5
	v_and_b32_e32 v97, v97, v5
	v_lshlrev_b32_e32 v5, 28, v96
	v_cmp_gt_i64_e32 vcc, 0, v[4:5]
	v_not_b32_e32 v5, v5
	v_ashrrev_i32_e32 v5, 31, v5
	v_and_b32_e32 v98, v98, v99
	;; [unrolled: 8-line block ×5, first 2 shown]
	v_xor_b32_e32 v99, vcc_hi, v5
	v_xor_b32_e32 v5, vcc_lo, v5
	v_and_b32_e32 v98, v98, v99
	v_and_b32_e32 v99, v97, v5
	v_lshlrev_b32_e32 v5, 24, v96
	v_cmp_gt_i64_e32 vcc, 0, v[4:5]
	v_not_b32_e32 v5, v5
	v_ashrrev_i32_e32 v5, 31, v5
	v_xor_b32_e32 v96, vcc_hi, v5
	v_xor_b32_e32 v5, vcc_lo, v5
	v_and_b32_e32 v97, v98, v96
	v_and_b32_e32 v96, v99, v5
	v_mbcnt_lo_u32_b32 v5, v96, 0
	v_mbcnt_hi_u32_b32 v223, v97, v5
	v_cmp_eq_u32_e32 vcc, 0, v223
	v_cmp_ne_u64_e64 s[36:37], 0, v[96:97]
	s_and_b64 s[38:39], s[36:37], vcc
	; wave barrier
	s_and_saveexec_b64 s[36:37], s[38:39]
	s_cbranch_execz .LBB839_760
; %bb.759:                              ;   in Loop: Header=BB839_696 Depth=2
	v_bcnt_u32_b32 v5, v96, 0
	v_bcnt_u32_b32 v5, v97, v5
	s_waitcnt lgkmcnt(0)
	v_add_u32_e32 v5, v221, v5
	ds_write_b32 v222, v5
.LBB839_760:                            ;   in Loop: Header=BB839_696 Depth=2
	s_or_b64 exec, exec, s[36:37]
	s_waitcnt vmcnt(0)
	v_xor_b32_e32 v93, 0x80000000, v93
	v_lshrrev_b64 v[96:97], s84, v[92:93]
	v_and_b32_e32 v96, s68, v96
	v_mul_u32_u24_e32 v5, 5, v96
	v_add_lshl_u32 v5, v5, v181, 2
	; wave barrier
	v_add_u32_e32 v225, 0x410, v5
	ds_read_b32 v224, v5 offset:1040
	v_and_b32_e32 v5, 1, v96
	v_add_co_u32_e32 v97, vcc, -1, v5
	v_addc_co_u32_e64 v98, s[36:37], 0, -1, vcc
	v_cmp_ne_u32_e32 vcc, 0, v5
	v_xor_b32_e32 v5, vcc_hi, v98
	v_and_b32_e32 v98, exec_hi, v5
	v_lshlrev_b32_e32 v5, 30, v96
	v_xor_b32_e32 v97, vcc_lo, v97
	v_cmp_gt_i64_e32 vcc, 0, v[4:5]
	v_not_b32_e32 v5, v5
	v_ashrrev_i32_e32 v5, 31, v5
	v_and_b32_e32 v97, exec_lo, v97
	v_xor_b32_e32 v99, vcc_hi, v5
	v_xor_b32_e32 v5, vcc_lo, v5
	v_and_b32_e32 v97, v97, v5
	v_lshlrev_b32_e32 v5, 29, v96
	v_cmp_gt_i64_e32 vcc, 0, v[4:5]
	v_not_b32_e32 v5, v5
	v_ashrrev_i32_e32 v5, 31, v5
	v_and_b32_e32 v98, v98, v99
	v_xor_b32_e32 v99, vcc_hi, v5
	v_xor_b32_e32 v5, vcc_lo, v5
	v_and_b32_e32 v97, v97, v5
	v_lshlrev_b32_e32 v5, 28, v96
	v_cmp_gt_i64_e32 vcc, 0, v[4:5]
	v_not_b32_e32 v5, v5
	v_ashrrev_i32_e32 v5, 31, v5
	v_and_b32_e32 v98, v98, v99
	;; [unrolled: 8-line block ×5, first 2 shown]
	v_xor_b32_e32 v99, vcc_hi, v5
	v_xor_b32_e32 v5, vcc_lo, v5
	v_and_b32_e32 v98, v98, v99
	v_and_b32_e32 v99, v97, v5
	v_lshlrev_b32_e32 v5, 24, v96
	v_cmp_gt_i64_e32 vcc, 0, v[4:5]
	v_not_b32_e32 v5, v5
	v_ashrrev_i32_e32 v5, 31, v5
	v_xor_b32_e32 v96, vcc_hi, v5
	v_xor_b32_e32 v5, vcc_lo, v5
	v_and_b32_e32 v97, v98, v96
	v_and_b32_e32 v96, v99, v5
	v_mbcnt_lo_u32_b32 v5, v96, 0
	v_mbcnt_hi_u32_b32 v226, v97, v5
	v_cmp_eq_u32_e32 vcc, 0, v226
	v_cmp_ne_u64_e64 s[36:37], 0, v[96:97]
	s_and_b64 s[38:39], s[36:37], vcc
	; wave barrier
	s_and_saveexec_b64 s[36:37], s[38:39]
	s_cbranch_execz .LBB839_762
; %bb.761:                              ;   in Loop: Header=BB839_696 Depth=2
	v_bcnt_u32_b32 v5, v96, 0
	v_bcnt_u32_b32 v5, v97, v5
	s_waitcnt lgkmcnt(0)
	v_add_u32_e32 v5, v224, v5
	ds_write_b32 v225, v5
.LBB839_762:                            ;   in Loop: Header=BB839_696 Depth=2
	s_or_b64 exec, exec, s[36:37]
	v_xor_b32_e32 v95, 0x80000000, v95
	v_lshrrev_b64 v[96:97], s84, v[94:95]
	v_and_b32_e32 v96, s68, v96
	v_mul_u32_u24_e32 v5, 5, v96
	v_add_lshl_u32 v5, v5, v181, 2
	; wave barrier
	v_add_u32_e32 v228, 0x410, v5
	ds_read_b32 v227, v5 offset:1040
	v_and_b32_e32 v5, 1, v96
	v_add_co_u32_e32 v97, vcc, -1, v5
	v_addc_co_u32_e64 v98, s[36:37], 0, -1, vcc
	v_cmp_ne_u32_e32 vcc, 0, v5
	v_xor_b32_e32 v5, vcc_hi, v98
	v_and_b32_e32 v98, exec_hi, v5
	v_lshlrev_b32_e32 v5, 30, v96
	v_xor_b32_e32 v97, vcc_lo, v97
	v_cmp_gt_i64_e32 vcc, 0, v[4:5]
	v_not_b32_e32 v5, v5
	v_ashrrev_i32_e32 v5, 31, v5
	v_and_b32_e32 v97, exec_lo, v97
	v_xor_b32_e32 v99, vcc_hi, v5
	v_xor_b32_e32 v5, vcc_lo, v5
	v_and_b32_e32 v97, v97, v5
	v_lshlrev_b32_e32 v5, 29, v96
	v_cmp_gt_i64_e32 vcc, 0, v[4:5]
	v_not_b32_e32 v5, v5
	v_ashrrev_i32_e32 v5, 31, v5
	v_and_b32_e32 v98, v98, v99
	v_xor_b32_e32 v99, vcc_hi, v5
	v_xor_b32_e32 v5, vcc_lo, v5
	v_and_b32_e32 v97, v97, v5
	v_lshlrev_b32_e32 v5, 28, v96
	v_cmp_gt_i64_e32 vcc, 0, v[4:5]
	v_not_b32_e32 v5, v5
	v_ashrrev_i32_e32 v5, 31, v5
	v_and_b32_e32 v98, v98, v99
	;; [unrolled: 8-line block ×5, first 2 shown]
	v_xor_b32_e32 v99, vcc_hi, v5
	v_xor_b32_e32 v5, vcc_lo, v5
	v_and_b32_e32 v98, v98, v99
	v_and_b32_e32 v99, v97, v5
	v_lshlrev_b32_e32 v5, 24, v96
	v_cmp_gt_i64_e32 vcc, 0, v[4:5]
	v_not_b32_e32 v5, v5
	v_ashrrev_i32_e32 v5, 31, v5
	v_xor_b32_e32 v96, vcc_hi, v5
	v_xor_b32_e32 v5, vcc_lo, v5
	v_and_b32_e32 v97, v98, v96
	v_and_b32_e32 v96, v99, v5
	v_mbcnt_lo_u32_b32 v5, v96, 0
	v_mbcnt_hi_u32_b32 v229, v97, v5
	v_cmp_eq_u32_e32 vcc, 0, v229
	v_cmp_ne_u64_e64 s[36:37], 0, v[96:97]
	s_and_b64 s[38:39], s[36:37], vcc
	; wave barrier
	s_and_saveexec_b64 s[36:37], s[38:39]
	s_cbranch_execz .LBB839_764
; %bb.763:                              ;   in Loop: Header=BB839_696 Depth=2
	v_bcnt_u32_b32 v5, v96, 0
	v_bcnt_u32_b32 v5, v97, v5
	s_waitcnt lgkmcnt(0)
	v_add_u32_e32 v5, v227, v5
	ds_write_b32 v228, v5
.LBB839_764:                            ;   in Loop: Header=BB839_696 Depth=2
	s_or_b64 exec, exec, s[36:37]
	; wave barrier
	s_waitcnt lgkmcnt(0)
	s_barrier
	ds_read_b32 v5, v27 offset:1040
	ds_read2_b32 v[98:99], v31 offset0:1 offset1:2
	ds_read2_b32 v[96:97], v31 offset0:3 offset1:4
	s_waitcnt lgkmcnt(1)
	v_add3_u32 v230, v98, v5, v99
	s_waitcnt lgkmcnt(0)
	v_add3_u32 v97, v230, v96, v97
	s_nop 1
	v_mov_b32_dpp v230, v97 row_shr:1 row_mask:0xf bank_mask:0xf
	v_cndmask_b32_e64 v230, v230, 0, s[16:17]
	v_add_u32_e32 v97, v230, v97
	s_nop 1
	v_mov_b32_dpp v230, v97 row_shr:2 row_mask:0xf bank_mask:0xf
	v_cndmask_b32_e64 v230, 0, v230, s[18:19]
	v_add_u32_e32 v97, v97, v230
	;; [unrolled: 4-line block ×4, first 2 shown]
	s_nop 1
	v_mov_b32_dpp v230, v97 row_bcast:15 row_mask:0xf bank_mask:0xf
	v_cndmask_b32_e64 v230, v230, 0, s[24:25]
	v_add_u32_e32 v97, v97, v230
	s_nop 1
	v_mov_b32_dpp v230, v97 row_bcast:31 row_mask:0xf bank_mask:0xf
	v_cndmask_b32_e64 v230, 0, v230, s[26:27]
	v_add_u32_e32 v97, v97, v230
	s_and_saveexec_b64 s[36:37], s[6:7]
	s_cbranch_execz .LBB839_766
; %bb.765:                              ;   in Loop: Header=BB839_696 Depth=2
	ds_write_b32 v15, v97 offset:1024
.LBB839_766:                            ;   in Loop: Header=BB839_696 Depth=2
	s_or_b64 exec, exec, s[36:37]
	s_waitcnt lgkmcnt(0)
	s_barrier
	s_and_saveexec_b64 s[36:37], s[8:9]
	s_cbranch_execz .LBB839_768
; %bb.767:                              ;   in Loop: Header=BB839_696 Depth=2
	ds_read_b32 v230, v33 offset:1024
	s_waitcnt lgkmcnt(0)
	s_nop 0
	v_mov_b32_dpp v231, v230 row_shr:1 row_mask:0xf bank_mask:0xf
	v_cndmask_b32_e64 v231, v231, 0, s[30:31]
	v_add_u32_e32 v230, v231, v230
	s_nop 1
	v_mov_b32_dpp v231, v230 row_shr:2 row_mask:0xf bank_mask:0xf
	v_cndmask_b32_e64 v231, 0, v231, s[34:35]
	v_add_u32_e32 v230, v230, v231
	ds_write_b32 v33, v230 offset:1024
.LBB839_768:                            ;   in Loop: Header=BB839_696 Depth=2
	s_or_b64 exec, exec, s[36:37]
	v_mov_b32_e32 v230, 0
	s_waitcnt lgkmcnt(0)
	s_barrier
	s_and_saveexec_b64 s[36:37], s[10:11]
	s_cbranch_execz .LBB839_770
; %bb.769:                              ;   in Loop: Header=BB839_696 Depth=2
	ds_read_b32 v230, v15 offset:1020
.LBB839_770:                            ;   in Loop: Header=BB839_696 Depth=2
	s_or_b64 exec, exec, s[36:37]
	s_waitcnt lgkmcnt(0)
	v_add_u32_e32 v97, v230, v97
	ds_bpermute_b32 v97, v158, v97
	s_waitcnt lgkmcnt(0)
	v_cndmask_b32_e64 v97, v97, v230, s[28:29]
	v_cndmask_b32_e64 v97, v97, 0, s[12:13]
	v_add_u32_e32 v5, v97, v5
	ds_write_b32 v27, v97 offset:1040
	v_add_u32_e32 v97, v5, v98
	v_add_u32_e32 v98, v97, v99
	ds_write2_b32 v31, v5, v97 offset0:1 offset1:2
	v_add_u32_e32 v5, v98, v96
	ds_write2_b32 v31, v98, v5 offset0:3 offset1:4
	s_waitcnt lgkmcnt(0)
	s_barrier
	ds_read_b32 v97, v186
	ds_read_b32 v234, v189
	;; [unrolled: 1-line block ×16, first 2 shown]
	ds_read_b32 v183, v27 offset:1040
	v_mov_b32_e32 v5, 0x1000
	s_and_saveexec_b64 s[36:37], s[14:15]
	s_cbranch_execz .LBB839_772
; %bb.771:                              ;   in Loop: Header=BB839_696 Depth=2
	ds_read_b32 v5, v27 offset:1060
.LBB839_772:                            ;   in Loop: Header=BB839_696 Depth=2
	s_or_b64 exec, exec, s[36:37]
	s_waitcnt lgkmcnt(0)
	s_barrier
	s_and_saveexec_b64 s[36:37], s[4:5]
	s_cbranch_execz .LBB839_774
; %bb.773:                              ;   in Loop: Header=BB839_696 Depth=2
	ds_read_b32 v207, v3
	s_waitcnt lgkmcnt(0)
	v_sub_u32_e32 v183, v207, v183
	ds_write_b32 v3, v183
.LBB839_774:                            ;   in Loop: Header=BB839_696 Depth=2
	s_or_b64 exec, exec, s[36:37]
	v_add_u32_e32 v185, v187, v185
	v_add_u32_e32 v191, v193, v191
	;; [unrolled: 1-line block ×3, first 2 shown]
	v_add_lshl_u32 v96, v96, v184, 3
	v_add_lshl_u32 v97, v185, v97, 3
	v_add_u32_e32 v203, v205, v203
	v_add_u32_e32 v200, v202, v200
	;; [unrolled: 1-line block ×4, first 2 shown]
	ds_write_b64 v96, v[64:65] offset:1024
	ds_write_b64 v97, v[66:67] offset:1024
	v_add_lshl_u32 v66, v188, v234, 3
	v_add_lshl_u32 v67, v191, v233, 3
	v_add_u32_e32 v183, v229, v227
	v_add_u32_e32 v207, v226, v224
	;; [unrolled: 1-line block ×8, first 2 shown]
	ds_write_b64 v66, v[68:69] offset:1024
	ds_write_b64 v67, v[70:71] offset:1024
	v_add_lshl_u32 v68, v194, v232, 3
	v_add_lshl_u32 v69, v197, v231, 3
	;; [unrolled: 1-line block ×4, first 2 shown]
	ds_write_b64 v68, v[72:73] offset:1024
	ds_write_b64 v69, v[74:75] offset:1024
	;; [unrolled: 1-line block ×4, first 2 shown]
	v_add_lshl_u32 v72, v206, v201, 3
	v_add_lshl_u32 v73, v209, v198, 3
	;; [unrolled: 1-line block ×8, first 2 shown]
	v_cmp_lt_u32_e64 s[36:37], v2, v182
	ds_write_b64 v72, v[80:81] offset:1024
	ds_write_b64 v73, v[82:83] offset:1024
	;; [unrolled: 1-line block ×8, first 2 shown]
	s_waitcnt lgkmcnt(0)
	s_barrier
	s_and_saveexec_b64 s[38:39], s[36:37]
	s_cbranch_execz .LBB839_790
; %bb.775:                              ;   in Loop: Header=BB839_696 Depth=2
	v_add_u32_e32 v64, v33, v3
	ds_read_b64 v[64:65], v64 offset:1024
	v_mov_b32_e32 v82, s75
	s_waitcnt lgkmcnt(0)
	v_lshrrev_b64 v[80:81], s84, v[64:65]
	v_and_b32_e32 v80, s68, v80
	v_lshlrev_b32_e32 v80, 2, v80
	ds_read_b32 v80, v80
	v_mov_b32_e32 v81, v4
	v_xor_b32_e32 v65, 0x80000000, v65
	s_waitcnt lgkmcnt(0)
	v_add_u32_e32 v80, v80, v2
	v_lshlrev_b64 v[80:81], 3, v[80:81]
	v_add_co_u32_e32 v80, vcc, s74, v80
	v_addc_co_u32_e32 v81, vcc, v82, v81, vcc
	global_store_dwordx2 v[80:81], v[64:65], off
	s_or_b64 exec, exec, s[38:39]
	v_cmp_lt_u32_e64 s[38:39], v7, v182
	s_and_saveexec_b64 s[40:41], s[38:39]
	s_cbranch_execnz .LBB839_791
.LBB839_776:                            ;   in Loop: Header=BB839_696 Depth=2
	s_or_b64 exec, exec, s[40:41]
	v_cmp_lt_u32_e64 s[40:41], v6, v182
	s_and_saveexec_b64 s[42:43], s[40:41]
	s_cbranch_execz .LBB839_792
.LBB839_777:                            ;   in Loop: Header=BB839_696 Depth=2
	ds_read_b64 v[64:65], v104 offset:4096
	v_mov_b32_e32 v82, s75
	s_waitcnt lgkmcnt(0)
	v_lshrrev_b64 v[80:81], s84, v[64:65]
	v_and_b32_e32 v80, s68, v80
	v_lshlrev_b32_e32 v80, 2, v80
	ds_read_b32 v80, v80
	v_mov_b32_e32 v81, v4
	v_xor_b32_e32 v65, 0x80000000, v65
	s_waitcnt lgkmcnt(0)
	v_add_u32_e32 v80, v80, v6
	v_lshlrev_b64 v[80:81], 3, v[80:81]
	v_add_co_u32_e32 v80, vcc, s74, v80
	v_addc_co_u32_e32 v81, vcc, v82, v81, vcc
	global_store_dwordx2 v[80:81], v[64:65], off
	s_or_b64 exec, exec, s[42:43]
	v_cmp_lt_u32_e64 s[42:43], v8, v182
	s_and_saveexec_b64 s[44:45], s[42:43]
	s_cbranch_execnz .LBB839_793
.LBB839_778:                            ;   in Loop: Header=BB839_696 Depth=2
	s_or_b64 exec, exec, s[44:45]
	v_cmp_lt_u32_e64 s[44:45], v10, v182
	s_and_saveexec_b64 s[46:47], s[44:45]
	s_cbranch_execz .LBB839_794
.LBB839_779:                            ;   in Loop: Header=BB839_696 Depth=2
	ds_read_b64 v[64:65], v104 offset:8192
	v_mov_b32_e32 v82, s75
	s_waitcnt lgkmcnt(0)
	v_lshrrev_b64 v[80:81], s84, v[64:65]
	v_and_b32_e32 v80, s68, v80
	v_lshlrev_b32_e32 v80, 2, v80
	ds_read_b32 v80, v80
	v_mov_b32_e32 v81, v4
	v_xor_b32_e32 v65, 0x80000000, v65
	s_waitcnt lgkmcnt(0)
	v_add_u32_e32 v80, v80, v10
	v_lshlrev_b64 v[80:81], 3, v[80:81]
	v_add_co_u32_e32 v80, vcc, s74, v80
	v_addc_co_u32_e32 v81, vcc, v82, v81, vcc
	global_store_dwordx2 v[80:81], v[64:65], off
	s_or_b64 exec, exec, s[46:47]
	v_cmp_lt_u32_e64 s[46:47], v12, v182
	s_and_saveexec_b64 s[48:49], s[46:47]
	s_cbranch_execnz .LBB839_795
.LBB839_780:                            ;   in Loop: Header=BB839_696 Depth=2
	s_or_b64 exec, exec, s[48:49]
	v_cmp_lt_u32_e64 s[48:49], v14, v182
	s_and_saveexec_b64 s[50:51], s[48:49]
	s_cbranch_execz .LBB839_796
.LBB839_781:                            ;   in Loop: Header=BB839_696 Depth=2
	ds_read_b64 v[64:65], v104 offset:12288
	v_mov_b32_e32 v82, s75
	s_waitcnt lgkmcnt(0)
	v_lshrrev_b64 v[80:81], s84, v[64:65]
	v_and_b32_e32 v80, s68, v80
	v_lshlrev_b32_e32 v80, 2, v80
	ds_read_b32 v80, v80
	v_mov_b32_e32 v81, v4
	v_xor_b32_e32 v65, 0x80000000, v65
	s_waitcnt lgkmcnt(0)
	v_add_u32_e32 v80, v80, v14
	v_lshlrev_b64 v[80:81], 3, v[80:81]
	v_add_co_u32_e32 v80, vcc, s74, v80
	v_addc_co_u32_e32 v81, vcc, v82, v81, vcc
	global_store_dwordx2 v[80:81], v[64:65], off
	s_or_b64 exec, exec, s[50:51]
	v_cmp_lt_u32_e64 s[50:51], v16, v182
	s_and_saveexec_b64 s[52:53], s[50:51]
	s_cbranch_execnz .LBB839_797
.LBB839_782:                            ;   in Loop: Header=BB839_696 Depth=2
	s_or_b64 exec, exec, s[52:53]
	v_cmp_lt_u32_e64 s[52:53], v18, v182
	s_and_saveexec_b64 s[54:55], s[52:53]
	s_cbranch_execz .LBB839_798
.LBB839_783:                            ;   in Loop: Header=BB839_696 Depth=2
	ds_read_b64 v[64:65], v104 offset:16384
	v_mov_b32_e32 v82, s75
	s_waitcnt lgkmcnt(0)
	v_lshrrev_b64 v[80:81], s84, v[64:65]
	v_and_b32_e32 v80, s68, v80
	v_lshlrev_b32_e32 v80, 2, v80
	ds_read_b32 v80, v80
	v_mov_b32_e32 v81, v4
	v_xor_b32_e32 v65, 0x80000000, v65
	s_waitcnt lgkmcnt(0)
	v_add_u32_e32 v80, v80, v18
	v_lshlrev_b64 v[80:81], 3, v[80:81]
	v_add_co_u32_e32 v80, vcc, s74, v80
	v_addc_co_u32_e32 v81, vcc, v82, v81, vcc
	global_store_dwordx2 v[80:81], v[64:65], off
	s_or_b64 exec, exec, s[54:55]
	v_cmp_lt_u32_e64 s[54:55], v20, v182
	s_and_saveexec_b64 s[56:57], s[54:55]
	s_cbranch_execnz .LBB839_799
.LBB839_784:                            ;   in Loop: Header=BB839_696 Depth=2
	s_or_b64 exec, exec, s[56:57]
	v_cmp_lt_u32_e64 s[56:57], v22, v182
	s_and_saveexec_b64 s[58:59], s[56:57]
	s_cbranch_execz .LBB839_800
.LBB839_785:                            ;   in Loop: Header=BB839_696 Depth=2
	ds_read_b64 v[64:65], v104 offset:20480
	v_mov_b32_e32 v82, s75
	s_waitcnt lgkmcnt(0)
	v_lshrrev_b64 v[80:81], s84, v[64:65]
	v_and_b32_e32 v80, s68, v80
	v_lshlrev_b32_e32 v80, 2, v80
	ds_read_b32 v80, v80
	v_mov_b32_e32 v81, v4
	v_xor_b32_e32 v65, 0x80000000, v65
	s_waitcnt lgkmcnt(0)
	v_add_u32_e32 v80, v80, v22
	v_lshlrev_b64 v[80:81], 3, v[80:81]
	v_add_co_u32_e32 v80, vcc, s74, v80
	v_addc_co_u32_e32 v81, vcc, v82, v81, vcc
	global_store_dwordx2 v[80:81], v[64:65], off
	s_or_b64 exec, exec, s[58:59]
	v_cmp_lt_u32_e64 s[58:59], v24, v182
	s_and_saveexec_b64 s[60:61], s[58:59]
	s_cbranch_execnz .LBB839_801
.LBB839_786:                            ;   in Loop: Header=BB839_696 Depth=2
	s_or_b64 exec, exec, s[60:61]
	v_cmp_lt_u32_e64 s[60:61], v26, v182
	s_and_saveexec_b64 s[62:63], s[60:61]
	s_cbranch_execz .LBB839_802
.LBB839_787:                            ;   in Loop: Header=BB839_696 Depth=2
	ds_read_b64 v[64:65], v104 offset:24576
	v_mov_b32_e32 v82, s75
	s_waitcnt lgkmcnt(0)
	v_lshrrev_b64 v[80:81], s84, v[64:65]
	v_and_b32_e32 v80, s68, v80
	v_lshlrev_b32_e32 v80, 2, v80
	ds_read_b32 v80, v80
	v_mov_b32_e32 v81, v4
	v_xor_b32_e32 v65, 0x80000000, v65
	s_waitcnt lgkmcnt(0)
	v_add_u32_e32 v80, v80, v26
	v_lshlrev_b64 v[80:81], 3, v[80:81]
	v_add_co_u32_e32 v80, vcc, s74, v80
	v_addc_co_u32_e32 v81, vcc, v82, v81, vcc
	global_store_dwordx2 v[80:81], v[64:65], off
	s_or_b64 exec, exec, s[62:63]
	v_cmp_lt_u32_e64 s[62:63], v28, v182
	s_and_saveexec_b64 s[64:65], s[62:63]
	s_cbranch_execnz .LBB839_803
.LBB839_788:                            ;   in Loop: Header=BB839_696 Depth=2
	s_or_b64 exec, exec, s[64:65]
	v_cmp_lt_u32_e64 s[64:65], v30, v182
	s_and_saveexec_b64 s[66:67], s[64:65]
	s_cbranch_execz .LBB839_804
.LBB839_789:                            ;   in Loop: Header=BB839_696 Depth=2
	ds_read_b64 v[64:65], v104 offset:28672
	v_mov_b32_e32 v82, s75
	s_waitcnt lgkmcnt(0)
	v_lshrrev_b64 v[80:81], s84, v[64:65]
	v_and_b32_e32 v80, s68, v80
	v_lshlrev_b32_e32 v80, 2, v80
	ds_read_b32 v80, v80
	v_mov_b32_e32 v81, v4
	v_xor_b32_e32 v65, 0x80000000, v65
	s_waitcnt lgkmcnt(0)
	v_add_u32_e32 v80, v80, v30
	v_lshlrev_b64 v[80:81], 3, v[80:81]
	v_add_co_u32_e32 v80, vcc, s74, v80
	v_addc_co_u32_e32 v81, vcc, v82, v81, vcc
	global_store_dwordx2 v[80:81], v[64:65], off
	s_or_b64 exec, exec, s[66:67]
	v_cmp_lt_u32_e64 s[66:67], v32, v182
	s_and_saveexec_b64 s[92:93], s[66:67]
	s_cbranch_execnz .LBB839_805
	s_branch .LBB839_806
.LBB839_790:                            ;   in Loop: Header=BB839_696 Depth=2
	s_or_b64 exec, exec, s[38:39]
	v_cmp_lt_u32_e64 s[38:39], v7, v182
	s_and_saveexec_b64 s[40:41], s[38:39]
	s_cbranch_execz .LBB839_776
.LBB839_791:                            ;   in Loop: Header=BB839_696 Depth=2
	ds_read_b64 v[64:65], v104 offset:2048
	v_mov_b32_e32 v82, s75
	s_waitcnt lgkmcnt(0)
	v_lshrrev_b64 v[80:81], s84, v[64:65]
	v_and_b32_e32 v80, s68, v80
	v_lshlrev_b32_e32 v80, 2, v80
	ds_read_b32 v80, v80
	v_mov_b32_e32 v81, v4
	v_xor_b32_e32 v65, 0x80000000, v65
	s_waitcnt lgkmcnt(0)
	v_add_u32_e32 v80, v80, v7
	v_lshlrev_b64 v[80:81], 3, v[80:81]
	v_add_co_u32_e32 v80, vcc, s74, v80
	v_addc_co_u32_e32 v81, vcc, v82, v81, vcc
	global_store_dwordx2 v[80:81], v[64:65], off
	s_or_b64 exec, exec, s[40:41]
	v_cmp_lt_u32_e64 s[40:41], v6, v182
	s_and_saveexec_b64 s[42:43], s[40:41]
	s_cbranch_execnz .LBB839_777
.LBB839_792:                            ;   in Loop: Header=BB839_696 Depth=2
	s_or_b64 exec, exec, s[42:43]
	v_cmp_lt_u32_e64 s[42:43], v8, v182
	s_and_saveexec_b64 s[44:45], s[42:43]
	s_cbranch_execz .LBB839_778
.LBB839_793:                            ;   in Loop: Header=BB839_696 Depth=2
	ds_read_b64 v[64:65], v104 offset:6144
	v_mov_b32_e32 v82, s75
	s_waitcnt lgkmcnt(0)
	v_lshrrev_b64 v[80:81], s84, v[64:65]
	v_and_b32_e32 v80, s68, v80
	v_lshlrev_b32_e32 v80, 2, v80
	ds_read_b32 v80, v80
	v_mov_b32_e32 v81, v4
	v_xor_b32_e32 v65, 0x80000000, v65
	s_waitcnt lgkmcnt(0)
	v_add_u32_e32 v80, v80, v8
	v_lshlrev_b64 v[80:81], 3, v[80:81]
	v_add_co_u32_e32 v80, vcc, s74, v80
	v_addc_co_u32_e32 v81, vcc, v82, v81, vcc
	global_store_dwordx2 v[80:81], v[64:65], off
	s_or_b64 exec, exec, s[44:45]
	v_cmp_lt_u32_e64 s[44:45], v10, v182
	s_and_saveexec_b64 s[46:47], s[44:45]
	s_cbranch_execnz .LBB839_779
.LBB839_794:                            ;   in Loop: Header=BB839_696 Depth=2
	s_or_b64 exec, exec, s[46:47]
	v_cmp_lt_u32_e64 s[46:47], v12, v182
	s_and_saveexec_b64 s[48:49], s[46:47]
	s_cbranch_execz .LBB839_780
.LBB839_795:                            ;   in Loop: Header=BB839_696 Depth=2
	ds_read_b64 v[64:65], v104 offset:10240
	v_mov_b32_e32 v82, s75
	s_waitcnt lgkmcnt(0)
	v_lshrrev_b64 v[80:81], s84, v[64:65]
	v_and_b32_e32 v80, s68, v80
	v_lshlrev_b32_e32 v80, 2, v80
	ds_read_b32 v80, v80
	v_mov_b32_e32 v81, v4
	v_xor_b32_e32 v65, 0x80000000, v65
	s_waitcnt lgkmcnt(0)
	v_add_u32_e32 v80, v80, v12
	v_lshlrev_b64 v[80:81], 3, v[80:81]
	v_add_co_u32_e32 v80, vcc, s74, v80
	v_addc_co_u32_e32 v81, vcc, v82, v81, vcc
	global_store_dwordx2 v[80:81], v[64:65], off
	s_or_b64 exec, exec, s[48:49]
	v_cmp_lt_u32_e64 s[48:49], v14, v182
	s_and_saveexec_b64 s[50:51], s[48:49]
	s_cbranch_execnz .LBB839_781
.LBB839_796:                            ;   in Loop: Header=BB839_696 Depth=2
	s_or_b64 exec, exec, s[50:51]
	v_cmp_lt_u32_e64 s[50:51], v16, v182
	s_and_saveexec_b64 s[52:53], s[50:51]
	s_cbranch_execz .LBB839_782
.LBB839_797:                            ;   in Loop: Header=BB839_696 Depth=2
	ds_read_b64 v[64:65], v104 offset:14336
	v_mov_b32_e32 v82, s75
	s_waitcnt lgkmcnt(0)
	v_lshrrev_b64 v[80:81], s84, v[64:65]
	v_and_b32_e32 v80, s68, v80
	v_lshlrev_b32_e32 v80, 2, v80
	ds_read_b32 v80, v80
	v_mov_b32_e32 v81, v4
	v_xor_b32_e32 v65, 0x80000000, v65
	s_waitcnt lgkmcnt(0)
	v_add_u32_e32 v80, v80, v16
	v_lshlrev_b64 v[80:81], 3, v[80:81]
	v_add_co_u32_e32 v80, vcc, s74, v80
	v_addc_co_u32_e32 v81, vcc, v82, v81, vcc
	global_store_dwordx2 v[80:81], v[64:65], off
	s_or_b64 exec, exec, s[52:53]
	v_cmp_lt_u32_e64 s[52:53], v18, v182
	s_and_saveexec_b64 s[54:55], s[52:53]
	s_cbranch_execnz .LBB839_783
.LBB839_798:                            ;   in Loop: Header=BB839_696 Depth=2
	s_or_b64 exec, exec, s[54:55]
	v_cmp_lt_u32_e64 s[54:55], v20, v182
	s_and_saveexec_b64 s[56:57], s[54:55]
	s_cbranch_execz .LBB839_784
.LBB839_799:                            ;   in Loop: Header=BB839_696 Depth=2
	ds_read_b64 v[64:65], v104 offset:18432
	v_mov_b32_e32 v82, s75
	s_waitcnt lgkmcnt(0)
	v_lshrrev_b64 v[80:81], s84, v[64:65]
	v_and_b32_e32 v80, s68, v80
	v_lshlrev_b32_e32 v80, 2, v80
	ds_read_b32 v80, v80
	v_mov_b32_e32 v81, v4
	v_xor_b32_e32 v65, 0x80000000, v65
	s_waitcnt lgkmcnt(0)
	v_add_u32_e32 v80, v80, v20
	v_lshlrev_b64 v[80:81], 3, v[80:81]
	v_add_co_u32_e32 v80, vcc, s74, v80
	v_addc_co_u32_e32 v81, vcc, v82, v81, vcc
	global_store_dwordx2 v[80:81], v[64:65], off
	s_or_b64 exec, exec, s[56:57]
	v_cmp_lt_u32_e64 s[56:57], v22, v182
	s_and_saveexec_b64 s[58:59], s[56:57]
	s_cbranch_execnz .LBB839_785
.LBB839_800:                            ;   in Loop: Header=BB839_696 Depth=2
	s_or_b64 exec, exec, s[58:59]
	v_cmp_lt_u32_e64 s[58:59], v24, v182
	s_and_saveexec_b64 s[60:61], s[58:59]
	s_cbranch_execz .LBB839_786
.LBB839_801:                            ;   in Loop: Header=BB839_696 Depth=2
	ds_read_b64 v[64:65], v104 offset:22528
	v_mov_b32_e32 v82, s75
	s_waitcnt lgkmcnt(0)
	v_lshrrev_b64 v[80:81], s84, v[64:65]
	v_and_b32_e32 v80, s68, v80
	v_lshlrev_b32_e32 v80, 2, v80
	ds_read_b32 v80, v80
	v_mov_b32_e32 v81, v4
	v_xor_b32_e32 v65, 0x80000000, v65
	s_waitcnt lgkmcnt(0)
	v_add_u32_e32 v80, v80, v24
	v_lshlrev_b64 v[80:81], 3, v[80:81]
	v_add_co_u32_e32 v80, vcc, s74, v80
	v_addc_co_u32_e32 v81, vcc, v82, v81, vcc
	global_store_dwordx2 v[80:81], v[64:65], off
	s_or_b64 exec, exec, s[60:61]
	v_cmp_lt_u32_e64 s[60:61], v26, v182
	s_and_saveexec_b64 s[62:63], s[60:61]
	s_cbranch_execnz .LBB839_787
.LBB839_802:                            ;   in Loop: Header=BB839_696 Depth=2
	s_or_b64 exec, exec, s[62:63]
	v_cmp_lt_u32_e64 s[62:63], v28, v182
	s_and_saveexec_b64 s[64:65], s[62:63]
	s_cbranch_execz .LBB839_788
.LBB839_803:                            ;   in Loop: Header=BB839_696 Depth=2
	ds_read_b64 v[64:65], v104 offset:26624
	v_mov_b32_e32 v82, s75
	s_waitcnt lgkmcnt(0)
	v_lshrrev_b64 v[80:81], s84, v[64:65]
	v_and_b32_e32 v80, s68, v80
	v_lshlrev_b32_e32 v80, 2, v80
	ds_read_b32 v80, v80
	v_mov_b32_e32 v81, v4
	v_xor_b32_e32 v65, 0x80000000, v65
	s_waitcnt lgkmcnt(0)
	v_add_u32_e32 v80, v80, v28
	v_lshlrev_b64 v[80:81], 3, v[80:81]
	v_add_co_u32_e32 v80, vcc, s74, v80
	v_addc_co_u32_e32 v81, vcc, v82, v81, vcc
	global_store_dwordx2 v[80:81], v[64:65], off
	s_or_b64 exec, exec, s[64:65]
	v_cmp_lt_u32_e64 s[64:65], v30, v182
	s_and_saveexec_b64 s[66:67], s[64:65]
	s_cbranch_execnz .LBB839_789
.LBB839_804:                            ;   in Loop: Header=BB839_696 Depth=2
	s_or_b64 exec, exec, s[66:67]
	v_cmp_lt_u32_e64 s[66:67], v32, v182
	s_and_saveexec_b64 s[92:93], s[66:67]
	s_cbranch_execz .LBB839_806
.LBB839_805:                            ;   in Loop: Header=BB839_696 Depth=2
	ds_read_b64 v[64:65], v104 offset:30720
	v_mov_b32_e32 v82, s75
	s_waitcnt lgkmcnt(0)
	v_lshrrev_b64 v[80:81], s84, v[64:65]
	v_and_b32_e32 v80, s68, v80
	v_lshlrev_b32_e32 v80, 2, v80
	ds_read_b32 v80, v80
	v_mov_b32_e32 v81, v4
	v_xor_b32_e32 v65, 0x80000000, v65
	s_waitcnt lgkmcnt(0)
	v_add_u32_e32 v80, v80, v32
	v_lshlrev_b64 v[80:81], 3, v[80:81]
	v_add_co_u32_e32 v80, vcc, s74, v80
	v_addc_co_u32_e32 v81, vcc, v82, v81, vcc
	global_store_dwordx2 v[80:81], v[64:65], off
.LBB839_806:                            ;   in Loop: Header=BB839_696 Depth=2
	s_or_b64 exec, exec, s[92:93]
	s_lshl_b64 s[92:93], s[88:89], 3
	v_mov_b32_e32 v65, s93
	v_add_co_u32_e32 v64, vcc, s92, v159
	v_addc_co_u32_e32 v65, vcc, v160, v65, vcc
	v_cmp_lt_u32_e32 vcc, v142, v182
	s_and_saveexec_b64 s[92:93], vcc
	s_xor_b64 s[92:93], exec, s[92:93]
	s_cbranch_execz .LBB839_838
; %bb.807:                              ;   in Loop: Header=BB839_696 Depth=2
	global_load_dwordx2 v[62:63], v[64:65], off
	s_or_b64 exec, exec, s[92:93]
	v_cmp_lt_u32_e32 vcc, v143, v182
	s_and_saveexec_b64 s[92:93], vcc
	s_cbranch_execnz .LBB839_839
.LBB839_808:                            ;   in Loop: Header=BB839_696 Depth=2
	s_or_b64 exec, exec, s[92:93]
	v_cmp_lt_u32_e32 vcc, v144, v182
	s_and_saveexec_b64 s[92:93], vcc
	s_cbranch_execz .LBB839_840
.LBB839_809:                            ;   in Loop: Header=BB839_696 Depth=2
	global_load_dwordx2 v[58:59], v[64:65], off offset:1024
	s_or_b64 exec, exec, s[92:93]
	v_cmp_lt_u32_e32 vcc, v145, v182
	s_and_saveexec_b64 s[92:93], vcc
	s_cbranch_execnz .LBB839_841
.LBB839_810:                            ;   in Loop: Header=BB839_696 Depth=2
	s_or_b64 exec, exec, s[92:93]
	v_cmp_lt_u32_e32 vcc, v146, v182
	s_and_saveexec_b64 s[92:93], vcc
	s_cbranch_execz .LBB839_842
.LBB839_811:                            ;   in Loop: Header=BB839_696 Depth=2
	global_load_dwordx2 v[50:51], v[64:65], off offset:2048
	s_or_b64 exec, exec, s[92:93]
	v_cmp_lt_u32_e32 vcc, v147, v182
	s_and_saveexec_b64 s[92:93], vcc
	s_cbranch_execnz .LBB839_843
.LBB839_812:                            ;   in Loop: Header=BB839_696 Depth=2
	s_or_b64 exec, exec, s[92:93]
	v_cmp_lt_u32_e32 vcc, v148, v182
	s_and_saveexec_b64 s[92:93], vcc
	s_cbranch_execz .LBB839_844
.LBB839_813:                            ;   in Loop: Header=BB839_696 Depth=2
	global_load_dwordx2 v[42:43], v[64:65], off offset:3072
	s_or_b64 exec, exec, s[92:93]
	v_cmp_lt_u32_e32 vcc, v149, v182
	s_and_saveexec_b64 s[92:93], vcc
	s_cbranch_execnz .LBB839_845
.LBB839_814:                            ;   in Loop: Header=BB839_696 Depth=2
	s_or_b64 exec, exec, s[92:93]
	v_cmp_lt_u32_e32 vcc, v150, v182
	s_and_saveexec_b64 s[92:93], vcc
	s_cbranch_execz .LBB839_846
.LBB839_815:                            ;   in Loop: Header=BB839_696 Depth=2
	v_add_co_u32_e32 v56, vcc, 0x1000, v64
	v_addc_co_u32_e32 v57, vcc, 0, v65, vcc
	global_load_dwordx2 v[56:57], v[56:57], off
	s_or_b64 exec, exec, s[92:93]
	v_cmp_lt_u32_e32 vcc, v151, v182
	s_and_saveexec_b64 s[92:93], vcc
	s_cbranch_execnz .LBB839_847
.LBB839_816:                            ;   in Loop: Header=BB839_696 Depth=2
	s_or_b64 exec, exec, s[92:93]
	v_cmp_lt_u32_e32 vcc, v152, v182
	s_and_saveexec_b64 s[92:93], vcc
	s_cbranch_execz .LBB839_848
.LBB839_817:                            ;   in Loop: Header=BB839_696 Depth=2
	v_add_co_u32_e32 v48, vcc, 0x1000, v64
	v_addc_co_u32_e32 v49, vcc, 0, v65, vcc
	global_load_dwordx2 v[48:49], v[48:49], off offset:1024
	s_or_b64 exec, exec, s[92:93]
	v_cmp_lt_u32_e32 vcc, v153, v182
	s_and_saveexec_b64 s[92:93], vcc
	s_cbranch_execnz .LBB839_849
.LBB839_818:                            ;   in Loop: Header=BB839_696 Depth=2
	s_or_b64 exec, exec, s[92:93]
	v_cmp_lt_u32_e32 vcc, v154, v182
	s_and_saveexec_b64 s[92:93], vcc
	s_cbranch_execz .LBB839_850
.LBB839_819:                            ;   in Loop: Header=BB839_696 Depth=2
	v_add_co_u32_e32 v40, vcc, 0x1000, v64
	v_addc_co_u32_e32 v41, vcc, 0, v65, vcc
	global_load_dwordx2 v[40:41], v[40:41], off offset:2048
	s_or_b64 exec, exec, s[92:93]
	v_cmp_lt_u32_e32 vcc, v155, v182
	s_and_saveexec_b64 s[92:93], vcc
	s_cbranch_execnz .LBB839_851
.LBB839_820:                            ;   in Loop: Header=BB839_696 Depth=2
	s_or_b64 exec, exec, s[92:93]
	v_cmp_lt_u32_e32 vcc, v156, v182
	s_and_saveexec_b64 s[92:93], vcc
	s_cbranch_execz .LBB839_852
.LBB839_821:                            ;   in Loop: Header=BB839_696 Depth=2
	v_add_co_u32_e32 v34, vcc, 0x1000, v64
	v_addc_co_u32_e32 v35, vcc, 0, v65, vcc
	global_load_dwordx2 v[34:35], v[34:35], off offset:3072
	s_or_b64 exec, exec, s[92:93]
	v_cmp_lt_u32_e32 vcc, v157, v182
	s_and_saveexec_b64 s[92:93], vcc
	s_cbranch_execnz .LBB839_853
.LBB839_822:                            ;   in Loop: Header=BB839_696 Depth=2
	s_or_b64 exec, exec, s[92:93]
	s_and_saveexec_b64 s[92:93], s[36:37]
	s_cbranch_execz .LBB839_854
.LBB839_823:                            ;   in Loop: Header=BB839_696 Depth=2
	v_add_u32_e32 v64, v33, v3
	ds_read_b64 v[64:65], v64 offset:1024
	s_waitcnt lgkmcnt(0)
	v_lshrrev_b64 v[64:65], s84, v[64:65]
	v_and_b32_e32 v180, s68, v64
	s_or_b64 exec, exec, s[92:93]
	s_and_saveexec_b64 s[92:93], s[38:39]
	s_cbranch_execnz .LBB839_855
.LBB839_824:                            ;   in Loop: Header=BB839_696 Depth=2
	s_or_b64 exec, exec, s[92:93]
	s_and_saveexec_b64 s[92:93], s[40:41]
	s_cbranch_execz .LBB839_856
.LBB839_825:                            ;   in Loop: Header=BB839_696 Depth=2
	ds_read_b64 v[64:65], v104 offset:4096
	s_waitcnt lgkmcnt(0)
	v_lshrrev_b64 v[64:65], s84, v[64:65]
	v_and_b32_e32 v177, s68, v64
	s_or_b64 exec, exec, s[92:93]
	s_and_saveexec_b64 s[92:93], s[42:43]
	s_cbranch_execnz .LBB839_857
.LBB839_826:                            ;   in Loop: Header=BB839_696 Depth=2
	s_or_b64 exec, exec, s[92:93]
	s_and_saveexec_b64 s[92:93], s[44:45]
	s_cbranch_execz .LBB839_858
.LBB839_827:                            ;   in Loop: Header=BB839_696 Depth=2
	ds_read_b64 v[64:65], v104 offset:8192
	s_waitcnt lgkmcnt(0)
	v_lshrrev_b64 v[64:65], s84, v[64:65]
	v_and_b32_e32 v174, s68, v64
	s_or_b64 exec, exec, s[92:93]
	s_and_saveexec_b64 s[92:93], s[46:47]
	s_cbranch_execnz .LBB839_859
.LBB839_828:                            ;   in Loop: Header=BB839_696 Depth=2
	s_or_b64 exec, exec, s[92:93]
	s_and_saveexec_b64 s[92:93], s[48:49]
	s_cbranch_execz .LBB839_860
.LBB839_829:                            ;   in Loop: Header=BB839_696 Depth=2
	ds_read_b64 v[64:65], v104 offset:12288
	s_waitcnt lgkmcnt(0)
	v_lshrrev_b64 v[64:65], s84, v[64:65]
	v_and_b32_e32 v172, s68, v64
	s_or_b64 exec, exec, s[92:93]
	s_and_saveexec_b64 s[92:93], s[50:51]
	s_cbranch_execnz .LBB839_861
.LBB839_830:                            ;   in Loop: Header=BB839_696 Depth=2
	s_or_b64 exec, exec, s[92:93]
	s_and_saveexec_b64 s[92:93], s[52:53]
	s_cbranch_execz .LBB839_862
.LBB839_831:                            ;   in Loop: Header=BB839_696 Depth=2
	ds_read_b64 v[64:65], v104 offset:16384
	s_waitcnt lgkmcnt(0)
	v_lshrrev_b64 v[64:65], s84, v[64:65]
	v_and_b32_e32 v170, s68, v64
	s_or_b64 exec, exec, s[92:93]
	s_and_saveexec_b64 s[92:93], s[54:55]
	s_cbranch_execnz .LBB839_863
.LBB839_832:                            ;   in Loop: Header=BB839_696 Depth=2
	s_or_b64 exec, exec, s[92:93]
	s_and_saveexec_b64 s[92:93], s[56:57]
	s_cbranch_execz .LBB839_864
.LBB839_833:                            ;   in Loop: Header=BB839_696 Depth=2
	ds_read_b64 v[64:65], v104 offset:20480
	s_waitcnt lgkmcnt(0)
	v_lshrrev_b64 v[64:65], s84, v[64:65]
	v_and_b32_e32 v168, s68, v64
	s_or_b64 exec, exec, s[92:93]
	s_and_saveexec_b64 s[92:93], s[58:59]
	s_cbranch_execnz .LBB839_865
.LBB839_834:                            ;   in Loop: Header=BB839_696 Depth=2
	s_or_b64 exec, exec, s[92:93]
	s_and_saveexec_b64 s[92:93], s[60:61]
	s_cbranch_execz .LBB839_866
.LBB839_835:                            ;   in Loop: Header=BB839_696 Depth=2
	ds_read_b64 v[64:65], v104 offset:24576
	s_waitcnt lgkmcnt(0)
	v_lshrrev_b64 v[64:65], s84, v[64:65]
	v_and_b32_e32 v166, s68, v64
	s_or_b64 exec, exec, s[92:93]
	s_and_saveexec_b64 s[92:93], s[62:63]
	s_cbranch_execnz .LBB839_867
.LBB839_836:                            ;   in Loop: Header=BB839_696 Depth=2
	s_or_b64 exec, exec, s[92:93]
	s_and_saveexec_b64 s[92:93], s[64:65]
	s_cbranch_execz .LBB839_868
.LBB839_837:                            ;   in Loop: Header=BB839_696 Depth=2
	ds_read_b64 v[64:65], v104 offset:28672
	s_waitcnt lgkmcnt(0)
	v_lshrrev_b64 v[64:65], s84, v[64:65]
	v_and_b32_e32 v164, s68, v64
	s_or_b64 exec, exec, s[92:93]
	s_and_saveexec_b64 s[92:93], s[66:67]
	s_cbranch_execnz .LBB839_869
	s_branch .LBB839_870
.LBB839_838:                            ;   in Loop: Header=BB839_696 Depth=2
	s_or_b64 exec, exec, s[92:93]
	v_cmp_lt_u32_e32 vcc, v143, v182
	s_and_saveexec_b64 s[92:93], vcc
	s_cbranch_execz .LBB839_808
.LBB839_839:                            ;   in Loop: Header=BB839_696 Depth=2
	global_load_dwordx2 v[60:61], v[64:65], off offset:512
	s_or_b64 exec, exec, s[92:93]
	v_cmp_lt_u32_e32 vcc, v144, v182
	s_and_saveexec_b64 s[92:93], vcc
	s_cbranch_execnz .LBB839_809
.LBB839_840:                            ;   in Loop: Header=BB839_696 Depth=2
	s_or_b64 exec, exec, s[92:93]
	v_cmp_lt_u32_e32 vcc, v145, v182
	s_and_saveexec_b64 s[92:93], vcc
	s_cbranch_execz .LBB839_810
.LBB839_841:                            ;   in Loop: Header=BB839_696 Depth=2
	global_load_dwordx2 v[54:55], v[64:65], off offset:1536
	s_or_b64 exec, exec, s[92:93]
	v_cmp_lt_u32_e32 vcc, v146, v182
	s_and_saveexec_b64 s[92:93], vcc
	s_cbranch_execnz .LBB839_811
.LBB839_842:                            ;   in Loop: Header=BB839_696 Depth=2
	s_or_b64 exec, exec, s[92:93]
	v_cmp_lt_u32_e32 vcc, v147, v182
	s_and_saveexec_b64 s[92:93], vcc
	s_cbranch_execz .LBB839_812
.LBB839_843:                            ;   in Loop: Header=BB839_696 Depth=2
	global_load_dwordx2 v[46:47], v[64:65], off offset:2560
	s_or_b64 exec, exec, s[92:93]
	v_cmp_lt_u32_e32 vcc, v148, v182
	s_and_saveexec_b64 s[92:93], vcc
	s_cbranch_execnz .LBB839_813
.LBB839_844:                            ;   in Loop: Header=BB839_696 Depth=2
	s_or_b64 exec, exec, s[92:93]
	v_cmp_lt_u32_e32 vcc, v149, v182
	s_and_saveexec_b64 s[92:93], vcc
	s_cbranch_execz .LBB839_814
.LBB839_845:                            ;   in Loop: Header=BB839_696 Depth=2
	global_load_dwordx2 v[38:39], v[64:65], off offset:3584
	s_or_b64 exec, exec, s[92:93]
	v_cmp_lt_u32_e32 vcc, v150, v182
	s_and_saveexec_b64 s[92:93], vcc
	s_cbranch_execnz .LBB839_815
.LBB839_846:                            ;   in Loop: Header=BB839_696 Depth=2
	s_or_b64 exec, exec, s[92:93]
	v_cmp_lt_u32_e32 vcc, v151, v182
	s_and_saveexec_b64 s[92:93], vcc
	s_cbranch_execz .LBB839_816
.LBB839_847:                            ;   in Loop: Header=BB839_696 Depth=2
	v_add_co_u32_e32 v52, vcc, 0x1000, v64
	v_addc_co_u32_e32 v53, vcc, 0, v65, vcc
	global_load_dwordx2 v[52:53], v[52:53], off offset:512
	s_or_b64 exec, exec, s[92:93]
	v_cmp_lt_u32_e32 vcc, v152, v182
	s_and_saveexec_b64 s[92:93], vcc
	s_cbranch_execnz .LBB839_817
.LBB839_848:                            ;   in Loop: Header=BB839_696 Depth=2
	s_or_b64 exec, exec, s[92:93]
	v_cmp_lt_u32_e32 vcc, v153, v182
	s_and_saveexec_b64 s[92:93], vcc
	s_cbranch_execz .LBB839_818
.LBB839_849:                            ;   in Loop: Header=BB839_696 Depth=2
	v_add_co_u32_e32 v44, vcc, 0x1000, v64
	v_addc_co_u32_e32 v45, vcc, 0, v65, vcc
	global_load_dwordx2 v[44:45], v[44:45], off offset:1536
	s_or_b64 exec, exec, s[92:93]
	v_cmp_lt_u32_e32 vcc, v154, v182
	s_and_saveexec_b64 s[92:93], vcc
	s_cbranch_execnz .LBB839_819
.LBB839_850:                            ;   in Loop: Header=BB839_696 Depth=2
	s_or_b64 exec, exec, s[92:93]
	v_cmp_lt_u32_e32 vcc, v155, v182
	s_and_saveexec_b64 s[92:93], vcc
	s_cbranch_execz .LBB839_820
.LBB839_851:                            ;   in Loop: Header=BB839_696 Depth=2
	v_add_co_u32_e32 v36, vcc, 0x1000, v64
	v_addc_co_u32_e32 v37, vcc, 0, v65, vcc
	global_load_dwordx2 v[36:37], v[36:37], off offset:2560
	s_or_b64 exec, exec, s[92:93]
	v_cmp_lt_u32_e32 vcc, v156, v182
	s_and_saveexec_b64 s[92:93], vcc
	s_cbranch_execnz .LBB839_821
.LBB839_852:                            ;   in Loop: Header=BB839_696 Depth=2
	s_or_b64 exec, exec, s[92:93]
	v_cmp_lt_u32_e32 vcc, v157, v182
	s_and_saveexec_b64 s[92:93], vcc
	s_cbranch_execz .LBB839_822
.LBB839_853:                            ;   in Loop: Header=BB839_696 Depth=2
	v_add_co_u32_e32 v0, vcc, 0x1000, v64
	v_addc_co_u32_e32 v1, vcc, 0, v65, vcc
	global_load_dwordx2 v[0:1], v[0:1], off offset:3584
	s_or_b64 exec, exec, s[92:93]
	s_and_saveexec_b64 s[92:93], s[36:37]
	s_cbranch_execnz .LBB839_823
.LBB839_854:                            ;   in Loop: Header=BB839_696 Depth=2
	s_or_b64 exec, exec, s[92:93]
	s_and_saveexec_b64 s[92:93], s[38:39]
	s_cbranch_execz .LBB839_824
.LBB839_855:                            ;   in Loop: Header=BB839_696 Depth=2
	ds_read_b64 v[64:65], v104 offset:2048
	s_waitcnt lgkmcnt(0)
	v_lshrrev_b64 v[64:65], s84, v[64:65]
	v_and_b32_e32 v178, s68, v64
	s_or_b64 exec, exec, s[92:93]
	s_and_saveexec_b64 s[92:93], s[40:41]
	s_cbranch_execnz .LBB839_825
.LBB839_856:                            ;   in Loop: Header=BB839_696 Depth=2
	s_or_b64 exec, exec, s[92:93]
	s_and_saveexec_b64 s[92:93], s[42:43]
	s_cbranch_execz .LBB839_826
.LBB839_857:                            ;   in Loop: Header=BB839_696 Depth=2
	ds_read_b64 v[64:65], v104 offset:6144
	s_waitcnt lgkmcnt(0)
	v_lshrrev_b64 v[64:65], s84, v[64:65]
	v_and_b32_e32 v175, s68, v64
	s_or_b64 exec, exec, s[92:93]
	s_and_saveexec_b64 s[92:93], s[44:45]
	s_cbranch_execnz .LBB839_827
.LBB839_858:                            ;   in Loop: Header=BB839_696 Depth=2
	s_or_b64 exec, exec, s[92:93]
	s_and_saveexec_b64 s[92:93], s[46:47]
	s_cbranch_execz .LBB839_828
.LBB839_859:                            ;   in Loop: Header=BB839_696 Depth=2
	ds_read_b64 v[64:65], v104 offset:10240
	s_waitcnt lgkmcnt(0)
	v_lshrrev_b64 v[64:65], s84, v[64:65]
	v_and_b32_e32 v173, s68, v64
	s_or_b64 exec, exec, s[92:93]
	s_and_saveexec_b64 s[92:93], s[48:49]
	s_cbranch_execnz .LBB839_829
.LBB839_860:                            ;   in Loop: Header=BB839_696 Depth=2
	s_or_b64 exec, exec, s[92:93]
	s_and_saveexec_b64 s[92:93], s[50:51]
	s_cbranch_execz .LBB839_830
.LBB839_861:                            ;   in Loop: Header=BB839_696 Depth=2
	ds_read_b64 v[64:65], v104 offset:14336
	s_waitcnt lgkmcnt(0)
	v_lshrrev_b64 v[64:65], s84, v[64:65]
	v_and_b32_e32 v171, s68, v64
	s_or_b64 exec, exec, s[92:93]
	s_and_saveexec_b64 s[92:93], s[52:53]
	s_cbranch_execnz .LBB839_831
.LBB839_862:                            ;   in Loop: Header=BB839_696 Depth=2
	s_or_b64 exec, exec, s[92:93]
	s_and_saveexec_b64 s[92:93], s[54:55]
	s_cbranch_execz .LBB839_832
.LBB839_863:                            ;   in Loop: Header=BB839_696 Depth=2
	ds_read_b64 v[64:65], v104 offset:18432
	s_waitcnt lgkmcnt(0)
	v_lshrrev_b64 v[64:65], s84, v[64:65]
	v_and_b32_e32 v169, s68, v64
	s_or_b64 exec, exec, s[92:93]
	s_and_saveexec_b64 s[92:93], s[56:57]
	s_cbranch_execnz .LBB839_833
.LBB839_864:                            ;   in Loop: Header=BB839_696 Depth=2
	s_or_b64 exec, exec, s[92:93]
	s_and_saveexec_b64 s[92:93], s[58:59]
	s_cbranch_execz .LBB839_834
.LBB839_865:                            ;   in Loop: Header=BB839_696 Depth=2
	ds_read_b64 v[64:65], v104 offset:22528
	s_waitcnt lgkmcnt(0)
	v_lshrrev_b64 v[64:65], s84, v[64:65]
	v_and_b32_e32 v167, s68, v64
	s_or_b64 exec, exec, s[92:93]
	s_and_saveexec_b64 s[92:93], s[60:61]
	s_cbranch_execnz .LBB839_835
.LBB839_866:                            ;   in Loop: Header=BB839_696 Depth=2
	s_or_b64 exec, exec, s[92:93]
	s_and_saveexec_b64 s[92:93], s[62:63]
	s_cbranch_execz .LBB839_836
.LBB839_867:                            ;   in Loop: Header=BB839_696 Depth=2
	ds_read_b64 v[64:65], v104 offset:26624
	s_waitcnt lgkmcnt(0)
	v_lshrrev_b64 v[64:65], s84, v[64:65]
	v_and_b32_e32 v165, s68, v64
	s_or_b64 exec, exec, s[92:93]
	s_and_saveexec_b64 s[92:93], s[64:65]
	s_cbranch_execnz .LBB839_837
.LBB839_868:                            ;   in Loop: Header=BB839_696 Depth=2
	s_or_b64 exec, exec, s[92:93]
	s_and_saveexec_b64 s[92:93], s[66:67]
	s_cbranch_execz .LBB839_870
.LBB839_869:                            ;   in Loop: Header=BB839_696 Depth=2
	ds_read_b64 v[64:65], v104 offset:30720
	s_waitcnt lgkmcnt(0)
	v_lshrrev_b64 v[64:65], s84, v[64:65]
	v_and_b32_e32 v163, s68, v64
.LBB839_870:                            ;   in Loop: Header=BB839_696 Depth=2
	s_or_b64 exec, exec, s[92:93]
	v_add_u32_e32 v64, 0x400, v96
	v_add_u32_e32 v65, 0x400, v97
	v_add_u32_e32 v66, 0x400, v66
	v_add_u32_e32 v67, 0x400, v67
	v_add_u32_e32 v68, 0x400, v68
	v_add_u32_e32 v69, 0x400, v69
	v_add_u32_e32 v70, 0x400, v70
	v_add_u32_e32 v71, 0x400, v71
	v_add_u32_e32 v72, 0x400, v72
	v_add_u32_e32 v73, 0x400, v73
	v_add_u32_e32 v74, 0x400, v74
	v_add_u32_e32 v75, 0x400, v75
	v_add_u32_e32 v76, 0x400, v76
	v_add_u32_e32 v77, 0x400, v77
	v_add_u32_e32 v78, 0x400, v78
	v_add_u32_e32 v79, 0x400, v79
	s_barrier
	s_waitcnt vmcnt(0)
	ds_write_b64 v64, v[62:63]
	ds_write_b64 v65, v[60:61]
	;; [unrolled: 1-line block ×16, first 2 shown]
	s_waitcnt lgkmcnt(0)
	s_barrier
	s_and_saveexec_b64 s[92:93], s[36:37]
	s_cbranch_execz .LBB839_886
; %bb.871:                              ;   in Loop: Header=BB839_696 Depth=2
	v_lshlrev_b32_e32 v64, 2, v180
	ds_read_b32 v66, v64
	v_add_u32_e32 v64, v33, v3
	ds_read_b64 v[64:65], v64 offset:1024
	v_mov_b32_e32 v67, v4
	v_mov_b32_e32 v68, s81
	s_waitcnt lgkmcnt(1)
	v_add_u32_e32 v66, v66, v2
	v_lshlrev_b64 v[66:67], 3, v[66:67]
	v_add_co_u32_e32 v66, vcc, s80, v66
	v_addc_co_u32_e32 v67, vcc, v68, v67, vcc
	s_waitcnt lgkmcnt(0)
	global_store_dwordx2 v[66:67], v[64:65], off
	s_or_b64 exec, exec, s[92:93]
	s_and_saveexec_b64 s[36:37], s[38:39]
	s_cbranch_execnz .LBB839_887
.LBB839_872:                            ;   in Loop: Header=BB839_696 Depth=2
	s_or_b64 exec, exec, s[36:37]
	s_and_saveexec_b64 s[36:37], s[40:41]
	s_cbranch_execz .LBB839_888
.LBB839_873:                            ;   in Loop: Header=BB839_696 Depth=2
	v_lshlrev_b32_e32 v64, 2, v177
	ds_read_b32 v66, v64
	ds_read_b64 v[64:65], v104 offset:4096
	v_mov_b32_e32 v67, v4
	v_mov_b32_e32 v68, s81
	s_waitcnt lgkmcnt(1)
	v_add_u32_e32 v66, v66, v6
	v_lshlrev_b64 v[66:67], 3, v[66:67]
	v_add_co_u32_e32 v66, vcc, s80, v66
	v_addc_co_u32_e32 v67, vcc, v68, v67, vcc
	s_waitcnt lgkmcnt(0)
	global_store_dwordx2 v[66:67], v[64:65], off
	s_or_b64 exec, exec, s[36:37]
	s_and_saveexec_b64 s[36:37], s[42:43]
	s_cbranch_execnz .LBB839_889
.LBB839_874:                            ;   in Loop: Header=BB839_696 Depth=2
	s_or_b64 exec, exec, s[36:37]
	s_and_saveexec_b64 s[36:37], s[44:45]
	s_cbranch_execz .LBB839_890
.LBB839_875:                            ;   in Loop: Header=BB839_696 Depth=2
	v_lshlrev_b32_e32 v64, 2, v174
	ds_read_b32 v66, v64
	ds_read_b64 v[64:65], v104 offset:8192
	v_mov_b32_e32 v67, v4
	v_mov_b32_e32 v68, s81
	s_waitcnt lgkmcnt(1)
	v_add_u32_e32 v66, v66, v10
	v_lshlrev_b64 v[66:67], 3, v[66:67]
	v_add_co_u32_e32 v66, vcc, s80, v66
	v_addc_co_u32_e32 v67, vcc, v68, v67, vcc
	s_waitcnt lgkmcnt(0)
	global_store_dwordx2 v[66:67], v[64:65], off
	s_or_b64 exec, exec, s[36:37]
	s_and_saveexec_b64 s[36:37], s[46:47]
	s_cbranch_execnz .LBB839_891
.LBB839_876:                            ;   in Loop: Header=BB839_696 Depth=2
	s_or_b64 exec, exec, s[36:37]
	s_and_saveexec_b64 s[36:37], s[48:49]
	s_cbranch_execz .LBB839_892
.LBB839_877:                            ;   in Loop: Header=BB839_696 Depth=2
	v_lshlrev_b32_e32 v64, 2, v172
	ds_read_b32 v66, v64
	ds_read_b64 v[64:65], v104 offset:12288
	v_mov_b32_e32 v67, v4
	v_mov_b32_e32 v68, s81
	s_waitcnt lgkmcnt(1)
	v_add_u32_e32 v66, v66, v14
	v_lshlrev_b64 v[66:67], 3, v[66:67]
	v_add_co_u32_e32 v66, vcc, s80, v66
	v_addc_co_u32_e32 v67, vcc, v68, v67, vcc
	s_waitcnt lgkmcnt(0)
	global_store_dwordx2 v[66:67], v[64:65], off
	s_or_b64 exec, exec, s[36:37]
	s_and_saveexec_b64 s[36:37], s[50:51]
	s_cbranch_execnz .LBB839_893
.LBB839_878:                            ;   in Loop: Header=BB839_696 Depth=2
	s_or_b64 exec, exec, s[36:37]
	s_and_saveexec_b64 s[36:37], s[52:53]
	s_cbranch_execz .LBB839_894
.LBB839_879:                            ;   in Loop: Header=BB839_696 Depth=2
	v_lshlrev_b32_e32 v64, 2, v170
	ds_read_b32 v66, v64
	ds_read_b64 v[64:65], v104 offset:16384
	v_mov_b32_e32 v67, v4
	v_mov_b32_e32 v68, s81
	s_waitcnt lgkmcnt(1)
	v_add_u32_e32 v66, v66, v18
	v_lshlrev_b64 v[66:67], 3, v[66:67]
	v_add_co_u32_e32 v66, vcc, s80, v66
	v_addc_co_u32_e32 v67, vcc, v68, v67, vcc
	s_waitcnt lgkmcnt(0)
	global_store_dwordx2 v[66:67], v[64:65], off
	s_or_b64 exec, exec, s[36:37]
	s_and_saveexec_b64 s[36:37], s[54:55]
	s_cbranch_execnz .LBB839_895
.LBB839_880:                            ;   in Loop: Header=BB839_696 Depth=2
	s_or_b64 exec, exec, s[36:37]
	s_and_saveexec_b64 s[36:37], s[56:57]
	s_cbranch_execz .LBB839_896
.LBB839_881:                            ;   in Loop: Header=BB839_696 Depth=2
	v_lshlrev_b32_e32 v64, 2, v168
	ds_read_b32 v66, v64
	ds_read_b64 v[64:65], v104 offset:20480
	v_mov_b32_e32 v67, v4
	v_mov_b32_e32 v68, s81
	s_waitcnt lgkmcnt(1)
	v_add_u32_e32 v66, v66, v22
	v_lshlrev_b64 v[66:67], 3, v[66:67]
	v_add_co_u32_e32 v66, vcc, s80, v66
	v_addc_co_u32_e32 v67, vcc, v68, v67, vcc
	s_waitcnt lgkmcnt(0)
	global_store_dwordx2 v[66:67], v[64:65], off
	s_or_b64 exec, exec, s[36:37]
	s_and_saveexec_b64 s[36:37], s[58:59]
	s_cbranch_execnz .LBB839_897
.LBB839_882:                            ;   in Loop: Header=BB839_696 Depth=2
	s_or_b64 exec, exec, s[36:37]
	s_and_saveexec_b64 s[36:37], s[60:61]
	s_cbranch_execz .LBB839_898
.LBB839_883:                            ;   in Loop: Header=BB839_696 Depth=2
	v_lshlrev_b32_e32 v64, 2, v166
	ds_read_b32 v66, v64
	ds_read_b64 v[64:65], v104 offset:24576
	v_mov_b32_e32 v67, v4
	v_mov_b32_e32 v68, s81
	s_waitcnt lgkmcnt(1)
	v_add_u32_e32 v66, v66, v26
	v_lshlrev_b64 v[66:67], 3, v[66:67]
	v_add_co_u32_e32 v66, vcc, s80, v66
	v_addc_co_u32_e32 v67, vcc, v68, v67, vcc
	s_waitcnt lgkmcnt(0)
	global_store_dwordx2 v[66:67], v[64:65], off
	s_or_b64 exec, exec, s[36:37]
	s_and_saveexec_b64 s[36:37], s[62:63]
	s_cbranch_execnz .LBB839_899
.LBB839_884:                            ;   in Loop: Header=BB839_696 Depth=2
	s_or_b64 exec, exec, s[36:37]
	s_and_saveexec_b64 s[36:37], s[64:65]
	s_cbranch_execz .LBB839_900
.LBB839_885:                            ;   in Loop: Header=BB839_696 Depth=2
	v_lshlrev_b32_e32 v64, 2, v164
	ds_read_b32 v66, v64
	ds_read_b64 v[64:65], v104 offset:28672
	v_mov_b32_e32 v67, v4
	v_mov_b32_e32 v68, s81
	s_waitcnt lgkmcnt(1)
	v_add_u32_e32 v66, v66, v30
	v_lshlrev_b64 v[66:67], 3, v[66:67]
	v_add_co_u32_e32 v66, vcc, s80, v66
	v_addc_co_u32_e32 v67, vcc, v68, v67, vcc
	s_waitcnt lgkmcnt(0)
	global_store_dwordx2 v[66:67], v[64:65], off
	s_or_b64 exec, exec, s[36:37]
	s_and_saveexec_b64 s[36:37], s[66:67]
	s_cbranch_execnz .LBB839_901
	s_branch .LBB839_902
.LBB839_886:                            ;   in Loop: Header=BB839_696 Depth=2
	s_or_b64 exec, exec, s[92:93]
	s_and_saveexec_b64 s[36:37], s[38:39]
	s_cbranch_execz .LBB839_872
.LBB839_887:                            ;   in Loop: Header=BB839_696 Depth=2
	v_lshlrev_b32_e32 v64, 2, v178
	ds_read_b32 v66, v64
	ds_read_b64 v[64:65], v104 offset:2048
	v_mov_b32_e32 v67, v4
	v_mov_b32_e32 v68, s81
	s_waitcnt lgkmcnt(1)
	v_add_u32_e32 v66, v66, v7
	v_lshlrev_b64 v[66:67], 3, v[66:67]
	v_add_co_u32_e32 v66, vcc, s80, v66
	v_addc_co_u32_e32 v67, vcc, v68, v67, vcc
	s_waitcnt lgkmcnt(0)
	global_store_dwordx2 v[66:67], v[64:65], off
	s_or_b64 exec, exec, s[36:37]
	s_and_saveexec_b64 s[36:37], s[40:41]
	s_cbranch_execnz .LBB839_873
.LBB839_888:                            ;   in Loop: Header=BB839_696 Depth=2
	s_or_b64 exec, exec, s[36:37]
	s_and_saveexec_b64 s[36:37], s[42:43]
	s_cbranch_execz .LBB839_874
.LBB839_889:                            ;   in Loop: Header=BB839_696 Depth=2
	v_lshlrev_b32_e32 v64, 2, v175
	ds_read_b32 v66, v64
	ds_read_b64 v[64:65], v104 offset:6144
	v_mov_b32_e32 v67, v4
	v_mov_b32_e32 v68, s81
	s_waitcnt lgkmcnt(1)
	v_add_u32_e32 v66, v66, v8
	v_lshlrev_b64 v[66:67], 3, v[66:67]
	v_add_co_u32_e32 v66, vcc, s80, v66
	v_addc_co_u32_e32 v67, vcc, v68, v67, vcc
	s_waitcnt lgkmcnt(0)
	global_store_dwordx2 v[66:67], v[64:65], off
	s_or_b64 exec, exec, s[36:37]
	s_and_saveexec_b64 s[36:37], s[44:45]
	s_cbranch_execnz .LBB839_875
.LBB839_890:                            ;   in Loop: Header=BB839_696 Depth=2
	s_or_b64 exec, exec, s[36:37]
	s_and_saveexec_b64 s[36:37], s[46:47]
	s_cbranch_execz .LBB839_876
.LBB839_891:                            ;   in Loop: Header=BB839_696 Depth=2
	v_lshlrev_b32_e32 v64, 2, v173
	ds_read_b32 v66, v64
	ds_read_b64 v[64:65], v104 offset:10240
	v_mov_b32_e32 v67, v4
	v_mov_b32_e32 v68, s81
	s_waitcnt lgkmcnt(1)
	v_add_u32_e32 v66, v66, v12
	v_lshlrev_b64 v[66:67], 3, v[66:67]
	v_add_co_u32_e32 v66, vcc, s80, v66
	v_addc_co_u32_e32 v67, vcc, v68, v67, vcc
	s_waitcnt lgkmcnt(0)
	global_store_dwordx2 v[66:67], v[64:65], off
	s_or_b64 exec, exec, s[36:37]
	s_and_saveexec_b64 s[36:37], s[48:49]
	s_cbranch_execnz .LBB839_877
.LBB839_892:                            ;   in Loop: Header=BB839_696 Depth=2
	s_or_b64 exec, exec, s[36:37]
	s_and_saveexec_b64 s[36:37], s[50:51]
	s_cbranch_execz .LBB839_878
.LBB839_893:                            ;   in Loop: Header=BB839_696 Depth=2
	v_lshlrev_b32_e32 v64, 2, v171
	ds_read_b32 v66, v64
	ds_read_b64 v[64:65], v104 offset:14336
	v_mov_b32_e32 v67, v4
	v_mov_b32_e32 v68, s81
	s_waitcnt lgkmcnt(1)
	v_add_u32_e32 v66, v66, v16
	v_lshlrev_b64 v[66:67], 3, v[66:67]
	v_add_co_u32_e32 v66, vcc, s80, v66
	v_addc_co_u32_e32 v67, vcc, v68, v67, vcc
	s_waitcnt lgkmcnt(0)
	global_store_dwordx2 v[66:67], v[64:65], off
	s_or_b64 exec, exec, s[36:37]
	s_and_saveexec_b64 s[36:37], s[52:53]
	s_cbranch_execnz .LBB839_879
.LBB839_894:                            ;   in Loop: Header=BB839_696 Depth=2
	s_or_b64 exec, exec, s[36:37]
	s_and_saveexec_b64 s[36:37], s[54:55]
	s_cbranch_execz .LBB839_880
.LBB839_895:                            ;   in Loop: Header=BB839_696 Depth=2
	v_lshlrev_b32_e32 v64, 2, v169
	ds_read_b32 v66, v64
	ds_read_b64 v[64:65], v104 offset:18432
	v_mov_b32_e32 v67, v4
	v_mov_b32_e32 v68, s81
	s_waitcnt lgkmcnt(1)
	v_add_u32_e32 v66, v66, v20
	v_lshlrev_b64 v[66:67], 3, v[66:67]
	v_add_co_u32_e32 v66, vcc, s80, v66
	v_addc_co_u32_e32 v67, vcc, v68, v67, vcc
	s_waitcnt lgkmcnt(0)
	global_store_dwordx2 v[66:67], v[64:65], off
	s_or_b64 exec, exec, s[36:37]
	s_and_saveexec_b64 s[36:37], s[56:57]
	s_cbranch_execnz .LBB839_881
.LBB839_896:                            ;   in Loop: Header=BB839_696 Depth=2
	s_or_b64 exec, exec, s[36:37]
	s_and_saveexec_b64 s[36:37], s[58:59]
	s_cbranch_execz .LBB839_882
.LBB839_897:                            ;   in Loop: Header=BB839_696 Depth=2
	v_lshlrev_b32_e32 v64, 2, v167
	ds_read_b32 v66, v64
	ds_read_b64 v[64:65], v104 offset:22528
	v_mov_b32_e32 v67, v4
	v_mov_b32_e32 v68, s81
	s_waitcnt lgkmcnt(1)
	v_add_u32_e32 v66, v66, v24
	v_lshlrev_b64 v[66:67], 3, v[66:67]
	v_add_co_u32_e32 v66, vcc, s80, v66
	v_addc_co_u32_e32 v67, vcc, v68, v67, vcc
	s_waitcnt lgkmcnt(0)
	global_store_dwordx2 v[66:67], v[64:65], off
	s_or_b64 exec, exec, s[36:37]
	s_and_saveexec_b64 s[36:37], s[60:61]
	s_cbranch_execnz .LBB839_883
.LBB839_898:                            ;   in Loop: Header=BB839_696 Depth=2
	s_or_b64 exec, exec, s[36:37]
	s_and_saveexec_b64 s[36:37], s[62:63]
	s_cbranch_execz .LBB839_884
.LBB839_899:                            ;   in Loop: Header=BB839_696 Depth=2
	v_lshlrev_b32_e32 v64, 2, v165
	ds_read_b32 v66, v64
	ds_read_b64 v[64:65], v104 offset:26624
	v_mov_b32_e32 v67, v4
	v_mov_b32_e32 v68, s81
	s_waitcnt lgkmcnt(1)
	v_add_u32_e32 v66, v66, v28
	v_lshlrev_b64 v[66:67], 3, v[66:67]
	v_add_co_u32_e32 v66, vcc, s80, v66
	v_addc_co_u32_e32 v67, vcc, v68, v67, vcc
	s_waitcnt lgkmcnt(0)
	global_store_dwordx2 v[66:67], v[64:65], off
	s_or_b64 exec, exec, s[36:37]
	s_and_saveexec_b64 s[36:37], s[64:65]
	s_cbranch_execnz .LBB839_885
.LBB839_900:                            ;   in Loop: Header=BB839_696 Depth=2
	s_or_b64 exec, exec, s[36:37]
	s_and_saveexec_b64 s[36:37], s[66:67]
	s_cbranch_execz .LBB839_902
.LBB839_901:                            ;   in Loop: Header=BB839_696 Depth=2
	v_lshlrev_b32_e32 v64, 2, v163
	ds_read_b32 v66, v64
	ds_read_b64 v[64:65], v104 offset:30720
	v_mov_b32_e32 v67, v4
	v_mov_b32_e32 v68, s81
	s_waitcnt lgkmcnt(1)
	v_add_u32_e32 v66, v66, v32
	v_lshlrev_b64 v[66:67], 3, v[66:67]
	v_add_co_u32_e32 v66, vcc, s80, v66
	v_addc_co_u32_e32 v67, vcc, v68, v67, vcc
	s_waitcnt lgkmcnt(0)
	global_store_dwordx2 v[66:67], v[64:65], off
.LBB839_902:                            ;   in Loop: Header=BB839_696 Depth=2
	s_or_b64 exec, exec, s[36:37]
	s_barrier
	s_and_saveexec_b64 s[36:37], s[4:5]
	s_cbranch_execz .LBB839_695
; %bb.903:                              ;   in Loop: Header=BB839_696 Depth=2
	ds_read_b32 v64, v3
	s_waitcnt lgkmcnt(0)
	v_add_u32_e32 v5, v64, v5
	ds_write_b32 v3, v5
	s_branch .LBB839_695
.LBB839_904:                            ;   in Loop: Header=BB839_20 Depth=1
	s_waitcnt lgkmcnt(0)
	s_barrier
	s_mov_b64 s[16:17], 0
	v_readlane_b32 s50, v235, 2
.LBB839_905:                            ;   in Loop: Header=BB839_20 Depth=1
	s_and_b64 vcc, exec, s[16:17]
	s_cbranch_vccz .LBB839_19
; %bb.906:                              ;   in Loop: Header=BB839_20 Depth=1
	s_mov_b32 s22, s85
	s_mov_b32 s88, s50
	s_barrier
	s_waitcnt lgkmcnt(0)
                                        ; implicit-def: $vgpr62_vgpr63
                                        ; implicit-def: $vgpr0_vgpr1
                                        ; implicit-def: $vgpr34_vgpr35
                                        ; implicit-def: $vgpr36_vgpr37
                                        ; implicit-def: $vgpr38_vgpr39
                                        ; implicit-def: $vgpr40_vgpr41
                                        ; implicit-def: $vgpr42_vgpr43
                                        ; implicit-def: $vgpr44_vgpr45
                                        ; implicit-def: $vgpr46_vgpr47
                                        ; implicit-def: $vgpr48_vgpr49
                                        ; implicit-def: $vgpr50_vgpr51
                                        ; implicit-def: $vgpr52_vgpr53
                                        ; implicit-def: $vgpr54_vgpr55
                                        ; implicit-def: $vgpr56_vgpr57
                                        ; implicit-def: $vgpr58_vgpr59
                                        ; implicit-def: $vgpr60_vgpr61
	s_branch .LBB839_908
.LBB839_907:                            ;   in Loop: Header=BB839_908 Depth=2
	s_or_b64 exec, exec, s[16:17]
	s_addk_i32 s22, 0xf000
	s_cmp_ge_u32 s23, s94
	s_mov_b32 s88, s23
	s_cbranch_scc1 .LBB839_978
.LBB839_908:                            ;   Parent Loop BB839_20 Depth=1
                                        ; =>  This Inner Loop Header: Depth=2
	s_add_i32 s23, s88, 0x1000
	s_cmp_gt_u32 s23, s94
	s_cbranch_scc1 .LBB839_911
; %bb.909:                              ;   in Loop: Header=BB839_908 Depth=2
	s_lshl_b64 s[16:17], s[88:89], 3
	v_mov_b32_e32 v5, s17
	v_add_co_u32_e32 v64, vcc, s16, v111
	v_addc_co_u32_e32 v65, vcc, v112, v5, vcc
	s_waitcnt vmcnt(11)
	v_add_co_u32_e32 v72, vcc, 0x1000, v64
	v_addc_co_u32_e32 v73, vcc, 0, v65, vcc
	s_waitcnt vmcnt(5)
	;; [unrolled: 3-line block ×3, first 2 shown]
	v_add_co_u32_e32 v82, vcc, s96, v64
	v_addc_co_u32_e32 v83, vcc, 0, v65, vcc
	v_add_co_u32_e32 v86, vcc, s97, v64
	v_addc_co_u32_e32 v87, vcc, 0, v65, vcc
	;; [unrolled: 2-line block ×4, first 2 shown]
	global_load_dwordx2 v[66:67], v[64:65], off
	global_load_dwordx2 v[68:69], v[64:65], off offset:2048
	global_load_dwordx2 v[70:71], v[72:73], off
	s_nop 0
	global_load_dwordx2 v[72:73], v[72:73], off offset:2048
	s_nop 0
	global_load_dwordx2 v[74:75], v[82:83], off
	global_load_dwordx2 v[76:77], v[82:83], off offset:2048
	global_load_dwordx2 v[80:81], v[88:89], off offset:-4096
	global_load_dwordx2 v[84:85], v[88:89], off
	s_nop 0
	global_load_dwordx2 v[88:89], v[88:89], off offset:2048
	s_nop 0
	global_load_dwordx2 v[78:79], v[78:79], off offset:2048
	;; [unrolled: 2-line block ×3, first 2 shown]
	s_nop 0
	global_load_dwordx2 v[90:91], v[92:93], off
	s_nop 0
	global_load_dwordx2 v[92:93], v[92:93], off offset:2048
	s_waitcnt vmcnt(13)
	v_add_co_u32_e32 v94, vcc, 0x7000, v64
	v_addc_co_u32_e32 v95, vcc, 0, v65, vcc
	global_load_dwordx2 v[82:83], v[82:83], off offset:-4096
	s_nop 0
	global_load_dwordx2 v[94:95], v[94:95], off
	v_add_co_u32_e32 v64, vcc, 0x7800, v64
	s_movk_i32 s24, 0x1000
	v_addc_co_u32_e32 v65, vcc, 0, v65, vcc
	s_mov_b64 s[16:17], -1
	s_cbranch_execz .LBB839_912
; %bb.910:                              ;   in Loop: Header=BB839_908 Depth=2
                                        ; implicit-def: $vgpr60_vgpr61
                                        ; implicit-def: $vgpr58_vgpr59
                                        ; implicit-def: $vgpr56_vgpr57
                                        ; implicit-def: $vgpr54_vgpr55
                                        ; implicit-def: $vgpr52_vgpr53
                                        ; implicit-def: $vgpr50_vgpr51
                                        ; implicit-def: $vgpr48_vgpr49
                                        ; implicit-def: $vgpr46_vgpr47
                                        ; implicit-def: $vgpr44_vgpr45
                                        ; implicit-def: $vgpr42_vgpr43
                                        ; implicit-def: $vgpr40_vgpr41
                                        ; implicit-def: $vgpr38_vgpr39
                                        ; implicit-def: $vgpr36_vgpr37
                                        ; implicit-def: $vgpr34_vgpr35
                                        ; implicit-def: $vgpr0_vgpr1
                                        ; implicit-def: $vgpr62_vgpr63
	v_mov_b32_e32 v5, s22
	s_and_saveexec_b64 s[18:19], s[16:17]
	s_cbranch_execnz .LBB839_931
	s_branch .LBB839_932
.LBB839_911:                            ;   in Loop: Header=BB839_908 Depth=2
	s_mov_b64 s[16:17], 0
                                        ; implicit-def: $sgpr24
                                        ; implicit-def: $vgpr66_vgpr67
                                        ; implicit-def: $vgpr68_vgpr69
                                        ; implicit-def: $vgpr70_vgpr71
                                        ; implicit-def: $vgpr72_vgpr73
                                        ; implicit-def: $vgpr82_vgpr83
                                        ; implicit-def: $vgpr78_vgpr79
                                        ; implicit-def: $vgpr74_vgpr75
                                        ; implicit-def: $vgpr76_vgpr77
                                        ; implicit-def: $vgpr80_vgpr81
                                        ; implicit-def: $vgpr86_vgpr87
                                        ; implicit-def: $vgpr84_vgpr85
                                        ; implicit-def: $vgpr88_vgpr89
                                        ; implicit-def: $vgpr90_vgpr91
                                        ; implicit-def: $vgpr92_vgpr93
                                        ; implicit-def: $vgpr94_vgpr95
                                        ; implicit-def: $vgpr64_vgpr65
.LBB839_912:                            ;   in Loop: Header=BB839_908 Depth=2
	s_lshl_b64 s[18:19], s[88:89], 3
	s_add_u32 s18, s72, s18
	s_addc_u32 s19, s73, s19
	v_cmp_gt_u32_e32 vcc, s22, v2
	s_and_saveexec_b64 s[20:21], vcc
	s_cbranch_execz .LBB839_964
; %bb.913:                              ;   in Loop: Header=BB839_908 Depth=2
	global_load_dwordx2 v[60:61], v118, s[18:19]
	s_or_b64 exec, exec, s[20:21]
	v_cmp_gt_u32_e32 vcc, s22, v7
	s_and_saveexec_b64 s[20:21], vcc
	s_cbranch_execnz .LBB839_965
.LBB839_914:                            ;   in Loop: Header=BB839_908 Depth=2
	s_or_b64 exec, exec, s[20:21]
	v_cmp_gt_u32_e32 vcc, s22, v6
	s_and_saveexec_b64 s[20:21], vcc
	s_cbranch_execz .LBB839_966
.LBB839_915:                            ;   in Loop: Header=BB839_908 Depth=2
	global_load_dwordx2 v[56:57], v119, s[18:19]
	s_or_b64 exec, exec, s[20:21]
	v_cmp_gt_u32_e32 vcc, s22, v8
	s_and_saveexec_b64 s[20:21], vcc
	s_cbranch_execnz .LBB839_967
.LBB839_916:                            ;   in Loop: Header=BB839_908 Depth=2
	s_or_b64 exec, exec, s[20:21]
	v_cmp_gt_u32_e32 vcc, s22, v10
	s_and_saveexec_b64 s[20:21], vcc
	s_cbranch_execz .LBB839_968
.LBB839_917:                            ;   in Loop: Header=BB839_908 Depth=2
	global_load_dwordx2 v[52:53], v121, s[18:19]
	s_or_b64 exec, exec, s[20:21]
	v_cmp_gt_u32_e32 vcc, s22, v12
	s_and_saveexec_b64 s[20:21], vcc
	s_cbranch_execnz .LBB839_969
.LBB839_918:                            ;   in Loop: Header=BB839_908 Depth=2
	s_or_b64 exec, exec, s[20:21]
	v_cmp_gt_u32_e32 vcc, s22, v14
	s_and_saveexec_b64 s[20:21], vcc
	s_cbranch_execz .LBB839_970
.LBB839_919:                            ;   in Loop: Header=BB839_908 Depth=2
	global_load_dwordx2 v[48:49], v123, s[18:19]
	s_or_b64 exec, exec, s[20:21]
	v_cmp_gt_u32_e32 vcc, s22, v16
	s_and_saveexec_b64 s[20:21], vcc
	s_cbranch_execnz .LBB839_971
.LBB839_920:                            ;   in Loop: Header=BB839_908 Depth=2
	s_or_b64 exec, exec, s[20:21]
	v_cmp_gt_u32_e32 vcc, s22, v18
	s_and_saveexec_b64 s[20:21], vcc
	s_cbranch_execz .LBB839_972
.LBB839_921:                            ;   in Loop: Header=BB839_908 Depth=2
	global_load_dwordx2 v[44:45], v125, s[18:19]
	s_or_b64 exec, exec, s[20:21]
	v_cmp_gt_u32_e32 vcc, s22, v20
	s_and_saveexec_b64 s[20:21], vcc
	s_cbranch_execnz .LBB839_973
.LBB839_922:                            ;   in Loop: Header=BB839_908 Depth=2
	s_or_b64 exec, exec, s[20:21]
	v_cmp_gt_u32_e32 vcc, s22, v22
	s_and_saveexec_b64 s[20:21], vcc
	s_cbranch_execz .LBB839_974
.LBB839_923:                            ;   in Loop: Header=BB839_908 Depth=2
	global_load_dwordx2 v[40:41], v127, s[18:19]
	s_or_b64 exec, exec, s[20:21]
	v_cmp_gt_u32_e32 vcc, s22, v24
	s_and_saveexec_b64 s[20:21], vcc
	s_cbranch_execnz .LBB839_975
.LBB839_924:                            ;   in Loop: Header=BB839_908 Depth=2
	s_or_b64 exec, exec, s[20:21]
	v_cmp_gt_u32_e32 vcc, s22, v26
	s_and_saveexec_b64 s[20:21], vcc
	s_cbranch_execz .LBB839_976
.LBB839_925:                            ;   in Loop: Header=BB839_908 Depth=2
	global_load_dwordx2 v[36:37], v129, s[18:19]
	s_or_b64 exec, exec, s[20:21]
	v_cmp_gt_u32_e32 vcc, s22, v28
	s_and_saveexec_b64 s[20:21], vcc
	s_cbranch_execnz .LBB839_977
.LBB839_926:                            ;   in Loop: Header=BB839_908 Depth=2
	s_or_b64 exec, exec, s[20:21]
	v_cmp_gt_u32_e32 vcc, s22, v30
	s_and_saveexec_b64 s[20:21], vcc
	s_cbranch_execz .LBB839_928
.LBB839_927:                            ;   in Loop: Header=BB839_908 Depth=2
	global_load_dwordx2 v[0:1], v131, s[18:19]
.LBB839_928:                            ;   in Loop: Header=BB839_908 Depth=2
	s_or_b64 exec, exec, s[20:21]
	v_cmp_gt_u32_e32 vcc, s22, v32
                                        ; implicit-def: $sgpr24
                                        ; implicit-def: $vgpr64_vgpr65
	s_and_saveexec_b64 s[20:21], vcc
; %bb.929:                              ;   in Loop: Header=BB839_908 Depth=2
	v_mov_b32_e32 v5, s19
	v_add_co_u32_e32 v64, vcc, s18, v132
	s_sub_i32 s24, s94, s88
	v_addc_co_u32_e32 v65, vcc, 0, v5, vcc
	s_or_b64 s[16:17], s[16:17], exec
                                        ; implicit-def: $vgpr62_vgpr63
; %bb.930:                              ;   in Loop: Header=BB839_908 Depth=2
	s_or_b64 exec, exec, s[20:21]
	s_waitcnt vmcnt(0)
	v_pk_mov_b32 v[66:67], v[60:61], v[60:61] op_sel:[0,1]
	v_pk_mov_b32 v[68:69], v[58:59], v[58:59] op_sel:[0,1]
	;; [unrolled: 1-line block ×15, first 2 shown]
	v_mov_b32_e32 v5, s22
	s_and_saveexec_b64 s[18:19], s[16:17]
	s_cbranch_execz .LBB839_932
.LBB839_931:                            ;   in Loop: Header=BB839_908 Depth=2
	global_load_dwordx2 v[62:63], v[64:65], off
	v_mov_b32_e32 v5, s24
	s_waitcnt vmcnt(1)
	v_pk_mov_b32 v[0:1], v[94:95], v[94:95] op_sel:[0,1]
	v_pk_mov_b32 v[34:35], v[92:93], v[92:93] op_sel:[0,1]
	;; [unrolled: 1-line block ×15, first 2 shown]
.LBB839_932:                            ;   in Loop: Header=BB839_908 Depth=2
	s_or_b64 exec, exec, s[18:19]
	v_cmp_lt_u32_e32 vcc, v2, v5
	s_and_saveexec_b64 s[16:17], vcc
	s_cbranch_execz .LBB839_948
; %bb.933:                              ;   in Loop: Header=BB839_908 Depth=2
	v_xor_b32_e32 v65, 0x80000000, v61
	v_mov_b32_e32 v64, v60
	v_lshrrev_b64 v[64:65], s84, v[64:65]
	v_and_b32_e32 v64, s68, v64
	v_lshl_or_b32 v64, v64, 4, v133
	ds_add_u32 v64, v117
	s_or_b64 exec, exec, s[16:17]
	v_cmp_lt_u32_e32 vcc, v7, v5
	s_and_saveexec_b64 s[16:17], vcc
	s_cbranch_execnz .LBB839_949
.LBB839_934:                            ;   in Loop: Header=BB839_908 Depth=2
	s_or_b64 exec, exec, s[16:17]
	v_cmp_lt_u32_e32 vcc, v6, v5
	s_and_saveexec_b64 s[16:17], vcc
	s_cbranch_execz .LBB839_950
.LBB839_935:                            ;   in Loop: Header=BB839_908 Depth=2
	v_xor_b32_e32 v65, 0x80000000, v57
	v_mov_b32_e32 v64, v56
	v_lshrrev_b64 v[64:65], s84, v[64:65]
	v_and_b32_e32 v64, s68, v64
	v_lshl_or_b32 v64, v64, 4, v133
	ds_add_u32 v64, v117
	s_or_b64 exec, exec, s[16:17]
	v_cmp_lt_u32_e32 vcc, v8, v5
	s_and_saveexec_b64 s[16:17], vcc
	s_cbranch_execnz .LBB839_951
.LBB839_936:                            ;   in Loop: Header=BB839_908 Depth=2
	s_or_b64 exec, exec, s[16:17]
	v_cmp_lt_u32_e32 vcc, v10, v5
	s_and_saveexec_b64 s[16:17], vcc
	s_cbranch_execz .LBB839_952
.LBB839_937:                            ;   in Loop: Header=BB839_908 Depth=2
	v_xor_b32_e32 v65, 0x80000000, v53
	v_mov_b32_e32 v64, v52
	v_lshrrev_b64 v[64:65], s84, v[64:65]
	v_and_b32_e32 v64, s68, v64
	v_lshl_or_b32 v64, v64, 4, v133
	ds_add_u32 v64, v117
	s_or_b64 exec, exec, s[16:17]
	v_cmp_lt_u32_e32 vcc, v12, v5
	s_and_saveexec_b64 s[16:17], vcc
	s_cbranch_execnz .LBB839_953
.LBB839_938:                            ;   in Loop: Header=BB839_908 Depth=2
	s_or_b64 exec, exec, s[16:17]
	v_cmp_lt_u32_e32 vcc, v14, v5
	s_and_saveexec_b64 s[16:17], vcc
	s_cbranch_execz .LBB839_954
.LBB839_939:                            ;   in Loop: Header=BB839_908 Depth=2
	v_xor_b32_e32 v65, 0x80000000, v49
	v_mov_b32_e32 v64, v48
	v_lshrrev_b64 v[64:65], s84, v[64:65]
	v_and_b32_e32 v64, s68, v64
	v_lshl_or_b32 v64, v64, 4, v133
	ds_add_u32 v64, v117
	s_or_b64 exec, exec, s[16:17]
	v_cmp_lt_u32_e32 vcc, v16, v5
	s_and_saveexec_b64 s[16:17], vcc
	s_cbranch_execnz .LBB839_955
.LBB839_940:                            ;   in Loop: Header=BB839_908 Depth=2
	s_or_b64 exec, exec, s[16:17]
	v_cmp_lt_u32_e32 vcc, v18, v5
	s_and_saveexec_b64 s[16:17], vcc
	s_cbranch_execz .LBB839_956
.LBB839_941:                            ;   in Loop: Header=BB839_908 Depth=2
	v_xor_b32_e32 v65, 0x80000000, v45
	v_mov_b32_e32 v64, v44
	v_lshrrev_b64 v[64:65], s84, v[64:65]
	v_and_b32_e32 v64, s68, v64
	v_lshl_or_b32 v64, v64, 4, v133
	ds_add_u32 v64, v117
	s_or_b64 exec, exec, s[16:17]
	v_cmp_lt_u32_e32 vcc, v20, v5
	s_and_saveexec_b64 s[16:17], vcc
	s_cbranch_execnz .LBB839_957
.LBB839_942:                            ;   in Loop: Header=BB839_908 Depth=2
	s_or_b64 exec, exec, s[16:17]
	v_cmp_lt_u32_e32 vcc, v22, v5
	s_and_saveexec_b64 s[16:17], vcc
	s_cbranch_execz .LBB839_958
.LBB839_943:                            ;   in Loop: Header=BB839_908 Depth=2
	v_xor_b32_e32 v65, 0x80000000, v41
	v_mov_b32_e32 v64, v40
	v_lshrrev_b64 v[64:65], s84, v[64:65]
	v_and_b32_e32 v64, s68, v64
	v_lshl_or_b32 v64, v64, 4, v133
	ds_add_u32 v64, v117
	s_or_b64 exec, exec, s[16:17]
	v_cmp_lt_u32_e32 vcc, v24, v5
	s_and_saveexec_b64 s[16:17], vcc
	s_cbranch_execnz .LBB839_959
.LBB839_944:                            ;   in Loop: Header=BB839_908 Depth=2
	s_or_b64 exec, exec, s[16:17]
	v_cmp_lt_u32_e32 vcc, v26, v5
	s_and_saveexec_b64 s[16:17], vcc
	s_cbranch_execz .LBB839_960
.LBB839_945:                            ;   in Loop: Header=BB839_908 Depth=2
	v_xor_b32_e32 v65, 0x80000000, v37
	v_mov_b32_e32 v64, v36
	v_lshrrev_b64 v[64:65], s84, v[64:65]
	v_and_b32_e32 v64, s68, v64
	v_lshl_or_b32 v64, v64, 4, v133
	ds_add_u32 v64, v117
	s_or_b64 exec, exec, s[16:17]
	v_cmp_lt_u32_e32 vcc, v28, v5
	s_and_saveexec_b64 s[16:17], vcc
	s_cbranch_execnz .LBB839_961
.LBB839_946:                            ;   in Loop: Header=BB839_908 Depth=2
	s_or_b64 exec, exec, s[16:17]
	v_cmp_lt_u32_e32 vcc, v30, v5
	s_and_saveexec_b64 s[16:17], vcc
	s_cbranch_execz .LBB839_962
.LBB839_947:                            ;   in Loop: Header=BB839_908 Depth=2
	v_xor_b32_e32 v65, 0x80000000, v1
	v_mov_b32_e32 v64, v0
	v_lshrrev_b64 v[64:65], s84, v[64:65]
	v_and_b32_e32 v64, s68, v64
	v_lshl_or_b32 v64, v64, 4, v133
	ds_add_u32 v64, v117
	s_or_b64 exec, exec, s[16:17]
	v_cmp_lt_u32_e32 vcc, v32, v5
	s_and_saveexec_b64 s[16:17], vcc
	s_cbranch_execz .LBB839_907
	s_branch .LBB839_963
.LBB839_948:                            ;   in Loop: Header=BB839_908 Depth=2
	s_or_b64 exec, exec, s[16:17]
	v_cmp_lt_u32_e32 vcc, v7, v5
	s_and_saveexec_b64 s[16:17], vcc
	s_cbranch_execz .LBB839_934
.LBB839_949:                            ;   in Loop: Header=BB839_908 Depth=2
	v_xor_b32_e32 v65, 0x80000000, v59
	v_mov_b32_e32 v64, v58
	v_lshrrev_b64 v[64:65], s84, v[64:65]
	v_and_b32_e32 v64, s68, v64
	v_lshl_or_b32 v64, v64, 4, v133
	ds_add_u32 v64, v117
	s_or_b64 exec, exec, s[16:17]
	v_cmp_lt_u32_e32 vcc, v6, v5
	s_and_saveexec_b64 s[16:17], vcc
	s_cbranch_execnz .LBB839_935
.LBB839_950:                            ;   in Loop: Header=BB839_908 Depth=2
	s_or_b64 exec, exec, s[16:17]
	v_cmp_lt_u32_e32 vcc, v8, v5
	s_and_saveexec_b64 s[16:17], vcc
	s_cbranch_execz .LBB839_936
.LBB839_951:                            ;   in Loop: Header=BB839_908 Depth=2
	v_xor_b32_e32 v65, 0x80000000, v55
	v_mov_b32_e32 v64, v54
	v_lshrrev_b64 v[64:65], s84, v[64:65]
	v_and_b32_e32 v64, s68, v64
	v_lshl_or_b32 v64, v64, 4, v133
	ds_add_u32 v64, v117
	s_or_b64 exec, exec, s[16:17]
	v_cmp_lt_u32_e32 vcc, v10, v5
	s_and_saveexec_b64 s[16:17], vcc
	s_cbranch_execnz .LBB839_937
.LBB839_952:                            ;   in Loop: Header=BB839_908 Depth=2
	s_or_b64 exec, exec, s[16:17]
	v_cmp_lt_u32_e32 vcc, v12, v5
	s_and_saveexec_b64 s[16:17], vcc
	s_cbranch_execz .LBB839_938
.LBB839_953:                            ;   in Loop: Header=BB839_908 Depth=2
	v_xor_b32_e32 v65, 0x80000000, v51
	v_mov_b32_e32 v64, v50
	v_lshrrev_b64 v[64:65], s84, v[64:65]
	v_and_b32_e32 v64, s68, v64
	v_lshl_or_b32 v64, v64, 4, v133
	ds_add_u32 v64, v117
	s_or_b64 exec, exec, s[16:17]
	v_cmp_lt_u32_e32 vcc, v14, v5
	s_and_saveexec_b64 s[16:17], vcc
	s_cbranch_execnz .LBB839_939
.LBB839_954:                            ;   in Loop: Header=BB839_908 Depth=2
	s_or_b64 exec, exec, s[16:17]
	v_cmp_lt_u32_e32 vcc, v16, v5
	s_and_saveexec_b64 s[16:17], vcc
	s_cbranch_execz .LBB839_940
.LBB839_955:                            ;   in Loop: Header=BB839_908 Depth=2
	v_xor_b32_e32 v65, 0x80000000, v47
	v_mov_b32_e32 v64, v46
	v_lshrrev_b64 v[64:65], s84, v[64:65]
	v_and_b32_e32 v64, s68, v64
	v_lshl_or_b32 v64, v64, 4, v133
	ds_add_u32 v64, v117
	s_or_b64 exec, exec, s[16:17]
	v_cmp_lt_u32_e32 vcc, v18, v5
	s_and_saveexec_b64 s[16:17], vcc
	s_cbranch_execnz .LBB839_941
.LBB839_956:                            ;   in Loop: Header=BB839_908 Depth=2
	s_or_b64 exec, exec, s[16:17]
	v_cmp_lt_u32_e32 vcc, v20, v5
	s_and_saveexec_b64 s[16:17], vcc
	s_cbranch_execz .LBB839_942
.LBB839_957:                            ;   in Loop: Header=BB839_908 Depth=2
	v_xor_b32_e32 v65, 0x80000000, v43
	v_mov_b32_e32 v64, v42
	v_lshrrev_b64 v[64:65], s84, v[64:65]
	v_and_b32_e32 v64, s68, v64
	v_lshl_or_b32 v64, v64, 4, v133
	ds_add_u32 v64, v117
	s_or_b64 exec, exec, s[16:17]
	v_cmp_lt_u32_e32 vcc, v22, v5
	s_and_saveexec_b64 s[16:17], vcc
	s_cbranch_execnz .LBB839_943
.LBB839_958:                            ;   in Loop: Header=BB839_908 Depth=2
	s_or_b64 exec, exec, s[16:17]
	v_cmp_lt_u32_e32 vcc, v24, v5
	s_and_saveexec_b64 s[16:17], vcc
	s_cbranch_execz .LBB839_944
.LBB839_959:                            ;   in Loop: Header=BB839_908 Depth=2
	v_xor_b32_e32 v65, 0x80000000, v39
	v_mov_b32_e32 v64, v38
	v_lshrrev_b64 v[64:65], s84, v[64:65]
	v_and_b32_e32 v64, s68, v64
	v_lshl_or_b32 v64, v64, 4, v133
	ds_add_u32 v64, v117
	s_or_b64 exec, exec, s[16:17]
	v_cmp_lt_u32_e32 vcc, v26, v5
	s_and_saveexec_b64 s[16:17], vcc
	s_cbranch_execnz .LBB839_945
.LBB839_960:                            ;   in Loop: Header=BB839_908 Depth=2
	s_or_b64 exec, exec, s[16:17]
	v_cmp_lt_u32_e32 vcc, v28, v5
	s_and_saveexec_b64 s[16:17], vcc
	s_cbranch_execz .LBB839_946
.LBB839_961:                            ;   in Loop: Header=BB839_908 Depth=2
	v_xor_b32_e32 v65, 0x80000000, v35
	v_mov_b32_e32 v64, v34
	v_lshrrev_b64 v[64:65], s84, v[64:65]
	v_and_b32_e32 v64, s68, v64
	v_lshl_or_b32 v64, v64, 4, v133
	ds_add_u32 v64, v117
	s_or_b64 exec, exec, s[16:17]
	v_cmp_lt_u32_e32 vcc, v30, v5
	s_and_saveexec_b64 s[16:17], vcc
	s_cbranch_execnz .LBB839_947
.LBB839_962:                            ;   in Loop: Header=BB839_908 Depth=2
	s_or_b64 exec, exec, s[16:17]
	v_cmp_lt_u32_e32 vcc, v32, v5
	s_and_saveexec_b64 s[16:17], vcc
	s_cbranch_execz .LBB839_907
.LBB839_963:                            ;   in Loop: Header=BB839_908 Depth=2
	s_waitcnt vmcnt(0)
	v_xor_b32_e32 v65, 0x80000000, v63
	v_mov_b32_e32 v64, v62
	v_lshrrev_b64 v[64:65], s84, v[64:65]
	v_and_b32_e32 v5, s68, v64
	v_lshl_or_b32 v5, v5, 4, v133
	ds_add_u32 v5, v117
	s_branch .LBB839_907
.LBB839_964:                            ;   in Loop: Header=BB839_908 Depth=2
	s_or_b64 exec, exec, s[20:21]
	v_cmp_gt_u32_e32 vcc, s22, v7
	s_and_saveexec_b64 s[20:21], vcc
	s_cbranch_execz .LBB839_914
.LBB839_965:                            ;   in Loop: Header=BB839_908 Depth=2
	global_load_dwordx2 v[58:59], v118, s[18:19] offset:2048
	s_or_b64 exec, exec, s[20:21]
	v_cmp_gt_u32_e32 vcc, s22, v6
	s_and_saveexec_b64 s[20:21], vcc
	s_cbranch_execnz .LBB839_915
.LBB839_966:                            ;   in Loop: Header=BB839_908 Depth=2
	s_or_b64 exec, exec, s[20:21]
	v_cmp_gt_u32_e32 vcc, s22, v8
	s_and_saveexec_b64 s[20:21], vcc
	s_cbranch_execz .LBB839_916
.LBB839_967:                            ;   in Loop: Header=BB839_908 Depth=2
	global_load_dwordx2 v[54:55], v120, s[18:19]
	s_or_b64 exec, exec, s[20:21]
	v_cmp_gt_u32_e32 vcc, s22, v10
	s_and_saveexec_b64 s[20:21], vcc
	s_cbranch_execnz .LBB839_917
.LBB839_968:                            ;   in Loop: Header=BB839_908 Depth=2
	s_or_b64 exec, exec, s[20:21]
	v_cmp_gt_u32_e32 vcc, s22, v12
	s_and_saveexec_b64 s[20:21], vcc
	s_cbranch_execz .LBB839_918
.LBB839_969:                            ;   in Loop: Header=BB839_908 Depth=2
	global_load_dwordx2 v[50:51], v122, s[18:19]
	s_or_b64 exec, exec, s[20:21]
	v_cmp_gt_u32_e32 vcc, s22, v14
	s_and_saveexec_b64 s[20:21], vcc
	s_cbranch_execnz .LBB839_919
.LBB839_970:                            ;   in Loop: Header=BB839_908 Depth=2
	s_or_b64 exec, exec, s[20:21]
	v_cmp_gt_u32_e32 vcc, s22, v16
	s_and_saveexec_b64 s[20:21], vcc
	s_cbranch_execz .LBB839_920
.LBB839_971:                            ;   in Loop: Header=BB839_908 Depth=2
	global_load_dwordx2 v[46:47], v124, s[18:19]
	s_or_b64 exec, exec, s[20:21]
	v_cmp_gt_u32_e32 vcc, s22, v18
	s_and_saveexec_b64 s[20:21], vcc
	s_cbranch_execnz .LBB839_921
.LBB839_972:                            ;   in Loop: Header=BB839_908 Depth=2
	s_or_b64 exec, exec, s[20:21]
	v_cmp_gt_u32_e32 vcc, s22, v20
	s_and_saveexec_b64 s[20:21], vcc
	s_cbranch_execz .LBB839_922
.LBB839_973:                            ;   in Loop: Header=BB839_908 Depth=2
	global_load_dwordx2 v[42:43], v126, s[18:19]
	s_or_b64 exec, exec, s[20:21]
	v_cmp_gt_u32_e32 vcc, s22, v22
	s_and_saveexec_b64 s[20:21], vcc
	s_cbranch_execnz .LBB839_923
.LBB839_974:                            ;   in Loop: Header=BB839_908 Depth=2
	s_or_b64 exec, exec, s[20:21]
	v_cmp_gt_u32_e32 vcc, s22, v24
	s_and_saveexec_b64 s[20:21], vcc
	s_cbranch_execz .LBB839_924
.LBB839_975:                            ;   in Loop: Header=BB839_908 Depth=2
	global_load_dwordx2 v[38:39], v128, s[18:19]
	s_or_b64 exec, exec, s[20:21]
	v_cmp_gt_u32_e32 vcc, s22, v26
	s_and_saveexec_b64 s[20:21], vcc
	s_cbranch_execnz .LBB839_925
.LBB839_976:                            ;   in Loop: Header=BB839_908 Depth=2
	s_or_b64 exec, exec, s[20:21]
	v_cmp_gt_u32_e32 vcc, s22, v28
	s_and_saveexec_b64 s[20:21], vcc
	s_cbranch_execz .LBB839_926
.LBB839_977:                            ;   in Loop: Header=BB839_908 Depth=2
	global_load_dwordx2 v[34:35], v130, s[18:19]
	s_or_b64 exec, exec, s[20:21]
	v_cmp_gt_u32_e32 vcc, s22, v30
	s_and_saveexec_b64 s[20:21], vcc
	s_cbranch_execz .LBB839_928
	s_branch .LBB839_927
.LBB839_978:                            ;   in Loop: Header=BB839_20 Depth=1
	v_mov_b32_e32 v0, 0
	s_waitcnt lgkmcnt(0)
	s_barrier
	s_and_saveexec_b64 s[16:17], s[4:5]
	s_cbranch_execz .LBB839_980
; %bb.979:                              ;   in Loop: Header=BB839_20 Depth=1
	ds_read2_b64 v[34:37], v13 offset1:1
	s_waitcnt lgkmcnt(0)
	v_add_u32_e32 v0, v35, v34
	v_add3_u32 v0, v0, v36, v37
.LBB839_980:                            ;   in Loop: Header=BB839_20 Depth=1
	s_or_b64 exec, exec, s[16:17]
	s_nop 0
	v_mov_b32_dpp v1, v0 row_shr:1 row_mask:0xf bank_mask:0xf
	v_cmp_eq_u32_e64 s[16:17], 0, v135
	v_cndmask_b32_e64 v1, v1, 0, s[16:17]
	v_add_u32_e32 v0, v1, v0
	v_cmp_lt_u32_e64 s[18:19], 1, v135
	v_cmp_lt_u32_e64 s[20:21], 3, v135
	v_mov_b32_dpp v1, v0 row_shr:2 row_mask:0xf bank_mask:0xf
	v_cndmask_b32_e64 v1, 0, v1, s[18:19]
	v_add_u32_e32 v0, v0, v1
	v_cmp_lt_u32_e64 s[22:23], 7, v135
	v_cmp_lt_u32_e64 s[26:27], 31, v134
	v_mov_b32_dpp v1, v0 row_shr:4 row_mask:0xf bank_mask:0xf
	v_cndmask_b32_e64 v1, 0, v1, s[20:21]
	v_add_u32_e32 v0, v0, v1
	v_cmp_eq_u32_e64 s[24:25], 0, v137
	s_nop 0
	v_mov_b32_dpp v1, v0 row_shr:8 row_mask:0xf bank_mask:0xf
	v_cndmask_b32_e64 v1, 0, v1, s[22:23]
	v_add_u32_e32 v0, v0, v1
	s_nop 1
	v_mov_b32_dpp v1, v0 row_bcast:15 row_mask:0xf bank_mask:0xf
	v_and_b32_e32 v1, v136, v1
	v_add_u32_e32 v0, v0, v1
	s_nop 1
	v_mov_b32_dpp v1, v0 row_bcast:31 row_mask:0xf bank_mask:0xf
	v_cndmask_b32_e64 v1, 0, v1, s[26:27]
	v_add_u32_e32 v0, v0, v1
	s_and_saveexec_b64 s[28:29], s[6:7]
	v_readlane_b32 s38, v235, 2
	s_cbranch_execz .LBB839_982
; %bb.981:                              ;   in Loop: Header=BB839_20 Depth=1
	ds_write_b32 v17, v0
.LBB839_982:                            ;   in Loop: Header=BB839_20 Depth=1
	s_or_b64 exec, exec, s[28:29]
	s_waitcnt lgkmcnt(0)
	s_barrier
	s_and_saveexec_b64 s[28:29], s[8:9]
	s_cbranch_execz .LBB839_984
; %bb.983:                              ;   in Loop: Header=BB839_20 Depth=1
	ds_read_b32 v1, v19
	v_cmp_ne_u32_e32 vcc, 0, v138
	s_waitcnt lgkmcnt(0)
	v_mov_b32_dpp v5, v1 row_shr:1 row_mask:0xf bank_mask:0xf
	v_cndmask_b32_e32 v5, 0, v5, vcc
	v_add_u32_e32 v1, v5, v1
	v_cmp_lt_u32_e32 vcc, 1, v138
	s_nop 0
	v_mov_b32_dpp v5, v1 row_shr:2 row_mask:0xf bank_mask:0xf
	v_cndmask_b32_e32 v5, 0, v5, vcc
	v_add_u32_e32 v1, v1, v5
	ds_write_b32 v19, v1
.LBB839_984:                            ;   in Loop: Header=BB839_20 Depth=1
	s_or_b64 exec, exec, s[28:29]
	v_mov_b32_e32 v1, 0
	s_waitcnt lgkmcnt(0)
	s_barrier
	s_and_saveexec_b64 s[28:29], s[10:11]
	s_cbranch_execz .LBB839_986
; %bb.985:                              ;   in Loop: Header=BB839_20 Depth=1
	ds_read_b32 v1, v21
.LBB839_986:                            ;   in Loop: Header=BB839_20 Depth=1
	s_or_b64 exec, exec, s[28:29]
	v_cmp_lt_i32_e32 vcc, v139, v140
	v_cndmask_b32_e32 v5, v139, v134, vcc
	s_waitcnt lgkmcnt(0)
	v_add_u32_e32 v0, v1, v0
	v_lshlrev_b32_e32 v158, 2, v5
	ds_bpermute_b32 v0, v158, v0
	v_cmp_eq_u32_e64 s[28:29], 0, v134
	s_waitcnt lgkmcnt(0)
	s_barrier
	s_and_saveexec_b64 s[30:31], s[4:5]
	s_cbranch_execz .LBB839_988
; %bb.987:                              ;   in Loop: Header=BB839_20 Depth=1
	v_cndmask_b32_e64 v0, v0, v1, s[28:29]
	v_add_u32_e32 v0, s38, v0
	ds_write_b32 v3, v0
.LBB839_988:                            ;   in Loop: Header=BB839_20 Depth=1
	s_or_b64 exec, exec, s[30:31]
	s_load_dwordx2 s[30:31], s[90:91], 0x0
	v_readlane_b32 s34, v235, 1
	v_add_co_u32_e32 v159, vcc, v113, v141
	v_addc_co_u32_e32 v160, vcc, 0, v114, vcc
	s_waitcnt lgkmcnt(0)
	s_cmp_lt_u32 s34, s30
	v_readlane_b32 s30, v235, 0
	s_cselect_b32 s34, 12, 18
	s_cmp_lt_u32 s30, s31
	s_cselect_b32 s30, 14, 20
	s_add_u32 s30, s90, s30
	s_addc_u32 s31, s91, 0
	s_add_u32 s34, s90, s34
	global_load_ushort v5, v4, s[30:31]
	s_addc_u32 s35, s91, 0
	global_load_ushort v64, v4, s[34:35]
	v_add_co_u32_e32 v161, vcc, v115, v141
	v_addc_co_u32_e32 v162, vcc, 0, v116, vcc
	v_add_co_u32_e32 v176, vcc, 0x1e00, v161
	v_cmp_eq_u32_e64 s[30:31], 0, v138
	v_cmp_lt_u32_e64 s[34:35], 1, v138
	s_mov_b32 s69, s85
	v_addc_co_u32_e32 v179, vcc, 0, v162, vcc
	s_mov_b32 s88, s38
                                        ; implicit-def: $vgpr0_vgpr1
                                        ; implicit-def: $vgpr34_vgpr35
                                        ; implicit-def: $vgpr36_vgpr37
                                        ; implicit-def: $vgpr40_vgpr41
                                        ; implicit-def: $vgpr44_vgpr45
                                        ; implicit-def: $vgpr48_vgpr49
                                        ; implicit-def: $vgpr52_vgpr53
                                        ; implicit-def: $vgpr56_vgpr57
                                        ; implicit-def: $vgpr38_vgpr39
                                        ; implicit-def: $vgpr42_vgpr43
                                        ; implicit-def: $vgpr46_vgpr47
                                        ; implicit-def: $vgpr50_vgpr51
                                        ; implicit-def: $vgpr54_vgpr55
                                        ; implicit-def: $vgpr58_vgpr59
                                        ; implicit-def: $vgpr60_vgpr61
                                        ; implicit-def: $vgpr62_vgpr63
                                        ; implicit-def: $vgpr163
                                        ; implicit-def: $vgpr164
                                        ; implicit-def: $vgpr165
                                        ; implicit-def: $vgpr166
                                        ; implicit-def: $vgpr167
                                        ; implicit-def: $vgpr168
                                        ; implicit-def: $vgpr169
                                        ; implicit-def: $vgpr170
                                        ; implicit-def: $vgpr171
                                        ; implicit-def: $vgpr172
                                        ; implicit-def: $vgpr173
                                        ; implicit-def: $vgpr174
                                        ; implicit-def: $vgpr175
                                        ; implicit-def: $vgpr177
                                        ; implicit-def: $vgpr178
                                        ; implicit-def: $vgpr180
	s_waitcnt vmcnt(1)
	v_mad_u32_u24 v5, v23, v5, v25
	s_waitcnt vmcnt(0)
	v_mad_u64_u32 v[64:65], s[36:37], v5, v64, v[2:3]
	v_lshrrev_b32_e32 v181, 6, v64
	s_branch .LBB839_990
.LBB839_989:                            ;   in Loop: Header=BB839_990 Depth=2
	s_or_b64 exec, exec, s[36:37]
	s_addk_i32 s69, 0xf000
	s_cmp_lt_u32 s86, s94
	s_mov_b32 s88, s86
	s_cbranch_scc0 .LBB839_18
.LBB839_990:                            ;   Parent Loop BB839_20 Depth=1
                                        ; =>  This Inner Loop Header: Depth=2
	s_add_i32 s86, s88, 0x1000
	s_cmp_gt_u32 s86, s94
	s_cbranch_scc1 .LBB839_992
; %bb.991:                              ;   in Loop: Header=BB839_990 Depth=2
	s_lshl_b64 s[36:37], s[88:89], 3
	v_mov_b32_e32 v5, s37
	v_add_co_u32_e32 v80, vcc, s36, v161
	v_addc_co_u32_e32 v81, vcc, v162, v5, vcc
	v_add_co_u32_e32 v92, vcc, 0x1000, v80
	global_load_dwordx2 v[64:65], v[80:81], off
	global_load_dwordx2 v[66:67], v[80:81], off offset:512
	global_load_dwordx2 v[68:69], v[80:81], off offset:1024
	;; [unrolled: 1-line block ×7, first 2 shown]
	v_addc_co_u32_e32 v93, vcc, 0, v81, vcc
	global_load_dwordx2 v[80:81], v[92:93], off
	global_load_dwordx2 v[82:83], v[92:93], off offset:512
	global_load_dwordx2 v[84:85], v[92:93], off offset:1024
	;; [unrolled: 1-line block ×5, first 2 shown]
	s_nop 0
	global_load_dwordx2 v[92:93], v[92:93], off offset:3072
	s_movk_i32 s40, 0x1000
	s_mov_b64 s[36:37], -1
	s_cbranch_execz .LBB839_993
	s_branch .LBB839_1024
.LBB839_992:                            ;   in Loop: Header=BB839_990 Depth=2
	s_mov_b64 s[36:37], 0
                                        ; implicit-def: $sgpr40
                                        ; implicit-def: $vgpr64_vgpr65
                                        ; implicit-def: $vgpr66_vgpr67
                                        ; implicit-def: $vgpr68_vgpr69
                                        ; implicit-def: $vgpr70_vgpr71
                                        ; implicit-def: $vgpr72_vgpr73
                                        ; implicit-def: $vgpr74_vgpr75
                                        ; implicit-def: $vgpr76_vgpr77
                                        ; implicit-def: $vgpr78_vgpr79
                                        ; implicit-def: $vgpr80_vgpr81
                                        ; implicit-def: $vgpr82_vgpr83
                                        ; implicit-def: $vgpr84_vgpr85
                                        ; implicit-def: $vgpr86_vgpr87
                                        ; implicit-def: $vgpr88_vgpr89
                                        ; implicit-def: $vgpr90_vgpr91
                                        ; implicit-def: $vgpr92_vgpr93
.LBB839_993:                            ;   in Loop: Header=BB839_990 Depth=2
	s_lshl_b64 s[36:37], s[88:89], 3
	v_mov_b32_e32 v5, s37
	v_add_co_u32_e32 v94, vcc, s36, v161
	v_addc_co_u32_e32 v95, vcc, v162, v5, vcc
	v_cmp_gt_u32_e32 vcc, s69, v142
	s_waitcnt vmcnt(14)
	v_pk_mov_b32 v[64:65], s[78:79], s[78:79] op_sel:[0,1]
	s_and_saveexec_b64 s[36:37], vcc
	s_cbranch_execz .LBB839_995
; %bb.994:                              ;   in Loop: Header=BB839_990 Depth=2
	global_load_dwordx2 v[64:65], v[94:95], off
.LBB839_995:                            ;   in Loop: Header=BB839_990 Depth=2
	s_or_b64 exec, exec, s[36:37]
	v_cmp_gt_u32_e32 vcc, s69, v143
	s_waitcnt vmcnt(13)
	v_pk_mov_b32 v[66:67], s[78:79], s[78:79] op_sel:[0,1]
	s_and_saveexec_b64 s[36:37], vcc
	s_cbranch_execz .LBB839_997
; %bb.996:                              ;   in Loop: Header=BB839_990 Depth=2
	global_load_dwordx2 v[66:67], v[94:95], off offset:512
.LBB839_997:                            ;   in Loop: Header=BB839_990 Depth=2
	s_or_b64 exec, exec, s[36:37]
	v_cmp_gt_u32_e32 vcc, s69, v144
	s_waitcnt vmcnt(12)
	v_pk_mov_b32 v[68:69], s[78:79], s[78:79] op_sel:[0,1]
	s_and_saveexec_b64 s[36:37], vcc
	s_cbranch_execz .LBB839_999
; %bb.998:                              ;   in Loop: Header=BB839_990 Depth=2
	global_load_dwordx2 v[68:69], v[94:95], off offset:1024
.LBB839_999:                            ;   in Loop: Header=BB839_990 Depth=2
	s_or_b64 exec, exec, s[36:37]
	v_cmp_gt_u32_e32 vcc, s69, v145
	s_waitcnt vmcnt(11)
	v_pk_mov_b32 v[70:71], s[78:79], s[78:79] op_sel:[0,1]
	s_and_saveexec_b64 s[36:37], vcc
	s_cbranch_execz .LBB839_1001
; %bb.1000:                             ;   in Loop: Header=BB839_990 Depth=2
	global_load_dwordx2 v[70:71], v[94:95], off offset:1536
.LBB839_1001:                           ;   in Loop: Header=BB839_990 Depth=2
	s_or_b64 exec, exec, s[36:37]
	v_cmp_gt_u32_e32 vcc, s69, v146
	s_waitcnt vmcnt(10)
	v_pk_mov_b32 v[72:73], s[78:79], s[78:79] op_sel:[0,1]
	s_and_saveexec_b64 s[36:37], vcc
	s_cbranch_execz .LBB839_1003
; %bb.1002:                             ;   in Loop: Header=BB839_990 Depth=2
	global_load_dwordx2 v[72:73], v[94:95], off offset:2048
.LBB839_1003:                           ;   in Loop: Header=BB839_990 Depth=2
	;; [unrolled: 9-line block ×5, first 2 shown]
	s_or_b64 exec, exec, s[36:37]
	v_cmp_gt_u32_e32 vcc, s69, v150
	s_waitcnt vmcnt(6)
	v_pk_mov_b32 v[80:81], s[78:79], s[78:79] op_sel:[0,1]
	s_and_saveexec_b64 s[36:37], vcc
	s_cbranch_execz .LBB839_1011
; %bb.1010:                             ;   in Loop: Header=BB839_990 Depth=2
	v_add_co_u32_e32 v80, vcc, 0x1000, v94
	v_addc_co_u32_e32 v81, vcc, 0, v95, vcc
	global_load_dwordx2 v[80:81], v[80:81], off
.LBB839_1011:                           ;   in Loop: Header=BB839_990 Depth=2
	s_or_b64 exec, exec, s[36:37]
	v_cmp_gt_u32_e32 vcc, s69, v151
	s_waitcnt vmcnt(5)
	v_pk_mov_b32 v[82:83], s[78:79], s[78:79] op_sel:[0,1]
	s_and_saveexec_b64 s[36:37], vcc
	s_cbranch_execz .LBB839_1013
; %bb.1012:                             ;   in Loop: Header=BB839_990 Depth=2
	v_add_co_u32_e32 v82, vcc, 0x1000, v94
	v_addc_co_u32_e32 v83, vcc, 0, v95, vcc
	global_load_dwordx2 v[82:83], v[82:83], off offset:512
.LBB839_1013:                           ;   in Loop: Header=BB839_990 Depth=2
	s_or_b64 exec, exec, s[36:37]
	v_cmp_gt_u32_e32 vcc, s69, v152
	s_waitcnt vmcnt(4)
	v_pk_mov_b32 v[84:85], s[78:79], s[78:79] op_sel:[0,1]
	s_and_saveexec_b64 s[36:37], vcc
	s_cbranch_execz .LBB839_1015
; %bb.1014:                             ;   in Loop: Header=BB839_990 Depth=2
	v_add_co_u32_e32 v84, vcc, 0x1000, v94
	v_addc_co_u32_e32 v85, vcc, 0, v95, vcc
	global_load_dwordx2 v[84:85], v[84:85], off offset:1024
.LBB839_1015:                           ;   in Loop: Header=BB839_990 Depth=2
	;; [unrolled: 11-line block ×6, first 2 shown]
	s_or_b64 exec, exec, s[36:37]
	s_sub_i32 s40, s94, s88
	v_cmp_gt_u32_e64 s[36:37], s69, v157
.LBB839_1024:                           ;   in Loop: Header=BB839_990 Depth=2
	v_pk_mov_b32 v[94:95], s[78:79], s[78:79] op_sel:[0,1]
	v_mov_b32_e32 v182, s69
	s_and_saveexec_b64 s[38:39], s[36:37]
	s_cbranch_execz .LBB839_1026
; %bb.1025:                             ;   in Loop: Header=BB839_990 Depth=2
	s_lshl_b64 s[36:37], s[88:89], 3
	v_mov_b32_e32 v5, s37
	v_add_co_u32_e32 v94, vcc, s36, v176
	v_addc_co_u32_e32 v95, vcc, v179, v5, vcc
	global_load_dwordx2 v[94:95], v[94:95], off
	v_mov_b32_e32 v182, s40
.LBB839_1026:                           ;   in Loop: Header=BB839_990 Depth=2
	s_or_b64 exec, exec, s[38:39]
	s_waitcnt vmcnt(14)
	v_xor_b32_e32 v65, 0x80000000, v65
	v_lshrrev_b64 v[96:97], s84, v[64:65]
	v_add_u32_e32 v5, 0x410, v27
	v_and_b32_e32 v96, s68, v96
	ds_write2_b32 v5, v4, v4 offset1:1
	ds_write2_b32 v31, v4, v4 offset0:2 offset1:3
	ds_write_b32 v31, v4 offset:16
	v_mad_u32_u24 v5, v96, 5, v181
	v_lshl_add_u32 v183, v5, 2, v29
	v_and_b32_e32 v5, 1, v96
	v_add_co_u32_e32 v97, vcc, -1, v5
	v_addc_co_u32_e64 v98, s[36:37], 0, -1, vcc
	v_cmp_ne_u32_e32 vcc, 0, v5
	v_xor_b32_e32 v5, vcc_hi, v98
	v_and_b32_e32 v98, exec_hi, v5
	v_lshlrev_b32_e32 v5, 30, v96
	v_xor_b32_e32 v97, vcc_lo, v97
	v_cmp_gt_i64_e32 vcc, 0, v[4:5]
	v_not_b32_e32 v5, v5
	v_ashrrev_i32_e32 v5, 31, v5
	v_and_b32_e32 v97, exec_lo, v97
	v_xor_b32_e32 v99, vcc_hi, v5
	v_xor_b32_e32 v5, vcc_lo, v5
	v_and_b32_e32 v97, v97, v5
	v_lshlrev_b32_e32 v5, 29, v96
	v_cmp_gt_i64_e32 vcc, 0, v[4:5]
	v_not_b32_e32 v5, v5
	v_ashrrev_i32_e32 v5, 31, v5
	v_and_b32_e32 v98, v98, v99
	v_xor_b32_e32 v99, vcc_hi, v5
	v_xor_b32_e32 v5, vcc_lo, v5
	v_and_b32_e32 v97, v97, v5
	v_lshlrev_b32_e32 v5, 28, v96
	v_cmp_gt_i64_e32 vcc, 0, v[4:5]
	v_not_b32_e32 v5, v5
	v_ashrrev_i32_e32 v5, 31, v5
	v_and_b32_e32 v98, v98, v99
	;; [unrolled: 8-line block ×5, first 2 shown]
	v_xor_b32_e32 v99, vcc_hi, v5
	v_xor_b32_e32 v5, vcc_lo, v5
	v_and_b32_e32 v98, v98, v99
	v_and_b32_e32 v99, v97, v5
	v_lshlrev_b32_e32 v5, 24, v96
	v_cmp_gt_i64_e32 vcc, 0, v[4:5]
	v_not_b32_e32 v5, v5
	v_ashrrev_i32_e32 v5, 31, v5
	v_xor_b32_e32 v96, vcc_hi, v5
	v_xor_b32_e32 v5, vcc_lo, v5
	v_and_b32_e32 v97, v98, v96
	v_and_b32_e32 v96, v99, v5
	v_mbcnt_lo_u32_b32 v5, v96, 0
	v_mbcnt_hi_u32_b32 v184, v97, v5
	v_cmp_eq_u32_e32 vcc, 0, v184
	v_cmp_ne_u64_e64 s[36:37], 0, v[96:97]
	s_and_b64 s[38:39], s[36:37], vcc
	s_waitcnt lgkmcnt(0)
	s_barrier
	s_waitcnt lgkmcnt(0)
	; wave barrier
	s_and_saveexec_b64 s[36:37], s[38:39]
	s_cbranch_execz .LBB839_1028
; %bb.1027:                             ;   in Loop: Header=BB839_990 Depth=2
	v_bcnt_u32_b32 v5, v96, 0
	v_bcnt_u32_b32 v5, v97, v5
	ds_write_b32 v183, v5
.LBB839_1028:                           ;   in Loop: Header=BB839_990 Depth=2
	s_or_b64 exec, exec, s[36:37]
	s_waitcnt vmcnt(13)
	v_xor_b32_e32 v67, 0x80000000, v67
	v_lshrrev_b64 v[96:97], s84, v[66:67]
	v_and_b32_e32 v96, s68, v96
	v_mul_u32_u24_e32 v5, 5, v96
	v_add_lshl_u32 v5, v5, v181, 2
	; wave barrier
	v_add_u32_e32 v186, 0x410, v5
	ds_read_b32 v185, v5 offset:1040
	v_and_b32_e32 v5, 1, v96
	v_add_co_u32_e32 v97, vcc, -1, v5
	v_addc_co_u32_e64 v98, s[36:37], 0, -1, vcc
	v_cmp_ne_u32_e32 vcc, 0, v5
	v_xor_b32_e32 v5, vcc_hi, v98
	v_and_b32_e32 v98, exec_hi, v5
	v_lshlrev_b32_e32 v5, 30, v96
	v_xor_b32_e32 v97, vcc_lo, v97
	v_cmp_gt_i64_e32 vcc, 0, v[4:5]
	v_not_b32_e32 v5, v5
	v_ashrrev_i32_e32 v5, 31, v5
	v_and_b32_e32 v97, exec_lo, v97
	v_xor_b32_e32 v99, vcc_hi, v5
	v_xor_b32_e32 v5, vcc_lo, v5
	v_and_b32_e32 v97, v97, v5
	v_lshlrev_b32_e32 v5, 29, v96
	v_cmp_gt_i64_e32 vcc, 0, v[4:5]
	v_not_b32_e32 v5, v5
	v_ashrrev_i32_e32 v5, 31, v5
	v_and_b32_e32 v98, v98, v99
	v_xor_b32_e32 v99, vcc_hi, v5
	v_xor_b32_e32 v5, vcc_lo, v5
	v_and_b32_e32 v97, v97, v5
	v_lshlrev_b32_e32 v5, 28, v96
	v_cmp_gt_i64_e32 vcc, 0, v[4:5]
	v_not_b32_e32 v5, v5
	v_ashrrev_i32_e32 v5, 31, v5
	v_and_b32_e32 v98, v98, v99
	;; [unrolled: 8-line block ×5, first 2 shown]
	v_xor_b32_e32 v99, vcc_hi, v5
	v_xor_b32_e32 v5, vcc_lo, v5
	v_and_b32_e32 v98, v98, v99
	v_and_b32_e32 v99, v97, v5
	v_lshlrev_b32_e32 v5, 24, v96
	v_cmp_gt_i64_e32 vcc, 0, v[4:5]
	v_not_b32_e32 v5, v5
	v_ashrrev_i32_e32 v5, 31, v5
	v_xor_b32_e32 v96, vcc_hi, v5
	v_xor_b32_e32 v5, vcc_lo, v5
	v_and_b32_e32 v97, v98, v96
	v_and_b32_e32 v96, v99, v5
	v_mbcnt_lo_u32_b32 v5, v96, 0
	v_mbcnt_hi_u32_b32 v187, v97, v5
	v_cmp_eq_u32_e32 vcc, 0, v187
	v_cmp_ne_u64_e64 s[36:37], 0, v[96:97]
	s_and_b64 s[38:39], s[36:37], vcc
	; wave barrier
	s_and_saveexec_b64 s[36:37], s[38:39]
	s_cbranch_execz .LBB839_1030
; %bb.1029:                             ;   in Loop: Header=BB839_990 Depth=2
	v_bcnt_u32_b32 v5, v96, 0
	v_bcnt_u32_b32 v5, v97, v5
	s_waitcnt lgkmcnt(0)
	v_add_u32_e32 v5, v185, v5
	ds_write_b32 v186, v5
.LBB839_1030:                           ;   in Loop: Header=BB839_990 Depth=2
	s_or_b64 exec, exec, s[36:37]
	s_waitcnt vmcnt(12)
	v_xor_b32_e32 v69, 0x80000000, v69
	v_lshrrev_b64 v[96:97], s84, v[68:69]
	v_and_b32_e32 v96, s68, v96
	v_mul_u32_u24_e32 v5, 5, v96
	v_add_lshl_u32 v5, v5, v181, 2
	; wave barrier
	v_add_u32_e32 v189, 0x410, v5
	ds_read_b32 v188, v5 offset:1040
	v_and_b32_e32 v5, 1, v96
	v_add_co_u32_e32 v97, vcc, -1, v5
	v_addc_co_u32_e64 v98, s[36:37], 0, -1, vcc
	v_cmp_ne_u32_e32 vcc, 0, v5
	v_xor_b32_e32 v5, vcc_hi, v98
	v_and_b32_e32 v98, exec_hi, v5
	v_lshlrev_b32_e32 v5, 30, v96
	v_xor_b32_e32 v97, vcc_lo, v97
	v_cmp_gt_i64_e32 vcc, 0, v[4:5]
	v_not_b32_e32 v5, v5
	v_ashrrev_i32_e32 v5, 31, v5
	v_and_b32_e32 v97, exec_lo, v97
	v_xor_b32_e32 v99, vcc_hi, v5
	v_xor_b32_e32 v5, vcc_lo, v5
	v_and_b32_e32 v97, v97, v5
	v_lshlrev_b32_e32 v5, 29, v96
	v_cmp_gt_i64_e32 vcc, 0, v[4:5]
	v_not_b32_e32 v5, v5
	v_ashrrev_i32_e32 v5, 31, v5
	v_and_b32_e32 v98, v98, v99
	v_xor_b32_e32 v99, vcc_hi, v5
	v_xor_b32_e32 v5, vcc_lo, v5
	v_and_b32_e32 v97, v97, v5
	v_lshlrev_b32_e32 v5, 28, v96
	v_cmp_gt_i64_e32 vcc, 0, v[4:5]
	v_not_b32_e32 v5, v5
	v_ashrrev_i32_e32 v5, 31, v5
	v_and_b32_e32 v98, v98, v99
	;; [unrolled: 8-line block ×5, first 2 shown]
	v_xor_b32_e32 v99, vcc_hi, v5
	v_xor_b32_e32 v5, vcc_lo, v5
	v_and_b32_e32 v98, v98, v99
	v_and_b32_e32 v99, v97, v5
	v_lshlrev_b32_e32 v5, 24, v96
	v_cmp_gt_i64_e32 vcc, 0, v[4:5]
	v_not_b32_e32 v5, v5
	v_ashrrev_i32_e32 v5, 31, v5
	v_xor_b32_e32 v96, vcc_hi, v5
	v_xor_b32_e32 v5, vcc_lo, v5
	v_and_b32_e32 v97, v98, v96
	v_and_b32_e32 v96, v99, v5
	v_mbcnt_lo_u32_b32 v5, v96, 0
	v_mbcnt_hi_u32_b32 v190, v97, v5
	v_cmp_eq_u32_e32 vcc, 0, v190
	v_cmp_ne_u64_e64 s[36:37], 0, v[96:97]
	s_and_b64 s[38:39], s[36:37], vcc
	; wave barrier
	s_and_saveexec_b64 s[36:37], s[38:39]
	s_cbranch_execz .LBB839_1032
; %bb.1031:                             ;   in Loop: Header=BB839_990 Depth=2
	v_bcnt_u32_b32 v5, v96, 0
	v_bcnt_u32_b32 v5, v97, v5
	s_waitcnt lgkmcnt(0)
	v_add_u32_e32 v5, v188, v5
	ds_write_b32 v189, v5
.LBB839_1032:                           ;   in Loop: Header=BB839_990 Depth=2
	s_or_b64 exec, exec, s[36:37]
	s_waitcnt vmcnt(11)
	v_xor_b32_e32 v71, 0x80000000, v71
	v_lshrrev_b64 v[96:97], s84, v[70:71]
	v_and_b32_e32 v96, s68, v96
	v_mul_u32_u24_e32 v5, 5, v96
	v_add_lshl_u32 v5, v5, v181, 2
	; wave barrier
	v_add_u32_e32 v192, 0x410, v5
	ds_read_b32 v191, v5 offset:1040
	v_and_b32_e32 v5, 1, v96
	v_add_co_u32_e32 v97, vcc, -1, v5
	v_addc_co_u32_e64 v98, s[36:37], 0, -1, vcc
	v_cmp_ne_u32_e32 vcc, 0, v5
	v_xor_b32_e32 v5, vcc_hi, v98
	v_and_b32_e32 v98, exec_hi, v5
	v_lshlrev_b32_e32 v5, 30, v96
	v_xor_b32_e32 v97, vcc_lo, v97
	v_cmp_gt_i64_e32 vcc, 0, v[4:5]
	v_not_b32_e32 v5, v5
	v_ashrrev_i32_e32 v5, 31, v5
	v_and_b32_e32 v97, exec_lo, v97
	v_xor_b32_e32 v99, vcc_hi, v5
	v_xor_b32_e32 v5, vcc_lo, v5
	v_and_b32_e32 v97, v97, v5
	v_lshlrev_b32_e32 v5, 29, v96
	v_cmp_gt_i64_e32 vcc, 0, v[4:5]
	v_not_b32_e32 v5, v5
	v_ashrrev_i32_e32 v5, 31, v5
	v_and_b32_e32 v98, v98, v99
	v_xor_b32_e32 v99, vcc_hi, v5
	v_xor_b32_e32 v5, vcc_lo, v5
	v_and_b32_e32 v97, v97, v5
	v_lshlrev_b32_e32 v5, 28, v96
	v_cmp_gt_i64_e32 vcc, 0, v[4:5]
	v_not_b32_e32 v5, v5
	v_ashrrev_i32_e32 v5, 31, v5
	v_and_b32_e32 v98, v98, v99
	;; [unrolled: 8-line block ×5, first 2 shown]
	v_xor_b32_e32 v99, vcc_hi, v5
	v_xor_b32_e32 v5, vcc_lo, v5
	v_and_b32_e32 v98, v98, v99
	v_and_b32_e32 v99, v97, v5
	v_lshlrev_b32_e32 v5, 24, v96
	v_cmp_gt_i64_e32 vcc, 0, v[4:5]
	v_not_b32_e32 v5, v5
	v_ashrrev_i32_e32 v5, 31, v5
	v_xor_b32_e32 v96, vcc_hi, v5
	v_xor_b32_e32 v5, vcc_lo, v5
	v_and_b32_e32 v97, v98, v96
	v_and_b32_e32 v96, v99, v5
	v_mbcnt_lo_u32_b32 v5, v96, 0
	v_mbcnt_hi_u32_b32 v193, v97, v5
	v_cmp_eq_u32_e32 vcc, 0, v193
	v_cmp_ne_u64_e64 s[36:37], 0, v[96:97]
	s_and_b64 s[38:39], s[36:37], vcc
	; wave barrier
	s_and_saveexec_b64 s[36:37], s[38:39]
	s_cbranch_execz .LBB839_1034
; %bb.1033:                             ;   in Loop: Header=BB839_990 Depth=2
	v_bcnt_u32_b32 v5, v96, 0
	v_bcnt_u32_b32 v5, v97, v5
	s_waitcnt lgkmcnt(0)
	v_add_u32_e32 v5, v191, v5
	ds_write_b32 v192, v5
.LBB839_1034:                           ;   in Loop: Header=BB839_990 Depth=2
	s_or_b64 exec, exec, s[36:37]
	s_waitcnt vmcnt(10)
	v_xor_b32_e32 v73, 0x80000000, v73
	v_lshrrev_b64 v[96:97], s84, v[72:73]
	v_and_b32_e32 v96, s68, v96
	v_mul_u32_u24_e32 v5, 5, v96
	v_add_lshl_u32 v5, v5, v181, 2
	; wave barrier
	v_add_u32_e32 v195, 0x410, v5
	ds_read_b32 v194, v5 offset:1040
	v_and_b32_e32 v5, 1, v96
	v_add_co_u32_e32 v97, vcc, -1, v5
	v_addc_co_u32_e64 v98, s[36:37], 0, -1, vcc
	v_cmp_ne_u32_e32 vcc, 0, v5
	v_xor_b32_e32 v5, vcc_hi, v98
	v_and_b32_e32 v98, exec_hi, v5
	v_lshlrev_b32_e32 v5, 30, v96
	v_xor_b32_e32 v97, vcc_lo, v97
	v_cmp_gt_i64_e32 vcc, 0, v[4:5]
	v_not_b32_e32 v5, v5
	v_ashrrev_i32_e32 v5, 31, v5
	v_and_b32_e32 v97, exec_lo, v97
	v_xor_b32_e32 v99, vcc_hi, v5
	v_xor_b32_e32 v5, vcc_lo, v5
	v_and_b32_e32 v97, v97, v5
	v_lshlrev_b32_e32 v5, 29, v96
	v_cmp_gt_i64_e32 vcc, 0, v[4:5]
	v_not_b32_e32 v5, v5
	v_ashrrev_i32_e32 v5, 31, v5
	v_and_b32_e32 v98, v98, v99
	v_xor_b32_e32 v99, vcc_hi, v5
	v_xor_b32_e32 v5, vcc_lo, v5
	v_and_b32_e32 v97, v97, v5
	v_lshlrev_b32_e32 v5, 28, v96
	v_cmp_gt_i64_e32 vcc, 0, v[4:5]
	v_not_b32_e32 v5, v5
	v_ashrrev_i32_e32 v5, 31, v5
	v_and_b32_e32 v98, v98, v99
	;; [unrolled: 8-line block ×5, first 2 shown]
	v_xor_b32_e32 v99, vcc_hi, v5
	v_xor_b32_e32 v5, vcc_lo, v5
	v_and_b32_e32 v98, v98, v99
	v_and_b32_e32 v99, v97, v5
	v_lshlrev_b32_e32 v5, 24, v96
	v_cmp_gt_i64_e32 vcc, 0, v[4:5]
	v_not_b32_e32 v5, v5
	v_ashrrev_i32_e32 v5, 31, v5
	v_xor_b32_e32 v96, vcc_hi, v5
	v_xor_b32_e32 v5, vcc_lo, v5
	v_and_b32_e32 v97, v98, v96
	v_and_b32_e32 v96, v99, v5
	v_mbcnt_lo_u32_b32 v5, v96, 0
	v_mbcnt_hi_u32_b32 v196, v97, v5
	v_cmp_eq_u32_e32 vcc, 0, v196
	v_cmp_ne_u64_e64 s[36:37], 0, v[96:97]
	s_and_b64 s[38:39], s[36:37], vcc
	; wave barrier
	s_and_saveexec_b64 s[36:37], s[38:39]
	s_cbranch_execz .LBB839_1036
; %bb.1035:                             ;   in Loop: Header=BB839_990 Depth=2
	v_bcnt_u32_b32 v5, v96, 0
	v_bcnt_u32_b32 v5, v97, v5
	s_waitcnt lgkmcnt(0)
	v_add_u32_e32 v5, v194, v5
	ds_write_b32 v195, v5
.LBB839_1036:                           ;   in Loop: Header=BB839_990 Depth=2
	s_or_b64 exec, exec, s[36:37]
	s_waitcnt vmcnt(9)
	v_xor_b32_e32 v75, 0x80000000, v75
	v_lshrrev_b64 v[96:97], s84, v[74:75]
	v_and_b32_e32 v96, s68, v96
	v_mul_u32_u24_e32 v5, 5, v96
	v_add_lshl_u32 v5, v5, v181, 2
	; wave barrier
	v_add_u32_e32 v198, 0x410, v5
	ds_read_b32 v197, v5 offset:1040
	v_and_b32_e32 v5, 1, v96
	v_add_co_u32_e32 v97, vcc, -1, v5
	v_addc_co_u32_e64 v98, s[36:37], 0, -1, vcc
	v_cmp_ne_u32_e32 vcc, 0, v5
	v_xor_b32_e32 v5, vcc_hi, v98
	v_and_b32_e32 v98, exec_hi, v5
	v_lshlrev_b32_e32 v5, 30, v96
	v_xor_b32_e32 v97, vcc_lo, v97
	v_cmp_gt_i64_e32 vcc, 0, v[4:5]
	v_not_b32_e32 v5, v5
	v_ashrrev_i32_e32 v5, 31, v5
	v_and_b32_e32 v97, exec_lo, v97
	v_xor_b32_e32 v99, vcc_hi, v5
	v_xor_b32_e32 v5, vcc_lo, v5
	v_and_b32_e32 v97, v97, v5
	v_lshlrev_b32_e32 v5, 29, v96
	v_cmp_gt_i64_e32 vcc, 0, v[4:5]
	v_not_b32_e32 v5, v5
	v_ashrrev_i32_e32 v5, 31, v5
	v_and_b32_e32 v98, v98, v99
	v_xor_b32_e32 v99, vcc_hi, v5
	v_xor_b32_e32 v5, vcc_lo, v5
	v_and_b32_e32 v97, v97, v5
	v_lshlrev_b32_e32 v5, 28, v96
	v_cmp_gt_i64_e32 vcc, 0, v[4:5]
	v_not_b32_e32 v5, v5
	v_ashrrev_i32_e32 v5, 31, v5
	v_and_b32_e32 v98, v98, v99
	;; [unrolled: 8-line block ×5, first 2 shown]
	v_xor_b32_e32 v99, vcc_hi, v5
	v_xor_b32_e32 v5, vcc_lo, v5
	v_and_b32_e32 v98, v98, v99
	v_and_b32_e32 v99, v97, v5
	v_lshlrev_b32_e32 v5, 24, v96
	v_cmp_gt_i64_e32 vcc, 0, v[4:5]
	v_not_b32_e32 v5, v5
	v_ashrrev_i32_e32 v5, 31, v5
	v_xor_b32_e32 v96, vcc_hi, v5
	v_xor_b32_e32 v5, vcc_lo, v5
	v_and_b32_e32 v97, v98, v96
	v_and_b32_e32 v96, v99, v5
	v_mbcnt_lo_u32_b32 v5, v96, 0
	v_mbcnt_hi_u32_b32 v199, v97, v5
	v_cmp_eq_u32_e32 vcc, 0, v199
	v_cmp_ne_u64_e64 s[36:37], 0, v[96:97]
	s_and_b64 s[38:39], s[36:37], vcc
	; wave barrier
	s_and_saveexec_b64 s[36:37], s[38:39]
	s_cbranch_execz .LBB839_1038
; %bb.1037:                             ;   in Loop: Header=BB839_990 Depth=2
	v_bcnt_u32_b32 v5, v96, 0
	v_bcnt_u32_b32 v5, v97, v5
	s_waitcnt lgkmcnt(0)
	v_add_u32_e32 v5, v197, v5
	ds_write_b32 v198, v5
.LBB839_1038:                           ;   in Loop: Header=BB839_990 Depth=2
	s_or_b64 exec, exec, s[36:37]
	s_waitcnt vmcnt(8)
	v_xor_b32_e32 v77, 0x80000000, v77
	v_lshrrev_b64 v[96:97], s84, v[76:77]
	v_and_b32_e32 v96, s68, v96
	v_mul_u32_u24_e32 v5, 5, v96
	v_add_lshl_u32 v5, v5, v181, 2
	; wave barrier
	v_add_u32_e32 v201, 0x410, v5
	ds_read_b32 v200, v5 offset:1040
	v_and_b32_e32 v5, 1, v96
	v_add_co_u32_e32 v97, vcc, -1, v5
	v_addc_co_u32_e64 v98, s[36:37], 0, -1, vcc
	v_cmp_ne_u32_e32 vcc, 0, v5
	v_xor_b32_e32 v5, vcc_hi, v98
	v_and_b32_e32 v98, exec_hi, v5
	v_lshlrev_b32_e32 v5, 30, v96
	v_xor_b32_e32 v97, vcc_lo, v97
	v_cmp_gt_i64_e32 vcc, 0, v[4:5]
	v_not_b32_e32 v5, v5
	v_ashrrev_i32_e32 v5, 31, v5
	v_and_b32_e32 v97, exec_lo, v97
	v_xor_b32_e32 v99, vcc_hi, v5
	v_xor_b32_e32 v5, vcc_lo, v5
	v_and_b32_e32 v97, v97, v5
	v_lshlrev_b32_e32 v5, 29, v96
	v_cmp_gt_i64_e32 vcc, 0, v[4:5]
	v_not_b32_e32 v5, v5
	v_ashrrev_i32_e32 v5, 31, v5
	v_and_b32_e32 v98, v98, v99
	v_xor_b32_e32 v99, vcc_hi, v5
	v_xor_b32_e32 v5, vcc_lo, v5
	v_and_b32_e32 v97, v97, v5
	v_lshlrev_b32_e32 v5, 28, v96
	v_cmp_gt_i64_e32 vcc, 0, v[4:5]
	v_not_b32_e32 v5, v5
	v_ashrrev_i32_e32 v5, 31, v5
	v_and_b32_e32 v98, v98, v99
	;; [unrolled: 8-line block ×5, first 2 shown]
	v_xor_b32_e32 v99, vcc_hi, v5
	v_xor_b32_e32 v5, vcc_lo, v5
	v_and_b32_e32 v98, v98, v99
	v_and_b32_e32 v99, v97, v5
	v_lshlrev_b32_e32 v5, 24, v96
	v_cmp_gt_i64_e32 vcc, 0, v[4:5]
	v_not_b32_e32 v5, v5
	v_ashrrev_i32_e32 v5, 31, v5
	v_xor_b32_e32 v96, vcc_hi, v5
	v_xor_b32_e32 v5, vcc_lo, v5
	v_and_b32_e32 v97, v98, v96
	v_and_b32_e32 v96, v99, v5
	v_mbcnt_lo_u32_b32 v5, v96, 0
	v_mbcnt_hi_u32_b32 v202, v97, v5
	v_cmp_eq_u32_e32 vcc, 0, v202
	v_cmp_ne_u64_e64 s[36:37], 0, v[96:97]
	s_and_b64 s[38:39], s[36:37], vcc
	; wave barrier
	s_and_saveexec_b64 s[36:37], s[38:39]
	s_cbranch_execz .LBB839_1040
; %bb.1039:                             ;   in Loop: Header=BB839_990 Depth=2
	v_bcnt_u32_b32 v5, v96, 0
	v_bcnt_u32_b32 v5, v97, v5
	s_waitcnt lgkmcnt(0)
	v_add_u32_e32 v5, v200, v5
	ds_write_b32 v201, v5
.LBB839_1040:                           ;   in Loop: Header=BB839_990 Depth=2
	s_or_b64 exec, exec, s[36:37]
	s_waitcnt vmcnt(7)
	v_xor_b32_e32 v79, 0x80000000, v79
	v_lshrrev_b64 v[96:97], s84, v[78:79]
	v_and_b32_e32 v96, s68, v96
	v_mul_u32_u24_e32 v5, 5, v96
	v_add_lshl_u32 v5, v5, v181, 2
	; wave barrier
	v_add_u32_e32 v204, 0x410, v5
	ds_read_b32 v203, v5 offset:1040
	v_and_b32_e32 v5, 1, v96
	v_add_co_u32_e32 v97, vcc, -1, v5
	v_addc_co_u32_e64 v98, s[36:37], 0, -1, vcc
	v_cmp_ne_u32_e32 vcc, 0, v5
	v_xor_b32_e32 v5, vcc_hi, v98
	v_and_b32_e32 v98, exec_hi, v5
	v_lshlrev_b32_e32 v5, 30, v96
	v_xor_b32_e32 v97, vcc_lo, v97
	v_cmp_gt_i64_e32 vcc, 0, v[4:5]
	v_not_b32_e32 v5, v5
	v_ashrrev_i32_e32 v5, 31, v5
	v_and_b32_e32 v97, exec_lo, v97
	v_xor_b32_e32 v99, vcc_hi, v5
	v_xor_b32_e32 v5, vcc_lo, v5
	v_and_b32_e32 v97, v97, v5
	v_lshlrev_b32_e32 v5, 29, v96
	v_cmp_gt_i64_e32 vcc, 0, v[4:5]
	v_not_b32_e32 v5, v5
	v_ashrrev_i32_e32 v5, 31, v5
	v_and_b32_e32 v98, v98, v99
	v_xor_b32_e32 v99, vcc_hi, v5
	v_xor_b32_e32 v5, vcc_lo, v5
	v_and_b32_e32 v97, v97, v5
	v_lshlrev_b32_e32 v5, 28, v96
	v_cmp_gt_i64_e32 vcc, 0, v[4:5]
	v_not_b32_e32 v5, v5
	v_ashrrev_i32_e32 v5, 31, v5
	v_and_b32_e32 v98, v98, v99
	;; [unrolled: 8-line block ×5, first 2 shown]
	v_xor_b32_e32 v99, vcc_hi, v5
	v_xor_b32_e32 v5, vcc_lo, v5
	v_and_b32_e32 v98, v98, v99
	v_and_b32_e32 v99, v97, v5
	v_lshlrev_b32_e32 v5, 24, v96
	v_cmp_gt_i64_e32 vcc, 0, v[4:5]
	v_not_b32_e32 v5, v5
	v_ashrrev_i32_e32 v5, 31, v5
	v_xor_b32_e32 v96, vcc_hi, v5
	v_xor_b32_e32 v5, vcc_lo, v5
	v_and_b32_e32 v97, v98, v96
	v_and_b32_e32 v96, v99, v5
	v_mbcnt_lo_u32_b32 v5, v96, 0
	v_mbcnt_hi_u32_b32 v205, v97, v5
	v_cmp_eq_u32_e32 vcc, 0, v205
	v_cmp_ne_u64_e64 s[36:37], 0, v[96:97]
	s_and_b64 s[38:39], s[36:37], vcc
	; wave barrier
	s_and_saveexec_b64 s[36:37], s[38:39]
	s_cbranch_execz .LBB839_1042
; %bb.1041:                             ;   in Loop: Header=BB839_990 Depth=2
	v_bcnt_u32_b32 v5, v96, 0
	v_bcnt_u32_b32 v5, v97, v5
	s_waitcnt lgkmcnt(0)
	v_add_u32_e32 v5, v203, v5
	ds_write_b32 v204, v5
.LBB839_1042:                           ;   in Loop: Header=BB839_990 Depth=2
	s_or_b64 exec, exec, s[36:37]
	s_waitcnt vmcnt(6)
	v_xor_b32_e32 v81, 0x80000000, v81
	v_lshrrev_b64 v[96:97], s84, v[80:81]
	v_and_b32_e32 v96, s68, v96
	v_mul_u32_u24_e32 v5, 5, v96
	v_add_lshl_u32 v5, v5, v181, 2
	; wave barrier
	v_add_u32_e32 v207, 0x410, v5
	ds_read_b32 v206, v5 offset:1040
	v_and_b32_e32 v5, 1, v96
	v_add_co_u32_e32 v97, vcc, -1, v5
	v_addc_co_u32_e64 v98, s[36:37], 0, -1, vcc
	v_cmp_ne_u32_e32 vcc, 0, v5
	v_xor_b32_e32 v5, vcc_hi, v98
	v_and_b32_e32 v98, exec_hi, v5
	v_lshlrev_b32_e32 v5, 30, v96
	v_xor_b32_e32 v97, vcc_lo, v97
	v_cmp_gt_i64_e32 vcc, 0, v[4:5]
	v_not_b32_e32 v5, v5
	v_ashrrev_i32_e32 v5, 31, v5
	v_and_b32_e32 v97, exec_lo, v97
	v_xor_b32_e32 v99, vcc_hi, v5
	v_xor_b32_e32 v5, vcc_lo, v5
	v_and_b32_e32 v97, v97, v5
	v_lshlrev_b32_e32 v5, 29, v96
	v_cmp_gt_i64_e32 vcc, 0, v[4:5]
	v_not_b32_e32 v5, v5
	v_ashrrev_i32_e32 v5, 31, v5
	v_and_b32_e32 v98, v98, v99
	v_xor_b32_e32 v99, vcc_hi, v5
	v_xor_b32_e32 v5, vcc_lo, v5
	v_and_b32_e32 v97, v97, v5
	v_lshlrev_b32_e32 v5, 28, v96
	v_cmp_gt_i64_e32 vcc, 0, v[4:5]
	v_not_b32_e32 v5, v5
	v_ashrrev_i32_e32 v5, 31, v5
	v_and_b32_e32 v98, v98, v99
	v_xor_b32_e32 v99, vcc_hi, v5
	v_xor_b32_e32 v5, vcc_lo, v5
	v_and_b32_e32 v97, v97, v5
	v_lshlrev_b32_e32 v5, 27, v96
	v_cmp_gt_i64_e32 vcc, 0, v[4:5]
	v_not_b32_e32 v5, v5
	v_ashrrev_i32_e32 v5, 31, v5
	v_and_b32_e32 v98, v98, v99
	v_xor_b32_e32 v99, vcc_hi, v5
	v_xor_b32_e32 v5, vcc_lo, v5
	v_and_b32_e32 v97, v97, v5
	v_lshlrev_b32_e32 v5, 26, v96
	v_cmp_gt_i64_e32 vcc, 0, v[4:5]
	v_not_b32_e32 v5, v5
	v_ashrrev_i32_e32 v5, 31, v5
	v_and_b32_e32 v98, v98, v99
	v_xor_b32_e32 v99, vcc_hi, v5
	v_xor_b32_e32 v5, vcc_lo, v5
	v_and_b32_e32 v97, v97, v5
	v_lshlrev_b32_e32 v5, 25, v96
	v_cmp_gt_i64_e32 vcc, 0, v[4:5]
	v_not_b32_e32 v5, v5
	v_ashrrev_i32_e32 v5, 31, v5
	v_and_b32_e32 v98, v98, v99
	v_xor_b32_e32 v99, vcc_hi, v5
	v_xor_b32_e32 v5, vcc_lo, v5
	v_and_b32_e32 v98, v98, v99
	v_and_b32_e32 v99, v97, v5
	v_lshlrev_b32_e32 v5, 24, v96
	v_cmp_gt_i64_e32 vcc, 0, v[4:5]
	v_not_b32_e32 v5, v5
	v_ashrrev_i32_e32 v5, 31, v5
	v_xor_b32_e32 v96, vcc_hi, v5
	v_xor_b32_e32 v5, vcc_lo, v5
	v_and_b32_e32 v97, v98, v96
	v_and_b32_e32 v96, v99, v5
	v_mbcnt_lo_u32_b32 v5, v96, 0
	v_mbcnt_hi_u32_b32 v208, v97, v5
	v_cmp_eq_u32_e32 vcc, 0, v208
	v_cmp_ne_u64_e64 s[36:37], 0, v[96:97]
	s_and_b64 s[38:39], s[36:37], vcc
	; wave barrier
	s_and_saveexec_b64 s[36:37], s[38:39]
	s_cbranch_execz .LBB839_1044
; %bb.1043:                             ;   in Loop: Header=BB839_990 Depth=2
	v_bcnt_u32_b32 v5, v96, 0
	v_bcnt_u32_b32 v5, v97, v5
	s_waitcnt lgkmcnt(0)
	v_add_u32_e32 v5, v206, v5
	ds_write_b32 v207, v5
.LBB839_1044:                           ;   in Loop: Header=BB839_990 Depth=2
	s_or_b64 exec, exec, s[36:37]
	s_waitcnt vmcnt(5)
	v_xor_b32_e32 v83, 0x80000000, v83
	v_lshrrev_b64 v[96:97], s84, v[82:83]
	v_and_b32_e32 v96, s68, v96
	v_mul_u32_u24_e32 v5, 5, v96
	v_add_lshl_u32 v5, v5, v181, 2
	; wave barrier
	v_add_u32_e32 v210, 0x410, v5
	ds_read_b32 v209, v5 offset:1040
	v_and_b32_e32 v5, 1, v96
	v_add_co_u32_e32 v97, vcc, -1, v5
	v_addc_co_u32_e64 v98, s[36:37], 0, -1, vcc
	v_cmp_ne_u32_e32 vcc, 0, v5
	v_xor_b32_e32 v5, vcc_hi, v98
	v_and_b32_e32 v98, exec_hi, v5
	v_lshlrev_b32_e32 v5, 30, v96
	v_xor_b32_e32 v97, vcc_lo, v97
	v_cmp_gt_i64_e32 vcc, 0, v[4:5]
	v_not_b32_e32 v5, v5
	v_ashrrev_i32_e32 v5, 31, v5
	v_and_b32_e32 v97, exec_lo, v97
	v_xor_b32_e32 v99, vcc_hi, v5
	v_xor_b32_e32 v5, vcc_lo, v5
	v_and_b32_e32 v97, v97, v5
	v_lshlrev_b32_e32 v5, 29, v96
	v_cmp_gt_i64_e32 vcc, 0, v[4:5]
	v_not_b32_e32 v5, v5
	v_ashrrev_i32_e32 v5, 31, v5
	v_and_b32_e32 v98, v98, v99
	v_xor_b32_e32 v99, vcc_hi, v5
	v_xor_b32_e32 v5, vcc_lo, v5
	v_and_b32_e32 v97, v97, v5
	v_lshlrev_b32_e32 v5, 28, v96
	v_cmp_gt_i64_e32 vcc, 0, v[4:5]
	v_not_b32_e32 v5, v5
	v_ashrrev_i32_e32 v5, 31, v5
	v_and_b32_e32 v98, v98, v99
	;; [unrolled: 8-line block ×5, first 2 shown]
	v_xor_b32_e32 v99, vcc_hi, v5
	v_xor_b32_e32 v5, vcc_lo, v5
	v_and_b32_e32 v98, v98, v99
	v_and_b32_e32 v99, v97, v5
	v_lshlrev_b32_e32 v5, 24, v96
	v_cmp_gt_i64_e32 vcc, 0, v[4:5]
	v_not_b32_e32 v5, v5
	v_ashrrev_i32_e32 v5, 31, v5
	v_xor_b32_e32 v96, vcc_hi, v5
	v_xor_b32_e32 v5, vcc_lo, v5
	v_and_b32_e32 v97, v98, v96
	v_and_b32_e32 v96, v99, v5
	v_mbcnt_lo_u32_b32 v5, v96, 0
	v_mbcnt_hi_u32_b32 v211, v97, v5
	v_cmp_eq_u32_e32 vcc, 0, v211
	v_cmp_ne_u64_e64 s[36:37], 0, v[96:97]
	s_and_b64 s[38:39], s[36:37], vcc
	; wave barrier
	s_and_saveexec_b64 s[36:37], s[38:39]
	s_cbranch_execz .LBB839_1046
; %bb.1045:                             ;   in Loop: Header=BB839_990 Depth=2
	v_bcnt_u32_b32 v5, v96, 0
	v_bcnt_u32_b32 v5, v97, v5
	s_waitcnt lgkmcnt(0)
	v_add_u32_e32 v5, v209, v5
	ds_write_b32 v210, v5
.LBB839_1046:                           ;   in Loop: Header=BB839_990 Depth=2
	s_or_b64 exec, exec, s[36:37]
	s_waitcnt vmcnt(4)
	v_xor_b32_e32 v85, 0x80000000, v85
	v_lshrrev_b64 v[96:97], s84, v[84:85]
	v_and_b32_e32 v96, s68, v96
	v_mul_u32_u24_e32 v5, 5, v96
	v_add_lshl_u32 v5, v5, v181, 2
	; wave barrier
	v_add_u32_e32 v213, 0x410, v5
	ds_read_b32 v212, v5 offset:1040
	v_and_b32_e32 v5, 1, v96
	v_add_co_u32_e32 v97, vcc, -1, v5
	v_addc_co_u32_e64 v98, s[36:37], 0, -1, vcc
	v_cmp_ne_u32_e32 vcc, 0, v5
	v_xor_b32_e32 v5, vcc_hi, v98
	v_and_b32_e32 v98, exec_hi, v5
	v_lshlrev_b32_e32 v5, 30, v96
	v_xor_b32_e32 v97, vcc_lo, v97
	v_cmp_gt_i64_e32 vcc, 0, v[4:5]
	v_not_b32_e32 v5, v5
	v_ashrrev_i32_e32 v5, 31, v5
	v_and_b32_e32 v97, exec_lo, v97
	v_xor_b32_e32 v99, vcc_hi, v5
	v_xor_b32_e32 v5, vcc_lo, v5
	v_and_b32_e32 v97, v97, v5
	v_lshlrev_b32_e32 v5, 29, v96
	v_cmp_gt_i64_e32 vcc, 0, v[4:5]
	v_not_b32_e32 v5, v5
	v_ashrrev_i32_e32 v5, 31, v5
	v_and_b32_e32 v98, v98, v99
	v_xor_b32_e32 v99, vcc_hi, v5
	v_xor_b32_e32 v5, vcc_lo, v5
	v_and_b32_e32 v97, v97, v5
	v_lshlrev_b32_e32 v5, 28, v96
	v_cmp_gt_i64_e32 vcc, 0, v[4:5]
	v_not_b32_e32 v5, v5
	v_ashrrev_i32_e32 v5, 31, v5
	v_and_b32_e32 v98, v98, v99
	v_xor_b32_e32 v99, vcc_hi, v5
	v_xor_b32_e32 v5, vcc_lo, v5
	v_and_b32_e32 v97, v97, v5
	v_lshlrev_b32_e32 v5, 27, v96
	v_cmp_gt_i64_e32 vcc, 0, v[4:5]
	v_not_b32_e32 v5, v5
	v_ashrrev_i32_e32 v5, 31, v5
	v_and_b32_e32 v98, v98, v99
	v_xor_b32_e32 v99, vcc_hi, v5
	v_xor_b32_e32 v5, vcc_lo, v5
	v_and_b32_e32 v97, v97, v5
	v_lshlrev_b32_e32 v5, 26, v96
	v_cmp_gt_i64_e32 vcc, 0, v[4:5]
	v_not_b32_e32 v5, v5
	v_ashrrev_i32_e32 v5, 31, v5
	v_and_b32_e32 v98, v98, v99
	v_xor_b32_e32 v99, vcc_hi, v5
	v_xor_b32_e32 v5, vcc_lo, v5
	v_and_b32_e32 v97, v97, v5
	v_lshlrev_b32_e32 v5, 25, v96
	v_cmp_gt_i64_e32 vcc, 0, v[4:5]
	v_not_b32_e32 v5, v5
	v_ashrrev_i32_e32 v5, 31, v5
	v_and_b32_e32 v98, v98, v99
	v_xor_b32_e32 v99, vcc_hi, v5
	v_xor_b32_e32 v5, vcc_lo, v5
	v_and_b32_e32 v98, v98, v99
	v_and_b32_e32 v99, v97, v5
	v_lshlrev_b32_e32 v5, 24, v96
	v_cmp_gt_i64_e32 vcc, 0, v[4:5]
	v_not_b32_e32 v5, v5
	v_ashrrev_i32_e32 v5, 31, v5
	v_xor_b32_e32 v96, vcc_hi, v5
	v_xor_b32_e32 v5, vcc_lo, v5
	v_and_b32_e32 v97, v98, v96
	v_and_b32_e32 v96, v99, v5
	v_mbcnt_lo_u32_b32 v5, v96, 0
	v_mbcnt_hi_u32_b32 v214, v97, v5
	v_cmp_eq_u32_e32 vcc, 0, v214
	v_cmp_ne_u64_e64 s[36:37], 0, v[96:97]
	s_and_b64 s[38:39], s[36:37], vcc
	; wave barrier
	s_and_saveexec_b64 s[36:37], s[38:39]
	s_cbranch_execz .LBB839_1048
; %bb.1047:                             ;   in Loop: Header=BB839_990 Depth=2
	v_bcnt_u32_b32 v5, v96, 0
	v_bcnt_u32_b32 v5, v97, v5
	s_waitcnt lgkmcnt(0)
	v_add_u32_e32 v5, v212, v5
	ds_write_b32 v213, v5
.LBB839_1048:                           ;   in Loop: Header=BB839_990 Depth=2
	s_or_b64 exec, exec, s[36:37]
	s_waitcnt vmcnt(3)
	v_xor_b32_e32 v87, 0x80000000, v87
	v_lshrrev_b64 v[96:97], s84, v[86:87]
	v_and_b32_e32 v96, s68, v96
	v_mul_u32_u24_e32 v5, 5, v96
	v_add_lshl_u32 v5, v5, v181, 2
	; wave barrier
	v_add_u32_e32 v216, 0x410, v5
	ds_read_b32 v215, v5 offset:1040
	v_and_b32_e32 v5, 1, v96
	v_add_co_u32_e32 v97, vcc, -1, v5
	v_addc_co_u32_e64 v98, s[36:37], 0, -1, vcc
	v_cmp_ne_u32_e32 vcc, 0, v5
	v_xor_b32_e32 v5, vcc_hi, v98
	v_and_b32_e32 v98, exec_hi, v5
	v_lshlrev_b32_e32 v5, 30, v96
	v_xor_b32_e32 v97, vcc_lo, v97
	v_cmp_gt_i64_e32 vcc, 0, v[4:5]
	v_not_b32_e32 v5, v5
	v_ashrrev_i32_e32 v5, 31, v5
	v_and_b32_e32 v97, exec_lo, v97
	v_xor_b32_e32 v99, vcc_hi, v5
	v_xor_b32_e32 v5, vcc_lo, v5
	v_and_b32_e32 v97, v97, v5
	v_lshlrev_b32_e32 v5, 29, v96
	v_cmp_gt_i64_e32 vcc, 0, v[4:5]
	v_not_b32_e32 v5, v5
	v_ashrrev_i32_e32 v5, 31, v5
	v_and_b32_e32 v98, v98, v99
	v_xor_b32_e32 v99, vcc_hi, v5
	v_xor_b32_e32 v5, vcc_lo, v5
	v_and_b32_e32 v97, v97, v5
	v_lshlrev_b32_e32 v5, 28, v96
	v_cmp_gt_i64_e32 vcc, 0, v[4:5]
	v_not_b32_e32 v5, v5
	v_ashrrev_i32_e32 v5, 31, v5
	v_and_b32_e32 v98, v98, v99
	v_xor_b32_e32 v99, vcc_hi, v5
	v_xor_b32_e32 v5, vcc_lo, v5
	v_and_b32_e32 v97, v97, v5
	v_lshlrev_b32_e32 v5, 27, v96
	v_cmp_gt_i64_e32 vcc, 0, v[4:5]
	v_not_b32_e32 v5, v5
	v_ashrrev_i32_e32 v5, 31, v5
	v_and_b32_e32 v98, v98, v99
	v_xor_b32_e32 v99, vcc_hi, v5
	v_xor_b32_e32 v5, vcc_lo, v5
	v_and_b32_e32 v97, v97, v5
	v_lshlrev_b32_e32 v5, 26, v96
	v_cmp_gt_i64_e32 vcc, 0, v[4:5]
	v_not_b32_e32 v5, v5
	v_ashrrev_i32_e32 v5, 31, v5
	v_and_b32_e32 v98, v98, v99
	v_xor_b32_e32 v99, vcc_hi, v5
	v_xor_b32_e32 v5, vcc_lo, v5
	v_and_b32_e32 v97, v97, v5
	v_lshlrev_b32_e32 v5, 25, v96
	v_cmp_gt_i64_e32 vcc, 0, v[4:5]
	v_not_b32_e32 v5, v5
	v_ashrrev_i32_e32 v5, 31, v5
	v_and_b32_e32 v98, v98, v99
	v_xor_b32_e32 v99, vcc_hi, v5
	v_xor_b32_e32 v5, vcc_lo, v5
	v_and_b32_e32 v98, v98, v99
	v_and_b32_e32 v99, v97, v5
	v_lshlrev_b32_e32 v5, 24, v96
	v_cmp_gt_i64_e32 vcc, 0, v[4:5]
	v_not_b32_e32 v5, v5
	v_ashrrev_i32_e32 v5, 31, v5
	v_xor_b32_e32 v96, vcc_hi, v5
	v_xor_b32_e32 v5, vcc_lo, v5
	v_and_b32_e32 v97, v98, v96
	v_and_b32_e32 v96, v99, v5
	v_mbcnt_lo_u32_b32 v5, v96, 0
	v_mbcnt_hi_u32_b32 v217, v97, v5
	v_cmp_eq_u32_e32 vcc, 0, v217
	v_cmp_ne_u64_e64 s[36:37], 0, v[96:97]
	s_and_b64 s[38:39], s[36:37], vcc
	; wave barrier
	s_and_saveexec_b64 s[36:37], s[38:39]
	s_cbranch_execz .LBB839_1050
; %bb.1049:                             ;   in Loop: Header=BB839_990 Depth=2
	v_bcnt_u32_b32 v5, v96, 0
	v_bcnt_u32_b32 v5, v97, v5
	s_waitcnt lgkmcnt(0)
	v_add_u32_e32 v5, v215, v5
	ds_write_b32 v216, v5
.LBB839_1050:                           ;   in Loop: Header=BB839_990 Depth=2
	s_or_b64 exec, exec, s[36:37]
	s_waitcnt vmcnt(2)
	v_xor_b32_e32 v89, 0x80000000, v89
	v_lshrrev_b64 v[96:97], s84, v[88:89]
	v_and_b32_e32 v96, s68, v96
	v_mul_u32_u24_e32 v5, 5, v96
	v_add_lshl_u32 v5, v5, v181, 2
	; wave barrier
	v_add_u32_e32 v219, 0x410, v5
	ds_read_b32 v218, v5 offset:1040
	v_and_b32_e32 v5, 1, v96
	v_add_co_u32_e32 v97, vcc, -1, v5
	v_addc_co_u32_e64 v98, s[36:37], 0, -1, vcc
	v_cmp_ne_u32_e32 vcc, 0, v5
	v_xor_b32_e32 v5, vcc_hi, v98
	v_and_b32_e32 v98, exec_hi, v5
	v_lshlrev_b32_e32 v5, 30, v96
	v_xor_b32_e32 v97, vcc_lo, v97
	v_cmp_gt_i64_e32 vcc, 0, v[4:5]
	v_not_b32_e32 v5, v5
	v_ashrrev_i32_e32 v5, 31, v5
	v_and_b32_e32 v97, exec_lo, v97
	v_xor_b32_e32 v99, vcc_hi, v5
	v_xor_b32_e32 v5, vcc_lo, v5
	v_and_b32_e32 v97, v97, v5
	v_lshlrev_b32_e32 v5, 29, v96
	v_cmp_gt_i64_e32 vcc, 0, v[4:5]
	v_not_b32_e32 v5, v5
	v_ashrrev_i32_e32 v5, 31, v5
	v_and_b32_e32 v98, v98, v99
	v_xor_b32_e32 v99, vcc_hi, v5
	v_xor_b32_e32 v5, vcc_lo, v5
	v_and_b32_e32 v97, v97, v5
	v_lshlrev_b32_e32 v5, 28, v96
	v_cmp_gt_i64_e32 vcc, 0, v[4:5]
	v_not_b32_e32 v5, v5
	v_ashrrev_i32_e32 v5, 31, v5
	v_and_b32_e32 v98, v98, v99
	;; [unrolled: 8-line block ×5, first 2 shown]
	v_xor_b32_e32 v99, vcc_hi, v5
	v_xor_b32_e32 v5, vcc_lo, v5
	v_and_b32_e32 v98, v98, v99
	v_and_b32_e32 v99, v97, v5
	v_lshlrev_b32_e32 v5, 24, v96
	v_cmp_gt_i64_e32 vcc, 0, v[4:5]
	v_not_b32_e32 v5, v5
	v_ashrrev_i32_e32 v5, 31, v5
	v_xor_b32_e32 v96, vcc_hi, v5
	v_xor_b32_e32 v5, vcc_lo, v5
	v_and_b32_e32 v97, v98, v96
	v_and_b32_e32 v96, v99, v5
	v_mbcnt_lo_u32_b32 v5, v96, 0
	v_mbcnt_hi_u32_b32 v220, v97, v5
	v_cmp_eq_u32_e32 vcc, 0, v220
	v_cmp_ne_u64_e64 s[36:37], 0, v[96:97]
	s_and_b64 s[38:39], s[36:37], vcc
	; wave barrier
	s_and_saveexec_b64 s[36:37], s[38:39]
	s_cbranch_execz .LBB839_1052
; %bb.1051:                             ;   in Loop: Header=BB839_990 Depth=2
	v_bcnt_u32_b32 v5, v96, 0
	v_bcnt_u32_b32 v5, v97, v5
	s_waitcnt lgkmcnt(0)
	v_add_u32_e32 v5, v218, v5
	ds_write_b32 v219, v5
.LBB839_1052:                           ;   in Loop: Header=BB839_990 Depth=2
	s_or_b64 exec, exec, s[36:37]
	s_waitcnt vmcnt(1)
	v_xor_b32_e32 v91, 0x80000000, v91
	v_lshrrev_b64 v[96:97], s84, v[90:91]
	v_and_b32_e32 v96, s68, v96
	v_mul_u32_u24_e32 v5, 5, v96
	v_add_lshl_u32 v5, v5, v181, 2
	; wave barrier
	v_add_u32_e32 v222, 0x410, v5
	ds_read_b32 v221, v5 offset:1040
	v_and_b32_e32 v5, 1, v96
	v_add_co_u32_e32 v97, vcc, -1, v5
	v_addc_co_u32_e64 v98, s[36:37], 0, -1, vcc
	v_cmp_ne_u32_e32 vcc, 0, v5
	v_xor_b32_e32 v5, vcc_hi, v98
	v_and_b32_e32 v98, exec_hi, v5
	v_lshlrev_b32_e32 v5, 30, v96
	v_xor_b32_e32 v97, vcc_lo, v97
	v_cmp_gt_i64_e32 vcc, 0, v[4:5]
	v_not_b32_e32 v5, v5
	v_ashrrev_i32_e32 v5, 31, v5
	v_and_b32_e32 v97, exec_lo, v97
	v_xor_b32_e32 v99, vcc_hi, v5
	v_xor_b32_e32 v5, vcc_lo, v5
	v_and_b32_e32 v97, v97, v5
	v_lshlrev_b32_e32 v5, 29, v96
	v_cmp_gt_i64_e32 vcc, 0, v[4:5]
	v_not_b32_e32 v5, v5
	v_ashrrev_i32_e32 v5, 31, v5
	v_and_b32_e32 v98, v98, v99
	v_xor_b32_e32 v99, vcc_hi, v5
	v_xor_b32_e32 v5, vcc_lo, v5
	v_and_b32_e32 v97, v97, v5
	v_lshlrev_b32_e32 v5, 28, v96
	v_cmp_gt_i64_e32 vcc, 0, v[4:5]
	v_not_b32_e32 v5, v5
	v_ashrrev_i32_e32 v5, 31, v5
	v_and_b32_e32 v98, v98, v99
	;; [unrolled: 8-line block ×5, first 2 shown]
	v_xor_b32_e32 v99, vcc_hi, v5
	v_xor_b32_e32 v5, vcc_lo, v5
	v_and_b32_e32 v98, v98, v99
	v_and_b32_e32 v99, v97, v5
	v_lshlrev_b32_e32 v5, 24, v96
	v_cmp_gt_i64_e32 vcc, 0, v[4:5]
	v_not_b32_e32 v5, v5
	v_ashrrev_i32_e32 v5, 31, v5
	v_xor_b32_e32 v96, vcc_hi, v5
	v_xor_b32_e32 v5, vcc_lo, v5
	v_and_b32_e32 v97, v98, v96
	v_and_b32_e32 v96, v99, v5
	v_mbcnt_lo_u32_b32 v5, v96, 0
	v_mbcnt_hi_u32_b32 v223, v97, v5
	v_cmp_eq_u32_e32 vcc, 0, v223
	v_cmp_ne_u64_e64 s[36:37], 0, v[96:97]
	s_and_b64 s[38:39], s[36:37], vcc
	; wave barrier
	s_and_saveexec_b64 s[36:37], s[38:39]
	s_cbranch_execz .LBB839_1054
; %bb.1053:                             ;   in Loop: Header=BB839_990 Depth=2
	v_bcnt_u32_b32 v5, v96, 0
	v_bcnt_u32_b32 v5, v97, v5
	s_waitcnt lgkmcnt(0)
	v_add_u32_e32 v5, v221, v5
	ds_write_b32 v222, v5
.LBB839_1054:                           ;   in Loop: Header=BB839_990 Depth=2
	s_or_b64 exec, exec, s[36:37]
	s_waitcnt vmcnt(0)
	v_xor_b32_e32 v93, 0x80000000, v93
	v_lshrrev_b64 v[96:97], s84, v[92:93]
	v_and_b32_e32 v96, s68, v96
	v_mul_u32_u24_e32 v5, 5, v96
	v_add_lshl_u32 v5, v5, v181, 2
	; wave barrier
	v_add_u32_e32 v225, 0x410, v5
	ds_read_b32 v224, v5 offset:1040
	v_and_b32_e32 v5, 1, v96
	v_add_co_u32_e32 v97, vcc, -1, v5
	v_addc_co_u32_e64 v98, s[36:37], 0, -1, vcc
	v_cmp_ne_u32_e32 vcc, 0, v5
	v_xor_b32_e32 v5, vcc_hi, v98
	v_and_b32_e32 v98, exec_hi, v5
	v_lshlrev_b32_e32 v5, 30, v96
	v_xor_b32_e32 v97, vcc_lo, v97
	v_cmp_gt_i64_e32 vcc, 0, v[4:5]
	v_not_b32_e32 v5, v5
	v_ashrrev_i32_e32 v5, 31, v5
	v_and_b32_e32 v97, exec_lo, v97
	v_xor_b32_e32 v99, vcc_hi, v5
	v_xor_b32_e32 v5, vcc_lo, v5
	v_and_b32_e32 v97, v97, v5
	v_lshlrev_b32_e32 v5, 29, v96
	v_cmp_gt_i64_e32 vcc, 0, v[4:5]
	v_not_b32_e32 v5, v5
	v_ashrrev_i32_e32 v5, 31, v5
	v_and_b32_e32 v98, v98, v99
	v_xor_b32_e32 v99, vcc_hi, v5
	v_xor_b32_e32 v5, vcc_lo, v5
	v_and_b32_e32 v97, v97, v5
	v_lshlrev_b32_e32 v5, 28, v96
	v_cmp_gt_i64_e32 vcc, 0, v[4:5]
	v_not_b32_e32 v5, v5
	v_ashrrev_i32_e32 v5, 31, v5
	v_and_b32_e32 v98, v98, v99
	;; [unrolled: 8-line block ×5, first 2 shown]
	v_xor_b32_e32 v99, vcc_hi, v5
	v_xor_b32_e32 v5, vcc_lo, v5
	v_and_b32_e32 v98, v98, v99
	v_and_b32_e32 v99, v97, v5
	v_lshlrev_b32_e32 v5, 24, v96
	v_cmp_gt_i64_e32 vcc, 0, v[4:5]
	v_not_b32_e32 v5, v5
	v_ashrrev_i32_e32 v5, 31, v5
	v_xor_b32_e32 v96, vcc_hi, v5
	v_xor_b32_e32 v5, vcc_lo, v5
	v_and_b32_e32 v97, v98, v96
	v_and_b32_e32 v96, v99, v5
	v_mbcnt_lo_u32_b32 v5, v96, 0
	v_mbcnt_hi_u32_b32 v226, v97, v5
	v_cmp_eq_u32_e32 vcc, 0, v226
	v_cmp_ne_u64_e64 s[36:37], 0, v[96:97]
	s_and_b64 s[38:39], s[36:37], vcc
	; wave barrier
	s_and_saveexec_b64 s[36:37], s[38:39]
	s_cbranch_execz .LBB839_1056
; %bb.1055:                             ;   in Loop: Header=BB839_990 Depth=2
	v_bcnt_u32_b32 v5, v96, 0
	v_bcnt_u32_b32 v5, v97, v5
	s_waitcnt lgkmcnt(0)
	v_add_u32_e32 v5, v224, v5
	ds_write_b32 v225, v5
.LBB839_1056:                           ;   in Loop: Header=BB839_990 Depth=2
	s_or_b64 exec, exec, s[36:37]
	v_xor_b32_e32 v95, 0x80000000, v95
	v_lshrrev_b64 v[96:97], s84, v[94:95]
	v_and_b32_e32 v96, s68, v96
	v_mul_u32_u24_e32 v5, 5, v96
	v_add_lshl_u32 v5, v5, v181, 2
	; wave barrier
	v_add_u32_e32 v228, 0x410, v5
	ds_read_b32 v227, v5 offset:1040
	v_and_b32_e32 v5, 1, v96
	v_add_co_u32_e32 v97, vcc, -1, v5
	v_addc_co_u32_e64 v98, s[36:37], 0, -1, vcc
	v_cmp_ne_u32_e32 vcc, 0, v5
	v_xor_b32_e32 v5, vcc_hi, v98
	v_and_b32_e32 v98, exec_hi, v5
	v_lshlrev_b32_e32 v5, 30, v96
	v_xor_b32_e32 v97, vcc_lo, v97
	v_cmp_gt_i64_e32 vcc, 0, v[4:5]
	v_not_b32_e32 v5, v5
	v_ashrrev_i32_e32 v5, 31, v5
	v_and_b32_e32 v97, exec_lo, v97
	v_xor_b32_e32 v99, vcc_hi, v5
	v_xor_b32_e32 v5, vcc_lo, v5
	v_and_b32_e32 v97, v97, v5
	v_lshlrev_b32_e32 v5, 29, v96
	v_cmp_gt_i64_e32 vcc, 0, v[4:5]
	v_not_b32_e32 v5, v5
	v_ashrrev_i32_e32 v5, 31, v5
	v_and_b32_e32 v98, v98, v99
	v_xor_b32_e32 v99, vcc_hi, v5
	v_xor_b32_e32 v5, vcc_lo, v5
	v_and_b32_e32 v97, v97, v5
	v_lshlrev_b32_e32 v5, 28, v96
	v_cmp_gt_i64_e32 vcc, 0, v[4:5]
	v_not_b32_e32 v5, v5
	v_ashrrev_i32_e32 v5, 31, v5
	v_and_b32_e32 v98, v98, v99
	;; [unrolled: 8-line block ×5, first 2 shown]
	v_xor_b32_e32 v99, vcc_hi, v5
	v_xor_b32_e32 v5, vcc_lo, v5
	v_and_b32_e32 v98, v98, v99
	v_and_b32_e32 v99, v97, v5
	v_lshlrev_b32_e32 v5, 24, v96
	v_cmp_gt_i64_e32 vcc, 0, v[4:5]
	v_not_b32_e32 v5, v5
	v_ashrrev_i32_e32 v5, 31, v5
	v_xor_b32_e32 v96, vcc_hi, v5
	v_xor_b32_e32 v5, vcc_lo, v5
	v_and_b32_e32 v97, v98, v96
	v_and_b32_e32 v96, v99, v5
	v_mbcnt_lo_u32_b32 v5, v96, 0
	v_mbcnt_hi_u32_b32 v229, v97, v5
	v_cmp_eq_u32_e32 vcc, 0, v229
	v_cmp_ne_u64_e64 s[36:37], 0, v[96:97]
	s_and_b64 s[38:39], s[36:37], vcc
	; wave barrier
	s_and_saveexec_b64 s[36:37], s[38:39]
	s_cbranch_execz .LBB839_1058
; %bb.1057:                             ;   in Loop: Header=BB839_990 Depth=2
	v_bcnt_u32_b32 v5, v96, 0
	v_bcnt_u32_b32 v5, v97, v5
	s_waitcnt lgkmcnt(0)
	v_add_u32_e32 v5, v227, v5
	ds_write_b32 v228, v5
.LBB839_1058:                           ;   in Loop: Header=BB839_990 Depth=2
	s_or_b64 exec, exec, s[36:37]
	; wave barrier
	s_waitcnt lgkmcnt(0)
	s_barrier
	ds_read_b32 v5, v27 offset:1040
	ds_read2_b32 v[98:99], v31 offset0:1 offset1:2
	ds_read2_b32 v[96:97], v31 offset0:3 offset1:4
	s_waitcnt lgkmcnt(1)
	v_add3_u32 v230, v98, v5, v99
	s_waitcnt lgkmcnt(0)
	v_add3_u32 v97, v230, v96, v97
	s_nop 1
	v_mov_b32_dpp v230, v97 row_shr:1 row_mask:0xf bank_mask:0xf
	v_cndmask_b32_e64 v230, v230, 0, s[16:17]
	v_add_u32_e32 v97, v230, v97
	s_nop 1
	v_mov_b32_dpp v230, v97 row_shr:2 row_mask:0xf bank_mask:0xf
	v_cndmask_b32_e64 v230, 0, v230, s[18:19]
	v_add_u32_e32 v97, v97, v230
	;; [unrolled: 4-line block ×4, first 2 shown]
	s_nop 1
	v_mov_b32_dpp v230, v97 row_bcast:15 row_mask:0xf bank_mask:0xf
	v_cndmask_b32_e64 v230, v230, 0, s[24:25]
	v_add_u32_e32 v97, v97, v230
	s_nop 1
	v_mov_b32_dpp v230, v97 row_bcast:31 row_mask:0xf bank_mask:0xf
	v_cndmask_b32_e64 v230, 0, v230, s[26:27]
	v_add_u32_e32 v97, v97, v230
	s_and_saveexec_b64 s[36:37], s[6:7]
	s_cbranch_execz .LBB839_1060
; %bb.1059:                             ;   in Loop: Header=BB839_990 Depth=2
	ds_write_b32 v15, v97 offset:1024
.LBB839_1060:                           ;   in Loop: Header=BB839_990 Depth=2
	s_or_b64 exec, exec, s[36:37]
	s_waitcnt lgkmcnt(0)
	s_barrier
	s_and_saveexec_b64 s[36:37], s[8:9]
	s_cbranch_execz .LBB839_1062
; %bb.1061:                             ;   in Loop: Header=BB839_990 Depth=2
	ds_read_b32 v230, v33 offset:1024
	s_waitcnt lgkmcnt(0)
	s_nop 0
	v_mov_b32_dpp v231, v230 row_shr:1 row_mask:0xf bank_mask:0xf
	v_cndmask_b32_e64 v231, v231, 0, s[30:31]
	v_add_u32_e32 v230, v231, v230
	s_nop 1
	v_mov_b32_dpp v231, v230 row_shr:2 row_mask:0xf bank_mask:0xf
	v_cndmask_b32_e64 v231, 0, v231, s[34:35]
	v_add_u32_e32 v230, v230, v231
	ds_write_b32 v33, v230 offset:1024
.LBB839_1062:                           ;   in Loop: Header=BB839_990 Depth=2
	s_or_b64 exec, exec, s[36:37]
	v_mov_b32_e32 v230, 0
	s_waitcnt lgkmcnt(0)
	s_barrier
	s_and_saveexec_b64 s[36:37], s[10:11]
	s_cbranch_execz .LBB839_1064
; %bb.1063:                             ;   in Loop: Header=BB839_990 Depth=2
	ds_read_b32 v230, v15 offset:1020
.LBB839_1064:                           ;   in Loop: Header=BB839_990 Depth=2
	s_or_b64 exec, exec, s[36:37]
	s_waitcnt lgkmcnt(0)
	v_add_u32_e32 v97, v230, v97
	ds_bpermute_b32 v97, v158, v97
	s_waitcnt lgkmcnt(0)
	v_cndmask_b32_e64 v97, v97, v230, s[28:29]
	v_cndmask_b32_e64 v97, v97, 0, s[12:13]
	v_add_u32_e32 v5, v97, v5
	ds_write_b32 v27, v97 offset:1040
	v_add_u32_e32 v97, v5, v98
	v_add_u32_e32 v98, v97, v99
	ds_write2_b32 v31, v5, v97 offset0:1 offset1:2
	v_add_u32_e32 v5, v98, v96
	ds_write2_b32 v31, v98, v5 offset0:3 offset1:4
	s_waitcnt lgkmcnt(0)
	s_barrier
	ds_read_b32 v97, v186
	ds_read_b32 v234, v189
	;; [unrolled: 1-line block ×16, first 2 shown]
	ds_read_b32 v183, v27 offset:1040
	v_mov_b32_e32 v5, 0x1000
	s_and_saveexec_b64 s[36:37], s[14:15]
	s_cbranch_execz .LBB839_1066
; %bb.1065:                             ;   in Loop: Header=BB839_990 Depth=2
	ds_read_b32 v5, v27 offset:1060
.LBB839_1066:                           ;   in Loop: Header=BB839_990 Depth=2
	s_or_b64 exec, exec, s[36:37]
	s_waitcnt lgkmcnt(0)
	s_barrier
	s_and_saveexec_b64 s[36:37], s[4:5]
	s_cbranch_execz .LBB839_1068
; %bb.1067:                             ;   in Loop: Header=BB839_990 Depth=2
	ds_read_b32 v207, v3
	s_waitcnt lgkmcnt(0)
	v_sub_u32_e32 v183, v207, v183
	ds_write_b32 v3, v183
.LBB839_1068:                           ;   in Loop: Header=BB839_990 Depth=2
	s_or_b64 exec, exec, s[36:37]
	v_add_u32_e32 v185, v187, v185
	v_add_u32_e32 v188, v190, v188
	v_add_lshl_u32 v96, v96, v184, 3
	v_add_lshl_u32 v97, v185, v97, 3
	v_add_u32_e32 v194, v196, v194
	v_add_u32_e32 v191, v193, v191
	ds_write_b64 v96, v[64:65] offset:1024
	ds_write_b64 v97, v[66:67] offset:1024
	v_add_lshl_u32 v67, v188, v234, 3
	v_add_u32_e32 v206, v208, v206
	v_add_u32_e32 v203, v205, v203
	;; [unrolled: 1-line block ×4, first 2 shown]
	ds_write_b64 v67, v[68:69] offset:1024
	v_add_lshl_u32 v68, v191, v233, 3
	v_add_lshl_u32 v69, v194, v232, 3
	v_add_u32_e32 v183, v229, v227
	v_add_u32_e32 v207, v226, v224
	;; [unrolled: 1-line block ×7, first 2 shown]
	ds_write_b64 v68, v[70:71] offset:1024
	ds_write_b64 v69, v[72:73] offset:1024
	v_add_lshl_u32 v70, v197, v231, 3
	v_add_lshl_u32 v71, v200, v230, 3
	;; [unrolled: 1-line block ×4, first 2 shown]
	ds_write_b64 v70, v[74:75] offset:1024
	ds_write_b64 v71, v[76:77] offset:1024
	;; [unrolled: 1-line block ×4, first 2 shown]
	v_add_lshl_u32 v74, v209, v198, 3
	v_add_lshl_u32 v75, v212, v195, 3
	;; [unrolled: 1-line block ×7, first 2 shown]
	v_cmp_lt_u32_e64 s[36:37], v2, v182
	v_add_u32_e32 v66, v33, v3
	ds_write_b64 v74, v[82:83] offset:1024
	ds_write_b64 v75, v[84:85] offset:1024
	;; [unrolled: 1-line block ×7, first 2 shown]
	s_waitcnt lgkmcnt(0)
	s_barrier
	s_and_saveexec_b64 s[38:39], s[36:37]
	s_cbranch_execz .LBB839_1084
; %bb.1069:                             ;   in Loop: Header=BB839_990 Depth=2
	ds_read_b64 v[64:65], v66 offset:1024
	v_mov_b32_e32 v84, s77
	s_waitcnt lgkmcnt(0)
	v_lshrrev_b64 v[82:83], s84, v[64:65]
	v_and_b32_e32 v81, s68, v82
	v_lshlrev_b32_e32 v81, 2, v81
	ds_read_b32 v81, v81
	v_mov_b32_e32 v83, v4
	v_xor_b32_e32 v65, 0x80000000, v65
	s_waitcnt lgkmcnt(0)
	v_add_u32_e32 v82, v81, v2
	v_lshlrev_b64 v[82:83], 3, v[82:83]
	v_add_co_u32_e32 v82, vcc, s76, v82
	v_addc_co_u32_e32 v83, vcc, v84, v83, vcc
	global_store_dwordx2 v[82:83], v[64:65], off
	s_or_b64 exec, exec, s[38:39]
	v_cmp_lt_u32_e64 s[38:39], v7, v182
	s_and_saveexec_b64 s[40:41], s[38:39]
	s_cbranch_execnz .LBB839_1085
.LBB839_1070:                           ;   in Loop: Header=BB839_990 Depth=2
	s_or_b64 exec, exec, s[40:41]
	v_cmp_lt_u32_e64 s[40:41], v6, v182
	s_and_saveexec_b64 s[42:43], s[40:41]
	s_cbranch_execz .LBB839_1086
.LBB839_1071:                           ;   in Loop: Header=BB839_990 Depth=2
	ds_read_b64 v[64:65], v104 offset:4096
	v_mov_b32_e32 v84, s77
	s_waitcnt lgkmcnt(0)
	v_lshrrev_b64 v[82:83], s84, v[64:65]
	v_and_b32_e32 v81, s68, v82
	v_lshlrev_b32_e32 v81, 2, v81
	ds_read_b32 v81, v81
	v_mov_b32_e32 v83, v4
	v_xor_b32_e32 v65, 0x80000000, v65
	s_waitcnt lgkmcnt(0)
	v_add_u32_e32 v82, v81, v6
	v_lshlrev_b64 v[82:83], 3, v[82:83]
	v_add_co_u32_e32 v82, vcc, s76, v82
	v_addc_co_u32_e32 v83, vcc, v84, v83, vcc
	global_store_dwordx2 v[82:83], v[64:65], off
	s_or_b64 exec, exec, s[42:43]
	v_cmp_lt_u32_e64 s[42:43], v8, v182
	s_and_saveexec_b64 s[44:45], s[42:43]
	s_cbranch_execnz .LBB839_1087
.LBB839_1072:                           ;   in Loop: Header=BB839_990 Depth=2
	s_or_b64 exec, exec, s[44:45]
	v_cmp_lt_u32_e64 s[44:45], v10, v182
	s_and_saveexec_b64 s[46:47], s[44:45]
	s_cbranch_execz .LBB839_1088
.LBB839_1073:                           ;   in Loop: Header=BB839_990 Depth=2
	ds_read_b64 v[64:65], v104 offset:8192
	v_mov_b32_e32 v84, s77
	s_waitcnt lgkmcnt(0)
	v_lshrrev_b64 v[82:83], s84, v[64:65]
	v_and_b32_e32 v81, s68, v82
	v_lshlrev_b32_e32 v81, 2, v81
	ds_read_b32 v81, v81
	v_mov_b32_e32 v83, v4
	v_xor_b32_e32 v65, 0x80000000, v65
	s_waitcnt lgkmcnt(0)
	v_add_u32_e32 v82, v81, v10
	v_lshlrev_b64 v[82:83], 3, v[82:83]
	v_add_co_u32_e32 v82, vcc, s76, v82
	v_addc_co_u32_e32 v83, vcc, v84, v83, vcc
	global_store_dwordx2 v[82:83], v[64:65], off
	s_or_b64 exec, exec, s[46:47]
	v_cmp_lt_u32_e64 s[46:47], v12, v182
	s_and_saveexec_b64 s[48:49], s[46:47]
	s_cbranch_execnz .LBB839_1089
.LBB839_1074:                           ;   in Loop: Header=BB839_990 Depth=2
	s_or_b64 exec, exec, s[48:49]
	v_cmp_lt_u32_e64 s[48:49], v14, v182
	s_and_saveexec_b64 s[50:51], s[48:49]
	s_cbranch_execz .LBB839_1090
.LBB839_1075:                           ;   in Loop: Header=BB839_990 Depth=2
	ds_read_b64 v[64:65], v104 offset:12288
	v_mov_b32_e32 v84, s77
	s_waitcnt lgkmcnt(0)
	v_lshrrev_b64 v[82:83], s84, v[64:65]
	v_and_b32_e32 v81, s68, v82
	v_lshlrev_b32_e32 v81, 2, v81
	ds_read_b32 v81, v81
	v_mov_b32_e32 v83, v4
	v_xor_b32_e32 v65, 0x80000000, v65
	s_waitcnt lgkmcnt(0)
	v_add_u32_e32 v82, v81, v14
	v_lshlrev_b64 v[82:83], 3, v[82:83]
	v_add_co_u32_e32 v82, vcc, s76, v82
	v_addc_co_u32_e32 v83, vcc, v84, v83, vcc
	global_store_dwordx2 v[82:83], v[64:65], off
	s_or_b64 exec, exec, s[50:51]
	v_cmp_lt_u32_e64 s[50:51], v16, v182
	s_and_saveexec_b64 s[52:53], s[50:51]
	s_cbranch_execnz .LBB839_1091
.LBB839_1076:                           ;   in Loop: Header=BB839_990 Depth=2
	s_or_b64 exec, exec, s[52:53]
	v_cmp_lt_u32_e64 s[52:53], v18, v182
	s_and_saveexec_b64 s[54:55], s[52:53]
	s_cbranch_execz .LBB839_1092
.LBB839_1077:                           ;   in Loop: Header=BB839_990 Depth=2
	ds_read_b64 v[64:65], v104 offset:16384
	v_mov_b32_e32 v84, s77
	s_waitcnt lgkmcnt(0)
	v_lshrrev_b64 v[82:83], s84, v[64:65]
	v_and_b32_e32 v81, s68, v82
	v_lshlrev_b32_e32 v81, 2, v81
	ds_read_b32 v81, v81
	v_mov_b32_e32 v83, v4
	v_xor_b32_e32 v65, 0x80000000, v65
	s_waitcnt lgkmcnt(0)
	v_add_u32_e32 v82, v81, v18
	v_lshlrev_b64 v[82:83], 3, v[82:83]
	v_add_co_u32_e32 v82, vcc, s76, v82
	v_addc_co_u32_e32 v83, vcc, v84, v83, vcc
	global_store_dwordx2 v[82:83], v[64:65], off
	s_or_b64 exec, exec, s[54:55]
	v_cmp_lt_u32_e64 s[54:55], v20, v182
	s_and_saveexec_b64 s[56:57], s[54:55]
	s_cbranch_execnz .LBB839_1093
.LBB839_1078:                           ;   in Loop: Header=BB839_990 Depth=2
	s_or_b64 exec, exec, s[56:57]
	v_cmp_lt_u32_e64 s[56:57], v22, v182
	s_and_saveexec_b64 s[58:59], s[56:57]
	s_cbranch_execz .LBB839_1094
.LBB839_1079:                           ;   in Loop: Header=BB839_990 Depth=2
	ds_read_b64 v[64:65], v104 offset:20480
	v_mov_b32_e32 v84, s77
	s_waitcnt lgkmcnt(0)
	v_lshrrev_b64 v[82:83], s84, v[64:65]
	v_and_b32_e32 v81, s68, v82
	v_lshlrev_b32_e32 v81, 2, v81
	ds_read_b32 v81, v81
	v_mov_b32_e32 v83, v4
	v_xor_b32_e32 v65, 0x80000000, v65
	s_waitcnt lgkmcnt(0)
	v_add_u32_e32 v82, v81, v22
	v_lshlrev_b64 v[82:83], 3, v[82:83]
	v_add_co_u32_e32 v82, vcc, s76, v82
	v_addc_co_u32_e32 v83, vcc, v84, v83, vcc
	global_store_dwordx2 v[82:83], v[64:65], off
	s_or_b64 exec, exec, s[58:59]
	v_cmp_lt_u32_e64 s[58:59], v24, v182
	s_and_saveexec_b64 s[60:61], s[58:59]
	s_cbranch_execnz .LBB839_1095
.LBB839_1080:                           ;   in Loop: Header=BB839_990 Depth=2
	s_or_b64 exec, exec, s[60:61]
	v_cmp_lt_u32_e64 s[60:61], v26, v182
	s_and_saveexec_b64 s[62:63], s[60:61]
	s_cbranch_execz .LBB839_1096
.LBB839_1081:                           ;   in Loop: Header=BB839_990 Depth=2
	ds_read_b64 v[64:65], v104 offset:24576
	v_mov_b32_e32 v84, s77
	s_waitcnt lgkmcnt(0)
	v_lshrrev_b64 v[82:83], s84, v[64:65]
	v_and_b32_e32 v81, s68, v82
	v_lshlrev_b32_e32 v81, 2, v81
	ds_read_b32 v81, v81
	v_mov_b32_e32 v83, v4
	v_xor_b32_e32 v65, 0x80000000, v65
	s_waitcnt lgkmcnt(0)
	v_add_u32_e32 v82, v81, v26
	v_lshlrev_b64 v[82:83], 3, v[82:83]
	v_add_co_u32_e32 v82, vcc, s76, v82
	v_addc_co_u32_e32 v83, vcc, v84, v83, vcc
	global_store_dwordx2 v[82:83], v[64:65], off
	s_or_b64 exec, exec, s[62:63]
	v_cmp_lt_u32_e64 s[62:63], v28, v182
	s_and_saveexec_b64 s[64:65], s[62:63]
	s_cbranch_execnz .LBB839_1097
.LBB839_1082:                           ;   in Loop: Header=BB839_990 Depth=2
	s_or_b64 exec, exec, s[64:65]
	v_cmp_lt_u32_e64 s[64:65], v30, v182
	s_and_saveexec_b64 s[66:67], s[64:65]
	s_cbranch_execz .LBB839_1098
.LBB839_1083:                           ;   in Loop: Header=BB839_990 Depth=2
	ds_read_b64 v[64:65], v104 offset:28672
	v_mov_b32_e32 v84, s77
	s_waitcnt lgkmcnt(0)
	v_lshrrev_b64 v[82:83], s84, v[64:65]
	v_and_b32_e32 v81, s68, v82
	v_lshlrev_b32_e32 v81, 2, v81
	ds_read_b32 v81, v81
	v_mov_b32_e32 v83, v4
	v_xor_b32_e32 v65, 0x80000000, v65
	s_waitcnt lgkmcnt(0)
	v_add_u32_e32 v82, v81, v30
	v_lshlrev_b64 v[82:83], 3, v[82:83]
	v_add_co_u32_e32 v82, vcc, s76, v82
	v_addc_co_u32_e32 v83, vcc, v84, v83, vcc
	global_store_dwordx2 v[82:83], v[64:65], off
	s_or_b64 exec, exec, s[66:67]
	v_cmp_lt_u32_e64 s[66:67], v32, v182
	s_and_saveexec_b64 s[92:93], s[66:67]
	s_cbranch_execnz .LBB839_1099
	s_branch .LBB839_1100
.LBB839_1084:                           ;   in Loop: Header=BB839_990 Depth=2
	s_or_b64 exec, exec, s[38:39]
	v_cmp_lt_u32_e64 s[38:39], v7, v182
	s_and_saveexec_b64 s[40:41], s[38:39]
	s_cbranch_execz .LBB839_1070
.LBB839_1085:                           ;   in Loop: Header=BB839_990 Depth=2
	ds_read_b64 v[64:65], v104 offset:2048
	v_mov_b32_e32 v84, s77
	s_waitcnt lgkmcnt(0)
	v_lshrrev_b64 v[82:83], s84, v[64:65]
	v_and_b32_e32 v81, s68, v82
	v_lshlrev_b32_e32 v81, 2, v81
	ds_read_b32 v81, v81
	v_mov_b32_e32 v83, v4
	v_xor_b32_e32 v65, 0x80000000, v65
	s_waitcnt lgkmcnt(0)
	v_add_u32_e32 v82, v81, v7
	v_lshlrev_b64 v[82:83], 3, v[82:83]
	v_add_co_u32_e32 v82, vcc, s76, v82
	v_addc_co_u32_e32 v83, vcc, v84, v83, vcc
	global_store_dwordx2 v[82:83], v[64:65], off
	s_or_b64 exec, exec, s[40:41]
	v_cmp_lt_u32_e64 s[40:41], v6, v182
	s_and_saveexec_b64 s[42:43], s[40:41]
	s_cbranch_execnz .LBB839_1071
.LBB839_1086:                           ;   in Loop: Header=BB839_990 Depth=2
	s_or_b64 exec, exec, s[42:43]
	v_cmp_lt_u32_e64 s[42:43], v8, v182
	s_and_saveexec_b64 s[44:45], s[42:43]
	s_cbranch_execz .LBB839_1072
.LBB839_1087:                           ;   in Loop: Header=BB839_990 Depth=2
	ds_read_b64 v[64:65], v104 offset:6144
	v_mov_b32_e32 v84, s77
	s_waitcnt lgkmcnt(0)
	v_lshrrev_b64 v[82:83], s84, v[64:65]
	v_and_b32_e32 v81, s68, v82
	v_lshlrev_b32_e32 v81, 2, v81
	ds_read_b32 v81, v81
	v_mov_b32_e32 v83, v4
	v_xor_b32_e32 v65, 0x80000000, v65
	s_waitcnt lgkmcnt(0)
	v_add_u32_e32 v82, v81, v8
	v_lshlrev_b64 v[82:83], 3, v[82:83]
	v_add_co_u32_e32 v82, vcc, s76, v82
	v_addc_co_u32_e32 v83, vcc, v84, v83, vcc
	global_store_dwordx2 v[82:83], v[64:65], off
	s_or_b64 exec, exec, s[44:45]
	v_cmp_lt_u32_e64 s[44:45], v10, v182
	s_and_saveexec_b64 s[46:47], s[44:45]
	s_cbranch_execnz .LBB839_1073
.LBB839_1088:                           ;   in Loop: Header=BB839_990 Depth=2
	s_or_b64 exec, exec, s[46:47]
	v_cmp_lt_u32_e64 s[46:47], v12, v182
	s_and_saveexec_b64 s[48:49], s[46:47]
	s_cbranch_execz .LBB839_1074
.LBB839_1089:                           ;   in Loop: Header=BB839_990 Depth=2
	ds_read_b64 v[64:65], v104 offset:10240
	v_mov_b32_e32 v84, s77
	s_waitcnt lgkmcnt(0)
	v_lshrrev_b64 v[82:83], s84, v[64:65]
	v_and_b32_e32 v81, s68, v82
	v_lshlrev_b32_e32 v81, 2, v81
	ds_read_b32 v81, v81
	v_mov_b32_e32 v83, v4
	v_xor_b32_e32 v65, 0x80000000, v65
	s_waitcnt lgkmcnt(0)
	v_add_u32_e32 v82, v81, v12
	v_lshlrev_b64 v[82:83], 3, v[82:83]
	v_add_co_u32_e32 v82, vcc, s76, v82
	v_addc_co_u32_e32 v83, vcc, v84, v83, vcc
	global_store_dwordx2 v[82:83], v[64:65], off
	s_or_b64 exec, exec, s[48:49]
	v_cmp_lt_u32_e64 s[48:49], v14, v182
	s_and_saveexec_b64 s[50:51], s[48:49]
	s_cbranch_execnz .LBB839_1075
.LBB839_1090:                           ;   in Loop: Header=BB839_990 Depth=2
	s_or_b64 exec, exec, s[50:51]
	v_cmp_lt_u32_e64 s[50:51], v16, v182
	s_and_saveexec_b64 s[52:53], s[50:51]
	s_cbranch_execz .LBB839_1076
.LBB839_1091:                           ;   in Loop: Header=BB839_990 Depth=2
	ds_read_b64 v[64:65], v104 offset:14336
	v_mov_b32_e32 v84, s77
	s_waitcnt lgkmcnt(0)
	v_lshrrev_b64 v[82:83], s84, v[64:65]
	v_and_b32_e32 v81, s68, v82
	v_lshlrev_b32_e32 v81, 2, v81
	ds_read_b32 v81, v81
	v_mov_b32_e32 v83, v4
	v_xor_b32_e32 v65, 0x80000000, v65
	s_waitcnt lgkmcnt(0)
	v_add_u32_e32 v82, v81, v16
	v_lshlrev_b64 v[82:83], 3, v[82:83]
	v_add_co_u32_e32 v82, vcc, s76, v82
	v_addc_co_u32_e32 v83, vcc, v84, v83, vcc
	global_store_dwordx2 v[82:83], v[64:65], off
	s_or_b64 exec, exec, s[52:53]
	v_cmp_lt_u32_e64 s[52:53], v18, v182
	s_and_saveexec_b64 s[54:55], s[52:53]
	s_cbranch_execnz .LBB839_1077
.LBB839_1092:                           ;   in Loop: Header=BB839_990 Depth=2
	s_or_b64 exec, exec, s[54:55]
	v_cmp_lt_u32_e64 s[54:55], v20, v182
	s_and_saveexec_b64 s[56:57], s[54:55]
	s_cbranch_execz .LBB839_1078
.LBB839_1093:                           ;   in Loop: Header=BB839_990 Depth=2
	ds_read_b64 v[64:65], v104 offset:18432
	v_mov_b32_e32 v84, s77
	s_waitcnt lgkmcnt(0)
	v_lshrrev_b64 v[82:83], s84, v[64:65]
	v_and_b32_e32 v81, s68, v82
	v_lshlrev_b32_e32 v81, 2, v81
	ds_read_b32 v81, v81
	v_mov_b32_e32 v83, v4
	v_xor_b32_e32 v65, 0x80000000, v65
	s_waitcnt lgkmcnt(0)
	v_add_u32_e32 v82, v81, v20
	v_lshlrev_b64 v[82:83], 3, v[82:83]
	v_add_co_u32_e32 v82, vcc, s76, v82
	v_addc_co_u32_e32 v83, vcc, v84, v83, vcc
	global_store_dwordx2 v[82:83], v[64:65], off
	s_or_b64 exec, exec, s[56:57]
	v_cmp_lt_u32_e64 s[56:57], v22, v182
	s_and_saveexec_b64 s[58:59], s[56:57]
	s_cbranch_execnz .LBB839_1079
.LBB839_1094:                           ;   in Loop: Header=BB839_990 Depth=2
	s_or_b64 exec, exec, s[58:59]
	v_cmp_lt_u32_e64 s[58:59], v24, v182
	s_and_saveexec_b64 s[60:61], s[58:59]
	s_cbranch_execz .LBB839_1080
.LBB839_1095:                           ;   in Loop: Header=BB839_990 Depth=2
	ds_read_b64 v[64:65], v104 offset:22528
	v_mov_b32_e32 v84, s77
	s_waitcnt lgkmcnt(0)
	v_lshrrev_b64 v[82:83], s84, v[64:65]
	v_and_b32_e32 v81, s68, v82
	v_lshlrev_b32_e32 v81, 2, v81
	ds_read_b32 v81, v81
	v_mov_b32_e32 v83, v4
	v_xor_b32_e32 v65, 0x80000000, v65
	s_waitcnt lgkmcnt(0)
	v_add_u32_e32 v82, v81, v24
	v_lshlrev_b64 v[82:83], 3, v[82:83]
	v_add_co_u32_e32 v82, vcc, s76, v82
	v_addc_co_u32_e32 v83, vcc, v84, v83, vcc
	global_store_dwordx2 v[82:83], v[64:65], off
	s_or_b64 exec, exec, s[60:61]
	v_cmp_lt_u32_e64 s[60:61], v26, v182
	s_and_saveexec_b64 s[62:63], s[60:61]
	s_cbranch_execnz .LBB839_1081
.LBB839_1096:                           ;   in Loop: Header=BB839_990 Depth=2
	s_or_b64 exec, exec, s[62:63]
	v_cmp_lt_u32_e64 s[62:63], v28, v182
	s_and_saveexec_b64 s[64:65], s[62:63]
	s_cbranch_execz .LBB839_1082
.LBB839_1097:                           ;   in Loop: Header=BB839_990 Depth=2
	ds_read_b64 v[64:65], v104 offset:26624
	v_mov_b32_e32 v84, s77
	s_waitcnt lgkmcnt(0)
	v_lshrrev_b64 v[82:83], s84, v[64:65]
	v_and_b32_e32 v81, s68, v82
	v_lshlrev_b32_e32 v81, 2, v81
	ds_read_b32 v81, v81
	v_mov_b32_e32 v83, v4
	v_xor_b32_e32 v65, 0x80000000, v65
	s_waitcnt lgkmcnt(0)
	v_add_u32_e32 v82, v81, v28
	v_lshlrev_b64 v[82:83], 3, v[82:83]
	v_add_co_u32_e32 v82, vcc, s76, v82
	v_addc_co_u32_e32 v83, vcc, v84, v83, vcc
	global_store_dwordx2 v[82:83], v[64:65], off
	s_or_b64 exec, exec, s[64:65]
	v_cmp_lt_u32_e64 s[64:65], v30, v182
	s_and_saveexec_b64 s[66:67], s[64:65]
	s_cbranch_execnz .LBB839_1083
.LBB839_1098:                           ;   in Loop: Header=BB839_990 Depth=2
	s_or_b64 exec, exec, s[66:67]
	v_cmp_lt_u32_e64 s[66:67], v32, v182
	s_and_saveexec_b64 s[92:93], s[66:67]
	s_cbranch_execz .LBB839_1100
.LBB839_1099:                           ;   in Loop: Header=BB839_990 Depth=2
	ds_read_b64 v[64:65], v104 offset:30720
	s_waitcnt lgkmcnt(0)
	v_lshrrev_b64 v[82:83], s84, v[64:65]
	v_and_b32_e32 v81, s68, v82
	v_lshlrev_b32_e32 v81, 2, v81
	ds_read_b32 v81, v81
	v_mov_b32_e32 v83, v4
	v_xor_b32_e32 v65, 0x80000000, v65
	s_waitcnt lgkmcnt(0)
	v_add_u32_e32 v82, v81, v32
	v_lshlrev_b64 v[82:83], 3, v[82:83]
	v_add_co_u32_e32 v82, vcc, s76, v82
	v_mov_b32_e32 v81, s77
	v_addc_co_u32_e32 v83, vcc, v81, v83, vcc
	global_store_dwordx2 v[82:83], v[64:65], off
.LBB839_1100:                           ;   in Loop: Header=BB839_990 Depth=2
	s_or_b64 exec, exec, s[92:93]
	s_lshl_b64 s[92:93], s[88:89], 3
	v_mov_b32_e32 v65, s93
	v_add_co_u32_e32 v64, vcc, s92, v159
	v_addc_co_u32_e32 v65, vcc, v160, v65, vcc
	v_cmp_lt_u32_e32 vcc, v142, v182
	s_and_saveexec_b64 s[92:93], vcc
	s_xor_b64 s[92:93], exec, s[92:93]
	s_cbranch_execz .LBB839_1132
; %bb.1101:                             ;   in Loop: Header=BB839_990 Depth=2
	global_load_dwordx2 v[62:63], v[64:65], off
	s_or_b64 exec, exec, s[92:93]
	v_cmp_lt_u32_e32 vcc, v143, v182
	s_and_saveexec_b64 s[92:93], vcc
	s_cbranch_execnz .LBB839_1133
.LBB839_1102:                           ;   in Loop: Header=BB839_990 Depth=2
	s_or_b64 exec, exec, s[92:93]
	v_cmp_lt_u32_e32 vcc, v144, v182
	s_and_saveexec_b64 s[92:93], vcc
	s_cbranch_execz .LBB839_1134
.LBB839_1103:                           ;   in Loop: Header=BB839_990 Depth=2
	global_load_dwordx2 v[58:59], v[64:65], off offset:1024
	s_or_b64 exec, exec, s[92:93]
	v_cmp_lt_u32_e32 vcc, v145, v182
	s_and_saveexec_b64 s[92:93], vcc
	s_cbranch_execnz .LBB839_1135
.LBB839_1104:                           ;   in Loop: Header=BB839_990 Depth=2
	s_or_b64 exec, exec, s[92:93]
	v_cmp_lt_u32_e32 vcc, v146, v182
	s_and_saveexec_b64 s[92:93], vcc
	s_cbranch_execz .LBB839_1136
.LBB839_1105:                           ;   in Loop: Header=BB839_990 Depth=2
	global_load_dwordx2 v[50:51], v[64:65], off offset:2048
	s_or_b64 exec, exec, s[92:93]
	v_cmp_lt_u32_e32 vcc, v147, v182
	s_and_saveexec_b64 s[92:93], vcc
	s_cbranch_execnz .LBB839_1137
.LBB839_1106:                           ;   in Loop: Header=BB839_990 Depth=2
	s_or_b64 exec, exec, s[92:93]
	v_cmp_lt_u32_e32 vcc, v148, v182
	s_and_saveexec_b64 s[92:93], vcc
	s_cbranch_execz .LBB839_1138
.LBB839_1107:                           ;   in Loop: Header=BB839_990 Depth=2
	global_load_dwordx2 v[42:43], v[64:65], off offset:3072
	s_or_b64 exec, exec, s[92:93]
	v_cmp_lt_u32_e32 vcc, v149, v182
	s_and_saveexec_b64 s[92:93], vcc
	s_cbranch_execnz .LBB839_1139
.LBB839_1108:                           ;   in Loop: Header=BB839_990 Depth=2
	s_or_b64 exec, exec, s[92:93]
	v_cmp_lt_u32_e32 vcc, v150, v182
	s_and_saveexec_b64 s[92:93], vcc
	s_cbranch_execz .LBB839_1140
.LBB839_1109:                           ;   in Loop: Header=BB839_990 Depth=2
	v_add_co_u32_e32 v56, vcc, 0x1000, v64
	v_addc_co_u32_e32 v57, vcc, 0, v65, vcc
	global_load_dwordx2 v[56:57], v[56:57], off
	s_or_b64 exec, exec, s[92:93]
	v_cmp_lt_u32_e32 vcc, v151, v182
	s_and_saveexec_b64 s[92:93], vcc
	s_cbranch_execnz .LBB839_1141
.LBB839_1110:                           ;   in Loop: Header=BB839_990 Depth=2
	s_or_b64 exec, exec, s[92:93]
	v_cmp_lt_u32_e32 vcc, v152, v182
	s_and_saveexec_b64 s[92:93], vcc
	s_cbranch_execz .LBB839_1142
.LBB839_1111:                           ;   in Loop: Header=BB839_990 Depth=2
	v_add_co_u32_e32 v48, vcc, 0x1000, v64
	v_addc_co_u32_e32 v49, vcc, 0, v65, vcc
	global_load_dwordx2 v[48:49], v[48:49], off offset:1024
	s_or_b64 exec, exec, s[92:93]
	v_cmp_lt_u32_e32 vcc, v153, v182
	s_and_saveexec_b64 s[92:93], vcc
	s_cbranch_execnz .LBB839_1143
.LBB839_1112:                           ;   in Loop: Header=BB839_990 Depth=2
	s_or_b64 exec, exec, s[92:93]
	v_cmp_lt_u32_e32 vcc, v154, v182
	s_and_saveexec_b64 s[92:93], vcc
	s_cbranch_execz .LBB839_1144
.LBB839_1113:                           ;   in Loop: Header=BB839_990 Depth=2
	v_add_co_u32_e32 v40, vcc, 0x1000, v64
	v_addc_co_u32_e32 v41, vcc, 0, v65, vcc
	global_load_dwordx2 v[40:41], v[40:41], off offset:2048
	s_or_b64 exec, exec, s[92:93]
	v_cmp_lt_u32_e32 vcc, v155, v182
	s_and_saveexec_b64 s[92:93], vcc
	s_cbranch_execnz .LBB839_1145
.LBB839_1114:                           ;   in Loop: Header=BB839_990 Depth=2
	s_or_b64 exec, exec, s[92:93]
	v_cmp_lt_u32_e32 vcc, v156, v182
	s_and_saveexec_b64 s[92:93], vcc
	s_cbranch_execz .LBB839_1146
.LBB839_1115:                           ;   in Loop: Header=BB839_990 Depth=2
	v_add_co_u32_e32 v34, vcc, 0x1000, v64
	v_addc_co_u32_e32 v35, vcc, 0, v65, vcc
	global_load_dwordx2 v[34:35], v[34:35], off offset:3072
	s_or_b64 exec, exec, s[92:93]
	v_cmp_lt_u32_e32 vcc, v157, v182
	s_and_saveexec_b64 s[92:93], vcc
	s_cbranch_execnz .LBB839_1147
.LBB839_1116:                           ;   in Loop: Header=BB839_990 Depth=2
	s_or_b64 exec, exec, s[92:93]
	s_and_saveexec_b64 s[92:93], s[36:37]
	s_cbranch_execz .LBB839_1148
.LBB839_1117:                           ;   in Loop: Header=BB839_990 Depth=2
	ds_read_b64 v[64:65], v66 offset:1024
	s_waitcnt lgkmcnt(0)
	v_lshrrev_b64 v[64:65], s84, v[64:65]
	v_and_b32_e32 v180, s68, v64
	s_or_b64 exec, exec, s[92:93]
	s_and_saveexec_b64 s[92:93], s[38:39]
	s_cbranch_execnz .LBB839_1149
.LBB839_1118:                           ;   in Loop: Header=BB839_990 Depth=2
	s_or_b64 exec, exec, s[92:93]
	s_and_saveexec_b64 s[92:93], s[40:41]
	s_cbranch_execz .LBB839_1150
.LBB839_1119:                           ;   in Loop: Header=BB839_990 Depth=2
	ds_read_b64 v[64:65], v104 offset:4096
	s_waitcnt lgkmcnt(0)
	v_lshrrev_b64 v[64:65], s84, v[64:65]
	v_and_b32_e32 v177, s68, v64
	s_or_b64 exec, exec, s[92:93]
	s_and_saveexec_b64 s[92:93], s[42:43]
	s_cbranch_execnz .LBB839_1151
.LBB839_1120:                           ;   in Loop: Header=BB839_990 Depth=2
	s_or_b64 exec, exec, s[92:93]
	s_and_saveexec_b64 s[92:93], s[44:45]
	s_cbranch_execz .LBB839_1152
.LBB839_1121:                           ;   in Loop: Header=BB839_990 Depth=2
	ds_read_b64 v[64:65], v104 offset:8192
	s_waitcnt lgkmcnt(0)
	v_lshrrev_b64 v[64:65], s84, v[64:65]
	v_and_b32_e32 v174, s68, v64
	s_or_b64 exec, exec, s[92:93]
	s_and_saveexec_b64 s[92:93], s[46:47]
	s_cbranch_execnz .LBB839_1153
.LBB839_1122:                           ;   in Loop: Header=BB839_990 Depth=2
	s_or_b64 exec, exec, s[92:93]
	s_and_saveexec_b64 s[92:93], s[48:49]
	s_cbranch_execz .LBB839_1154
.LBB839_1123:                           ;   in Loop: Header=BB839_990 Depth=2
	ds_read_b64 v[64:65], v104 offset:12288
	s_waitcnt lgkmcnt(0)
	v_lshrrev_b64 v[64:65], s84, v[64:65]
	v_and_b32_e32 v172, s68, v64
	s_or_b64 exec, exec, s[92:93]
	s_and_saveexec_b64 s[92:93], s[50:51]
	s_cbranch_execnz .LBB839_1155
.LBB839_1124:                           ;   in Loop: Header=BB839_990 Depth=2
	s_or_b64 exec, exec, s[92:93]
	s_and_saveexec_b64 s[92:93], s[52:53]
	s_cbranch_execz .LBB839_1156
.LBB839_1125:                           ;   in Loop: Header=BB839_990 Depth=2
	ds_read_b64 v[64:65], v104 offset:16384
	s_waitcnt lgkmcnt(0)
	v_lshrrev_b64 v[64:65], s84, v[64:65]
	v_and_b32_e32 v170, s68, v64
	s_or_b64 exec, exec, s[92:93]
	s_and_saveexec_b64 s[92:93], s[54:55]
	s_cbranch_execnz .LBB839_1157
.LBB839_1126:                           ;   in Loop: Header=BB839_990 Depth=2
	s_or_b64 exec, exec, s[92:93]
	s_and_saveexec_b64 s[92:93], s[56:57]
	s_cbranch_execz .LBB839_1158
.LBB839_1127:                           ;   in Loop: Header=BB839_990 Depth=2
	ds_read_b64 v[64:65], v104 offset:20480
	s_waitcnt lgkmcnt(0)
	v_lshrrev_b64 v[64:65], s84, v[64:65]
	v_and_b32_e32 v168, s68, v64
	s_or_b64 exec, exec, s[92:93]
	s_and_saveexec_b64 s[92:93], s[58:59]
	s_cbranch_execnz .LBB839_1159
.LBB839_1128:                           ;   in Loop: Header=BB839_990 Depth=2
	s_or_b64 exec, exec, s[92:93]
	s_and_saveexec_b64 s[92:93], s[60:61]
	s_cbranch_execz .LBB839_1160
.LBB839_1129:                           ;   in Loop: Header=BB839_990 Depth=2
	ds_read_b64 v[64:65], v104 offset:24576
	s_waitcnt lgkmcnt(0)
	v_lshrrev_b64 v[64:65], s84, v[64:65]
	v_and_b32_e32 v166, s68, v64
	s_or_b64 exec, exec, s[92:93]
	s_and_saveexec_b64 s[92:93], s[62:63]
	s_cbranch_execnz .LBB839_1161
.LBB839_1130:                           ;   in Loop: Header=BB839_990 Depth=2
	s_or_b64 exec, exec, s[92:93]
	s_and_saveexec_b64 s[92:93], s[64:65]
	s_cbranch_execz .LBB839_1162
.LBB839_1131:                           ;   in Loop: Header=BB839_990 Depth=2
	ds_read_b64 v[64:65], v104 offset:28672
	s_waitcnt lgkmcnt(0)
	v_lshrrev_b64 v[64:65], s84, v[64:65]
	v_and_b32_e32 v164, s68, v64
	s_or_b64 exec, exec, s[92:93]
	s_and_saveexec_b64 s[92:93], s[66:67]
	s_cbranch_execnz .LBB839_1163
	s_branch .LBB839_1164
.LBB839_1132:                           ;   in Loop: Header=BB839_990 Depth=2
	s_or_b64 exec, exec, s[92:93]
	v_cmp_lt_u32_e32 vcc, v143, v182
	s_and_saveexec_b64 s[92:93], vcc
	s_cbranch_execz .LBB839_1102
.LBB839_1133:                           ;   in Loop: Header=BB839_990 Depth=2
	global_load_dwordx2 v[60:61], v[64:65], off offset:512
	s_or_b64 exec, exec, s[92:93]
	v_cmp_lt_u32_e32 vcc, v144, v182
	s_and_saveexec_b64 s[92:93], vcc
	s_cbranch_execnz .LBB839_1103
.LBB839_1134:                           ;   in Loop: Header=BB839_990 Depth=2
	s_or_b64 exec, exec, s[92:93]
	v_cmp_lt_u32_e32 vcc, v145, v182
	s_and_saveexec_b64 s[92:93], vcc
	s_cbranch_execz .LBB839_1104
.LBB839_1135:                           ;   in Loop: Header=BB839_990 Depth=2
	global_load_dwordx2 v[54:55], v[64:65], off offset:1536
	s_or_b64 exec, exec, s[92:93]
	v_cmp_lt_u32_e32 vcc, v146, v182
	s_and_saveexec_b64 s[92:93], vcc
	s_cbranch_execnz .LBB839_1105
.LBB839_1136:                           ;   in Loop: Header=BB839_990 Depth=2
	s_or_b64 exec, exec, s[92:93]
	v_cmp_lt_u32_e32 vcc, v147, v182
	s_and_saveexec_b64 s[92:93], vcc
	s_cbranch_execz .LBB839_1106
.LBB839_1137:                           ;   in Loop: Header=BB839_990 Depth=2
	global_load_dwordx2 v[46:47], v[64:65], off offset:2560
	s_or_b64 exec, exec, s[92:93]
	v_cmp_lt_u32_e32 vcc, v148, v182
	s_and_saveexec_b64 s[92:93], vcc
	s_cbranch_execnz .LBB839_1107
.LBB839_1138:                           ;   in Loop: Header=BB839_990 Depth=2
	s_or_b64 exec, exec, s[92:93]
	v_cmp_lt_u32_e32 vcc, v149, v182
	s_and_saveexec_b64 s[92:93], vcc
	s_cbranch_execz .LBB839_1108
.LBB839_1139:                           ;   in Loop: Header=BB839_990 Depth=2
	global_load_dwordx2 v[38:39], v[64:65], off offset:3584
	s_or_b64 exec, exec, s[92:93]
	v_cmp_lt_u32_e32 vcc, v150, v182
	s_and_saveexec_b64 s[92:93], vcc
	s_cbranch_execnz .LBB839_1109
.LBB839_1140:                           ;   in Loop: Header=BB839_990 Depth=2
	s_or_b64 exec, exec, s[92:93]
	v_cmp_lt_u32_e32 vcc, v151, v182
	s_and_saveexec_b64 s[92:93], vcc
	s_cbranch_execz .LBB839_1110
.LBB839_1141:                           ;   in Loop: Header=BB839_990 Depth=2
	v_add_co_u32_e32 v52, vcc, 0x1000, v64
	v_addc_co_u32_e32 v53, vcc, 0, v65, vcc
	global_load_dwordx2 v[52:53], v[52:53], off offset:512
	s_or_b64 exec, exec, s[92:93]
	v_cmp_lt_u32_e32 vcc, v152, v182
	s_and_saveexec_b64 s[92:93], vcc
	s_cbranch_execnz .LBB839_1111
.LBB839_1142:                           ;   in Loop: Header=BB839_990 Depth=2
	s_or_b64 exec, exec, s[92:93]
	v_cmp_lt_u32_e32 vcc, v153, v182
	s_and_saveexec_b64 s[92:93], vcc
	s_cbranch_execz .LBB839_1112
.LBB839_1143:                           ;   in Loop: Header=BB839_990 Depth=2
	v_add_co_u32_e32 v44, vcc, 0x1000, v64
	v_addc_co_u32_e32 v45, vcc, 0, v65, vcc
	global_load_dwordx2 v[44:45], v[44:45], off offset:1536
	s_or_b64 exec, exec, s[92:93]
	v_cmp_lt_u32_e32 vcc, v154, v182
	s_and_saveexec_b64 s[92:93], vcc
	s_cbranch_execnz .LBB839_1113
.LBB839_1144:                           ;   in Loop: Header=BB839_990 Depth=2
	s_or_b64 exec, exec, s[92:93]
	v_cmp_lt_u32_e32 vcc, v155, v182
	s_and_saveexec_b64 s[92:93], vcc
	s_cbranch_execz .LBB839_1114
.LBB839_1145:                           ;   in Loop: Header=BB839_990 Depth=2
	v_add_co_u32_e32 v36, vcc, 0x1000, v64
	v_addc_co_u32_e32 v37, vcc, 0, v65, vcc
	global_load_dwordx2 v[36:37], v[36:37], off offset:2560
	s_or_b64 exec, exec, s[92:93]
	v_cmp_lt_u32_e32 vcc, v156, v182
	s_and_saveexec_b64 s[92:93], vcc
	s_cbranch_execnz .LBB839_1115
.LBB839_1146:                           ;   in Loop: Header=BB839_990 Depth=2
	s_or_b64 exec, exec, s[92:93]
	v_cmp_lt_u32_e32 vcc, v157, v182
	s_and_saveexec_b64 s[92:93], vcc
	s_cbranch_execz .LBB839_1116
.LBB839_1147:                           ;   in Loop: Header=BB839_990 Depth=2
	v_add_co_u32_e32 v0, vcc, 0x1000, v64
	v_addc_co_u32_e32 v1, vcc, 0, v65, vcc
	global_load_dwordx2 v[0:1], v[0:1], off offset:3584
	s_or_b64 exec, exec, s[92:93]
	s_and_saveexec_b64 s[92:93], s[36:37]
	s_cbranch_execnz .LBB839_1117
.LBB839_1148:                           ;   in Loop: Header=BB839_990 Depth=2
	s_or_b64 exec, exec, s[92:93]
	s_and_saveexec_b64 s[92:93], s[38:39]
	s_cbranch_execz .LBB839_1118
.LBB839_1149:                           ;   in Loop: Header=BB839_990 Depth=2
	ds_read_b64 v[64:65], v104 offset:2048
	s_waitcnt lgkmcnt(0)
	v_lshrrev_b64 v[64:65], s84, v[64:65]
	v_and_b32_e32 v178, s68, v64
	s_or_b64 exec, exec, s[92:93]
	s_and_saveexec_b64 s[92:93], s[40:41]
	s_cbranch_execnz .LBB839_1119
.LBB839_1150:                           ;   in Loop: Header=BB839_990 Depth=2
	s_or_b64 exec, exec, s[92:93]
	s_and_saveexec_b64 s[92:93], s[42:43]
	s_cbranch_execz .LBB839_1120
.LBB839_1151:                           ;   in Loop: Header=BB839_990 Depth=2
	ds_read_b64 v[64:65], v104 offset:6144
	s_waitcnt lgkmcnt(0)
	v_lshrrev_b64 v[64:65], s84, v[64:65]
	v_and_b32_e32 v175, s68, v64
	s_or_b64 exec, exec, s[92:93]
	s_and_saveexec_b64 s[92:93], s[44:45]
	s_cbranch_execnz .LBB839_1121
.LBB839_1152:                           ;   in Loop: Header=BB839_990 Depth=2
	s_or_b64 exec, exec, s[92:93]
	s_and_saveexec_b64 s[92:93], s[46:47]
	s_cbranch_execz .LBB839_1122
.LBB839_1153:                           ;   in Loop: Header=BB839_990 Depth=2
	ds_read_b64 v[64:65], v104 offset:10240
	s_waitcnt lgkmcnt(0)
	v_lshrrev_b64 v[64:65], s84, v[64:65]
	v_and_b32_e32 v173, s68, v64
	s_or_b64 exec, exec, s[92:93]
	s_and_saveexec_b64 s[92:93], s[48:49]
	s_cbranch_execnz .LBB839_1123
.LBB839_1154:                           ;   in Loop: Header=BB839_990 Depth=2
	s_or_b64 exec, exec, s[92:93]
	s_and_saveexec_b64 s[92:93], s[50:51]
	s_cbranch_execz .LBB839_1124
.LBB839_1155:                           ;   in Loop: Header=BB839_990 Depth=2
	ds_read_b64 v[64:65], v104 offset:14336
	s_waitcnt lgkmcnt(0)
	v_lshrrev_b64 v[64:65], s84, v[64:65]
	v_and_b32_e32 v171, s68, v64
	s_or_b64 exec, exec, s[92:93]
	s_and_saveexec_b64 s[92:93], s[52:53]
	s_cbranch_execnz .LBB839_1125
.LBB839_1156:                           ;   in Loop: Header=BB839_990 Depth=2
	s_or_b64 exec, exec, s[92:93]
	s_and_saveexec_b64 s[92:93], s[54:55]
	s_cbranch_execz .LBB839_1126
.LBB839_1157:                           ;   in Loop: Header=BB839_990 Depth=2
	ds_read_b64 v[64:65], v104 offset:18432
	s_waitcnt lgkmcnt(0)
	v_lshrrev_b64 v[64:65], s84, v[64:65]
	v_and_b32_e32 v169, s68, v64
	s_or_b64 exec, exec, s[92:93]
	s_and_saveexec_b64 s[92:93], s[56:57]
	s_cbranch_execnz .LBB839_1127
.LBB839_1158:                           ;   in Loop: Header=BB839_990 Depth=2
	s_or_b64 exec, exec, s[92:93]
	s_and_saveexec_b64 s[92:93], s[58:59]
	s_cbranch_execz .LBB839_1128
.LBB839_1159:                           ;   in Loop: Header=BB839_990 Depth=2
	ds_read_b64 v[64:65], v104 offset:22528
	s_waitcnt lgkmcnt(0)
	v_lshrrev_b64 v[64:65], s84, v[64:65]
	v_and_b32_e32 v167, s68, v64
	s_or_b64 exec, exec, s[92:93]
	s_and_saveexec_b64 s[92:93], s[60:61]
	s_cbranch_execnz .LBB839_1129
.LBB839_1160:                           ;   in Loop: Header=BB839_990 Depth=2
	s_or_b64 exec, exec, s[92:93]
	s_and_saveexec_b64 s[92:93], s[62:63]
	s_cbranch_execz .LBB839_1130
.LBB839_1161:                           ;   in Loop: Header=BB839_990 Depth=2
	ds_read_b64 v[64:65], v104 offset:26624
	s_waitcnt lgkmcnt(0)
	v_lshrrev_b64 v[64:65], s84, v[64:65]
	v_and_b32_e32 v165, s68, v64
	s_or_b64 exec, exec, s[92:93]
	s_and_saveexec_b64 s[92:93], s[64:65]
	s_cbranch_execnz .LBB839_1131
.LBB839_1162:                           ;   in Loop: Header=BB839_990 Depth=2
	s_or_b64 exec, exec, s[92:93]
	s_and_saveexec_b64 s[92:93], s[66:67]
	s_cbranch_execz .LBB839_1164
.LBB839_1163:                           ;   in Loop: Header=BB839_990 Depth=2
	ds_read_b64 v[64:65], v104 offset:30720
	s_waitcnt lgkmcnt(0)
	v_lshrrev_b64 v[64:65], s84, v[64:65]
	v_and_b32_e32 v163, s68, v64
.LBB839_1164:                           ;   in Loop: Header=BB839_990 Depth=2
	s_or_b64 exec, exec, s[92:93]
	v_add_u32_e32 v64, 0x400, v96
	v_add_u32_e32 v65, 0x400, v97
	;; [unrolled: 1-line block ×16, first 2 shown]
	s_barrier
	s_waitcnt vmcnt(0)
	ds_write_b64 v64, v[62:63]
	ds_write_b64 v65, v[60:61]
	;; [unrolled: 1-line block ×16, first 2 shown]
	s_waitcnt lgkmcnt(0)
	s_barrier
	s_and_saveexec_b64 s[92:93], s[36:37]
	s_cbranch_execz .LBB839_1180
; %bb.1165:                             ;   in Loop: Header=BB839_990 Depth=2
	v_lshlrev_b32_e32 v64, 2, v180
	ds_read_b32 v68, v64
	ds_read_b64 v[64:65], v66 offset:1024
	v_mov_b32_e32 v67, v4
	v_mov_b32_e32 v69, s83
	s_waitcnt lgkmcnt(1)
	v_add_u32_e32 v66, v68, v2
	v_lshlrev_b64 v[66:67], 3, v[66:67]
	v_add_co_u32_e32 v66, vcc, s82, v66
	v_addc_co_u32_e32 v67, vcc, v69, v67, vcc
	s_waitcnt lgkmcnt(0)
	global_store_dwordx2 v[66:67], v[64:65], off
	s_or_b64 exec, exec, s[92:93]
	s_and_saveexec_b64 s[36:37], s[38:39]
	s_cbranch_execnz .LBB839_1181
.LBB839_1166:                           ;   in Loop: Header=BB839_990 Depth=2
	s_or_b64 exec, exec, s[36:37]
	s_and_saveexec_b64 s[36:37], s[40:41]
	s_cbranch_execz .LBB839_1182
.LBB839_1167:                           ;   in Loop: Header=BB839_990 Depth=2
	v_lshlrev_b32_e32 v64, 2, v177
	ds_read_b32 v66, v64
	ds_read_b64 v[64:65], v104 offset:4096
	v_mov_b32_e32 v67, v4
	v_mov_b32_e32 v68, s83
	s_waitcnt lgkmcnt(1)
	v_add_u32_e32 v66, v66, v6
	v_lshlrev_b64 v[66:67], 3, v[66:67]
	v_add_co_u32_e32 v66, vcc, s82, v66
	v_addc_co_u32_e32 v67, vcc, v68, v67, vcc
	s_waitcnt lgkmcnt(0)
	global_store_dwordx2 v[66:67], v[64:65], off
	s_or_b64 exec, exec, s[36:37]
	s_and_saveexec_b64 s[36:37], s[42:43]
	s_cbranch_execnz .LBB839_1183
.LBB839_1168:                           ;   in Loop: Header=BB839_990 Depth=2
	s_or_b64 exec, exec, s[36:37]
	s_and_saveexec_b64 s[36:37], s[44:45]
	s_cbranch_execz .LBB839_1184
.LBB839_1169:                           ;   in Loop: Header=BB839_990 Depth=2
	v_lshlrev_b32_e32 v64, 2, v174
	ds_read_b32 v66, v64
	ds_read_b64 v[64:65], v104 offset:8192
	v_mov_b32_e32 v67, v4
	v_mov_b32_e32 v68, s83
	s_waitcnt lgkmcnt(1)
	v_add_u32_e32 v66, v66, v10
	v_lshlrev_b64 v[66:67], 3, v[66:67]
	v_add_co_u32_e32 v66, vcc, s82, v66
	v_addc_co_u32_e32 v67, vcc, v68, v67, vcc
	s_waitcnt lgkmcnt(0)
	global_store_dwordx2 v[66:67], v[64:65], off
	s_or_b64 exec, exec, s[36:37]
	s_and_saveexec_b64 s[36:37], s[46:47]
	s_cbranch_execnz .LBB839_1185
.LBB839_1170:                           ;   in Loop: Header=BB839_990 Depth=2
	s_or_b64 exec, exec, s[36:37]
	s_and_saveexec_b64 s[36:37], s[48:49]
	s_cbranch_execz .LBB839_1186
.LBB839_1171:                           ;   in Loop: Header=BB839_990 Depth=2
	v_lshlrev_b32_e32 v64, 2, v172
	ds_read_b32 v66, v64
	ds_read_b64 v[64:65], v104 offset:12288
	v_mov_b32_e32 v67, v4
	v_mov_b32_e32 v68, s83
	s_waitcnt lgkmcnt(1)
	v_add_u32_e32 v66, v66, v14
	v_lshlrev_b64 v[66:67], 3, v[66:67]
	v_add_co_u32_e32 v66, vcc, s82, v66
	v_addc_co_u32_e32 v67, vcc, v68, v67, vcc
	s_waitcnt lgkmcnt(0)
	global_store_dwordx2 v[66:67], v[64:65], off
	s_or_b64 exec, exec, s[36:37]
	s_and_saveexec_b64 s[36:37], s[50:51]
	s_cbranch_execnz .LBB839_1187
.LBB839_1172:                           ;   in Loop: Header=BB839_990 Depth=2
	s_or_b64 exec, exec, s[36:37]
	s_and_saveexec_b64 s[36:37], s[52:53]
	s_cbranch_execz .LBB839_1188
.LBB839_1173:                           ;   in Loop: Header=BB839_990 Depth=2
	v_lshlrev_b32_e32 v64, 2, v170
	ds_read_b32 v66, v64
	ds_read_b64 v[64:65], v104 offset:16384
	v_mov_b32_e32 v67, v4
	v_mov_b32_e32 v68, s83
	s_waitcnt lgkmcnt(1)
	v_add_u32_e32 v66, v66, v18
	v_lshlrev_b64 v[66:67], 3, v[66:67]
	v_add_co_u32_e32 v66, vcc, s82, v66
	v_addc_co_u32_e32 v67, vcc, v68, v67, vcc
	s_waitcnt lgkmcnt(0)
	global_store_dwordx2 v[66:67], v[64:65], off
	s_or_b64 exec, exec, s[36:37]
	s_and_saveexec_b64 s[36:37], s[54:55]
	s_cbranch_execnz .LBB839_1189
.LBB839_1174:                           ;   in Loop: Header=BB839_990 Depth=2
	s_or_b64 exec, exec, s[36:37]
	s_and_saveexec_b64 s[36:37], s[56:57]
	s_cbranch_execz .LBB839_1190
.LBB839_1175:                           ;   in Loop: Header=BB839_990 Depth=2
	v_lshlrev_b32_e32 v64, 2, v168
	ds_read_b32 v66, v64
	ds_read_b64 v[64:65], v104 offset:20480
	v_mov_b32_e32 v67, v4
	v_mov_b32_e32 v68, s83
	s_waitcnt lgkmcnt(1)
	v_add_u32_e32 v66, v66, v22
	v_lshlrev_b64 v[66:67], 3, v[66:67]
	v_add_co_u32_e32 v66, vcc, s82, v66
	v_addc_co_u32_e32 v67, vcc, v68, v67, vcc
	s_waitcnt lgkmcnt(0)
	global_store_dwordx2 v[66:67], v[64:65], off
	s_or_b64 exec, exec, s[36:37]
	s_and_saveexec_b64 s[36:37], s[58:59]
	s_cbranch_execnz .LBB839_1191
.LBB839_1176:                           ;   in Loop: Header=BB839_990 Depth=2
	s_or_b64 exec, exec, s[36:37]
	s_and_saveexec_b64 s[36:37], s[60:61]
	s_cbranch_execz .LBB839_1192
.LBB839_1177:                           ;   in Loop: Header=BB839_990 Depth=2
	v_lshlrev_b32_e32 v64, 2, v166
	ds_read_b32 v66, v64
	ds_read_b64 v[64:65], v104 offset:24576
	v_mov_b32_e32 v67, v4
	v_mov_b32_e32 v68, s83
	s_waitcnt lgkmcnt(1)
	v_add_u32_e32 v66, v66, v26
	v_lshlrev_b64 v[66:67], 3, v[66:67]
	v_add_co_u32_e32 v66, vcc, s82, v66
	v_addc_co_u32_e32 v67, vcc, v68, v67, vcc
	s_waitcnt lgkmcnt(0)
	global_store_dwordx2 v[66:67], v[64:65], off
	s_or_b64 exec, exec, s[36:37]
	s_and_saveexec_b64 s[36:37], s[62:63]
	s_cbranch_execnz .LBB839_1193
.LBB839_1178:                           ;   in Loop: Header=BB839_990 Depth=2
	s_or_b64 exec, exec, s[36:37]
	s_and_saveexec_b64 s[36:37], s[64:65]
	s_cbranch_execz .LBB839_1194
.LBB839_1179:                           ;   in Loop: Header=BB839_990 Depth=2
	v_lshlrev_b32_e32 v64, 2, v164
	ds_read_b32 v66, v64
	ds_read_b64 v[64:65], v104 offset:28672
	v_mov_b32_e32 v67, v4
	v_mov_b32_e32 v68, s83
	s_waitcnt lgkmcnt(1)
	v_add_u32_e32 v66, v66, v30
	v_lshlrev_b64 v[66:67], 3, v[66:67]
	v_add_co_u32_e32 v66, vcc, s82, v66
	v_addc_co_u32_e32 v67, vcc, v68, v67, vcc
	s_waitcnt lgkmcnt(0)
	global_store_dwordx2 v[66:67], v[64:65], off
	s_or_b64 exec, exec, s[36:37]
	s_and_saveexec_b64 s[36:37], s[66:67]
	s_cbranch_execnz .LBB839_1195
	s_branch .LBB839_1196
.LBB839_1180:                           ;   in Loop: Header=BB839_990 Depth=2
	s_or_b64 exec, exec, s[92:93]
	s_and_saveexec_b64 s[36:37], s[38:39]
	s_cbranch_execz .LBB839_1166
.LBB839_1181:                           ;   in Loop: Header=BB839_990 Depth=2
	v_lshlrev_b32_e32 v64, 2, v178
	ds_read_b32 v66, v64
	ds_read_b64 v[64:65], v104 offset:2048
	v_mov_b32_e32 v67, v4
	v_mov_b32_e32 v68, s83
	s_waitcnt lgkmcnt(1)
	v_add_u32_e32 v66, v66, v7
	v_lshlrev_b64 v[66:67], 3, v[66:67]
	v_add_co_u32_e32 v66, vcc, s82, v66
	v_addc_co_u32_e32 v67, vcc, v68, v67, vcc
	s_waitcnt lgkmcnt(0)
	global_store_dwordx2 v[66:67], v[64:65], off
	s_or_b64 exec, exec, s[36:37]
	s_and_saveexec_b64 s[36:37], s[40:41]
	s_cbranch_execnz .LBB839_1167
.LBB839_1182:                           ;   in Loop: Header=BB839_990 Depth=2
	s_or_b64 exec, exec, s[36:37]
	s_and_saveexec_b64 s[36:37], s[42:43]
	s_cbranch_execz .LBB839_1168
.LBB839_1183:                           ;   in Loop: Header=BB839_990 Depth=2
	v_lshlrev_b32_e32 v64, 2, v175
	ds_read_b32 v66, v64
	ds_read_b64 v[64:65], v104 offset:6144
	v_mov_b32_e32 v67, v4
	v_mov_b32_e32 v68, s83
	s_waitcnt lgkmcnt(1)
	v_add_u32_e32 v66, v66, v8
	v_lshlrev_b64 v[66:67], 3, v[66:67]
	v_add_co_u32_e32 v66, vcc, s82, v66
	v_addc_co_u32_e32 v67, vcc, v68, v67, vcc
	s_waitcnt lgkmcnt(0)
	global_store_dwordx2 v[66:67], v[64:65], off
	s_or_b64 exec, exec, s[36:37]
	s_and_saveexec_b64 s[36:37], s[44:45]
	s_cbranch_execnz .LBB839_1169
.LBB839_1184:                           ;   in Loop: Header=BB839_990 Depth=2
	s_or_b64 exec, exec, s[36:37]
	s_and_saveexec_b64 s[36:37], s[46:47]
	s_cbranch_execz .LBB839_1170
.LBB839_1185:                           ;   in Loop: Header=BB839_990 Depth=2
	v_lshlrev_b32_e32 v64, 2, v173
	ds_read_b32 v66, v64
	ds_read_b64 v[64:65], v104 offset:10240
	v_mov_b32_e32 v67, v4
	v_mov_b32_e32 v68, s83
	s_waitcnt lgkmcnt(1)
	v_add_u32_e32 v66, v66, v12
	v_lshlrev_b64 v[66:67], 3, v[66:67]
	v_add_co_u32_e32 v66, vcc, s82, v66
	v_addc_co_u32_e32 v67, vcc, v68, v67, vcc
	s_waitcnt lgkmcnt(0)
	global_store_dwordx2 v[66:67], v[64:65], off
	s_or_b64 exec, exec, s[36:37]
	s_and_saveexec_b64 s[36:37], s[48:49]
	s_cbranch_execnz .LBB839_1171
.LBB839_1186:                           ;   in Loop: Header=BB839_990 Depth=2
	s_or_b64 exec, exec, s[36:37]
	s_and_saveexec_b64 s[36:37], s[50:51]
	s_cbranch_execz .LBB839_1172
.LBB839_1187:                           ;   in Loop: Header=BB839_990 Depth=2
	v_lshlrev_b32_e32 v64, 2, v171
	ds_read_b32 v66, v64
	ds_read_b64 v[64:65], v104 offset:14336
	v_mov_b32_e32 v67, v4
	v_mov_b32_e32 v68, s83
	s_waitcnt lgkmcnt(1)
	v_add_u32_e32 v66, v66, v16
	v_lshlrev_b64 v[66:67], 3, v[66:67]
	v_add_co_u32_e32 v66, vcc, s82, v66
	v_addc_co_u32_e32 v67, vcc, v68, v67, vcc
	s_waitcnt lgkmcnt(0)
	global_store_dwordx2 v[66:67], v[64:65], off
	s_or_b64 exec, exec, s[36:37]
	s_and_saveexec_b64 s[36:37], s[52:53]
	s_cbranch_execnz .LBB839_1173
.LBB839_1188:                           ;   in Loop: Header=BB839_990 Depth=2
	s_or_b64 exec, exec, s[36:37]
	s_and_saveexec_b64 s[36:37], s[54:55]
	s_cbranch_execz .LBB839_1174
.LBB839_1189:                           ;   in Loop: Header=BB839_990 Depth=2
	v_lshlrev_b32_e32 v64, 2, v169
	ds_read_b32 v66, v64
	ds_read_b64 v[64:65], v104 offset:18432
	v_mov_b32_e32 v67, v4
	v_mov_b32_e32 v68, s83
	s_waitcnt lgkmcnt(1)
	v_add_u32_e32 v66, v66, v20
	v_lshlrev_b64 v[66:67], 3, v[66:67]
	v_add_co_u32_e32 v66, vcc, s82, v66
	v_addc_co_u32_e32 v67, vcc, v68, v67, vcc
	s_waitcnt lgkmcnt(0)
	global_store_dwordx2 v[66:67], v[64:65], off
	s_or_b64 exec, exec, s[36:37]
	s_and_saveexec_b64 s[36:37], s[56:57]
	s_cbranch_execnz .LBB839_1175
.LBB839_1190:                           ;   in Loop: Header=BB839_990 Depth=2
	s_or_b64 exec, exec, s[36:37]
	s_and_saveexec_b64 s[36:37], s[58:59]
	s_cbranch_execz .LBB839_1176
.LBB839_1191:                           ;   in Loop: Header=BB839_990 Depth=2
	v_lshlrev_b32_e32 v64, 2, v167
	ds_read_b32 v66, v64
	ds_read_b64 v[64:65], v104 offset:22528
	v_mov_b32_e32 v67, v4
	v_mov_b32_e32 v68, s83
	s_waitcnt lgkmcnt(1)
	v_add_u32_e32 v66, v66, v24
	v_lshlrev_b64 v[66:67], 3, v[66:67]
	v_add_co_u32_e32 v66, vcc, s82, v66
	v_addc_co_u32_e32 v67, vcc, v68, v67, vcc
	s_waitcnt lgkmcnt(0)
	global_store_dwordx2 v[66:67], v[64:65], off
	s_or_b64 exec, exec, s[36:37]
	s_and_saveexec_b64 s[36:37], s[60:61]
	s_cbranch_execnz .LBB839_1177
.LBB839_1192:                           ;   in Loop: Header=BB839_990 Depth=2
	s_or_b64 exec, exec, s[36:37]
	s_and_saveexec_b64 s[36:37], s[62:63]
	s_cbranch_execz .LBB839_1178
.LBB839_1193:                           ;   in Loop: Header=BB839_990 Depth=2
	v_lshlrev_b32_e32 v64, 2, v165
	ds_read_b32 v66, v64
	ds_read_b64 v[64:65], v104 offset:26624
	v_mov_b32_e32 v67, v4
	v_mov_b32_e32 v68, s83
	s_waitcnt lgkmcnt(1)
	v_add_u32_e32 v66, v66, v28
	v_lshlrev_b64 v[66:67], 3, v[66:67]
	v_add_co_u32_e32 v66, vcc, s82, v66
	v_addc_co_u32_e32 v67, vcc, v68, v67, vcc
	s_waitcnt lgkmcnt(0)
	global_store_dwordx2 v[66:67], v[64:65], off
	s_or_b64 exec, exec, s[36:37]
	s_and_saveexec_b64 s[36:37], s[64:65]
	s_cbranch_execnz .LBB839_1179
.LBB839_1194:                           ;   in Loop: Header=BB839_990 Depth=2
	s_or_b64 exec, exec, s[36:37]
	s_and_saveexec_b64 s[36:37], s[66:67]
	s_cbranch_execz .LBB839_1196
.LBB839_1195:                           ;   in Loop: Header=BB839_990 Depth=2
	v_lshlrev_b32_e32 v64, 2, v163
	ds_read_b32 v66, v64
	ds_read_b64 v[64:65], v104 offset:30720
	v_mov_b32_e32 v67, v4
	v_mov_b32_e32 v68, s83
	s_waitcnt lgkmcnt(1)
	v_add_u32_e32 v66, v66, v32
	v_lshlrev_b64 v[66:67], 3, v[66:67]
	v_add_co_u32_e32 v66, vcc, s82, v66
	v_addc_co_u32_e32 v67, vcc, v68, v67, vcc
	s_waitcnt lgkmcnt(0)
	global_store_dwordx2 v[66:67], v[64:65], off
.LBB839_1196:                           ;   in Loop: Header=BB839_990 Depth=2
	s_or_b64 exec, exec, s[36:37]
	s_barrier
	s_and_saveexec_b64 s[36:37], s[4:5]
	s_cbranch_execz .LBB839_989
; %bb.1197:                             ;   in Loop: Header=BB839_990 Depth=2
	ds_read_b32 v64, v3
	s_waitcnt lgkmcnt(0)
	v_add_u32_e32 v5, v64, v5
	ds_write_b32 v3, v5
	s_branch .LBB839_989
.LBB839_1198:
	s_endpgm
	.section	.rodata,"a",@progbits
	.p2align	6, 0x0
	.amdhsa_kernel _ZN7rocprim17ROCPRIM_400000_NS6detail17trampoline_kernelINS0_14default_configENS1_36segmented_radix_sort_config_selectorIllEEZNS1_25segmented_radix_sort_implIS3_Lb0EPKlPlS8_S9_N2at6native12_GLOBAL__N_18offset_tEEE10hipError_tPvRmT1_PNSt15iterator_traitsISH_E10value_typeET2_T3_PNSI_ISN_E10value_typeET4_jRbjT5_ST_jjP12ihipStream_tbEUlT_E2_NS1_11comp_targetILNS1_3genE4ELNS1_11target_archE910ELNS1_3gpuE8ELNS1_3repE0EEENS1_30default_config_static_selectorELNS0_4arch9wavefront6targetE1EEEvSH_
		.amdhsa_group_segment_fixed_size 33808
		.amdhsa_private_segment_fixed_size 128
		.amdhsa_kernarg_size 336
		.amdhsa_user_sgpr_count 8
		.amdhsa_user_sgpr_private_segment_buffer 1
		.amdhsa_user_sgpr_dispatch_ptr 0
		.amdhsa_user_sgpr_queue_ptr 0
		.amdhsa_user_sgpr_kernarg_segment_ptr 1
		.amdhsa_user_sgpr_dispatch_id 0
		.amdhsa_user_sgpr_flat_scratch_init 1
		.amdhsa_user_sgpr_kernarg_preload_length 0
		.amdhsa_user_sgpr_kernarg_preload_offset 0
		.amdhsa_user_sgpr_private_segment_size 0
		.amdhsa_uses_dynamic_stack 0
		.amdhsa_system_sgpr_private_segment_wavefront_offset 1
		.amdhsa_system_sgpr_workgroup_id_x 1
		.amdhsa_system_sgpr_workgroup_id_y 1
		.amdhsa_system_sgpr_workgroup_id_z 0
		.amdhsa_system_sgpr_workgroup_info 0
		.amdhsa_system_vgpr_workitem_id 2
		.amdhsa_next_free_vgpr 280
		.amdhsa_next_free_sgpr 100
		.amdhsa_accum_offset 248
		.amdhsa_reserve_vcc 1
		.amdhsa_reserve_flat_scratch 1
		.amdhsa_float_round_mode_32 0
		.amdhsa_float_round_mode_16_64 0
		.amdhsa_float_denorm_mode_32 3
		.amdhsa_float_denorm_mode_16_64 3
		.amdhsa_dx10_clamp 1
		.amdhsa_ieee_mode 1
		.amdhsa_fp16_overflow 0
		.amdhsa_tg_split 0
		.amdhsa_exception_fp_ieee_invalid_op 0
		.amdhsa_exception_fp_denorm_src 0
		.amdhsa_exception_fp_ieee_div_zero 0
		.amdhsa_exception_fp_ieee_overflow 0
		.amdhsa_exception_fp_ieee_underflow 0
		.amdhsa_exception_fp_ieee_inexact 0
		.amdhsa_exception_int_div_zero 0
	.end_amdhsa_kernel
	.section	.text._ZN7rocprim17ROCPRIM_400000_NS6detail17trampoline_kernelINS0_14default_configENS1_36segmented_radix_sort_config_selectorIllEEZNS1_25segmented_radix_sort_implIS3_Lb0EPKlPlS8_S9_N2at6native12_GLOBAL__N_18offset_tEEE10hipError_tPvRmT1_PNSt15iterator_traitsISH_E10value_typeET2_T3_PNSI_ISN_E10value_typeET4_jRbjT5_ST_jjP12ihipStream_tbEUlT_E2_NS1_11comp_targetILNS1_3genE4ELNS1_11target_archE910ELNS1_3gpuE8ELNS1_3repE0EEENS1_30default_config_static_selectorELNS0_4arch9wavefront6targetE1EEEvSH_,"axG",@progbits,_ZN7rocprim17ROCPRIM_400000_NS6detail17trampoline_kernelINS0_14default_configENS1_36segmented_radix_sort_config_selectorIllEEZNS1_25segmented_radix_sort_implIS3_Lb0EPKlPlS8_S9_N2at6native12_GLOBAL__N_18offset_tEEE10hipError_tPvRmT1_PNSt15iterator_traitsISH_E10value_typeET2_T3_PNSI_ISN_E10value_typeET4_jRbjT5_ST_jjP12ihipStream_tbEUlT_E2_NS1_11comp_targetILNS1_3genE4ELNS1_11target_archE910ELNS1_3gpuE8ELNS1_3repE0EEENS1_30default_config_static_selectorELNS0_4arch9wavefront6targetE1EEEvSH_,comdat
.Lfunc_end839:
	.size	_ZN7rocprim17ROCPRIM_400000_NS6detail17trampoline_kernelINS0_14default_configENS1_36segmented_radix_sort_config_selectorIllEEZNS1_25segmented_radix_sort_implIS3_Lb0EPKlPlS8_S9_N2at6native12_GLOBAL__N_18offset_tEEE10hipError_tPvRmT1_PNSt15iterator_traitsISH_E10value_typeET2_T3_PNSI_ISN_E10value_typeET4_jRbjT5_ST_jjP12ihipStream_tbEUlT_E2_NS1_11comp_targetILNS1_3genE4ELNS1_11target_archE910ELNS1_3gpuE8ELNS1_3repE0EEENS1_30default_config_static_selectorELNS0_4arch9wavefront6targetE1EEEvSH_, .Lfunc_end839-_ZN7rocprim17ROCPRIM_400000_NS6detail17trampoline_kernelINS0_14default_configENS1_36segmented_radix_sort_config_selectorIllEEZNS1_25segmented_radix_sort_implIS3_Lb0EPKlPlS8_S9_N2at6native12_GLOBAL__N_18offset_tEEE10hipError_tPvRmT1_PNSt15iterator_traitsISH_E10value_typeET2_T3_PNSI_ISN_E10value_typeET4_jRbjT5_ST_jjP12ihipStream_tbEUlT_E2_NS1_11comp_targetILNS1_3genE4ELNS1_11target_archE910ELNS1_3gpuE8ELNS1_3repE0EEENS1_30default_config_static_selectorELNS0_4arch9wavefront6targetE1EEEvSH_
                                        ; -- End function
	.section	.AMDGPU.csdata,"",@progbits
; Kernel info:
; codeLenInByte = 67048
; NumSgprs: 106
; NumVgprs: 248
; NumAgprs: 32
; TotalNumVgprs: 280
; ScratchSize: 128
; MemoryBound: 0
; FloatMode: 240
; IeeeMode: 1
; LDSByteSize: 33808 bytes/workgroup (compile time only)
; SGPRBlocks: 13
; VGPRBlocks: 34
; NumSGPRsForWavesPerEU: 106
; NumVGPRsForWavesPerEU: 280
; AccumOffset: 248
; Occupancy: 1
; WaveLimiterHint : 1
; COMPUTE_PGM_RSRC2:SCRATCH_EN: 1
; COMPUTE_PGM_RSRC2:USER_SGPR: 8
; COMPUTE_PGM_RSRC2:TRAP_HANDLER: 0
; COMPUTE_PGM_RSRC2:TGID_X_EN: 1
; COMPUTE_PGM_RSRC2:TGID_Y_EN: 1
; COMPUTE_PGM_RSRC2:TGID_Z_EN: 0
; COMPUTE_PGM_RSRC2:TIDIG_COMP_CNT: 2
; COMPUTE_PGM_RSRC3_GFX90A:ACCUM_OFFSET: 61
; COMPUTE_PGM_RSRC3_GFX90A:TG_SPLIT: 0
	.section	.text._ZN7rocprim17ROCPRIM_400000_NS6detail17trampoline_kernelINS0_14default_configENS1_36segmented_radix_sort_config_selectorIllEEZNS1_25segmented_radix_sort_implIS3_Lb0EPKlPlS8_S9_N2at6native12_GLOBAL__N_18offset_tEEE10hipError_tPvRmT1_PNSt15iterator_traitsISH_E10value_typeET2_T3_PNSI_ISN_E10value_typeET4_jRbjT5_ST_jjP12ihipStream_tbEUlT_E2_NS1_11comp_targetILNS1_3genE3ELNS1_11target_archE908ELNS1_3gpuE7ELNS1_3repE0EEENS1_30default_config_static_selectorELNS0_4arch9wavefront6targetE1EEEvSH_,"axG",@progbits,_ZN7rocprim17ROCPRIM_400000_NS6detail17trampoline_kernelINS0_14default_configENS1_36segmented_radix_sort_config_selectorIllEEZNS1_25segmented_radix_sort_implIS3_Lb0EPKlPlS8_S9_N2at6native12_GLOBAL__N_18offset_tEEE10hipError_tPvRmT1_PNSt15iterator_traitsISH_E10value_typeET2_T3_PNSI_ISN_E10value_typeET4_jRbjT5_ST_jjP12ihipStream_tbEUlT_E2_NS1_11comp_targetILNS1_3genE3ELNS1_11target_archE908ELNS1_3gpuE7ELNS1_3repE0EEENS1_30default_config_static_selectorELNS0_4arch9wavefront6targetE1EEEvSH_,comdat
	.globl	_ZN7rocprim17ROCPRIM_400000_NS6detail17trampoline_kernelINS0_14default_configENS1_36segmented_radix_sort_config_selectorIllEEZNS1_25segmented_radix_sort_implIS3_Lb0EPKlPlS8_S9_N2at6native12_GLOBAL__N_18offset_tEEE10hipError_tPvRmT1_PNSt15iterator_traitsISH_E10value_typeET2_T3_PNSI_ISN_E10value_typeET4_jRbjT5_ST_jjP12ihipStream_tbEUlT_E2_NS1_11comp_targetILNS1_3genE3ELNS1_11target_archE908ELNS1_3gpuE7ELNS1_3repE0EEENS1_30default_config_static_selectorELNS0_4arch9wavefront6targetE1EEEvSH_ ; -- Begin function _ZN7rocprim17ROCPRIM_400000_NS6detail17trampoline_kernelINS0_14default_configENS1_36segmented_radix_sort_config_selectorIllEEZNS1_25segmented_radix_sort_implIS3_Lb0EPKlPlS8_S9_N2at6native12_GLOBAL__N_18offset_tEEE10hipError_tPvRmT1_PNSt15iterator_traitsISH_E10value_typeET2_T3_PNSI_ISN_E10value_typeET4_jRbjT5_ST_jjP12ihipStream_tbEUlT_E2_NS1_11comp_targetILNS1_3genE3ELNS1_11target_archE908ELNS1_3gpuE7ELNS1_3repE0EEENS1_30default_config_static_selectorELNS0_4arch9wavefront6targetE1EEEvSH_
	.p2align	8
	.type	_ZN7rocprim17ROCPRIM_400000_NS6detail17trampoline_kernelINS0_14default_configENS1_36segmented_radix_sort_config_selectorIllEEZNS1_25segmented_radix_sort_implIS3_Lb0EPKlPlS8_S9_N2at6native12_GLOBAL__N_18offset_tEEE10hipError_tPvRmT1_PNSt15iterator_traitsISH_E10value_typeET2_T3_PNSI_ISN_E10value_typeET4_jRbjT5_ST_jjP12ihipStream_tbEUlT_E2_NS1_11comp_targetILNS1_3genE3ELNS1_11target_archE908ELNS1_3gpuE7ELNS1_3repE0EEENS1_30default_config_static_selectorELNS0_4arch9wavefront6targetE1EEEvSH_,@function
_ZN7rocprim17ROCPRIM_400000_NS6detail17trampoline_kernelINS0_14default_configENS1_36segmented_radix_sort_config_selectorIllEEZNS1_25segmented_radix_sort_implIS3_Lb0EPKlPlS8_S9_N2at6native12_GLOBAL__N_18offset_tEEE10hipError_tPvRmT1_PNSt15iterator_traitsISH_E10value_typeET2_T3_PNSI_ISN_E10value_typeET4_jRbjT5_ST_jjP12ihipStream_tbEUlT_E2_NS1_11comp_targetILNS1_3genE3ELNS1_11target_archE908ELNS1_3gpuE7ELNS1_3repE0EEENS1_30default_config_static_selectorELNS0_4arch9wavefront6targetE1EEEvSH_: ; @_ZN7rocprim17ROCPRIM_400000_NS6detail17trampoline_kernelINS0_14default_configENS1_36segmented_radix_sort_config_selectorIllEEZNS1_25segmented_radix_sort_implIS3_Lb0EPKlPlS8_S9_N2at6native12_GLOBAL__N_18offset_tEEE10hipError_tPvRmT1_PNSt15iterator_traitsISH_E10value_typeET2_T3_PNSI_ISN_E10value_typeET4_jRbjT5_ST_jjP12ihipStream_tbEUlT_E2_NS1_11comp_targetILNS1_3genE3ELNS1_11target_archE908ELNS1_3gpuE7ELNS1_3repE0EEENS1_30default_config_static_selectorELNS0_4arch9wavefront6targetE1EEEvSH_
; %bb.0:
	.section	.rodata,"a",@progbits
	.p2align	6, 0x0
	.amdhsa_kernel _ZN7rocprim17ROCPRIM_400000_NS6detail17trampoline_kernelINS0_14default_configENS1_36segmented_radix_sort_config_selectorIllEEZNS1_25segmented_radix_sort_implIS3_Lb0EPKlPlS8_S9_N2at6native12_GLOBAL__N_18offset_tEEE10hipError_tPvRmT1_PNSt15iterator_traitsISH_E10value_typeET2_T3_PNSI_ISN_E10value_typeET4_jRbjT5_ST_jjP12ihipStream_tbEUlT_E2_NS1_11comp_targetILNS1_3genE3ELNS1_11target_archE908ELNS1_3gpuE7ELNS1_3repE0EEENS1_30default_config_static_selectorELNS0_4arch9wavefront6targetE1EEEvSH_
		.amdhsa_group_segment_fixed_size 0
		.amdhsa_private_segment_fixed_size 0
		.amdhsa_kernarg_size 80
		.amdhsa_user_sgpr_count 6
		.amdhsa_user_sgpr_private_segment_buffer 1
		.amdhsa_user_sgpr_dispatch_ptr 0
		.amdhsa_user_sgpr_queue_ptr 0
		.amdhsa_user_sgpr_kernarg_segment_ptr 1
		.amdhsa_user_sgpr_dispatch_id 0
		.amdhsa_user_sgpr_flat_scratch_init 0
		.amdhsa_user_sgpr_kernarg_preload_length 0
		.amdhsa_user_sgpr_kernarg_preload_offset 0
		.amdhsa_user_sgpr_private_segment_size 0
		.amdhsa_uses_dynamic_stack 0
		.amdhsa_system_sgpr_private_segment_wavefront_offset 0
		.amdhsa_system_sgpr_workgroup_id_x 1
		.amdhsa_system_sgpr_workgroup_id_y 0
		.amdhsa_system_sgpr_workgroup_id_z 0
		.amdhsa_system_sgpr_workgroup_info 0
		.amdhsa_system_vgpr_workitem_id 0
		.amdhsa_next_free_vgpr 1
		.amdhsa_next_free_sgpr 0
		.amdhsa_accum_offset 4
		.amdhsa_reserve_vcc 0
		.amdhsa_reserve_flat_scratch 0
		.amdhsa_float_round_mode_32 0
		.amdhsa_float_round_mode_16_64 0
		.amdhsa_float_denorm_mode_32 3
		.amdhsa_float_denorm_mode_16_64 3
		.amdhsa_dx10_clamp 1
		.amdhsa_ieee_mode 1
		.amdhsa_fp16_overflow 0
		.amdhsa_tg_split 0
		.amdhsa_exception_fp_ieee_invalid_op 0
		.amdhsa_exception_fp_denorm_src 0
		.amdhsa_exception_fp_ieee_div_zero 0
		.amdhsa_exception_fp_ieee_overflow 0
		.amdhsa_exception_fp_ieee_underflow 0
		.amdhsa_exception_fp_ieee_inexact 0
		.amdhsa_exception_int_div_zero 0
	.end_amdhsa_kernel
	.section	.text._ZN7rocprim17ROCPRIM_400000_NS6detail17trampoline_kernelINS0_14default_configENS1_36segmented_radix_sort_config_selectorIllEEZNS1_25segmented_radix_sort_implIS3_Lb0EPKlPlS8_S9_N2at6native12_GLOBAL__N_18offset_tEEE10hipError_tPvRmT1_PNSt15iterator_traitsISH_E10value_typeET2_T3_PNSI_ISN_E10value_typeET4_jRbjT5_ST_jjP12ihipStream_tbEUlT_E2_NS1_11comp_targetILNS1_3genE3ELNS1_11target_archE908ELNS1_3gpuE7ELNS1_3repE0EEENS1_30default_config_static_selectorELNS0_4arch9wavefront6targetE1EEEvSH_,"axG",@progbits,_ZN7rocprim17ROCPRIM_400000_NS6detail17trampoline_kernelINS0_14default_configENS1_36segmented_radix_sort_config_selectorIllEEZNS1_25segmented_radix_sort_implIS3_Lb0EPKlPlS8_S9_N2at6native12_GLOBAL__N_18offset_tEEE10hipError_tPvRmT1_PNSt15iterator_traitsISH_E10value_typeET2_T3_PNSI_ISN_E10value_typeET4_jRbjT5_ST_jjP12ihipStream_tbEUlT_E2_NS1_11comp_targetILNS1_3genE3ELNS1_11target_archE908ELNS1_3gpuE7ELNS1_3repE0EEENS1_30default_config_static_selectorELNS0_4arch9wavefront6targetE1EEEvSH_,comdat
.Lfunc_end840:
	.size	_ZN7rocprim17ROCPRIM_400000_NS6detail17trampoline_kernelINS0_14default_configENS1_36segmented_radix_sort_config_selectorIllEEZNS1_25segmented_radix_sort_implIS3_Lb0EPKlPlS8_S9_N2at6native12_GLOBAL__N_18offset_tEEE10hipError_tPvRmT1_PNSt15iterator_traitsISH_E10value_typeET2_T3_PNSI_ISN_E10value_typeET4_jRbjT5_ST_jjP12ihipStream_tbEUlT_E2_NS1_11comp_targetILNS1_3genE3ELNS1_11target_archE908ELNS1_3gpuE7ELNS1_3repE0EEENS1_30default_config_static_selectorELNS0_4arch9wavefront6targetE1EEEvSH_, .Lfunc_end840-_ZN7rocprim17ROCPRIM_400000_NS6detail17trampoline_kernelINS0_14default_configENS1_36segmented_radix_sort_config_selectorIllEEZNS1_25segmented_radix_sort_implIS3_Lb0EPKlPlS8_S9_N2at6native12_GLOBAL__N_18offset_tEEE10hipError_tPvRmT1_PNSt15iterator_traitsISH_E10value_typeET2_T3_PNSI_ISN_E10value_typeET4_jRbjT5_ST_jjP12ihipStream_tbEUlT_E2_NS1_11comp_targetILNS1_3genE3ELNS1_11target_archE908ELNS1_3gpuE7ELNS1_3repE0EEENS1_30default_config_static_selectorELNS0_4arch9wavefront6targetE1EEEvSH_
                                        ; -- End function
	.section	.AMDGPU.csdata,"",@progbits
; Kernel info:
; codeLenInByte = 0
; NumSgprs: 4
; NumVgprs: 0
; NumAgprs: 0
; TotalNumVgprs: 0
; ScratchSize: 0
; MemoryBound: 0
; FloatMode: 240
; IeeeMode: 1
; LDSByteSize: 0 bytes/workgroup (compile time only)
; SGPRBlocks: 0
; VGPRBlocks: 0
; NumSGPRsForWavesPerEU: 4
; NumVGPRsForWavesPerEU: 1
; AccumOffset: 4
; Occupancy: 8
; WaveLimiterHint : 0
; COMPUTE_PGM_RSRC2:SCRATCH_EN: 0
; COMPUTE_PGM_RSRC2:USER_SGPR: 6
; COMPUTE_PGM_RSRC2:TRAP_HANDLER: 0
; COMPUTE_PGM_RSRC2:TGID_X_EN: 1
; COMPUTE_PGM_RSRC2:TGID_Y_EN: 0
; COMPUTE_PGM_RSRC2:TGID_Z_EN: 0
; COMPUTE_PGM_RSRC2:TIDIG_COMP_CNT: 0
; COMPUTE_PGM_RSRC3_GFX90A:ACCUM_OFFSET: 0
; COMPUTE_PGM_RSRC3_GFX90A:TG_SPLIT: 0
	.section	.text._ZN7rocprim17ROCPRIM_400000_NS6detail17trampoline_kernelINS0_14default_configENS1_36segmented_radix_sort_config_selectorIllEEZNS1_25segmented_radix_sort_implIS3_Lb0EPKlPlS8_S9_N2at6native12_GLOBAL__N_18offset_tEEE10hipError_tPvRmT1_PNSt15iterator_traitsISH_E10value_typeET2_T3_PNSI_ISN_E10value_typeET4_jRbjT5_ST_jjP12ihipStream_tbEUlT_E2_NS1_11comp_targetILNS1_3genE2ELNS1_11target_archE906ELNS1_3gpuE6ELNS1_3repE0EEENS1_30default_config_static_selectorELNS0_4arch9wavefront6targetE1EEEvSH_,"axG",@progbits,_ZN7rocprim17ROCPRIM_400000_NS6detail17trampoline_kernelINS0_14default_configENS1_36segmented_radix_sort_config_selectorIllEEZNS1_25segmented_radix_sort_implIS3_Lb0EPKlPlS8_S9_N2at6native12_GLOBAL__N_18offset_tEEE10hipError_tPvRmT1_PNSt15iterator_traitsISH_E10value_typeET2_T3_PNSI_ISN_E10value_typeET4_jRbjT5_ST_jjP12ihipStream_tbEUlT_E2_NS1_11comp_targetILNS1_3genE2ELNS1_11target_archE906ELNS1_3gpuE6ELNS1_3repE0EEENS1_30default_config_static_selectorELNS0_4arch9wavefront6targetE1EEEvSH_,comdat
	.globl	_ZN7rocprim17ROCPRIM_400000_NS6detail17trampoline_kernelINS0_14default_configENS1_36segmented_radix_sort_config_selectorIllEEZNS1_25segmented_radix_sort_implIS3_Lb0EPKlPlS8_S9_N2at6native12_GLOBAL__N_18offset_tEEE10hipError_tPvRmT1_PNSt15iterator_traitsISH_E10value_typeET2_T3_PNSI_ISN_E10value_typeET4_jRbjT5_ST_jjP12ihipStream_tbEUlT_E2_NS1_11comp_targetILNS1_3genE2ELNS1_11target_archE906ELNS1_3gpuE6ELNS1_3repE0EEENS1_30default_config_static_selectorELNS0_4arch9wavefront6targetE1EEEvSH_ ; -- Begin function _ZN7rocprim17ROCPRIM_400000_NS6detail17trampoline_kernelINS0_14default_configENS1_36segmented_radix_sort_config_selectorIllEEZNS1_25segmented_radix_sort_implIS3_Lb0EPKlPlS8_S9_N2at6native12_GLOBAL__N_18offset_tEEE10hipError_tPvRmT1_PNSt15iterator_traitsISH_E10value_typeET2_T3_PNSI_ISN_E10value_typeET4_jRbjT5_ST_jjP12ihipStream_tbEUlT_E2_NS1_11comp_targetILNS1_3genE2ELNS1_11target_archE906ELNS1_3gpuE6ELNS1_3repE0EEENS1_30default_config_static_selectorELNS0_4arch9wavefront6targetE1EEEvSH_
	.p2align	8
	.type	_ZN7rocprim17ROCPRIM_400000_NS6detail17trampoline_kernelINS0_14default_configENS1_36segmented_radix_sort_config_selectorIllEEZNS1_25segmented_radix_sort_implIS3_Lb0EPKlPlS8_S9_N2at6native12_GLOBAL__N_18offset_tEEE10hipError_tPvRmT1_PNSt15iterator_traitsISH_E10value_typeET2_T3_PNSI_ISN_E10value_typeET4_jRbjT5_ST_jjP12ihipStream_tbEUlT_E2_NS1_11comp_targetILNS1_3genE2ELNS1_11target_archE906ELNS1_3gpuE6ELNS1_3repE0EEENS1_30default_config_static_selectorELNS0_4arch9wavefront6targetE1EEEvSH_,@function
_ZN7rocprim17ROCPRIM_400000_NS6detail17trampoline_kernelINS0_14default_configENS1_36segmented_radix_sort_config_selectorIllEEZNS1_25segmented_radix_sort_implIS3_Lb0EPKlPlS8_S9_N2at6native12_GLOBAL__N_18offset_tEEE10hipError_tPvRmT1_PNSt15iterator_traitsISH_E10value_typeET2_T3_PNSI_ISN_E10value_typeET4_jRbjT5_ST_jjP12ihipStream_tbEUlT_E2_NS1_11comp_targetILNS1_3genE2ELNS1_11target_archE906ELNS1_3gpuE6ELNS1_3repE0EEENS1_30default_config_static_selectorELNS0_4arch9wavefront6targetE1EEEvSH_: ; @_ZN7rocprim17ROCPRIM_400000_NS6detail17trampoline_kernelINS0_14default_configENS1_36segmented_radix_sort_config_selectorIllEEZNS1_25segmented_radix_sort_implIS3_Lb0EPKlPlS8_S9_N2at6native12_GLOBAL__N_18offset_tEEE10hipError_tPvRmT1_PNSt15iterator_traitsISH_E10value_typeET2_T3_PNSI_ISN_E10value_typeET4_jRbjT5_ST_jjP12ihipStream_tbEUlT_E2_NS1_11comp_targetILNS1_3genE2ELNS1_11target_archE906ELNS1_3gpuE6ELNS1_3repE0EEENS1_30default_config_static_selectorELNS0_4arch9wavefront6targetE1EEEvSH_
; %bb.0:
	.section	.rodata,"a",@progbits
	.p2align	6, 0x0
	.amdhsa_kernel _ZN7rocprim17ROCPRIM_400000_NS6detail17trampoline_kernelINS0_14default_configENS1_36segmented_radix_sort_config_selectorIllEEZNS1_25segmented_radix_sort_implIS3_Lb0EPKlPlS8_S9_N2at6native12_GLOBAL__N_18offset_tEEE10hipError_tPvRmT1_PNSt15iterator_traitsISH_E10value_typeET2_T3_PNSI_ISN_E10value_typeET4_jRbjT5_ST_jjP12ihipStream_tbEUlT_E2_NS1_11comp_targetILNS1_3genE2ELNS1_11target_archE906ELNS1_3gpuE6ELNS1_3repE0EEENS1_30default_config_static_selectorELNS0_4arch9wavefront6targetE1EEEvSH_
		.amdhsa_group_segment_fixed_size 0
		.amdhsa_private_segment_fixed_size 0
		.amdhsa_kernarg_size 80
		.amdhsa_user_sgpr_count 6
		.amdhsa_user_sgpr_private_segment_buffer 1
		.amdhsa_user_sgpr_dispatch_ptr 0
		.amdhsa_user_sgpr_queue_ptr 0
		.amdhsa_user_sgpr_kernarg_segment_ptr 1
		.amdhsa_user_sgpr_dispatch_id 0
		.amdhsa_user_sgpr_flat_scratch_init 0
		.amdhsa_user_sgpr_kernarg_preload_length 0
		.amdhsa_user_sgpr_kernarg_preload_offset 0
		.amdhsa_user_sgpr_private_segment_size 0
		.amdhsa_uses_dynamic_stack 0
		.amdhsa_system_sgpr_private_segment_wavefront_offset 0
		.amdhsa_system_sgpr_workgroup_id_x 1
		.amdhsa_system_sgpr_workgroup_id_y 0
		.amdhsa_system_sgpr_workgroup_id_z 0
		.amdhsa_system_sgpr_workgroup_info 0
		.amdhsa_system_vgpr_workitem_id 0
		.amdhsa_next_free_vgpr 1
		.amdhsa_next_free_sgpr 0
		.amdhsa_accum_offset 4
		.amdhsa_reserve_vcc 0
		.amdhsa_reserve_flat_scratch 0
		.amdhsa_float_round_mode_32 0
		.amdhsa_float_round_mode_16_64 0
		.amdhsa_float_denorm_mode_32 3
		.amdhsa_float_denorm_mode_16_64 3
		.amdhsa_dx10_clamp 1
		.amdhsa_ieee_mode 1
		.amdhsa_fp16_overflow 0
		.amdhsa_tg_split 0
		.amdhsa_exception_fp_ieee_invalid_op 0
		.amdhsa_exception_fp_denorm_src 0
		.amdhsa_exception_fp_ieee_div_zero 0
		.amdhsa_exception_fp_ieee_overflow 0
		.amdhsa_exception_fp_ieee_underflow 0
		.amdhsa_exception_fp_ieee_inexact 0
		.amdhsa_exception_int_div_zero 0
	.end_amdhsa_kernel
	.section	.text._ZN7rocprim17ROCPRIM_400000_NS6detail17trampoline_kernelINS0_14default_configENS1_36segmented_radix_sort_config_selectorIllEEZNS1_25segmented_radix_sort_implIS3_Lb0EPKlPlS8_S9_N2at6native12_GLOBAL__N_18offset_tEEE10hipError_tPvRmT1_PNSt15iterator_traitsISH_E10value_typeET2_T3_PNSI_ISN_E10value_typeET4_jRbjT5_ST_jjP12ihipStream_tbEUlT_E2_NS1_11comp_targetILNS1_3genE2ELNS1_11target_archE906ELNS1_3gpuE6ELNS1_3repE0EEENS1_30default_config_static_selectorELNS0_4arch9wavefront6targetE1EEEvSH_,"axG",@progbits,_ZN7rocprim17ROCPRIM_400000_NS6detail17trampoline_kernelINS0_14default_configENS1_36segmented_radix_sort_config_selectorIllEEZNS1_25segmented_radix_sort_implIS3_Lb0EPKlPlS8_S9_N2at6native12_GLOBAL__N_18offset_tEEE10hipError_tPvRmT1_PNSt15iterator_traitsISH_E10value_typeET2_T3_PNSI_ISN_E10value_typeET4_jRbjT5_ST_jjP12ihipStream_tbEUlT_E2_NS1_11comp_targetILNS1_3genE2ELNS1_11target_archE906ELNS1_3gpuE6ELNS1_3repE0EEENS1_30default_config_static_selectorELNS0_4arch9wavefront6targetE1EEEvSH_,comdat
.Lfunc_end841:
	.size	_ZN7rocprim17ROCPRIM_400000_NS6detail17trampoline_kernelINS0_14default_configENS1_36segmented_radix_sort_config_selectorIllEEZNS1_25segmented_radix_sort_implIS3_Lb0EPKlPlS8_S9_N2at6native12_GLOBAL__N_18offset_tEEE10hipError_tPvRmT1_PNSt15iterator_traitsISH_E10value_typeET2_T3_PNSI_ISN_E10value_typeET4_jRbjT5_ST_jjP12ihipStream_tbEUlT_E2_NS1_11comp_targetILNS1_3genE2ELNS1_11target_archE906ELNS1_3gpuE6ELNS1_3repE0EEENS1_30default_config_static_selectorELNS0_4arch9wavefront6targetE1EEEvSH_, .Lfunc_end841-_ZN7rocprim17ROCPRIM_400000_NS6detail17trampoline_kernelINS0_14default_configENS1_36segmented_radix_sort_config_selectorIllEEZNS1_25segmented_radix_sort_implIS3_Lb0EPKlPlS8_S9_N2at6native12_GLOBAL__N_18offset_tEEE10hipError_tPvRmT1_PNSt15iterator_traitsISH_E10value_typeET2_T3_PNSI_ISN_E10value_typeET4_jRbjT5_ST_jjP12ihipStream_tbEUlT_E2_NS1_11comp_targetILNS1_3genE2ELNS1_11target_archE906ELNS1_3gpuE6ELNS1_3repE0EEENS1_30default_config_static_selectorELNS0_4arch9wavefront6targetE1EEEvSH_
                                        ; -- End function
	.section	.AMDGPU.csdata,"",@progbits
; Kernel info:
; codeLenInByte = 0
; NumSgprs: 4
; NumVgprs: 0
; NumAgprs: 0
; TotalNumVgprs: 0
; ScratchSize: 0
; MemoryBound: 0
; FloatMode: 240
; IeeeMode: 1
; LDSByteSize: 0 bytes/workgroup (compile time only)
; SGPRBlocks: 0
; VGPRBlocks: 0
; NumSGPRsForWavesPerEU: 4
; NumVGPRsForWavesPerEU: 1
; AccumOffset: 4
; Occupancy: 8
; WaveLimiterHint : 0
; COMPUTE_PGM_RSRC2:SCRATCH_EN: 0
; COMPUTE_PGM_RSRC2:USER_SGPR: 6
; COMPUTE_PGM_RSRC2:TRAP_HANDLER: 0
; COMPUTE_PGM_RSRC2:TGID_X_EN: 1
; COMPUTE_PGM_RSRC2:TGID_Y_EN: 0
; COMPUTE_PGM_RSRC2:TGID_Z_EN: 0
; COMPUTE_PGM_RSRC2:TIDIG_COMP_CNT: 0
; COMPUTE_PGM_RSRC3_GFX90A:ACCUM_OFFSET: 0
; COMPUTE_PGM_RSRC3_GFX90A:TG_SPLIT: 0
	.section	.text._ZN7rocprim17ROCPRIM_400000_NS6detail17trampoline_kernelINS0_14default_configENS1_36segmented_radix_sort_config_selectorIllEEZNS1_25segmented_radix_sort_implIS3_Lb0EPKlPlS8_S9_N2at6native12_GLOBAL__N_18offset_tEEE10hipError_tPvRmT1_PNSt15iterator_traitsISH_E10value_typeET2_T3_PNSI_ISN_E10value_typeET4_jRbjT5_ST_jjP12ihipStream_tbEUlT_E2_NS1_11comp_targetILNS1_3genE10ELNS1_11target_archE1201ELNS1_3gpuE5ELNS1_3repE0EEENS1_30default_config_static_selectorELNS0_4arch9wavefront6targetE1EEEvSH_,"axG",@progbits,_ZN7rocprim17ROCPRIM_400000_NS6detail17trampoline_kernelINS0_14default_configENS1_36segmented_radix_sort_config_selectorIllEEZNS1_25segmented_radix_sort_implIS3_Lb0EPKlPlS8_S9_N2at6native12_GLOBAL__N_18offset_tEEE10hipError_tPvRmT1_PNSt15iterator_traitsISH_E10value_typeET2_T3_PNSI_ISN_E10value_typeET4_jRbjT5_ST_jjP12ihipStream_tbEUlT_E2_NS1_11comp_targetILNS1_3genE10ELNS1_11target_archE1201ELNS1_3gpuE5ELNS1_3repE0EEENS1_30default_config_static_selectorELNS0_4arch9wavefront6targetE1EEEvSH_,comdat
	.globl	_ZN7rocprim17ROCPRIM_400000_NS6detail17trampoline_kernelINS0_14default_configENS1_36segmented_radix_sort_config_selectorIllEEZNS1_25segmented_radix_sort_implIS3_Lb0EPKlPlS8_S9_N2at6native12_GLOBAL__N_18offset_tEEE10hipError_tPvRmT1_PNSt15iterator_traitsISH_E10value_typeET2_T3_PNSI_ISN_E10value_typeET4_jRbjT5_ST_jjP12ihipStream_tbEUlT_E2_NS1_11comp_targetILNS1_3genE10ELNS1_11target_archE1201ELNS1_3gpuE5ELNS1_3repE0EEENS1_30default_config_static_selectorELNS0_4arch9wavefront6targetE1EEEvSH_ ; -- Begin function _ZN7rocprim17ROCPRIM_400000_NS6detail17trampoline_kernelINS0_14default_configENS1_36segmented_radix_sort_config_selectorIllEEZNS1_25segmented_radix_sort_implIS3_Lb0EPKlPlS8_S9_N2at6native12_GLOBAL__N_18offset_tEEE10hipError_tPvRmT1_PNSt15iterator_traitsISH_E10value_typeET2_T3_PNSI_ISN_E10value_typeET4_jRbjT5_ST_jjP12ihipStream_tbEUlT_E2_NS1_11comp_targetILNS1_3genE10ELNS1_11target_archE1201ELNS1_3gpuE5ELNS1_3repE0EEENS1_30default_config_static_selectorELNS0_4arch9wavefront6targetE1EEEvSH_
	.p2align	8
	.type	_ZN7rocprim17ROCPRIM_400000_NS6detail17trampoline_kernelINS0_14default_configENS1_36segmented_radix_sort_config_selectorIllEEZNS1_25segmented_radix_sort_implIS3_Lb0EPKlPlS8_S9_N2at6native12_GLOBAL__N_18offset_tEEE10hipError_tPvRmT1_PNSt15iterator_traitsISH_E10value_typeET2_T3_PNSI_ISN_E10value_typeET4_jRbjT5_ST_jjP12ihipStream_tbEUlT_E2_NS1_11comp_targetILNS1_3genE10ELNS1_11target_archE1201ELNS1_3gpuE5ELNS1_3repE0EEENS1_30default_config_static_selectorELNS0_4arch9wavefront6targetE1EEEvSH_,@function
_ZN7rocprim17ROCPRIM_400000_NS6detail17trampoline_kernelINS0_14default_configENS1_36segmented_radix_sort_config_selectorIllEEZNS1_25segmented_radix_sort_implIS3_Lb0EPKlPlS8_S9_N2at6native12_GLOBAL__N_18offset_tEEE10hipError_tPvRmT1_PNSt15iterator_traitsISH_E10value_typeET2_T3_PNSI_ISN_E10value_typeET4_jRbjT5_ST_jjP12ihipStream_tbEUlT_E2_NS1_11comp_targetILNS1_3genE10ELNS1_11target_archE1201ELNS1_3gpuE5ELNS1_3repE0EEENS1_30default_config_static_selectorELNS0_4arch9wavefront6targetE1EEEvSH_: ; @_ZN7rocprim17ROCPRIM_400000_NS6detail17trampoline_kernelINS0_14default_configENS1_36segmented_radix_sort_config_selectorIllEEZNS1_25segmented_radix_sort_implIS3_Lb0EPKlPlS8_S9_N2at6native12_GLOBAL__N_18offset_tEEE10hipError_tPvRmT1_PNSt15iterator_traitsISH_E10value_typeET2_T3_PNSI_ISN_E10value_typeET4_jRbjT5_ST_jjP12ihipStream_tbEUlT_E2_NS1_11comp_targetILNS1_3genE10ELNS1_11target_archE1201ELNS1_3gpuE5ELNS1_3repE0EEENS1_30default_config_static_selectorELNS0_4arch9wavefront6targetE1EEEvSH_
; %bb.0:
	.section	.rodata,"a",@progbits
	.p2align	6, 0x0
	.amdhsa_kernel _ZN7rocprim17ROCPRIM_400000_NS6detail17trampoline_kernelINS0_14default_configENS1_36segmented_radix_sort_config_selectorIllEEZNS1_25segmented_radix_sort_implIS3_Lb0EPKlPlS8_S9_N2at6native12_GLOBAL__N_18offset_tEEE10hipError_tPvRmT1_PNSt15iterator_traitsISH_E10value_typeET2_T3_PNSI_ISN_E10value_typeET4_jRbjT5_ST_jjP12ihipStream_tbEUlT_E2_NS1_11comp_targetILNS1_3genE10ELNS1_11target_archE1201ELNS1_3gpuE5ELNS1_3repE0EEENS1_30default_config_static_selectorELNS0_4arch9wavefront6targetE1EEEvSH_
		.amdhsa_group_segment_fixed_size 0
		.amdhsa_private_segment_fixed_size 0
		.amdhsa_kernarg_size 80
		.amdhsa_user_sgpr_count 6
		.amdhsa_user_sgpr_private_segment_buffer 1
		.amdhsa_user_sgpr_dispatch_ptr 0
		.amdhsa_user_sgpr_queue_ptr 0
		.amdhsa_user_sgpr_kernarg_segment_ptr 1
		.amdhsa_user_sgpr_dispatch_id 0
		.amdhsa_user_sgpr_flat_scratch_init 0
		.amdhsa_user_sgpr_kernarg_preload_length 0
		.amdhsa_user_sgpr_kernarg_preload_offset 0
		.amdhsa_user_sgpr_private_segment_size 0
		.amdhsa_uses_dynamic_stack 0
		.amdhsa_system_sgpr_private_segment_wavefront_offset 0
		.amdhsa_system_sgpr_workgroup_id_x 1
		.amdhsa_system_sgpr_workgroup_id_y 0
		.amdhsa_system_sgpr_workgroup_id_z 0
		.amdhsa_system_sgpr_workgroup_info 0
		.amdhsa_system_vgpr_workitem_id 0
		.amdhsa_next_free_vgpr 1
		.amdhsa_next_free_sgpr 0
		.amdhsa_accum_offset 4
		.amdhsa_reserve_vcc 0
		.amdhsa_reserve_flat_scratch 0
		.amdhsa_float_round_mode_32 0
		.amdhsa_float_round_mode_16_64 0
		.amdhsa_float_denorm_mode_32 3
		.amdhsa_float_denorm_mode_16_64 3
		.amdhsa_dx10_clamp 1
		.amdhsa_ieee_mode 1
		.amdhsa_fp16_overflow 0
		.amdhsa_tg_split 0
		.amdhsa_exception_fp_ieee_invalid_op 0
		.amdhsa_exception_fp_denorm_src 0
		.amdhsa_exception_fp_ieee_div_zero 0
		.amdhsa_exception_fp_ieee_overflow 0
		.amdhsa_exception_fp_ieee_underflow 0
		.amdhsa_exception_fp_ieee_inexact 0
		.amdhsa_exception_int_div_zero 0
	.end_amdhsa_kernel
	.section	.text._ZN7rocprim17ROCPRIM_400000_NS6detail17trampoline_kernelINS0_14default_configENS1_36segmented_radix_sort_config_selectorIllEEZNS1_25segmented_radix_sort_implIS3_Lb0EPKlPlS8_S9_N2at6native12_GLOBAL__N_18offset_tEEE10hipError_tPvRmT1_PNSt15iterator_traitsISH_E10value_typeET2_T3_PNSI_ISN_E10value_typeET4_jRbjT5_ST_jjP12ihipStream_tbEUlT_E2_NS1_11comp_targetILNS1_3genE10ELNS1_11target_archE1201ELNS1_3gpuE5ELNS1_3repE0EEENS1_30default_config_static_selectorELNS0_4arch9wavefront6targetE1EEEvSH_,"axG",@progbits,_ZN7rocprim17ROCPRIM_400000_NS6detail17trampoline_kernelINS0_14default_configENS1_36segmented_radix_sort_config_selectorIllEEZNS1_25segmented_radix_sort_implIS3_Lb0EPKlPlS8_S9_N2at6native12_GLOBAL__N_18offset_tEEE10hipError_tPvRmT1_PNSt15iterator_traitsISH_E10value_typeET2_T3_PNSI_ISN_E10value_typeET4_jRbjT5_ST_jjP12ihipStream_tbEUlT_E2_NS1_11comp_targetILNS1_3genE10ELNS1_11target_archE1201ELNS1_3gpuE5ELNS1_3repE0EEENS1_30default_config_static_selectorELNS0_4arch9wavefront6targetE1EEEvSH_,comdat
.Lfunc_end842:
	.size	_ZN7rocprim17ROCPRIM_400000_NS6detail17trampoline_kernelINS0_14default_configENS1_36segmented_radix_sort_config_selectorIllEEZNS1_25segmented_radix_sort_implIS3_Lb0EPKlPlS8_S9_N2at6native12_GLOBAL__N_18offset_tEEE10hipError_tPvRmT1_PNSt15iterator_traitsISH_E10value_typeET2_T3_PNSI_ISN_E10value_typeET4_jRbjT5_ST_jjP12ihipStream_tbEUlT_E2_NS1_11comp_targetILNS1_3genE10ELNS1_11target_archE1201ELNS1_3gpuE5ELNS1_3repE0EEENS1_30default_config_static_selectorELNS0_4arch9wavefront6targetE1EEEvSH_, .Lfunc_end842-_ZN7rocprim17ROCPRIM_400000_NS6detail17trampoline_kernelINS0_14default_configENS1_36segmented_radix_sort_config_selectorIllEEZNS1_25segmented_radix_sort_implIS3_Lb0EPKlPlS8_S9_N2at6native12_GLOBAL__N_18offset_tEEE10hipError_tPvRmT1_PNSt15iterator_traitsISH_E10value_typeET2_T3_PNSI_ISN_E10value_typeET4_jRbjT5_ST_jjP12ihipStream_tbEUlT_E2_NS1_11comp_targetILNS1_3genE10ELNS1_11target_archE1201ELNS1_3gpuE5ELNS1_3repE0EEENS1_30default_config_static_selectorELNS0_4arch9wavefront6targetE1EEEvSH_
                                        ; -- End function
	.section	.AMDGPU.csdata,"",@progbits
; Kernel info:
; codeLenInByte = 0
; NumSgprs: 4
; NumVgprs: 0
; NumAgprs: 0
; TotalNumVgprs: 0
; ScratchSize: 0
; MemoryBound: 0
; FloatMode: 240
; IeeeMode: 1
; LDSByteSize: 0 bytes/workgroup (compile time only)
; SGPRBlocks: 0
; VGPRBlocks: 0
; NumSGPRsForWavesPerEU: 4
; NumVGPRsForWavesPerEU: 1
; AccumOffset: 4
; Occupancy: 8
; WaveLimiterHint : 0
; COMPUTE_PGM_RSRC2:SCRATCH_EN: 0
; COMPUTE_PGM_RSRC2:USER_SGPR: 6
; COMPUTE_PGM_RSRC2:TRAP_HANDLER: 0
; COMPUTE_PGM_RSRC2:TGID_X_EN: 1
; COMPUTE_PGM_RSRC2:TGID_Y_EN: 0
; COMPUTE_PGM_RSRC2:TGID_Z_EN: 0
; COMPUTE_PGM_RSRC2:TIDIG_COMP_CNT: 0
; COMPUTE_PGM_RSRC3_GFX90A:ACCUM_OFFSET: 0
; COMPUTE_PGM_RSRC3_GFX90A:TG_SPLIT: 0
	.section	.text._ZN7rocprim17ROCPRIM_400000_NS6detail17trampoline_kernelINS0_14default_configENS1_36segmented_radix_sort_config_selectorIllEEZNS1_25segmented_radix_sort_implIS3_Lb0EPKlPlS8_S9_N2at6native12_GLOBAL__N_18offset_tEEE10hipError_tPvRmT1_PNSt15iterator_traitsISH_E10value_typeET2_T3_PNSI_ISN_E10value_typeET4_jRbjT5_ST_jjP12ihipStream_tbEUlT_E2_NS1_11comp_targetILNS1_3genE10ELNS1_11target_archE1200ELNS1_3gpuE4ELNS1_3repE0EEENS1_30default_config_static_selectorELNS0_4arch9wavefront6targetE1EEEvSH_,"axG",@progbits,_ZN7rocprim17ROCPRIM_400000_NS6detail17trampoline_kernelINS0_14default_configENS1_36segmented_radix_sort_config_selectorIllEEZNS1_25segmented_radix_sort_implIS3_Lb0EPKlPlS8_S9_N2at6native12_GLOBAL__N_18offset_tEEE10hipError_tPvRmT1_PNSt15iterator_traitsISH_E10value_typeET2_T3_PNSI_ISN_E10value_typeET4_jRbjT5_ST_jjP12ihipStream_tbEUlT_E2_NS1_11comp_targetILNS1_3genE10ELNS1_11target_archE1200ELNS1_3gpuE4ELNS1_3repE0EEENS1_30default_config_static_selectorELNS0_4arch9wavefront6targetE1EEEvSH_,comdat
	.globl	_ZN7rocprim17ROCPRIM_400000_NS6detail17trampoline_kernelINS0_14default_configENS1_36segmented_radix_sort_config_selectorIllEEZNS1_25segmented_radix_sort_implIS3_Lb0EPKlPlS8_S9_N2at6native12_GLOBAL__N_18offset_tEEE10hipError_tPvRmT1_PNSt15iterator_traitsISH_E10value_typeET2_T3_PNSI_ISN_E10value_typeET4_jRbjT5_ST_jjP12ihipStream_tbEUlT_E2_NS1_11comp_targetILNS1_3genE10ELNS1_11target_archE1200ELNS1_3gpuE4ELNS1_3repE0EEENS1_30default_config_static_selectorELNS0_4arch9wavefront6targetE1EEEvSH_ ; -- Begin function _ZN7rocprim17ROCPRIM_400000_NS6detail17trampoline_kernelINS0_14default_configENS1_36segmented_radix_sort_config_selectorIllEEZNS1_25segmented_radix_sort_implIS3_Lb0EPKlPlS8_S9_N2at6native12_GLOBAL__N_18offset_tEEE10hipError_tPvRmT1_PNSt15iterator_traitsISH_E10value_typeET2_T3_PNSI_ISN_E10value_typeET4_jRbjT5_ST_jjP12ihipStream_tbEUlT_E2_NS1_11comp_targetILNS1_3genE10ELNS1_11target_archE1200ELNS1_3gpuE4ELNS1_3repE0EEENS1_30default_config_static_selectorELNS0_4arch9wavefront6targetE1EEEvSH_
	.p2align	8
	.type	_ZN7rocprim17ROCPRIM_400000_NS6detail17trampoline_kernelINS0_14default_configENS1_36segmented_radix_sort_config_selectorIllEEZNS1_25segmented_radix_sort_implIS3_Lb0EPKlPlS8_S9_N2at6native12_GLOBAL__N_18offset_tEEE10hipError_tPvRmT1_PNSt15iterator_traitsISH_E10value_typeET2_T3_PNSI_ISN_E10value_typeET4_jRbjT5_ST_jjP12ihipStream_tbEUlT_E2_NS1_11comp_targetILNS1_3genE10ELNS1_11target_archE1200ELNS1_3gpuE4ELNS1_3repE0EEENS1_30default_config_static_selectorELNS0_4arch9wavefront6targetE1EEEvSH_,@function
_ZN7rocprim17ROCPRIM_400000_NS6detail17trampoline_kernelINS0_14default_configENS1_36segmented_radix_sort_config_selectorIllEEZNS1_25segmented_radix_sort_implIS3_Lb0EPKlPlS8_S9_N2at6native12_GLOBAL__N_18offset_tEEE10hipError_tPvRmT1_PNSt15iterator_traitsISH_E10value_typeET2_T3_PNSI_ISN_E10value_typeET4_jRbjT5_ST_jjP12ihipStream_tbEUlT_E2_NS1_11comp_targetILNS1_3genE10ELNS1_11target_archE1200ELNS1_3gpuE4ELNS1_3repE0EEENS1_30default_config_static_selectorELNS0_4arch9wavefront6targetE1EEEvSH_: ; @_ZN7rocprim17ROCPRIM_400000_NS6detail17trampoline_kernelINS0_14default_configENS1_36segmented_radix_sort_config_selectorIllEEZNS1_25segmented_radix_sort_implIS3_Lb0EPKlPlS8_S9_N2at6native12_GLOBAL__N_18offset_tEEE10hipError_tPvRmT1_PNSt15iterator_traitsISH_E10value_typeET2_T3_PNSI_ISN_E10value_typeET4_jRbjT5_ST_jjP12ihipStream_tbEUlT_E2_NS1_11comp_targetILNS1_3genE10ELNS1_11target_archE1200ELNS1_3gpuE4ELNS1_3repE0EEENS1_30default_config_static_selectorELNS0_4arch9wavefront6targetE1EEEvSH_
; %bb.0:
	.section	.rodata,"a",@progbits
	.p2align	6, 0x0
	.amdhsa_kernel _ZN7rocprim17ROCPRIM_400000_NS6detail17trampoline_kernelINS0_14default_configENS1_36segmented_radix_sort_config_selectorIllEEZNS1_25segmented_radix_sort_implIS3_Lb0EPKlPlS8_S9_N2at6native12_GLOBAL__N_18offset_tEEE10hipError_tPvRmT1_PNSt15iterator_traitsISH_E10value_typeET2_T3_PNSI_ISN_E10value_typeET4_jRbjT5_ST_jjP12ihipStream_tbEUlT_E2_NS1_11comp_targetILNS1_3genE10ELNS1_11target_archE1200ELNS1_3gpuE4ELNS1_3repE0EEENS1_30default_config_static_selectorELNS0_4arch9wavefront6targetE1EEEvSH_
		.amdhsa_group_segment_fixed_size 0
		.amdhsa_private_segment_fixed_size 0
		.amdhsa_kernarg_size 80
		.amdhsa_user_sgpr_count 6
		.amdhsa_user_sgpr_private_segment_buffer 1
		.amdhsa_user_sgpr_dispatch_ptr 0
		.amdhsa_user_sgpr_queue_ptr 0
		.amdhsa_user_sgpr_kernarg_segment_ptr 1
		.amdhsa_user_sgpr_dispatch_id 0
		.amdhsa_user_sgpr_flat_scratch_init 0
		.amdhsa_user_sgpr_kernarg_preload_length 0
		.amdhsa_user_sgpr_kernarg_preload_offset 0
		.amdhsa_user_sgpr_private_segment_size 0
		.amdhsa_uses_dynamic_stack 0
		.amdhsa_system_sgpr_private_segment_wavefront_offset 0
		.amdhsa_system_sgpr_workgroup_id_x 1
		.amdhsa_system_sgpr_workgroup_id_y 0
		.amdhsa_system_sgpr_workgroup_id_z 0
		.amdhsa_system_sgpr_workgroup_info 0
		.amdhsa_system_vgpr_workitem_id 0
		.amdhsa_next_free_vgpr 1
		.amdhsa_next_free_sgpr 0
		.amdhsa_accum_offset 4
		.amdhsa_reserve_vcc 0
		.amdhsa_reserve_flat_scratch 0
		.amdhsa_float_round_mode_32 0
		.amdhsa_float_round_mode_16_64 0
		.amdhsa_float_denorm_mode_32 3
		.amdhsa_float_denorm_mode_16_64 3
		.amdhsa_dx10_clamp 1
		.amdhsa_ieee_mode 1
		.amdhsa_fp16_overflow 0
		.amdhsa_tg_split 0
		.amdhsa_exception_fp_ieee_invalid_op 0
		.amdhsa_exception_fp_denorm_src 0
		.amdhsa_exception_fp_ieee_div_zero 0
		.amdhsa_exception_fp_ieee_overflow 0
		.amdhsa_exception_fp_ieee_underflow 0
		.amdhsa_exception_fp_ieee_inexact 0
		.amdhsa_exception_int_div_zero 0
	.end_amdhsa_kernel
	.section	.text._ZN7rocprim17ROCPRIM_400000_NS6detail17trampoline_kernelINS0_14default_configENS1_36segmented_radix_sort_config_selectorIllEEZNS1_25segmented_radix_sort_implIS3_Lb0EPKlPlS8_S9_N2at6native12_GLOBAL__N_18offset_tEEE10hipError_tPvRmT1_PNSt15iterator_traitsISH_E10value_typeET2_T3_PNSI_ISN_E10value_typeET4_jRbjT5_ST_jjP12ihipStream_tbEUlT_E2_NS1_11comp_targetILNS1_3genE10ELNS1_11target_archE1200ELNS1_3gpuE4ELNS1_3repE0EEENS1_30default_config_static_selectorELNS0_4arch9wavefront6targetE1EEEvSH_,"axG",@progbits,_ZN7rocprim17ROCPRIM_400000_NS6detail17trampoline_kernelINS0_14default_configENS1_36segmented_radix_sort_config_selectorIllEEZNS1_25segmented_radix_sort_implIS3_Lb0EPKlPlS8_S9_N2at6native12_GLOBAL__N_18offset_tEEE10hipError_tPvRmT1_PNSt15iterator_traitsISH_E10value_typeET2_T3_PNSI_ISN_E10value_typeET4_jRbjT5_ST_jjP12ihipStream_tbEUlT_E2_NS1_11comp_targetILNS1_3genE10ELNS1_11target_archE1200ELNS1_3gpuE4ELNS1_3repE0EEENS1_30default_config_static_selectorELNS0_4arch9wavefront6targetE1EEEvSH_,comdat
.Lfunc_end843:
	.size	_ZN7rocprim17ROCPRIM_400000_NS6detail17trampoline_kernelINS0_14default_configENS1_36segmented_radix_sort_config_selectorIllEEZNS1_25segmented_radix_sort_implIS3_Lb0EPKlPlS8_S9_N2at6native12_GLOBAL__N_18offset_tEEE10hipError_tPvRmT1_PNSt15iterator_traitsISH_E10value_typeET2_T3_PNSI_ISN_E10value_typeET4_jRbjT5_ST_jjP12ihipStream_tbEUlT_E2_NS1_11comp_targetILNS1_3genE10ELNS1_11target_archE1200ELNS1_3gpuE4ELNS1_3repE0EEENS1_30default_config_static_selectorELNS0_4arch9wavefront6targetE1EEEvSH_, .Lfunc_end843-_ZN7rocprim17ROCPRIM_400000_NS6detail17trampoline_kernelINS0_14default_configENS1_36segmented_radix_sort_config_selectorIllEEZNS1_25segmented_radix_sort_implIS3_Lb0EPKlPlS8_S9_N2at6native12_GLOBAL__N_18offset_tEEE10hipError_tPvRmT1_PNSt15iterator_traitsISH_E10value_typeET2_T3_PNSI_ISN_E10value_typeET4_jRbjT5_ST_jjP12ihipStream_tbEUlT_E2_NS1_11comp_targetILNS1_3genE10ELNS1_11target_archE1200ELNS1_3gpuE4ELNS1_3repE0EEENS1_30default_config_static_selectorELNS0_4arch9wavefront6targetE1EEEvSH_
                                        ; -- End function
	.section	.AMDGPU.csdata,"",@progbits
; Kernel info:
; codeLenInByte = 0
; NumSgprs: 4
; NumVgprs: 0
; NumAgprs: 0
; TotalNumVgprs: 0
; ScratchSize: 0
; MemoryBound: 0
; FloatMode: 240
; IeeeMode: 1
; LDSByteSize: 0 bytes/workgroup (compile time only)
; SGPRBlocks: 0
; VGPRBlocks: 0
; NumSGPRsForWavesPerEU: 4
; NumVGPRsForWavesPerEU: 1
; AccumOffset: 4
; Occupancy: 8
; WaveLimiterHint : 0
; COMPUTE_PGM_RSRC2:SCRATCH_EN: 0
; COMPUTE_PGM_RSRC2:USER_SGPR: 6
; COMPUTE_PGM_RSRC2:TRAP_HANDLER: 0
; COMPUTE_PGM_RSRC2:TGID_X_EN: 1
; COMPUTE_PGM_RSRC2:TGID_Y_EN: 0
; COMPUTE_PGM_RSRC2:TGID_Z_EN: 0
; COMPUTE_PGM_RSRC2:TIDIG_COMP_CNT: 0
; COMPUTE_PGM_RSRC3_GFX90A:ACCUM_OFFSET: 0
; COMPUTE_PGM_RSRC3_GFX90A:TG_SPLIT: 0
	.section	.text._ZN7rocprim17ROCPRIM_400000_NS6detail17trampoline_kernelINS0_14default_configENS1_36segmented_radix_sort_config_selectorIllEEZNS1_25segmented_radix_sort_implIS3_Lb0EPKlPlS8_S9_N2at6native12_GLOBAL__N_18offset_tEEE10hipError_tPvRmT1_PNSt15iterator_traitsISH_E10value_typeET2_T3_PNSI_ISN_E10value_typeET4_jRbjT5_ST_jjP12ihipStream_tbEUlT_E2_NS1_11comp_targetILNS1_3genE9ELNS1_11target_archE1100ELNS1_3gpuE3ELNS1_3repE0EEENS1_30default_config_static_selectorELNS0_4arch9wavefront6targetE1EEEvSH_,"axG",@progbits,_ZN7rocprim17ROCPRIM_400000_NS6detail17trampoline_kernelINS0_14default_configENS1_36segmented_radix_sort_config_selectorIllEEZNS1_25segmented_radix_sort_implIS3_Lb0EPKlPlS8_S9_N2at6native12_GLOBAL__N_18offset_tEEE10hipError_tPvRmT1_PNSt15iterator_traitsISH_E10value_typeET2_T3_PNSI_ISN_E10value_typeET4_jRbjT5_ST_jjP12ihipStream_tbEUlT_E2_NS1_11comp_targetILNS1_3genE9ELNS1_11target_archE1100ELNS1_3gpuE3ELNS1_3repE0EEENS1_30default_config_static_selectorELNS0_4arch9wavefront6targetE1EEEvSH_,comdat
	.globl	_ZN7rocprim17ROCPRIM_400000_NS6detail17trampoline_kernelINS0_14default_configENS1_36segmented_radix_sort_config_selectorIllEEZNS1_25segmented_radix_sort_implIS3_Lb0EPKlPlS8_S9_N2at6native12_GLOBAL__N_18offset_tEEE10hipError_tPvRmT1_PNSt15iterator_traitsISH_E10value_typeET2_T3_PNSI_ISN_E10value_typeET4_jRbjT5_ST_jjP12ihipStream_tbEUlT_E2_NS1_11comp_targetILNS1_3genE9ELNS1_11target_archE1100ELNS1_3gpuE3ELNS1_3repE0EEENS1_30default_config_static_selectorELNS0_4arch9wavefront6targetE1EEEvSH_ ; -- Begin function _ZN7rocprim17ROCPRIM_400000_NS6detail17trampoline_kernelINS0_14default_configENS1_36segmented_radix_sort_config_selectorIllEEZNS1_25segmented_radix_sort_implIS3_Lb0EPKlPlS8_S9_N2at6native12_GLOBAL__N_18offset_tEEE10hipError_tPvRmT1_PNSt15iterator_traitsISH_E10value_typeET2_T3_PNSI_ISN_E10value_typeET4_jRbjT5_ST_jjP12ihipStream_tbEUlT_E2_NS1_11comp_targetILNS1_3genE9ELNS1_11target_archE1100ELNS1_3gpuE3ELNS1_3repE0EEENS1_30default_config_static_selectorELNS0_4arch9wavefront6targetE1EEEvSH_
	.p2align	8
	.type	_ZN7rocprim17ROCPRIM_400000_NS6detail17trampoline_kernelINS0_14default_configENS1_36segmented_radix_sort_config_selectorIllEEZNS1_25segmented_radix_sort_implIS3_Lb0EPKlPlS8_S9_N2at6native12_GLOBAL__N_18offset_tEEE10hipError_tPvRmT1_PNSt15iterator_traitsISH_E10value_typeET2_T3_PNSI_ISN_E10value_typeET4_jRbjT5_ST_jjP12ihipStream_tbEUlT_E2_NS1_11comp_targetILNS1_3genE9ELNS1_11target_archE1100ELNS1_3gpuE3ELNS1_3repE0EEENS1_30default_config_static_selectorELNS0_4arch9wavefront6targetE1EEEvSH_,@function
_ZN7rocprim17ROCPRIM_400000_NS6detail17trampoline_kernelINS0_14default_configENS1_36segmented_radix_sort_config_selectorIllEEZNS1_25segmented_radix_sort_implIS3_Lb0EPKlPlS8_S9_N2at6native12_GLOBAL__N_18offset_tEEE10hipError_tPvRmT1_PNSt15iterator_traitsISH_E10value_typeET2_T3_PNSI_ISN_E10value_typeET4_jRbjT5_ST_jjP12ihipStream_tbEUlT_E2_NS1_11comp_targetILNS1_3genE9ELNS1_11target_archE1100ELNS1_3gpuE3ELNS1_3repE0EEENS1_30default_config_static_selectorELNS0_4arch9wavefront6targetE1EEEvSH_: ; @_ZN7rocprim17ROCPRIM_400000_NS6detail17trampoline_kernelINS0_14default_configENS1_36segmented_radix_sort_config_selectorIllEEZNS1_25segmented_radix_sort_implIS3_Lb0EPKlPlS8_S9_N2at6native12_GLOBAL__N_18offset_tEEE10hipError_tPvRmT1_PNSt15iterator_traitsISH_E10value_typeET2_T3_PNSI_ISN_E10value_typeET4_jRbjT5_ST_jjP12ihipStream_tbEUlT_E2_NS1_11comp_targetILNS1_3genE9ELNS1_11target_archE1100ELNS1_3gpuE3ELNS1_3repE0EEENS1_30default_config_static_selectorELNS0_4arch9wavefront6targetE1EEEvSH_
; %bb.0:
	.section	.rodata,"a",@progbits
	.p2align	6, 0x0
	.amdhsa_kernel _ZN7rocprim17ROCPRIM_400000_NS6detail17trampoline_kernelINS0_14default_configENS1_36segmented_radix_sort_config_selectorIllEEZNS1_25segmented_radix_sort_implIS3_Lb0EPKlPlS8_S9_N2at6native12_GLOBAL__N_18offset_tEEE10hipError_tPvRmT1_PNSt15iterator_traitsISH_E10value_typeET2_T3_PNSI_ISN_E10value_typeET4_jRbjT5_ST_jjP12ihipStream_tbEUlT_E2_NS1_11comp_targetILNS1_3genE9ELNS1_11target_archE1100ELNS1_3gpuE3ELNS1_3repE0EEENS1_30default_config_static_selectorELNS0_4arch9wavefront6targetE1EEEvSH_
		.amdhsa_group_segment_fixed_size 0
		.amdhsa_private_segment_fixed_size 0
		.amdhsa_kernarg_size 80
		.amdhsa_user_sgpr_count 6
		.amdhsa_user_sgpr_private_segment_buffer 1
		.amdhsa_user_sgpr_dispatch_ptr 0
		.amdhsa_user_sgpr_queue_ptr 0
		.amdhsa_user_sgpr_kernarg_segment_ptr 1
		.amdhsa_user_sgpr_dispatch_id 0
		.amdhsa_user_sgpr_flat_scratch_init 0
		.amdhsa_user_sgpr_kernarg_preload_length 0
		.amdhsa_user_sgpr_kernarg_preload_offset 0
		.amdhsa_user_sgpr_private_segment_size 0
		.amdhsa_uses_dynamic_stack 0
		.amdhsa_system_sgpr_private_segment_wavefront_offset 0
		.amdhsa_system_sgpr_workgroup_id_x 1
		.amdhsa_system_sgpr_workgroup_id_y 0
		.amdhsa_system_sgpr_workgroup_id_z 0
		.amdhsa_system_sgpr_workgroup_info 0
		.amdhsa_system_vgpr_workitem_id 0
		.amdhsa_next_free_vgpr 1
		.amdhsa_next_free_sgpr 0
		.amdhsa_accum_offset 4
		.amdhsa_reserve_vcc 0
		.amdhsa_reserve_flat_scratch 0
		.amdhsa_float_round_mode_32 0
		.amdhsa_float_round_mode_16_64 0
		.amdhsa_float_denorm_mode_32 3
		.amdhsa_float_denorm_mode_16_64 3
		.amdhsa_dx10_clamp 1
		.amdhsa_ieee_mode 1
		.amdhsa_fp16_overflow 0
		.amdhsa_tg_split 0
		.amdhsa_exception_fp_ieee_invalid_op 0
		.amdhsa_exception_fp_denorm_src 0
		.amdhsa_exception_fp_ieee_div_zero 0
		.amdhsa_exception_fp_ieee_overflow 0
		.amdhsa_exception_fp_ieee_underflow 0
		.amdhsa_exception_fp_ieee_inexact 0
		.amdhsa_exception_int_div_zero 0
	.end_amdhsa_kernel
	.section	.text._ZN7rocprim17ROCPRIM_400000_NS6detail17trampoline_kernelINS0_14default_configENS1_36segmented_radix_sort_config_selectorIllEEZNS1_25segmented_radix_sort_implIS3_Lb0EPKlPlS8_S9_N2at6native12_GLOBAL__N_18offset_tEEE10hipError_tPvRmT1_PNSt15iterator_traitsISH_E10value_typeET2_T3_PNSI_ISN_E10value_typeET4_jRbjT5_ST_jjP12ihipStream_tbEUlT_E2_NS1_11comp_targetILNS1_3genE9ELNS1_11target_archE1100ELNS1_3gpuE3ELNS1_3repE0EEENS1_30default_config_static_selectorELNS0_4arch9wavefront6targetE1EEEvSH_,"axG",@progbits,_ZN7rocprim17ROCPRIM_400000_NS6detail17trampoline_kernelINS0_14default_configENS1_36segmented_radix_sort_config_selectorIllEEZNS1_25segmented_radix_sort_implIS3_Lb0EPKlPlS8_S9_N2at6native12_GLOBAL__N_18offset_tEEE10hipError_tPvRmT1_PNSt15iterator_traitsISH_E10value_typeET2_T3_PNSI_ISN_E10value_typeET4_jRbjT5_ST_jjP12ihipStream_tbEUlT_E2_NS1_11comp_targetILNS1_3genE9ELNS1_11target_archE1100ELNS1_3gpuE3ELNS1_3repE0EEENS1_30default_config_static_selectorELNS0_4arch9wavefront6targetE1EEEvSH_,comdat
.Lfunc_end844:
	.size	_ZN7rocprim17ROCPRIM_400000_NS6detail17trampoline_kernelINS0_14default_configENS1_36segmented_radix_sort_config_selectorIllEEZNS1_25segmented_radix_sort_implIS3_Lb0EPKlPlS8_S9_N2at6native12_GLOBAL__N_18offset_tEEE10hipError_tPvRmT1_PNSt15iterator_traitsISH_E10value_typeET2_T3_PNSI_ISN_E10value_typeET4_jRbjT5_ST_jjP12ihipStream_tbEUlT_E2_NS1_11comp_targetILNS1_3genE9ELNS1_11target_archE1100ELNS1_3gpuE3ELNS1_3repE0EEENS1_30default_config_static_selectorELNS0_4arch9wavefront6targetE1EEEvSH_, .Lfunc_end844-_ZN7rocprim17ROCPRIM_400000_NS6detail17trampoline_kernelINS0_14default_configENS1_36segmented_radix_sort_config_selectorIllEEZNS1_25segmented_radix_sort_implIS3_Lb0EPKlPlS8_S9_N2at6native12_GLOBAL__N_18offset_tEEE10hipError_tPvRmT1_PNSt15iterator_traitsISH_E10value_typeET2_T3_PNSI_ISN_E10value_typeET4_jRbjT5_ST_jjP12ihipStream_tbEUlT_E2_NS1_11comp_targetILNS1_3genE9ELNS1_11target_archE1100ELNS1_3gpuE3ELNS1_3repE0EEENS1_30default_config_static_selectorELNS0_4arch9wavefront6targetE1EEEvSH_
                                        ; -- End function
	.section	.AMDGPU.csdata,"",@progbits
; Kernel info:
; codeLenInByte = 0
; NumSgprs: 4
; NumVgprs: 0
; NumAgprs: 0
; TotalNumVgprs: 0
; ScratchSize: 0
; MemoryBound: 0
; FloatMode: 240
; IeeeMode: 1
; LDSByteSize: 0 bytes/workgroup (compile time only)
; SGPRBlocks: 0
; VGPRBlocks: 0
; NumSGPRsForWavesPerEU: 4
; NumVGPRsForWavesPerEU: 1
; AccumOffset: 4
; Occupancy: 8
; WaveLimiterHint : 0
; COMPUTE_PGM_RSRC2:SCRATCH_EN: 0
; COMPUTE_PGM_RSRC2:USER_SGPR: 6
; COMPUTE_PGM_RSRC2:TRAP_HANDLER: 0
; COMPUTE_PGM_RSRC2:TGID_X_EN: 1
; COMPUTE_PGM_RSRC2:TGID_Y_EN: 0
; COMPUTE_PGM_RSRC2:TGID_Z_EN: 0
; COMPUTE_PGM_RSRC2:TIDIG_COMP_CNT: 0
; COMPUTE_PGM_RSRC3_GFX90A:ACCUM_OFFSET: 0
; COMPUTE_PGM_RSRC3_GFX90A:TG_SPLIT: 0
	.section	.text._ZN7rocprim17ROCPRIM_400000_NS6detail17trampoline_kernelINS0_14default_configENS1_36segmented_radix_sort_config_selectorIllEEZNS1_25segmented_radix_sort_implIS3_Lb0EPKlPlS8_S9_N2at6native12_GLOBAL__N_18offset_tEEE10hipError_tPvRmT1_PNSt15iterator_traitsISH_E10value_typeET2_T3_PNSI_ISN_E10value_typeET4_jRbjT5_ST_jjP12ihipStream_tbEUlT_E2_NS1_11comp_targetILNS1_3genE8ELNS1_11target_archE1030ELNS1_3gpuE2ELNS1_3repE0EEENS1_30default_config_static_selectorELNS0_4arch9wavefront6targetE1EEEvSH_,"axG",@progbits,_ZN7rocprim17ROCPRIM_400000_NS6detail17trampoline_kernelINS0_14default_configENS1_36segmented_radix_sort_config_selectorIllEEZNS1_25segmented_radix_sort_implIS3_Lb0EPKlPlS8_S9_N2at6native12_GLOBAL__N_18offset_tEEE10hipError_tPvRmT1_PNSt15iterator_traitsISH_E10value_typeET2_T3_PNSI_ISN_E10value_typeET4_jRbjT5_ST_jjP12ihipStream_tbEUlT_E2_NS1_11comp_targetILNS1_3genE8ELNS1_11target_archE1030ELNS1_3gpuE2ELNS1_3repE0EEENS1_30default_config_static_selectorELNS0_4arch9wavefront6targetE1EEEvSH_,comdat
	.globl	_ZN7rocprim17ROCPRIM_400000_NS6detail17trampoline_kernelINS0_14default_configENS1_36segmented_radix_sort_config_selectorIllEEZNS1_25segmented_radix_sort_implIS3_Lb0EPKlPlS8_S9_N2at6native12_GLOBAL__N_18offset_tEEE10hipError_tPvRmT1_PNSt15iterator_traitsISH_E10value_typeET2_T3_PNSI_ISN_E10value_typeET4_jRbjT5_ST_jjP12ihipStream_tbEUlT_E2_NS1_11comp_targetILNS1_3genE8ELNS1_11target_archE1030ELNS1_3gpuE2ELNS1_3repE0EEENS1_30default_config_static_selectorELNS0_4arch9wavefront6targetE1EEEvSH_ ; -- Begin function _ZN7rocprim17ROCPRIM_400000_NS6detail17trampoline_kernelINS0_14default_configENS1_36segmented_radix_sort_config_selectorIllEEZNS1_25segmented_radix_sort_implIS3_Lb0EPKlPlS8_S9_N2at6native12_GLOBAL__N_18offset_tEEE10hipError_tPvRmT1_PNSt15iterator_traitsISH_E10value_typeET2_T3_PNSI_ISN_E10value_typeET4_jRbjT5_ST_jjP12ihipStream_tbEUlT_E2_NS1_11comp_targetILNS1_3genE8ELNS1_11target_archE1030ELNS1_3gpuE2ELNS1_3repE0EEENS1_30default_config_static_selectorELNS0_4arch9wavefront6targetE1EEEvSH_
	.p2align	8
	.type	_ZN7rocprim17ROCPRIM_400000_NS6detail17trampoline_kernelINS0_14default_configENS1_36segmented_radix_sort_config_selectorIllEEZNS1_25segmented_radix_sort_implIS3_Lb0EPKlPlS8_S9_N2at6native12_GLOBAL__N_18offset_tEEE10hipError_tPvRmT1_PNSt15iterator_traitsISH_E10value_typeET2_T3_PNSI_ISN_E10value_typeET4_jRbjT5_ST_jjP12ihipStream_tbEUlT_E2_NS1_11comp_targetILNS1_3genE8ELNS1_11target_archE1030ELNS1_3gpuE2ELNS1_3repE0EEENS1_30default_config_static_selectorELNS0_4arch9wavefront6targetE1EEEvSH_,@function
_ZN7rocprim17ROCPRIM_400000_NS6detail17trampoline_kernelINS0_14default_configENS1_36segmented_radix_sort_config_selectorIllEEZNS1_25segmented_radix_sort_implIS3_Lb0EPKlPlS8_S9_N2at6native12_GLOBAL__N_18offset_tEEE10hipError_tPvRmT1_PNSt15iterator_traitsISH_E10value_typeET2_T3_PNSI_ISN_E10value_typeET4_jRbjT5_ST_jjP12ihipStream_tbEUlT_E2_NS1_11comp_targetILNS1_3genE8ELNS1_11target_archE1030ELNS1_3gpuE2ELNS1_3repE0EEENS1_30default_config_static_selectorELNS0_4arch9wavefront6targetE1EEEvSH_: ; @_ZN7rocprim17ROCPRIM_400000_NS6detail17trampoline_kernelINS0_14default_configENS1_36segmented_radix_sort_config_selectorIllEEZNS1_25segmented_radix_sort_implIS3_Lb0EPKlPlS8_S9_N2at6native12_GLOBAL__N_18offset_tEEE10hipError_tPvRmT1_PNSt15iterator_traitsISH_E10value_typeET2_T3_PNSI_ISN_E10value_typeET4_jRbjT5_ST_jjP12ihipStream_tbEUlT_E2_NS1_11comp_targetILNS1_3genE8ELNS1_11target_archE1030ELNS1_3gpuE2ELNS1_3repE0EEENS1_30default_config_static_selectorELNS0_4arch9wavefront6targetE1EEEvSH_
; %bb.0:
	.section	.rodata,"a",@progbits
	.p2align	6, 0x0
	.amdhsa_kernel _ZN7rocprim17ROCPRIM_400000_NS6detail17trampoline_kernelINS0_14default_configENS1_36segmented_radix_sort_config_selectorIllEEZNS1_25segmented_radix_sort_implIS3_Lb0EPKlPlS8_S9_N2at6native12_GLOBAL__N_18offset_tEEE10hipError_tPvRmT1_PNSt15iterator_traitsISH_E10value_typeET2_T3_PNSI_ISN_E10value_typeET4_jRbjT5_ST_jjP12ihipStream_tbEUlT_E2_NS1_11comp_targetILNS1_3genE8ELNS1_11target_archE1030ELNS1_3gpuE2ELNS1_3repE0EEENS1_30default_config_static_selectorELNS0_4arch9wavefront6targetE1EEEvSH_
		.amdhsa_group_segment_fixed_size 0
		.amdhsa_private_segment_fixed_size 0
		.amdhsa_kernarg_size 80
		.amdhsa_user_sgpr_count 6
		.amdhsa_user_sgpr_private_segment_buffer 1
		.amdhsa_user_sgpr_dispatch_ptr 0
		.amdhsa_user_sgpr_queue_ptr 0
		.amdhsa_user_sgpr_kernarg_segment_ptr 1
		.amdhsa_user_sgpr_dispatch_id 0
		.amdhsa_user_sgpr_flat_scratch_init 0
		.amdhsa_user_sgpr_kernarg_preload_length 0
		.amdhsa_user_sgpr_kernarg_preload_offset 0
		.amdhsa_user_sgpr_private_segment_size 0
		.amdhsa_uses_dynamic_stack 0
		.amdhsa_system_sgpr_private_segment_wavefront_offset 0
		.amdhsa_system_sgpr_workgroup_id_x 1
		.amdhsa_system_sgpr_workgroup_id_y 0
		.amdhsa_system_sgpr_workgroup_id_z 0
		.amdhsa_system_sgpr_workgroup_info 0
		.amdhsa_system_vgpr_workitem_id 0
		.amdhsa_next_free_vgpr 1
		.amdhsa_next_free_sgpr 0
		.amdhsa_accum_offset 4
		.amdhsa_reserve_vcc 0
		.amdhsa_reserve_flat_scratch 0
		.amdhsa_float_round_mode_32 0
		.amdhsa_float_round_mode_16_64 0
		.amdhsa_float_denorm_mode_32 3
		.amdhsa_float_denorm_mode_16_64 3
		.amdhsa_dx10_clamp 1
		.amdhsa_ieee_mode 1
		.amdhsa_fp16_overflow 0
		.amdhsa_tg_split 0
		.amdhsa_exception_fp_ieee_invalid_op 0
		.amdhsa_exception_fp_denorm_src 0
		.amdhsa_exception_fp_ieee_div_zero 0
		.amdhsa_exception_fp_ieee_overflow 0
		.amdhsa_exception_fp_ieee_underflow 0
		.amdhsa_exception_fp_ieee_inexact 0
		.amdhsa_exception_int_div_zero 0
	.end_amdhsa_kernel
	.section	.text._ZN7rocprim17ROCPRIM_400000_NS6detail17trampoline_kernelINS0_14default_configENS1_36segmented_radix_sort_config_selectorIllEEZNS1_25segmented_radix_sort_implIS3_Lb0EPKlPlS8_S9_N2at6native12_GLOBAL__N_18offset_tEEE10hipError_tPvRmT1_PNSt15iterator_traitsISH_E10value_typeET2_T3_PNSI_ISN_E10value_typeET4_jRbjT5_ST_jjP12ihipStream_tbEUlT_E2_NS1_11comp_targetILNS1_3genE8ELNS1_11target_archE1030ELNS1_3gpuE2ELNS1_3repE0EEENS1_30default_config_static_selectorELNS0_4arch9wavefront6targetE1EEEvSH_,"axG",@progbits,_ZN7rocprim17ROCPRIM_400000_NS6detail17trampoline_kernelINS0_14default_configENS1_36segmented_radix_sort_config_selectorIllEEZNS1_25segmented_radix_sort_implIS3_Lb0EPKlPlS8_S9_N2at6native12_GLOBAL__N_18offset_tEEE10hipError_tPvRmT1_PNSt15iterator_traitsISH_E10value_typeET2_T3_PNSI_ISN_E10value_typeET4_jRbjT5_ST_jjP12ihipStream_tbEUlT_E2_NS1_11comp_targetILNS1_3genE8ELNS1_11target_archE1030ELNS1_3gpuE2ELNS1_3repE0EEENS1_30default_config_static_selectorELNS0_4arch9wavefront6targetE1EEEvSH_,comdat
.Lfunc_end845:
	.size	_ZN7rocprim17ROCPRIM_400000_NS6detail17trampoline_kernelINS0_14default_configENS1_36segmented_radix_sort_config_selectorIllEEZNS1_25segmented_radix_sort_implIS3_Lb0EPKlPlS8_S9_N2at6native12_GLOBAL__N_18offset_tEEE10hipError_tPvRmT1_PNSt15iterator_traitsISH_E10value_typeET2_T3_PNSI_ISN_E10value_typeET4_jRbjT5_ST_jjP12ihipStream_tbEUlT_E2_NS1_11comp_targetILNS1_3genE8ELNS1_11target_archE1030ELNS1_3gpuE2ELNS1_3repE0EEENS1_30default_config_static_selectorELNS0_4arch9wavefront6targetE1EEEvSH_, .Lfunc_end845-_ZN7rocprim17ROCPRIM_400000_NS6detail17trampoline_kernelINS0_14default_configENS1_36segmented_radix_sort_config_selectorIllEEZNS1_25segmented_radix_sort_implIS3_Lb0EPKlPlS8_S9_N2at6native12_GLOBAL__N_18offset_tEEE10hipError_tPvRmT1_PNSt15iterator_traitsISH_E10value_typeET2_T3_PNSI_ISN_E10value_typeET4_jRbjT5_ST_jjP12ihipStream_tbEUlT_E2_NS1_11comp_targetILNS1_3genE8ELNS1_11target_archE1030ELNS1_3gpuE2ELNS1_3repE0EEENS1_30default_config_static_selectorELNS0_4arch9wavefront6targetE1EEEvSH_
                                        ; -- End function
	.section	.AMDGPU.csdata,"",@progbits
; Kernel info:
; codeLenInByte = 0
; NumSgprs: 4
; NumVgprs: 0
; NumAgprs: 0
; TotalNumVgprs: 0
; ScratchSize: 0
; MemoryBound: 0
; FloatMode: 240
; IeeeMode: 1
; LDSByteSize: 0 bytes/workgroup (compile time only)
; SGPRBlocks: 0
; VGPRBlocks: 0
; NumSGPRsForWavesPerEU: 4
; NumVGPRsForWavesPerEU: 1
; AccumOffset: 4
; Occupancy: 8
; WaveLimiterHint : 0
; COMPUTE_PGM_RSRC2:SCRATCH_EN: 0
; COMPUTE_PGM_RSRC2:USER_SGPR: 6
; COMPUTE_PGM_RSRC2:TRAP_HANDLER: 0
; COMPUTE_PGM_RSRC2:TGID_X_EN: 1
; COMPUTE_PGM_RSRC2:TGID_Y_EN: 0
; COMPUTE_PGM_RSRC2:TGID_Z_EN: 0
; COMPUTE_PGM_RSRC2:TIDIG_COMP_CNT: 0
; COMPUTE_PGM_RSRC3_GFX90A:ACCUM_OFFSET: 0
; COMPUTE_PGM_RSRC3_GFX90A:TG_SPLIT: 0
	.section	.text._ZN2at6native12_GLOBAL__N_123sort_postprocess_kernelIsEEvPKT_PS3_PlPK15HIP_vector_typeIiLj2EEii,"axG",@progbits,_ZN2at6native12_GLOBAL__N_123sort_postprocess_kernelIsEEvPKT_PS3_PlPK15HIP_vector_typeIiLj2EEii,comdat
	.globl	_ZN2at6native12_GLOBAL__N_123sort_postprocess_kernelIsEEvPKT_PS3_PlPK15HIP_vector_typeIiLj2EEii ; -- Begin function _ZN2at6native12_GLOBAL__N_123sort_postprocess_kernelIsEEvPKT_PS3_PlPK15HIP_vector_typeIiLj2EEii
	.p2align	8
	.type	_ZN2at6native12_GLOBAL__N_123sort_postprocess_kernelIsEEvPKT_PS3_PlPK15HIP_vector_typeIiLj2EEii,@function
_ZN2at6native12_GLOBAL__N_123sort_postprocess_kernelIsEEvPKT_PS3_PlPK15HIP_vector_typeIiLj2EEii: ; @_ZN2at6native12_GLOBAL__N_123sort_postprocess_kernelIsEEvPKT_PS3_PlPK15HIP_vector_typeIiLj2EEii
; %bb.0:
	s_load_dword s0, s[4:5], 0x34
	s_load_dwordx2 s[8:9], s[4:5], 0x20
	s_add_u32 s2, s4, 40
	s_addc_u32 s3, s5, 0
	v_mov_b32_e32 v1, 0
	s_waitcnt lgkmcnt(0)
	s_and_b32 s7, s0, 0xffff
	v_mov_b32_e32 v2, s6
	v_mad_u64_u32 v[0:1], s[0:1], s7, v2, v[0:1]
	s_mul_i32 s0, s9, s8
	s_ashr_i32 s1, s0, 31
	v_cmp_gt_i64_e32 vcc, s[0:1], v[0:1]
	s_and_saveexec_b64 s[10:11], vcc
	s_cbranch_execz .LBB846_3
; %bb.1:
	s_abs_i32 s6, s9
	v_cvt_f32_u32_e32 v2, s6
	s_load_dwordx8 s[8:15], s[4:5], 0x0
	s_load_dword s16, s[2:3], 0x0
	s_sub_i32 s17, 0, s6
	s_mov_b32 s5, 0
	v_rcp_iflag_f32_e32 v2, v2
	s_mov_b64 s[2:3], 0
	s_waitcnt lgkmcnt(0)
	s_mul_i32 s4, s16, s7
	v_mov_b32_e32 v3, s11
	v_mul_f32_e32 v2, 0x4f7ffffe, v2
	v_cvt_u32_f32_e32 v5, v2
	v_mov_b32_e32 v2, s9
	v_mov_b32_e32 v4, s13
	;; [unrolled: 1-line block ×3, first 2 shown]
	v_mul_lo_u32 v6, s17, v5
	v_mul_hi_u32 v6, v5, v6
	v_add_u32_e32 v5, v5, v6
	v_mov_b32_e32 v6, s15
.LBB846_2:                              ; =>This Inner Loop Header: Depth=1
	v_sub_u32_e32 v9, 0, v0
	v_max_i32_e32 v9, v0, v9
	v_mul_hi_u32 v11, v9, v5
	v_mul_lo_u32 v11, v11, s6
	v_sub_u32_e32 v9, v9, v11
	v_subrev_u32_e32 v11, s6, v9
	v_cmp_le_u32_e32 vcc, s6, v9
	v_cndmask_b32_e32 v9, v9, v11, vcc
	v_subrev_u32_e32 v11, s6, v9
	v_cmp_le_u32_e32 vcc, s6, v9
	v_ashrrev_i32_e32 v8, 31, v0
	v_cndmask_b32_e32 v9, v9, v11, vcc
	v_add_u32_e32 v10, v0, v8
	v_xor_b32_e32 v9, v9, v8
	v_sub_u32_e32 v10, v10, v9
	v_ashrrev_i32_e32 v11, 31, v10
	v_sub_u32_e32 v8, v9, v8
	v_lshlrev_b64 v[12:13], 3, v[10:11]
	v_ashrrev_i32_e32 v9, 31, v8
	v_add_co_u32_e32 v16, vcc, s14, v12
	v_lshlrev_b64 v[14:15], 3, v[8:9]
	v_addc_co_u32_e32 v17, vcc, v6, v13, vcc
	v_add_co_u32_e32 v16, vcc, v16, v14
	v_addc_co_u32_e32 v17, vcc, v17, v15, vcc
	global_load_dword v16, v[16:17], off offset:4
	v_lshlrev_b64 v[10:11], 1, v[10:11]
	v_add_co_u32_e32 v20, vcc, s8, v10
	v_addc_co_u32_e32 v21, vcc, v2, v11, vcc
	v_lshlrev_b64 v[8:9], 1, v[8:9]
	s_waitcnt vmcnt(0)
	v_ashrrev_i32_e32 v17, 31, v16
	v_lshlrev_b64 v[18:19], 1, v[16:17]
	v_add_co_u32_e32 v18, vcc, v20, v18
	v_addc_co_u32_e32 v19, vcc, v21, v19, vcc
	global_load_ushort v18, v[18:19], off
	v_add_co_u32_e32 v0, vcc, s4, v0
	v_addc_co_u32_e32 v1, vcc, v1, v7, vcc
	v_cmp_le_i64_e32 vcc, s[0:1], v[0:1]
	s_or_b64 s[2:3], vcc, s[2:3]
	v_add_co_u32_e32 v19, vcc, s10, v10
	v_addc_co_u32_e32 v20, vcc, v3, v11, vcc
	v_add_co_u32_e32 v10, vcc, s12, v12
	v_addc_co_u32_e32 v11, vcc, v4, v13, vcc
	;; [unrolled: 2-line block ×4, first 2 shown]
	global_store_dwordx2 v[10:11], v[16:17], off
	s_waitcnt vmcnt(1)
	global_store_short v[8:9], v18, off
	s_andn2_b64 exec, exec, s[2:3]
	s_cbranch_execnz .LBB846_2
.LBB846_3:
	s_endpgm
	.section	.rodata,"a",@progbits
	.p2align	6, 0x0
	.amdhsa_kernel _ZN2at6native12_GLOBAL__N_123sort_postprocess_kernelIsEEvPKT_PS3_PlPK15HIP_vector_typeIiLj2EEii
		.amdhsa_group_segment_fixed_size 0
		.amdhsa_private_segment_fixed_size 0
		.amdhsa_kernarg_size 296
		.amdhsa_user_sgpr_count 6
		.amdhsa_user_sgpr_private_segment_buffer 1
		.amdhsa_user_sgpr_dispatch_ptr 0
		.amdhsa_user_sgpr_queue_ptr 0
		.amdhsa_user_sgpr_kernarg_segment_ptr 1
		.amdhsa_user_sgpr_dispatch_id 0
		.amdhsa_user_sgpr_flat_scratch_init 0
		.amdhsa_user_sgpr_kernarg_preload_length 0
		.amdhsa_user_sgpr_kernarg_preload_offset 0
		.amdhsa_user_sgpr_private_segment_size 0
		.amdhsa_uses_dynamic_stack 0
		.amdhsa_system_sgpr_private_segment_wavefront_offset 0
		.amdhsa_system_sgpr_workgroup_id_x 1
		.amdhsa_system_sgpr_workgroup_id_y 0
		.amdhsa_system_sgpr_workgroup_id_z 0
		.amdhsa_system_sgpr_workgroup_info 0
		.amdhsa_system_vgpr_workitem_id 0
		.amdhsa_next_free_vgpr 22
		.amdhsa_next_free_sgpr 18
		.amdhsa_accum_offset 24
		.amdhsa_reserve_vcc 1
		.amdhsa_reserve_flat_scratch 0
		.amdhsa_float_round_mode_32 0
		.amdhsa_float_round_mode_16_64 0
		.amdhsa_float_denorm_mode_32 3
		.amdhsa_float_denorm_mode_16_64 3
		.amdhsa_dx10_clamp 1
		.amdhsa_ieee_mode 1
		.amdhsa_fp16_overflow 0
		.amdhsa_tg_split 0
		.amdhsa_exception_fp_ieee_invalid_op 0
		.amdhsa_exception_fp_denorm_src 0
		.amdhsa_exception_fp_ieee_div_zero 0
		.amdhsa_exception_fp_ieee_overflow 0
		.amdhsa_exception_fp_ieee_underflow 0
		.amdhsa_exception_fp_ieee_inexact 0
		.amdhsa_exception_int_div_zero 0
	.end_amdhsa_kernel
	.section	.text._ZN2at6native12_GLOBAL__N_123sort_postprocess_kernelIsEEvPKT_PS3_PlPK15HIP_vector_typeIiLj2EEii,"axG",@progbits,_ZN2at6native12_GLOBAL__N_123sort_postprocess_kernelIsEEvPKT_PS3_PlPK15HIP_vector_typeIiLj2EEii,comdat
.Lfunc_end846:
	.size	_ZN2at6native12_GLOBAL__N_123sort_postprocess_kernelIsEEvPKT_PS3_PlPK15HIP_vector_typeIiLj2EEii, .Lfunc_end846-_ZN2at6native12_GLOBAL__N_123sort_postprocess_kernelIsEEvPKT_PS3_PlPK15HIP_vector_typeIiLj2EEii
                                        ; -- End function
	.section	.AMDGPU.csdata,"",@progbits
; Kernel info:
; codeLenInByte = 428
; NumSgprs: 22
; NumVgprs: 22
; NumAgprs: 0
; TotalNumVgprs: 22
; ScratchSize: 0
; MemoryBound: 0
; FloatMode: 240
; IeeeMode: 1
; LDSByteSize: 0 bytes/workgroup (compile time only)
; SGPRBlocks: 2
; VGPRBlocks: 2
; NumSGPRsForWavesPerEU: 22
; NumVGPRsForWavesPerEU: 22
; AccumOffset: 24
; Occupancy: 8
; WaveLimiterHint : 1
; COMPUTE_PGM_RSRC2:SCRATCH_EN: 0
; COMPUTE_PGM_RSRC2:USER_SGPR: 6
; COMPUTE_PGM_RSRC2:TRAP_HANDLER: 0
; COMPUTE_PGM_RSRC2:TGID_X_EN: 1
; COMPUTE_PGM_RSRC2:TGID_Y_EN: 0
; COMPUTE_PGM_RSRC2:TGID_Z_EN: 0
; COMPUTE_PGM_RSRC2:TIDIG_COMP_CNT: 0
; COMPUTE_PGM_RSRC3_GFX90A:ACCUM_OFFSET: 5
; COMPUTE_PGM_RSRC3_GFX90A:TG_SPLIT: 0
	.section	.text._ZN7rocprim17ROCPRIM_400000_NS6detail17trampoline_kernelINS0_13select_configILj256ELj13ELNS0_17block_load_methodE3ELS4_3ELS4_3ELNS0_20block_scan_algorithmE0ELj4294967295EEENS1_25partition_config_selectorILNS1_17partition_subalgoE4EjNS0_10empty_typeEbEEZZNS1_14partition_implILS8_4ELb0ES6_15HIP_vector_typeIjLj2EENS0_17counting_iteratorIjlEEPS9_SG_NS0_5tupleIJPjSI_NS0_16reverse_iteratorISI_EEEEENSH_IJSG_SG_SG_EEES9_SI_JZNS1_25segmented_radix_sort_implINS0_14default_configELb1EPKsPsPKlPlN2at6native12_GLOBAL__N_18offset_tEEE10hipError_tPvRmT1_PNSt15iterator_traitsIS12_E10value_typeET2_T3_PNS13_IS18_E10value_typeET4_jRbjT5_S1E_jjP12ihipStream_tbEUljE_ZNSN_ISO_Lb1ESQ_SR_ST_SU_SY_EESZ_S10_S11_S12_S16_S17_S18_S1B_S1C_jS1D_jS1E_S1E_jjS1G_bEUljE0_EEESZ_S10_S11_S18_S1C_S1E_T6_T7_T9_mT8_S1G_bDpT10_ENKUlT_T0_E_clISt17integral_constantIbLb0EES1U_EEDaS1P_S1Q_EUlS1P_E_NS1_11comp_targetILNS1_3genE0ELNS1_11target_archE4294967295ELNS1_3gpuE0ELNS1_3repE0EEENS1_30default_config_static_selectorELNS0_4arch9wavefront6targetE1EEEvS12_,"axG",@progbits,_ZN7rocprim17ROCPRIM_400000_NS6detail17trampoline_kernelINS0_13select_configILj256ELj13ELNS0_17block_load_methodE3ELS4_3ELS4_3ELNS0_20block_scan_algorithmE0ELj4294967295EEENS1_25partition_config_selectorILNS1_17partition_subalgoE4EjNS0_10empty_typeEbEEZZNS1_14partition_implILS8_4ELb0ES6_15HIP_vector_typeIjLj2EENS0_17counting_iteratorIjlEEPS9_SG_NS0_5tupleIJPjSI_NS0_16reverse_iteratorISI_EEEEENSH_IJSG_SG_SG_EEES9_SI_JZNS1_25segmented_radix_sort_implINS0_14default_configELb1EPKsPsPKlPlN2at6native12_GLOBAL__N_18offset_tEEE10hipError_tPvRmT1_PNSt15iterator_traitsIS12_E10value_typeET2_T3_PNS13_IS18_E10value_typeET4_jRbjT5_S1E_jjP12ihipStream_tbEUljE_ZNSN_ISO_Lb1ESQ_SR_ST_SU_SY_EESZ_S10_S11_S12_S16_S17_S18_S1B_S1C_jS1D_jS1E_S1E_jjS1G_bEUljE0_EEESZ_S10_S11_S18_S1C_S1E_T6_T7_T9_mT8_S1G_bDpT10_ENKUlT_T0_E_clISt17integral_constantIbLb0EES1U_EEDaS1P_S1Q_EUlS1P_E_NS1_11comp_targetILNS1_3genE0ELNS1_11target_archE4294967295ELNS1_3gpuE0ELNS1_3repE0EEENS1_30default_config_static_selectorELNS0_4arch9wavefront6targetE1EEEvS12_,comdat
	.globl	_ZN7rocprim17ROCPRIM_400000_NS6detail17trampoline_kernelINS0_13select_configILj256ELj13ELNS0_17block_load_methodE3ELS4_3ELS4_3ELNS0_20block_scan_algorithmE0ELj4294967295EEENS1_25partition_config_selectorILNS1_17partition_subalgoE4EjNS0_10empty_typeEbEEZZNS1_14partition_implILS8_4ELb0ES6_15HIP_vector_typeIjLj2EENS0_17counting_iteratorIjlEEPS9_SG_NS0_5tupleIJPjSI_NS0_16reverse_iteratorISI_EEEEENSH_IJSG_SG_SG_EEES9_SI_JZNS1_25segmented_radix_sort_implINS0_14default_configELb1EPKsPsPKlPlN2at6native12_GLOBAL__N_18offset_tEEE10hipError_tPvRmT1_PNSt15iterator_traitsIS12_E10value_typeET2_T3_PNS13_IS18_E10value_typeET4_jRbjT5_S1E_jjP12ihipStream_tbEUljE_ZNSN_ISO_Lb1ESQ_SR_ST_SU_SY_EESZ_S10_S11_S12_S16_S17_S18_S1B_S1C_jS1D_jS1E_S1E_jjS1G_bEUljE0_EEESZ_S10_S11_S18_S1C_S1E_T6_T7_T9_mT8_S1G_bDpT10_ENKUlT_T0_E_clISt17integral_constantIbLb0EES1U_EEDaS1P_S1Q_EUlS1P_E_NS1_11comp_targetILNS1_3genE0ELNS1_11target_archE4294967295ELNS1_3gpuE0ELNS1_3repE0EEENS1_30default_config_static_selectorELNS0_4arch9wavefront6targetE1EEEvS12_ ; -- Begin function _ZN7rocprim17ROCPRIM_400000_NS6detail17trampoline_kernelINS0_13select_configILj256ELj13ELNS0_17block_load_methodE3ELS4_3ELS4_3ELNS0_20block_scan_algorithmE0ELj4294967295EEENS1_25partition_config_selectorILNS1_17partition_subalgoE4EjNS0_10empty_typeEbEEZZNS1_14partition_implILS8_4ELb0ES6_15HIP_vector_typeIjLj2EENS0_17counting_iteratorIjlEEPS9_SG_NS0_5tupleIJPjSI_NS0_16reverse_iteratorISI_EEEEENSH_IJSG_SG_SG_EEES9_SI_JZNS1_25segmented_radix_sort_implINS0_14default_configELb1EPKsPsPKlPlN2at6native12_GLOBAL__N_18offset_tEEE10hipError_tPvRmT1_PNSt15iterator_traitsIS12_E10value_typeET2_T3_PNS13_IS18_E10value_typeET4_jRbjT5_S1E_jjP12ihipStream_tbEUljE_ZNSN_ISO_Lb1ESQ_SR_ST_SU_SY_EESZ_S10_S11_S12_S16_S17_S18_S1B_S1C_jS1D_jS1E_S1E_jjS1G_bEUljE0_EEESZ_S10_S11_S18_S1C_S1E_T6_T7_T9_mT8_S1G_bDpT10_ENKUlT_T0_E_clISt17integral_constantIbLb0EES1U_EEDaS1P_S1Q_EUlS1P_E_NS1_11comp_targetILNS1_3genE0ELNS1_11target_archE4294967295ELNS1_3gpuE0ELNS1_3repE0EEENS1_30default_config_static_selectorELNS0_4arch9wavefront6targetE1EEEvS12_
	.p2align	8
	.type	_ZN7rocprim17ROCPRIM_400000_NS6detail17trampoline_kernelINS0_13select_configILj256ELj13ELNS0_17block_load_methodE3ELS4_3ELS4_3ELNS0_20block_scan_algorithmE0ELj4294967295EEENS1_25partition_config_selectorILNS1_17partition_subalgoE4EjNS0_10empty_typeEbEEZZNS1_14partition_implILS8_4ELb0ES6_15HIP_vector_typeIjLj2EENS0_17counting_iteratorIjlEEPS9_SG_NS0_5tupleIJPjSI_NS0_16reverse_iteratorISI_EEEEENSH_IJSG_SG_SG_EEES9_SI_JZNS1_25segmented_radix_sort_implINS0_14default_configELb1EPKsPsPKlPlN2at6native12_GLOBAL__N_18offset_tEEE10hipError_tPvRmT1_PNSt15iterator_traitsIS12_E10value_typeET2_T3_PNS13_IS18_E10value_typeET4_jRbjT5_S1E_jjP12ihipStream_tbEUljE_ZNSN_ISO_Lb1ESQ_SR_ST_SU_SY_EESZ_S10_S11_S12_S16_S17_S18_S1B_S1C_jS1D_jS1E_S1E_jjS1G_bEUljE0_EEESZ_S10_S11_S18_S1C_S1E_T6_T7_T9_mT8_S1G_bDpT10_ENKUlT_T0_E_clISt17integral_constantIbLb0EES1U_EEDaS1P_S1Q_EUlS1P_E_NS1_11comp_targetILNS1_3genE0ELNS1_11target_archE4294967295ELNS1_3gpuE0ELNS1_3repE0EEENS1_30default_config_static_selectorELNS0_4arch9wavefront6targetE1EEEvS12_,@function
_ZN7rocprim17ROCPRIM_400000_NS6detail17trampoline_kernelINS0_13select_configILj256ELj13ELNS0_17block_load_methodE3ELS4_3ELS4_3ELNS0_20block_scan_algorithmE0ELj4294967295EEENS1_25partition_config_selectorILNS1_17partition_subalgoE4EjNS0_10empty_typeEbEEZZNS1_14partition_implILS8_4ELb0ES6_15HIP_vector_typeIjLj2EENS0_17counting_iteratorIjlEEPS9_SG_NS0_5tupleIJPjSI_NS0_16reverse_iteratorISI_EEEEENSH_IJSG_SG_SG_EEES9_SI_JZNS1_25segmented_radix_sort_implINS0_14default_configELb1EPKsPsPKlPlN2at6native12_GLOBAL__N_18offset_tEEE10hipError_tPvRmT1_PNSt15iterator_traitsIS12_E10value_typeET2_T3_PNS13_IS18_E10value_typeET4_jRbjT5_S1E_jjP12ihipStream_tbEUljE_ZNSN_ISO_Lb1ESQ_SR_ST_SU_SY_EESZ_S10_S11_S12_S16_S17_S18_S1B_S1C_jS1D_jS1E_S1E_jjS1G_bEUljE0_EEESZ_S10_S11_S18_S1C_S1E_T6_T7_T9_mT8_S1G_bDpT10_ENKUlT_T0_E_clISt17integral_constantIbLb0EES1U_EEDaS1P_S1Q_EUlS1P_E_NS1_11comp_targetILNS1_3genE0ELNS1_11target_archE4294967295ELNS1_3gpuE0ELNS1_3repE0EEENS1_30default_config_static_selectorELNS0_4arch9wavefront6targetE1EEEvS12_: ; @_ZN7rocprim17ROCPRIM_400000_NS6detail17trampoline_kernelINS0_13select_configILj256ELj13ELNS0_17block_load_methodE3ELS4_3ELS4_3ELNS0_20block_scan_algorithmE0ELj4294967295EEENS1_25partition_config_selectorILNS1_17partition_subalgoE4EjNS0_10empty_typeEbEEZZNS1_14partition_implILS8_4ELb0ES6_15HIP_vector_typeIjLj2EENS0_17counting_iteratorIjlEEPS9_SG_NS0_5tupleIJPjSI_NS0_16reverse_iteratorISI_EEEEENSH_IJSG_SG_SG_EEES9_SI_JZNS1_25segmented_radix_sort_implINS0_14default_configELb1EPKsPsPKlPlN2at6native12_GLOBAL__N_18offset_tEEE10hipError_tPvRmT1_PNSt15iterator_traitsIS12_E10value_typeET2_T3_PNS13_IS18_E10value_typeET4_jRbjT5_S1E_jjP12ihipStream_tbEUljE_ZNSN_ISO_Lb1ESQ_SR_ST_SU_SY_EESZ_S10_S11_S12_S16_S17_S18_S1B_S1C_jS1D_jS1E_S1E_jjS1G_bEUljE0_EEESZ_S10_S11_S18_S1C_S1E_T6_T7_T9_mT8_S1G_bDpT10_ENKUlT_T0_E_clISt17integral_constantIbLb0EES1U_EEDaS1P_S1Q_EUlS1P_E_NS1_11comp_targetILNS1_3genE0ELNS1_11target_archE4294967295ELNS1_3gpuE0ELNS1_3repE0EEENS1_30default_config_static_selectorELNS0_4arch9wavefront6targetE1EEEvS12_
; %bb.0:
	.section	.rodata,"a",@progbits
	.p2align	6, 0x0
	.amdhsa_kernel _ZN7rocprim17ROCPRIM_400000_NS6detail17trampoline_kernelINS0_13select_configILj256ELj13ELNS0_17block_load_methodE3ELS4_3ELS4_3ELNS0_20block_scan_algorithmE0ELj4294967295EEENS1_25partition_config_selectorILNS1_17partition_subalgoE4EjNS0_10empty_typeEbEEZZNS1_14partition_implILS8_4ELb0ES6_15HIP_vector_typeIjLj2EENS0_17counting_iteratorIjlEEPS9_SG_NS0_5tupleIJPjSI_NS0_16reverse_iteratorISI_EEEEENSH_IJSG_SG_SG_EEES9_SI_JZNS1_25segmented_radix_sort_implINS0_14default_configELb1EPKsPsPKlPlN2at6native12_GLOBAL__N_18offset_tEEE10hipError_tPvRmT1_PNSt15iterator_traitsIS12_E10value_typeET2_T3_PNS13_IS18_E10value_typeET4_jRbjT5_S1E_jjP12ihipStream_tbEUljE_ZNSN_ISO_Lb1ESQ_SR_ST_SU_SY_EESZ_S10_S11_S12_S16_S17_S18_S1B_S1C_jS1D_jS1E_S1E_jjS1G_bEUljE0_EEESZ_S10_S11_S18_S1C_S1E_T6_T7_T9_mT8_S1G_bDpT10_ENKUlT_T0_E_clISt17integral_constantIbLb0EES1U_EEDaS1P_S1Q_EUlS1P_E_NS1_11comp_targetILNS1_3genE0ELNS1_11target_archE4294967295ELNS1_3gpuE0ELNS1_3repE0EEENS1_30default_config_static_selectorELNS0_4arch9wavefront6targetE1EEEvS12_
		.amdhsa_group_segment_fixed_size 0
		.amdhsa_private_segment_fixed_size 0
		.amdhsa_kernarg_size 176
		.amdhsa_user_sgpr_count 6
		.amdhsa_user_sgpr_private_segment_buffer 1
		.amdhsa_user_sgpr_dispatch_ptr 0
		.amdhsa_user_sgpr_queue_ptr 0
		.amdhsa_user_sgpr_kernarg_segment_ptr 1
		.amdhsa_user_sgpr_dispatch_id 0
		.amdhsa_user_sgpr_flat_scratch_init 0
		.amdhsa_user_sgpr_kernarg_preload_length 0
		.amdhsa_user_sgpr_kernarg_preload_offset 0
		.amdhsa_user_sgpr_private_segment_size 0
		.amdhsa_uses_dynamic_stack 0
		.amdhsa_system_sgpr_private_segment_wavefront_offset 0
		.amdhsa_system_sgpr_workgroup_id_x 1
		.amdhsa_system_sgpr_workgroup_id_y 0
		.amdhsa_system_sgpr_workgroup_id_z 0
		.amdhsa_system_sgpr_workgroup_info 0
		.amdhsa_system_vgpr_workitem_id 0
		.amdhsa_next_free_vgpr 1
		.amdhsa_next_free_sgpr 0
		.amdhsa_accum_offset 4
		.amdhsa_reserve_vcc 0
		.amdhsa_reserve_flat_scratch 0
		.amdhsa_float_round_mode_32 0
		.amdhsa_float_round_mode_16_64 0
		.amdhsa_float_denorm_mode_32 3
		.amdhsa_float_denorm_mode_16_64 3
		.amdhsa_dx10_clamp 1
		.amdhsa_ieee_mode 1
		.amdhsa_fp16_overflow 0
		.amdhsa_tg_split 0
		.amdhsa_exception_fp_ieee_invalid_op 0
		.amdhsa_exception_fp_denorm_src 0
		.amdhsa_exception_fp_ieee_div_zero 0
		.amdhsa_exception_fp_ieee_overflow 0
		.amdhsa_exception_fp_ieee_underflow 0
		.amdhsa_exception_fp_ieee_inexact 0
		.amdhsa_exception_int_div_zero 0
	.end_amdhsa_kernel
	.section	.text._ZN7rocprim17ROCPRIM_400000_NS6detail17trampoline_kernelINS0_13select_configILj256ELj13ELNS0_17block_load_methodE3ELS4_3ELS4_3ELNS0_20block_scan_algorithmE0ELj4294967295EEENS1_25partition_config_selectorILNS1_17partition_subalgoE4EjNS0_10empty_typeEbEEZZNS1_14partition_implILS8_4ELb0ES6_15HIP_vector_typeIjLj2EENS0_17counting_iteratorIjlEEPS9_SG_NS0_5tupleIJPjSI_NS0_16reverse_iteratorISI_EEEEENSH_IJSG_SG_SG_EEES9_SI_JZNS1_25segmented_radix_sort_implINS0_14default_configELb1EPKsPsPKlPlN2at6native12_GLOBAL__N_18offset_tEEE10hipError_tPvRmT1_PNSt15iterator_traitsIS12_E10value_typeET2_T3_PNS13_IS18_E10value_typeET4_jRbjT5_S1E_jjP12ihipStream_tbEUljE_ZNSN_ISO_Lb1ESQ_SR_ST_SU_SY_EESZ_S10_S11_S12_S16_S17_S18_S1B_S1C_jS1D_jS1E_S1E_jjS1G_bEUljE0_EEESZ_S10_S11_S18_S1C_S1E_T6_T7_T9_mT8_S1G_bDpT10_ENKUlT_T0_E_clISt17integral_constantIbLb0EES1U_EEDaS1P_S1Q_EUlS1P_E_NS1_11comp_targetILNS1_3genE0ELNS1_11target_archE4294967295ELNS1_3gpuE0ELNS1_3repE0EEENS1_30default_config_static_selectorELNS0_4arch9wavefront6targetE1EEEvS12_,"axG",@progbits,_ZN7rocprim17ROCPRIM_400000_NS6detail17trampoline_kernelINS0_13select_configILj256ELj13ELNS0_17block_load_methodE3ELS4_3ELS4_3ELNS0_20block_scan_algorithmE0ELj4294967295EEENS1_25partition_config_selectorILNS1_17partition_subalgoE4EjNS0_10empty_typeEbEEZZNS1_14partition_implILS8_4ELb0ES6_15HIP_vector_typeIjLj2EENS0_17counting_iteratorIjlEEPS9_SG_NS0_5tupleIJPjSI_NS0_16reverse_iteratorISI_EEEEENSH_IJSG_SG_SG_EEES9_SI_JZNS1_25segmented_radix_sort_implINS0_14default_configELb1EPKsPsPKlPlN2at6native12_GLOBAL__N_18offset_tEEE10hipError_tPvRmT1_PNSt15iterator_traitsIS12_E10value_typeET2_T3_PNS13_IS18_E10value_typeET4_jRbjT5_S1E_jjP12ihipStream_tbEUljE_ZNSN_ISO_Lb1ESQ_SR_ST_SU_SY_EESZ_S10_S11_S12_S16_S17_S18_S1B_S1C_jS1D_jS1E_S1E_jjS1G_bEUljE0_EEESZ_S10_S11_S18_S1C_S1E_T6_T7_T9_mT8_S1G_bDpT10_ENKUlT_T0_E_clISt17integral_constantIbLb0EES1U_EEDaS1P_S1Q_EUlS1P_E_NS1_11comp_targetILNS1_3genE0ELNS1_11target_archE4294967295ELNS1_3gpuE0ELNS1_3repE0EEENS1_30default_config_static_selectorELNS0_4arch9wavefront6targetE1EEEvS12_,comdat
.Lfunc_end847:
	.size	_ZN7rocprim17ROCPRIM_400000_NS6detail17trampoline_kernelINS0_13select_configILj256ELj13ELNS0_17block_load_methodE3ELS4_3ELS4_3ELNS0_20block_scan_algorithmE0ELj4294967295EEENS1_25partition_config_selectorILNS1_17partition_subalgoE4EjNS0_10empty_typeEbEEZZNS1_14partition_implILS8_4ELb0ES6_15HIP_vector_typeIjLj2EENS0_17counting_iteratorIjlEEPS9_SG_NS0_5tupleIJPjSI_NS0_16reverse_iteratorISI_EEEEENSH_IJSG_SG_SG_EEES9_SI_JZNS1_25segmented_radix_sort_implINS0_14default_configELb1EPKsPsPKlPlN2at6native12_GLOBAL__N_18offset_tEEE10hipError_tPvRmT1_PNSt15iterator_traitsIS12_E10value_typeET2_T3_PNS13_IS18_E10value_typeET4_jRbjT5_S1E_jjP12ihipStream_tbEUljE_ZNSN_ISO_Lb1ESQ_SR_ST_SU_SY_EESZ_S10_S11_S12_S16_S17_S18_S1B_S1C_jS1D_jS1E_S1E_jjS1G_bEUljE0_EEESZ_S10_S11_S18_S1C_S1E_T6_T7_T9_mT8_S1G_bDpT10_ENKUlT_T0_E_clISt17integral_constantIbLb0EES1U_EEDaS1P_S1Q_EUlS1P_E_NS1_11comp_targetILNS1_3genE0ELNS1_11target_archE4294967295ELNS1_3gpuE0ELNS1_3repE0EEENS1_30default_config_static_selectorELNS0_4arch9wavefront6targetE1EEEvS12_, .Lfunc_end847-_ZN7rocprim17ROCPRIM_400000_NS6detail17trampoline_kernelINS0_13select_configILj256ELj13ELNS0_17block_load_methodE3ELS4_3ELS4_3ELNS0_20block_scan_algorithmE0ELj4294967295EEENS1_25partition_config_selectorILNS1_17partition_subalgoE4EjNS0_10empty_typeEbEEZZNS1_14partition_implILS8_4ELb0ES6_15HIP_vector_typeIjLj2EENS0_17counting_iteratorIjlEEPS9_SG_NS0_5tupleIJPjSI_NS0_16reverse_iteratorISI_EEEEENSH_IJSG_SG_SG_EEES9_SI_JZNS1_25segmented_radix_sort_implINS0_14default_configELb1EPKsPsPKlPlN2at6native12_GLOBAL__N_18offset_tEEE10hipError_tPvRmT1_PNSt15iterator_traitsIS12_E10value_typeET2_T3_PNS13_IS18_E10value_typeET4_jRbjT5_S1E_jjP12ihipStream_tbEUljE_ZNSN_ISO_Lb1ESQ_SR_ST_SU_SY_EESZ_S10_S11_S12_S16_S17_S18_S1B_S1C_jS1D_jS1E_S1E_jjS1G_bEUljE0_EEESZ_S10_S11_S18_S1C_S1E_T6_T7_T9_mT8_S1G_bDpT10_ENKUlT_T0_E_clISt17integral_constantIbLb0EES1U_EEDaS1P_S1Q_EUlS1P_E_NS1_11comp_targetILNS1_3genE0ELNS1_11target_archE4294967295ELNS1_3gpuE0ELNS1_3repE0EEENS1_30default_config_static_selectorELNS0_4arch9wavefront6targetE1EEEvS12_
                                        ; -- End function
	.section	.AMDGPU.csdata,"",@progbits
; Kernel info:
; codeLenInByte = 0
; NumSgprs: 4
; NumVgprs: 0
; NumAgprs: 0
; TotalNumVgprs: 0
; ScratchSize: 0
; MemoryBound: 0
; FloatMode: 240
; IeeeMode: 1
; LDSByteSize: 0 bytes/workgroup (compile time only)
; SGPRBlocks: 0
; VGPRBlocks: 0
; NumSGPRsForWavesPerEU: 4
; NumVGPRsForWavesPerEU: 1
; AccumOffset: 4
; Occupancy: 8
; WaveLimiterHint : 0
; COMPUTE_PGM_RSRC2:SCRATCH_EN: 0
; COMPUTE_PGM_RSRC2:USER_SGPR: 6
; COMPUTE_PGM_RSRC2:TRAP_HANDLER: 0
; COMPUTE_PGM_RSRC2:TGID_X_EN: 1
; COMPUTE_PGM_RSRC2:TGID_Y_EN: 0
; COMPUTE_PGM_RSRC2:TGID_Z_EN: 0
; COMPUTE_PGM_RSRC2:TIDIG_COMP_CNT: 0
; COMPUTE_PGM_RSRC3_GFX90A:ACCUM_OFFSET: 0
; COMPUTE_PGM_RSRC3_GFX90A:TG_SPLIT: 0
	.section	.text._ZN7rocprim17ROCPRIM_400000_NS6detail17trampoline_kernelINS0_13select_configILj256ELj13ELNS0_17block_load_methodE3ELS4_3ELS4_3ELNS0_20block_scan_algorithmE0ELj4294967295EEENS1_25partition_config_selectorILNS1_17partition_subalgoE4EjNS0_10empty_typeEbEEZZNS1_14partition_implILS8_4ELb0ES6_15HIP_vector_typeIjLj2EENS0_17counting_iteratorIjlEEPS9_SG_NS0_5tupleIJPjSI_NS0_16reverse_iteratorISI_EEEEENSH_IJSG_SG_SG_EEES9_SI_JZNS1_25segmented_radix_sort_implINS0_14default_configELb1EPKsPsPKlPlN2at6native12_GLOBAL__N_18offset_tEEE10hipError_tPvRmT1_PNSt15iterator_traitsIS12_E10value_typeET2_T3_PNS13_IS18_E10value_typeET4_jRbjT5_S1E_jjP12ihipStream_tbEUljE_ZNSN_ISO_Lb1ESQ_SR_ST_SU_SY_EESZ_S10_S11_S12_S16_S17_S18_S1B_S1C_jS1D_jS1E_S1E_jjS1G_bEUljE0_EEESZ_S10_S11_S18_S1C_S1E_T6_T7_T9_mT8_S1G_bDpT10_ENKUlT_T0_E_clISt17integral_constantIbLb0EES1U_EEDaS1P_S1Q_EUlS1P_E_NS1_11comp_targetILNS1_3genE5ELNS1_11target_archE942ELNS1_3gpuE9ELNS1_3repE0EEENS1_30default_config_static_selectorELNS0_4arch9wavefront6targetE1EEEvS12_,"axG",@progbits,_ZN7rocprim17ROCPRIM_400000_NS6detail17trampoline_kernelINS0_13select_configILj256ELj13ELNS0_17block_load_methodE3ELS4_3ELS4_3ELNS0_20block_scan_algorithmE0ELj4294967295EEENS1_25partition_config_selectorILNS1_17partition_subalgoE4EjNS0_10empty_typeEbEEZZNS1_14partition_implILS8_4ELb0ES6_15HIP_vector_typeIjLj2EENS0_17counting_iteratorIjlEEPS9_SG_NS0_5tupleIJPjSI_NS0_16reverse_iteratorISI_EEEEENSH_IJSG_SG_SG_EEES9_SI_JZNS1_25segmented_radix_sort_implINS0_14default_configELb1EPKsPsPKlPlN2at6native12_GLOBAL__N_18offset_tEEE10hipError_tPvRmT1_PNSt15iterator_traitsIS12_E10value_typeET2_T3_PNS13_IS18_E10value_typeET4_jRbjT5_S1E_jjP12ihipStream_tbEUljE_ZNSN_ISO_Lb1ESQ_SR_ST_SU_SY_EESZ_S10_S11_S12_S16_S17_S18_S1B_S1C_jS1D_jS1E_S1E_jjS1G_bEUljE0_EEESZ_S10_S11_S18_S1C_S1E_T6_T7_T9_mT8_S1G_bDpT10_ENKUlT_T0_E_clISt17integral_constantIbLb0EES1U_EEDaS1P_S1Q_EUlS1P_E_NS1_11comp_targetILNS1_3genE5ELNS1_11target_archE942ELNS1_3gpuE9ELNS1_3repE0EEENS1_30default_config_static_selectorELNS0_4arch9wavefront6targetE1EEEvS12_,comdat
	.globl	_ZN7rocprim17ROCPRIM_400000_NS6detail17trampoline_kernelINS0_13select_configILj256ELj13ELNS0_17block_load_methodE3ELS4_3ELS4_3ELNS0_20block_scan_algorithmE0ELj4294967295EEENS1_25partition_config_selectorILNS1_17partition_subalgoE4EjNS0_10empty_typeEbEEZZNS1_14partition_implILS8_4ELb0ES6_15HIP_vector_typeIjLj2EENS0_17counting_iteratorIjlEEPS9_SG_NS0_5tupleIJPjSI_NS0_16reverse_iteratorISI_EEEEENSH_IJSG_SG_SG_EEES9_SI_JZNS1_25segmented_radix_sort_implINS0_14default_configELb1EPKsPsPKlPlN2at6native12_GLOBAL__N_18offset_tEEE10hipError_tPvRmT1_PNSt15iterator_traitsIS12_E10value_typeET2_T3_PNS13_IS18_E10value_typeET4_jRbjT5_S1E_jjP12ihipStream_tbEUljE_ZNSN_ISO_Lb1ESQ_SR_ST_SU_SY_EESZ_S10_S11_S12_S16_S17_S18_S1B_S1C_jS1D_jS1E_S1E_jjS1G_bEUljE0_EEESZ_S10_S11_S18_S1C_S1E_T6_T7_T9_mT8_S1G_bDpT10_ENKUlT_T0_E_clISt17integral_constantIbLb0EES1U_EEDaS1P_S1Q_EUlS1P_E_NS1_11comp_targetILNS1_3genE5ELNS1_11target_archE942ELNS1_3gpuE9ELNS1_3repE0EEENS1_30default_config_static_selectorELNS0_4arch9wavefront6targetE1EEEvS12_ ; -- Begin function _ZN7rocprim17ROCPRIM_400000_NS6detail17trampoline_kernelINS0_13select_configILj256ELj13ELNS0_17block_load_methodE3ELS4_3ELS4_3ELNS0_20block_scan_algorithmE0ELj4294967295EEENS1_25partition_config_selectorILNS1_17partition_subalgoE4EjNS0_10empty_typeEbEEZZNS1_14partition_implILS8_4ELb0ES6_15HIP_vector_typeIjLj2EENS0_17counting_iteratorIjlEEPS9_SG_NS0_5tupleIJPjSI_NS0_16reverse_iteratorISI_EEEEENSH_IJSG_SG_SG_EEES9_SI_JZNS1_25segmented_radix_sort_implINS0_14default_configELb1EPKsPsPKlPlN2at6native12_GLOBAL__N_18offset_tEEE10hipError_tPvRmT1_PNSt15iterator_traitsIS12_E10value_typeET2_T3_PNS13_IS18_E10value_typeET4_jRbjT5_S1E_jjP12ihipStream_tbEUljE_ZNSN_ISO_Lb1ESQ_SR_ST_SU_SY_EESZ_S10_S11_S12_S16_S17_S18_S1B_S1C_jS1D_jS1E_S1E_jjS1G_bEUljE0_EEESZ_S10_S11_S18_S1C_S1E_T6_T7_T9_mT8_S1G_bDpT10_ENKUlT_T0_E_clISt17integral_constantIbLb0EES1U_EEDaS1P_S1Q_EUlS1P_E_NS1_11comp_targetILNS1_3genE5ELNS1_11target_archE942ELNS1_3gpuE9ELNS1_3repE0EEENS1_30default_config_static_selectorELNS0_4arch9wavefront6targetE1EEEvS12_
	.p2align	8
	.type	_ZN7rocprim17ROCPRIM_400000_NS6detail17trampoline_kernelINS0_13select_configILj256ELj13ELNS0_17block_load_methodE3ELS4_3ELS4_3ELNS0_20block_scan_algorithmE0ELj4294967295EEENS1_25partition_config_selectorILNS1_17partition_subalgoE4EjNS0_10empty_typeEbEEZZNS1_14partition_implILS8_4ELb0ES6_15HIP_vector_typeIjLj2EENS0_17counting_iteratorIjlEEPS9_SG_NS0_5tupleIJPjSI_NS0_16reverse_iteratorISI_EEEEENSH_IJSG_SG_SG_EEES9_SI_JZNS1_25segmented_radix_sort_implINS0_14default_configELb1EPKsPsPKlPlN2at6native12_GLOBAL__N_18offset_tEEE10hipError_tPvRmT1_PNSt15iterator_traitsIS12_E10value_typeET2_T3_PNS13_IS18_E10value_typeET4_jRbjT5_S1E_jjP12ihipStream_tbEUljE_ZNSN_ISO_Lb1ESQ_SR_ST_SU_SY_EESZ_S10_S11_S12_S16_S17_S18_S1B_S1C_jS1D_jS1E_S1E_jjS1G_bEUljE0_EEESZ_S10_S11_S18_S1C_S1E_T6_T7_T9_mT8_S1G_bDpT10_ENKUlT_T0_E_clISt17integral_constantIbLb0EES1U_EEDaS1P_S1Q_EUlS1P_E_NS1_11comp_targetILNS1_3genE5ELNS1_11target_archE942ELNS1_3gpuE9ELNS1_3repE0EEENS1_30default_config_static_selectorELNS0_4arch9wavefront6targetE1EEEvS12_,@function
_ZN7rocprim17ROCPRIM_400000_NS6detail17trampoline_kernelINS0_13select_configILj256ELj13ELNS0_17block_load_methodE3ELS4_3ELS4_3ELNS0_20block_scan_algorithmE0ELj4294967295EEENS1_25partition_config_selectorILNS1_17partition_subalgoE4EjNS0_10empty_typeEbEEZZNS1_14partition_implILS8_4ELb0ES6_15HIP_vector_typeIjLj2EENS0_17counting_iteratorIjlEEPS9_SG_NS0_5tupleIJPjSI_NS0_16reverse_iteratorISI_EEEEENSH_IJSG_SG_SG_EEES9_SI_JZNS1_25segmented_radix_sort_implINS0_14default_configELb1EPKsPsPKlPlN2at6native12_GLOBAL__N_18offset_tEEE10hipError_tPvRmT1_PNSt15iterator_traitsIS12_E10value_typeET2_T3_PNS13_IS18_E10value_typeET4_jRbjT5_S1E_jjP12ihipStream_tbEUljE_ZNSN_ISO_Lb1ESQ_SR_ST_SU_SY_EESZ_S10_S11_S12_S16_S17_S18_S1B_S1C_jS1D_jS1E_S1E_jjS1G_bEUljE0_EEESZ_S10_S11_S18_S1C_S1E_T6_T7_T9_mT8_S1G_bDpT10_ENKUlT_T0_E_clISt17integral_constantIbLb0EES1U_EEDaS1P_S1Q_EUlS1P_E_NS1_11comp_targetILNS1_3genE5ELNS1_11target_archE942ELNS1_3gpuE9ELNS1_3repE0EEENS1_30default_config_static_selectorELNS0_4arch9wavefront6targetE1EEEvS12_: ; @_ZN7rocprim17ROCPRIM_400000_NS6detail17trampoline_kernelINS0_13select_configILj256ELj13ELNS0_17block_load_methodE3ELS4_3ELS4_3ELNS0_20block_scan_algorithmE0ELj4294967295EEENS1_25partition_config_selectorILNS1_17partition_subalgoE4EjNS0_10empty_typeEbEEZZNS1_14partition_implILS8_4ELb0ES6_15HIP_vector_typeIjLj2EENS0_17counting_iteratorIjlEEPS9_SG_NS0_5tupleIJPjSI_NS0_16reverse_iteratorISI_EEEEENSH_IJSG_SG_SG_EEES9_SI_JZNS1_25segmented_radix_sort_implINS0_14default_configELb1EPKsPsPKlPlN2at6native12_GLOBAL__N_18offset_tEEE10hipError_tPvRmT1_PNSt15iterator_traitsIS12_E10value_typeET2_T3_PNS13_IS18_E10value_typeET4_jRbjT5_S1E_jjP12ihipStream_tbEUljE_ZNSN_ISO_Lb1ESQ_SR_ST_SU_SY_EESZ_S10_S11_S12_S16_S17_S18_S1B_S1C_jS1D_jS1E_S1E_jjS1G_bEUljE0_EEESZ_S10_S11_S18_S1C_S1E_T6_T7_T9_mT8_S1G_bDpT10_ENKUlT_T0_E_clISt17integral_constantIbLb0EES1U_EEDaS1P_S1Q_EUlS1P_E_NS1_11comp_targetILNS1_3genE5ELNS1_11target_archE942ELNS1_3gpuE9ELNS1_3repE0EEENS1_30default_config_static_selectorELNS0_4arch9wavefront6targetE1EEEvS12_
; %bb.0:
	.section	.rodata,"a",@progbits
	.p2align	6, 0x0
	.amdhsa_kernel _ZN7rocprim17ROCPRIM_400000_NS6detail17trampoline_kernelINS0_13select_configILj256ELj13ELNS0_17block_load_methodE3ELS4_3ELS4_3ELNS0_20block_scan_algorithmE0ELj4294967295EEENS1_25partition_config_selectorILNS1_17partition_subalgoE4EjNS0_10empty_typeEbEEZZNS1_14partition_implILS8_4ELb0ES6_15HIP_vector_typeIjLj2EENS0_17counting_iteratorIjlEEPS9_SG_NS0_5tupleIJPjSI_NS0_16reverse_iteratorISI_EEEEENSH_IJSG_SG_SG_EEES9_SI_JZNS1_25segmented_radix_sort_implINS0_14default_configELb1EPKsPsPKlPlN2at6native12_GLOBAL__N_18offset_tEEE10hipError_tPvRmT1_PNSt15iterator_traitsIS12_E10value_typeET2_T3_PNS13_IS18_E10value_typeET4_jRbjT5_S1E_jjP12ihipStream_tbEUljE_ZNSN_ISO_Lb1ESQ_SR_ST_SU_SY_EESZ_S10_S11_S12_S16_S17_S18_S1B_S1C_jS1D_jS1E_S1E_jjS1G_bEUljE0_EEESZ_S10_S11_S18_S1C_S1E_T6_T7_T9_mT8_S1G_bDpT10_ENKUlT_T0_E_clISt17integral_constantIbLb0EES1U_EEDaS1P_S1Q_EUlS1P_E_NS1_11comp_targetILNS1_3genE5ELNS1_11target_archE942ELNS1_3gpuE9ELNS1_3repE0EEENS1_30default_config_static_selectorELNS0_4arch9wavefront6targetE1EEEvS12_
		.amdhsa_group_segment_fixed_size 0
		.amdhsa_private_segment_fixed_size 0
		.amdhsa_kernarg_size 176
		.amdhsa_user_sgpr_count 6
		.amdhsa_user_sgpr_private_segment_buffer 1
		.amdhsa_user_sgpr_dispatch_ptr 0
		.amdhsa_user_sgpr_queue_ptr 0
		.amdhsa_user_sgpr_kernarg_segment_ptr 1
		.amdhsa_user_sgpr_dispatch_id 0
		.amdhsa_user_sgpr_flat_scratch_init 0
		.amdhsa_user_sgpr_kernarg_preload_length 0
		.amdhsa_user_sgpr_kernarg_preload_offset 0
		.amdhsa_user_sgpr_private_segment_size 0
		.amdhsa_uses_dynamic_stack 0
		.amdhsa_system_sgpr_private_segment_wavefront_offset 0
		.amdhsa_system_sgpr_workgroup_id_x 1
		.amdhsa_system_sgpr_workgroup_id_y 0
		.amdhsa_system_sgpr_workgroup_id_z 0
		.amdhsa_system_sgpr_workgroup_info 0
		.amdhsa_system_vgpr_workitem_id 0
		.amdhsa_next_free_vgpr 1
		.amdhsa_next_free_sgpr 0
		.amdhsa_accum_offset 4
		.amdhsa_reserve_vcc 0
		.amdhsa_reserve_flat_scratch 0
		.amdhsa_float_round_mode_32 0
		.amdhsa_float_round_mode_16_64 0
		.amdhsa_float_denorm_mode_32 3
		.amdhsa_float_denorm_mode_16_64 3
		.amdhsa_dx10_clamp 1
		.amdhsa_ieee_mode 1
		.amdhsa_fp16_overflow 0
		.amdhsa_tg_split 0
		.amdhsa_exception_fp_ieee_invalid_op 0
		.amdhsa_exception_fp_denorm_src 0
		.amdhsa_exception_fp_ieee_div_zero 0
		.amdhsa_exception_fp_ieee_overflow 0
		.amdhsa_exception_fp_ieee_underflow 0
		.amdhsa_exception_fp_ieee_inexact 0
		.amdhsa_exception_int_div_zero 0
	.end_amdhsa_kernel
	.section	.text._ZN7rocprim17ROCPRIM_400000_NS6detail17trampoline_kernelINS0_13select_configILj256ELj13ELNS0_17block_load_methodE3ELS4_3ELS4_3ELNS0_20block_scan_algorithmE0ELj4294967295EEENS1_25partition_config_selectorILNS1_17partition_subalgoE4EjNS0_10empty_typeEbEEZZNS1_14partition_implILS8_4ELb0ES6_15HIP_vector_typeIjLj2EENS0_17counting_iteratorIjlEEPS9_SG_NS0_5tupleIJPjSI_NS0_16reverse_iteratorISI_EEEEENSH_IJSG_SG_SG_EEES9_SI_JZNS1_25segmented_radix_sort_implINS0_14default_configELb1EPKsPsPKlPlN2at6native12_GLOBAL__N_18offset_tEEE10hipError_tPvRmT1_PNSt15iterator_traitsIS12_E10value_typeET2_T3_PNS13_IS18_E10value_typeET4_jRbjT5_S1E_jjP12ihipStream_tbEUljE_ZNSN_ISO_Lb1ESQ_SR_ST_SU_SY_EESZ_S10_S11_S12_S16_S17_S18_S1B_S1C_jS1D_jS1E_S1E_jjS1G_bEUljE0_EEESZ_S10_S11_S18_S1C_S1E_T6_T7_T9_mT8_S1G_bDpT10_ENKUlT_T0_E_clISt17integral_constantIbLb0EES1U_EEDaS1P_S1Q_EUlS1P_E_NS1_11comp_targetILNS1_3genE5ELNS1_11target_archE942ELNS1_3gpuE9ELNS1_3repE0EEENS1_30default_config_static_selectorELNS0_4arch9wavefront6targetE1EEEvS12_,"axG",@progbits,_ZN7rocprim17ROCPRIM_400000_NS6detail17trampoline_kernelINS0_13select_configILj256ELj13ELNS0_17block_load_methodE3ELS4_3ELS4_3ELNS0_20block_scan_algorithmE0ELj4294967295EEENS1_25partition_config_selectorILNS1_17partition_subalgoE4EjNS0_10empty_typeEbEEZZNS1_14partition_implILS8_4ELb0ES6_15HIP_vector_typeIjLj2EENS0_17counting_iteratorIjlEEPS9_SG_NS0_5tupleIJPjSI_NS0_16reverse_iteratorISI_EEEEENSH_IJSG_SG_SG_EEES9_SI_JZNS1_25segmented_radix_sort_implINS0_14default_configELb1EPKsPsPKlPlN2at6native12_GLOBAL__N_18offset_tEEE10hipError_tPvRmT1_PNSt15iterator_traitsIS12_E10value_typeET2_T3_PNS13_IS18_E10value_typeET4_jRbjT5_S1E_jjP12ihipStream_tbEUljE_ZNSN_ISO_Lb1ESQ_SR_ST_SU_SY_EESZ_S10_S11_S12_S16_S17_S18_S1B_S1C_jS1D_jS1E_S1E_jjS1G_bEUljE0_EEESZ_S10_S11_S18_S1C_S1E_T6_T7_T9_mT8_S1G_bDpT10_ENKUlT_T0_E_clISt17integral_constantIbLb0EES1U_EEDaS1P_S1Q_EUlS1P_E_NS1_11comp_targetILNS1_3genE5ELNS1_11target_archE942ELNS1_3gpuE9ELNS1_3repE0EEENS1_30default_config_static_selectorELNS0_4arch9wavefront6targetE1EEEvS12_,comdat
.Lfunc_end848:
	.size	_ZN7rocprim17ROCPRIM_400000_NS6detail17trampoline_kernelINS0_13select_configILj256ELj13ELNS0_17block_load_methodE3ELS4_3ELS4_3ELNS0_20block_scan_algorithmE0ELj4294967295EEENS1_25partition_config_selectorILNS1_17partition_subalgoE4EjNS0_10empty_typeEbEEZZNS1_14partition_implILS8_4ELb0ES6_15HIP_vector_typeIjLj2EENS0_17counting_iteratorIjlEEPS9_SG_NS0_5tupleIJPjSI_NS0_16reverse_iteratorISI_EEEEENSH_IJSG_SG_SG_EEES9_SI_JZNS1_25segmented_radix_sort_implINS0_14default_configELb1EPKsPsPKlPlN2at6native12_GLOBAL__N_18offset_tEEE10hipError_tPvRmT1_PNSt15iterator_traitsIS12_E10value_typeET2_T3_PNS13_IS18_E10value_typeET4_jRbjT5_S1E_jjP12ihipStream_tbEUljE_ZNSN_ISO_Lb1ESQ_SR_ST_SU_SY_EESZ_S10_S11_S12_S16_S17_S18_S1B_S1C_jS1D_jS1E_S1E_jjS1G_bEUljE0_EEESZ_S10_S11_S18_S1C_S1E_T6_T7_T9_mT8_S1G_bDpT10_ENKUlT_T0_E_clISt17integral_constantIbLb0EES1U_EEDaS1P_S1Q_EUlS1P_E_NS1_11comp_targetILNS1_3genE5ELNS1_11target_archE942ELNS1_3gpuE9ELNS1_3repE0EEENS1_30default_config_static_selectorELNS0_4arch9wavefront6targetE1EEEvS12_, .Lfunc_end848-_ZN7rocprim17ROCPRIM_400000_NS6detail17trampoline_kernelINS0_13select_configILj256ELj13ELNS0_17block_load_methodE3ELS4_3ELS4_3ELNS0_20block_scan_algorithmE0ELj4294967295EEENS1_25partition_config_selectorILNS1_17partition_subalgoE4EjNS0_10empty_typeEbEEZZNS1_14partition_implILS8_4ELb0ES6_15HIP_vector_typeIjLj2EENS0_17counting_iteratorIjlEEPS9_SG_NS0_5tupleIJPjSI_NS0_16reverse_iteratorISI_EEEEENSH_IJSG_SG_SG_EEES9_SI_JZNS1_25segmented_radix_sort_implINS0_14default_configELb1EPKsPsPKlPlN2at6native12_GLOBAL__N_18offset_tEEE10hipError_tPvRmT1_PNSt15iterator_traitsIS12_E10value_typeET2_T3_PNS13_IS18_E10value_typeET4_jRbjT5_S1E_jjP12ihipStream_tbEUljE_ZNSN_ISO_Lb1ESQ_SR_ST_SU_SY_EESZ_S10_S11_S12_S16_S17_S18_S1B_S1C_jS1D_jS1E_S1E_jjS1G_bEUljE0_EEESZ_S10_S11_S18_S1C_S1E_T6_T7_T9_mT8_S1G_bDpT10_ENKUlT_T0_E_clISt17integral_constantIbLb0EES1U_EEDaS1P_S1Q_EUlS1P_E_NS1_11comp_targetILNS1_3genE5ELNS1_11target_archE942ELNS1_3gpuE9ELNS1_3repE0EEENS1_30default_config_static_selectorELNS0_4arch9wavefront6targetE1EEEvS12_
                                        ; -- End function
	.section	.AMDGPU.csdata,"",@progbits
; Kernel info:
; codeLenInByte = 0
; NumSgprs: 4
; NumVgprs: 0
; NumAgprs: 0
; TotalNumVgprs: 0
; ScratchSize: 0
; MemoryBound: 0
; FloatMode: 240
; IeeeMode: 1
; LDSByteSize: 0 bytes/workgroup (compile time only)
; SGPRBlocks: 0
; VGPRBlocks: 0
; NumSGPRsForWavesPerEU: 4
; NumVGPRsForWavesPerEU: 1
; AccumOffset: 4
; Occupancy: 8
; WaveLimiterHint : 0
; COMPUTE_PGM_RSRC2:SCRATCH_EN: 0
; COMPUTE_PGM_RSRC2:USER_SGPR: 6
; COMPUTE_PGM_RSRC2:TRAP_HANDLER: 0
; COMPUTE_PGM_RSRC2:TGID_X_EN: 1
; COMPUTE_PGM_RSRC2:TGID_Y_EN: 0
; COMPUTE_PGM_RSRC2:TGID_Z_EN: 0
; COMPUTE_PGM_RSRC2:TIDIG_COMP_CNT: 0
; COMPUTE_PGM_RSRC3_GFX90A:ACCUM_OFFSET: 0
; COMPUTE_PGM_RSRC3_GFX90A:TG_SPLIT: 0
	.section	.text._ZN7rocprim17ROCPRIM_400000_NS6detail17trampoline_kernelINS0_13select_configILj256ELj13ELNS0_17block_load_methodE3ELS4_3ELS4_3ELNS0_20block_scan_algorithmE0ELj4294967295EEENS1_25partition_config_selectorILNS1_17partition_subalgoE4EjNS0_10empty_typeEbEEZZNS1_14partition_implILS8_4ELb0ES6_15HIP_vector_typeIjLj2EENS0_17counting_iteratorIjlEEPS9_SG_NS0_5tupleIJPjSI_NS0_16reverse_iteratorISI_EEEEENSH_IJSG_SG_SG_EEES9_SI_JZNS1_25segmented_radix_sort_implINS0_14default_configELb1EPKsPsPKlPlN2at6native12_GLOBAL__N_18offset_tEEE10hipError_tPvRmT1_PNSt15iterator_traitsIS12_E10value_typeET2_T3_PNS13_IS18_E10value_typeET4_jRbjT5_S1E_jjP12ihipStream_tbEUljE_ZNSN_ISO_Lb1ESQ_SR_ST_SU_SY_EESZ_S10_S11_S12_S16_S17_S18_S1B_S1C_jS1D_jS1E_S1E_jjS1G_bEUljE0_EEESZ_S10_S11_S18_S1C_S1E_T6_T7_T9_mT8_S1G_bDpT10_ENKUlT_T0_E_clISt17integral_constantIbLb0EES1U_EEDaS1P_S1Q_EUlS1P_E_NS1_11comp_targetILNS1_3genE4ELNS1_11target_archE910ELNS1_3gpuE8ELNS1_3repE0EEENS1_30default_config_static_selectorELNS0_4arch9wavefront6targetE1EEEvS12_,"axG",@progbits,_ZN7rocprim17ROCPRIM_400000_NS6detail17trampoline_kernelINS0_13select_configILj256ELj13ELNS0_17block_load_methodE3ELS4_3ELS4_3ELNS0_20block_scan_algorithmE0ELj4294967295EEENS1_25partition_config_selectorILNS1_17partition_subalgoE4EjNS0_10empty_typeEbEEZZNS1_14partition_implILS8_4ELb0ES6_15HIP_vector_typeIjLj2EENS0_17counting_iteratorIjlEEPS9_SG_NS0_5tupleIJPjSI_NS0_16reverse_iteratorISI_EEEEENSH_IJSG_SG_SG_EEES9_SI_JZNS1_25segmented_radix_sort_implINS0_14default_configELb1EPKsPsPKlPlN2at6native12_GLOBAL__N_18offset_tEEE10hipError_tPvRmT1_PNSt15iterator_traitsIS12_E10value_typeET2_T3_PNS13_IS18_E10value_typeET4_jRbjT5_S1E_jjP12ihipStream_tbEUljE_ZNSN_ISO_Lb1ESQ_SR_ST_SU_SY_EESZ_S10_S11_S12_S16_S17_S18_S1B_S1C_jS1D_jS1E_S1E_jjS1G_bEUljE0_EEESZ_S10_S11_S18_S1C_S1E_T6_T7_T9_mT8_S1G_bDpT10_ENKUlT_T0_E_clISt17integral_constantIbLb0EES1U_EEDaS1P_S1Q_EUlS1P_E_NS1_11comp_targetILNS1_3genE4ELNS1_11target_archE910ELNS1_3gpuE8ELNS1_3repE0EEENS1_30default_config_static_selectorELNS0_4arch9wavefront6targetE1EEEvS12_,comdat
	.globl	_ZN7rocprim17ROCPRIM_400000_NS6detail17trampoline_kernelINS0_13select_configILj256ELj13ELNS0_17block_load_methodE3ELS4_3ELS4_3ELNS0_20block_scan_algorithmE0ELj4294967295EEENS1_25partition_config_selectorILNS1_17partition_subalgoE4EjNS0_10empty_typeEbEEZZNS1_14partition_implILS8_4ELb0ES6_15HIP_vector_typeIjLj2EENS0_17counting_iteratorIjlEEPS9_SG_NS0_5tupleIJPjSI_NS0_16reverse_iteratorISI_EEEEENSH_IJSG_SG_SG_EEES9_SI_JZNS1_25segmented_radix_sort_implINS0_14default_configELb1EPKsPsPKlPlN2at6native12_GLOBAL__N_18offset_tEEE10hipError_tPvRmT1_PNSt15iterator_traitsIS12_E10value_typeET2_T3_PNS13_IS18_E10value_typeET4_jRbjT5_S1E_jjP12ihipStream_tbEUljE_ZNSN_ISO_Lb1ESQ_SR_ST_SU_SY_EESZ_S10_S11_S12_S16_S17_S18_S1B_S1C_jS1D_jS1E_S1E_jjS1G_bEUljE0_EEESZ_S10_S11_S18_S1C_S1E_T6_T7_T9_mT8_S1G_bDpT10_ENKUlT_T0_E_clISt17integral_constantIbLb0EES1U_EEDaS1P_S1Q_EUlS1P_E_NS1_11comp_targetILNS1_3genE4ELNS1_11target_archE910ELNS1_3gpuE8ELNS1_3repE0EEENS1_30default_config_static_selectorELNS0_4arch9wavefront6targetE1EEEvS12_ ; -- Begin function _ZN7rocprim17ROCPRIM_400000_NS6detail17trampoline_kernelINS0_13select_configILj256ELj13ELNS0_17block_load_methodE3ELS4_3ELS4_3ELNS0_20block_scan_algorithmE0ELj4294967295EEENS1_25partition_config_selectorILNS1_17partition_subalgoE4EjNS0_10empty_typeEbEEZZNS1_14partition_implILS8_4ELb0ES6_15HIP_vector_typeIjLj2EENS0_17counting_iteratorIjlEEPS9_SG_NS0_5tupleIJPjSI_NS0_16reverse_iteratorISI_EEEEENSH_IJSG_SG_SG_EEES9_SI_JZNS1_25segmented_radix_sort_implINS0_14default_configELb1EPKsPsPKlPlN2at6native12_GLOBAL__N_18offset_tEEE10hipError_tPvRmT1_PNSt15iterator_traitsIS12_E10value_typeET2_T3_PNS13_IS18_E10value_typeET4_jRbjT5_S1E_jjP12ihipStream_tbEUljE_ZNSN_ISO_Lb1ESQ_SR_ST_SU_SY_EESZ_S10_S11_S12_S16_S17_S18_S1B_S1C_jS1D_jS1E_S1E_jjS1G_bEUljE0_EEESZ_S10_S11_S18_S1C_S1E_T6_T7_T9_mT8_S1G_bDpT10_ENKUlT_T0_E_clISt17integral_constantIbLb0EES1U_EEDaS1P_S1Q_EUlS1P_E_NS1_11comp_targetILNS1_3genE4ELNS1_11target_archE910ELNS1_3gpuE8ELNS1_3repE0EEENS1_30default_config_static_selectorELNS0_4arch9wavefront6targetE1EEEvS12_
	.p2align	8
	.type	_ZN7rocprim17ROCPRIM_400000_NS6detail17trampoline_kernelINS0_13select_configILj256ELj13ELNS0_17block_load_methodE3ELS4_3ELS4_3ELNS0_20block_scan_algorithmE0ELj4294967295EEENS1_25partition_config_selectorILNS1_17partition_subalgoE4EjNS0_10empty_typeEbEEZZNS1_14partition_implILS8_4ELb0ES6_15HIP_vector_typeIjLj2EENS0_17counting_iteratorIjlEEPS9_SG_NS0_5tupleIJPjSI_NS0_16reverse_iteratorISI_EEEEENSH_IJSG_SG_SG_EEES9_SI_JZNS1_25segmented_radix_sort_implINS0_14default_configELb1EPKsPsPKlPlN2at6native12_GLOBAL__N_18offset_tEEE10hipError_tPvRmT1_PNSt15iterator_traitsIS12_E10value_typeET2_T3_PNS13_IS18_E10value_typeET4_jRbjT5_S1E_jjP12ihipStream_tbEUljE_ZNSN_ISO_Lb1ESQ_SR_ST_SU_SY_EESZ_S10_S11_S12_S16_S17_S18_S1B_S1C_jS1D_jS1E_S1E_jjS1G_bEUljE0_EEESZ_S10_S11_S18_S1C_S1E_T6_T7_T9_mT8_S1G_bDpT10_ENKUlT_T0_E_clISt17integral_constantIbLb0EES1U_EEDaS1P_S1Q_EUlS1P_E_NS1_11comp_targetILNS1_3genE4ELNS1_11target_archE910ELNS1_3gpuE8ELNS1_3repE0EEENS1_30default_config_static_selectorELNS0_4arch9wavefront6targetE1EEEvS12_,@function
_ZN7rocprim17ROCPRIM_400000_NS6detail17trampoline_kernelINS0_13select_configILj256ELj13ELNS0_17block_load_methodE3ELS4_3ELS4_3ELNS0_20block_scan_algorithmE0ELj4294967295EEENS1_25partition_config_selectorILNS1_17partition_subalgoE4EjNS0_10empty_typeEbEEZZNS1_14partition_implILS8_4ELb0ES6_15HIP_vector_typeIjLj2EENS0_17counting_iteratorIjlEEPS9_SG_NS0_5tupleIJPjSI_NS0_16reverse_iteratorISI_EEEEENSH_IJSG_SG_SG_EEES9_SI_JZNS1_25segmented_radix_sort_implINS0_14default_configELb1EPKsPsPKlPlN2at6native12_GLOBAL__N_18offset_tEEE10hipError_tPvRmT1_PNSt15iterator_traitsIS12_E10value_typeET2_T3_PNS13_IS18_E10value_typeET4_jRbjT5_S1E_jjP12ihipStream_tbEUljE_ZNSN_ISO_Lb1ESQ_SR_ST_SU_SY_EESZ_S10_S11_S12_S16_S17_S18_S1B_S1C_jS1D_jS1E_S1E_jjS1G_bEUljE0_EEESZ_S10_S11_S18_S1C_S1E_T6_T7_T9_mT8_S1G_bDpT10_ENKUlT_T0_E_clISt17integral_constantIbLb0EES1U_EEDaS1P_S1Q_EUlS1P_E_NS1_11comp_targetILNS1_3genE4ELNS1_11target_archE910ELNS1_3gpuE8ELNS1_3repE0EEENS1_30default_config_static_selectorELNS0_4arch9wavefront6targetE1EEEvS12_: ; @_ZN7rocprim17ROCPRIM_400000_NS6detail17trampoline_kernelINS0_13select_configILj256ELj13ELNS0_17block_load_methodE3ELS4_3ELS4_3ELNS0_20block_scan_algorithmE0ELj4294967295EEENS1_25partition_config_selectorILNS1_17partition_subalgoE4EjNS0_10empty_typeEbEEZZNS1_14partition_implILS8_4ELb0ES6_15HIP_vector_typeIjLj2EENS0_17counting_iteratorIjlEEPS9_SG_NS0_5tupleIJPjSI_NS0_16reverse_iteratorISI_EEEEENSH_IJSG_SG_SG_EEES9_SI_JZNS1_25segmented_radix_sort_implINS0_14default_configELb1EPKsPsPKlPlN2at6native12_GLOBAL__N_18offset_tEEE10hipError_tPvRmT1_PNSt15iterator_traitsIS12_E10value_typeET2_T3_PNS13_IS18_E10value_typeET4_jRbjT5_S1E_jjP12ihipStream_tbEUljE_ZNSN_ISO_Lb1ESQ_SR_ST_SU_SY_EESZ_S10_S11_S12_S16_S17_S18_S1B_S1C_jS1D_jS1E_S1E_jjS1G_bEUljE0_EEESZ_S10_S11_S18_S1C_S1E_T6_T7_T9_mT8_S1G_bDpT10_ENKUlT_T0_E_clISt17integral_constantIbLb0EES1U_EEDaS1P_S1Q_EUlS1P_E_NS1_11comp_targetILNS1_3genE4ELNS1_11target_archE910ELNS1_3gpuE8ELNS1_3repE0EEENS1_30default_config_static_selectorELNS0_4arch9wavefront6targetE1EEEvS12_
; %bb.0:
	s_load_dwordx2 s[0:1], s[4:5], 0x68
	s_load_dword s7, s[4:5], 0x8
	s_load_dwordx2 s[56:57], s[4:5], 0x10
	s_load_dwordx4 s[44:47], s[4:5], 0x58
	s_mul_i32 s33, s6, 0xd00
	s_waitcnt lgkmcnt(0)
	v_mov_b32_e32 v3, s1
	v_mov_b32_e32 v2, s0
	s_load_dword s1, s[4:5], 0x80
	s_load_dwordx2 s[60:61], s[4:5], 0xa8
	s_load_dwordx8 s[36:43], s[4:5], 0x88
	s_load_dwordx4 s[48:51], s[46:47], 0x0
	s_waitcnt lgkmcnt(0)
	s_add_i32 s8, s1, -1
	s_mulk_i32 s1, 0xd00
	s_add_u32 s2, s56, s1
	s_addc_u32 s3, s57, 0
	s_cmp_eq_u32 s6, s8
	s_cselect_b64 s[30:31], -1, 0
	s_cmp_lg_u32 s6, s8
	v_cmp_lt_u64_e32 vcc, s[2:3], v[2:3]
	s_cselect_b64 s[2:3], -1, 0
	s_add_i32 s7, s7, s33
	s_or_b64 s[2:3], s[2:3], vcc
	s_add_i32 s7, s7, s56
	v_add_u32_e32 v1, s7, v0
	s_mov_b64 s[8:9], -1
	s_and_b64 vcc, exec, s[2:3]
	s_cbranch_vccz .LBB849_2
; %bb.1:
	v_add_u32_e32 v2, 0x100, v1
	v_lshlrev_b32_e32 v14, 2, v0
	v_add_u32_e32 v3, 0x200, v1
	v_add_u32_e32 v4, 0x300, v1
	;; [unrolled: 1-line block ×11, first 2 shown]
	ds_write2st64_b32 v14, v1, v2 offset1:4
	ds_write2st64_b32 v14, v3, v4 offset0:8 offset1:12
	ds_write2st64_b32 v14, v5, v6 offset0:16 offset1:20
	;; [unrolled: 1-line block ×5, first 2 shown]
	ds_write_b32 v14, v13 offset:12288
	s_waitcnt lgkmcnt(0)
	s_barrier
	s_mov_b64 s[8:9], 0
.LBB849_2:
	s_andn2_b64 vcc, exec, s[8:9]
	s_add_i32 s1, s1, s56
	s_cbranch_vccnz .LBB849_4
; %bb.3:
	v_add_u32_e32 v2, 0x100, v1
	v_lshlrev_b32_e32 v14, 2, v0
	v_add_u32_e32 v3, 0x200, v1
	v_add_u32_e32 v4, 0x300, v1
	v_add_u32_e32 v5, 0x400, v1
	v_add_u32_e32 v6, 0x500, v1
	v_add_u32_e32 v7, 0x600, v1
	v_add_u32_e32 v8, 0x700, v1
	v_add_u32_e32 v9, 0x800, v1
	v_add_u32_e32 v10, 0x900, v1
	v_add_u32_e32 v11, 0xa00, v1
	v_add_u32_e32 v12, 0xb00, v1
	v_add_u32_e32 v13, 0xc00, v1
	ds_write2st64_b32 v14, v1, v2 offset1:4
	ds_write2st64_b32 v14, v3, v4 offset0:8 offset1:12
	ds_write2st64_b32 v14, v5, v6 offset0:16 offset1:20
	;; [unrolled: 1-line block ×5, first 2 shown]
	ds_write_b32 v14, v13 offset:12288
	s_waitcnt lgkmcnt(0)
	s_barrier
.LBB849_4:
	v_mul_u32_u24_e32 v31, 13, v0
	v_lshlrev_b32_e32 v1, 2, v31
	s_load_dwordx4 s[52:55], s[4:5], 0x28
	s_load_dwordx2 s[34:35], s[4:5], 0x38
	s_waitcnt lgkmcnt(0)
	ds_read2_b32 v[18:19], v1 offset1:1
	ds_read2_b32 v[16:17], v1 offset0:2 offset1:3
	ds_read2_b32 v[14:15], v1 offset0:4 offset1:5
	;; [unrolled: 1-line block ×5, first 2 shown]
	ds_read_b32 v30, v1 offset:48
	v_cndmask_b32_e64 v1, 0, 1, s[2:3]
	s_sub_i32 s7, s0, s1
	v_cmp_ne_u32_e64 s[0:1], 1, v1
	s_andn2_b64 vcc, exec, s[2:3]
	s_waitcnt lgkmcnt(0)
	s_barrier
	s_cbranch_vccnz .LBB849_32
; %bb.5:
	v_add_u32_e32 v1, s37, v18
	v_add_u32_e32 v2, s39, v18
	v_mul_lo_u32 v1, v1, s36
	v_mul_lo_u32 v2, v2, s38
	v_sub_u32_e32 v1, v1, v2
	v_cmp_lt_u32_e32 vcc, s40, v1
	v_cmp_ge_u32_e64 s[2:3], s40, v1
	s_mov_b64 s[64:65], 0
	s_mov_b64 s[62:63], 0
	s_and_saveexec_b64 s[8:9], s[2:3]
; %bb.6:
	v_add_u32_e32 v1, s42, v18
	v_add_u32_e32 v2, s60, v18
	v_mul_lo_u32 v1, v1, s41
	v_mul_lo_u32 v2, v2, s43
	v_sub_u32_e32 v1, v1, v2
	v_cmp_lt_u32_e64 s[2:3], s61, v1
	s_and_b64 s[62:63], s[2:3], exec
; %bb.7:
	s_or_b64 exec, exec, s[8:9]
	v_add_u32_e32 v1, s37, v19
	v_add_u32_e32 v2, s39, v19
	v_mul_lo_u32 v1, v1, s36
	v_mul_lo_u32 v2, v2, s38
	v_sub_u32_e32 v1, v1, v2
	v_cmp_lt_u32_e64 s[2:3], s40, v1
	v_cmp_ge_u32_e64 s[8:9], s40, v1
	s_and_saveexec_b64 s[10:11], s[8:9]
; %bb.8:
	v_add_u32_e32 v1, s42, v19
	v_add_u32_e32 v2, s60, v19
	v_mul_lo_u32 v1, v1, s41
	v_mul_lo_u32 v2, v2, s43
	v_sub_u32_e32 v1, v1, v2
	v_cmp_lt_u32_e64 s[8:9], s61, v1
	s_and_b64 s[64:65], s[8:9], exec
; %bb.9:
	s_or_b64 exec, exec, s[10:11]
	v_add_u32_e32 v1, s37, v16
	v_add_u32_e32 v2, s39, v16
	v_mul_lo_u32 v1, v1, s36
	v_mul_lo_u32 v2, v2, s38
	v_sub_u32_e32 v1, v1, v2
	v_cmp_lt_u32_e64 s[26:27], s40, v1
	v_cmp_ge_u32_e64 s[8:9], s40, v1
	s_mov_b64 s[68:69], 0
	s_mov_b64 s[66:67], 0
	s_and_saveexec_b64 s[10:11], s[8:9]
; %bb.10:
	v_add_u32_e32 v1, s42, v16
	v_add_u32_e32 v2, s60, v16
	v_mul_lo_u32 v1, v1, s41
	v_mul_lo_u32 v2, v2, s43
	v_sub_u32_e32 v1, v1, v2
	v_cmp_lt_u32_e64 s[8:9], s61, v1
	s_and_b64 s[66:67], s[8:9], exec
; %bb.11:
	s_or_b64 exec, exec, s[10:11]
	v_add_u32_e32 v1, s37, v17
	v_add_u32_e32 v2, s39, v17
	v_mul_lo_u32 v1, v1, s36
	v_mul_lo_u32 v2, v2, s38
	v_sub_u32_e32 v1, v1, v2
	v_cmp_lt_u32_e64 s[8:9], s40, v1
	v_cmp_ge_u32_e64 s[10:11], s40, v1
	s_and_saveexec_b64 s[12:13], s[10:11]
; %bb.12:
	v_add_u32_e32 v1, s42, v17
	v_add_u32_e32 v2, s60, v17
	v_mul_lo_u32 v1, v1, s41
	v_mul_lo_u32 v2, v2, s43
	v_sub_u32_e32 v1, v1, v2
	v_cmp_lt_u32_e64 s[10:11], s61, v1
	s_and_b64 s[68:69], s[10:11], exec
; %bb.13:
	s_or_b64 exec, exec, s[12:13]
	v_add_u32_e32 v1, s37, v14
	v_add_u32_e32 v2, s39, v14
	v_mul_lo_u32 v1, v1, s36
	v_mul_lo_u32 v2, v2, s38
	v_sub_u32_e32 v1, v1, v2
	v_cmp_lt_u32_e64 s[10:11], s40, v1
	;; [unrolled: 38-line block ×5, first 2 shown]
	v_cmp_ge_u32_e64 s[24:25], s40, v1
	s_mov_b64 s[84:85], 0
	s_mov_b64 s[86:87], 0
	s_and_saveexec_b64 s[28:29], s[24:25]
; %bb.26:
	v_add_u32_e32 v1, s42, v8
	v_add_u32_e32 v2, s60, v8
	v_mul_lo_u32 v1, v1, s41
	v_mul_lo_u32 v2, v2, s43
	v_sub_u32_e32 v1, v1, v2
	v_cmp_lt_u32_e64 s[24:25], s61, v1
	s_and_b64 s[86:87], s[24:25], exec
; %bb.27:
	s_or_b64 exec, exec, s[28:29]
	v_add_u32_e32 v1, s37, v9
	v_add_u32_e32 v2, s39, v9
	v_mul_lo_u32 v1, v1, s36
	v_mul_lo_u32 v2, v2, s38
	v_sub_u32_e32 v1, v1, v2
	v_cmp_lt_u32_e64 s[24:25], s40, v1
	v_cmp_ge_u32_e64 s[28:29], s40, v1
	s_and_saveexec_b64 s[46:47], s[28:29]
; %bb.28:
	v_add_u32_e32 v1, s42, v9
	v_add_u32_e32 v2, s60, v9
	v_mul_lo_u32 v1, v1, s41
	v_mul_lo_u32 v2, v2, s43
	v_sub_u32_e32 v1, v1, v2
	v_cmp_lt_u32_e64 s[28:29], s61, v1
	s_and_b64 s[84:85], s[28:29], exec
; %bb.29:
	s_or_b64 exec, exec, s[46:47]
	v_add_u32_e32 v1, s37, v30
	v_add_u32_e32 v2, s39, v30
	v_mul_lo_u32 v1, v1, s36
	v_mul_lo_u32 v2, v2, s38
	v_sub_u32_e32 v1, v1, v2
	v_cmp_ge_u32_e64 s[28:29], s40, v1
	s_mov_b64 s[46:47], -1
	s_mov_b64 s[78:79], 0
	s_mov_b64 s[58:59], 0
	s_and_saveexec_b64 s[88:89], s[28:29]
; %bb.30:
	v_add_u32_e32 v1, s42, v30
	v_add_u32_e32 v2, s60, v30
	v_mul_lo_u32 v1, v1, s41
	v_mul_lo_u32 v2, v2, s43
	v_sub_u32_e32 v1, v1, v2
	v_cmp_lt_u32_e64 s[28:29], s61, v1
	s_and_b64 s[58:59], s[28:29], exec
	s_xor_b64 s[46:47], exec, -1
; %bb.31:
	s_or_b64 exec, exec, s[88:89]
	v_cndmask_b32_e64 v52, 0, 1, s[86:87]
	v_cndmask_b32_e64 v55, 0, 1, s[24:25]
	;; [unrolled: 1-line block ×22, first 2 shown]
	v_cndmask_b32_e64 v32, 0, 1, vcc
	v_cndmask_b32_e64 v54, 0, 1, s[84:85]
	s_load_dwordx2 s[12:13], s[4:5], 0x78
	s_add_i32 s18, s7, 0xd00
	s_and_b64 vcc, exec, s[78:79]
	s_cbranch_vccnz .LBB849_33
	s_branch .LBB849_86
.LBB849_32:
                                        ; implicit-def: $sgpr46_sgpr47
                                        ; implicit-def: $sgpr58_sgpr59
                                        ; implicit-def: $vgpr54
                                        ; implicit-def: $vgpr52
                                        ; implicit-def: $vgpr50
                                        ; implicit-def: $vgpr48
                                        ; implicit-def: $vgpr46
                                        ; implicit-def: $vgpr44
                                        ; implicit-def: $vgpr42
                                        ; implicit-def: $vgpr40
                                        ; implicit-def: $vgpr38
                                        ; implicit-def: $vgpr32
                                        ; implicit-def: $vgpr34
                                        ; implicit-def: $vgpr36
                                        ; implicit-def: $vgpr39
                                        ; implicit-def: $vgpr41
                                        ; implicit-def: $vgpr43
                                        ; implicit-def: $vgpr45
                                        ; implicit-def: $vgpr47
                                        ; implicit-def: $vgpr49
                                        ; implicit-def: $vgpr51
                                        ; implicit-def: $vgpr53
                                        ; implicit-def: $vgpr55
                                        ; implicit-def: $vgpr33
                                        ; implicit-def: $vgpr35
                                        ; implicit-def: $vgpr37
	s_load_dwordx2 s[12:13], s[4:5], 0x78
	s_add_i32 s18, s7, 0xd00
	s_cbranch_execz .LBB849_86
.LBB849_33:
	v_cmp_gt_u32_e32 vcc, s18, v31
	v_mov_b32_e32 v33, 0
	v_mov_b32_e32 v32, 0
	s_and_saveexec_b64 s[4:5], vcc
	s_cbranch_execz .LBB849_37
; %bb.34:
	v_add_u32_e32 v1, s37, v18
	v_add_u32_e32 v2, s39, v18
	v_mul_lo_u32 v1, v1, s36
	v_mul_lo_u32 v2, v2, s38
	v_sub_u32_e32 v1, v1, v2
	v_cmp_lt_u32_e32 vcc, s40, v1
	v_cmp_ge_u32_e64 s[2:3], s40, v1
	s_mov_b64 s[10:11], 0
	s_and_saveexec_b64 s[8:9], s[2:3]
; %bb.35:
	v_add_u32_e32 v1, s42, v18
	v_add_u32_e32 v2, s60, v18
	v_mul_lo_u32 v1, v1, s41
	v_mul_lo_u32 v2, v2, s43
	v_sub_u32_e32 v1, v1, v2
	v_cmp_lt_u32_e64 s[2:3], s61, v1
	s_and_b64 s[10:11], s[2:3], exec
; %bb.36:
	s_or_b64 exec, exec, s[8:9]
	v_cndmask_b32_e64 v32, 0, 1, vcc
	v_cndmask_b32_e64 v33, 0, 1, s[10:11]
.LBB849_37:
	s_or_b64 exec, exec, s[4:5]
	v_add_u32_e32 v1, 1, v31
	v_cmp_gt_u32_e32 vcc, s18, v1
	v_mov_b32_e32 v34, 0
	v_mov_b32_e32 v35, 0
	s_and_saveexec_b64 s[4:5], vcc
	s_cbranch_execz .LBB849_41
; %bb.38:
	v_add_u32_e32 v1, s37, v19
	v_add_u32_e32 v2, s39, v19
	v_mul_lo_u32 v1, v1, s36
	v_mul_lo_u32 v2, v2, s38
	v_sub_u32_e32 v1, v1, v2
	v_cmp_lt_u32_e32 vcc, s40, v1
	v_cmp_ge_u32_e64 s[2:3], s40, v1
	s_mov_b64 s[10:11], 0
	s_and_saveexec_b64 s[8:9], s[2:3]
; %bb.39:
	v_add_u32_e32 v1, s42, v19
	v_add_u32_e32 v2, s60, v19
	v_mul_lo_u32 v1, v1, s41
	v_mul_lo_u32 v2, v2, s43
	v_sub_u32_e32 v1, v1, v2
	v_cmp_lt_u32_e64 s[2:3], s61, v1
	s_and_b64 s[10:11], s[2:3], exec
; %bb.40:
	s_or_b64 exec, exec, s[8:9]
	v_cndmask_b32_e64 v34, 0, 1, vcc
	v_cndmask_b32_e64 v35, 0, 1, s[10:11]
.LBB849_41:
	s_or_b64 exec, exec, s[4:5]
	v_add_u32_e32 v1, 2, v31
	v_cmp_gt_u32_e32 vcc, s18, v1
	v_mov_b32_e32 v36, 0
	v_mov_b32_e32 v37, 0
	s_and_saveexec_b64 s[4:5], vcc
	s_cbranch_execz .LBB849_45
; %bb.42:
	v_add_u32_e32 v1, s37, v16
	v_add_u32_e32 v2, s39, v16
	v_mul_lo_u32 v1, v1, s36
	v_mul_lo_u32 v2, v2, s38
	v_sub_u32_e32 v1, v1, v2
	v_cmp_lt_u32_e32 vcc, s40, v1
	v_cmp_ge_u32_e64 s[2:3], s40, v1
	s_mov_b64 s[10:11], 0
	s_and_saveexec_b64 s[8:9], s[2:3]
; %bb.43:
	v_add_u32_e32 v1, s42, v16
	v_add_u32_e32 v2, s60, v16
	v_mul_lo_u32 v1, v1, s41
	v_mul_lo_u32 v2, v2, s43
	v_sub_u32_e32 v1, v1, v2
	v_cmp_lt_u32_e64 s[2:3], s61, v1
	s_and_b64 s[10:11], s[2:3], exec
; %bb.44:
	s_or_b64 exec, exec, s[8:9]
	v_cndmask_b32_e64 v36, 0, 1, vcc
	v_cndmask_b32_e64 v37, 0, 1, s[10:11]
.LBB849_45:
	s_or_b64 exec, exec, s[4:5]
	v_add_u32_e32 v1, 3, v31
	v_cmp_gt_u32_e32 vcc, s18, v1
	v_mov_b32_e32 v38, 0
	v_mov_b32_e32 v39, 0
	s_and_saveexec_b64 s[4:5], vcc
	s_cbranch_execz .LBB849_49
; %bb.46:
	v_add_u32_e32 v1, s37, v17
	v_add_u32_e32 v2, s39, v17
	v_mul_lo_u32 v1, v1, s36
	v_mul_lo_u32 v2, v2, s38
	v_sub_u32_e32 v1, v1, v2
	v_cmp_lt_u32_e32 vcc, s40, v1
	v_cmp_ge_u32_e64 s[2:3], s40, v1
	s_mov_b64 s[10:11], 0
	s_and_saveexec_b64 s[8:9], s[2:3]
; %bb.47:
	v_add_u32_e32 v1, s42, v17
	v_add_u32_e32 v2, s60, v17
	v_mul_lo_u32 v1, v1, s41
	v_mul_lo_u32 v2, v2, s43
	v_sub_u32_e32 v1, v1, v2
	v_cmp_lt_u32_e64 s[2:3], s61, v1
	s_and_b64 s[10:11], s[2:3], exec
; %bb.48:
	s_or_b64 exec, exec, s[8:9]
	v_cndmask_b32_e64 v39, 0, 1, vcc
	v_cndmask_b32_e64 v38, 0, 1, s[10:11]
.LBB849_49:
	s_or_b64 exec, exec, s[4:5]
	v_add_u32_e32 v1, 4, v31
	v_cmp_gt_u32_e32 vcc, s18, v1
	v_mov_b32_e32 v40, 0
	v_mov_b32_e32 v41, 0
	s_and_saveexec_b64 s[4:5], vcc
	s_cbranch_execz .LBB849_53
; %bb.50:
	v_add_u32_e32 v1, s37, v14
	v_add_u32_e32 v2, s39, v14
	v_mul_lo_u32 v1, v1, s36
	v_mul_lo_u32 v2, v2, s38
	v_sub_u32_e32 v1, v1, v2
	v_cmp_lt_u32_e32 vcc, s40, v1
	v_cmp_ge_u32_e64 s[2:3], s40, v1
	s_mov_b64 s[10:11], 0
	s_and_saveexec_b64 s[8:9], s[2:3]
; %bb.51:
	v_add_u32_e32 v1, s42, v14
	v_add_u32_e32 v2, s60, v14
	v_mul_lo_u32 v1, v1, s41
	v_mul_lo_u32 v2, v2, s43
	v_sub_u32_e32 v1, v1, v2
	v_cmp_lt_u32_e64 s[2:3], s61, v1
	s_and_b64 s[10:11], s[2:3], exec
; %bb.52:
	s_or_b64 exec, exec, s[8:9]
	v_cndmask_b32_e64 v41, 0, 1, vcc
	v_cndmask_b32_e64 v40, 0, 1, s[10:11]
.LBB849_53:
	s_or_b64 exec, exec, s[4:5]
	v_add_u32_e32 v1, 5, v31
	v_cmp_gt_u32_e32 vcc, s18, v1
	v_mov_b32_e32 v42, 0
	v_mov_b32_e32 v43, 0
	s_and_saveexec_b64 s[4:5], vcc
	s_cbranch_execz .LBB849_57
; %bb.54:
	v_add_u32_e32 v1, s37, v15
	v_add_u32_e32 v2, s39, v15
	v_mul_lo_u32 v1, v1, s36
	v_mul_lo_u32 v2, v2, s38
	v_sub_u32_e32 v1, v1, v2
	v_cmp_lt_u32_e32 vcc, s40, v1
	v_cmp_ge_u32_e64 s[2:3], s40, v1
	s_mov_b64 s[10:11], 0
	s_and_saveexec_b64 s[8:9], s[2:3]
; %bb.55:
	v_add_u32_e32 v1, s42, v15
	v_add_u32_e32 v2, s60, v15
	v_mul_lo_u32 v1, v1, s41
	v_mul_lo_u32 v2, v2, s43
	v_sub_u32_e32 v1, v1, v2
	v_cmp_lt_u32_e64 s[2:3], s61, v1
	s_and_b64 s[10:11], s[2:3], exec
; %bb.56:
	s_or_b64 exec, exec, s[8:9]
	v_cndmask_b32_e64 v43, 0, 1, vcc
	v_cndmask_b32_e64 v42, 0, 1, s[10:11]
.LBB849_57:
	s_or_b64 exec, exec, s[4:5]
	v_add_u32_e32 v1, 6, v31
	v_cmp_gt_u32_e32 vcc, s18, v1
	v_mov_b32_e32 v44, 0
	v_mov_b32_e32 v45, 0
	s_and_saveexec_b64 s[4:5], vcc
	s_cbranch_execz .LBB849_61
; %bb.58:
	v_add_u32_e32 v1, s37, v12
	v_add_u32_e32 v2, s39, v12
	v_mul_lo_u32 v1, v1, s36
	v_mul_lo_u32 v2, v2, s38
	v_sub_u32_e32 v1, v1, v2
	v_cmp_lt_u32_e32 vcc, s40, v1
	v_cmp_ge_u32_e64 s[2:3], s40, v1
	s_mov_b64 s[10:11], 0
	s_and_saveexec_b64 s[8:9], s[2:3]
; %bb.59:
	v_add_u32_e32 v1, s42, v12
	v_add_u32_e32 v2, s60, v12
	v_mul_lo_u32 v1, v1, s41
	v_mul_lo_u32 v2, v2, s43
	v_sub_u32_e32 v1, v1, v2
	v_cmp_lt_u32_e64 s[2:3], s61, v1
	s_and_b64 s[10:11], s[2:3], exec
; %bb.60:
	s_or_b64 exec, exec, s[8:9]
	v_cndmask_b32_e64 v45, 0, 1, vcc
	v_cndmask_b32_e64 v44, 0, 1, s[10:11]
.LBB849_61:
	s_or_b64 exec, exec, s[4:5]
	v_add_u32_e32 v1, 7, v31
	v_cmp_gt_u32_e32 vcc, s18, v1
	v_mov_b32_e32 v46, 0
	v_mov_b32_e32 v47, 0
	s_and_saveexec_b64 s[4:5], vcc
	s_cbranch_execz .LBB849_65
; %bb.62:
	v_add_u32_e32 v1, s37, v13
	v_add_u32_e32 v2, s39, v13
	v_mul_lo_u32 v1, v1, s36
	v_mul_lo_u32 v2, v2, s38
	v_sub_u32_e32 v1, v1, v2
	v_cmp_lt_u32_e32 vcc, s40, v1
	v_cmp_ge_u32_e64 s[2:3], s40, v1
	s_mov_b64 s[10:11], 0
	s_and_saveexec_b64 s[8:9], s[2:3]
; %bb.63:
	v_add_u32_e32 v1, s42, v13
	v_add_u32_e32 v2, s60, v13
	v_mul_lo_u32 v1, v1, s41
	v_mul_lo_u32 v2, v2, s43
	v_sub_u32_e32 v1, v1, v2
	v_cmp_lt_u32_e64 s[2:3], s61, v1
	s_and_b64 s[10:11], s[2:3], exec
; %bb.64:
	s_or_b64 exec, exec, s[8:9]
	v_cndmask_b32_e64 v47, 0, 1, vcc
	v_cndmask_b32_e64 v46, 0, 1, s[10:11]
.LBB849_65:
	s_or_b64 exec, exec, s[4:5]
	v_add_u32_e32 v1, 8, v31
	v_cmp_gt_u32_e32 vcc, s18, v1
	v_mov_b32_e32 v48, 0
	v_mov_b32_e32 v49, 0
	s_and_saveexec_b64 s[4:5], vcc
	s_cbranch_execz .LBB849_69
; %bb.66:
	v_add_u32_e32 v1, s37, v10
	v_add_u32_e32 v2, s39, v10
	v_mul_lo_u32 v1, v1, s36
	v_mul_lo_u32 v2, v2, s38
	v_sub_u32_e32 v1, v1, v2
	v_cmp_lt_u32_e32 vcc, s40, v1
	v_cmp_ge_u32_e64 s[2:3], s40, v1
	s_mov_b64 s[10:11], 0
	s_and_saveexec_b64 s[8:9], s[2:3]
; %bb.67:
	v_add_u32_e32 v1, s42, v10
	v_add_u32_e32 v2, s60, v10
	v_mul_lo_u32 v1, v1, s41
	v_mul_lo_u32 v2, v2, s43
	v_sub_u32_e32 v1, v1, v2
	v_cmp_lt_u32_e64 s[2:3], s61, v1
	s_and_b64 s[10:11], s[2:3], exec
; %bb.68:
	s_or_b64 exec, exec, s[8:9]
	v_cndmask_b32_e64 v49, 0, 1, vcc
	v_cndmask_b32_e64 v48, 0, 1, s[10:11]
.LBB849_69:
	s_or_b64 exec, exec, s[4:5]
	v_add_u32_e32 v1, 9, v31
	v_cmp_gt_u32_e32 vcc, s18, v1
	v_mov_b32_e32 v50, 0
	v_mov_b32_e32 v51, 0
	s_and_saveexec_b64 s[4:5], vcc
	s_cbranch_execz .LBB849_73
; %bb.70:
	v_add_u32_e32 v1, s37, v11
	v_add_u32_e32 v2, s39, v11
	v_mul_lo_u32 v1, v1, s36
	v_mul_lo_u32 v2, v2, s38
	v_sub_u32_e32 v1, v1, v2
	v_cmp_lt_u32_e32 vcc, s40, v1
	v_cmp_ge_u32_e64 s[2:3], s40, v1
	s_mov_b64 s[10:11], 0
	s_and_saveexec_b64 s[8:9], s[2:3]
; %bb.71:
	v_add_u32_e32 v1, s42, v11
	v_add_u32_e32 v2, s60, v11
	v_mul_lo_u32 v1, v1, s41
	v_mul_lo_u32 v2, v2, s43
	v_sub_u32_e32 v1, v1, v2
	v_cmp_lt_u32_e64 s[2:3], s61, v1
	s_and_b64 s[10:11], s[2:3], exec
; %bb.72:
	s_or_b64 exec, exec, s[8:9]
	v_cndmask_b32_e64 v51, 0, 1, vcc
	v_cndmask_b32_e64 v50, 0, 1, s[10:11]
.LBB849_73:
	s_or_b64 exec, exec, s[4:5]
	v_add_u32_e32 v1, 10, v31
	v_cmp_gt_u32_e32 vcc, s18, v1
	v_mov_b32_e32 v52, 0
	v_mov_b32_e32 v53, 0
	s_and_saveexec_b64 s[4:5], vcc
	s_cbranch_execz .LBB849_77
; %bb.74:
	v_add_u32_e32 v1, s37, v8
	v_add_u32_e32 v2, s39, v8
	v_mul_lo_u32 v1, v1, s36
	v_mul_lo_u32 v2, v2, s38
	v_sub_u32_e32 v1, v1, v2
	v_cmp_lt_u32_e32 vcc, s40, v1
	v_cmp_ge_u32_e64 s[2:3], s40, v1
	s_mov_b64 s[10:11], 0
	s_and_saveexec_b64 s[8:9], s[2:3]
; %bb.75:
	v_add_u32_e32 v1, s42, v8
	v_add_u32_e32 v2, s60, v8
	v_mul_lo_u32 v1, v1, s41
	v_mul_lo_u32 v2, v2, s43
	v_sub_u32_e32 v1, v1, v2
	v_cmp_lt_u32_e64 s[2:3], s61, v1
	s_and_b64 s[10:11], s[2:3], exec
; %bb.76:
	s_or_b64 exec, exec, s[8:9]
	v_cndmask_b32_e64 v53, 0, 1, vcc
	v_cndmask_b32_e64 v52, 0, 1, s[10:11]
.LBB849_77:
	s_or_b64 exec, exec, s[4:5]
	v_add_u32_e32 v1, 11, v31
	v_cmp_gt_u32_e32 vcc, s18, v1
	v_mov_b32_e32 v54, 0
	v_mov_b32_e32 v55, 0
	s_and_saveexec_b64 s[4:5], vcc
	s_cbranch_execz .LBB849_81
; %bb.78:
	v_add_u32_e32 v1, s37, v9
	v_add_u32_e32 v2, s39, v9
	v_mul_lo_u32 v1, v1, s36
	v_mul_lo_u32 v2, v2, s38
	v_sub_u32_e32 v1, v1, v2
	v_cmp_lt_u32_e32 vcc, s40, v1
	v_cmp_ge_u32_e64 s[2:3], s40, v1
	s_mov_b64 s[10:11], 0
	s_and_saveexec_b64 s[8:9], s[2:3]
; %bb.79:
	v_add_u32_e32 v1, s42, v9
	v_add_u32_e32 v2, s60, v9
	v_mul_lo_u32 v1, v1, s41
	v_mul_lo_u32 v2, v2, s43
	v_sub_u32_e32 v1, v1, v2
	v_cmp_lt_u32_e64 s[2:3], s61, v1
	s_and_b64 s[10:11], s[2:3], exec
; %bb.80:
	s_or_b64 exec, exec, s[8:9]
	v_cndmask_b32_e64 v55, 0, 1, vcc
	v_cndmask_b32_e64 v54, 0, 1, s[10:11]
.LBB849_81:
	s_or_b64 exec, exec, s[4:5]
	v_add_u32_e32 v1, 12, v31
	v_cmp_gt_u32_e32 vcc, s18, v1
	s_mov_b64 s[46:47], 0
	s_mov_b64 s[58:59], 0
	s_and_saveexec_b64 s[2:3], vcc
	s_cbranch_execz .LBB849_85
; %bb.82:
	v_add_u32_e32 v1, s37, v30
	v_add_u32_e32 v2, s39, v30
	v_mul_lo_u32 v1, v1, s36
	v_mul_lo_u32 v2, v2, s38
	v_sub_u32_e32 v1, v1, v2
	v_cmp_ge_u32_e32 vcc, s40, v1
	s_mov_b64 s[8:9], -1
	s_mov_b64 s[10:11], 0
	s_and_saveexec_b64 s[4:5], vcc
; %bb.83:
	v_add_u32_e32 v1, s42, v30
	v_add_u32_e32 v2, s60, v30
	v_mul_lo_u32 v1, v1, s41
	v_mul_lo_u32 v2, v2, s43
	v_sub_u32_e32 v1, v1, v2
	v_cmp_lt_u32_e32 vcc, s61, v1
	s_and_b64 s[10:11], vcc, exec
	s_xor_b64 s[8:9], exec, -1
; %bb.84:
	s_or_b64 exec, exec, s[4:5]
	s_and_b64 s[58:59], s[10:11], exec
	s_and_b64 s[46:47], s[8:9], exec
.LBB849_85:
	s_or_b64 exec, exec, s[2:3]
.LBB849_86:
	v_and_b32_e32 v63, 0xff, v33
	v_and_b32_e32 v74, 0xff, v35
	;; [unrolled: 1-line block ×5, first 2 shown]
	v_add3_u32 v2, v74, v65, v63
	v_and_b32_e32 v76, 0xff, v42
	v_and_b32_e32 v69, 0xff, v44
	v_add3_u32 v2, v2, v75, v67
	v_and_b32_e32 v62, 0xff, v32
	v_and_b32_e32 v56, 0xff, v34
	;; [unrolled: 1-line block ×5, first 2 shown]
	v_add3_u32 v2, v2, v76, v69
	v_and_b32_e32 v57, 0xff, v39
	v_and_b32_e32 v66, 0xff, v41
	;; [unrolled: 1-line block ×4, first 2 shown]
	v_add3_u32 v3, v56, v64, v62
	v_add3_u32 v2, v2, v77, v71
	v_and_b32_e32 v58, 0xff, v43
	v_and_b32_e32 v68, 0xff, v45
	;; [unrolled: 1-line block ×3, first 2 shown]
	v_cndmask_b32_e64 v1, 0, 1, s[58:59]
	v_add3_u32 v3, v3, v57, v66
	v_add3_u32 v2, v2, v78, v73
	v_and_b32_e32 v59, 0xff, v47
	v_and_b32_e32 v70, 0xff, v49
	v_add3_u32 v3, v3, v58, v68
	v_add3_u32 v86, v2, v79, v1
	v_mbcnt_lo_u32_b32 v1, -1, 0
	v_and_b32_e32 v60, 0xff, v51
	v_and_b32_e32 v72, 0xff, v53
	v_add3_u32 v3, v3, v59, v70
	v_mbcnt_hi_u32_b32 v80, -1, v1
	v_and_b32_e32 v61, 0xff, v55
	v_add3_u32 v3, v3, v60, v72
	v_cndmask_b32_e64 v4, 0, 1, s[46:47]
	v_and_b32_e32 v84, 15, v80
	s_cmp_lg_u32 s6, 0
	v_add3_u32 v85, v3, v61, v4
	v_cmp_eq_u32_e64 s[4:5], 0, v84
	v_cmp_lt_u32_e64 s[2:3], 1, v84
	v_cmp_lt_u32_e64 s[8:9], 3, v84
	;; [unrolled: 1-line block ×3, first 2 shown]
	v_and_b32_e32 v83, 16, v80
	v_cmp_lt_u32_e32 vcc, 31, v80
	v_lshrrev_b32_e32 v81, 6, v0
	v_or_b32_e32 v82, 63, v0
	s_cbranch_scc0 .LBB849_115
; %bb.87:
	v_mov_b32_dpp v1, v85 row_shr:1 row_mask:0xf bank_mask:0xf
	v_mov_b32_dpp v2, v86 row_shr:1 row_mask:0xf bank_mask:0xf
	v_add_u32_e32 v1, v1, v85
	v_add_u32_e32 v2, v2, v86
	v_cndmask_b32_e64 v2, v2, v86, s[4:5]
	v_cndmask_b32_e64 v1, v1, v85, s[4:5]
	s_nop 0
	v_mov_b32_dpp v4, v2 row_shr:2 row_mask:0xf bank_mask:0xf
	v_mov_b32_dpp v3, v1 row_shr:2 row_mask:0xf bank_mask:0xf
	v_add_u32_e32 v3, v1, v3
	v_add_u32_e32 v4, v2, v4
	v_cndmask_b32_e64 v2, v2, v4, s[2:3]
	v_cndmask_b32_e64 v1, v1, v3, s[2:3]
	s_nop 0
	v_mov_b32_dpp v4, v2 row_shr:4 row_mask:0xf bank_mask:0xf
	v_mov_b32_dpp v3, v1 row_shr:4 row_mask:0xf bank_mask:0xf
	v_add_u32_e32 v3, v1, v3
	v_add_u32_e32 v4, v2, v4
	v_cndmask_b32_e64 v2, v2, v4, s[8:9]
	v_cndmask_b32_e64 v1, v1, v3, s[8:9]
	v_cmp_eq_u32_e64 s[8:9], 0, v83
	v_mov_b32_dpp v4, v2 row_shr:8 row_mask:0xf bank_mask:0xf
	v_mov_b32_dpp v3, v1 row_shr:8 row_mask:0xf bank_mask:0xf
	v_add_u32_e32 v3, v1, v3
	v_add_u32_e32 v4, v2, v4
	v_cndmask_b32_e64 v2, v2, v4, s[10:11]
	v_cndmask_b32_e64 v1, v1, v3, s[10:11]
	s_nop 0
	v_mov_b32_dpp v4, v2 row_bcast:15 row_mask:0xf bank_mask:0xf
	v_mov_b32_dpp v3, v1 row_bcast:15 row_mask:0xf bank_mask:0xf
	v_add_u32_e32 v3, v1, v3
	v_add_u32_e32 v4, v2, v4
	v_cndmask_b32_e64 v2, v4, v2, s[8:9]
	v_cndmask_b32_e64 v1, v3, v1, s[8:9]
	s_nop 0
	v_mov_b32_dpp v4, v2 row_bcast:31 row_mask:0xf bank_mask:0xf
	v_mov_b32_dpp v3, v1 row_bcast:31 row_mask:0xf bank_mask:0xf
	v_add_u32_e32 v4, v2, v4
	v_add_u32_e32 v5, v1, v3
	v_cndmask_b32_e32 v3, v2, v4, vcc
	v_cndmask_b32_e32 v2, v1, v5, vcc
	v_cmp_eq_u32_e32 vcc, v82, v0
	s_and_saveexec_b64 s[8:9], vcc
	s_cbranch_execz .LBB849_89
; %bb.88:
	v_lshlrev_b32_e32 v1, 3, v81
	ds_write_b64 v1, v[2:3]
.LBB849_89:
	s_or_b64 exec, exec, s[8:9]
	v_cmp_gt_u32_e32 vcc, 4, v0
	s_waitcnt lgkmcnt(0)
	s_barrier
	s_and_saveexec_b64 s[8:9], vcc
	s_cbranch_execz .LBB849_91
; %bb.90:
	v_lshlrev_b32_e32 v1, 3, v0
	ds_read_b64 v[4:5], v1
	v_and_b32_e32 v6, 3, v80
	v_cmp_eq_u32_e32 vcc, 0, v6
	s_waitcnt lgkmcnt(0)
	v_mov_b32_dpp v7, v4 row_shr:1 row_mask:0xf bank_mask:0xf
	v_mov_b32_dpp v20, v5 row_shr:1 row_mask:0xf bank_mask:0xf
	v_add_u32_e32 v7, v7, v4
	v_add_u32_e32 v20, v20, v5
	v_cndmask_b32_e32 v5, v20, v5, vcc
	v_cndmask_b32_e32 v4, v7, v4, vcc
	v_cmp_lt_u32_e32 vcc, 1, v6
	v_mov_b32_dpp v20, v5 row_shr:2 row_mask:0xf bank_mask:0xf
	v_mov_b32_dpp v7, v4 row_shr:2 row_mask:0xf bank_mask:0xf
	v_cndmask_b32_e32 v6, 0, v7, vcc
	v_cndmask_b32_e32 v7, 0, v20, vcc
	v_add_u32_e32 v5, v7, v5
	v_add_u32_e32 v4, v6, v4
	ds_write_b64 v1, v[4:5]
.LBB849_91:
	s_or_b64 exec, exec, s[8:9]
	v_cmp_gt_u32_e32 vcc, 64, v0
	v_cmp_lt_u32_e64 s[8:9], 63, v0
	s_waitcnt lgkmcnt(0)
	s_barrier
	s_waitcnt lgkmcnt(0)
                                        ; implicit-def: $vgpr21
	s_and_saveexec_b64 s[10:11], s[8:9]
	s_xor_b64 s[8:9], exec, s[10:11]
	s_cbranch_execz .LBB849_93
; %bb.92:
	v_lshl_add_u32 v1, v81, 3, -8
	ds_read_b64 v[20:21], v1
	s_waitcnt lgkmcnt(0)
	v_add_u32_e32 v3, v21, v3
	v_add_u32_e32 v2, v20, v2
.LBB849_93:
	s_andn2_saveexec_b64 s[8:9], s[8:9]
; %bb.94:
                                        ; implicit-def: $vgpr20
; %bb.95:
	s_or_b64 exec, exec, s[8:9]
	v_add_u32_e32 v1, -1, v80
	v_and_b32_e32 v4, 64, v80
	v_cmp_lt_i32_e64 s[8:9], v1, v4
	v_cndmask_b32_e64 v1, v1, v80, s[8:9]
	v_lshlrev_b32_e32 v4, 2, v1
	ds_bpermute_b32 v1, v4, v2
	ds_bpermute_b32 v87, v4, v3
	v_cmp_eq_u32_e64 s[8:9], 0, v80
	s_and_saveexec_b64 s[10:11], vcc
	s_cbranch_execz .LBB849_114
; %bb.96:
	v_mov_b32_e32 v7, 0
	ds_read_b64 v[22:23], v7 offset:24
	s_and_saveexec_b64 s[14:15], s[8:9]
	s_cbranch_execz .LBB849_98
; %bb.97:
	s_add_i32 s16, s6, 64
	s_mov_b32 s17, 0
	s_lshl_b64 s[16:17], s[16:17], 4
	s_waitcnt lgkmcnt(0)
	v_and_b32_e32 v2, 0xff000000, v23
	v_and_b32_e32 v3, 0xff0000, v23
	s_add_u32 s16, s12, s16
	v_or_b32_e32 v2, v3, v2
	v_and_b32_e32 v3, 0xff00, v23
	s_addc_u32 s17, s13, s17
	v_or_b32_e32 v2, v2, v3
	v_or_b32_sdwa v5, v2, v23 dst_sel:DWORD dst_unused:UNUSED_PAD src0_sel:DWORD src1_sel:BYTE_0
	v_mov_b32_e32 v6, 1
	v_mov_b32_e32 v4, v22
	v_pk_mov_b32 v[2:3], s[16:17], s[16:17] op_sel:[0,1]
	;;#ASMSTART
	global_store_dwordx4 v[2:3], v[4:7] off	
s_waitcnt vmcnt(0)
	;;#ASMEND
.LBB849_98:
	s_or_b64 exec, exec, s[14:15]
	v_xad_u32 v24, v80, -1, s6
	v_add_u32_e32 v6, 64, v24
	v_lshlrev_b64 v[2:3], 4, v[6:7]
	v_mov_b32_e32 v4, s13
	v_add_co_u32_e32 v26, vcc, s12, v2
	v_addc_co_u32_e32 v27, vcc, v4, v3, vcc
	;;#ASMSTART
	global_load_dwordx4 v[2:5], v[26:27] off glc	
s_waitcnt vmcnt(0)
	;;#ASMEND
	v_and_b32_e32 v5, 0xff, v3
	v_and_b32_e32 v6, 0xff00, v3
	v_or3_b32 v5, 0, v5, v6
	v_or3_b32 v2, v2, 0, 0
	v_and_b32_e32 v6, 0xff000000, v3
	v_and_b32_e32 v3, 0xff0000, v3
	v_or3_b32 v3, v5, v3, v6
	v_or3_b32 v2, v2, 0, 0
	v_cmp_eq_u16_sdwa s[16:17], v4, v7 src0_sel:BYTE_0 src1_sel:DWORD
	s_and_saveexec_b64 s[14:15], s[16:17]
	s_cbranch_execz .LBB849_102
; %bb.99:
	s_mov_b64 s[16:17], 0
	v_mov_b32_e32 v6, 0
.LBB849_100:                            ; =>This Inner Loop Header: Depth=1
	;;#ASMSTART
	global_load_dwordx4 v[2:5], v[26:27] off glc	
s_waitcnt vmcnt(0)
	;;#ASMEND
	v_cmp_ne_u16_sdwa s[20:21], v4, v6 src0_sel:BYTE_0 src1_sel:DWORD
	s_or_b64 s[16:17], s[20:21], s[16:17]
	s_andn2_b64 exec, exec, s[16:17]
	s_cbranch_execnz .LBB849_100
; %bb.101:
	s_or_b64 exec, exec, s[16:17]
.LBB849_102:
	s_or_b64 exec, exec, s[14:15]
	v_and_b32_e32 v89, 63, v80
	v_cmp_ne_u32_e32 vcc, 63, v89
	v_mov_b32_e32 v88, 2
	v_addc_co_u32_e32 v26, vcc, 0, v80, vcc
	v_cmp_eq_u16_sdwa s[14:15], v4, v88 src0_sel:BYTE_0 src1_sel:DWORD
	v_lshlrev_b64 v[6:7], v80, -1
	v_lshlrev_b32_e32 v90, 2, v26
	v_and_b32_e32 v5, s15, v7
	ds_bpermute_b32 v26, v90, v2
	ds_bpermute_b32 v27, v90, v3
	v_or_b32_e32 v5, 0x80000000, v5
	v_and_b32_e32 v25, s14, v6
	v_ffbl_b32_e32 v5, v5
	v_add_u32_e32 v5, 32, v5
	v_ffbl_b32_e32 v25, v25
	v_min_u32_e32 v5, v25, v5
	s_waitcnt lgkmcnt(1)
	v_add_u32_e32 v25, v26, v2
	s_waitcnt lgkmcnt(0)
	v_add_u32_e32 v26, v27, v3
	v_cmp_lt_u32_e32 vcc, v89, v5
	v_cndmask_b32_e32 v3, v3, v26, vcc
	v_cndmask_b32_e32 v2, v2, v25, vcc
	v_cmp_gt_u32_e32 vcc, 62, v89
	v_cndmask_b32_e64 v25, 0, 1, vcc
	v_lshlrev_b32_e32 v25, 1, v25
	v_add_lshl_u32 v91, v25, v80, 2
	ds_bpermute_b32 v25, v91, v2
	ds_bpermute_b32 v26, v91, v3
	v_add_u32_e32 v92, 2, v89
	v_cmp_gt_u32_e32 vcc, v92, v5
	v_add_u32_e32 v94, 4, v89
	s_waitcnt lgkmcnt(1)
	v_add_u32_e32 v25, v2, v25
	s_waitcnt lgkmcnt(0)
	v_add_u32_e32 v26, v3, v26
	v_cndmask_b32_e32 v3, v26, v3, vcc
	v_cndmask_b32_e32 v2, v25, v2, vcc
	v_cmp_gt_u32_e32 vcc, 60, v89
	v_cndmask_b32_e64 v25, 0, 1, vcc
	v_lshlrev_b32_e32 v25, 2, v25
	v_add_lshl_u32 v93, v25, v80, 2
	ds_bpermute_b32 v25, v93, v2
	ds_bpermute_b32 v26, v93, v3
	v_cmp_gt_u32_e32 vcc, v94, v5
	v_add_u32_e32 v96, 8, v89
	v_add_u32_e32 v98, 16, v89
	s_waitcnt lgkmcnt(1)
	v_add_u32_e32 v25, v2, v25
	s_waitcnt lgkmcnt(0)
	v_add_u32_e32 v26, v3, v26
	v_cndmask_b32_e32 v3, v26, v3, vcc
	v_cndmask_b32_e32 v2, v25, v2, vcc
	v_cmp_gt_u32_e32 vcc, 56, v89
	v_cndmask_b32_e64 v25, 0, 1, vcc
	v_lshlrev_b32_e32 v25, 3, v25
	v_add_lshl_u32 v95, v25, v80, 2
	ds_bpermute_b32 v25, v95, v2
	ds_bpermute_b32 v26, v95, v3
	v_cmp_gt_u32_e32 vcc, v96, v5
	v_add_u32_e32 v100, 32, v89
	s_waitcnt lgkmcnt(1)
	v_add_u32_e32 v25, v2, v25
	s_waitcnt lgkmcnt(0)
	v_add_u32_e32 v26, v3, v26
	v_cndmask_b32_e32 v3, v26, v3, vcc
	v_cndmask_b32_e32 v2, v25, v2, vcc
	v_cmp_gt_u32_e32 vcc, 48, v89
	v_cndmask_b32_e64 v25, 0, 1, vcc
	v_lshlrev_b32_e32 v25, 4, v25
	v_add_lshl_u32 v97, v25, v80, 2
	ds_bpermute_b32 v25, v97, v2
	ds_bpermute_b32 v26, v97, v3
	v_cmp_gt_u32_e32 vcc, v98, v5
	s_waitcnt lgkmcnt(1)
	v_add_u32_e32 v25, v2, v25
	s_waitcnt lgkmcnt(0)
	v_add_u32_e32 v26, v3, v26
	v_cndmask_b32_e32 v3, v26, v3, vcc
	v_cndmask_b32_e32 v2, v25, v2, vcc
	v_cmp_gt_u32_e32 vcc, 32, v89
	v_cndmask_b32_e64 v25, 0, 1, vcc
	v_lshlrev_b32_e32 v25, 5, v25
	v_add_lshl_u32 v99, v25, v80, 2
	ds_bpermute_b32 v25, v99, v2
	ds_bpermute_b32 v26, v99, v3
	v_cmp_le_u32_e32 vcc, v100, v5
	s_waitcnt lgkmcnt(1)
	v_cndmask_b32_e32 v5, 0, v25, vcc
	s_waitcnt lgkmcnt(0)
	v_cndmask_b32_e32 v25, 0, v26, vcc
	v_add_u32_e32 v3, v3, v25
	v_add_u32_e32 v2, v2, v5
	v_mov_b32_e32 v25, 0
	s_branch .LBB849_104
.LBB849_103:                            ;   in Loop: Header=BB849_104 Depth=1
	s_or_b64 exec, exec, s[14:15]
	v_cmp_eq_u16_sdwa s[14:15], v4, v88 src0_sel:BYTE_0 src1_sel:DWORD
	v_and_b32_e32 v5, s15, v7
	ds_bpermute_b32 v29, v90, v2
	ds_bpermute_b32 v101, v90, v3
	v_or_b32_e32 v5, 0x80000000, v5
	v_and_b32_e32 v28, s14, v6
	v_ffbl_b32_e32 v5, v5
	v_add_u32_e32 v5, 32, v5
	v_ffbl_b32_e32 v28, v28
	v_min_u32_e32 v5, v28, v5
	s_waitcnt lgkmcnt(1)
	v_add_u32_e32 v28, v29, v2
	s_waitcnt lgkmcnt(0)
	v_add_u32_e32 v29, v101, v3
	v_cmp_lt_u32_e32 vcc, v89, v5
	v_cndmask_b32_e32 v3, v3, v29, vcc
	v_cndmask_b32_e32 v2, v2, v28, vcc
	ds_bpermute_b32 v28, v91, v2
	ds_bpermute_b32 v29, v91, v3
	v_cmp_gt_u32_e32 vcc, v92, v5
	v_subrev_u32_e32 v24, 64, v24
	s_waitcnt lgkmcnt(1)
	v_add_u32_e32 v28, v2, v28
	s_waitcnt lgkmcnt(0)
	v_add_u32_e32 v29, v3, v29
	v_cndmask_b32_e32 v3, v29, v3, vcc
	v_cndmask_b32_e32 v2, v28, v2, vcc
	ds_bpermute_b32 v28, v93, v2
	ds_bpermute_b32 v29, v93, v3
	v_cmp_gt_u32_e32 vcc, v94, v5
	s_waitcnt lgkmcnt(1)
	v_add_u32_e32 v28, v2, v28
	s_waitcnt lgkmcnt(0)
	v_add_u32_e32 v29, v3, v29
	v_cndmask_b32_e32 v3, v29, v3, vcc
	v_cndmask_b32_e32 v2, v28, v2, vcc
	ds_bpermute_b32 v28, v95, v2
	ds_bpermute_b32 v29, v95, v3
	v_cmp_gt_u32_e32 vcc, v96, v5
	;; [unrolled: 9-line block ×3, first 2 shown]
	s_waitcnt lgkmcnt(1)
	v_add_u32_e32 v28, v2, v28
	s_waitcnt lgkmcnt(0)
	v_add_u32_e32 v29, v3, v29
	v_cndmask_b32_e32 v3, v29, v3, vcc
	v_cndmask_b32_e32 v2, v28, v2, vcc
	ds_bpermute_b32 v28, v99, v2
	ds_bpermute_b32 v29, v99, v3
	v_cmp_le_u32_e32 vcc, v100, v5
	s_waitcnt lgkmcnt(1)
	v_cndmask_b32_e32 v5, 0, v28, vcc
	s_waitcnt lgkmcnt(0)
	v_cndmask_b32_e32 v28, 0, v29, vcc
	v_add3_u32 v3, v28, v27, v3
	v_add3_u32 v2, v5, v26, v2
.LBB849_104:                            ; =>This Loop Header: Depth=1
                                        ;     Child Loop BB849_107 Depth 2
	v_cmp_ne_u16_sdwa s[14:15], v4, v88 src0_sel:BYTE_0 src1_sel:DWORD
	v_cndmask_b32_e64 v4, 0, 1, s[14:15]
	;;#ASMSTART
	;;#ASMEND
	v_cmp_ne_u32_e32 vcc, 0, v4
	s_cmp_lg_u64 vcc, exec
	v_pk_mov_b32 v[26:27], v[2:3], v[2:3] op_sel:[0,1]
	s_cbranch_scc1 .LBB849_109
; %bb.105:                              ;   in Loop: Header=BB849_104 Depth=1
	v_lshlrev_b64 v[2:3], 4, v[24:25]
	v_mov_b32_e32 v4, s13
	v_add_co_u32_e32 v28, vcc, s12, v2
	v_addc_co_u32_e32 v29, vcc, v4, v3, vcc
	;;#ASMSTART
	global_load_dwordx4 v[2:5], v[28:29] off glc	
s_waitcnt vmcnt(0)
	;;#ASMEND
	v_and_b32_e32 v5, 0xff, v3
	v_and_b32_e32 v101, 0xff00, v3
	v_or3_b32 v5, 0, v5, v101
	v_or3_b32 v2, v2, 0, 0
	v_and_b32_e32 v101, 0xff000000, v3
	v_and_b32_e32 v3, 0xff0000, v3
	v_or3_b32 v3, v5, v3, v101
	v_or3_b32 v2, v2, 0, 0
	v_cmp_eq_u16_sdwa s[16:17], v4, v25 src0_sel:BYTE_0 src1_sel:DWORD
	s_and_saveexec_b64 s[14:15], s[16:17]
	s_cbranch_execz .LBB849_103
; %bb.106:                              ;   in Loop: Header=BB849_104 Depth=1
	s_mov_b64 s[16:17], 0
.LBB849_107:                            ;   Parent Loop BB849_104 Depth=1
                                        ; =>  This Inner Loop Header: Depth=2
	;;#ASMSTART
	global_load_dwordx4 v[2:5], v[28:29] off glc	
s_waitcnt vmcnt(0)
	;;#ASMEND
	v_cmp_ne_u16_sdwa s[20:21], v4, v25 src0_sel:BYTE_0 src1_sel:DWORD
	s_or_b64 s[16:17], s[20:21], s[16:17]
	s_andn2_b64 exec, exec, s[16:17]
	s_cbranch_execnz .LBB849_107
; %bb.108:                              ;   in Loop: Header=BB849_104 Depth=1
	s_or_b64 exec, exec, s[16:17]
	s_branch .LBB849_103
.LBB849_109:                            ;   in Loop: Header=BB849_104 Depth=1
                                        ; implicit-def: $vgpr4
                                        ; implicit-def: $vgpr2_vgpr3
	s_cbranch_execz .LBB849_104
; %bb.110:
	s_and_saveexec_b64 s[14:15], s[8:9]
	s_cbranch_execz .LBB849_112
; %bb.111:
	s_add_i32 s6, s6, 64
	s_mov_b32 s7, 0
	v_add_u32_e32 v3, v27, v23
	s_lshl_b64 s[6:7], s[6:7], 4
	s_add_u32 s6, s12, s6
	v_and_b32_e32 v4, 0xff000000, v3
	v_and_b32_e32 v6, 0xff0000, v3
	s_addc_u32 s7, s13, s7
	v_or_b32_e32 v4, v6, v4
	v_and_b32_e32 v6, 0xff00, v3
	v_and_b32_e32 v3, 0xff, v3
	v_add_u32_e32 v2, v26, v22
	v_mov_b32_e32 v5, 0
	v_or3_b32 v3, v4, v6, v3
	v_mov_b32_e32 v4, 2
	v_pk_mov_b32 v[6:7], s[6:7], s[6:7] op_sel:[0,1]
	;;#ASMSTART
	global_store_dwordx4 v[6:7], v[2:5] off	
s_waitcnt vmcnt(0)
	;;#ASMEND
	s_movk_i32 s6, 0x3400
	v_add_u32_e64 v2, s6, 0
	ds_write2_b32 v2, v22, v23 offset1:2
	ds_write2_b32 v2, v26, v27 offset0:4 offset1:6
.LBB849_112:
	s_or_b64 exec, exec, s[14:15]
	v_cmp_eq_u32_e32 vcc, 0, v0
	s_and_b64 exec, exec, vcc
	s_cbranch_execz .LBB849_114
; %bb.113:
	v_mov_b32_e32 v2, 0
	ds_write_b64 v2, v[26:27] offset:24
.LBB849_114:
	s_or_b64 exec, exec, s[10:11]
	v_mov_b32_e32 v2, 0
	s_waitcnt lgkmcnt(0)
	s_barrier
	ds_read_b64 v[6:7], v2 offset:24
	s_movk_i32 s6, 0x3400
	v_cndmask_b32_e64 v2, v87, v21, s[8:9]
	v_cndmask_b32_e64 v1, v1, v20, s[8:9]
	v_add_u32_e64 v4, s6, 0
	s_waitcnt lgkmcnt(0)
	v_add_u32_e32 v20, v6, v1
	v_add_u32_e32 v1, v7, v2
	s_barrier
	ds_read2_b32 v[2:3], v4 offset1:2
	ds_read2_b32 v[4:5], v4 offset0:4 offset1:6
	v_cmp_eq_u32_e32 vcc, 0, v0
	v_cndmask_b32_e32 v1, v1, v7, vcc
	v_cndmask_b32_e32 v20, v20, v6, vcc
	s_branch .LBB849_125
.LBB849_115:
                                        ; implicit-def: $vgpr1
                                        ; implicit-def: $vgpr4
                                        ; implicit-def: $vgpr2
                                        ; implicit-def: $vgpr20_vgpr21
	s_cbranch_execz .LBB849_125
; %bb.116:
	s_nop 0
	v_mov_b32_dpp v1, v85 row_shr:1 row_mask:0xf bank_mask:0xf
	s_waitcnt lgkmcnt(0)
	v_mov_b32_dpp v2, v86 row_shr:1 row_mask:0xf bank_mask:0xf
	v_add_u32_e32 v1, v1, v85
	v_add_u32_e32 v2, v2, v86
	v_cndmask_b32_e64 v2, v2, v86, s[4:5]
	v_cndmask_b32_e64 v1, v1, v85, s[4:5]
	v_cmp_lt_u32_e32 vcc, 3, v84
	v_mov_b32_dpp v4, v2 row_shr:2 row_mask:0xf bank_mask:0xf
	v_mov_b32_dpp v3, v1 row_shr:2 row_mask:0xf bank_mask:0xf
	v_add_u32_e32 v3, v1, v3
	v_add_u32_e32 v4, v2, v4
	v_cndmask_b32_e64 v2, v2, v4, s[2:3]
	v_cndmask_b32_e64 v1, v1, v3, s[2:3]
	s_nop 0
	v_mov_b32_dpp v4, v2 row_shr:4 row_mask:0xf bank_mask:0xf
	v_mov_b32_dpp v3, v1 row_shr:4 row_mask:0xf bank_mask:0xf
	v_add_u32_e32 v3, v1, v3
	v_add_u32_e32 v4, v2, v4
	v_cndmask_b32_e32 v2, v2, v4, vcc
	v_cndmask_b32_e32 v1, v1, v3, vcc
	v_cmp_lt_u32_e32 vcc, 7, v84
	v_mov_b32_dpp v4, v2 row_shr:8 row_mask:0xf bank_mask:0xf
	v_mov_b32_dpp v3, v1 row_shr:8 row_mask:0xf bank_mask:0xf
	v_add_u32_e32 v3, v1, v3
	v_add_u32_e32 v4, v2, v4
	v_cndmask_b32_e32 v2, v2, v4, vcc
	v_cndmask_b32_e32 v1, v1, v3, vcc
	v_cmp_eq_u32_e32 vcc, 0, v83
	v_mov_b32_dpp v4, v2 row_bcast:15 row_mask:0xf bank_mask:0xf
	v_mov_b32_dpp v3, v1 row_bcast:15 row_mask:0xf bank_mask:0xf
	v_add_u32_e32 v3, v1, v3
	v_add_u32_e32 v4, v2, v4
	v_cndmask_b32_e32 v2, v4, v2, vcc
	v_cndmask_b32_e32 v1, v3, v1, vcc
	v_cmp_lt_u32_e32 vcc, 31, v80
	v_mov_b32_dpp v4, v2 row_bcast:31 row_mask:0xf bank_mask:0xf
	v_mov_b32_dpp v3, v1 row_bcast:31 row_mask:0xf bank_mask:0xf
	v_add_u32_e32 v4, v2, v4
	v_add_u32_e32 v5, v1, v3
	v_cndmask_b32_e32 v3, v2, v4, vcc
	v_cndmask_b32_e32 v2, v1, v5, vcc
	v_cmp_eq_u32_e32 vcc, v82, v0
	s_and_saveexec_b64 s[2:3], vcc
	s_cbranch_execz .LBB849_118
; %bb.117:
	v_lshlrev_b32_e32 v1, 3, v81
	ds_write_b64 v1, v[2:3]
.LBB849_118:
	s_or_b64 exec, exec, s[2:3]
	v_cmp_gt_u32_e32 vcc, 4, v0
	s_waitcnt lgkmcnt(0)
	s_barrier
	s_and_saveexec_b64 s[2:3], vcc
	s_cbranch_execz .LBB849_120
; %bb.119:
	v_lshlrev_b32_e32 v1, 3, v0
	ds_read_b64 v[4:5], v1
	v_and_b32_e32 v6, 3, v80
	v_cmp_eq_u32_e32 vcc, 0, v6
	s_waitcnt lgkmcnt(0)
	v_mov_b32_dpp v7, v4 row_shr:1 row_mask:0xf bank_mask:0xf
	v_mov_b32_dpp v20, v5 row_shr:1 row_mask:0xf bank_mask:0xf
	v_add_u32_e32 v7, v7, v4
	v_add_u32_e32 v20, v20, v5
	v_cndmask_b32_e32 v5, v20, v5, vcc
	v_cndmask_b32_e32 v4, v7, v4, vcc
	v_cmp_lt_u32_e32 vcc, 1, v6
	v_mov_b32_dpp v20, v5 row_shr:2 row_mask:0xf bank_mask:0xf
	v_mov_b32_dpp v7, v4 row_shr:2 row_mask:0xf bank_mask:0xf
	v_cndmask_b32_e32 v6, 0, v7, vcc
	v_cndmask_b32_e32 v7, 0, v20, vcc
	v_add_u32_e32 v5, v7, v5
	v_add_u32_e32 v4, v6, v4
	ds_write_b64 v1, v[4:5]
.LBB849_120:
	s_or_b64 exec, exec, s[2:3]
	v_cmp_lt_u32_e32 vcc, 63, v0
	v_mov_b32_e32 v4, 0
	v_mov_b32_e32 v6, 0
	;; [unrolled: 1-line block ×3, first 2 shown]
	s_waitcnt lgkmcnt(0)
	s_barrier
	s_and_saveexec_b64 s[2:3], vcc
	s_cbranch_execz .LBB849_122
; %bb.121:
	v_lshl_add_u32 v1, v81, 3, -8
	ds_read_b64 v[6:7], v1
.LBB849_122:
	s_or_b64 exec, exec, s[2:3]
	s_waitcnt lgkmcnt(0)
	v_add_u32_e32 v5, v7, v3
	v_add_u32_e32 v1, v6, v2
	v_add_u32_e32 v2, -1, v80
	v_and_b32_e32 v3, 64, v80
	v_cmp_lt_i32_e32 vcc, v2, v3
	v_cndmask_b32_e32 v2, v2, v80, vcc
	v_lshlrev_b32_e32 v20, 2, v2
	ds_read_b64 v[2:3], v4 offset:24
	ds_bpermute_b32 v1, v20, v1
	ds_bpermute_b32 v20, v20, v5
	v_cmp_eq_u32_e32 vcc, 0, v0
	s_waitcnt lgkmcnt(2)
	v_readfirstlane_b32 s4, v3
	s_and_saveexec_b64 s[2:3], vcc
	s_cbranch_execz .LBB849_124
; %bb.123:
	s_add_u32 s6, s12, 0x400
	s_mov_b32 s8, 0
	s_addc_u32 s7, s13, 0
	s_and_b32 s9, s4, 0xff000000
	s_and_b32 s11, s4, 0xff0000
	s_mov_b32 s10, s8
	s_or_b64 s[10:11], s[10:11], s[8:9]
	s_and_b32 s9, s4, 0xff00
	s_or_b64 s[10:11], s[10:11], s[8:9]
	s_and_b32 s9, s4, 0xff
	s_or_b64 s[8:9], s[10:11], s[8:9]
	v_mov_b32_e32 v3, s9
	v_mov_b32_e32 v4, 2
	;; [unrolled: 1-line block ×3, first 2 shown]
	v_pk_mov_b32 v[22:23], s[6:7], s[6:7] op_sel:[0,1]
	;;#ASMSTART
	global_store_dwordx4 v[22:23], v[2:5] off	
s_waitcnt vmcnt(0)
	;;#ASMEND
.LBB849_124:
	s_or_b64 exec, exec, s[2:3]
	v_cmp_eq_u32_e64 s[2:3], 0, v80
	s_waitcnt lgkmcnt(1)
	v_cndmask_b32_e64 v3, v1, v6, s[2:3]
	s_waitcnt lgkmcnt(0)
	v_cndmask_b32_e64 v1, v20, v7, s[2:3]
	v_mov_b32_e32 v4, 0
	v_cndmask_b32_e64 v1, v1, 0, vcc
	v_cndmask_b32_e64 v20, v3, 0, vcc
	s_barrier
	v_mov_b32_e32 v3, s4
	v_mov_b32_e32 v5, 0
.LBB849_125:
	v_add_u32_e32 v24, v1, v63
	v_add_u32_e32 v25, v24, v74
	;; [unrolled: 1-line block ×14, first 2 shown]
	v_mov_b32_e32 v7, s49
	s_waitcnt lgkmcnt(0)
	v_add_co_u32_e32 v6, vcc, s48, v4
	v_add_u32_e32 v64, v58, v68
	v_add_u32_e32 v68, v66, v71
	v_addc_co_u32_e32 v7, vcc, 0, v7, vcc
	v_add_u32_e32 v69, v68, v78
	v_mov_b32_e32 v22, s51
	v_sub_co_u32_e32 v23, vcc, s50, v2
	v_add_u32_e32 v71, v69, v73
	v_subbrev_co_u32_e32 v73, vcc, 0, v22, vcc
	v_add_co_u32_e32 v22, vcc, v23, v5
	v_addc_co_u32_e32 v23, vcc, 0, v73, vcc
	v_lshlrev_b32_e32 v73, 1, v2
	v_sub_u32_e32 v1, v1, v5
	v_add_u32_e32 v74, v73, v3
	v_sub_u32_e32 v20, v20, v4
	v_add_u32_e32 v1, v1, v2
	v_add_u32_e32 v31, v74, v31
	v_and_b32_e32 v33, 1, v33
	v_add_u32_e32 v74, v20, v1
	v_and_b32_e32 v32, 1, v32
	v_sub_u32_e32 v74, v31, v74
	v_cmp_eq_u32_e32 vcc, 1, v33
	v_cndmask_b32_e32 v1, v74, v1, vcc
	v_cmp_eq_u32_e32 vcc, 1, v32
	v_cndmask_b32_e32 v1, v1, v20, vcc
	v_lshlrev_b32_e32 v1, 2, v1
	v_sub_u32_e32 v20, v24, v5
	ds_write_b32 v1, v18
	v_sub_u32_e32 v1, v21, v4
	v_add_u32_e32 v20, v20, v2
	v_add_u32_e32 v24, v20, v1
	v_and_b32_e32 v21, 1, v35
	v_sub_u32_e32 v24, v31, v24
	v_and_b32_e32 v18, 1, v34
	v_add_u32_e32 v24, 1, v24
	v_cmp_eq_u32_e32 vcc, 1, v21
	v_cndmask_b32_e32 v20, v24, v20, vcc
	v_cmp_eq_u32_e32 vcc, 1, v18
	v_cndmask_b32_e32 v1, v20, v1, vcc
	v_lshlrev_b32_e32 v1, 2, v1
	ds_write_b32 v1, v19
	v_sub_u32_e32 v19, v25, v5
	v_sub_u32_e32 v1, v26, v4
	v_add_u32_e32 v19, v19, v2
	v_add_u32_e32 v21, v19, v1
	v_and_b32_e32 v20, 1, v37
	v_sub_u32_e32 v21, v31, v21
	v_and_b32_e32 v18, 1, v36
	v_add_u32_e32 v21, 2, v21
	v_cmp_eq_u32_e32 vcc, 1, v20
	v_cndmask_b32_e32 v19, v21, v19, vcc
	v_cmp_eq_u32_e32 vcc, 1, v18
	v_cndmask_b32_e32 v1, v19, v1, vcc
	v_lshlrev_b32_e32 v1, 2, v1
	v_sub_u32_e32 v18, v28, v5
	ds_write_b32 v1, v16
	v_sub_u32_e32 v1, v27, v4
	v_add_u32_e32 v18, v18, v2
	v_add_u32_e32 v20, v1, v18
	v_and_b32_e32 v19, 1, v38
	v_sub_u32_e32 v20, v31, v20
	v_and_b32_e32 v16, 1, v39
	v_add_u32_e32 v20, 3, v20
	v_cmp_eq_u32_e32 vcc, 1, v19
	v_cndmask_b32_e32 v18, v20, v18, vcc
	v_cmp_eq_u32_e32 vcc, 1, v16
	v_cndmask_b32_e32 v1, v18, v1, vcc
	v_lshlrev_b32_e32 v1, 2, v1
	ds_write_b32 v1, v17
	v_sub_u32_e32 v17, v29, v5
	v_sub_u32_e32 v1, v56, v4
	v_add_u32_e32 v17, v17, v2
	v_add_u32_e32 v19, v1, v17
	v_and_b32_e32 v18, 1, v40
	v_sub_u32_e32 v19, v31, v19
	v_and_b32_e32 v16, 1, v41
	v_add_u32_e32 v19, 4, v19
	;; [unrolled: 28-line block ×3, first 2 shown]
	v_cmp_eq_u32_e32 vcc, 1, v16
	v_cndmask_b32_e32 v15, v17, v15, vcc
	v_cmp_eq_u32_e32 vcc, 1, v14
	v_cndmask_b32_e32 v1, v15, v1, vcc
	v_lshlrev_b32_e32 v1, 2, v1
	v_sub_u32_e32 v14, v65, v5
	ds_write_b32 v1, v12
	v_sub_u32_e32 v1, v64, v4
	v_add_u32_e32 v14, v14, v2
	v_add_u32_e32 v16, v1, v14
	v_and_b32_e32 v15, 1, v46
	v_sub_u32_e32 v16, v31, v16
	v_and_b32_e32 v12, 1, v47
	v_add_u32_e32 v16, 7, v16
	v_cmp_eq_u32_e32 vcc, 1, v15
	v_cndmask_b32_e32 v14, v16, v14, vcc
	v_cmp_eq_u32_e32 vcc, 1, v12
	v_cndmask_b32_e32 v1, v14, v1, vcc
	v_lshlrev_b32_e32 v1, 2, v1
	v_add_u32_e32 v59, v64, v59
	ds_write_b32 v1, v13
	v_sub_u32_e32 v13, v66, v5
	v_sub_u32_e32 v1, v59, v4
	v_add_u32_e32 v13, v13, v2
	v_add_u32_e32 v15, v1, v13
	v_and_b32_e32 v14, 1, v48
	v_sub_u32_e32 v15, v31, v15
	v_and_b32_e32 v12, 1, v49
	v_add_u32_e32 v15, 8, v15
	v_cmp_eq_u32_e32 vcc, 1, v14
	v_cndmask_b32_e32 v13, v15, v13, vcc
	v_cmp_eq_u32_e32 vcc, 1, v12
	v_cndmask_b32_e32 v1, v13, v1, vcc
	v_add_u32_e32 v67, v59, v70
	v_lshlrev_b32_e32 v1, 2, v1
	v_sub_u32_e32 v12, v68, v5
	ds_write_b32 v1, v10
	v_sub_u32_e32 v1, v67, v4
	v_add_u32_e32 v12, v12, v2
	v_add_u32_e32 v14, v1, v12
	v_and_b32_e32 v13, 1, v50
	v_sub_u32_e32 v14, v31, v14
	v_and_b32_e32 v10, 1, v51
	v_add_u32_e32 v14, 9, v14
	v_cmp_eq_u32_e32 vcc, 1, v13
	v_cndmask_b32_e32 v12, v14, v12, vcc
	v_cmp_eq_u32_e32 vcc, 1, v10
	v_cndmask_b32_e32 v1, v12, v1, vcc
	v_lshlrev_b32_e32 v1, 2, v1
	v_add_u32_e32 v60, v67, v60
	ds_write_b32 v1, v11
	v_sub_u32_e32 v11, v69, v5
	v_sub_u32_e32 v1, v60, v4
	v_add_u32_e32 v11, v11, v2
	v_add_u32_e32 v13, v1, v11
	v_and_b32_e32 v12, 1, v52
	v_sub_u32_e32 v13, v31, v13
	v_and_b32_e32 v10, 1, v53
	v_add_u32_e32 v13, 10, v13
	v_cmp_eq_u32_e32 vcc, 1, v12
	v_cndmask_b32_e32 v11, v13, v11, vcc
	v_cmp_eq_u32_e32 vcc, 1, v10
	v_cndmask_b32_e32 v1, v11, v1, vcc
	v_add_u32_e32 v70, v60, v72
	v_lshlrev_b32_e32 v1, 2, v1
	v_sub_u32_e32 v10, v71, v5
	ds_write_b32 v1, v8
	v_sub_u32_e32 v1, v70, v4
	v_add_u32_e32 v10, v10, v2
	v_add_u32_e32 v12, v1, v10
	v_and_b32_e32 v11, 1, v54
	v_sub_u32_e32 v12, v31, v12
	v_and_b32_e32 v8, 1, v55
	v_add_u32_e32 v12, 11, v12
	v_cmp_eq_u32_e32 vcc, 1, v11
	v_cndmask_b32_e32 v10, v12, v10, vcc
	v_cmp_eq_u32_e32 vcc, 1, v8
	v_cndmask_b32_e32 v1, v10, v1, vcc
	v_add_u32_e32 v72, v71, v79
	v_add_u32_e32 v61, v70, v61
	v_lshlrev_b32_e32 v1, 2, v1
	ds_write_b32 v1, v9
	v_sub_u32_e32 v1, v61, v4
	v_sub_u32_e32 v4, v72, v5
	v_add_u32_e32 v4, v4, v2
	v_add_u32_e32 v8, v1, v4
	v_sub_u32_e32 v8, v31, v8
	v_add_u32_e32 v8, 12, v8
	v_cndmask_b32_e64 v4, v8, v4, s[58:59]
	v_cndmask_b32_e64 v1, v4, v1, s[46:47]
	v_lshlrev_b32_e32 v1, 2, v1
	ds_write_b32 v1, v30
	v_add_co_u32_e32 v1, vcc, v3, v73
	v_addc_co_u32_e64 v4, s[2:3], 0, 0, vcc
	v_add_co_u32_e32 v1, vcc, v1, v22
	v_addc_co_u32_e32 v4, vcc, v4, v23, vcc
	s_add_u32 s4, s56, s33
	v_add_co_u32_e32 v1, vcc, v1, v6
	s_addc_u32 s5, s57, 0
	v_addc_co_u32_e32 v4, vcc, v4, v7, vcc
	v_mov_b32_e32 v8, s5
	v_sub_co_u32_e32 v1, vcc, s4, v1
	v_subb_co_u32_e32 v4, vcc, v8, v4, vcc
	v_lshlrev_b64 v[8:9], 2, v[22:23]
	v_mov_b32_e32 v10, s55
	v_add_co_u32_e32 v8, vcc, s54, v8
	v_addc_co_u32_e32 v9, vcc, v10, v9, vcc
	v_lshlrev_b64 v[10:11], 2, v[6:7]
	v_mov_b32_e32 v13, s53
	v_add_co_u32_e32 v10, vcc, s52, v10
	s_add_u32 s6, s34, -4
	v_addc_co_u32_e32 v11, vcc, v13, v11, vcc
	s_addc_u32 s7, s35, -1
	v_add_u32_e32 v12, v2, v3
	s_and_b64 vcc, exec, s[0:1]
	s_mov_b64 s[0:1], -1
	s_waitcnt lgkmcnt(0)
	s_barrier
	s_cbranch_vccz .LBB849_129
; %bb.126:
	s_and_b64 vcc, exec, s[0:1]
	s_cbranch_vccnz .LBB849_234
.LBB849_127:
	v_cmp_eq_u32_e32 vcc, 0, v0
	s_and_b64 s[0:1], vcc, s[30:31]
	s_and_saveexec_b64 s[2:3], s[0:1]
	s_cbranch_execnz .LBB849_352
.LBB849_128:
	s_endpgm
.LBB849_129:
	v_cmp_le_u32_e32 vcc, v2, v0
	s_and_saveexec_b64 s[0:1], vcc
	s_xor_b64 s[0:1], exec, s[0:1]
	s_cbranch_execz .LBB849_135
; %bb.130:
	v_cmp_le_u32_e32 vcc, v12, v0
	s_and_saveexec_b64 s[2:3], vcc
	s_xor_b64 s[2:3], exec, s[2:3]
	s_cbranch_execz .LBB849_132
; %bb.131:
	v_lshlrev_b32_e32 v13, 2, v0
	v_add_co_u32_e32 v14, vcc, v1, v0
	ds_read_b32 v13, v13
	v_addc_co_u32_e32 v15, vcc, 0, v4, vcc
	v_lshlrev_b64 v[14:15], 2, v[14:15]
	v_mov_b32_e32 v16, s35
	v_sub_co_u32_e32 v14, vcc, s34, v14
	v_subb_co_u32_e32 v15, vcc, v16, v15, vcc
	s_waitcnt lgkmcnt(0)
	global_store_dword v[14:15], v13, off offset:-4
.LBB849_132:
	s_andn2_saveexec_b64 s[2:3], s[2:3]
	s_cbranch_execz .LBB849_134
; %bb.133:
	v_lshlrev_b32_e32 v13, 2, v0
	ds_read_b32 v14, v13
	v_readfirstlane_b32 s4, v8
	v_readfirstlane_b32 s5, v9
	s_waitcnt lgkmcnt(0)
	s_nop 3
	global_store_dword v13, v14, s[4:5]
.LBB849_134:
	s_or_b64 exec, exec, s[2:3]
.LBB849_135:
	s_andn2_saveexec_b64 s[0:1], s[0:1]
	s_cbranch_execz .LBB849_137
; %bb.136:
	v_lshlrev_b32_e32 v13, 2, v0
	ds_read_b32 v14, v13
	v_readfirstlane_b32 s2, v10
	v_readfirstlane_b32 s3, v11
	s_waitcnt lgkmcnt(0)
	s_nop 3
	global_store_dword v13, v14, s[2:3]
.LBB849_137:
	s_or_b64 exec, exec, s[0:1]
	v_or_b32_e32 v13, 0x100, v0
	v_cmp_le_u32_e32 vcc, v2, v13
	s_and_saveexec_b64 s[0:1], vcc
	s_xor_b64 s[0:1], exec, s[0:1]
	s_cbranch_execz .LBB849_143
; %bb.138:
	v_cmp_le_u32_e32 vcc, v12, v13
	s_and_saveexec_b64 s[2:3], vcc
	s_xor_b64 s[2:3], exec, s[2:3]
	s_cbranch_execz .LBB849_140
; %bb.139:
	v_lshlrev_b32_e32 v13, 2, v0
	ds_read_b32 v13, v13 offset:1024
	v_add_co_u32_e32 v14, vcc, v1, v0
	v_addc_co_u32_e32 v15, vcc, 0, v4, vcc
	v_lshlrev_b64 v[14:15], 2, v[14:15]
	v_mov_b32_e32 v16, s7
	v_sub_co_u32_e32 v14, vcc, s6, v14
	v_subb_co_u32_e32 v15, vcc, v16, v15, vcc
	s_waitcnt lgkmcnt(0)
	global_store_dword v[14:15], v13, off offset:-1024
.LBB849_140:
	s_andn2_saveexec_b64 s[2:3], s[2:3]
	s_cbranch_execz .LBB849_142
; %bb.141:
	v_lshlrev_b32_e32 v13, 2, v0
	ds_read_b32 v14, v13 offset:1024
	v_readfirstlane_b32 s4, v8
	v_readfirstlane_b32 s5, v9
	s_waitcnt lgkmcnt(0)
	s_nop 3
	global_store_dword v13, v14, s[4:5] offset:1024
.LBB849_142:
	s_or_b64 exec, exec, s[2:3]
.LBB849_143:
	s_andn2_saveexec_b64 s[0:1], s[0:1]
	s_cbranch_execz .LBB849_145
; %bb.144:
	v_lshlrev_b32_e32 v13, 2, v0
	ds_read_b32 v14, v13 offset:1024
	v_readfirstlane_b32 s2, v10
	v_readfirstlane_b32 s3, v11
	s_waitcnt lgkmcnt(0)
	s_nop 3
	global_store_dword v13, v14, s[2:3] offset:1024
.LBB849_145:
	s_or_b64 exec, exec, s[0:1]
	v_or_b32_e32 v13, 0x200, v0
	v_cmp_le_u32_e32 vcc, v2, v13
	s_and_saveexec_b64 s[0:1], vcc
	s_xor_b64 s[0:1], exec, s[0:1]
	s_cbranch_execz .LBB849_151
; %bb.146:
	v_cmp_le_u32_e32 vcc, v12, v13
	s_and_saveexec_b64 s[2:3], vcc
	s_xor_b64 s[2:3], exec, s[2:3]
	s_cbranch_execz .LBB849_148
; %bb.147:
	v_lshlrev_b32_e32 v13, 2, v0
	ds_read_b32 v13, v13 offset:2048
	v_add_co_u32_e32 v14, vcc, v1, v0
	v_addc_co_u32_e32 v15, vcc, 0, v4, vcc
	v_lshlrev_b64 v[14:15], 2, v[14:15]
	v_mov_b32_e32 v16, s7
	v_sub_co_u32_e32 v14, vcc, s6, v14
	v_subb_co_u32_e32 v15, vcc, v16, v15, vcc
	s_waitcnt lgkmcnt(0)
	global_store_dword v[14:15], v13, off offset:-2048
.LBB849_148:
	s_andn2_saveexec_b64 s[2:3], s[2:3]
	s_cbranch_execz .LBB849_150
; %bb.149:
	v_lshlrev_b32_e32 v13, 2, v0
	ds_read_b32 v14, v13 offset:2048
	v_readfirstlane_b32 s4, v8
	v_readfirstlane_b32 s5, v9
	s_waitcnt lgkmcnt(0)
	s_nop 3
	global_store_dword v13, v14, s[4:5] offset:2048
.LBB849_150:
	s_or_b64 exec, exec, s[2:3]
.LBB849_151:
	s_andn2_saveexec_b64 s[0:1], s[0:1]
	s_cbranch_execz .LBB849_153
; %bb.152:
	v_lshlrev_b32_e32 v13, 2, v0
	ds_read_b32 v14, v13 offset:2048
	v_readfirstlane_b32 s2, v10
	v_readfirstlane_b32 s3, v11
	s_waitcnt lgkmcnt(0)
	s_nop 3
	global_store_dword v13, v14, s[2:3] offset:2048
.LBB849_153:
	;; [unrolled: 47-line block ×3, first 2 shown]
	s_or_b64 exec, exec, s[0:1]
	v_or_b32_e32 v13, 0x400, v0
	v_cmp_le_u32_e32 vcc, v2, v13
	s_and_saveexec_b64 s[0:1], vcc
	s_xor_b64 s[0:1], exec, s[0:1]
	s_cbranch_execz .LBB849_167
; %bb.162:
	v_cmp_le_u32_e32 vcc, v12, v13
	s_and_saveexec_b64 s[2:3], vcc
	s_xor_b64 s[2:3], exec, s[2:3]
	s_cbranch_execz .LBB849_164
; %bb.163:
	v_lshlrev_b32_e32 v13, 2, v0
	ds_read_b32 v13, v13 offset:4096
	v_add_co_u32_e32 v14, vcc, v1, v0
	v_addc_co_u32_e32 v15, vcc, 0, v4, vcc
	v_lshlrev_b64 v[14:15], 2, v[14:15]
	v_mov_b32_e32 v16, s7
	v_sub_co_u32_e32 v14, vcc, s6, v14
	v_subb_co_u32_e32 v15, vcc, v16, v15, vcc
	s_waitcnt lgkmcnt(0)
	global_store_dword v[14:15], v13, off offset:-4096
                                        ; implicit-def: $vgpr13
.LBB849_164:
	s_andn2_saveexec_b64 s[2:3], s[2:3]
	s_cbranch_execz .LBB849_166
; %bb.165:
	v_lshlrev_b32_e32 v14, 2, v0
	ds_read_b32 v14, v14 offset:4096
	v_lshlrev_b32_e32 v13, 2, v13
	v_readfirstlane_b32 s4, v8
	v_readfirstlane_b32 s5, v9
	s_waitcnt lgkmcnt(0)
	s_nop 3
	global_store_dword v13, v14, s[4:5]
.LBB849_166:
	s_or_b64 exec, exec, s[2:3]
                                        ; implicit-def: $vgpr13
.LBB849_167:
	s_andn2_saveexec_b64 s[0:1], s[0:1]
	s_cbranch_execz .LBB849_169
; %bb.168:
	v_lshlrev_b32_e32 v14, 2, v0
	ds_read_b32 v14, v14 offset:4096
	v_lshlrev_b32_e32 v13, 2, v13
	v_readfirstlane_b32 s2, v10
	v_readfirstlane_b32 s3, v11
	s_waitcnt lgkmcnt(0)
	s_nop 3
	global_store_dword v13, v14, s[2:3]
.LBB849_169:
	s_or_b64 exec, exec, s[0:1]
	v_or_b32_e32 v13, 0x500, v0
	v_cmp_le_u32_e32 vcc, v2, v13
	s_and_saveexec_b64 s[0:1], vcc
	s_xor_b64 s[0:1], exec, s[0:1]
	s_cbranch_execz .LBB849_175
; %bb.170:
	v_cmp_le_u32_e32 vcc, v12, v13
	s_and_saveexec_b64 s[2:3], vcc
	s_xor_b64 s[2:3], exec, s[2:3]
	s_cbranch_execz .LBB849_172
; %bb.171:
	v_add_co_u32_e32 v14, vcc, v1, v13
	v_lshlrev_b32_e32 v13, 2, v0
	ds_read_b32 v13, v13 offset:5120
	v_addc_co_u32_e32 v15, vcc, 0, v4, vcc
	v_lshlrev_b64 v[14:15], 2, v[14:15]
	v_mov_b32_e32 v16, s7
	v_sub_co_u32_e32 v14, vcc, s6, v14
	v_subb_co_u32_e32 v15, vcc, v16, v15, vcc
	s_waitcnt lgkmcnt(0)
	global_store_dword v[14:15], v13, off
                                        ; implicit-def: $vgpr13
.LBB849_172:
	s_andn2_saveexec_b64 s[2:3], s[2:3]
	s_cbranch_execz .LBB849_174
; %bb.173:
	v_lshlrev_b32_e32 v14, 2, v0
	ds_read_b32 v14, v14 offset:5120
	v_lshlrev_b32_e32 v13, 2, v13
	v_readfirstlane_b32 s4, v8
	v_readfirstlane_b32 s5, v9
	s_waitcnt lgkmcnt(0)
	s_nop 3
	global_store_dword v13, v14, s[4:5]
.LBB849_174:
	s_or_b64 exec, exec, s[2:3]
                                        ; implicit-def: $vgpr13
.LBB849_175:
	s_andn2_saveexec_b64 s[0:1], s[0:1]
	s_cbranch_execz .LBB849_177
; %bb.176:
	v_lshlrev_b32_e32 v14, 2, v0
	ds_read_b32 v14, v14 offset:5120
	v_lshlrev_b32_e32 v13, 2, v13
	v_readfirstlane_b32 s2, v10
	v_readfirstlane_b32 s3, v11
	s_waitcnt lgkmcnt(0)
	s_nop 3
	global_store_dword v13, v14, s[2:3]
.LBB849_177:
	s_or_b64 exec, exec, s[0:1]
	v_or_b32_e32 v13, 0x600, v0
	v_cmp_le_u32_e32 vcc, v2, v13
	s_and_saveexec_b64 s[0:1], vcc
	s_xor_b64 s[0:1], exec, s[0:1]
	s_cbranch_execz .LBB849_183
; %bb.178:
	v_cmp_le_u32_e32 vcc, v12, v13
	s_and_saveexec_b64 s[2:3], vcc
	s_xor_b64 s[2:3], exec, s[2:3]
	s_cbranch_execz .LBB849_180
; %bb.179:
	v_add_co_u32_e32 v14, vcc, v1, v13
	v_lshlrev_b32_e32 v13, 2, v0
	ds_read_b32 v13, v13 offset:6144
	v_addc_co_u32_e32 v15, vcc, 0, v4, vcc
	v_lshlrev_b64 v[14:15], 2, v[14:15]
	v_mov_b32_e32 v16, s7
	v_sub_co_u32_e32 v14, vcc, s6, v14
	v_subb_co_u32_e32 v15, vcc, v16, v15, vcc
	s_waitcnt lgkmcnt(0)
	global_store_dword v[14:15], v13, off
                                        ; implicit-def: $vgpr13
.LBB849_180:
	s_andn2_saveexec_b64 s[2:3], s[2:3]
	s_cbranch_execz .LBB849_182
; %bb.181:
	v_lshlrev_b32_e32 v14, 2, v0
	ds_read_b32 v14, v14 offset:6144
	v_lshlrev_b32_e32 v13, 2, v13
	v_readfirstlane_b32 s4, v8
	v_readfirstlane_b32 s5, v9
	s_waitcnt lgkmcnt(0)
	s_nop 3
	global_store_dword v13, v14, s[4:5]
.LBB849_182:
	s_or_b64 exec, exec, s[2:3]
                                        ; implicit-def: $vgpr13
.LBB849_183:
	;; [unrolled: 51-line block ×8, first 2 shown]
	s_andn2_saveexec_b64 s[0:1], s[0:1]
	s_cbranch_execz .LBB849_233
; %bb.232:
	v_lshlrev_b32_e32 v14, 2, v0
	ds_read_b32 v14, v14 offset:12288
	v_lshlrev_b32_e32 v13, 2, v13
	v_readfirstlane_b32 s2, v10
	v_readfirstlane_b32 s3, v11
	s_waitcnt lgkmcnt(0)
	s_nop 3
	global_store_dword v13, v14, s[2:3]
.LBB849_233:
	s_or_b64 exec, exec, s[0:1]
	s_branch .LBB849_127
.LBB849_234:
	v_cmp_gt_u32_e32 vcc, s18, v0
	s_and_saveexec_b64 s[0:1], vcc
	s_cbranch_execz .LBB849_243
; %bb.235:
	v_cmp_le_u32_e32 vcc, v2, v0
	s_and_saveexec_b64 s[2:3], vcc
	s_xor_b64 s[2:3], exec, s[2:3]
	s_cbranch_execz .LBB849_241
; %bb.236:
	v_cmp_le_u32_e32 vcc, v12, v0
	s_and_saveexec_b64 s[4:5], vcc
	s_xor_b64 s[4:5], exec, s[4:5]
	s_cbranch_execz .LBB849_238
; %bb.237:
	v_lshlrev_b32_e32 v13, 2, v0
	v_add_co_u32_e32 v14, vcc, v1, v0
	ds_read_b32 v13, v13
	v_addc_co_u32_e32 v15, vcc, 0, v4, vcc
	v_lshlrev_b64 v[14:15], 2, v[14:15]
	v_mov_b32_e32 v16, s35
	v_sub_co_u32_e32 v14, vcc, s34, v14
	v_subb_co_u32_e32 v15, vcc, v16, v15, vcc
	s_waitcnt lgkmcnt(0)
	global_store_dword v[14:15], v13, off offset:-4
.LBB849_238:
	s_andn2_saveexec_b64 s[4:5], s[4:5]
	s_cbranch_execz .LBB849_240
; %bb.239:
	v_lshlrev_b32_e32 v13, 2, v0
	ds_read_b32 v14, v13
	v_readfirstlane_b32 s8, v8
	v_readfirstlane_b32 s9, v9
	s_waitcnt lgkmcnt(0)
	s_nop 3
	global_store_dword v13, v14, s[8:9]
.LBB849_240:
	s_or_b64 exec, exec, s[4:5]
.LBB849_241:
	s_andn2_saveexec_b64 s[2:3], s[2:3]
	s_cbranch_execz .LBB849_243
; %bb.242:
	v_lshlrev_b32_e32 v13, 2, v0
	ds_read_b32 v14, v13
	v_readfirstlane_b32 s2, v10
	v_readfirstlane_b32 s3, v11
	s_waitcnt lgkmcnt(0)
	s_nop 3
	global_store_dword v13, v14, s[2:3]
.LBB849_243:
	s_or_b64 exec, exec, s[0:1]
	v_or_b32_e32 v13, 0x100, v0
	v_cmp_gt_u32_e32 vcc, s18, v13
	s_and_saveexec_b64 s[0:1], vcc
	s_cbranch_execz .LBB849_252
; %bb.244:
	v_cmp_le_u32_e32 vcc, v2, v13
	s_and_saveexec_b64 s[2:3], vcc
	s_xor_b64 s[2:3], exec, s[2:3]
	s_cbranch_execz .LBB849_250
; %bb.245:
	v_cmp_le_u32_e32 vcc, v12, v13
	s_and_saveexec_b64 s[4:5], vcc
	s_xor_b64 s[4:5], exec, s[4:5]
	s_cbranch_execz .LBB849_247
; %bb.246:
	v_lshlrev_b32_e32 v13, 2, v0
	ds_read_b32 v13, v13 offset:1024
	v_add_co_u32_e32 v14, vcc, v1, v0
	v_addc_co_u32_e32 v15, vcc, 0, v4, vcc
	v_lshlrev_b64 v[14:15], 2, v[14:15]
	v_mov_b32_e32 v16, s7
	v_sub_co_u32_e32 v14, vcc, s6, v14
	v_subb_co_u32_e32 v15, vcc, v16, v15, vcc
	s_waitcnt lgkmcnt(0)
	global_store_dword v[14:15], v13, off offset:-1024
.LBB849_247:
	s_andn2_saveexec_b64 s[4:5], s[4:5]
	s_cbranch_execz .LBB849_249
; %bb.248:
	v_lshlrev_b32_e32 v13, 2, v0
	ds_read_b32 v14, v13 offset:1024
	v_readfirstlane_b32 s8, v8
	v_readfirstlane_b32 s9, v9
	s_waitcnt lgkmcnt(0)
	s_nop 3
	global_store_dword v13, v14, s[8:9] offset:1024
.LBB849_249:
	s_or_b64 exec, exec, s[4:5]
.LBB849_250:
	s_andn2_saveexec_b64 s[2:3], s[2:3]
	s_cbranch_execz .LBB849_252
; %bb.251:
	v_lshlrev_b32_e32 v13, 2, v0
	ds_read_b32 v14, v13 offset:1024
	v_readfirstlane_b32 s2, v10
	v_readfirstlane_b32 s3, v11
	s_waitcnt lgkmcnt(0)
	s_nop 3
	global_store_dword v13, v14, s[2:3] offset:1024
.LBB849_252:
	s_or_b64 exec, exec, s[0:1]
	v_or_b32_e32 v13, 0x200, v0
	v_cmp_gt_u32_e32 vcc, s18, v13
	s_and_saveexec_b64 s[0:1], vcc
	s_cbranch_execz .LBB849_261
; %bb.253:
	v_cmp_le_u32_e32 vcc, v2, v13
	s_and_saveexec_b64 s[2:3], vcc
	s_xor_b64 s[2:3], exec, s[2:3]
	s_cbranch_execz .LBB849_259
; %bb.254:
	v_cmp_le_u32_e32 vcc, v12, v13
	s_and_saveexec_b64 s[4:5], vcc
	s_xor_b64 s[4:5], exec, s[4:5]
	s_cbranch_execz .LBB849_256
; %bb.255:
	v_lshlrev_b32_e32 v13, 2, v0
	ds_read_b32 v13, v13 offset:2048
	v_add_co_u32_e32 v14, vcc, v1, v0
	v_addc_co_u32_e32 v15, vcc, 0, v4, vcc
	v_lshlrev_b64 v[14:15], 2, v[14:15]
	v_mov_b32_e32 v16, s7
	v_sub_co_u32_e32 v14, vcc, s6, v14
	v_subb_co_u32_e32 v15, vcc, v16, v15, vcc
	s_waitcnt lgkmcnt(0)
	global_store_dword v[14:15], v13, off offset:-2048
.LBB849_256:
	s_andn2_saveexec_b64 s[4:5], s[4:5]
	s_cbranch_execz .LBB849_258
; %bb.257:
	v_lshlrev_b32_e32 v13, 2, v0
	ds_read_b32 v14, v13 offset:2048
	v_readfirstlane_b32 s8, v8
	v_readfirstlane_b32 s9, v9
	s_waitcnt lgkmcnt(0)
	s_nop 3
	global_store_dword v13, v14, s[8:9] offset:2048
.LBB849_258:
	s_or_b64 exec, exec, s[4:5]
.LBB849_259:
	s_andn2_saveexec_b64 s[2:3], s[2:3]
	s_cbranch_execz .LBB849_261
; %bb.260:
	v_lshlrev_b32_e32 v13, 2, v0
	ds_read_b32 v14, v13 offset:2048
	v_readfirstlane_b32 s2, v10
	v_readfirstlane_b32 s3, v11
	s_waitcnt lgkmcnt(0)
	s_nop 3
	global_store_dword v13, v14, s[2:3] offset:2048
.LBB849_261:
	;; [unrolled: 51-line block ×3, first 2 shown]
	s_or_b64 exec, exec, s[0:1]
	v_or_b32_e32 v13, 0x400, v0
	v_cmp_gt_u32_e32 vcc, s18, v13
	s_and_saveexec_b64 s[0:1], vcc
	s_cbranch_execz .LBB849_279
; %bb.271:
	v_cmp_le_u32_e32 vcc, v2, v13
	s_and_saveexec_b64 s[2:3], vcc
	s_xor_b64 s[2:3], exec, s[2:3]
	s_cbranch_execz .LBB849_277
; %bb.272:
	v_cmp_le_u32_e32 vcc, v12, v13
	s_and_saveexec_b64 s[4:5], vcc
	s_xor_b64 s[4:5], exec, s[4:5]
	s_cbranch_execz .LBB849_274
; %bb.273:
	v_lshlrev_b32_e32 v13, 2, v0
	ds_read_b32 v13, v13 offset:4096
	v_add_co_u32_e32 v14, vcc, v1, v0
	v_addc_co_u32_e32 v15, vcc, 0, v4, vcc
	v_lshlrev_b64 v[14:15], 2, v[14:15]
	v_mov_b32_e32 v16, s7
	v_sub_co_u32_e32 v14, vcc, s6, v14
	v_subb_co_u32_e32 v15, vcc, v16, v15, vcc
	s_waitcnt lgkmcnt(0)
	global_store_dword v[14:15], v13, off offset:-4096
                                        ; implicit-def: $vgpr13
.LBB849_274:
	s_andn2_saveexec_b64 s[4:5], s[4:5]
	s_cbranch_execz .LBB849_276
; %bb.275:
	v_lshlrev_b32_e32 v14, 2, v0
	ds_read_b32 v14, v14 offset:4096
	v_lshlrev_b32_e32 v13, 2, v13
	v_readfirstlane_b32 s8, v8
	v_readfirstlane_b32 s9, v9
	s_waitcnt lgkmcnt(0)
	s_nop 3
	global_store_dword v13, v14, s[8:9]
.LBB849_276:
	s_or_b64 exec, exec, s[4:5]
                                        ; implicit-def: $vgpr13
.LBB849_277:
	s_andn2_saveexec_b64 s[2:3], s[2:3]
	s_cbranch_execz .LBB849_279
; %bb.278:
	v_lshlrev_b32_e32 v14, 2, v0
	ds_read_b32 v14, v14 offset:4096
	v_lshlrev_b32_e32 v13, 2, v13
	v_readfirstlane_b32 s2, v10
	v_readfirstlane_b32 s3, v11
	s_waitcnt lgkmcnt(0)
	s_nop 3
	global_store_dword v13, v14, s[2:3]
.LBB849_279:
	s_or_b64 exec, exec, s[0:1]
	v_or_b32_e32 v13, 0x500, v0
	v_cmp_gt_u32_e32 vcc, s18, v13
	s_and_saveexec_b64 s[0:1], vcc
	s_cbranch_execz .LBB849_288
; %bb.280:
	v_cmp_le_u32_e32 vcc, v2, v13
	s_and_saveexec_b64 s[2:3], vcc
	s_xor_b64 s[2:3], exec, s[2:3]
	s_cbranch_execz .LBB849_286
; %bb.281:
	v_cmp_le_u32_e32 vcc, v12, v13
	s_and_saveexec_b64 s[4:5], vcc
	s_xor_b64 s[4:5], exec, s[4:5]
	s_cbranch_execz .LBB849_283
; %bb.282:
	v_add_co_u32_e32 v14, vcc, v1, v13
	v_lshlrev_b32_e32 v13, 2, v0
	ds_read_b32 v13, v13 offset:5120
	v_addc_co_u32_e32 v15, vcc, 0, v4, vcc
	v_lshlrev_b64 v[14:15], 2, v[14:15]
	v_mov_b32_e32 v16, s7
	v_sub_co_u32_e32 v14, vcc, s6, v14
	v_subb_co_u32_e32 v15, vcc, v16, v15, vcc
	s_waitcnt lgkmcnt(0)
	global_store_dword v[14:15], v13, off
                                        ; implicit-def: $vgpr13
.LBB849_283:
	s_andn2_saveexec_b64 s[4:5], s[4:5]
	s_cbranch_execz .LBB849_285
; %bb.284:
	v_lshlrev_b32_e32 v14, 2, v0
	ds_read_b32 v14, v14 offset:5120
	v_lshlrev_b32_e32 v13, 2, v13
	v_readfirstlane_b32 s8, v8
	v_readfirstlane_b32 s9, v9
	s_waitcnt lgkmcnt(0)
	s_nop 3
	global_store_dword v13, v14, s[8:9]
.LBB849_285:
	s_or_b64 exec, exec, s[4:5]
                                        ; implicit-def: $vgpr13
.LBB849_286:
	s_andn2_saveexec_b64 s[2:3], s[2:3]
	s_cbranch_execz .LBB849_288
; %bb.287:
	v_lshlrev_b32_e32 v14, 2, v0
	ds_read_b32 v14, v14 offset:5120
	v_lshlrev_b32_e32 v13, 2, v13
	v_readfirstlane_b32 s2, v10
	v_readfirstlane_b32 s3, v11
	s_waitcnt lgkmcnt(0)
	s_nop 3
	global_store_dword v13, v14, s[2:3]
.LBB849_288:
	s_or_b64 exec, exec, s[0:1]
	v_or_b32_e32 v13, 0x600, v0
	v_cmp_gt_u32_e32 vcc, s18, v13
	s_and_saveexec_b64 s[0:1], vcc
	s_cbranch_execz .LBB849_297
; %bb.289:
	v_cmp_le_u32_e32 vcc, v2, v13
	s_and_saveexec_b64 s[2:3], vcc
	s_xor_b64 s[2:3], exec, s[2:3]
	s_cbranch_execz .LBB849_295
; %bb.290:
	v_cmp_le_u32_e32 vcc, v12, v13
	s_and_saveexec_b64 s[4:5], vcc
	s_xor_b64 s[4:5], exec, s[4:5]
	s_cbranch_execz .LBB849_292
; %bb.291:
	v_add_co_u32_e32 v14, vcc, v1, v13
	v_lshlrev_b32_e32 v13, 2, v0
	ds_read_b32 v13, v13 offset:6144
	v_addc_co_u32_e32 v15, vcc, 0, v4, vcc
	v_lshlrev_b64 v[14:15], 2, v[14:15]
	v_mov_b32_e32 v16, s7
	v_sub_co_u32_e32 v14, vcc, s6, v14
	v_subb_co_u32_e32 v15, vcc, v16, v15, vcc
	s_waitcnt lgkmcnt(0)
	global_store_dword v[14:15], v13, off
                                        ; implicit-def: $vgpr13
.LBB849_292:
	s_andn2_saveexec_b64 s[4:5], s[4:5]
	s_cbranch_execz .LBB849_294
; %bb.293:
	v_lshlrev_b32_e32 v14, 2, v0
	ds_read_b32 v14, v14 offset:6144
	v_lshlrev_b32_e32 v13, 2, v13
	v_readfirstlane_b32 s8, v8
	v_readfirstlane_b32 s9, v9
	s_waitcnt lgkmcnt(0)
	s_nop 3
	global_store_dword v13, v14, s[8:9]
.LBB849_294:
	s_or_b64 exec, exec, s[4:5]
                                        ; implicit-def: $vgpr13
.LBB849_295:
	s_andn2_saveexec_b64 s[2:3], s[2:3]
	s_cbranch_execz .LBB849_297
; %bb.296:
	v_lshlrev_b32_e32 v14, 2, v0
	ds_read_b32 v14, v14 offset:6144
	v_lshlrev_b32_e32 v13, 2, v13
	v_readfirstlane_b32 s2, v10
	v_readfirstlane_b32 s3, v11
	s_waitcnt lgkmcnt(0)
	s_nop 3
	global_store_dword v13, v14, s[2:3]
.LBB849_297:
	;; [unrolled: 55-line block ×7, first 2 shown]
	s_or_b64 exec, exec, s[0:1]
	v_or_b32_e32 v13, 0xc00, v0
	v_cmp_gt_u32_e32 vcc, s18, v13
	s_and_saveexec_b64 s[0:1], vcc
	s_cbranch_execz .LBB849_351
; %bb.343:
	v_cmp_le_u32_e32 vcc, v2, v13
	s_and_saveexec_b64 s[2:3], vcc
	s_xor_b64 s[2:3], exec, s[2:3]
	s_cbranch_execz .LBB849_349
; %bb.344:
	v_cmp_le_u32_e32 vcc, v12, v13
	s_and_saveexec_b64 s[4:5], vcc
	s_xor_b64 s[4:5], exec, s[4:5]
	s_cbranch_execz .LBB849_346
; %bb.345:
	v_add_co_u32_e32 v8, vcc, v1, v13
	v_lshlrev_b32_e32 v1, 2, v0
	ds_read_b32 v1, v1 offset:12288
	v_addc_co_u32_e32 v9, vcc, 0, v4, vcc
	v_lshlrev_b64 v[8:9], 2, v[8:9]
	v_mov_b32_e32 v4, s7
	v_sub_co_u32_e32 v8, vcc, s6, v8
	v_subb_co_u32_e32 v9, vcc, v4, v9, vcc
	s_waitcnt lgkmcnt(0)
	global_store_dword v[8:9], v1, off
                                        ; implicit-def: $vgpr13
                                        ; implicit-def: $vgpr8_vgpr9
.LBB849_346:
	s_andn2_saveexec_b64 s[4:5], s[4:5]
	s_cbranch_execz .LBB849_348
; %bb.347:
	v_lshlrev_b32_e32 v1, 2, v0
	ds_read_b32 v1, v1 offset:12288
	v_lshlrev_b32_e32 v4, 2, v13
	v_readfirstlane_b32 s6, v8
	v_readfirstlane_b32 s7, v9
	s_waitcnt lgkmcnt(0)
	s_nop 3
	global_store_dword v4, v1, s[6:7]
.LBB849_348:
	s_or_b64 exec, exec, s[4:5]
                                        ; implicit-def: $vgpr13
                                        ; implicit-def: $vgpr10_vgpr11
.LBB849_349:
	s_andn2_saveexec_b64 s[2:3], s[2:3]
	s_cbranch_execz .LBB849_351
; %bb.350:
	v_lshlrev_b32_e32 v1, 2, v0
	ds_read_b32 v1, v1 offset:12288
	v_lshlrev_b32_e32 v4, 2, v13
	v_readfirstlane_b32 s2, v10
	v_readfirstlane_b32 s3, v11
	s_waitcnt lgkmcnt(0)
	s_nop 3
	global_store_dword v4, v1, s[2:3]
.LBB849_351:
	s_or_b64 exec, exec, s[0:1]
	v_cmp_eq_u32_e32 vcc, 0, v0
	s_and_b64 s[0:1], vcc, s[30:31]
	s_and_saveexec_b64 s[2:3], s[0:1]
	s_cbranch_execz .LBB849_128
.LBB849_352:
	v_add_co_u32_e32 v0, vcc, v6, v2
	v_addc_co_u32_e32 v1, vcc, 0, v7, vcc
	v_mov_b32_e32 v2, s51
	v_add_co_u32_e32 v3, vcc, s50, v3
	v_addc_co_u32_e32 v6, vcc, 0, v2, vcc
	v_add_co_u32_e32 v2, vcc, v3, v5
	v_mov_b32_e32 v4, 0
	v_addc_co_u32_e32 v3, vcc, 0, v6, vcc
	global_store_dwordx4 v4, v[0:3], s[44:45]
	s_endpgm
	.section	.rodata,"a",@progbits
	.p2align	6, 0x0
	.amdhsa_kernel _ZN7rocprim17ROCPRIM_400000_NS6detail17trampoline_kernelINS0_13select_configILj256ELj13ELNS0_17block_load_methodE3ELS4_3ELS4_3ELNS0_20block_scan_algorithmE0ELj4294967295EEENS1_25partition_config_selectorILNS1_17partition_subalgoE4EjNS0_10empty_typeEbEEZZNS1_14partition_implILS8_4ELb0ES6_15HIP_vector_typeIjLj2EENS0_17counting_iteratorIjlEEPS9_SG_NS0_5tupleIJPjSI_NS0_16reverse_iteratorISI_EEEEENSH_IJSG_SG_SG_EEES9_SI_JZNS1_25segmented_radix_sort_implINS0_14default_configELb1EPKsPsPKlPlN2at6native12_GLOBAL__N_18offset_tEEE10hipError_tPvRmT1_PNSt15iterator_traitsIS12_E10value_typeET2_T3_PNS13_IS18_E10value_typeET4_jRbjT5_S1E_jjP12ihipStream_tbEUljE_ZNSN_ISO_Lb1ESQ_SR_ST_SU_SY_EESZ_S10_S11_S12_S16_S17_S18_S1B_S1C_jS1D_jS1E_S1E_jjS1G_bEUljE0_EEESZ_S10_S11_S18_S1C_S1E_T6_T7_T9_mT8_S1G_bDpT10_ENKUlT_T0_E_clISt17integral_constantIbLb0EES1U_EEDaS1P_S1Q_EUlS1P_E_NS1_11comp_targetILNS1_3genE4ELNS1_11target_archE910ELNS1_3gpuE8ELNS1_3repE0EEENS1_30default_config_static_selectorELNS0_4arch9wavefront6targetE1EEEvS12_
		.amdhsa_group_segment_fixed_size 13340
		.amdhsa_private_segment_fixed_size 0
		.amdhsa_kernarg_size 176
		.amdhsa_user_sgpr_count 6
		.amdhsa_user_sgpr_private_segment_buffer 1
		.amdhsa_user_sgpr_dispatch_ptr 0
		.amdhsa_user_sgpr_queue_ptr 0
		.amdhsa_user_sgpr_kernarg_segment_ptr 1
		.amdhsa_user_sgpr_dispatch_id 0
		.amdhsa_user_sgpr_flat_scratch_init 0
		.amdhsa_user_sgpr_kernarg_preload_length 0
		.amdhsa_user_sgpr_kernarg_preload_offset 0
		.amdhsa_user_sgpr_private_segment_size 0
		.amdhsa_uses_dynamic_stack 0
		.amdhsa_system_sgpr_private_segment_wavefront_offset 0
		.amdhsa_system_sgpr_workgroup_id_x 1
		.amdhsa_system_sgpr_workgroup_id_y 0
		.amdhsa_system_sgpr_workgroup_id_z 0
		.amdhsa_system_sgpr_workgroup_info 0
		.amdhsa_system_vgpr_workitem_id 0
		.amdhsa_next_free_vgpr 102
		.amdhsa_next_free_sgpr 90
		.amdhsa_accum_offset 104
		.amdhsa_reserve_vcc 1
		.amdhsa_reserve_flat_scratch 0
		.amdhsa_float_round_mode_32 0
		.amdhsa_float_round_mode_16_64 0
		.amdhsa_float_denorm_mode_32 3
		.amdhsa_float_denorm_mode_16_64 3
		.amdhsa_dx10_clamp 1
		.amdhsa_ieee_mode 1
		.amdhsa_fp16_overflow 0
		.amdhsa_tg_split 0
		.amdhsa_exception_fp_ieee_invalid_op 0
		.amdhsa_exception_fp_denorm_src 0
		.amdhsa_exception_fp_ieee_div_zero 0
		.amdhsa_exception_fp_ieee_overflow 0
		.amdhsa_exception_fp_ieee_underflow 0
		.amdhsa_exception_fp_ieee_inexact 0
		.amdhsa_exception_int_div_zero 0
	.end_amdhsa_kernel
	.section	.text._ZN7rocprim17ROCPRIM_400000_NS6detail17trampoline_kernelINS0_13select_configILj256ELj13ELNS0_17block_load_methodE3ELS4_3ELS4_3ELNS0_20block_scan_algorithmE0ELj4294967295EEENS1_25partition_config_selectorILNS1_17partition_subalgoE4EjNS0_10empty_typeEbEEZZNS1_14partition_implILS8_4ELb0ES6_15HIP_vector_typeIjLj2EENS0_17counting_iteratorIjlEEPS9_SG_NS0_5tupleIJPjSI_NS0_16reverse_iteratorISI_EEEEENSH_IJSG_SG_SG_EEES9_SI_JZNS1_25segmented_radix_sort_implINS0_14default_configELb1EPKsPsPKlPlN2at6native12_GLOBAL__N_18offset_tEEE10hipError_tPvRmT1_PNSt15iterator_traitsIS12_E10value_typeET2_T3_PNS13_IS18_E10value_typeET4_jRbjT5_S1E_jjP12ihipStream_tbEUljE_ZNSN_ISO_Lb1ESQ_SR_ST_SU_SY_EESZ_S10_S11_S12_S16_S17_S18_S1B_S1C_jS1D_jS1E_S1E_jjS1G_bEUljE0_EEESZ_S10_S11_S18_S1C_S1E_T6_T7_T9_mT8_S1G_bDpT10_ENKUlT_T0_E_clISt17integral_constantIbLb0EES1U_EEDaS1P_S1Q_EUlS1P_E_NS1_11comp_targetILNS1_3genE4ELNS1_11target_archE910ELNS1_3gpuE8ELNS1_3repE0EEENS1_30default_config_static_selectorELNS0_4arch9wavefront6targetE1EEEvS12_,"axG",@progbits,_ZN7rocprim17ROCPRIM_400000_NS6detail17trampoline_kernelINS0_13select_configILj256ELj13ELNS0_17block_load_methodE3ELS4_3ELS4_3ELNS0_20block_scan_algorithmE0ELj4294967295EEENS1_25partition_config_selectorILNS1_17partition_subalgoE4EjNS0_10empty_typeEbEEZZNS1_14partition_implILS8_4ELb0ES6_15HIP_vector_typeIjLj2EENS0_17counting_iteratorIjlEEPS9_SG_NS0_5tupleIJPjSI_NS0_16reverse_iteratorISI_EEEEENSH_IJSG_SG_SG_EEES9_SI_JZNS1_25segmented_radix_sort_implINS0_14default_configELb1EPKsPsPKlPlN2at6native12_GLOBAL__N_18offset_tEEE10hipError_tPvRmT1_PNSt15iterator_traitsIS12_E10value_typeET2_T3_PNS13_IS18_E10value_typeET4_jRbjT5_S1E_jjP12ihipStream_tbEUljE_ZNSN_ISO_Lb1ESQ_SR_ST_SU_SY_EESZ_S10_S11_S12_S16_S17_S18_S1B_S1C_jS1D_jS1E_S1E_jjS1G_bEUljE0_EEESZ_S10_S11_S18_S1C_S1E_T6_T7_T9_mT8_S1G_bDpT10_ENKUlT_T0_E_clISt17integral_constantIbLb0EES1U_EEDaS1P_S1Q_EUlS1P_E_NS1_11comp_targetILNS1_3genE4ELNS1_11target_archE910ELNS1_3gpuE8ELNS1_3repE0EEENS1_30default_config_static_selectorELNS0_4arch9wavefront6targetE1EEEvS12_,comdat
.Lfunc_end849:
	.size	_ZN7rocprim17ROCPRIM_400000_NS6detail17trampoline_kernelINS0_13select_configILj256ELj13ELNS0_17block_load_methodE3ELS4_3ELS4_3ELNS0_20block_scan_algorithmE0ELj4294967295EEENS1_25partition_config_selectorILNS1_17partition_subalgoE4EjNS0_10empty_typeEbEEZZNS1_14partition_implILS8_4ELb0ES6_15HIP_vector_typeIjLj2EENS0_17counting_iteratorIjlEEPS9_SG_NS0_5tupleIJPjSI_NS0_16reverse_iteratorISI_EEEEENSH_IJSG_SG_SG_EEES9_SI_JZNS1_25segmented_radix_sort_implINS0_14default_configELb1EPKsPsPKlPlN2at6native12_GLOBAL__N_18offset_tEEE10hipError_tPvRmT1_PNSt15iterator_traitsIS12_E10value_typeET2_T3_PNS13_IS18_E10value_typeET4_jRbjT5_S1E_jjP12ihipStream_tbEUljE_ZNSN_ISO_Lb1ESQ_SR_ST_SU_SY_EESZ_S10_S11_S12_S16_S17_S18_S1B_S1C_jS1D_jS1E_S1E_jjS1G_bEUljE0_EEESZ_S10_S11_S18_S1C_S1E_T6_T7_T9_mT8_S1G_bDpT10_ENKUlT_T0_E_clISt17integral_constantIbLb0EES1U_EEDaS1P_S1Q_EUlS1P_E_NS1_11comp_targetILNS1_3genE4ELNS1_11target_archE910ELNS1_3gpuE8ELNS1_3repE0EEENS1_30default_config_static_selectorELNS0_4arch9wavefront6targetE1EEEvS12_, .Lfunc_end849-_ZN7rocprim17ROCPRIM_400000_NS6detail17trampoline_kernelINS0_13select_configILj256ELj13ELNS0_17block_load_methodE3ELS4_3ELS4_3ELNS0_20block_scan_algorithmE0ELj4294967295EEENS1_25partition_config_selectorILNS1_17partition_subalgoE4EjNS0_10empty_typeEbEEZZNS1_14partition_implILS8_4ELb0ES6_15HIP_vector_typeIjLj2EENS0_17counting_iteratorIjlEEPS9_SG_NS0_5tupleIJPjSI_NS0_16reverse_iteratorISI_EEEEENSH_IJSG_SG_SG_EEES9_SI_JZNS1_25segmented_radix_sort_implINS0_14default_configELb1EPKsPsPKlPlN2at6native12_GLOBAL__N_18offset_tEEE10hipError_tPvRmT1_PNSt15iterator_traitsIS12_E10value_typeET2_T3_PNS13_IS18_E10value_typeET4_jRbjT5_S1E_jjP12ihipStream_tbEUljE_ZNSN_ISO_Lb1ESQ_SR_ST_SU_SY_EESZ_S10_S11_S12_S16_S17_S18_S1B_S1C_jS1D_jS1E_S1E_jjS1G_bEUljE0_EEESZ_S10_S11_S18_S1C_S1E_T6_T7_T9_mT8_S1G_bDpT10_ENKUlT_T0_E_clISt17integral_constantIbLb0EES1U_EEDaS1P_S1Q_EUlS1P_E_NS1_11comp_targetILNS1_3genE4ELNS1_11target_archE910ELNS1_3gpuE8ELNS1_3repE0EEENS1_30default_config_static_selectorELNS0_4arch9wavefront6targetE1EEEvS12_
                                        ; -- End function
	.section	.AMDGPU.csdata,"",@progbits
; Kernel info:
; codeLenInByte = 13332
; NumSgprs: 94
; NumVgprs: 102
; NumAgprs: 0
; TotalNumVgprs: 102
; ScratchSize: 0
; MemoryBound: 0
; FloatMode: 240
; IeeeMode: 1
; LDSByteSize: 13340 bytes/workgroup (compile time only)
; SGPRBlocks: 11
; VGPRBlocks: 12
; NumSGPRsForWavesPerEU: 94
; NumVGPRsForWavesPerEU: 102
; AccumOffset: 104
; Occupancy: 4
; WaveLimiterHint : 1
; COMPUTE_PGM_RSRC2:SCRATCH_EN: 0
; COMPUTE_PGM_RSRC2:USER_SGPR: 6
; COMPUTE_PGM_RSRC2:TRAP_HANDLER: 0
; COMPUTE_PGM_RSRC2:TGID_X_EN: 1
; COMPUTE_PGM_RSRC2:TGID_Y_EN: 0
; COMPUTE_PGM_RSRC2:TGID_Z_EN: 0
; COMPUTE_PGM_RSRC2:TIDIG_COMP_CNT: 0
; COMPUTE_PGM_RSRC3_GFX90A:ACCUM_OFFSET: 25
; COMPUTE_PGM_RSRC3_GFX90A:TG_SPLIT: 0
	.section	.text._ZN7rocprim17ROCPRIM_400000_NS6detail17trampoline_kernelINS0_13select_configILj256ELj13ELNS0_17block_load_methodE3ELS4_3ELS4_3ELNS0_20block_scan_algorithmE0ELj4294967295EEENS1_25partition_config_selectorILNS1_17partition_subalgoE4EjNS0_10empty_typeEbEEZZNS1_14partition_implILS8_4ELb0ES6_15HIP_vector_typeIjLj2EENS0_17counting_iteratorIjlEEPS9_SG_NS0_5tupleIJPjSI_NS0_16reverse_iteratorISI_EEEEENSH_IJSG_SG_SG_EEES9_SI_JZNS1_25segmented_radix_sort_implINS0_14default_configELb1EPKsPsPKlPlN2at6native12_GLOBAL__N_18offset_tEEE10hipError_tPvRmT1_PNSt15iterator_traitsIS12_E10value_typeET2_T3_PNS13_IS18_E10value_typeET4_jRbjT5_S1E_jjP12ihipStream_tbEUljE_ZNSN_ISO_Lb1ESQ_SR_ST_SU_SY_EESZ_S10_S11_S12_S16_S17_S18_S1B_S1C_jS1D_jS1E_S1E_jjS1G_bEUljE0_EEESZ_S10_S11_S18_S1C_S1E_T6_T7_T9_mT8_S1G_bDpT10_ENKUlT_T0_E_clISt17integral_constantIbLb0EES1U_EEDaS1P_S1Q_EUlS1P_E_NS1_11comp_targetILNS1_3genE3ELNS1_11target_archE908ELNS1_3gpuE7ELNS1_3repE0EEENS1_30default_config_static_selectorELNS0_4arch9wavefront6targetE1EEEvS12_,"axG",@progbits,_ZN7rocprim17ROCPRIM_400000_NS6detail17trampoline_kernelINS0_13select_configILj256ELj13ELNS0_17block_load_methodE3ELS4_3ELS4_3ELNS0_20block_scan_algorithmE0ELj4294967295EEENS1_25partition_config_selectorILNS1_17partition_subalgoE4EjNS0_10empty_typeEbEEZZNS1_14partition_implILS8_4ELb0ES6_15HIP_vector_typeIjLj2EENS0_17counting_iteratorIjlEEPS9_SG_NS0_5tupleIJPjSI_NS0_16reverse_iteratorISI_EEEEENSH_IJSG_SG_SG_EEES9_SI_JZNS1_25segmented_radix_sort_implINS0_14default_configELb1EPKsPsPKlPlN2at6native12_GLOBAL__N_18offset_tEEE10hipError_tPvRmT1_PNSt15iterator_traitsIS12_E10value_typeET2_T3_PNS13_IS18_E10value_typeET4_jRbjT5_S1E_jjP12ihipStream_tbEUljE_ZNSN_ISO_Lb1ESQ_SR_ST_SU_SY_EESZ_S10_S11_S12_S16_S17_S18_S1B_S1C_jS1D_jS1E_S1E_jjS1G_bEUljE0_EEESZ_S10_S11_S18_S1C_S1E_T6_T7_T9_mT8_S1G_bDpT10_ENKUlT_T0_E_clISt17integral_constantIbLb0EES1U_EEDaS1P_S1Q_EUlS1P_E_NS1_11comp_targetILNS1_3genE3ELNS1_11target_archE908ELNS1_3gpuE7ELNS1_3repE0EEENS1_30default_config_static_selectorELNS0_4arch9wavefront6targetE1EEEvS12_,comdat
	.globl	_ZN7rocprim17ROCPRIM_400000_NS6detail17trampoline_kernelINS0_13select_configILj256ELj13ELNS0_17block_load_methodE3ELS4_3ELS4_3ELNS0_20block_scan_algorithmE0ELj4294967295EEENS1_25partition_config_selectorILNS1_17partition_subalgoE4EjNS0_10empty_typeEbEEZZNS1_14partition_implILS8_4ELb0ES6_15HIP_vector_typeIjLj2EENS0_17counting_iteratorIjlEEPS9_SG_NS0_5tupleIJPjSI_NS0_16reverse_iteratorISI_EEEEENSH_IJSG_SG_SG_EEES9_SI_JZNS1_25segmented_radix_sort_implINS0_14default_configELb1EPKsPsPKlPlN2at6native12_GLOBAL__N_18offset_tEEE10hipError_tPvRmT1_PNSt15iterator_traitsIS12_E10value_typeET2_T3_PNS13_IS18_E10value_typeET4_jRbjT5_S1E_jjP12ihipStream_tbEUljE_ZNSN_ISO_Lb1ESQ_SR_ST_SU_SY_EESZ_S10_S11_S12_S16_S17_S18_S1B_S1C_jS1D_jS1E_S1E_jjS1G_bEUljE0_EEESZ_S10_S11_S18_S1C_S1E_T6_T7_T9_mT8_S1G_bDpT10_ENKUlT_T0_E_clISt17integral_constantIbLb0EES1U_EEDaS1P_S1Q_EUlS1P_E_NS1_11comp_targetILNS1_3genE3ELNS1_11target_archE908ELNS1_3gpuE7ELNS1_3repE0EEENS1_30default_config_static_selectorELNS0_4arch9wavefront6targetE1EEEvS12_ ; -- Begin function _ZN7rocprim17ROCPRIM_400000_NS6detail17trampoline_kernelINS0_13select_configILj256ELj13ELNS0_17block_load_methodE3ELS4_3ELS4_3ELNS0_20block_scan_algorithmE0ELj4294967295EEENS1_25partition_config_selectorILNS1_17partition_subalgoE4EjNS0_10empty_typeEbEEZZNS1_14partition_implILS8_4ELb0ES6_15HIP_vector_typeIjLj2EENS0_17counting_iteratorIjlEEPS9_SG_NS0_5tupleIJPjSI_NS0_16reverse_iteratorISI_EEEEENSH_IJSG_SG_SG_EEES9_SI_JZNS1_25segmented_radix_sort_implINS0_14default_configELb1EPKsPsPKlPlN2at6native12_GLOBAL__N_18offset_tEEE10hipError_tPvRmT1_PNSt15iterator_traitsIS12_E10value_typeET2_T3_PNS13_IS18_E10value_typeET4_jRbjT5_S1E_jjP12ihipStream_tbEUljE_ZNSN_ISO_Lb1ESQ_SR_ST_SU_SY_EESZ_S10_S11_S12_S16_S17_S18_S1B_S1C_jS1D_jS1E_S1E_jjS1G_bEUljE0_EEESZ_S10_S11_S18_S1C_S1E_T6_T7_T9_mT8_S1G_bDpT10_ENKUlT_T0_E_clISt17integral_constantIbLb0EES1U_EEDaS1P_S1Q_EUlS1P_E_NS1_11comp_targetILNS1_3genE3ELNS1_11target_archE908ELNS1_3gpuE7ELNS1_3repE0EEENS1_30default_config_static_selectorELNS0_4arch9wavefront6targetE1EEEvS12_
	.p2align	8
	.type	_ZN7rocprim17ROCPRIM_400000_NS6detail17trampoline_kernelINS0_13select_configILj256ELj13ELNS0_17block_load_methodE3ELS4_3ELS4_3ELNS0_20block_scan_algorithmE0ELj4294967295EEENS1_25partition_config_selectorILNS1_17partition_subalgoE4EjNS0_10empty_typeEbEEZZNS1_14partition_implILS8_4ELb0ES6_15HIP_vector_typeIjLj2EENS0_17counting_iteratorIjlEEPS9_SG_NS0_5tupleIJPjSI_NS0_16reverse_iteratorISI_EEEEENSH_IJSG_SG_SG_EEES9_SI_JZNS1_25segmented_radix_sort_implINS0_14default_configELb1EPKsPsPKlPlN2at6native12_GLOBAL__N_18offset_tEEE10hipError_tPvRmT1_PNSt15iterator_traitsIS12_E10value_typeET2_T3_PNS13_IS18_E10value_typeET4_jRbjT5_S1E_jjP12ihipStream_tbEUljE_ZNSN_ISO_Lb1ESQ_SR_ST_SU_SY_EESZ_S10_S11_S12_S16_S17_S18_S1B_S1C_jS1D_jS1E_S1E_jjS1G_bEUljE0_EEESZ_S10_S11_S18_S1C_S1E_T6_T7_T9_mT8_S1G_bDpT10_ENKUlT_T0_E_clISt17integral_constantIbLb0EES1U_EEDaS1P_S1Q_EUlS1P_E_NS1_11comp_targetILNS1_3genE3ELNS1_11target_archE908ELNS1_3gpuE7ELNS1_3repE0EEENS1_30default_config_static_selectorELNS0_4arch9wavefront6targetE1EEEvS12_,@function
_ZN7rocprim17ROCPRIM_400000_NS6detail17trampoline_kernelINS0_13select_configILj256ELj13ELNS0_17block_load_methodE3ELS4_3ELS4_3ELNS0_20block_scan_algorithmE0ELj4294967295EEENS1_25partition_config_selectorILNS1_17partition_subalgoE4EjNS0_10empty_typeEbEEZZNS1_14partition_implILS8_4ELb0ES6_15HIP_vector_typeIjLj2EENS0_17counting_iteratorIjlEEPS9_SG_NS0_5tupleIJPjSI_NS0_16reverse_iteratorISI_EEEEENSH_IJSG_SG_SG_EEES9_SI_JZNS1_25segmented_radix_sort_implINS0_14default_configELb1EPKsPsPKlPlN2at6native12_GLOBAL__N_18offset_tEEE10hipError_tPvRmT1_PNSt15iterator_traitsIS12_E10value_typeET2_T3_PNS13_IS18_E10value_typeET4_jRbjT5_S1E_jjP12ihipStream_tbEUljE_ZNSN_ISO_Lb1ESQ_SR_ST_SU_SY_EESZ_S10_S11_S12_S16_S17_S18_S1B_S1C_jS1D_jS1E_S1E_jjS1G_bEUljE0_EEESZ_S10_S11_S18_S1C_S1E_T6_T7_T9_mT8_S1G_bDpT10_ENKUlT_T0_E_clISt17integral_constantIbLb0EES1U_EEDaS1P_S1Q_EUlS1P_E_NS1_11comp_targetILNS1_3genE3ELNS1_11target_archE908ELNS1_3gpuE7ELNS1_3repE0EEENS1_30default_config_static_selectorELNS0_4arch9wavefront6targetE1EEEvS12_: ; @_ZN7rocprim17ROCPRIM_400000_NS6detail17trampoline_kernelINS0_13select_configILj256ELj13ELNS0_17block_load_methodE3ELS4_3ELS4_3ELNS0_20block_scan_algorithmE0ELj4294967295EEENS1_25partition_config_selectorILNS1_17partition_subalgoE4EjNS0_10empty_typeEbEEZZNS1_14partition_implILS8_4ELb0ES6_15HIP_vector_typeIjLj2EENS0_17counting_iteratorIjlEEPS9_SG_NS0_5tupleIJPjSI_NS0_16reverse_iteratorISI_EEEEENSH_IJSG_SG_SG_EEES9_SI_JZNS1_25segmented_radix_sort_implINS0_14default_configELb1EPKsPsPKlPlN2at6native12_GLOBAL__N_18offset_tEEE10hipError_tPvRmT1_PNSt15iterator_traitsIS12_E10value_typeET2_T3_PNS13_IS18_E10value_typeET4_jRbjT5_S1E_jjP12ihipStream_tbEUljE_ZNSN_ISO_Lb1ESQ_SR_ST_SU_SY_EESZ_S10_S11_S12_S16_S17_S18_S1B_S1C_jS1D_jS1E_S1E_jjS1G_bEUljE0_EEESZ_S10_S11_S18_S1C_S1E_T6_T7_T9_mT8_S1G_bDpT10_ENKUlT_T0_E_clISt17integral_constantIbLb0EES1U_EEDaS1P_S1Q_EUlS1P_E_NS1_11comp_targetILNS1_3genE3ELNS1_11target_archE908ELNS1_3gpuE7ELNS1_3repE0EEENS1_30default_config_static_selectorELNS0_4arch9wavefront6targetE1EEEvS12_
; %bb.0:
	.section	.rodata,"a",@progbits
	.p2align	6, 0x0
	.amdhsa_kernel _ZN7rocprim17ROCPRIM_400000_NS6detail17trampoline_kernelINS0_13select_configILj256ELj13ELNS0_17block_load_methodE3ELS4_3ELS4_3ELNS0_20block_scan_algorithmE0ELj4294967295EEENS1_25partition_config_selectorILNS1_17partition_subalgoE4EjNS0_10empty_typeEbEEZZNS1_14partition_implILS8_4ELb0ES6_15HIP_vector_typeIjLj2EENS0_17counting_iteratorIjlEEPS9_SG_NS0_5tupleIJPjSI_NS0_16reverse_iteratorISI_EEEEENSH_IJSG_SG_SG_EEES9_SI_JZNS1_25segmented_radix_sort_implINS0_14default_configELb1EPKsPsPKlPlN2at6native12_GLOBAL__N_18offset_tEEE10hipError_tPvRmT1_PNSt15iterator_traitsIS12_E10value_typeET2_T3_PNS13_IS18_E10value_typeET4_jRbjT5_S1E_jjP12ihipStream_tbEUljE_ZNSN_ISO_Lb1ESQ_SR_ST_SU_SY_EESZ_S10_S11_S12_S16_S17_S18_S1B_S1C_jS1D_jS1E_S1E_jjS1G_bEUljE0_EEESZ_S10_S11_S18_S1C_S1E_T6_T7_T9_mT8_S1G_bDpT10_ENKUlT_T0_E_clISt17integral_constantIbLb0EES1U_EEDaS1P_S1Q_EUlS1P_E_NS1_11comp_targetILNS1_3genE3ELNS1_11target_archE908ELNS1_3gpuE7ELNS1_3repE0EEENS1_30default_config_static_selectorELNS0_4arch9wavefront6targetE1EEEvS12_
		.amdhsa_group_segment_fixed_size 0
		.amdhsa_private_segment_fixed_size 0
		.amdhsa_kernarg_size 176
		.amdhsa_user_sgpr_count 6
		.amdhsa_user_sgpr_private_segment_buffer 1
		.amdhsa_user_sgpr_dispatch_ptr 0
		.amdhsa_user_sgpr_queue_ptr 0
		.amdhsa_user_sgpr_kernarg_segment_ptr 1
		.amdhsa_user_sgpr_dispatch_id 0
		.amdhsa_user_sgpr_flat_scratch_init 0
		.amdhsa_user_sgpr_kernarg_preload_length 0
		.amdhsa_user_sgpr_kernarg_preload_offset 0
		.amdhsa_user_sgpr_private_segment_size 0
		.amdhsa_uses_dynamic_stack 0
		.amdhsa_system_sgpr_private_segment_wavefront_offset 0
		.amdhsa_system_sgpr_workgroup_id_x 1
		.amdhsa_system_sgpr_workgroup_id_y 0
		.amdhsa_system_sgpr_workgroup_id_z 0
		.amdhsa_system_sgpr_workgroup_info 0
		.amdhsa_system_vgpr_workitem_id 0
		.amdhsa_next_free_vgpr 1
		.amdhsa_next_free_sgpr 0
		.amdhsa_accum_offset 4
		.amdhsa_reserve_vcc 0
		.amdhsa_reserve_flat_scratch 0
		.amdhsa_float_round_mode_32 0
		.amdhsa_float_round_mode_16_64 0
		.amdhsa_float_denorm_mode_32 3
		.amdhsa_float_denorm_mode_16_64 3
		.amdhsa_dx10_clamp 1
		.amdhsa_ieee_mode 1
		.amdhsa_fp16_overflow 0
		.amdhsa_tg_split 0
		.amdhsa_exception_fp_ieee_invalid_op 0
		.amdhsa_exception_fp_denorm_src 0
		.amdhsa_exception_fp_ieee_div_zero 0
		.amdhsa_exception_fp_ieee_overflow 0
		.amdhsa_exception_fp_ieee_underflow 0
		.amdhsa_exception_fp_ieee_inexact 0
		.amdhsa_exception_int_div_zero 0
	.end_amdhsa_kernel
	.section	.text._ZN7rocprim17ROCPRIM_400000_NS6detail17trampoline_kernelINS0_13select_configILj256ELj13ELNS0_17block_load_methodE3ELS4_3ELS4_3ELNS0_20block_scan_algorithmE0ELj4294967295EEENS1_25partition_config_selectorILNS1_17partition_subalgoE4EjNS0_10empty_typeEbEEZZNS1_14partition_implILS8_4ELb0ES6_15HIP_vector_typeIjLj2EENS0_17counting_iteratorIjlEEPS9_SG_NS0_5tupleIJPjSI_NS0_16reverse_iteratorISI_EEEEENSH_IJSG_SG_SG_EEES9_SI_JZNS1_25segmented_radix_sort_implINS0_14default_configELb1EPKsPsPKlPlN2at6native12_GLOBAL__N_18offset_tEEE10hipError_tPvRmT1_PNSt15iterator_traitsIS12_E10value_typeET2_T3_PNS13_IS18_E10value_typeET4_jRbjT5_S1E_jjP12ihipStream_tbEUljE_ZNSN_ISO_Lb1ESQ_SR_ST_SU_SY_EESZ_S10_S11_S12_S16_S17_S18_S1B_S1C_jS1D_jS1E_S1E_jjS1G_bEUljE0_EEESZ_S10_S11_S18_S1C_S1E_T6_T7_T9_mT8_S1G_bDpT10_ENKUlT_T0_E_clISt17integral_constantIbLb0EES1U_EEDaS1P_S1Q_EUlS1P_E_NS1_11comp_targetILNS1_3genE3ELNS1_11target_archE908ELNS1_3gpuE7ELNS1_3repE0EEENS1_30default_config_static_selectorELNS0_4arch9wavefront6targetE1EEEvS12_,"axG",@progbits,_ZN7rocprim17ROCPRIM_400000_NS6detail17trampoline_kernelINS0_13select_configILj256ELj13ELNS0_17block_load_methodE3ELS4_3ELS4_3ELNS0_20block_scan_algorithmE0ELj4294967295EEENS1_25partition_config_selectorILNS1_17partition_subalgoE4EjNS0_10empty_typeEbEEZZNS1_14partition_implILS8_4ELb0ES6_15HIP_vector_typeIjLj2EENS0_17counting_iteratorIjlEEPS9_SG_NS0_5tupleIJPjSI_NS0_16reverse_iteratorISI_EEEEENSH_IJSG_SG_SG_EEES9_SI_JZNS1_25segmented_radix_sort_implINS0_14default_configELb1EPKsPsPKlPlN2at6native12_GLOBAL__N_18offset_tEEE10hipError_tPvRmT1_PNSt15iterator_traitsIS12_E10value_typeET2_T3_PNS13_IS18_E10value_typeET4_jRbjT5_S1E_jjP12ihipStream_tbEUljE_ZNSN_ISO_Lb1ESQ_SR_ST_SU_SY_EESZ_S10_S11_S12_S16_S17_S18_S1B_S1C_jS1D_jS1E_S1E_jjS1G_bEUljE0_EEESZ_S10_S11_S18_S1C_S1E_T6_T7_T9_mT8_S1G_bDpT10_ENKUlT_T0_E_clISt17integral_constantIbLb0EES1U_EEDaS1P_S1Q_EUlS1P_E_NS1_11comp_targetILNS1_3genE3ELNS1_11target_archE908ELNS1_3gpuE7ELNS1_3repE0EEENS1_30default_config_static_selectorELNS0_4arch9wavefront6targetE1EEEvS12_,comdat
.Lfunc_end850:
	.size	_ZN7rocprim17ROCPRIM_400000_NS6detail17trampoline_kernelINS0_13select_configILj256ELj13ELNS0_17block_load_methodE3ELS4_3ELS4_3ELNS0_20block_scan_algorithmE0ELj4294967295EEENS1_25partition_config_selectorILNS1_17partition_subalgoE4EjNS0_10empty_typeEbEEZZNS1_14partition_implILS8_4ELb0ES6_15HIP_vector_typeIjLj2EENS0_17counting_iteratorIjlEEPS9_SG_NS0_5tupleIJPjSI_NS0_16reverse_iteratorISI_EEEEENSH_IJSG_SG_SG_EEES9_SI_JZNS1_25segmented_radix_sort_implINS0_14default_configELb1EPKsPsPKlPlN2at6native12_GLOBAL__N_18offset_tEEE10hipError_tPvRmT1_PNSt15iterator_traitsIS12_E10value_typeET2_T3_PNS13_IS18_E10value_typeET4_jRbjT5_S1E_jjP12ihipStream_tbEUljE_ZNSN_ISO_Lb1ESQ_SR_ST_SU_SY_EESZ_S10_S11_S12_S16_S17_S18_S1B_S1C_jS1D_jS1E_S1E_jjS1G_bEUljE0_EEESZ_S10_S11_S18_S1C_S1E_T6_T7_T9_mT8_S1G_bDpT10_ENKUlT_T0_E_clISt17integral_constantIbLb0EES1U_EEDaS1P_S1Q_EUlS1P_E_NS1_11comp_targetILNS1_3genE3ELNS1_11target_archE908ELNS1_3gpuE7ELNS1_3repE0EEENS1_30default_config_static_selectorELNS0_4arch9wavefront6targetE1EEEvS12_, .Lfunc_end850-_ZN7rocprim17ROCPRIM_400000_NS6detail17trampoline_kernelINS0_13select_configILj256ELj13ELNS0_17block_load_methodE3ELS4_3ELS4_3ELNS0_20block_scan_algorithmE0ELj4294967295EEENS1_25partition_config_selectorILNS1_17partition_subalgoE4EjNS0_10empty_typeEbEEZZNS1_14partition_implILS8_4ELb0ES6_15HIP_vector_typeIjLj2EENS0_17counting_iteratorIjlEEPS9_SG_NS0_5tupleIJPjSI_NS0_16reverse_iteratorISI_EEEEENSH_IJSG_SG_SG_EEES9_SI_JZNS1_25segmented_radix_sort_implINS0_14default_configELb1EPKsPsPKlPlN2at6native12_GLOBAL__N_18offset_tEEE10hipError_tPvRmT1_PNSt15iterator_traitsIS12_E10value_typeET2_T3_PNS13_IS18_E10value_typeET4_jRbjT5_S1E_jjP12ihipStream_tbEUljE_ZNSN_ISO_Lb1ESQ_SR_ST_SU_SY_EESZ_S10_S11_S12_S16_S17_S18_S1B_S1C_jS1D_jS1E_S1E_jjS1G_bEUljE0_EEESZ_S10_S11_S18_S1C_S1E_T6_T7_T9_mT8_S1G_bDpT10_ENKUlT_T0_E_clISt17integral_constantIbLb0EES1U_EEDaS1P_S1Q_EUlS1P_E_NS1_11comp_targetILNS1_3genE3ELNS1_11target_archE908ELNS1_3gpuE7ELNS1_3repE0EEENS1_30default_config_static_selectorELNS0_4arch9wavefront6targetE1EEEvS12_
                                        ; -- End function
	.section	.AMDGPU.csdata,"",@progbits
; Kernel info:
; codeLenInByte = 0
; NumSgprs: 4
; NumVgprs: 0
; NumAgprs: 0
; TotalNumVgprs: 0
; ScratchSize: 0
; MemoryBound: 0
; FloatMode: 240
; IeeeMode: 1
; LDSByteSize: 0 bytes/workgroup (compile time only)
; SGPRBlocks: 0
; VGPRBlocks: 0
; NumSGPRsForWavesPerEU: 4
; NumVGPRsForWavesPerEU: 1
; AccumOffset: 4
; Occupancy: 8
; WaveLimiterHint : 0
; COMPUTE_PGM_RSRC2:SCRATCH_EN: 0
; COMPUTE_PGM_RSRC2:USER_SGPR: 6
; COMPUTE_PGM_RSRC2:TRAP_HANDLER: 0
; COMPUTE_PGM_RSRC2:TGID_X_EN: 1
; COMPUTE_PGM_RSRC2:TGID_Y_EN: 0
; COMPUTE_PGM_RSRC2:TGID_Z_EN: 0
; COMPUTE_PGM_RSRC2:TIDIG_COMP_CNT: 0
; COMPUTE_PGM_RSRC3_GFX90A:ACCUM_OFFSET: 0
; COMPUTE_PGM_RSRC3_GFX90A:TG_SPLIT: 0
	.section	.text._ZN7rocprim17ROCPRIM_400000_NS6detail17trampoline_kernelINS0_13select_configILj256ELj13ELNS0_17block_load_methodE3ELS4_3ELS4_3ELNS0_20block_scan_algorithmE0ELj4294967295EEENS1_25partition_config_selectorILNS1_17partition_subalgoE4EjNS0_10empty_typeEbEEZZNS1_14partition_implILS8_4ELb0ES6_15HIP_vector_typeIjLj2EENS0_17counting_iteratorIjlEEPS9_SG_NS0_5tupleIJPjSI_NS0_16reverse_iteratorISI_EEEEENSH_IJSG_SG_SG_EEES9_SI_JZNS1_25segmented_radix_sort_implINS0_14default_configELb1EPKsPsPKlPlN2at6native12_GLOBAL__N_18offset_tEEE10hipError_tPvRmT1_PNSt15iterator_traitsIS12_E10value_typeET2_T3_PNS13_IS18_E10value_typeET4_jRbjT5_S1E_jjP12ihipStream_tbEUljE_ZNSN_ISO_Lb1ESQ_SR_ST_SU_SY_EESZ_S10_S11_S12_S16_S17_S18_S1B_S1C_jS1D_jS1E_S1E_jjS1G_bEUljE0_EEESZ_S10_S11_S18_S1C_S1E_T6_T7_T9_mT8_S1G_bDpT10_ENKUlT_T0_E_clISt17integral_constantIbLb0EES1U_EEDaS1P_S1Q_EUlS1P_E_NS1_11comp_targetILNS1_3genE2ELNS1_11target_archE906ELNS1_3gpuE6ELNS1_3repE0EEENS1_30default_config_static_selectorELNS0_4arch9wavefront6targetE1EEEvS12_,"axG",@progbits,_ZN7rocprim17ROCPRIM_400000_NS6detail17trampoline_kernelINS0_13select_configILj256ELj13ELNS0_17block_load_methodE3ELS4_3ELS4_3ELNS0_20block_scan_algorithmE0ELj4294967295EEENS1_25partition_config_selectorILNS1_17partition_subalgoE4EjNS0_10empty_typeEbEEZZNS1_14partition_implILS8_4ELb0ES6_15HIP_vector_typeIjLj2EENS0_17counting_iteratorIjlEEPS9_SG_NS0_5tupleIJPjSI_NS0_16reverse_iteratorISI_EEEEENSH_IJSG_SG_SG_EEES9_SI_JZNS1_25segmented_radix_sort_implINS0_14default_configELb1EPKsPsPKlPlN2at6native12_GLOBAL__N_18offset_tEEE10hipError_tPvRmT1_PNSt15iterator_traitsIS12_E10value_typeET2_T3_PNS13_IS18_E10value_typeET4_jRbjT5_S1E_jjP12ihipStream_tbEUljE_ZNSN_ISO_Lb1ESQ_SR_ST_SU_SY_EESZ_S10_S11_S12_S16_S17_S18_S1B_S1C_jS1D_jS1E_S1E_jjS1G_bEUljE0_EEESZ_S10_S11_S18_S1C_S1E_T6_T7_T9_mT8_S1G_bDpT10_ENKUlT_T0_E_clISt17integral_constantIbLb0EES1U_EEDaS1P_S1Q_EUlS1P_E_NS1_11comp_targetILNS1_3genE2ELNS1_11target_archE906ELNS1_3gpuE6ELNS1_3repE0EEENS1_30default_config_static_selectorELNS0_4arch9wavefront6targetE1EEEvS12_,comdat
	.globl	_ZN7rocprim17ROCPRIM_400000_NS6detail17trampoline_kernelINS0_13select_configILj256ELj13ELNS0_17block_load_methodE3ELS4_3ELS4_3ELNS0_20block_scan_algorithmE0ELj4294967295EEENS1_25partition_config_selectorILNS1_17partition_subalgoE4EjNS0_10empty_typeEbEEZZNS1_14partition_implILS8_4ELb0ES6_15HIP_vector_typeIjLj2EENS0_17counting_iteratorIjlEEPS9_SG_NS0_5tupleIJPjSI_NS0_16reverse_iteratorISI_EEEEENSH_IJSG_SG_SG_EEES9_SI_JZNS1_25segmented_radix_sort_implINS0_14default_configELb1EPKsPsPKlPlN2at6native12_GLOBAL__N_18offset_tEEE10hipError_tPvRmT1_PNSt15iterator_traitsIS12_E10value_typeET2_T3_PNS13_IS18_E10value_typeET4_jRbjT5_S1E_jjP12ihipStream_tbEUljE_ZNSN_ISO_Lb1ESQ_SR_ST_SU_SY_EESZ_S10_S11_S12_S16_S17_S18_S1B_S1C_jS1D_jS1E_S1E_jjS1G_bEUljE0_EEESZ_S10_S11_S18_S1C_S1E_T6_T7_T9_mT8_S1G_bDpT10_ENKUlT_T0_E_clISt17integral_constantIbLb0EES1U_EEDaS1P_S1Q_EUlS1P_E_NS1_11comp_targetILNS1_3genE2ELNS1_11target_archE906ELNS1_3gpuE6ELNS1_3repE0EEENS1_30default_config_static_selectorELNS0_4arch9wavefront6targetE1EEEvS12_ ; -- Begin function _ZN7rocprim17ROCPRIM_400000_NS6detail17trampoline_kernelINS0_13select_configILj256ELj13ELNS0_17block_load_methodE3ELS4_3ELS4_3ELNS0_20block_scan_algorithmE0ELj4294967295EEENS1_25partition_config_selectorILNS1_17partition_subalgoE4EjNS0_10empty_typeEbEEZZNS1_14partition_implILS8_4ELb0ES6_15HIP_vector_typeIjLj2EENS0_17counting_iteratorIjlEEPS9_SG_NS0_5tupleIJPjSI_NS0_16reverse_iteratorISI_EEEEENSH_IJSG_SG_SG_EEES9_SI_JZNS1_25segmented_radix_sort_implINS0_14default_configELb1EPKsPsPKlPlN2at6native12_GLOBAL__N_18offset_tEEE10hipError_tPvRmT1_PNSt15iterator_traitsIS12_E10value_typeET2_T3_PNS13_IS18_E10value_typeET4_jRbjT5_S1E_jjP12ihipStream_tbEUljE_ZNSN_ISO_Lb1ESQ_SR_ST_SU_SY_EESZ_S10_S11_S12_S16_S17_S18_S1B_S1C_jS1D_jS1E_S1E_jjS1G_bEUljE0_EEESZ_S10_S11_S18_S1C_S1E_T6_T7_T9_mT8_S1G_bDpT10_ENKUlT_T0_E_clISt17integral_constantIbLb0EES1U_EEDaS1P_S1Q_EUlS1P_E_NS1_11comp_targetILNS1_3genE2ELNS1_11target_archE906ELNS1_3gpuE6ELNS1_3repE0EEENS1_30default_config_static_selectorELNS0_4arch9wavefront6targetE1EEEvS12_
	.p2align	8
	.type	_ZN7rocprim17ROCPRIM_400000_NS6detail17trampoline_kernelINS0_13select_configILj256ELj13ELNS0_17block_load_methodE3ELS4_3ELS4_3ELNS0_20block_scan_algorithmE0ELj4294967295EEENS1_25partition_config_selectorILNS1_17partition_subalgoE4EjNS0_10empty_typeEbEEZZNS1_14partition_implILS8_4ELb0ES6_15HIP_vector_typeIjLj2EENS0_17counting_iteratorIjlEEPS9_SG_NS0_5tupleIJPjSI_NS0_16reverse_iteratorISI_EEEEENSH_IJSG_SG_SG_EEES9_SI_JZNS1_25segmented_radix_sort_implINS0_14default_configELb1EPKsPsPKlPlN2at6native12_GLOBAL__N_18offset_tEEE10hipError_tPvRmT1_PNSt15iterator_traitsIS12_E10value_typeET2_T3_PNS13_IS18_E10value_typeET4_jRbjT5_S1E_jjP12ihipStream_tbEUljE_ZNSN_ISO_Lb1ESQ_SR_ST_SU_SY_EESZ_S10_S11_S12_S16_S17_S18_S1B_S1C_jS1D_jS1E_S1E_jjS1G_bEUljE0_EEESZ_S10_S11_S18_S1C_S1E_T6_T7_T9_mT8_S1G_bDpT10_ENKUlT_T0_E_clISt17integral_constantIbLb0EES1U_EEDaS1P_S1Q_EUlS1P_E_NS1_11comp_targetILNS1_3genE2ELNS1_11target_archE906ELNS1_3gpuE6ELNS1_3repE0EEENS1_30default_config_static_selectorELNS0_4arch9wavefront6targetE1EEEvS12_,@function
_ZN7rocprim17ROCPRIM_400000_NS6detail17trampoline_kernelINS0_13select_configILj256ELj13ELNS0_17block_load_methodE3ELS4_3ELS4_3ELNS0_20block_scan_algorithmE0ELj4294967295EEENS1_25partition_config_selectorILNS1_17partition_subalgoE4EjNS0_10empty_typeEbEEZZNS1_14partition_implILS8_4ELb0ES6_15HIP_vector_typeIjLj2EENS0_17counting_iteratorIjlEEPS9_SG_NS0_5tupleIJPjSI_NS0_16reverse_iteratorISI_EEEEENSH_IJSG_SG_SG_EEES9_SI_JZNS1_25segmented_radix_sort_implINS0_14default_configELb1EPKsPsPKlPlN2at6native12_GLOBAL__N_18offset_tEEE10hipError_tPvRmT1_PNSt15iterator_traitsIS12_E10value_typeET2_T3_PNS13_IS18_E10value_typeET4_jRbjT5_S1E_jjP12ihipStream_tbEUljE_ZNSN_ISO_Lb1ESQ_SR_ST_SU_SY_EESZ_S10_S11_S12_S16_S17_S18_S1B_S1C_jS1D_jS1E_S1E_jjS1G_bEUljE0_EEESZ_S10_S11_S18_S1C_S1E_T6_T7_T9_mT8_S1G_bDpT10_ENKUlT_T0_E_clISt17integral_constantIbLb0EES1U_EEDaS1P_S1Q_EUlS1P_E_NS1_11comp_targetILNS1_3genE2ELNS1_11target_archE906ELNS1_3gpuE6ELNS1_3repE0EEENS1_30default_config_static_selectorELNS0_4arch9wavefront6targetE1EEEvS12_: ; @_ZN7rocprim17ROCPRIM_400000_NS6detail17trampoline_kernelINS0_13select_configILj256ELj13ELNS0_17block_load_methodE3ELS4_3ELS4_3ELNS0_20block_scan_algorithmE0ELj4294967295EEENS1_25partition_config_selectorILNS1_17partition_subalgoE4EjNS0_10empty_typeEbEEZZNS1_14partition_implILS8_4ELb0ES6_15HIP_vector_typeIjLj2EENS0_17counting_iteratorIjlEEPS9_SG_NS0_5tupleIJPjSI_NS0_16reverse_iteratorISI_EEEEENSH_IJSG_SG_SG_EEES9_SI_JZNS1_25segmented_radix_sort_implINS0_14default_configELb1EPKsPsPKlPlN2at6native12_GLOBAL__N_18offset_tEEE10hipError_tPvRmT1_PNSt15iterator_traitsIS12_E10value_typeET2_T3_PNS13_IS18_E10value_typeET4_jRbjT5_S1E_jjP12ihipStream_tbEUljE_ZNSN_ISO_Lb1ESQ_SR_ST_SU_SY_EESZ_S10_S11_S12_S16_S17_S18_S1B_S1C_jS1D_jS1E_S1E_jjS1G_bEUljE0_EEESZ_S10_S11_S18_S1C_S1E_T6_T7_T9_mT8_S1G_bDpT10_ENKUlT_T0_E_clISt17integral_constantIbLb0EES1U_EEDaS1P_S1Q_EUlS1P_E_NS1_11comp_targetILNS1_3genE2ELNS1_11target_archE906ELNS1_3gpuE6ELNS1_3repE0EEENS1_30default_config_static_selectorELNS0_4arch9wavefront6targetE1EEEvS12_
; %bb.0:
	.section	.rodata,"a",@progbits
	.p2align	6, 0x0
	.amdhsa_kernel _ZN7rocprim17ROCPRIM_400000_NS6detail17trampoline_kernelINS0_13select_configILj256ELj13ELNS0_17block_load_methodE3ELS4_3ELS4_3ELNS0_20block_scan_algorithmE0ELj4294967295EEENS1_25partition_config_selectorILNS1_17partition_subalgoE4EjNS0_10empty_typeEbEEZZNS1_14partition_implILS8_4ELb0ES6_15HIP_vector_typeIjLj2EENS0_17counting_iteratorIjlEEPS9_SG_NS0_5tupleIJPjSI_NS0_16reverse_iteratorISI_EEEEENSH_IJSG_SG_SG_EEES9_SI_JZNS1_25segmented_radix_sort_implINS0_14default_configELb1EPKsPsPKlPlN2at6native12_GLOBAL__N_18offset_tEEE10hipError_tPvRmT1_PNSt15iterator_traitsIS12_E10value_typeET2_T3_PNS13_IS18_E10value_typeET4_jRbjT5_S1E_jjP12ihipStream_tbEUljE_ZNSN_ISO_Lb1ESQ_SR_ST_SU_SY_EESZ_S10_S11_S12_S16_S17_S18_S1B_S1C_jS1D_jS1E_S1E_jjS1G_bEUljE0_EEESZ_S10_S11_S18_S1C_S1E_T6_T7_T9_mT8_S1G_bDpT10_ENKUlT_T0_E_clISt17integral_constantIbLb0EES1U_EEDaS1P_S1Q_EUlS1P_E_NS1_11comp_targetILNS1_3genE2ELNS1_11target_archE906ELNS1_3gpuE6ELNS1_3repE0EEENS1_30default_config_static_selectorELNS0_4arch9wavefront6targetE1EEEvS12_
		.amdhsa_group_segment_fixed_size 0
		.amdhsa_private_segment_fixed_size 0
		.amdhsa_kernarg_size 176
		.amdhsa_user_sgpr_count 6
		.amdhsa_user_sgpr_private_segment_buffer 1
		.amdhsa_user_sgpr_dispatch_ptr 0
		.amdhsa_user_sgpr_queue_ptr 0
		.amdhsa_user_sgpr_kernarg_segment_ptr 1
		.amdhsa_user_sgpr_dispatch_id 0
		.amdhsa_user_sgpr_flat_scratch_init 0
		.amdhsa_user_sgpr_kernarg_preload_length 0
		.amdhsa_user_sgpr_kernarg_preload_offset 0
		.amdhsa_user_sgpr_private_segment_size 0
		.amdhsa_uses_dynamic_stack 0
		.amdhsa_system_sgpr_private_segment_wavefront_offset 0
		.amdhsa_system_sgpr_workgroup_id_x 1
		.amdhsa_system_sgpr_workgroup_id_y 0
		.amdhsa_system_sgpr_workgroup_id_z 0
		.amdhsa_system_sgpr_workgroup_info 0
		.amdhsa_system_vgpr_workitem_id 0
		.amdhsa_next_free_vgpr 1
		.amdhsa_next_free_sgpr 0
		.amdhsa_accum_offset 4
		.amdhsa_reserve_vcc 0
		.amdhsa_reserve_flat_scratch 0
		.amdhsa_float_round_mode_32 0
		.amdhsa_float_round_mode_16_64 0
		.amdhsa_float_denorm_mode_32 3
		.amdhsa_float_denorm_mode_16_64 3
		.amdhsa_dx10_clamp 1
		.amdhsa_ieee_mode 1
		.amdhsa_fp16_overflow 0
		.amdhsa_tg_split 0
		.amdhsa_exception_fp_ieee_invalid_op 0
		.amdhsa_exception_fp_denorm_src 0
		.amdhsa_exception_fp_ieee_div_zero 0
		.amdhsa_exception_fp_ieee_overflow 0
		.amdhsa_exception_fp_ieee_underflow 0
		.amdhsa_exception_fp_ieee_inexact 0
		.amdhsa_exception_int_div_zero 0
	.end_amdhsa_kernel
	.section	.text._ZN7rocprim17ROCPRIM_400000_NS6detail17trampoline_kernelINS0_13select_configILj256ELj13ELNS0_17block_load_methodE3ELS4_3ELS4_3ELNS0_20block_scan_algorithmE0ELj4294967295EEENS1_25partition_config_selectorILNS1_17partition_subalgoE4EjNS0_10empty_typeEbEEZZNS1_14partition_implILS8_4ELb0ES6_15HIP_vector_typeIjLj2EENS0_17counting_iteratorIjlEEPS9_SG_NS0_5tupleIJPjSI_NS0_16reverse_iteratorISI_EEEEENSH_IJSG_SG_SG_EEES9_SI_JZNS1_25segmented_radix_sort_implINS0_14default_configELb1EPKsPsPKlPlN2at6native12_GLOBAL__N_18offset_tEEE10hipError_tPvRmT1_PNSt15iterator_traitsIS12_E10value_typeET2_T3_PNS13_IS18_E10value_typeET4_jRbjT5_S1E_jjP12ihipStream_tbEUljE_ZNSN_ISO_Lb1ESQ_SR_ST_SU_SY_EESZ_S10_S11_S12_S16_S17_S18_S1B_S1C_jS1D_jS1E_S1E_jjS1G_bEUljE0_EEESZ_S10_S11_S18_S1C_S1E_T6_T7_T9_mT8_S1G_bDpT10_ENKUlT_T0_E_clISt17integral_constantIbLb0EES1U_EEDaS1P_S1Q_EUlS1P_E_NS1_11comp_targetILNS1_3genE2ELNS1_11target_archE906ELNS1_3gpuE6ELNS1_3repE0EEENS1_30default_config_static_selectorELNS0_4arch9wavefront6targetE1EEEvS12_,"axG",@progbits,_ZN7rocprim17ROCPRIM_400000_NS6detail17trampoline_kernelINS0_13select_configILj256ELj13ELNS0_17block_load_methodE3ELS4_3ELS4_3ELNS0_20block_scan_algorithmE0ELj4294967295EEENS1_25partition_config_selectorILNS1_17partition_subalgoE4EjNS0_10empty_typeEbEEZZNS1_14partition_implILS8_4ELb0ES6_15HIP_vector_typeIjLj2EENS0_17counting_iteratorIjlEEPS9_SG_NS0_5tupleIJPjSI_NS0_16reverse_iteratorISI_EEEEENSH_IJSG_SG_SG_EEES9_SI_JZNS1_25segmented_radix_sort_implINS0_14default_configELb1EPKsPsPKlPlN2at6native12_GLOBAL__N_18offset_tEEE10hipError_tPvRmT1_PNSt15iterator_traitsIS12_E10value_typeET2_T3_PNS13_IS18_E10value_typeET4_jRbjT5_S1E_jjP12ihipStream_tbEUljE_ZNSN_ISO_Lb1ESQ_SR_ST_SU_SY_EESZ_S10_S11_S12_S16_S17_S18_S1B_S1C_jS1D_jS1E_S1E_jjS1G_bEUljE0_EEESZ_S10_S11_S18_S1C_S1E_T6_T7_T9_mT8_S1G_bDpT10_ENKUlT_T0_E_clISt17integral_constantIbLb0EES1U_EEDaS1P_S1Q_EUlS1P_E_NS1_11comp_targetILNS1_3genE2ELNS1_11target_archE906ELNS1_3gpuE6ELNS1_3repE0EEENS1_30default_config_static_selectorELNS0_4arch9wavefront6targetE1EEEvS12_,comdat
.Lfunc_end851:
	.size	_ZN7rocprim17ROCPRIM_400000_NS6detail17trampoline_kernelINS0_13select_configILj256ELj13ELNS0_17block_load_methodE3ELS4_3ELS4_3ELNS0_20block_scan_algorithmE0ELj4294967295EEENS1_25partition_config_selectorILNS1_17partition_subalgoE4EjNS0_10empty_typeEbEEZZNS1_14partition_implILS8_4ELb0ES6_15HIP_vector_typeIjLj2EENS0_17counting_iteratorIjlEEPS9_SG_NS0_5tupleIJPjSI_NS0_16reverse_iteratorISI_EEEEENSH_IJSG_SG_SG_EEES9_SI_JZNS1_25segmented_radix_sort_implINS0_14default_configELb1EPKsPsPKlPlN2at6native12_GLOBAL__N_18offset_tEEE10hipError_tPvRmT1_PNSt15iterator_traitsIS12_E10value_typeET2_T3_PNS13_IS18_E10value_typeET4_jRbjT5_S1E_jjP12ihipStream_tbEUljE_ZNSN_ISO_Lb1ESQ_SR_ST_SU_SY_EESZ_S10_S11_S12_S16_S17_S18_S1B_S1C_jS1D_jS1E_S1E_jjS1G_bEUljE0_EEESZ_S10_S11_S18_S1C_S1E_T6_T7_T9_mT8_S1G_bDpT10_ENKUlT_T0_E_clISt17integral_constantIbLb0EES1U_EEDaS1P_S1Q_EUlS1P_E_NS1_11comp_targetILNS1_3genE2ELNS1_11target_archE906ELNS1_3gpuE6ELNS1_3repE0EEENS1_30default_config_static_selectorELNS0_4arch9wavefront6targetE1EEEvS12_, .Lfunc_end851-_ZN7rocprim17ROCPRIM_400000_NS6detail17trampoline_kernelINS0_13select_configILj256ELj13ELNS0_17block_load_methodE3ELS4_3ELS4_3ELNS0_20block_scan_algorithmE0ELj4294967295EEENS1_25partition_config_selectorILNS1_17partition_subalgoE4EjNS0_10empty_typeEbEEZZNS1_14partition_implILS8_4ELb0ES6_15HIP_vector_typeIjLj2EENS0_17counting_iteratorIjlEEPS9_SG_NS0_5tupleIJPjSI_NS0_16reverse_iteratorISI_EEEEENSH_IJSG_SG_SG_EEES9_SI_JZNS1_25segmented_radix_sort_implINS0_14default_configELb1EPKsPsPKlPlN2at6native12_GLOBAL__N_18offset_tEEE10hipError_tPvRmT1_PNSt15iterator_traitsIS12_E10value_typeET2_T3_PNS13_IS18_E10value_typeET4_jRbjT5_S1E_jjP12ihipStream_tbEUljE_ZNSN_ISO_Lb1ESQ_SR_ST_SU_SY_EESZ_S10_S11_S12_S16_S17_S18_S1B_S1C_jS1D_jS1E_S1E_jjS1G_bEUljE0_EEESZ_S10_S11_S18_S1C_S1E_T6_T7_T9_mT8_S1G_bDpT10_ENKUlT_T0_E_clISt17integral_constantIbLb0EES1U_EEDaS1P_S1Q_EUlS1P_E_NS1_11comp_targetILNS1_3genE2ELNS1_11target_archE906ELNS1_3gpuE6ELNS1_3repE0EEENS1_30default_config_static_selectorELNS0_4arch9wavefront6targetE1EEEvS12_
                                        ; -- End function
	.section	.AMDGPU.csdata,"",@progbits
; Kernel info:
; codeLenInByte = 0
; NumSgprs: 4
; NumVgprs: 0
; NumAgprs: 0
; TotalNumVgprs: 0
; ScratchSize: 0
; MemoryBound: 0
; FloatMode: 240
; IeeeMode: 1
; LDSByteSize: 0 bytes/workgroup (compile time only)
; SGPRBlocks: 0
; VGPRBlocks: 0
; NumSGPRsForWavesPerEU: 4
; NumVGPRsForWavesPerEU: 1
; AccumOffset: 4
; Occupancy: 8
; WaveLimiterHint : 0
; COMPUTE_PGM_RSRC2:SCRATCH_EN: 0
; COMPUTE_PGM_RSRC2:USER_SGPR: 6
; COMPUTE_PGM_RSRC2:TRAP_HANDLER: 0
; COMPUTE_PGM_RSRC2:TGID_X_EN: 1
; COMPUTE_PGM_RSRC2:TGID_Y_EN: 0
; COMPUTE_PGM_RSRC2:TGID_Z_EN: 0
; COMPUTE_PGM_RSRC2:TIDIG_COMP_CNT: 0
; COMPUTE_PGM_RSRC3_GFX90A:ACCUM_OFFSET: 0
; COMPUTE_PGM_RSRC3_GFX90A:TG_SPLIT: 0
	.section	.text._ZN7rocprim17ROCPRIM_400000_NS6detail17trampoline_kernelINS0_13select_configILj256ELj13ELNS0_17block_load_methodE3ELS4_3ELS4_3ELNS0_20block_scan_algorithmE0ELj4294967295EEENS1_25partition_config_selectorILNS1_17partition_subalgoE4EjNS0_10empty_typeEbEEZZNS1_14partition_implILS8_4ELb0ES6_15HIP_vector_typeIjLj2EENS0_17counting_iteratorIjlEEPS9_SG_NS0_5tupleIJPjSI_NS0_16reverse_iteratorISI_EEEEENSH_IJSG_SG_SG_EEES9_SI_JZNS1_25segmented_radix_sort_implINS0_14default_configELb1EPKsPsPKlPlN2at6native12_GLOBAL__N_18offset_tEEE10hipError_tPvRmT1_PNSt15iterator_traitsIS12_E10value_typeET2_T3_PNS13_IS18_E10value_typeET4_jRbjT5_S1E_jjP12ihipStream_tbEUljE_ZNSN_ISO_Lb1ESQ_SR_ST_SU_SY_EESZ_S10_S11_S12_S16_S17_S18_S1B_S1C_jS1D_jS1E_S1E_jjS1G_bEUljE0_EEESZ_S10_S11_S18_S1C_S1E_T6_T7_T9_mT8_S1G_bDpT10_ENKUlT_T0_E_clISt17integral_constantIbLb0EES1U_EEDaS1P_S1Q_EUlS1P_E_NS1_11comp_targetILNS1_3genE10ELNS1_11target_archE1200ELNS1_3gpuE4ELNS1_3repE0EEENS1_30default_config_static_selectorELNS0_4arch9wavefront6targetE1EEEvS12_,"axG",@progbits,_ZN7rocprim17ROCPRIM_400000_NS6detail17trampoline_kernelINS0_13select_configILj256ELj13ELNS0_17block_load_methodE3ELS4_3ELS4_3ELNS0_20block_scan_algorithmE0ELj4294967295EEENS1_25partition_config_selectorILNS1_17partition_subalgoE4EjNS0_10empty_typeEbEEZZNS1_14partition_implILS8_4ELb0ES6_15HIP_vector_typeIjLj2EENS0_17counting_iteratorIjlEEPS9_SG_NS0_5tupleIJPjSI_NS0_16reverse_iteratorISI_EEEEENSH_IJSG_SG_SG_EEES9_SI_JZNS1_25segmented_radix_sort_implINS0_14default_configELb1EPKsPsPKlPlN2at6native12_GLOBAL__N_18offset_tEEE10hipError_tPvRmT1_PNSt15iterator_traitsIS12_E10value_typeET2_T3_PNS13_IS18_E10value_typeET4_jRbjT5_S1E_jjP12ihipStream_tbEUljE_ZNSN_ISO_Lb1ESQ_SR_ST_SU_SY_EESZ_S10_S11_S12_S16_S17_S18_S1B_S1C_jS1D_jS1E_S1E_jjS1G_bEUljE0_EEESZ_S10_S11_S18_S1C_S1E_T6_T7_T9_mT8_S1G_bDpT10_ENKUlT_T0_E_clISt17integral_constantIbLb0EES1U_EEDaS1P_S1Q_EUlS1P_E_NS1_11comp_targetILNS1_3genE10ELNS1_11target_archE1200ELNS1_3gpuE4ELNS1_3repE0EEENS1_30default_config_static_selectorELNS0_4arch9wavefront6targetE1EEEvS12_,comdat
	.globl	_ZN7rocprim17ROCPRIM_400000_NS6detail17trampoline_kernelINS0_13select_configILj256ELj13ELNS0_17block_load_methodE3ELS4_3ELS4_3ELNS0_20block_scan_algorithmE0ELj4294967295EEENS1_25partition_config_selectorILNS1_17partition_subalgoE4EjNS0_10empty_typeEbEEZZNS1_14partition_implILS8_4ELb0ES6_15HIP_vector_typeIjLj2EENS0_17counting_iteratorIjlEEPS9_SG_NS0_5tupleIJPjSI_NS0_16reverse_iteratorISI_EEEEENSH_IJSG_SG_SG_EEES9_SI_JZNS1_25segmented_radix_sort_implINS0_14default_configELb1EPKsPsPKlPlN2at6native12_GLOBAL__N_18offset_tEEE10hipError_tPvRmT1_PNSt15iterator_traitsIS12_E10value_typeET2_T3_PNS13_IS18_E10value_typeET4_jRbjT5_S1E_jjP12ihipStream_tbEUljE_ZNSN_ISO_Lb1ESQ_SR_ST_SU_SY_EESZ_S10_S11_S12_S16_S17_S18_S1B_S1C_jS1D_jS1E_S1E_jjS1G_bEUljE0_EEESZ_S10_S11_S18_S1C_S1E_T6_T7_T9_mT8_S1G_bDpT10_ENKUlT_T0_E_clISt17integral_constantIbLb0EES1U_EEDaS1P_S1Q_EUlS1P_E_NS1_11comp_targetILNS1_3genE10ELNS1_11target_archE1200ELNS1_3gpuE4ELNS1_3repE0EEENS1_30default_config_static_selectorELNS0_4arch9wavefront6targetE1EEEvS12_ ; -- Begin function _ZN7rocprim17ROCPRIM_400000_NS6detail17trampoline_kernelINS0_13select_configILj256ELj13ELNS0_17block_load_methodE3ELS4_3ELS4_3ELNS0_20block_scan_algorithmE0ELj4294967295EEENS1_25partition_config_selectorILNS1_17partition_subalgoE4EjNS0_10empty_typeEbEEZZNS1_14partition_implILS8_4ELb0ES6_15HIP_vector_typeIjLj2EENS0_17counting_iteratorIjlEEPS9_SG_NS0_5tupleIJPjSI_NS0_16reverse_iteratorISI_EEEEENSH_IJSG_SG_SG_EEES9_SI_JZNS1_25segmented_radix_sort_implINS0_14default_configELb1EPKsPsPKlPlN2at6native12_GLOBAL__N_18offset_tEEE10hipError_tPvRmT1_PNSt15iterator_traitsIS12_E10value_typeET2_T3_PNS13_IS18_E10value_typeET4_jRbjT5_S1E_jjP12ihipStream_tbEUljE_ZNSN_ISO_Lb1ESQ_SR_ST_SU_SY_EESZ_S10_S11_S12_S16_S17_S18_S1B_S1C_jS1D_jS1E_S1E_jjS1G_bEUljE0_EEESZ_S10_S11_S18_S1C_S1E_T6_T7_T9_mT8_S1G_bDpT10_ENKUlT_T0_E_clISt17integral_constantIbLb0EES1U_EEDaS1P_S1Q_EUlS1P_E_NS1_11comp_targetILNS1_3genE10ELNS1_11target_archE1200ELNS1_3gpuE4ELNS1_3repE0EEENS1_30default_config_static_selectorELNS0_4arch9wavefront6targetE1EEEvS12_
	.p2align	8
	.type	_ZN7rocprim17ROCPRIM_400000_NS6detail17trampoline_kernelINS0_13select_configILj256ELj13ELNS0_17block_load_methodE3ELS4_3ELS4_3ELNS0_20block_scan_algorithmE0ELj4294967295EEENS1_25partition_config_selectorILNS1_17partition_subalgoE4EjNS0_10empty_typeEbEEZZNS1_14partition_implILS8_4ELb0ES6_15HIP_vector_typeIjLj2EENS0_17counting_iteratorIjlEEPS9_SG_NS0_5tupleIJPjSI_NS0_16reverse_iteratorISI_EEEEENSH_IJSG_SG_SG_EEES9_SI_JZNS1_25segmented_radix_sort_implINS0_14default_configELb1EPKsPsPKlPlN2at6native12_GLOBAL__N_18offset_tEEE10hipError_tPvRmT1_PNSt15iterator_traitsIS12_E10value_typeET2_T3_PNS13_IS18_E10value_typeET4_jRbjT5_S1E_jjP12ihipStream_tbEUljE_ZNSN_ISO_Lb1ESQ_SR_ST_SU_SY_EESZ_S10_S11_S12_S16_S17_S18_S1B_S1C_jS1D_jS1E_S1E_jjS1G_bEUljE0_EEESZ_S10_S11_S18_S1C_S1E_T6_T7_T9_mT8_S1G_bDpT10_ENKUlT_T0_E_clISt17integral_constantIbLb0EES1U_EEDaS1P_S1Q_EUlS1P_E_NS1_11comp_targetILNS1_3genE10ELNS1_11target_archE1200ELNS1_3gpuE4ELNS1_3repE0EEENS1_30default_config_static_selectorELNS0_4arch9wavefront6targetE1EEEvS12_,@function
_ZN7rocprim17ROCPRIM_400000_NS6detail17trampoline_kernelINS0_13select_configILj256ELj13ELNS0_17block_load_methodE3ELS4_3ELS4_3ELNS0_20block_scan_algorithmE0ELj4294967295EEENS1_25partition_config_selectorILNS1_17partition_subalgoE4EjNS0_10empty_typeEbEEZZNS1_14partition_implILS8_4ELb0ES6_15HIP_vector_typeIjLj2EENS0_17counting_iteratorIjlEEPS9_SG_NS0_5tupleIJPjSI_NS0_16reverse_iteratorISI_EEEEENSH_IJSG_SG_SG_EEES9_SI_JZNS1_25segmented_radix_sort_implINS0_14default_configELb1EPKsPsPKlPlN2at6native12_GLOBAL__N_18offset_tEEE10hipError_tPvRmT1_PNSt15iterator_traitsIS12_E10value_typeET2_T3_PNS13_IS18_E10value_typeET4_jRbjT5_S1E_jjP12ihipStream_tbEUljE_ZNSN_ISO_Lb1ESQ_SR_ST_SU_SY_EESZ_S10_S11_S12_S16_S17_S18_S1B_S1C_jS1D_jS1E_S1E_jjS1G_bEUljE0_EEESZ_S10_S11_S18_S1C_S1E_T6_T7_T9_mT8_S1G_bDpT10_ENKUlT_T0_E_clISt17integral_constantIbLb0EES1U_EEDaS1P_S1Q_EUlS1P_E_NS1_11comp_targetILNS1_3genE10ELNS1_11target_archE1200ELNS1_3gpuE4ELNS1_3repE0EEENS1_30default_config_static_selectorELNS0_4arch9wavefront6targetE1EEEvS12_: ; @_ZN7rocprim17ROCPRIM_400000_NS6detail17trampoline_kernelINS0_13select_configILj256ELj13ELNS0_17block_load_methodE3ELS4_3ELS4_3ELNS0_20block_scan_algorithmE0ELj4294967295EEENS1_25partition_config_selectorILNS1_17partition_subalgoE4EjNS0_10empty_typeEbEEZZNS1_14partition_implILS8_4ELb0ES6_15HIP_vector_typeIjLj2EENS0_17counting_iteratorIjlEEPS9_SG_NS0_5tupleIJPjSI_NS0_16reverse_iteratorISI_EEEEENSH_IJSG_SG_SG_EEES9_SI_JZNS1_25segmented_radix_sort_implINS0_14default_configELb1EPKsPsPKlPlN2at6native12_GLOBAL__N_18offset_tEEE10hipError_tPvRmT1_PNSt15iterator_traitsIS12_E10value_typeET2_T3_PNS13_IS18_E10value_typeET4_jRbjT5_S1E_jjP12ihipStream_tbEUljE_ZNSN_ISO_Lb1ESQ_SR_ST_SU_SY_EESZ_S10_S11_S12_S16_S17_S18_S1B_S1C_jS1D_jS1E_S1E_jjS1G_bEUljE0_EEESZ_S10_S11_S18_S1C_S1E_T6_T7_T9_mT8_S1G_bDpT10_ENKUlT_T0_E_clISt17integral_constantIbLb0EES1U_EEDaS1P_S1Q_EUlS1P_E_NS1_11comp_targetILNS1_3genE10ELNS1_11target_archE1200ELNS1_3gpuE4ELNS1_3repE0EEENS1_30default_config_static_selectorELNS0_4arch9wavefront6targetE1EEEvS12_
; %bb.0:
	.section	.rodata,"a",@progbits
	.p2align	6, 0x0
	.amdhsa_kernel _ZN7rocprim17ROCPRIM_400000_NS6detail17trampoline_kernelINS0_13select_configILj256ELj13ELNS0_17block_load_methodE3ELS4_3ELS4_3ELNS0_20block_scan_algorithmE0ELj4294967295EEENS1_25partition_config_selectorILNS1_17partition_subalgoE4EjNS0_10empty_typeEbEEZZNS1_14partition_implILS8_4ELb0ES6_15HIP_vector_typeIjLj2EENS0_17counting_iteratorIjlEEPS9_SG_NS0_5tupleIJPjSI_NS0_16reverse_iteratorISI_EEEEENSH_IJSG_SG_SG_EEES9_SI_JZNS1_25segmented_radix_sort_implINS0_14default_configELb1EPKsPsPKlPlN2at6native12_GLOBAL__N_18offset_tEEE10hipError_tPvRmT1_PNSt15iterator_traitsIS12_E10value_typeET2_T3_PNS13_IS18_E10value_typeET4_jRbjT5_S1E_jjP12ihipStream_tbEUljE_ZNSN_ISO_Lb1ESQ_SR_ST_SU_SY_EESZ_S10_S11_S12_S16_S17_S18_S1B_S1C_jS1D_jS1E_S1E_jjS1G_bEUljE0_EEESZ_S10_S11_S18_S1C_S1E_T6_T7_T9_mT8_S1G_bDpT10_ENKUlT_T0_E_clISt17integral_constantIbLb0EES1U_EEDaS1P_S1Q_EUlS1P_E_NS1_11comp_targetILNS1_3genE10ELNS1_11target_archE1200ELNS1_3gpuE4ELNS1_3repE0EEENS1_30default_config_static_selectorELNS0_4arch9wavefront6targetE1EEEvS12_
		.amdhsa_group_segment_fixed_size 0
		.amdhsa_private_segment_fixed_size 0
		.amdhsa_kernarg_size 176
		.amdhsa_user_sgpr_count 6
		.amdhsa_user_sgpr_private_segment_buffer 1
		.amdhsa_user_sgpr_dispatch_ptr 0
		.amdhsa_user_sgpr_queue_ptr 0
		.amdhsa_user_sgpr_kernarg_segment_ptr 1
		.amdhsa_user_sgpr_dispatch_id 0
		.amdhsa_user_sgpr_flat_scratch_init 0
		.amdhsa_user_sgpr_kernarg_preload_length 0
		.amdhsa_user_sgpr_kernarg_preload_offset 0
		.amdhsa_user_sgpr_private_segment_size 0
		.amdhsa_uses_dynamic_stack 0
		.amdhsa_system_sgpr_private_segment_wavefront_offset 0
		.amdhsa_system_sgpr_workgroup_id_x 1
		.amdhsa_system_sgpr_workgroup_id_y 0
		.amdhsa_system_sgpr_workgroup_id_z 0
		.amdhsa_system_sgpr_workgroup_info 0
		.amdhsa_system_vgpr_workitem_id 0
		.amdhsa_next_free_vgpr 1
		.amdhsa_next_free_sgpr 0
		.amdhsa_accum_offset 4
		.amdhsa_reserve_vcc 0
		.amdhsa_reserve_flat_scratch 0
		.amdhsa_float_round_mode_32 0
		.amdhsa_float_round_mode_16_64 0
		.amdhsa_float_denorm_mode_32 3
		.amdhsa_float_denorm_mode_16_64 3
		.amdhsa_dx10_clamp 1
		.amdhsa_ieee_mode 1
		.amdhsa_fp16_overflow 0
		.amdhsa_tg_split 0
		.amdhsa_exception_fp_ieee_invalid_op 0
		.amdhsa_exception_fp_denorm_src 0
		.amdhsa_exception_fp_ieee_div_zero 0
		.amdhsa_exception_fp_ieee_overflow 0
		.amdhsa_exception_fp_ieee_underflow 0
		.amdhsa_exception_fp_ieee_inexact 0
		.amdhsa_exception_int_div_zero 0
	.end_amdhsa_kernel
	.section	.text._ZN7rocprim17ROCPRIM_400000_NS6detail17trampoline_kernelINS0_13select_configILj256ELj13ELNS0_17block_load_methodE3ELS4_3ELS4_3ELNS0_20block_scan_algorithmE0ELj4294967295EEENS1_25partition_config_selectorILNS1_17partition_subalgoE4EjNS0_10empty_typeEbEEZZNS1_14partition_implILS8_4ELb0ES6_15HIP_vector_typeIjLj2EENS0_17counting_iteratorIjlEEPS9_SG_NS0_5tupleIJPjSI_NS0_16reverse_iteratorISI_EEEEENSH_IJSG_SG_SG_EEES9_SI_JZNS1_25segmented_radix_sort_implINS0_14default_configELb1EPKsPsPKlPlN2at6native12_GLOBAL__N_18offset_tEEE10hipError_tPvRmT1_PNSt15iterator_traitsIS12_E10value_typeET2_T3_PNS13_IS18_E10value_typeET4_jRbjT5_S1E_jjP12ihipStream_tbEUljE_ZNSN_ISO_Lb1ESQ_SR_ST_SU_SY_EESZ_S10_S11_S12_S16_S17_S18_S1B_S1C_jS1D_jS1E_S1E_jjS1G_bEUljE0_EEESZ_S10_S11_S18_S1C_S1E_T6_T7_T9_mT8_S1G_bDpT10_ENKUlT_T0_E_clISt17integral_constantIbLb0EES1U_EEDaS1P_S1Q_EUlS1P_E_NS1_11comp_targetILNS1_3genE10ELNS1_11target_archE1200ELNS1_3gpuE4ELNS1_3repE0EEENS1_30default_config_static_selectorELNS0_4arch9wavefront6targetE1EEEvS12_,"axG",@progbits,_ZN7rocprim17ROCPRIM_400000_NS6detail17trampoline_kernelINS0_13select_configILj256ELj13ELNS0_17block_load_methodE3ELS4_3ELS4_3ELNS0_20block_scan_algorithmE0ELj4294967295EEENS1_25partition_config_selectorILNS1_17partition_subalgoE4EjNS0_10empty_typeEbEEZZNS1_14partition_implILS8_4ELb0ES6_15HIP_vector_typeIjLj2EENS0_17counting_iteratorIjlEEPS9_SG_NS0_5tupleIJPjSI_NS0_16reverse_iteratorISI_EEEEENSH_IJSG_SG_SG_EEES9_SI_JZNS1_25segmented_radix_sort_implINS0_14default_configELb1EPKsPsPKlPlN2at6native12_GLOBAL__N_18offset_tEEE10hipError_tPvRmT1_PNSt15iterator_traitsIS12_E10value_typeET2_T3_PNS13_IS18_E10value_typeET4_jRbjT5_S1E_jjP12ihipStream_tbEUljE_ZNSN_ISO_Lb1ESQ_SR_ST_SU_SY_EESZ_S10_S11_S12_S16_S17_S18_S1B_S1C_jS1D_jS1E_S1E_jjS1G_bEUljE0_EEESZ_S10_S11_S18_S1C_S1E_T6_T7_T9_mT8_S1G_bDpT10_ENKUlT_T0_E_clISt17integral_constantIbLb0EES1U_EEDaS1P_S1Q_EUlS1P_E_NS1_11comp_targetILNS1_3genE10ELNS1_11target_archE1200ELNS1_3gpuE4ELNS1_3repE0EEENS1_30default_config_static_selectorELNS0_4arch9wavefront6targetE1EEEvS12_,comdat
.Lfunc_end852:
	.size	_ZN7rocprim17ROCPRIM_400000_NS6detail17trampoline_kernelINS0_13select_configILj256ELj13ELNS0_17block_load_methodE3ELS4_3ELS4_3ELNS0_20block_scan_algorithmE0ELj4294967295EEENS1_25partition_config_selectorILNS1_17partition_subalgoE4EjNS0_10empty_typeEbEEZZNS1_14partition_implILS8_4ELb0ES6_15HIP_vector_typeIjLj2EENS0_17counting_iteratorIjlEEPS9_SG_NS0_5tupleIJPjSI_NS0_16reverse_iteratorISI_EEEEENSH_IJSG_SG_SG_EEES9_SI_JZNS1_25segmented_radix_sort_implINS0_14default_configELb1EPKsPsPKlPlN2at6native12_GLOBAL__N_18offset_tEEE10hipError_tPvRmT1_PNSt15iterator_traitsIS12_E10value_typeET2_T3_PNS13_IS18_E10value_typeET4_jRbjT5_S1E_jjP12ihipStream_tbEUljE_ZNSN_ISO_Lb1ESQ_SR_ST_SU_SY_EESZ_S10_S11_S12_S16_S17_S18_S1B_S1C_jS1D_jS1E_S1E_jjS1G_bEUljE0_EEESZ_S10_S11_S18_S1C_S1E_T6_T7_T9_mT8_S1G_bDpT10_ENKUlT_T0_E_clISt17integral_constantIbLb0EES1U_EEDaS1P_S1Q_EUlS1P_E_NS1_11comp_targetILNS1_3genE10ELNS1_11target_archE1200ELNS1_3gpuE4ELNS1_3repE0EEENS1_30default_config_static_selectorELNS0_4arch9wavefront6targetE1EEEvS12_, .Lfunc_end852-_ZN7rocprim17ROCPRIM_400000_NS6detail17trampoline_kernelINS0_13select_configILj256ELj13ELNS0_17block_load_methodE3ELS4_3ELS4_3ELNS0_20block_scan_algorithmE0ELj4294967295EEENS1_25partition_config_selectorILNS1_17partition_subalgoE4EjNS0_10empty_typeEbEEZZNS1_14partition_implILS8_4ELb0ES6_15HIP_vector_typeIjLj2EENS0_17counting_iteratorIjlEEPS9_SG_NS0_5tupleIJPjSI_NS0_16reverse_iteratorISI_EEEEENSH_IJSG_SG_SG_EEES9_SI_JZNS1_25segmented_radix_sort_implINS0_14default_configELb1EPKsPsPKlPlN2at6native12_GLOBAL__N_18offset_tEEE10hipError_tPvRmT1_PNSt15iterator_traitsIS12_E10value_typeET2_T3_PNS13_IS18_E10value_typeET4_jRbjT5_S1E_jjP12ihipStream_tbEUljE_ZNSN_ISO_Lb1ESQ_SR_ST_SU_SY_EESZ_S10_S11_S12_S16_S17_S18_S1B_S1C_jS1D_jS1E_S1E_jjS1G_bEUljE0_EEESZ_S10_S11_S18_S1C_S1E_T6_T7_T9_mT8_S1G_bDpT10_ENKUlT_T0_E_clISt17integral_constantIbLb0EES1U_EEDaS1P_S1Q_EUlS1P_E_NS1_11comp_targetILNS1_3genE10ELNS1_11target_archE1200ELNS1_3gpuE4ELNS1_3repE0EEENS1_30default_config_static_selectorELNS0_4arch9wavefront6targetE1EEEvS12_
                                        ; -- End function
	.section	.AMDGPU.csdata,"",@progbits
; Kernel info:
; codeLenInByte = 0
; NumSgprs: 4
; NumVgprs: 0
; NumAgprs: 0
; TotalNumVgprs: 0
; ScratchSize: 0
; MemoryBound: 0
; FloatMode: 240
; IeeeMode: 1
; LDSByteSize: 0 bytes/workgroup (compile time only)
; SGPRBlocks: 0
; VGPRBlocks: 0
; NumSGPRsForWavesPerEU: 4
; NumVGPRsForWavesPerEU: 1
; AccumOffset: 4
; Occupancy: 8
; WaveLimiterHint : 0
; COMPUTE_PGM_RSRC2:SCRATCH_EN: 0
; COMPUTE_PGM_RSRC2:USER_SGPR: 6
; COMPUTE_PGM_RSRC2:TRAP_HANDLER: 0
; COMPUTE_PGM_RSRC2:TGID_X_EN: 1
; COMPUTE_PGM_RSRC2:TGID_Y_EN: 0
; COMPUTE_PGM_RSRC2:TGID_Z_EN: 0
; COMPUTE_PGM_RSRC2:TIDIG_COMP_CNT: 0
; COMPUTE_PGM_RSRC3_GFX90A:ACCUM_OFFSET: 0
; COMPUTE_PGM_RSRC3_GFX90A:TG_SPLIT: 0
	.section	.text._ZN7rocprim17ROCPRIM_400000_NS6detail17trampoline_kernelINS0_13select_configILj256ELj13ELNS0_17block_load_methodE3ELS4_3ELS4_3ELNS0_20block_scan_algorithmE0ELj4294967295EEENS1_25partition_config_selectorILNS1_17partition_subalgoE4EjNS0_10empty_typeEbEEZZNS1_14partition_implILS8_4ELb0ES6_15HIP_vector_typeIjLj2EENS0_17counting_iteratorIjlEEPS9_SG_NS0_5tupleIJPjSI_NS0_16reverse_iteratorISI_EEEEENSH_IJSG_SG_SG_EEES9_SI_JZNS1_25segmented_radix_sort_implINS0_14default_configELb1EPKsPsPKlPlN2at6native12_GLOBAL__N_18offset_tEEE10hipError_tPvRmT1_PNSt15iterator_traitsIS12_E10value_typeET2_T3_PNS13_IS18_E10value_typeET4_jRbjT5_S1E_jjP12ihipStream_tbEUljE_ZNSN_ISO_Lb1ESQ_SR_ST_SU_SY_EESZ_S10_S11_S12_S16_S17_S18_S1B_S1C_jS1D_jS1E_S1E_jjS1G_bEUljE0_EEESZ_S10_S11_S18_S1C_S1E_T6_T7_T9_mT8_S1G_bDpT10_ENKUlT_T0_E_clISt17integral_constantIbLb0EES1U_EEDaS1P_S1Q_EUlS1P_E_NS1_11comp_targetILNS1_3genE9ELNS1_11target_archE1100ELNS1_3gpuE3ELNS1_3repE0EEENS1_30default_config_static_selectorELNS0_4arch9wavefront6targetE1EEEvS12_,"axG",@progbits,_ZN7rocprim17ROCPRIM_400000_NS6detail17trampoline_kernelINS0_13select_configILj256ELj13ELNS0_17block_load_methodE3ELS4_3ELS4_3ELNS0_20block_scan_algorithmE0ELj4294967295EEENS1_25partition_config_selectorILNS1_17partition_subalgoE4EjNS0_10empty_typeEbEEZZNS1_14partition_implILS8_4ELb0ES6_15HIP_vector_typeIjLj2EENS0_17counting_iteratorIjlEEPS9_SG_NS0_5tupleIJPjSI_NS0_16reverse_iteratorISI_EEEEENSH_IJSG_SG_SG_EEES9_SI_JZNS1_25segmented_radix_sort_implINS0_14default_configELb1EPKsPsPKlPlN2at6native12_GLOBAL__N_18offset_tEEE10hipError_tPvRmT1_PNSt15iterator_traitsIS12_E10value_typeET2_T3_PNS13_IS18_E10value_typeET4_jRbjT5_S1E_jjP12ihipStream_tbEUljE_ZNSN_ISO_Lb1ESQ_SR_ST_SU_SY_EESZ_S10_S11_S12_S16_S17_S18_S1B_S1C_jS1D_jS1E_S1E_jjS1G_bEUljE0_EEESZ_S10_S11_S18_S1C_S1E_T6_T7_T9_mT8_S1G_bDpT10_ENKUlT_T0_E_clISt17integral_constantIbLb0EES1U_EEDaS1P_S1Q_EUlS1P_E_NS1_11comp_targetILNS1_3genE9ELNS1_11target_archE1100ELNS1_3gpuE3ELNS1_3repE0EEENS1_30default_config_static_selectorELNS0_4arch9wavefront6targetE1EEEvS12_,comdat
	.globl	_ZN7rocprim17ROCPRIM_400000_NS6detail17trampoline_kernelINS0_13select_configILj256ELj13ELNS0_17block_load_methodE3ELS4_3ELS4_3ELNS0_20block_scan_algorithmE0ELj4294967295EEENS1_25partition_config_selectorILNS1_17partition_subalgoE4EjNS0_10empty_typeEbEEZZNS1_14partition_implILS8_4ELb0ES6_15HIP_vector_typeIjLj2EENS0_17counting_iteratorIjlEEPS9_SG_NS0_5tupleIJPjSI_NS0_16reverse_iteratorISI_EEEEENSH_IJSG_SG_SG_EEES9_SI_JZNS1_25segmented_radix_sort_implINS0_14default_configELb1EPKsPsPKlPlN2at6native12_GLOBAL__N_18offset_tEEE10hipError_tPvRmT1_PNSt15iterator_traitsIS12_E10value_typeET2_T3_PNS13_IS18_E10value_typeET4_jRbjT5_S1E_jjP12ihipStream_tbEUljE_ZNSN_ISO_Lb1ESQ_SR_ST_SU_SY_EESZ_S10_S11_S12_S16_S17_S18_S1B_S1C_jS1D_jS1E_S1E_jjS1G_bEUljE0_EEESZ_S10_S11_S18_S1C_S1E_T6_T7_T9_mT8_S1G_bDpT10_ENKUlT_T0_E_clISt17integral_constantIbLb0EES1U_EEDaS1P_S1Q_EUlS1P_E_NS1_11comp_targetILNS1_3genE9ELNS1_11target_archE1100ELNS1_3gpuE3ELNS1_3repE0EEENS1_30default_config_static_selectorELNS0_4arch9wavefront6targetE1EEEvS12_ ; -- Begin function _ZN7rocprim17ROCPRIM_400000_NS6detail17trampoline_kernelINS0_13select_configILj256ELj13ELNS0_17block_load_methodE3ELS4_3ELS4_3ELNS0_20block_scan_algorithmE0ELj4294967295EEENS1_25partition_config_selectorILNS1_17partition_subalgoE4EjNS0_10empty_typeEbEEZZNS1_14partition_implILS8_4ELb0ES6_15HIP_vector_typeIjLj2EENS0_17counting_iteratorIjlEEPS9_SG_NS0_5tupleIJPjSI_NS0_16reverse_iteratorISI_EEEEENSH_IJSG_SG_SG_EEES9_SI_JZNS1_25segmented_radix_sort_implINS0_14default_configELb1EPKsPsPKlPlN2at6native12_GLOBAL__N_18offset_tEEE10hipError_tPvRmT1_PNSt15iterator_traitsIS12_E10value_typeET2_T3_PNS13_IS18_E10value_typeET4_jRbjT5_S1E_jjP12ihipStream_tbEUljE_ZNSN_ISO_Lb1ESQ_SR_ST_SU_SY_EESZ_S10_S11_S12_S16_S17_S18_S1B_S1C_jS1D_jS1E_S1E_jjS1G_bEUljE0_EEESZ_S10_S11_S18_S1C_S1E_T6_T7_T9_mT8_S1G_bDpT10_ENKUlT_T0_E_clISt17integral_constantIbLb0EES1U_EEDaS1P_S1Q_EUlS1P_E_NS1_11comp_targetILNS1_3genE9ELNS1_11target_archE1100ELNS1_3gpuE3ELNS1_3repE0EEENS1_30default_config_static_selectorELNS0_4arch9wavefront6targetE1EEEvS12_
	.p2align	8
	.type	_ZN7rocprim17ROCPRIM_400000_NS6detail17trampoline_kernelINS0_13select_configILj256ELj13ELNS0_17block_load_methodE3ELS4_3ELS4_3ELNS0_20block_scan_algorithmE0ELj4294967295EEENS1_25partition_config_selectorILNS1_17partition_subalgoE4EjNS0_10empty_typeEbEEZZNS1_14partition_implILS8_4ELb0ES6_15HIP_vector_typeIjLj2EENS0_17counting_iteratorIjlEEPS9_SG_NS0_5tupleIJPjSI_NS0_16reverse_iteratorISI_EEEEENSH_IJSG_SG_SG_EEES9_SI_JZNS1_25segmented_radix_sort_implINS0_14default_configELb1EPKsPsPKlPlN2at6native12_GLOBAL__N_18offset_tEEE10hipError_tPvRmT1_PNSt15iterator_traitsIS12_E10value_typeET2_T3_PNS13_IS18_E10value_typeET4_jRbjT5_S1E_jjP12ihipStream_tbEUljE_ZNSN_ISO_Lb1ESQ_SR_ST_SU_SY_EESZ_S10_S11_S12_S16_S17_S18_S1B_S1C_jS1D_jS1E_S1E_jjS1G_bEUljE0_EEESZ_S10_S11_S18_S1C_S1E_T6_T7_T9_mT8_S1G_bDpT10_ENKUlT_T0_E_clISt17integral_constantIbLb0EES1U_EEDaS1P_S1Q_EUlS1P_E_NS1_11comp_targetILNS1_3genE9ELNS1_11target_archE1100ELNS1_3gpuE3ELNS1_3repE0EEENS1_30default_config_static_selectorELNS0_4arch9wavefront6targetE1EEEvS12_,@function
_ZN7rocprim17ROCPRIM_400000_NS6detail17trampoline_kernelINS0_13select_configILj256ELj13ELNS0_17block_load_methodE3ELS4_3ELS4_3ELNS0_20block_scan_algorithmE0ELj4294967295EEENS1_25partition_config_selectorILNS1_17partition_subalgoE4EjNS0_10empty_typeEbEEZZNS1_14partition_implILS8_4ELb0ES6_15HIP_vector_typeIjLj2EENS0_17counting_iteratorIjlEEPS9_SG_NS0_5tupleIJPjSI_NS0_16reverse_iteratorISI_EEEEENSH_IJSG_SG_SG_EEES9_SI_JZNS1_25segmented_radix_sort_implINS0_14default_configELb1EPKsPsPKlPlN2at6native12_GLOBAL__N_18offset_tEEE10hipError_tPvRmT1_PNSt15iterator_traitsIS12_E10value_typeET2_T3_PNS13_IS18_E10value_typeET4_jRbjT5_S1E_jjP12ihipStream_tbEUljE_ZNSN_ISO_Lb1ESQ_SR_ST_SU_SY_EESZ_S10_S11_S12_S16_S17_S18_S1B_S1C_jS1D_jS1E_S1E_jjS1G_bEUljE0_EEESZ_S10_S11_S18_S1C_S1E_T6_T7_T9_mT8_S1G_bDpT10_ENKUlT_T0_E_clISt17integral_constantIbLb0EES1U_EEDaS1P_S1Q_EUlS1P_E_NS1_11comp_targetILNS1_3genE9ELNS1_11target_archE1100ELNS1_3gpuE3ELNS1_3repE0EEENS1_30default_config_static_selectorELNS0_4arch9wavefront6targetE1EEEvS12_: ; @_ZN7rocprim17ROCPRIM_400000_NS6detail17trampoline_kernelINS0_13select_configILj256ELj13ELNS0_17block_load_methodE3ELS4_3ELS4_3ELNS0_20block_scan_algorithmE0ELj4294967295EEENS1_25partition_config_selectorILNS1_17partition_subalgoE4EjNS0_10empty_typeEbEEZZNS1_14partition_implILS8_4ELb0ES6_15HIP_vector_typeIjLj2EENS0_17counting_iteratorIjlEEPS9_SG_NS0_5tupleIJPjSI_NS0_16reverse_iteratorISI_EEEEENSH_IJSG_SG_SG_EEES9_SI_JZNS1_25segmented_radix_sort_implINS0_14default_configELb1EPKsPsPKlPlN2at6native12_GLOBAL__N_18offset_tEEE10hipError_tPvRmT1_PNSt15iterator_traitsIS12_E10value_typeET2_T3_PNS13_IS18_E10value_typeET4_jRbjT5_S1E_jjP12ihipStream_tbEUljE_ZNSN_ISO_Lb1ESQ_SR_ST_SU_SY_EESZ_S10_S11_S12_S16_S17_S18_S1B_S1C_jS1D_jS1E_S1E_jjS1G_bEUljE0_EEESZ_S10_S11_S18_S1C_S1E_T6_T7_T9_mT8_S1G_bDpT10_ENKUlT_T0_E_clISt17integral_constantIbLb0EES1U_EEDaS1P_S1Q_EUlS1P_E_NS1_11comp_targetILNS1_3genE9ELNS1_11target_archE1100ELNS1_3gpuE3ELNS1_3repE0EEENS1_30default_config_static_selectorELNS0_4arch9wavefront6targetE1EEEvS12_
; %bb.0:
	.section	.rodata,"a",@progbits
	.p2align	6, 0x0
	.amdhsa_kernel _ZN7rocprim17ROCPRIM_400000_NS6detail17trampoline_kernelINS0_13select_configILj256ELj13ELNS0_17block_load_methodE3ELS4_3ELS4_3ELNS0_20block_scan_algorithmE0ELj4294967295EEENS1_25partition_config_selectorILNS1_17partition_subalgoE4EjNS0_10empty_typeEbEEZZNS1_14partition_implILS8_4ELb0ES6_15HIP_vector_typeIjLj2EENS0_17counting_iteratorIjlEEPS9_SG_NS0_5tupleIJPjSI_NS0_16reverse_iteratorISI_EEEEENSH_IJSG_SG_SG_EEES9_SI_JZNS1_25segmented_radix_sort_implINS0_14default_configELb1EPKsPsPKlPlN2at6native12_GLOBAL__N_18offset_tEEE10hipError_tPvRmT1_PNSt15iterator_traitsIS12_E10value_typeET2_T3_PNS13_IS18_E10value_typeET4_jRbjT5_S1E_jjP12ihipStream_tbEUljE_ZNSN_ISO_Lb1ESQ_SR_ST_SU_SY_EESZ_S10_S11_S12_S16_S17_S18_S1B_S1C_jS1D_jS1E_S1E_jjS1G_bEUljE0_EEESZ_S10_S11_S18_S1C_S1E_T6_T7_T9_mT8_S1G_bDpT10_ENKUlT_T0_E_clISt17integral_constantIbLb0EES1U_EEDaS1P_S1Q_EUlS1P_E_NS1_11comp_targetILNS1_3genE9ELNS1_11target_archE1100ELNS1_3gpuE3ELNS1_3repE0EEENS1_30default_config_static_selectorELNS0_4arch9wavefront6targetE1EEEvS12_
		.amdhsa_group_segment_fixed_size 0
		.amdhsa_private_segment_fixed_size 0
		.amdhsa_kernarg_size 176
		.amdhsa_user_sgpr_count 6
		.amdhsa_user_sgpr_private_segment_buffer 1
		.amdhsa_user_sgpr_dispatch_ptr 0
		.amdhsa_user_sgpr_queue_ptr 0
		.amdhsa_user_sgpr_kernarg_segment_ptr 1
		.amdhsa_user_sgpr_dispatch_id 0
		.amdhsa_user_sgpr_flat_scratch_init 0
		.amdhsa_user_sgpr_kernarg_preload_length 0
		.amdhsa_user_sgpr_kernarg_preload_offset 0
		.amdhsa_user_sgpr_private_segment_size 0
		.amdhsa_uses_dynamic_stack 0
		.amdhsa_system_sgpr_private_segment_wavefront_offset 0
		.amdhsa_system_sgpr_workgroup_id_x 1
		.amdhsa_system_sgpr_workgroup_id_y 0
		.amdhsa_system_sgpr_workgroup_id_z 0
		.amdhsa_system_sgpr_workgroup_info 0
		.amdhsa_system_vgpr_workitem_id 0
		.amdhsa_next_free_vgpr 1
		.amdhsa_next_free_sgpr 0
		.amdhsa_accum_offset 4
		.amdhsa_reserve_vcc 0
		.amdhsa_reserve_flat_scratch 0
		.amdhsa_float_round_mode_32 0
		.amdhsa_float_round_mode_16_64 0
		.amdhsa_float_denorm_mode_32 3
		.amdhsa_float_denorm_mode_16_64 3
		.amdhsa_dx10_clamp 1
		.amdhsa_ieee_mode 1
		.amdhsa_fp16_overflow 0
		.amdhsa_tg_split 0
		.amdhsa_exception_fp_ieee_invalid_op 0
		.amdhsa_exception_fp_denorm_src 0
		.amdhsa_exception_fp_ieee_div_zero 0
		.amdhsa_exception_fp_ieee_overflow 0
		.amdhsa_exception_fp_ieee_underflow 0
		.amdhsa_exception_fp_ieee_inexact 0
		.amdhsa_exception_int_div_zero 0
	.end_amdhsa_kernel
	.section	.text._ZN7rocprim17ROCPRIM_400000_NS6detail17trampoline_kernelINS0_13select_configILj256ELj13ELNS0_17block_load_methodE3ELS4_3ELS4_3ELNS0_20block_scan_algorithmE0ELj4294967295EEENS1_25partition_config_selectorILNS1_17partition_subalgoE4EjNS0_10empty_typeEbEEZZNS1_14partition_implILS8_4ELb0ES6_15HIP_vector_typeIjLj2EENS0_17counting_iteratorIjlEEPS9_SG_NS0_5tupleIJPjSI_NS0_16reverse_iteratorISI_EEEEENSH_IJSG_SG_SG_EEES9_SI_JZNS1_25segmented_radix_sort_implINS0_14default_configELb1EPKsPsPKlPlN2at6native12_GLOBAL__N_18offset_tEEE10hipError_tPvRmT1_PNSt15iterator_traitsIS12_E10value_typeET2_T3_PNS13_IS18_E10value_typeET4_jRbjT5_S1E_jjP12ihipStream_tbEUljE_ZNSN_ISO_Lb1ESQ_SR_ST_SU_SY_EESZ_S10_S11_S12_S16_S17_S18_S1B_S1C_jS1D_jS1E_S1E_jjS1G_bEUljE0_EEESZ_S10_S11_S18_S1C_S1E_T6_T7_T9_mT8_S1G_bDpT10_ENKUlT_T0_E_clISt17integral_constantIbLb0EES1U_EEDaS1P_S1Q_EUlS1P_E_NS1_11comp_targetILNS1_3genE9ELNS1_11target_archE1100ELNS1_3gpuE3ELNS1_3repE0EEENS1_30default_config_static_selectorELNS0_4arch9wavefront6targetE1EEEvS12_,"axG",@progbits,_ZN7rocprim17ROCPRIM_400000_NS6detail17trampoline_kernelINS0_13select_configILj256ELj13ELNS0_17block_load_methodE3ELS4_3ELS4_3ELNS0_20block_scan_algorithmE0ELj4294967295EEENS1_25partition_config_selectorILNS1_17partition_subalgoE4EjNS0_10empty_typeEbEEZZNS1_14partition_implILS8_4ELb0ES6_15HIP_vector_typeIjLj2EENS0_17counting_iteratorIjlEEPS9_SG_NS0_5tupleIJPjSI_NS0_16reverse_iteratorISI_EEEEENSH_IJSG_SG_SG_EEES9_SI_JZNS1_25segmented_radix_sort_implINS0_14default_configELb1EPKsPsPKlPlN2at6native12_GLOBAL__N_18offset_tEEE10hipError_tPvRmT1_PNSt15iterator_traitsIS12_E10value_typeET2_T3_PNS13_IS18_E10value_typeET4_jRbjT5_S1E_jjP12ihipStream_tbEUljE_ZNSN_ISO_Lb1ESQ_SR_ST_SU_SY_EESZ_S10_S11_S12_S16_S17_S18_S1B_S1C_jS1D_jS1E_S1E_jjS1G_bEUljE0_EEESZ_S10_S11_S18_S1C_S1E_T6_T7_T9_mT8_S1G_bDpT10_ENKUlT_T0_E_clISt17integral_constantIbLb0EES1U_EEDaS1P_S1Q_EUlS1P_E_NS1_11comp_targetILNS1_3genE9ELNS1_11target_archE1100ELNS1_3gpuE3ELNS1_3repE0EEENS1_30default_config_static_selectorELNS0_4arch9wavefront6targetE1EEEvS12_,comdat
.Lfunc_end853:
	.size	_ZN7rocprim17ROCPRIM_400000_NS6detail17trampoline_kernelINS0_13select_configILj256ELj13ELNS0_17block_load_methodE3ELS4_3ELS4_3ELNS0_20block_scan_algorithmE0ELj4294967295EEENS1_25partition_config_selectorILNS1_17partition_subalgoE4EjNS0_10empty_typeEbEEZZNS1_14partition_implILS8_4ELb0ES6_15HIP_vector_typeIjLj2EENS0_17counting_iteratorIjlEEPS9_SG_NS0_5tupleIJPjSI_NS0_16reverse_iteratorISI_EEEEENSH_IJSG_SG_SG_EEES9_SI_JZNS1_25segmented_radix_sort_implINS0_14default_configELb1EPKsPsPKlPlN2at6native12_GLOBAL__N_18offset_tEEE10hipError_tPvRmT1_PNSt15iterator_traitsIS12_E10value_typeET2_T3_PNS13_IS18_E10value_typeET4_jRbjT5_S1E_jjP12ihipStream_tbEUljE_ZNSN_ISO_Lb1ESQ_SR_ST_SU_SY_EESZ_S10_S11_S12_S16_S17_S18_S1B_S1C_jS1D_jS1E_S1E_jjS1G_bEUljE0_EEESZ_S10_S11_S18_S1C_S1E_T6_T7_T9_mT8_S1G_bDpT10_ENKUlT_T0_E_clISt17integral_constantIbLb0EES1U_EEDaS1P_S1Q_EUlS1P_E_NS1_11comp_targetILNS1_3genE9ELNS1_11target_archE1100ELNS1_3gpuE3ELNS1_3repE0EEENS1_30default_config_static_selectorELNS0_4arch9wavefront6targetE1EEEvS12_, .Lfunc_end853-_ZN7rocprim17ROCPRIM_400000_NS6detail17trampoline_kernelINS0_13select_configILj256ELj13ELNS0_17block_load_methodE3ELS4_3ELS4_3ELNS0_20block_scan_algorithmE0ELj4294967295EEENS1_25partition_config_selectorILNS1_17partition_subalgoE4EjNS0_10empty_typeEbEEZZNS1_14partition_implILS8_4ELb0ES6_15HIP_vector_typeIjLj2EENS0_17counting_iteratorIjlEEPS9_SG_NS0_5tupleIJPjSI_NS0_16reverse_iteratorISI_EEEEENSH_IJSG_SG_SG_EEES9_SI_JZNS1_25segmented_radix_sort_implINS0_14default_configELb1EPKsPsPKlPlN2at6native12_GLOBAL__N_18offset_tEEE10hipError_tPvRmT1_PNSt15iterator_traitsIS12_E10value_typeET2_T3_PNS13_IS18_E10value_typeET4_jRbjT5_S1E_jjP12ihipStream_tbEUljE_ZNSN_ISO_Lb1ESQ_SR_ST_SU_SY_EESZ_S10_S11_S12_S16_S17_S18_S1B_S1C_jS1D_jS1E_S1E_jjS1G_bEUljE0_EEESZ_S10_S11_S18_S1C_S1E_T6_T7_T9_mT8_S1G_bDpT10_ENKUlT_T0_E_clISt17integral_constantIbLb0EES1U_EEDaS1P_S1Q_EUlS1P_E_NS1_11comp_targetILNS1_3genE9ELNS1_11target_archE1100ELNS1_3gpuE3ELNS1_3repE0EEENS1_30default_config_static_selectorELNS0_4arch9wavefront6targetE1EEEvS12_
                                        ; -- End function
	.section	.AMDGPU.csdata,"",@progbits
; Kernel info:
; codeLenInByte = 0
; NumSgprs: 4
; NumVgprs: 0
; NumAgprs: 0
; TotalNumVgprs: 0
; ScratchSize: 0
; MemoryBound: 0
; FloatMode: 240
; IeeeMode: 1
; LDSByteSize: 0 bytes/workgroup (compile time only)
; SGPRBlocks: 0
; VGPRBlocks: 0
; NumSGPRsForWavesPerEU: 4
; NumVGPRsForWavesPerEU: 1
; AccumOffset: 4
; Occupancy: 8
; WaveLimiterHint : 0
; COMPUTE_PGM_RSRC2:SCRATCH_EN: 0
; COMPUTE_PGM_RSRC2:USER_SGPR: 6
; COMPUTE_PGM_RSRC2:TRAP_HANDLER: 0
; COMPUTE_PGM_RSRC2:TGID_X_EN: 1
; COMPUTE_PGM_RSRC2:TGID_Y_EN: 0
; COMPUTE_PGM_RSRC2:TGID_Z_EN: 0
; COMPUTE_PGM_RSRC2:TIDIG_COMP_CNT: 0
; COMPUTE_PGM_RSRC3_GFX90A:ACCUM_OFFSET: 0
; COMPUTE_PGM_RSRC3_GFX90A:TG_SPLIT: 0
	.section	.text._ZN7rocprim17ROCPRIM_400000_NS6detail17trampoline_kernelINS0_13select_configILj256ELj13ELNS0_17block_load_methodE3ELS4_3ELS4_3ELNS0_20block_scan_algorithmE0ELj4294967295EEENS1_25partition_config_selectorILNS1_17partition_subalgoE4EjNS0_10empty_typeEbEEZZNS1_14partition_implILS8_4ELb0ES6_15HIP_vector_typeIjLj2EENS0_17counting_iteratorIjlEEPS9_SG_NS0_5tupleIJPjSI_NS0_16reverse_iteratorISI_EEEEENSH_IJSG_SG_SG_EEES9_SI_JZNS1_25segmented_radix_sort_implINS0_14default_configELb1EPKsPsPKlPlN2at6native12_GLOBAL__N_18offset_tEEE10hipError_tPvRmT1_PNSt15iterator_traitsIS12_E10value_typeET2_T3_PNS13_IS18_E10value_typeET4_jRbjT5_S1E_jjP12ihipStream_tbEUljE_ZNSN_ISO_Lb1ESQ_SR_ST_SU_SY_EESZ_S10_S11_S12_S16_S17_S18_S1B_S1C_jS1D_jS1E_S1E_jjS1G_bEUljE0_EEESZ_S10_S11_S18_S1C_S1E_T6_T7_T9_mT8_S1G_bDpT10_ENKUlT_T0_E_clISt17integral_constantIbLb0EES1U_EEDaS1P_S1Q_EUlS1P_E_NS1_11comp_targetILNS1_3genE8ELNS1_11target_archE1030ELNS1_3gpuE2ELNS1_3repE0EEENS1_30default_config_static_selectorELNS0_4arch9wavefront6targetE1EEEvS12_,"axG",@progbits,_ZN7rocprim17ROCPRIM_400000_NS6detail17trampoline_kernelINS0_13select_configILj256ELj13ELNS0_17block_load_methodE3ELS4_3ELS4_3ELNS0_20block_scan_algorithmE0ELj4294967295EEENS1_25partition_config_selectorILNS1_17partition_subalgoE4EjNS0_10empty_typeEbEEZZNS1_14partition_implILS8_4ELb0ES6_15HIP_vector_typeIjLj2EENS0_17counting_iteratorIjlEEPS9_SG_NS0_5tupleIJPjSI_NS0_16reverse_iteratorISI_EEEEENSH_IJSG_SG_SG_EEES9_SI_JZNS1_25segmented_radix_sort_implINS0_14default_configELb1EPKsPsPKlPlN2at6native12_GLOBAL__N_18offset_tEEE10hipError_tPvRmT1_PNSt15iterator_traitsIS12_E10value_typeET2_T3_PNS13_IS18_E10value_typeET4_jRbjT5_S1E_jjP12ihipStream_tbEUljE_ZNSN_ISO_Lb1ESQ_SR_ST_SU_SY_EESZ_S10_S11_S12_S16_S17_S18_S1B_S1C_jS1D_jS1E_S1E_jjS1G_bEUljE0_EEESZ_S10_S11_S18_S1C_S1E_T6_T7_T9_mT8_S1G_bDpT10_ENKUlT_T0_E_clISt17integral_constantIbLb0EES1U_EEDaS1P_S1Q_EUlS1P_E_NS1_11comp_targetILNS1_3genE8ELNS1_11target_archE1030ELNS1_3gpuE2ELNS1_3repE0EEENS1_30default_config_static_selectorELNS0_4arch9wavefront6targetE1EEEvS12_,comdat
	.globl	_ZN7rocprim17ROCPRIM_400000_NS6detail17trampoline_kernelINS0_13select_configILj256ELj13ELNS0_17block_load_methodE3ELS4_3ELS4_3ELNS0_20block_scan_algorithmE0ELj4294967295EEENS1_25partition_config_selectorILNS1_17partition_subalgoE4EjNS0_10empty_typeEbEEZZNS1_14partition_implILS8_4ELb0ES6_15HIP_vector_typeIjLj2EENS0_17counting_iteratorIjlEEPS9_SG_NS0_5tupleIJPjSI_NS0_16reverse_iteratorISI_EEEEENSH_IJSG_SG_SG_EEES9_SI_JZNS1_25segmented_radix_sort_implINS0_14default_configELb1EPKsPsPKlPlN2at6native12_GLOBAL__N_18offset_tEEE10hipError_tPvRmT1_PNSt15iterator_traitsIS12_E10value_typeET2_T3_PNS13_IS18_E10value_typeET4_jRbjT5_S1E_jjP12ihipStream_tbEUljE_ZNSN_ISO_Lb1ESQ_SR_ST_SU_SY_EESZ_S10_S11_S12_S16_S17_S18_S1B_S1C_jS1D_jS1E_S1E_jjS1G_bEUljE0_EEESZ_S10_S11_S18_S1C_S1E_T6_T7_T9_mT8_S1G_bDpT10_ENKUlT_T0_E_clISt17integral_constantIbLb0EES1U_EEDaS1P_S1Q_EUlS1P_E_NS1_11comp_targetILNS1_3genE8ELNS1_11target_archE1030ELNS1_3gpuE2ELNS1_3repE0EEENS1_30default_config_static_selectorELNS0_4arch9wavefront6targetE1EEEvS12_ ; -- Begin function _ZN7rocprim17ROCPRIM_400000_NS6detail17trampoline_kernelINS0_13select_configILj256ELj13ELNS0_17block_load_methodE3ELS4_3ELS4_3ELNS0_20block_scan_algorithmE0ELj4294967295EEENS1_25partition_config_selectorILNS1_17partition_subalgoE4EjNS0_10empty_typeEbEEZZNS1_14partition_implILS8_4ELb0ES6_15HIP_vector_typeIjLj2EENS0_17counting_iteratorIjlEEPS9_SG_NS0_5tupleIJPjSI_NS0_16reverse_iteratorISI_EEEEENSH_IJSG_SG_SG_EEES9_SI_JZNS1_25segmented_radix_sort_implINS0_14default_configELb1EPKsPsPKlPlN2at6native12_GLOBAL__N_18offset_tEEE10hipError_tPvRmT1_PNSt15iterator_traitsIS12_E10value_typeET2_T3_PNS13_IS18_E10value_typeET4_jRbjT5_S1E_jjP12ihipStream_tbEUljE_ZNSN_ISO_Lb1ESQ_SR_ST_SU_SY_EESZ_S10_S11_S12_S16_S17_S18_S1B_S1C_jS1D_jS1E_S1E_jjS1G_bEUljE0_EEESZ_S10_S11_S18_S1C_S1E_T6_T7_T9_mT8_S1G_bDpT10_ENKUlT_T0_E_clISt17integral_constantIbLb0EES1U_EEDaS1P_S1Q_EUlS1P_E_NS1_11comp_targetILNS1_3genE8ELNS1_11target_archE1030ELNS1_3gpuE2ELNS1_3repE0EEENS1_30default_config_static_selectorELNS0_4arch9wavefront6targetE1EEEvS12_
	.p2align	8
	.type	_ZN7rocprim17ROCPRIM_400000_NS6detail17trampoline_kernelINS0_13select_configILj256ELj13ELNS0_17block_load_methodE3ELS4_3ELS4_3ELNS0_20block_scan_algorithmE0ELj4294967295EEENS1_25partition_config_selectorILNS1_17partition_subalgoE4EjNS0_10empty_typeEbEEZZNS1_14partition_implILS8_4ELb0ES6_15HIP_vector_typeIjLj2EENS0_17counting_iteratorIjlEEPS9_SG_NS0_5tupleIJPjSI_NS0_16reverse_iteratorISI_EEEEENSH_IJSG_SG_SG_EEES9_SI_JZNS1_25segmented_radix_sort_implINS0_14default_configELb1EPKsPsPKlPlN2at6native12_GLOBAL__N_18offset_tEEE10hipError_tPvRmT1_PNSt15iterator_traitsIS12_E10value_typeET2_T3_PNS13_IS18_E10value_typeET4_jRbjT5_S1E_jjP12ihipStream_tbEUljE_ZNSN_ISO_Lb1ESQ_SR_ST_SU_SY_EESZ_S10_S11_S12_S16_S17_S18_S1B_S1C_jS1D_jS1E_S1E_jjS1G_bEUljE0_EEESZ_S10_S11_S18_S1C_S1E_T6_T7_T9_mT8_S1G_bDpT10_ENKUlT_T0_E_clISt17integral_constantIbLb0EES1U_EEDaS1P_S1Q_EUlS1P_E_NS1_11comp_targetILNS1_3genE8ELNS1_11target_archE1030ELNS1_3gpuE2ELNS1_3repE0EEENS1_30default_config_static_selectorELNS0_4arch9wavefront6targetE1EEEvS12_,@function
_ZN7rocprim17ROCPRIM_400000_NS6detail17trampoline_kernelINS0_13select_configILj256ELj13ELNS0_17block_load_methodE3ELS4_3ELS4_3ELNS0_20block_scan_algorithmE0ELj4294967295EEENS1_25partition_config_selectorILNS1_17partition_subalgoE4EjNS0_10empty_typeEbEEZZNS1_14partition_implILS8_4ELb0ES6_15HIP_vector_typeIjLj2EENS0_17counting_iteratorIjlEEPS9_SG_NS0_5tupleIJPjSI_NS0_16reverse_iteratorISI_EEEEENSH_IJSG_SG_SG_EEES9_SI_JZNS1_25segmented_radix_sort_implINS0_14default_configELb1EPKsPsPKlPlN2at6native12_GLOBAL__N_18offset_tEEE10hipError_tPvRmT1_PNSt15iterator_traitsIS12_E10value_typeET2_T3_PNS13_IS18_E10value_typeET4_jRbjT5_S1E_jjP12ihipStream_tbEUljE_ZNSN_ISO_Lb1ESQ_SR_ST_SU_SY_EESZ_S10_S11_S12_S16_S17_S18_S1B_S1C_jS1D_jS1E_S1E_jjS1G_bEUljE0_EEESZ_S10_S11_S18_S1C_S1E_T6_T7_T9_mT8_S1G_bDpT10_ENKUlT_T0_E_clISt17integral_constantIbLb0EES1U_EEDaS1P_S1Q_EUlS1P_E_NS1_11comp_targetILNS1_3genE8ELNS1_11target_archE1030ELNS1_3gpuE2ELNS1_3repE0EEENS1_30default_config_static_selectorELNS0_4arch9wavefront6targetE1EEEvS12_: ; @_ZN7rocprim17ROCPRIM_400000_NS6detail17trampoline_kernelINS0_13select_configILj256ELj13ELNS0_17block_load_methodE3ELS4_3ELS4_3ELNS0_20block_scan_algorithmE0ELj4294967295EEENS1_25partition_config_selectorILNS1_17partition_subalgoE4EjNS0_10empty_typeEbEEZZNS1_14partition_implILS8_4ELb0ES6_15HIP_vector_typeIjLj2EENS0_17counting_iteratorIjlEEPS9_SG_NS0_5tupleIJPjSI_NS0_16reverse_iteratorISI_EEEEENSH_IJSG_SG_SG_EEES9_SI_JZNS1_25segmented_radix_sort_implINS0_14default_configELb1EPKsPsPKlPlN2at6native12_GLOBAL__N_18offset_tEEE10hipError_tPvRmT1_PNSt15iterator_traitsIS12_E10value_typeET2_T3_PNS13_IS18_E10value_typeET4_jRbjT5_S1E_jjP12ihipStream_tbEUljE_ZNSN_ISO_Lb1ESQ_SR_ST_SU_SY_EESZ_S10_S11_S12_S16_S17_S18_S1B_S1C_jS1D_jS1E_S1E_jjS1G_bEUljE0_EEESZ_S10_S11_S18_S1C_S1E_T6_T7_T9_mT8_S1G_bDpT10_ENKUlT_T0_E_clISt17integral_constantIbLb0EES1U_EEDaS1P_S1Q_EUlS1P_E_NS1_11comp_targetILNS1_3genE8ELNS1_11target_archE1030ELNS1_3gpuE2ELNS1_3repE0EEENS1_30default_config_static_selectorELNS0_4arch9wavefront6targetE1EEEvS12_
; %bb.0:
	.section	.rodata,"a",@progbits
	.p2align	6, 0x0
	.amdhsa_kernel _ZN7rocprim17ROCPRIM_400000_NS6detail17trampoline_kernelINS0_13select_configILj256ELj13ELNS0_17block_load_methodE3ELS4_3ELS4_3ELNS0_20block_scan_algorithmE0ELj4294967295EEENS1_25partition_config_selectorILNS1_17partition_subalgoE4EjNS0_10empty_typeEbEEZZNS1_14partition_implILS8_4ELb0ES6_15HIP_vector_typeIjLj2EENS0_17counting_iteratorIjlEEPS9_SG_NS0_5tupleIJPjSI_NS0_16reverse_iteratorISI_EEEEENSH_IJSG_SG_SG_EEES9_SI_JZNS1_25segmented_radix_sort_implINS0_14default_configELb1EPKsPsPKlPlN2at6native12_GLOBAL__N_18offset_tEEE10hipError_tPvRmT1_PNSt15iterator_traitsIS12_E10value_typeET2_T3_PNS13_IS18_E10value_typeET4_jRbjT5_S1E_jjP12ihipStream_tbEUljE_ZNSN_ISO_Lb1ESQ_SR_ST_SU_SY_EESZ_S10_S11_S12_S16_S17_S18_S1B_S1C_jS1D_jS1E_S1E_jjS1G_bEUljE0_EEESZ_S10_S11_S18_S1C_S1E_T6_T7_T9_mT8_S1G_bDpT10_ENKUlT_T0_E_clISt17integral_constantIbLb0EES1U_EEDaS1P_S1Q_EUlS1P_E_NS1_11comp_targetILNS1_3genE8ELNS1_11target_archE1030ELNS1_3gpuE2ELNS1_3repE0EEENS1_30default_config_static_selectorELNS0_4arch9wavefront6targetE1EEEvS12_
		.amdhsa_group_segment_fixed_size 0
		.amdhsa_private_segment_fixed_size 0
		.amdhsa_kernarg_size 176
		.amdhsa_user_sgpr_count 6
		.amdhsa_user_sgpr_private_segment_buffer 1
		.amdhsa_user_sgpr_dispatch_ptr 0
		.amdhsa_user_sgpr_queue_ptr 0
		.amdhsa_user_sgpr_kernarg_segment_ptr 1
		.amdhsa_user_sgpr_dispatch_id 0
		.amdhsa_user_sgpr_flat_scratch_init 0
		.amdhsa_user_sgpr_kernarg_preload_length 0
		.amdhsa_user_sgpr_kernarg_preload_offset 0
		.amdhsa_user_sgpr_private_segment_size 0
		.amdhsa_uses_dynamic_stack 0
		.amdhsa_system_sgpr_private_segment_wavefront_offset 0
		.amdhsa_system_sgpr_workgroup_id_x 1
		.amdhsa_system_sgpr_workgroup_id_y 0
		.amdhsa_system_sgpr_workgroup_id_z 0
		.amdhsa_system_sgpr_workgroup_info 0
		.amdhsa_system_vgpr_workitem_id 0
		.amdhsa_next_free_vgpr 1
		.amdhsa_next_free_sgpr 0
		.amdhsa_accum_offset 4
		.amdhsa_reserve_vcc 0
		.amdhsa_reserve_flat_scratch 0
		.amdhsa_float_round_mode_32 0
		.amdhsa_float_round_mode_16_64 0
		.amdhsa_float_denorm_mode_32 3
		.amdhsa_float_denorm_mode_16_64 3
		.amdhsa_dx10_clamp 1
		.amdhsa_ieee_mode 1
		.amdhsa_fp16_overflow 0
		.amdhsa_tg_split 0
		.amdhsa_exception_fp_ieee_invalid_op 0
		.amdhsa_exception_fp_denorm_src 0
		.amdhsa_exception_fp_ieee_div_zero 0
		.amdhsa_exception_fp_ieee_overflow 0
		.amdhsa_exception_fp_ieee_underflow 0
		.amdhsa_exception_fp_ieee_inexact 0
		.amdhsa_exception_int_div_zero 0
	.end_amdhsa_kernel
	.section	.text._ZN7rocprim17ROCPRIM_400000_NS6detail17trampoline_kernelINS0_13select_configILj256ELj13ELNS0_17block_load_methodE3ELS4_3ELS4_3ELNS0_20block_scan_algorithmE0ELj4294967295EEENS1_25partition_config_selectorILNS1_17partition_subalgoE4EjNS0_10empty_typeEbEEZZNS1_14partition_implILS8_4ELb0ES6_15HIP_vector_typeIjLj2EENS0_17counting_iteratorIjlEEPS9_SG_NS0_5tupleIJPjSI_NS0_16reverse_iteratorISI_EEEEENSH_IJSG_SG_SG_EEES9_SI_JZNS1_25segmented_radix_sort_implINS0_14default_configELb1EPKsPsPKlPlN2at6native12_GLOBAL__N_18offset_tEEE10hipError_tPvRmT1_PNSt15iterator_traitsIS12_E10value_typeET2_T3_PNS13_IS18_E10value_typeET4_jRbjT5_S1E_jjP12ihipStream_tbEUljE_ZNSN_ISO_Lb1ESQ_SR_ST_SU_SY_EESZ_S10_S11_S12_S16_S17_S18_S1B_S1C_jS1D_jS1E_S1E_jjS1G_bEUljE0_EEESZ_S10_S11_S18_S1C_S1E_T6_T7_T9_mT8_S1G_bDpT10_ENKUlT_T0_E_clISt17integral_constantIbLb0EES1U_EEDaS1P_S1Q_EUlS1P_E_NS1_11comp_targetILNS1_3genE8ELNS1_11target_archE1030ELNS1_3gpuE2ELNS1_3repE0EEENS1_30default_config_static_selectorELNS0_4arch9wavefront6targetE1EEEvS12_,"axG",@progbits,_ZN7rocprim17ROCPRIM_400000_NS6detail17trampoline_kernelINS0_13select_configILj256ELj13ELNS0_17block_load_methodE3ELS4_3ELS4_3ELNS0_20block_scan_algorithmE0ELj4294967295EEENS1_25partition_config_selectorILNS1_17partition_subalgoE4EjNS0_10empty_typeEbEEZZNS1_14partition_implILS8_4ELb0ES6_15HIP_vector_typeIjLj2EENS0_17counting_iteratorIjlEEPS9_SG_NS0_5tupleIJPjSI_NS0_16reverse_iteratorISI_EEEEENSH_IJSG_SG_SG_EEES9_SI_JZNS1_25segmented_radix_sort_implINS0_14default_configELb1EPKsPsPKlPlN2at6native12_GLOBAL__N_18offset_tEEE10hipError_tPvRmT1_PNSt15iterator_traitsIS12_E10value_typeET2_T3_PNS13_IS18_E10value_typeET4_jRbjT5_S1E_jjP12ihipStream_tbEUljE_ZNSN_ISO_Lb1ESQ_SR_ST_SU_SY_EESZ_S10_S11_S12_S16_S17_S18_S1B_S1C_jS1D_jS1E_S1E_jjS1G_bEUljE0_EEESZ_S10_S11_S18_S1C_S1E_T6_T7_T9_mT8_S1G_bDpT10_ENKUlT_T0_E_clISt17integral_constantIbLb0EES1U_EEDaS1P_S1Q_EUlS1P_E_NS1_11comp_targetILNS1_3genE8ELNS1_11target_archE1030ELNS1_3gpuE2ELNS1_3repE0EEENS1_30default_config_static_selectorELNS0_4arch9wavefront6targetE1EEEvS12_,comdat
.Lfunc_end854:
	.size	_ZN7rocprim17ROCPRIM_400000_NS6detail17trampoline_kernelINS0_13select_configILj256ELj13ELNS0_17block_load_methodE3ELS4_3ELS4_3ELNS0_20block_scan_algorithmE0ELj4294967295EEENS1_25partition_config_selectorILNS1_17partition_subalgoE4EjNS0_10empty_typeEbEEZZNS1_14partition_implILS8_4ELb0ES6_15HIP_vector_typeIjLj2EENS0_17counting_iteratorIjlEEPS9_SG_NS0_5tupleIJPjSI_NS0_16reverse_iteratorISI_EEEEENSH_IJSG_SG_SG_EEES9_SI_JZNS1_25segmented_radix_sort_implINS0_14default_configELb1EPKsPsPKlPlN2at6native12_GLOBAL__N_18offset_tEEE10hipError_tPvRmT1_PNSt15iterator_traitsIS12_E10value_typeET2_T3_PNS13_IS18_E10value_typeET4_jRbjT5_S1E_jjP12ihipStream_tbEUljE_ZNSN_ISO_Lb1ESQ_SR_ST_SU_SY_EESZ_S10_S11_S12_S16_S17_S18_S1B_S1C_jS1D_jS1E_S1E_jjS1G_bEUljE0_EEESZ_S10_S11_S18_S1C_S1E_T6_T7_T9_mT8_S1G_bDpT10_ENKUlT_T0_E_clISt17integral_constantIbLb0EES1U_EEDaS1P_S1Q_EUlS1P_E_NS1_11comp_targetILNS1_3genE8ELNS1_11target_archE1030ELNS1_3gpuE2ELNS1_3repE0EEENS1_30default_config_static_selectorELNS0_4arch9wavefront6targetE1EEEvS12_, .Lfunc_end854-_ZN7rocprim17ROCPRIM_400000_NS6detail17trampoline_kernelINS0_13select_configILj256ELj13ELNS0_17block_load_methodE3ELS4_3ELS4_3ELNS0_20block_scan_algorithmE0ELj4294967295EEENS1_25partition_config_selectorILNS1_17partition_subalgoE4EjNS0_10empty_typeEbEEZZNS1_14partition_implILS8_4ELb0ES6_15HIP_vector_typeIjLj2EENS0_17counting_iteratorIjlEEPS9_SG_NS0_5tupleIJPjSI_NS0_16reverse_iteratorISI_EEEEENSH_IJSG_SG_SG_EEES9_SI_JZNS1_25segmented_radix_sort_implINS0_14default_configELb1EPKsPsPKlPlN2at6native12_GLOBAL__N_18offset_tEEE10hipError_tPvRmT1_PNSt15iterator_traitsIS12_E10value_typeET2_T3_PNS13_IS18_E10value_typeET4_jRbjT5_S1E_jjP12ihipStream_tbEUljE_ZNSN_ISO_Lb1ESQ_SR_ST_SU_SY_EESZ_S10_S11_S12_S16_S17_S18_S1B_S1C_jS1D_jS1E_S1E_jjS1G_bEUljE0_EEESZ_S10_S11_S18_S1C_S1E_T6_T7_T9_mT8_S1G_bDpT10_ENKUlT_T0_E_clISt17integral_constantIbLb0EES1U_EEDaS1P_S1Q_EUlS1P_E_NS1_11comp_targetILNS1_3genE8ELNS1_11target_archE1030ELNS1_3gpuE2ELNS1_3repE0EEENS1_30default_config_static_selectorELNS0_4arch9wavefront6targetE1EEEvS12_
                                        ; -- End function
	.section	.AMDGPU.csdata,"",@progbits
; Kernel info:
; codeLenInByte = 0
; NumSgprs: 4
; NumVgprs: 0
; NumAgprs: 0
; TotalNumVgprs: 0
; ScratchSize: 0
; MemoryBound: 0
; FloatMode: 240
; IeeeMode: 1
; LDSByteSize: 0 bytes/workgroup (compile time only)
; SGPRBlocks: 0
; VGPRBlocks: 0
; NumSGPRsForWavesPerEU: 4
; NumVGPRsForWavesPerEU: 1
; AccumOffset: 4
; Occupancy: 8
; WaveLimiterHint : 0
; COMPUTE_PGM_RSRC2:SCRATCH_EN: 0
; COMPUTE_PGM_RSRC2:USER_SGPR: 6
; COMPUTE_PGM_RSRC2:TRAP_HANDLER: 0
; COMPUTE_PGM_RSRC2:TGID_X_EN: 1
; COMPUTE_PGM_RSRC2:TGID_Y_EN: 0
; COMPUTE_PGM_RSRC2:TGID_Z_EN: 0
; COMPUTE_PGM_RSRC2:TIDIG_COMP_CNT: 0
; COMPUTE_PGM_RSRC3_GFX90A:ACCUM_OFFSET: 0
; COMPUTE_PGM_RSRC3_GFX90A:TG_SPLIT: 0
	.section	.text._ZN7rocprim17ROCPRIM_400000_NS6detail17trampoline_kernelINS0_13select_configILj256ELj13ELNS0_17block_load_methodE3ELS4_3ELS4_3ELNS0_20block_scan_algorithmE0ELj4294967295EEENS1_25partition_config_selectorILNS1_17partition_subalgoE4EjNS0_10empty_typeEbEEZZNS1_14partition_implILS8_4ELb0ES6_15HIP_vector_typeIjLj2EENS0_17counting_iteratorIjlEEPS9_SG_NS0_5tupleIJPjSI_NS0_16reverse_iteratorISI_EEEEENSH_IJSG_SG_SG_EEES9_SI_JZNS1_25segmented_radix_sort_implINS0_14default_configELb1EPKsPsPKlPlN2at6native12_GLOBAL__N_18offset_tEEE10hipError_tPvRmT1_PNSt15iterator_traitsIS12_E10value_typeET2_T3_PNS13_IS18_E10value_typeET4_jRbjT5_S1E_jjP12ihipStream_tbEUljE_ZNSN_ISO_Lb1ESQ_SR_ST_SU_SY_EESZ_S10_S11_S12_S16_S17_S18_S1B_S1C_jS1D_jS1E_S1E_jjS1G_bEUljE0_EEESZ_S10_S11_S18_S1C_S1E_T6_T7_T9_mT8_S1G_bDpT10_ENKUlT_T0_E_clISt17integral_constantIbLb1EES1U_EEDaS1P_S1Q_EUlS1P_E_NS1_11comp_targetILNS1_3genE0ELNS1_11target_archE4294967295ELNS1_3gpuE0ELNS1_3repE0EEENS1_30default_config_static_selectorELNS0_4arch9wavefront6targetE1EEEvS12_,"axG",@progbits,_ZN7rocprim17ROCPRIM_400000_NS6detail17trampoline_kernelINS0_13select_configILj256ELj13ELNS0_17block_load_methodE3ELS4_3ELS4_3ELNS0_20block_scan_algorithmE0ELj4294967295EEENS1_25partition_config_selectorILNS1_17partition_subalgoE4EjNS0_10empty_typeEbEEZZNS1_14partition_implILS8_4ELb0ES6_15HIP_vector_typeIjLj2EENS0_17counting_iteratorIjlEEPS9_SG_NS0_5tupleIJPjSI_NS0_16reverse_iteratorISI_EEEEENSH_IJSG_SG_SG_EEES9_SI_JZNS1_25segmented_radix_sort_implINS0_14default_configELb1EPKsPsPKlPlN2at6native12_GLOBAL__N_18offset_tEEE10hipError_tPvRmT1_PNSt15iterator_traitsIS12_E10value_typeET2_T3_PNS13_IS18_E10value_typeET4_jRbjT5_S1E_jjP12ihipStream_tbEUljE_ZNSN_ISO_Lb1ESQ_SR_ST_SU_SY_EESZ_S10_S11_S12_S16_S17_S18_S1B_S1C_jS1D_jS1E_S1E_jjS1G_bEUljE0_EEESZ_S10_S11_S18_S1C_S1E_T6_T7_T9_mT8_S1G_bDpT10_ENKUlT_T0_E_clISt17integral_constantIbLb1EES1U_EEDaS1P_S1Q_EUlS1P_E_NS1_11comp_targetILNS1_3genE0ELNS1_11target_archE4294967295ELNS1_3gpuE0ELNS1_3repE0EEENS1_30default_config_static_selectorELNS0_4arch9wavefront6targetE1EEEvS12_,comdat
	.globl	_ZN7rocprim17ROCPRIM_400000_NS6detail17trampoline_kernelINS0_13select_configILj256ELj13ELNS0_17block_load_methodE3ELS4_3ELS4_3ELNS0_20block_scan_algorithmE0ELj4294967295EEENS1_25partition_config_selectorILNS1_17partition_subalgoE4EjNS0_10empty_typeEbEEZZNS1_14partition_implILS8_4ELb0ES6_15HIP_vector_typeIjLj2EENS0_17counting_iteratorIjlEEPS9_SG_NS0_5tupleIJPjSI_NS0_16reverse_iteratorISI_EEEEENSH_IJSG_SG_SG_EEES9_SI_JZNS1_25segmented_radix_sort_implINS0_14default_configELb1EPKsPsPKlPlN2at6native12_GLOBAL__N_18offset_tEEE10hipError_tPvRmT1_PNSt15iterator_traitsIS12_E10value_typeET2_T3_PNS13_IS18_E10value_typeET4_jRbjT5_S1E_jjP12ihipStream_tbEUljE_ZNSN_ISO_Lb1ESQ_SR_ST_SU_SY_EESZ_S10_S11_S12_S16_S17_S18_S1B_S1C_jS1D_jS1E_S1E_jjS1G_bEUljE0_EEESZ_S10_S11_S18_S1C_S1E_T6_T7_T9_mT8_S1G_bDpT10_ENKUlT_T0_E_clISt17integral_constantIbLb1EES1U_EEDaS1P_S1Q_EUlS1P_E_NS1_11comp_targetILNS1_3genE0ELNS1_11target_archE4294967295ELNS1_3gpuE0ELNS1_3repE0EEENS1_30default_config_static_selectorELNS0_4arch9wavefront6targetE1EEEvS12_ ; -- Begin function _ZN7rocprim17ROCPRIM_400000_NS6detail17trampoline_kernelINS0_13select_configILj256ELj13ELNS0_17block_load_methodE3ELS4_3ELS4_3ELNS0_20block_scan_algorithmE0ELj4294967295EEENS1_25partition_config_selectorILNS1_17partition_subalgoE4EjNS0_10empty_typeEbEEZZNS1_14partition_implILS8_4ELb0ES6_15HIP_vector_typeIjLj2EENS0_17counting_iteratorIjlEEPS9_SG_NS0_5tupleIJPjSI_NS0_16reverse_iteratorISI_EEEEENSH_IJSG_SG_SG_EEES9_SI_JZNS1_25segmented_radix_sort_implINS0_14default_configELb1EPKsPsPKlPlN2at6native12_GLOBAL__N_18offset_tEEE10hipError_tPvRmT1_PNSt15iterator_traitsIS12_E10value_typeET2_T3_PNS13_IS18_E10value_typeET4_jRbjT5_S1E_jjP12ihipStream_tbEUljE_ZNSN_ISO_Lb1ESQ_SR_ST_SU_SY_EESZ_S10_S11_S12_S16_S17_S18_S1B_S1C_jS1D_jS1E_S1E_jjS1G_bEUljE0_EEESZ_S10_S11_S18_S1C_S1E_T6_T7_T9_mT8_S1G_bDpT10_ENKUlT_T0_E_clISt17integral_constantIbLb1EES1U_EEDaS1P_S1Q_EUlS1P_E_NS1_11comp_targetILNS1_3genE0ELNS1_11target_archE4294967295ELNS1_3gpuE0ELNS1_3repE0EEENS1_30default_config_static_selectorELNS0_4arch9wavefront6targetE1EEEvS12_
	.p2align	8
	.type	_ZN7rocprim17ROCPRIM_400000_NS6detail17trampoline_kernelINS0_13select_configILj256ELj13ELNS0_17block_load_methodE3ELS4_3ELS4_3ELNS0_20block_scan_algorithmE0ELj4294967295EEENS1_25partition_config_selectorILNS1_17partition_subalgoE4EjNS0_10empty_typeEbEEZZNS1_14partition_implILS8_4ELb0ES6_15HIP_vector_typeIjLj2EENS0_17counting_iteratorIjlEEPS9_SG_NS0_5tupleIJPjSI_NS0_16reverse_iteratorISI_EEEEENSH_IJSG_SG_SG_EEES9_SI_JZNS1_25segmented_radix_sort_implINS0_14default_configELb1EPKsPsPKlPlN2at6native12_GLOBAL__N_18offset_tEEE10hipError_tPvRmT1_PNSt15iterator_traitsIS12_E10value_typeET2_T3_PNS13_IS18_E10value_typeET4_jRbjT5_S1E_jjP12ihipStream_tbEUljE_ZNSN_ISO_Lb1ESQ_SR_ST_SU_SY_EESZ_S10_S11_S12_S16_S17_S18_S1B_S1C_jS1D_jS1E_S1E_jjS1G_bEUljE0_EEESZ_S10_S11_S18_S1C_S1E_T6_T7_T9_mT8_S1G_bDpT10_ENKUlT_T0_E_clISt17integral_constantIbLb1EES1U_EEDaS1P_S1Q_EUlS1P_E_NS1_11comp_targetILNS1_3genE0ELNS1_11target_archE4294967295ELNS1_3gpuE0ELNS1_3repE0EEENS1_30default_config_static_selectorELNS0_4arch9wavefront6targetE1EEEvS12_,@function
_ZN7rocprim17ROCPRIM_400000_NS6detail17trampoline_kernelINS0_13select_configILj256ELj13ELNS0_17block_load_methodE3ELS4_3ELS4_3ELNS0_20block_scan_algorithmE0ELj4294967295EEENS1_25partition_config_selectorILNS1_17partition_subalgoE4EjNS0_10empty_typeEbEEZZNS1_14partition_implILS8_4ELb0ES6_15HIP_vector_typeIjLj2EENS0_17counting_iteratorIjlEEPS9_SG_NS0_5tupleIJPjSI_NS0_16reverse_iteratorISI_EEEEENSH_IJSG_SG_SG_EEES9_SI_JZNS1_25segmented_radix_sort_implINS0_14default_configELb1EPKsPsPKlPlN2at6native12_GLOBAL__N_18offset_tEEE10hipError_tPvRmT1_PNSt15iterator_traitsIS12_E10value_typeET2_T3_PNS13_IS18_E10value_typeET4_jRbjT5_S1E_jjP12ihipStream_tbEUljE_ZNSN_ISO_Lb1ESQ_SR_ST_SU_SY_EESZ_S10_S11_S12_S16_S17_S18_S1B_S1C_jS1D_jS1E_S1E_jjS1G_bEUljE0_EEESZ_S10_S11_S18_S1C_S1E_T6_T7_T9_mT8_S1G_bDpT10_ENKUlT_T0_E_clISt17integral_constantIbLb1EES1U_EEDaS1P_S1Q_EUlS1P_E_NS1_11comp_targetILNS1_3genE0ELNS1_11target_archE4294967295ELNS1_3gpuE0ELNS1_3repE0EEENS1_30default_config_static_selectorELNS0_4arch9wavefront6targetE1EEEvS12_: ; @_ZN7rocprim17ROCPRIM_400000_NS6detail17trampoline_kernelINS0_13select_configILj256ELj13ELNS0_17block_load_methodE3ELS4_3ELS4_3ELNS0_20block_scan_algorithmE0ELj4294967295EEENS1_25partition_config_selectorILNS1_17partition_subalgoE4EjNS0_10empty_typeEbEEZZNS1_14partition_implILS8_4ELb0ES6_15HIP_vector_typeIjLj2EENS0_17counting_iteratorIjlEEPS9_SG_NS0_5tupleIJPjSI_NS0_16reverse_iteratorISI_EEEEENSH_IJSG_SG_SG_EEES9_SI_JZNS1_25segmented_radix_sort_implINS0_14default_configELb1EPKsPsPKlPlN2at6native12_GLOBAL__N_18offset_tEEE10hipError_tPvRmT1_PNSt15iterator_traitsIS12_E10value_typeET2_T3_PNS13_IS18_E10value_typeET4_jRbjT5_S1E_jjP12ihipStream_tbEUljE_ZNSN_ISO_Lb1ESQ_SR_ST_SU_SY_EESZ_S10_S11_S12_S16_S17_S18_S1B_S1C_jS1D_jS1E_S1E_jjS1G_bEUljE0_EEESZ_S10_S11_S18_S1C_S1E_T6_T7_T9_mT8_S1G_bDpT10_ENKUlT_T0_E_clISt17integral_constantIbLb1EES1U_EEDaS1P_S1Q_EUlS1P_E_NS1_11comp_targetILNS1_3genE0ELNS1_11target_archE4294967295ELNS1_3gpuE0ELNS1_3repE0EEENS1_30default_config_static_selectorELNS0_4arch9wavefront6targetE1EEEvS12_
; %bb.0:
	.section	.rodata,"a",@progbits
	.p2align	6, 0x0
	.amdhsa_kernel _ZN7rocprim17ROCPRIM_400000_NS6detail17trampoline_kernelINS0_13select_configILj256ELj13ELNS0_17block_load_methodE3ELS4_3ELS4_3ELNS0_20block_scan_algorithmE0ELj4294967295EEENS1_25partition_config_selectorILNS1_17partition_subalgoE4EjNS0_10empty_typeEbEEZZNS1_14partition_implILS8_4ELb0ES6_15HIP_vector_typeIjLj2EENS0_17counting_iteratorIjlEEPS9_SG_NS0_5tupleIJPjSI_NS0_16reverse_iteratorISI_EEEEENSH_IJSG_SG_SG_EEES9_SI_JZNS1_25segmented_radix_sort_implINS0_14default_configELb1EPKsPsPKlPlN2at6native12_GLOBAL__N_18offset_tEEE10hipError_tPvRmT1_PNSt15iterator_traitsIS12_E10value_typeET2_T3_PNS13_IS18_E10value_typeET4_jRbjT5_S1E_jjP12ihipStream_tbEUljE_ZNSN_ISO_Lb1ESQ_SR_ST_SU_SY_EESZ_S10_S11_S12_S16_S17_S18_S1B_S1C_jS1D_jS1E_S1E_jjS1G_bEUljE0_EEESZ_S10_S11_S18_S1C_S1E_T6_T7_T9_mT8_S1G_bDpT10_ENKUlT_T0_E_clISt17integral_constantIbLb1EES1U_EEDaS1P_S1Q_EUlS1P_E_NS1_11comp_targetILNS1_3genE0ELNS1_11target_archE4294967295ELNS1_3gpuE0ELNS1_3repE0EEENS1_30default_config_static_selectorELNS0_4arch9wavefront6targetE1EEEvS12_
		.amdhsa_group_segment_fixed_size 0
		.amdhsa_private_segment_fixed_size 0
		.amdhsa_kernarg_size 184
		.amdhsa_user_sgpr_count 6
		.amdhsa_user_sgpr_private_segment_buffer 1
		.amdhsa_user_sgpr_dispatch_ptr 0
		.amdhsa_user_sgpr_queue_ptr 0
		.amdhsa_user_sgpr_kernarg_segment_ptr 1
		.amdhsa_user_sgpr_dispatch_id 0
		.amdhsa_user_sgpr_flat_scratch_init 0
		.amdhsa_user_sgpr_kernarg_preload_length 0
		.amdhsa_user_sgpr_kernarg_preload_offset 0
		.amdhsa_user_sgpr_private_segment_size 0
		.amdhsa_uses_dynamic_stack 0
		.amdhsa_system_sgpr_private_segment_wavefront_offset 0
		.amdhsa_system_sgpr_workgroup_id_x 1
		.amdhsa_system_sgpr_workgroup_id_y 0
		.amdhsa_system_sgpr_workgroup_id_z 0
		.amdhsa_system_sgpr_workgroup_info 0
		.amdhsa_system_vgpr_workitem_id 0
		.amdhsa_next_free_vgpr 1
		.amdhsa_next_free_sgpr 0
		.amdhsa_accum_offset 4
		.amdhsa_reserve_vcc 0
		.amdhsa_reserve_flat_scratch 0
		.amdhsa_float_round_mode_32 0
		.amdhsa_float_round_mode_16_64 0
		.amdhsa_float_denorm_mode_32 3
		.amdhsa_float_denorm_mode_16_64 3
		.amdhsa_dx10_clamp 1
		.amdhsa_ieee_mode 1
		.amdhsa_fp16_overflow 0
		.amdhsa_tg_split 0
		.amdhsa_exception_fp_ieee_invalid_op 0
		.amdhsa_exception_fp_denorm_src 0
		.amdhsa_exception_fp_ieee_div_zero 0
		.amdhsa_exception_fp_ieee_overflow 0
		.amdhsa_exception_fp_ieee_underflow 0
		.amdhsa_exception_fp_ieee_inexact 0
		.amdhsa_exception_int_div_zero 0
	.end_amdhsa_kernel
	.section	.text._ZN7rocprim17ROCPRIM_400000_NS6detail17trampoline_kernelINS0_13select_configILj256ELj13ELNS0_17block_load_methodE3ELS4_3ELS4_3ELNS0_20block_scan_algorithmE0ELj4294967295EEENS1_25partition_config_selectorILNS1_17partition_subalgoE4EjNS0_10empty_typeEbEEZZNS1_14partition_implILS8_4ELb0ES6_15HIP_vector_typeIjLj2EENS0_17counting_iteratorIjlEEPS9_SG_NS0_5tupleIJPjSI_NS0_16reverse_iteratorISI_EEEEENSH_IJSG_SG_SG_EEES9_SI_JZNS1_25segmented_radix_sort_implINS0_14default_configELb1EPKsPsPKlPlN2at6native12_GLOBAL__N_18offset_tEEE10hipError_tPvRmT1_PNSt15iterator_traitsIS12_E10value_typeET2_T3_PNS13_IS18_E10value_typeET4_jRbjT5_S1E_jjP12ihipStream_tbEUljE_ZNSN_ISO_Lb1ESQ_SR_ST_SU_SY_EESZ_S10_S11_S12_S16_S17_S18_S1B_S1C_jS1D_jS1E_S1E_jjS1G_bEUljE0_EEESZ_S10_S11_S18_S1C_S1E_T6_T7_T9_mT8_S1G_bDpT10_ENKUlT_T0_E_clISt17integral_constantIbLb1EES1U_EEDaS1P_S1Q_EUlS1P_E_NS1_11comp_targetILNS1_3genE0ELNS1_11target_archE4294967295ELNS1_3gpuE0ELNS1_3repE0EEENS1_30default_config_static_selectorELNS0_4arch9wavefront6targetE1EEEvS12_,"axG",@progbits,_ZN7rocprim17ROCPRIM_400000_NS6detail17trampoline_kernelINS0_13select_configILj256ELj13ELNS0_17block_load_methodE3ELS4_3ELS4_3ELNS0_20block_scan_algorithmE0ELj4294967295EEENS1_25partition_config_selectorILNS1_17partition_subalgoE4EjNS0_10empty_typeEbEEZZNS1_14partition_implILS8_4ELb0ES6_15HIP_vector_typeIjLj2EENS0_17counting_iteratorIjlEEPS9_SG_NS0_5tupleIJPjSI_NS0_16reverse_iteratorISI_EEEEENSH_IJSG_SG_SG_EEES9_SI_JZNS1_25segmented_radix_sort_implINS0_14default_configELb1EPKsPsPKlPlN2at6native12_GLOBAL__N_18offset_tEEE10hipError_tPvRmT1_PNSt15iterator_traitsIS12_E10value_typeET2_T3_PNS13_IS18_E10value_typeET4_jRbjT5_S1E_jjP12ihipStream_tbEUljE_ZNSN_ISO_Lb1ESQ_SR_ST_SU_SY_EESZ_S10_S11_S12_S16_S17_S18_S1B_S1C_jS1D_jS1E_S1E_jjS1G_bEUljE0_EEESZ_S10_S11_S18_S1C_S1E_T6_T7_T9_mT8_S1G_bDpT10_ENKUlT_T0_E_clISt17integral_constantIbLb1EES1U_EEDaS1P_S1Q_EUlS1P_E_NS1_11comp_targetILNS1_3genE0ELNS1_11target_archE4294967295ELNS1_3gpuE0ELNS1_3repE0EEENS1_30default_config_static_selectorELNS0_4arch9wavefront6targetE1EEEvS12_,comdat
.Lfunc_end855:
	.size	_ZN7rocprim17ROCPRIM_400000_NS6detail17trampoline_kernelINS0_13select_configILj256ELj13ELNS0_17block_load_methodE3ELS4_3ELS4_3ELNS0_20block_scan_algorithmE0ELj4294967295EEENS1_25partition_config_selectorILNS1_17partition_subalgoE4EjNS0_10empty_typeEbEEZZNS1_14partition_implILS8_4ELb0ES6_15HIP_vector_typeIjLj2EENS0_17counting_iteratorIjlEEPS9_SG_NS0_5tupleIJPjSI_NS0_16reverse_iteratorISI_EEEEENSH_IJSG_SG_SG_EEES9_SI_JZNS1_25segmented_radix_sort_implINS0_14default_configELb1EPKsPsPKlPlN2at6native12_GLOBAL__N_18offset_tEEE10hipError_tPvRmT1_PNSt15iterator_traitsIS12_E10value_typeET2_T3_PNS13_IS18_E10value_typeET4_jRbjT5_S1E_jjP12ihipStream_tbEUljE_ZNSN_ISO_Lb1ESQ_SR_ST_SU_SY_EESZ_S10_S11_S12_S16_S17_S18_S1B_S1C_jS1D_jS1E_S1E_jjS1G_bEUljE0_EEESZ_S10_S11_S18_S1C_S1E_T6_T7_T9_mT8_S1G_bDpT10_ENKUlT_T0_E_clISt17integral_constantIbLb1EES1U_EEDaS1P_S1Q_EUlS1P_E_NS1_11comp_targetILNS1_3genE0ELNS1_11target_archE4294967295ELNS1_3gpuE0ELNS1_3repE0EEENS1_30default_config_static_selectorELNS0_4arch9wavefront6targetE1EEEvS12_, .Lfunc_end855-_ZN7rocprim17ROCPRIM_400000_NS6detail17trampoline_kernelINS0_13select_configILj256ELj13ELNS0_17block_load_methodE3ELS4_3ELS4_3ELNS0_20block_scan_algorithmE0ELj4294967295EEENS1_25partition_config_selectorILNS1_17partition_subalgoE4EjNS0_10empty_typeEbEEZZNS1_14partition_implILS8_4ELb0ES6_15HIP_vector_typeIjLj2EENS0_17counting_iteratorIjlEEPS9_SG_NS0_5tupleIJPjSI_NS0_16reverse_iteratorISI_EEEEENSH_IJSG_SG_SG_EEES9_SI_JZNS1_25segmented_radix_sort_implINS0_14default_configELb1EPKsPsPKlPlN2at6native12_GLOBAL__N_18offset_tEEE10hipError_tPvRmT1_PNSt15iterator_traitsIS12_E10value_typeET2_T3_PNS13_IS18_E10value_typeET4_jRbjT5_S1E_jjP12ihipStream_tbEUljE_ZNSN_ISO_Lb1ESQ_SR_ST_SU_SY_EESZ_S10_S11_S12_S16_S17_S18_S1B_S1C_jS1D_jS1E_S1E_jjS1G_bEUljE0_EEESZ_S10_S11_S18_S1C_S1E_T6_T7_T9_mT8_S1G_bDpT10_ENKUlT_T0_E_clISt17integral_constantIbLb1EES1U_EEDaS1P_S1Q_EUlS1P_E_NS1_11comp_targetILNS1_3genE0ELNS1_11target_archE4294967295ELNS1_3gpuE0ELNS1_3repE0EEENS1_30default_config_static_selectorELNS0_4arch9wavefront6targetE1EEEvS12_
                                        ; -- End function
	.section	.AMDGPU.csdata,"",@progbits
; Kernel info:
; codeLenInByte = 0
; NumSgprs: 4
; NumVgprs: 0
; NumAgprs: 0
; TotalNumVgprs: 0
; ScratchSize: 0
; MemoryBound: 0
; FloatMode: 240
; IeeeMode: 1
; LDSByteSize: 0 bytes/workgroup (compile time only)
; SGPRBlocks: 0
; VGPRBlocks: 0
; NumSGPRsForWavesPerEU: 4
; NumVGPRsForWavesPerEU: 1
; AccumOffset: 4
; Occupancy: 8
; WaveLimiterHint : 0
; COMPUTE_PGM_RSRC2:SCRATCH_EN: 0
; COMPUTE_PGM_RSRC2:USER_SGPR: 6
; COMPUTE_PGM_RSRC2:TRAP_HANDLER: 0
; COMPUTE_PGM_RSRC2:TGID_X_EN: 1
; COMPUTE_PGM_RSRC2:TGID_Y_EN: 0
; COMPUTE_PGM_RSRC2:TGID_Z_EN: 0
; COMPUTE_PGM_RSRC2:TIDIG_COMP_CNT: 0
; COMPUTE_PGM_RSRC3_GFX90A:ACCUM_OFFSET: 0
; COMPUTE_PGM_RSRC3_GFX90A:TG_SPLIT: 0
	.section	.text._ZN7rocprim17ROCPRIM_400000_NS6detail17trampoline_kernelINS0_13select_configILj256ELj13ELNS0_17block_load_methodE3ELS4_3ELS4_3ELNS0_20block_scan_algorithmE0ELj4294967295EEENS1_25partition_config_selectorILNS1_17partition_subalgoE4EjNS0_10empty_typeEbEEZZNS1_14partition_implILS8_4ELb0ES6_15HIP_vector_typeIjLj2EENS0_17counting_iteratorIjlEEPS9_SG_NS0_5tupleIJPjSI_NS0_16reverse_iteratorISI_EEEEENSH_IJSG_SG_SG_EEES9_SI_JZNS1_25segmented_radix_sort_implINS0_14default_configELb1EPKsPsPKlPlN2at6native12_GLOBAL__N_18offset_tEEE10hipError_tPvRmT1_PNSt15iterator_traitsIS12_E10value_typeET2_T3_PNS13_IS18_E10value_typeET4_jRbjT5_S1E_jjP12ihipStream_tbEUljE_ZNSN_ISO_Lb1ESQ_SR_ST_SU_SY_EESZ_S10_S11_S12_S16_S17_S18_S1B_S1C_jS1D_jS1E_S1E_jjS1G_bEUljE0_EEESZ_S10_S11_S18_S1C_S1E_T6_T7_T9_mT8_S1G_bDpT10_ENKUlT_T0_E_clISt17integral_constantIbLb1EES1U_EEDaS1P_S1Q_EUlS1P_E_NS1_11comp_targetILNS1_3genE5ELNS1_11target_archE942ELNS1_3gpuE9ELNS1_3repE0EEENS1_30default_config_static_selectorELNS0_4arch9wavefront6targetE1EEEvS12_,"axG",@progbits,_ZN7rocprim17ROCPRIM_400000_NS6detail17trampoline_kernelINS0_13select_configILj256ELj13ELNS0_17block_load_methodE3ELS4_3ELS4_3ELNS0_20block_scan_algorithmE0ELj4294967295EEENS1_25partition_config_selectorILNS1_17partition_subalgoE4EjNS0_10empty_typeEbEEZZNS1_14partition_implILS8_4ELb0ES6_15HIP_vector_typeIjLj2EENS0_17counting_iteratorIjlEEPS9_SG_NS0_5tupleIJPjSI_NS0_16reverse_iteratorISI_EEEEENSH_IJSG_SG_SG_EEES9_SI_JZNS1_25segmented_radix_sort_implINS0_14default_configELb1EPKsPsPKlPlN2at6native12_GLOBAL__N_18offset_tEEE10hipError_tPvRmT1_PNSt15iterator_traitsIS12_E10value_typeET2_T3_PNS13_IS18_E10value_typeET4_jRbjT5_S1E_jjP12ihipStream_tbEUljE_ZNSN_ISO_Lb1ESQ_SR_ST_SU_SY_EESZ_S10_S11_S12_S16_S17_S18_S1B_S1C_jS1D_jS1E_S1E_jjS1G_bEUljE0_EEESZ_S10_S11_S18_S1C_S1E_T6_T7_T9_mT8_S1G_bDpT10_ENKUlT_T0_E_clISt17integral_constantIbLb1EES1U_EEDaS1P_S1Q_EUlS1P_E_NS1_11comp_targetILNS1_3genE5ELNS1_11target_archE942ELNS1_3gpuE9ELNS1_3repE0EEENS1_30default_config_static_selectorELNS0_4arch9wavefront6targetE1EEEvS12_,comdat
	.globl	_ZN7rocprim17ROCPRIM_400000_NS6detail17trampoline_kernelINS0_13select_configILj256ELj13ELNS0_17block_load_methodE3ELS4_3ELS4_3ELNS0_20block_scan_algorithmE0ELj4294967295EEENS1_25partition_config_selectorILNS1_17partition_subalgoE4EjNS0_10empty_typeEbEEZZNS1_14partition_implILS8_4ELb0ES6_15HIP_vector_typeIjLj2EENS0_17counting_iteratorIjlEEPS9_SG_NS0_5tupleIJPjSI_NS0_16reverse_iteratorISI_EEEEENSH_IJSG_SG_SG_EEES9_SI_JZNS1_25segmented_radix_sort_implINS0_14default_configELb1EPKsPsPKlPlN2at6native12_GLOBAL__N_18offset_tEEE10hipError_tPvRmT1_PNSt15iterator_traitsIS12_E10value_typeET2_T3_PNS13_IS18_E10value_typeET4_jRbjT5_S1E_jjP12ihipStream_tbEUljE_ZNSN_ISO_Lb1ESQ_SR_ST_SU_SY_EESZ_S10_S11_S12_S16_S17_S18_S1B_S1C_jS1D_jS1E_S1E_jjS1G_bEUljE0_EEESZ_S10_S11_S18_S1C_S1E_T6_T7_T9_mT8_S1G_bDpT10_ENKUlT_T0_E_clISt17integral_constantIbLb1EES1U_EEDaS1P_S1Q_EUlS1P_E_NS1_11comp_targetILNS1_3genE5ELNS1_11target_archE942ELNS1_3gpuE9ELNS1_3repE0EEENS1_30default_config_static_selectorELNS0_4arch9wavefront6targetE1EEEvS12_ ; -- Begin function _ZN7rocprim17ROCPRIM_400000_NS6detail17trampoline_kernelINS0_13select_configILj256ELj13ELNS0_17block_load_methodE3ELS4_3ELS4_3ELNS0_20block_scan_algorithmE0ELj4294967295EEENS1_25partition_config_selectorILNS1_17partition_subalgoE4EjNS0_10empty_typeEbEEZZNS1_14partition_implILS8_4ELb0ES6_15HIP_vector_typeIjLj2EENS0_17counting_iteratorIjlEEPS9_SG_NS0_5tupleIJPjSI_NS0_16reverse_iteratorISI_EEEEENSH_IJSG_SG_SG_EEES9_SI_JZNS1_25segmented_radix_sort_implINS0_14default_configELb1EPKsPsPKlPlN2at6native12_GLOBAL__N_18offset_tEEE10hipError_tPvRmT1_PNSt15iterator_traitsIS12_E10value_typeET2_T3_PNS13_IS18_E10value_typeET4_jRbjT5_S1E_jjP12ihipStream_tbEUljE_ZNSN_ISO_Lb1ESQ_SR_ST_SU_SY_EESZ_S10_S11_S12_S16_S17_S18_S1B_S1C_jS1D_jS1E_S1E_jjS1G_bEUljE0_EEESZ_S10_S11_S18_S1C_S1E_T6_T7_T9_mT8_S1G_bDpT10_ENKUlT_T0_E_clISt17integral_constantIbLb1EES1U_EEDaS1P_S1Q_EUlS1P_E_NS1_11comp_targetILNS1_3genE5ELNS1_11target_archE942ELNS1_3gpuE9ELNS1_3repE0EEENS1_30default_config_static_selectorELNS0_4arch9wavefront6targetE1EEEvS12_
	.p2align	8
	.type	_ZN7rocprim17ROCPRIM_400000_NS6detail17trampoline_kernelINS0_13select_configILj256ELj13ELNS0_17block_load_methodE3ELS4_3ELS4_3ELNS0_20block_scan_algorithmE0ELj4294967295EEENS1_25partition_config_selectorILNS1_17partition_subalgoE4EjNS0_10empty_typeEbEEZZNS1_14partition_implILS8_4ELb0ES6_15HIP_vector_typeIjLj2EENS0_17counting_iteratorIjlEEPS9_SG_NS0_5tupleIJPjSI_NS0_16reverse_iteratorISI_EEEEENSH_IJSG_SG_SG_EEES9_SI_JZNS1_25segmented_radix_sort_implINS0_14default_configELb1EPKsPsPKlPlN2at6native12_GLOBAL__N_18offset_tEEE10hipError_tPvRmT1_PNSt15iterator_traitsIS12_E10value_typeET2_T3_PNS13_IS18_E10value_typeET4_jRbjT5_S1E_jjP12ihipStream_tbEUljE_ZNSN_ISO_Lb1ESQ_SR_ST_SU_SY_EESZ_S10_S11_S12_S16_S17_S18_S1B_S1C_jS1D_jS1E_S1E_jjS1G_bEUljE0_EEESZ_S10_S11_S18_S1C_S1E_T6_T7_T9_mT8_S1G_bDpT10_ENKUlT_T0_E_clISt17integral_constantIbLb1EES1U_EEDaS1P_S1Q_EUlS1P_E_NS1_11comp_targetILNS1_3genE5ELNS1_11target_archE942ELNS1_3gpuE9ELNS1_3repE0EEENS1_30default_config_static_selectorELNS0_4arch9wavefront6targetE1EEEvS12_,@function
_ZN7rocprim17ROCPRIM_400000_NS6detail17trampoline_kernelINS0_13select_configILj256ELj13ELNS0_17block_load_methodE3ELS4_3ELS4_3ELNS0_20block_scan_algorithmE0ELj4294967295EEENS1_25partition_config_selectorILNS1_17partition_subalgoE4EjNS0_10empty_typeEbEEZZNS1_14partition_implILS8_4ELb0ES6_15HIP_vector_typeIjLj2EENS0_17counting_iteratorIjlEEPS9_SG_NS0_5tupleIJPjSI_NS0_16reverse_iteratorISI_EEEEENSH_IJSG_SG_SG_EEES9_SI_JZNS1_25segmented_radix_sort_implINS0_14default_configELb1EPKsPsPKlPlN2at6native12_GLOBAL__N_18offset_tEEE10hipError_tPvRmT1_PNSt15iterator_traitsIS12_E10value_typeET2_T3_PNS13_IS18_E10value_typeET4_jRbjT5_S1E_jjP12ihipStream_tbEUljE_ZNSN_ISO_Lb1ESQ_SR_ST_SU_SY_EESZ_S10_S11_S12_S16_S17_S18_S1B_S1C_jS1D_jS1E_S1E_jjS1G_bEUljE0_EEESZ_S10_S11_S18_S1C_S1E_T6_T7_T9_mT8_S1G_bDpT10_ENKUlT_T0_E_clISt17integral_constantIbLb1EES1U_EEDaS1P_S1Q_EUlS1P_E_NS1_11comp_targetILNS1_3genE5ELNS1_11target_archE942ELNS1_3gpuE9ELNS1_3repE0EEENS1_30default_config_static_selectorELNS0_4arch9wavefront6targetE1EEEvS12_: ; @_ZN7rocprim17ROCPRIM_400000_NS6detail17trampoline_kernelINS0_13select_configILj256ELj13ELNS0_17block_load_methodE3ELS4_3ELS4_3ELNS0_20block_scan_algorithmE0ELj4294967295EEENS1_25partition_config_selectorILNS1_17partition_subalgoE4EjNS0_10empty_typeEbEEZZNS1_14partition_implILS8_4ELb0ES6_15HIP_vector_typeIjLj2EENS0_17counting_iteratorIjlEEPS9_SG_NS0_5tupleIJPjSI_NS0_16reverse_iteratorISI_EEEEENSH_IJSG_SG_SG_EEES9_SI_JZNS1_25segmented_radix_sort_implINS0_14default_configELb1EPKsPsPKlPlN2at6native12_GLOBAL__N_18offset_tEEE10hipError_tPvRmT1_PNSt15iterator_traitsIS12_E10value_typeET2_T3_PNS13_IS18_E10value_typeET4_jRbjT5_S1E_jjP12ihipStream_tbEUljE_ZNSN_ISO_Lb1ESQ_SR_ST_SU_SY_EESZ_S10_S11_S12_S16_S17_S18_S1B_S1C_jS1D_jS1E_S1E_jjS1G_bEUljE0_EEESZ_S10_S11_S18_S1C_S1E_T6_T7_T9_mT8_S1G_bDpT10_ENKUlT_T0_E_clISt17integral_constantIbLb1EES1U_EEDaS1P_S1Q_EUlS1P_E_NS1_11comp_targetILNS1_3genE5ELNS1_11target_archE942ELNS1_3gpuE9ELNS1_3repE0EEENS1_30default_config_static_selectorELNS0_4arch9wavefront6targetE1EEEvS12_
; %bb.0:
	.section	.rodata,"a",@progbits
	.p2align	6, 0x0
	.amdhsa_kernel _ZN7rocprim17ROCPRIM_400000_NS6detail17trampoline_kernelINS0_13select_configILj256ELj13ELNS0_17block_load_methodE3ELS4_3ELS4_3ELNS0_20block_scan_algorithmE0ELj4294967295EEENS1_25partition_config_selectorILNS1_17partition_subalgoE4EjNS0_10empty_typeEbEEZZNS1_14partition_implILS8_4ELb0ES6_15HIP_vector_typeIjLj2EENS0_17counting_iteratorIjlEEPS9_SG_NS0_5tupleIJPjSI_NS0_16reverse_iteratorISI_EEEEENSH_IJSG_SG_SG_EEES9_SI_JZNS1_25segmented_radix_sort_implINS0_14default_configELb1EPKsPsPKlPlN2at6native12_GLOBAL__N_18offset_tEEE10hipError_tPvRmT1_PNSt15iterator_traitsIS12_E10value_typeET2_T3_PNS13_IS18_E10value_typeET4_jRbjT5_S1E_jjP12ihipStream_tbEUljE_ZNSN_ISO_Lb1ESQ_SR_ST_SU_SY_EESZ_S10_S11_S12_S16_S17_S18_S1B_S1C_jS1D_jS1E_S1E_jjS1G_bEUljE0_EEESZ_S10_S11_S18_S1C_S1E_T6_T7_T9_mT8_S1G_bDpT10_ENKUlT_T0_E_clISt17integral_constantIbLb1EES1U_EEDaS1P_S1Q_EUlS1P_E_NS1_11comp_targetILNS1_3genE5ELNS1_11target_archE942ELNS1_3gpuE9ELNS1_3repE0EEENS1_30default_config_static_selectorELNS0_4arch9wavefront6targetE1EEEvS12_
		.amdhsa_group_segment_fixed_size 0
		.amdhsa_private_segment_fixed_size 0
		.amdhsa_kernarg_size 184
		.amdhsa_user_sgpr_count 6
		.amdhsa_user_sgpr_private_segment_buffer 1
		.amdhsa_user_sgpr_dispatch_ptr 0
		.amdhsa_user_sgpr_queue_ptr 0
		.amdhsa_user_sgpr_kernarg_segment_ptr 1
		.amdhsa_user_sgpr_dispatch_id 0
		.amdhsa_user_sgpr_flat_scratch_init 0
		.amdhsa_user_sgpr_kernarg_preload_length 0
		.amdhsa_user_sgpr_kernarg_preload_offset 0
		.amdhsa_user_sgpr_private_segment_size 0
		.amdhsa_uses_dynamic_stack 0
		.amdhsa_system_sgpr_private_segment_wavefront_offset 0
		.amdhsa_system_sgpr_workgroup_id_x 1
		.amdhsa_system_sgpr_workgroup_id_y 0
		.amdhsa_system_sgpr_workgroup_id_z 0
		.amdhsa_system_sgpr_workgroup_info 0
		.amdhsa_system_vgpr_workitem_id 0
		.amdhsa_next_free_vgpr 1
		.amdhsa_next_free_sgpr 0
		.amdhsa_accum_offset 4
		.amdhsa_reserve_vcc 0
		.amdhsa_reserve_flat_scratch 0
		.amdhsa_float_round_mode_32 0
		.amdhsa_float_round_mode_16_64 0
		.amdhsa_float_denorm_mode_32 3
		.amdhsa_float_denorm_mode_16_64 3
		.amdhsa_dx10_clamp 1
		.amdhsa_ieee_mode 1
		.amdhsa_fp16_overflow 0
		.amdhsa_tg_split 0
		.amdhsa_exception_fp_ieee_invalid_op 0
		.amdhsa_exception_fp_denorm_src 0
		.amdhsa_exception_fp_ieee_div_zero 0
		.amdhsa_exception_fp_ieee_overflow 0
		.amdhsa_exception_fp_ieee_underflow 0
		.amdhsa_exception_fp_ieee_inexact 0
		.amdhsa_exception_int_div_zero 0
	.end_amdhsa_kernel
	.section	.text._ZN7rocprim17ROCPRIM_400000_NS6detail17trampoline_kernelINS0_13select_configILj256ELj13ELNS0_17block_load_methodE3ELS4_3ELS4_3ELNS0_20block_scan_algorithmE0ELj4294967295EEENS1_25partition_config_selectorILNS1_17partition_subalgoE4EjNS0_10empty_typeEbEEZZNS1_14partition_implILS8_4ELb0ES6_15HIP_vector_typeIjLj2EENS0_17counting_iteratorIjlEEPS9_SG_NS0_5tupleIJPjSI_NS0_16reverse_iteratorISI_EEEEENSH_IJSG_SG_SG_EEES9_SI_JZNS1_25segmented_radix_sort_implINS0_14default_configELb1EPKsPsPKlPlN2at6native12_GLOBAL__N_18offset_tEEE10hipError_tPvRmT1_PNSt15iterator_traitsIS12_E10value_typeET2_T3_PNS13_IS18_E10value_typeET4_jRbjT5_S1E_jjP12ihipStream_tbEUljE_ZNSN_ISO_Lb1ESQ_SR_ST_SU_SY_EESZ_S10_S11_S12_S16_S17_S18_S1B_S1C_jS1D_jS1E_S1E_jjS1G_bEUljE0_EEESZ_S10_S11_S18_S1C_S1E_T6_T7_T9_mT8_S1G_bDpT10_ENKUlT_T0_E_clISt17integral_constantIbLb1EES1U_EEDaS1P_S1Q_EUlS1P_E_NS1_11comp_targetILNS1_3genE5ELNS1_11target_archE942ELNS1_3gpuE9ELNS1_3repE0EEENS1_30default_config_static_selectorELNS0_4arch9wavefront6targetE1EEEvS12_,"axG",@progbits,_ZN7rocprim17ROCPRIM_400000_NS6detail17trampoline_kernelINS0_13select_configILj256ELj13ELNS0_17block_load_methodE3ELS4_3ELS4_3ELNS0_20block_scan_algorithmE0ELj4294967295EEENS1_25partition_config_selectorILNS1_17partition_subalgoE4EjNS0_10empty_typeEbEEZZNS1_14partition_implILS8_4ELb0ES6_15HIP_vector_typeIjLj2EENS0_17counting_iteratorIjlEEPS9_SG_NS0_5tupleIJPjSI_NS0_16reverse_iteratorISI_EEEEENSH_IJSG_SG_SG_EEES9_SI_JZNS1_25segmented_radix_sort_implINS0_14default_configELb1EPKsPsPKlPlN2at6native12_GLOBAL__N_18offset_tEEE10hipError_tPvRmT1_PNSt15iterator_traitsIS12_E10value_typeET2_T3_PNS13_IS18_E10value_typeET4_jRbjT5_S1E_jjP12ihipStream_tbEUljE_ZNSN_ISO_Lb1ESQ_SR_ST_SU_SY_EESZ_S10_S11_S12_S16_S17_S18_S1B_S1C_jS1D_jS1E_S1E_jjS1G_bEUljE0_EEESZ_S10_S11_S18_S1C_S1E_T6_T7_T9_mT8_S1G_bDpT10_ENKUlT_T0_E_clISt17integral_constantIbLb1EES1U_EEDaS1P_S1Q_EUlS1P_E_NS1_11comp_targetILNS1_3genE5ELNS1_11target_archE942ELNS1_3gpuE9ELNS1_3repE0EEENS1_30default_config_static_selectorELNS0_4arch9wavefront6targetE1EEEvS12_,comdat
.Lfunc_end856:
	.size	_ZN7rocprim17ROCPRIM_400000_NS6detail17trampoline_kernelINS0_13select_configILj256ELj13ELNS0_17block_load_methodE3ELS4_3ELS4_3ELNS0_20block_scan_algorithmE0ELj4294967295EEENS1_25partition_config_selectorILNS1_17partition_subalgoE4EjNS0_10empty_typeEbEEZZNS1_14partition_implILS8_4ELb0ES6_15HIP_vector_typeIjLj2EENS0_17counting_iteratorIjlEEPS9_SG_NS0_5tupleIJPjSI_NS0_16reverse_iteratorISI_EEEEENSH_IJSG_SG_SG_EEES9_SI_JZNS1_25segmented_radix_sort_implINS0_14default_configELb1EPKsPsPKlPlN2at6native12_GLOBAL__N_18offset_tEEE10hipError_tPvRmT1_PNSt15iterator_traitsIS12_E10value_typeET2_T3_PNS13_IS18_E10value_typeET4_jRbjT5_S1E_jjP12ihipStream_tbEUljE_ZNSN_ISO_Lb1ESQ_SR_ST_SU_SY_EESZ_S10_S11_S12_S16_S17_S18_S1B_S1C_jS1D_jS1E_S1E_jjS1G_bEUljE0_EEESZ_S10_S11_S18_S1C_S1E_T6_T7_T9_mT8_S1G_bDpT10_ENKUlT_T0_E_clISt17integral_constantIbLb1EES1U_EEDaS1P_S1Q_EUlS1P_E_NS1_11comp_targetILNS1_3genE5ELNS1_11target_archE942ELNS1_3gpuE9ELNS1_3repE0EEENS1_30default_config_static_selectorELNS0_4arch9wavefront6targetE1EEEvS12_, .Lfunc_end856-_ZN7rocprim17ROCPRIM_400000_NS6detail17trampoline_kernelINS0_13select_configILj256ELj13ELNS0_17block_load_methodE3ELS4_3ELS4_3ELNS0_20block_scan_algorithmE0ELj4294967295EEENS1_25partition_config_selectorILNS1_17partition_subalgoE4EjNS0_10empty_typeEbEEZZNS1_14partition_implILS8_4ELb0ES6_15HIP_vector_typeIjLj2EENS0_17counting_iteratorIjlEEPS9_SG_NS0_5tupleIJPjSI_NS0_16reverse_iteratorISI_EEEEENSH_IJSG_SG_SG_EEES9_SI_JZNS1_25segmented_radix_sort_implINS0_14default_configELb1EPKsPsPKlPlN2at6native12_GLOBAL__N_18offset_tEEE10hipError_tPvRmT1_PNSt15iterator_traitsIS12_E10value_typeET2_T3_PNS13_IS18_E10value_typeET4_jRbjT5_S1E_jjP12ihipStream_tbEUljE_ZNSN_ISO_Lb1ESQ_SR_ST_SU_SY_EESZ_S10_S11_S12_S16_S17_S18_S1B_S1C_jS1D_jS1E_S1E_jjS1G_bEUljE0_EEESZ_S10_S11_S18_S1C_S1E_T6_T7_T9_mT8_S1G_bDpT10_ENKUlT_T0_E_clISt17integral_constantIbLb1EES1U_EEDaS1P_S1Q_EUlS1P_E_NS1_11comp_targetILNS1_3genE5ELNS1_11target_archE942ELNS1_3gpuE9ELNS1_3repE0EEENS1_30default_config_static_selectorELNS0_4arch9wavefront6targetE1EEEvS12_
                                        ; -- End function
	.section	.AMDGPU.csdata,"",@progbits
; Kernel info:
; codeLenInByte = 0
; NumSgprs: 4
; NumVgprs: 0
; NumAgprs: 0
; TotalNumVgprs: 0
; ScratchSize: 0
; MemoryBound: 0
; FloatMode: 240
; IeeeMode: 1
; LDSByteSize: 0 bytes/workgroup (compile time only)
; SGPRBlocks: 0
; VGPRBlocks: 0
; NumSGPRsForWavesPerEU: 4
; NumVGPRsForWavesPerEU: 1
; AccumOffset: 4
; Occupancy: 8
; WaveLimiterHint : 0
; COMPUTE_PGM_RSRC2:SCRATCH_EN: 0
; COMPUTE_PGM_RSRC2:USER_SGPR: 6
; COMPUTE_PGM_RSRC2:TRAP_HANDLER: 0
; COMPUTE_PGM_RSRC2:TGID_X_EN: 1
; COMPUTE_PGM_RSRC2:TGID_Y_EN: 0
; COMPUTE_PGM_RSRC2:TGID_Z_EN: 0
; COMPUTE_PGM_RSRC2:TIDIG_COMP_CNT: 0
; COMPUTE_PGM_RSRC3_GFX90A:ACCUM_OFFSET: 0
; COMPUTE_PGM_RSRC3_GFX90A:TG_SPLIT: 0
	.section	.text._ZN7rocprim17ROCPRIM_400000_NS6detail17trampoline_kernelINS0_13select_configILj256ELj13ELNS0_17block_load_methodE3ELS4_3ELS4_3ELNS0_20block_scan_algorithmE0ELj4294967295EEENS1_25partition_config_selectorILNS1_17partition_subalgoE4EjNS0_10empty_typeEbEEZZNS1_14partition_implILS8_4ELb0ES6_15HIP_vector_typeIjLj2EENS0_17counting_iteratorIjlEEPS9_SG_NS0_5tupleIJPjSI_NS0_16reverse_iteratorISI_EEEEENSH_IJSG_SG_SG_EEES9_SI_JZNS1_25segmented_radix_sort_implINS0_14default_configELb1EPKsPsPKlPlN2at6native12_GLOBAL__N_18offset_tEEE10hipError_tPvRmT1_PNSt15iterator_traitsIS12_E10value_typeET2_T3_PNS13_IS18_E10value_typeET4_jRbjT5_S1E_jjP12ihipStream_tbEUljE_ZNSN_ISO_Lb1ESQ_SR_ST_SU_SY_EESZ_S10_S11_S12_S16_S17_S18_S1B_S1C_jS1D_jS1E_S1E_jjS1G_bEUljE0_EEESZ_S10_S11_S18_S1C_S1E_T6_T7_T9_mT8_S1G_bDpT10_ENKUlT_T0_E_clISt17integral_constantIbLb1EES1U_EEDaS1P_S1Q_EUlS1P_E_NS1_11comp_targetILNS1_3genE4ELNS1_11target_archE910ELNS1_3gpuE8ELNS1_3repE0EEENS1_30default_config_static_selectorELNS0_4arch9wavefront6targetE1EEEvS12_,"axG",@progbits,_ZN7rocprim17ROCPRIM_400000_NS6detail17trampoline_kernelINS0_13select_configILj256ELj13ELNS0_17block_load_methodE3ELS4_3ELS4_3ELNS0_20block_scan_algorithmE0ELj4294967295EEENS1_25partition_config_selectorILNS1_17partition_subalgoE4EjNS0_10empty_typeEbEEZZNS1_14partition_implILS8_4ELb0ES6_15HIP_vector_typeIjLj2EENS0_17counting_iteratorIjlEEPS9_SG_NS0_5tupleIJPjSI_NS0_16reverse_iteratorISI_EEEEENSH_IJSG_SG_SG_EEES9_SI_JZNS1_25segmented_radix_sort_implINS0_14default_configELb1EPKsPsPKlPlN2at6native12_GLOBAL__N_18offset_tEEE10hipError_tPvRmT1_PNSt15iterator_traitsIS12_E10value_typeET2_T3_PNS13_IS18_E10value_typeET4_jRbjT5_S1E_jjP12ihipStream_tbEUljE_ZNSN_ISO_Lb1ESQ_SR_ST_SU_SY_EESZ_S10_S11_S12_S16_S17_S18_S1B_S1C_jS1D_jS1E_S1E_jjS1G_bEUljE0_EEESZ_S10_S11_S18_S1C_S1E_T6_T7_T9_mT8_S1G_bDpT10_ENKUlT_T0_E_clISt17integral_constantIbLb1EES1U_EEDaS1P_S1Q_EUlS1P_E_NS1_11comp_targetILNS1_3genE4ELNS1_11target_archE910ELNS1_3gpuE8ELNS1_3repE0EEENS1_30default_config_static_selectorELNS0_4arch9wavefront6targetE1EEEvS12_,comdat
	.globl	_ZN7rocprim17ROCPRIM_400000_NS6detail17trampoline_kernelINS0_13select_configILj256ELj13ELNS0_17block_load_methodE3ELS4_3ELS4_3ELNS0_20block_scan_algorithmE0ELj4294967295EEENS1_25partition_config_selectorILNS1_17partition_subalgoE4EjNS0_10empty_typeEbEEZZNS1_14partition_implILS8_4ELb0ES6_15HIP_vector_typeIjLj2EENS0_17counting_iteratorIjlEEPS9_SG_NS0_5tupleIJPjSI_NS0_16reverse_iteratorISI_EEEEENSH_IJSG_SG_SG_EEES9_SI_JZNS1_25segmented_radix_sort_implINS0_14default_configELb1EPKsPsPKlPlN2at6native12_GLOBAL__N_18offset_tEEE10hipError_tPvRmT1_PNSt15iterator_traitsIS12_E10value_typeET2_T3_PNS13_IS18_E10value_typeET4_jRbjT5_S1E_jjP12ihipStream_tbEUljE_ZNSN_ISO_Lb1ESQ_SR_ST_SU_SY_EESZ_S10_S11_S12_S16_S17_S18_S1B_S1C_jS1D_jS1E_S1E_jjS1G_bEUljE0_EEESZ_S10_S11_S18_S1C_S1E_T6_T7_T9_mT8_S1G_bDpT10_ENKUlT_T0_E_clISt17integral_constantIbLb1EES1U_EEDaS1P_S1Q_EUlS1P_E_NS1_11comp_targetILNS1_3genE4ELNS1_11target_archE910ELNS1_3gpuE8ELNS1_3repE0EEENS1_30default_config_static_selectorELNS0_4arch9wavefront6targetE1EEEvS12_ ; -- Begin function _ZN7rocprim17ROCPRIM_400000_NS6detail17trampoline_kernelINS0_13select_configILj256ELj13ELNS0_17block_load_methodE3ELS4_3ELS4_3ELNS0_20block_scan_algorithmE0ELj4294967295EEENS1_25partition_config_selectorILNS1_17partition_subalgoE4EjNS0_10empty_typeEbEEZZNS1_14partition_implILS8_4ELb0ES6_15HIP_vector_typeIjLj2EENS0_17counting_iteratorIjlEEPS9_SG_NS0_5tupleIJPjSI_NS0_16reverse_iteratorISI_EEEEENSH_IJSG_SG_SG_EEES9_SI_JZNS1_25segmented_radix_sort_implINS0_14default_configELb1EPKsPsPKlPlN2at6native12_GLOBAL__N_18offset_tEEE10hipError_tPvRmT1_PNSt15iterator_traitsIS12_E10value_typeET2_T3_PNS13_IS18_E10value_typeET4_jRbjT5_S1E_jjP12ihipStream_tbEUljE_ZNSN_ISO_Lb1ESQ_SR_ST_SU_SY_EESZ_S10_S11_S12_S16_S17_S18_S1B_S1C_jS1D_jS1E_S1E_jjS1G_bEUljE0_EEESZ_S10_S11_S18_S1C_S1E_T6_T7_T9_mT8_S1G_bDpT10_ENKUlT_T0_E_clISt17integral_constantIbLb1EES1U_EEDaS1P_S1Q_EUlS1P_E_NS1_11comp_targetILNS1_3genE4ELNS1_11target_archE910ELNS1_3gpuE8ELNS1_3repE0EEENS1_30default_config_static_selectorELNS0_4arch9wavefront6targetE1EEEvS12_
	.p2align	8
	.type	_ZN7rocprim17ROCPRIM_400000_NS6detail17trampoline_kernelINS0_13select_configILj256ELj13ELNS0_17block_load_methodE3ELS4_3ELS4_3ELNS0_20block_scan_algorithmE0ELj4294967295EEENS1_25partition_config_selectorILNS1_17partition_subalgoE4EjNS0_10empty_typeEbEEZZNS1_14partition_implILS8_4ELb0ES6_15HIP_vector_typeIjLj2EENS0_17counting_iteratorIjlEEPS9_SG_NS0_5tupleIJPjSI_NS0_16reverse_iteratorISI_EEEEENSH_IJSG_SG_SG_EEES9_SI_JZNS1_25segmented_radix_sort_implINS0_14default_configELb1EPKsPsPKlPlN2at6native12_GLOBAL__N_18offset_tEEE10hipError_tPvRmT1_PNSt15iterator_traitsIS12_E10value_typeET2_T3_PNS13_IS18_E10value_typeET4_jRbjT5_S1E_jjP12ihipStream_tbEUljE_ZNSN_ISO_Lb1ESQ_SR_ST_SU_SY_EESZ_S10_S11_S12_S16_S17_S18_S1B_S1C_jS1D_jS1E_S1E_jjS1G_bEUljE0_EEESZ_S10_S11_S18_S1C_S1E_T6_T7_T9_mT8_S1G_bDpT10_ENKUlT_T0_E_clISt17integral_constantIbLb1EES1U_EEDaS1P_S1Q_EUlS1P_E_NS1_11comp_targetILNS1_3genE4ELNS1_11target_archE910ELNS1_3gpuE8ELNS1_3repE0EEENS1_30default_config_static_selectorELNS0_4arch9wavefront6targetE1EEEvS12_,@function
_ZN7rocprim17ROCPRIM_400000_NS6detail17trampoline_kernelINS0_13select_configILj256ELj13ELNS0_17block_load_methodE3ELS4_3ELS4_3ELNS0_20block_scan_algorithmE0ELj4294967295EEENS1_25partition_config_selectorILNS1_17partition_subalgoE4EjNS0_10empty_typeEbEEZZNS1_14partition_implILS8_4ELb0ES6_15HIP_vector_typeIjLj2EENS0_17counting_iteratorIjlEEPS9_SG_NS0_5tupleIJPjSI_NS0_16reverse_iteratorISI_EEEEENSH_IJSG_SG_SG_EEES9_SI_JZNS1_25segmented_radix_sort_implINS0_14default_configELb1EPKsPsPKlPlN2at6native12_GLOBAL__N_18offset_tEEE10hipError_tPvRmT1_PNSt15iterator_traitsIS12_E10value_typeET2_T3_PNS13_IS18_E10value_typeET4_jRbjT5_S1E_jjP12ihipStream_tbEUljE_ZNSN_ISO_Lb1ESQ_SR_ST_SU_SY_EESZ_S10_S11_S12_S16_S17_S18_S1B_S1C_jS1D_jS1E_S1E_jjS1G_bEUljE0_EEESZ_S10_S11_S18_S1C_S1E_T6_T7_T9_mT8_S1G_bDpT10_ENKUlT_T0_E_clISt17integral_constantIbLb1EES1U_EEDaS1P_S1Q_EUlS1P_E_NS1_11comp_targetILNS1_3genE4ELNS1_11target_archE910ELNS1_3gpuE8ELNS1_3repE0EEENS1_30default_config_static_selectorELNS0_4arch9wavefront6targetE1EEEvS12_: ; @_ZN7rocprim17ROCPRIM_400000_NS6detail17trampoline_kernelINS0_13select_configILj256ELj13ELNS0_17block_load_methodE3ELS4_3ELS4_3ELNS0_20block_scan_algorithmE0ELj4294967295EEENS1_25partition_config_selectorILNS1_17partition_subalgoE4EjNS0_10empty_typeEbEEZZNS1_14partition_implILS8_4ELb0ES6_15HIP_vector_typeIjLj2EENS0_17counting_iteratorIjlEEPS9_SG_NS0_5tupleIJPjSI_NS0_16reverse_iteratorISI_EEEEENSH_IJSG_SG_SG_EEES9_SI_JZNS1_25segmented_radix_sort_implINS0_14default_configELb1EPKsPsPKlPlN2at6native12_GLOBAL__N_18offset_tEEE10hipError_tPvRmT1_PNSt15iterator_traitsIS12_E10value_typeET2_T3_PNS13_IS18_E10value_typeET4_jRbjT5_S1E_jjP12ihipStream_tbEUljE_ZNSN_ISO_Lb1ESQ_SR_ST_SU_SY_EESZ_S10_S11_S12_S16_S17_S18_S1B_S1C_jS1D_jS1E_S1E_jjS1G_bEUljE0_EEESZ_S10_S11_S18_S1C_S1E_T6_T7_T9_mT8_S1G_bDpT10_ENKUlT_T0_E_clISt17integral_constantIbLb1EES1U_EEDaS1P_S1Q_EUlS1P_E_NS1_11comp_targetILNS1_3genE4ELNS1_11target_archE910ELNS1_3gpuE8ELNS1_3repE0EEENS1_30default_config_static_selectorELNS0_4arch9wavefront6targetE1EEEvS12_
; %bb.0:
	s_load_dwordx2 s[48:49], s[4:5], 0x10
	s_load_dwordx4 s[44:47], s[4:5], 0x28
	s_load_dwordx2 s[34:35], s[4:5], 0x38
	s_load_dwordx4 s[28:31], s[4:5], 0x58
	s_load_dwordx2 s[2:3], s[4:5], 0x68
	s_load_dwordx2 s[50:51], s[4:5], 0x78
	;; [unrolled: 1-line block ×3, first 2 shown]
	s_load_dwordx8 s[36:43], s[4:5], 0x90
	v_cmp_eq_u32_e64 s[0:1], 0, v0
	s_and_saveexec_b64 s[6:7], s[0:1]
	s_cbranch_execz .LBB857_4
; %bb.1:
	s_mov_b64 s[10:11], exec
	v_mbcnt_lo_u32_b32 v1, s10, 0
	v_mbcnt_hi_u32_b32 v1, s11, v1
	v_cmp_eq_u32_e32 vcc, 0, v1
                                        ; implicit-def: $vgpr2
	s_and_saveexec_b64 s[8:9], vcc
	s_cbranch_execz .LBB857_3
; %bb.2:
	s_load_dwordx2 s[12:13], s[4:5], 0x88
	s_bcnt1_i32_b64 s10, s[10:11]
	v_mov_b32_e32 v2, 0
	v_mov_b32_e32 v3, s10
	s_waitcnt lgkmcnt(0)
	global_atomic_add v2, v2, v3, s[12:13] glc
.LBB857_3:
	s_or_b64 exec, exec, s[8:9]
	s_waitcnt vmcnt(0)
	v_readfirstlane_b32 s8, v2
	v_add_u32_e32 v1, s8, v1
	v_mov_b32_e32 v2, 0
	ds_write_b32 v2, v1
.LBB857_4:
	s_or_b64 exec, exec, s[6:7]
	v_mov_b32_e32 v1, 0
	s_load_dword s7, s[4:5], 0x8
	s_load_dword s6, s[4:5], 0x80
	s_waitcnt lgkmcnt(0)
	s_barrier
	ds_read_b32 v8, v1
	s_waitcnt lgkmcnt(0)
	s_barrier
	global_load_dwordx4 v[2:5], v1, s[30:31]
	v_mov_b32_e32 v7, s3
	s_movk_i32 s3, 0xd00
	s_add_i32 s8, s7, s48
	v_mul_lo_u32 v34, v8, s3
	s_add_i32 s7, s6, -1
	s_mul_i32 s3, s6, 0xd00
	s_add_u32 s4, s48, s3
	v_readfirstlane_b32 s33, v8
	s_addc_u32 s5, s49, 0
	s_cmp_eq_u32 s33, s7
	v_mov_b32_e32 v6, s2
	s_cselect_b64 s[30:31], -1, 0
	s_cmp_lg_u32 s33, s7
	v_cmp_lt_u64_e32 vcc, s[4:5], v[6:7]
	s_cselect_b64 s[4:5], -1, 0
	s_or_b64 s[4:5], vcc, s[4:5]
	v_add_u32_e32 v1, s8, v34
	s_mov_b64 s[6:7], -1
	s_and_b64 vcc, exec, s[4:5]
	v_add_u32_e32 v1, v1, v0
	s_cbranch_vccz .LBB857_6
; %bb.5:
	v_add_u32_e32 v6, 0x100, v1
	v_lshlrev_b32_e32 v18, 2, v0
	v_add_u32_e32 v7, 0x200, v1
	v_add_u32_e32 v8, 0x300, v1
	;; [unrolled: 1-line block ×11, first 2 shown]
	ds_write2st64_b32 v18, v1, v6 offset1:4
	ds_write2st64_b32 v18, v7, v8 offset0:8 offset1:12
	ds_write2st64_b32 v18, v9, v10 offset0:16 offset1:20
	;; [unrolled: 1-line block ×5, first 2 shown]
	ds_write_b32 v18, v17 offset:12288
	s_waitcnt lgkmcnt(0)
	s_barrier
	s_mov_b64 s[6:7], 0
.LBB857_6:
	s_andn2_b64 vcc, exec, s[6:7]
	s_add_i32 s3, s3, s48
	s_cbranch_vccnz .LBB857_8
; %bb.7:
	v_add_u32_e32 v6, 0x100, v1
	v_lshlrev_b32_e32 v18, 2, v0
	v_add_u32_e32 v7, 0x200, v1
	v_add_u32_e32 v8, 0x300, v1
	;; [unrolled: 1-line block ×11, first 2 shown]
	ds_write2st64_b32 v18, v1, v6 offset1:4
	ds_write2st64_b32 v18, v7, v8 offset0:8 offset1:12
	ds_write2st64_b32 v18, v9, v10 offset0:16 offset1:20
	;; [unrolled: 1-line block ×5, first 2 shown]
	ds_write_b32 v18, v17 offset:12288
	s_waitcnt lgkmcnt(0)
	s_barrier
.LBB857_8:
	v_mul_u32_u24_e32 v36, 13, v0
	v_lshlrev_b32_e32 v1, 2, v36
	ds_read2_b32 v[22:23], v1 offset1:1
	ds_read2_b32 v[20:21], v1 offset0:2 offset1:3
	ds_read2_b32 v[18:19], v1 offset0:4 offset1:5
	;; [unrolled: 1-line block ×5, first 2 shown]
	ds_read_b32 v35, v1 offset:48
	v_cndmask_b32_e64 v1, 0, 1, s[4:5]
	s_sub_i32 s86, s2, s3
	v_cmp_ne_u32_e64 s[2:3], 1, v1
	s_andn2_b64 vcc, exec, s[4:5]
	s_waitcnt lgkmcnt(0)
	s_barrier
	s_cbranch_vccnz .LBB857_36
; %bb.9:
	v_add_u32_e32 v1, s37, v22
	v_add_u32_e32 v6, s39, v22
	v_mul_lo_u32 v1, v1, s36
	v_mul_lo_u32 v6, v6, s38
	v_sub_u32_e32 v1, v1, v6
	v_cmp_lt_u32_e32 vcc, s40, v1
	v_cmp_ge_u32_e64 s[4:5], s40, v1
	s_mov_b64 s[60:61], 0
	s_mov_b64 s[58:59], 0
	s_and_saveexec_b64 s[6:7], s[4:5]
; %bb.10:
	v_add_u32_e32 v1, s42, v22
	v_add_u32_e32 v6, s56, v22
	v_mul_lo_u32 v1, v1, s41
	v_mul_lo_u32 v6, v6, s43
	v_sub_u32_e32 v1, v1, v6
	v_cmp_lt_u32_e64 s[4:5], s57, v1
	s_and_b64 s[58:59], s[4:5], exec
; %bb.11:
	s_or_b64 exec, exec, s[6:7]
	v_add_u32_e32 v1, s37, v23
	v_add_u32_e32 v6, s39, v23
	v_mul_lo_u32 v1, v1, s36
	v_mul_lo_u32 v6, v6, s38
	v_sub_u32_e32 v1, v1, v6
	v_cmp_lt_u32_e64 s[4:5], s40, v1
	v_cmp_ge_u32_e64 s[6:7], s40, v1
	s_and_saveexec_b64 s[8:9], s[6:7]
; %bb.12:
	v_add_u32_e32 v1, s42, v23
	v_add_u32_e32 v6, s56, v23
	v_mul_lo_u32 v1, v1, s41
	v_mul_lo_u32 v6, v6, s43
	v_sub_u32_e32 v1, v1, v6
	v_cmp_lt_u32_e64 s[6:7], s57, v1
	s_and_b64 s[60:61], s[6:7], exec
; %bb.13:
	s_or_b64 exec, exec, s[8:9]
	v_add_u32_e32 v1, s37, v20
	v_add_u32_e32 v6, s39, v20
	v_mul_lo_u32 v1, v1, s36
	v_mul_lo_u32 v6, v6, s38
	v_sub_u32_e32 v1, v1, v6
	v_cmp_lt_u32_e64 s[6:7], s40, v1
	v_cmp_ge_u32_e64 s[8:9], s40, v1
	s_mov_b64 s[64:65], 0
	s_mov_b64 s[62:63], 0
	s_and_saveexec_b64 s[10:11], s[8:9]
; %bb.14:
	v_add_u32_e32 v1, s42, v20
	v_add_u32_e32 v6, s56, v20
	v_mul_lo_u32 v1, v1, s41
	v_mul_lo_u32 v6, v6, s43
	v_sub_u32_e32 v1, v1, v6
	v_cmp_lt_u32_e64 s[8:9], s57, v1
	s_and_b64 s[62:63], s[8:9], exec
; %bb.15:
	s_or_b64 exec, exec, s[10:11]
	v_add_u32_e32 v1, s37, v21
	v_add_u32_e32 v6, s39, v21
	v_mul_lo_u32 v1, v1, s36
	v_mul_lo_u32 v6, v6, s38
	v_sub_u32_e32 v1, v1, v6
	v_cmp_lt_u32_e64 s[8:9], s40, v1
	v_cmp_ge_u32_e64 s[10:11], s40, v1
	s_and_saveexec_b64 s[12:13], s[10:11]
; %bb.16:
	v_add_u32_e32 v1, s42, v21
	v_add_u32_e32 v6, s56, v21
	v_mul_lo_u32 v1, v1, s41
	v_mul_lo_u32 v6, v6, s43
	v_sub_u32_e32 v1, v1, v6
	v_cmp_lt_u32_e64 s[10:11], s57, v1
	s_and_b64 s[64:65], s[10:11], exec
; %bb.17:
	s_or_b64 exec, exec, s[12:13]
	v_add_u32_e32 v1, s37, v18
	v_add_u32_e32 v6, s39, v18
	v_mul_lo_u32 v1, v1, s36
	v_mul_lo_u32 v6, v6, s38
	v_sub_u32_e32 v1, v1, v6
	v_cmp_lt_u32_e64 s[10:11], s40, v1
	;; [unrolled: 38-line block ×5, first 2 shown]
	v_cmp_ge_u32_e64 s[24:25], s40, v1
	s_mov_b64 s[80:81], 0
	s_mov_b64 s[82:83], 0
	s_and_saveexec_b64 s[26:27], s[24:25]
; %bb.30:
	v_add_u32_e32 v1, s42, v12
	v_add_u32_e32 v6, s56, v12
	v_mul_lo_u32 v1, v1, s41
	v_mul_lo_u32 v6, v6, s43
	v_sub_u32_e32 v1, v1, v6
	v_cmp_lt_u32_e64 s[24:25], s57, v1
	s_and_b64 s[82:83], s[24:25], exec
; %bb.31:
	s_or_b64 exec, exec, s[26:27]
	v_add_u32_e32 v1, s37, v13
	v_add_u32_e32 v6, s39, v13
	v_mul_lo_u32 v1, v1, s36
	v_mul_lo_u32 v6, v6, s38
	v_sub_u32_e32 v1, v1, v6
	v_cmp_lt_u32_e64 s[24:25], s40, v1
	v_cmp_ge_u32_e64 s[26:27], s40, v1
	s_and_saveexec_b64 s[52:53], s[26:27]
; %bb.32:
	v_add_u32_e32 v1, s42, v13
	v_add_u32_e32 v6, s56, v13
	v_mul_lo_u32 v1, v1, s41
	v_mul_lo_u32 v6, v6, s43
	v_sub_u32_e32 v1, v1, v6
	v_cmp_lt_u32_e64 s[26:27], s57, v1
	s_and_b64 s[80:81], s[26:27], exec
; %bb.33:
	s_or_b64 exec, exec, s[52:53]
	v_add_u32_e32 v1, s37, v35
	v_add_u32_e32 v6, s39, v35
	v_mul_lo_u32 v1, v1, s36
	v_mul_lo_u32 v6, v6, s38
	v_sub_u32_e32 v1, v1, v6
	v_cmp_ge_u32_e64 s[26:27], s40, v1
	s_mov_b64 s[52:53], -1
	s_mov_b64 s[74:75], 0
	s_mov_b64 s[54:55], 0
	s_and_saveexec_b64 s[84:85], s[26:27]
; %bb.34:
	v_add_u32_e32 v1, s42, v35
	v_add_u32_e32 v6, s56, v35
	v_mul_lo_u32 v1, v1, s41
	v_mul_lo_u32 v6, v6, s43
	v_sub_u32_e32 v1, v1, v6
	v_cmp_lt_u32_e64 s[26:27], s57, v1
	s_and_b64 s[54:55], s[26:27], exec
	s_xor_b64 s[52:53], exec, -1
; %bb.35:
	s_or_b64 exec, exec, s[84:85]
	v_cndmask_b32_e64 v57, 0, 1, s[82:83]
	v_cndmask_b32_e64 v60, 0, 1, s[24:25]
	;; [unrolled: 1-line block ×22, first 2 shown]
	v_cndmask_b32_e64 v37, 0, 1, vcc
	v_cndmask_b32_e64 v59, 0, 1, s[80:81]
	s_add_i32 s16, s86, 0xd00
	s_and_b64 vcc, exec, s[74:75]
	s_cbranch_vccnz .LBB857_37
	s_branch .LBB857_90
.LBB857_36:
                                        ; implicit-def: $sgpr52_sgpr53
                                        ; implicit-def: $sgpr54_sgpr55
                                        ; implicit-def: $vgpr59
                                        ; implicit-def: $vgpr57
                                        ; implicit-def: $vgpr55
                                        ; implicit-def: $vgpr53
                                        ; implicit-def: $vgpr51
                                        ; implicit-def: $vgpr49
                                        ; implicit-def: $vgpr47
                                        ; implicit-def: $vgpr45
                                        ; implicit-def: $vgpr43
                                        ; implicit-def: $vgpr37
                                        ; implicit-def: $vgpr39
                                        ; implicit-def: $vgpr41
                                        ; implicit-def: $vgpr44
                                        ; implicit-def: $vgpr46
                                        ; implicit-def: $vgpr48
                                        ; implicit-def: $vgpr50
                                        ; implicit-def: $vgpr52
                                        ; implicit-def: $vgpr54
                                        ; implicit-def: $vgpr56
                                        ; implicit-def: $vgpr58
                                        ; implicit-def: $vgpr60
                                        ; implicit-def: $vgpr38
                                        ; implicit-def: $vgpr40
                                        ; implicit-def: $vgpr42
	s_add_i32 s16, s86, 0xd00
	s_cbranch_execz .LBB857_90
.LBB857_37:
	v_cmp_gt_u32_e32 vcc, s16, v36
	v_mov_b32_e32 v38, 0
	v_mov_b32_e32 v37, 0
	s_and_saveexec_b64 s[6:7], vcc
	s_cbranch_execz .LBB857_41
; %bb.38:
	v_add_u32_e32 v1, s37, v22
	v_add_u32_e32 v6, s39, v22
	v_mul_lo_u32 v1, v1, s36
	v_mul_lo_u32 v6, v6, s38
	v_sub_u32_e32 v1, v1, v6
	v_cmp_lt_u32_e32 vcc, s40, v1
	v_cmp_ge_u32_e64 s[4:5], s40, v1
	s_mov_b64 s[10:11], 0
	s_and_saveexec_b64 s[8:9], s[4:5]
; %bb.39:
	v_add_u32_e32 v1, s42, v22
	v_add_u32_e32 v6, s56, v22
	v_mul_lo_u32 v1, v1, s41
	v_mul_lo_u32 v6, v6, s43
	v_sub_u32_e32 v1, v1, v6
	v_cmp_lt_u32_e64 s[4:5], s57, v1
	s_and_b64 s[10:11], s[4:5], exec
; %bb.40:
	s_or_b64 exec, exec, s[8:9]
	v_cndmask_b32_e64 v37, 0, 1, vcc
	v_cndmask_b32_e64 v38, 0, 1, s[10:11]
.LBB857_41:
	s_or_b64 exec, exec, s[6:7]
	v_add_u32_e32 v1, 1, v36
	v_cmp_gt_u32_e32 vcc, s16, v1
	v_mov_b32_e32 v39, 0
	v_mov_b32_e32 v40, 0
	s_and_saveexec_b64 s[6:7], vcc
	s_cbranch_execz .LBB857_45
; %bb.42:
	v_add_u32_e32 v1, s37, v23
	v_add_u32_e32 v6, s39, v23
	v_mul_lo_u32 v1, v1, s36
	v_mul_lo_u32 v6, v6, s38
	v_sub_u32_e32 v1, v1, v6
	v_cmp_lt_u32_e32 vcc, s40, v1
	v_cmp_ge_u32_e64 s[4:5], s40, v1
	s_mov_b64 s[10:11], 0
	s_and_saveexec_b64 s[8:9], s[4:5]
; %bb.43:
	v_add_u32_e32 v1, s42, v23
	v_add_u32_e32 v6, s56, v23
	v_mul_lo_u32 v1, v1, s41
	v_mul_lo_u32 v6, v6, s43
	v_sub_u32_e32 v1, v1, v6
	v_cmp_lt_u32_e64 s[4:5], s57, v1
	s_and_b64 s[10:11], s[4:5], exec
; %bb.44:
	s_or_b64 exec, exec, s[8:9]
	v_cndmask_b32_e64 v39, 0, 1, vcc
	v_cndmask_b32_e64 v40, 0, 1, s[10:11]
.LBB857_45:
	s_or_b64 exec, exec, s[6:7]
	v_add_u32_e32 v1, 2, v36
	;; [unrolled: 30-line block ×12, first 2 shown]
	v_cmp_gt_u32_e32 vcc, s16, v1
	s_mov_b64 s[52:53], 0
	s_mov_b64 s[54:55], 0
	s_and_saveexec_b64 s[4:5], vcc
	s_cbranch_execz .LBB857_89
; %bb.86:
	v_add_u32_e32 v1, s37, v35
	v_add_u32_e32 v6, s39, v35
	v_mul_lo_u32 v1, v1, s36
	v_mul_lo_u32 v6, v6, s38
	v_sub_u32_e32 v1, v1, v6
	v_cmp_ge_u32_e32 vcc, s40, v1
	s_mov_b64 s[8:9], -1
	s_mov_b64 s[10:11], 0
	s_and_saveexec_b64 s[6:7], vcc
; %bb.87:
	v_add_u32_e32 v1, s42, v35
	v_add_u32_e32 v6, s56, v35
	v_mul_lo_u32 v1, v1, s41
	v_mul_lo_u32 v6, v6, s43
	v_sub_u32_e32 v1, v1, v6
	v_cmp_lt_u32_e32 vcc, s57, v1
	s_and_b64 s[10:11], vcc, exec
	s_xor_b64 s[8:9], exec, -1
; %bb.88:
	s_or_b64 exec, exec, s[6:7]
	s_and_b64 s[54:55], s[10:11], exec
	s_and_b64 s[52:53], s[8:9], exec
.LBB857_89:
	s_or_b64 exec, exec, s[4:5]
.LBB857_90:
	v_and_b32_e32 v68, 0xff, v38
	v_and_b32_e32 v79, 0xff, v40
	;; [unrolled: 1-line block ×5, first 2 shown]
	v_add3_u32 v6, v79, v70, v68
	v_and_b32_e32 v81, 0xff, v47
	v_and_b32_e32 v74, 0xff, v49
	v_add3_u32 v6, v6, v80, v72
	v_and_b32_e32 v67, 0xff, v37
	v_and_b32_e32 v61, 0xff, v39
	;; [unrolled: 1-line block ×5, first 2 shown]
	v_add3_u32 v6, v6, v81, v74
	v_and_b32_e32 v62, 0xff, v44
	v_and_b32_e32 v71, 0xff, v46
	;; [unrolled: 1-line block ×4, first 2 shown]
	v_add3_u32 v7, v61, v69, v67
	v_add3_u32 v6, v6, v82, v76
	v_and_b32_e32 v63, 0xff, v48
	v_and_b32_e32 v73, 0xff, v50
	;; [unrolled: 1-line block ×3, first 2 shown]
	v_cndmask_b32_e64 v1, 0, 1, s[54:55]
	v_add3_u32 v7, v7, v62, v71
	v_add3_u32 v6, v6, v83, v78
	v_and_b32_e32 v64, 0xff, v52
	v_and_b32_e32 v75, 0xff, v54
	v_add3_u32 v7, v7, v63, v73
	v_add3_u32 v91, v6, v84, v1
	v_mbcnt_lo_u32_b32 v1, -1, 0
	v_and_b32_e32 v65, 0xff, v56
	v_and_b32_e32 v77, 0xff, v58
	v_add3_u32 v7, v7, v64, v75
	v_mbcnt_hi_u32_b32 v85, -1, v1
	v_and_b32_e32 v66, 0xff, v60
	v_add3_u32 v7, v7, v65, v77
	v_cndmask_b32_e64 v8, 0, 1, s[52:53]
	v_and_b32_e32 v89, 15, v85
	s_cmp_lg_u32 s33, 0
	v_add3_u32 v90, v7, v66, v8
	v_cmp_eq_u32_e64 s[6:7], 0, v89
	v_cmp_lt_u32_e64 s[4:5], 1, v89
	v_cmp_lt_u32_e64 s[10:11], 3, v89
	;; [unrolled: 1-line block ×3, first 2 shown]
	v_and_b32_e32 v88, 16, v85
	v_cmp_lt_u32_e32 vcc, 31, v85
	v_lshrrev_b32_e32 v86, 6, v0
	v_or_b32_e32 v87, 63, v0
	s_cbranch_scc0 .LBB857_123
; %bb.91:
	v_mov_b32_dpp v1, v90 row_shr:1 row_mask:0xf bank_mask:0xf
	v_mov_b32_dpp v6, v91 row_shr:1 row_mask:0xf bank_mask:0xf
	v_add_u32_e32 v1, v1, v90
	v_add_u32_e32 v6, v6, v91
	v_cndmask_b32_e64 v6, v6, v91, s[6:7]
	v_cndmask_b32_e64 v1, v1, v90, s[6:7]
	s_nop 0
	v_mov_b32_dpp v8, v6 row_shr:2 row_mask:0xf bank_mask:0xf
	v_mov_b32_dpp v7, v1 row_shr:2 row_mask:0xf bank_mask:0xf
	v_add_u32_e32 v7, v1, v7
	v_add_u32_e32 v8, v6, v8
	v_cndmask_b32_e64 v6, v6, v8, s[4:5]
	v_cndmask_b32_e64 v1, v1, v7, s[4:5]
	s_nop 0
	;; [unrolled: 7-line block ×3, first 2 shown]
	v_mov_b32_dpp v8, v6 row_shr:8 row_mask:0xf bank_mask:0xf
	v_mov_b32_dpp v7, v1 row_shr:8 row_mask:0xf bank_mask:0xf
	v_add_u32_e32 v7, v1, v7
	v_add_u32_e32 v8, v6, v8
	v_cndmask_b32_e64 v6, v6, v8, s[8:9]
	v_cndmask_b32_e64 v1, v1, v7, s[8:9]
	v_cmp_eq_u32_e64 s[8:9], 0, v88
	v_mov_b32_dpp v8, v6 row_bcast:15 row_mask:0xf bank_mask:0xf
	v_mov_b32_dpp v7, v1 row_bcast:15 row_mask:0xf bank_mask:0xf
	v_add_u32_e32 v7, v1, v7
	v_add_u32_e32 v8, v6, v8
	v_cndmask_b32_e64 v6, v8, v6, s[8:9]
	v_cndmask_b32_e64 v1, v7, v1, s[8:9]
	s_nop 0
	v_mov_b32_dpp v8, v6 row_bcast:31 row_mask:0xf bank_mask:0xf
	v_mov_b32_dpp v7, v1 row_bcast:31 row_mask:0xf bank_mask:0xf
	v_add_u32_e32 v8, v6, v8
	v_add_u32_e32 v9, v1, v7
	v_cndmask_b32_e32 v7, v6, v8, vcc
	v_cndmask_b32_e32 v6, v1, v9, vcc
	v_cmp_eq_u32_e32 vcc, v87, v0
	s_and_saveexec_b64 s[8:9], vcc
	s_cbranch_execz .LBB857_93
; %bb.92:
	v_lshlrev_b32_e32 v1, 3, v86
	ds_write_b64 v1, v[6:7]
.LBB857_93:
	s_or_b64 exec, exec, s[8:9]
	v_cmp_gt_u32_e32 vcc, 4, v0
	s_waitcnt lgkmcnt(0)
	s_barrier
	s_and_saveexec_b64 s[8:9], vcc
	s_cbranch_execz .LBB857_95
; %bb.94:
	v_lshlrev_b32_e32 v1, 3, v0
	ds_read_b64 v[8:9], v1
	v_and_b32_e32 v10, 3, v85
	v_cmp_eq_u32_e32 vcc, 0, v10
	s_waitcnt lgkmcnt(0)
	v_mov_b32_dpp v11, v8 row_shr:1 row_mask:0xf bank_mask:0xf
	v_mov_b32_dpp v24, v9 row_shr:1 row_mask:0xf bank_mask:0xf
	v_add_u32_e32 v11, v11, v8
	v_add_u32_e32 v24, v24, v9
	v_cndmask_b32_e32 v9, v24, v9, vcc
	v_cndmask_b32_e32 v8, v11, v8, vcc
	v_cmp_lt_u32_e32 vcc, 1, v10
	v_mov_b32_dpp v24, v9 row_shr:2 row_mask:0xf bank_mask:0xf
	v_mov_b32_dpp v11, v8 row_shr:2 row_mask:0xf bank_mask:0xf
	v_cndmask_b32_e32 v10, 0, v11, vcc
	v_cndmask_b32_e32 v11, 0, v24, vcc
	v_add_u32_e32 v9, v11, v9
	v_add_u32_e32 v8, v10, v8
	ds_write_b64 v1, v[8:9]
.LBB857_95:
	s_or_b64 exec, exec, s[8:9]
	v_cmp_gt_u32_e32 vcc, 64, v0
	v_cmp_lt_u32_e64 s[8:9], 63, v0
	s_waitcnt lgkmcnt(0)
	s_barrier
	s_waitcnt lgkmcnt(0)
                                        ; implicit-def: $vgpr25
	s_and_saveexec_b64 s[10:11], s[8:9]
	s_xor_b64 s[8:9], exec, s[10:11]
	s_cbranch_execz .LBB857_97
; %bb.96:
	v_lshl_add_u32 v1, v86, 3, -8
	ds_read_b64 v[24:25], v1
	s_waitcnt lgkmcnt(0)
	v_add_u32_e32 v7, v25, v7
	v_add_u32_e32 v6, v24, v6
.LBB857_97:
	s_andn2_saveexec_b64 s[8:9], s[8:9]
; %bb.98:
                                        ; implicit-def: $vgpr24
; %bb.99:
	s_or_b64 exec, exec, s[8:9]
	v_add_u32_e32 v1, -1, v85
	v_and_b32_e32 v8, 64, v85
	v_cmp_lt_i32_e64 s[8:9], v1, v8
	v_cndmask_b32_e64 v1, v1, v85, s[8:9]
	v_lshlrev_b32_e32 v8, 2, v1
	ds_bpermute_b32 v1, v8, v6
	ds_bpermute_b32 v92, v8, v7
	v_cmp_eq_u32_e64 s[8:9], 0, v85
	s_and_saveexec_b64 s[10:11], vcc
	s_cbranch_execz .LBB857_122
; %bb.100:
	v_mov_b32_e32 v11, 0
	ds_read_b64 v[26:27], v11 offset:24
	s_and_saveexec_b64 s[12:13], s[8:9]
	s_cbranch_execz .LBB857_102
; %bb.101:
	s_add_i32 s14, s33, 64
	s_mov_b32 s15, 0
	s_lshl_b64 s[14:15], s[14:15], 4
	s_waitcnt lgkmcnt(0)
	v_and_b32_e32 v6, 0xff000000, v27
	v_and_b32_e32 v7, 0xff0000, v27
	s_add_u32 s14, s50, s14
	v_or_b32_e32 v6, v7, v6
	v_and_b32_e32 v7, 0xff00, v27
	s_addc_u32 s15, s51, s15
	v_or_b32_e32 v6, v6, v7
	v_or_b32_sdwa v9, v6, v27 dst_sel:DWORD dst_unused:UNUSED_PAD src0_sel:DWORD src1_sel:BYTE_0
	v_mov_b32_e32 v10, 1
	v_mov_b32_e32 v8, v26
	v_pk_mov_b32 v[6:7], s[14:15], s[14:15] op_sel:[0,1]
	;;#ASMSTART
	global_store_dwordx4 v[6:7], v[8:11] off	
s_waitcnt vmcnt(0)
	;;#ASMEND
.LBB857_102:
	s_or_b64 exec, exec, s[12:13]
	v_xad_u32 v28, v85, -1, s33
	v_add_u32_e32 v10, 64, v28
	v_lshlrev_b64 v[6:7], 4, v[10:11]
	v_mov_b32_e32 v8, s51
	v_add_co_u32_e32 v30, vcc, s50, v6
	v_addc_co_u32_e32 v31, vcc, v8, v7, vcc
	;;#ASMSTART
	global_load_dwordx4 v[6:9], v[30:31] off glc	
s_waitcnt vmcnt(0)
	;;#ASMEND
	v_and_b32_e32 v9, 0xff, v7
	v_and_b32_e32 v10, 0xff00, v7
	v_or3_b32 v9, 0, v9, v10
	v_or3_b32 v6, v6, 0, 0
	v_and_b32_e32 v10, 0xff000000, v7
	v_and_b32_e32 v7, 0xff0000, v7
	v_or3_b32 v7, v9, v7, v10
	v_or3_b32 v6, v6, 0, 0
	v_cmp_eq_u16_sdwa s[14:15], v8, v11 src0_sel:BYTE_0 src1_sel:DWORD
	s_and_saveexec_b64 s[12:13], s[14:15]
	s_cbranch_execz .LBB857_108
; %bb.103:
	s_mov_b32 s17, 1
	s_mov_b64 s[14:15], 0
	v_mov_b32_e32 v10, 0
.LBB857_104:                            ; =>This Loop Header: Depth=1
                                        ;     Child Loop BB857_105 Depth 2
	s_max_u32 s18, s17, 1
.LBB857_105:                            ;   Parent Loop BB857_104 Depth=1
                                        ; =>  This Inner Loop Header: Depth=2
	s_add_i32 s18, s18, -1
	s_cmp_eq_u32 s18, 0
	s_sleep 1
	s_cbranch_scc0 .LBB857_105
; %bb.106:                              ;   in Loop: Header=BB857_104 Depth=1
	s_cmp_lt_u32 s17, 32
	s_cselect_b64 s[18:19], -1, 0
	s_cmp_lg_u64 s[18:19], 0
	s_addc_u32 s17, s17, 0
	;;#ASMSTART
	global_load_dwordx4 v[6:9], v[30:31] off glc	
s_waitcnt vmcnt(0)
	;;#ASMEND
	v_cmp_ne_u16_sdwa s[18:19], v8, v10 src0_sel:BYTE_0 src1_sel:DWORD
	s_or_b64 s[14:15], s[18:19], s[14:15]
	s_andn2_b64 exec, exec, s[14:15]
	s_cbranch_execnz .LBB857_104
; %bb.107:
	s_or_b64 exec, exec, s[14:15]
.LBB857_108:
	s_or_b64 exec, exec, s[12:13]
	v_and_b32_e32 v94, 63, v85
	v_cmp_ne_u32_e32 vcc, 63, v94
	v_mov_b32_e32 v93, 2
	v_addc_co_u32_e32 v30, vcc, 0, v85, vcc
	v_cmp_eq_u16_sdwa s[12:13], v8, v93 src0_sel:BYTE_0 src1_sel:DWORD
	v_lshlrev_b64 v[10:11], v85, -1
	v_lshlrev_b32_e32 v95, 2, v30
	v_and_b32_e32 v9, s13, v11
	ds_bpermute_b32 v30, v95, v6
	ds_bpermute_b32 v31, v95, v7
	v_or_b32_e32 v9, 0x80000000, v9
	v_and_b32_e32 v29, s12, v10
	v_ffbl_b32_e32 v9, v9
	v_add_u32_e32 v9, 32, v9
	v_ffbl_b32_e32 v29, v29
	v_min_u32_e32 v9, v29, v9
	s_waitcnt lgkmcnt(1)
	v_add_u32_e32 v29, v30, v6
	s_waitcnt lgkmcnt(0)
	v_add_u32_e32 v30, v31, v7
	v_cmp_lt_u32_e32 vcc, v94, v9
	v_cndmask_b32_e32 v7, v7, v30, vcc
	v_cndmask_b32_e32 v6, v6, v29, vcc
	v_cmp_gt_u32_e32 vcc, 62, v94
	v_cndmask_b32_e64 v29, 0, 1, vcc
	v_lshlrev_b32_e32 v29, 1, v29
	v_add_lshl_u32 v96, v29, v85, 2
	ds_bpermute_b32 v29, v96, v6
	ds_bpermute_b32 v30, v96, v7
	v_add_u32_e32 v97, 2, v94
	v_cmp_gt_u32_e32 vcc, v97, v9
	v_add_u32_e32 v99, 4, v94
	s_waitcnt lgkmcnt(1)
	v_add_u32_e32 v29, v6, v29
	s_waitcnt lgkmcnt(0)
	v_add_u32_e32 v30, v7, v30
	v_cndmask_b32_e32 v7, v30, v7, vcc
	v_cndmask_b32_e32 v6, v29, v6, vcc
	v_cmp_gt_u32_e32 vcc, 60, v94
	v_cndmask_b32_e64 v29, 0, 1, vcc
	v_lshlrev_b32_e32 v29, 2, v29
	v_add_lshl_u32 v98, v29, v85, 2
	ds_bpermute_b32 v29, v98, v6
	ds_bpermute_b32 v30, v98, v7
	v_cmp_gt_u32_e32 vcc, v99, v9
	v_add_u32_e32 v101, 8, v94
	v_add_u32_e32 v103, 16, v94
	s_waitcnt lgkmcnt(1)
	v_add_u32_e32 v29, v6, v29
	s_waitcnt lgkmcnt(0)
	v_add_u32_e32 v30, v7, v30
	v_cndmask_b32_e32 v7, v30, v7, vcc
	v_cndmask_b32_e32 v6, v29, v6, vcc
	v_cmp_gt_u32_e32 vcc, 56, v94
	v_cndmask_b32_e64 v29, 0, 1, vcc
	v_lshlrev_b32_e32 v29, 3, v29
	v_add_lshl_u32 v100, v29, v85, 2
	ds_bpermute_b32 v29, v100, v6
	ds_bpermute_b32 v30, v100, v7
	v_cmp_gt_u32_e32 vcc, v101, v9
	v_add_u32_e32 v105, 32, v94
	s_waitcnt lgkmcnt(1)
	v_add_u32_e32 v29, v6, v29
	s_waitcnt lgkmcnt(0)
	v_add_u32_e32 v30, v7, v30
	v_cndmask_b32_e32 v7, v30, v7, vcc
	v_cndmask_b32_e32 v6, v29, v6, vcc
	v_cmp_gt_u32_e32 vcc, 48, v94
	v_cndmask_b32_e64 v29, 0, 1, vcc
	v_lshlrev_b32_e32 v29, 4, v29
	v_add_lshl_u32 v102, v29, v85, 2
	ds_bpermute_b32 v29, v102, v6
	ds_bpermute_b32 v30, v102, v7
	v_cmp_gt_u32_e32 vcc, v103, v9
	s_waitcnt lgkmcnt(1)
	v_add_u32_e32 v29, v6, v29
	s_waitcnt lgkmcnt(0)
	v_add_u32_e32 v30, v7, v30
	v_cndmask_b32_e32 v7, v30, v7, vcc
	v_cndmask_b32_e32 v6, v29, v6, vcc
	v_cmp_gt_u32_e32 vcc, 32, v94
	v_cndmask_b32_e64 v29, 0, 1, vcc
	v_lshlrev_b32_e32 v29, 5, v29
	v_add_lshl_u32 v104, v29, v85, 2
	ds_bpermute_b32 v29, v104, v6
	ds_bpermute_b32 v30, v104, v7
	v_cmp_le_u32_e32 vcc, v105, v9
	s_waitcnt lgkmcnt(1)
	v_cndmask_b32_e32 v9, 0, v29, vcc
	s_waitcnt lgkmcnt(0)
	v_cndmask_b32_e32 v29, 0, v30, vcc
	v_add_u32_e32 v7, v7, v29
	v_add_u32_e32 v6, v6, v9
	v_mov_b32_e32 v29, 0
	s_branch .LBB857_110
.LBB857_109:                            ;   in Loop: Header=BB857_110 Depth=1
	s_or_b64 exec, exec, s[12:13]
	v_cmp_eq_u16_sdwa s[12:13], v8, v93 src0_sel:BYTE_0 src1_sel:DWORD
	v_and_b32_e32 v9, s13, v11
	ds_bpermute_b32 v33, v95, v6
	ds_bpermute_b32 v106, v95, v7
	v_or_b32_e32 v9, 0x80000000, v9
	v_and_b32_e32 v32, s12, v10
	v_ffbl_b32_e32 v9, v9
	v_add_u32_e32 v9, 32, v9
	v_ffbl_b32_e32 v32, v32
	v_min_u32_e32 v9, v32, v9
	s_waitcnt lgkmcnt(1)
	v_add_u32_e32 v32, v33, v6
	s_waitcnt lgkmcnt(0)
	v_add_u32_e32 v33, v106, v7
	v_cmp_lt_u32_e32 vcc, v94, v9
	v_cndmask_b32_e32 v7, v7, v33, vcc
	v_cndmask_b32_e32 v6, v6, v32, vcc
	ds_bpermute_b32 v32, v96, v6
	ds_bpermute_b32 v33, v96, v7
	v_cmp_gt_u32_e32 vcc, v97, v9
	v_subrev_u32_e32 v28, 64, v28
	s_waitcnt lgkmcnt(1)
	v_add_u32_e32 v32, v6, v32
	s_waitcnt lgkmcnt(0)
	v_add_u32_e32 v33, v7, v33
	v_cndmask_b32_e32 v7, v33, v7, vcc
	v_cndmask_b32_e32 v6, v32, v6, vcc
	ds_bpermute_b32 v32, v98, v6
	ds_bpermute_b32 v33, v98, v7
	v_cmp_gt_u32_e32 vcc, v99, v9
	s_waitcnt lgkmcnt(1)
	v_add_u32_e32 v32, v6, v32
	s_waitcnt lgkmcnt(0)
	v_add_u32_e32 v33, v7, v33
	v_cndmask_b32_e32 v7, v33, v7, vcc
	v_cndmask_b32_e32 v6, v32, v6, vcc
	ds_bpermute_b32 v32, v100, v6
	ds_bpermute_b32 v33, v100, v7
	v_cmp_gt_u32_e32 vcc, v101, v9
	s_waitcnt lgkmcnt(1)
	v_add_u32_e32 v32, v6, v32
	s_waitcnt lgkmcnt(0)
	v_add_u32_e32 v33, v7, v33
	v_cndmask_b32_e32 v7, v33, v7, vcc
	v_cndmask_b32_e32 v6, v32, v6, vcc
	ds_bpermute_b32 v32, v102, v6
	ds_bpermute_b32 v33, v102, v7
	v_cmp_gt_u32_e32 vcc, v103, v9
	s_waitcnt lgkmcnt(1)
	v_add_u32_e32 v32, v6, v32
	s_waitcnt lgkmcnt(0)
	v_add_u32_e32 v33, v7, v33
	v_cndmask_b32_e32 v7, v33, v7, vcc
	v_cndmask_b32_e32 v6, v32, v6, vcc
	ds_bpermute_b32 v32, v104, v6
	ds_bpermute_b32 v33, v104, v7
	v_cmp_le_u32_e32 vcc, v105, v9
	s_waitcnt lgkmcnt(1)
	v_cndmask_b32_e32 v9, 0, v32, vcc
	s_waitcnt lgkmcnt(0)
	v_cndmask_b32_e32 v32, 0, v33, vcc
	v_add3_u32 v7, v32, v31, v7
	v_add3_u32 v6, v9, v30, v6
.LBB857_110:                            ; =>This Loop Header: Depth=1
                                        ;     Child Loop BB857_113 Depth 2
                                        ;       Child Loop BB857_114 Depth 3
	v_cmp_ne_u16_sdwa s[12:13], v8, v93 src0_sel:BYTE_0 src1_sel:DWORD
	v_cndmask_b32_e64 v8, 0, 1, s[12:13]
	;;#ASMSTART
	;;#ASMEND
	v_cmp_ne_u32_e32 vcc, 0, v8
	s_cmp_lg_u64 vcc, exec
	v_pk_mov_b32 v[30:31], v[6:7], v[6:7] op_sel:[0,1]
	s_cbranch_scc1 .LBB857_117
; %bb.111:                              ;   in Loop: Header=BB857_110 Depth=1
	v_lshlrev_b64 v[6:7], 4, v[28:29]
	v_mov_b32_e32 v8, s51
	v_add_co_u32_e32 v32, vcc, s50, v6
	v_addc_co_u32_e32 v33, vcc, v8, v7, vcc
	;;#ASMSTART
	global_load_dwordx4 v[6:9], v[32:33] off glc	
s_waitcnt vmcnt(0)
	;;#ASMEND
	v_and_b32_e32 v9, 0xff, v7
	v_and_b32_e32 v106, 0xff00, v7
	v_or3_b32 v9, 0, v9, v106
	v_or3_b32 v6, v6, 0, 0
	v_and_b32_e32 v106, 0xff000000, v7
	v_and_b32_e32 v7, 0xff0000, v7
	v_or3_b32 v7, v9, v7, v106
	v_or3_b32 v6, v6, 0, 0
	v_cmp_eq_u16_sdwa s[14:15], v8, v29 src0_sel:BYTE_0 src1_sel:DWORD
	s_and_saveexec_b64 s[12:13], s[14:15]
	s_cbranch_execz .LBB857_109
; %bb.112:                              ;   in Loop: Header=BB857_110 Depth=1
	s_mov_b32 s17, 1
	s_mov_b64 s[14:15], 0
.LBB857_113:                            ;   Parent Loop BB857_110 Depth=1
                                        ; =>  This Loop Header: Depth=2
                                        ;       Child Loop BB857_114 Depth 3
	s_max_u32 s18, s17, 1
.LBB857_114:                            ;   Parent Loop BB857_110 Depth=1
                                        ;     Parent Loop BB857_113 Depth=2
                                        ; =>    This Inner Loop Header: Depth=3
	s_add_i32 s18, s18, -1
	s_cmp_eq_u32 s18, 0
	s_sleep 1
	s_cbranch_scc0 .LBB857_114
; %bb.115:                              ;   in Loop: Header=BB857_113 Depth=2
	s_cmp_lt_u32 s17, 32
	s_cselect_b64 s[18:19], -1, 0
	s_cmp_lg_u64 s[18:19], 0
	s_addc_u32 s17, s17, 0
	;;#ASMSTART
	global_load_dwordx4 v[6:9], v[32:33] off glc	
s_waitcnt vmcnt(0)
	;;#ASMEND
	v_cmp_ne_u16_sdwa s[18:19], v8, v29 src0_sel:BYTE_0 src1_sel:DWORD
	s_or_b64 s[14:15], s[18:19], s[14:15]
	s_andn2_b64 exec, exec, s[14:15]
	s_cbranch_execnz .LBB857_113
; %bb.116:                              ;   in Loop: Header=BB857_110 Depth=1
	s_or_b64 exec, exec, s[14:15]
	s_branch .LBB857_109
.LBB857_117:                            ;   in Loop: Header=BB857_110 Depth=1
                                        ; implicit-def: $vgpr8
                                        ; implicit-def: $vgpr6_vgpr7
	s_cbranch_execz .LBB857_110
; %bb.118:
	s_and_saveexec_b64 s[12:13], s[8:9]
	s_cbranch_execz .LBB857_120
; %bb.119:
	s_add_i32 s14, s33, 64
	s_mov_b32 s15, 0
	v_add_u32_e32 v7, v31, v27
	s_lshl_b64 s[14:15], s[14:15], 4
	s_add_u32 s14, s50, s14
	v_and_b32_e32 v8, 0xff000000, v7
	v_and_b32_e32 v10, 0xff0000, v7
	s_addc_u32 s15, s51, s15
	v_or_b32_e32 v8, v10, v8
	v_and_b32_e32 v10, 0xff00, v7
	v_and_b32_e32 v7, 0xff, v7
	v_add_u32_e32 v6, v30, v26
	v_mov_b32_e32 v9, 0
	v_or3_b32 v7, v8, v10, v7
	v_mov_b32_e32 v8, 2
	v_pk_mov_b32 v[10:11], s[14:15], s[14:15] op_sel:[0,1]
	;;#ASMSTART
	global_store_dwordx4 v[10:11], v[6:9] off	
s_waitcnt vmcnt(0)
	;;#ASMEND
	s_movk_i32 s14, 0x3400
	v_add_u32_e64 v6, s14, 0
	ds_write2_b32 v6, v26, v27 offset1:2
	ds_write2_b32 v6, v30, v31 offset0:4 offset1:6
.LBB857_120:
	s_or_b64 exec, exec, s[12:13]
	s_and_b64 exec, exec, s[0:1]
	s_cbranch_execz .LBB857_122
; %bb.121:
	v_mov_b32_e32 v6, 0
	ds_write_b64 v6, v[30:31] offset:24
.LBB857_122:
	s_or_b64 exec, exec, s[10:11]
	v_mov_b32_e32 v6, 0
	s_waitcnt lgkmcnt(0)
	s_barrier
	ds_read_b64 v[10:11], v6 offset:24
	v_cndmask_b32_e64 v25, v92, v25, s[8:9]
	v_cndmask_b32_e64 v1, v1, v24, s[8:9]
	s_movk_i32 s8, 0x3400
	s_waitcnt lgkmcnt(0)
	v_add_u32_e32 v24, v10, v1
	v_add_u32_e64 v1, s8, 0
	s_barrier
	ds_read2_b32 v[6:7], v1 offset1:2
	ds_read2_b32 v[8:9], v1 offset0:4 offset1:6
	v_add_u32_e32 v1, v11, v25
	v_cndmask_b32_e64 v1, v1, v11, s[0:1]
	v_cndmask_b32_e64 v10, v24, v10, s[0:1]
	s_branch .LBB857_133
.LBB857_123:
                                        ; implicit-def: $vgpr1
                                        ; implicit-def: $vgpr8
                                        ; implicit-def: $vgpr6
                                        ; implicit-def: $vgpr10_vgpr11
	s_cbranch_execz .LBB857_133
; %bb.124:
	s_nop 0
	v_mov_b32_dpp v1, v90 row_shr:1 row_mask:0xf bank_mask:0xf
	s_waitcnt lgkmcnt(1)
	v_mov_b32_dpp v6, v91 row_shr:1 row_mask:0xf bank_mask:0xf
	v_add_u32_e32 v1, v1, v90
	v_add_u32_e32 v6, v6, v91
	v_cndmask_b32_e64 v6, v6, v91, s[6:7]
	v_cndmask_b32_e64 v1, v1, v90, s[6:7]
	v_cmp_lt_u32_e32 vcc, 3, v89
	s_waitcnt lgkmcnt(0)
	v_mov_b32_dpp v8, v6 row_shr:2 row_mask:0xf bank_mask:0xf
	v_mov_b32_dpp v7, v1 row_shr:2 row_mask:0xf bank_mask:0xf
	v_add_u32_e32 v7, v1, v7
	v_add_u32_e32 v8, v6, v8
	v_cndmask_b32_e64 v6, v6, v8, s[4:5]
	v_cndmask_b32_e64 v1, v1, v7, s[4:5]
	s_nop 0
	v_mov_b32_dpp v8, v6 row_shr:4 row_mask:0xf bank_mask:0xf
	v_mov_b32_dpp v7, v1 row_shr:4 row_mask:0xf bank_mask:0xf
	v_add_u32_e32 v7, v1, v7
	v_add_u32_e32 v8, v6, v8
	v_cndmask_b32_e32 v6, v6, v8, vcc
	v_cndmask_b32_e32 v1, v1, v7, vcc
	v_cmp_lt_u32_e32 vcc, 7, v89
	v_mov_b32_dpp v8, v6 row_shr:8 row_mask:0xf bank_mask:0xf
	v_mov_b32_dpp v7, v1 row_shr:8 row_mask:0xf bank_mask:0xf
	v_add_u32_e32 v7, v1, v7
	v_add_u32_e32 v8, v6, v8
	v_cndmask_b32_e32 v6, v6, v8, vcc
	v_cndmask_b32_e32 v1, v1, v7, vcc
	v_cmp_eq_u32_e32 vcc, 0, v88
	v_mov_b32_dpp v8, v6 row_bcast:15 row_mask:0xf bank_mask:0xf
	v_mov_b32_dpp v7, v1 row_bcast:15 row_mask:0xf bank_mask:0xf
	v_add_u32_e32 v7, v1, v7
	v_add_u32_e32 v8, v6, v8
	v_cndmask_b32_e32 v6, v8, v6, vcc
	v_cndmask_b32_e32 v1, v7, v1, vcc
	v_cmp_lt_u32_e32 vcc, 31, v85
	v_mov_b32_dpp v8, v6 row_bcast:31 row_mask:0xf bank_mask:0xf
	v_mov_b32_dpp v7, v1 row_bcast:31 row_mask:0xf bank_mask:0xf
	v_add_u32_e32 v8, v6, v8
	v_add_u32_e32 v9, v1, v7
	v_cndmask_b32_e32 v7, v6, v8, vcc
	v_cndmask_b32_e32 v6, v1, v9, vcc
	v_cmp_eq_u32_e32 vcc, v87, v0
	s_and_saveexec_b64 s[4:5], vcc
	s_cbranch_execz .LBB857_126
; %bb.125:
	v_lshlrev_b32_e32 v1, 3, v86
	ds_write_b64 v1, v[6:7]
.LBB857_126:
	s_or_b64 exec, exec, s[4:5]
	v_cmp_gt_u32_e32 vcc, 4, v0
	s_waitcnt lgkmcnt(0)
	s_barrier
	s_and_saveexec_b64 s[4:5], vcc
	s_cbranch_execz .LBB857_128
; %bb.127:
	v_lshlrev_b32_e32 v1, 3, v0
	ds_read_b64 v[8:9], v1
	v_and_b32_e32 v10, 3, v85
	v_cmp_eq_u32_e32 vcc, 0, v10
	s_waitcnt lgkmcnt(0)
	v_mov_b32_dpp v11, v8 row_shr:1 row_mask:0xf bank_mask:0xf
	v_mov_b32_dpp v24, v9 row_shr:1 row_mask:0xf bank_mask:0xf
	v_add_u32_e32 v11, v11, v8
	v_add_u32_e32 v24, v24, v9
	v_cndmask_b32_e32 v9, v24, v9, vcc
	v_cndmask_b32_e32 v8, v11, v8, vcc
	v_cmp_lt_u32_e32 vcc, 1, v10
	v_mov_b32_dpp v24, v9 row_shr:2 row_mask:0xf bank_mask:0xf
	v_mov_b32_dpp v11, v8 row_shr:2 row_mask:0xf bank_mask:0xf
	v_cndmask_b32_e32 v10, 0, v11, vcc
	v_cndmask_b32_e32 v11, 0, v24, vcc
	v_add_u32_e32 v9, v11, v9
	v_add_u32_e32 v8, v10, v8
	ds_write_b64 v1, v[8:9]
.LBB857_128:
	s_or_b64 exec, exec, s[4:5]
	v_cmp_lt_u32_e32 vcc, 63, v0
	v_mov_b32_e32 v8, 0
	v_mov_b32_e32 v10, 0
	v_mov_b32_e32 v11, 0
	s_waitcnt lgkmcnt(0)
	s_barrier
	s_and_saveexec_b64 s[4:5], vcc
	s_cbranch_execz .LBB857_130
; %bb.129:
	v_lshl_add_u32 v1, v86, 3, -8
	ds_read_b64 v[10:11], v1
.LBB857_130:
	s_or_b64 exec, exec, s[4:5]
	s_waitcnt lgkmcnt(0)
	v_add_u32_e32 v9, v11, v7
	v_add_u32_e32 v1, v10, v6
	v_add_u32_e32 v6, -1, v85
	v_and_b32_e32 v7, 64, v85
	v_cmp_lt_i32_e32 vcc, v6, v7
	v_cndmask_b32_e32 v6, v6, v85, vcc
	v_lshlrev_b32_e32 v24, 2, v6
	ds_read_b64 v[6:7], v8 offset:24
	ds_bpermute_b32 v1, v24, v1
	ds_bpermute_b32 v24, v24, v9
	s_waitcnt lgkmcnt(2)
	v_readfirstlane_b32 s6, v7
	s_and_saveexec_b64 s[4:5], s[0:1]
	s_cbranch_execz .LBB857_132
; %bb.131:
	s_add_u32 s8, s50, 0x400
	s_mov_b32 s10, 0
	s_addc_u32 s9, s51, 0
	s_and_b32 s11, s6, 0xff000000
	s_and_b32 s13, s6, 0xff0000
	s_mov_b32 s12, s10
	s_or_b64 s[12:13], s[12:13], s[10:11]
	s_and_b32 s11, s6, 0xff00
	s_or_b64 s[12:13], s[12:13], s[10:11]
	s_and_b32 s11, s6, 0xff
	s_or_b64 s[10:11], s[12:13], s[10:11]
	v_mov_b32_e32 v7, s11
	v_mov_b32_e32 v8, 2
	;; [unrolled: 1-line block ×3, first 2 shown]
	v_pk_mov_b32 v[26:27], s[8:9], s[8:9] op_sel:[0,1]
	;;#ASMSTART
	global_store_dwordx4 v[26:27], v[6:9] off	
s_waitcnt vmcnt(0)
	;;#ASMEND
.LBB857_132:
	s_or_b64 exec, exec, s[4:5]
	v_cmp_eq_u32_e32 vcc, 0, v85
	s_waitcnt lgkmcnt(1)
	v_cndmask_b32_e32 v7, v1, v10, vcc
	s_waitcnt lgkmcnt(0)
	v_cndmask_b32_e32 v1, v24, v11, vcc
	v_mov_b32_e32 v8, 0
	v_cndmask_b32_e64 v1, v1, 0, s[0:1]
	v_cndmask_b32_e64 v10, v7, 0, s[0:1]
	s_barrier
	v_mov_b32_e32 v7, s6
	v_mov_b32_e32 v9, 0
.LBB857_133:
	v_add_u32_e32 v11, v10, v67
	v_add_u32_e32 v26, v1, v68
	;; [unrolled: 1-line block ×13, first 2 shown]
	s_waitcnt vmcnt(0) lgkmcnt(0)
	v_add_co_u32_e32 v2, vcc, v2, v8
	v_add_u32_e32 v68, v62, v74
	v_add_u32_e32 v64, v67, v64
	v_addc_co_u32_e32 v3, vcc, 0, v3, vcc
	v_add_u32_e32 v69, v68, v82
	v_add_u32_e32 v70, v64, v75
	v_sub_co_u32_e32 v24, vcc, v4, v6
	v_add_u32_e32 v71, v69, v76
	v_add_u32_e32 v65, v70, v65
	v_subbrev_co_u32_e32 v25, vcc, 0, v5, vcc
	v_lshlrev_b32_e32 v76, 1, v6
	v_sub_u32_e32 v1, v1, v9
	v_add_u32_e32 v73, v65, v77
	v_add_co_u32_e32 v24, vcc, v24, v9
	v_add_u32_e32 v77, v76, v7
	v_sub_u32_e32 v10, v10, v8
	v_add_u32_e32 v1, v1, v6
	v_addc_co_u32_e32 v25, vcc, 0, v25, vcc
	v_add_u32_e32 v36, v77, v36
	v_and_b32_e32 v38, 1, v38
	v_add_u32_e32 v77, v10, v1
	v_and_b32_e32 v37, 1, v37
	v_sub_u32_e32 v77, v36, v77
	v_cmp_eq_u32_e32 vcc, 1, v38
	v_cndmask_b32_e32 v1, v77, v1, vcc
	v_cmp_eq_u32_e32 vcc, 1, v37
	v_cndmask_b32_e32 v1, v1, v10, vcc
	v_lshlrev_b32_e32 v1, 2, v1
	ds_write_b32 v1, v22
	v_sub_u32_e32 v1, v11, v8
	v_sub_u32_e32 v11, v26, v9
	v_add_u32_e32 v11, v11, v6
	v_add_u32_e32 v26, v11, v1
	v_and_b32_e32 v22, 1, v40
	v_sub_u32_e32 v26, v36, v26
	v_and_b32_e32 v10, 1, v39
	v_add_u32_e32 v26, 1, v26
	v_cmp_eq_u32_e32 vcc, 1, v22
	v_cndmask_b32_e32 v11, v26, v11, vcc
	v_cmp_eq_u32_e32 vcc, 1, v10
	v_cndmask_b32_e32 v1, v11, v1, vcc
	v_lshlrev_b32_e32 v1, 2, v1
	v_sub_u32_e32 v11, v27, v9
	ds_write_b32 v1, v23
	v_sub_u32_e32 v1, v28, v8
	v_add_u32_e32 v11, v11, v6
	v_add_u32_e32 v23, v11, v1
	v_and_b32_e32 v22, 1, v42
	v_sub_u32_e32 v23, v36, v23
	v_and_b32_e32 v10, 1, v41
	v_add_u32_e32 v23, 2, v23
	v_cmp_eq_u32_e32 vcc, 1, v22
	v_cndmask_b32_e32 v11, v23, v11, vcc
	v_cmp_eq_u32_e32 vcc, 1, v10
	v_cndmask_b32_e32 v1, v11, v1, vcc
	v_lshlrev_b32_e32 v1, 2, v1
	v_sub_u32_e32 v11, v30, v9
	ds_write_b32 v1, v20
	;; [unrolled: 14-line block ×8, first 2 shown]
	v_sub_u32_e32 v1, v70, v8
	v_add_u32_e32 v11, v11, v6
	v_add_u32_e32 v16, v1, v11
	v_and_b32_e32 v14, 1, v55
	v_sub_u32_e32 v16, v36, v16
	v_and_b32_e32 v10, 1, v56
	v_add_u32_e32 v16, 9, v16
	v_cmp_eq_u32_e32 vcc, 1, v14
	v_cndmask_b32_e32 v11, v16, v11, vcc
	v_cmp_eq_u32_e32 vcc, 1, v10
	v_add_u32_e32 v72, v71, v83
	v_cndmask_b32_e32 v1, v11, v1, vcc
	v_lshlrev_b32_e32 v1, 2, v1
	v_sub_u32_e32 v11, v72, v9
	ds_write_b32 v1, v15
	v_sub_u32_e32 v1, v65, v8
	v_add_u32_e32 v11, v11, v6
	v_add_u32_e32 v15, v1, v11
	v_and_b32_e32 v14, 1, v57
	v_sub_u32_e32 v15, v36, v15
	v_and_b32_e32 v10, 1, v58
	v_add_u32_e32 v15, 10, v15
	v_cmp_eq_u32_e32 vcc, 1, v14
	v_cndmask_b32_e32 v11, v15, v11, vcc
	v_cmp_eq_u32_e32 vcc, 1, v10
	v_add_u32_e32 v74, v72, v78
	v_cndmask_b32_e32 v1, v11, v1, vcc
	v_lshlrev_b32_e32 v1, 2, v1
	v_sub_u32_e32 v11, v74, v9
	ds_write_b32 v1, v12
	v_sub_u32_e32 v1, v73, v8
	v_add_u32_e32 v11, v11, v6
	v_add_u32_e32 v14, v1, v11
	v_and_b32_e32 v12, 1, v59
	v_sub_u32_e32 v14, v36, v14
	v_and_b32_e32 v10, 1, v60
	v_add_u32_e32 v14, 11, v14
	v_cmp_eq_u32_e32 vcc, 1, v12
	v_cndmask_b32_e32 v11, v14, v11, vcc
	v_cmp_eq_u32_e32 vcc, 1, v10
	v_cndmask_b32_e32 v1, v11, v1, vcc
	v_add_u32_e32 v75, v74, v84
	v_add_u32_e32 v66, v73, v66
	v_lshlrev_b32_e32 v1, 2, v1
	ds_write_b32 v1, v13
	v_sub_u32_e32 v1, v66, v8
	v_sub_u32_e32 v8, v75, v9
	v_add_u32_e32 v8, v8, v6
	v_add_u32_e32 v10, v1, v8
	v_sub_u32_e32 v10, v36, v10
	v_add_u32_e32 v10, 12, v10
	v_cndmask_b32_e64 v8, v10, v8, s[54:55]
	v_cndmask_b32_e64 v1, v8, v1, s[52:53]
	v_lshlrev_b32_e32 v1, 2, v1
	ds_write_b32 v1, v35
	v_mov_b32_e32 v1, s49
	v_add_co_u32_e32 v8, vcc, s48, v34
	v_addc_co_u32_e32 v10, vcc, 0, v1, vcc
	v_add_co_u32_e32 v1, vcc, v7, v76
	v_addc_co_u32_e64 v11, s[4:5], 0, 0, vcc
	v_add_co_u32_e32 v1, vcc, v1, v24
	v_addc_co_u32_e32 v11, vcc, v11, v25, vcc
	v_add_co_u32_e32 v1, vcc, v1, v2
	v_addc_co_u32_e32 v11, vcc, v11, v3, vcc
	v_sub_co_u32_e32 v1, vcc, v8, v1
	v_subb_co_u32_e32 v8, vcc, v10, v11, vcc
	v_lshlrev_b64 v[10:11], 2, v[24:25]
	v_mov_b32_e32 v12, s47
	v_add_co_u32_e32 v10, vcc, s46, v10
	v_addc_co_u32_e32 v11, vcc, v12, v11, vcc
	v_lshlrev_b64 v[12:13], 2, v[2:3]
	v_mov_b32_e32 v15, s45
	v_add_co_u32_e32 v12, vcc, s44, v12
	s_add_u32 s8, s34, -4
	v_addc_co_u32_e32 v13, vcc, v15, v13, vcc
	s_addc_u32 s9, s35, -1
	v_add_u32_e32 v14, v6, v7
	s_and_b64 vcc, exec, s[2:3]
	s_mov_b64 s[2:3], -1
	s_waitcnt lgkmcnt(0)
	s_barrier
	s_cbranch_vccz .LBB857_137
; %bb.134:
	s_and_b64 vcc, exec, s[2:3]
	s_cbranch_vccnz .LBB857_242
.LBB857_135:
	s_and_b64 s[0:1], s[0:1], s[30:31]
	s_and_saveexec_b64 s[2:3], s[0:1]
	s_cbranch_execnz .LBB857_360
.LBB857_136:
	s_endpgm
.LBB857_137:
	v_cmp_le_u32_e32 vcc, v6, v0
	s_and_saveexec_b64 s[2:3], vcc
	s_xor_b64 s[2:3], exec, s[2:3]
	s_cbranch_execz .LBB857_143
; %bb.138:
	v_cmp_le_u32_e32 vcc, v14, v0
	s_and_saveexec_b64 s[4:5], vcc
	s_xor_b64 s[4:5], exec, s[4:5]
	s_cbranch_execz .LBB857_140
; %bb.139:
	v_lshlrev_b32_e32 v15, 2, v0
	v_add_co_u32_e32 v16, vcc, v1, v0
	ds_read_b32 v15, v15
	v_addc_co_u32_e32 v17, vcc, 0, v8, vcc
	v_lshlrev_b64 v[16:17], 2, v[16:17]
	v_mov_b32_e32 v18, s35
	v_sub_co_u32_e32 v16, vcc, s34, v16
	v_subb_co_u32_e32 v17, vcc, v18, v17, vcc
	s_waitcnt lgkmcnt(0)
	global_store_dword v[16:17], v15, off offset:-4
.LBB857_140:
	s_andn2_saveexec_b64 s[4:5], s[4:5]
	s_cbranch_execz .LBB857_142
; %bb.141:
	v_lshlrev_b32_e32 v15, 2, v0
	ds_read_b32 v16, v15
	v_readfirstlane_b32 s6, v10
	v_readfirstlane_b32 s7, v11
	s_waitcnt lgkmcnt(0)
	s_nop 3
	global_store_dword v15, v16, s[6:7]
.LBB857_142:
	s_or_b64 exec, exec, s[4:5]
.LBB857_143:
	s_andn2_saveexec_b64 s[2:3], s[2:3]
	s_cbranch_execz .LBB857_145
; %bb.144:
	v_lshlrev_b32_e32 v15, 2, v0
	ds_read_b32 v16, v15
	v_readfirstlane_b32 s4, v12
	v_readfirstlane_b32 s5, v13
	s_waitcnt lgkmcnt(0)
	s_nop 3
	global_store_dword v15, v16, s[4:5]
.LBB857_145:
	s_or_b64 exec, exec, s[2:3]
	v_or_b32_e32 v15, 0x100, v0
	v_cmp_le_u32_e32 vcc, v6, v15
	s_and_saveexec_b64 s[2:3], vcc
	s_xor_b64 s[2:3], exec, s[2:3]
	s_cbranch_execz .LBB857_151
; %bb.146:
	v_cmp_le_u32_e32 vcc, v14, v15
	s_and_saveexec_b64 s[4:5], vcc
	s_xor_b64 s[4:5], exec, s[4:5]
	s_cbranch_execz .LBB857_148
; %bb.147:
	v_lshlrev_b32_e32 v15, 2, v0
	ds_read_b32 v15, v15 offset:1024
	v_add_co_u32_e32 v16, vcc, v1, v0
	v_addc_co_u32_e32 v17, vcc, 0, v8, vcc
	v_lshlrev_b64 v[16:17], 2, v[16:17]
	v_mov_b32_e32 v18, s9
	v_sub_co_u32_e32 v16, vcc, s8, v16
	v_subb_co_u32_e32 v17, vcc, v18, v17, vcc
	s_waitcnt lgkmcnt(0)
	global_store_dword v[16:17], v15, off offset:-1024
.LBB857_148:
	s_andn2_saveexec_b64 s[4:5], s[4:5]
	s_cbranch_execz .LBB857_150
; %bb.149:
	v_lshlrev_b32_e32 v15, 2, v0
	ds_read_b32 v16, v15 offset:1024
	v_readfirstlane_b32 s6, v10
	v_readfirstlane_b32 s7, v11
	s_waitcnt lgkmcnt(0)
	s_nop 3
	global_store_dword v15, v16, s[6:7] offset:1024
.LBB857_150:
	s_or_b64 exec, exec, s[4:5]
.LBB857_151:
	s_andn2_saveexec_b64 s[2:3], s[2:3]
	s_cbranch_execz .LBB857_153
; %bb.152:
	v_lshlrev_b32_e32 v15, 2, v0
	ds_read_b32 v16, v15 offset:1024
	v_readfirstlane_b32 s4, v12
	v_readfirstlane_b32 s5, v13
	s_waitcnt lgkmcnt(0)
	s_nop 3
	global_store_dword v15, v16, s[4:5] offset:1024
.LBB857_153:
	s_or_b64 exec, exec, s[2:3]
	v_or_b32_e32 v15, 0x200, v0
	v_cmp_le_u32_e32 vcc, v6, v15
	s_and_saveexec_b64 s[2:3], vcc
	s_xor_b64 s[2:3], exec, s[2:3]
	s_cbranch_execz .LBB857_159
; %bb.154:
	v_cmp_le_u32_e32 vcc, v14, v15
	s_and_saveexec_b64 s[4:5], vcc
	s_xor_b64 s[4:5], exec, s[4:5]
	s_cbranch_execz .LBB857_156
; %bb.155:
	v_lshlrev_b32_e32 v15, 2, v0
	ds_read_b32 v15, v15 offset:2048
	v_add_co_u32_e32 v16, vcc, v1, v0
	v_addc_co_u32_e32 v17, vcc, 0, v8, vcc
	v_lshlrev_b64 v[16:17], 2, v[16:17]
	v_mov_b32_e32 v18, s9
	v_sub_co_u32_e32 v16, vcc, s8, v16
	v_subb_co_u32_e32 v17, vcc, v18, v17, vcc
	s_waitcnt lgkmcnt(0)
	global_store_dword v[16:17], v15, off offset:-2048
.LBB857_156:
	s_andn2_saveexec_b64 s[4:5], s[4:5]
	s_cbranch_execz .LBB857_158
; %bb.157:
	v_lshlrev_b32_e32 v15, 2, v0
	ds_read_b32 v16, v15 offset:2048
	v_readfirstlane_b32 s6, v10
	v_readfirstlane_b32 s7, v11
	s_waitcnt lgkmcnt(0)
	s_nop 3
	global_store_dword v15, v16, s[6:7] offset:2048
.LBB857_158:
	s_or_b64 exec, exec, s[4:5]
.LBB857_159:
	s_andn2_saveexec_b64 s[2:3], s[2:3]
	s_cbranch_execz .LBB857_161
; %bb.160:
	v_lshlrev_b32_e32 v15, 2, v0
	ds_read_b32 v16, v15 offset:2048
	v_readfirstlane_b32 s4, v12
	v_readfirstlane_b32 s5, v13
	s_waitcnt lgkmcnt(0)
	s_nop 3
	global_store_dword v15, v16, s[4:5] offset:2048
.LBB857_161:
	;; [unrolled: 47-line block ×3, first 2 shown]
	s_or_b64 exec, exec, s[2:3]
	v_or_b32_e32 v15, 0x400, v0
	v_cmp_le_u32_e32 vcc, v6, v15
	s_and_saveexec_b64 s[2:3], vcc
	s_xor_b64 s[2:3], exec, s[2:3]
	s_cbranch_execz .LBB857_175
; %bb.170:
	v_cmp_le_u32_e32 vcc, v14, v15
	s_and_saveexec_b64 s[4:5], vcc
	s_xor_b64 s[4:5], exec, s[4:5]
	s_cbranch_execz .LBB857_172
; %bb.171:
	v_lshlrev_b32_e32 v15, 2, v0
	ds_read_b32 v15, v15 offset:4096
	v_add_co_u32_e32 v16, vcc, v1, v0
	v_addc_co_u32_e32 v17, vcc, 0, v8, vcc
	v_lshlrev_b64 v[16:17], 2, v[16:17]
	v_mov_b32_e32 v18, s9
	v_sub_co_u32_e32 v16, vcc, s8, v16
	v_subb_co_u32_e32 v17, vcc, v18, v17, vcc
	s_waitcnt lgkmcnt(0)
	global_store_dword v[16:17], v15, off offset:-4096
                                        ; implicit-def: $vgpr15
.LBB857_172:
	s_andn2_saveexec_b64 s[4:5], s[4:5]
	s_cbranch_execz .LBB857_174
; %bb.173:
	v_lshlrev_b32_e32 v16, 2, v0
	ds_read_b32 v16, v16 offset:4096
	v_lshlrev_b32_e32 v15, 2, v15
	v_readfirstlane_b32 s6, v10
	v_readfirstlane_b32 s7, v11
	s_waitcnt lgkmcnt(0)
	s_nop 3
	global_store_dword v15, v16, s[6:7]
.LBB857_174:
	s_or_b64 exec, exec, s[4:5]
                                        ; implicit-def: $vgpr15
.LBB857_175:
	s_andn2_saveexec_b64 s[2:3], s[2:3]
	s_cbranch_execz .LBB857_177
; %bb.176:
	v_lshlrev_b32_e32 v16, 2, v0
	ds_read_b32 v16, v16 offset:4096
	v_lshlrev_b32_e32 v15, 2, v15
	v_readfirstlane_b32 s4, v12
	v_readfirstlane_b32 s5, v13
	s_waitcnt lgkmcnt(0)
	s_nop 3
	global_store_dword v15, v16, s[4:5]
.LBB857_177:
	s_or_b64 exec, exec, s[2:3]
	v_or_b32_e32 v15, 0x500, v0
	v_cmp_le_u32_e32 vcc, v6, v15
	s_and_saveexec_b64 s[2:3], vcc
	s_xor_b64 s[2:3], exec, s[2:3]
	s_cbranch_execz .LBB857_183
; %bb.178:
	v_cmp_le_u32_e32 vcc, v14, v15
	s_and_saveexec_b64 s[4:5], vcc
	s_xor_b64 s[4:5], exec, s[4:5]
	s_cbranch_execz .LBB857_180
; %bb.179:
	v_add_co_u32_e32 v16, vcc, v1, v15
	v_lshlrev_b32_e32 v15, 2, v0
	ds_read_b32 v15, v15 offset:5120
	v_addc_co_u32_e32 v17, vcc, 0, v8, vcc
	v_lshlrev_b64 v[16:17], 2, v[16:17]
	v_mov_b32_e32 v18, s9
	v_sub_co_u32_e32 v16, vcc, s8, v16
	v_subb_co_u32_e32 v17, vcc, v18, v17, vcc
	s_waitcnt lgkmcnt(0)
	global_store_dword v[16:17], v15, off
                                        ; implicit-def: $vgpr15
.LBB857_180:
	s_andn2_saveexec_b64 s[4:5], s[4:5]
	s_cbranch_execz .LBB857_182
; %bb.181:
	v_lshlrev_b32_e32 v16, 2, v0
	ds_read_b32 v16, v16 offset:5120
	v_lshlrev_b32_e32 v15, 2, v15
	v_readfirstlane_b32 s6, v10
	v_readfirstlane_b32 s7, v11
	s_waitcnt lgkmcnt(0)
	s_nop 3
	global_store_dword v15, v16, s[6:7]
.LBB857_182:
	s_or_b64 exec, exec, s[4:5]
                                        ; implicit-def: $vgpr15
.LBB857_183:
	s_andn2_saveexec_b64 s[2:3], s[2:3]
	s_cbranch_execz .LBB857_185
; %bb.184:
	v_lshlrev_b32_e32 v16, 2, v0
	ds_read_b32 v16, v16 offset:5120
	v_lshlrev_b32_e32 v15, 2, v15
	v_readfirstlane_b32 s4, v12
	v_readfirstlane_b32 s5, v13
	s_waitcnt lgkmcnt(0)
	s_nop 3
	global_store_dword v15, v16, s[4:5]
.LBB857_185:
	s_or_b64 exec, exec, s[2:3]
	v_or_b32_e32 v15, 0x600, v0
	v_cmp_le_u32_e32 vcc, v6, v15
	s_and_saveexec_b64 s[2:3], vcc
	s_xor_b64 s[2:3], exec, s[2:3]
	s_cbranch_execz .LBB857_191
; %bb.186:
	v_cmp_le_u32_e32 vcc, v14, v15
	s_and_saveexec_b64 s[4:5], vcc
	s_xor_b64 s[4:5], exec, s[4:5]
	s_cbranch_execz .LBB857_188
; %bb.187:
	v_add_co_u32_e32 v16, vcc, v1, v15
	v_lshlrev_b32_e32 v15, 2, v0
	ds_read_b32 v15, v15 offset:6144
	v_addc_co_u32_e32 v17, vcc, 0, v8, vcc
	v_lshlrev_b64 v[16:17], 2, v[16:17]
	v_mov_b32_e32 v18, s9
	v_sub_co_u32_e32 v16, vcc, s8, v16
	v_subb_co_u32_e32 v17, vcc, v18, v17, vcc
	s_waitcnt lgkmcnt(0)
	global_store_dword v[16:17], v15, off
                                        ; implicit-def: $vgpr15
.LBB857_188:
	s_andn2_saveexec_b64 s[4:5], s[4:5]
	s_cbranch_execz .LBB857_190
; %bb.189:
	v_lshlrev_b32_e32 v16, 2, v0
	ds_read_b32 v16, v16 offset:6144
	v_lshlrev_b32_e32 v15, 2, v15
	v_readfirstlane_b32 s6, v10
	v_readfirstlane_b32 s7, v11
	s_waitcnt lgkmcnt(0)
	s_nop 3
	global_store_dword v15, v16, s[6:7]
.LBB857_190:
	s_or_b64 exec, exec, s[4:5]
                                        ; implicit-def: $vgpr15
.LBB857_191:
	;; [unrolled: 51-line block ×8, first 2 shown]
	s_andn2_saveexec_b64 s[2:3], s[2:3]
	s_cbranch_execz .LBB857_241
; %bb.240:
	v_lshlrev_b32_e32 v16, 2, v0
	ds_read_b32 v16, v16 offset:12288
	v_lshlrev_b32_e32 v15, 2, v15
	v_readfirstlane_b32 s4, v12
	v_readfirstlane_b32 s5, v13
	s_waitcnt lgkmcnt(0)
	s_nop 3
	global_store_dword v15, v16, s[4:5]
.LBB857_241:
	s_or_b64 exec, exec, s[2:3]
	s_branch .LBB857_135
.LBB857_242:
	v_cmp_gt_u32_e32 vcc, s16, v0
	s_and_saveexec_b64 s[2:3], vcc
	s_cbranch_execz .LBB857_251
; %bb.243:
	v_cmp_le_u32_e32 vcc, v6, v0
	s_and_saveexec_b64 s[4:5], vcc
	s_xor_b64 s[4:5], exec, s[4:5]
	s_cbranch_execz .LBB857_249
; %bb.244:
	v_cmp_le_u32_e32 vcc, v14, v0
	s_and_saveexec_b64 s[6:7], vcc
	s_xor_b64 s[6:7], exec, s[6:7]
	s_cbranch_execz .LBB857_246
; %bb.245:
	v_lshlrev_b32_e32 v15, 2, v0
	v_add_co_u32_e32 v16, vcc, v1, v0
	ds_read_b32 v15, v15
	v_addc_co_u32_e32 v17, vcc, 0, v8, vcc
	v_lshlrev_b64 v[16:17], 2, v[16:17]
	v_mov_b32_e32 v18, s35
	v_sub_co_u32_e32 v16, vcc, s34, v16
	v_subb_co_u32_e32 v17, vcc, v18, v17, vcc
	s_waitcnt lgkmcnt(0)
	global_store_dword v[16:17], v15, off offset:-4
.LBB857_246:
	s_andn2_saveexec_b64 s[6:7], s[6:7]
	s_cbranch_execz .LBB857_248
; %bb.247:
	v_lshlrev_b32_e32 v15, 2, v0
	ds_read_b32 v16, v15
	v_readfirstlane_b32 s10, v10
	v_readfirstlane_b32 s11, v11
	s_waitcnt lgkmcnt(0)
	s_nop 3
	global_store_dword v15, v16, s[10:11]
.LBB857_248:
	s_or_b64 exec, exec, s[6:7]
.LBB857_249:
	s_andn2_saveexec_b64 s[4:5], s[4:5]
	s_cbranch_execz .LBB857_251
; %bb.250:
	v_lshlrev_b32_e32 v15, 2, v0
	ds_read_b32 v16, v15
	v_readfirstlane_b32 s4, v12
	v_readfirstlane_b32 s5, v13
	s_waitcnt lgkmcnt(0)
	s_nop 3
	global_store_dword v15, v16, s[4:5]
.LBB857_251:
	s_or_b64 exec, exec, s[2:3]
	v_or_b32_e32 v15, 0x100, v0
	v_cmp_gt_u32_e32 vcc, s16, v15
	s_and_saveexec_b64 s[2:3], vcc
	s_cbranch_execz .LBB857_260
; %bb.252:
	v_cmp_le_u32_e32 vcc, v6, v15
	s_and_saveexec_b64 s[4:5], vcc
	s_xor_b64 s[4:5], exec, s[4:5]
	s_cbranch_execz .LBB857_258
; %bb.253:
	v_cmp_le_u32_e32 vcc, v14, v15
	s_and_saveexec_b64 s[6:7], vcc
	s_xor_b64 s[6:7], exec, s[6:7]
	s_cbranch_execz .LBB857_255
; %bb.254:
	v_lshlrev_b32_e32 v15, 2, v0
	ds_read_b32 v15, v15 offset:1024
	v_add_co_u32_e32 v16, vcc, v1, v0
	v_addc_co_u32_e32 v17, vcc, 0, v8, vcc
	v_lshlrev_b64 v[16:17], 2, v[16:17]
	v_mov_b32_e32 v18, s9
	v_sub_co_u32_e32 v16, vcc, s8, v16
	v_subb_co_u32_e32 v17, vcc, v18, v17, vcc
	s_waitcnt lgkmcnt(0)
	global_store_dword v[16:17], v15, off offset:-1024
.LBB857_255:
	s_andn2_saveexec_b64 s[6:7], s[6:7]
	s_cbranch_execz .LBB857_257
; %bb.256:
	v_lshlrev_b32_e32 v15, 2, v0
	ds_read_b32 v16, v15 offset:1024
	v_readfirstlane_b32 s10, v10
	v_readfirstlane_b32 s11, v11
	s_waitcnt lgkmcnt(0)
	s_nop 3
	global_store_dword v15, v16, s[10:11] offset:1024
.LBB857_257:
	s_or_b64 exec, exec, s[6:7]
.LBB857_258:
	s_andn2_saveexec_b64 s[4:5], s[4:5]
	s_cbranch_execz .LBB857_260
; %bb.259:
	v_lshlrev_b32_e32 v15, 2, v0
	ds_read_b32 v16, v15 offset:1024
	v_readfirstlane_b32 s4, v12
	v_readfirstlane_b32 s5, v13
	s_waitcnt lgkmcnt(0)
	s_nop 3
	global_store_dword v15, v16, s[4:5] offset:1024
.LBB857_260:
	s_or_b64 exec, exec, s[2:3]
	v_or_b32_e32 v15, 0x200, v0
	v_cmp_gt_u32_e32 vcc, s16, v15
	s_and_saveexec_b64 s[2:3], vcc
	s_cbranch_execz .LBB857_269
; %bb.261:
	v_cmp_le_u32_e32 vcc, v6, v15
	s_and_saveexec_b64 s[4:5], vcc
	s_xor_b64 s[4:5], exec, s[4:5]
	s_cbranch_execz .LBB857_267
; %bb.262:
	v_cmp_le_u32_e32 vcc, v14, v15
	s_and_saveexec_b64 s[6:7], vcc
	s_xor_b64 s[6:7], exec, s[6:7]
	s_cbranch_execz .LBB857_264
; %bb.263:
	v_lshlrev_b32_e32 v15, 2, v0
	ds_read_b32 v15, v15 offset:2048
	v_add_co_u32_e32 v16, vcc, v1, v0
	v_addc_co_u32_e32 v17, vcc, 0, v8, vcc
	v_lshlrev_b64 v[16:17], 2, v[16:17]
	v_mov_b32_e32 v18, s9
	v_sub_co_u32_e32 v16, vcc, s8, v16
	v_subb_co_u32_e32 v17, vcc, v18, v17, vcc
	s_waitcnt lgkmcnt(0)
	global_store_dword v[16:17], v15, off offset:-2048
.LBB857_264:
	s_andn2_saveexec_b64 s[6:7], s[6:7]
	s_cbranch_execz .LBB857_266
; %bb.265:
	v_lshlrev_b32_e32 v15, 2, v0
	ds_read_b32 v16, v15 offset:2048
	v_readfirstlane_b32 s10, v10
	v_readfirstlane_b32 s11, v11
	s_waitcnt lgkmcnt(0)
	s_nop 3
	global_store_dword v15, v16, s[10:11] offset:2048
.LBB857_266:
	s_or_b64 exec, exec, s[6:7]
.LBB857_267:
	s_andn2_saveexec_b64 s[4:5], s[4:5]
	s_cbranch_execz .LBB857_269
; %bb.268:
	v_lshlrev_b32_e32 v15, 2, v0
	ds_read_b32 v16, v15 offset:2048
	v_readfirstlane_b32 s4, v12
	v_readfirstlane_b32 s5, v13
	s_waitcnt lgkmcnt(0)
	s_nop 3
	global_store_dword v15, v16, s[4:5] offset:2048
.LBB857_269:
	;; [unrolled: 51-line block ×3, first 2 shown]
	s_or_b64 exec, exec, s[2:3]
	v_or_b32_e32 v15, 0x400, v0
	v_cmp_gt_u32_e32 vcc, s16, v15
	s_and_saveexec_b64 s[2:3], vcc
	s_cbranch_execz .LBB857_287
; %bb.279:
	v_cmp_le_u32_e32 vcc, v6, v15
	s_and_saveexec_b64 s[4:5], vcc
	s_xor_b64 s[4:5], exec, s[4:5]
	s_cbranch_execz .LBB857_285
; %bb.280:
	v_cmp_le_u32_e32 vcc, v14, v15
	s_and_saveexec_b64 s[6:7], vcc
	s_xor_b64 s[6:7], exec, s[6:7]
	s_cbranch_execz .LBB857_282
; %bb.281:
	v_lshlrev_b32_e32 v15, 2, v0
	ds_read_b32 v15, v15 offset:4096
	v_add_co_u32_e32 v16, vcc, v1, v0
	v_addc_co_u32_e32 v17, vcc, 0, v8, vcc
	v_lshlrev_b64 v[16:17], 2, v[16:17]
	v_mov_b32_e32 v18, s9
	v_sub_co_u32_e32 v16, vcc, s8, v16
	v_subb_co_u32_e32 v17, vcc, v18, v17, vcc
	s_waitcnt lgkmcnt(0)
	global_store_dword v[16:17], v15, off offset:-4096
                                        ; implicit-def: $vgpr15
.LBB857_282:
	s_andn2_saveexec_b64 s[6:7], s[6:7]
	s_cbranch_execz .LBB857_284
; %bb.283:
	v_lshlrev_b32_e32 v16, 2, v0
	ds_read_b32 v16, v16 offset:4096
	v_lshlrev_b32_e32 v15, 2, v15
	v_readfirstlane_b32 s10, v10
	v_readfirstlane_b32 s11, v11
	s_waitcnt lgkmcnt(0)
	s_nop 3
	global_store_dword v15, v16, s[10:11]
.LBB857_284:
	s_or_b64 exec, exec, s[6:7]
                                        ; implicit-def: $vgpr15
.LBB857_285:
	s_andn2_saveexec_b64 s[4:5], s[4:5]
	s_cbranch_execz .LBB857_287
; %bb.286:
	v_lshlrev_b32_e32 v16, 2, v0
	ds_read_b32 v16, v16 offset:4096
	v_lshlrev_b32_e32 v15, 2, v15
	v_readfirstlane_b32 s4, v12
	v_readfirstlane_b32 s5, v13
	s_waitcnt lgkmcnt(0)
	s_nop 3
	global_store_dword v15, v16, s[4:5]
.LBB857_287:
	s_or_b64 exec, exec, s[2:3]
	v_or_b32_e32 v15, 0x500, v0
	v_cmp_gt_u32_e32 vcc, s16, v15
	s_and_saveexec_b64 s[2:3], vcc
	s_cbranch_execz .LBB857_296
; %bb.288:
	v_cmp_le_u32_e32 vcc, v6, v15
	s_and_saveexec_b64 s[4:5], vcc
	s_xor_b64 s[4:5], exec, s[4:5]
	s_cbranch_execz .LBB857_294
; %bb.289:
	v_cmp_le_u32_e32 vcc, v14, v15
	s_and_saveexec_b64 s[6:7], vcc
	s_xor_b64 s[6:7], exec, s[6:7]
	s_cbranch_execz .LBB857_291
; %bb.290:
	v_add_co_u32_e32 v16, vcc, v1, v15
	v_lshlrev_b32_e32 v15, 2, v0
	ds_read_b32 v15, v15 offset:5120
	v_addc_co_u32_e32 v17, vcc, 0, v8, vcc
	v_lshlrev_b64 v[16:17], 2, v[16:17]
	v_mov_b32_e32 v18, s9
	v_sub_co_u32_e32 v16, vcc, s8, v16
	v_subb_co_u32_e32 v17, vcc, v18, v17, vcc
	s_waitcnt lgkmcnt(0)
	global_store_dword v[16:17], v15, off
                                        ; implicit-def: $vgpr15
.LBB857_291:
	s_andn2_saveexec_b64 s[6:7], s[6:7]
	s_cbranch_execz .LBB857_293
; %bb.292:
	v_lshlrev_b32_e32 v16, 2, v0
	ds_read_b32 v16, v16 offset:5120
	v_lshlrev_b32_e32 v15, 2, v15
	v_readfirstlane_b32 s10, v10
	v_readfirstlane_b32 s11, v11
	s_waitcnt lgkmcnt(0)
	s_nop 3
	global_store_dword v15, v16, s[10:11]
.LBB857_293:
	s_or_b64 exec, exec, s[6:7]
                                        ; implicit-def: $vgpr15
.LBB857_294:
	s_andn2_saveexec_b64 s[4:5], s[4:5]
	s_cbranch_execz .LBB857_296
; %bb.295:
	v_lshlrev_b32_e32 v16, 2, v0
	ds_read_b32 v16, v16 offset:5120
	v_lshlrev_b32_e32 v15, 2, v15
	v_readfirstlane_b32 s4, v12
	v_readfirstlane_b32 s5, v13
	s_waitcnt lgkmcnt(0)
	s_nop 3
	global_store_dword v15, v16, s[4:5]
.LBB857_296:
	s_or_b64 exec, exec, s[2:3]
	v_or_b32_e32 v15, 0x600, v0
	v_cmp_gt_u32_e32 vcc, s16, v15
	s_and_saveexec_b64 s[2:3], vcc
	s_cbranch_execz .LBB857_305
; %bb.297:
	v_cmp_le_u32_e32 vcc, v6, v15
	s_and_saveexec_b64 s[4:5], vcc
	s_xor_b64 s[4:5], exec, s[4:5]
	s_cbranch_execz .LBB857_303
; %bb.298:
	v_cmp_le_u32_e32 vcc, v14, v15
	s_and_saveexec_b64 s[6:7], vcc
	s_xor_b64 s[6:7], exec, s[6:7]
	s_cbranch_execz .LBB857_300
; %bb.299:
	v_add_co_u32_e32 v16, vcc, v1, v15
	v_lshlrev_b32_e32 v15, 2, v0
	ds_read_b32 v15, v15 offset:6144
	v_addc_co_u32_e32 v17, vcc, 0, v8, vcc
	v_lshlrev_b64 v[16:17], 2, v[16:17]
	v_mov_b32_e32 v18, s9
	v_sub_co_u32_e32 v16, vcc, s8, v16
	v_subb_co_u32_e32 v17, vcc, v18, v17, vcc
	s_waitcnt lgkmcnt(0)
	global_store_dword v[16:17], v15, off
                                        ; implicit-def: $vgpr15
.LBB857_300:
	s_andn2_saveexec_b64 s[6:7], s[6:7]
	s_cbranch_execz .LBB857_302
; %bb.301:
	v_lshlrev_b32_e32 v16, 2, v0
	ds_read_b32 v16, v16 offset:6144
	v_lshlrev_b32_e32 v15, 2, v15
	v_readfirstlane_b32 s10, v10
	v_readfirstlane_b32 s11, v11
	s_waitcnt lgkmcnt(0)
	s_nop 3
	global_store_dword v15, v16, s[10:11]
.LBB857_302:
	s_or_b64 exec, exec, s[6:7]
                                        ; implicit-def: $vgpr15
.LBB857_303:
	s_andn2_saveexec_b64 s[4:5], s[4:5]
	s_cbranch_execz .LBB857_305
; %bb.304:
	v_lshlrev_b32_e32 v16, 2, v0
	ds_read_b32 v16, v16 offset:6144
	v_lshlrev_b32_e32 v15, 2, v15
	v_readfirstlane_b32 s4, v12
	v_readfirstlane_b32 s5, v13
	s_waitcnt lgkmcnt(0)
	s_nop 3
	global_store_dword v15, v16, s[4:5]
.LBB857_305:
	;; [unrolled: 55-line block ×7, first 2 shown]
	s_or_b64 exec, exec, s[2:3]
	v_or_b32_e32 v15, 0xc00, v0
	v_cmp_gt_u32_e32 vcc, s16, v15
	s_and_saveexec_b64 s[2:3], vcc
	s_cbranch_execz .LBB857_359
; %bb.351:
	v_cmp_le_u32_e32 vcc, v6, v15
	s_and_saveexec_b64 s[4:5], vcc
	s_xor_b64 s[4:5], exec, s[4:5]
	s_cbranch_execz .LBB857_357
; %bb.352:
	v_cmp_le_u32_e32 vcc, v14, v15
	s_and_saveexec_b64 s[6:7], vcc
	s_xor_b64 s[6:7], exec, s[6:7]
	s_cbranch_execz .LBB857_354
; %bb.353:
	v_add_co_u32_e32 v10, vcc, v1, v15
	v_lshlrev_b32_e32 v0, 2, v0
	v_addc_co_u32_e32 v11, vcc, 0, v8, vcc
	ds_read_b32 v8, v0 offset:12288
	v_lshlrev_b64 v[0:1], 2, v[10:11]
	v_mov_b32_e32 v10, s9
	v_sub_co_u32_e32 v0, vcc, s8, v0
	v_subb_co_u32_e32 v1, vcc, v10, v1, vcc
	s_waitcnt lgkmcnt(0)
	global_store_dword v[0:1], v8, off
                                        ; implicit-def: $vgpr0
                                        ; implicit-def: $vgpr15
                                        ; implicit-def: $vgpr10_vgpr11
.LBB857_354:
	s_andn2_saveexec_b64 s[6:7], s[6:7]
	s_cbranch_execz .LBB857_356
; %bb.355:
	v_lshlrev_b32_e32 v0, 2, v0
	ds_read_b32 v0, v0 offset:12288
	v_lshlrev_b32_e32 v1, 2, v15
	v_readfirstlane_b32 s8, v10
	v_readfirstlane_b32 s9, v11
	s_waitcnt lgkmcnt(0)
	s_nop 3
	global_store_dword v1, v0, s[8:9]
.LBB857_356:
	s_or_b64 exec, exec, s[6:7]
                                        ; implicit-def: $vgpr0
                                        ; implicit-def: $vgpr15
                                        ; implicit-def: $vgpr12_vgpr13
.LBB857_357:
	s_andn2_saveexec_b64 s[4:5], s[4:5]
	s_cbranch_execz .LBB857_359
; %bb.358:
	v_lshlrev_b32_e32 v0, 2, v0
	ds_read_b32 v0, v0 offset:12288
	v_lshlrev_b32_e32 v1, 2, v15
	v_readfirstlane_b32 s4, v12
	v_readfirstlane_b32 s5, v13
	s_waitcnt lgkmcnt(0)
	s_nop 3
	global_store_dword v1, v0, s[4:5]
.LBB857_359:
	s_or_b64 exec, exec, s[2:3]
	s_and_b64 s[0:1], s[0:1], s[30:31]
	s_and_saveexec_b64 s[2:3], s[0:1]
	s_cbranch_execz .LBB857_136
.LBB857_360:
	v_add_co_u32_e32 v0, vcc, v2, v6
	v_addc_co_u32_e32 v1, vcc, 0, v3, vcc
	v_add_co_u32_e32 v2, vcc, v4, v7
	v_addc_co_u32_e32 v3, vcc, 0, v5, vcc
	v_add_co_u32_e32 v2, vcc, v2, v9
	v_mov_b32_e32 v8, 0
	v_addc_co_u32_e32 v3, vcc, 0, v3, vcc
	global_store_dwordx4 v8, v[0:3], s[28:29]
	s_endpgm
	.section	.rodata,"a",@progbits
	.p2align	6, 0x0
	.amdhsa_kernel _ZN7rocprim17ROCPRIM_400000_NS6detail17trampoline_kernelINS0_13select_configILj256ELj13ELNS0_17block_load_methodE3ELS4_3ELS4_3ELNS0_20block_scan_algorithmE0ELj4294967295EEENS1_25partition_config_selectorILNS1_17partition_subalgoE4EjNS0_10empty_typeEbEEZZNS1_14partition_implILS8_4ELb0ES6_15HIP_vector_typeIjLj2EENS0_17counting_iteratorIjlEEPS9_SG_NS0_5tupleIJPjSI_NS0_16reverse_iteratorISI_EEEEENSH_IJSG_SG_SG_EEES9_SI_JZNS1_25segmented_radix_sort_implINS0_14default_configELb1EPKsPsPKlPlN2at6native12_GLOBAL__N_18offset_tEEE10hipError_tPvRmT1_PNSt15iterator_traitsIS12_E10value_typeET2_T3_PNS13_IS18_E10value_typeET4_jRbjT5_S1E_jjP12ihipStream_tbEUljE_ZNSN_ISO_Lb1ESQ_SR_ST_SU_SY_EESZ_S10_S11_S12_S16_S17_S18_S1B_S1C_jS1D_jS1E_S1E_jjS1G_bEUljE0_EEESZ_S10_S11_S18_S1C_S1E_T6_T7_T9_mT8_S1G_bDpT10_ENKUlT_T0_E_clISt17integral_constantIbLb1EES1U_EEDaS1P_S1Q_EUlS1P_E_NS1_11comp_targetILNS1_3genE4ELNS1_11target_archE910ELNS1_3gpuE8ELNS1_3repE0EEENS1_30default_config_static_selectorELNS0_4arch9wavefront6targetE1EEEvS12_
		.amdhsa_group_segment_fixed_size 13340
		.amdhsa_private_segment_fixed_size 0
		.amdhsa_kernarg_size 184
		.amdhsa_user_sgpr_count 6
		.amdhsa_user_sgpr_private_segment_buffer 1
		.amdhsa_user_sgpr_dispatch_ptr 0
		.amdhsa_user_sgpr_queue_ptr 0
		.amdhsa_user_sgpr_kernarg_segment_ptr 1
		.amdhsa_user_sgpr_dispatch_id 0
		.amdhsa_user_sgpr_flat_scratch_init 0
		.amdhsa_user_sgpr_kernarg_preload_length 0
		.amdhsa_user_sgpr_kernarg_preload_offset 0
		.amdhsa_user_sgpr_private_segment_size 0
		.amdhsa_uses_dynamic_stack 0
		.amdhsa_system_sgpr_private_segment_wavefront_offset 0
		.amdhsa_system_sgpr_workgroup_id_x 1
		.amdhsa_system_sgpr_workgroup_id_y 0
		.amdhsa_system_sgpr_workgroup_id_z 0
		.amdhsa_system_sgpr_workgroup_info 0
		.amdhsa_system_vgpr_workitem_id 0
		.amdhsa_next_free_vgpr 107
		.amdhsa_next_free_sgpr 87
		.amdhsa_accum_offset 108
		.amdhsa_reserve_vcc 1
		.amdhsa_reserve_flat_scratch 0
		.amdhsa_float_round_mode_32 0
		.amdhsa_float_round_mode_16_64 0
		.amdhsa_float_denorm_mode_32 3
		.amdhsa_float_denorm_mode_16_64 3
		.amdhsa_dx10_clamp 1
		.amdhsa_ieee_mode 1
		.amdhsa_fp16_overflow 0
		.amdhsa_tg_split 0
		.amdhsa_exception_fp_ieee_invalid_op 0
		.amdhsa_exception_fp_denorm_src 0
		.amdhsa_exception_fp_ieee_div_zero 0
		.amdhsa_exception_fp_ieee_overflow 0
		.amdhsa_exception_fp_ieee_underflow 0
		.amdhsa_exception_fp_ieee_inexact 0
		.amdhsa_exception_int_div_zero 0
	.end_amdhsa_kernel
	.section	.text._ZN7rocprim17ROCPRIM_400000_NS6detail17trampoline_kernelINS0_13select_configILj256ELj13ELNS0_17block_load_methodE3ELS4_3ELS4_3ELNS0_20block_scan_algorithmE0ELj4294967295EEENS1_25partition_config_selectorILNS1_17partition_subalgoE4EjNS0_10empty_typeEbEEZZNS1_14partition_implILS8_4ELb0ES6_15HIP_vector_typeIjLj2EENS0_17counting_iteratorIjlEEPS9_SG_NS0_5tupleIJPjSI_NS0_16reverse_iteratorISI_EEEEENSH_IJSG_SG_SG_EEES9_SI_JZNS1_25segmented_radix_sort_implINS0_14default_configELb1EPKsPsPKlPlN2at6native12_GLOBAL__N_18offset_tEEE10hipError_tPvRmT1_PNSt15iterator_traitsIS12_E10value_typeET2_T3_PNS13_IS18_E10value_typeET4_jRbjT5_S1E_jjP12ihipStream_tbEUljE_ZNSN_ISO_Lb1ESQ_SR_ST_SU_SY_EESZ_S10_S11_S12_S16_S17_S18_S1B_S1C_jS1D_jS1E_S1E_jjS1G_bEUljE0_EEESZ_S10_S11_S18_S1C_S1E_T6_T7_T9_mT8_S1G_bDpT10_ENKUlT_T0_E_clISt17integral_constantIbLb1EES1U_EEDaS1P_S1Q_EUlS1P_E_NS1_11comp_targetILNS1_3genE4ELNS1_11target_archE910ELNS1_3gpuE8ELNS1_3repE0EEENS1_30default_config_static_selectorELNS0_4arch9wavefront6targetE1EEEvS12_,"axG",@progbits,_ZN7rocprim17ROCPRIM_400000_NS6detail17trampoline_kernelINS0_13select_configILj256ELj13ELNS0_17block_load_methodE3ELS4_3ELS4_3ELNS0_20block_scan_algorithmE0ELj4294967295EEENS1_25partition_config_selectorILNS1_17partition_subalgoE4EjNS0_10empty_typeEbEEZZNS1_14partition_implILS8_4ELb0ES6_15HIP_vector_typeIjLj2EENS0_17counting_iteratorIjlEEPS9_SG_NS0_5tupleIJPjSI_NS0_16reverse_iteratorISI_EEEEENSH_IJSG_SG_SG_EEES9_SI_JZNS1_25segmented_radix_sort_implINS0_14default_configELb1EPKsPsPKlPlN2at6native12_GLOBAL__N_18offset_tEEE10hipError_tPvRmT1_PNSt15iterator_traitsIS12_E10value_typeET2_T3_PNS13_IS18_E10value_typeET4_jRbjT5_S1E_jjP12ihipStream_tbEUljE_ZNSN_ISO_Lb1ESQ_SR_ST_SU_SY_EESZ_S10_S11_S12_S16_S17_S18_S1B_S1C_jS1D_jS1E_S1E_jjS1G_bEUljE0_EEESZ_S10_S11_S18_S1C_S1E_T6_T7_T9_mT8_S1G_bDpT10_ENKUlT_T0_E_clISt17integral_constantIbLb1EES1U_EEDaS1P_S1Q_EUlS1P_E_NS1_11comp_targetILNS1_3genE4ELNS1_11target_archE910ELNS1_3gpuE8ELNS1_3repE0EEENS1_30default_config_static_selectorELNS0_4arch9wavefront6targetE1EEEvS12_,comdat
.Lfunc_end857:
	.size	_ZN7rocprim17ROCPRIM_400000_NS6detail17trampoline_kernelINS0_13select_configILj256ELj13ELNS0_17block_load_methodE3ELS4_3ELS4_3ELNS0_20block_scan_algorithmE0ELj4294967295EEENS1_25partition_config_selectorILNS1_17partition_subalgoE4EjNS0_10empty_typeEbEEZZNS1_14partition_implILS8_4ELb0ES6_15HIP_vector_typeIjLj2EENS0_17counting_iteratorIjlEEPS9_SG_NS0_5tupleIJPjSI_NS0_16reverse_iteratorISI_EEEEENSH_IJSG_SG_SG_EEES9_SI_JZNS1_25segmented_radix_sort_implINS0_14default_configELb1EPKsPsPKlPlN2at6native12_GLOBAL__N_18offset_tEEE10hipError_tPvRmT1_PNSt15iterator_traitsIS12_E10value_typeET2_T3_PNS13_IS18_E10value_typeET4_jRbjT5_S1E_jjP12ihipStream_tbEUljE_ZNSN_ISO_Lb1ESQ_SR_ST_SU_SY_EESZ_S10_S11_S12_S16_S17_S18_S1B_S1C_jS1D_jS1E_S1E_jjS1G_bEUljE0_EEESZ_S10_S11_S18_S1C_S1E_T6_T7_T9_mT8_S1G_bDpT10_ENKUlT_T0_E_clISt17integral_constantIbLb1EES1U_EEDaS1P_S1Q_EUlS1P_E_NS1_11comp_targetILNS1_3genE4ELNS1_11target_archE910ELNS1_3gpuE8ELNS1_3repE0EEENS1_30default_config_static_selectorELNS0_4arch9wavefront6targetE1EEEvS12_, .Lfunc_end857-_ZN7rocprim17ROCPRIM_400000_NS6detail17trampoline_kernelINS0_13select_configILj256ELj13ELNS0_17block_load_methodE3ELS4_3ELS4_3ELNS0_20block_scan_algorithmE0ELj4294967295EEENS1_25partition_config_selectorILNS1_17partition_subalgoE4EjNS0_10empty_typeEbEEZZNS1_14partition_implILS8_4ELb0ES6_15HIP_vector_typeIjLj2EENS0_17counting_iteratorIjlEEPS9_SG_NS0_5tupleIJPjSI_NS0_16reverse_iteratorISI_EEEEENSH_IJSG_SG_SG_EEES9_SI_JZNS1_25segmented_radix_sort_implINS0_14default_configELb1EPKsPsPKlPlN2at6native12_GLOBAL__N_18offset_tEEE10hipError_tPvRmT1_PNSt15iterator_traitsIS12_E10value_typeET2_T3_PNS13_IS18_E10value_typeET4_jRbjT5_S1E_jjP12ihipStream_tbEUljE_ZNSN_ISO_Lb1ESQ_SR_ST_SU_SY_EESZ_S10_S11_S12_S16_S17_S18_S1B_S1C_jS1D_jS1E_S1E_jjS1G_bEUljE0_EEESZ_S10_S11_S18_S1C_S1E_T6_T7_T9_mT8_S1G_bDpT10_ENKUlT_T0_E_clISt17integral_constantIbLb1EES1U_EEDaS1P_S1Q_EUlS1P_E_NS1_11comp_targetILNS1_3genE4ELNS1_11target_archE910ELNS1_3gpuE8ELNS1_3repE0EEENS1_30default_config_static_selectorELNS0_4arch9wavefront6targetE1EEEvS12_
                                        ; -- End function
	.section	.AMDGPU.csdata,"",@progbits
; Kernel info:
; codeLenInByte = 13512
; NumSgprs: 91
; NumVgprs: 107
; NumAgprs: 0
; TotalNumVgprs: 107
; ScratchSize: 0
; MemoryBound: 0
; FloatMode: 240
; IeeeMode: 1
; LDSByteSize: 13340 bytes/workgroup (compile time only)
; SGPRBlocks: 11
; VGPRBlocks: 13
; NumSGPRsForWavesPerEU: 91
; NumVGPRsForWavesPerEU: 107
; AccumOffset: 108
; Occupancy: 4
; WaveLimiterHint : 1
; COMPUTE_PGM_RSRC2:SCRATCH_EN: 0
; COMPUTE_PGM_RSRC2:USER_SGPR: 6
; COMPUTE_PGM_RSRC2:TRAP_HANDLER: 0
; COMPUTE_PGM_RSRC2:TGID_X_EN: 1
; COMPUTE_PGM_RSRC2:TGID_Y_EN: 0
; COMPUTE_PGM_RSRC2:TGID_Z_EN: 0
; COMPUTE_PGM_RSRC2:TIDIG_COMP_CNT: 0
; COMPUTE_PGM_RSRC3_GFX90A:ACCUM_OFFSET: 26
; COMPUTE_PGM_RSRC3_GFX90A:TG_SPLIT: 0
	.section	.text._ZN7rocprim17ROCPRIM_400000_NS6detail17trampoline_kernelINS0_13select_configILj256ELj13ELNS0_17block_load_methodE3ELS4_3ELS4_3ELNS0_20block_scan_algorithmE0ELj4294967295EEENS1_25partition_config_selectorILNS1_17partition_subalgoE4EjNS0_10empty_typeEbEEZZNS1_14partition_implILS8_4ELb0ES6_15HIP_vector_typeIjLj2EENS0_17counting_iteratorIjlEEPS9_SG_NS0_5tupleIJPjSI_NS0_16reverse_iteratorISI_EEEEENSH_IJSG_SG_SG_EEES9_SI_JZNS1_25segmented_radix_sort_implINS0_14default_configELb1EPKsPsPKlPlN2at6native12_GLOBAL__N_18offset_tEEE10hipError_tPvRmT1_PNSt15iterator_traitsIS12_E10value_typeET2_T3_PNS13_IS18_E10value_typeET4_jRbjT5_S1E_jjP12ihipStream_tbEUljE_ZNSN_ISO_Lb1ESQ_SR_ST_SU_SY_EESZ_S10_S11_S12_S16_S17_S18_S1B_S1C_jS1D_jS1E_S1E_jjS1G_bEUljE0_EEESZ_S10_S11_S18_S1C_S1E_T6_T7_T9_mT8_S1G_bDpT10_ENKUlT_T0_E_clISt17integral_constantIbLb1EES1U_EEDaS1P_S1Q_EUlS1P_E_NS1_11comp_targetILNS1_3genE3ELNS1_11target_archE908ELNS1_3gpuE7ELNS1_3repE0EEENS1_30default_config_static_selectorELNS0_4arch9wavefront6targetE1EEEvS12_,"axG",@progbits,_ZN7rocprim17ROCPRIM_400000_NS6detail17trampoline_kernelINS0_13select_configILj256ELj13ELNS0_17block_load_methodE3ELS4_3ELS4_3ELNS0_20block_scan_algorithmE0ELj4294967295EEENS1_25partition_config_selectorILNS1_17partition_subalgoE4EjNS0_10empty_typeEbEEZZNS1_14partition_implILS8_4ELb0ES6_15HIP_vector_typeIjLj2EENS0_17counting_iteratorIjlEEPS9_SG_NS0_5tupleIJPjSI_NS0_16reverse_iteratorISI_EEEEENSH_IJSG_SG_SG_EEES9_SI_JZNS1_25segmented_radix_sort_implINS0_14default_configELb1EPKsPsPKlPlN2at6native12_GLOBAL__N_18offset_tEEE10hipError_tPvRmT1_PNSt15iterator_traitsIS12_E10value_typeET2_T3_PNS13_IS18_E10value_typeET4_jRbjT5_S1E_jjP12ihipStream_tbEUljE_ZNSN_ISO_Lb1ESQ_SR_ST_SU_SY_EESZ_S10_S11_S12_S16_S17_S18_S1B_S1C_jS1D_jS1E_S1E_jjS1G_bEUljE0_EEESZ_S10_S11_S18_S1C_S1E_T6_T7_T9_mT8_S1G_bDpT10_ENKUlT_T0_E_clISt17integral_constantIbLb1EES1U_EEDaS1P_S1Q_EUlS1P_E_NS1_11comp_targetILNS1_3genE3ELNS1_11target_archE908ELNS1_3gpuE7ELNS1_3repE0EEENS1_30default_config_static_selectorELNS0_4arch9wavefront6targetE1EEEvS12_,comdat
	.globl	_ZN7rocprim17ROCPRIM_400000_NS6detail17trampoline_kernelINS0_13select_configILj256ELj13ELNS0_17block_load_methodE3ELS4_3ELS4_3ELNS0_20block_scan_algorithmE0ELj4294967295EEENS1_25partition_config_selectorILNS1_17partition_subalgoE4EjNS0_10empty_typeEbEEZZNS1_14partition_implILS8_4ELb0ES6_15HIP_vector_typeIjLj2EENS0_17counting_iteratorIjlEEPS9_SG_NS0_5tupleIJPjSI_NS0_16reverse_iteratorISI_EEEEENSH_IJSG_SG_SG_EEES9_SI_JZNS1_25segmented_radix_sort_implINS0_14default_configELb1EPKsPsPKlPlN2at6native12_GLOBAL__N_18offset_tEEE10hipError_tPvRmT1_PNSt15iterator_traitsIS12_E10value_typeET2_T3_PNS13_IS18_E10value_typeET4_jRbjT5_S1E_jjP12ihipStream_tbEUljE_ZNSN_ISO_Lb1ESQ_SR_ST_SU_SY_EESZ_S10_S11_S12_S16_S17_S18_S1B_S1C_jS1D_jS1E_S1E_jjS1G_bEUljE0_EEESZ_S10_S11_S18_S1C_S1E_T6_T7_T9_mT8_S1G_bDpT10_ENKUlT_T0_E_clISt17integral_constantIbLb1EES1U_EEDaS1P_S1Q_EUlS1P_E_NS1_11comp_targetILNS1_3genE3ELNS1_11target_archE908ELNS1_3gpuE7ELNS1_3repE0EEENS1_30default_config_static_selectorELNS0_4arch9wavefront6targetE1EEEvS12_ ; -- Begin function _ZN7rocprim17ROCPRIM_400000_NS6detail17trampoline_kernelINS0_13select_configILj256ELj13ELNS0_17block_load_methodE3ELS4_3ELS4_3ELNS0_20block_scan_algorithmE0ELj4294967295EEENS1_25partition_config_selectorILNS1_17partition_subalgoE4EjNS0_10empty_typeEbEEZZNS1_14partition_implILS8_4ELb0ES6_15HIP_vector_typeIjLj2EENS0_17counting_iteratorIjlEEPS9_SG_NS0_5tupleIJPjSI_NS0_16reverse_iteratorISI_EEEEENSH_IJSG_SG_SG_EEES9_SI_JZNS1_25segmented_radix_sort_implINS0_14default_configELb1EPKsPsPKlPlN2at6native12_GLOBAL__N_18offset_tEEE10hipError_tPvRmT1_PNSt15iterator_traitsIS12_E10value_typeET2_T3_PNS13_IS18_E10value_typeET4_jRbjT5_S1E_jjP12ihipStream_tbEUljE_ZNSN_ISO_Lb1ESQ_SR_ST_SU_SY_EESZ_S10_S11_S12_S16_S17_S18_S1B_S1C_jS1D_jS1E_S1E_jjS1G_bEUljE0_EEESZ_S10_S11_S18_S1C_S1E_T6_T7_T9_mT8_S1G_bDpT10_ENKUlT_T0_E_clISt17integral_constantIbLb1EES1U_EEDaS1P_S1Q_EUlS1P_E_NS1_11comp_targetILNS1_3genE3ELNS1_11target_archE908ELNS1_3gpuE7ELNS1_3repE0EEENS1_30default_config_static_selectorELNS0_4arch9wavefront6targetE1EEEvS12_
	.p2align	8
	.type	_ZN7rocprim17ROCPRIM_400000_NS6detail17trampoline_kernelINS0_13select_configILj256ELj13ELNS0_17block_load_methodE3ELS4_3ELS4_3ELNS0_20block_scan_algorithmE0ELj4294967295EEENS1_25partition_config_selectorILNS1_17partition_subalgoE4EjNS0_10empty_typeEbEEZZNS1_14partition_implILS8_4ELb0ES6_15HIP_vector_typeIjLj2EENS0_17counting_iteratorIjlEEPS9_SG_NS0_5tupleIJPjSI_NS0_16reverse_iteratorISI_EEEEENSH_IJSG_SG_SG_EEES9_SI_JZNS1_25segmented_radix_sort_implINS0_14default_configELb1EPKsPsPKlPlN2at6native12_GLOBAL__N_18offset_tEEE10hipError_tPvRmT1_PNSt15iterator_traitsIS12_E10value_typeET2_T3_PNS13_IS18_E10value_typeET4_jRbjT5_S1E_jjP12ihipStream_tbEUljE_ZNSN_ISO_Lb1ESQ_SR_ST_SU_SY_EESZ_S10_S11_S12_S16_S17_S18_S1B_S1C_jS1D_jS1E_S1E_jjS1G_bEUljE0_EEESZ_S10_S11_S18_S1C_S1E_T6_T7_T9_mT8_S1G_bDpT10_ENKUlT_T0_E_clISt17integral_constantIbLb1EES1U_EEDaS1P_S1Q_EUlS1P_E_NS1_11comp_targetILNS1_3genE3ELNS1_11target_archE908ELNS1_3gpuE7ELNS1_3repE0EEENS1_30default_config_static_selectorELNS0_4arch9wavefront6targetE1EEEvS12_,@function
_ZN7rocprim17ROCPRIM_400000_NS6detail17trampoline_kernelINS0_13select_configILj256ELj13ELNS0_17block_load_methodE3ELS4_3ELS4_3ELNS0_20block_scan_algorithmE0ELj4294967295EEENS1_25partition_config_selectorILNS1_17partition_subalgoE4EjNS0_10empty_typeEbEEZZNS1_14partition_implILS8_4ELb0ES6_15HIP_vector_typeIjLj2EENS0_17counting_iteratorIjlEEPS9_SG_NS0_5tupleIJPjSI_NS0_16reverse_iteratorISI_EEEEENSH_IJSG_SG_SG_EEES9_SI_JZNS1_25segmented_radix_sort_implINS0_14default_configELb1EPKsPsPKlPlN2at6native12_GLOBAL__N_18offset_tEEE10hipError_tPvRmT1_PNSt15iterator_traitsIS12_E10value_typeET2_T3_PNS13_IS18_E10value_typeET4_jRbjT5_S1E_jjP12ihipStream_tbEUljE_ZNSN_ISO_Lb1ESQ_SR_ST_SU_SY_EESZ_S10_S11_S12_S16_S17_S18_S1B_S1C_jS1D_jS1E_S1E_jjS1G_bEUljE0_EEESZ_S10_S11_S18_S1C_S1E_T6_T7_T9_mT8_S1G_bDpT10_ENKUlT_T0_E_clISt17integral_constantIbLb1EES1U_EEDaS1P_S1Q_EUlS1P_E_NS1_11comp_targetILNS1_3genE3ELNS1_11target_archE908ELNS1_3gpuE7ELNS1_3repE0EEENS1_30default_config_static_selectorELNS0_4arch9wavefront6targetE1EEEvS12_: ; @_ZN7rocprim17ROCPRIM_400000_NS6detail17trampoline_kernelINS0_13select_configILj256ELj13ELNS0_17block_load_methodE3ELS4_3ELS4_3ELNS0_20block_scan_algorithmE0ELj4294967295EEENS1_25partition_config_selectorILNS1_17partition_subalgoE4EjNS0_10empty_typeEbEEZZNS1_14partition_implILS8_4ELb0ES6_15HIP_vector_typeIjLj2EENS0_17counting_iteratorIjlEEPS9_SG_NS0_5tupleIJPjSI_NS0_16reverse_iteratorISI_EEEEENSH_IJSG_SG_SG_EEES9_SI_JZNS1_25segmented_radix_sort_implINS0_14default_configELb1EPKsPsPKlPlN2at6native12_GLOBAL__N_18offset_tEEE10hipError_tPvRmT1_PNSt15iterator_traitsIS12_E10value_typeET2_T3_PNS13_IS18_E10value_typeET4_jRbjT5_S1E_jjP12ihipStream_tbEUljE_ZNSN_ISO_Lb1ESQ_SR_ST_SU_SY_EESZ_S10_S11_S12_S16_S17_S18_S1B_S1C_jS1D_jS1E_S1E_jjS1G_bEUljE0_EEESZ_S10_S11_S18_S1C_S1E_T6_T7_T9_mT8_S1G_bDpT10_ENKUlT_T0_E_clISt17integral_constantIbLb1EES1U_EEDaS1P_S1Q_EUlS1P_E_NS1_11comp_targetILNS1_3genE3ELNS1_11target_archE908ELNS1_3gpuE7ELNS1_3repE0EEENS1_30default_config_static_selectorELNS0_4arch9wavefront6targetE1EEEvS12_
; %bb.0:
	.section	.rodata,"a",@progbits
	.p2align	6, 0x0
	.amdhsa_kernel _ZN7rocprim17ROCPRIM_400000_NS6detail17trampoline_kernelINS0_13select_configILj256ELj13ELNS0_17block_load_methodE3ELS4_3ELS4_3ELNS0_20block_scan_algorithmE0ELj4294967295EEENS1_25partition_config_selectorILNS1_17partition_subalgoE4EjNS0_10empty_typeEbEEZZNS1_14partition_implILS8_4ELb0ES6_15HIP_vector_typeIjLj2EENS0_17counting_iteratorIjlEEPS9_SG_NS0_5tupleIJPjSI_NS0_16reverse_iteratorISI_EEEEENSH_IJSG_SG_SG_EEES9_SI_JZNS1_25segmented_radix_sort_implINS0_14default_configELb1EPKsPsPKlPlN2at6native12_GLOBAL__N_18offset_tEEE10hipError_tPvRmT1_PNSt15iterator_traitsIS12_E10value_typeET2_T3_PNS13_IS18_E10value_typeET4_jRbjT5_S1E_jjP12ihipStream_tbEUljE_ZNSN_ISO_Lb1ESQ_SR_ST_SU_SY_EESZ_S10_S11_S12_S16_S17_S18_S1B_S1C_jS1D_jS1E_S1E_jjS1G_bEUljE0_EEESZ_S10_S11_S18_S1C_S1E_T6_T7_T9_mT8_S1G_bDpT10_ENKUlT_T0_E_clISt17integral_constantIbLb1EES1U_EEDaS1P_S1Q_EUlS1P_E_NS1_11comp_targetILNS1_3genE3ELNS1_11target_archE908ELNS1_3gpuE7ELNS1_3repE0EEENS1_30default_config_static_selectorELNS0_4arch9wavefront6targetE1EEEvS12_
		.amdhsa_group_segment_fixed_size 0
		.amdhsa_private_segment_fixed_size 0
		.amdhsa_kernarg_size 184
		.amdhsa_user_sgpr_count 6
		.amdhsa_user_sgpr_private_segment_buffer 1
		.amdhsa_user_sgpr_dispatch_ptr 0
		.amdhsa_user_sgpr_queue_ptr 0
		.amdhsa_user_sgpr_kernarg_segment_ptr 1
		.amdhsa_user_sgpr_dispatch_id 0
		.amdhsa_user_sgpr_flat_scratch_init 0
		.amdhsa_user_sgpr_kernarg_preload_length 0
		.amdhsa_user_sgpr_kernarg_preload_offset 0
		.amdhsa_user_sgpr_private_segment_size 0
		.amdhsa_uses_dynamic_stack 0
		.amdhsa_system_sgpr_private_segment_wavefront_offset 0
		.amdhsa_system_sgpr_workgroup_id_x 1
		.amdhsa_system_sgpr_workgroup_id_y 0
		.amdhsa_system_sgpr_workgroup_id_z 0
		.amdhsa_system_sgpr_workgroup_info 0
		.amdhsa_system_vgpr_workitem_id 0
		.amdhsa_next_free_vgpr 1
		.amdhsa_next_free_sgpr 0
		.amdhsa_accum_offset 4
		.amdhsa_reserve_vcc 0
		.amdhsa_reserve_flat_scratch 0
		.amdhsa_float_round_mode_32 0
		.amdhsa_float_round_mode_16_64 0
		.amdhsa_float_denorm_mode_32 3
		.amdhsa_float_denorm_mode_16_64 3
		.amdhsa_dx10_clamp 1
		.amdhsa_ieee_mode 1
		.amdhsa_fp16_overflow 0
		.amdhsa_tg_split 0
		.amdhsa_exception_fp_ieee_invalid_op 0
		.amdhsa_exception_fp_denorm_src 0
		.amdhsa_exception_fp_ieee_div_zero 0
		.amdhsa_exception_fp_ieee_overflow 0
		.amdhsa_exception_fp_ieee_underflow 0
		.amdhsa_exception_fp_ieee_inexact 0
		.amdhsa_exception_int_div_zero 0
	.end_amdhsa_kernel
	.section	.text._ZN7rocprim17ROCPRIM_400000_NS6detail17trampoline_kernelINS0_13select_configILj256ELj13ELNS0_17block_load_methodE3ELS4_3ELS4_3ELNS0_20block_scan_algorithmE0ELj4294967295EEENS1_25partition_config_selectorILNS1_17partition_subalgoE4EjNS0_10empty_typeEbEEZZNS1_14partition_implILS8_4ELb0ES6_15HIP_vector_typeIjLj2EENS0_17counting_iteratorIjlEEPS9_SG_NS0_5tupleIJPjSI_NS0_16reverse_iteratorISI_EEEEENSH_IJSG_SG_SG_EEES9_SI_JZNS1_25segmented_radix_sort_implINS0_14default_configELb1EPKsPsPKlPlN2at6native12_GLOBAL__N_18offset_tEEE10hipError_tPvRmT1_PNSt15iterator_traitsIS12_E10value_typeET2_T3_PNS13_IS18_E10value_typeET4_jRbjT5_S1E_jjP12ihipStream_tbEUljE_ZNSN_ISO_Lb1ESQ_SR_ST_SU_SY_EESZ_S10_S11_S12_S16_S17_S18_S1B_S1C_jS1D_jS1E_S1E_jjS1G_bEUljE0_EEESZ_S10_S11_S18_S1C_S1E_T6_T7_T9_mT8_S1G_bDpT10_ENKUlT_T0_E_clISt17integral_constantIbLb1EES1U_EEDaS1P_S1Q_EUlS1P_E_NS1_11comp_targetILNS1_3genE3ELNS1_11target_archE908ELNS1_3gpuE7ELNS1_3repE0EEENS1_30default_config_static_selectorELNS0_4arch9wavefront6targetE1EEEvS12_,"axG",@progbits,_ZN7rocprim17ROCPRIM_400000_NS6detail17trampoline_kernelINS0_13select_configILj256ELj13ELNS0_17block_load_methodE3ELS4_3ELS4_3ELNS0_20block_scan_algorithmE0ELj4294967295EEENS1_25partition_config_selectorILNS1_17partition_subalgoE4EjNS0_10empty_typeEbEEZZNS1_14partition_implILS8_4ELb0ES6_15HIP_vector_typeIjLj2EENS0_17counting_iteratorIjlEEPS9_SG_NS0_5tupleIJPjSI_NS0_16reverse_iteratorISI_EEEEENSH_IJSG_SG_SG_EEES9_SI_JZNS1_25segmented_radix_sort_implINS0_14default_configELb1EPKsPsPKlPlN2at6native12_GLOBAL__N_18offset_tEEE10hipError_tPvRmT1_PNSt15iterator_traitsIS12_E10value_typeET2_T3_PNS13_IS18_E10value_typeET4_jRbjT5_S1E_jjP12ihipStream_tbEUljE_ZNSN_ISO_Lb1ESQ_SR_ST_SU_SY_EESZ_S10_S11_S12_S16_S17_S18_S1B_S1C_jS1D_jS1E_S1E_jjS1G_bEUljE0_EEESZ_S10_S11_S18_S1C_S1E_T6_T7_T9_mT8_S1G_bDpT10_ENKUlT_T0_E_clISt17integral_constantIbLb1EES1U_EEDaS1P_S1Q_EUlS1P_E_NS1_11comp_targetILNS1_3genE3ELNS1_11target_archE908ELNS1_3gpuE7ELNS1_3repE0EEENS1_30default_config_static_selectorELNS0_4arch9wavefront6targetE1EEEvS12_,comdat
.Lfunc_end858:
	.size	_ZN7rocprim17ROCPRIM_400000_NS6detail17trampoline_kernelINS0_13select_configILj256ELj13ELNS0_17block_load_methodE3ELS4_3ELS4_3ELNS0_20block_scan_algorithmE0ELj4294967295EEENS1_25partition_config_selectorILNS1_17partition_subalgoE4EjNS0_10empty_typeEbEEZZNS1_14partition_implILS8_4ELb0ES6_15HIP_vector_typeIjLj2EENS0_17counting_iteratorIjlEEPS9_SG_NS0_5tupleIJPjSI_NS0_16reverse_iteratorISI_EEEEENSH_IJSG_SG_SG_EEES9_SI_JZNS1_25segmented_radix_sort_implINS0_14default_configELb1EPKsPsPKlPlN2at6native12_GLOBAL__N_18offset_tEEE10hipError_tPvRmT1_PNSt15iterator_traitsIS12_E10value_typeET2_T3_PNS13_IS18_E10value_typeET4_jRbjT5_S1E_jjP12ihipStream_tbEUljE_ZNSN_ISO_Lb1ESQ_SR_ST_SU_SY_EESZ_S10_S11_S12_S16_S17_S18_S1B_S1C_jS1D_jS1E_S1E_jjS1G_bEUljE0_EEESZ_S10_S11_S18_S1C_S1E_T6_T7_T9_mT8_S1G_bDpT10_ENKUlT_T0_E_clISt17integral_constantIbLb1EES1U_EEDaS1P_S1Q_EUlS1P_E_NS1_11comp_targetILNS1_3genE3ELNS1_11target_archE908ELNS1_3gpuE7ELNS1_3repE0EEENS1_30default_config_static_selectorELNS0_4arch9wavefront6targetE1EEEvS12_, .Lfunc_end858-_ZN7rocprim17ROCPRIM_400000_NS6detail17trampoline_kernelINS0_13select_configILj256ELj13ELNS0_17block_load_methodE3ELS4_3ELS4_3ELNS0_20block_scan_algorithmE0ELj4294967295EEENS1_25partition_config_selectorILNS1_17partition_subalgoE4EjNS0_10empty_typeEbEEZZNS1_14partition_implILS8_4ELb0ES6_15HIP_vector_typeIjLj2EENS0_17counting_iteratorIjlEEPS9_SG_NS0_5tupleIJPjSI_NS0_16reverse_iteratorISI_EEEEENSH_IJSG_SG_SG_EEES9_SI_JZNS1_25segmented_radix_sort_implINS0_14default_configELb1EPKsPsPKlPlN2at6native12_GLOBAL__N_18offset_tEEE10hipError_tPvRmT1_PNSt15iterator_traitsIS12_E10value_typeET2_T3_PNS13_IS18_E10value_typeET4_jRbjT5_S1E_jjP12ihipStream_tbEUljE_ZNSN_ISO_Lb1ESQ_SR_ST_SU_SY_EESZ_S10_S11_S12_S16_S17_S18_S1B_S1C_jS1D_jS1E_S1E_jjS1G_bEUljE0_EEESZ_S10_S11_S18_S1C_S1E_T6_T7_T9_mT8_S1G_bDpT10_ENKUlT_T0_E_clISt17integral_constantIbLb1EES1U_EEDaS1P_S1Q_EUlS1P_E_NS1_11comp_targetILNS1_3genE3ELNS1_11target_archE908ELNS1_3gpuE7ELNS1_3repE0EEENS1_30default_config_static_selectorELNS0_4arch9wavefront6targetE1EEEvS12_
                                        ; -- End function
	.section	.AMDGPU.csdata,"",@progbits
; Kernel info:
; codeLenInByte = 0
; NumSgprs: 4
; NumVgprs: 0
; NumAgprs: 0
; TotalNumVgprs: 0
; ScratchSize: 0
; MemoryBound: 0
; FloatMode: 240
; IeeeMode: 1
; LDSByteSize: 0 bytes/workgroup (compile time only)
; SGPRBlocks: 0
; VGPRBlocks: 0
; NumSGPRsForWavesPerEU: 4
; NumVGPRsForWavesPerEU: 1
; AccumOffset: 4
; Occupancy: 8
; WaveLimiterHint : 0
; COMPUTE_PGM_RSRC2:SCRATCH_EN: 0
; COMPUTE_PGM_RSRC2:USER_SGPR: 6
; COMPUTE_PGM_RSRC2:TRAP_HANDLER: 0
; COMPUTE_PGM_RSRC2:TGID_X_EN: 1
; COMPUTE_PGM_RSRC2:TGID_Y_EN: 0
; COMPUTE_PGM_RSRC2:TGID_Z_EN: 0
; COMPUTE_PGM_RSRC2:TIDIG_COMP_CNT: 0
; COMPUTE_PGM_RSRC3_GFX90A:ACCUM_OFFSET: 0
; COMPUTE_PGM_RSRC3_GFX90A:TG_SPLIT: 0
	.section	.text._ZN7rocprim17ROCPRIM_400000_NS6detail17trampoline_kernelINS0_13select_configILj256ELj13ELNS0_17block_load_methodE3ELS4_3ELS4_3ELNS0_20block_scan_algorithmE0ELj4294967295EEENS1_25partition_config_selectorILNS1_17partition_subalgoE4EjNS0_10empty_typeEbEEZZNS1_14partition_implILS8_4ELb0ES6_15HIP_vector_typeIjLj2EENS0_17counting_iteratorIjlEEPS9_SG_NS0_5tupleIJPjSI_NS0_16reverse_iteratorISI_EEEEENSH_IJSG_SG_SG_EEES9_SI_JZNS1_25segmented_radix_sort_implINS0_14default_configELb1EPKsPsPKlPlN2at6native12_GLOBAL__N_18offset_tEEE10hipError_tPvRmT1_PNSt15iterator_traitsIS12_E10value_typeET2_T3_PNS13_IS18_E10value_typeET4_jRbjT5_S1E_jjP12ihipStream_tbEUljE_ZNSN_ISO_Lb1ESQ_SR_ST_SU_SY_EESZ_S10_S11_S12_S16_S17_S18_S1B_S1C_jS1D_jS1E_S1E_jjS1G_bEUljE0_EEESZ_S10_S11_S18_S1C_S1E_T6_T7_T9_mT8_S1G_bDpT10_ENKUlT_T0_E_clISt17integral_constantIbLb1EES1U_EEDaS1P_S1Q_EUlS1P_E_NS1_11comp_targetILNS1_3genE2ELNS1_11target_archE906ELNS1_3gpuE6ELNS1_3repE0EEENS1_30default_config_static_selectorELNS0_4arch9wavefront6targetE1EEEvS12_,"axG",@progbits,_ZN7rocprim17ROCPRIM_400000_NS6detail17trampoline_kernelINS0_13select_configILj256ELj13ELNS0_17block_load_methodE3ELS4_3ELS4_3ELNS0_20block_scan_algorithmE0ELj4294967295EEENS1_25partition_config_selectorILNS1_17partition_subalgoE4EjNS0_10empty_typeEbEEZZNS1_14partition_implILS8_4ELb0ES6_15HIP_vector_typeIjLj2EENS0_17counting_iteratorIjlEEPS9_SG_NS0_5tupleIJPjSI_NS0_16reverse_iteratorISI_EEEEENSH_IJSG_SG_SG_EEES9_SI_JZNS1_25segmented_radix_sort_implINS0_14default_configELb1EPKsPsPKlPlN2at6native12_GLOBAL__N_18offset_tEEE10hipError_tPvRmT1_PNSt15iterator_traitsIS12_E10value_typeET2_T3_PNS13_IS18_E10value_typeET4_jRbjT5_S1E_jjP12ihipStream_tbEUljE_ZNSN_ISO_Lb1ESQ_SR_ST_SU_SY_EESZ_S10_S11_S12_S16_S17_S18_S1B_S1C_jS1D_jS1E_S1E_jjS1G_bEUljE0_EEESZ_S10_S11_S18_S1C_S1E_T6_T7_T9_mT8_S1G_bDpT10_ENKUlT_T0_E_clISt17integral_constantIbLb1EES1U_EEDaS1P_S1Q_EUlS1P_E_NS1_11comp_targetILNS1_3genE2ELNS1_11target_archE906ELNS1_3gpuE6ELNS1_3repE0EEENS1_30default_config_static_selectorELNS0_4arch9wavefront6targetE1EEEvS12_,comdat
	.globl	_ZN7rocprim17ROCPRIM_400000_NS6detail17trampoline_kernelINS0_13select_configILj256ELj13ELNS0_17block_load_methodE3ELS4_3ELS4_3ELNS0_20block_scan_algorithmE0ELj4294967295EEENS1_25partition_config_selectorILNS1_17partition_subalgoE4EjNS0_10empty_typeEbEEZZNS1_14partition_implILS8_4ELb0ES6_15HIP_vector_typeIjLj2EENS0_17counting_iteratorIjlEEPS9_SG_NS0_5tupleIJPjSI_NS0_16reverse_iteratorISI_EEEEENSH_IJSG_SG_SG_EEES9_SI_JZNS1_25segmented_radix_sort_implINS0_14default_configELb1EPKsPsPKlPlN2at6native12_GLOBAL__N_18offset_tEEE10hipError_tPvRmT1_PNSt15iterator_traitsIS12_E10value_typeET2_T3_PNS13_IS18_E10value_typeET4_jRbjT5_S1E_jjP12ihipStream_tbEUljE_ZNSN_ISO_Lb1ESQ_SR_ST_SU_SY_EESZ_S10_S11_S12_S16_S17_S18_S1B_S1C_jS1D_jS1E_S1E_jjS1G_bEUljE0_EEESZ_S10_S11_S18_S1C_S1E_T6_T7_T9_mT8_S1G_bDpT10_ENKUlT_T0_E_clISt17integral_constantIbLb1EES1U_EEDaS1P_S1Q_EUlS1P_E_NS1_11comp_targetILNS1_3genE2ELNS1_11target_archE906ELNS1_3gpuE6ELNS1_3repE0EEENS1_30default_config_static_selectorELNS0_4arch9wavefront6targetE1EEEvS12_ ; -- Begin function _ZN7rocprim17ROCPRIM_400000_NS6detail17trampoline_kernelINS0_13select_configILj256ELj13ELNS0_17block_load_methodE3ELS4_3ELS4_3ELNS0_20block_scan_algorithmE0ELj4294967295EEENS1_25partition_config_selectorILNS1_17partition_subalgoE4EjNS0_10empty_typeEbEEZZNS1_14partition_implILS8_4ELb0ES6_15HIP_vector_typeIjLj2EENS0_17counting_iteratorIjlEEPS9_SG_NS0_5tupleIJPjSI_NS0_16reverse_iteratorISI_EEEEENSH_IJSG_SG_SG_EEES9_SI_JZNS1_25segmented_radix_sort_implINS0_14default_configELb1EPKsPsPKlPlN2at6native12_GLOBAL__N_18offset_tEEE10hipError_tPvRmT1_PNSt15iterator_traitsIS12_E10value_typeET2_T3_PNS13_IS18_E10value_typeET4_jRbjT5_S1E_jjP12ihipStream_tbEUljE_ZNSN_ISO_Lb1ESQ_SR_ST_SU_SY_EESZ_S10_S11_S12_S16_S17_S18_S1B_S1C_jS1D_jS1E_S1E_jjS1G_bEUljE0_EEESZ_S10_S11_S18_S1C_S1E_T6_T7_T9_mT8_S1G_bDpT10_ENKUlT_T0_E_clISt17integral_constantIbLb1EES1U_EEDaS1P_S1Q_EUlS1P_E_NS1_11comp_targetILNS1_3genE2ELNS1_11target_archE906ELNS1_3gpuE6ELNS1_3repE0EEENS1_30default_config_static_selectorELNS0_4arch9wavefront6targetE1EEEvS12_
	.p2align	8
	.type	_ZN7rocprim17ROCPRIM_400000_NS6detail17trampoline_kernelINS0_13select_configILj256ELj13ELNS0_17block_load_methodE3ELS4_3ELS4_3ELNS0_20block_scan_algorithmE0ELj4294967295EEENS1_25partition_config_selectorILNS1_17partition_subalgoE4EjNS0_10empty_typeEbEEZZNS1_14partition_implILS8_4ELb0ES6_15HIP_vector_typeIjLj2EENS0_17counting_iteratorIjlEEPS9_SG_NS0_5tupleIJPjSI_NS0_16reverse_iteratorISI_EEEEENSH_IJSG_SG_SG_EEES9_SI_JZNS1_25segmented_radix_sort_implINS0_14default_configELb1EPKsPsPKlPlN2at6native12_GLOBAL__N_18offset_tEEE10hipError_tPvRmT1_PNSt15iterator_traitsIS12_E10value_typeET2_T3_PNS13_IS18_E10value_typeET4_jRbjT5_S1E_jjP12ihipStream_tbEUljE_ZNSN_ISO_Lb1ESQ_SR_ST_SU_SY_EESZ_S10_S11_S12_S16_S17_S18_S1B_S1C_jS1D_jS1E_S1E_jjS1G_bEUljE0_EEESZ_S10_S11_S18_S1C_S1E_T6_T7_T9_mT8_S1G_bDpT10_ENKUlT_T0_E_clISt17integral_constantIbLb1EES1U_EEDaS1P_S1Q_EUlS1P_E_NS1_11comp_targetILNS1_3genE2ELNS1_11target_archE906ELNS1_3gpuE6ELNS1_3repE0EEENS1_30default_config_static_selectorELNS0_4arch9wavefront6targetE1EEEvS12_,@function
_ZN7rocprim17ROCPRIM_400000_NS6detail17trampoline_kernelINS0_13select_configILj256ELj13ELNS0_17block_load_methodE3ELS4_3ELS4_3ELNS0_20block_scan_algorithmE0ELj4294967295EEENS1_25partition_config_selectorILNS1_17partition_subalgoE4EjNS0_10empty_typeEbEEZZNS1_14partition_implILS8_4ELb0ES6_15HIP_vector_typeIjLj2EENS0_17counting_iteratorIjlEEPS9_SG_NS0_5tupleIJPjSI_NS0_16reverse_iteratorISI_EEEEENSH_IJSG_SG_SG_EEES9_SI_JZNS1_25segmented_radix_sort_implINS0_14default_configELb1EPKsPsPKlPlN2at6native12_GLOBAL__N_18offset_tEEE10hipError_tPvRmT1_PNSt15iterator_traitsIS12_E10value_typeET2_T3_PNS13_IS18_E10value_typeET4_jRbjT5_S1E_jjP12ihipStream_tbEUljE_ZNSN_ISO_Lb1ESQ_SR_ST_SU_SY_EESZ_S10_S11_S12_S16_S17_S18_S1B_S1C_jS1D_jS1E_S1E_jjS1G_bEUljE0_EEESZ_S10_S11_S18_S1C_S1E_T6_T7_T9_mT8_S1G_bDpT10_ENKUlT_T0_E_clISt17integral_constantIbLb1EES1U_EEDaS1P_S1Q_EUlS1P_E_NS1_11comp_targetILNS1_3genE2ELNS1_11target_archE906ELNS1_3gpuE6ELNS1_3repE0EEENS1_30default_config_static_selectorELNS0_4arch9wavefront6targetE1EEEvS12_: ; @_ZN7rocprim17ROCPRIM_400000_NS6detail17trampoline_kernelINS0_13select_configILj256ELj13ELNS0_17block_load_methodE3ELS4_3ELS4_3ELNS0_20block_scan_algorithmE0ELj4294967295EEENS1_25partition_config_selectorILNS1_17partition_subalgoE4EjNS0_10empty_typeEbEEZZNS1_14partition_implILS8_4ELb0ES6_15HIP_vector_typeIjLj2EENS0_17counting_iteratorIjlEEPS9_SG_NS0_5tupleIJPjSI_NS0_16reverse_iteratorISI_EEEEENSH_IJSG_SG_SG_EEES9_SI_JZNS1_25segmented_radix_sort_implINS0_14default_configELb1EPKsPsPKlPlN2at6native12_GLOBAL__N_18offset_tEEE10hipError_tPvRmT1_PNSt15iterator_traitsIS12_E10value_typeET2_T3_PNS13_IS18_E10value_typeET4_jRbjT5_S1E_jjP12ihipStream_tbEUljE_ZNSN_ISO_Lb1ESQ_SR_ST_SU_SY_EESZ_S10_S11_S12_S16_S17_S18_S1B_S1C_jS1D_jS1E_S1E_jjS1G_bEUljE0_EEESZ_S10_S11_S18_S1C_S1E_T6_T7_T9_mT8_S1G_bDpT10_ENKUlT_T0_E_clISt17integral_constantIbLb1EES1U_EEDaS1P_S1Q_EUlS1P_E_NS1_11comp_targetILNS1_3genE2ELNS1_11target_archE906ELNS1_3gpuE6ELNS1_3repE0EEENS1_30default_config_static_selectorELNS0_4arch9wavefront6targetE1EEEvS12_
; %bb.0:
	.section	.rodata,"a",@progbits
	.p2align	6, 0x0
	.amdhsa_kernel _ZN7rocprim17ROCPRIM_400000_NS6detail17trampoline_kernelINS0_13select_configILj256ELj13ELNS0_17block_load_methodE3ELS4_3ELS4_3ELNS0_20block_scan_algorithmE0ELj4294967295EEENS1_25partition_config_selectorILNS1_17partition_subalgoE4EjNS0_10empty_typeEbEEZZNS1_14partition_implILS8_4ELb0ES6_15HIP_vector_typeIjLj2EENS0_17counting_iteratorIjlEEPS9_SG_NS0_5tupleIJPjSI_NS0_16reverse_iteratorISI_EEEEENSH_IJSG_SG_SG_EEES9_SI_JZNS1_25segmented_radix_sort_implINS0_14default_configELb1EPKsPsPKlPlN2at6native12_GLOBAL__N_18offset_tEEE10hipError_tPvRmT1_PNSt15iterator_traitsIS12_E10value_typeET2_T3_PNS13_IS18_E10value_typeET4_jRbjT5_S1E_jjP12ihipStream_tbEUljE_ZNSN_ISO_Lb1ESQ_SR_ST_SU_SY_EESZ_S10_S11_S12_S16_S17_S18_S1B_S1C_jS1D_jS1E_S1E_jjS1G_bEUljE0_EEESZ_S10_S11_S18_S1C_S1E_T6_T7_T9_mT8_S1G_bDpT10_ENKUlT_T0_E_clISt17integral_constantIbLb1EES1U_EEDaS1P_S1Q_EUlS1P_E_NS1_11comp_targetILNS1_3genE2ELNS1_11target_archE906ELNS1_3gpuE6ELNS1_3repE0EEENS1_30default_config_static_selectorELNS0_4arch9wavefront6targetE1EEEvS12_
		.amdhsa_group_segment_fixed_size 0
		.amdhsa_private_segment_fixed_size 0
		.amdhsa_kernarg_size 184
		.amdhsa_user_sgpr_count 6
		.amdhsa_user_sgpr_private_segment_buffer 1
		.amdhsa_user_sgpr_dispatch_ptr 0
		.amdhsa_user_sgpr_queue_ptr 0
		.amdhsa_user_sgpr_kernarg_segment_ptr 1
		.amdhsa_user_sgpr_dispatch_id 0
		.amdhsa_user_sgpr_flat_scratch_init 0
		.amdhsa_user_sgpr_kernarg_preload_length 0
		.amdhsa_user_sgpr_kernarg_preload_offset 0
		.amdhsa_user_sgpr_private_segment_size 0
		.amdhsa_uses_dynamic_stack 0
		.amdhsa_system_sgpr_private_segment_wavefront_offset 0
		.amdhsa_system_sgpr_workgroup_id_x 1
		.amdhsa_system_sgpr_workgroup_id_y 0
		.amdhsa_system_sgpr_workgroup_id_z 0
		.amdhsa_system_sgpr_workgroup_info 0
		.amdhsa_system_vgpr_workitem_id 0
		.amdhsa_next_free_vgpr 1
		.amdhsa_next_free_sgpr 0
		.amdhsa_accum_offset 4
		.amdhsa_reserve_vcc 0
		.amdhsa_reserve_flat_scratch 0
		.amdhsa_float_round_mode_32 0
		.amdhsa_float_round_mode_16_64 0
		.amdhsa_float_denorm_mode_32 3
		.amdhsa_float_denorm_mode_16_64 3
		.amdhsa_dx10_clamp 1
		.amdhsa_ieee_mode 1
		.amdhsa_fp16_overflow 0
		.amdhsa_tg_split 0
		.amdhsa_exception_fp_ieee_invalid_op 0
		.amdhsa_exception_fp_denorm_src 0
		.amdhsa_exception_fp_ieee_div_zero 0
		.amdhsa_exception_fp_ieee_overflow 0
		.amdhsa_exception_fp_ieee_underflow 0
		.amdhsa_exception_fp_ieee_inexact 0
		.amdhsa_exception_int_div_zero 0
	.end_amdhsa_kernel
	.section	.text._ZN7rocprim17ROCPRIM_400000_NS6detail17trampoline_kernelINS0_13select_configILj256ELj13ELNS0_17block_load_methodE3ELS4_3ELS4_3ELNS0_20block_scan_algorithmE0ELj4294967295EEENS1_25partition_config_selectorILNS1_17partition_subalgoE4EjNS0_10empty_typeEbEEZZNS1_14partition_implILS8_4ELb0ES6_15HIP_vector_typeIjLj2EENS0_17counting_iteratorIjlEEPS9_SG_NS0_5tupleIJPjSI_NS0_16reverse_iteratorISI_EEEEENSH_IJSG_SG_SG_EEES9_SI_JZNS1_25segmented_radix_sort_implINS0_14default_configELb1EPKsPsPKlPlN2at6native12_GLOBAL__N_18offset_tEEE10hipError_tPvRmT1_PNSt15iterator_traitsIS12_E10value_typeET2_T3_PNS13_IS18_E10value_typeET4_jRbjT5_S1E_jjP12ihipStream_tbEUljE_ZNSN_ISO_Lb1ESQ_SR_ST_SU_SY_EESZ_S10_S11_S12_S16_S17_S18_S1B_S1C_jS1D_jS1E_S1E_jjS1G_bEUljE0_EEESZ_S10_S11_S18_S1C_S1E_T6_T7_T9_mT8_S1G_bDpT10_ENKUlT_T0_E_clISt17integral_constantIbLb1EES1U_EEDaS1P_S1Q_EUlS1P_E_NS1_11comp_targetILNS1_3genE2ELNS1_11target_archE906ELNS1_3gpuE6ELNS1_3repE0EEENS1_30default_config_static_selectorELNS0_4arch9wavefront6targetE1EEEvS12_,"axG",@progbits,_ZN7rocprim17ROCPRIM_400000_NS6detail17trampoline_kernelINS0_13select_configILj256ELj13ELNS0_17block_load_methodE3ELS4_3ELS4_3ELNS0_20block_scan_algorithmE0ELj4294967295EEENS1_25partition_config_selectorILNS1_17partition_subalgoE4EjNS0_10empty_typeEbEEZZNS1_14partition_implILS8_4ELb0ES6_15HIP_vector_typeIjLj2EENS0_17counting_iteratorIjlEEPS9_SG_NS0_5tupleIJPjSI_NS0_16reverse_iteratorISI_EEEEENSH_IJSG_SG_SG_EEES9_SI_JZNS1_25segmented_radix_sort_implINS0_14default_configELb1EPKsPsPKlPlN2at6native12_GLOBAL__N_18offset_tEEE10hipError_tPvRmT1_PNSt15iterator_traitsIS12_E10value_typeET2_T3_PNS13_IS18_E10value_typeET4_jRbjT5_S1E_jjP12ihipStream_tbEUljE_ZNSN_ISO_Lb1ESQ_SR_ST_SU_SY_EESZ_S10_S11_S12_S16_S17_S18_S1B_S1C_jS1D_jS1E_S1E_jjS1G_bEUljE0_EEESZ_S10_S11_S18_S1C_S1E_T6_T7_T9_mT8_S1G_bDpT10_ENKUlT_T0_E_clISt17integral_constantIbLb1EES1U_EEDaS1P_S1Q_EUlS1P_E_NS1_11comp_targetILNS1_3genE2ELNS1_11target_archE906ELNS1_3gpuE6ELNS1_3repE0EEENS1_30default_config_static_selectorELNS0_4arch9wavefront6targetE1EEEvS12_,comdat
.Lfunc_end859:
	.size	_ZN7rocprim17ROCPRIM_400000_NS6detail17trampoline_kernelINS0_13select_configILj256ELj13ELNS0_17block_load_methodE3ELS4_3ELS4_3ELNS0_20block_scan_algorithmE0ELj4294967295EEENS1_25partition_config_selectorILNS1_17partition_subalgoE4EjNS0_10empty_typeEbEEZZNS1_14partition_implILS8_4ELb0ES6_15HIP_vector_typeIjLj2EENS0_17counting_iteratorIjlEEPS9_SG_NS0_5tupleIJPjSI_NS0_16reverse_iteratorISI_EEEEENSH_IJSG_SG_SG_EEES9_SI_JZNS1_25segmented_radix_sort_implINS0_14default_configELb1EPKsPsPKlPlN2at6native12_GLOBAL__N_18offset_tEEE10hipError_tPvRmT1_PNSt15iterator_traitsIS12_E10value_typeET2_T3_PNS13_IS18_E10value_typeET4_jRbjT5_S1E_jjP12ihipStream_tbEUljE_ZNSN_ISO_Lb1ESQ_SR_ST_SU_SY_EESZ_S10_S11_S12_S16_S17_S18_S1B_S1C_jS1D_jS1E_S1E_jjS1G_bEUljE0_EEESZ_S10_S11_S18_S1C_S1E_T6_T7_T9_mT8_S1G_bDpT10_ENKUlT_T0_E_clISt17integral_constantIbLb1EES1U_EEDaS1P_S1Q_EUlS1P_E_NS1_11comp_targetILNS1_3genE2ELNS1_11target_archE906ELNS1_3gpuE6ELNS1_3repE0EEENS1_30default_config_static_selectorELNS0_4arch9wavefront6targetE1EEEvS12_, .Lfunc_end859-_ZN7rocprim17ROCPRIM_400000_NS6detail17trampoline_kernelINS0_13select_configILj256ELj13ELNS0_17block_load_methodE3ELS4_3ELS4_3ELNS0_20block_scan_algorithmE0ELj4294967295EEENS1_25partition_config_selectorILNS1_17partition_subalgoE4EjNS0_10empty_typeEbEEZZNS1_14partition_implILS8_4ELb0ES6_15HIP_vector_typeIjLj2EENS0_17counting_iteratorIjlEEPS9_SG_NS0_5tupleIJPjSI_NS0_16reverse_iteratorISI_EEEEENSH_IJSG_SG_SG_EEES9_SI_JZNS1_25segmented_radix_sort_implINS0_14default_configELb1EPKsPsPKlPlN2at6native12_GLOBAL__N_18offset_tEEE10hipError_tPvRmT1_PNSt15iterator_traitsIS12_E10value_typeET2_T3_PNS13_IS18_E10value_typeET4_jRbjT5_S1E_jjP12ihipStream_tbEUljE_ZNSN_ISO_Lb1ESQ_SR_ST_SU_SY_EESZ_S10_S11_S12_S16_S17_S18_S1B_S1C_jS1D_jS1E_S1E_jjS1G_bEUljE0_EEESZ_S10_S11_S18_S1C_S1E_T6_T7_T9_mT8_S1G_bDpT10_ENKUlT_T0_E_clISt17integral_constantIbLb1EES1U_EEDaS1P_S1Q_EUlS1P_E_NS1_11comp_targetILNS1_3genE2ELNS1_11target_archE906ELNS1_3gpuE6ELNS1_3repE0EEENS1_30default_config_static_selectorELNS0_4arch9wavefront6targetE1EEEvS12_
                                        ; -- End function
	.section	.AMDGPU.csdata,"",@progbits
; Kernel info:
; codeLenInByte = 0
; NumSgprs: 4
; NumVgprs: 0
; NumAgprs: 0
; TotalNumVgprs: 0
; ScratchSize: 0
; MemoryBound: 0
; FloatMode: 240
; IeeeMode: 1
; LDSByteSize: 0 bytes/workgroup (compile time only)
; SGPRBlocks: 0
; VGPRBlocks: 0
; NumSGPRsForWavesPerEU: 4
; NumVGPRsForWavesPerEU: 1
; AccumOffset: 4
; Occupancy: 8
; WaveLimiterHint : 0
; COMPUTE_PGM_RSRC2:SCRATCH_EN: 0
; COMPUTE_PGM_RSRC2:USER_SGPR: 6
; COMPUTE_PGM_RSRC2:TRAP_HANDLER: 0
; COMPUTE_PGM_RSRC2:TGID_X_EN: 1
; COMPUTE_PGM_RSRC2:TGID_Y_EN: 0
; COMPUTE_PGM_RSRC2:TGID_Z_EN: 0
; COMPUTE_PGM_RSRC2:TIDIG_COMP_CNT: 0
; COMPUTE_PGM_RSRC3_GFX90A:ACCUM_OFFSET: 0
; COMPUTE_PGM_RSRC3_GFX90A:TG_SPLIT: 0
	.section	.text._ZN7rocprim17ROCPRIM_400000_NS6detail17trampoline_kernelINS0_13select_configILj256ELj13ELNS0_17block_load_methodE3ELS4_3ELS4_3ELNS0_20block_scan_algorithmE0ELj4294967295EEENS1_25partition_config_selectorILNS1_17partition_subalgoE4EjNS0_10empty_typeEbEEZZNS1_14partition_implILS8_4ELb0ES6_15HIP_vector_typeIjLj2EENS0_17counting_iteratorIjlEEPS9_SG_NS0_5tupleIJPjSI_NS0_16reverse_iteratorISI_EEEEENSH_IJSG_SG_SG_EEES9_SI_JZNS1_25segmented_radix_sort_implINS0_14default_configELb1EPKsPsPKlPlN2at6native12_GLOBAL__N_18offset_tEEE10hipError_tPvRmT1_PNSt15iterator_traitsIS12_E10value_typeET2_T3_PNS13_IS18_E10value_typeET4_jRbjT5_S1E_jjP12ihipStream_tbEUljE_ZNSN_ISO_Lb1ESQ_SR_ST_SU_SY_EESZ_S10_S11_S12_S16_S17_S18_S1B_S1C_jS1D_jS1E_S1E_jjS1G_bEUljE0_EEESZ_S10_S11_S18_S1C_S1E_T6_T7_T9_mT8_S1G_bDpT10_ENKUlT_T0_E_clISt17integral_constantIbLb1EES1U_EEDaS1P_S1Q_EUlS1P_E_NS1_11comp_targetILNS1_3genE10ELNS1_11target_archE1200ELNS1_3gpuE4ELNS1_3repE0EEENS1_30default_config_static_selectorELNS0_4arch9wavefront6targetE1EEEvS12_,"axG",@progbits,_ZN7rocprim17ROCPRIM_400000_NS6detail17trampoline_kernelINS0_13select_configILj256ELj13ELNS0_17block_load_methodE3ELS4_3ELS4_3ELNS0_20block_scan_algorithmE0ELj4294967295EEENS1_25partition_config_selectorILNS1_17partition_subalgoE4EjNS0_10empty_typeEbEEZZNS1_14partition_implILS8_4ELb0ES6_15HIP_vector_typeIjLj2EENS0_17counting_iteratorIjlEEPS9_SG_NS0_5tupleIJPjSI_NS0_16reverse_iteratorISI_EEEEENSH_IJSG_SG_SG_EEES9_SI_JZNS1_25segmented_radix_sort_implINS0_14default_configELb1EPKsPsPKlPlN2at6native12_GLOBAL__N_18offset_tEEE10hipError_tPvRmT1_PNSt15iterator_traitsIS12_E10value_typeET2_T3_PNS13_IS18_E10value_typeET4_jRbjT5_S1E_jjP12ihipStream_tbEUljE_ZNSN_ISO_Lb1ESQ_SR_ST_SU_SY_EESZ_S10_S11_S12_S16_S17_S18_S1B_S1C_jS1D_jS1E_S1E_jjS1G_bEUljE0_EEESZ_S10_S11_S18_S1C_S1E_T6_T7_T9_mT8_S1G_bDpT10_ENKUlT_T0_E_clISt17integral_constantIbLb1EES1U_EEDaS1P_S1Q_EUlS1P_E_NS1_11comp_targetILNS1_3genE10ELNS1_11target_archE1200ELNS1_3gpuE4ELNS1_3repE0EEENS1_30default_config_static_selectorELNS0_4arch9wavefront6targetE1EEEvS12_,comdat
	.globl	_ZN7rocprim17ROCPRIM_400000_NS6detail17trampoline_kernelINS0_13select_configILj256ELj13ELNS0_17block_load_methodE3ELS4_3ELS4_3ELNS0_20block_scan_algorithmE0ELj4294967295EEENS1_25partition_config_selectorILNS1_17partition_subalgoE4EjNS0_10empty_typeEbEEZZNS1_14partition_implILS8_4ELb0ES6_15HIP_vector_typeIjLj2EENS0_17counting_iteratorIjlEEPS9_SG_NS0_5tupleIJPjSI_NS0_16reverse_iteratorISI_EEEEENSH_IJSG_SG_SG_EEES9_SI_JZNS1_25segmented_radix_sort_implINS0_14default_configELb1EPKsPsPKlPlN2at6native12_GLOBAL__N_18offset_tEEE10hipError_tPvRmT1_PNSt15iterator_traitsIS12_E10value_typeET2_T3_PNS13_IS18_E10value_typeET4_jRbjT5_S1E_jjP12ihipStream_tbEUljE_ZNSN_ISO_Lb1ESQ_SR_ST_SU_SY_EESZ_S10_S11_S12_S16_S17_S18_S1B_S1C_jS1D_jS1E_S1E_jjS1G_bEUljE0_EEESZ_S10_S11_S18_S1C_S1E_T6_T7_T9_mT8_S1G_bDpT10_ENKUlT_T0_E_clISt17integral_constantIbLb1EES1U_EEDaS1P_S1Q_EUlS1P_E_NS1_11comp_targetILNS1_3genE10ELNS1_11target_archE1200ELNS1_3gpuE4ELNS1_3repE0EEENS1_30default_config_static_selectorELNS0_4arch9wavefront6targetE1EEEvS12_ ; -- Begin function _ZN7rocprim17ROCPRIM_400000_NS6detail17trampoline_kernelINS0_13select_configILj256ELj13ELNS0_17block_load_methodE3ELS4_3ELS4_3ELNS0_20block_scan_algorithmE0ELj4294967295EEENS1_25partition_config_selectorILNS1_17partition_subalgoE4EjNS0_10empty_typeEbEEZZNS1_14partition_implILS8_4ELb0ES6_15HIP_vector_typeIjLj2EENS0_17counting_iteratorIjlEEPS9_SG_NS0_5tupleIJPjSI_NS0_16reverse_iteratorISI_EEEEENSH_IJSG_SG_SG_EEES9_SI_JZNS1_25segmented_radix_sort_implINS0_14default_configELb1EPKsPsPKlPlN2at6native12_GLOBAL__N_18offset_tEEE10hipError_tPvRmT1_PNSt15iterator_traitsIS12_E10value_typeET2_T3_PNS13_IS18_E10value_typeET4_jRbjT5_S1E_jjP12ihipStream_tbEUljE_ZNSN_ISO_Lb1ESQ_SR_ST_SU_SY_EESZ_S10_S11_S12_S16_S17_S18_S1B_S1C_jS1D_jS1E_S1E_jjS1G_bEUljE0_EEESZ_S10_S11_S18_S1C_S1E_T6_T7_T9_mT8_S1G_bDpT10_ENKUlT_T0_E_clISt17integral_constantIbLb1EES1U_EEDaS1P_S1Q_EUlS1P_E_NS1_11comp_targetILNS1_3genE10ELNS1_11target_archE1200ELNS1_3gpuE4ELNS1_3repE0EEENS1_30default_config_static_selectorELNS0_4arch9wavefront6targetE1EEEvS12_
	.p2align	8
	.type	_ZN7rocprim17ROCPRIM_400000_NS6detail17trampoline_kernelINS0_13select_configILj256ELj13ELNS0_17block_load_methodE3ELS4_3ELS4_3ELNS0_20block_scan_algorithmE0ELj4294967295EEENS1_25partition_config_selectorILNS1_17partition_subalgoE4EjNS0_10empty_typeEbEEZZNS1_14partition_implILS8_4ELb0ES6_15HIP_vector_typeIjLj2EENS0_17counting_iteratorIjlEEPS9_SG_NS0_5tupleIJPjSI_NS0_16reverse_iteratorISI_EEEEENSH_IJSG_SG_SG_EEES9_SI_JZNS1_25segmented_radix_sort_implINS0_14default_configELb1EPKsPsPKlPlN2at6native12_GLOBAL__N_18offset_tEEE10hipError_tPvRmT1_PNSt15iterator_traitsIS12_E10value_typeET2_T3_PNS13_IS18_E10value_typeET4_jRbjT5_S1E_jjP12ihipStream_tbEUljE_ZNSN_ISO_Lb1ESQ_SR_ST_SU_SY_EESZ_S10_S11_S12_S16_S17_S18_S1B_S1C_jS1D_jS1E_S1E_jjS1G_bEUljE0_EEESZ_S10_S11_S18_S1C_S1E_T6_T7_T9_mT8_S1G_bDpT10_ENKUlT_T0_E_clISt17integral_constantIbLb1EES1U_EEDaS1P_S1Q_EUlS1P_E_NS1_11comp_targetILNS1_3genE10ELNS1_11target_archE1200ELNS1_3gpuE4ELNS1_3repE0EEENS1_30default_config_static_selectorELNS0_4arch9wavefront6targetE1EEEvS12_,@function
_ZN7rocprim17ROCPRIM_400000_NS6detail17trampoline_kernelINS0_13select_configILj256ELj13ELNS0_17block_load_methodE3ELS4_3ELS4_3ELNS0_20block_scan_algorithmE0ELj4294967295EEENS1_25partition_config_selectorILNS1_17partition_subalgoE4EjNS0_10empty_typeEbEEZZNS1_14partition_implILS8_4ELb0ES6_15HIP_vector_typeIjLj2EENS0_17counting_iteratorIjlEEPS9_SG_NS0_5tupleIJPjSI_NS0_16reverse_iteratorISI_EEEEENSH_IJSG_SG_SG_EEES9_SI_JZNS1_25segmented_radix_sort_implINS0_14default_configELb1EPKsPsPKlPlN2at6native12_GLOBAL__N_18offset_tEEE10hipError_tPvRmT1_PNSt15iterator_traitsIS12_E10value_typeET2_T3_PNS13_IS18_E10value_typeET4_jRbjT5_S1E_jjP12ihipStream_tbEUljE_ZNSN_ISO_Lb1ESQ_SR_ST_SU_SY_EESZ_S10_S11_S12_S16_S17_S18_S1B_S1C_jS1D_jS1E_S1E_jjS1G_bEUljE0_EEESZ_S10_S11_S18_S1C_S1E_T6_T7_T9_mT8_S1G_bDpT10_ENKUlT_T0_E_clISt17integral_constantIbLb1EES1U_EEDaS1P_S1Q_EUlS1P_E_NS1_11comp_targetILNS1_3genE10ELNS1_11target_archE1200ELNS1_3gpuE4ELNS1_3repE0EEENS1_30default_config_static_selectorELNS0_4arch9wavefront6targetE1EEEvS12_: ; @_ZN7rocprim17ROCPRIM_400000_NS6detail17trampoline_kernelINS0_13select_configILj256ELj13ELNS0_17block_load_methodE3ELS4_3ELS4_3ELNS0_20block_scan_algorithmE0ELj4294967295EEENS1_25partition_config_selectorILNS1_17partition_subalgoE4EjNS0_10empty_typeEbEEZZNS1_14partition_implILS8_4ELb0ES6_15HIP_vector_typeIjLj2EENS0_17counting_iteratorIjlEEPS9_SG_NS0_5tupleIJPjSI_NS0_16reverse_iteratorISI_EEEEENSH_IJSG_SG_SG_EEES9_SI_JZNS1_25segmented_radix_sort_implINS0_14default_configELb1EPKsPsPKlPlN2at6native12_GLOBAL__N_18offset_tEEE10hipError_tPvRmT1_PNSt15iterator_traitsIS12_E10value_typeET2_T3_PNS13_IS18_E10value_typeET4_jRbjT5_S1E_jjP12ihipStream_tbEUljE_ZNSN_ISO_Lb1ESQ_SR_ST_SU_SY_EESZ_S10_S11_S12_S16_S17_S18_S1B_S1C_jS1D_jS1E_S1E_jjS1G_bEUljE0_EEESZ_S10_S11_S18_S1C_S1E_T6_T7_T9_mT8_S1G_bDpT10_ENKUlT_T0_E_clISt17integral_constantIbLb1EES1U_EEDaS1P_S1Q_EUlS1P_E_NS1_11comp_targetILNS1_3genE10ELNS1_11target_archE1200ELNS1_3gpuE4ELNS1_3repE0EEENS1_30default_config_static_selectorELNS0_4arch9wavefront6targetE1EEEvS12_
; %bb.0:
	.section	.rodata,"a",@progbits
	.p2align	6, 0x0
	.amdhsa_kernel _ZN7rocprim17ROCPRIM_400000_NS6detail17trampoline_kernelINS0_13select_configILj256ELj13ELNS0_17block_load_methodE3ELS4_3ELS4_3ELNS0_20block_scan_algorithmE0ELj4294967295EEENS1_25partition_config_selectorILNS1_17partition_subalgoE4EjNS0_10empty_typeEbEEZZNS1_14partition_implILS8_4ELb0ES6_15HIP_vector_typeIjLj2EENS0_17counting_iteratorIjlEEPS9_SG_NS0_5tupleIJPjSI_NS0_16reverse_iteratorISI_EEEEENSH_IJSG_SG_SG_EEES9_SI_JZNS1_25segmented_radix_sort_implINS0_14default_configELb1EPKsPsPKlPlN2at6native12_GLOBAL__N_18offset_tEEE10hipError_tPvRmT1_PNSt15iterator_traitsIS12_E10value_typeET2_T3_PNS13_IS18_E10value_typeET4_jRbjT5_S1E_jjP12ihipStream_tbEUljE_ZNSN_ISO_Lb1ESQ_SR_ST_SU_SY_EESZ_S10_S11_S12_S16_S17_S18_S1B_S1C_jS1D_jS1E_S1E_jjS1G_bEUljE0_EEESZ_S10_S11_S18_S1C_S1E_T6_T7_T9_mT8_S1G_bDpT10_ENKUlT_T0_E_clISt17integral_constantIbLb1EES1U_EEDaS1P_S1Q_EUlS1P_E_NS1_11comp_targetILNS1_3genE10ELNS1_11target_archE1200ELNS1_3gpuE4ELNS1_3repE0EEENS1_30default_config_static_selectorELNS0_4arch9wavefront6targetE1EEEvS12_
		.amdhsa_group_segment_fixed_size 0
		.amdhsa_private_segment_fixed_size 0
		.amdhsa_kernarg_size 184
		.amdhsa_user_sgpr_count 6
		.amdhsa_user_sgpr_private_segment_buffer 1
		.amdhsa_user_sgpr_dispatch_ptr 0
		.amdhsa_user_sgpr_queue_ptr 0
		.amdhsa_user_sgpr_kernarg_segment_ptr 1
		.amdhsa_user_sgpr_dispatch_id 0
		.amdhsa_user_sgpr_flat_scratch_init 0
		.amdhsa_user_sgpr_kernarg_preload_length 0
		.amdhsa_user_sgpr_kernarg_preload_offset 0
		.amdhsa_user_sgpr_private_segment_size 0
		.amdhsa_uses_dynamic_stack 0
		.amdhsa_system_sgpr_private_segment_wavefront_offset 0
		.amdhsa_system_sgpr_workgroup_id_x 1
		.amdhsa_system_sgpr_workgroup_id_y 0
		.amdhsa_system_sgpr_workgroup_id_z 0
		.amdhsa_system_sgpr_workgroup_info 0
		.amdhsa_system_vgpr_workitem_id 0
		.amdhsa_next_free_vgpr 1
		.amdhsa_next_free_sgpr 0
		.amdhsa_accum_offset 4
		.amdhsa_reserve_vcc 0
		.amdhsa_reserve_flat_scratch 0
		.amdhsa_float_round_mode_32 0
		.amdhsa_float_round_mode_16_64 0
		.amdhsa_float_denorm_mode_32 3
		.amdhsa_float_denorm_mode_16_64 3
		.amdhsa_dx10_clamp 1
		.amdhsa_ieee_mode 1
		.amdhsa_fp16_overflow 0
		.amdhsa_tg_split 0
		.amdhsa_exception_fp_ieee_invalid_op 0
		.amdhsa_exception_fp_denorm_src 0
		.amdhsa_exception_fp_ieee_div_zero 0
		.amdhsa_exception_fp_ieee_overflow 0
		.amdhsa_exception_fp_ieee_underflow 0
		.amdhsa_exception_fp_ieee_inexact 0
		.amdhsa_exception_int_div_zero 0
	.end_amdhsa_kernel
	.section	.text._ZN7rocprim17ROCPRIM_400000_NS6detail17trampoline_kernelINS0_13select_configILj256ELj13ELNS0_17block_load_methodE3ELS4_3ELS4_3ELNS0_20block_scan_algorithmE0ELj4294967295EEENS1_25partition_config_selectorILNS1_17partition_subalgoE4EjNS0_10empty_typeEbEEZZNS1_14partition_implILS8_4ELb0ES6_15HIP_vector_typeIjLj2EENS0_17counting_iteratorIjlEEPS9_SG_NS0_5tupleIJPjSI_NS0_16reverse_iteratorISI_EEEEENSH_IJSG_SG_SG_EEES9_SI_JZNS1_25segmented_radix_sort_implINS0_14default_configELb1EPKsPsPKlPlN2at6native12_GLOBAL__N_18offset_tEEE10hipError_tPvRmT1_PNSt15iterator_traitsIS12_E10value_typeET2_T3_PNS13_IS18_E10value_typeET4_jRbjT5_S1E_jjP12ihipStream_tbEUljE_ZNSN_ISO_Lb1ESQ_SR_ST_SU_SY_EESZ_S10_S11_S12_S16_S17_S18_S1B_S1C_jS1D_jS1E_S1E_jjS1G_bEUljE0_EEESZ_S10_S11_S18_S1C_S1E_T6_T7_T9_mT8_S1G_bDpT10_ENKUlT_T0_E_clISt17integral_constantIbLb1EES1U_EEDaS1P_S1Q_EUlS1P_E_NS1_11comp_targetILNS1_3genE10ELNS1_11target_archE1200ELNS1_3gpuE4ELNS1_3repE0EEENS1_30default_config_static_selectorELNS0_4arch9wavefront6targetE1EEEvS12_,"axG",@progbits,_ZN7rocprim17ROCPRIM_400000_NS6detail17trampoline_kernelINS0_13select_configILj256ELj13ELNS0_17block_load_methodE3ELS4_3ELS4_3ELNS0_20block_scan_algorithmE0ELj4294967295EEENS1_25partition_config_selectorILNS1_17partition_subalgoE4EjNS0_10empty_typeEbEEZZNS1_14partition_implILS8_4ELb0ES6_15HIP_vector_typeIjLj2EENS0_17counting_iteratorIjlEEPS9_SG_NS0_5tupleIJPjSI_NS0_16reverse_iteratorISI_EEEEENSH_IJSG_SG_SG_EEES9_SI_JZNS1_25segmented_radix_sort_implINS0_14default_configELb1EPKsPsPKlPlN2at6native12_GLOBAL__N_18offset_tEEE10hipError_tPvRmT1_PNSt15iterator_traitsIS12_E10value_typeET2_T3_PNS13_IS18_E10value_typeET4_jRbjT5_S1E_jjP12ihipStream_tbEUljE_ZNSN_ISO_Lb1ESQ_SR_ST_SU_SY_EESZ_S10_S11_S12_S16_S17_S18_S1B_S1C_jS1D_jS1E_S1E_jjS1G_bEUljE0_EEESZ_S10_S11_S18_S1C_S1E_T6_T7_T9_mT8_S1G_bDpT10_ENKUlT_T0_E_clISt17integral_constantIbLb1EES1U_EEDaS1P_S1Q_EUlS1P_E_NS1_11comp_targetILNS1_3genE10ELNS1_11target_archE1200ELNS1_3gpuE4ELNS1_3repE0EEENS1_30default_config_static_selectorELNS0_4arch9wavefront6targetE1EEEvS12_,comdat
.Lfunc_end860:
	.size	_ZN7rocprim17ROCPRIM_400000_NS6detail17trampoline_kernelINS0_13select_configILj256ELj13ELNS0_17block_load_methodE3ELS4_3ELS4_3ELNS0_20block_scan_algorithmE0ELj4294967295EEENS1_25partition_config_selectorILNS1_17partition_subalgoE4EjNS0_10empty_typeEbEEZZNS1_14partition_implILS8_4ELb0ES6_15HIP_vector_typeIjLj2EENS0_17counting_iteratorIjlEEPS9_SG_NS0_5tupleIJPjSI_NS0_16reverse_iteratorISI_EEEEENSH_IJSG_SG_SG_EEES9_SI_JZNS1_25segmented_radix_sort_implINS0_14default_configELb1EPKsPsPKlPlN2at6native12_GLOBAL__N_18offset_tEEE10hipError_tPvRmT1_PNSt15iterator_traitsIS12_E10value_typeET2_T3_PNS13_IS18_E10value_typeET4_jRbjT5_S1E_jjP12ihipStream_tbEUljE_ZNSN_ISO_Lb1ESQ_SR_ST_SU_SY_EESZ_S10_S11_S12_S16_S17_S18_S1B_S1C_jS1D_jS1E_S1E_jjS1G_bEUljE0_EEESZ_S10_S11_S18_S1C_S1E_T6_T7_T9_mT8_S1G_bDpT10_ENKUlT_T0_E_clISt17integral_constantIbLb1EES1U_EEDaS1P_S1Q_EUlS1P_E_NS1_11comp_targetILNS1_3genE10ELNS1_11target_archE1200ELNS1_3gpuE4ELNS1_3repE0EEENS1_30default_config_static_selectorELNS0_4arch9wavefront6targetE1EEEvS12_, .Lfunc_end860-_ZN7rocprim17ROCPRIM_400000_NS6detail17trampoline_kernelINS0_13select_configILj256ELj13ELNS0_17block_load_methodE3ELS4_3ELS4_3ELNS0_20block_scan_algorithmE0ELj4294967295EEENS1_25partition_config_selectorILNS1_17partition_subalgoE4EjNS0_10empty_typeEbEEZZNS1_14partition_implILS8_4ELb0ES6_15HIP_vector_typeIjLj2EENS0_17counting_iteratorIjlEEPS9_SG_NS0_5tupleIJPjSI_NS0_16reverse_iteratorISI_EEEEENSH_IJSG_SG_SG_EEES9_SI_JZNS1_25segmented_radix_sort_implINS0_14default_configELb1EPKsPsPKlPlN2at6native12_GLOBAL__N_18offset_tEEE10hipError_tPvRmT1_PNSt15iterator_traitsIS12_E10value_typeET2_T3_PNS13_IS18_E10value_typeET4_jRbjT5_S1E_jjP12ihipStream_tbEUljE_ZNSN_ISO_Lb1ESQ_SR_ST_SU_SY_EESZ_S10_S11_S12_S16_S17_S18_S1B_S1C_jS1D_jS1E_S1E_jjS1G_bEUljE0_EEESZ_S10_S11_S18_S1C_S1E_T6_T7_T9_mT8_S1G_bDpT10_ENKUlT_T0_E_clISt17integral_constantIbLb1EES1U_EEDaS1P_S1Q_EUlS1P_E_NS1_11comp_targetILNS1_3genE10ELNS1_11target_archE1200ELNS1_3gpuE4ELNS1_3repE0EEENS1_30default_config_static_selectorELNS0_4arch9wavefront6targetE1EEEvS12_
                                        ; -- End function
	.section	.AMDGPU.csdata,"",@progbits
; Kernel info:
; codeLenInByte = 0
; NumSgprs: 4
; NumVgprs: 0
; NumAgprs: 0
; TotalNumVgprs: 0
; ScratchSize: 0
; MemoryBound: 0
; FloatMode: 240
; IeeeMode: 1
; LDSByteSize: 0 bytes/workgroup (compile time only)
; SGPRBlocks: 0
; VGPRBlocks: 0
; NumSGPRsForWavesPerEU: 4
; NumVGPRsForWavesPerEU: 1
; AccumOffset: 4
; Occupancy: 8
; WaveLimiterHint : 0
; COMPUTE_PGM_RSRC2:SCRATCH_EN: 0
; COMPUTE_PGM_RSRC2:USER_SGPR: 6
; COMPUTE_PGM_RSRC2:TRAP_HANDLER: 0
; COMPUTE_PGM_RSRC2:TGID_X_EN: 1
; COMPUTE_PGM_RSRC2:TGID_Y_EN: 0
; COMPUTE_PGM_RSRC2:TGID_Z_EN: 0
; COMPUTE_PGM_RSRC2:TIDIG_COMP_CNT: 0
; COMPUTE_PGM_RSRC3_GFX90A:ACCUM_OFFSET: 0
; COMPUTE_PGM_RSRC3_GFX90A:TG_SPLIT: 0
	.section	.text._ZN7rocprim17ROCPRIM_400000_NS6detail17trampoline_kernelINS0_13select_configILj256ELj13ELNS0_17block_load_methodE3ELS4_3ELS4_3ELNS0_20block_scan_algorithmE0ELj4294967295EEENS1_25partition_config_selectorILNS1_17partition_subalgoE4EjNS0_10empty_typeEbEEZZNS1_14partition_implILS8_4ELb0ES6_15HIP_vector_typeIjLj2EENS0_17counting_iteratorIjlEEPS9_SG_NS0_5tupleIJPjSI_NS0_16reverse_iteratorISI_EEEEENSH_IJSG_SG_SG_EEES9_SI_JZNS1_25segmented_radix_sort_implINS0_14default_configELb1EPKsPsPKlPlN2at6native12_GLOBAL__N_18offset_tEEE10hipError_tPvRmT1_PNSt15iterator_traitsIS12_E10value_typeET2_T3_PNS13_IS18_E10value_typeET4_jRbjT5_S1E_jjP12ihipStream_tbEUljE_ZNSN_ISO_Lb1ESQ_SR_ST_SU_SY_EESZ_S10_S11_S12_S16_S17_S18_S1B_S1C_jS1D_jS1E_S1E_jjS1G_bEUljE0_EEESZ_S10_S11_S18_S1C_S1E_T6_T7_T9_mT8_S1G_bDpT10_ENKUlT_T0_E_clISt17integral_constantIbLb1EES1U_EEDaS1P_S1Q_EUlS1P_E_NS1_11comp_targetILNS1_3genE9ELNS1_11target_archE1100ELNS1_3gpuE3ELNS1_3repE0EEENS1_30default_config_static_selectorELNS0_4arch9wavefront6targetE1EEEvS12_,"axG",@progbits,_ZN7rocprim17ROCPRIM_400000_NS6detail17trampoline_kernelINS0_13select_configILj256ELj13ELNS0_17block_load_methodE3ELS4_3ELS4_3ELNS0_20block_scan_algorithmE0ELj4294967295EEENS1_25partition_config_selectorILNS1_17partition_subalgoE4EjNS0_10empty_typeEbEEZZNS1_14partition_implILS8_4ELb0ES6_15HIP_vector_typeIjLj2EENS0_17counting_iteratorIjlEEPS9_SG_NS0_5tupleIJPjSI_NS0_16reverse_iteratorISI_EEEEENSH_IJSG_SG_SG_EEES9_SI_JZNS1_25segmented_radix_sort_implINS0_14default_configELb1EPKsPsPKlPlN2at6native12_GLOBAL__N_18offset_tEEE10hipError_tPvRmT1_PNSt15iterator_traitsIS12_E10value_typeET2_T3_PNS13_IS18_E10value_typeET4_jRbjT5_S1E_jjP12ihipStream_tbEUljE_ZNSN_ISO_Lb1ESQ_SR_ST_SU_SY_EESZ_S10_S11_S12_S16_S17_S18_S1B_S1C_jS1D_jS1E_S1E_jjS1G_bEUljE0_EEESZ_S10_S11_S18_S1C_S1E_T6_T7_T9_mT8_S1G_bDpT10_ENKUlT_T0_E_clISt17integral_constantIbLb1EES1U_EEDaS1P_S1Q_EUlS1P_E_NS1_11comp_targetILNS1_3genE9ELNS1_11target_archE1100ELNS1_3gpuE3ELNS1_3repE0EEENS1_30default_config_static_selectorELNS0_4arch9wavefront6targetE1EEEvS12_,comdat
	.globl	_ZN7rocprim17ROCPRIM_400000_NS6detail17trampoline_kernelINS0_13select_configILj256ELj13ELNS0_17block_load_methodE3ELS4_3ELS4_3ELNS0_20block_scan_algorithmE0ELj4294967295EEENS1_25partition_config_selectorILNS1_17partition_subalgoE4EjNS0_10empty_typeEbEEZZNS1_14partition_implILS8_4ELb0ES6_15HIP_vector_typeIjLj2EENS0_17counting_iteratorIjlEEPS9_SG_NS0_5tupleIJPjSI_NS0_16reverse_iteratorISI_EEEEENSH_IJSG_SG_SG_EEES9_SI_JZNS1_25segmented_radix_sort_implINS0_14default_configELb1EPKsPsPKlPlN2at6native12_GLOBAL__N_18offset_tEEE10hipError_tPvRmT1_PNSt15iterator_traitsIS12_E10value_typeET2_T3_PNS13_IS18_E10value_typeET4_jRbjT5_S1E_jjP12ihipStream_tbEUljE_ZNSN_ISO_Lb1ESQ_SR_ST_SU_SY_EESZ_S10_S11_S12_S16_S17_S18_S1B_S1C_jS1D_jS1E_S1E_jjS1G_bEUljE0_EEESZ_S10_S11_S18_S1C_S1E_T6_T7_T9_mT8_S1G_bDpT10_ENKUlT_T0_E_clISt17integral_constantIbLb1EES1U_EEDaS1P_S1Q_EUlS1P_E_NS1_11comp_targetILNS1_3genE9ELNS1_11target_archE1100ELNS1_3gpuE3ELNS1_3repE0EEENS1_30default_config_static_selectorELNS0_4arch9wavefront6targetE1EEEvS12_ ; -- Begin function _ZN7rocprim17ROCPRIM_400000_NS6detail17trampoline_kernelINS0_13select_configILj256ELj13ELNS0_17block_load_methodE3ELS4_3ELS4_3ELNS0_20block_scan_algorithmE0ELj4294967295EEENS1_25partition_config_selectorILNS1_17partition_subalgoE4EjNS0_10empty_typeEbEEZZNS1_14partition_implILS8_4ELb0ES6_15HIP_vector_typeIjLj2EENS0_17counting_iteratorIjlEEPS9_SG_NS0_5tupleIJPjSI_NS0_16reverse_iteratorISI_EEEEENSH_IJSG_SG_SG_EEES9_SI_JZNS1_25segmented_radix_sort_implINS0_14default_configELb1EPKsPsPKlPlN2at6native12_GLOBAL__N_18offset_tEEE10hipError_tPvRmT1_PNSt15iterator_traitsIS12_E10value_typeET2_T3_PNS13_IS18_E10value_typeET4_jRbjT5_S1E_jjP12ihipStream_tbEUljE_ZNSN_ISO_Lb1ESQ_SR_ST_SU_SY_EESZ_S10_S11_S12_S16_S17_S18_S1B_S1C_jS1D_jS1E_S1E_jjS1G_bEUljE0_EEESZ_S10_S11_S18_S1C_S1E_T6_T7_T9_mT8_S1G_bDpT10_ENKUlT_T0_E_clISt17integral_constantIbLb1EES1U_EEDaS1P_S1Q_EUlS1P_E_NS1_11comp_targetILNS1_3genE9ELNS1_11target_archE1100ELNS1_3gpuE3ELNS1_3repE0EEENS1_30default_config_static_selectorELNS0_4arch9wavefront6targetE1EEEvS12_
	.p2align	8
	.type	_ZN7rocprim17ROCPRIM_400000_NS6detail17trampoline_kernelINS0_13select_configILj256ELj13ELNS0_17block_load_methodE3ELS4_3ELS4_3ELNS0_20block_scan_algorithmE0ELj4294967295EEENS1_25partition_config_selectorILNS1_17partition_subalgoE4EjNS0_10empty_typeEbEEZZNS1_14partition_implILS8_4ELb0ES6_15HIP_vector_typeIjLj2EENS0_17counting_iteratorIjlEEPS9_SG_NS0_5tupleIJPjSI_NS0_16reverse_iteratorISI_EEEEENSH_IJSG_SG_SG_EEES9_SI_JZNS1_25segmented_radix_sort_implINS0_14default_configELb1EPKsPsPKlPlN2at6native12_GLOBAL__N_18offset_tEEE10hipError_tPvRmT1_PNSt15iterator_traitsIS12_E10value_typeET2_T3_PNS13_IS18_E10value_typeET4_jRbjT5_S1E_jjP12ihipStream_tbEUljE_ZNSN_ISO_Lb1ESQ_SR_ST_SU_SY_EESZ_S10_S11_S12_S16_S17_S18_S1B_S1C_jS1D_jS1E_S1E_jjS1G_bEUljE0_EEESZ_S10_S11_S18_S1C_S1E_T6_T7_T9_mT8_S1G_bDpT10_ENKUlT_T0_E_clISt17integral_constantIbLb1EES1U_EEDaS1P_S1Q_EUlS1P_E_NS1_11comp_targetILNS1_3genE9ELNS1_11target_archE1100ELNS1_3gpuE3ELNS1_3repE0EEENS1_30default_config_static_selectorELNS0_4arch9wavefront6targetE1EEEvS12_,@function
_ZN7rocprim17ROCPRIM_400000_NS6detail17trampoline_kernelINS0_13select_configILj256ELj13ELNS0_17block_load_methodE3ELS4_3ELS4_3ELNS0_20block_scan_algorithmE0ELj4294967295EEENS1_25partition_config_selectorILNS1_17partition_subalgoE4EjNS0_10empty_typeEbEEZZNS1_14partition_implILS8_4ELb0ES6_15HIP_vector_typeIjLj2EENS0_17counting_iteratorIjlEEPS9_SG_NS0_5tupleIJPjSI_NS0_16reverse_iteratorISI_EEEEENSH_IJSG_SG_SG_EEES9_SI_JZNS1_25segmented_radix_sort_implINS0_14default_configELb1EPKsPsPKlPlN2at6native12_GLOBAL__N_18offset_tEEE10hipError_tPvRmT1_PNSt15iterator_traitsIS12_E10value_typeET2_T3_PNS13_IS18_E10value_typeET4_jRbjT5_S1E_jjP12ihipStream_tbEUljE_ZNSN_ISO_Lb1ESQ_SR_ST_SU_SY_EESZ_S10_S11_S12_S16_S17_S18_S1B_S1C_jS1D_jS1E_S1E_jjS1G_bEUljE0_EEESZ_S10_S11_S18_S1C_S1E_T6_T7_T9_mT8_S1G_bDpT10_ENKUlT_T0_E_clISt17integral_constantIbLb1EES1U_EEDaS1P_S1Q_EUlS1P_E_NS1_11comp_targetILNS1_3genE9ELNS1_11target_archE1100ELNS1_3gpuE3ELNS1_3repE0EEENS1_30default_config_static_selectorELNS0_4arch9wavefront6targetE1EEEvS12_: ; @_ZN7rocprim17ROCPRIM_400000_NS6detail17trampoline_kernelINS0_13select_configILj256ELj13ELNS0_17block_load_methodE3ELS4_3ELS4_3ELNS0_20block_scan_algorithmE0ELj4294967295EEENS1_25partition_config_selectorILNS1_17partition_subalgoE4EjNS0_10empty_typeEbEEZZNS1_14partition_implILS8_4ELb0ES6_15HIP_vector_typeIjLj2EENS0_17counting_iteratorIjlEEPS9_SG_NS0_5tupleIJPjSI_NS0_16reverse_iteratorISI_EEEEENSH_IJSG_SG_SG_EEES9_SI_JZNS1_25segmented_radix_sort_implINS0_14default_configELb1EPKsPsPKlPlN2at6native12_GLOBAL__N_18offset_tEEE10hipError_tPvRmT1_PNSt15iterator_traitsIS12_E10value_typeET2_T3_PNS13_IS18_E10value_typeET4_jRbjT5_S1E_jjP12ihipStream_tbEUljE_ZNSN_ISO_Lb1ESQ_SR_ST_SU_SY_EESZ_S10_S11_S12_S16_S17_S18_S1B_S1C_jS1D_jS1E_S1E_jjS1G_bEUljE0_EEESZ_S10_S11_S18_S1C_S1E_T6_T7_T9_mT8_S1G_bDpT10_ENKUlT_T0_E_clISt17integral_constantIbLb1EES1U_EEDaS1P_S1Q_EUlS1P_E_NS1_11comp_targetILNS1_3genE9ELNS1_11target_archE1100ELNS1_3gpuE3ELNS1_3repE0EEENS1_30default_config_static_selectorELNS0_4arch9wavefront6targetE1EEEvS12_
; %bb.0:
	.section	.rodata,"a",@progbits
	.p2align	6, 0x0
	.amdhsa_kernel _ZN7rocprim17ROCPRIM_400000_NS6detail17trampoline_kernelINS0_13select_configILj256ELj13ELNS0_17block_load_methodE3ELS4_3ELS4_3ELNS0_20block_scan_algorithmE0ELj4294967295EEENS1_25partition_config_selectorILNS1_17partition_subalgoE4EjNS0_10empty_typeEbEEZZNS1_14partition_implILS8_4ELb0ES6_15HIP_vector_typeIjLj2EENS0_17counting_iteratorIjlEEPS9_SG_NS0_5tupleIJPjSI_NS0_16reverse_iteratorISI_EEEEENSH_IJSG_SG_SG_EEES9_SI_JZNS1_25segmented_radix_sort_implINS0_14default_configELb1EPKsPsPKlPlN2at6native12_GLOBAL__N_18offset_tEEE10hipError_tPvRmT1_PNSt15iterator_traitsIS12_E10value_typeET2_T3_PNS13_IS18_E10value_typeET4_jRbjT5_S1E_jjP12ihipStream_tbEUljE_ZNSN_ISO_Lb1ESQ_SR_ST_SU_SY_EESZ_S10_S11_S12_S16_S17_S18_S1B_S1C_jS1D_jS1E_S1E_jjS1G_bEUljE0_EEESZ_S10_S11_S18_S1C_S1E_T6_T7_T9_mT8_S1G_bDpT10_ENKUlT_T0_E_clISt17integral_constantIbLb1EES1U_EEDaS1P_S1Q_EUlS1P_E_NS1_11comp_targetILNS1_3genE9ELNS1_11target_archE1100ELNS1_3gpuE3ELNS1_3repE0EEENS1_30default_config_static_selectorELNS0_4arch9wavefront6targetE1EEEvS12_
		.amdhsa_group_segment_fixed_size 0
		.amdhsa_private_segment_fixed_size 0
		.amdhsa_kernarg_size 184
		.amdhsa_user_sgpr_count 6
		.amdhsa_user_sgpr_private_segment_buffer 1
		.amdhsa_user_sgpr_dispatch_ptr 0
		.amdhsa_user_sgpr_queue_ptr 0
		.amdhsa_user_sgpr_kernarg_segment_ptr 1
		.amdhsa_user_sgpr_dispatch_id 0
		.amdhsa_user_sgpr_flat_scratch_init 0
		.amdhsa_user_sgpr_kernarg_preload_length 0
		.amdhsa_user_sgpr_kernarg_preload_offset 0
		.amdhsa_user_sgpr_private_segment_size 0
		.amdhsa_uses_dynamic_stack 0
		.amdhsa_system_sgpr_private_segment_wavefront_offset 0
		.amdhsa_system_sgpr_workgroup_id_x 1
		.amdhsa_system_sgpr_workgroup_id_y 0
		.amdhsa_system_sgpr_workgroup_id_z 0
		.amdhsa_system_sgpr_workgroup_info 0
		.amdhsa_system_vgpr_workitem_id 0
		.amdhsa_next_free_vgpr 1
		.amdhsa_next_free_sgpr 0
		.amdhsa_accum_offset 4
		.amdhsa_reserve_vcc 0
		.amdhsa_reserve_flat_scratch 0
		.amdhsa_float_round_mode_32 0
		.amdhsa_float_round_mode_16_64 0
		.amdhsa_float_denorm_mode_32 3
		.amdhsa_float_denorm_mode_16_64 3
		.amdhsa_dx10_clamp 1
		.amdhsa_ieee_mode 1
		.amdhsa_fp16_overflow 0
		.amdhsa_tg_split 0
		.amdhsa_exception_fp_ieee_invalid_op 0
		.amdhsa_exception_fp_denorm_src 0
		.amdhsa_exception_fp_ieee_div_zero 0
		.amdhsa_exception_fp_ieee_overflow 0
		.amdhsa_exception_fp_ieee_underflow 0
		.amdhsa_exception_fp_ieee_inexact 0
		.amdhsa_exception_int_div_zero 0
	.end_amdhsa_kernel
	.section	.text._ZN7rocprim17ROCPRIM_400000_NS6detail17trampoline_kernelINS0_13select_configILj256ELj13ELNS0_17block_load_methodE3ELS4_3ELS4_3ELNS0_20block_scan_algorithmE0ELj4294967295EEENS1_25partition_config_selectorILNS1_17partition_subalgoE4EjNS0_10empty_typeEbEEZZNS1_14partition_implILS8_4ELb0ES6_15HIP_vector_typeIjLj2EENS0_17counting_iteratorIjlEEPS9_SG_NS0_5tupleIJPjSI_NS0_16reverse_iteratorISI_EEEEENSH_IJSG_SG_SG_EEES9_SI_JZNS1_25segmented_radix_sort_implINS0_14default_configELb1EPKsPsPKlPlN2at6native12_GLOBAL__N_18offset_tEEE10hipError_tPvRmT1_PNSt15iterator_traitsIS12_E10value_typeET2_T3_PNS13_IS18_E10value_typeET4_jRbjT5_S1E_jjP12ihipStream_tbEUljE_ZNSN_ISO_Lb1ESQ_SR_ST_SU_SY_EESZ_S10_S11_S12_S16_S17_S18_S1B_S1C_jS1D_jS1E_S1E_jjS1G_bEUljE0_EEESZ_S10_S11_S18_S1C_S1E_T6_T7_T9_mT8_S1G_bDpT10_ENKUlT_T0_E_clISt17integral_constantIbLb1EES1U_EEDaS1P_S1Q_EUlS1P_E_NS1_11comp_targetILNS1_3genE9ELNS1_11target_archE1100ELNS1_3gpuE3ELNS1_3repE0EEENS1_30default_config_static_selectorELNS0_4arch9wavefront6targetE1EEEvS12_,"axG",@progbits,_ZN7rocprim17ROCPRIM_400000_NS6detail17trampoline_kernelINS0_13select_configILj256ELj13ELNS0_17block_load_methodE3ELS4_3ELS4_3ELNS0_20block_scan_algorithmE0ELj4294967295EEENS1_25partition_config_selectorILNS1_17partition_subalgoE4EjNS0_10empty_typeEbEEZZNS1_14partition_implILS8_4ELb0ES6_15HIP_vector_typeIjLj2EENS0_17counting_iteratorIjlEEPS9_SG_NS0_5tupleIJPjSI_NS0_16reverse_iteratorISI_EEEEENSH_IJSG_SG_SG_EEES9_SI_JZNS1_25segmented_radix_sort_implINS0_14default_configELb1EPKsPsPKlPlN2at6native12_GLOBAL__N_18offset_tEEE10hipError_tPvRmT1_PNSt15iterator_traitsIS12_E10value_typeET2_T3_PNS13_IS18_E10value_typeET4_jRbjT5_S1E_jjP12ihipStream_tbEUljE_ZNSN_ISO_Lb1ESQ_SR_ST_SU_SY_EESZ_S10_S11_S12_S16_S17_S18_S1B_S1C_jS1D_jS1E_S1E_jjS1G_bEUljE0_EEESZ_S10_S11_S18_S1C_S1E_T6_T7_T9_mT8_S1G_bDpT10_ENKUlT_T0_E_clISt17integral_constantIbLb1EES1U_EEDaS1P_S1Q_EUlS1P_E_NS1_11comp_targetILNS1_3genE9ELNS1_11target_archE1100ELNS1_3gpuE3ELNS1_3repE0EEENS1_30default_config_static_selectorELNS0_4arch9wavefront6targetE1EEEvS12_,comdat
.Lfunc_end861:
	.size	_ZN7rocprim17ROCPRIM_400000_NS6detail17trampoline_kernelINS0_13select_configILj256ELj13ELNS0_17block_load_methodE3ELS4_3ELS4_3ELNS0_20block_scan_algorithmE0ELj4294967295EEENS1_25partition_config_selectorILNS1_17partition_subalgoE4EjNS0_10empty_typeEbEEZZNS1_14partition_implILS8_4ELb0ES6_15HIP_vector_typeIjLj2EENS0_17counting_iteratorIjlEEPS9_SG_NS0_5tupleIJPjSI_NS0_16reverse_iteratorISI_EEEEENSH_IJSG_SG_SG_EEES9_SI_JZNS1_25segmented_radix_sort_implINS0_14default_configELb1EPKsPsPKlPlN2at6native12_GLOBAL__N_18offset_tEEE10hipError_tPvRmT1_PNSt15iterator_traitsIS12_E10value_typeET2_T3_PNS13_IS18_E10value_typeET4_jRbjT5_S1E_jjP12ihipStream_tbEUljE_ZNSN_ISO_Lb1ESQ_SR_ST_SU_SY_EESZ_S10_S11_S12_S16_S17_S18_S1B_S1C_jS1D_jS1E_S1E_jjS1G_bEUljE0_EEESZ_S10_S11_S18_S1C_S1E_T6_T7_T9_mT8_S1G_bDpT10_ENKUlT_T0_E_clISt17integral_constantIbLb1EES1U_EEDaS1P_S1Q_EUlS1P_E_NS1_11comp_targetILNS1_3genE9ELNS1_11target_archE1100ELNS1_3gpuE3ELNS1_3repE0EEENS1_30default_config_static_selectorELNS0_4arch9wavefront6targetE1EEEvS12_, .Lfunc_end861-_ZN7rocprim17ROCPRIM_400000_NS6detail17trampoline_kernelINS0_13select_configILj256ELj13ELNS0_17block_load_methodE3ELS4_3ELS4_3ELNS0_20block_scan_algorithmE0ELj4294967295EEENS1_25partition_config_selectorILNS1_17partition_subalgoE4EjNS0_10empty_typeEbEEZZNS1_14partition_implILS8_4ELb0ES6_15HIP_vector_typeIjLj2EENS0_17counting_iteratorIjlEEPS9_SG_NS0_5tupleIJPjSI_NS0_16reverse_iteratorISI_EEEEENSH_IJSG_SG_SG_EEES9_SI_JZNS1_25segmented_radix_sort_implINS0_14default_configELb1EPKsPsPKlPlN2at6native12_GLOBAL__N_18offset_tEEE10hipError_tPvRmT1_PNSt15iterator_traitsIS12_E10value_typeET2_T3_PNS13_IS18_E10value_typeET4_jRbjT5_S1E_jjP12ihipStream_tbEUljE_ZNSN_ISO_Lb1ESQ_SR_ST_SU_SY_EESZ_S10_S11_S12_S16_S17_S18_S1B_S1C_jS1D_jS1E_S1E_jjS1G_bEUljE0_EEESZ_S10_S11_S18_S1C_S1E_T6_T7_T9_mT8_S1G_bDpT10_ENKUlT_T0_E_clISt17integral_constantIbLb1EES1U_EEDaS1P_S1Q_EUlS1P_E_NS1_11comp_targetILNS1_3genE9ELNS1_11target_archE1100ELNS1_3gpuE3ELNS1_3repE0EEENS1_30default_config_static_selectorELNS0_4arch9wavefront6targetE1EEEvS12_
                                        ; -- End function
	.section	.AMDGPU.csdata,"",@progbits
; Kernel info:
; codeLenInByte = 0
; NumSgprs: 4
; NumVgprs: 0
; NumAgprs: 0
; TotalNumVgprs: 0
; ScratchSize: 0
; MemoryBound: 0
; FloatMode: 240
; IeeeMode: 1
; LDSByteSize: 0 bytes/workgroup (compile time only)
; SGPRBlocks: 0
; VGPRBlocks: 0
; NumSGPRsForWavesPerEU: 4
; NumVGPRsForWavesPerEU: 1
; AccumOffset: 4
; Occupancy: 8
; WaveLimiterHint : 0
; COMPUTE_PGM_RSRC2:SCRATCH_EN: 0
; COMPUTE_PGM_RSRC2:USER_SGPR: 6
; COMPUTE_PGM_RSRC2:TRAP_HANDLER: 0
; COMPUTE_PGM_RSRC2:TGID_X_EN: 1
; COMPUTE_PGM_RSRC2:TGID_Y_EN: 0
; COMPUTE_PGM_RSRC2:TGID_Z_EN: 0
; COMPUTE_PGM_RSRC2:TIDIG_COMP_CNT: 0
; COMPUTE_PGM_RSRC3_GFX90A:ACCUM_OFFSET: 0
; COMPUTE_PGM_RSRC3_GFX90A:TG_SPLIT: 0
	.section	.text._ZN7rocprim17ROCPRIM_400000_NS6detail17trampoline_kernelINS0_13select_configILj256ELj13ELNS0_17block_load_methodE3ELS4_3ELS4_3ELNS0_20block_scan_algorithmE0ELj4294967295EEENS1_25partition_config_selectorILNS1_17partition_subalgoE4EjNS0_10empty_typeEbEEZZNS1_14partition_implILS8_4ELb0ES6_15HIP_vector_typeIjLj2EENS0_17counting_iteratorIjlEEPS9_SG_NS0_5tupleIJPjSI_NS0_16reverse_iteratorISI_EEEEENSH_IJSG_SG_SG_EEES9_SI_JZNS1_25segmented_radix_sort_implINS0_14default_configELb1EPKsPsPKlPlN2at6native12_GLOBAL__N_18offset_tEEE10hipError_tPvRmT1_PNSt15iterator_traitsIS12_E10value_typeET2_T3_PNS13_IS18_E10value_typeET4_jRbjT5_S1E_jjP12ihipStream_tbEUljE_ZNSN_ISO_Lb1ESQ_SR_ST_SU_SY_EESZ_S10_S11_S12_S16_S17_S18_S1B_S1C_jS1D_jS1E_S1E_jjS1G_bEUljE0_EEESZ_S10_S11_S18_S1C_S1E_T6_T7_T9_mT8_S1G_bDpT10_ENKUlT_T0_E_clISt17integral_constantIbLb1EES1U_EEDaS1P_S1Q_EUlS1P_E_NS1_11comp_targetILNS1_3genE8ELNS1_11target_archE1030ELNS1_3gpuE2ELNS1_3repE0EEENS1_30default_config_static_selectorELNS0_4arch9wavefront6targetE1EEEvS12_,"axG",@progbits,_ZN7rocprim17ROCPRIM_400000_NS6detail17trampoline_kernelINS0_13select_configILj256ELj13ELNS0_17block_load_methodE3ELS4_3ELS4_3ELNS0_20block_scan_algorithmE0ELj4294967295EEENS1_25partition_config_selectorILNS1_17partition_subalgoE4EjNS0_10empty_typeEbEEZZNS1_14partition_implILS8_4ELb0ES6_15HIP_vector_typeIjLj2EENS0_17counting_iteratorIjlEEPS9_SG_NS0_5tupleIJPjSI_NS0_16reverse_iteratorISI_EEEEENSH_IJSG_SG_SG_EEES9_SI_JZNS1_25segmented_radix_sort_implINS0_14default_configELb1EPKsPsPKlPlN2at6native12_GLOBAL__N_18offset_tEEE10hipError_tPvRmT1_PNSt15iterator_traitsIS12_E10value_typeET2_T3_PNS13_IS18_E10value_typeET4_jRbjT5_S1E_jjP12ihipStream_tbEUljE_ZNSN_ISO_Lb1ESQ_SR_ST_SU_SY_EESZ_S10_S11_S12_S16_S17_S18_S1B_S1C_jS1D_jS1E_S1E_jjS1G_bEUljE0_EEESZ_S10_S11_S18_S1C_S1E_T6_T7_T9_mT8_S1G_bDpT10_ENKUlT_T0_E_clISt17integral_constantIbLb1EES1U_EEDaS1P_S1Q_EUlS1P_E_NS1_11comp_targetILNS1_3genE8ELNS1_11target_archE1030ELNS1_3gpuE2ELNS1_3repE0EEENS1_30default_config_static_selectorELNS0_4arch9wavefront6targetE1EEEvS12_,comdat
	.globl	_ZN7rocprim17ROCPRIM_400000_NS6detail17trampoline_kernelINS0_13select_configILj256ELj13ELNS0_17block_load_methodE3ELS4_3ELS4_3ELNS0_20block_scan_algorithmE0ELj4294967295EEENS1_25partition_config_selectorILNS1_17partition_subalgoE4EjNS0_10empty_typeEbEEZZNS1_14partition_implILS8_4ELb0ES6_15HIP_vector_typeIjLj2EENS0_17counting_iteratorIjlEEPS9_SG_NS0_5tupleIJPjSI_NS0_16reverse_iteratorISI_EEEEENSH_IJSG_SG_SG_EEES9_SI_JZNS1_25segmented_radix_sort_implINS0_14default_configELb1EPKsPsPKlPlN2at6native12_GLOBAL__N_18offset_tEEE10hipError_tPvRmT1_PNSt15iterator_traitsIS12_E10value_typeET2_T3_PNS13_IS18_E10value_typeET4_jRbjT5_S1E_jjP12ihipStream_tbEUljE_ZNSN_ISO_Lb1ESQ_SR_ST_SU_SY_EESZ_S10_S11_S12_S16_S17_S18_S1B_S1C_jS1D_jS1E_S1E_jjS1G_bEUljE0_EEESZ_S10_S11_S18_S1C_S1E_T6_T7_T9_mT8_S1G_bDpT10_ENKUlT_T0_E_clISt17integral_constantIbLb1EES1U_EEDaS1P_S1Q_EUlS1P_E_NS1_11comp_targetILNS1_3genE8ELNS1_11target_archE1030ELNS1_3gpuE2ELNS1_3repE0EEENS1_30default_config_static_selectorELNS0_4arch9wavefront6targetE1EEEvS12_ ; -- Begin function _ZN7rocprim17ROCPRIM_400000_NS6detail17trampoline_kernelINS0_13select_configILj256ELj13ELNS0_17block_load_methodE3ELS4_3ELS4_3ELNS0_20block_scan_algorithmE0ELj4294967295EEENS1_25partition_config_selectorILNS1_17partition_subalgoE4EjNS0_10empty_typeEbEEZZNS1_14partition_implILS8_4ELb0ES6_15HIP_vector_typeIjLj2EENS0_17counting_iteratorIjlEEPS9_SG_NS0_5tupleIJPjSI_NS0_16reverse_iteratorISI_EEEEENSH_IJSG_SG_SG_EEES9_SI_JZNS1_25segmented_radix_sort_implINS0_14default_configELb1EPKsPsPKlPlN2at6native12_GLOBAL__N_18offset_tEEE10hipError_tPvRmT1_PNSt15iterator_traitsIS12_E10value_typeET2_T3_PNS13_IS18_E10value_typeET4_jRbjT5_S1E_jjP12ihipStream_tbEUljE_ZNSN_ISO_Lb1ESQ_SR_ST_SU_SY_EESZ_S10_S11_S12_S16_S17_S18_S1B_S1C_jS1D_jS1E_S1E_jjS1G_bEUljE0_EEESZ_S10_S11_S18_S1C_S1E_T6_T7_T9_mT8_S1G_bDpT10_ENKUlT_T0_E_clISt17integral_constantIbLb1EES1U_EEDaS1P_S1Q_EUlS1P_E_NS1_11comp_targetILNS1_3genE8ELNS1_11target_archE1030ELNS1_3gpuE2ELNS1_3repE0EEENS1_30default_config_static_selectorELNS0_4arch9wavefront6targetE1EEEvS12_
	.p2align	8
	.type	_ZN7rocprim17ROCPRIM_400000_NS6detail17trampoline_kernelINS0_13select_configILj256ELj13ELNS0_17block_load_methodE3ELS4_3ELS4_3ELNS0_20block_scan_algorithmE0ELj4294967295EEENS1_25partition_config_selectorILNS1_17partition_subalgoE4EjNS0_10empty_typeEbEEZZNS1_14partition_implILS8_4ELb0ES6_15HIP_vector_typeIjLj2EENS0_17counting_iteratorIjlEEPS9_SG_NS0_5tupleIJPjSI_NS0_16reverse_iteratorISI_EEEEENSH_IJSG_SG_SG_EEES9_SI_JZNS1_25segmented_radix_sort_implINS0_14default_configELb1EPKsPsPKlPlN2at6native12_GLOBAL__N_18offset_tEEE10hipError_tPvRmT1_PNSt15iterator_traitsIS12_E10value_typeET2_T3_PNS13_IS18_E10value_typeET4_jRbjT5_S1E_jjP12ihipStream_tbEUljE_ZNSN_ISO_Lb1ESQ_SR_ST_SU_SY_EESZ_S10_S11_S12_S16_S17_S18_S1B_S1C_jS1D_jS1E_S1E_jjS1G_bEUljE0_EEESZ_S10_S11_S18_S1C_S1E_T6_T7_T9_mT8_S1G_bDpT10_ENKUlT_T0_E_clISt17integral_constantIbLb1EES1U_EEDaS1P_S1Q_EUlS1P_E_NS1_11comp_targetILNS1_3genE8ELNS1_11target_archE1030ELNS1_3gpuE2ELNS1_3repE0EEENS1_30default_config_static_selectorELNS0_4arch9wavefront6targetE1EEEvS12_,@function
_ZN7rocprim17ROCPRIM_400000_NS6detail17trampoline_kernelINS0_13select_configILj256ELj13ELNS0_17block_load_methodE3ELS4_3ELS4_3ELNS0_20block_scan_algorithmE0ELj4294967295EEENS1_25partition_config_selectorILNS1_17partition_subalgoE4EjNS0_10empty_typeEbEEZZNS1_14partition_implILS8_4ELb0ES6_15HIP_vector_typeIjLj2EENS0_17counting_iteratorIjlEEPS9_SG_NS0_5tupleIJPjSI_NS0_16reverse_iteratorISI_EEEEENSH_IJSG_SG_SG_EEES9_SI_JZNS1_25segmented_radix_sort_implINS0_14default_configELb1EPKsPsPKlPlN2at6native12_GLOBAL__N_18offset_tEEE10hipError_tPvRmT1_PNSt15iterator_traitsIS12_E10value_typeET2_T3_PNS13_IS18_E10value_typeET4_jRbjT5_S1E_jjP12ihipStream_tbEUljE_ZNSN_ISO_Lb1ESQ_SR_ST_SU_SY_EESZ_S10_S11_S12_S16_S17_S18_S1B_S1C_jS1D_jS1E_S1E_jjS1G_bEUljE0_EEESZ_S10_S11_S18_S1C_S1E_T6_T7_T9_mT8_S1G_bDpT10_ENKUlT_T0_E_clISt17integral_constantIbLb1EES1U_EEDaS1P_S1Q_EUlS1P_E_NS1_11comp_targetILNS1_3genE8ELNS1_11target_archE1030ELNS1_3gpuE2ELNS1_3repE0EEENS1_30default_config_static_selectorELNS0_4arch9wavefront6targetE1EEEvS12_: ; @_ZN7rocprim17ROCPRIM_400000_NS6detail17trampoline_kernelINS0_13select_configILj256ELj13ELNS0_17block_load_methodE3ELS4_3ELS4_3ELNS0_20block_scan_algorithmE0ELj4294967295EEENS1_25partition_config_selectorILNS1_17partition_subalgoE4EjNS0_10empty_typeEbEEZZNS1_14partition_implILS8_4ELb0ES6_15HIP_vector_typeIjLj2EENS0_17counting_iteratorIjlEEPS9_SG_NS0_5tupleIJPjSI_NS0_16reverse_iteratorISI_EEEEENSH_IJSG_SG_SG_EEES9_SI_JZNS1_25segmented_radix_sort_implINS0_14default_configELb1EPKsPsPKlPlN2at6native12_GLOBAL__N_18offset_tEEE10hipError_tPvRmT1_PNSt15iterator_traitsIS12_E10value_typeET2_T3_PNS13_IS18_E10value_typeET4_jRbjT5_S1E_jjP12ihipStream_tbEUljE_ZNSN_ISO_Lb1ESQ_SR_ST_SU_SY_EESZ_S10_S11_S12_S16_S17_S18_S1B_S1C_jS1D_jS1E_S1E_jjS1G_bEUljE0_EEESZ_S10_S11_S18_S1C_S1E_T6_T7_T9_mT8_S1G_bDpT10_ENKUlT_T0_E_clISt17integral_constantIbLb1EES1U_EEDaS1P_S1Q_EUlS1P_E_NS1_11comp_targetILNS1_3genE8ELNS1_11target_archE1030ELNS1_3gpuE2ELNS1_3repE0EEENS1_30default_config_static_selectorELNS0_4arch9wavefront6targetE1EEEvS12_
; %bb.0:
	.section	.rodata,"a",@progbits
	.p2align	6, 0x0
	.amdhsa_kernel _ZN7rocprim17ROCPRIM_400000_NS6detail17trampoline_kernelINS0_13select_configILj256ELj13ELNS0_17block_load_methodE3ELS4_3ELS4_3ELNS0_20block_scan_algorithmE0ELj4294967295EEENS1_25partition_config_selectorILNS1_17partition_subalgoE4EjNS0_10empty_typeEbEEZZNS1_14partition_implILS8_4ELb0ES6_15HIP_vector_typeIjLj2EENS0_17counting_iteratorIjlEEPS9_SG_NS0_5tupleIJPjSI_NS0_16reverse_iteratorISI_EEEEENSH_IJSG_SG_SG_EEES9_SI_JZNS1_25segmented_radix_sort_implINS0_14default_configELb1EPKsPsPKlPlN2at6native12_GLOBAL__N_18offset_tEEE10hipError_tPvRmT1_PNSt15iterator_traitsIS12_E10value_typeET2_T3_PNS13_IS18_E10value_typeET4_jRbjT5_S1E_jjP12ihipStream_tbEUljE_ZNSN_ISO_Lb1ESQ_SR_ST_SU_SY_EESZ_S10_S11_S12_S16_S17_S18_S1B_S1C_jS1D_jS1E_S1E_jjS1G_bEUljE0_EEESZ_S10_S11_S18_S1C_S1E_T6_T7_T9_mT8_S1G_bDpT10_ENKUlT_T0_E_clISt17integral_constantIbLb1EES1U_EEDaS1P_S1Q_EUlS1P_E_NS1_11comp_targetILNS1_3genE8ELNS1_11target_archE1030ELNS1_3gpuE2ELNS1_3repE0EEENS1_30default_config_static_selectorELNS0_4arch9wavefront6targetE1EEEvS12_
		.amdhsa_group_segment_fixed_size 0
		.amdhsa_private_segment_fixed_size 0
		.amdhsa_kernarg_size 184
		.amdhsa_user_sgpr_count 6
		.amdhsa_user_sgpr_private_segment_buffer 1
		.amdhsa_user_sgpr_dispatch_ptr 0
		.amdhsa_user_sgpr_queue_ptr 0
		.amdhsa_user_sgpr_kernarg_segment_ptr 1
		.amdhsa_user_sgpr_dispatch_id 0
		.amdhsa_user_sgpr_flat_scratch_init 0
		.amdhsa_user_sgpr_kernarg_preload_length 0
		.amdhsa_user_sgpr_kernarg_preload_offset 0
		.amdhsa_user_sgpr_private_segment_size 0
		.amdhsa_uses_dynamic_stack 0
		.amdhsa_system_sgpr_private_segment_wavefront_offset 0
		.amdhsa_system_sgpr_workgroup_id_x 1
		.amdhsa_system_sgpr_workgroup_id_y 0
		.amdhsa_system_sgpr_workgroup_id_z 0
		.amdhsa_system_sgpr_workgroup_info 0
		.amdhsa_system_vgpr_workitem_id 0
		.amdhsa_next_free_vgpr 1
		.amdhsa_next_free_sgpr 0
		.amdhsa_accum_offset 4
		.amdhsa_reserve_vcc 0
		.amdhsa_reserve_flat_scratch 0
		.amdhsa_float_round_mode_32 0
		.amdhsa_float_round_mode_16_64 0
		.amdhsa_float_denorm_mode_32 3
		.amdhsa_float_denorm_mode_16_64 3
		.amdhsa_dx10_clamp 1
		.amdhsa_ieee_mode 1
		.amdhsa_fp16_overflow 0
		.amdhsa_tg_split 0
		.amdhsa_exception_fp_ieee_invalid_op 0
		.amdhsa_exception_fp_denorm_src 0
		.amdhsa_exception_fp_ieee_div_zero 0
		.amdhsa_exception_fp_ieee_overflow 0
		.amdhsa_exception_fp_ieee_underflow 0
		.amdhsa_exception_fp_ieee_inexact 0
		.amdhsa_exception_int_div_zero 0
	.end_amdhsa_kernel
	.section	.text._ZN7rocprim17ROCPRIM_400000_NS6detail17trampoline_kernelINS0_13select_configILj256ELj13ELNS0_17block_load_methodE3ELS4_3ELS4_3ELNS0_20block_scan_algorithmE0ELj4294967295EEENS1_25partition_config_selectorILNS1_17partition_subalgoE4EjNS0_10empty_typeEbEEZZNS1_14partition_implILS8_4ELb0ES6_15HIP_vector_typeIjLj2EENS0_17counting_iteratorIjlEEPS9_SG_NS0_5tupleIJPjSI_NS0_16reverse_iteratorISI_EEEEENSH_IJSG_SG_SG_EEES9_SI_JZNS1_25segmented_radix_sort_implINS0_14default_configELb1EPKsPsPKlPlN2at6native12_GLOBAL__N_18offset_tEEE10hipError_tPvRmT1_PNSt15iterator_traitsIS12_E10value_typeET2_T3_PNS13_IS18_E10value_typeET4_jRbjT5_S1E_jjP12ihipStream_tbEUljE_ZNSN_ISO_Lb1ESQ_SR_ST_SU_SY_EESZ_S10_S11_S12_S16_S17_S18_S1B_S1C_jS1D_jS1E_S1E_jjS1G_bEUljE0_EEESZ_S10_S11_S18_S1C_S1E_T6_T7_T9_mT8_S1G_bDpT10_ENKUlT_T0_E_clISt17integral_constantIbLb1EES1U_EEDaS1P_S1Q_EUlS1P_E_NS1_11comp_targetILNS1_3genE8ELNS1_11target_archE1030ELNS1_3gpuE2ELNS1_3repE0EEENS1_30default_config_static_selectorELNS0_4arch9wavefront6targetE1EEEvS12_,"axG",@progbits,_ZN7rocprim17ROCPRIM_400000_NS6detail17trampoline_kernelINS0_13select_configILj256ELj13ELNS0_17block_load_methodE3ELS4_3ELS4_3ELNS0_20block_scan_algorithmE0ELj4294967295EEENS1_25partition_config_selectorILNS1_17partition_subalgoE4EjNS0_10empty_typeEbEEZZNS1_14partition_implILS8_4ELb0ES6_15HIP_vector_typeIjLj2EENS0_17counting_iteratorIjlEEPS9_SG_NS0_5tupleIJPjSI_NS0_16reverse_iteratorISI_EEEEENSH_IJSG_SG_SG_EEES9_SI_JZNS1_25segmented_radix_sort_implINS0_14default_configELb1EPKsPsPKlPlN2at6native12_GLOBAL__N_18offset_tEEE10hipError_tPvRmT1_PNSt15iterator_traitsIS12_E10value_typeET2_T3_PNS13_IS18_E10value_typeET4_jRbjT5_S1E_jjP12ihipStream_tbEUljE_ZNSN_ISO_Lb1ESQ_SR_ST_SU_SY_EESZ_S10_S11_S12_S16_S17_S18_S1B_S1C_jS1D_jS1E_S1E_jjS1G_bEUljE0_EEESZ_S10_S11_S18_S1C_S1E_T6_T7_T9_mT8_S1G_bDpT10_ENKUlT_T0_E_clISt17integral_constantIbLb1EES1U_EEDaS1P_S1Q_EUlS1P_E_NS1_11comp_targetILNS1_3genE8ELNS1_11target_archE1030ELNS1_3gpuE2ELNS1_3repE0EEENS1_30default_config_static_selectorELNS0_4arch9wavefront6targetE1EEEvS12_,comdat
.Lfunc_end862:
	.size	_ZN7rocprim17ROCPRIM_400000_NS6detail17trampoline_kernelINS0_13select_configILj256ELj13ELNS0_17block_load_methodE3ELS4_3ELS4_3ELNS0_20block_scan_algorithmE0ELj4294967295EEENS1_25partition_config_selectorILNS1_17partition_subalgoE4EjNS0_10empty_typeEbEEZZNS1_14partition_implILS8_4ELb0ES6_15HIP_vector_typeIjLj2EENS0_17counting_iteratorIjlEEPS9_SG_NS0_5tupleIJPjSI_NS0_16reverse_iteratorISI_EEEEENSH_IJSG_SG_SG_EEES9_SI_JZNS1_25segmented_radix_sort_implINS0_14default_configELb1EPKsPsPKlPlN2at6native12_GLOBAL__N_18offset_tEEE10hipError_tPvRmT1_PNSt15iterator_traitsIS12_E10value_typeET2_T3_PNS13_IS18_E10value_typeET4_jRbjT5_S1E_jjP12ihipStream_tbEUljE_ZNSN_ISO_Lb1ESQ_SR_ST_SU_SY_EESZ_S10_S11_S12_S16_S17_S18_S1B_S1C_jS1D_jS1E_S1E_jjS1G_bEUljE0_EEESZ_S10_S11_S18_S1C_S1E_T6_T7_T9_mT8_S1G_bDpT10_ENKUlT_T0_E_clISt17integral_constantIbLb1EES1U_EEDaS1P_S1Q_EUlS1P_E_NS1_11comp_targetILNS1_3genE8ELNS1_11target_archE1030ELNS1_3gpuE2ELNS1_3repE0EEENS1_30default_config_static_selectorELNS0_4arch9wavefront6targetE1EEEvS12_, .Lfunc_end862-_ZN7rocprim17ROCPRIM_400000_NS6detail17trampoline_kernelINS0_13select_configILj256ELj13ELNS0_17block_load_methodE3ELS4_3ELS4_3ELNS0_20block_scan_algorithmE0ELj4294967295EEENS1_25partition_config_selectorILNS1_17partition_subalgoE4EjNS0_10empty_typeEbEEZZNS1_14partition_implILS8_4ELb0ES6_15HIP_vector_typeIjLj2EENS0_17counting_iteratorIjlEEPS9_SG_NS0_5tupleIJPjSI_NS0_16reverse_iteratorISI_EEEEENSH_IJSG_SG_SG_EEES9_SI_JZNS1_25segmented_radix_sort_implINS0_14default_configELb1EPKsPsPKlPlN2at6native12_GLOBAL__N_18offset_tEEE10hipError_tPvRmT1_PNSt15iterator_traitsIS12_E10value_typeET2_T3_PNS13_IS18_E10value_typeET4_jRbjT5_S1E_jjP12ihipStream_tbEUljE_ZNSN_ISO_Lb1ESQ_SR_ST_SU_SY_EESZ_S10_S11_S12_S16_S17_S18_S1B_S1C_jS1D_jS1E_S1E_jjS1G_bEUljE0_EEESZ_S10_S11_S18_S1C_S1E_T6_T7_T9_mT8_S1G_bDpT10_ENKUlT_T0_E_clISt17integral_constantIbLb1EES1U_EEDaS1P_S1Q_EUlS1P_E_NS1_11comp_targetILNS1_3genE8ELNS1_11target_archE1030ELNS1_3gpuE2ELNS1_3repE0EEENS1_30default_config_static_selectorELNS0_4arch9wavefront6targetE1EEEvS12_
                                        ; -- End function
	.section	.AMDGPU.csdata,"",@progbits
; Kernel info:
; codeLenInByte = 0
; NumSgprs: 4
; NumVgprs: 0
; NumAgprs: 0
; TotalNumVgprs: 0
; ScratchSize: 0
; MemoryBound: 0
; FloatMode: 240
; IeeeMode: 1
; LDSByteSize: 0 bytes/workgroup (compile time only)
; SGPRBlocks: 0
; VGPRBlocks: 0
; NumSGPRsForWavesPerEU: 4
; NumVGPRsForWavesPerEU: 1
; AccumOffset: 4
; Occupancy: 8
; WaveLimiterHint : 0
; COMPUTE_PGM_RSRC2:SCRATCH_EN: 0
; COMPUTE_PGM_RSRC2:USER_SGPR: 6
; COMPUTE_PGM_RSRC2:TRAP_HANDLER: 0
; COMPUTE_PGM_RSRC2:TGID_X_EN: 1
; COMPUTE_PGM_RSRC2:TGID_Y_EN: 0
; COMPUTE_PGM_RSRC2:TGID_Z_EN: 0
; COMPUTE_PGM_RSRC2:TIDIG_COMP_CNT: 0
; COMPUTE_PGM_RSRC3_GFX90A:ACCUM_OFFSET: 0
; COMPUTE_PGM_RSRC3_GFX90A:TG_SPLIT: 0
	.section	.text._ZN7rocprim17ROCPRIM_400000_NS6detail17trampoline_kernelINS0_13select_configILj256ELj13ELNS0_17block_load_methodE3ELS4_3ELS4_3ELNS0_20block_scan_algorithmE0ELj4294967295EEENS1_25partition_config_selectorILNS1_17partition_subalgoE4EjNS0_10empty_typeEbEEZZNS1_14partition_implILS8_4ELb0ES6_15HIP_vector_typeIjLj2EENS0_17counting_iteratorIjlEEPS9_SG_NS0_5tupleIJPjSI_NS0_16reverse_iteratorISI_EEEEENSH_IJSG_SG_SG_EEES9_SI_JZNS1_25segmented_radix_sort_implINS0_14default_configELb1EPKsPsPKlPlN2at6native12_GLOBAL__N_18offset_tEEE10hipError_tPvRmT1_PNSt15iterator_traitsIS12_E10value_typeET2_T3_PNS13_IS18_E10value_typeET4_jRbjT5_S1E_jjP12ihipStream_tbEUljE_ZNSN_ISO_Lb1ESQ_SR_ST_SU_SY_EESZ_S10_S11_S12_S16_S17_S18_S1B_S1C_jS1D_jS1E_S1E_jjS1G_bEUljE0_EEESZ_S10_S11_S18_S1C_S1E_T6_T7_T9_mT8_S1G_bDpT10_ENKUlT_T0_E_clISt17integral_constantIbLb1EES1T_IbLb0EEEEDaS1P_S1Q_EUlS1P_E_NS1_11comp_targetILNS1_3genE0ELNS1_11target_archE4294967295ELNS1_3gpuE0ELNS1_3repE0EEENS1_30default_config_static_selectorELNS0_4arch9wavefront6targetE1EEEvS12_,"axG",@progbits,_ZN7rocprim17ROCPRIM_400000_NS6detail17trampoline_kernelINS0_13select_configILj256ELj13ELNS0_17block_load_methodE3ELS4_3ELS4_3ELNS0_20block_scan_algorithmE0ELj4294967295EEENS1_25partition_config_selectorILNS1_17partition_subalgoE4EjNS0_10empty_typeEbEEZZNS1_14partition_implILS8_4ELb0ES6_15HIP_vector_typeIjLj2EENS0_17counting_iteratorIjlEEPS9_SG_NS0_5tupleIJPjSI_NS0_16reverse_iteratorISI_EEEEENSH_IJSG_SG_SG_EEES9_SI_JZNS1_25segmented_radix_sort_implINS0_14default_configELb1EPKsPsPKlPlN2at6native12_GLOBAL__N_18offset_tEEE10hipError_tPvRmT1_PNSt15iterator_traitsIS12_E10value_typeET2_T3_PNS13_IS18_E10value_typeET4_jRbjT5_S1E_jjP12ihipStream_tbEUljE_ZNSN_ISO_Lb1ESQ_SR_ST_SU_SY_EESZ_S10_S11_S12_S16_S17_S18_S1B_S1C_jS1D_jS1E_S1E_jjS1G_bEUljE0_EEESZ_S10_S11_S18_S1C_S1E_T6_T7_T9_mT8_S1G_bDpT10_ENKUlT_T0_E_clISt17integral_constantIbLb1EES1T_IbLb0EEEEDaS1P_S1Q_EUlS1P_E_NS1_11comp_targetILNS1_3genE0ELNS1_11target_archE4294967295ELNS1_3gpuE0ELNS1_3repE0EEENS1_30default_config_static_selectorELNS0_4arch9wavefront6targetE1EEEvS12_,comdat
	.globl	_ZN7rocprim17ROCPRIM_400000_NS6detail17trampoline_kernelINS0_13select_configILj256ELj13ELNS0_17block_load_methodE3ELS4_3ELS4_3ELNS0_20block_scan_algorithmE0ELj4294967295EEENS1_25partition_config_selectorILNS1_17partition_subalgoE4EjNS0_10empty_typeEbEEZZNS1_14partition_implILS8_4ELb0ES6_15HIP_vector_typeIjLj2EENS0_17counting_iteratorIjlEEPS9_SG_NS0_5tupleIJPjSI_NS0_16reverse_iteratorISI_EEEEENSH_IJSG_SG_SG_EEES9_SI_JZNS1_25segmented_radix_sort_implINS0_14default_configELb1EPKsPsPKlPlN2at6native12_GLOBAL__N_18offset_tEEE10hipError_tPvRmT1_PNSt15iterator_traitsIS12_E10value_typeET2_T3_PNS13_IS18_E10value_typeET4_jRbjT5_S1E_jjP12ihipStream_tbEUljE_ZNSN_ISO_Lb1ESQ_SR_ST_SU_SY_EESZ_S10_S11_S12_S16_S17_S18_S1B_S1C_jS1D_jS1E_S1E_jjS1G_bEUljE0_EEESZ_S10_S11_S18_S1C_S1E_T6_T7_T9_mT8_S1G_bDpT10_ENKUlT_T0_E_clISt17integral_constantIbLb1EES1T_IbLb0EEEEDaS1P_S1Q_EUlS1P_E_NS1_11comp_targetILNS1_3genE0ELNS1_11target_archE4294967295ELNS1_3gpuE0ELNS1_3repE0EEENS1_30default_config_static_selectorELNS0_4arch9wavefront6targetE1EEEvS12_ ; -- Begin function _ZN7rocprim17ROCPRIM_400000_NS6detail17trampoline_kernelINS0_13select_configILj256ELj13ELNS0_17block_load_methodE3ELS4_3ELS4_3ELNS0_20block_scan_algorithmE0ELj4294967295EEENS1_25partition_config_selectorILNS1_17partition_subalgoE4EjNS0_10empty_typeEbEEZZNS1_14partition_implILS8_4ELb0ES6_15HIP_vector_typeIjLj2EENS0_17counting_iteratorIjlEEPS9_SG_NS0_5tupleIJPjSI_NS0_16reverse_iteratorISI_EEEEENSH_IJSG_SG_SG_EEES9_SI_JZNS1_25segmented_radix_sort_implINS0_14default_configELb1EPKsPsPKlPlN2at6native12_GLOBAL__N_18offset_tEEE10hipError_tPvRmT1_PNSt15iterator_traitsIS12_E10value_typeET2_T3_PNS13_IS18_E10value_typeET4_jRbjT5_S1E_jjP12ihipStream_tbEUljE_ZNSN_ISO_Lb1ESQ_SR_ST_SU_SY_EESZ_S10_S11_S12_S16_S17_S18_S1B_S1C_jS1D_jS1E_S1E_jjS1G_bEUljE0_EEESZ_S10_S11_S18_S1C_S1E_T6_T7_T9_mT8_S1G_bDpT10_ENKUlT_T0_E_clISt17integral_constantIbLb1EES1T_IbLb0EEEEDaS1P_S1Q_EUlS1P_E_NS1_11comp_targetILNS1_3genE0ELNS1_11target_archE4294967295ELNS1_3gpuE0ELNS1_3repE0EEENS1_30default_config_static_selectorELNS0_4arch9wavefront6targetE1EEEvS12_
	.p2align	8
	.type	_ZN7rocprim17ROCPRIM_400000_NS6detail17trampoline_kernelINS0_13select_configILj256ELj13ELNS0_17block_load_methodE3ELS4_3ELS4_3ELNS0_20block_scan_algorithmE0ELj4294967295EEENS1_25partition_config_selectorILNS1_17partition_subalgoE4EjNS0_10empty_typeEbEEZZNS1_14partition_implILS8_4ELb0ES6_15HIP_vector_typeIjLj2EENS0_17counting_iteratorIjlEEPS9_SG_NS0_5tupleIJPjSI_NS0_16reverse_iteratorISI_EEEEENSH_IJSG_SG_SG_EEES9_SI_JZNS1_25segmented_radix_sort_implINS0_14default_configELb1EPKsPsPKlPlN2at6native12_GLOBAL__N_18offset_tEEE10hipError_tPvRmT1_PNSt15iterator_traitsIS12_E10value_typeET2_T3_PNS13_IS18_E10value_typeET4_jRbjT5_S1E_jjP12ihipStream_tbEUljE_ZNSN_ISO_Lb1ESQ_SR_ST_SU_SY_EESZ_S10_S11_S12_S16_S17_S18_S1B_S1C_jS1D_jS1E_S1E_jjS1G_bEUljE0_EEESZ_S10_S11_S18_S1C_S1E_T6_T7_T9_mT8_S1G_bDpT10_ENKUlT_T0_E_clISt17integral_constantIbLb1EES1T_IbLb0EEEEDaS1P_S1Q_EUlS1P_E_NS1_11comp_targetILNS1_3genE0ELNS1_11target_archE4294967295ELNS1_3gpuE0ELNS1_3repE0EEENS1_30default_config_static_selectorELNS0_4arch9wavefront6targetE1EEEvS12_,@function
_ZN7rocprim17ROCPRIM_400000_NS6detail17trampoline_kernelINS0_13select_configILj256ELj13ELNS0_17block_load_methodE3ELS4_3ELS4_3ELNS0_20block_scan_algorithmE0ELj4294967295EEENS1_25partition_config_selectorILNS1_17partition_subalgoE4EjNS0_10empty_typeEbEEZZNS1_14partition_implILS8_4ELb0ES6_15HIP_vector_typeIjLj2EENS0_17counting_iteratorIjlEEPS9_SG_NS0_5tupleIJPjSI_NS0_16reverse_iteratorISI_EEEEENSH_IJSG_SG_SG_EEES9_SI_JZNS1_25segmented_radix_sort_implINS0_14default_configELb1EPKsPsPKlPlN2at6native12_GLOBAL__N_18offset_tEEE10hipError_tPvRmT1_PNSt15iterator_traitsIS12_E10value_typeET2_T3_PNS13_IS18_E10value_typeET4_jRbjT5_S1E_jjP12ihipStream_tbEUljE_ZNSN_ISO_Lb1ESQ_SR_ST_SU_SY_EESZ_S10_S11_S12_S16_S17_S18_S1B_S1C_jS1D_jS1E_S1E_jjS1G_bEUljE0_EEESZ_S10_S11_S18_S1C_S1E_T6_T7_T9_mT8_S1G_bDpT10_ENKUlT_T0_E_clISt17integral_constantIbLb1EES1T_IbLb0EEEEDaS1P_S1Q_EUlS1P_E_NS1_11comp_targetILNS1_3genE0ELNS1_11target_archE4294967295ELNS1_3gpuE0ELNS1_3repE0EEENS1_30default_config_static_selectorELNS0_4arch9wavefront6targetE1EEEvS12_: ; @_ZN7rocprim17ROCPRIM_400000_NS6detail17trampoline_kernelINS0_13select_configILj256ELj13ELNS0_17block_load_methodE3ELS4_3ELS4_3ELNS0_20block_scan_algorithmE0ELj4294967295EEENS1_25partition_config_selectorILNS1_17partition_subalgoE4EjNS0_10empty_typeEbEEZZNS1_14partition_implILS8_4ELb0ES6_15HIP_vector_typeIjLj2EENS0_17counting_iteratorIjlEEPS9_SG_NS0_5tupleIJPjSI_NS0_16reverse_iteratorISI_EEEEENSH_IJSG_SG_SG_EEES9_SI_JZNS1_25segmented_radix_sort_implINS0_14default_configELb1EPKsPsPKlPlN2at6native12_GLOBAL__N_18offset_tEEE10hipError_tPvRmT1_PNSt15iterator_traitsIS12_E10value_typeET2_T3_PNS13_IS18_E10value_typeET4_jRbjT5_S1E_jjP12ihipStream_tbEUljE_ZNSN_ISO_Lb1ESQ_SR_ST_SU_SY_EESZ_S10_S11_S12_S16_S17_S18_S1B_S1C_jS1D_jS1E_S1E_jjS1G_bEUljE0_EEESZ_S10_S11_S18_S1C_S1E_T6_T7_T9_mT8_S1G_bDpT10_ENKUlT_T0_E_clISt17integral_constantIbLb1EES1T_IbLb0EEEEDaS1P_S1Q_EUlS1P_E_NS1_11comp_targetILNS1_3genE0ELNS1_11target_archE4294967295ELNS1_3gpuE0ELNS1_3repE0EEENS1_30default_config_static_selectorELNS0_4arch9wavefront6targetE1EEEvS12_
; %bb.0:
	.section	.rodata,"a",@progbits
	.p2align	6, 0x0
	.amdhsa_kernel _ZN7rocprim17ROCPRIM_400000_NS6detail17trampoline_kernelINS0_13select_configILj256ELj13ELNS0_17block_load_methodE3ELS4_3ELS4_3ELNS0_20block_scan_algorithmE0ELj4294967295EEENS1_25partition_config_selectorILNS1_17partition_subalgoE4EjNS0_10empty_typeEbEEZZNS1_14partition_implILS8_4ELb0ES6_15HIP_vector_typeIjLj2EENS0_17counting_iteratorIjlEEPS9_SG_NS0_5tupleIJPjSI_NS0_16reverse_iteratorISI_EEEEENSH_IJSG_SG_SG_EEES9_SI_JZNS1_25segmented_radix_sort_implINS0_14default_configELb1EPKsPsPKlPlN2at6native12_GLOBAL__N_18offset_tEEE10hipError_tPvRmT1_PNSt15iterator_traitsIS12_E10value_typeET2_T3_PNS13_IS18_E10value_typeET4_jRbjT5_S1E_jjP12ihipStream_tbEUljE_ZNSN_ISO_Lb1ESQ_SR_ST_SU_SY_EESZ_S10_S11_S12_S16_S17_S18_S1B_S1C_jS1D_jS1E_S1E_jjS1G_bEUljE0_EEESZ_S10_S11_S18_S1C_S1E_T6_T7_T9_mT8_S1G_bDpT10_ENKUlT_T0_E_clISt17integral_constantIbLb1EES1T_IbLb0EEEEDaS1P_S1Q_EUlS1P_E_NS1_11comp_targetILNS1_3genE0ELNS1_11target_archE4294967295ELNS1_3gpuE0ELNS1_3repE0EEENS1_30default_config_static_selectorELNS0_4arch9wavefront6targetE1EEEvS12_
		.amdhsa_group_segment_fixed_size 0
		.amdhsa_private_segment_fixed_size 0
		.amdhsa_kernarg_size 176
		.amdhsa_user_sgpr_count 6
		.amdhsa_user_sgpr_private_segment_buffer 1
		.amdhsa_user_sgpr_dispatch_ptr 0
		.amdhsa_user_sgpr_queue_ptr 0
		.amdhsa_user_sgpr_kernarg_segment_ptr 1
		.amdhsa_user_sgpr_dispatch_id 0
		.amdhsa_user_sgpr_flat_scratch_init 0
		.amdhsa_user_sgpr_kernarg_preload_length 0
		.amdhsa_user_sgpr_kernarg_preload_offset 0
		.amdhsa_user_sgpr_private_segment_size 0
		.amdhsa_uses_dynamic_stack 0
		.amdhsa_system_sgpr_private_segment_wavefront_offset 0
		.amdhsa_system_sgpr_workgroup_id_x 1
		.amdhsa_system_sgpr_workgroup_id_y 0
		.amdhsa_system_sgpr_workgroup_id_z 0
		.amdhsa_system_sgpr_workgroup_info 0
		.amdhsa_system_vgpr_workitem_id 0
		.amdhsa_next_free_vgpr 1
		.amdhsa_next_free_sgpr 0
		.amdhsa_accum_offset 4
		.amdhsa_reserve_vcc 0
		.amdhsa_reserve_flat_scratch 0
		.amdhsa_float_round_mode_32 0
		.amdhsa_float_round_mode_16_64 0
		.amdhsa_float_denorm_mode_32 3
		.amdhsa_float_denorm_mode_16_64 3
		.amdhsa_dx10_clamp 1
		.amdhsa_ieee_mode 1
		.amdhsa_fp16_overflow 0
		.amdhsa_tg_split 0
		.amdhsa_exception_fp_ieee_invalid_op 0
		.amdhsa_exception_fp_denorm_src 0
		.amdhsa_exception_fp_ieee_div_zero 0
		.amdhsa_exception_fp_ieee_overflow 0
		.amdhsa_exception_fp_ieee_underflow 0
		.amdhsa_exception_fp_ieee_inexact 0
		.amdhsa_exception_int_div_zero 0
	.end_amdhsa_kernel
	.section	.text._ZN7rocprim17ROCPRIM_400000_NS6detail17trampoline_kernelINS0_13select_configILj256ELj13ELNS0_17block_load_methodE3ELS4_3ELS4_3ELNS0_20block_scan_algorithmE0ELj4294967295EEENS1_25partition_config_selectorILNS1_17partition_subalgoE4EjNS0_10empty_typeEbEEZZNS1_14partition_implILS8_4ELb0ES6_15HIP_vector_typeIjLj2EENS0_17counting_iteratorIjlEEPS9_SG_NS0_5tupleIJPjSI_NS0_16reverse_iteratorISI_EEEEENSH_IJSG_SG_SG_EEES9_SI_JZNS1_25segmented_radix_sort_implINS0_14default_configELb1EPKsPsPKlPlN2at6native12_GLOBAL__N_18offset_tEEE10hipError_tPvRmT1_PNSt15iterator_traitsIS12_E10value_typeET2_T3_PNS13_IS18_E10value_typeET4_jRbjT5_S1E_jjP12ihipStream_tbEUljE_ZNSN_ISO_Lb1ESQ_SR_ST_SU_SY_EESZ_S10_S11_S12_S16_S17_S18_S1B_S1C_jS1D_jS1E_S1E_jjS1G_bEUljE0_EEESZ_S10_S11_S18_S1C_S1E_T6_T7_T9_mT8_S1G_bDpT10_ENKUlT_T0_E_clISt17integral_constantIbLb1EES1T_IbLb0EEEEDaS1P_S1Q_EUlS1P_E_NS1_11comp_targetILNS1_3genE0ELNS1_11target_archE4294967295ELNS1_3gpuE0ELNS1_3repE0EEENS1_30default_config_static_selectorELNS0_4arch9wavefront6targetE1EEEvS12_,"axG",@progbits,_ZN7rocprim17ROCPRIM_400000_NS6detail17trampoline_kernelINS0_13select_configILj256ELj13ELNS0_17block_load_methodE3ELS4_3ELS4_3ELNS0_20block_scan_algorithmE0ELj4294967295EEENS1_25partition_config_selectorILNS1_17partition_subalgoE4EjNS0_10empty_typeEbEEZZNS1_14partition_implILS8_4ELb0ES6_15HIP_vector_typeIjLj2EENS0_17counting_iteratorIjlEEPS9_SG_NS0_5tupleIJPjSI_NS0_16reverse_iteratorISI_EEEEENSH_IJSG_SG_SG_EEES9_SI_JZNS1_25segmented_radix_sort_implINS0_14default_configELb1EPKsPsPKlPlN2at6native12_GLOBAL__N_18offset_tEEE10hipError_tPvRmT1_PNSt15iterator_traitsIS12_E10value_typeET2_T3_PNS13_IS18_E10value_typeET4_jRbjT5_S1E_jjP12ihipStream_tbEUljE_ZNSN_ISO_Lb1ESQ_SR_ST_SU_SY_EESZ_S10_S11_S12_S16_S17_S18_S1B_S1C_jS1D_jS1E_S1E_jjS1G_bEUljE0_EEESZ_S10_S11_S18_S1C_S1E_T6_T7_T9_mT8_S1G_bDpT10_ENKUlT_T0_E_clISt17integral_constantIbLb1EES1T_IbLb0EEEEDaS1P_S1Q_EUlS1P_E_NS1_11comp_targetILNS1_3genE0ELNS1_11target_archE4294967295ELNS1_3gpuE0ELNS1_3repE0EEENS1_30default_config_static_selectorELNS0_4arch9wavefront6targetE1EEEvS12_,comdat
.Lfunc_end863:
	.size	_ZN7rocprim17ROCPRIM_400000_NS6detail17trampoline_kernelINS0_13select_configILj256ELj13ELNS0_17block_load_methodE3ELS4_3ELS4_3ELNS0_20block_scan_algorithmE0ELj4294967295EEENS1_25partition_config_selectorILNS1_17partition_subalgoE4EjNS0_10empty_typeEbEEZZNS1_14partition_implILS8_4ELb0ES6_15HIP_vector_typeIjLj2EENS0_17counting_iteratorIjlEEPS9_SG_NS0_5tupleIJPjSI_NS0_16reverse_iteratorISI_EEEEENSH_IJSG_SG_SG_EEES9_SI_JZNS1_25segmented_radix_sort_implINS0_14default_configELb1EPKsPsPKlPlN2at6native12_GLOBAL__N_18offset_tEEE10hipError_tPvRmT1_PNSt15iterator_traitsIS12_E10value_typeET2_T3_PNS13_IS18_E10value_typeET4_jRbjT5_S1E_jjP12ihipStream_tbEUljE_ZNSN_ISO_Lb1ESQ_SR_ST_SU_SY_EESZ_S10_S11_S12_S16_S17_S18_S1B_S1C_jS1D_jS1E_S1E_jjS1G_bEUljE0_EEESZ_S10_S11_S18_S1C_S1E_T6_T7_T9_mT8_S1G_bDpT10_ENKUlT_T0_E_clISt17integral_constantIbLb1EES1T_IbLb0EEEEDaS1P_S1Q_EUlS1P_E_NS1_11comp_targetILNS1_3genE0ELNS1_11target_archE4294967295ELNS1_3gpuE0ELNS1_3repE0EEENS1_30default_config_static_selectorELNS0_4arch9wavefront6targetE1EEEvS12_, .Lfunc_end863-_ZN7rocprim17ROCPRIM_400000_NS6detail17trampoline_kernelINS0_13select_configILj256ELj13ELNS0_17block_load_methodE3ELS4_3ELS4_3ELNS0_20block_scan_algorithmE0ELj4294967295EEENS1_25partition_config_selectorILNS1_17partition_subalgoE4EjNS0_10empty_typeEbEEZZNS1_14partition_implILS8_4ELb0ES6_15HIP_vector_typeIjLj2EENS0_17counting_iteratorIjlEEPS9_SG_NS0_5tupleIJPjSI_NS0_16reverse_iteratorISI_EEEEENSH_IJSG_SG_SG_EEES9_SI_JZNS1_25segmented_radix_sort_implINS0_14default_configELb1EPKsPsPKlPlN2at6native12_GLOBAL__N_18offset_tEEE10hipError_tPvRmT1_PNSt15iterator_traitsIS12_E10value_typeET2_T3_PNS13_IS18_E10value_typeET4_jRbjT5_S1E_jjP12ihipStream_tbEUljE_ZNSN_ISO_Lb1ESQ_SR_ST_SU_SY_EESZ_S10_S11_S12_S16_S17_S18_S1B_S1C_jS1D_jS1E_S1E_jjS1G_bEUljE0_EEESZ_S10_S11_S18_S1C_S1E_T6_T7_T9_mT8_S1G_bDpT10_ENKUlT_T0_E_clISt17integral_constantIbLb1EES1T_IbLb0EEEEDaS1P_S1Q_EUlS1P_E_NS1_11comp_targetILNS1_3genE0ELNS1_11target_archE4294967295ELNS1_3gpuE0ELNS1_3repE0EEENS1_30default_config_static_selectorELNS0_4arch9wavefront6targetE1EEEvS12_
                                        ; -- End function
	.section	.AMDGPU.csdata,"",@progbits
; Kernel info:
; codeLenInByte = 0
; NumSgprs: 4
; NumVgprs: 0
; NumAgprs: 0
; TotalNumVgprs: 0
; ScratchSize: 0
; MemoryBound: 0
; FloatMode: 240
; IeeeMode: 1
; LDSByteSize: 0 bytes/workgroup (compile time only)
; SGPRBlocks: 0
; VGPRBlocks: 0
; NumSGPRsForWavesPerEU: 4
; NumVGPRsForWavesPerEU: 1
; AccumOffset: 4
; Occupancy: 8
; WaveLimiterHint : 0
; COMPUTE_PGM_RSRC2:SCRATCH_EN: 0
; COMPUTE_PGM_RSRC2:USER_SGPR: 6
; COMPUTE_PGM_RSRC2:TRAP_HANDLER: 0
; COMPUTE_PGM_RSRC2:TGID_X_EN: 1
; COMPUTE_PGM_RSRC2:TGID_Y_EN: 0
; COMPUTE_PGM_RSRC2:TGID_Z_EN: 0
; COMPUTE_PGM_RSRC2:TIDIG_COMP_CNT: 0
; COMPUTE_PGM_RSRC3_GFX90A:ACCUM_OFFSET: 0
; COMPUTE_PGM_RSRC3_GFX90A:TG_SPLIT: 0
	.section	.text._ZN7rocprim17ROCPRIM_400000_NS6detail17trampoline_kernelINS0_13select_configILj256ELj13ELNS0_17block_load_methodE3ELS4_3ELS4_3ELNS0_20block_scan_algorithmE0ELj4294967295EEENS1_25partition_config_selectorILNS1_17partition_subalgoE4EjNS0_10empty_typeEbEEZZNS1_14partition_implILS8_4ELb0ES6_15HIP_vector_typeIjLj2EENS0_17counting_iteratorIjlEEPS9_SG_NS0_5tupleIJPjSI_NS0_16reverse_iteratorISI_EEEEENSH_IJSG_SG_SG_EEES9_SI_JZNS1_25segmented_radix_sort_implINS0_14default_configELb1EPKsPsPKlPlN2at6native12_GLOBAL__N_18offset_tEEE10hipError_tPvRmT1_PNSt15iterator_traitsIS12_E10value_typeET2_T3_PNS13_IS18_E10value_typeET4_jRbjT5_S1E_jjP12ihipStream_tbEUljE_ZNSN_ISO_Lb1ESQ_SR_ST_SU_SY_EESZ_S10_S11_S12_S16_S17_S18_S1B_S1C_jS1D_jS1E_S1E_jjS1G_bEUljE0_EEESZ_S10_S11_S18_S1C_S1E_T6_T7_T9_mT8_S1G_bDpT10_ENKUlT_T0_E_clISt17integral_constantIbLb1EES1T_IbLb0EEEEDaS1P_S1Q_EUlS1P_E_NS1_11comp_targetILNS1_3genE5ELNS1_11target_archE942ELNS1_3gpuE9ELNS1_3repE0EEENS1_30default_config_static_selectorELNS0_4arch9wavefront6targetE1EEEvS12_,"axG",@progbits,_ZN7rocprim17ROCPRIM_400000_NS6detail17trampoline_kernelINS0_13select_configILj256ELj13ELNS0_17block_load_methodE3ELS4_3ELS4_3ELNS0_20block_scan_algorithmE0ELj4294967295EEENS1_25partition_config_selectorILNS1_17partition_subalgoE4EjNS0_10empty_typeEbEEZZNS1_14partition_implILS8_4ELb0ES6_15HIP_vector_typeIjLj2EENS0_17counting_iteratorIjlEEPS9_SG_NS0_5tupleIJPjSI_NS0_16reverse_iteratorISI_EEEEENSH_IJSG_SG_SG_EEES9_SI_JZNS1_25segmented_radix_sort_implINS0_14default_configELb1EPKsPsPKlPlN2at6native12_GLOBAL__N_18offset_tEEE10hipError_tPvRmT1_PNSt15iterator_traitsIS12_E10value_typeET2_T3_PNS13_IS18_E10value_typeET4_jRbjT5_S1E_jjP12ihipStream_tbEUljE_ZNSN_ISO_Lb1ESQ_SR_ST_SU_SY_EESZ_S10_S11_S12_S16_S17_S18_S1B_S1C_jS1D_jS1E_S1E_jjS1G_bEUljE0_EEESZ_S10_S11_S18_S1C_S1E_T6_T7_T9_mT8_S1G_bDpT10_ENKUlT_T0_E_clISt17integral_constantIbLb1EES1T_IbLb0EEEEDaS1P_S1Q_EUlS1P_E_NS1_11comp_targetILNS1_3genE5ELNS1_11target_archE942ELNS1_3gpuE9ELNS1_3repE0EEENS1_30default_config_static_selectorELNS0_4arch9wavefront6targetE1EEEvS12_,comdat
	.globl	_ZN7rocprim17ROCPRIM_400000_NS6detail17trampoline_kernelINS0_13select_configILj256ELj13ELNS0_17block_load_methodE3ELS4_3ELS4_3ELNS0_20block_scan_algorithmE0ELj4294967295EEENS1_25partition_config_selectorILNS1_17partition_subalgoE4EjNS0_10empty_typeEbEEZZNS1_14partition_implILS8_4ELb0ES6_15HIP_vector_typeIjLj2EENS0_17counting_iteratorIjlEEPS9_SG_NS0_5tupleIJPjSI_NS0_16reverse_iteratorISI_EEEEENSH_IJSG_SG_SG_EEES9_SI_JZNS1_25segmented_radix_sort_implINS0_14default_configELb1EPKsPsPKlPlN2at6native12_GLOBAL__N_18offset_tEEE10hipError_tPvRmT1_PNSt15iterator_traitsIS12_E10value_typeET2_T3_PNS13_IS18_E10value_typeET4_jRbjT5_S1E_jjP12ihipStream_tbEUljE_ZNSN_ISO_Lb1ESQ_SR_ST_SU_SY_EESZ_S10_S11_S12_S16_S17_S18_S1B_S1C_jS1D_jS1E_S1E_jjS1G_bEUljE0_EEESZ_S10_S11_S18_S1C_S1E_T6_T7_T9_mT8_S1G_bDpT10_ENKUlT_T0_E_clISt17integral_constantIbLb1EES1T_IbLb0EEEEDaS1P_S1Q_EUlS1P_E_NS1_11comp_targetILNS1_3genE5ELNS1_11target_archE942ELNS1_3gpuE9ELNS1_3repE0EEENS1_30default_config_static_selectorELNS0_4arch9wavefront6targetE1EEEvS12_ ; -- Begin function _ZN7rocprim17ROCPRIM_400000_NS6detail17trampoline_kernelINS0_13select_configILj256ELj13ELNS0_17block_load_methodE3ELS4_3ELS4_3ELNS0_20block_scan_algorithmE0ELj4294967295EEENS1_25partition_config_selectorILNS1_17partition_subalgoE4EjNS0_10empty_typeEbEEZZNS1_14partition_implILS8_4ELb0ES6_15HIP_vector_typeIjLj2EENS0_17counting_iteratorIjlEEPS9_SG_NS0_5tupleIJPjSI_NS0_16reverse_iteratorISI_EEEEENSH_IJSG_SG_SG_EEES9_SI_JZNS1_25segmented_radix_sort_implINS0_14default_configELb1EPKsPsPKlPlN2at6native12_GLOBAL__N_18offset_tEEE10hipError_tPvRmT1_PNSt15iterator_traitsIS12_E10value_typeET2_T3_PNS13_IS18_E10value_typeET4_jRbjT5_S1E_jjP12ihipStream_tbEUljE_ZNSN_ISO_Lb1ESQ_SR_ST_SU_SY_EESZ_S10_S11_S12_S16_S17_S18_S1B_S1C_jS1D_jS1E_S1E_jjS1G_bEUljE0_EEESZ_S10_S11_S18_S1C_S1E_T6_T7_T9_mT8_S1G_bDpT10_ENKUlT_T0_E_clISt17integral_constantIbLb1EES1T_IbLb0EEEEDaS1P_S1Q_EUlS1P_E_NS1_11comp_targetILNS1_3genE5ELNS1_11target_archE942ELNS1_3gpuE9ELNS1_3repE0EEENS1_30default_config_static_selectorELNS0_4arch9wavefront6targetE1EEEvS12_
	.p2align	8
	.type	_ZN7rocprim17ROCPRIM_400000_NS6detail17trampoline_kernelINS0_13select_configILj256ELj13ELNS0_17block_load_methodE3ELS4_3ELS4_3ELNS0_20block_scan_algorithmE0ELj4294967295EEENS1_25partition_config_selectorILNS1_17partition_subalgoE4EjNS0_10empty_typeEbEEZZNS1_14partition_implILS8_4ELb0ES6_15HIP_vector_typeIjLj2EENS0_17counting_iteratorIjlEEPS9_SG_NS0_5tupleIJPjSI_NS0_16reverse_iteratorISI_EEEEENSH_IJSG_SG_SG_EEES9_SI_JZNS1_25segmented_radix_sort_implINS0_14default_configELb1EPKsPsPKlPlN2at6native12_GLOBAL__N_18offset_tEEE10hipError_tPvRmT1_PNSt15iterator_traitsIS12_E10value_typeET2_T3_PNS13_IS18_E10value_typeET4_jRbjT5_S1E_jjP12ihipStream_tbEUljE_ZNSN_ISO_Lb1ESQ_SR_ST_SU_SY_EESZ_S10_S11_S12_S16_S17_S18_S1B_S1C_jS1D_jS1E_S1E_jjS1G_bEUljE0_EEESZ_S10_S11_S18_S1C_S1E_T6_T7_T9_mT8_S1G_bDpT10_ENKUlT_T0_E_clISt17integral_constantIbLb1EES1T_IbLb0EEEEDaS1P_S1Q_EUlS1P_E_NS1_11comp_targetILNS1_3genE5ELNS1_11target_archE942ELNS1_3gpuE9ELNS1_3repE0EEENS1_30default_config_static_selectorELNS0_4arch9wavefront6targetE1EEEvS12_,@function
_ZN7rocprim17ROCPRIM_400000_NS6detail17trampoline_kernelINS0_13select_configILj256ELj13ELNS0_17block_load_methodE3ELS4_3ELS4_3ELNS0_20block_scan_algorithmE0ELj4294967295EEENS1_25partition_config_selectorILNS1_17partition_subalgoE4EjNS0_10empty_typeEbEEZZNS1_14partition_implILS8_4ELb0ES6_15HIP_vector_typeIjLj2EENS0_17counting_iteratorIjlEEPS9_SG_NS0_5tupleIJPjSI_NS0_16reverse_iteratorISI_EEEEENSH_IJSG_SG_SG_EEES9_SI_JZNS1_25segmented_radix_sort_implINS0_14default_configELb1EPKsPsPKlPlN2at6native12_GLOBAL__N_18offset_tEEE10hipError_tPvRmT1_PNSt15iterator_traitsIS12_E10value_typeET2_T3_PNS13_IS18_E10value_typeET4_jRbjT5_S1E_jjP12ihipStream_tbEUljE_ZNSN_ISO_Lb1ESQ_SR_ST_SU_SY_EESZ_S10_S11_S12_S16_S17_S18_S1B_S1C_jS1D_jS1E_S1E_jjS1G_bEUljE0_EEESZ_S10_S11_S18_S1C_S1E_T6_T7_T9_mT8_S1G_bDpT10_ENKUlT_T0_E_clISt17integral_constantIbLb1EES1T_IbLb0EEEEDaS1P_S1Q_EUlS1P_E_NS1_11comp_targetILNS1_3genE5ELNS1_11target_archE942ELNS1_3gpuE9ELNS1_3repE0EEENS1_30default_config_static_selectorELNS0_4arch9wavefront6targetE1EEEvS12_: ; @_ZN7rocprim17ROCPRIM_400000_NS6detail17trampoline_kernelINS0_13select_configILj256ELj13ELNS0_17block_load_methodE3ELS4_3ELS4_3ELNS0_20block_scan_algorithmE0ELj4294967295EEENS1_25partition_config_selectorILNS1_17partition_subalgoE4EjNS0_10empty_typeEbEEZZNS1_14partition_implILS8_4ELb0ES6_15HIP_vector_typeIjLj2EENS0_17counting_iteratorIjlEEPS9_SG_NS0_5tupleIJPjSI_NS0_16reverse_iteratorISI_EEEEENSH_IJSG_SG_SG_EEES9_SI_JZNS1_25segmented_radix_sort_implINS0_14default_configELb1EPKsPsPKlPlN2at6native12_GLOBAL__N_18offset_tEEE10hipError_tPvRmT1_PNSt15iterator_traitsIS12_E10value_typeET2_T3_PNS13_IS18_E10value_typeET4_jRbjT5_S1E_jjP12ihipStream_tbEUljE_ZNSN_ISO_Lb1ESQ_SR_ST_SU_SY_EESZ_S10_S11_S12_S16_S17_S18_S1B_S1C_jS1D_jS1E_S1E_jjS1G_bEUljE0_EEESZ_S10_S11_S18_S1C_S1E_T6_T7_T9_mT8_S1G_bDpT10_ENKUlT_T0_E_clISt17integral_constantIbLb1EES1T_IbLb0EEEEDaS1P_S1Q_EUlS1P_E_NS1_11comp_targetILNS1_3genE5ELNS1_11target_archE942ELNS1_3gpuE9ELNS1_3repE0EEENS1_30default_config_static_selectorELNS0_4arch9wavefront6targetE1EEEvS12_
; %bb.0:
	.section	.rodata,"a",@progbits
	.p2align	6, 0x0
	.amdhsa_kernel _ZN7rocprim17ROCPRIM_400000_NS6detail17trampoline_kernelINS0_13select_configILj256ELj13ELNS0_17block_load_methodE3ELS4_3ELS4_3ELNS0_20block_scan_algorithmE0ELj4294967295EEENS1_25partition_config_selectorILNS1_17partition_subalgoE4EjNS0_10empty_typeEbEEZZNS1_14partition_implILS8_4ELb0ES6_15HIP_vector_typeIjLj2EENS0_17counting_iteratorIjlEEPS9_SG_NS0_5tupleIJPjSI_NS0_16reverse_iteratorISI_EEEEENSH_IJSG_SG_SG_EEES9_SI_JZNS1_25segmented_radix_sort_implINS0_14default_configELb1EPKsPsPKlPlN2at6native12_GLOBAL__N_18offset_tEEE10hipError_tPvRmT1_PNSt15iterator_traitsIS12_E10value_typeET2_T3_PNS13_IS18_E10value_typeET4_jRbjT5_S1E_jjP12ihipStream_tbEUljE_ZNSN_ISO_Lb1ESQ_SR_ST_SU_SY_EESZ_S10_S11_S12_S16_S17_S18_S1B_S1C_jS1D_jS1E_S1E_jjS1G_bEUljE0_EEESZ_S10_S11_S18_S1C_S1E_T6_T7_T9_mT8_S1G_bDpT10_ENKUlT_T0_E_clISt17integral_constantIbLb1EES1T_IbLb0EEEEDaS1P_S1Q_EUlS1P_E_NS1_11comp_targetILNS1_3genE5ELNS1_11target_archE942ELNS1_3gpuE9ELNS1_3repE0EEENS1_30default_config_static_selectorELNS0_4arch9wavefront6targetE1EEEvS12_
		.amdhsa_group_segment_fixed_size 0
		.amdhsa_private_segment_fixed_size 0
		.amdhsa_kernarg_size 176
		.amdhsa_user_sgpr_count 6
		.amdhsa_user_sgpr_private_segment_buffer 1
		.amdhsa_user_sgpr_dispatch_ptr 0
		.amdhsa_user_sgpr_queue_ptr 0
		.amdhsa_user_sgpr_kernarg_segment_ptr 1
		.amdhsa_user_sgpr_dispatch_id 0
		.amdhsa_user_sgpr_flat_scratch_init 0
		.amdhsa_user_sgpr_kernarg_preload_length 0
		.amdhsa_user_sgpr_kernarg_preload_offset 0
		.amdhsa_user_sgpr_private_segment_size 0
		.amdhsa_uses_dynamic_stack 0
		.amdhsa_system_sgpr_private_segment_wavefront_offset 0
		.amdhsa_system_sgpr_workgroup_id_x 1
		.amdhsa_system_sgpr_workgroup_id_y 0
		.amdhsa_system_sgpr_workgroup_id_z 0
		.amdhsa_system_sgpr_workgroup_info 0
		.amdhsa_system_vgpr_workitem_id 0
		.amdhsa_next_free_vgpr 1
		.amdhsa_next_free_sgpr 0
		.amdhsa_accum_offset 4
		.amdhsa_reserve_vcc 0
		.amdhsa_reserve_flat_scratch 0
		.amdhsa_float_round_mode_32 0
		.amdhsa_float_round_mode_16_64 0
		.amdhsa_float_denorm_mode_32 3
		.amdhsa_float_denorm_mode_16_64 3
		.amdhsa_dx10_clamp 1
		.amdhsa_ieee_mode 1
		.amdhsa_fp16_overflow 0
		.amdhsa_tg_split 0
		.amdhsa_exception_fp_ieee_invalid_op 0
		.amdhsa_exception_fp_denorm_src 0
		.amdhsa_exception_fp_ieee_div_zero 0
		.amdhsa_exception_fp_ieee_overflow 0
		.amdhsa_exception_fp_ieee_underflow 0
		.amdhsa_exception_fp_ieee_inexact 0
		.amdhsa_exception_int_div_zero 0
	.end_amdhsa_kernel
	.section	.text._ZN7rocprim17ROCPRIM_400000_NS6detail17trampoline_kernelINS0_13select_configILj256ELj13ELNS0_17block_load_methodE3ELS4_3ELS4_3ELNS0_20block_scan_algorithmE0ELj4294967295EEENS1_25partition_config_selectorILNS1_17partition_subalgoE4EjNS0_10empty_typeEbEEZZNS1_14partition_implILS8_4ELb0ES6_15HIP_vector_typeIjLj2EENS0_17counting_iteratorIjlEEPS9_SG_NS0_5tupleIJPjSI_NS0_16reverse_iteratorISI_EEEEENSH_IJSG_SG_SG_EEES9_SI_JZNS1_25segmented_radix_sort_implINS0_14default_configELb1EPKsPsPKlPlN2at6native12_GLOBAL__N_18offset_tEEE10hipError_tPvRmT1_PNSt15iterator_traitsIS12_E10value_typeET2_T3_PNS13_IS18_E10value_typeET4_jRbjT5_S1E_jjP12ihipStream_tbEUljE_ZNSN_ISO_Lb1ESQ_SR_ST_SU_SY_EESZ_S10_S11_S12_S16_S17_S18_S1B_S1C_jS1D_jS1E_S1E_jjS1G_bEUljE0_EEESZ_S10_S11_S18_S1C_S1E_T6_T7_T9_mT8_S1G_bDpT10_ENKUlT_T0_E_clISt17integral_constantIbLb1EES1T_IbLb0EEEEDaS1P_S1Q_EUlS1P_E_NS1_11comp_targetILNS1_3genE5ELNS1_11target_archE942ELNS1_3gpuE9ELNS1_3repE0EEENS1_30default_config_static_selectorELNS0_4arch9wavefront6targetE1EEEvS12_,"axG",@progbits,_ZN7rocprim17ROCPRIM_400000_NS6detail17trampoline_kernelINS0_13select_configILj256ELj13ELNS0_17block_load_methodE3ELS4_3ELS4_3ELNS0_20block_scan_algorithmE0ELj4294967295EEENS1_25partition_config_selectorILNS1_17partition_subalgoE4EjNS0_10empty_typeEbEEZZNS1_14partition_implILS8_4ELb0ES6_15HIP_vector_typeIjLj2EENS0_17counting_iteratorIjlEEPS9_SG_NS0_5tupleIJPjSI_NS0_16reverse_iteratorISI_EEEEENSH_IJSG_SG_SG_EEES9_SI_JZNS1_25segmented_radix_sort_implINS0_14default_configELb1EPKsPsPKlPlN2at6native12_GLOBAL__N_18offset_tEEE10hipError_tPvRmT1_PNSt15iterator_traitsIS12_E10value_typeET2_T3_PNS13_IS18_E10value_typeET4_jRbjT5_S1E_jjP12ihipStream_tbEUljE_ZNSN_ISO_Lb1ESQ_SR_ST_SU_SY_EESZ_S10_S11_S12_S16_S17_S18_S1B_S1C_jS1D_jS1E_S1E_jjS1G_bEUljE0_EEESZ_S10_S11_S18_S1C_S1E_T6_T7_T9_mT8_S1G_bDpT10_ENKUlT_T0_E_clISt17integral_constantIbLb1EES1T_IbLb0EEEEDaS1P_S1Q_EUlS1P_E_NS1_11comp_targetILNS1_3genE5ELNS1_11target_archE942ELNS1_3gpuE9ELNS1_3repE0EEENS1_30default_config_static_selectorELNS0_4arch9wavefront6targetE1EEEvS12_,comdat
.Lfunc_end864:
	.size	_ZN7rocprim17ROCPRIM_400000_NS6detail17trampoline_kernelINS0_13select_configILj256ELj13ELNS0_17block_load_methodE3ELS4_3ELS4_3ELNS0_20block_scan_algorithmE0ELj4294967295EEENS1_25partition_config_selectorILNS1_17partition_subalgoE4EjNS0_10empty_typeEbEEZZNS1_14partition_implILS8_4ELb0ES6_15HIP_vector_typeIjLj2EENS0_17counting_iteratorIjlEEPS9_SG_NS0_5tupleIJPjSI_NS0_16reverse_iteratorISI_EEEEENSH_IJSG_SG_SG_EEES9_SI_JZNS1_25segmented_radix_sort_implINS0_14default_configELb1EPKsPsPKlPlN2at6native12_GLOBAL__N_18offset_tEEE10hipError_tPvRmT1_PNSt15iterator_traitsIS12_E10value_typeET2_T3_PNS13_IS18_E10value_typeET4_jRbjT5_S1E_jjP12ihipStream_tbEUljE_ZNSN_ISO_Lb1ESQ_SR_ST_SU_SY_EESZ_S10_S11_S12_S16_S17_S18_S1B_S1C_jS1D_jS1E_S1E_jjS1G_bEUljE0_EEESZ_S10_S11_S18_S1C_S1E_T6_T7_T9_mT8_S1G_bDpT10_ENKUlT_T0_E_clISt17integral_constantIbLb1EES1T_IbLb0EEEEDaS1P_S1Q_EUlS1P_E_NS1_11comp_targetILNS1_3genE5ELNS1_11target_archE942ELNS1_3gpuE9ELNS1_3repE0EEENS1_30default_config_static_selectorELNS0_4arch9wavefront6targetE1EEEvS12_, .Lfunc_end864-_ZN7rocprim17ROCPRIM_400000_NS6detail17trampoline_kernelINS0_13select_configILj256ELj13ELNS0_17block_load_methodE3ELS4_3ELS4_3ELNS0_20block_scan_algorithmE0ELj4294967295EEENS1_25partition_config_selectorILNS1_17partition_subalgoE4EjNS0_10empty_typeEbEEZZNS1_14partition_implILS8_4ELb0ES6_15HIP_vector_typeIjLj2EENS0_17counting_iteratorIjlEEPS9_SG_NS0_5tupleIJPjSI_NS0_16reverse_iteratorISI_EEEEENSH_IJSG_SG_SG_EEES9_SI_JZNS1_25segmented_radix_sort_implINS0_14default_configELb1EPKsPsPKlPlN2at6native12_GLOBAL__N_18offset_tEEE10hipError_tPvRmT1_PNSt15iterator_traitsIS12_E10value_typeET2_T3_PNS13_IS18_E10value_typeET4_jRbjT5_S1E_jjP12ihipStream_tbEUljE_ZNSN_ISO_Lb1ESQ_SR_ST_SU_SY_EESZ_S10_S11_S12_S16_S17_S18_S1B_S1C_jS1D_jS1E_S1E_jjS1G_bEUljE0_EEESZ_S10_S11_S18_S1C_S1E_T6_T7_T9_mT8_S1G_bDpT10_ENKUlT_T0_E_clISt17integral_constantIbLb1EES1T_IbLb0EEEEDaS1P_S1Q_EUlS1P_E_NS1_11comp_targetILNS1_3genE5ELNS1_11target_archE942ELNS1_3gpuE9ELNS1_3repE0EEENS1_30default_config_static_selectorELNS0_4arch9wavefront6targetE1EEEvS12_
                                        ; -- End function
	.section	.AMDGPU.csdata,"",@progbits
; Kernel info:
; codeLenInByte = 0
; NumSgprs: 4
; NumVgprs: 0
; NumAgprs: 0
; TotalNumVgprs: 0
; ScratchSize: 0
; MemoryBound: 0
; FloatMode: 240
; IeeeMode: 1
; LDSByteSize: 0 bytes/workgroup (compile time only)
; SGPRBlocks: 0
; VGPRBlocks: 0
; NumSGPRsForWavesPerEU: 4
; NumVGPRsForWavesPerEU: 1
; AccumOffset: 4
; Occupancy: 8
; WaveLimiterHint : 0
; COMPUTE_PGM_RSRC2:SCRATCH_EN: 0
; COMPUTE_PGM_RSRC2:USER_SGPR: 6
; COMPUTE_PGM_RSRC2:TRAP_HANDLER: 0
; COMPUTE_PGM_RSRC2:TGID_X_EN: 1
; COMPUTE_PGM_RSRC2:TGID_Y_EN: 0
; COMPUTE_PGM_RSRC2:TGID_Z_EN: 0
; COMPUTE_PGM_RSRC2:TIDIG_COMP_CNT: 0
; COMPUTE_PGM_RSRC3_GFX90A:ACCUM_OFFSET: 0
; COMPUTE_PGM_RSRC3_GFX90A:TG_SPLIT: 0
	.section	.text._ZN7rocprim17ROCPRIM_400000_NS6detail17trampoline_kernelINS0_13select_configILj256ELj13ELNS0_17block_load_methodE3ELS4_3ELS4_3ELNS0_20block_scan_algorithmE0ELj4294967295EEENS1_25partition_config_selectorILNS1_17partition_subalgoE4EjNS0_10empty_typeEbEEZZNS1_14partition_implILS8_4ELb0ES6_15HIP_vector_typeIjLj2EENS0_17counting_iteratorIjlEEPS9_SG_NS0_5tupleIJPjSI_NS0_16reverse_iteratorISI_EEEEENSH_IJSG_SG_SG_EEES9_SI_JZNS1_25segmented_radix_sort_implINS0_14default_configELb1EPKsPsPKlPlN2at6native12_GLOBAL__N_18offset_tEEE10hipError_tPvRmT1_PNSt15iterator_traitsIS12_E10value_typeET2_T3_PNS13_IS18_E10value_typeET4_jRbjT5_S1E_jjP12ihipStream_tbEUljE_ZNSN_ISO_Lb1ESQ_SR_ST_SU_SY_EESZ_S10_S11_S12_S16_S17_S18_S1B_S1C_jS1D_jS1E_S1E_jjS1G_bEUljE0_EEESZ_S10_S11_S18_S1C_S1E_T6_T7_T9_mT8_S1G_bDpT10_ENKUlT_T0_E_clISt17integral_constantIbLb1EES1T_IbLb0EEEEDaS1P_S1Q_EUlS1P_E_NS1_11comp_targetILNS1_3genE4ELNS1_11target_archE910ELNS1_3gpuE8ELNS1_3repE0EEENS1_30default_config_static_selectorELNS0_4arch9wavefront6targetE1EEEvS12_,"axG",@progbits,_ZN7rocprim17ROCPRIM_400000_NS6detail17trampoline_kernelINS0_13select_configILj256ELj13ELNS0_17block_load_methodE3ELS4_3ELS4_3ELNS0_20block_scan_algorithmE0ELj4294967295EEENS1_25partition_config_selectorILNS1_17partition_subalgoE4EjNS0_10empty_typeEbEEZZNS1_14partition_implILS8_4ELb0ES6_15HIP_vector_typeIjLj2EENS0_17counting_iteratorIjlEEPS9_SG_NS0_5tupleIJPjSI_NS0_16reverse_iteratorISI_EEEEENSH_IJSG_SG_SG_EEES9_SI_JZNS1_25segmented_radix_sort_implINS0_14default_configELb1EPKsPsPKlPlN2at6native12_GLOBAL__N_18offset_tEEE10hipError_tPvRmT1_PNSt15iterator_traitsIS12_E10value_typeET2_T3_PNS13_IS18_E10value_typeET4_jRbjT5_S1E_jjP12ihipStream_tbEUljE_ZNSN_ISO_Lb1ESQ_SR_ST_SU_SY_EESZ_S10_S11_S12_S16_S17_S18_S1B_S1C_jS1D_jS1E_S1E_jjS1G_bEUljE0_EEESZ_S10_S11_S18_S1C_S1E_T6_T7_T9_mT8_S1G_bDpT10_ENKUlT_T0_E_clISt17integral_constantIbLb1EES1T_IbLb0EEEEDaS1P_S1Q_EUlS1P_E_NS1_11comp_targetILNS1_3genE4ELNS1_11target_archE910ELNS1_3gpuE8ELNS1_3repE0EEENS1_30default_config_static_selectorELNS0_4arch9wavefront6targetE1EEEvS12_,comdat
	.globl	_ZN7rocprim17ROCPRIM_400000_NS6detail17trampoline_kernelINS0_13select_configILj256ELj13ELNS0_17block_load_methodE3ELS4_3ELS4_3ELNS0_20block_scan_algorithmE0ELj4294967295EEENS1_25partition_config_selectorILNS1_17partition_subalgoE4EjNS0_10empty_typeEbEEZZNS1_14partition_implILS8_4ELb0ES6_15HIP_vector_typeIjLj2EENS0_17counting_iteratorIjlEEPS9_SG_NS0_5tupleIJPjSI_NS0_16reverse_iteratorISI_EEEEENSH_IJSG_SG_SG_EEES9_SI_JZNS1_25segmented_radix_sort_implINS0_14default_configELb1EPKsPsPKlPlN2at6native12_GLOBAL__N_18offset_tEEE10hipError_tPvRmT1_PNSt15iterator_traitsIS12_E10value_typeET2_T3_PNS13_IS18_E10value_typeET4_jRbjT5_S1E_jjP12ihipStream_tbEUljE_ZNSN_ISO_Lb1ESQ_SR_ST_SU_SY_EESZ_S10_S11_S12_S16_S17_S18_S1B_S1C_jS1D_jS1E_S1E_jjS1G_bEUljE0_EEESZ_S10_S11_S18_S1C_S1E_T6_T7_T9_mT8_S1G_bDpT10_ENKUlT_T0_E_clISt17integral_constantIbLb1EES1T_IbLb0EEEEDaS1P_S1Q_EUlS1P_E_NS1_11comp_targetILNS1_3genE4ELNS1_11target_archE910ELNS1_3gpuE8ELNS1_3repE0EEENS1_30default_config_static_selectorELNS0_4arch9wavefront6targetE1EEEvS12_ ; -- Begin function _ZN7rocprim17ROCPRIM_400000_NS6detail17trampoline_kernelINS0_13select_configILj256ELj13ELNS0_17block_load_methodE3ELS4_3ELS4_3ELNS0_20block_scan_algorithmE0ELj4294967295EEENS1_25partition_config_selectorILNS1_17partition_subalgoE4EjNS0_10empty_typeEbEEZZNS1_14partition_implILS8_4ELb0ES6_15HIP_vector_typeIjLj2EENS0_17counting_iteratorIjlEEPS9_SG_NS0_5tupleIJPjSI_NS0_16reverse_iteratorISI_EEEEENSH_IJSG_SG_SG_EEES9_SI_JZNS1_25segmented_radix_sort_implINS0_14default_configELb1EPKsPsPKlPlN2at6native12_GLOBAL__N_18offset_tEEE10hipError_tPvRmT1_PNSt15iterator_traitsIS12_E10value_typeET2_T3_PNS13_IS18_E10value_typeET4_jRbjT5_S1E_jjP12ihipStream_tbEUljE_ZNSN_ISO_Lb1ESQ_SR_ST_SU_SY_EESZ_S10_S11_S12_S16_S17_S18_S1B_S1C_jS1D_jS1E_S1E_jjS1G_bEUljE0_EEESZ_S10_S11_S18_S1C_S1E_T6_T7_T9_mT8_S1G_bDpT10_ENKUlT_T0_E_clISt17integral_constantIbLb1EES1T_IbLb0EEEEDaS1P_S1Q_EUlS1P_E_NS1_11comp_targetILNS1_3genE4ELNS1_11target_archE910ELNS1_3gpuE8ELNS1_3repE0EEENS1_30default_config_static_selectorELNS0_4arch9wavefront6targetE1EEEvS12_
	.p2align	8
	.type	_ZN7rocprim17ROCPRIM_400000_NS6detail17trampoline_kernelINS0_13select_configILj256ELj13ELNS0_17block_load_methodE3ELS4_3ELS4_3ELNS0_20block_scan_algorithmE0ELj4294967295EEENS1_25partition_config_selectorILNS1_17partition_subalgoE4EjNS0_10empty_typeEbEEZZNS1_14partition_implILS8_4ELb0ES6_15HIP_vector_typeIjLj2EENS0_17counting_iteratorIjlEEPS9_SG_NS0_5tupleIJPjSI_NS0_16reverse_iteratorISI_EEEEENSH_IJSG_SG_SG_EEES9_SI_JZNS1_25segmented_radix_sort_implINS0_14default_configELb1EPKsPsPKlPlN2at6native12_GLOBAL__N_18offset_tEEE10hipError_tPvRmT1_PNSt15iterator_traitsIS12_E10value_typeET2_T3_PNS13_IS18_E10value_typeET4_jRbjT5_S1E_jjP12ihipStream_tbEUljE_ZNSN_ISO_Lb1ESQ_SR_ST_SU_SY_EESZ_S10_S11_S12_S16_S17_S18_S1B_S1C_jS1D_jS1E_S1E_jjS1G_bEUljE0_EEESZ_S10_S11_S18_S1C_S1E_T6_T7_T9_mT8_S1G_bDpT10_ENKUlT_T0_E_clISt17integral_constantIbLb1EES1T_IbLb0EEEEDaS1P_S1Q_EUlS1P_E_NS1_11comp_targetILNS1_3genE4ELNS1_11target_archE910ELNS1_3gpuE8ELNS1_3repE0EEENS1_30default_config_static_selectorELNS0_4arch9wavefront6targetE1EEEvS12_,@function
_ZN7rocprim17ROCPRIM_400000_NS6detail17trampoline_kernelINS0_13select_configILj256ELj13ELNS0_17block_load_methodE3ELS4_3ELS4_3ELNS0_20block_scan_algorithmE0ELj4294967295EEENS1_25partition_config_selectorILNS1_17partition_subalgoE4EjNS0_10empty_typeEbEEZZNS1_14partition_implILS8_4ELb0ES6_15HIP_vector_typeIjLj2EENS0_17counting_iteratorIjlEEPS9_SG_NS0_5tupleIJPjSI_NS0_16reverse_iteratorISI_EEEEENSH_IJSG_SG_SG_EEES9_SI_JZNS1_25segmented_radix_sort_implINS0_14default_configELb1EPKsPsPKlPlN2at6native12_GLOBAL__N_18offset_tEEE10hipError_tPvRmT1_PNSt15iterator_traitsIS12_E10value_typeET2_T3_PNS13_IS18_E10value_typeET4_jRbjT5_S1E_jjP12ihipStream_tbEUljE_ZNSN_ISO_Lb1ESQ_SR_ST_SU_SY_EESZ_S10_S11_S12_S16_S17_S18_S1B_S1C_jS1D_jS1E_S1E_jjS1G_bEUljE0_EEESZ_S10_S11_S18_S1C_S1E_T6_T7_T9_mT8_S1G_bDpT10_ENKUlT_T0_E_clISt17integral_constantIbLb1EES1T_IbLb0EEEEDaS1P_S1Q_EUlS1P_E_NS1_11comp_targetILNS1_3genE4ELNS1_11target_archE910ELNS1_3gpuE8ELNS1_3repE0EEENS1_30default_config_static_selectorELNS0_4arch9wavefront6targetE1EEEvS12_: ; @_ZN7rocprim17ROCPRIM_400000_NS6detail17trampoline_kernelINS0_13select_configILj256ELj13ELNS0_17block_load_methodE3ELS4_3ELS4_3ELNS0_20block_scan_algorithmE0ELj4294967295EEENS1_25partition_config_selectorILNS1_17partition_subalgoE4EjNS0_10empty_typeEbEEZZNS1_14partition_implILS8_4ELb0ES6_15HIP_vector_typeIjLj2EENS0_17counting_iteratorIjlEEPS9_SG_NS0_5tupleIJPjSI_NS0_16reverse_iteratorISI_EEEEENSH_IJSG_SG_SG_EEES9_SI_JZNS1_25segmented_radix_sort_implINS0_14default_configELb1EPKsPsPKlPlN2at6native12_GLOBAL__N_18offset_tEEE10hipError_tPvRmT1_PNSt15iterator_traitsIS12_E10value_typeET2_T3_PNS13_IS18_E10value_typeET4_jRbjT5_S1E_jjP12ihipStream_tbEUljE_ZNSN_ISO_Lb1ESQ_SR_ST_SU_SY_EESZ_S10_S11_S12_S16_S17_S18_S1B_S1C_jS1D_jS1E_S1E_jjS1G_bEUljE0_EEESZ_S10_S11_S18_S1C_S1E_T6_T7_T9_mT8_S1G_bDpT10_ENKUlT_T0_E_clISt17integral_constantIbLb1EES1T_IbLb0EEEEDaS1P_S1Q_EUlS1P_E_NS1_11comp_targetILNS1_3genE4ELNS1_11target_archE910ELNS1_3gpuE8ELNS1_3repE0EEENS1_30default_config_static_selectorELNS0_4arch9wavefront6targetE1EEEvS12_
; %bb.0:
	s_load_dwordx2 s[0:1], s[4:5], 0x68
	s_load_dword s7, s[4:5], 0x8
	s_load_dwordx2 s[56:57], s[4:5], 0x10
	s_load_dwordx4 s[44:47], s[4:5], 0x58
	s_mul_i32 s33, s6, 0xd00
	s_waitcnt lgkmcnt(0)
	v_mov_b32_e32 v3, s1
	v_mov_b32_e32 v2, s0
	s_load_dword s1, s[4:5], 0x80
	s_load_dwordx2 s[60:61], s[4:5], 0xa8
	s_load_dwordx8 s[36:43], s[4:5], 0x88
	s_load_dwordx4 s[48:51], s[46:47], 0x0
	s_waitcnt lgkmcnt(0)
	s_add_i32 s8, s1, -1
	s_mulk_i32 s1, 0xd00
	s_add_u32 s2, s56, s1
	s_addc_u32 s3, s57, 0
	s_cmp_eq_u32 s6, s8
	s_cselect_b64 s[30:31], -1, 0
	s_cmp_lg_u32 s6, s8
	v_cmp_lt_u64_e32 vcc, s[2:3], v[2:3]
	s_cselect_b64 s[2:3], -1, 0
	s_add_i32 s7, s7, s33
	s_or_b64 s[2:3], s[2:3], vcc
	s_add_i32 s7, s7, s56
	v_add_u32_e32 v1, s7, v0
	s_mov_b64 s[8:9], -1
	s_and_b64 vcc, exec, s[2:3]
	s_cbranch_vccz .LBB865_2
; %bb.1:
	v_add_u32_e32 v2, 0x100, v1
	v_lshlrev_b32_e32 v14, 2, v0
	v_add_u32_e32 v3, 0x200, v1
	v_add_u32_e32 v4, 0x300, v1
	;; [unrolled: 1-line block ×11, first 2 shown]
	ds_write2st64_b32 v14, v1, v2 offset1:4
	ds_write2st64_b32 v14, v3, v4 offset0:8 offset1:12
	ds_write2st64_b32 v14, v5, v6 offset0:16 offset1:20
	;; [unrolled: 1-line block ×5, first 2 shown]
	ds_write_b32 v14, v13 offset:12288
	s_waitcnt lgkmcnt(0)
	s_barrier
	s_mov_b64 s[8:9], 0
.LBB865_2:
	s_andn2_b64 vcc, exec, s[8:9]
	s_add_i32 s1, s1, s56
	s_cbranch_vccnz .LBB865_4
; %bb.3:
	v_add_u32_e32 v2, 0x100, v1
	v_lshlrev_b32_e32 v14, 2, v0
	v_add_u32_e32 v3, 0x200, v1
	v_add_u32_e32 v4, 0x300, v1
	v_add_u32_e32 v5, 0x400, v1
	v_add_u32_e32 v6, 0x500, v1
	v_add_u32_e32 v7, 0x600, v1
	v_add_u32_e32 v8, 0x700, v1
	v_add_u32_e32 v9, 0x800, v1
	v_add_u32_e32 v10, 0x900, v1
	v_add_u32_e32 v11, 0xa00, v1
	v_add_u32_e32 v12, 0xb00, v1
	v_add_u32_e32 v13, 0xc00, v1
	ds_write2st64_b32 v14, v1, v2 offset1:4
	ds_write2st64_b32 v14, v3, v4 offset0:8 offset1:12
	ds_write2st64_b32 v14, v5, v6 offset0:16 offset1:20
	;; [unrolled: 1-line block ×5, first 2 shown]
	ds_write_b32 v14, v13 offset:12288
	s_waitcnt lgkmcnt(0)
	s_barrier
.LBB865_4:
	v_mul_u32_u24_e32 v31, 13, v0
	v_lshlrev_b32_e32 v1, 2, v31
	s_load_dwordx4 s[52:55], s[4:5], 0x28
	s_load_dwordx2 s[34:35], s[4:5], 0x38
	s_waitcnt lgkmcnt(0)
	ds_read2_b32 v[18:19], v1 offset1:1
	ds_read2_b32 v[16:17], v1 offset0:2 offset1:3
	ds_read2_b32 v[14:15], v1 offset0:4 offset1:5
	;; [unrolled: 1-line block ×5, first 2 shown]
	ds_read_b32 v30, v1 offset:48
	v_cndmask_b32_e64 v1, 0, 1, s[2:3]
	s_sub_i32 s7, s0, s1
	v_cmp_ne_u32_e64 s[0:1], 1, v1
	s_andn2_b64 vcc, exec, s[2:3]
	s_waitcnt lgkmcnt(0)
	s_barrier
	s_cbranch_vccnz .LBB865_32
; %bb.5:
	v_add_u32_e32 v1, s37, v18
	v_add_u32_e32 v2, s39, v18
	v_mul_lo_u32 v1, v1, s36
	v_mul_lo_u32 v2, v2, s38
	v_sub_u32_e32 v1, v1, v2
	v_cmp_lt_u32_e32 vcc, s40, v1
	v_cmp_ge_u32_e64 s[2:3], s40, v1
	s_mov_b64 s[64:65], 0
	s_mov_b64 s[62:63], 0
	s_and_saveexec_b64 s[8:9], s[2:3]
; %bb.6:
	v_add_u32_e32 v1, s42, v18
	v_add_u32_e32 v2, s60, v18
	v_mul_lo_u32 v1, v1, s41
	v_mul_lo_u32 v2, v2, s43
	v_sub_u32_e32 v1, v1, v2
	v_cmp_lt_u32_e64 s[2:3], s61, v1
	s_and_b64 s[62:63], s[2:3], exec
; %bb.7:
	s_or_b64 exec, exec, s[8:9]
	v_add_u32_e32 v1, s37, v19
	v_add_u32_e32 v2, s39, v19
	v_mul_lo_u32 v1, v1, s36
	v_mul_lo_u32 v2, v2, s38
	v_sub_u32_e32 v1, v1, v2
	v_cmp_lt_u32_e64 s[2:3], s40, v1
	v_cmp_ge_u32_e64 s[8:9], s40, v1
	s_and_saveexec_b64 s[10:11], s[8:9]
; %bb.8:
	v_add_u32_e32 v1, s42, v19
	v_add_u32_e32 v2, s60, v19
	v_mul_lo_u32 v1, v1, s41
	v_mul_lo_u32 v2, v2, s43
	v_sub_u32_e32 v1, v1, v2
	v_cmp_lt_u32_e64 s[8:9], s61, v1
	s_and_b64 s[64:65], s[8:9], exec
; %bb.9:
	s_or_b64 exec, exec, s[10:11]
	v_add_u32_e32 v1, s37, v16
	v_add_u32_e32 v2, s39, v16
	v_mul_lo_u32 v1, v1, s36
	v_mul_lo_u32 v2, v2, s38
	v_sub_u32_e32 v1, v1, v2
	v_cmp_lt_u32_e64 s[26:27], s40, v1
	v_cmp_ge_u32_e64 s[8:9], s40, v1
	s_mov_b64 s[68:69], 0
	s_mov_b64 s[66:67], 0
	s_and_saveexec_b64 s[10:11], s[8:9]
; %bb.10:
	v_add_u32_e32 v1, s42, v16
	v_add_u32_e32 v2, s60, v16
	v_mul_lo_u32 v1, v1, s41
	v_mul_lo_u32 v2, v2, s43
	v_sub_u32_e32 v1, v1, v2
	v_cmp_lt_u32_e64 s[8:9], s61, v1
	s_and_b64 s[66:67], s[8:9], exec
; %bb.11:
	s_or_b64 exec, exec, s[10:11]
	v_add_u32_e32 v1, s37, v17
	v_add_u32_e32 v2, s39, v17
	v_mul_lo_u32 v1, v1, s36
	v_mul_lo_u32 v2, v2, s38
	v_sub_u32_e32 v1, v1, v2
	v_cmp_lt_u32_e64 s[8:9], s40, v1
	v_cmp_ge_u32_e64 s[10:11], s40, v1
	s_and_saveexec_b64 s[12:13], s[10:11]
; %bb.12:
	v_add_u32_e32 v1, s42, v17
	v_add_u32_e32 v2, s60, v17
	v_mul_lo_u32 v1, v1, s41
	v_mul_lo_u32 v2, v2, s43
	v_sub_u32_e32 v1, v1, v2
	v_cmp_lt_u32_e64 s[10:11], s61, v1
	s_and_b64 s[68:69], s[10:11], exec
; %bb.13:
	s_or_b64 exec, exec, s[12:13]
	v_add_u32_e32 v1, s37, v14
	v_add_u32_e32 v2, s39, v14
	v_mul_lo_u32 v1, v1, s36
	v_mul_lo_u32 v2, v2, s38
	v_sub_u32_e32 v1, v1, v2
	v_cmp_lt_u32_e64 s[10:11], s40, v1
	;; [unrolled: 38-line block ×5, first 2 shown]
	v_cmp_ge_u32_e64 s[24:25], s40, v1
	s_mov_b64 s[84:85], 0
	s_mov_b64 s[86:87], 0
	s_and_saveexec_b64 s[28:29], s[24:25]
; %bb.26:
	v_add_u32_e32 v1, s42, v8
	v_add_u32_e32 v2, s60, v8
	v_mul_lo_u32 v1, v1, s41
	v_mul_lo_u32 v2, v2, s43
	v_sub_u32_e32 v1, v1, v2
	v_cmp_lt_u32_e64 s[24:25], s61, v1
	s_and_b64 s[86:87], s[24:25], exec
; %bb.27:
	s_or_b64 exec, exec, s[28:29]
	v_add_u32_e32 v1, s37, v9
	v_add_u32_e32 v2, s39, v9
	v_mul_lo_u32 v1, v1, s36
	v_mul_lo_u32 v2, v2, s38
	v_sub_u32_e32 v1, v1, v2
	v_cmp_lt_u32_e64 s[24:25], s40, v1
	v_cmp_ge_u32_e64 s[28:29], s40, v1
	s_and_saveexec_b64 s[46:47], s[28:29]
; %bb.28:
	v_add_u32_e32 v1, s42, v9
	v_add_u32_e32 v2, s60, v9
	v_mul_lo_u32 v1, v1, s41
	v_mul_lo_u32 v2, v2, s43
	v_sub_u32_e32 v1, v1, v2
	v_cmp_lt_u32_e64 s[28:29], s61, v1
	s_and_b64 s[84:85], s[28:29], exec
; %bb.29:
	s_or_b64 exec, exec, s[46:47]
	v_add_u32_e32 v1, s37, v30
	v_add_u32_e32 v2, s39, v30
	v_mul_lo_u32 v1, v1, s36
	v_mul_lo_u32 v2, v2, s38
	v_sub_u32_e32 v1, v1, v2
	v_cmp_ge_u32_e64 s[28:29], s40, v1
	s_mov_b64 s[46:47], -1
	s_mov_b64 s[78:79], 0
	s_mov_b64 s[58:59], 0
	s_and_saveexec_b64 s[88:89], s[28:29]
; %bb.30:
	v_add_u32_e32 v1, s42, v30
	v_add_u32_e32 v2, s60, v30
	v_mul_lo_u32 v1, v1, s41
	v_mul_lo_u32 v2, v2, s43
	v_sub_u32_e32 v1, v1, v2
	v_cmp_lt_u32_e64 s[28:29], s61, v1
	s_and_b64 s[58:59], s[28:29], exec
	s_xor_b64 s[46:47], exec, -1
; %bb.31:
	s_or_b64 exec, exec, s[88:89]
	v_cndmask_b32_e64 v52, 0, 1, s[86:87]
	v_cndmask_b32_e64 v55, 0, 1, s[24:25]
	;; [unrolled: 1-line block ×22, first 2 shown]
	v_cndmask_b32_e64 v32, 0, 1, vcc
	v_cndmask_b32_e64 v54, 0, 1, s[84:85]
	s_load_dwordx2 s[12:13], s[4:5], 0x78
	s_add_i32 s18, s7, 0xd00
	s_and_b64 vcc, exec, s[78:79]
	s_cbranch_vccnz .LBB865_33
	s_branch .LBB865_86
.LBB865_32:
                                        ; implicit-def: $sgpr46_sgpr47
                                        ; implicit-def: $sgpr58_sgpr59
                                        ; implicit-def: $vgpr54
                                        ; implicit-def: $vgpr52
                                        ; implicit-def: $vgpr50
                                        ; implicit-def: $vgpr48
                                        ; implicit-def: $vgpr46
                                        ; implicit-def: $vgpr44
                                        ; implicit-def: $vgpr42
                                        ; implicit-def: $vgpr40
                                        ; implicit-def: $vgpr38
                                        ; implicit-def: $vgpr32
                                        ; implicit-def: $vgpr34
                                        ; implicit-def: $vgpr36
                                        ; implicit-def: $vgpr39
                                        ; implicit-def: $vgpr41
                                        ; implicit-def: $vgpr43
                                        ; implicit-def: $vgpr45
                                        ; implicit-def: $vgpr47
                                        ; implicit-def: $vgpr49
                                        ; implicit-def: $vgpr51
                                        ; implicit-def: $vgpr53
                                        ; implicit-def: $vgpr55
                                        ; implicit-def: $vgpr33
                                        ; implicit-def: $vgpr35
                                        ; implicit-def: $vgpr37
	s_load_dwordx2 s[12:13], s[4:5], 0x78
	s_add_i32 s18, s7, 0xd00
	s_cbranch_execz .LBB865_86
.LBB865_33:
	v_cmp_gt_u32_e32 vcc, s18, v31
	v_mov_b32_e32 v33, 0
	v_mov_b32_e32 v32, 0
	s_and_saveexec_b64 s[4:5], vcc
	s_cbranch_execz .LBB865_37
; %bb.34:
	v_add_u32_e32 v1, s37, v18
	v_add_u32_e32 v2, s39, v18
	v_mul_lo_u32 v1, v1, s36
	v_mul_lo_u32 v2, v2, s38
	v_sub_u32_e32 v1, v1, v2
	v_cmp_lt_u32_e32 vcc, s40, v1
	v_cmp_ge_u32_e64 s[2:3], s40, v1
	s_mov_b64 s[10:11], 0
	s_and_saveexec_b64 s[8:9], s[2:3]
; %bb.35:
	v_add_u32_e32 v1, s42, v18
	v_add_u32_e32 v2, s60, v18
	v_mul_lo_u32 v1, v1, s41
	v_mul_lo_u32 v2, v2, s43
	v_sub_u32_e32 v1, v1, v2
	v_cmp_lt_u32_e64 s[2:3], s61, v1
	s_and_b64 s[10:11], s[2:3], exec
; %bb.36:
	s_or_b64 exec, exec, s[8:9]
	v_cndmask_b32_e64 v32, 0, 1, vcc
	v_cndmask_b32_e64 v33, 0, 1, s[10:11]
.LBB865_37:
	s_or_b64 exec, exec, s[4:5]
	v_add_u32_e32 v1, 1, v31
	v_cmp_gt_u32_e32 vcc, s18, v1
	v_mov_b32_e32 v34, 0
	v_mov_b32_e32 v35, 0
	s_and_saveexec_b64 s[4:5], vcc
	s_cbranch_execz .LBB865_41
; %bb.38:
	v_add_u32_e32 v1, s37, v19
	v_add_u32_e32 v2, s39, v19
	v_mul_lo_u32 v1, v1, s36
	v_mul_lo_u32 v2, v2, s38
	v_sub_u32_e32 v1, v1, v2
	v_cmp_lt_u32_e32 vcc, s40, v1
	v_cmp_ge_u32_e64 s[2:3], s40, v1
	s_mov_b64 s[10:11], 0
	s_and_saveexec_b64 s[8:9], s[2:3]
; %bb.39:
	v_add_u32_e32 v1, s42, v19
	v_add_u32_e32 v2, s60, v19
	v_mul_lo_u32 v1, v1, s41
	v_mul_lo_u32 v2, v2, s43
	v_sub_u32_e32 v1, v1, v2
	v_cmp_lt_u32_e64 s[2:3], s61, v1
	s_and_b64 s[10:11], s[2:3], exec
; %bb.40:
	s_or_b64 exec, exec, s[8:9]
	v_cndmask_b32_e64 v34, 0, 1, vcc
	v_cndmask_b32_e64 v35, 0, 1, s[10:11]
.LBB865_41:
	s_or_b64 exec, exec, s[4:5]
	v_add_u32_e32 v1, 2, v31
	;; [unrolled: 30-line block ×12, first 2 shown]
	v_cmp_gt_u32_e32 vcc, s18, v1
	s_mov_b64 s[46:47], 0
	s_mov_b64 s[58:59], 0
	s_and_saveexec_b64 s[2:3], vcc
	s_cbranch_execz .LBB865_85
; %bb.82:
	v_add_u32_e32 v1, s37, v30
	v_add_u32_e32 v2, s39, v30
	v_mul_lo_u32 v1, v1, s36
	v_mul_lo_u32 v2, v2, s38
	v_sub_u32_e32 v1, v1, v2
	v_cmp_ge_u32_e32 vcc, s40, v1
	s_mov_b64 s[8:9], -1
	s_mov_b64 s[10:11], 0
	s_and_saveexec_b64 s[4:5], vcc
; %bb.83:
	v_add_u32_e32 v1, s42, v30
	v_add_u32_e32 v2, s60, v30
	v_mul_lo_u32 v1, v1, s41
	v_mul_lo_u32 v2, v2, s43
	v_sub_u32_e32 v1, v1, v2
	v_cmp_lt_u32_e32 vcc, s61, v1
	s_and_b64 s[10:11], vcc, exec
	s_xor_b64 s[8:9], exec, -1
; %bb.84:
	s_or_b64 exec, exec, s[4:5]
	s_and_b64 s[58:59], s[10:11], exec
	s_and_b64 s[46:47], s[8:9], exec
.LBB865_85:
	s_or_b64 exec, exec, s[2:3]
.LBB865_86:
	v_and_b32_e32 v63, 0xff, v33
	v_and_b32_e32 v74, 0xff, v35
	;; [unrolled: 1-line block ×5, first 2 shown]
	v_add3_u32 v2, v74, v65, v63
	v_and_b32_e32 v76, 0xff, v42
	v_and_b32_e32 v69, 0xff, v44
	v_add3_u32 v2, v2, v75, v67
	v_and_b32_e32 v62, 0xff, v32
	v_and_b32_e32 v56, 0xff, v34
	;; [unrolled: 1-line block ×5, first 2 shown]
	v_add3_u32 v2, v2, v76, v69
	v_and_b32_e32 v57, 0xff, v39
	v_and_b32_e32 v66, 0xff, v41
	;; [unrolled: 1-line block ×4, first 2 shown]
	v_add3_u32 v3, v56, v64, v62
	v_add3_u32 v2, v2, v77, v71
	v_and_b32_e32 v58, 0xff, v43
	v_and_b32_e32 v68, 0xff, v45
	;; [unrolled: 1-line block ×3, first 2 shown]
	v_cndmask_b32_e64 v1, 0, 1, s[58:59]
	v_add3_u32 v3, v3, v57, v66
	v_add3_u32 v2, v2, v78, v73
	v_and_b32_e32 v59, 0xff, v47
	v_and_b32_e32 v70, 0xff, v49
	v_add3_u32 v3, v3, v58, v68
	v_add3_u32 v86, v2, v79, v1
	v_mbcnt_lo_u32_b32 v1, -1, 0
	v_and_b32_e32 v60, 0xff, v51
	v_and_b32_e32 v72, 0xff, v53
	v_add3_u32 v3, v3, v59, v70
	v_mbcnt_hi_u32_b32 v80, -1, v1
	v_and_b32_e32 v61, 0xff, v55
	v_add3_u32 v3, v3, v60, v72
	v_cndmask_b32_e64 v4, 0, 1, s[46:47]
	v_and_b32_e32 v84, 15, v80
	s_cmp_lg_u32 s6, 0
	v_add3_u32 v85, v3, v61, v4
	v_cmp_eq_u32_e64 s[4:5], 0, v84
	v_cmp_lt_u32_e64 s[2:3], 1, v84
	v_cmp_lt_u32_e64 s[8:9], 3, v84
	;; [unrolled: 1-line block ×3, first 2 shown]
	v_and_b32_e32 v83, 16, v80
	v_cmp_lt_u32_e32 vcc, 31, v80
	v_lshrrev_b32_e32 v81, 6, v0
	v_or_b32_e32 v82, 63, v0
	s_cbranch_scc0 .LBB865_119
; %bb.87:
	v_mov_b32_dpp v1, v85 row_shr:1 row_mask:0xf bank_mask:0xf
	v_mov_b32_dpp v2, v86 row_shr:1 row_mask:0xf bank_mask:0xf
	v_add_u32_e32 v1, v1, v85
	v_add_u32_e32 v2, v2, v86
	v_cndmask_b32_e64 v2, v2, v86, s[4:5]
	v_cndmask_b32_e64 v1, v1, v85, s[4:5]
	s_nop 0
	v_mov_b32_dpp v4, v2 row_shr:2 row_mask:0xf bank_mask:0xf
	v_mov_b32_dpp v3, v1 row_shr:2 row_mask:0xf bank_mask:0xf
	v_add_u32_e32 v3, v1, v3
	v_add_u32_e32 v4, v2, v4
	v_cndmask_b32_e64 v2, v2, v4, s[2:3]
	v_cndmask_b32_e64 v1, v1, v3, s[2:3]
	s_nop 0
	v_mov_b32_dpp v4, v2 row_shr:4 row_mask:0xf bank_mask:0xf
	v_mov_b32_dpp v3, v1 row_shr:4 row_mask:0xf bank_mask:0xf
	v_add_u32_e32 v3, v1, v3
	v_add_u32_e32 v4, v2, v4
	v_cndmask_b32_e64 v2, v2, v4, s[8:9]
	v_cndmask_b32_e64 v1, v1, v3, s[8:9]
	v_cmp_eq_u32_e64 s[8:9], 0, v83
	v_mov_b32_dpp v4, v2 row_shr:8 row_mask:0xf bank_mask:0xf
	v_mov_b32_dpp v3, v1 row_shr:8 row_mask:0xf bank_mask:0xf
	v_add_u32_e32 v3, v1, v3
	v_add_u32_e32 v4, v2, v4
	v_cndmask_b32_e64 v2, v2, v4, s[10:11]
	v_cndmask_b32_e64 v1, v1, v3, s[10:11]
	s_nop 0
	v_mov_b32_dpp v4, v2 row_bcast:15 row_mask:0xf bank_mask:0xf
	v_mov_b32_dpp v3, v1 row_bcast:15 row_mask:0xf bank_mask:0xf
	v_add_u32_e32 v3, v1, v3
	v_add_u32_e32 v4, v2, v4
	v_cndmask_b32_e64 v2, v4, v2, s[8:9]
	v_cndmask_b32_e64 v1, v3, v1, s[8:9]
	s_nop 0
	v_mov_b32_dpp v4, v2 row_bcast:31 row_mask:0xf bank_mask:0xf
	v_mov_b32_dpp v3, v1 row_bcast:31 row_mask:0xf bank_mask:0xf
	v_add_u32_e32 v4, v2, v4
	v_add_u32_e32 v5, v1, v3
	v_cndmask_b32_e32 v3, v2, v4, vcc
	v_cndmask_b32_e32 v2, v1, v5, vcc
	v_cmp_eq_u32_e32 vcc, v82, v0
	s_and_saveexec_b64 s[8:9], vcc
	s_cbranch_execz .LBB865_89
; %bb.88:
	v_lshlrev_b32_e32 v1, 3, v81
	ds_write_b64 v1, v[2:3]
.LBB865_89:
	s_or_b64 exec, exec, s[8:9]
	v_cmp_gt_u32_e32 vcc, 4, v0
	s_waitcnt lgkmcnt(0)
	s_barrier
	s_and_saveexec_b64 s[8:9], vcc
	s_cbranch_execz .LBB865_91
; %bb.90:
	v_lshlrev_b32_e32 v1, 3, v0
	ds_read_b64 v[4:5], v1
	v_and_b32_e32 v6, 3, v80
	v_cmp_eq_u32_e32 vcc, 0, v6
	s_waitcnt lgkmcnt(0)
	v_mov_b32_dpp v7, v4 row_shr:1 row_mask:0xf bank_mask:0xf
	v_mov_b32_dpp v20, v5 row_shr:1 row_mask:0xf bank_mask:0xf
	v_add_u32_e32 v7, v7, v4
	v_add_u32_e32 v20, v20, v5
	v_cndmask_b32_e32 v5, v20, v5, vcc
	v_cndmask_b32_e32 v4, v7, v4, vcc
	v_cmp_lt_u32_e32 vcc, 1, v6
	v_mov_b32_dpp v20, v5 row_shr:2 row_mask:0xf bank_mask:0xf
	v_mov_b32_dpp v7, v4 row_shr:2 row_mask:0xf bank_mask:0xf
	v_cndmask_b32_e32 v6, 0, v7, vcc
	v_cndmask_b32_e32 v7, 0, v20, vcc
	v_add_u32_e32 v5, v7, v5
	v_add_u32_e32 v4, v6, v4
	ds_write_b64 v1, v[4:5]
.LBB865_91:
	s_or_b64 exec, exec, s[8:9]
	v_cmp_gt_u32_e32 vcc, 64, v0
	v_cmp_lt_u32_e64 s[8:9], 63, v0
	s_waitcnt lgkmcnt(0)
	s_barrier
	s_waitcnt lgkmcnt(0)
                                        ; implicit-def: $vgpr21
	s_and_saveexec_b64 s[10:11], s[8:9]
	s_xor_b64 s[8:9], exec, s[10:11]
	s_cbranch_execz .LBB865_93
; %bb.92:
	v_lshl_add_u32 v1, v81, 3, -8
	ds_read_b64 v[20:21], v1
	s_waitcnt lgkmcnt(0)
	v_add_u32_e32 v3, v21, v3
	v_add_u32_e32 v2, v20, v2
.LBB865_93:
	s_andn2_saveexec_b64 s[8:9], s[8:9]
; %bb.94:
                                        ; implicit-def: $vgpr20
; %bb.95:
	s_or_b64 exec, exec, s[8:9]
	v_add_u32_e32 v1, -1, v80
	v_and_b32_e32 v4, 64, v80
	v_cmp_lt_i32_e64 s[8:9], v1, v4
	v_cndmask_b32_e64 v1, v1, v80, s[8:9]
	v_lshlrev_b32_e32 v4, 2, v1
	ds_bpermute_b32 v1, v4, v2
	ds_bpermute_b32 v87, v4, v3
	v_cmp_eq_u32_e64 s[8:9], 0, v80
	s_and_saveexec_b64 s[10:11], vcc
	s_cbranch_execz .LBB865_118
; %bb.96:
	v_mov_b32_e32 v7, 0
	ds_read_b64 v[22:23], v7 offset:24
	s_and_saveexec_b64 s[14:15], s[8:9]
	s_cbranch_execz .LBB865_98
; %bb.97:
	s_add_i32 s16, s6, 64
	s_mov_b32 s17, 0
	s_lshl_b64 s[16:17], s[16:17], 4
	s_waitcnt lgkmcnt(0)
	v_and_b32_e32 v2, 0xff000000, v23
	v_and_b32_e32 v3, 0xff0000, v23
	s_add_u32 s16, s12, s16
	v_or_b32_e32 v2, v3, v2
	v_and_b32_e32 v3, 0xff00, v23
	s_addc_u32 s17, s13, s17
	v_or_b32_e32 v2, v2, v3
	v_or_b32_sdwa v5, v2, v23 dst_sel:DWORD dst_unused:UNUSED_PAD src0_sel:DWORD src1_sel:BYTE_0
	v_mov_b32_e32 v6, 1
	v_mov_b32_e32 v4, v22
	v_pk_mov_b32 v[2:3], s[16:17], s[16:17] op_sel:[0,1]
	;;#ASMSTART
	global_store_dwordx4 v[2:3], v[4:7] off	
s_waitcnt vmcnt(0)
	;;#ASMEND
.LBB865_98:
	s_or_b64 exec, exec, s[14:15]
	v_xad_u32 v24, v80, -1, s6
	v_add_u32_e32 v6, 64, v24
	v_lshlrev_b64 v[2:3], 4, v[6:7]
	v_mov_b32_e32 v4, s13
	v_add_co_u32_e32 v26, vcc, s12, v2
	v_addc_co_u32_e32 v27, vcc, v4, v3, vcc
	;;#ASMSTART
	global_load_dwordx4 v[2:5], v[26:27] off glc	
s_waitcnt vmcnt(0)
	;;#ASMEND
	v_and_b32_e32 v5, 0xff, v3
	v_and_b32_e32 v6, 0xff00, v3
	v_or3_b32 v5, 0, v5, v6
	v_or3_b32 v2, v2, 0, 0
	v_and_b32_e32 v6, 0xff000000, v3
	v_and_b32_e32 v3, 0xff0000, v3
	v_or3_b32 v3, v5, v3, v6
	v_or3_b32 v2, v2, 0, 0
	v_cmp_eq_u16_sdwa s[16:17], v4, v7 src0_sel:BYTE_0 src1_sel:DWORD
	s_and_saveexec_b64 s[14:15], s[16:17]
	s_cbranch_execz .LBB865_104
; %bb.99:
	s_mov_b32 s7, 1
	s_mov_b64 s[16:17], 0
	v_mov_b32_e32 v6, 0
.LBB865_100:                            ; =>This Loop Header: Depth=1
                                        ;     Child Loop BB865_101 Depth 2
	s_max_u32 s19, s7, 1
.LBB865_101:                            ;   Parent Loop BB865_100 Depth=1
                                        ; =>  This Inner Loop Header: Depth=2
	s_add_i32 s19, s19, -1
	s_cmp_eq_u32 s19, 0
	s_sleep 1
	s_cbranch_scc0 .LBB865_101
; %bb.102:                              ;   in Loop: Header=BB865_100 Depth=1
	s_cmp_lt_u32 s7, 32
	s_cselect_b64 s[20:21], -1, 0
	s_cmp_lg_u64 s[20:21], 0
	s_addc_u32 s7, s7, 0
	;;#ASMSTART
	global_load_dwordx4 v[2:5], v[26:27] off glc	
s_waitcnt vmcnt(0)
	;;#ASMEND
	v_cmp_ne_u16_sdwa s[20:21], v4, v6 src0_sel:BYTE_0 src1_sel:DWORD
	s_or_b64 s[16:17], s[20:21], s[16:17]
	s_andn2_b64 exec, exec, s[16:17]
	s_cbranch_execnz .LBB865_100
; %bb.103:
	s_or_b64 exec, exec, s[16:17]
.LBB865_104:
	s_or_b64 exec, exec, s[14:15]
	v_and_b32_e32 v89, 63, v80
	v_cmp_ne_u32_e32 vcc, 63, v89
	v_mov_b32_e32 v88, 2
	v_addc_co_u32_e32 v26, vcc, 0, v80, vcc
	v_cmp_eq_u16_sdwa s[14:15], v4, v88 src0_sel:BYTE_0 src1_sel:DWORD
	v_lshlrev_b64 v[6:7], v80, -1
	v_lshlrev_b32_e32 v90, 2, v26
	v_and_b32_e32 v5, s15, v7
	ds_bpermute_b32 v26, v90, v2
	ds_bpermute_b32 v27, v90, v3
	v_or_b32_e32 v5, 0x80000000, v5
	v_and_b32_e32 v25, s14, v6
	v_ffbl_b32_e32 v5, v5
	v_add_u32_e32 v5, 32, v5
	v_ffbl_b32_e32 v25, v25
	v_min_u32_e32 v5, v25, v5
	s_waitcnt lgkmcnt(1)
	v_add_u32_e32 v25, v26, v2
	s_waitcnt lgkmcnt(0)
	v_add_u32_e32 v26, v27, v3
	v_cmp_lt_u32_e32 vcc, v89, v5
	v_cndmask_b32_e32 v3, v3, v26, vcc
	v_cndmask_b32_e32 v2, v2, v25, vcc
	v_cmp_gt_u32_e32 vcc, 62, v89
	v_cndmask_b32_e64 v25, 0, 1, vcc
	v_lshlrev_b32_e32 v25, 1, v25
	v_add_lshl_u32 v91, v25, v80, 2
	ds_bpermute_b32 v25, v91, v2
	ds_bpermute_b32 v26, v91, v3
	v_add_u32_e32 v92, 2, v89
	v_cmp_gt_u32_e32 vcc, v92, v5
	v_add_u32_e32 v94, 4, v89
	s_waitcnt lgkmcnt(1)
	v_add_u32_e32 v25, v2, v25
	s_waitcnt lgkmcnt(0)
	v_add_u32_e32 v26, v3, v26
	v_cndmask_b32_e32 v3, v26, v3, vcc
	v_cndmask_b32_e32 v2, v25, v2, vcc
	v_cmp_gt_u32_e32 vcc, 60, v89
	v_cndmask_b32_e64 v25, 0, 1, vcc
	v_lshlrev_b32_e32 v25, 2, v25
	v_add_lshl_u32 v93, v25, v80, 2
	ds_bpermute_b32 v25, v93, v2
	ds_bpermute_b32 v26, v93, v3
	v_cmp_gt_u32_e32 vcc, v94, v5
	v_add_u32_e32 v96, 8, v89
	v_add_u32_e32 v98, 16, v89
	s_waitcnt lgkmcnt(1)
	v_add_u32_e32 v25, v2, v25
	s_waitcnt lgkmcnt(0)
	v_add_u32_e32 v26, v3, v26
	v_cndmask_b32_e32 v3, v26, v3, vcc
	v_cndmask_b32_e32 v2, v25, v2, vcc
	v_cmp_gt_u32_e32 vcc, 56, v89
	v_cndmask_b32_e64 v25, 0, 1, vcc
	v_lshlrev_b32_e32 v25, 3, v25
	v_add_lshl_u32 v95, v25, v80, 2
	ds_bpermute_b32 v25, v95, v2
	ds_bpermute_b32 v26, v95, v3
	v_cmp_gt_u32_e32 vcc, v96, v5
	v_add_u32_e32 v100, 32, v89
	s_waitcnt lgkmcnt(1)
	v_add_u32_e32 v25, v2, v25
	s_waitcnt lgkmcnt(0)
	v_add_u32_e32 v26, v3, v26
	v_cndmask_b32_e32 v3, v26, v3, vcc
	v_cndmask_b32_e32 v2, v25, v2, vcc
	v_cmp_gt_u32_e32 vcc, 48, v89
	v_cndmask_b32_e64 v25, 0, 1, vcc
	v_lshlrev_b32_e32 v25, 4, v25
	v_add_lshl_u32 v97, v25, v80, 2
	ds_bpermute_b32 v25, v97, v2
	ds_bpermute_b32 v26, v97, v3
	v_cmp_gt_u32_e32 vcc, v98, v5
	s_waitcnt lgkmcnt(1)
	v_add_u32_e32 v25, v2, v25
	s_waitcnt lgkmcnt(0)
	v_add_u32_e32 v26, v3, v26
	v_cndmask_b32_e32 v3, v26, v3, vcc
	v_cndmask_b32_e32 v2, v25, v2, vcc
	v_cmp_gt_u32_e32 vcc, 32, v89
	v_cndmask_b32_e64 v25, 0, 1, vcc
	v_lshlrev_b32_e32 v25, 5, v25
	v_add_lshl_u32 v99, v25, v80, 2
	ds_bpermute_b32 v25, v99, v2
	ds_bpermute_b32 v26, v99, v3
	v_cmp_le_u32_e32 vcc, v100, v5
	s_waitcnt lgkmcnt(1)
	v_cndmask_b32_e32 v5, 0, v25, vcc
	s_waitcnt lgkmcnt(0)
	v_cndmask_b32_e32 v25, 0, v26, vcc
	v_add_u32_e32 v3, v3, v25
	v_add_u32_e32 v2, v2, v5
	v_mov_b32_e32 v25, 0
	s_branch .LBB865_106
.LBB865_105:                            ;   in Loop: Header=BB865_106 Depth=1
	s_or_b64 exec, exec, s[14:15]
	v_cmp_eq_u16_sdwa s[14:15], v4, v88 src0_sel:BYTE_0 src1_sel:DWORD
	v_and_b32_e32 v5, s15, v7
	ds_bpermute_b32 v29, v90, v2
	ds_bpermute_b32 v101, v90, v3
	v_or_b32_e32 v5, 0x80000000, v5
	v_and_b32_e32 v28, s14, v6
	v_ffbl_b32_e32 v5, v5
	v_add_u32_e32 v5, 32, v5
	v_ffbl_b32_e32 v28, v28
	v_min_u32_e32 v5, v28, v5
	s_waitcnt lgkmcnt(1)
	v_add_u32_e32 v28, v29, v2
	s_waitcnt lgkmcnt(0)
	v_add_u32_e32 v29, v101, v3
	v_cmp_lt_u32_e32 vcc, v89, v5
	v_cndmask_b32_e32 v3, v3, v29, vcc
	v_cndmask_b32_e32 v2, v2, v28, vcc
	ds_bpermute_b32 v28, v91, v2
	ds_bpermute_b32 v29, v91, v3
	v_cmp_gt_u32_e32 vcc, v92, v5
	v_subrev_u32_e32 v24, 64, v24
	s_waitcnt lgkmcnt(1)
	v_add_u32_e32 v28, v2, v28
	s_waitcnt lgkmcnt(0)
	v_add_u32_e32 v29, v3, v29
	v_cndmask_b32_e32 v3, v29, v3, vcc
	v_cndmask_b32_e32 v2, v28, v2, vcc
	ds_bpermute_b32 v28, v93, v2
	ds_bpermute_b32 v29, v93, v3
	v_cmp_gt_u32_e32 vcc, v94, v5
	s_waitcnt lgkmcnt(1)
	v_add_u32_e32 v28, v2, v28
	s_waitcnt lgkmcnt(0)
	v_add_u32_e32 v29, v3, v29
	v_cndmask_b32_e32 v3, v29, v3, vcc
	v_cndmask_b32_e32 v2, v28, v2, vcc
	ds_bpermute_b32 v28, v95, v2
	ds_bpermute_b32 v29, v95, v3
	v_cmp_gt_u32_e32 vcc, v96, v5
	;; [unrolled: 9-line block ×3, first 2 shown]
	s_waitcnt lgkmcnt(1)
	v_add_u32_e32 v28, v2, v28
	s_waitcnt lgkmcnt(0)
	v_add_u32_e32 v29, v3, v29
	v_cndmask_b32_e32 v3, v29, v3, vcc
	v_cndmask_b32_e32 v2, v28, v2, vcc
	ds_bpermute_b32 v28, v99, v2
	ds_bpermute_b32 v29, v99, v3
	v_cmp_le_u32_e32 vcc, v100, v5
	s_waitcnt lgkmcnt(1)
	v_cndmask_b32_e32 v5, 0, v28, vcc
	s_waitcnt lgkmcnt(0)
	v_cndmask_b32_e32 v28, 0, v29, vcc
	v_add3_u32 v3, v28, v27, v3
	v_add3_u32 v2, v5, v26, v2
.LBB865_106:                            ; =>This Loop Header: Depth=1
                                        ;     Child Loop BB865_109 Depth 2
                                        ;       Child Loop BB865_110 Depth 3
	v_cmp_ne_u16_sdwa s[14:15], v4, v88 src0_sel:BYTE_0 src1_sel:DWORD
	v_cndmask_b32_e64 v4, 0, 1, s[14:15]
	;;#ASMSTART
	;;#ASMEND
	v_cmp_ne_u32_e32 vcc, 0, v4
	s_cmp_lg_u64 vcc, exec
	v_pk_mov_b32 v[26:27], v[2:3], v[2:3] op_sel:[0,1]
	s_cbranch_scc1 .LBB865_113
; %bb.107:                              ;   in Loop: Header=BB865_106 Depth=1
	v_lshlrev_b64 v[2:3], 4, v[24:25]
	v_mov_b32_e32 v4, s13
	v_add_co_u32_e32 v28, vcc, s12, v2
	v_addc_co_u32_e32 v29, vcc, v4, v3, vcc
	;;#ASMSTART
	global_load_dwordx4 v[2:5], v[28:29] off glc	
s_waitcnt vmcnt(0)
	;;#ASMEND
	v_and_b32_e32 v5, 0xff, v3
	v_and_b32_e32 v101, 0xff00, v3
	v_or3_b32 v5, 0, v5, v101
	v_or3_b32 v2, v2, 0, 0
	v_and_b32_e32 v101, 0xff000000, v3
	v_and_b32_e32 v3, 0xff0000, v3
	v_or3_b32 v3, v5, v3, v101
	v_or3_b32 v2, v2, 0, 0
	v_cmp_eq_u16_sdwa s[16:17], v4, v25 src0_sel:BYTE_0 src1_sel:DWORD
	s_and_saveexec_b64 s[14:15], s[16:17]
	s_cbranch_execz .LBB865_105
; %bb.108:                              ;   in Loop: Header=BB865_106 Depth=1
	s_mov_b32 s7, 1
	s_mov_b64 s[16:17], 0
.LBB865_109:                            ;   Parent Loop BB865_106 Depth=1
                                        ; =>  This Loop Header: Depth=2
                                        ;       Child Loop BB865_110 Depth 3
	s_max_u32 s19, s7, 1
.LBB865_110:                            ;   Parent Loop BB865_106 Depth=1
                                        ;     Parent Loop BB865_109 Depth=2
                                        ; =>    This Inner Loop Header: Depth=3
	s_add_i32 s19, s19, -1
	s_cmp_eq_u32 s19, 0
	s_sleep 1
	s_cbranch_scc0 .LBB865_110
; %bb.111:                              ;   in Loop: Header=BB865_109 Depth=2
	s_cmp_lt_u32 s7, 32
	s_cselect_b64 s[20:21], -1, 0
	s_cmp_lg_u64 s[20:21], 0
	s_addc_u32 s7, s7, 0
	;;#ASMSTART
	global_load_dwordx4 v[2:5], v[28:29] off glc	
s_waitcnt vmcnt(0)
	;;#ASMEND
	v_cmp_ne_u16_sdwa s[20:21], v4, v25 src0_sel:BYTE_0 src1_sel:DWORD
	s_or_b64 s[16:17], s[20:21], s[16:17]
	s_andn2_b64 exec, exec, s[16:17]
	s_cbranch_execnz .LBB865_109
; %bb.112:                              ;   in Loop: Header=BB865_106 Depth=1
	s_or_b64 exec, exec, s[16:17]
	s_branch .LBB865_105
.LBB865_113:                            ;   in Loop: Header=BB865_106 Depth=1
                                        ; implicit-def: $vgpr4
                                        ; implicit-def: $vgpr2_vgpr3
	s_cbranch_execz .LBB865_106
; %bb.114:
	s_and_saveexec_b64 s[14:15], s[8:9]
	s_cbranch_execz .LBB865_116
; %bb.115:
	s_add_i32 s6, s6, 64
	s_mov_b32 s7, 0
	v_add_u32_e32 v3, v27, v23
	s_lshl_b64 s[6:7], s[6:7], 4
	s_add_u32 s6, s12, s6
	v_and_b32_e32 v4, 0xff000000, v3
	v_and_b32_e32 v6, 0xff0000, v3
	s_addc_u32 s7, s13, s7
	v_or_b32_e32 v4, v6, v4
	v_and_b32_e32 v6, 0xff00, v3
	v_and_b32_e32 v3, 0xff, v3
	v_add_u32_e32 v2, v26, v22
	v_mov_b32_e32 v5, 0
	v_or3_b32 v3, v4, v6, v3
	v_mov_b32_e32 v4, 2
	v_pk_mov_b32 v[6:7], s[6:7], s[6:7] op_sel:[0,1]
	;;#ASMSTART
	global_store_dwordx4 v[6:7], v[2:5] off	
s_waitcnt vmcnt(0)
	;;#ASMEND
	s_movk_i32 s6, 0x3400
	v_add_u32_e64 v2, s6, 0
	ds_write2_b32 v2, v22, v23 offset1:2
	ds_write2_b32 v2, v26, v27 offset0:4 offset1:6
.LBB865_116:
	s_or_b64 exec, exec, s[14:15]
	v_cmp_eq_u32_e32 vcc, 0, v0
	s_and_b64 exec, exec, vcc
	s_cbranch_execz .LBB865_118
; %bb.117:
	v_mov_b32_e32 v2, 0
	ds_write_b64 v2, v[26:27] offset:24
.LBB865_118:
	s_or_b64 exec, exec, s[10:11]
	v_mov_b32_e32 v2, 0
	s_waitcnt lgkmcnt(0)
	s_barrier
	ds_read_b64 v[6:7], v2 offset:24
	s_movk_i32 s6, 0x3400
	v_cndmask_b32_e64 v2, v87, v21, s[8:9]
	v_cndmask_b32_e64 v1, v1, v20, s[8:9]
	v_add_u32_e64 v4, s6, 0
	s_waitcnt lgkmcnt(0)
	v_add_u32_e32 v20, v6, v1
	v_add_u32_e32 v1, v7, v2
	s_barrier
	ds_read2_b32 v[2:3], v4 offset1:2
	ds_read2_b32 v[4:5], v4 offset0:4 offset1:6
	v_cmp_eq_u32_e32 vcc, 0, v0
	v_cndmask_b32_e32 v1, v1, v7, vcc
	v_cndmask_b32_e32 v20, v20, v6, vcc
	s_branch .LBB865_129
.LBB865_119:
                                        ; implicit-def: $vgpr1
                                        ; implicit-def: $vgpr4
                                        ; implicit-def: $vgpr2
                                        ; implicit-def: $vgpr20_vgpr21
	s_cbranch_execz .LBB865_129
; %bb.120:
	s_nop 0
	v_mov_b32_dpp v1, v85 row_shr:1 row_mask:0xf bank_mask:0xf
	s_waitcnt lgkmcnt(0)
	v_mov_b32_dpp v2, v86 row_shr:1 row_mask:0xf bank_mask:0xf
	v_add_u32_e32 v1, v1, v85
	v_add_u32_e32 v2, v2, v86
	v_cndmask_b32_e64 v2, v2, v86, s[4:5]
	v_cndmask_b32_e64 v1, v1, v85, s[4:5]
	v_cmp_lt_u32_e32 vcc, 3, v84
	v_mov_b32_dpp v4, v2 row_shr:2 row_mask:0xf bank_mask:0xf
	v_mov_b32_dpp v3, v1 row_shr:2 row_mask:0xf bank_mask:0xf
	v_add_u32_e32 v3, v1, v3
	v_add_u32_e32 v4, v2, v4
	v_cndmask_b32_e64 v2, v2, v4, s[2:3]
	v_cndmask_b32_e64 v1, v1, v3, s[2:3]
	s_nop 0
	v_mov_b32_dpp v4, v2 row_shr:4 row_mask:0xf bank_mask:0xf
	v_mov_b32_dpp v3, v1 row_shr:4 row_mask:0xf bank_mask:0xf
	v_add_u32_e32 v3, v1, v3
	v_add_u32_e32 v4, v2, v4
	v_cndmask_b32_e32 v2, v2, v4, vcc
	v_cndmask_b32_e32 v1, v1, v3, vcc
	v_cmp_lt_u32_e32 vcc, 7, v84
	v_mov_b32_dpp v4, v2 row_shr:8 row_mask:0xf bank_mask:0xf
	v_mov_b32_dpp v3, v1 row_shr:8 row_mask:0xf bank_mask:0xf
	v_add_u32_e32 v3, v1, v3
	v_add_u32_e32 v4, v2, v4
	v_cndmask_b32_e32 v2, v2, v4, vcc
	v_cndmask_b32_e32 v1, v1, v3, vcc
	v_cmp_eq_u32_e32 vcc, 0, v83
	v_mov_b32_dpp v4, v2 row_bcast:15 row_mask:0xf bank_mask:0xf
	v_mov_b32_dpp v3, v1 row_bcast:15 row_mask:0xf bank_mask:0xf
	v_add_u32_e32 v3, v1, v3
	v_add_u32_e32 v4, v2, v4
	v_cndmask_b32_e32 v2, v4, v2, vcc
	v_cndmask_b32_e32 v1, v3, v1, vcc
	v_cmp_lt_u32_e32 vcc, 31, v80
	v_mov_b32_dpp v4, v2 row_bcast:31 row_mask:0xf bank_mask:0xf
	v_mov_b32_dpp v3, v1 row_bcast:31 row_mask:0xf bank_mask:0xf
	v_add_u32_e32 v4, v2, v4
	v_add_u32_e32 v5, v1, v3
	v_cndmask_b32_e32 v3, v2, v4, vcc
	v_cndmask_b32_e32 v2, v1, v5, vcc
	v_cmp_eq_u32_e32 vcc, v82, v0
	s_and_saveexec_b64 s[2:3], vcc
	s_cbranch_execz .LBB865_122
; %bb.121:
	v_lshlrev_b32_e32 v1, 3, v81
	ds_write_b64 v1, v[2:3]
.LBB865_122:
	s_or_b64 exec, exec, s[2:3]
	v_cmp_gt_u32_e32 vcc, 4, v0
	s_waitcnt lgkmcnt(0)
	s_barrier
	s_and_saveexec_b64 s[2:3], vcc
	s_cbranch_execz .LBB865_124
; %bb.123:
	v_lshlrev_b32_e32 v1, 3, v0
	ds_read_b64 v[4:5], v1
	v_and_b32_e32 v6, 3, v80
	v_cmp_eq_u32_e32 vcc, 0, v6
	s_waitcnt lgkmcnt(0)
	v_mov_b32_dpp v7, v4 row_shr:1 row_mask:0xf bank_mask:0xf
	v_mov_b32_dpp v20, v5 row_shr:1 row_mask:0xf bank_mask:0xf
	v_add_u32_e32 v7, v7, v4
	v_add_u32_e32 v20, v20, v5
	v_cndmask_b32_e32 v5, v20, v5, vcc
	v_cndmask_b32_e32 v4, v7, v4, vcc
	v_cmp_lt_u32_e32 vcc, 1, v6
	v_mov_b32_dpp v20, v5 row_shr:2 row_mask:0xf bank_mask:0xf
	v_mov_b32_dpp v7, v4 row_shr:2 row_mask:0xf bank_mask:0xf
	v_cndmask_b32_e32 v6, 0, v7, vcc
	v_cndmask_b32_e32 v7, 0, v20, vcc
	v_add_u32_e32 v5, v7, v5
	v_add_u32_e32 v4, v6, v4
	ds_write_b64 v1, v[4:5]
.LBB865_124:
	s_or_b64 exec, exec, s[2:3]
	v_cmp_lt_u32_e32 vcc, 63, v0
	v_mov_b32_e32 v4, 0
	v_mov_b32_e32 v6, 0
	;; [unrolled: 1-line block ×3, first 2 shown]
	s_waitcnt lgkmcnt(0)
	s_barrier
	s_and_saveexec_b64 s[2:3], vcc
	s_cbranch_execz .LBB865_126
; %bb.125:
	v_lshl_add_u32 v1, v81, 3, -8
	ds_read_b64 v[6:7], v1
.LBB865_126:
	s_or_b64 exec, exec, s[2:3]
	s_waitcnt lgkmcnt(0)
	v_add_u32_e32 v5, v7, v3
	v_add_u32_e32 v1, v6, v2
	v_add_u32_e32 v2, -1, v80
	v_and_b32_e32 v3, 64, v80
	v_cmp_lt_i32_e32 vcc, v2, v3
	v_cndmask_b32_e32 v2, v2, v80, vcc
	v_lshlrev_b32_e32 v20, 2, v2
	ds_read_b64 v[2:3], v4 offset:24
	ds_bpermute_b32 v1, v20, v1
	ds_bpermute_b32 v20, v20, v5
	v_cmp_eq_u32_e32 vcc, 0, v0
	s_waitcnt lgkmcnt(2)
	v_readfirstlane_b32 s4, v3
	s_and_saveexec_b64 s[2:3], vcc
	s_cbranch_execz .LBB865_128
; %bb.127:
	s_add_u32 s6, s12, 0x400
	s_mov_b32 s8, 0
	s_addc_u32 s7, s13, 0
	s_and_b32 s9, s4, 0xff000000
	s_and_b32 s11, s4, 0xff0000
	s_mov_b32 s10, s8
	s_or_b64 s[10:11], s[10:11], s[8:9]
	s_and_b32 s9, s4, 0xff00
	s_or_b64 s[10:11], s[10:11], s[8:9]
	s_and_b32 s9, s4, 0xff
	s_or_b64 s[8:9], s[10:11], s[8:9]
	v_mov_b32_e32 v3, s9
	v_mov_b32_e32 v4, 2
	;; [unrolled: 1-line block ×3, first 2 shown]
	v_pk_mov_b32 v[22:23], s[6:7], s[6:7] op_sel:[0,1]
	;;#ASMSTART
	global_store_dwordx4 v[22:23], v[2:5] off	
s_waitcnt vmcnt(0)
	;;#ASMEND
.LBB865_128:
	s_or_b64 exec, exec, s[2:3]
	v_cmp_eq_u32_e64 s[2:3], 0, v80
	s_waitcnt lgkmcnt(1)
	v_cndmask_b32_e64 v3, v1, v6, s[2:3]
	s_waitcnt lgkmcnt(0)
	v_cndmask_b32_e64 v1, v20, v7, s[2:3]
	v_mov_b32_e32 v4, 0
	v_cndmask_b32_e64 v1, v1, 0, vcc
	v_cndmask_b32_e64 v20, v3, 0, vcc
	s_barrier
	v_mov_b32_e32 v3, s4
	v_mov_b32_e32 v5, 0
.LBB865_129:
	v_add_u32_e32 v24, v1, v63
	v_add_u32_e32 v25, v24, v74
	;; [unrolled: 1-line block ×14, first 2 shown]
	v_mov_b32_e32 v7, s49
	s_waitcnt lgkmcnt(0)
	v_add_co_u32_e32 v6, vcc, s48, v4
	v_add_u32_e32 v64, v58, v68
	v_add_u32_e32 v68, v66, v71
	v_addc_co_u32_e32 v7, vcc, 0, v7, vcc
	v_add_u32_e32 v69, v68, v78
	v_mov_b32_e32 v22, s51
	v_sub_co_u32_e32 v23, vcc, s50, v2
	v_add_u32_e32 v71, v69, v73
	v_subbrev_co_u32_e32 v73, vcc, 0, v22, vcc
	v_add_co_u32_e32 v22, vcc, v23, v5
	v_addc_co_u32_e32 v23, vcc, 0, v73, vcc
	v_lshlrev_b32_e32 v73, 1, v2
	v_sub_u32_e32 v1, v1, v5
	v_add_u32_e32 v74, v73, v3
	v_sub_u32_e32 v20, v20, v4
	v_add_u32_e32 v1, v1, v2
	v_add_u32_e32 v31, v74, v31
	v_and_b32_e32 v33, 1, v33
	v_add_u32_e32 v74, v20, v1
	v_and_b32_e32 v32, 1, v32
	v_sub_u32_e32 v74, v31, v74
	v_cmp_eq_u32_e32 vcc, 1, v33
	v_cndmask_b32_e32 v1, v74, v1, vcc
	v_cmp_eq_u32_e32 vcc, 1, v32
	v_cndmask_b32_e32 v1, v1, v20, vcc
	v_lshlrev_b32_e32 v1, 2, v1
	v_sub_u32_e32 v20, v24, v5
	ds_write_b32 v1, v18
	v_sub_u32_e32 v1, v21, v4
	v_add_u32_e32 v20, v20, v2
	v_add_u32_e32 v24, v20, v1
	v_and_b32_e32 v21, 1, v35
	v_sub_u32_e32 v24, v31, v24
	v_and_b32_e32 v18, 1, v34
	v_add_u32_e32 v24, 1, v24
	v_cmp_eq_u32_e32 vcc, 1, v21
	v_cndmask_b32_e32 v20, v24, v20, vcc
	v_cmp_eq_u32_e32 vcc, 1, v18
	v_cndmask_b32_e32 v1, v20, v1, vcc
	v_lshlrev_b32_e32 v1, 2, v1
	ds_write_b32 v1, v19
	v_sub_u32_e32 v19, v25, v5
	v_sub_u32_e32 v1, v26, v4
	v_add_u32_e32 v19, v19, v2
	v_add_u32_e32 v21, v19, v1
	v_and_b32_e32 v20, 1, v37
	v_sub_u32_e32 v21, v31, v21
	v_and_b32_e32 v18, 1, v36
	v_add_u32_e32 v21, 2, v21
	v_cmp_eq_u32_e32 vcc, 1, v20
	v_cndmask_b32_e32 v19, v21, v19, vcc
	v_cmp_eq_u32_e32 vcc, 1, v18
	v_cndmask_b32_e32 v1, v19, v1, vcc
	v_lshlrev_b32_e32 v1, 2, v1
	v_sub_u32_e32 v18, v28, v5
	ds_write_b32 v1, v16
	v_sub_u32_e32 v1, v27, v4
	v_add_u32_e32 v18, v18, v2
	v_add_u32_e32 v20, v1, v18
	v_and_b32_e32 v19, 1, v38
	v_sub_u32_e32 v20, v31, v20
	v_and_b32_e32 v16, 1, v39
	v_add_u32_e32 v20, 3, v20
	v_cmp_eq_u32_e32 vcc, 1, v19
	v_cndmask_b32_e32 v18, v20, v18, vcc
	v_cmp_eq_u32_e32 vcc, 1, v16
	v_cndmask_b32_e32 v1, v18, v1, vcc
	v_lshlrev_b32_e32 v1, 2, v1
	ds_write_b32 v1, v17
	v_sub_u32_e32 v17, v29, v5
	v_sub_u32_e32 v1, v56, v4
	v_add_u32_e32 v17, v17, v2
	v_add_u32_e32 v19, v1, v17
	v_and_b32_e32 v18, 1, v40
	v_sub_u32_e32 v19, v31, v19
	v_and_b32_e32 v16, 1, v41
	v_add_u32_e32 v19, 4, v19
	;; [unrolled: 28-line block ×3, first 2 shown]
	v_cmp_eq_u32_e32 vcc, 1, v16
	v_cndmask_b32_e32 v15, v17, v15, vcc
	v_cmp_eq_u32_e32 vcc, 1, v14
	v_cndmask_b32_e32 v1, v15, v1, vcc
	v_lshlrev_b32_e32 v1, 2, v1
	v_sub_u32_e32 v14, v65, v5
	ds_write_b32 v1, v12
	v_sub_u32_e32 v1, v64, v4
	v_add_u32_e32 v14, v14, v2
	v_add_u32_e32 v16, v1, v14
	v_and_b32_e32 v15, 1, v46
	v_sub_u32_e32 v16, v31, v16
	v_and_b32_e32 v12, 1, v47
	v_add_u32_e32 v16, 7, v16
	v_cmp_eq_u32_e32 vcc, 1, v15
	v_cndmask_b32_e32 v14, v16, v14, vcc
	v_cmp_eq_u32_e32 vcc, 1, v12
	v_cndmask_b32_e32 v1, v14, v1, vcc
	v_lshlrev_b32_e32 v1, 2, v1
	v_add_u32_e32 v59, v64, v59
	ds_write_b32 v1, v13
	v_sub_u32_e32 v13, v66, v5
	v_sub_u32_e32 v1, v59, v4
	v_add_u32_e32 v13, v13, v2
	v_add_u32_e32 v15, v1, v13
	v_and_b32_e32 v14, 1, v48
	v_sub_u32_e32 v15, v31, v15
	v_and_b32_e32 v12, 1, v49
	v_add_u32_e32 v15, 8, v15
	v_cmp_eq_u32_e32 vcc, 1, v14
	v_cndmask_b32_e32 v13, v15, v13, vcc
	v_cmp_eq_u32_e32 vcc, 1, v12
	v_cndmask_b32_e32 v1, v13, v1, vcc
	v_add_u32_e32 v67, v59, v70
	v_lshlrev_b32_e32 v1, 2, v1
	v_sub_u32_e32 v12, v68, v5
	ds_write_b32 v1, v10
	v_sub_u32_e32 v1, v67, v4
	v_add_u32_e32 v12, v12, v2
	v_add_u32_e32 v14, v1, v12
	v_and_b32_e32 v13, 1, v50
	v_sub_u32_e32 v14, v31, v14
	v_and_b32_e32 v10, 1, v51
	v_add_u32_e32 v14, 9, v14
	v_cmp_eq_u32_e32 vcc, 1, v13
	v_cndmask_b32_e32 v12, v14, v12, vcc
	v_cmp_eq_u32_e32 vcc, 1, v10
	v_cndmask_b32_e32 v1, v12, v1, vcc
	v_lshlrev_b32_e32 v1, 2, v1
	v_add_u32_e32 v60, v67, v60
	ds_write_b32 v1, v11
	v_sub_u32_e32 v11, v69, v5
	v_sub_u32_e32 v1, v60, v4
	v_add_u32_e32 v11, v11, v2
	v_add_u32_e32 v13, v1, v11
	v_and_b32_e32 v12, 1, v52
	v_sub_u32_e32 v13, v31, v13
	v_and_b32_e32 v10, 1, v53
	v_add_u32_e32 v13, 10, v13
	v_cmp_eq_u32_e32 vcc, 1, v12
	v_cndmask_b32_e32 v11, v13, v11, vcc
	v_cmp_eq_u32_e32 vcc, 1, v10
	v_cndmask_b32_e32 v1, v11, v1, vcc
	v_add_u32_e32 v70, v60, v72
	v_lshlrev_b32_e32 v1, 2, v1
	v_sub_u32_e32 v10, v71, v5
	ds_write_b32 v1, v8
	v_sub_u32_e32 v1, v70, v4
	v_add_u32_e32 v10, v10, v2
	v_add_u32_e32 v12, v1, v10
	v_and_b32_e32 v11, 1, v54
	v_sub_u32_e32 v12, v31, v12
	v_and_b32_e32 v8, 1, v55
	v_add_u32_e32 v12, 11, v12
	v_cmp_eq_u32_e32 vcc, 1, v11
	v_cndmask_b32_e32 v10, v12, v10, vcc
	v_cmp_eq_u32_e32 vcc, 1, v8
	v_cndmask_b32_e32 v1, v10, v1, vcc
	v_add_u32_e32 v72, v71, v79
	v_add_u32_e32 v61, v70, v61
	v_lshlrev_b32_e32 v1, 2, v1
	ds_write_b32 v1, v9
	v_sub_u32_e32 v1, v61, v4
	v_sub_u32_e32 v4, v72, v5
	v_add_u32_e32 v4, v4, v2
	v_add_u32_e32 v8, v1, v4
	v_sub_u32_e32 v8, v31, v8
	v_add_u32_e32 v8, 12, v8
	v_cndmask_b32_e64 v4, v8, v4, s[58:59]
	v_cndmask_b32_e64 v1, v4, v1, s[46:47]
	v_lshlrev_b32_e32 v1, 2, v1
	ds_write_b32 v1, v30
	v_add_co_u32_e32 v1, vcc, v3, v73
	v_addc_co_u32_e64 v4, s[2:3], 0, 0, vcc
	v_add_co_u32_e32 v1, vcc, v1, v22
	v_addc_co_u32_e32 v4, vcc, v4, v23, vcc
	s_add_u32 s4, s56, s33
	v_add_co_u32_e32 v1, vcc, v1, v6
	s_addc_u32 s5, s57, 0
	v_addc_co_u32_e32 v4, vcc, v4, v7, vcc
	v_mov_b32_e32 v8, s5
	v_sub_co_u32_e32 v1, vcc, s4, v1
	v_subb_co_u32_e32 v4, vcc, v8, v4, vcc
	v_lshlrev_b64 v[8:9], 2, v[22:23]
	v_mov_b32_e32 v10, s55
	v_add_co_u32_e32 v8, vcc, s54, v8
	v_addc_co_u32_e32 v9, vcc, v10, v9, vcc
	v_lshlrev_b64 v[10:11], 2, v[6:7]
	v_mov_b32_e32 v13, s53
	v_add_co_u32_e32 v10, vcc, s52, v10
	s_add_u32 s6, s34, -4
	v_addc_co_u32_e32 v11, vcc, v13, v11, vcc
	s_addc_u32 s7, s35, -1
	v_add_u32_e32 v12, v2, v3
	s_and_b64 vcc, exec, s[0:1]
	s_mov_b64 s[0:1], -1
	s_waitcnt lgkmcnt(0)
	s_barrier
	s_cbranch_vccz .LBB865_133
; %bb.130:
	s_and_b64 vcc, exec, s[0:1]
	s_cbranch_vccnz .LBB865_238
.LBB865_131:
	v_cmp_eq_u32_e32 vcc, 0, v0
	s_and_b64 s[0:1], vcc, s[30:31]
	s_and_saveexec_b64 s[2:3], s[0:1]
	s_cbranch_execnz .LBB865_356
.LBB865_132:
	s_endpgm
.LBB865_133:
	v_cmp_le_u32_e32 vcc, v2, v0
	s_and_saveexec_b64 s[0:1], vcc
	s_xor_b64 s[0:1], exec, s[0:1]
	s_cbranch_execz .LBB865_139
; %bb.134:
	v_cmp_le_u32_e32 vcc, v12, v0
	s_and_saveexec_b64 s[2:3], vcc
	s_xor_b64 s[2:3], exec, s[2:3]
	s_cbranch_execz .LBB865_136
; %bb.135:
	v_lshlrev_b32_e32 v13, 2, v0
	v_add_co_u32_e32 v14, vcc, v1, v0
	ds_read_b32 v13, v13
	v_addc_co_u32_e32 v15, vcc, 0, v4, vcc
	v_lshlrev_b64 v[14:15], 2, v[14:15]
	v_mov_b32_e32 v16, s35
	v_sub_co_u32_e32 v14, vcc, s34, v14
	v_subb_co_u32_e32 v15, vcc, v16, v15, vcc
	s_waitcnt lgkmcnt(0)
	global_store_dword v[14:15], v13, off offset:-4
.LBB865_136:
	s_andn2_saveexec_b64 s[2:3], s[2:3]
	s_cbranch_execz .LBB865_138
; %bb.137:
	v_lshlrev_b32_e32 v13, 2, v0
	ds_read_b32 v14, v13
	v_readfirstlane_b32 s4, v8
	v_readfirstlane_b32 s5, v9
	s_waitcnt lgkmcnt(0)
	s_nop 3
	global_store_dword v13, v14, s[4:5]
.LBB865_138:
	s_or_b64 exec, exec, s[2:3]
.LBB865_139:
	s_andn2_saveexec_b64 s[0:1], s[0:1]
	s_cbranch_execz .LBB865_141
; %bb.140:
	v_lshlrev_b32_e32 v13, 2, v0
	ds_read_b32 v14, v13
	v_readfirstlane_b32 s2, v10
	v_readfirstlane_b32 s3, v11
	s_waitcnt lgkmcnt(0)
	s_nop 3
	global_store_dword v13, v14, s[2:3]
.LBB865_141:
	s_or_b64 exec, exec, s[0:1]
	v_or_b32_e32 v13, 0x100, v0
	v_cmp_le_u32_e32 vcc, v2, v13
	s_and_saveexec_b64 s[0:1], vcc
	s_xor_b64 s[0:1], exec, s[0:1]
	s_cbranch_execz .LBB865_147
; %bb.142:
	v_cmp_le_u32_e32 vcc, v12, v13
	s_and_saveexec_b64 s[2:3], vcc
	s_xor_b64 s[2:3], exec, s[2:3]
	s_cbranch_execz .LBB865_144
; %bb.143:
	v_lshlrev_b32_e32 v13, 2, v0
	ds_read_b32 v13, v13 offset:1024
	v_add_co_u32_e32 v14, vcc, v1, v0
	v_addc_co_u32_e32 v15, vcc, 0, v4, vcc
	v_lshlrev_b64 v[14:15], 2, v[14:15]
	v_mov_b32_e32 v16, s7
	v_sub_co_u32_e32 v14, vcc, s6, v14
	v_subb_co_u32_e32 v15, vcc, v16, v15, vcc
	s_waitcnt lgkmcnt(0)
	global_store_dword v[14:15], v13, off offset:-1024
.LBB865_144:
	s_andn2_saveexec_b64 s[2:3], s[2:3]
	s_cbranch_execz .LBB865_146
; %bb.145:
	v_lshlrev_b32_e32 v13, 2, v0
	ds_read_b32 v14, v13 offset:1024
	v_readfirstlane_b32 s4, v8
	v_readfirstlane_b32 s5, v9
	s_waitcnt lgkmcnt(0)
	s_nop 3
	global_store_dword v13, v14, s[4:5] offset:1024
.LBB865_146:
	s_or_b64 exec, exec, s[2:3]
.LBB865_147:
	s_andn2_saveexec_b64 s[0:1], s[0:1]
	s_cbranch_execz .LBB865_149
; %bb.148:
	v_lshlrev_b32_e32 v13, 2, v0
	ds_read_b32 v14, v13 offset:1024
	v_readfirstlane_b32 s2, v10
	v_readfirstlane_b32 s3, v11
	s_waitcnt lgkmcnt(0)
	s_nop 3
	global_store_dword v13, v14, s[2:3] offset:1024
.LBB865_149:
	s_or_b64 exec, exec, s[0:1]
	v_or_b32_e32 v13, 0x200, v0
	v_cmp_le_u32_e32 vcc, v2, v13
	s_and_saveexec_b64 s[0:1], vcc
	s_xor_b64 s[0:1], exec, s[0:1]
	s_cbranch_execz .LBB865_155
; %bb.150:
	v_cmp_le_u32_e32 vcc, v12, v13
	s_and_saveexec_b64 s[2:3], vcc
	s_xor_b64 s[2:3], exec, s[2:3]
	s_cbranch_execz .LBB865_152
; %bb.151:
	v_lshlrev_b32_e32 v13, 2, v0
	ds_read_b32 v13, v13 offset:2048
	v_add_co_u32_e32 v14, vcc, v1, v0
	v_addc_co_u32_e32 v15, vcc, 0, v4, vcc
	v_lshlrev_b64 v[14:15], 2, v[14:15]
	v_mov_b32_e32 v16, s7
	v_sub_co_u32_e32 v14, vcc, s6, v14
	v_subb_co_u32_e32 v15, vcc, v16, v15, vcc
	s_waitcnt lgkmcnt(0)
	global_store_dword v[14:15], v13, off offset:-2048
.LBB865_152:
	s_andn2_saveexec_b64 s[2:3], s[2:3]
	s_cbranch_execz .LBB865_154
; %bb.153:
	v_lshlrev_b32_e32 v13, 2, v0
	ds_read_b32 v14, v13 offset:2048
	v_readfirstlane_b32 s4, v8
	v_readfirstlane_b32 s5, v9
	s_waitcnt lgkmcnt(0)
	s_nop 3
	global_store_dword v13, v14, s[4:5] offset:2048
.LBB865_154:
	s_or_b64 exec, exec, s[2:3]
.LBB865_155:
	s_andn2_saveexec_b64 s[0:1], s[0:1]
	s_cbranch_execz .LBB865_157
; %bb.156:
	v_lshlrev_b32_e32 v13, 2, v0
	ds_read_b32 v14, v13 offset:2048
	v_readfirstlane_b32 s2, v10
	v_readfirstlane_b32 s3, v11
	s_waitcnt lgkmcnt(0)
	s_nop 3
	global_store_dword v13, v14, s[2:3] offset:2048
.LBB865_157:
	;; [unrolled: 47-line block ×3, first 2 shown]
	s_or_b64 exec, exec, s[0:1]
	v_or_b32_e32 v13, 0x400, v0
	v_cmp_le_u32_e32 vcc, v2, v13
	s_and_saveexec_b64 s[0:1], vcc
	s_xor_b64 s[0:1], exec, s[0:1]
	s_cbranch_execz .LBB865_171
; %bb.166:
	v_cmp_le_u32_e32 vcc, v12, v13
	s_and_saveexec_b64 s[2:3], vcc
	s_xor_b64 s[2:3], exec, s[2:3]
	s_cbranch_execz .LBB865_168
; %bb.167:
	v_lshlrev_b32_e32 v13, 2, v0
	ds_read_b32 v13, v13 offset:4096
	v_add_co_u32_e32 v14, vcc, v1, v0
	v_addc_co_u32_e32 v15, vcc, 0, v4, vcc
	v_lshlrev_b64 v[14:15], 2, v[14:15]
	v_mov_b32_e32 v16, s7
	v_sub_co_u32_e32 v14, vcc, s6, v14
	v_subb_co_u32_e32 v15, vcc, v16, v15, vcc
	s_waitcnt lgkmcnt(0)
	global_store_dword v[14:15], v13, off offset:-4096
                                        ; implicit-def: $vgpr13
.LBB865_168:
	s_andn2_saveexec_b64 s[2:3], s[2:3]
	s_cbranch_execz .LBB865_170
; %bb.169:
	v_lshlrev_b32_e32 v14, 2, v0
	ds_read_b32 v14, v14 offset:4096
	v_lshlrev_b32_e32 v13, 2, v13
	v_readfirstlane_b32 s4, v8
	v_readfirstlane_b32 s5, v9
	s_waitcnt lgkmcnt(0)
	s_nop 3
	global_store_dword v13, v14, s[4:5]
.LBB865_170:
	s_or_b64 exec, exec, s[2:3]
                                        ; implicit-def: $vgpr13
.LBB865_171:
	s_andn2_saveexec_b64 s[0:1], s[0:1]
	s_cbranch_execz .LBB865_173
; %bb.172:
	v_lshlrev_b32_e32 v14, 2, v0
	ds_read_b32 v14, v14 offset:4096
	v_lshlrev_b32_e32 v13, 2, v13
	v_readfirstlane_b32 s2, v10
	v_readfirstlane_b32 s3, v11
	s_waitcnt lgkmcnt(0)
	s_nop 3
	global_store_dword v13, v14, s[2:3]
.LBB865_173:
	s_or_b64 exec, exec, s[0:1]
	v_or_b32_e32 v13, 0x500, v0
	v_cmp_le_u32_e32 vcc, v2, v13
	s_and_saveexec_b64 s[0:1], vcc
	s_xor_b64 s[0:1], exec, s[0:1]
	s_cbranch_execz .LBB865_179
; %bb.174:
	v_cmp_le_u32_e32 vcc, v12, v13
	s_and_saveexec_b64 s[2:3], vcc
	s_xor_b64 s[2:3], exec, s[2:3]
	s_cbranch_execz .LBB865_176
; %bb.175:
	v_add_co_u32_e32 v14, vcc, v1, v13
	v_lshlrev_b32_e32 v13, 2, v0
	ds_read_b32 v13, v13 offset:5120
	v_addc_co_u32_e32 v15, vcc, 0, v4, vcc
	v_lshlrev_b64 v[14:15], 2, v[14:15]
	v_mov_b32_e32 v16, s7
	v_sub_co_u32_e32 v14, vcc, s6, v14
	v_subb_co_u32_e32 v15, vcc, v16, v15, vcc
	s_waitcnt lgkmcnt(0)
	global_store_dword v[14:15], v13, off
                                        ; implicit-def: $vgpr13
.LBB865_176:
	s_andn2_saveexec_b64 s[2:3], s[2:3]
	s_cbranch_execz .LBB865_178
; %bb.177:
	v_lshlrev_b32_e32 v14, 2, v0
	ds_read_b32 v14, v14 offset:5120
	v_lshlrev_b32_e32 v13, 2, v13
	v_readfirstlane_b32 s4, v8
	v_readfirstlane_b32 s5, v9
	s_waitcnt lgkmcnt(0)
	s_nop 3
	global_store_dword v13, v14, s[4:5]
.LBB865_178:
	s_or_b64 exec, exec, s[2:3]
                                        ; implicit-def: $vgpr13
.LBB865_179:
	s_andn2_saveexec_b64 s[0:1], s[0:1]
	s_cbranch_execz .LBB865_181
; %bb.180:
	v_lshlrev_b32_e32 v14, 2, v0
	ds_read_b32 v14, v14 offset:5120
	v_lshlrev_b32_e32 v13, 2, v13
	v_readfirstlane_b32 s2, v10
	v_readfirstlane_b32 s3, v11
	s_waitcnt lgkmcnt(0)
	s_nop 3
	global_store_dword v13, v14, s[2:3]
.LBB865_181:
	s_or_b64 exec, exec, s[0:1]
	v_or_b32_e32 v13, 0x600, v0
	v_cmp_le_u32_e32 vcc, v2, v13
	s_and_saveexec_b64 s[0:1], vcc
	s_xor_b64 s[0:1], exec, s[0:1]
	s_cbranch_execz .LBB865_187
; %bb.182:
	v_cmp_le_u32_e32 vcc, v12, v13
	s_and_saveexec_b64 s[2:3], vcc
	s_xor_b64 s[2:3], exec, s[2:3]
	s_cbranch_execz .LBB865_184
; %bb.183:
	v_add_co_u32_e32 v14, vcc, v1, v13
	v_lshlrev_b32_e32 v13, 2, v0
	ds_read_b32 v13, v13 offset:6144
	v_addc_co_u32_e32 v15, vcc, 0, v4, vcc
	v_lshlrev_b64 v[14:15], 2, v[14:15]
	v_mov_b32_e32 v16, s7
	v_sub_co_u32_e32 v14, vcc, s6, v14
	v_subb_co_u32_e32 v15, vcc, v16, v15, vcc
	s_waitcnt lgkmcnt(0)
	global_store_dword v[14:15], v13, off
                                        ; implicit-def: $vgpr13
.LBB865_184:
	s_andn2_saveexec_b64 s[2:3], s[2:3]
	s_cbranch_execz .LBB865_186
; %bb.185:
	v_lshlrev_b32_e32 v14, 2, v0
	ds_read_b32 v14, v14 offset:6144
	v_lshlrev_b32_e32 v13, 2, v13
	v_readfirstlane_b32 s4, v8
	v_readfirstlane_b32 s5, v9
	s_waitcnt lgkmcnt(0)
	s_nop 3
	global_store_dword v13, v14, s[4:5]
.LBB865_186:
	s_or_b64 exec, exec, s[2:3]
                                        ; implicit-def: $vgpr13
.LBB865_187:
	;; [unrolled: 51-line block ×8, first 2 shown]
	s_andn2_saveexec_b64 s[0:1], s[0:1]
	s_cbranch_execz .LBB865_237
; %bb.236:
	v_lshlrev_b32_e32 v14, 2, v0
	ds_read_b32 v14, v14 offset:12288
	v_lshlrev_b32_e32 v13, 2, v13
	v_readfirstlane_b32 s2, v10
	v_readfirstlane_b32 s3, v11
	s_waitcnt lgkmcnt(0)
	s_nop 3
	global_store_dword v13, v14, s[2:3]
.LBB865_237:
	s_or_b64 exec, exec, s[0:1]
	s_branch .LBB865_131
.LBB865_238:
	v_cmp_gt_u32_e32 vcc, s18, v0
	s_and_saveexec_b64 s[0:1], vcc
	s_cbranch_execz .LBB865_247
; %bb.239:
	v_cmp_le_u32_e32 vcc, v2, v0
	s_and_saveexec_b64 s[2:3], vcc
	s_xor_b64 s[2:3], exec, s[2:3]
	s_cbranch_execz .LBB865_245
; %bb.240:
	v_cmp_le_u32_e32 vcc, v12, v0
	s_and_saveexec_b64 s[4:5], vcc
	s_xor_b64 s[4:5], exec, s[4:5]
	s_cbranch_execz .LBB865_242
; %bb.241:
	v_lshlrev_b32_e32 v13, 2, v0
	v_add_co_u32_e32 v14, vcc, v1, v0
	ds_read_b32 v13, v13
	v_addc_co_u32_e32 v15, vcc, 0, v4, vcc
	v_lshlrev_b64 v[14:15], 2, v[14:15]
	v_mov_b32_e32 v16, s35
	v_sub_co_u32_e32 v14, vcc, s34, v14
	v_subb_co_u32_e32 v15, vcc, v16, v15, vcc
	s_waitcnt lgkmcnt(0)
	global_store_dword v[14:15], v13, off offset:-4
.LBB865_242:
	s_andn2_saveexec_b64 s[4:5], s[4:5]
	s_cbranch_execz .LBB865_244
; %bb.243:
	v_lshlrev_b32_e32 v13, 2, v0
	ds_read_b32 v14, v13
	v_readfirstlane_b32 s8, v8
	v_readfirstlane_b32 s9, v9
	s_waitcnt lgkmcnt(0)
	s_nop 3
	global_store_dword v13, v14, s[8:9]
.LBB865_244:
	s_or_b64 exec, exec, s[4:5]
.LBB865_245:
	s_andn2_saveexec_b64 s[2:3], s[2:3]
	s_cbranch_execz .LBB865_247
; %bb.246:
	v_lshlrev_b32_e32 v13, 2, v0
	ds_read_b32 v14, v13
	v_readfirstlane_b32 s2, v10
	v_readfirstlane_b32 s3, v11
	s_waitcnt lgkmcnt(0)
	s_nop 3
	global_store_dword v13, v14, s[2:3]
.LBB865_247:
	s_or_b64 exec, exec, s[0:1]
	v_or_b32_e32 v13, 0x100, v0
	v_cmp_gt_u32_e32 vcc, s18, v13
	s_and_saveexec_b64 s[0:1], vcc
	s_cbranch_execz .LBB865_256
; %bb.248:
	v_cmp_le_u32_e32 vcc, v2, v13
	s_and_saveexec_b64 s[2:3], vcc
	s_xor_b64 s[2:3], exec, s[2:3]
	s_cbranch_execz .LBB865_254
; %bb.249:
	v_cmp_le_u32_e32 vcc, v12, v13
	s_and_saveexec_b64 s[4:5], vcc
	s_xor_b64 s[4:5], exec, s[4:5]
	s_cbranch_execz .LBB865_251
; %bb.250:
	v_lshlrev_b32_e32 v13, 2, v0
	ds_read_b32 v13, v13 offset:1024
	v_add_co_u32_e32 v14, vcc, v1, v0
	v_addc_co_u32_e32 v15, vcc, 0, v4, vcc
	v_lshlrev_b64 v[14:15], 2, v[14:15]
	v_mov_b32_e32 v16, s7
	v_sub_co_u32_e32 v14, vcc, s6, v14
	v_subb_co_u32_e32 v15, vcc, v16, v15, vcc
	s_waitcnt lgkmcnt(0)
	global_store_dword v[14:15], v13, off offset:-1024
.LBB865_251:
	s_andn2_saveexec_b64 s[4:5], s[4:5]
	s_cbranch_execz .LBB865_253
; %bb.252:
	v_lshlrev_b32_e32 v13, 2, v0
	ds_read_b32 v14, v13 offset:1024
	v_readfirstlane_b32 s8, v8
	v_readfirstlane_b32 s9, v9
	s_waitcnt lgkmcnt(0)
	s_nop 3
	global_store_dword v13, v14, s[8:9] offset:1024
.LBB865_253:
	s_or_b64 exec, exec, s[4:5]
.LBB865_254:
	s_andn2_saveexec_b64 s[2:3], s[2:3]
	s_cbranch_execz .LBB865_256
; %bb.255:
	v_lshlrev_b32_e32 v13, 2, v0
	ds_read_b32 v14, v13 offset:1024
	v_readfirstlane_b32 s2, v10
	v_readfirstlane_b32 s3, v11
	s_waitcnt lgkmcnt(0)
	s_nop 3
	global_store_dword v13, v14, s[2:3] offset:1024
.LBB865_256:
	s_or_b64 exec, exec, s[0:1]
	v_or_b32_e32 v13, 0x200, v0
	v_cmp_gt_u32_e32 vcc, s18, v13
	s_and_saveexec_b64 s[0:1], vcc
	s_cbranch_execz .LBB865_265
; %bb.257:
	v_cmp_le_u32_e32 vcc, v2, v13
	s_and_saveexec_b64 s[2:3], vcc
	s_xor_b64 s[2:3], exec, s[2:3]
	s_cbranch_execz .LBB865_263
; %bb.258:
	v_cmp_le_u32_e32 vcc, v12, v13
	s_and_saveexec_b64 s[4:5], vcc
	s_xor_b64 s[4:5], exec, s[4:5]
	s_cbranch_execz .LBB865_260
; %bb.259:
	v_lshlrev_b32_e32 v13, 2, v0
	ds_read_b32 v13, v13 offset:2048
	v_add_co_u32_e32 v14, vcc, v1, v0
	v_addc_co_u32_e32 v15, vcc, 0, v4, vcc
	v_lshlrev_b64 v[14:15], 2, v[14:15]
	v_mov_b32_e32 v16, s7
	v_sub_co_u32_e32 v14, vcc, s6, v14
	v_subb_co_u32_e32 v15, vcc, v16, v15, vcc
	s_waitcnt lgkmcnt(0)
	global_store_dword v[14:15], v13, off offset:-2048
.LBB865_260:
	s_andn2_saveexec_b64 s[4:5], s[4:5]
	s_cbranch_execz .LBB865_262
; %bb.261:
	v_lshlrev_b32_e32 v13, 2, v0
	ds_read_b32 v14, v13 offset:2048
	v_readfirstlane_b32 s8, v8
	v_readfirstlane_b32 s9, v9
	s_waitcnt lgkmcnt(0)
	s_nop 3
	global_store_dword v13, v14, s[8:9] offset:2048
.LBB865_262:
	s_or_b64 exec, exec, s[4:5]
.LBB865_263:
	s_andn2_saveexec_b64 s[2:3], s[2:3]
	s_cbranch_execz .LBB865_265
; %bb.264:
	v_lshlrev_b32_e32 v13, 2, v0
	ds_read_b32 v14, v13 offset:2048
	v_readfirstlane_b32 s2, v10
	v_readfirstlane_b32 s3, v11
	s_waitcnt lgkmcnt(0)
	s_nop 3
	global_store_dword v13, v14, s[2:3] offset:2048
.LBB865_265:
	;; [unrolled: 51-line block ×3, first 2 shown]
	s_or_b64 exec, exec, s[0:1]
	v_or_b32_e32 v13, 0x400, v0
	v_cmp_gt_u32_e32 vcc, s18, v13
	s_and_saveexec_b64 s[0:1], vcc
	s_cbranch_execz .LBB865_283
; %bb.275:
	v_cmp_le_u32_e32 vcc, v2, v13
	s_and_saveexec_b64 s[2:3], vcc
	s_xor_b64 s[2:3], exec, s[2:3]
	s_cbranch_execz .LBB865_281
; %bb.276:
	v_cmp_le_u32_e32 vcc, v12, v13
	s_and_saveexec_b64 s[4:5], vcc
	s_xor_b64 s[4:5], exec, s[4:5]
	s_cbranch_execz .LBB865_278
; %bb.277:
	v_lshlrev_b32_e32 v13, 2, v0
	ds_read_b32 v13, v13 offset:4096
	v_add_co_u32_e32 v14, vcc, v1, v0
	v_addc_co_u32_e32 v15, vcc, 0, v4, vcc
	v_lshlrev_b64 v[14:15], 2, v[14:15]
	v_mov_b32_e32 v16, s7
	v_sub_co_u32_e32 v14, vcc, s6, v14
	v_subb_co_u32_e32 v15, vcc, v16, v15, vcc
	s_waitcnt lgkmcnt(0)
	global_store_dword v[14:15], v13, off offset:-4096
                                        ; implicit-def: $vgpr13
.LBB865_278:
	s_andn2_saveexec_b64 s[4:5], s[4:5]
	s_cbranch_execz .LBB865_280
; %bb.279:
	v_lshlrev_b32_e32 v14, 2, v0
	ds_read_b32 v14, v14 offset:4096
	v_lshlrev_b32_e32 v13, 2, v13
	v_readfirstlane_b32 s8, v8
	v_readfirstlane_b32 s9, v9
	s_waitcnt lgkmcnt(0)
	s_nop 3
	global_store_dword v13, v14, s[8:9]
.LBB865_280:
	s_or_b64 exec, exec, s[4:5]
                                        ; implicit-def: $vgpr13
.LBB865_281:
	s_andn2_saveexec_b64 s[2:3], s[2:3]
	s_cbranch_execz .LBB865_283
; %bb.282:
	v_lshlrev_b32_e32 v14, 2, v0
	ds_read_b32 v14, v14 offset:4096
	v_lshlrev_b32_e32 v13, 2, v13
	v_readfirstlane_b32 s2, v10
	v_readfirstlane_b32 s3, v11
	s_waitcnt lgkmcnt(0)
	s_nop 3
	global_store_dword v13, v14, s[2:3]
.LBB865_283:
	s_or_b64 exec, exec, s[0:1]
	v_or_b32_e32 v13, 0x500, v0
	v_cmp_gt_u32_e32 vcc, s18, v13
	s_and_saveexec_b64 s[0:1], vcc
	s_cbranch_execz .LBB865_292
; %bb.284:
	v_cmp_le_u32_e32 vcc, v2, v13
	s_and_saveexec_b64 s[2:3], vcc
	s_xor_b64 s[2:3], exec, s[2:3]
	s_cbranch_execz .LBB865_290
; %bb.285:
	v_cmp_le_u32_e32 vcc, v12, v13
	s_and_saveexec_b64 s[4:5], vcc
	s_xor_b64 s[4:5], exec, s[4:5]
	s_cbranch_execz .LBB865_287
; %bb.286:
	v_add_co_u32_e32 v14, vcc, v1, v13
	v_lshlrev_b32_e32 v13, 2, v0
	ds_read_b32 v13, v13 offset:5120
	v_addc_co_u32_e32 v15, vcc, 0, v4, vcc
	v_lshlrev_b64 v[14:15], 2, v[14:15]
	v_mov_b32_e32 v16, s7
	v_sub_co_u32_e32 v14, vcc, s6, v14
	v_subb_co_u32_e32 v15, vcc, v16, v15, vcc
	s_waitcnt lgkmcnt(0)
	global_store_dword v[14:15], v13, off
                                        ; implicit-def: $vgpr13
.LBB865_287:
	s_andn2_saveexec_b64 s[4:5], s[4:5]
	s_cbranch_execz .LBB865_289
; %bb.288:
	v_lshlrev_b32_e32 v14, 2, v0
	ds_read_b32 v14, v14 offset:5120
	v_lshlrev_b32_e32 v13, 2, v13
	v_readfirstlane_b32 s8, v8
	v_readfirstlane_b32 s9, v9
	s_waitcnt lgkmcnt(0)
	s_nop 3
	global_store_dword v13, v14, s[8:9]
.LBB865_289:
	s_or_b64 exec, exec, s[4:5]
                                        ; implicit-def: $vgpr13
.LBB865_290:
	s_andn2_saveexec_b64 s[2:3], s[2:3]
	s_cbranch_execz .LBB865_292
; %bb.291:
	v_lshlrev_b32_e32 v14, 2, v0
	ds_read_b32 v14, v14 offset:5120
	v_lshlrev_b32_e32 v13, 2, v13
	v_readfirstlane_b32 s2, v10
	v_readfirstlane_b32 s3, v11
	s_waitcnt lgkmcnt(0)
	s_nop 3
	global_store_dword v13, v14, s[2:3]
.LBB865_292:
	s_or_b64 exec, exec, s[0:1]
	v_or_b32_e32 v13, 0x600, v0
	v_cmp_gt_u32_e32 vcc, s18, v13
	s_and_saveexec_b64 s[0:1], vcc
	s_cbranch_execz .LBB865_301
; %bb.293:
	v_cmp_le_u32_e32 vcc, v2, v13
	s_and_saveexec_b64 s[2:3], vcc
	s_xor_b64 s[2:3], exec, s[2:3]
	s_cbranch_execz .LBB865_299
; %bb.294:
	v_cmp_le_u32_e32 vcc, v12, v13
	s_and_saveexec_b64 s[4:5], vcc
	s_xor_b64 s[4:5], exec, s[4:5]
	s_cbranch_execz .LBB865_296
; %bb.295:
	v_add_co_u32_e32 v14, vcc, v1, v13
	v_lshlrev_b32_e32 v13, 2, v0
	ds_read_b32 v13, v13 offset:6144
	v_addc_co_u32_e32 v15, vcc, 0, v4, vcc
	v_lshlrev_b64 v[14:15], 2, v[14:15]
	v_mov_b32_e32 v16, s7
	v_sub_co_u32_e32 v14, vcc, s6, v14
	v_subb_co_u32_e32 v15, vcc, v16, v15, vcc
	s_waitcnt lgkmcnt(0)
	global_store_dword v[14:15], v13, off
                                        ; implicit-def: $vgpr13
.LBB865_296:
	s_andn2_saveexec_b64 s[4:5], s[4:5]
	s_cbranch_execz .LBB865_298
; %bb.297:
	v_lshlrev_b32_e32 v14, 2, v0
	ds_read_b32 v14, v14 offset:6144
	v_lshlrev_b32_e32 v13, 2, v13
	v_readfirstlane_b32 s8, v8
	v_readfirstlane_b32 s9, v9
	s_waitcnt lgkmcnt(0)
	s_nop 3
	global_store_dword v13, v14, s[8:9]
.LBB865_298:
	s_or_b64 exec, exec, s[4:5]
                                        ; implicit-def: $vgpr13
.LBB865_299:
	s_andn2_saveexec_b64 s[2:3], s[2:3]
	s_cbranch_execz .LBB865_301
; %bb.300:
	v_lshlrev_b32_e32 v14, 2, v0
	ds_read_b32 v14, v14 offset:6144
	v_lshlrev_b32_e32 v13, 2, v13
	v_readfirstlane_b32 s2, v10
	v_readfirstlane_b32 s3, v11
	s_waitcnt lgkmcnt(0)
	s_nop 3
	global_store_dword v13, v14, s[2:3]
.LBB865_301:
	;; [unrolled: 55-line block ×7, first 2 shown]
	s_or_b64 exec, exec, s[0:1]
	v_or_b32_e32 v13, 0xc00, v0
	v_cmp_gt_u32_e32 vcc, s18, v13
	s_and_saveexec_b64 s[0:1], vcc
	s_cbranch_execz .LBB865_355
; %bb.347:
	v_cmp_le_u32_e32 vcc, v2, v13
	s_and_saveexec_b64 s[2:3], vcc
	s_xor_b64 s[2:3], exec, s[2:3]
	s_cbranch_execz .LBB865_353
; %bb.348:
	v_cmp_le_u32_e32 vcc, v12, v13
	s_and_saveexec_b64 s[4:5], vcc
	s_xor_b64 s[4:5], exec, s[4:5]
	s_cbranch_execz .LBB865_350
; %bb.349:
	v_add_co_u32_e32 v8, vcc, v1, v13
	v_lshlrev_b32_e32 v1, 2, v0
	ds_read_b32 v1, v1 offset:12288
	v_addc_co_u32_e32 v9, vcc, 0, v4, vcc
	v_lshlrev_b64 v[8:9], 2, v[8:9]
	v_mov_b32_e32 v4, s7
	v_sub_co_u32_e32 v8, vcc, s6, v8
	v_subb_co_u32_e32 v9, vcc, v4, v9, vcc
	s_waitcnt lgkmcnt(0)
	global_store_dword v[8:9], v1, off
                                        ; implicit-def: $vgpr13
                                        ; implicit-def: $vgpr8_vgpr9
.LBB865_350:
	s_andn2_saveexec_b64 s[4:5], s[4:5]
	s_cbranch_execz .LBB865_352
; %bb.351:
	v_lshlrev_b32_e32 v1, 2, v0
	ds_read_b32 v1, v1 offset:12288
	v_lshlrev_b32_e32 v4, 2, v13
	v_readfirstlane_b32 s6, v8
	v_readfirstlane_b32 s7, v9
	s_waitcnt lgkmcnt(0)
	s_nop 3
	global_store_dword v4, v1, s[6:7]
.LBB865_352:
	s_or_b64 exec, exec, s[4:5]
                                        ; implicit-def: $vgpr13
                                        ; implicit-def: $vgpr10_vgpr11
.LBB865_353:
	s_andn2_saveexec_b64 s[2:3], s[2:3]
	s_cbranch_execz .LBB865_355
; %bb.354:
	v_lshlrev_b32_e32 v1, 2, v0
	ds_read_b32 v1, v1 offset:12288
	v_lshlrev_b32_e32 v4, 2, v13
	v_readfirstlane_b32 s2, v10
	v_readfirstlane_b32 s3, v11
	s_waitcnt lgkmcnt(0)
	s_nop 3
	global_store_dword v4, v1, s[2:3]
.LBB865_355:
	s_or_b64 exec, exec, s[0:1]
	v_cmp_eq_u32_e32 vcc, 0, v0
	s_and_b64 s[0:1], vcc, s[30:31]
	s_and_saveexec_b64 s[2:3], s[0:1]
	s_cbranch_execz .LBB865_132
.LBB865_356:
	v_add_co_u32_e32 v0, vcc, v6, v2
	v_addc_co_u32_e32 v1, vcc, 0, v7, vcc
	v_mov_b32_e32 v2, s51
	v_add_co_u32_e32 v3, vcc, s50, v3
	v_addc_co_u32_e32 v6, vcc, 0, v2, vcc
	v_add_co_u32_e32 v2, vcc, v3, v5
	v_mov_b32_e32 v4, 0
	v_addc_co_u32_e32 v3, vcc, 0, v6, vcc
	global_store_dwordx4 v4, v[0:3], s[44:45]
	s_endpgm
	.section	.rodata,"a",@progbits
	.p2align	6, 0x0
	.amdhsa_kernel _ZN7rocprim17ROCPRIM_400000_NS6detail17trampoline_kernelINS0_13select_configILj256ELj13ELNS0_17block_load_methodE3ELS4_3ELS4_3ELNS0_20block_scan_algorithmE0ELj4294967295EEENS1_25partition_config_selectorILNS1_17partition_subalgoE4EjNS0_10empty_typeEbEEZZNS1_14partition_implILS8_4ELb0ES6_15HIP_vector_typeIjLj2EENS0_17counting_iteratorIjlEEPS9_SG_NS0_5tupleIJPjSI_NS0_16reverse_iteratorISI_EEEEENSH_IJSG_SG_SG_EEES9_SI_JZNS1_25segmented_radix_sort_implINS0_14default_configELb1EPKsPsPKlPlN2at6native12_GLOBAL__N_18offset_tEEE10hipError_tPvRmT1_PNSt15iterator_traitsIS12_E10value_typeET2_T3_PNS13_IS18_E10value_typeET4_jRbjT5_S1E_jjP12ihipStream_tbEUljE_ZNSN_ISO_Lb1ESQ_SR_ST_SU_SY_EESZ_S10_S11_S12_S16_S17_S18_S1B_S1C_jS1D_jS1E_S1E_jjS1G_bEUljE0_EEESZ_S10_S11_S18_S1C_S1E_T6_T7_T9_mT8_S1G_bDpT10_ENKUlT_T0_E_clISt17integral_constantIbLb1EES1T_IbLb0EEEEDaS1P_S1Q_EUlS1P_E_NS1_11comp_targetILNS1_3genE4ELNS1_11target_archE910ELNS1_3gpuE8ELNS1_3repE0EEENS1_30default_config_static_selectorELNS0_4arch9wavefront6targetE1EEEvS12_
		.amdhsa_group_segment_fixed_size 13340
		.amdhsa_private_segment_fixed_size 0
		.amdhsa_kernarg_size 176
		.amdhsa_user_sgpr_count 6
		.amdhsa_user_sgpr_private_segment_buffer 1
		.amdhsa_user_sgpr_dispatch_ptr 0
		.amdhsa_user_sgpr_queue_ptr 0
		.amdhsa_user_sgpr_kernarg_segment_ptr 1
		.amdhsa_user_sgpr_dispatch_id 0
		.amdhsa_user_sgpr_flat_scratch_init 0
		.amdhsa_user_sgpr_kernarg_preload_length 0
		.amdhsa_user_sgpr_kernarg_preload_offset 0
		.amdhsa_user_sgpr_private_segment_size 0
		.amdhsa_uses_dynamic_stack 0
		.amdhsa_system_sgpr_private_segment_wavefront_offset 0
		.amdhsa_system_sgpr_workgroup_id_x 1
		.amdhsa_system_sgpr_workgroup_id_y 0
		.amdhsa_system_sgpr_workgroup_id_z 0
		.amdhsa_system_sgpr_workgroup_info 0
		.amdhsa_system_vgpr_workitem_id 0
		.amdhsa_next_free_vgpr 102
		.amdhsa_next_free_sgpr 90
		.amdhsa_accum_offset 104
		.amdhsa_reserve_vcc 1
		.amdhsa_reserve_flat_scratch 0
		.amdhsa_float_round_mode_32 0
		.amdhsa_float_round_mode_16_64 0
		.amdhsa_float_denorm_mode_32 3
		.amdhsa_float_denorm_mode_16_64 3
		.amdhsa_dx10_clamp 1
		.amdhsa_ieee_mode 1
		.amdhsa_fp16_overflow 0
		.amdhsa_tg_split 0
		.amdhsa_exception_fp_ieee_invalid_op 0
		.amdhsa_exception_fp_denorm_src 0
		.amdhsa_exception_fp_ieee_div_zero 0
		.amdhsa_exception_fp_ieee_overflow 0
		.amdhsa_exception_fp_ieee_underflow 0
		.amdhsa_exception_fp_ieee_inexact 0
		.amdhsa_exception_int_div_zero 0
	.end_amdhsa_kernel
	.section	.text._ZN7rocprim17ROCPRIM_400000_NS6detail17trampoline_kernelINS0_13select_configILj256ELj13ELNS0_17block_load_methodE3ELS4_3ELS4_3ELNS0_20block_scan_algorithmE0ELj4294967295EEENS1_25partition_config_selectorILNS1_17partition_subalgoE4EjNS0_10empty_typeEbEEZZNS1_14partition_implILS8_4ELb0ES6_15HIP_vector_typeIjLj2EENS0_17counting_iteratorIjlEEPS9_SG_NS0_5tupleIJPjSI_NS0_16reverse_iteratorISI_EEEEENSH_IJSG_SG_SG_EEES9_SI_JZNS1_25segmented_radix_sort_implINS0_14default_configELb1EPKsPsPKlPlN2at6native12_GLOBAL__N_18offset_tEEE10hipError_tPvRmT1_PNSt15iterator_traitsIS12_E10value_typeET2_T3_PNS13_IS18_E10value_typeET4_jRbjT5_S1E_jjP12ihipStream_tbEUljE_ZNSN_ISO_Lb1ESQ_SR_ST_SU_SY_EESZ_S10_S11_S12_S16_S17_S18_S1B_S1C_jS1D_jS1E_S1E_jjS1G_bEUljE0_EEESZ_S10_S11_S18_S1C_S1E_T6_T7_T9_mT8_S1G_bDpT10_ENKUlT_T0_E_clISt17integral_constantIbLb1EES1T_IbLb0EEEEDaS1P_S1Q_EUlS1P_E_NS1_11comp_targetILNS1_3genE4ELNS1_11target_archE910ELNS1_3gpuE8ELNS1_3repE0EEENS1_30default_config_static_selectorELNS0_4arch9wavefront6targetE1EEEvS12_,"axG",@progbits,_ZN7rocprim17ROCPRIM_400000_NS6detail17trampoline_kernelINS0_13select_configILj256ELj13ELNS0_17block_load_methodE3ELS4_3ELS4_3ELNS0_20block_scan_algorithmE0ELj4294967295EEENS1_25partition_config_selectorILNS1_17partition_subalgoE4EjNS0_10empty_typeEbEEZZNS1_14partition_implILS8_4ELb0ES6_15HIP_vector_typeIjLj2EENS0_17counting_iteratorIjlEEPS9_SG_NS0_5tupleIJPjSI_NS0_16reverse_iteratorISI_EEEEENSH_IJSG_SG_SG_EEES9_SI_JZNS1_25segmented_radix_sort_implINS0_14default_configELb1EPKsPsPKlPlN2at6native12_GLOBAL__N_18offset_tEEE10hipError_tPvRmT1_PNSt15iterator_traitsIS12_E10value_typeET2_T3_PNS13_IS18_E10value_typeET4_jRbjT5_S1E_jjP12ihipStream_tbEUljE_ZNSN_ISO_Lb1ESQ_SR_ST_SU_SY_EESZ_S10_S11_S12_S16_S17_S18_S1B_S1C_jS1D_jS1E_S1E_jjS1G_bEUljE0_EEESZ_S10_S11_S18_S1C_S1E_T6_T7_T9_mT8_S1G_bDpT10_ENKUlT_T0_E_clISt17integral_constantIbLb1EES1T_IbLb0EEEEDaS1P_S1Q_EUlS1P_E_NS1_11comp_targetILNS1_3genE4ELNS1_11target_archE910ELNS1_3gpuE8ELNS1_3repE0EEENS1_30default_config_static_selectorELNS0_4arch9wavefront6targetE1EEEvS12_,comdat
.Lfunc_end865:
	.size	_ZN7rocprim17ROCPRIM_400000_NS6detail17trampoline_kernelINS0_13select_configILj256ELj13ELNS0_17block_load_methodE3ELS4_3ELS4_3ELNS0_20block_scan_algorithmE0ELj4294967295EEENS1_25partition_config_selectorILNS1_17partition_subalgoE4EjNS0_10empty_typeEbEEZZNS1_14partition_implILS8_4ELb0ES6_15HIP_vector_typeIjLj2EENS0_17counting_iteratorIjlEEPS9_SG_NS0_5tupleIJPjSI_NS0_16reverse_iteratorISI_EEEEENSH_IJSG_SG_SG_EEES9_SI_JZNS1_25segmented_radix_sort_implINS0_14default_configELb1EPKsPsPKlPlN2at6native12_GLOBAL__N_18offset_tEEE10hipError_tPvRmT1_PNSt15iterator_traitsIS12_E10value_typeET2_T3_PNS13_IS18_E10value_typeET4_jRbjT5_S1E_jjP12ihipStream_tbEUljE_ZNSN_ISO_Lb1ESQ_SR_ST_SU_SY_EESZ_S10_S11_S12_S16_S17_S18_S1B_S1C_jS1D_jS1E_S1E_jjS1G_bEUljE0_EEESZ_S10_S11_S18_S1C_S1E_T6_T7_T9_mT8_S1G_bDpT10_ENKUlT_T0_E_clISt17integral_constantIbLb1EES1T_IbLb0EEEEDaS1P_S1Q_EUlS1P_E_NS1_11comp_targetILNS1_3genE4ELNS1_11target_archE910ELNS1_3gpuE8ELNS1_3repE0EEENS1_30default_config_static_selectorELNS0_4arch9wavefront6targetE1EEEvS12_, .Lfunc_end865-_ZN7rocprim17ROCPRIM_400000_NS6detail17trampoline_kernelINS0_13select_configILj256ELj13ELNS0_17block_load_methodE3ELS4_3ELS4_3ELNS0_20block_scan_algorithmE0ELj4294967295EEENS1_25partition_config_selectorILNS1_17partition_subalgoE4EjNS0_10empty_typeEbEEZZNS1_14partition_implILS8_4ELb0ES6_15HIP_vector_typeIjLj2EENS0_17counting_iteratorIjlEEPS9_SG_NS0_5tupleIJPjSI_NS0_16reverse_iteratorISI_EEEEENSH_IJSG_SG_SG_EEES9_SI_JZNS1_25segmented_radix_sort_implINS0_14default_configELb1EPKsPsPKlPlN2at6native12_GLOBAL__N_18offset_tEEE10hipError_tPvRmT1_PNSt15iterator_traitsIS12_E10value_typeET2_T3_PNS13_IS18_E10value_typeET4_jRbjT5_S1E_jjP12ihipStream_tbEUljE_ZNSN_ISO_Lb1ESQ_SR_ST_SU_SY_EESZ_S10_S11_S12_S16_S17_S18_S1B_S1C_jS1D_jS1E_S1E_jjS1G_bEUljE0_EEESZ_S10_S11_S18_S1C_S1E_T6_T7_T9_mT8_S1G_bDpT10_ENKUlT_T0_E_clISt17integral_constantIbLb1EES1T_IbLb0EEEEDaS1P_S1Q_EUlS1P_E_NS1_11comp_targetILNS1_3genE4ELNS1_11target_archE910ELNS1_3gpuE8ELNS1_3repE0EEENS1_30default_config_static_selectorELNS0_4arch9wavefront6targetE1EEEvS12_
                                        ; -- End function
	.section	.AMDGPU.csdata,"",@progbits
; Kernel info:
; codeLenInByte = 13412
; NumSgprs: 94
; NumVgprs: 102
; NumAgprs: 0
; TotalNumVgprs: 102
; ScratchSize: 0
; MemoryBound: 0
; FloatMode: 240
; IeeeMode: 1
; LDSByteSize: 13340 bytes/workgroup (compile time only)
; SGPRBlocks: 11
; VGPRBlocks: 12
; NumSGPRsForWavesPerEU: 94
; NumVGPRsForWavesPerEU: 102
; AccumOffset: 104
; Occupancy: 4
; WaveLimiterHint : 1
; COMPUTE_PGM_RSRC2:SCRATCH_EN: 0
; COMPUTE_PGM_RSRC2:USER_SGPR: 6
; COMPUTE_PGM_RSRC2:TRAP_HANDLER: 0
; COMPUTE_PGM_RSRC2:TGID_X_EN: 1
; COMPUTE_PGM_RSRC2:TGID_Y_EN: 0
; COMPUTE_PGM_RSRC2:TGID_Z_EN: 0
; COMPUTE_PGM_RSRC2:TIDIG_COMP_CNT: 0
; COMPUTE_PGM_RSRC3_GFX90A:ACCUM_OFFSET: 25
; COMPUTE_PGM_RSRC3_GFX90A:TG_SPLIT: 0
	.section	.text._ZN7rocprim17ROCPRIM_400000_NS6detail17trampoline_kernelINS0_13select_configILj256ELj13ELNS0_17block_load_methodE3ELS4_3ELS4_3ELNS0_20block_scan_algorithmE0ELj4294967295EEENS1_25partition_config_selectorILNS1_17partition_subalgoE4EjNS0_10empty_typeEbEEZZNS1_14partition_implILS8_4ELb0ES6_15HIP_vector_typeIjLj2EENS0_17counting_iteratorIjlEEPS9_SG_NS0_5tupleIJPjSI_NS0_16reverse_iteratorISI_EEEEENSH_IJSG_SG_SG_EEES9_SI_JZNS1_25segmented_radix_sort_implINS0_14default_configELb1EPKsPsPKlPlN2at6native12_GLOBAL__N_18offset_tEEE10hipError_tPvRmT1_PNSt15iterator_traitsIS12_E10value_typeET2_T3_PNS13_IS18_E10value_typeET4_jRbjT5_S1E_jjP12ihipStream_tbEUljE_ZNSN_ISO_Lb1ESQ_SR_ST_SU_SY_EESZ_S10_S11_S12_S16_S17_S18_S1B_S1C_jS1D_jS1E_S1E_jjS1G_bEUljE0_EEESZ_S10_S11_S18_S1C_S1E_T6_T7_T9_mT8_S1G_bDpT10_ENKUlT_T0_E_clISt17integral_constantIbLb1EES1T_IbLb0EEEEDaS1P_S1Q_EUlS1P_E_NS1_11comp_targetILNS1_3genE3ELNS1_11target_archE908ELNS1_3gpuE7ELNS1_3repE0EEENS1_30default_config_static_selectorELNS0_4arch9wavefront6targetE1EEEvS12_,"axG",@progbits,_ZN7rocprim17ROCPRIM_400000_NS6detail17trampoline_kernelINS0_13select_configILj256ELj13ELNS0_17block_load_methodE3ELS4_3ELS4_3ELNS0_20block_scan_algorithmE0ELj4294967295EEENS1_25partition_config_selectorILNS1_17partition_subalgoE4EjNS0_10empty_typeEbEEZZNS1_14partition_implILS8_4ELb0ES6_15HIP_vector_typeIjLj2EENS0_17counting_iteratorIjlEEPS9_SG_NS0_5tupleIJPjSI_NS0_16reverse_iteratorISI_EEEEENSH_IJSG_SG_SG_EEES9_SI_JZNS1_25segmented_radix_sort_implINS0_14default_configELb1EPKsPsPKlPlN2at6native12_GLOBAL__N_18offset_tEEE10hipError_tPvRmT1_PNSt15iterator_traitsIS12_E10value_typeET2_T3_PNS13_IS18_E10value_typeET4_jRbjT5_S1E_jjP12ihipStream_tbEUljE_ZNSN_ISO_Lb1ESQ_SR_ST_SU_SY_EESZ_S10_S11_S12_S16_S17_S18_S1B_S1C_jS1D_jS1E_S1E_jjS1G_bEUljE0_EEESZ_S10_S11_S18_S1C_S1E_T6_T7_T9_mT8_S1G_bDpT10_ENKUlT_T0_E_clISt17integral_constantIbLb1EES1T_IbLb0EEEEDaS1P_S1Q_EUlS1P_E_NS1_11comp_targetILNS1_3genE3ELNS1_11target_archE908ELNS1_3gpuE7ELNS1_3repE0EEENS1_30default_config_static_selectorELNS0_4arch9wavefront6targetE1EEEvS12_,comdat
	.globl	_ZN7rocprim17ROCPRIM_400000_NS6detail17trampoline_kernelINS0_13select_configILj256ELj13ELNS0_17block_load_methodE3ELS4_3ELS4_3ELNS0_20block_scan_algorithmE0ELj4294967295EEENS1_25partition_config_selectorILNS1_17partition_subalgoE4EjNS0_10empty_typeEbEEZZNS1_14partition_implILS8_4ELb0ES6_15HIP_vector_typeIjLj2EENS0_17counting_iteratorIjlEEPS9_SG_NS0_5tupleIJPjSI_NS0_16reverse_iteratorISI_EEEEENSH_IJSG_SG_SG_EEES9_SI_JZNS1_25segmented_radix_sort_implINS0_14default_configELb1EPKsPsPKlPlN2at6native12_GLOBAL__N_18offset_tEEE10hipError_tPvRmT1_PNSt15iterator_traitsIS12_E10value_typeET2_T3_PNS13_IS18_E10value_typeET4_jRbjT5_S1E_jjP12ihipStream_tbEUljE_ZNSN_ISO_Lb1ESQ_SR_ST_SU_SY_EESZ_S10_S11_S12_S16_S17_S18_S1B_S1C_jS1D_jS1E_S1E_jjS1G_bEUljE0_EEESZ_S10_S11_S18_S1C_S1E_T6_T7_T9_mT8_S1G_bDpT10_ENKUlT_T0_E_clISt17integral_constantIbLb1EES1T_IbLb0EEEEDaS1P_S1Q_EUlS1P_E_NS1_11comp_targetILNS1_3genE3ELNS1_11target_archE908ELNS1_3gpuE7ELNS1_3repE0EEENS1_30default_config_static_selectorELNS0_4arch9wavefront6targetE1EEEvS12_ ; -- Begin function _ZN7rocprim17ROCPRIM_400000_NS6detail17trampoline_kernelINS0_13select_configILj256ELj13ELNS0_17block_load_methodE3ELS4_3ELS4_3ELNS0_20block_scan_algorithmE0ELj4294967295EEENS1_25partition_config_selectorILNS1_17partition_subalgoE4EjNS0_10empty_typeEbEEZZNS1_14partition_implILS8_4ELb0ES6_15HIP_vector_typeIjLj2EENS0_17counting_iteratorIjlEEPS9_SG_NS0_5tupleIJPjSI_NS0_16reverse_iteratorISI_EEEEENSH_IJSG_SG_SG_EEES9_SI_JZNS1_25segmented_radix_sort_implINS0_14default_configELb1EPKsPsPKlPlN2at6native12_GLOBAL__N_18offset_tEEE10hipError_tPvRmT1_PNSt15iterator_traitsIS12_E10value_typeET2_T3_PNS13_IS18_E10value_typeET4_jRbjT5_S1E_jjP12ihipStream_tbEUljE_ZNSN_ISO_Lb1ESQ_SR_ST_SU_SY_EESZ_S10_S11_S12_S16_S17_S18_S1B_S1C_jS1D_jS1E_S1E_jjS1G_bEUljE0_EEESZ_S10_S11_S18_S1C_S1E_T6_T7_T9_mT8_S1G_bDpT10_ENKUlT_T0_E_clISt17integral_constantIbLb1EES1T_IbLb0EEEEDaS1P_S1Q_EUlS1P_E_NS1_11comp_targetILNS1_3genE3ELNS1_11target_archE908ELNS1_3gpuE7ELNS1_3repE0EEENS1_30default_config_static_selectorELNS0_4arch9wavefront6targetE1EEEvS12_
	.p2align	8
	.type	_ZN7rocprim17ROCPRIM_400000_NS6detail17trampoline_kernelINS0_13select_configILj256ELj13ELNS0_17block_load_methodE3ELS4_3ELS4_3ELNS0_20block_scan_algorithmE0ELj4294967295EEENS1_25partition_config_selectorILNS1_17partition_subalgoE4EjNS0_10empty_typeEbEEZZNS1_14partition_implILS8_4ELb0ES6_15HIP_vector_typeIjLj2EENS0_17counting_iteratorIjlEEPS9_SG_NS0_5tupleIJPjSI_NS0_16reverse_iteratorISI_EEEEENSH_IJSG_SG_SG_EEES9_SI_JZNS1_25segmented_radix_sort_implINS0_14default_configELb1EPKsPsPKlPlN2at6native12_GLOBAL__N_18offset_tEEE10hipError_tPvRmT1_PNSt15iterator_traitsIS12_E10value_typeET2_T3_PNS13_IS18_E10value_typeET4_jRbjT5_S1E_jjP12ihipStream_tbEUljE_ZNSN_ISO_Lb1ESQ_SR_ST_SU_SY_EESZ_S10_S11_S12_S16_S17_S18_S1B_S1C_jS1D_jS1E_S1E_jjS1G_bEUljE0_EEESZ_S10_S11_S18_S1C_S1E_T6_T7_T9_mT8_S1G_bDpT10_ENKUlT_T0_E_clISt17integral_constantIbLb1EES1T_IbLb0EEEEDaS1P_S1Q_EUlS1P_E_NS1_11comp_targetILNS1_3genE3ELNS1_11target_archE908ELNS1_3gpuE7ELNS1_3repE0EEENS1_30default_config_static_selectorELNS0_4arch9wavefront6targetE1EEEvS12_,@function
_ZN7rocprim17ROCPRIM_400000_NS6detail17trampoline_kernelINS0_13select_configILj256ELj13ELNS0_17block_load_methodE3ELS4_3ELS4_3ELNS0_20block_scan_algorithmE0ELj4294967295EEENS1_25partition_config_selectorILNS1_17partition_subalgoE4EjNS0_10empty_typeEbEEZZNS1_14partition_implILS8_4ELb0ES6_15HIP_vector_typeIjLj2EENS0_17counting_iteratorIjlEEPS9_SG_NS0_5tupleIJPjSI_NS0_16reverse_iteratorISI_EEEEENSH_IJSG_SG_SG_EEES9_SI_JZNS1_25segmented_radix_sort_implINS0_14default_configELb1EPKsPsPKlPlN2at6native12_GLOBAL__N_18offset_tEEE10hipError_tPvRmT1_PNSt15iterator_traitsIS12_E10value_typeET2_T3_PNS13_IS18_E10value_typeET4_jRbjT5_S1E_jjP12ihipStream_tbEUljE_ZNSN_ISO_Lb1ESQ_SR_ST_SU_SY_EESZ_S10_S11_S12_S16_S17_S18_S1B_S1C_jS1D_jS1E_S1E_jjS1G_bEUljE0_EEESZ_S10_S11_S18_S1C_S1E_T6_T7_T9_mT8_S1G_bDpT10_ENKUlT_T0_E_clISt17integral_constantIbLb1EES1T_IbLb0EEEEDaS1P_S1Q_EUlS1P_E_NS1_11comp_targetILNS1_3genE3ELNS1_11target_archE908ELNS1_3gpuE7ELNS1_3repE0EEENS1_30default_config_static_selectorELNS0_4arch9wavefront6targetE1EEEvS12_: ; @_ZN7rocprim17ROCPRIM_400000_NS6detail17trampoline_kernelINS0_13select_configILj256ELj13ELNS0_17block_load_methodE3ELS4_3ELS4_3ELNS0_20block_scan_algorithmE0ELj4294967295EEENS1_25partition_config_selectorILNS1_17partition_subalgoE4EjNS0_10empty_typeEbEEZZNS1_14partition_implILS8_4ELb0ES6_15HIP_vector_typeIjLj2EENS0_17counting_iteratorIjlEEPS9_SG_NS0_5tupleIJPjSI_NS0_16reverse_iteratorISI_EEEEENSH_IJSG_SG_SG_EEES9_SI_JZNS1_25segmented_radix_sort_implINS0_14default_configELb1EPKsPsPKlPlN2at6native12_GLOBAL__N_18offset_tEEE10hipError_tPvRmT1_PNSt15iterator_traitsIS12_E10value_typeET2_T3_PNS13_IS18_E10value_typeET4_jRbjT5_S1E_jjP12ihipStream_tbEUljE_ZNSN_ISO_Lb1ESQ_SR_ST_SU_SY_EESZ_S10_S11_S12_S16_S17_S18_S1B_S1C_jS1D_jS1E_S1E_jjS1G_bEUljE0_EEESZ_S10_S11_S18_S1C_S1E_T6_T7_T9_mT8_S1G_bDpT10_ENKUlT_T0_E_clISt17integral_constantIbLb1EES1T_IbLb0EEEEDaS1P_S1Q_EUlS1P_E_NS1_11comp_targetILNS1_3genE3ELNS1_11target_archE908ELNS1_3gpuE7ELNS1_3repE0EEENS1_30default_config_static_selectorELNS0_4arch9wavefront6targetE1EEEvS12_
; %bb.0:
	.section	.rodata,"a",@progbits
	.p2align	6, 0x0
	.amdhsa_kernel _ZN7rocprim17ROCPRIM_400000_NS6detail17trampoline_kernelINS0_13select_configILj256ELj13ELNS0_17block_load_methodE3ELS4_3ELS4_3ELNS0_20block_scan_algorithmE0ELj4294967295EEENS1_25partition_config_selectorILNS1_17partition_subalgoE4EjNS0_10empty_typeEbEEZZNS1_14partition_implILS8_4ELb0ES6_15HIP_vector_typeIjLj2EENS0_17counting_iteratorIjlEEPS9_SG_NS0_5tupleIJPjSI_NS0_16reverse_iteratorISI_EEEEENSH_IJSG_SG_SG_EEES9_SI_JZNS1_25segmented_radix_sort_implINS0_14default_configELb1EPKsPsPKlPlN2at6native12_GLOBAL__N_18offset_tEEE10hipError_tPvRmT1_PNSt15iterator_traitsIS12_E10value_typeET2_T3_PNS13_IS18_E10value_typeET4_jRbjT5_S1E_jjP12ihipStream_tbEUljE_ZNSN_ISO_Lb1ESQ_SR_ST_SU_SY_EESZ_S10_S11_S12_S16_S17_S18_S1B_S1C_jS1D_jS1E_S1E_jjS1G_bEUljE0_EEESZ_S10_S11_S18_S1C_S1E_T6_T7_T9_mT8_S1G_bDpT10_ENKUlT_T0_E_clISt17integral_constantIbLb1EES1T_IbLb0EEEEDaS1P_S1Q_EUlS1P_E_NS1_11comp_targetILNS1_3genE3ELNS1_11target_archE908ELNS1_3gpuE7ELNS1_3repE0EEENS1_30default_config_static_selectorELNS0_4arch9wavefront6targetE1EEEvS12_
		.amdhsa_group_segment_fixed_size 0
		.amdhsa_private_segment_fixed_size 0
		.amdhsa_kernarg_size 176
		.amdhsa_user_sgpr_count 6
		.amdhsa_user_sgpr_private_segment_buffer 1
		.amdhsa_user_sgpr_dispatch_ptr 0
		.amdhsa_user_sgpr_queue_ptr 0
		.amdhsa_user_sgpr_kernarg_segment_ptr 1
		.amdhsa_user_sgpr_dispatch_id 0
		.amdhsa_user_sgpr_flat_scratch_init 0
		.amdhsa_user_sgpr_kernarg_preload_length 0
		.amdhsa_user_sgpr_kernarg_preload_offset 0
		.amdhsa_user_sgpr_private_segment_size 0
		.amdhsa_uses_dynamic_stack 0
		.amdhsa_system_sgpr_private_segment_wavefront_offset 0
		.amdhsa_system_sgpr_workgroup_id_x 1
		.amdhsa_system_sgpr_workgroup_id_y 0
		.amdhsa_system_sgpr_workgroup_id_z 0
		.amdhsa_system_sgpr_workgroup_info 0
		.amdhsa_system_vgpr_workitem_id 0
		.amdhsa_next_free_vgpr 1
		.amdhsa_next_free_sgpr 0
		.amdhsa_accum_offset 4
		.amdhsa_reserve_vcc 0
		.amdhsa_reserve_flat_scratch 0
		.amdhsa_float_round_mode_32 0
		.amdhsa_float_round_mode_16_64 0
		.amdhsa_float_denorm_mode_32 3
		.amdhsa_float_denorm_mode_16_64 3
		.amdhsa_dx10_clamp 1
		.amdhsa_ieee_mode 1
		.amdhsa_fp16_overflow 0
		.amdhsa_tg_split 0
		.amdhsa_exception_fp_ieee_invalid_op 0
		.amdhsa_exception_fp_denorm_src 0
		.amdhsa_exception_fp_ieee_div_zero 0
		.amdhsa_exception_fp_ieee_overflow 0
		.amdhsa_exception_fp_ieee_underflow 0
		.amdhsa_exception_fp_ieee_inexact 0
		.amdhsa_exception_int_div_zero 0
	.end_amdhsa_kernel
	.section	.text._ZN7rocprim17ROCPRIM_400000_NS6detail17trampoline_kernelINS0_13select_configILj256ELj13ELNS0_17block_load_methodE3ELS4_3ELS4_3ELNS0_20block_scan_algorithmE0ELj4294967295EEENS1_25partition_config_selectorILNS1_17partition_subalgoE4EjNS0_10empty_typeEbEEZZNS1_14partition_implILS8_4ELb0ES6_15HIP_vector_typeIjLj2EENS0_17counting_iteratorIjlEEPS9_SG_NS0_5tupleIJPjSI_NS0_16reverse_iteratorISI_EEEEENSH_IJSG_SG_SG_EEES9_SI_JZNS1_25segmented_radix_sort_implINS0_14default_configELb1EPKsPsPKlPlN2at6native12_GLOBAL__N_18offset_tEEE10hipError_tPvRmT1_PNSt15iterator_traitsIS12_E10value_typeET2_T3_PNS13_IS18_E10value_typeET4_jRbjT5_S1E_jjP12ihipStream_tbEUljE_ZNSN_ISO_Lb1ESQ_SR_ST_SU_SY_EESZ_S10_S11_S12_S16_S17_S18_S1B_S1C_jS1D_jS1E_S1E_jjS1G_bEUljE0_EEESZ_S10_S11_S18_S1C_S1E_T6_T7_T9_mT8_S1G_bDpT10_ENKUlT_T0_E_clISt17integral_constantIbLb1EES1T_IbLb0EEEEDaS1P_S1Q_EUlS1P_E_NS1_11comp_targetILNS1_3genE3ELNS1_11target_archE908ELNS1_3gpuE7ELNS1_3repE0EEENS1_30default_config_static_selectorELNS0_4arch9wavefront6targetE1EEEvS12_,"axG",@progbits,_ZN7rocprim17ROCPRIM_400000_NS6detail17trampoline_kernelINS0_13select_configILj256ELj13ELNS0_17block_load_methodE3ELS4_3ELS4_3ELNS0_20block_scan_algorithmE0ELj4294967295EEENS1_25partition_config_selectorILNS1_17partition_subalgoE4EjNS0_10empty_typeEbEEZZNS1_14partition_implILS8_4ELb0ES6_15HIP_vector_typeIjLj2EENS0_17counting_iteratorIjlEEPS9_SG_NS0_5tupleIJPjSI_NS0_16reverse_iteratorISI_EEEEENSH_IJSG_SG_SG_EEES9_SI_JZNS1_25segmented_radix_sort_implINS0_14default_configELb1EPKsPsPKlPlN2at6native12_GLOBAL__N_18offset_tEEE10hipError_tPvRmT1_PNSt15iterator_traitsIS12_E10value_typeET2_T3_PNS13_IS18_E10value_typeET4_jRbjT5_S1E_jjP12ihipStream_tbEUljE_ZNSN_ISO_Lb1ESQ_SR_ST_SU_SY_EESZ_S10_S11_S12_S16_S17_S18_S1B_S1C_jS1D_jS1E_S1E_jjS1G_bEUljE0_EEESZ_S10_S11_S18_S1C_S1E_T6_T7_T9_mT8_S1G_bDpT10_ENKUlT_T0_E_clISt17integral_constantIbLb1EES1T_IbLb0EEEEDaS1P_S1Q_EUlS1P_E_NS1_11comp_targetILNS1_3genE3ELNS1_11target_archE908ELNS1_3gpuE7ELNS1_3repE0EEENS1_30default_config_static_selectorELNS0_4arch9wavefront6targetE1EEEvS12_,comdat
.Lfunc_end866:
	.size	_ZN7rocprim17ROCPRIM_400000_NS6detail17trampoline_kernelINS0_13select_configILj256ELj13ELNS0_17block_load_methodE3ELS4_3ELS4_3ELNS0_20block_scan_algorithmE0ELj4294967295EEENS1_25partition_config_selectorILNS1_17partition_subalgoE4EjNS0_10empty_typeEbEEZZNS1_14partition_implILS8_4ELb0ES6_15HIP_vector_typeIjLj2EENS0_17counting_iteratorIjlEEPS9_SG_NS0_5tupleIJPjSI_NS0_16reverse_iteratorISI_EEEEENSH_IJSG_SG_SG_EEES9_SI_JZNS1_25segmented_radix_sort_implINS0_14default_configELb1EPKsPsPKlPlN2at6native12_GLOBAL__N_18offset_tEEE10hipError_tPvRmT1_PNSt15iterator_traitsIS12_E10value_typeET2_T3_PNS13_IS18_E10value_typeET4_jRbjT5_S1E_jjP12ihipStream_tbEUljE_ZNSN_ISO_Lb1ESQ_SR_ST_SU_SY_EESZ_S10_S11_S12_S16_S17_S18_S1B_S1C_jS1D_jS1E_S1E_jjS1G_bEUljE0_EEESZ_S10_S11_S18_S1C_S1E_T6_T7_T9_mT8_S1G_bDpT10_ENKUlT_T0_E_clISt17integral_constantIbLb1EES1T_IbLb0EEEEDaS1P_S1Q_EUlS1P_E_NS1_11comp_targetILNS1_3genE3ELNS1_11target_archE908ELNS1_3gpuE7ELNS1_3repE0EEENS1_30default_config_static_selectorELNS0_4arch9wavefront6targetE1EEEvS12_, .Lfunc_end866-_ZN7rocprim17ROCPRIM_400000_NS6detail17trampoline_kernelINS0_13select_configILj256ELj13ELNS0_17block_load_methodE3ELS4_3ELS4_3ELNS0_20block_scan_algorithmE0ELj4294967295EEENS1_25partition_config_selectorILNS1_17partition_subalgoE4EjNS0_10empty_typeEbEEZZNS1_14partition_implILS8_4ELb0ES6_15HIP_vector_typeIjLj2EENS0_17counting_iteratorIjlEEPS9_SG_NS0_5tupleIJPjSI_NS0_16reverse_iteratorISI_EEEEENSH_IJSG_SG_SG_EEES9_SI_JZNS1_25segmented_radix_sort_implINS0_14default_configELb1EPKsPsPKlPlN2at6native12_GLOBAL__N_18offset_tEEE10hipError_tPvRmT1_PNSt15iterator_traitsIS12_E10value_typeET2_T3_PNS13_IS18_E10value_typeET4_jRbjT5_S1E_jjP12ihipStream_tbEUljE_ZNSN_ISO_Lb1ESQ_SR_ST_SU_SY_EESZ_S10_S11_S12_S16_S17_S18_S1B_S1C_jS1D_jS1E_S1E_jjS1G_bEUljE0_EEESZ_S10_S11_S18_S1C_S1E_T6_T7_T9_mT8_S1G_bDpT10_ENKUlT_T0_E_clISt17integral_constantIbLb1EES1T_IbLb0EEEEDaS1P_S1Q_EUlS1P_E_NS1_11comp_targetILNS1_3genE3ELNS1_11target_archE908ELNS1_3gpuE7ELNS1_3repE0EEENS1_30default_config_static_selectorELNS0_4arch9wavefront6targetE1EEEvS12_
                                        ; -- End function
	.section	.AMDGPU.csdata,"",@progbits
; Kernel info:
; codeLenInByte = 0
; NumSgprs: 4
; NumVgprs: 0
; NumAgprs: 0
; TotalNumVgprs: 0
; ScratchSize: 0
; MemoryBound: 0
; FloatMode: 240
; IeeeMode: 1
; LDSByteSize: 0 bytes/workgroup (compile time only)
; SGPRBlocks: 0
; VGPRBlocks: 0
; NumSGPRsForWavesPerEU: 4
; NumVGPRsForWavesPerEU: 1
; AccumOffset: 4
; Occupancy: 8
; WaveLimiterHint : 0
; COMPUTE_PGM_RSRC2:SCRATCH_EN: 0
; COMPUTE_PGM_RSRC2:USER_SGPR: 6
; COMPUTE_PGM_RSRC2:TRAP_HANDLER: 0
; COMPUTE_PGM_RSRC2:TGID_X_EN: 1
; COMPUTE_PGM_RSRC2:TGID_Y_EN: 0
; COMPUTE_PGM_RSRC2:TGID_Z_EN: 0
; COMPUTE_PGM_RSRC2:TIDIG_COMP_CNT: 0
; COMPUTE_PGM_RSRC3_GFX90A:ACCUM_OFFSET: 0
; COMPUTE_PGM_RSRC3_GFX90A:TG_SPLIT: 0
	.section	.text._ZN7rocprim17ROCPRIM_400000_NS6detail17trampoline_kernelINS0_13select_configILj256ELj13ELNS0_17block_load_methodE3ELS4_3ELS4_3ELNS0_20block_scan_algorithmE0ELj4294967295EEENS1_25partition_config_selectorILNS1_17partition_subalgoE4EjNS0_10empty_typeEbEEZZNS1_14partition_implILS8_4ELb0ES6_15HIP_vector_typeIjLj2EENS0_17counting_iteratorIjlEEPS9_SG_NS0_5tupleIJPjSI_NS0_16reverse_iteratorISI_EEEEENSH_IJSG_SG_SG_EEES9_SI_JZNS1_25segmented_radix_sort_implINS0_14default_configELb1EPKsPsPKlPlN2at6native12_GLOBAL__N_18offset_tEEE10hipError_tPvRmT1_PNSt15iterator_traitsIS12_E10value_typeET2_T3_PNS13_IS18_E10value_typeET4_jRbjT5_S1E_jjP12ihipStream_tbEUljE_ZNSN_ISO_Lb1ESQ_SR_ST_SU_SY_EESZ_S10_S11_S12_S16_S17_S18_S1B_S1C_jS1D_jS1E_S1E_jjS1G_bEUljE0_EEESZ_S10_S11_S18_S1C_S1E_T6_T7_T9_mT8_S1G_bDpT10_ENKUlT_T0_E_clISt17integral_constantIbLb1EES1T_IbLb0EEEEDaS1P_S1Q_EUlS1P_E_NS1_11comp_targetILNS1_3genE2ELNS1_11target_archE906ELNS1_3gpuE6ELNS1_3repE0EEENS1_30default_config_static_selectorELNS0_4arch9wavefront6targetE1EEEvS12_,"axG",@progbits,_ZN7rocprim17ROCPRIM_400000_NS6detail17trampoline_kernelINS0_13select_configILj256ELj13ELNS0_17block_load_methodE3ELS4_3ELS4_3ELNS0_20block_scan_algorithmE0ELj4294967295EEENS1_25partition_config_selectorILNS1_17partition_subalgoE4EjNS0_10empty_typeEbEEZZNS1_14partition_implILS8_4ELb0ES6_15HIP_vector_typeIjLj2EENS0_17counting_iteratorIjlEEPS9_SG_NS0_5tupleIJPjSI_NS0_16reverse_iteratorISI_EEEEENSH_IJSG_SG_SG_EEES9_SI_JZNS1_25segmented_radix_sort_implINS0_14default_configELb1EPKsPsPKlPlN2at6native12_GLOBAL__N_18offset_tEEE10hipError_tPvRmT1_PNSt15iterator_traitsIS12_E10value_typeET2_T3_PNS13_IS18_E10value_typeET4_jRbjT5_S1E_jjP12ihipStream_tbEUljE_ZNSN_ISO_Lb1ESQ_SR_ST_SU_SY_EESZ_S10_S11_S12_S16_S17_S18_S1B_S1C_jS1D_jS1E_S1E_jjS1G_bEUljE0_EEESZ_S10_S11_S18_S1C_S1E_T6_T7_T9_mT8_S1G_bDpT10_ENKUlT_T0_E_clISt17integral_constantIbLb1EES1T_IbLb0EEEEDaS1P_S1Q_EUlS1P_E_NS1_11comp_targetILNS1_3genE2ELNS1_11target_archE906ELNS1_3gpuE6ELNS1_3repE0EEENS1_30default_config_static_selectorELNS0_4arch9wavefront6targetE1EEEvS12_,comdat
	.globl	_ZN7rocprim17ROCPRIM_400000_NS6detail17trampoline_kernelINS0_13select_configILj256ELj13ELNS0_17block_load_methodE3ELS4_3ELS4_3ELNS0_20block_scan_algorithmE0ELj4294967295EEENS1_25partition_config_selectorILNS1_17partition_subalgoE4EjNS0_10empty_typeEbEEZZNS1_14partition_implILS8_4ELb0ES6_15HIP_vector_typeIjLj2EENS0_17counting_iteratorIjlEEPS9_SG_NS0_5tupleIJPjSI_NS0_16reverse_iteratorISI_EEEEENSH_IJSG_SG_SG_EEES9_SI_JZNS1_25segmented_radix_sort_implINS0_14default_configELb1EPKsPsPKlPlN2at6native12_GLOBAL__N_18offset_tEEE10hipError_tPvRmT1_PNSt15iterator_traitsIS12_E10value_typeET2_T3_PNS13_IS18_E10value_typeET4_jRbjT5_S1E_jjP12ihipStream_tbEUljE_ZNSN_ISO_Lb1ESQ_SR_ST_SU_SY_EESZ_S10_S11_S12_S16_S17_S18_S1B_S1C_jS1D_jS1E_S1E_jjS1G_bEUljE0_EEESZ_S10_S11_S18_S1C_S1E_T6_T7_T9_mT8_S1G_bDpT10_ENKUlT_T0_E_clISt17integral_constantIbLb1EES1T_IbLb0EEEEDaS1P_S1Q_EUlS1P_E_NS1_11comp_targetILNS1_3genE2ELNS1_11target_archE906ELNS1_3gpuE6ELNS1_3repE0EEENS1_30default_config_static_selectorELNS0_4arch9wavefront6targetE1EEEvS12_ ; -- Begin function _ZN7rocprim17ROCPRIM_400000_NS6detail17trampoline_kernelINS0_13select_configILj256ELj13ELNS0_17block_load_methodE3ELS4_3ELS4_3ELNS0_20block_scan_algorithmE0ELj4294967295EEENS1_25partition_config_selectorILNS1_17partition_subalgoE4EjNS0_10empty_typeEbEEZZNS1_14partition_implILS8_4ELb0ES6_15HIP_vector_typeIjLj2EENS0_17counting_iteratorIjlEEPS9_SG_NS0_5tupleIJPjSI_NS0_16reverse_iteratorISI_EEEEENSH_IJSG_SG_SG_EEES9_SI_JZNS1_25segmented_radix_sort_implINS0_14default_configELb1EPKsPsPKlPlN2at6native12_GLOBAL__N_18offset_tEEE10hipError_tPvRmT1_PNSt15iterator_traitsIS12_E10value_typeET2_T3_PNS13_IS18_E10value_typeET4_jRbjT5_S1E_jjP12ihipStream_tbEUljE_ZNSN_ISO_Lb1ESQ_SR_ST_SU_SY_EESZ_S10_S11_S12_S16_S17_S18_S1B_S1C_jS1D_jS1E_S1E_jjS1G_bEUljE0_EEESZ_S10_S11_S18_S1C_S1E_T6_T7_T9_mT8_S1G_bDpT10_ENKUlT_T0_E_clISt17integral_constantIbLb1EES1T_IbLb0EEEEDaS1P_S1Q_EUlS1P_E_NS1_11comp_targetILNS1_3genE2ELNS1_11target_archE906ELNS1_3gpuE6ELNS1_3repE0EEENS1_30default_config_static_selectorELNS0_4arch9wavefront6targetE1EEEvS12_
	.p2align	8
	.type	_ZN7rocprim17ROCPRIM_400000_NS6detail17trampoline_kernelINS0_13select_configILj256ELj13ELNS0_17block_load_methodE3ELS4_3ELS4_3ELNS0_20block_scan_algorithmE0ELj4294967295EEENS1_25partition_config_selectorILNS1_17partition_subalgoE4EjNS0_10empty_typeEbEEZZNS1_14partition_implILS8_4ELb0ES6_15HIP_vector_typeIjLj2EENS0_17counting_iteratorIjlEEPS9_SG_NS0_5tupleIJPjSI_NS0_16reverse_iteratorISI_EEEEENSH_IJSG_SG_SG_EEES9_SI_JZNS1_25segmented_radix_sort_implINS0_14default_configELb1EPKsPsPKlPlN2at6native12_GLOBAL__N_18offset_tEEE10hipError_tPvRmT1_PNSt15iterator_traitsIS12_E10value_typeET2_T3_PNS13_IS18_E10value_typeET4_jRbjT5_S1E_jjP12ihipStream_tbEUljE_ZNSN_ISO_Lb1ESQ_SR_ST_SU_SY_EESZ_S10_S11_S12_S16_S17_S18_S1B_S1C_jS1D_jS1E_S1E_jjS1G_bEUljE0_EEESZ_S10_S11_S18_S1C_S1E_T6_T7_T9_mT8_S1G_bDpT10_ENKUlT_T0_E_clISt17integral_constantIbLb1EES1T_IbLb0EEEEDaS1P_S1Q_EUlS1P_E_NS1_11comp_targetILNS1_3genE2ELNS1_11target_archE906ELNS1_3gpuE6ELNS1_3repE0EEENS1_30default_config_static_selectorELNS0_4arch9wavefront6targetE1EEEvS12_,@function
_ZN7rocprim17ROCPRIM_400000_NS6detail17trampoline_kernelINS0_13select_configILj256ELj13ELNS0_17block_load_methodE3ELS4_3ELS4_3ELNS0_20block_scan_algorithmE0ELj4294967295EEENS1_25partition_config_selectorILNS1_17partition_subalgoE4EjNS0_10empty_typeEbEEZZNS1_14partition_implILS8_4ELb0ES6_15HIP_vector_typeIjLj2EENS0_17counting_iteratorIjlEEPS9_SG_NS0_5tupleIJPjSI_NS0_16reverse_iteratorISI_EEEEENSH_IJSG_SG_SG_EEES9_SI_JZNS1_25segmented_radix_sort_implINS0_14default_configELb1EPKsPsPKlPlN2at6native12_GLOBAL__N_18offset_tEEE10hipError_tPvRmT1_PNSt15iterator_traitsIS12_E10value_typeET2_T3_PNS13_IS18_E10value_typeET4_jRbjT5_S1E_jjP12ihipStream_tbEUljE_ZNSN_ISO_Lb1ESQ_SR_ST_SU_SY_EESZ_S10_S11_S12_S16_S17_S18_S1B_S1C_jS1D_jS1E_S1E_jjS1G_bEUljE0_EEESZ_S10_S11_S18_S1C_S1E_T6_T7_T9_mT8_S1G_bDpT10_ENKUlT_T0_E_clISt17integral_constantIbLb1EES1T_IbLb0EEEEDaS1P_S1Q_EUlS1P_E_NS1_11comp_targetILNS1_3genE2ELNS1_11target_archE906ELNS1_3gpuE6ELNS1_3repE0EEENS1_30default_config_static_selectorELNS0_4arch9wavefront6targetE1EEEvS12_: ; @_ZN7rocprim17ROCPRIM_400000_NS6detail17trampoline_kernelINS0_13select_configILj256ELj13ELNS0_17block_load_methodE3ELS4_3ELS4_3ELNS0_20block_scan_algorithmE0ELj4294967295EEENS1_25partition_config_selectorILNS1_17partition_subalgoE4EjNS0_10empty_typeEbEEZZNS1_14partition_implILS8_4ELb0ES6_15HIP_vector_typeIjLj2EENS0_17counting_iteratorIjlEEPS9_SG_NS0_5tupleIJPjSI_NS0_16reverse_iteratorISI_EEEEENSH_IJSG_SG_SG_EEES9_SI_JZNS1_25segmented_radix_sort_implINS0_14default_configELb1EPKsPsPKlPlN2at6native12_GLOBAL__N_18offset_tEEE10hipError_tPvRmT1_PNSt15iterator_traitsIS12_E10value_typeET2_T3_PNS13_IS18_E10value_typeET4_jRbjT5_S1E_jjP12ihipStream_tbEUljE_ZNSN_ISO_Lb1ESQ_SR_ST_SU_SY_EESZ_S10_S11_S12_S16_S17_S18_S1B_S1C_jS1D_jS1E_S1E_jjS1G_bEUljE0_EEESZ_S10_S11_S18_S1C_S1E_T6_T7_T9_mT8_S1G_bDpT10_ENKUlT_T0_E_clISt17integral_constantIbLb1EES1T_IbLb0EEEEDaS1P_S1Q_EUlS1P_E_NS1_11comp_targetILNS1_3genE2ELNS1_11target_archE906ELNS1_3gpuE6ELNS1_3repE0EEENS1_30default_config_static_selectorELNS0_4arch9wavefront6targetE1EEEvS12_
; %bb.0:
	.section	.rodata,"a",@progbits
	.p2align	6, 0x0
	.amdhsa_kernel _ZN7rocprim17ROCPRIM_400000_NS6detail17trampoline_kernelINS0_13select_configILj256ELj13ELNS0_17block_load_methodE3ELS4_3ELS4_3ELNS0_20block_scan_algorithmE0ELj4294967295EEENS1_25partition_config_selectorILNS1_17partition_subalgoE4EjNS0_10empty_typeEbEEZZNS1_14partition_implILS8_4ELb0ES6_15HIP_vector_typeIjLj2EENS0_17counting_iteratorIjlEEPS9_SG_NS0_5tupleIJPjSI_NS0_16reverse_iteratorISI_EEEEENSH_IJSG_SG_SG_EEES9_SI_JZNS1_25segmented_radix_sort_implINS0_14default_configELb1EPKsPsPKlPlN2at6native12_GLOBAL__N_18offset_tEEE10hipError_tPvRmT1_PNSt15iterator_traitsIS12_E10value_typeET2_T3_PNS13_IS18_E10value_typeET4_jRbjT5_S1E_jjP12ihipStream_tbEUljE_ZNSN_ISO_Lb1ESQ_SR_ST_SU_SY_EESZ_S10_S11_S12_S16_S17_S18_S1B_S1C_jS1D_jS1E_S1E_jjS1G_bEUljE0_EEESZ_S10_S11_S18_S1C_S1E_T6_T7_T9_mT8_S1G_bDpT10_ENKUlT_T0_E_clISt17integral_constantIbLb1EES1T_IbLb0EEEEDaS1P_S1Q_EUlS1P_E_NS1_11comp_targetILNS1_3genE2ELNS1_11target_archE906ELNS1_3gpuE6ELNS1_3repE0EEENS1_30default_config_static_selectorELNS0_4arch9wavefront6targetE1EEEvS12_
		.amdhsa_group_segment_fixed_size 0
		.amdhsa_private_segment_fixed_size 0
		.amdhsa_kernarg_size 176
		.amdhsa_user_sgpr_count 6
		.amdhsa_user_sgpr_private_segment_buffer 1
		.amdhsa_user_sgpr_dispatch_ptr 0
		.amdhsa_user_sgpr_queue_ptr 0
		.amdhsa_user_sgpr_kernarg_segment_ptr 1
		.amdhsa_user_sgpr_dispatch_id 0
		.amdhsa_user_sgpr_flat_scratch_init 0
		.amdhsa_user_sgpr_kernarg_preload_length 0
		.amdhsa_user_sgpr_kernarg_preload_offset 0
		.amdhsa_user_sgpr_private_segment_size 0
		.amdhsa_uses_dynamic_stack 0
		.amdhsa_system_sgpr_private_segment_wavefront_offset 0
		.amdhsa_system_sgpr_workgroup_id_x 1
		.amdhsa_system_sgpr_workgroup_id_y 0
		.amdhsa_system_sgpr_workgroup_id_z 0
		.amdhsa_system_sgpr_workgroup_info 0
		.amdhsa_system_vgpr_workitem_id 0
		.amdhsa_next_free_vgpr 1
		.amdhsa_next_free_sgpr 0
		.amdhsa_accum_offset 4
		.amdhsa_reserve_vcc 0
		.amdhsa_reserve_flat_scratch 0
		.amdhsa_float_round_mode_32 0
		.amdhsa_float_round_mode_16_64 0
		.amdhsa_float_denorm_mode_32 3
		.amdhsa_float_denorm_mode_16_64 3
		.amdhsa_dx10_clamp 1
		.amdhsa_ieee_mode 1
		.amdhsa_fp16_overflow 0
		.amdhsa_tg_split 0
		.amdhsa_exception_fp_ieee_invalid_op 0
		.amdhsa_exception_fp_denorm_src 0
		.amdhsa_exception_fp_ieee_div_zero 0
		.amdhsa_exception_fp_ieee_overflow 0
		.amdhsa_exception_fp_ieee_underflow 0
		.amdhsa_exception_fp_ieee_inexact 0
		.amdhsa_exception_int_div_zero 0
	.end_amdhsa_kernel
	.section	.text._ZN7rocprim17ROCPRIM_400000_NS6detail17trampoline_kernelINS0_13select_configILj256ELj13ELNS0_17block_load_methodE3ELS4_3ELS4_3ELNS0_20block_scan_algorithmE0ELj4294967295EEENS1_25partition_config_selectorILNS1_17partition_subalgoE4EjNS0_10empty_typeEbEEZZNS1_14partition_implILS8_4ELb0ES6_15HIP_vector_typeIjLj2EENS0_17counting_iteratorIjlEEPS9_SG_NS0_5tupleIJPjSI_NS0_16reverse_iteratorISI_EEEEENSH_IJSG_SG_SG_EEES9_SI_JZNS1_25segmented_radix_sort_implINS0_14default_configELb1EPKsPsPKlPlN2at6native12_GLOBAL__N_18offset_tEEE10hipError_tPvRmT1_PNSt15iterator_traitsIS12_E10value_typeET2_T3_PNS13_IS18_E10value_typeET4_jRbjT5_S1E_jjP12ihipStream_tbEUljE_ZNSN_ISO_Lb1ESQ_SR_ST_SU_SY_EESZ_S10_S11_S12_S16_S17_S18_S1B_S1C_jS1D_jS1E_S1E_jjS1G_bEUljE0_EEESZ_S10_S11_S18_S1C_S1E_T6_T7_T9_mT8_S1G_bDpT10_ENKUlT_T0_E_clISt17integral_constantIbLb1EES1T_IbLb0EEEEDaS1P_S1Q_EUlS1P_E_NS1_11comp_targetILNS1_3genE2ELNS1_11target_archE906ELNS1_3gpuE6ELNS1_3repE0EEENS1_30default_config_static_selectorELNS0_4arch9wavefront6targetE1EEEvS12_,"axG",@progbits,_ZN7rocprim17ROCPRIM_400000_NS6detail17trampoline_kernelINS0_13select_configILj256ELj13ELNS0_17block_load_methodE3ELS4_3ELS4_3ELNS0_20block_scan_algorithmE0ELj4294967295EEENS1_25partition_config_selectorILNS1_17partition_subalgoE4EjNS0_10empty_typeEbEEZZNS1_14partition_implILS8_4ELb0ES6_15HIP_vector_typeIjLj2EENS0_17counting_iteratorIjlEEPS9_SG_NS0_5tupleIJPjSI_NS0_16reverse_iteratorISI_EEEEENSH_IJSG_SG_SG_EEES9_SI_JZNS1_25segmented_radix_sort_implINS0_14default_configELb1EPKsPsPKlPlN2at6native12_GLOBAL__N_18offset_tEEE10hipError_tPvRmT1_PNSt15iterator_traitsIS12_E10value_typeET2_T3_PNS13_IS18_E10value_typeET4_jRbjT5_S1E_jjP12ihipStream_tbEUljE_ZNSN_ISO_Lb1ESQ_SR_ST_SU_SY_EESZ_S10_S11_S12_S16_S17_S18_S1B_S1C_jS1D_jS1E_S1E_jjS1G_bEUljE0_EEESZ_S10_S11_S18_S1C_S1E_T6_T7_T9_mT8_S1G_bDpT10_ENKUlT_T0_E_clISt17integral_constantIbLb1EES1T_IbLb0EEEEDaS1P_S1Q_EUlS1P_E_NS1_11comp_targetILNS1_3genE2ELNS1_11target_archE906ELNS1_3gpuE6ELNS1_3repE0EEENS1_30default_config_static_selectorELNS0_4arch9wavefront6targetE1EEEvS12_,comdat
.Lfunc_end867:
	.size	_ZN7rocprim17ROCPRIM_400000_NS6detail17trampoline_kernelINS0_13select_configILj256ELj13ELNS0_17block_load_methodE3ELS4_3ELS4_3ELNS0_20block_scan_algorithmE0ELj4294967295EEENS1_25partition_config_selectorILNS1_17partition_subalgoE4EjNS0_10empty_typeEbEEZZNS1_14partition_implILS8_4ELb0ES6_15HIP_vector_typeIjLj2EENS0_17counting_iteratorIjlEEPS9_SG_NS0_5tupleIJPjSI_NS0_16reverse_iteratorISI_EEEEENSH_IJSG_SG_SG_EEES9_SI_JZNS1_25segmented_radix_sort_implINS0_14default_configELb1EPKsPsPKlPlN2at6native12_GLOBAL__N_18offset_tEEE10hipError_tPvRmT1_PNSt15iterator_traitsIS12_E10value_typeET2_T3_PNS13_IS18_E10value_typeET4_jRbjT5_S1E_jjP12ihipStream_tbEUljE_ZNSN_ISO_Lb1ESQ_SR_ST_SU_SY_EESZ_S10_S11_S12_S16_S17_S18_S1B_S1C_jS1D_jS1E_S1E_jjS1G_bEUljE0_EEESZ_S10_S11_S18_S1C_S1E_T6_T7_T9_mT8_S1G_bDpT10_ENKUlT_T0_E_clISt17integral_constantIbLb1EES1T_IbLb0EEEEDaS1P_S1Q_EUlS1P_E_NS1_11comp_targetILNS1_3genE2ELNS1_11target_archE906ELNS1_3gpuE6ELNS1_3repE0EEENS1_30default_config_static_selectorELNS0_4arch9wavefront6targetE1EEEvS12_, .Lfunc_end867-_ZN7rocprim17ROCPRIM_400000_NS6detail17trampoline_kernelINS0_13select_configILj256ELj13ELNS0_17block_load_methodE3ELS4_3ELS4_3ELNS0_20block_scan_algorithmE0ELj4294967295EEENS1_25partition_config_selectorILNS1_17partition_subalgoE4EjNS0_10empty_typeEbEEZZNS1_14partition_implILS8_4ELb0ES6_15HIP_vector_typeIjLj2EENS0_17counting_iteratorIjlEEPS9_SG_NS0_5tupleIJPjSI_NS0_16reverse_iteratorISI_EEEEENSH_IJSG_SG_SG_EEES9_SI_JZNS1_25segmented_radix_sort_implINS0_14default_configELb1EPKsPsPKlPlN2at6native12_GLOBAL__N_18offset_tEEE10hipError_tPvRmT1_PNSt15iterator_traitsIS12_E10value_typeET2_T3_PNS13_IS18_E10value_typeET4_jRbjT5_S1E_jjP12ihipStream_tbEUljE_ZNSN_ISO_Lb1ESQ_SR_ST_SU_SY_EESZ_S10_S11_S12_S16_S17_S18_S1B_S1C_jS1D_jS1E_S1E_jjS1G_bEUljE0_EEESZ_S10_S11_S18_S1C_S1E_T6_T7_T9_mT8_S1G_bDpT10_ENKUlT_T0_E_clISt17integral_constantIbLb1EES1T_IbLb0EEEEDaS1P_S1Q_EUlS1P_E_NS1_11comp_targetILNS1_3genE2ELNS1_11target_archE906ELNS1_3gpuE6ELNS1_3repE0EEENS1_30default_config_static_selectorELNS0_4arch9wavefront6targetE1EEEvS12_
                                        ; -- End function
	.section	.AMDGPU.csdata,"",@progbits
; Kernel info:
; codeLenInByte = 0
; NumSgprs: 4
; NumVgprs: 0
; NumAgprs: 0
; TotalNumVgprs: 0
; ScratchSize: 0
; MemoryBound: 0
; FloatMode: 240
; IeeeMode: 1
; LDSByteSize: 0 bytes/workgroup (compile time only)
; SGPRBlocks: 0
; VGPRBlocks: 0
; NumSGPRsForWavesPerEU: 4
; NumVGPRsForWavesPerEU: 1
; AccumOffset: 4
; Occupancy: 8
; WaveLimiterHint : 0
; COMPUTE_PGM_RSRC2:SCRATCH_EN: 0
; COMPUTE_PGM_RSRC2:USER_SGPR: 6
; COMPUTE_PGM_RSRC2:TRAP_HANDLER: 0
; COMPUTE_PGM_RSRC2:TGID_X_EN: 1
; COMPUTE_PGM_RSRC2:TGID_Y_EN: 0
; COMPUTE_PGM_RSRC2:TGID_Z_EN: 0
; COMPUTE_PGM_RSRC2:TIDIG_COMP_CNT: 0
; COMPUTE_PGM_RSRC3_GFX90A:ACCUM_OFFSET: 0
; COMPUTE_PGM_RSRC3_GFX90A:TG_SPLIT: 0
	.section	.text._ZN7rocprim17ROCPRIM_400000_NS6detail17trampoline_kernelINS0_13select_configILj256ELj13ELNS0_17block_load_methodE3ELS4_3ELS4_3ELNS0_20block_scan_algorithmE0ELj4294967295EEENS1_25partition_config_selectorILNS1_17partition_subalgoE4EjNS0_10empty_typeEbEEZZNS1_14partition_implILS8_4ELb0ES6_15HIP_vector_typeIjLj2EENS0_17counting_iteratorIjlEEPS9_SG_NS0_5tupleIJPjSI_NS0_16reverse_iteratorISI_EEEEENSH_IJSG_SG_SG_EEES9_SI_JZNS1_25segmented_radix_sort_implINS0_14default_configELb1EPKsPsPKlPlN2at6native12_GLOBAL__N_18offset_tEEE10hipError_tPvRmT1_PNSt15iterator_traitsIS12_E10value_typeET2_T3_PNS13_IS18_E10value_typeET4_jRbjT5_S1E_jjP12ihipStream_tbEUljE_ZNSN_ISO_Lb1ESQ_SR_ST_SU_SY_EESZ_S10_S11_S12_S16_S17_S18_S1B_S1C_jS1D_jS1E_S1E_jjS1G_bEUljE0_EEESZ_S10_S11_S18_S1C_S1E_T6_T7_T9_mT8_S1G_bDpT10_ENKUlT_T0_E_clISt17integral_constantIbLb1EES1T_IbLb0EEEEDaS1P_S1Q_EUlS1P_E_NS1_11comp_targetILNS1_3genE10ELNS1_11target_archE1200ELNS1_3gpuE4ELNS1_3repE0EEENS1_30default_config_static_selectorELNS0_4arch9wavefront6targetE1EEEvS12_,"axG",@progbits,_ZN7rocprim17ROCPRIM_400000_NS6detail17trampoline_kernelINS0_13select_configILj256ELj13ELNS0_17block_load_methodE3ELS4_3ELS4_3ELNS0_20block_scan_algorithmE0ELj4294967295EEENS1_25partition_config_selectorILNS1_17partition_subalgoE4EjNS0_10empty_typeEbEEZZNS1_14partition_implILS8_4ELb0ES6_15HIP_vector_typeIjLj2EENS0_17counting_iteratorIjlEEPS9_SG_NS0_5tupleIJPjSI_NS0_16reverse_iteratorISI_EEEEENSH_IJSG_SG_SG_EEES9_SI_JZNS1_25segmented_radix_sort_implINS0_14default_configELb1EPKsPsPKlPlN2at6native12_GLOBAL__N_18offset_tEEE10hipError_tPvRmT1_PNSt15iterator_traitsIS12_E10value_typeET2_T3_PNS13_IS18_E10value_typeET4_jRbjT5_S1E_jjP12ihipStream_tbEUljE_ZNSN_ISO_Lb1ESQ_SR_ST_SU_SY_EESZ_S10_S11_S12_S16_S17_S18_S1B_S1C_jS1D_jS1E_S1E_jjS1G_bEUljE0_EEESZ_S10_S11_S18_S1C_S1E_T6_T7_T9_mT8_S1G_bDpT10_ENKUlT_T0_E_clISt17integral_constantIbLb1EES1T_IbLb0EEEEDaS1P_S1Q_EUlS1P_E_NS1_11comp_targetILNS1_3genE10ELNS1_11target_archE1200ELNS1_3gpuE4ELNS1_3repE0EEENS1_30default_config_static_selectorELNS0_4arch9wavefront6targetE1EEEvS12_,comdat
	.globl	_ZN7rocprim17ROCPRIM_400000_NS6detail17trampoline_kernelINS0_13select_configILj256ELj13ELNS0_17block_load_methodE3ELS4_3ELS4_3ELNS0_20block_scan_algorithmE0ELj4294967295EEENS1_25partition_config_selectorILNS1_17partition_subalgoE4EjNS0_10empty_typeEbEEZZNS1_14partition_implILS8_4ELb0ES6_15HIP_vector_typeIjLj2EENS0_17counting_iteratorIjlEEPS9_SG_NS0_5tupleIJPjSI_NS0_16reverse_iteratorISI_EEEEENSH_IJSG_SG_SG_EEES9_SI_JZNS1_25segmented_radix_sort_implINS0_14default_configELb1EPKsPsPKlPlN2at6native12_GLOBAL__N_18offset_tEEE10hipError_tPvRmT1_PNSt15iterator_traitsIS12_E10value_typeET2_T3_PNS13_IS18_E10value_typeET4_jRbjT5_S1E_jjP12ihipStream_tbEUljE_ZNSN_ISO_Lb1ESQ_SR_ST_SU_SY_EESZ_S10_S11_S12_S16_S17_S18_S1B_S1C_jS1D_jS1E_S1E_jjS1G_bEUljE0_EEESZ_S10_S11_S18_S1C_S1E_T6_T7_T9_mT8_S1G_bDpT10_ENKUlT_T0_E_clISt17integral_constantIbLb1EES1T_IbLb0EEEEDaS1P_S1Q_EUlS1P_E_NS1_11comp_targetILNS1_3genE10ELNS1_11target_archE1200ELNS1_3gpuE4ELNS1_3repE0EEENS1_30default_config_static_selectorELNS0_4arch9wavefront6targetE1EEEvS12_ ; -- Begin function _ZN7rocprim17ROCPRIM_400000_NS6detail17trampoline_kernelINS0_13select_configILj256ELj13ELNS0_17block_load_methodE3ELS4_3ELS4_3ELNS0_20block_scan_algorithmE0ELj4294967295EEENS1_25partition_config_selectorILNS1_17partition_subalgoE4EjNS0_10empty_typeEbEEZZNS1_14partition_implILS8_4ELb0ES6_15HIP_vector_typeIjLj2EENS0_17counting_iteratorIjlEEPS9_SG_NS0_5tupleIJPjSI_NS0_16reverse_iteratorISI_EEEEENSH_IJSG_SG_SG_EEES9_SI_JZNS1_25segmented_radix_sort_implINS0_14default_configELb1EPKsPsPKlPlN2at6native12_GLOBAL__N_18offset_tEEE10hipError_tPvRmT1_PNSt15iterator_traitsIS12_E10value_typeET2_T3_PNS13_IS18_E10value_typeET4_jRbjT5_S1E_jjP12ihipStream_tbEUljE_ZNSN_ISO_Lb1ESQ_SR_ST_SU_SY_EESZ_S10_S11_S12_S16_S17_S18_S1B_S1C_jS1D_jS1E_S1E_jjS1G_bEUljE0_EEESZ_S10_S11_S18_S1C_S1E_T6_T7_T9_mT8_S1G_bDpT10_ENKUlT_T0_E_clISt17integral_constantIbLb1EES1T_IbLb0EEEEDaS1P_S1Q_EUlS1P_E_NS1_11comp_targetILNS1_3genE10ELNS1_11target_archE1200ELNS1_3gpuE4ELNS1_3repE0EEENS1_30default_config_static_selectorELNS0_4arch9wavefront6targetE1EEEvS12_
	.p2align	8
	.type	_ZN7rocprim17ROCPRIM_400000_NS6detail17trampoline_kernelINS0_13select_configILj256ELj13ELNS0_17block_load_methodE3ELS4_3ELS4_3ELNS0_20block_scan_algorithmE0ELj4294967295EEENS1_25partition_config_selectorILNS1_17partition_subalgoE4EjNS0_10empty_typeEbEEZZNS1_14partition_implILS8_4ELb0ES6_15HIP_vector_typeIjLj2EENS0_17counting_iteratorIjlEEPS9_SG_NS0_5tupleIJPjSI_NS0_16reverse_iteratorISI_EEEEENSH_IJSG_SG_SG_EEES9_SI_JZNS1_25segmented_radix_sort_implINS0_14default_configELb1EPKsPsPKlPlN2at6native12_GLOBAL__N_18offset_tEEE10hipError_tPvRmT1_PNSt15iterator_traitsIS12_E10value_typeET2_T3_PNS13_IS18_E10value_typeET4_jRbjT5_S1E_jjP12ihipStream_tbEUljE_ZNSN_ISO_Lb1ESQ_SR_ST_SU_SY_EESZ_S10_S11_S12_S16_S17_S18_S1B_S1C_jS1D_jS1E_S1E_jjS1G_bEUljE0_EEESZ_S10_S11_S18_S1C_S1E_T6_T7_T9_mT8_S1G_bDpT10_ENKUlT_T0_E_clISt17integral_constantIbLb1EES1T_IbLb0EEEEDaS1P_S1Q_EUlS1P_E_NS1_11comp_targetILNS1_3genE10ELNS1_11target_archE1200ELNS1_3gpuE4ELNS1_3repE0EEENS1_30default_config_static_selectorELNS0_4arch9wavefront6targetE1EEEvS12_,@function
_ZN7rocprim17ROCPRIM_400000_NS6detail17trampoline_kernelINS0_13select_configILj256ELj13ELNS0_17block_load_methodE3ELS4_3ELS4_3ELNS0_20block_scan_algorithmE0ELj4294967295EEENS1_25partition_config_selectorILNS1_17partition_subalgoE4EjNS0_10empty_typeEbEEZZNS1_14partition_implILS8_4ELb0ES6_15HIP_vector_typeIjLj2EENS0_17counting_iteratorIjlEEPS9_SG_NS0_5tupleIJPjSI_NS0_16reverse_iteratorISI_EEEEENSH_IJSG_SG_SG_EEES9_SI_JZNS1_25segmented_radix_sort_implINS0_14default_configELb1EPKsPsPKlPlN2at6native12_GLOBAL__N_18offset_tEEE10hipError_tPvRmT1_PNSt15iterator_traitsIS12_E10value_typeET2_T3_PNS13_IS18_E10value_typeET4_jRbjT5_S1E_jjP12ihipStream_tbEUljE_ZNSN_ISO_Lb1ESQ_SR_ST_SU_SY_EESZ_S10_S11_S12_S16_S17_S18_S1B_S1C_jS1D_jS1E_S1E_jjS1G_bEUljE0_EEESZ_S10_S11_S18_S1C_S1E_T6_T7_T9_mT8_S1G_bDpT10_ENKUlT_T0_E_clISt17integral_constantIbLb1EES1T_IbLb0EEEEDaS1P_S1Q_EUlS1P_E_NS1_11comp_targetILNS1_3genE10ELNS1_11target_archE1200ELNS1_3gpuE4ELNS1_3repE0EEENS1_30default_config_static_selectorELNS0_4arch9wavefront6targetE1EEEvS12_: ; @_ZN7rocprim17ROCPRIM_400000_NS6detail17trampoline_kernelINS0_13select_configILj256ELj13ELNS0_17block_load_methodE3ELS4_3ELS4_3ELNS0_20block_scan_algorithmE0ELj4294967295EEENS1_25partition_config_selectorILNS1_17partition_subalgoE4EjNS0_10empty_typeEbEEZZNS1_14partition_implILS8_4ELb0ES6_15HIP_vector_typeIjLj2EENS0_17counting_iteratorIjlEEPS9_SG_NS0_5tupleIJPjSI_NS0_16reverse_iteratorISI_EEEEENSH_IJSG_SG_SG_EEES9_SI_JZNS1_25segmented_radix_sort_implINS0_14default_configELb1EPKsPsPKlPlN2at6native12_GLOBAL__N_18offset_tEEE10hipError_tPvRmT1_PNSt15iterator_traitsIS12_E10value_typeET2_T3_PNS13_IS18_E10value_typeET4_jRbjT5_S1E_jjP12ihipStream_tbEUljE_ZNSN_ISO_Lb1ESQ_SR_ST_SU_SY_EESZ_S10_S11_S12_S16_S17_S18_S1B_S1C_jS1D_jS1E_S1E_jjS1G_bEUljE0_EEESZ_S10_S11_S18_S1C_S1E_T6_T7_T9_mT8_S1G_bDpT10_ENKUlT_T0_E_clISt17integral_constantIbLb1EES1T_IbLb0EEEEDaS1P_S1Q_EUlS1P_E_NS1_11comp_targetILNS1_3genE10ELNS1_11target_archE1200ELNS1_3gpuE4ELNS1_3repE0EEENS1_30default_config_static_selectorELNS0_4arch9wavefront6targetE1EEEvS12_
; %bb.0:
	.section	.rodata,"a",@progbits
	.p2align	6, 0x0
	.amdhsa_kernel _ZN7rocprim17ROCPRIM_400000_NS6detail17trampoline_kernelINS0_13select_configILj256ELj13ELNS0_17block_load_methodE3ELS4_3ELS4_3ELNS0_20block_scan_algorithmE0ELj4294967295EEENS1_25partition_config_selectorILNS1_17partition_subalgoE4EjNS0_10empty_typeEbEEZZNS1_14partition_implILS8_4ELb0ES6_15HIP_vector_typeIjLj2EENS0_17counting_iteratorIjlEEPS9_SG_NS0_5tupleIJPjSI_NS0_16reverse_iteratorISI_EEEEENSH_IJSG_SG_SG_EEES9_SI_JZNS1_25segmented_radix_sort_implINS0_14default_configELb1EPKsPsPKlPlN2at6native12_GLOBAL__N_18offset_tEEE10hipError_tPvRmT1_PNSt15iterator_traitsIS12_E10value_typeET2_T3_PNS13_IS18_E10value_typeET4_jRbjT5_S1E_jjP12ihipStream_tbEUljE_ZNSN_ISO_Lb1ESQ_SR_ST_SU_SY_EESZ_S10_S11_S12_S16_S17_S18_S1B_S1C_jS1D_jS1E_S1E_jjS1G_bEUljE0_EEESZ_S10_S11_S18_S1C_S1E_T6_T7_T9_mT8_S1G_bDpT10_ENKUlT_T0_E_clISt17integral_constantIbLb1EES1T_IbLb0EEEEDaS1P_S1Q_EUlS1P_E_NS1_11comp_targetILNS1_3genE10ELNS1_11target_archE1200ELNS1_3gpuE4ELNS1_3repE0EEENS1_30default_config_static_selectorELNS0_4arch9wavefront6targetE1EEEvS12_
		.amdhsa_group_segment_fixed_size 0
		.amdhsa_private_segment_fixed_size 0
		.amdhsa_kernarg_size 176
		.amdhsa_user_sgpr_count 6
		.amdhsa_user_sgpr_private_segment_buffer 1
		.amdhsa_user_sgpr_dispatch_ptr 0
		.amdhsa_user_sgpr_queue_ptr 0
		.amdhsa_user_sgpr_kernarg_segment_ptr 1
		.amdhsa_user_sgpr_dispatch_id 0
		.amdhsa_user_sgpr_flat_scratch_init 0
		.amdhsa_user_sgpr_kernarg_preload_length 0
		.amdhsa_user_sgpr_kernarg_preload_offset 0
		.amdhsa_user_sgpr_private_segment_size 0
		.amdhsa_uses_dynamic_stack 0
		.amdhsa_system_sgpr_private_segment_wavefront_offset 0
		.amdhsa_system_sgpr_workgroup_id_x 1
		.amdhsa_system_sgpr_workgroup_id_y 0
		.amdhsa_system_sgpr_workgroup_id_z 0
		.amdhsa_system_sgpr_workgroup_info 0
		.amdhsa_system_vgpr_workitem_id 0
		.amdhsa_next_free_vgpr 1
		.amdhsa_next_free_sgpr 0
		.amdhsa_accum_offset 4
		.amdhsa_reserve_vcc 0
		.amdhsa_reserve_flat_scratch 0
		.amdhsa_float_round_mode_32 0
		.amdhsa_float_round_mode_16_64 0
		.amdhsa_float_denorm_mode_32 3
		.amdhsa_float_denorm_mode_16_64 3
		.amdhsa_dx10_clamp 1
		.amdhsa_ieee_mode 1
		.amdhsa_fp16_overflow 0
		.amdhsa_tg_split 0
		.amdhsa_exception_fp_ieee_invalid_op 0
		.amdhsa_exception_fp_denorm_src 0
		.amdhsa_exception_fp_ieee_div_zero 0
		.amdhsa_exception_fp_ieee_overflow 0
		.amdhsa_exception_fp_ieee_underflow 0
		.amdhsa_exception_fp_ieee_inexact 0
		.amdhsa_exception_int_div_zero 0
	.end_amdhsa_kernel
	.section	.text._ZN7rocprim17ROCPRIM_400000_NS6detail17trampoline_kernelINS0_13select_configILj256ELj13ELNS0_17block_load_methodE3ELS4_3ELS4_3ELNS0_20block_scan_algorithmE0ELj4294967295EEENS1_25partition_config_selectorILNS1_17partition_subalgoE4EjNS0_10empty_typeEbEEZZNS1_14partition_implILS8_4ELb0ES6_15HIP_vector_typeIjLj2EENS0_17counting_iteratorIjlEEPS9_SG_NS0_5tupleIJPjSI_NS0_16reverse_iteratorISI_EEEEENSH_IJSG_SG_SG_EEES9_SI_JZNS1_25segmented_radix_sort_implINS0_14default_configELb1EPKsPsPKlPlN2at6native12_GLOBAL__N_18offset_tEEE10hipError_tPvRmT1_PNSt15iterator_traitsIS12_E10value_typeET2_T3_PNS13_IS18_E10value_typeET4_jRbjT5_S1E_jjP12ihipStream_tbEUljE_ZNSN_ISO_Lb1ESQ_SR_ST_SU_SY_EESZ_S10_S11_S12_S16_S17_S18_S1B_S1C_jS1D_jS1E_S1E_jjS1G_bEUljE0_EEESZ_S10_S11_S18_S1C_S1E_T6_T7_T9_mT8_S1G_bDpT10_ENKUlT_T0_E_clISt17integral_constantIbLb1EES1T_IbLb0EEEEDaS1P_S1Q_EUlS1P_E_NS1_11comp_targetILNS1_3genE10ELNS1_11target_archE1200ELNS1_3gpuE4ELNS1_3repE0EEENS1_30default_config_static_selectorELNS0_4arch9wavefront6targetE1EEEvS12_,"axG",@progbits,_ZN7rocprim17ROCPRIM_400000_NS6detail17trampoline_kernelINS0_13select_configILj256ELj13ELNS0_17block_load_methodE3ELS4_3ELS4_3ELNS0_20block_scan_algorithmE0ELj4294967295EEENS1_25partition_config_selectorILNS1_17partition_subalgoE4EjNS0_10empty_typeEbEEZZNS1_14partition_implILS8_4ELb0ES6_15HIP_vector_typeIjLj2EENS0_17counting_iteratorIjlEEPS9_SG_NS0_5tupleIJPjSI_NS0_16reverse_iteratorISI_EEEEENSH_IJSG_SG_SG_EEES9_SI_JZNS1_25segmented_radix_sort_implINS0_14default_configELb1EPKsPsPKlPlN2at6native12_GLOBAL__N_18offset_tEEE10hipError_tPvRmT1_PNSt15iterator_traitsIS12_E10value_typeET2_T3_PNS13_IS18_E10value_typeET4_jRbjT5_S1E_jjP12ihipStream_tbEUljE_ZNSN_ISO_Lb1ESQ_SR_ST_SU_SY_EESZ_S10_S11_S12_S16_S17_S18_S1B_S1C_jS1D_jS1E_S1E_jjS1G_bEUljE0_EEESZ_S10_S11_S18_S1C_S1E_T6_T7_T9_mT8_S1G_bDpT10_ENKUlT_T0_E_clISt17integral_constantIbLb1EES1T_IbLb0EEEEDaS1P_S1Q_EUlS1P_E_NS1_11comp_targetILNS1_3genE10ELNS1_11target_archE1200ELNS1_3gpuE4ELNS1_3repE0EEENS1_30default_config_static_selectorELNS0_4arch9wavefront6targetE1EEEvS12_,comdat
.Lfunc_end868:
	.size	_ZN7rocprim17ROCPRIM_400000_NS6detail17trampoline_kernelINS0_13select_configILj256ELj13ELNS0_17block_load_methodE3ELS4_3ELS4_3ELNS0_20block_scan_algorithmE0ELj4294967295EEENS1_25partition_config_selectorILNS1_17partition_subalgoE4EjNS0_10empty_typeEbEEZZNS1_14partition_implILS8_4ELb0ES6_15HIP_vector_typeIjLj2EENS0_17counting_iteratorIjlEEPS9_SG_NS0_5tupleIJPjSI_NS0_16reverse_iteratorISI_EEEEENSH_IJSG_SG_SG_EEES9_SI_JZNS1_25segmented_radix_sort_implINS0_14default_configELb1EPKsPsPKlPlN2at6native12_GLOBAL__N_18offset_tEEE10hipError_tPvRmT1_PNSt15iterator_traitsIS12_E10value_typeET2_T3_PNS13_IS18_E10value_typeET4_jRbjT5_S1E_jjP12ihipStream_tbEUljE_ZNSN_ISO_Lb1ESQ_SR_ST_SU_SY_EESZ_S10_S11_S12_S16_S17_S18_S1B_S1C_jS1D_jS1E_S1E_jjS1G_bEUljE0_EEESZ_S10_S11_S18_S1C_S1E_T6_T7_T9_mT8_S1G_bDpT10_ENKUlT_T0_E_clISt17integral_constantIbLb1EES1T_IbLb0EEEEDaS1P_S1Q_EUlS1P_E_NS1_11comp_targetILNS1_3genE10ELNS1_11target_archE1200ELNS1_3gpuE4ELNS1_3repE0EEENS1_30default_config_static_selectorELNS0_4arch9wavefront6targetE1EEEvS12_, .Lfunc_end868-_ZN7rocprim17ROCPRIM_400000_NS6detail17trampoline_kernelINS0_13select_configILj256ELj13ELNS0_17block_load_methodE3ELS4_3ELS4_3ELNS0_20block_scan_algorithmE0ELj4294967295EEENS1_25partition_config_selectorILNS1_17partition_subalgoE4EjNS0_10empty_typeEbEEZZNS1_14partition_implILS8_4ELb0ES6_15HIP_vector_typeIjLj2EENS0_17counting_iteratorIjlEEPS9_SG_NS0_5tupleIJPjSI_NS0_16reverse_iteratorISI_EEEEENSH_IJSG_SG_SG_EEES9_SI_JZNS1_25segmented_radix_sort_implINS0_14default_configELb1EPKsPsPKlPlN2at6native12_GLOBAL__N_18offset_tEEE10hipError_tPvRmT1_PNSt15iterator_traitsIS12_E10value_typeET2_T3_PNS13_IS18_E10value_typeET4_jRbjT5_S1E_jjP12ihipStream_tbEUljE_ZNSN_ISO_Lb1ESQ_SR_ST_SU_SY_EESZ_S10_S11_S12_S16_S17_S18_S1B_S1C_jS1D_jS1E_S1E_jjS1G_bEUljE0_EEESZ_S10_S11_S18_S1C_S1E_T6_T7_T9_mT8_S1G_bDpT10_ENKUlT_T0_E_clISt17integral_constantIbLb1EES1T_IbLb0EEEEDaS1P_S1Q_EUlS1P_E_NS1_11comp_targetILNS1_3genE10ELNS1_11target_archE1200ELNS1_3gpuE4ELNS1_3repE0EEENS1_30default_config_static_selectorELNS0_4arch9wavefront6targetE1EEEvS12_
                                        ; -- End function
	.section	.AMDGPU.csdata,"",@progbits
; Kernel info:
; codeLenInByte = 0
; NumSgprs: 4
; NumVgprs: 0
; NumAgprs: 0
; TotalNumVgprs: 0
; ScratchSize: 0
; MemoryBound: 0
; FloatMode: 240
; IeeeMode: 1
; LDSByteSize: 0 bytes/workgroup (compile time only)
; SGPRBlocks: 0
; VGPRBlocks: 0
; NumSGPRsForWavesPerEU: 4
; NumVGPRsForWavesPerEU: 1
; AccumOffset: 4
; Occupancy: 8
; WaveLimiterHint : 0
; COMPUTE_PGM_RSRC2:SCRATCH_EN: 0
; COMPUTE_PGM_RSRC2:USER_SGPR: 6
; COMPUTE_PGM_RSRC2:TRAP_HANDLER: 0
; COMPUTE_PGM_RSRC2:TGID_X_EN: 1
; COMPUTE_PGM_RSRC2:TGID_Y_EN: 0
; COMPUTE_PGM_RSRC2:TGID_Z_EN: 0
; COMPUTE_PGM_RSRC2:TIDIG_COMP_CNT: 0
; COMPUTE_PGM_RSRC3_GFX90A:ACCUM_OFFSET: 0
; COMPUTE_PGM_RSRC3_GFX90A:TG_SPLIT: 0
	.section	.text._ZN7rocprim17ROCPRIM_400000_NS6detail17trampoline_kernelINS0_13select_configILj256ELj13ELNS0_17block_load_methodE3ELS4_3ELS4_3ELNS0_20block_scan_algorithmE0ELj4294967295EEENS1_25partition_config_selectorILNS1_17partition_subalgoE4EjNS0_10empty_typeEbEEZZNS1_14partition_implILS8_4ELb0ES6_15HIP_vector_typeIjLj2EENS0_17counting_iteratorIjlEEPS9_SG_NS0_5tupleIJPjSI_NS0_16reverse_iteratorISI_EEEEENSH_IJSG_SG_SG_EEES9_SI_JZNS1_25segmented_radix_sort_implINS0_14default_configELb1EPKsPsPKlPlN2at6native12_GLOBAL__N_18offset_tEEE10hipError_tPvRmT1_PNSt15iterator_traitsIS12_E10value_typeET2_T3_PNS13_IS18_E10value_typeET4_jRbjT5_S1E_jjP12ihipStream_tbEUljE_ZNSN_ISO_Lb1ESQ_SR_ST_SU_SY_EESZ_S10_S11_S12_S16_S17_S18_S1B_S1C_jS1D_jS1E_S1E_jjS1G_bEUljE0_EEESZ_S10_S11_S18_S1C_S1E_T6_T7_T9_mT8_S1G_bDpT10_ENKUlT_T0_E_clISt17integral_constantIbLb1EES1T_IbLb0EEEEDaS1P_S1Q_EUlS1P_E_NS1_11comp_targetILNS1_3genE9ELNS1_11target_archE1100ELNS1_3gpuE3ELNS1_3repE0EEENS1_30default_config_static_selectorELNS0_4arch9wavefront6targetE1EEEvS12_,"axG",@progbits,_ZN7rocprim17ROCPRIM_400000_NS6detail17trampoline_kernelINS0_13select_configILj256ELj13ELNS0_17block_load_methodE3ELS4_3ELS4_3ELNS0_20block_scan_algorithmE0ELj4294967295EEENS1_25partition_config_selectorILNS1_17partition_subalgoE4EjNS0_10empty_typeEbEEZZNS1_14partition_implILS8_4ELb0ES6_15HIP_vector_typeIjLj2EENS0_17counting_iteratorIjlEEPS9_SG_NS0_5tupleIJPjSI_NS0_16reverse_iteratorISI_EEEEENSH_IJSG_SG_SG_EEES9_SI_JZNS1_25segmented_radix_sort_implINS0_14default_configELb1EPKsPsPKlPlN2at6native12_GLOBAL__N_18offset_tEEE10hipError_tPvRmT1_PNSt15iterator_traitsIS12_E10value_typeET2_T3_PNS13_IS18_E10value_typeET4_jRbjT5_S1E_jjP12ihipStream_tbEUljE_ZNSN_ISO_Lb1ESQ_SR_ST_SU_SY_EESZ_S10_S11_S12_S16_S17_S18_S1B_S1C_jS1D_jS1E_S1E_jjS1G_bEUljE0_EEESZ_S10_S11_S18_S1C_S1E_T6_T7_T9_mT8_S1G_bDpT10_ENKUlT_T0_E_clISt17integral_constantIbLb1EES1T_IbLb0EEEEDaS1P_S1Q_EUlS1P_E_NS1_11comp_targetILNS1_3genE9ELNS1_11target_archE1100ELNS1_3gpuE3ELNS1_3repE0EEENS1_30default_config_static_selectorELNS0_4arch9wavefront6targetE1EEEvS12_,comdat
	.globl	_ZN7rocprim17ROCPRIM_400000_NS6detail17trampoline_kernelINS0_13select_configILj256ELj13ELNS0_17block_load_methodE3ELS4_3ELS4_3ELNS0_20block_scan_algorithmE0ELj4294967295EEENS1_25partition_config_selectorILNS1_17partition_subalgoE4EjNS0_10empty_typeEbEEZZNS1_14partition_implILS8_4ELb0ES6_15HIP_vector_typeIjLj2EENS0_17counting_iteratorIjlEEPS9_SG_NS0_5tupleIJPjSI_NS0_16reverse_iteratorISI_EEEEENSH_IJSG_SG_SG_EEES9_SI_JZNS1_25segmented_radix_sort_implINS0_14default_configELb1EPKsPsPKlPlN2at6native12_GLOBAL__N_18offset_tEEE10hipError_tPvRmT1_PNSt15iterator_traitsIS12_E10value_typeET2_T3_PNS13_IS18_E10value_typeET4_jRbjT5_S1E_jjP12ihipStream_tbEUljE_ZNSN_ISO_Lb1ESQ_SR_ST_SU_SY_EESZ_S10_S11_S12_S16_S17_S18_S1B_S1C_jS1D_jS1E_S1E_jjS1G_bEUljE0_EEESZ_S10_S11_S18_S1C_S1E_T6_T7_T9_mT8_S1G_bDpT10_ENKUlT_T0_E_clISt17integral_constantIbLb1EES1T_IbLb0EEEEDaS1P_S1Q_EUlS1P_E_NS1_11comp_targetILNS1_3genE9ELNS1_11target_archE1100ELNS1_3gpuE3ELNS1_3repE0EEENS1_30default_config_static_selectorELNS0_4arch9wavefront6targetE1EEEvS12_ ; -- Begin function _ZN7rocprim17ROCPRIM_400000_NS6detail17trampoline_kernelINS0_13select_configILj256ELj13ELNS0_17block_load_methodE3ELS4_3ELS4_3ELNS0_20block_scan_algorithmE0ELj4294967295EEENS1_25partition_config_selectorILNS1_17partition_subalgoE4EjNS0_10empty_typeEbEEZZNS1_14partition_implILS8_4ELb0ES6_15HIP_vector_typeIjLj2EENS0_17counting_iteratorIjlEEPS9_SG_NS0_5tupleIJPjSI_NS0_16reverse_iteratorISI_EEEEENSH_IJSG_SG_SG_EEES9_SI_JZNS1_25segmented_radix_sort_implINS0_14default_configELb1EPKsPsPKlPlN2at6native12_GLOBAL__N_18offset_tEEE10hipError_tPvRmT1_PNSt15iterator_traitsIS12_E10value_typeET2_T3_PNS13_IS18_E10value_typeET4_jRbjT5_S1E_jjP12ihipStream_tbEUljE_ZNSN_ISO_Lb1ESQ_SR_ST_SU_SY_EESZ_S10_S11_S12_S16_S17_S18_S1B_S1C_jS1D_jS1E_S1E_jjS1G_bEUljE0_EEESZ_S10_S11_S18_S1C_S1E_T6_T7_T9_mT8_S1G_bDpT10_ENKUlT_T0_E_clISt17integral_constantIbLb1EES1T_IbLb0EEEEDaS1P_S1Q_EUlS1P_E_NS1_11comp_targetILNS1_3genE9ELNS1_11target_archE1100ELNS1_3gpuE3ELNS1_3repE0EEENS1_30default_config_static_selectorELNS0_4arch9wavefront6targetE1EEEvS12_
	.p2align	8
	.type	_ZN7rocprim17ROCPRIM_400000_NS6detail17trampoline_kernelINS0_13select_configILj256ELj13ELNS0_17block_load_methodE3ELS4_3ELS4_3ELNS0_20block_scan_algorithmE0ELj4294967295EEENS1_25partition_config_selectorILNS1_17partition_subalgoE4EjNS0_10empty_typeEbEEZZNS1_14partition_implILS8_4ELb0ES6_15HIP_vector_typeIjLj2EENS0_17counting_iteratorIjlEEPS9_SG_NS0_5tupleIJPjSI_NS0_16reverse_iteratorISI_EEEEENSH_IJSG_SG_SG_EEES9_SI_JZNS1_25segmented_radix_sort_implINS0_14default_configELb1EPKsPsPKlPlN2at6native12_GLOBAL__N_18offset_tEEE10hipError_tPvRmT1_PNSt15iterator_traitsIS12_E10value_typeET2_T3_PNS13_IS18_E10value_typeET4_jRbjT5_S1E_jjP12ihipStream_tbEUljE_ZNSN_ISO_Lb1ESQ_SR_ST_SU_SY_EESZ_S10_S11_S12_S16_S17_S18_S1B_S1C_jS1D_jS1E_S1E_jjS1G_bEUljE0_EEESZ_S10_S11_S18_S1C_S1E_T6_T7_T9_mT8_S1G_bDpT10_ENKUlT_T0_E_clISt17integral_constantIbLb1EES1T_IbLb0EEEEDaS1P_S1Q_EUlS1P_E_NS1_11comp_targetILNS1_3genE9ELNS1_11target_archE1100ELNS1_3gpuE3ELNS1_3repE0EEENS1_30default_config_static_selectorELNS0_4arch9wavefront6targetE1EEEvS12_,@function
_ZN7rocprim17ROCPRIM_400000_NS6detail17trampoline_kernelINS0_13select_configILj256ELj13ELNS0_17block_load_methodE3ELS4_3ELS4_3ELNS0_20block_scan_algorithmE0ELj4294967295EEENS1_25partition_config_selectorILNS1_17partition_subalgoE4EjNS0_10empty_typeEbEEZZNS1_14partition_implILS8_4ELb0ES6_15HIP_vector_typeIjLj2EENS0_17counting_iteratorIjlEEPS9_SG_NS0_5tupleIJPjSI_NS0_16reverse_iteratorISI_EEEEENSH_IJSG_SG_SG_EEES9_SI_JZNS1_25segmented_radix_sort_implINS0_14default_configELb1EPKsPsPKlPlN2at6native12_GLOBAL__N_18offset_tEEE10hipError_tPvRmT1_PNSt15iterator_traitsIS12_E10value_typeET2_T3_PNS13_IS18_E10value_typeET4_jRbjT5_S1E_jjP12ihipStream_tbEUljE_ZNSN_ISO_Lb1ESQ_SR_ST_SU_SY_EESZ_S10_S11_S12_S16_S17_S18_S1B_S1C_jS1D_jS1E_S1E_jjS1G_bEUljE0_EEESZ_S10_S11_S18_S1C_S1E_T6_T7_T9_mT8_S1G_bDpT10_ENKUlT_T0_E_clISt17integral_constantIbLb1EES1T_IbLb0EEEEDaS1P_S1Q_EUlS1P_E_NS1_11comp_targetILNS1_3genE9ELNS1_11target_archE1100ELNS1_3gpuE3ELNS1_3repE0EEENS1_30default_config_static_selectorELNS0_4arch9wavefront6targetE1EEEvS12_: ; @_ZN7rocprim17ROCPRIM_400000_NS6detail17trampoline_kernelINS0_13select_configILj256ELj13ELNS0_17block_load_methodE3ELS4_3ELS4_3ELNS0_20block_scan_algorithmE0ELj4294967295EEENS1_25partition_config_selectorILNS1_17partition_subalgoE4EjNS0_10empty_typeEbEEZZNS1_14partition_implILS8_4ELb0ES6_15HIP_vector_typeIjLj2EENS0_17counting_iteratorIjlEEPS9_SG_NS0_5tupleIJPjSI_NS0_16reverse_iteratorISI_EEEEENSH_IJSG_SG_SG_EEES9_SI_JZNS1_25segmented_radix_sort_implINS0_14default_configELb1EPKsPsPKlPlN2at6native12_GLOBAL__N_18offset_tEEE10hipError_tPvRmT1_PNSt15iterator_traitsIS12_E10value_typeET2_T3_PNS13_IS18_E10value_typeET4_jRbjT5_S1E_jjP12ihipStream_tbEUljE_ZNSN_ISO_Lb1ESQ_SR_ST_SU_SY_EESZ_S10_S11_S12_S16_S17_S18_S1B_S1C_jS1D_jS1E_S1E_jjS1G_bEUljE0_EEESZ_S10_S11_S18_S1C_S1E_T6_T7_T9_mT8_S1G_bDpT10_ENKUlT_T0_E_clISt17integral_constantIbLb1EES1T_IbLb0EEEEDaS1P_S1Q_EUlS1P_E_NS1_11comp_targetILNS1_3genE9ELNS1_11target_archE1100ELNS1_3gpuE3ELNS1_3repE0EEENS1_30default_config_static_selectorELNS0_4arch9wavefront6targetE1EEEvS12_
; %bb.0:
	.section	.rodata,"a",@progbits
	.p2align	6, 0x0
	.amdhsa_kernel _ZN7rocprim17ROCPRIM_400000_NS6detail17trampoline_kernelINS0_13select_configILj256ELj13ELNS0_17block_load_methodE3ELS4_3ELS4_3ELNS0_20block_scan_algorithmE0ELj4294967295EEENS1_25partition_config_selectorILNS1_17partition_subalgoE4EjNS0_10empty_typeEbEEZZNS1_14partition_implILS8_4ELb0ES6_15HIP_vector_typeIjLj2EENS0_17counting_iteratorIjlEEPS9_SG_NS0_5tupleIJPjSI_NS0_16reverse_iteratorISI_EEEEENSH_IJSG_SG_SG_EEES9_SI_JZNS1_25segmented_radix_sort_implINS0_14default_configELb1EPKsPsPKlPlN2at6native12_GLOBAL__N_18offset_tEEE10hipError_tPvRmT1_PNSt15iterator_traitsIS12_E10value_typeET2_T3_PNS13_IS18_E10value_typeET4_jRbjT5_S1E_jjP12ihipStream_tbEUljE_ZNSN_ISO_Lb1ESQ_SR_ST_SU_SY_EESZ_S10_S11_S12_S16_S17_S18_S1B_S1C_jS1D_jS1E_S1E_jjS1G_bEUljE0_EEESZ_S10_S11_S18_S1C_S1E_T6_T7_T9_mT8_S1G_bDpT10_ENKUlT_T0_E_clISt17integral_constantIbLb1EES1T_IbLb0EEEEDaS1P_S1Q_EUlS1P_E_NS1_11comp_targetILNS1_3genE9ELNS1_11target_archE1100ELNS1_3gpuE3ELNS1_3repE0EEENS1_30default_config_static_selectorELNS0_4arch9wavefront6targetE1EEEvS12_
		.amdhsa_group_segment_fixed_size 0
		.amdhsa_private_segment_fixed_size 0
		.amdhsa_kernarg_size 176
		.amdhsa_user_sgpr_count 6
		.amdhsa_user_sgpr_private_segment_buffer 1
		.amdhsa_user_sgpr_dispatch_ptr 0
		.amdhsa_user_sgpr_queue_ptr 0
		.amdhsa_user_sgpr_kernarg_segment_ptr 1
		.amdhsa_user_sgpr_dispatch_id 0
		.amdhsa_user_sgpr_flat_scratch_init 0
		.amdhsa_user_sgpr_kernarg_preload_length 0
		.amdhsa_user_sgpr_kernarg_preload_offset 0
		.amdhsa_user_sgpr_private_segment_size 0
		.amdhsa_uses_dynamic_stack 0
		.amdhsa_system_sgpr_private_segment_wavefront_offset 0
		.amdhsa_system_sgpr_workgroup_id_x 1
		.amdhsa_system_sgpr_workgroup_id_y 0
		.amdhsa_system_sgpr_workgroup_id_z 0
		.amdhsa_system_sgpr_workgroup_info 0
		.amdhsa_system_vgpr_workitem_id 0
		.amdhsa_next_free_vgpr 1
		.amdhsa_next_free_sgpr 0
		.amdhsa_accum_offset 4
		.amdhsa_reserve_vcc 0
		.amdhsa_reserve_flat_scratch 0
		.amdhsa_float_round_mode_32 0
		.amdhsa_float_round_mode_16_64 0
		.amdhsa_float_denorm_mode_32 3
		.amdhsa_float_denorm_mode_16_64 3
		.amdhsa_dx10_clamp 1
		.amdhsa_ieee_mode 1
		.amdhsa_fp16_overflow 0
		.amdhsa_tg_split 0
		.amdhsa_exception_fp_ieee_invalid_op 0
		.amdhsa_exception_fp_denorm_src 0
		.amdhsa_exception_fp_ieee_div_zero 0
		.amdhsa_exception_fp_ieee_overflow 0
		.amdhsa_exception_fp_ieee_underflow 0
		.amdhsa_exception_fp_ieee_inexact 0
		.amdhsa_exception_int_div_zero 0
	.end_amdhsa_kernel
	.section	.text._ZN7rocprim17ROCPRIM_400000_NS6detail17trampoline_kernelINS0_13select_configILj256ELj13ELNS0_17block_load_methodE3ELS4_3ELS4_3ELNS0_20block_scan_algorithmE0ELj4294967295EEENS1_25partition_config_selectorILNS1_17partition_subalgoE4EjNS0_10empty_typeEbEEZZNS1_14partition_implILS8_4ELb0ES6_15HIP_vector_typeIjLj2EENS0_17counting_iteratorIjlEEPS9_SG_NS0_5tupleIJPjSI_NS0_16reverse_iteratorISI_EEEEENSH_IJSG_SG_SG_EEES9_SI_JZNS1_25segmented_radix_sort_implINS0_14default_configELb1EPKsPsPKlPlN2at6native12_GLOBAL__N_18offset_tEEE10hipError_tPvRmT1_PNSt15iterator_traitsIS12_E10value_typeET2_T3_PNS13_IS18_E10value_typeET4_jRbjT5_S1E_jjP12ihipStream_tbEUljE_ZNSN_ISO_Lb1ESQ_SR_ST_SU_SY_EESZ_S10_S11_S12_S16_S17_S18_S1B_S1C_jS1D_jS1E_S1E_jjS1G_bEUljE0_EEESZ_S10_S11_S18_S1C_S1E_T6_T7_T9_mT8_S1G_bDpT10_ENKUlT_T0_E_clISt17integral_constantIbLb1EES1T_IbLb0EEEEDaS1P_S1Q_EUlS1P_E_NS1_11comp_targetILNS1_3genE9ELNS1_11target_archE1100ELNS1_3gpuE3ELNS1_3repE0EEENS1_30default_config_static_selectorELNS0_4arch9wavefront6targetE1EEEvS12_,"axG",@progbits,_ZN7rocprim17ROCPRIM_400000_NS6detail17trampoline_kernelINS0_13select_configILj256ELj13ELNS0_17block_load_methodE3ELS4_3ELS4_3ELNS0_20block_scan_algorithmE0ELj4294967295EEENS1_25partition_config_selectorILNS1_17partition_subalgoE4EjNS0_10empty_typeEbEEZZNS1_14partition_implILS8_4ELb0ES6_15HIP_vector_typeIjLj2EENS0_17counting_iteratorIjlEEPS9_SG_NS0_5tupleIJPjSI_NS0_16reverse_iteratorISI_EEEEENSH_IJSG_SG_SG_EEES9_SI_JZNS1_25segmented_radix_sort_implINS0_14default_configELb1EPKsPsPKlPlN2at6native12_GLOBAL__N_18offset_tEEE10hipError_tPvRmT1_PNSt15iterator_traitsIS12_E10value_typeET2_T3_PNS13_IS18_E10value_typeET4_jRbjT5_S1E_jjP12ihipStream_tbEUljE_ZNSN_ISO_Lb1ESQ_SR_ST_SU_SY_EESZ_S10_S11_S12_S16_S17_S18_S1B_S1C_jS1D_jS1E_S1E_jjS1G_bEUljE0_EEESZ_S10_S11_S18_S1C_S1E_T6_T7_T9_mT8_S1G_bDpT10_ENKUlT_T0_E_clISt17integral_constantIbLb1EES1T_IbLb0EEEEDaS1P_S1Q_EUlS1P_E_NS1_11comp_targetILNS1_3genE9ELNS1_11target_archE1100ELNS1_3gpuE3ELNS1_3repE0EEENS1_30default_config_static_selectorELNS0_4arch9wavefront6targetE1EEEvS12_,comdat
.Lfunc_end869:
	.size	_ZN7rocprim17ROCPRIM_400000_NS6detail17trampoline_kernelINS0_13select_configILj256ELj13ELNS0_17block_load_methodE3ELS4_3ELS4_3ELNS0_20block_scan_algorithmE0ELj4294967295EEENS1_25partition_config_selectorILNS1_17partition_subalgoE4EjNS0_10empty_typeEbEEZZNS1_14partition_implILS8_4ELb0ES6_15HIP_vector_typeIjLj2EENS0_17counting_iteratorIjlEEPS9_SG_NS0_5tupleIJPjSI_NS0_16reverse_iteratorISI_EEEEENSH_IJSG_SG_SG_EEES9_SI_JZNS1_25segmented_radix_sort_implINS0_14default_configELb1EPKsPsPKlPlN2at6native12_GLOBAL__N_18offset_tEEE10hipError_tPvRmT1_PNSt15iterator_traitsIS12_E10value_typeET2_T3_PNS13_IS18_E10value_typeET4_jRbjT5_S1E_jjP12ihipStream_tbEUljE_ZNSN_ISO_Lb1ESQ_SR_ST_SU_SY_EESZ_S10_S11_S12_S16_S17_S18_S1B_S1C_jS1D_jS1E_S1E_jjS1G_bEUljE0_EEESZ_S10_S11_S18_S1C_S1E_T6_T7_T9_mT8_S1G_bDpT10_ENKUlT_T0_E_clISt17integral_constantIbLb1EES1T_IbLb0EEEEDaS1P_S1Q_EUlS1P_E_NS1_11comp_targetILNS1_3genE9ELNS1_11target_archE1100ELNS1_3gpuE3ELNS1_3repE0EEENS1_30default_config_static_selectorELNS0_4arch9wavefront6targetE1EEEvS12_, .Lfunc_end869-_ZN7rocprim17ROCPRIM_400000_NS6detail17trampoline_kernelINS0_13select_configILj256ELj13ELNS0_17block_load_methodE3ELS4_3ELS4_3ELNS0_20block_scan_algorithmE0ELj4294967295EEENS1_25partition_config_selectorILNS1_17partition_subalgoE4EjNS0_10empty_typeEbEEZZNS1_14partition_implILS8_4ELb0ES6_15HIP_vector_typeIjLj2EENS0_17counting_iteratorIjlEEPS9_SG_NS0_5tupleIJPjSI_NS0_16reverse_iteratorISI_EEEEENSH_IJSG_SG_SG_EEES9_SI_JZNS1_25segmented_radix_sort_implINS0_14default_configELb1EPKsPsPKlPlN2at6native12_GLOBAL__N_18offset_tEEE10hipError_tPvRmT1_PNSt15iterator_traitsIS12_E10value_typeET2_T3_PNS13_IS18_E10value_typeET4_jRbjT5_S1E_jjP12ihipStream_tbEUljE_ZNSN_ISO_Lb1ESQ_SR_ST_SU_SY_EESZ_S10_S11_S12_S16_S17_S18_S1B_S1C_jS1D_jS1E_S1E_jjS1G_bEUljE0_EEESZ_S10_S11_S18_S1C_S1E_T6_T7_T9_mT8_S1G_bDpT10_ENKUlT_T0_E_clISt17integral_constantIbLb1EES1T_IbLb0EEEEDaS1P_S1Q_EUlS1P_E_NS1_11comp_targetILNS1_3genE9ELNS1_11target_archE1100ELNS1_3gpuE3ELNS1_3repE0EEENS1_30default_config_static_selectorELNS0_4arch9wavefront6targetE1EEEvS12_
                                        ; -- End function
	.section	.AMDGPU.csdata,"",@progbits
; Kernel info:
; codeLenInByte = 0
; NumSgprs: 4
; NumVgprs: 0
; NumAgprs: 0
; TotalNumVgprs: 0
; ScratchSize: 0
; MemoryBound: 0
; FloatMode: 240
; IeeeMode: 1
; LDSByteSize: 0 bytes/workgroup (compile time only)
; SGPRBlocks: 0
; VGPRBlocks: 0
; NumSGPRsForWavesPerEU: 4
; NumVGPRsForWavesPerEU: 1
; AccumOffset: 4
; Occupancy: 8
; WaveLimiterHint : 0
; COMPUTE_PGM_RSRC2:SCRATCH_EN: 0
; COMPUTE_PGM_RSRC2:USER_SGPR: 6
; COMPUTE_PGM_RSRC2:TRAP_HANDLER: 0
; COMPUTE_PGM_RSRC2:TGID_X_EN: 1
; COMPUTE_PGM_RSRC2:TGID_Y_EN: 0
; COMPUTE_PGM_RSRC2:TGID_Z_EN: 0
; COMPUTE_PGM_RSRC2:TIDIG_COMP_CNT: 0
; COMPUTE_PGM_RSRC3_GFX90A:ACCUM_OFFSET: 0
; COMPUTE_PGM_RSRC3_GFX90A:TG_SPLIT: 0
	.section	.text._ZN7rocprim17ROCPRIM_400000_NS6detail17trampoline_kernelINS0_13select_configILj256ELj13ELNS0_17block_load_methodE3ELS4_3ELS4_3ELNS0_20block_scan_algorithmE0ELj4294967295EEENS1_25partition_config_selectorILNS1_17partition_subalgoE4EjNS0_10empty_typeEbEEZZNS1_14partition_implILS8_4ELb0ES6_15HIP_vector_typeIjLj2EENS0_17counting_iteratorIjlEEPS9_SG_NS0_5tupleIJPjSI_NS0_16reverse_iteratorISI_EEEEENSH_IJSG_SG_SG_EEES9_SI_JZNS1_25segmented_radix_sort_implINS0_14default_configELb1EPKsPsPKlPlN2at6native12_GLOBAL__N_18offset_tEEE10hipError_tPvRmT1_PNSt15iterator_traitsIS12_E10value_typeET2_T3_PNS13_IS18_E10value_typeET4_jRbjT5_S1E_jjP12ihipStream_tbEUljE_ZNSN_ISO_Lb1ESQ_SR_ST_SU_SY_EESZ_S10_S11_S12_S16_S17_S18_S1B_S1C_jS1D_jS1E_S1E_jjS1G_bEUljE0_EEESZ_S10_S11_S18_S1C_S1E_T6_T7_T9_mT8_S1G_bDpT10_ENKUlT_T0_E_clISt17integral_constantIbLb1EES1T_IbLb0EEEEDaS1P_S1Q_EUlS1P_E_NS1_11comp_targetILNS1_3genE8ELNS1_11target_archE1030ELNS1_3gpuE2ELNS1_3repE0EEENS1_30default_config_static_selectorELNS0_4arch9wavefront6targetE1EEEvS12_,"axG",@progbits,_ZN7rocprim17ROCPRIM_400000_NS6detail17trampoline_kernelINS0_13select_configILj256ELj13ELNS0_17block_load_methodE3ELS4_3ELS4_3ELNS0_20block_scan_algorithmE0ELj4294967295EEENS1_25partition_config_selectorILNS1_17partition_subalgoE4EjNS0_10empty_typeEbEEZZNS1_14partition_implILS8_4ELb0ES6_15HIP_vector_typeIjLj2EENS0_17counting_iteratorIjlEEPS9_SG_NS0_5tupleIJPjSI_NS0_16reverse_iteratorISI_EEEEENSH_IJSG_SG_SG_EEES9_SI_JZNS1_25segmented_radix_sort_implINS0_14default_configELb1EPKsPsPKlPlN2at6native12_GLOBAL__N_18offset_tEEE10hipError_tPvRmT1_PNSt15iterator_traitsIS12_E10value_typeET2_T3_PNS13_IS18_E10value_typeET4_jRbjT5_S1E_jjP12ihipStream_tbEUljE_ZNSN_ISO_Lb1ESQ_SR_ST_SU_SY_EESZ_S10_S11_S12_S16_S17_S18_S1B_S1C_jS1D_jS1E_S1E_jjS1G_bEUljE0_EEESZ_S10_S11_S18_S1C_S1E_T6_T7_T9_mT8_S1G_bDpT10_ENKUlT_T0_E_clISt17integral_constantIbLb1EES1T_IbLb0EEEEDaS1P_S1Q_EUlS1P_E_NS1_11comp_targetILNS1_3genE8ELNS1_11target_archE1030ELNS1_3gpuE2ELNS1_3repE0EEENS1_30default_config_static_selectorELNS0_4arch9wavefront6targetE1EEEvS12_,comdat
	.globl	_ZN7rocprim17ROCPRIM_400000_NS6detail17trampoline_kernelINS0_13select_configILj256ELj13ELNS0_17block_load_methodE3ELS4_3ELS4_3ELNS0_20block_scan_algorithmE0ELj4294967295EEENS1_25partition_config_selectorILNS1_17partition_subalgoE4EjNS0_10empty_typeEbEEZZNS1_14partition_implILS8_4ELb0ES6_15HIP_vector_typeIjLj2EENS0_17counting_iteratorIjlEEPS9_SG_NS0_5tupleIJPjSI_NS0_16reverse_iteratorISI_EEEEENSH_IJSG_SG_SG_EEES9_SI_JZNS1_25segmented_radix_sort_implINS0_14default_configELb1EPKsPsPKlPlN2at6native12_GLOBAL__N_18offset_tEEE10hipError_tPvRmT1_PNSt15iterator_traitsIS12_E10value_typeET2_T3_PNS13_IS18_E10value_typeET4_jRbjT5_S1E_jjP12ihipStream_tbEUljE_ZNSN_ISO_Lb1ESQ_SR_ST_SU_SY_EESZ_S10_S11_S12_S16_S17_S18_S1B_S1C_jS1D_jS1E_S1E_jjS1G_bEUljE0_EEESZ_S10_S11_S18_S1C_S1E_T6_T7_T9_mT8_S1G_bDpT10_ENKUlT_T0_E_clISt17integral_constantIbLb1EES1T_IbLb0EEEEDaS1P_S1Q_EUlS1P_E_NS1_11comp_targetILNS1_3genE8ELNS1_11target_archE1030ELNS1_3gpuE2ELNS1_3repE0EEENS1_30default_config_static_selectorELNS0_4arch9wavefront6targetE1EEEvS12_ ; -- Begin function _ZN7rocprim17ROCPRIM_400000_NS6detail17trampoline_kernelINS0_13select_configILj256ELj13ELNS0_17block_load_methodE3ELS4_3ELS4_3ELNS0_20block_scan_algorithmE0ELj4294967295EEENS1_25partition_config_selectorILNS1_17partition_subalgoE4EjNS0_10empty_typeEbEEZZNS1_14partition_implILS8_4ELb0ES6_15HIP_vector_typeIjLj2EENS0_17counting_iteratorIjlEEPS9_SG_NS0_5tupleIJPjSI_NS0_16reverse_iteratorISI_EEEEENSH_IJSG_SG_SG_EEES9_SI_JZNS1_25segmented_radix_sort_implINS0_14default_configELb1EPKsPsPKlPlN2at6native12_GLOBAL__N_18offset_tEEE10hipError_tPvRmT1_PNSt15iterator_traitsIS12_E10value_typeET2_T3_PNS13_IS18_E10value_typeET4_jRbjT5_S1E_jjP12ihipStream_tbEUljE_ZNSN_ISO_Lb1ESQ_SR_ST_SU_SY_EESZ_S10_S11_S12_S16_S17_S18_S1B_S1C_jS1D_jS1E_S1E_jjS1G_bEUljE0_EEESZ_S10_S11_S18_S1C_S1E_T6_T7_T9_mT8_S1G_bDpT10_ENKUlT_T0_E_clISt17integral_constantIbLb1EES1T_IbLb0EEEEDaS1P_S1Q_EUlS1P_E_NS1_11comp_targetILNS1_3genE8ELNS1_11target_archE1030ELNS1_3gpuE2ELNS1_3repE0EEENS1_30default_config_static_selectorELNS0_4arch9wavefront6targetE1EEEvS12_
	.p2align	8
	.type	_ZN7rocprim17ROCPRIM_400000_NS6detail17trampoline_kernelINS0_13select_configILj256ELj13ELNS0_17block_load_methodE3ELS4_3ELS4_3ELNS0_20block_scan_algorithmE0ELj4294967295EEENS1_25partition_config_selectorILNS1_17partition_subalgoE4EjNS0_10empty_typeEbEEZZNS1_14partition_implILS8_4ELb0ES6_15HIP_vector_typeIjLj2EENS0_17counting_iteratorIjlEEPS9_SG_NS0_5tupleIJPjSI_NS0_16reverse_iteratorISI_EEEEENSH_IJSG_SG_SG_EEES9_SI_JZNS1_25segmented_radix_sort_implINS0_14default_configELb1EPKsPsPKlPlN2at6native12_GLOBAL__N_18offset_tEEE10hipError_tPvRmT1_PNSt15iterator_traitsIS12_E10value_typeET2_T3_PNS13_IS18_E10value_typeET4_jRbjT5_S1E_jjP12ihipStream_tbEUljE_ZNSN_ISO_Lb1ESQ_SR_ST_SU_SY_EESZ_S10_S11_S12_S16_S17_S18_S1B_S1C_jS1D_jS1E_S1E_jjS1G_bEUljE0_EEESZ_S10_S11_S18_S1C_S1E_T6_T7_T9_mT8_S1G_bDpT10_ENKUlT_T0_E_clISt17integral_constantIbLb1EES1T_IbLb0EEEEDaS1P_S1Q_EUlS1P_E_NS1_11comp_targetILNS1_3genE8ELNS1_11target_archE1030ELNS1_3gpuE2ELNS1_3repE0EEENS1_30default_config_static_selectorELNS0_4arch9wavefront6targetE1EEEvS12_,@function
_ZN7rocprim17ROCPRIM_400000_NS6detail17trampoline_kernelINS0_13select_configILj256ELj13ELNS0_17block_load_methodE3ELS4_3ELS4_3ELNS0_20block_scan_algorithmE0ELj4294967295EEENS1_25partition_config_selectorILNS1_17partition_subalgoE4EjNS0_10empty_typeEbEEZZNS1_14partition_implILS8_4ELb0ES6_15HIP_vector_typeIjLj2EENS0_17counting_iteratorIjlEEPS9_SG_NS0_5tupleIJPjSI_NS0_16reverse_iteratorISI_EEEEENSH_IJSG_SG_SG_EEES9_SI_JZNS1_25segmented_radix_sort_implINS0_14default_configELb1EPKsPsPKlPlN2at6native12_GLOBAL__N_18offset_tEEE10hipError_tPvRmT1_PNSt15iterator_traitsIS12_E10value_typeET2_T3_PNS13_IS18_E10value_typeET4_jRbjT5_S1E_jjP12ihipStream_tbEUljE_ZNSN_ISO_Lb1ESQ_SR_ST_SU_SY_EESZ_S10_S11_S12_S16_S17_S18_S1B_S1C_jS1D_jS1E_S1E_jjS1G_bEUljE0_EEESZ_S10_S11_S18_S1C_S1E_T6_T7_T9_mT8_S1G_bDpT10_ENKUlT_T0_E_clISt17integral_constantIbLb1EES1T_IbLb0EEEEDaS1P_S1Q_EUlS1P_E_NS1_11comp_targetILNS1_3genE8ELNS1_11target_archE1030ELNS1_3gpuE2ELNS1_3repE0EEENS1_30default_config_static_selectorELNS0_4arch9wavefront6targetE1EEEvS12_: ; @_ZN7rocprim17ROCPRIM_400000_NS6detail17trampoline_kernelINS0_13select_configILj256ELj13ELNS0_17block_load_methodE3ELS4_3ELS4_3ELNS0_20block_scan_algorithmE0ELj4294967295EEENS1_25partition_config_selectorILNS1_17partition_subalgoE4EjNS0_10empty_typeEbEEZZNS1_14partition_implILS8_4ELb0ES6_15HIP_vector_typeIjLj2EENS0_17counting_iteratorIjlEEPS9_SG_NS0_5tupleIJPjSI_NS0_16reverse_iteratorISI_EEEEENSH_IJSG_SG_SG_EEES9_SI_JZNS1_25segmented_radix_sort_implINS0_14default_configELb1EPKsPsPKlPlN2at6native12_GLOBAL__N_18offset_tEEE10hipError_tPvRmT1_PNSt15iterator_traitsIS12_E10value_typeET2_T3_PNS13_IS18_E10value_typeET4_jRbjT5_S1E_jjP12ihipStream_tbEUljE_ZNSN_ISO_Lb1ESQ_SR_ST_SU_SY_EESZ_S10_S11_S12_S16_S17_S18_S1B_S1C_jS1D_jS1E_S1E_jjS1G_bEUljE0_EEESZ_S10_S11_S18_S1C_S1E_T6_T7_T9_mT8_S1G_bDpT10_ENKUlT_T0_E_clISt17integral_constantIbLb1EES1T_IbLb0EEEEDaS1P_S1Q_EUlS1P_E_NS1_11comp_targetILNS1_3genE8ELNS1_11target_archE1030ELNS1_3gpuE2ELNS1_3repE0EEENS1_30default_config_static_selectorELNS0_4arch9wavefront6targetE1EEEvS12_
; %bb.0:
	.section	.rodata,"a",@progbits
	.p2align	6, 0x0
	.amdhsa_kernel _ZN7rocprim17ROCPRIM_400000_NS6detail17trampoline_kernelINS0_13select_configILj256ELj13ELNS0_17block_load_methodE3ELS4_3ELS4_3ELNS0_20block_scan_algorithmE0ELj4294967295EEENS1_25partition_config_selectorILNS1_17partition_subalgoE4EjNS0_10empty_typeEbEEZZNS1_14partition_implILS8_4ELb0ES6_15HIP_vector_typeIjLj2EENS0_17counting_iteratorIjlEEPS9_SG_NS0_5tupleIJPjSI_NS0_16reverse_iteratorISI_EEEEENSH_IJSG_SG_SG_EEES9_SI_JZNS1_25segmented_radix_sort_implINS0_14default_configELb1EPKsPsPKlPlN2at6native12_GLOBAL__N_18offset_tEEE10hipError_tPvRmT1_PNSt15iterator_traitsIS12_E10value_typeET2_T3_PNS13_IS18_E10value_typeET4_jRbjT5_S1E_jjP12ihipStream_tbEUljE_ZNSN_ISO_Lb1ESQ_SR_ST_SU_SY_EESZ_S10_S11_S12_S16_S17_S18_S1B_S1C_jS1D_jS1E_S1E_jjS1G_bEUljE0_EEESZ_S10_S11_S18_S1C_S1E_T6_T7_T9_mT8_S1G_bDpT10_ENKUlT_T0_E_clISt17integral_constantIbLb1EES1T_IbLb0EEEEDaS1P_S1Q_EUlS1P_E_NS1_11comp_targetILNS1_3genE8ELNS1_11target_archE1030ELNS1_3gpuE2ELNS1_3repE0EEENS1_30default_config_static_selectorELNS0_4arch9wavefront6targetE1EEEvS12_
		.amdhsa_group_segment_fixed_size 0
		.amdhsa_private_segment_fixed_size 0
		.amdhsa_kernarg_size 176
		.amdhsa_user_sgpr_count 6
		.amdhsa_user_sgpr_private_segment_buffer 1
		.amdhsa_user_sgpr_dispatch_ptr 0
		.amdhsa_user_sgpr_queue_ptr 0
		.amdhsa_user_sgpr_kernarg_segment_ptr 1
		.amdhsa_user_sgpr_dispatch_id 0
		.amdhsa_user_sgpr_flat_scratch_init 0
		.amdhsa_user_sgpr_kernarg_preload_length 0
		.amdhsa_user_sgpr_kernarg_preload_offset 0
		.amdhsa_user_sgpr_private_segment_size 0
		.amdhsa_uses_dynamic_stack 0
		.amdhsa_system_sgpr_private_segment_wavefront_offset 0
		.amdhsa_system_sgpr_workgroup_id_x 1
		.amdhsa_system_sgpr_workgroup_id_y 0
		.amdhsa_system_sgpr_workgroup_id_z 0
		.amdhsa_system_sgpr_workgroup_info 0
		.amdhsa_system_vgpr_workitem_id 0
		.amdhsa_next_free_vgpr 1
		.amdhsa_next_free_sgpr 0
		.amdhsa_accum_offset 4
		.amdhsa_reserve_vcc 0
		.amdhsa_reserve_flat_scratch 0
		.amdhsa_float_round_mode_32 0
		.amdhsa_float_round_mode_16_64 0
		.amdhsa_float_denorm_mode_32 3
		.amdhsa_float_denorm_mode_16_64 3
		.amdhsa_dx10_clamp 1
		.amdhsa_ieee_mode 1
		.amdhsa_fp16_overflow 0
		.amdhsa_tg_split 0
		.amdhsa_exception_fp_ieee_invalid_op 0
		.amdhsa_exception_fp_denorm_src 0
		.amdhsa_exception_fp_ieee_div_zero 0
		.amdhsa_exception_fp_ieee_overflow 0
		.amdhsa_exception_fp_ieee_underflow 0
		.amdhsa_exception_fp_ieee_inexact 0
		.amdhsa_exception_int_div_zero 0
	.end_amdhsa_kernel
	.section	.text._ZN7rocprim17ROCPRIM_400000_NS6detail17trampoline_kernelINS0_13select_configILj256ELj13ELNS0_17block_load_methodE3ELS4_3ELS4_3ELNS0_20block_scan_algorithmE0ELj4294967295EEENS1_25partition_config_selectorILNS1_17partition_subalgoE4EjNS0_10empty_typeEbEEZZNS1_14partition_implILS8_4ELb0ES6_15HIP_vector_typeIjLj2EENS0_17counting_iteratorIjlEEPS9_SG_NS0_5tupleIJPjSI_NS0_16reverse_iteratorISI_EEEEENSH_IJSG_SG_SG_EEES9_SI_JZNS1_25segmented_radix_sort_implINS0_14default_configELb1EPKsPsPKlPlN2at6native12_GLOBAL__N_18offset_tEEE10hipError_tPvRmT1_PNSt15iterator_traitsIS12_E10value_typeET2_T3_PNS13_IS18_E10value_typeET4_jRbjT5_S1E_jjP12ihipStream_tbEUljE_ZNSN_ISO_Lb1ESQ_SR_ST_SU_SY_EESZ_S10_S11_S12_S16_S17_S18_S1B_S1C_jS1D_jS1E_S1E_jjS1G_bEUljE0_EEESZ_S10_S11_S18_S1C_S1E_T6_T7_T9_mT8_S1G_bDpT10_ENKUlT_T0_E_clISt17integral_constantIbLb1EES1T_IbLb0EEEEDaS1P_S1Q_EUlS1P_E_NS1_11comp_targetILNS1_3genE8ELNS1_11target_archE1030ELNS1_3gpuE2ELNS1_3repE0EEENS1_30default_config_static_selectorELNS0_4arch9wavefront6targetE1EEEvS12_,"axG",@progbits,_ZN7rocprim17ROCPRIM_400000_NS6detail17trampoline_kernelINS0_13select_configILj256ELj13ELNS0_17block_load_methodE3ELS4_3ELS4_3ELNS0_20block_scan_algorithmE0ELj4294967295EEENS1_25partition_config_selectorILNS1_17partition_subalgoE4EjNS0_10empty_typeEbEEZZNS1_14partition_implILS8_4ELb0ES6_15HIP_vector_typeIjLj2EENS0_17counting_iteratorIjlEEPS9_SG_NS0_5tupleIJPjSI_NS0_16reverse_iteratorISI_EEEEENSH_IJSG_SG_SG_EEES9_SI_JZNS1_25segmented_radix_sort_implINS0_14default_configELb1EPKsPsPKlPlN2at6native12_GLOBAL__N_18offset_tEEE10hipError_tPvRmT1_PNSt15iterator_traitsIS12_E10value_typeET2_T3_PNS13_IS18_E10value_typeET4_jRbjT5_S1E_jjP12ihipStream_tbEUljE_ZNSN_ISO_Lb1ESQ_SR_ST_SU_SY_EESZ_S10_S11_S12_S16_S17_S18_S1B_S1C_jS1D_jS1E_S1E_jjS1G_bEUljE0_EEESZ_S10_S11_S18_S1C_S1E_T6_T7_T9_mT8_S1G_bDpT10_ENKUlT_T0_E_clISt17integral_constantIbLb1EES1T_IbLb0EEEEDaS1P_S1Q_EUlS1P_E_NS1_11comp_targetILNS1_3genE8ELNS1_11target_archE1030ELNS1_3gpuE2ELNS1_3repE0EEENS1_30default_config_static_selectorELNS0_4arch9wavefront6targetE1EEEvS12_,comdat
.Lfunc_end870:
	.size	_ZN7rocprim17ROCPRIM_400000_NS6detail17trampoline_kernelINS0_13select_configILj256ELj13ELNS0_17block_load_methodE3ELS4_3ELS4_3ELNS0_20block_scan_algorithmE0ELj4294967295EEENS1_25partition_config_selectorILNS1_17partition_subalgoE4EjNS0_10empty_typeEbEEZZNS1_14partition_implILS8_4ELb0ES6_15HIP_vector_typeIjLj2EENS0_17counting_iteratorIjlEEPS9_SG_NS0_5tupleIJPjSI_NS0_16reverse_iteratorISI_EEEEENSH_IJSG_SG_SG_EEES9_SI_JZNS1_25segmented_radix_sort_implINS0_14default_configELb1EPKsPsPKlPlN2at6native12_GLOBAL__N_18offset_tEEE10hipError_tPvRmT1_PNSt15iterator_traitsIS12_E10value_typeET2_T3_PNS13_IS18_E10value_typeET4_jRbjT5_S1E_jjP12ihipStream_tbEUljE_ZNSN_ISO_Lb1ESQ_SR_ST_SU_SY_EESZ_S10_S11_S12_S16_S17_S18_S1B_S1C_jS1D_jS1E_S1E_jjS1G_bEUljE0_EEESZ_S10_S11_S18_S1C_S1E_T6_T7_T9_mT8_S1G_bDpT10_ENKUlT_T0_E_clISt17integral_constantIbLb1EES1T_IbLb0EEEEDaS1P_S1Q_EUlS1P_E_NS1_11comp_targetILNS1_3genE8ELNS1_11target_archE1030ELNS1_3gpuE2ELNS1_3repE0EEENS1_30default_config_static_selectorELNS0_4arch9wavefront6targetE1EEEvS12_, .Lfunc_end870-_ZN7rocprim17ROCPRIM_400000_NS6detail17trampoline_kernelINS0_13select_configILj256ELj13ELNS0_17block_load_methodE3ELS4_3ELS4_3ELNS0_20block_scan_algorithmE0ELj4294967295EEENS1_25partition_config_selectorILNS1_17partition_subalgoE4EjNS0_10empty_typeEbEEZZNS1_14partition_implILS8_4ELb0ES6_15HIP_vector_typeIjLj2EENS0_17counting_iteratorIjlEEPS9_SG_NS0_5tupleIJPjSI_NS0_16reverse_iteratorISI_EEEEENSH_IJSG_SG_SG_EEES9_SI_JZNS1_25segmented_radix_sort_implINS0_14default_configELb1EPKsPsPKlPlN2at6native12_GLOBAL__N_18offset_tEEE10hipError_tPvRmT1_PNSt15iterator_traitsIS12_E10value_typeET2_T3_PNS13_IS18_E10value_typeET4_jRbjT5_S1E_jjP12ihipStream_tbEUljE_ZNSN_ISO_Lb1ESQ_SR_ST_SU_SY_EESZ_S10_S11_S12_S16_S17_S18_S1B_S1C_jS1D_jS1E_S1E_jjS1G_bEUljE0_EEESZ_S10_S11_S18_S1C_S1E_T6_T7_T9_mT8_S1G_bDpT10_ENKUlT_T0_E_clISt17integral_constantIbLb1EES1T_IbLb0EEEEDaS1P_S1Q_EUlS1P_E_NS1_11comp_targetILNS1_3genE8ELNS1_11target_archE1030ELNS1_3gpuE2ELNS1_3repE0EEENS1_30default_config_static_selectorELNS0_4arch9wavefront6targetE1EEEvS12_
                                        ; -- End function
	.section	.AMDGPU.csdata,"",@progbits
; Kernel info:
; codeLenInByte = 0
; NumSgprs: 4
; NumVgprs: 0
; NumAgprs: 0
; TotalNumVgprs: 0
; ScratchSize: 0
; MemoryBound: 0
; FloatMode: 240
; IeeeMode: 1
; LDSByteSize: 0 bytes/workgroup (compile time only)
; SGPRBlocks: 0
; VGPRBlocks: 0
; NumSGPRsForWavesPerEU: 4
; NumVGPRsForWavesPerEU: 1
; AccumOffset: 4
; Occupancy: 8
; WaveLimiterHint : 0
; COMPUTE_PGM_RSRC2:SCRATCH_EN: 0
; COMPUTE_PGM_RSRC2:USER_SGPR: 6
; COMPUTE_PGM_RSRC2:TRAP_HANDLER: 0
; COMPUTE_PGM_RSRC2:TGID_X_EN: 1
; COMPUTE_PGM_RSRC2:TGID_Y_EN: 0
; COMPUTE_PGM_RSRC2:TGID_Z_EN: 0
; COMPUTE_PGM_RSRC2:TIDIG_COMP_CNT: 0
; COMPUTE_PGM_RSRC3_GFX90A:ACCUM_OFFSET: 0
; COMPUTE_PGM_RSRC3_GFX90A:TG_SPLIT: 0
	.section	.text._ZN7rocprim17ROCPRIM_400000_NS6detail17trampoline_kernelINS0_13select_configILj256ELj13ELNS0_17block_load_methodE3ELS4_3ELS4_3ELNS0_20block_scan_algorithmE0ELj4294967295EEENS1_25partition_config_selectorILNS1_17partition_subalgoE4EjNS0_10empty_typeEbEEZZNS1_14partition_implILS8_4ELb0ES6_15HIP_vector_typeIjLj2EENS0_17counting_iteratorIjlEEPS9_SG_NS0_5tupleIJPjSI_NS0_16reverse_iteratorISI_EEEEENSH_IJSG_SG_SG_EEES9_SI_JZNS1_25segmented_radix_sort_implINS0_14default_configELb1EPKsPsPKlPlN2at6native12_GLOBAL__N_18offset_tEEE10hipError_tPvRmT1_PNSt15iterator_traitsIS12_E10value_typeET2_T3_PNS13_IS18_E10value_typeET4_jRbjT5_S1E_jjP12ihipStream_tbEUljE_ZNSN_ISO_Lb1ESQ_SR_ST_SU_SY_EESZ_S10_S11_S12_S16_S17_S18_S1B_S1C_jS1D_jS1E_S1E_jjS1G_bEUljE0_EEESZ_S10_S11_S18_S1C_S1E_T6_T7_T9_mT8_S1G_bDpT10_ENKUlT_T0_E_clISt17integral_constantIbLb0EES1T_IbLb1EEEEDaS1P_S1Q_EUlS1P_E_NS1_11comp_targetILNS1_3genE0ELNS1_11target_archE4294967295ELNS1_3gpuE0ELNS1_3repE0EEENS1_30default_config_static_selectorELNS0_4arch9wavefront6targetE1EEEvS12_,"axG",@progbits,_ZN7rocprim17ROCPRIM_400000_NS6detail17trampoline_kernelINS0_13select_configILj256ELj13ELNS0_17block_load_methodE3ELS4_3ELS4_3ELNS0_20block_scan_algorithmE0ELj4294967295EEENS1_25partition_config_selectorILNS1_17partition_subalgoE4EjNS0_10empty_typeEbEEZZNS1_14partition_implILS8_4ELb0ES6_15HIP_vector_typeIjLj2EENS0_17counting_iteratorIjlEEPS9_SG_NS0_5tupleIJPjSI_NS0_16reverse_iteratorISI_EEEEENSH_IJSG_SG_SG_EEES9_SI_JZNS1_25segmented_radix_sort_implINS0_14default_configELb1EPKsPsPKlPlN2at6native12_GLOBAL__N_18offset_tEEE10hipError_tPvRmT1_PNSt15iterator_traitsIS12_E10value_typeET2_T3_PNS13_IS18_E10value_typeET4_jRbjT5_S1E_jjP12ihipStream_tbEUljE_ZNSN_ISO_Lb1ESQ_SR_ST_SU_SY_EESZ_S10_S11_S12_S16_S17_S18_S1B_S1C_jS1D_jS1E_S1E_jjS1G_bEUljE0_EEESZ_S10_S11_S18_S1C_S1E_T6_T7_T9_mT8_S1G_bDpT10_ENKUlT_T0_E_clISt17integral_constantIbLb0EES1T_IbLb1EEEEDaS1P_S1Q_EUlS1P_E_NS1_11comp_targetILNS1_3genE0ELNS1_11target_archE4294967295ELNS1_3gpuE0ELNS1_3repE0EEENS1_30default_config_static_selectorELNS0_4arch9wavefront6targetE1EEEvS12_,comdat
	.globl	_ZN7rocprim17ROCPRIM_400000_NS6detail17trampoline_kernelINS0_13select_configILj256ELj13ELNS0_17block_load_methodE3ELS4_3ELS4_3ELNS0_20block_scan_algorithmE0ELj4294967295EEENS1_25partition_config_selectorILNS1_17partition_subalgoE4EjNS0_10empty_typeEbEEZZNS1_14partition_implILS8_4ELb0ES6_15HIP_vector_typeIjLj2EENS0_17counting_iteratorIjlEEPS9_SG_NS0_5tupleIJPjSI_NS0_16reverse_iteratorISI_EEEEENSH_IJSG_SG_SG_EEES9_SI_JZNS1_25segmented_radix_sort_implINS0_14default_configELb1EPKsPsPKlPlN2at6native12_GLOBAL__N_18offset_tEEE10hipError_tPvRmT1_PNSt15iterator_traitsIS12_E10value_typeET2_T3_PNS13_IS18_E10value_typeET4_jRbjT5_S1E_jjP12ihipStream_tbEUljE_ZNSN_ISO_Lb1ESQ_SR_ST_SU_SY_EESZ_S10_S11_S12_S16_S17_S18_S1B_S1C_jS1D_jS1E_S1E_jjS1G_bEUljE0_EEESZ_S10_S11_S18_S1C_S1E_T6_T7_T9_mT8_S1G_bDpT10_ENKUlT_T0_E_clISt17integral_constantIbLb0EES1T_IbLb1EEEEDaS1P_S1Q_EUlS1P_E_NS1_11comp_targetILNS1_3genE0ELNS1_11target_archE4294967295ELNS1_3gpuE0ELNS1_3repE0EEENS1_30default_config_static_selectorELNS0_4arch9wavefront6targetE1EEEvS12_ ; -- Begin function _ZN7rocprim17ROCPRIM_400000_NS6detail17trampoline_kernelINS0_13select_configILj256ELj13ELNS0_17block_load_methodE3ELS4_3ELS4_3ELNS0_20block_scan_algorithmE0ELj4294967295EEENS1_25partition_config_selectorILNS1_17partition_subalgoE4EjNS0_10empty_typeEbEEZZNS1_14partition_implILS8_4ELb0ES6_15HIP_vector_typeIjLj2EENS0_17counting_iteratorIjlEEPS9_SG_NS0_5tupleIJPjSI_NS0_16reverse_iteratorISI_EEEEENSH_IJSG_SG_SG_EEES9_SI_JZNS1_25segmented_radix_sort_implINS0_14default_configELb1EPKsPsPKlPlN2at6native12_GLOBAL__N_18offset_tEEE10hipError_tPvRmT1_PNSt15iterator_traitsIS12_E10value_typeET2_T3_PNS13_IS18_E10value_typeET4_jRbjT5_S1E_jjP12ihipStream_tbEUljE_ZNSN_ISO_Lb1ESQ_SR_ST_SU_SY_EESZ_S10_S11_S12_S16_S17_S18_S1B_S1C_jS1D_jS1E_S1E_jjS1G_bEUljE0_EEESZ_S10_S11_S18_S1C_S1E_T6_T7_T9_mT8_S1G_bDpT10_ENKUlT_T0_E_clISt17integral_constantIbLb0EES1T_IbLb1EEEEDaS1P_S1Q_EUlS1P_E_NS1_11comp_targetILNS1_3genE0ELNS1_11target_archE4294967295ELNS1_3gpuE0ELNS1_3repE0EEENS1_30default_config_static_selectorELNS0_4arch9wavefront6targetE1EEEvS12_
	.p2align	8
	.type	_ZN7rocprim17ROCPRIM_400000_NS6detail17trampoline_kernelINS0_13select_configILj256ELj13ELNS0_17block_load_methodE3ELS4_3ELS4_3ELNS0_20block_scan_algorithmE0ELj4294967295EEENS1_25partition_config_selectorILNS1_17partition_subalgoE4EjNS0_10empty_typeEbEEZZNS1_14partition_implILS8_4ELb0ES6_15HIP_vector_typeIjLj2EENS0_17counting_iteratorIjlEEPS9_SG_NS0_5tupleIJPjSI_NS0_16reverse_iteratorISI_EEEEENSH_IJSG_SG_SG_EEES9_SI_JZNS1_25segmented_radix_sort_implINS0_14default_configELb1EPKsPsPKlPlN2at6native12_GLOBAL__N_18offset_tEEE10hipError_tPvRmT1_PNSt15iterator_traitsIS12_E10value_typeET2_T3_PNS13_IS18_E10value_typeET4_jRbjT5_S1E_jjP12ihipStream_tbEUljE_ZNSN_ISO_Lb1ESQ_SR_ST_SU_SY_EESZ_S10_S11_S12_S16_S17_S18_S1B_S1C_jS1D_jS1E_S1E_jjS1G_bEUljE0_EEESZ_S10_S11_S18_S1C_S1E_T6_T7_T9_mT8_S1G_bDpT10_ENKUlT_T0_E_clISt17integral_constantIbLb0EES1T_IbLb1EEEEDaS1P_S1Q_EUlS1P_E_NS1_11comp_targetILNS1_3genE0ELNS1_11target_archE4294967295ELNS1_3gpuE0ELNS1_3repE0EEENS1_30default_config_static_selectorELNS0_4arch9wavefront6targetE1EEEvS12_,@function
_ZN7rocprim17ROCPRIM_400000_NS6detail17trampoline_kernelINS0_13select_configILj256ELj13ELNS0_17block_load_methodE3ELS4_3ELS4_3ELNS0_20block_scan_algorithmE0ELj4294967295EEENS1_25partition_config_selectorILNS1_17partition_subalgoE4EjNS0_10empty_typeEbEEZZNS1_14partition_implILS8_4ELb0ES6_15HIP_vector_typeIjLj2EENS0_17counting_iteratorIjlEEPS9_SG_NS0_5tupleIJPjSI_NS0_16reverse_iteratorISI_EEEEENSH_IJSG_SG_SG_EEES9_SI_JZNS1_25segmented_radix_sort_implINS0_14default_configELb1EPKsPsPKlPlN2at6native12_GLOBAL__N_18offset_tEEE10hipError_tPvRmT1_PNSt15iterator_traitsIS12_E10value_typeET2_T3_PNS13_IS18_E10value_typeET4_jRbjT5_S1E_jjP12ihipStream_tbEUljE_ZNSN_ISO_Lb1ESQ_SR_ST_SU_SY_EESZ_S10_S11_S12_S16_S17_S18_S1B_S1C_jS1D_jS1E_S1E_jjS1G_bEUljE0_EEESZ_S10_S11_S18_S1C_S1E_T6_T7_T9_mT8_S1G_bDpT10_ENKUlT_T0_E_clISt17integral_constantIbLb0EES1T_IbLb1EEEEDaS1P_S1Q_EUlS1P_E_NS1_11comp_targetILNS1_3genE0ELNS1_11target_archE4294967295ELNS1_3gpuE0ELNS1_3repE0EEENS1_30default_config_static_selectorELNS0_4arch9wavefront6targetE1EEEvS12_: ; @_ZN7rocprim17ROCPRIM_400000_NS6detail17trampoline_kernelINS0_13select_configILj256ELj13ELNS0_17block_load_methodE3ELS4_3ELS4_3ELNS0_20block_scan_algorithmE0ELj4294967295EEENS1_25partition_config_selectorILNS1_17partition_subalgoE4EjNS0_10empty_typeEbEEZZNS1_14partition_implILS8_4ELb0ES6_15HIP_vector_typeIjLj2EENS0_17counting_iteratorIjlEEPS9_SG_NS0_5tupleIJPjSI_NS0_16reverse_iteratorISI_EEEEENSH_IJSG_SG_SG_EEES9_SI_JZNS1_25segmented_radix_sort_implINS0_14default_configELb1EPKsPsPKlPlN2at6native12_GLOBAL__N_18offset_tEEE10hipError_tPvRmT1_PNSt15iterator_traitsIS12_E10value_typeET2_T3_PNS13_IS18_E10value_typeET4_jRbjT5_S1E_jjP12ihipStream_tbEUljE_ZNSN_ISO_Lb1ESQ_SR_ST_SU_SY_EESZ_S10_S11_S12_S16_S17_S18_S1B_S1C_jS1D_jS1E_S1E_jjS1G_bEUljE0_EEESZ_S10_S11_S18_S1C_S1E_T6_T7_T9_mT8_S1G_bDpT10_ENKUlT_T0_E_clISt17integral_constantIbLb0EES1T_IbLb1EEEEDaS1P_S1Q_EUlS1P_E_NS1_11comp_targetILNS1_3genE0ELNS1_11target_archE4294967295ELNS1_3gpuE0ELNS1_3repE0EEENS1_30default_config_static_selectorELNS0_4arch9wavefront6targetE1EEEvS12_
; %bb.0:
	.section	.rodata,"a",@progbits
	.p2align	6, 0x0
	.amdhsa_kernel _ZN7rocprim17ROCPRIM_400000_NS6detail17trampoline_kernelINS0_13select_configILj256ELj13ELNS0_17block_load_methodE3ELS4_3ELS4_3ELNS0_20block_scan_algorithmE0ELj4294967295EEENS1_25partition_config_selectorILNS1_17partition_subalgoE4EjNS0_10empty_typeEbEEZZNS1_14partition_implILS8_4ELb0ES6_15HIP_vector_typeIjLj2EENS0_17counting_iteratorIjlEEPS9_SG_NS0_5tupleIJPjSI_NS0_16reverse_iteratorISI_EEEEENSH_IJSG_SG_SG_EEES9_SI_JZNS1_25segmented_radix_sort_implINS0_14default_configELb1EPKsPsPKlPlN2at6native12_GLOBAL__N_18offset_tEEE10hipError_tPvRmT1_PNSt15iterator_traitsIS12_E10value_typeET2_T3_PNS13_IS18_E10value_typeET4_jRbjT5_S1E_jjP12ihipStream_tbEUljE_ZNSN_ISO_Lb1ESQ_SR_ST_SU_SY_EESZ_S10_S11_S12_S16_S17_S18_S1B_S1C_jS1D_jS1E_S1E_jjS1G_bEUljE0_EEESZ_S10_S11_S18_S1C_S1E_T6_T7_T9_mT8_S1G_bDpT10_ENKUlT_T0_E_clISt17integral_constantIbLb0EES1T_IbLb1EEEEDaS1P_S1Q_EUlS1P_E_NS1_11comp_targetILNS1_3genE0ELNS1_11target_archE4294967295ELNS1_3gpuE0ELNS1_3repE0EEENS1_30default_config_static_selectorELNS0_4arch9wavefront6targetE1EEEvS12_
		.amdhsa_group_segment_fixed_size 0
		.amdhsa_private_segment_fixed_size 0
		.amdhsa_kernarg_size 184
		.amdhsa_user_sgpr_count 6
		.amdhsa_user_sgpr_private_segment_buffer 1
		.amdhsa_user_sgpr_dispatch_ptr 0
		.amdhsa_user_sgpr_queue_ptr 0
		.amdhsa_user_sgpr_kernarg_segment_ptr 1
		.amdhsa_user_sgpr_dispatch_id 0
		.amdhsa_user_sgpr_flat_scratch_init 0
		.amdhsa_user_sgpr_kernarg_preload_length 0
		.amdhsa_user_sgpr_kernarg_preload_offset 0
		.amdhsa_user_sgpr_private_segment_size 0
		.amdhsa_uses_dynamic_stack 0
		.amdhsa_system_sgpr_private_segment_wavefront_offset 0
		.amdhsa_system_sgpr_workgroup_id_x 1
		.amdhsa_system_sgpr_workgroup_id_y 0
		.amdhsa_system_sgpr_workgroup_id_z 0
		.amdhsa_system_sgpr_workgroup_info 0
		.amdhsa_system_vgpr_workitem_id 0
		.amdhsa_next_free_vgpr 1
		.amdhsa_next_free_sgpr 0
		.amdhsa_accum_offset 4
		.amdhsa_reserve_vcc 0
		.amdhsa_reserve_flat_scratch 0
		.amdhsa_float_round_mode_32 0
		.amdhsa_float_round_mode_16_64 0
		.amdhsa_float_denorm_mode_32 3
		.amdhsa_float_denorm_mode_16_64 3
		.amdhsa_dx10_clamp 1
		.amdhsa_ieee_mode 1
		.amdhsa_fp16_overflow 0
		.amdhsa_tg_split 0
		.amdhsa_exception_fp_ieee_invalid_op 0
		.amdhsa_exception_fp_denorm_src 0
		.amdhsa_exception_fp_ieee_div_zero 0
		.amdhsa_exception_fp_ieee_overflow 0
		.amdhsa_exception_fp_ieee_underflow 0
		.amdhsa_exception_fp_ieee_inexact 0
		.amdhsa_exception_int_div_zero 0
	.end_amdhsa_kernel
	.section	.text._ZN7rocprim17ROCPRIM_400000_NS6detail17trampoline_kernelINS0_13select_configILj256ELj13ELNS0_17block_load_methodE3ELS4_3ELS4_3ELNS0_20block_scan_algorithmE0ELj4294967295EEENS1_25partition_config_selectorILNS1_17partition_subalgoE4EjNS0_10empty_typeEbEEZZNS1_14partition_implILS8_4ELb0ES6_15HIP_vector_typeIjLj2EENS0_17counting_iteratorIjlEEPS9_SG_NS0_5tupleIJPjSI_NS0_16reverse_iteratorISI_EEEEENSH_IJSG_SG_SG_EEES9_SI_JZNS1_25segmented_radix_sort_implINS0_14default_configELb1EPKsPsPKlPlN2at6native12_GLOBAL__N_18offset_tEEE10hipError_tPvRmT1_PNSt15iterator_traitsIS12_E10value_typeET2_T3_PNS13_IS18_E10value_typeET4_jRbjT5_S1E_jjP12ihipStream_tbEUljE_ZNSN_ISO_Lb1ESQ_SR_ST_SU_SY_EESZ_S10_S11_S12_S16_S17_S18_S1B_S1C_jS1D_jS1E_S1E_jjS1G_bEUljE0_EEESZ_S10_S11_S18_S1C_S1E_T6_T7_T9_mT8_S1G_bDpT10_ENKUlT_T0_E_clISt17integral_constantIbLb0EES1T_IbLb1EEEEDaS1P_S1Q_EUlS1P_E_NS1_11comp_targetILNS1_3genE0ELNS1_11target_archE4294967295ELNS1_3gpuE0ELNS1_3repE0EEENS1_30default_config_static_selectorELNS0_4arch9wavefront6targetE1EEEvS12_,"axG",@progbits,_ZN7rocprim17ROCPRIM_400000_NS6detail17trampoline_kernelINS0_13select_configILj256ELj13ELNS0_17block_load_methodE3ELS4_3ELS4_3ELNS0_20block_scan_algorithmE0ELj4294967295EEENS1_25partition_config_selectorILNS1_17partition_subalgoE4EjNS0_10empty_typeEbEEZZNS1_14partition_implILS8_4ELb0ES6_15HIP_vector_typeIjLj2EENS0_17counting_iteratorIjlEEPS9_SG_NS0_5tupleIJPjSI_NS0_16reverse_iteratorISI_EEEEENSH_IJSG_SG_SG_EEES9_SI_JZNS1_25segmented_radix_sort_implINS0_14default_configELb1EPKsPsPKlPlN2at6native12_GLOBAL__N_18offset_tEEE10hipError_tPvRmT1_PNSt15iterator_traitsIS12_E10value_typeET2_T3_PNS13_IS18_E10value_typeET4_jRbjT5_S1E_jjP12ihipStream_tbEUljE_ZNSN_ISO_Lb1ESQ_SR_ST_SU_SY_EESZ_S10_S11_S12_S16_S17_S18_S1B_S1C_jS1D_jS1E_S1E_jjS1G_bEUljE0_EEESZ_S10_S11_S18_S1C_S1E_T6_T7_T9_mT8_S1G_bDpT10_ENKUlT_T0_E_clISt17integral_constantIbLb0EES1T_IbLb1EEEEDaS1P_S1Q_EUlS1P_E_NS1_11comp_targetILNS1_3genE0ELNS1_11target_archE4294967295ELNS1_3gpuE0ELNS1_3repE0EEENS1_30default_config_static_selectorELNS0_4arch9wavefront6targetE1EEEvS12_,comdat
.Lfunc_end871:
	.size	_ZN7rocprim17ROCPRIM_400000_NS6detail17trampoline_kernelINS0_13select_configILj256ELj13ELNS0_17block_load_methodE3ELS4_3ELS4_3ELNS0_20block_scan_algorithmE0ELj4294967295EEENS1_25partition_config_selectorILNS1_17partition_subalgoE4EjNS0_10empty_typeEbEEZZNS1_14partition_implILS8_4ELb0ES6_15HIP_vector_typeIjLj2EENS0_17counting_iteratorIjlEEPS9_SG_NS0_5tupleIJPjSI_NS0_16reverse_iteratorISI_EEEEENSH_IJSG_SG_SG_EEES9_SI_JZNS1_25segmented_radix_sort_implINS0_14default_configELb1EPKsPsPKlPlN2at6native12_GLOBAL__N_18offset_tEEE10hipError_tPvRmT1_PNSt15iterator_traitsIS12_E10value_typeET2_T3_PNS13_IS18_E10value_typeET4_jRbjT5_S1E_jjP12ihipStream_tbEUljE_ZNSN_ISO_Lb1ESQ_SR_ST_SU_SY_EESZ_S10_S11_S12_S16_S17_S18_S1B_S1C_jS1D_jS1E_S1E_jjS1G_bEUljE0_EEESZ_S10_S11_S18_S1C_S1E_T6_T7_T9_mT8_S1G_bDpT10_ENKUlT_T0_E_clISt17integral_constantIbLb0EES1T_IbLb1EEEEDaS1P_S1Q_EUlS1P_E_NS1_11comp_targetILNS1_3genE0ELNS1_11target_archE4294967295ELNS1_3gpuE0ELNS1_3repE0EEENS1_30default_config_static_selectorELNS0_4arch9wavefront6targetE1EEEvS12_, .Lfunc_end871-_ZN7rocprim17ROCPRIM_400000_NS6detail17trampoline_kernelINS0_13select_configILj256ELj13ELNS0_17block_load_methodE3ELS4_3ELS4_3ELNS0_20block_scan_algorithmE0ELj4294967295EEENS1_25partition_config_selectorILNS1_17partition_subalgoE4EjNS0_10empty_typeEbEEZZNS1_14partition_implILS8_4ELb0ES6_15HIP_vector_typeIjLj2EENS0_17counting_iteratorIjlEEPS9_SG_NS0_5tupleIJPjSI_NS0_16reverse_iteratorISI_EEEEENSH_IJSG_SG_SG_EEES9_SI_JZNS1_25segmented_radix_sort_implINS0_14default_configELb1EPKsPsPKlPlN2at6native12_GLOBAL__N_18offset_tEEE10hipError_tPvRmT1_PNSt15iterator_traitsIS12_E10value_typeET2_T3_PNS13_IS18_E10value_typeET4_jRbjT5_S1E_jjP12ihipStream_tbEUljE_ZNSN_ISO_Lb1ESQ_SR_ST_SU_SY_EESZ_S10_S11_S12_S16_S17_S18_S1B_S1C_jS1D_jS1E_S1E_jjS1G_bEUljE0_EEESZ_S10_S11_S18_S1C_S1E_T6_T7_T9_mT8_S1G_bDpT10_ENKUlT_T0_E_clISt17integral_constantIbLb0EES1T_IbLb1EEEEDaS1P_S1Q_EUlS1P_E_NS1_11comp_targetILNS1_3genE0ELNS1_11target_archE4294967295ELNS1_3gpuE0ELNS1_3repE0EEENS1_30default_config_static_selectorELNS0_4arch9wavefront6targetE1EEEvS12_
                                        ; -- End function
	.section	.AMDGPU.csdata,"",@progbits
; Kernel info:
; codeLenInByte = 0
; NumSgprs: 4
; NumVgprs: 0
; NumAgprs: 0
; TotalNumVgprs: 0
; ScratchSize: 0
; MemoryBound: 0
; FloatMode: 240
; IeeeMode: 1
; LDSByteSize: 0 bytes/workgroup (compile time only)
; SGPRBlocks: 0
; VGPRBlocks: 0
; NumSGPRsForWavesPerEU: 4
; NumVGPRsForWavesPerEU: 1
; AccumOffset: 4
; Occupancy: 8
; WaveLimiterHint : 0
; COMPUTE_PGM_RSRC2:SCRATCH_EN: 0
; COMPUTE_PGM_RSRC2:USER_SGPR: 6
; COMPUTE_PGM_RSRC2:TRAP_HANDLER: 0
; COMPUTE_PGM_RSRC2:TGID_X_EN: 1
; COMPUTE_PGM_RSRC2:TGID_Y_EN: 0
; COMPUTE_PGM_RSRC2:TGID_Z_EN: 0
; COMPUTE_PGM_RSRC2:TIDIG_COMP_CNT: 0
; COMPUTE_PGM_RSRC3_GFX90A:ACCUM_OFFSET: 0
; COMPUTE_PGM_RSRC3_GFX90A:TG_SPLIT: 0
	.section	.text._ZN7rocprim17ROCPRIM_400000_NS6detail17trampoline_kernelINS0_13select_configILj256ELj13ELNS0_17block_load_methodE3ELS4_3ELS4_3ELNS0_20block_scan_algorithmE0ELj4294967295EEENS1_25partition_config_selectorILNS1_17partition_subalgoE4EjNS0_10empty_typeEbEEZZNS1_14partition_implILS8_4ELb0ES6_15HIP_vector_typeIjLj2EENS0_17counting_iteratorIjlEEPS9_SG_NS0_5tupleIJPjSI_NS0_16reverse_iteratorISI_EEEEENSH_IJSG_SG_SG_EEES9_SI_JZNS1_25segmented_radix_sort_implINS0_14default_configELb1EPKsPsPKlPlN2at6native12_GLOBAL__N_18offset_tEEE10hipError_tPvRmT1_PNSt15iterator_traitsIS12_E10value_typeET2_T3_PNS13_IS18_E10value_typeET4_jRbjT5_S1E_jjP12ihipStream_tbEUljE_ZNSN_ISO_Lb1ESQ_SR_ST_SU_SY_EESZ_S10_S11_S12_S16_S17_S18_S1B_S1C_jS1D_jS1E_S1E_jjS1G_bEUljE0_EEESZ_S10_S11_S18_S1C_S1E_T6_T7_T9_mT8_S1G_bDpT10_ENKUlT_T0_E_clISt17integral_constantIbLb0EES1T_IbLb1EEEEDaS1P_S1Q_EUlS1P_E_NS1_11comp_targetILNS1_3genE5ELNS1_11target_archE942ELNS1_3gpuE9ELNS1_3repE0EEENS1_30default_config_static_selectorELNS0_4arch9wavefront6targetE1EEEvS12_,"axG",@progbits,_ZN7rocprim17ROCPRIM_400000_NS6detail17trampoline_kernelINS0_13select_configILj256ELj13ELNS0_17block_load_methodE3ELS4_3ELS4_3ELNS0_20block_scan_algorithmE0ELj4294967295EEENS1_25partition_config_selectorILNS1_17partition_subalgoE4EjNS0_10empty_typeEbEEZZNS1_14partition_implILS8_4ELb0ES6_15HIP_vector_typeIjLj2EENS0_17counting_iteratorIjlEEPS9_SG_NS0_5tupleIJPjSI_NS0_16reverse_iteratorISI_EEEEENSH_IJSG_SG_SG_EEES9_SI_JZNS1_25segmented_radix_sort_implINS0_14default_configELb1EPKsPsPKlPlN2at6native12_GLOBAL__N_18offset_tEEE10hipError_tPvRmT1_PNSt15iterator_traitsIS12_E10value_typeET2_T3_PNS13_IS18_E10value_typeET4_jRbjT5_S1E_jjP12ihipStream_tbEUljE_ZNSN_ISO_Lb1ESQ_SR_ST_SU_SY_EESZ_S10_S11_S12_S16_S17_S18_S1B_S1C_jS1D_jS1E_S1E_jjS1G_bEUljE0_EEESZ_S10_S11_S18_S1C_S1E_T6_T7_T9_mT8_S1G_bDpT10_ENKUlT_T0_E_clISt17integral_constantIbLb0EES1T_IbLb1EEEEDaS1P_S1Q_EUlS1P_E_NS1_11comp_targetILNS1_3genE5ELNS1_11target_archE942ELNS1_3gpuE9ELNS1_3repE0EEENS1_30default_config_static_selectorELNS0_4arch9wavefront6targetE1EEEvS12_,comdat
	.globl	_ZN7rocprim17ROCPRIM_400000_NS6detail17trampoline_kernelINS0_13select_configILj256ELj13ELNS0_17block_load_methodE3ELS4_3ELS4_3ELNS0_20block_scan_algorithmE0ELj4294967295EEENS1_25partition_config_selectorILNS1_17partition_subalgoE4EjNS0_10empty_typeEbEEZZNS1_14partition_implILS8_4ELb0ES6_15HIP_vector_typeIjLj2EENS0_17counting_iteratorIjlEEPS9_SG_NS0_5tupleIJPjSI_NS0_16reverse_iteratorISI_EEEEENSH_IJSG_SG_SG_EEES9_SI_JZNS1_25segmented_radix_sort_implINS0_14default_configELb1EPKsPsPKlPlN2at6native12_GLOBAL__N_18offset_tEEE10hipError_tPvRmT1_PNSt15iterator_traitsIS12_E10value_typeET2_T3_PNS13_IS18_E10value_typeET4_jRbjT5_S1E_jjP12ihipStream_tbEUljE_ZNSN_ISO_Lb1ESQ_SR_ST_SU_SY_EESZ_S10_S11_S12_S16_S17_S18_S1B_S1C_jS1D_jS1E_S1E_jjS1G_bEUljE0_EEESZ_S10_S11_S18_S1C_S1E_T6_T7_T9_mT8_S1G_bDpT10_ENKUlT_T0_E_clISt17integral_constantIbLb0EES1T_IbLb1EEEEDaS1P_S1Q_EUlS1P_E_NS1_11comp_targetILNS1_3genE5ELNS1_11target_archE942ELNS1_3gpuE9ELNS1_3repE0EEENS1_30default_config_static_selectorELNS0_4arch9wavefront6targetE1EEEvS12_ ; -- Begin function _ZN7rocprim17ROCPRIM_400000_NS6detail17trampoline_kernelINS0_13select_configILj256ELj13ELNS0_17block_load_methodE3ELS4_3ELS4_3ELNS0_20block_scan_algorithmE0ELj4294967295EEENS1_25partition_config_selectorILNS1_17partition_subalgoE4EjNS0_10empty_typeEbEEZZNS1_14partition_implILS8_4ELb0ES6_15HIP_vector_typeIjLj2EENS0_17counting_iteratorIjlEEPS9_SG_NS0_5tupleIJPjSI_NS0_16reverse_iteratorISI_EEEEENSH_IJSG_SG_SG_EEES9_SI_JZNS1_25segmented_radix_sort_implINS0_14default_configELb1EPKsPsPKlPlN2at6native12_GLOBAL__N_18offset_tEEE10hipError_tPvRmT1_PNSt15iterator_traitsIS12_E10value_typeET2_T3_PNS13_IS18_E10value_typeET4_jRbjT5_S1E_jjP12ihipStream_tbEUljE_ZNSN_ISO_Lb1ESQ_SR_ST_SU_SY_EESZ_S10_S11_S12_S16_S17_S18_S1B_S1C_jS1D_jS1E_S1E_jjS1G_bEUljE0_EEESZ_S10_S11_S18_S1C_S1E_T6_T7_T9_mT8_S1G_bDpT10_ENKUlT_T0_E_clISt17integral_constantIbLb0EES1T_IbLb1EEEEDaS1P_S1Q_EUlS1P_E_NS1_11comp_targetILNS1_3genE5ELNS1_11target_archE942ELNS1_3gpuE9ELNS1_3repE0EEENS1_30default_config_static_selectorELNS0_4arch9wavefront6targetE1EEEvS12_
	.p2align	8
	.type	_ZN7rocprim17ROCPRIM_400000_NS6detail17trampoline_kernelINS0_13select_configILj256ELj13ELNS0_17block_load_methodE3ELS4_3ELS4_3ELNS0_20block_scan_algorithmE0ELj4294967295EEENS1_25partition_config_selectorILNS1_17partition_subalgoE4EjNS0_10empty_typeEbEEZZNS1_14partition_implILS8_4ELb0ES6_15HIP_vector_typeIjLj2EENS0_17counting_iteratorIjlEEPS9_SG_NS0_5tupleIJPjSI_NS0_16reverse_iteratorISI_EEEEENSH_IJSG_SG_SG_EEES9_SI_JZNS1_25segmented_radix_sort_implINS0_14default_configELb1EPKsPsPKlPlN2at6native12_GLOBAL__N_18offset_tEEE10hipError_tPvRmT1_PNSt15iterator_traitsIS12_E10value_typeET2_T3_PNS13_IS18_E10value_typeET4_jRbjT5_S1E_jjP12ihipStream_tbEUljE_ZNSN_ISO_Lb1ESQ_SR_ST_SU_SY_EESZ_S10_S11_S12_S16_S17_S18_S1B_S1C_jS1D_jS1E_S1E_jjS1G_bEUljE0_EEESZ_S10_S11_S18_S1C_S1E_T6_T7_T9_mT8_S1G_bDpT10_ENKUlT_T0_E_clISt17integral_constantIbLb0EES1T_IbLb1EEEEDaS1P_S1Q_EUlS1P_E_NS1_11comp_targetILNS1_3genE5ELNS1_11target_archE942ELNS1_3gpuE9ELNS1_3repE0EEENS1_30default_config_static_selectorELNS0_4arch9wavefront6targetE1EEEvS12_,@function
_ZN7rocprim17ROCPRIM_400000_NS6detail17trampoline_kernelINS0_13select_configILj256ELj13ELNS0_17block_load_methodE3ELS4_3ELS4_3ELNS0_20block_scan_algorithmE0ELj4294967295EEENS1_25partition_config_selectorILNS1_17partition_subalgoE4EjNS0_10empty_typeEbEEZZNS1_14partition_implILS8_4ELb0ES6_15HIP_vector_typeIjLj2EENS0_17counting_iteratorIjlEEPS9_SG_NS0_5tupleIJPjSI_NS0_16reverse_iteratorISI_EEEEENSH_IJSG_SG_SG_EEES9_SI_JZNS1_25segmented_radix_sort_implINS0_14default_configELb1EPKsPsPKlPlN2at6native12_GLOBAL__N_18offset_tEEE10hipError_tPvRmT1_PNSt15iterator_traitsIS12_E10value_typeET2_T3_PNS13_IS18_E10value_typeET4_jRbjT5_S1E_jjP12ihipStream_tbEUljE_ZNSN_ISO_Lb1ESQ_SR_ST_SU_SY_EESZ_S10_S11_S12_S16_S17_S18_S1B_S1C_jS1D_jS1E_S1E_jjS1G_bEUljE0_EEESZ_S10_S11_S18_S1C_S1E_T6_T7_T9_mT8_S1G_bDpT10_ENKUlT_T0_E_clISt17integral_constantIbLb0EES1T_IbLb1EEEEDaS1P_S1Q_EUlS1P_E_NS1_11comp_targetILNS1_3genE5ELNS1_11target_archE942ELNS1_3gpuE9ELNS1_3repE0EEENS1_30default_config_static_selectorELNS0_4arch9wavefront6targetE1EEEvS12_: ; @_ZN7rocprim17ROCPRIM_400000_NS6detail17trampoline_kernelINS0_13select_configILj256ELj13ELNS0_17block_load_methodE3ELS4_3ELS4_3ELNS0_20block_scan_algorithmE0ELj4294967295EEENS1_25partition_config_selectorILNS1_17partition_subalgoE4EjNS0_10empty_typeEbEEZZNS1_14partition_implILS8_4ELb0ES6_15HIP_vector_typeIjLj2EENS0_17counting_iteratorIjlEEPS9_SG_NS0_5tupleIJPjSI_NS0_16reverse_iteratorISI_EEEEENSH_IJSG_SG_SG_EEES9_SI_JZNS1_25segmented_radix_sort_implINS0_14default_configELb1EPKsPsPKlPlN2at6native12_GLOBAL__N_18offset_tEEE10hipError_tPvRmT1_PNSt15iterator_traitsIS12_E10value_typeET2_T3_PNS13_IS18_E10value_typeET4_jRbjT5_S1E_jjP12ihipStream_tbEUljE_ZNSN_ISO_Lb1ESQ_SR_ST_SU_SY_EESZ_S10_S11_S12_S16_S17_S18_S1B_S1C_jS1D_jS1E_S1E_jjS1G_bEUljE0_EEESZ_S10_S11_S18_S1C_S1E_T6_T7_T9_mT8_S1G_bDpT10_ENKUlT_T0_E_clISt17integral_constantIbLb0EES1T_IbLb1EEEEDaS1P_S1Q_EUlS1P_E_NS1_11comp_targetILNS1_3genE5ELNS1_11target_archE942ELNS1_3gpuE9ELNS1_3repE0EEENS1_30default_config_static_selectorELNS0_4arch9wavefront6targetE1EEEvS12_
; %bb.0:
	.section	.rodata,"a",@progbits
	.p2align	6, 0x0
	.amdhsa_kernel _ZN7rocprim17ROCPRIM_400000_NS6detail17trampoline_kernelINS0_13select_configILj256ELj13ELNS0_17block_load_methodE3ELS4_3ELS4_3ELNS0_20block_scan_algorithmE0ELj4294967295EEENS1_25partition_config_selectorILNS1_17partition_subalgoE4EjNS0_10empty_typeEbEEZZNS1_14partition_implILS8_4ELb0ES6_15HIP_vector_typeIjLj2EENS0_17counting_iteratorIjlEEPS9_SG_NS0_5tupleIJPjSI_NS0_16reverse_iteratorISI_EEEEENSH_IJSG_SG_SG_EEES9_SI_JZNS1_25segmented_radix_sort_implINS0_14default_configELb1EPKsPsPKlPlN2at6native12_GLOBAL__N_18offset_tEEE10hipError_tPvRmT1_PNSt15iterator_traitsIS12_E10value_typeET2_T3_PNS13_IS18_E10value_typeET4_jRbjT5_S1E_jjP12ihipStream_tbEUljE_ZNSN_ISO_Lb1ESQ_SR_ST_SU_SY_EESZ_S10_S11_S12_S16_S17_S18_S1B_S1C_jS1D_jS1E_S1E_jjS1G_bEUljE0_EEESZ_S10_S11_S18_S1C_S1E_T6_T7_T9_mT8_S1G_bDpT10_ENKUlT_T0_E_clISt17integral_constantIbLb0EES1T_IbLb1EEEEDaS1P_S1Q_EUlS1P_E_NS1_11comp_targetILNS1_3genE5ELNS1_11target_archE942ELNS1_3gpuE9ELNS1_3repE0EEENS1_30default_config_static_selectorELNS0_4arch9wavefront6targetE1EEEvS12_
		.amdhsa_group_segment_fixed_size 0
		.amdhsa_private_segment_fixed_size 0
		.amdhsa_kernarg_size 184
		.amdhsa_user_sgpr_count 6
		.amdhsa_user_sgpr_private_segment_buffer 1
		.amdhsa_user_sgpr_dispatch_ptr 0
		.amdhsa_user_sgpr_queue_ptr 0
		.amdhsa_user_sgpr_kernarg_segment_ptr 1
		.amdhsa_user_sgpr_dispatch_id 0
		.amdhsa_user_sgpr_flat_scratch_init 0
		.amdhsa_user_sgpr_kernarg_preload_length 0
		.amdhsa_user_sgpr_kernarg_preload_offset 0
		.amdhsa_user_sgpr_private_segment_size 0
		.amdhsa_uses_dynamic_stack 0
		.amdhsa_system_sgpr_private_segment_wavefront_offset 0
		.amdhsa_system_sgpr_workgroup_id_x 1
		.amdhsa_system_sgpr_workgroup_id_y 0
		.amdhsa_system_sgpr_workgroup_id_z 0
		.amdhsa_system_sgpr_workgroup_info 0
		.amdhsa_system_vgpr_workitem_id 0
		.amdhsa_next_free_vgpr 1
		.amdhsa_next_free_sgpr 0
		.amdhsa_accum_offset 4
		.amdhsa_reserve_vcc 0
		.amdhsa_reserve_flat_scratch 0
		.amdhsa_float_round_mode_32 0
		.amdhsa_float_round_mode_16_64 0
		.amdhsa_float_denorm_mode_32 3
		.amdhsa_float_denorm_mode_16_64 3
		.amdhsa_dx10_clamp 1
		.amdhsa_ieee_mode 1
		.amdhsa_fp16_overflow 0
		.amdhsa_tg_split 0
		.amdhsa_exception_fp_ieee_invalid_op 0
		.amdhsa_exception_fp_denorm_src 0
		.amdhsa_exception_fp_ieee_div_zero 0
		.amdhsa_exception_fp_ieee_overflow 0
		.amdhsa_exception_fp_ieee_underflow 0
		.amdhsa_exception_fp_ieee_inexact 0
		.amdhsa_exception_int_div_zero 0
	.end_amdhsa_kernel
	.section	.text._ZN7rocprim17ROCPRIM_400000_NS6detail17trampoline_kernelINS0_13select_configILj256ELj13ELNS0_17block_load_methodE3ELS4_3ELS4_3ELNS0_20block_scan_algorithmE0ELj4294967295EEENS1_25partition_config_selectorILNS1_17partition_subalgoE4EjNS0_10empty_typeEbEEZZNS1_14partition_implILS8_4ELb0ES6_15HIP_vector_typeIjLj2EENS0_17counting_iteratorIjlEEPS9_SG_NS0_5tupleIJPjSI_NS0_16reverse_iteratorISI_EEEEENSH_IJSG_SG_SG_EEES9_SI_JZNS1_25segmented_radix_sort_implINS0_14default_configELb1EPKsPsPKlPlN2at6native12_GLOBAL__N_18offset_tEEE10hipError_tPvRmT1_PNSt15iterator_traitsIS12_E10value_typeET2_T3_PNS13_IS18_E10value_typeET4_jRbjT5_S1E_jjP12ihipStream_tbEUljE_ZNSN_ISO_Lb1ESQ_SR_ST_SU_SY_EESZ_S10_S11_S12_S16_S17_S18_S1B_S1C_jS1D_jS1E_S1E_jjS1G_bEUljE0_EEESZ_S10_S11_S18_S1C_S1E_T6_T7_T9_mT8_S1G_bDpT10_ENKUlT_T0_E_clISt17integral_constantIbLb0EES1T_IbLb1EEEEDaS1P_S1Q_EUlS1P_E_NS1_11comp_targetILNS1_3genE5ELNS1_11target_archE942ELNS1_3gpuE9ELNS1_3repE0EEENS1_30default_config_static_selectorELNS0_4arch9wavefront6targetE1EEEvS12_,"axG",@progbits,_ZN7rocprim17ROCPRIM_400000_NS6detail17trampoline_kernelINS0_13select_configILj256ELj13ELNS0_17block_load_methodE3ELS4_3ELS4_3ELNS0_20block_scan_algorithmE0ELj4294967295EEENS1_25partition_config_selectorILNS1_17partition_subalgoE4EjNS0_10empty_typeEbEEZZNS1_14partition_implILS8_4ELb0ES6_15HIP_vector_typeIjLj2EENS0_17counting_iteratorIjlEEPS9_SG_NS0_5tupleIJPjSI_NS0_16reverse_iteratorISI_EEEEENSH_IJSG_SG_SG_EEES9_SI_JZNS1_25segmented_radix_sort_implINS0_14default_configELb1EPKsPsPKlPlN2at6native12_GLOBAL__N_18offset_tEEE10hipError_tPvRmT1_PNSt15iterator_traitsIS12_E10value_typeET2_T3_PNS13_IS18_E10value_typeET4_jRbjT5_S1E_jjP12ihipStream_tbEUljE_ZNSN_ISO_Lb1ESQ_SR_ST_SU_SY_EESZ_S10_S11_S12_S16_S17_S18_S1B_S1C_jS1D_jS1E_S1E_jjS1G_bEUljE0_EEESZ_S10_S11_S18_S1C_S1E_T6_T7_T9_mT8_S1G_bDpT10_ENKUlT_T0_E_clISt17integral_constantIbLb0EES1T_IbLb1EEEEDaS1P_S1Q_EUlS1P_E_NS1_11comp_targetILNS1_3genE5ELNS1_11target_archE942ELNS1_3gpuE9ELNS1_3repE0EEENS1_30default_config_static_selectorELNS0_4arch9wavefront6targetE1EEEvS12_,comdat
.Lfunc_end872:
	.size	_ZN7rocprim17ROCPRIM_400000_NS6detail17trampoline_kernelINS0_13select_configILj256ELj13ELNS0_17block_load_methodE3ELS4_3ELS4_3ELNS0_20block_scan_algorithmE0ELj4294967295EEENS1_25partition_config_selectorILNS1_17partition_subalgoE4EjNS0_10empty_typeEbEEZZNS1_14partition_implILS8_4ELb0ES6_15HIP_vector_typeIjLj2EENS0_17counting_iteratorIjlEEPS9_SG_NS0_5tupleIJPjSI_NS0_16reverse_iteratorISI_EEEEENSH_IJSG_SG_SG_EEES9_SI_JZNS1_25segmented_radix_sort_implINS0_14default_configELb1EPKsPsPKlPlN2at6native12_GLOBAL__N_18offset_tEEE10hipError_tPvRmT1_PNSt15iterator_traitsIS12_E10value_typeET2_T3_PNS13_IS18_E10value_typeET4_jRbjT5_S1E_jjP12ihipStream_tbEUljE_ZNSN_ISO_Lb1ESQ_SR_ST_SU_SY_EESZ_S10_S11_S12_S16_S17_S18_S1B_S1C_jS1D_jS1E_S1E_jjS1G_bEUljE0_EEESZ_S10_S11_S18_S1C_S1E_T6_T7_T9_mT8_S1G_bDpT10_ENKUlT_T0_E_clISt17integral_constantIbLb0EES1T_IbLb1EEEEDaS1P_S1Q_EUlS1P_E_NS1_11comp_targetILNS1_3genE5ELNS1_11target_archE942ELNS1_3gpuE9ELNS1_3repE0EEENS1_30default_config_static_selectorELNS0_4arch9wavefront6targetE1EEEvS12_, .Lfunc_end872-_ZN7rocprim17ROCPRIM_400000_NS6detail17trampoline_kernelINS0_13select_configILj256ELj13ELNS0_17block_load_methodE3ELS4_3ELS4_3ELNS0_20block_scan_algorithmE0ELj4294967295EEENS1_25partition_config_selectorILNS1_17partition_subalgoE4EjNS0_10empty_typeEbEEZZNS1_14partition_implILS8_4ELb0ES6_15HIP_vector_typeIjLj2EENS0_17counting_iteratorIjlEEPS9_SG_NS0_5tupleIJPjSI_NS0_16reverse_iteratorISI_EEEEENSH_IJSG_SG_SG_EEES9_SI_JZNS1_25segmented_radix_sort_implINS0_14default_configELb1EPKsPsPKlPlN2at6native12_GLOBAL__N_18offset_tEEE10hipError_tPvRmT1_PNSt15iterator_traitsIS12_E10value_typeET2_T3_PNS13_IS18_E10value_typeET4_jRbjT5_S1E_jjP12ihipStream_tbEUljE_ZNSN_ISO_Lb1ESQ_SR_ST_SU_SY_EESZ_S10_S11_S12_S16_S17_S18_S1B_S1C_jS1D_jS1E_S1E_jjS1G_bEUljE0_EEESZ_S10_S11_S18_S1C_S1E_T6_T7_T9_mT8_S1G_bDpT10_ENKUlT_T0_E_clISt17integral_constantIbLb0EES1T_IbLb1EEEEDaS1P_S1Q_EUlS1P_E_NS1_11comp_targetILNS1_3genE5ELNS1_11target_archE942ELNS1_3gpuE9ELNS1_3repE0EEENS1_30default_config_static_selectorELNS0_4arch9wavefront6targetE1EEEvS12_
                                        ; -- End function
	.section	.AMDGPU.csdata,"",@progbits
; Kernel info:
; codeLenInByte = 0
; NumSgprs: 4
; NumVgprs: 0
; NumAgprs: 0
; TotalNumVgprs: 0
; ScratchSize: 0
; MemoryBound: 0
; FloatMode: 240
; IeeeMode: 1
; LDSByteSize: 0 bytes/workgroup (compile time only)
; SGPRBlocks: 0
; VGPRBlocks: 0
; NumSGPRsForWavesPerEU: 4
; NumVGPRsForWavesPerEU: 1
; AccumOffset: 4
; Occupancy: 8
; WaveLimiterHint : 0
; COMPUTE_PGM_RSRC2:SCRATCH_EN: 0
; COMPUTE_PGM_RSRC2:USER_SGPR: 6
; COMPUTE_PGM_RSRC2:TRAP_HANDLER: 0
; COMPUTE_PGM_RSRC2:TGID_X_EN: 1
; COMPUTE_PGM_RSRC2:TGID_Y_EN: 0
; COMPUTE_PGM_RSRC2:TGID_Z_EN: 0
; COMPUTE_PGM_RSRC2:TIDIG_COMP_CNT: 0
; COMPUTE_PGM_RSRC3_GFX90A:ACCUM_OFFSET: 0
; COMPUTE_PGM_RSRC3_GFX90A:TG_SPLIT: 0
	.section	.text._ZN7rocprim17ROCPRIM_400000_NS6detail17trampoline_kernelINS0_13select_configILj256ELj13ELNS0_17block_load_methodE3ELS4_3ELS4_3ELNS0_20block_scan_algorithmE0ELj4294967295EEENS1_25partition_config_selectorILNS1_17partition_subalgoE4EjNS0_10empty_typeEbEEZZNS1_14partition_implILS8_4ELb0ES6_15HIP_vector_typeIjLj2EENS0_17counting_iteratorIjlEEPS9_SG_NS0_5tupleIJPjSI_NS0_16reverse_iteratorISI_EEEEENSH_IJSG_SG_SG_EEES9_SI_JZNS1_25segmented_radix_sort_implINS0_14default_configELb1EPKsPsPKlPlN2at6native12_GLOBAL__N_18offset_tEEE10hipError_tPvRmT1_PNSt15iterator_traitsIS12_E10value_typeET2_T3_PNS13_IS18_E10value_typeET4_jRbjT5_S1E_jjP12ihipStream_tbEUljE_ZNSN_ISO_Lb1ESQ_SR_ST_SU_SY_EESZ_S10_S11_S12_S16_S17_S18_S1B_S1C_jS1D_jS1E_S1E_jjS1G_bEUljE0_EEESZ_S10_S11_S18_S1C_S1E_T6_T7_T9_mT8_S1G_bDpT10_ENKUlT_T0_E_clISt17integral_constantIbLb0EES1T_IbLb1EEEEDaS1P_S1Q_EUlS1P_E_NS1_11comp_targetILNS1_3genE4ELNS1_11target_archE910ELNS1_3gpuE8ELNS1_3repE0EEENS1_30default_config_static_selectorELNS0_4arch9wavefront6targetE1EEEvS12_,"axG",@progbits,_ZN7rocprim17ROCPRIM_400000_NS6detail17trampoline_kernelINS0_13select_configILj256ELj13ELNS0_17block_load_methodE3ELS4_3ELS4_3ELNS0_20block_scan_algorithmE0ELj4294967295EEENS1_25partition_config_selectorILNS1_17partition_subalgoE4EjNS0_10empty_typeEbEEZZNS1_14partition_implILS8_4ELb0ES6_15HIP_vector_typeIjLj2EENS0_17counting_iteratorIjlEEPS9_SG_NS0_5tupleIJPjSI_NS0_16reverse_iteratorISI_EEEEENSH_IJSG_SG_SG_EEES9_SI_JZNS1_25segmented_radix_sort_implINS0_14default_configELb1EPKsPsPKlPlN2at6native12_GLOBAL__N_18offset_tEEE10hipError_tPvRmT1_PNSt15iterator_traitsIS12_E10value_typeET2_T3_PNS13_IS18_E10value_typeET4_jRbjT5_S1E_jjP12ihipStream_tbEUljE_ZNSN_ISO_Lb1ESQ_SR_ST_SU_SY_EESZ_S10_S11_S12_S16_S17_S18_S1B_S1C_jS1D_jS1E_S1E_jjS1G_bEUljE0_EEESZ_S10_S11_S18_S1C_S1E_T6_T7_T9_mT8_S1G_bDpT10_ENKUlT_T0_E_clISt17integral_constantIbLb0EES1T_IbLb1EEEEDaS1P_S1Q_EUlS1P_E_NS1_11comp_targetILNS1_3genE4ELNS1_11target_archE910ELNS1_3gpuE8ELNS1_3repE0EEENS1_30default_config_static_selectorELNS0_4arch9wavefront6targetE1EEEvS12_,comdat
	.globl	_ZN7rocprim17ROCPRIM_400000_NS6detail17trampoline_kernelINS0_13select_configILj256ELj13ELNS0_17block_load_methodE3ELS4_3ELS4_3ELNS0_20block_scan_algorithmE0ELj4294967295EEENS1_25partition_config_selectorILNS1_17partition_subalgoE4EjNS0_10empty_typeEbEEZZNS1_14partition_implILS8_4ELb0ES6_15HIP_vector_typeIjLj2EENS0_17counting_iteratorIjlEEPS9_SG_NS0_5tupleIJPjSI_NS0_16reverse_iteratorISI_EEEEENSH_IJSG_SG_SG_EEES9_SI_JZNS1_25segmented_radix_sort_implINS0_14default_configELb1EPKsPsPKlPlN2at6native12_GLOBAL__N_18offset_tEEE10hipError_tPvRmT1_PNSt15iterator_traitsIS12_E10value_typeET2_T3_PNS13_IS18_E10value_typeET4_jRbjT5_S1E_jjP12ihipStream_tbEUljE_ZNSN_ISO_Lb1ESQ_SR_ST_SU_SY_EESZ_S10_S11_S12_S16_S17_S18_S1B_S1C_jS1D_jS1E_S1E_jjS1G_bEUljE0_EEESZ_S10_S11_S18_S1C_S1E_T6_T7_T9_mT8_S1G_bDpT10_ENKUlT_T0_E_clISt17integral_constantIbLb0EES1T_IbLb1EEEEDaS1P_S1Q_EUlS1P_E_NS1_11comp_targetILNS1_3genE4ELNS1_11target_archE910ELNS1_3gpuE8ELNS1_3repE0EEENS1_30default_config_static_selectorELNS0_4arch9wavefront6targetE1EEEvS12_ ; -- Begin function _ZN7rocprim17ROCPRIM_400000_NS6detail17trampoline_kernelINS0_13select_configILj256ELj13ELNS0_17block_load_methodE3ELS4_3ELS4_3ELNS0_20block_scan_algorithmE0ELj4294967295EEENS1_25partition_config_selectorILNS1_17partition_subalgoE4EjNS0_10empty_typeEbEEZZNS1_14partition_implILS8_4ELb0ES6_15HIP_vector_typeIjLj2EENS0_17counting_iteratorIjlEEPS9_SG_NS0_5tupleIJPjSI_NS0_16reverse_iteratorISI_EEEEENSH_IJSG_SG_SG_EEES9_SI_JZNS1_25segmented_radix_sort_implINS0_14default_configELb1EPKsPsPKlPlN2at6native12_GLOBAL__N_18offset_tEEE10hipError_tPvRmT1_PNSt15iterator_traitsIS12_E10value_typeET2_T3_PNS13_IS18_E10value_typeET4_jRbjT5_S1E_jjP12ihipStream_tbEUljE_ZNSN_ISO_Lb1ESQ_SR_ST_SU_SY_EESZ_S10_S11_S12_S16_S17_S18_S1B_S1C_jS1D_jS1E_S1E_jjS1G_bEUljE0_EEESZ_S10_S11_S18_S1C_S1E_T6_T7_T9_mT8_S1G_bDpT10_ENKUlT_T0_E_clISt17integral_constantIbLb0EES1T_IbLb1EEEEDaS1P_S1Q_EUlS1P_E_NS1_11comp_targetILNS1_3genE4ELNS1_11target_archE910ELNS1_3gpuE8ELNS1_3repE0EEENS1_30default_config_static_selectorELNS0_4arch9wavefront6targetE1EEEvS12_
	.p2align	8
	.type	_ZN7rocprim17ROCPRIM_400000_NS6detail17trampoline_kernelINS0_13select_configILj256ELj13ELNS0_17block_load_methodE3ELS4_3ELS4_3ELNS0_20block_scan_algorithmE0ELj4294967295EEENS1_25partition_config_selectorILNS1_17partition_subalgoE4EjNS0_10empty_typeEbEEZZNS1_14partition_implILS8_4ELb0ES6_15HIP_vector_typeIjLj2EENS0_17counting_iteratorIjlEEPS9_SG_NS0_5tupleIJPjSI_NS0_16reverse_iteratorISI_EEEEENSH_IJSG_SG_SG_EEES9_SI_JZNS1_25segmented_radix_sort_implINS0_14default_configELb1EPKsPsPKlPlN2at6native12_GLOBAL__N_18offset_tEEE10hipError_tPvRmT1_PNSt15iterator_traitsIS12_E10value_typeET2_T3_PNS13_IS18_E10value_typeET4_jRbjT5_S1E_jjP12ihipStream_tbEUljE_ZNSN_ISO_Lb1ESQ_SR_ST_SU_SY_EESZ_S10_S11_S12_S16_S17_S18_S1B_S1C_jS1D_jS1E_S1E_jjS1G_bEUljE0_EEESZ_S10_S11_S18_S1C_S1E_T6_T7_T9_mT8_S1G_bDpT10_ENKUlT_T0_E_clISt17integral_constantIbLb0EES1T_IbLb1EEEEDaS1P_S1Q_EUlS1P_E_NS1_11comp_targetILNS1_3genE4ELNS1_11target_archE910ELNS1_3gpuE8ELNS1_3repE0EEENS1_30default_config_static_selectorELNS0_4arch9wavefront6targetE1EEEvS12_,@function
_ZN7rocprim17ROCPRIM_400000_NS6detail17trampoline_kernelINS0_13select_configILj256ELj13ELNS0_17block_load_methodE3ELS4_3ELS4_3ELNS0_20block_scan_algorithmE0ELj4294967295EEENS1_25partition_config_selectorILNS1_17partition_subalgoE4EjNS0_10empty_typeEbEEZZNS1_14partition_implILS8_4ELb0ES6_15HIP_vector_typeIjLj2EENS0_17counting_iteratorIjlEEPS9_SG_NS0_5tupleIJPjSI_NS0_16reverse_iteratorISI_EEEEENSH_IJSG_SG_SG_EEES9_SI_JZNS1_25segmented_radix_sort_implINS0_14default_configELb1EPKsPsPKlPlN2at6native12_GLOBAL__N_18offset_tEEE10hipError_tPvRmT1_PNSt15iterator_traitsIS12_E10value_typeET2_T3_PNS13_IS18_E10value_typeET4_jRbjT5_S1E_jjP12ihipStream_tbEUljE_ZNSN_ISO_Lb1ESQ_SR_ST_SU_SY_EESZ_S10_S11_S12_S16_S17_S18_S1B_S1C_jS1D_jS1E_S1E_jjS1G_bEUljE0_EEESZ_S10_S11_S18_S1C_S1E_T6_T7_T9_mT8_S1G_bDpT10_ENKUlT_T0_E_clISt17integral_constantIbLb0EES1T_IbLb1EEEEDaS1P_S1Q_EUlS1P_E_NS1_11comp_targetILNS1_3genE4ELNS1_11target_archE910ELNS1_3gpuE8ELNS1_3repE0EEENS1_30default_config_static_selectorELNS0_4arch9wavefront6targetE1EEEvS12_: ; @_ZN7rocprim17ROCPRIM_400000_NS6detail17trampoline_kernelINS0_13select_configILj256ELj13ELNS0_17block_load_methodE3ELS4_3ELS4_3ELNS0_20block_scan_algorithmE0ELj4294967295EEENS1_25partition_config_selectorILNS1_17partition_subalgoE4EjNS0_10empty_typeEbEEZZNS1_14partition_implILS8_4ELb0ES6_15HIP_vector_typeIjLj2EENS0_17counting_iteratorIjlEEPS9_SG_NS0_5tupleIJPjSI_NS0_16reverse_iteratorISI_EEEEENSH_IJSG_SG_SG_EEES9_SI_JZNS1_25segmented_radix_sort_implINS0_14default_configELb1EPKsPsPKlPlN2at6native12_GLOBAL__N_18offset_tEEE10hipError_tPvRmT1_PNSt15iterator_traitsIS12_E10value_typeET2_T3_PNS13_IS18_E10value_typeET4_jRbjT5_S1E_jjP12ihipStream_tbEUljE_ZNSN_ISO_Lb1ESQ_SR_ST_SU_SY_EESZ_S10_S11_S12_S16_S17_S18_S1B_S1C_jS1D_jS1E_S1E_jjS1G_bEUljE0_EEESZ_S10_S11_S18_S1C_S1E_T6_T7_T9_mT8_S1G_bDpT10_ENKUlT_T0_E_clISt17integral_constantIbLb0EES1T_IbLb1EEEEDaS1P_S1Q_EUlS1P_E_NS1_11comp_targetILNS1_3genE4ELNS1_11target_archE910ELNS1_3gpuE8ELNS1_3repE0EEENS1_30default_config_static_selectorELNS0_4arch9wavefront6targetE1EEEvS12_
; %bb.0:
	s_load_dwordx2 s[48:49], s[4:5], 0x10
	s_load_dwordx4 s[44:47], s[4:5], 0x28
	s_load_dwordx2 s[34:35], s[4:5], 0x38
	s_load_dwordx4 s[28:31], s[4:5], 0x58
	s_load_dwordx2 s[2:3], s[4:5], 0x68
	s_load_dwordx2 s[50:51], s[4:5], 0x78
	;; [unrolled: 1-line block ×3, first 2 shown]
	s_load_dwordx8 s[36:43], s[4:5], 0x90
	v_cmp_eq_u32_e64 s[0:1], 0, v0
	s_and_saveexec_b64 s[6:7], s[0:1]
	s_cbranch_execz .LBB873_4
; %bb.1:
	s_mov_b64 s[10:11], exec
	v_mbcnt_lo_u32_b32 v1, s10, 0
	v_mbcnt_hi_u32_b32 v1, s11, v1
	v_cmp_eq_u32_e32 vcc, 0, v1
                                        ; implicit-def: $vgpr2
	s_and_saveexec_b64 s[8:9], vcc
	s_cbranch_execz .LBB873_3
; %bb.2:
	s_load_dwordx2 s[12:13], s[4:5], 0x88
	s_bcnt1_i32_b64 s10, s[10:11]
	v_mov_b32_e32 v2, 0
	v_mov_b32_e32 v3, s10
	s_waitcnt lgkmcnt(0)
	global_atomic_add v2, v2, v3, s[12:13] glc
.LBB873_3:
	s_or_b64 exec, exec, s[8:9]
	s_waitcnt vmcnt(0)
	v_readfirstlane_b32 s8, v2
	v_add_u32_e32 v1, s8, v1
	v_mov_b32_e32 v2, 0
	ds_write_b32 v2, v1
.LBB873_4:
	s_or_b64 exec, exec, s[6:7]
	v_mov_b32_e32 v1, 0
	s_load_dword s7, s[4:5], 0x8
	s_load_dword s6, s[4:5], 0x80
	s_waitcnt lgkmcnt(0)
	s_barrier
	ds_read_b32 v8, v1
	s_waitcnt lgkmcnt(0)
	s_barrier
	global_load_dwordx4 v[2:5], v1, s[30:31]
	v_mov_b32_e32 v7, s3
	s_movk_i32 s3, 0xd00
	s_add_i32 s8, s7, s48
	v_mul_lo_u32 v34, v8, s3
	s_add_i32 s7, s6, -1
	s_mul_i32 s3, s6, 0xd00
	s_add_u32 s4, s48, s3
	v_readfirstlane_b32 s33, v8
	s_addc_u32 s5, s49, 0
	s_cmp_eq_u32 s33, s7
	v_mov_b32_e32 v6, s2
	s_cselect_b64 s[30:31], -1, 0
	s_cmp_lg_u32 s33, s7
	v_cmp_lt_u64_e32 vcc, s[4:5], v[6:7]
	s_cselect_b64 s[4:5], -1, 0
	s_or_b64 s[4:5], vcc, s[4:5]
	v_add_u32_e32 v1, s8, v34
	s_mov_b64 s[6:7], -1
	s_and_b64 vcc, exec, s[4:5]
	v_add_u32_e32 v1, v1, v0
	s_cbranch_vccz .LBB873_6
; %bb.5:
	v_add_u32_e32 v6, 0x100, v1
	v_lshlrev_b32_e32 v18, 2, v0
	v_add_u32_e32 v7, 0x200, v1
	v_add_u32_e32 v8, 0x300, v1
	;; [unrolled: 1-line block ×11, first 2 shown]
	ds_write2st64_b32 v18, v1, v6 offset1:4
	ds_write2st64_b32 v18, v7, v8 offset0:8 offset1:12
	ds_write2st64_b32 v18, v9, v10 offset0:16 offset1:20
	;; [unrolled: 1-line block ×5, first 2 shown]
	ds_write_b32 v18, v17 offset:12288
	s_waitcnt lgkmcnt(0)
	s_barrier
	s_mov_b64 s[6:7], 0
.LBB873_6:
	s_andn2_b64 vcc, exec, s[6:7]
	s_add_i32 s3, s3, s48
	s_cbranch_vccnz .LBB873_8
; %bb.7:
	v_add_u32_e32 v6, 0x100, v1
	v_lshlrev_b32_e32 v18, 2, v0
	v_add_u32_e32 v7, 0x200, v1
	v_add_u32_e32 v8, 0x300, v1
	;; [unrolled: 1-line block ×11, first 2 shown]
	ds_write2st64_b32 v18, v1, v6 offset1:4
	ds_write2st64_b32 v18, v7, v8 offset0:8 offset1:12
	ds_write2st64_b32 v18, v9, v10 offset0:16 offset1:20
	;; [unrolled: 1-line block ×5, first 2 shown]
	ds_write_b32 v18, v17 offset:12288
	s_waitcnt lgkmcnt(0)
	s_barrier
.LBB873_8:
	v_mul_u32_u24_e32 v36, 13, v0
	v_lshlrev_b32_e32 v1, 2, v36
	ds_read2_b32 v[22:23], v1 offset1:1
	ds_read2_b32 v[20:21], v1 offset0:2 offset1:3
	ds_read2_b32 v[18:19], v1 offset0:4 offset1:5
	;; [unrolled: 1-line block ×5, first 2 shown]
	ds_read_b32 v35, v1 offset:48
	v_cndmask_b32_e64 v1, 0, 1, s[4:5]
	s_sub_i32 s86, s2, s3
	v_cmp_ne_u32_e64 s[2:3], 1, v1
	s_andn2_b64 vcc, exec, s[4:5]
	s_waitcnt lgkmcnt(0)
	s_barrier
	s_cbranch_vccnz .LBB873_36
; %bb.9:
	v_add_u32_e32 v1, s37, v22
	v_add_u32_e32 v6, s39, v22
	v_mul_lo_u32 v1, v1, s36
	v_mul_lo_u32 v6, v6, s38
	v_sub_u32_e32 v1, v1, v6
	v_cmp_lt_u32_e32 vcc, s40, v1
	v_cmp_ge_u32_e64 s[4:5], s40, v1
	s_mov_b64 s[60:61], 0
	s_mov_b64 s[58:59], 0
	s_and_saveexec_b64 s[6:7], s[4:5]
; %bb.10:
	v_add_u32_e32 v1, s42, v22
	v_add_u32_e32 v6, s56, v22
	v_mul_lo_u32 v1, v1, s41
	v_mul_lo_u32 v6, v6, s43
	v_sub_u32_e32 v1, v1, v6
	v_cmp_lt_u32_e64 s[4:5], s57, v1
	s_and_b64 s[58:59], s[4:5], exec
; %bb.11:
	s_or_b64 exec, exec, s[6:7]
	v_add_u32_e32 v1, s37, v23
	v_add_u32_e32 v6, s39, v23
	v_mul_lo_u32 v1, v1, s36
	v_mul_lo_u32 v6, v6, s38
	v_sub_u32_e32 v1, v1, v6
	v_cmp_lt_u32_e64 s[4:5], s40, v1
	v_cmp_ge_u32_e64 s[6:7], s40, v1
	s_and_saveexec_b64 s[8:9], s[6:7]
; %bb.12:
	v_add_u32_e32 v1, s42, v23
	v_add_u32_e32 v6, s56, v23
	v_mul_lo_u32 v1, v1, s41
	v_mul_lo_u32 v6, v6, s43
	v_sub_u32_e32 v1, v1, v6
	v_cmp_lt_u32_e64 s[6:7], s57, v1
	s_and_b64 s[60:61], s[6:7], exec
; %bb.13:
	s_or_b64 exec, exec, s[8:9]
	v_add_u32_e32 v1, s37, v20
	v_add_u32_e32 v6, s39, v20
	v_mul_lo_u32 v1, v1, s36
	v_mul_lo_u32 v6, v6, s38
	v_sub_u32_e32 v1, v1, v6
	v_cmp_lt_u32_e64 s[6:7], s40, v1
	v_cmp_ge_u32_e64 s[8:9], s40, v1
	s_mov_b64 s[64:65], 0
	s_mov_b64 s[62:63], 0
	s_and_saveexec_b64 s[10:11], s[8:9]
; %bb.14:
	v_add_u32_e32 v1, s42, v20
	v_add_u32_e32 v6, s56, v20
	v_mul_lo_u32 v1, v1, s41
	v_mul_lo_u32 v6, v6, s43
	v_sub_u32_e32 v1, v1, v6
	v_cmp_lt_u32_e64 s[8:9], s57, v1
	s_and_b64 s[62:63], s[8:9], exec
; %bb.15:
	s_or_b64 exec, exec, s[10:11]
	v_add_u32_e32 v1, s37, v21
	v_add_u32_e32 v6, s39, v21
	v_mul_lo_u32 v1, v1, s36
	v_mul_lo_u32 v6, v6, s38
	v_sub_u32_e32 v1, v1, v6
	v_cmp_lt_u32_e64 s[8:9], s40, v1
	v_cmp_ge_u32_e64 s[10:11], s40, v1
	s_and_saveexec_b64 s[12:13], s[10:11]
; %bb.16:
	v_add_u32_e32 v1, s42, v21
	v_add_u32_e32 v6, s56, v21
	v_mul_lo_u32 v1, v1, s41
	v_mul_lo_u32 v6, v6, s43
	v_sub_u32_e32 v1, v1, v6
	v_cmp_lt_u32_e64 s[10:11], s57, v1
	s_and_b64 s[64:65], s[10:11], exec
; %bb.17:
	s_or_b64 exec, exec, s[12:13]
	v_add_u32_e32 v1, s37, v18
	v_add_u32_e32 v6, s39, v18
	v_mul_lo_u32 v1, v1, s36
	v_mul_lo_u32 v6, v6, s38
	v_sub_u32_e32 v1, v1, v6
	v_cmp_lt_u32_e64 s[10:11], s40, v1
	;; [unrolled: 38-line block ×5, first 2 shown]
	v_cmp_ge_u32_e64 s[24:25], s40, v1
	s_mov_b64 s[80:81], 0
	s_mov_b64 s[82:83], 0
	s_and_saveexec_b64 s[26:27], s[24:25]
; %bb.30:
	v_add_u32_e32 v1, s42, v12
	v_add_u32_e32 v6, s56, v12
	v_mul_lo_u32 v1, v1, s41
	v_mul_lo_u32 v6, v6, s43
	v_sub_u32_e32 v1, v1, v6
	v_cmp_lt_u32_e64 s[24:25], s57, v1
	s_and_b64 s[82:83], s[24:25], exec
; %bb.31:
	s_or_b64 exec, exec, s[26:27]
	v_add_u32_e32 v1, s37, v13
	v_add_u32_e32 v6, s39, v13
	v_mul_lo_u32 v1, v1, s36
	v_mul_lo_u32 v6, v6, s38
	v_sub_u32_e32 v1, v1, v6
	v_cmp_lt_u32_e64 s[24:25], s40, v1
	v_cmp_ge_u32_e64 s[26:27], s40, v1
	s_and_saveexec_b64 s[52:53], s[26:27]
; %bb.32:
	v_add_u32_e32 v1, s42, v13
	v_add_u32_e32 v6, s56, v13
	v_mul_lo_u32 v1, v1, s41
	v_mul_lo_u32 v6, v6, s43
	v_sub_u32_e32 v1, v1, v6
	v_cmp_lt_u32_e64 s[26:27], s57, v1
	s_and_b64 s[80:81], s[26:27], exec
; %bb.33:
	s_or_b64 exec, exec, s[52:53]
	v_add_u32_e32 v1, s37, v35
	v_add_u32_e32 v6, s39, v35
	v_mul_lo_u32 v1, v1, s36
	v_mul_lo_u32 v6, v6, s38
	v_sub_u32_e32 v1, v1, v6
	v_cmp_ge_u32_e64 s[26:27], s40, v1
	s_mov_b64 s[52:53], -1
	s_mov_b64 s[74:75], 0
	s_mov_b64 s[54:55], 0
	s_and_saveexec_b64 s[84:85], s[26:27]
; %bb.34:
	v_add_u32_e32 v1, s42, v35
	v_add_u32_e32 v6, s56, v35
	v_mul_lo_u32 v1, v1, s41
	v_mul_lo_u32 v6, v6, s43
	v_sub_u32_e32 v1, v1, v6
	v_cmp_lt_u32_e64 s[26:27], s57, v1
	s_and_b64 s[54:55], s[26:27], exec
	s_xor_b64 s[52:53], exec, -1
; %bb.35:
	s_or_b64 exec, exec, s[84:85]
	v_cndmask_b32_e64 v57, 0, 1, s[82:83]
	v_cndmask_b32_e64 v60, 0, 1, s[24:25]
	;; [unrolled: 1-line block ×22, first 2 shown]
	v_cndmask_b32_e64 v37, 0, 1, vcc
	v_cndmask_b32_e64 v59, 0, 1, s[80:81]
	s_add_i32 s16, s86, 0xd00
	s_and_b64 vcc, exec, s[74:75]
	s_cbranch_vccnz .LBB873_37
	s_branch .LBB873_90
.LBB873_36:
                                        ; implicit-def: $sgpr52_sgpr53
                                        ; implicit-def: $sgpr54_sgpr55
                                        ; implicit-def: $vgpr59
                                        ; implicit-def: $vgpr57
                                        ; implicit-def: $vgpr55
                                        ; implicit-def: $vgpr53
                                        ; implicit-def: $vgpr51
                                        ; implicit-def: $vgpr49
                                        ; implicit-def: $vgpr47
                                        ; implicit-def: $vgpr45
                                        ; implicit-def: $vgpr43
                                        ; implicit-def: $vgpr37
                                        ; implicit-def: $vgpr39
                                        ; implicit-def: $vgpr41
                                        ; implicit-def: $vgpr44
                                        ; implicit-def: $vgpr46
                                        ; implicit-def: $vgpr48
                                        ; implicit-def: $vgpr50
                                        ; implicit-def: $vgpr52
                                        ; implicit-def: $vgpr54
                                        ; implicit-def: $vgpr56
                                        ; implicit-def: $vgpr58
                                        ; implicit-def: $vgpr60
                                        ; implicit-def: $vgpr38
                                        ; implicit-def: $vgpr40
                                        ; implicit-def: $vgpr42
	s_add_i32 s16, s86, 0xd00
	s_cbranch_execz .LBB873_90
.LBB873_37:
	v_cmp_gt_u32_e32 vcc, s16, v36
	v_mov_b32_e32 v38, 0
	v_mov_b32_e32 v37, 0
	s_and_saveexec_b64 s[6:7], vcc
	s_cbranch_execz .LBB873_41
; %bb.38:
	v_add_u32_e32 v1, s37, v22
	v_add_u32_e32 v6, s39, v22
	v_mul_lo_u32 v1, v1, s36
	v_mul_lo_u32 v6, v6, s38
	v_sub_u32_e32 v1, v1, v6
	v_cmp_lt_u32_e32 vcc, s40, v1
	v_cmp_ge_u32_e64 s[4:5], s40, v1
	s_mov_b64 s[10:11], 0
	s_and_saveexec_b64 s[8:9], s[4:5]
; %bb.39:
	v_add_u32_e32 v1, s42, v22
	v_add_u32_e32 v6, s56, v22
	v_mul_lo_u32 v1, v1, s41
	v_mul_lo_u32 v6, v6, s43
	v_sub_u32_e32 v1, v1, v6
	v_cmp_lt_u32_e64 s[4:5], s57, v1
	s_and_b64 s[10:11], s[4:5], exec
; %bb.40:
	s_or_b64 exec, exec, s[8:9]
	v_cndmask_b32_e64 v37, 0, 1, vcc
	v_cndmask_b32_e64 v38, 0, 1, s[10:11]
.LBB873_41:
	s_or_b64 exec, exec, s[6:7]
	v_add_u32_e32 v1, 1, v36
	v_cmp_gt_u32_e32 vcc, s16, v1
	v_mov_b32_e32 v39, 0
	v_mov_b32_e32 v40, 0
	s_and_saveexec_b64 s[6:7], vcc
	s_cbranch_execz .LBB873_45
; %bb.42:
	v_add_u32_e32 v1, s37, v23
	v_add_u32_e32 v6, s39, v23
	v_mul_lo_u32 v1, v1, s36
	v_mul_lo_u32 v6, v6, s38
	v_sub_u32_e32 v1, v1, v6
	v_cmp_lt_u32_e32 vcc, s40, v1
	v_cmp_ge_u32_e64 s[4:5], s40, v1
	s_mov_b64 s[10:11], 0
	s_and_saveexec_b64 s[8:9], s[4:5]
; %bb.43:
	v_add_u32_e32 v1, s42, v23
	v_add_u32_e32 v6, s56, v23
	v_mul_lo_u32 v1, v1, s41
	v_mul_lo_u32 v6, v6, s43
	v_sub_u32_e32 v1, v1, v6
	v_cmp_lt_u32_e64 s[4:5], s57, v1
	s_and_b64 s[10:11], s[4:5], exec
; %bb.44:
	s_or_b64 exec, exec, s[8:9]
	v_cndmask_b32_e64 v39, 0, 1, vcc
	v_cndmask_b32_e64 v40, 0, 1, s[10:11]
.LBB873_45:
	s_or_b64 exec, exec, s[6:7]
	v_add_u32_e32 v1, 2, v36
	;; [unrolled: 30-line block ×12, first 2 shown]
	v_cmp_gt_u32_e32 vcc, s16, v1
	s_mov_b64 s[52:53], 0
	s_mov_b64 s[54:55], 0
	s_and_saveexec_b64 s[4:5], vcc
	s_cbranch_execz .LBB873_89
; %bb.86:
	v_add_u32_e32 v1, s37, v35
	v_add_u32_e32 v6, s39, v35
	v_mul_lo_u32 v1, v1, s36
	v_mul_lo_u32 v6, v6, s38
	v_sub_u32_e32 v1, v1, v6
	v_cmp_ge_u32_e32 vcc, s40, v1
	s_mov_b64 s[8:9], -1
	s_mov_b64 s[10:11], 0
	s_and_saveexec_b64 s[6:7], vcc
; %bb.87:
	v_add_u32_e32 v1, s42, v35
	v_add_u32_e32 v6, s56, v35
	v_mul_lo_u32 v1, v1, s41
	v_mul_lo_u32 v6, v6, s43
	v_sub_u32_e32 v1, v1, v6
	v_cmp_lt_u32_e32 vcc, s57, v1
	s_and_b64 s[10:11], vcc, exec
	s_xor_b64 s[8:9], exec, -1
; %bb.88:
	s_or_b64 exec, exec, s[6:7]
	s_and_b64 s[54:55], s[10:11], exec
	s_and_b64 s[52:53], s[8:9], exec
.LBB873_89:
	s_or_b64 exec, exec, s[4:5]
.LBB873_90:
	v_and_b32_e32 v68, 0xff, v38
	v_and_b32_e32 v79, 0xff, v40
	;; [unrolled: 1-line block ×5, first 2 shown]
	v_add3_u32 v6, v79, v70, v68
	v_and_b32_e32 v81, 0xff, v47
	v_and_b32_e32 v74, 0xff, v49
	v_add3_u32 v6, v6, v80, v72
	v_and_b32_e32 v67, 0xff, v37
	v_and_b32_e32 v61, 0xff, v39
	;; [unrolled: 1-line block ×5, first 2 shown]
	v_add3_u32 v6, v6, v81, v74
	v_and_b32_e32 v62, 0xff, v44
	v_and_b32_e32 v71, 0xff, v46
	;; [unrolled: 1-line block ×4, first 2 shown]
	v_add3_u32 v7, v61, v69, v67
	v_add3_u32 v6, v6, v82, v76
	v_and_b32_e32 v63, 0xff, v48
	v_and_b32_e32 v73, 0xff, v50
	;; [unrolled: 1-line block ×3, first 2 shown]
	v_cndmask_b32_e64 v1, 0, 1, s[54:55]
	v_add3_u32 v7, v7, v62, v71
	v_add3_u32 v6, v6, v83, v78
	v_and_b32_e32 v64, 0xff, v52
	v_and_b32_e32 v75, 0xff, v54
	v_add3_u32 v7, v7, v63, v73
	v_add3_u32 v91, v6, v84, v1
	v_mbcnt_lo_u32_b32 v1, -1, 0
	v_and_b32_e32 v65, 0xff, v56
	v_and_b32_e32 v77, 0xff, v58
	v_add3_u32 v7, v7, v64, v75
	v_mbcnt_hi_u32_b32 v85, -1, v1
	v_and_b32_e32 v66, 0xff, v60
	v_add3_u32 v7, v7, v65, v77
	v_cndmask_b32_e64 v8, 0, 1, s[52:53]
	v_and_b32_e32 v89, 15, v85
	s_cmp_lg_u32 s33, 0
	v_add3_u32 v90, v7, v66, v8
	v_cmp_eq_u32_e64 s[6:7], 0, v89
	v_cmp_lt_u32_e64 s[4:5], 1, v89
	v_cmp_lt_u32_e64 s[10:11], 3, v89
	v_cmp_lt_u32_e64 s[8:9], 7, v89
	v_and_b32_e32 v88, 16, v85
	v_cmp_lt_u32_e32 vcc, 31, v85
	v_lshrrev_b32_e32 v86, 6, v0
	v_or_b32_e32 v87, 63, v0
	s_cbranch_scc0 .LBB873_119
; %bb.91:
	v_mov_b32_dpp v1, v90 row_shr:1 row_mask:0xf bank_mask:0xf
	v_mov_b32_dpp v6, v91 row_shr:1 row_mask:0xf bank_mask:0xf
	v_add_u32_e32 v1, v1, v90
	v_add_u32_e32 v6, v6, v91
	v_cndmask_b32_e64 v6, v6, v91, s[6:7]
	v_cndmask_b32_e64 v1, v1, v90, s[6:7]
	s_nop 0
	v_mov_b32_dpp v8, v6 row_shr:2 row_mask:0xf bank_mask:0xf
	v_mov_b32_dpp v7, v1 row_shr:2 row_mask:0xf bank_mask:0xf
	v_add_u32_e32 v7, v1, v7
	v_add_u32_e32 v8, v6, v8
	v_cndmask_b32_e64 v6, v6, v8, s[4:5]
	v_cndmask_b32_e64 v1, v1, v7, s[4:5]
	s_nop 0
	;; [unrolled: 7-line block ×3, first 2 shown]
	v_mov_b32_dpp v8, v6 row_shr:8 row_mask:0xf bank_mask:0xf
	v_mov_b32_dpp v7, v1 row_shr:8 row_mask:0xf bank_mask:0xf
	v_add_u32_e32 v7, v1, v7
	v_add_u32_e32 v8, v6, v8
	v_cndmask_b32_e64 v6, v6, v8, s[8:9]
	v_cndmask_b32_e64 v1, v1, v7, s[8:9]
	v_cmp_eq_u32_e64 s[8:9], 0, v88
	v_mov_b32_dpp v8, v6 row_bcast:15 row_mask:0xf bank_mask:0xf
	v_mov_b32_dpp v7, v1 row_bcast:15 row_mask:0xf bank_mask:0xf
	v_add_u32_e32 v7, v1, v7
	v_add_u32_e32 v8, v6, v8
	v_cndmask_b32_e64 v6, v8, v6, s[8:9]
	v_cndmask_b32_e64 v1, v7, v1, s[8:9]
	s_nop 0
	v_mov_b32_dpp v8, v6 row_bcast:31 row_mask:0xf bank_mask:0xf
	v_mov_b32_dpp v7, v1 row_bcast:31 row_mask:0xf bank_mask:0xf
	v_add_u32_e32 v8, v6, v8
	v_add_u32_e32 v9, v1, v7
	v_cndmask_b32_e32 v7, v6, v8, vcc
	v_cndmask_b32_e32 v6, v1, v9, vcc
	v_cmp_eq_u32_e32 vcc, v87, v0
	s_and_saveexec_b64 s[8:9], vcc
	s_cbranch_execz .LBB873_93
; %bb.92:
	v_lshlrev_b32_e32 v1, 3, v86
	ds_write_b64 v1, v[6:7]
.LBB873_93:
	s_or_b64 exec, exec, s[8:9]
	v_cmp_gt_u32_e32 vcc, 4, v0
	s_waitcnt lgkmcnt(0)
	s_barrier
	s_and_saveexec_b64 s[8:9], vcc
	s_cbranch_execz .LBB873_95
; %bb.94:
	v_lshlrev_b32_e32 v1, 3, v0
	ds_read_b64 v[8:9], v1
	v_and_b32_e32 v10, 3, v85
	v_cmp_eq_u32_e32 vcc, 0, v10
	s_waitcnt lgkmcnt(0)
	v_mov_b32_dpp v11, v8 row_shr:1 row_mask:0xf bank_mask:0xf
	v_mov_b32_dpp v24, v9 row_shr:1 row_mask:0xf bank_mask:0xf
	v_add_u32_e32 v11, v11, v8
	v_add_u32_e32 v24, v24, v9
	v_cndmask_b32_e32 v9, v24, v9, vcc
	v_cndmask_b32_e32 v8, v11, v8, vcc
	v_cmp_lt_u32_e32 vcc, 1, v10
	v_mov_b32_dpp v24, v9 row_shr:2 row_mask:0xf bank_mask:0xf
	v_mov_b32_dpp v11, v8 row_shr:2 row_mask:0xf bank_mask:0xf
	v_cndmask_b32_e32 v10, 0, v11, vcc
	v_cndmask_b32_e32 v11, 0, v24, vcc
	v_add_u32_e32 v9, v11, v9
	v_add_u32_e32 v8, v10, v8
	ds_write_b64 v1, v[8:9]
.LBB873_95:
	s_or_b64 exec, exec, s[8:9]
	v_cmp_gt_u32_e32 vcc, 64, v0
	v_cmp_lt_u32_e64 s[8:9], 63, v0
	s_waitcnt lgkmcnt(0)
	s_barrier
	s_waitcnt lgkmcnt(0)
                                        ; implicit-def: $vgpr25
	s_and_saveexec_b64 s[10:11], s[8:9]
	s_xor_b64 s[8:9], exec, s[10:11]
	s_cbranch_execz .LBB873_97
; %bb.96:
	v_lshl_add_u32 v1, v86, 3, -8
	ds_read_b64 v[24:25], v1
	s_waitcnt lgkmcnt(0)
	v_add_u32_e32 v7, v25, v7
	v_add_u32_e32 v6, v24, v6
.LBB873_97:
	s_andn2_saveexec_b64 s[8:9], s[8:9]
; %bb.98:
                                        ; implicit-def: $vgpr24
; %bb.99:
	s_or_b64 exec, exec, s[8:9]
	v_add_u32_e32 v1, -1, v85
	v_and_b32_e32 v8, 64, v85
	v_cmp_lt_i32_e64 s[8:9], v1, v8
	v_cndmask_b32_e64 v1, v1, v85, s[8:9]
	v_lshlrev_b32_e32 v8, 2, v1
	ds_bpermute_b32 v1, v8, v6
	ds_bpermute_b32 v92, v8, v7
	v_cmp_eq_u32_e64 s[8:9], 0, v85
	s_and_saveexec_b64 s[10:11], vcc
	s_cbranch_execz .LBB873_118
; %bb.100:
	v_mov_b32_e32 v11, 0
	ds_read_b64 v[26:27], v11 offset:24
	s_and_saveexec_b64 s[12:13], s[8:9]
	s_cbranch_execz .LBB873_102
; %bb.101:
	s_add_i32 s14, s33, 64
	s_mov_b32 s15, 0
	s_lshl_b64 s[14:15], s[14:15], 4
	s_waitcnt lgkmcnt(0)
	v_and_b32_e32 v6, 0xff000000, v27
	v_and_b32_e32 v7, 0xff0000, v27
	s_add_u32 s14, s50, s14
	v_or_b32_e32 v6, v7, v6
	v_and_b32_e32 v7, 0xff00, v27
	s_addc_u32 s15, s51, s15
	v_or_b32_e32 v6, v6, v7
	v_or_b32_sdwa v9, v6, v27 dst_sel:DWORD dst_unused:UNUSED_PAD src0_sel:DWORD src1_sel:BYTE_0
	v_mov_b32_e32 v10, 1
	v_mov_b32_e32 v8, v26
	v_pk_mov_b32 v[6:7], s[14:15], s[14:15] op_sel:[0,1]
	;;#ASMSTART
	global_store_dwordx4 v[6:7], v[8:11] off	
s_waitcnt vmcnt(0)
	;;#ASMEND
.LBB873_102:
	s_or_b64 exec, exec, s[12:13]
	v_xad_u32 v28, v85, -1, s33
	v_add_u32_e32 v10, 64, v28
	v_lshlrev_b64 v[6:7], 4, v[10:11]
	v_mov_b32_e32 v8, s51
	v_add_co_u32_e32 v30, vcc, s50, v6
	v_addc_co_u32_e32 v31, vcc, v8, v7, vcc
	;;#ASMSTART
	global_load_dwordx4 v[6:9], v[30:31] off glc	
s_waitcnt vmcnt(0)
	;;#ASMEND
	v_and_b32_e32 v9, 0xff, v7
	v_and_b32_e32 v10, 0xff00, v7
	v_or3_b32 v9, 0, v9, v10
	v_or3_b32 v6, v6, 0, 0
	v_and_b32_e32 v10, 0xff000000, v7
	v_and_b32_e32 v7, 0xff0000, v7
	v_or3_b32 v7, v9, v7, v10
	v_or3_b32 v6, v6, 0, 0
	v_cmp_eq_u16_sdwa s[14:15], v8, v11 src0_sel:BYTE_0 src1_sel:DWORD
	s_and_saveexec_b64 s[12:13], s[14:15]
	s_cbranch_execz .LBB873_106
; %bb.103:
	s_mov_b64 s[14:15], 0
	v_mov_b32_e32 v10, 0
.LBB873_104:                            ; =>This Inner Loop Header: Depth=1
	;;#ASMSTART
	global_load_dwordx4 v[6:9], v[30:31] off glc	
s_waitcnt vmcnt(0)
	;;#ASMEND
	v_cmp_ne_u16_sdwa s[18:19], v8, v10 src0_sel:BYTE_0 src1_sel:DWORD
	s_or_b64 s[14:15], s[18:19], s[14:15]
	s_andn2_b64 exec, exec, s[14:15]
	s_cbranch_execnz .LBB873_104
; %bb.105:
	s_or_b64 exec, exec, s[14:15]
.LBB873_106:
	s_or_b64 exec, exec, s[12:13]
	v_and_b32_e32 v94, 63, v85
	v_cmp_ne_u32_e32 vcc, 63, v94
	v_mov_b32_e32 v93, 2
	v_addc_co_u32_e32 v30, vcc, 0, v85, vcc
	v_cmp_eq_u16_sdwa s[12:13], v8, v93 src0_sel:BYTE_0 src1_sel:DWORD
	v_lshlrev_b64 v[10:11], v85, -1
	v_lshlrev_b32_e32 v95, 2, v30
	v_and_b32_e32 v9, s13, v11
	ds_bpermute_b32 v30, v95, v6
	ds_bpermute_b32 v31, v95, v7
	v_or_b32_e32 v9, 0x80000000, v9
	v_and_b32_e32 v29, s12, v10
	v_ffbl_b32_e32 v9, v9
	v_add_u32_e32 v9, 32, v9
	v_ffbl_b32_e32 v29, v29
	v_min_u32_e32 v9, v29, v9
	s_waitcnt lgkmcnt(1)
	v_add_u32_e32 v29, v30, v6
	s_waitcnt lgkmcnt(0)
	v_add_u32_e32 v30, v31, v7
	v_cmp_lt_u32_e32 vcc, v94, v9
	v_cndmask_b32_e32 v7, v7, v30, vcc
	v_cndmask_b32_e32 v6, v6, v29, vcc
	v_cmp_gt_u32_e32 vcc, 62, v94
	v_cndmask_b32_e64 v29, 0, 1, vcc
	v_lshlrev_b32_e32 v29, 1, v29
	v_add_lshl_u32 v96, v29, v85, 2
	ds_bpermute_b32 v29, v96, v6
	ds_bpermute_b32 v30, v96, v7
	v_add_u32_e32 v97, 2, v94
	v_cmp_gt_u32_e32 vcc, v97, v9
	v_add_u32_e32 v99, 4, v94
	s_waitcnt lgkmcnt(1)
	v_add_u32_e32 v29, v6, v29
	s_waitcnt lgkmcnt(0)
	v_add_u32_e32 v30, v7, v30
	v_cndmask_b32_e32 v7, v30, v7, vcc
	v_cndmask_b32_e32 v6, v29, v6, vcc
	v_cmp_gt_u32_e32 vcc, 60, v94
	v_cndmask_b32_e64 v29, 0, 1, vcc
	v_lshlrev_b32_e32 v29, 2, v29
	v_add_lshl_u32 v98, v29, v85, 2
	ds_bpermute_b32 v29, v98, v6
	ds_bpermute_b32 v30, v98, v7
	v_cmp_gt_u32_e32 vcc, v99, v9
	v_add_u32_e32 v101, 8, v94
	v_add_u32_e32 v103, 16, v94
	s_waitcnt lgkmcnt(1)
	v_add_u32_e32 v29, v6, v29
	s_waitcnt lgkmcnt(0)
	v_add_u32_e32 v30, v7, v30
	v_cndmask_b32_e32 v7, v30, v7, vcc
	v_cndmask_b32_e32 v6, v29, v6, vcc
	v_cmp_gt_u32_e32 vcc, 56, v94
	v_cndmask_b32_e64 v29, 0, 1, vcc
	v_lshlrev_b32_e32 v29, 3, v29
	v_add_lshl_u32 v100, v29, v85, 2
	ds_bpermute_b32 v29, v100, v6
	ds_bpermute_b32 v30, v100, v7
	v_cmp_gt_u32_e32 vcc, v101, v9
	v_add_u32_e32 v105, 32, v94
	s_waitcnt lgkmcnt(1)
	v_add_u32_e32 v29, v6, v29
	s_waitcnt lgkmcnt(0)
	v_add_u32_e32 v30, v7, v30
	v_cndmask_b32_e32 v7, v30, v7, vcc
	v_cndmask_b32_e32 v6, v29, v6, vcc
	v_cmp_gt_u32_e32 vcc, 48, v94
	v_cndmask_b32_e64 v29, 0, 1, vcc
	v_lshlrev_b32_e32 v29, 4, v29
	v_add_lshl_u32 v102, v29, v85, 2
	ds_bpermute_b32 v29, v102, v6
	ds_bpermute_b32 v30, v102, v7
	v_cmp_gt_u32_e32 vcc, v103, v9
	s_waitcnt lgkmcnt(1)
	v_add_u32_e32 v29, v6, v29
	s_waitcnt lgkmcnt(0)
	v_add_u32_e32 v30, v7, v30
	v_cndmask_b32_e32 v7, v30, v7, vcc
	v_cndmask_b32_e32 v6, v29, v6, vcc
	v_cmp_gt_u32_e32 vcc, 32, v94
	v_cndmask_b32_e64 v29, 0, 1, vcc
	v_lshlrev_b32_e32 v29, 5, v29
	v_add_lshl_u32 v104, v29, v85, 2
	ds_bpermute_b32 v29, v104, v6
	ds_bpermute_b32 v30, v104, v7
	v_cmp_le_u32_e32 vcc, v105, v9
	s_waitcnt lgkmcnt(1)
	v_cndmask_b32_e32 v9, 0, v29, vcc
	s_waitcnt lgkmcnt(0)
	v_cndmask_b32_e32 v29, 0, v30, vcc
	v_add_u32_e32 v7, v7, v29
	v_add_u32_e32 v6, v6, v9
	v_mov_b32_e32 v29, 0
	s_branch .LBB873_108
.LBB873_107:                            ;   in Loop: Header=BB873_108 Depth=1
	s_or_b64 exec, exec, s[12:13]
	v_cmp_eq_u16_sdwa s[12:13], v8, v93 src0_sel:BYTE_0 src1_sel:DWORD
	v_and_b32_e32 v9, s13, v11
	ds_bpermute_b32 v33, v95, v6
	ds_bpermute_b32 v106, v95, v7
	v_or_b32_e32 v9, 0x80000000, v9
	v_and_b32_e32 v32, s12, v10
	v_ffbl_b32_e32 v9, v9
	v_add_u32_e32 v9, 32, v9
	v_ffbl_b32_e32 v32, v32
	v_min_u32_e32 v9, v32, v9
	s_waitcnt lgkmcnt(1)
	v_add_u32_e32 v32, v33, v6
	s_waitcnt lgkmcnt(0)
	v_add_u32_e32 v33, v106, v7
	v_cmp_lt_u32_e32 vcc, v94, v9
	v_cndmask_b32_e32 v7, v7, v33, vcc
	v_cndmask_b32_e32 v6, v6, v32, vcc
	ds_bpermute_b32 v32, v96, v6
	ds_bpermute_b32 v33, v96, v7
	v_cmp_gt_u32_e32 vcc, v97, v9
	v_subrev_u32_e32 v28, 64, v28
	s_waitcnt lgkmcnt(1)
	v_add_u32_e32 v32, v6, v32
	s_waitcnt lgkmcnt(0)
	v_add_u32_e32 v33, v7, v33
	v_cndmask_b32_e32 v7, v33, v7, vcc
	v_cndmask_b32_e32 v6, v32, v6, vcc
	ds_bpermute_b32 v32, v98, v6
	ds_bpermute_b32 v33, v98, v7
	v_cmp_gt_u32_e32 vcc, v99, v9
	s_waitcnt lgkmcnt(1)
	v_add_u32_e32 v32, v6, v32
	s_waitcnt lgkmcnt(0)
	v_add_u32_e32 v33, v7, v33
	v_cndmask_b32_e32 v7, v33, v7, vcc
	v_cndmask_b32_e32 v6, v32, v6, vcc
	ds_bpermute_b32 v32, v100, v6
	ds_bpermute_b32 v33, v100, v7
	v_cmp_gt_u32_e32 vcc, v101, v9
	;; [unrolled: 9-line block ×3, first 2 shown]
	s_waitcnt lgkmcnt(1)
	v_add_u32_e32 v32, v6, v32
	s_waitcnt lgkmcnt(0)
	v_add_u32_e32 v33, v7, v33
	v_cndmask_b32_e32 v7, v33, v7, vcc
	v_cndmask_b32_e32 v6, v32, v6, vcc
	ds_bpermute_b32 v32, v104, v6
	ds_bpermute_b32 v33, v104, v7
	v_cmp_le_u32_e32 vcc, v105, v9
	s_waitcnt lgkmcnt(1)
	v_cndmask_b32_e32 v9, 0, v32, vcc
	s_waitcnt lgkmcnt(0)
	v_cndmask_b32_e32 v32, 0, v33, vcc
	v_add3_u32 v7, v32, v31, v7
	v_add3_u32 v6, v9, v30, v6
.LBB873_108:                            ; =>This Loop Header: Depth=1
                                        ;     Child Loop BB873_111 Depth 2
	v_cmp_ne_u16_sdwa s[12:13], v8, v93 src0_sel:BYTE_0 src1_sel:DWORD
	v_cndmask_b32_e64 v8, 0, 1, s[12:13]
	;;#ASMSTART
	;;#ASMEND
	v_cmp_ne_u32_e32 vcc, 0, v8
	s_cmp_lg_u64 vcc, exec
	v_pk_mov_b32 v[30:31], v[6:7], v[6:7] op_sel:[0,1]
	s_cbranch_scc1 .LBB873_113
; %bb.109:                              ;   in Loop: Header=BB873_108 Depth=1
	v_lshlrev_b64 v[6:7], 4, v[28:29]
	v_mov_b32_e32 v8, s51
	v_add_co_u32_e32 v32, vcc, s50, v6
	v_addc_co_u32_e32 v33, vcc, v8, v7, vcc
	;;#ASMSTART
	global_load_dwordx4 v[6:9], v[32:33] off glc	
s_waitcnt vmcnt(0)
	;;#ASMEND
	v_and_b32_e32 v9, 0xff, v7
	v_and_b32_e32 v106, 0xff00, v7
	v_or3_b32 v9, 0, v9, v106
	v_or3_b32 v6, v6, 0, 0
	v_and_b32_e32 v106, 0xff000000, v7
	v_and_b32_e32 v7, 0xff0000, v7
	v_or3_b32 v7, v9, v7, v106
	v_or3_b32 v6, v6, 0, 0
	v_cmp_eq_u16_sdwa s[14:15], v8, v29 src0_sel:BYTE_0 src1_sel:DWORD
	s_and_saveexec_b64 s[12:13], s[14:15]
	s_cbranch_execz .LBB873_107
; %bb.110:                              ;   in Loop: Header=BB873_108 Depth=1
	s_mov_b64 s[14:15], 0
.LBB873_111:                            ;   Parent Loop BB873_108 Depth=1
                                        ; =>  This Inner Loop Header: Depth=2
	;;#ASMSTART
	global_load_dwordx4 v[6:9], v[32:33] off glc	
s_waitcnt vmcnt(0)
	;;#ASMEND
	v_cmp_ne_u16_sdwa s[18:19], v8, v29 src0_sel:BYTE_0 src1_sel:DWORD
	s_or_b64 s[14:15], s[18:19], s[14:15]
	s_andn2_b64 exec, exec, s[14:15]
	s_cbranch_execnz .LBB873_111
; %bb.112:                              ;   in Loop: Header=BB873_108 Depth=1
	s_or_b64 exec, exec, s[14:15]
	s_branch .LBB873_107
.LBB873_113:                            ;   in Loop: Header=BB873_108 Depth=1
                                        ; implicit-def: $vgpr8
                                        ; implicit-def: $vgpr6_vgpr7
	s_cbranch_execz .LBB873_108
; %bb.114:
	s_and_saveexec_b64 s[12:13], s[8:9]
	s_cbranch_execz .LBB873_116
; %bb.115:
	s_add_i32 s14, s33, 64
	s_mov_b32 s15, 0
	v_add_u32_e32 v7, v31, v27
	s_lshl_b64 s[14:15], s[14:15], 4
	s_add_u32 s14, s50, s14
	v_and_b32_e32 v8, 0xff000000, v7
	v_and_b32_e32 v10, 0xff0000, v7
	s_addc_u32 s15, s51, s15
	v_or_b32_e32 v8, v10, v8
	v_and_b32_e32 v10, 0xff00, v7
	v_and_b32_e32 v7, 0xff, v7
	v_add_u32_e32 v6, v30, v26
	v_mov_b32_e32 v9, 0
	v_or3_b32 v7, v8, v10, v7
	v_mov_b32_e32 v8, 2
	v_pk_mov_b32 v[10:11], s[14:15], s[14:15] op_sel:[0,1]
	;;#ASMSTART
	global_store_dwordx4 v[10:11], v[6:9] off	
s_waitcnt vmcnt(0)
	;;#ASMEND
	s_movk_i32 s14, 0x3400
	v_add_u32_e64 v6, s14, 0
	ds_write2_b32 v6, v26, v27 offset1:2
	ds_write2_b32 v6, v30, v31 offset0:4 offset1:6
.LBB873_116:
	s_or_b64 exec, exec, s[12:13]
	s_and_b64 exec, exec, s[0:1]
	s_cbranch_execz .LBB873_118
; %bb.117:
	v_mov_b32_e32 v6, 0
	ds_write_b64 v6, v[30:31] offset:24
.LBB873_118:
	s_or_b64 exec, exec, s[10:11]
	v_mov_b32_e32 v6, 0
	s_waitcnt lgkmcnt(0)
	s_barrier
	ds_read_b64 v[10:11], v6 offset:24
	v_cndmask_b32_e64 v25, v92, v25, s[8:9]
	v_cndmask_b32_e64 v1, v1, v24, s[8:9]
	s_movk_i32 s8, 0x3400
	s_waitcnt lgkmcnt(0)
	v_add_u32_e32 v24, v10, v1
	v_add_u32_e64 v1, s8, 0
	s_barrier
	ds_read2_b32 v[6:7], v1 offset1:2
	ds_read2_b32 v[8:9], v1 offset0:4 offset1:6
	v_add_u32_e32 v1, v11, v25
	v_cndmask_b32_e64 v1, v1, v11, s[0:1]
	v_cndmask_b32_e64 v10, v24, v10, s[0:1]
	s_branch .LBB873_129
.LBB873_119:
                                        ; implicit-def: $vgpr1
                                        ; implicit-def: $vgpr8
                                        ; implicit-def: $vgpr6
                                        ; implicit-def: $vgpr10_vgpr11
	s_cbranch_execz .LBB873_129
; %bb.120:
	s_nop 0
	v_mov_b32_dpp v1, v90 row_shr:1 row_mask:0xf bank_mask:0xf
	s_waitcnt lgkmcnt(1)
	v_mov_b32_dpp v6, v91 row_shr:1 row_mask:0xf bank_mask:0xf
	v_add_u32_e32 v1, v1, v90
	v_add_u32_e32 v6, v6, v91
	v_cndmask_b32_e64 v6, v6, v91, s[6:7]
	v_cndmask_b32_e64 v1, v1, v90, s[6:7]
	v_cmp_lt_u32_e32 vcc, 3, v89
	s_waitcnt lgkmcnt(0)
	v_mov_b32_dpp v8, v6 row_shr:2 row_mask:0xf bank_mask:0xf
	v_mov_b32_dpp v7, v1 row_shr:2 row_mask:0xf bank_mask:0xf
	v_add_u32_e32 v7, v1, v7
	v_add_u32_e32 v8, v6, v8
	v_cndmask_b32_e64 v6, v6, v8, s[4:5]
	v_cndmask_b32_e64 v1, v1, v7, s[4:5]
	s_nop 0
	v_mov_b32_dpp v8, v6 row_shr:4 row_mask:0xf bank_mask:0xf
	v_mov_b32_dpp v7, v1 row_shr:4 row_mask:0xf bank_mask:0xf
	v_add_u32_e32 v7, v1, v7
	v_add_u32_e32 v8, v6, v8
	v_cndmask_b32_e32 v6, v6, v8, vcc
	v_cndmask_b32_e32 v1, v1, v7, vcc
	v_cmp_lt_u32_e32 vcc, 7, v89
	v_mov_b32_dpp v8, v6 row_shr:8 row_mask:0xf bank_mask:0xf
	v_mov_b32_dpp v7, v1 row_shr:8 row_mask:0xf bank_mask:0xf
	v_add_u32_e32 v7, v1, v7
	v_add_u32_e32 v8, v6, v8
	v_cndmask_b32_e32 v6, v6, v8, vcc
	v_cndmask_b32_e32 v1, v1, v7, vcc
	v_cmp_eq_u32_e32 vcc, 0, v88
	v_mov_b32_dpp v8, v6 row_bcast:15 row_mask:0xf bank_mask:0xf
	v_mov_b32_dpp v7, v1 row_bcast:15 row_mask:0xf bank_mask:0xf
	v_add_u32_e32 v7, v1, v7
	v_add_u32_e32 v8, v6, v8
	v_cndmask_b32_e32 v6, v8, v6, vcc
	v_cndmask_b32_e32 v1, v7, v1, vcc
	v_cmp_lt_u32_e32 vcc, 31, v85
	v_mov_b32_dpp v8, v6 row_bcast:31 row_mask:0xf bank_mask:0xf
	v_mov_b32_dpp v7, v1 row_bcast:31 row_mask:0xf bank_mask:0xf
	v_add_u32_e32 v8, v6, v8
	v_add_u32_e32 v9, v1, v7
	v_cndmask_b32_e32 v7, v6, v8, vcc
	v_cndmask_b32_e32 v6, v1, v9, vcc
	v_cmp_eq_u32_e32 vcc, v87, v0
	s_and_saveexec_b64 s[4:5], vcc
	s_cbranch_execz .LBB873_122
; %bb.121:
	v_lshlrev_b32_e32 v1, 3, v86
	ds_write_b64 v1, v[6:7]
.LBB873_122:
	s_or_b64 exec, exec, s[4:5]
	v_cmp_gt_u32_e32 vcc, 4, v0
	s_waitcnt lgkmcnt(0)
	s_barrier
	s_and_saveexec_b64 s[4:5], vcc
	s_cbranch_execz .LBB873_124
; %bb.123:
	v_lshlrev_b32_e32 v1, 3, v0
	ds_read_b64 v[8:9], v1
	v_and_b32_e32 v10, 3, v85
	v_cmp_eq_u32_e32 vcc, 0, v10
	s_waitcnt lgkmcnt(0)
	v_mov_b32_dpp v11, v8 row_shr:1 row_mask:0xf bank_mask:0xf
	v_mov_b32_dpp v24, v9 row_shr:1 row_mask:0xf bank_mask:0xf
	v_add_u32_e32 v11, v11, v8
	v_add_u32_e32 v24, v24, v9
	v_cndmask_b32_e32 v9, v24, v9, vcc
	v_cndmask_b32_e32 v8, v11, v8, vcc
	v_cmp_lt_u32_e32 vcc, 1, v10
	v_mov_b32_dpp v24, v9 row_shr:2 row_mask:0xf bank_mask:0xf
	v_mov_b32_dpp v11, v8 row_shr:2 row_mask:0xf bank_mask:0xf
	v_cndmask_b32_e32 v10, 0, v11, vcc
	v_cndmask_b32_e32 v11, 0, v24, vcc
	v_add_u32_e32 v9, v11, v9
	v_add_u32_e32 v8, v10, v8
	ds_write_b64 v1, v[8:9]
.LBB873_124:
	s_or_b64 exec, exec, s[4:5]
	v_cmp_lt_u32_e32 vcc, 63, v0
	v_mov_b32_e32 v8, 0
	v_mov_b32_e32 v10, 0
	;; [unrolled: 1-line block ×3, first 2 shown]
	s_waitcnt lgkmcnt(0)
	s_barrier
	s_and_saveexec_b64 s[4:5], vcc
	s_cbranch_execz .LBB873_126
; %bb.125:
	v_lshl_add_u32 v1, v86, 3, -8
	ds_read_b64 v[10:11], v1
.LBB873_126:
	s_or_b64 exec, exec, s[4:5]
	s_waitcnt lgkmcnt(0)
	v_add_u32_e32 v9, v11, v7
	v_add_u32_e32 v1, v10, v6
	v_add_u32_e32 v6, -1, v85
	v_and_b32_e32 v7, 64, v85
	v_cmp_lt_i32_e32 vcc, v6, v7
	v_cndmask_b32_e32 v6, v6, v85, vcc
	v_lshlrev_b32_e32 v24, 2, v6
	ds_read_b64 v[6:7], v8 offset:24
	ds_bpermute_b32 v1, v24, v1
	ds_bpermute_b32 v24, v24, v9
	s_waitcnt lgkmcnt(2)
	v_readfirstlane_b32 s6, v7
	s_and_saveexec_b64 s[4:5], s[0:1]
	s_cbranch_execz .LBB873_128
; %bb.127:
	s_add_u32 s8, s50, 0x400
	s_mov_b32 s10, 0
	s_addc_u32 s9, s51, 0
	s_and_b32 s11, s6, 0xff000000
	s_and_b32 s13, s6, 0xff0000
	s_mov_b32 s12, s10
	s_or_b64 s[12:13], s[12:13], s[10:11]
	s_and_b32 s11, s6, 0xff00
	s_or_b64 s[12:13], s[12:13], s[10:11]
	s_and_b32 s11, s6, 0xff
	s_or_b64 s[10:11], s[12:13], s[10:11]
	v_mov_b32_e32 v7, s11
	v_mov_b32_e32 v8, 2
	;; [unrolled: 1-line block ×3, first 2 shown]
	v_pk_mov_b32 v[26:27], s[8:9], s[8:9] op_sel:[0,1]
	;;#ASMSTART
	global_store_dwordx4 v[26:27], v[6:9] off	
s_waitcnt vmcnt(0)
	;;#ASMEND
.LBB873_128:
	s_or_b64 exec, exec, s[4:5]
	v_cmp_eq_u32_e32 vcc, 0, v85
	s_waitcnt lgkmcnt(1)
	v_cndmask_b32_e32 v7, v1, v10, vcc
	s_waitcnt lgkmcnt(0)
	v_cndmask_b32_e32 v1, v24, v11, vcc
	v_mov_b32_e32 v8, 0
	v_cndmask_b32_e64 v1, v1, 0, s[0:1]
	v_cndmask_b32_e64 v10, v7, 0, s[0:1]
	s_barrier
	v_mov_b32_e32 v7, s6
	v_mov_b32_e32 v9, 0
.LBB873_129:
	v_add_u32_e32 v11, v10, v67
	v_add_u32_e32 v26, v1, v68
	;; [unrolled: 1-line block ×13, first 2 shown]
	s_waitcnt vmcnt(0) lgkmcnt(0)
	v_add_co_u32_e32 v2, vcc, v2, v8
	v_add_u32_e32 v68, v62, v74
	v_add_u32_e32 v64, v67, v64
	v_addc_co_u32_e32 v3, vcc, 0, v3, vcc
	v_add_u32_e32 v69, v68, v82
	v_add_u32_e32 v70, v64, v75
	v_sub_co_u32_e32 v24, vcc, v4, v6
	v_add_u32_e32 v71, v69, v76
	v_add_u32_e32 v65, v70, v65
	v_subbrev_co_u32_e32 v25, vcc, 0, v5, vcc
	v_lshlrev_b32_e32 v76, 1, v6
	v_sub_u32_e32 v1, v1, v9
	v_add_u32_e32 v73, v65, v77
	v_add_co_u32_e32 v24, vcc, v24, v9
	v_add_u32_e32 v77, v76, v7
	v_sub_u32_e32 v10, v10, v8
	v_add_u32_e32 v1, v1, v6
	v_addc_co_u32_e32 v25, vcc, 0, v25, vcc
	v_add_u32_e32 v36, v77, v36
	v_and_b32_e32 v38, 1, v38
	v_add_u32_e32 v77, v10, v1
	v_and_b32_e32 v37, 1, v37
	v_sub_u32_e32 v77, v36, v77
	v_cmp_eq_u32_e32 vcc, 1, v38
	v_cndmask_b32_e32 v1, v77, v1, vcc
	v_cmp_eq_u32_e32 vcc, 1, v37
	v_cndmask_b32_e32 v1, v1, v10, vcc
	v_lshlrev_b32_e32 v1, 2, v1
	ds_write_b32 v1, v22
	v_sub_u32_e32 v1, v11, v8
	v_sub_u32_e32 v11, v26, v9
	v_add_u32_e32 v11, v11, v6
	v_add_u32_e32 v26, v11, v1
	v_and_b32_e32 v22, 1, v40
	v_sub_u32_e32 v26, v36, v26
	v_and_b32_e32 v10, 1, v39
	v_add_u32_e32 v26, 1, v26
	v_cmp_eq_u32_e32 vcc, 1, v22
	v_cndmask_b32_e32 v11, v26, v11, vcc
	v_cmp_eq_u32_e32 vcc, 1, v10
	v_cndmask_b32_e32 v1, v11, v1, vcc
	v_lshlrev_b32_e32 v1, 2, v1
	v_sub_u32_e32 v11, v27, v9
	ds_write_b32 v1, v23
	v_sub_u32_e32 v1, v28, v8
	v_add_u32_e32 v11, v11, v6
	v_add_u32_e32 v23, v11, v1
	v_and_b32_e32 v22, 1, v42
	v_sub_u32_e32 v23, v36, v23
	v_and_b32_e32 v10, 1, v41
	v_add_u32_e32 v23, 2, v23
	v_cmp_eq_u32_e32 vcc, 1, v22
	v_cndmask_b32_e32 v11, v23, v11, vcc
	v_cmp_eq_u32_e32 vcc, 1, v10
	v_cndmask_b32_e32 v1, v11, v1, vcc
	v_lshlrev_b32_e32 v1, 2, v1
	v_sub_u32_e32 v11, v30, v9
	ds_write_b32 v1, v20
	;; [unrolled: 14-line block ×8, first 2 shown]
	v_sub_u32_e32 v1, v70, v8
	v_add_u32_e32 v11, v11, v6
	v_add_u32_e32 v16, v1, v11
	v_and_b32_e32 v14, 1, v55
	v_sub_u32_e32 v16, v36, v16
	v_and_b32_e32 v10, 1, v56
	v_add_u32_e32 v16, 9, v16
	v_cmp_eq_u32_e32 vcc, 1, v14
	v_cndmask_b32_e32 v11, v16, v11, vcc
	v_cmp_eq_u32_e32 vcc, 1, v10
	v_add_u32_e32 v72, v71, v83
	v_cndmask_b32_e32 v1, v11, v1, vcc
	v_lshlrev_b32_e32 v1, 2, v1
	v_sub_u32_e32 v11, v72, v9
	ds_write_b32 v1, v15
	v_sub_u32_e32 v1, v65, v8
	v_add_u32_e32 v11, v11, v6
	v_add_u32_e32 v15, v1, v11
	v_and_b32_e32 v14, 1, v57
	v_sub_u32_e32 v15, v36, v15
	v_and_b32_e32 v10, 1, v58
	v_add_u32_e32 v15, 10, v15
	v_cmp_eq_u32_e32 vcc, 1, v14
	v_cndmask_b32_e32 v11, v15, v11, vcc
	v_cmp_eq_u32_e32 vcc, 1, v10
	v_add_u32_e32 v74, v72, v78
	v_cndmask_b32_e32 v1, v11, v1, vcc
	v_lshlrev_b32_e32 v1, 2, v1
	v_sub_u32_e32 v11, v74, v9
	ds_write_b32 v1, v12
	v_sub_u32_e32 v1, v73, v8
	v_add_u32_e32 v11, v11, v6
	v_add_u32_e32 v14, v1, v11
	v_and_b32_e32 v12, 1, v59
	v_sub_u32_e32 v14, v36, v14
	v_and_b32_e32 v10, 1, v60
	v_add_u32_e32 v14, 11, v14
	v_cmp_eq_u32_e32 vcc, 1, v12
	v_cndmask_b32_e32 v11, v14, v11, vcc
	v_cmp_eq_u32_e32 vcc, 1, v10
	v_cndmask_b32_e32 v1, v11, v1, vcc
	v_add_u32_e32 v75, v74, v84
	v_add_u32_e32 v66, v73, v66
	v_lshlrev_b32_e32 v1, 2, v1
	ds_write_b32 v1, v13
	v_sub_u32_e32 v1, v66, v8
	v_sub_u32_e32 v8, v75, v9
	v_add_u32_e32 v8, v8, v6
	v_add_u32_e32 v10, v1, v8
	v_sub_u32_e32 v10, v36, v10
	v_add_u32_e32 v10, 12, v10
	v_cndmask_b32_e64 v8, v10, v8, s[54:55]
	v_cndmask_b32_e64 v1, v8, v1, s[52:53]
	v_lshlrev_b32_e32 v1, 2, v1
	ds_write_b32 v1, v35
	v_mov_b32_e32 v1, s49
	v_add_co_u32_e32 v8, vcc, s48, v34
	v_addc_co_u32_e32 v10, vcc, 0, v1, vcc
	v_add_co_u32_e32 v1, vcc, v7, v76
	v_addc_co_u32_e64 v11, s[4:5], 0, 0, vcc
	v_add_co_u32_e32 v1, vcc, v1, v24
	v_addc_co_u32_e32 v11, vcc, v11, v25, vcc
	v_add_co_u32_e32 v1, vcc, v1, v2
	v_addc_co_u32_e32 v11, vcc, v11, v3, vcc
	v_sub_co_u32_e32 v1, vcc, v8, v1
	v_subb_co_u32_e32 v8, vcc, v10, v11, vcc
	v_lshlrev_b64 v[10:11], 2, v[24:25]
	v_mov_b32_e32 v12, s47
	v_add_co_u32_e32 v10, vcc, s46, v10
	v_addc_co_u32_e32 v11, vcc, v12, v11, vcc
	v_lshlrev_b64 v[12:13], 2, v[2:3]
	v_mov_b32_e32 v15, s45
	v_add_co_u32_e32 v12, vcc, s44, v12
	s_add_u32 s8, s34, -4
	v_addc_co_u32_e32 v13, vcc, v15, v13, vcc
	s_addc_u32 s9, s35, -1
	v_add_u32_e32 v14, v6, v7
	s_and_b64 vcc, exec, s[2:3]
	s_mov_b64 s[2:3], -1
	s_waitcnt lgkmcnt(0)
	s_barrier
	s_cbranch_vccz .LBB873_133
; %bb.130:
	s_and_b64 vcc, exec, s[2:3]
	s_cbranch_vccnz .LBB873_238
.LBB873_131:
	s_and_b64 s[0:1], s[0:1], s[30:31]
	s_and_saveexec_b64 s[2:3], s[0:1]
	s_cbranch_execnz .LBB873_356
.LBB873_132:
	s_endpgm
.LBB873_133:
	v_cmp_le_u32_e32 vcc, v6, v0
	s_and_saveexec_b64 s[2:3], vcc
	s_xor_b64 s[2:3], exec, s[2:3]
	s_cbranch_execz .LBB873_139
; %bb.134:
	v_cmp_le_u32_e32 vcc, v14, v0
	s_and_saveexec_b64 s[4:5], vcc
	s_xor_b64 s[4:5], exec, s[4:5]
	s_cbranch_execz .LBB873_136
; %bb.135:
	v_lshlrev_b32_e32 v15, 2, v0
	v_add_co_u32_e32 v16, vcc, v1, v0
	ds_read_b32 v15, v15
	v_addc_co_u32_e32 v17, vcc, 0, v8, vcc
	v_lshlrev_b64 v[16:17], 2, v[16:17]
	v_mov_b32_e32 v18, s35
	v_sub_co_u32_e32 v16, vcc, s34, v16
	v_subb_co_u32_e32 v17, vcc, v18, v17, vcc
	s_waitcnt lgkmcnt(0)
	global_store_dword v[16:17], v15, off offset:-4
.LBB873_136:
	s_andn2_saveexec_b64 s[4:5], s[4:5]
	s_cbranch_execz .LBB873_138
; %bb.137:
	v_lshlrev_b32_e32 v15, 2, v0
	ds_read_b32 v16, v15
	v_readfirstlane_b32 s6, v10
	v_readfirstlane_b32 s7, v11
	s_waitcnt lgkmcnt(0)
	s_nop 3
	global_store_dword v15, v16, s[6:7]
.LBB873_138:
	s_or_b64 exec, exec, s[4:5]
.LBB873_139:
	s_andn2_saveexec_b64 s[2:3], s[2:3]
	s_cbranch_execz .LBB873_141
; %bb.140:
	v_lshlrev_b32_e32 v15, 2, v0
	ds_read_b32 v16, v15
	v_readfirstlane_b32 s4, v12
	v_readfirstlane_b32 s5, v13
	s_waitcnt lgkmcnt(0)
	s_nop 3
	global_store_dword v15, v16, s[4:5]
.LBB873_141:
	s_or_b64 exec, exec, s[2:3]
	v_or_b32_e32 v15, 0x100, v0
	v_cmp_le_u32_e32 vcc, v6, v15
	s_and_saveexec_b64 s[2:3], vcc
	s_xor_b64 s[2:3], exec, s[2:3]
	s_cbranch_execz .LBB873_147
; %bb.142:
	v_cmp_le_u32_e32 vcc, v14, v15
	s_and_saveexec_b64 s[4:5], vcc
	s_xor_b64 s[4:5], exec, s[4:5]
	s_cbranch_execz .LBB873_144
; %bb.143:
	v_lshlrev_b32_e32 v15, 2, v0
	ds_read_b32 v15, v15 offset:1024
	v_add_co_u32_e32 v16, vcc, v1, v0
	v_addc_co_u32_e32 v17, vcc, 0, v8, vcc
	v_lshlrev_b64 v[16:17], 2, v[16:17]
	v_mov_b32_e32 v18, s9
	v_sub_co_u32_e32 v16, vcc, s8, v16
	v_subb_co_u32_e32 v17, vcc, v18, v17, vcc
	s_waitcnt lgkmcnt(0)
	global_store_dword v[16:17], v15, off offset:-1024
.LBB873_144:
	s_andn2_saveexec_b64 s[4:5], s[4:5]
	s_cbranch_execz .LBB873_146
; %bb.145:
	v_lshlrev_b32_e32 v15, 2, v0
	ds_read_b32 v16, v15 offset:1024
	v_readfirstlane_b32 s6, v10
	v_readfirstlane_b32 s7, v11
	s_waitcnt lgkmcnt(0)
	s_nop 3
	global_store_dword v15, v16, s[6:7] offset:1024
.LBB873_146:
	s_or_b64 exec, exec, s[4:5]
.LBB873_147:
	s_andn2_saveexec_b64 s[2:3], s[2:3]
	s_cbranch_execz .LBB873_149
; %bb.148:
	v_lshlrev_b32_e32 v15, 2, v0
	ds_read_b32 v16, v15 offset:1024
	v_readfirstlane_b32 s4, v12
	v_readfirstlane_b32 s5, v13
	s_waitcnt lgkmcnt(0)
	s_nop 3
	global_store_dword v15, v16, s[4:5] offset:1024
.LBB873_149:
	s_or_b64 exec, exec, s[2:3]
	v_or_b32_e32 v15, 0x200, v0
	v_cmp_le_u32_e32 vcc, v6, v15
	s_and_saveexec_b64 s[2:3], vcc
	s_xor_b64 s[2:3], exec, s[2:3]
	s_cbranch_execz .LBB873_155
; %bb.150:
	v_cmp_le_u32_e32 vcc, v14, v15
	s_and_saveexec_b64 s[4:5], vcc
	s_xor_b64 s[4:5], exec, s[4:5]
	s_cbranch_execz .LBB873_152
; %bb.151:
	v_lshlrev_b32_e32 v15, 2, v0
	ds_read_b32 v15, v15 offset:2048
	v_add_co_u32_e32 v16, vcc, v1, v0
	v_addc_co_u32_e32 v17, vcc, 0, v8, vcc
	v_lshlrev_b64 v[16:17], 2, v[16:17]
	v_mov_b32_e32 v18, s9
	v_sub_co_u32_e32 v16, vcc, s8, v16
	v_subb_co_u32_e32 v17, vcc, v18, v17, vcc
	s_waitcnt lgkmcnt(0)
	global_store_dword v[16:17], v15, off offset:-2048
.LBB873_152:
	s_andn2_saveexec_b64 s[4:5], s[4:5]
	s_cbranch_execz .LBB873_154
; %bb.153:
	v_lshlrev_b32_e32 v15, 2, v0
	ds_read_b32 v16, v15 offset:2048
	v_readfirstlane_b32 s6, v10
	v_readfirstlane_b32 s7, v11
	s_waitcnt lgkmcnt(0)
	s_nop 3
	global_store_dword v15, v16, s[6:7] offset:2048
.LBB873_154:
	s_or_b64 exec, exec, s[4:5]
.LBB873_155:
	s_andn2_saveexec_b64 s[2:3], s[2:3]
	s_cbranch_execz .LBB873_157
; %bb.156:
	v_lshlrev_b32_e32 v15, 2, v0
	ds_read_b32 v16, v15 offset:2048
	v_readfirstlane_b32 s4, v12
	v_readfirstlane_b32 s5, v13
	s_waitcnt lgkmcnt(0)
	s_nop 3
	global_store_dword v15, v16, s[4:5] offset:2048
.LBB873_157:
	;; [unrolled: 47-line block ×3, first 2 shown]
	s_or_b64 exec, exec, s[2:3]
	v_or_b32_e32 v15, 0x400, v0
	v_cmp_le_u32_e32 vcc, v6, v15
	s_and_saveexec_b64 s[2:3], vcc
	s_xor_b64 s[2:3], exec, s[2:3]
	s_cbranch_execz .LBB873_171
; %bb.166:
	v_cmp_le_u32_e32 vcc, v14, v15
	s_and_saveexec_b64 s[4:5], vcc
	s_xor_b64 s[4:5], exec, s[4:5]
	s_cbranch_execz .LBB873_168
; %bb.167:
	v_lshlrev_b32_e32 v15, 2, v0
	ds_read_b32 v15, v15 offset:4096
	v_add_co_u32_e32 v16, vcc, v1, v0
	v_addc_co_u32_e32 v17, vcc, 0, v8, vcc
	v_lshlrev_b64 v[16:17], 2, v[16:17]
	v_mov_b32_e32 v18, s9
	v_sub_co_u32_e32 v16, vcc, s8, v16
	v_subb_co_u32_e32 v17, vcc, v18, v17, vcc
	s_waitcnt lgkmcnt(0)
	global_store_dword v[16:17], v15, off offset:-4096
                                        ; implicit-def: $vgpr15
.LBB873_168:
	s_andn2_saveexec_b64 s[4:5], s[4:5]
	s_cbranch_execz .LBB873_170
; %bb.169:
	v_lshlrev_b32_e32 v16, 2, v0
	ds_read_b32 v16, v16 offset:4096
	v_lshlrev_b32_e32 v15, 2, v15
	v_readfirstlane_b32 s6, v10
	v_readfirstlane_b32 s7, v11
	s_waitcnt lgkmcnt(0)
	s_nop 3
	global_store_dword v15, v16, s[6:7]
.LBB873_170:
	s_or_b64 exec, exec, s[4:5]
                                        ; implicit-def: $vgpr15
.LBB873_171:
	s_andn2_saveexec_b64 s[2:3], s[2:3]
	s_cbranch_execz .LBB873_173
; %bb.172:
	v_lshlrev_b32_e32 v16, 2, v0
	ds_read_b32 v16, v16 offset:4096
	v_lshlrev_b32_e32 v15, 2, v15
	v_readfirstlane_b32 s4, v12
	v_readfirstlane_b32 s5, v13
	s_waitcnt lgkmcnt(0)
	s_nop 3
	global_store_dword v15, v16, s[4:5]
.LBB873_173:
	s_or_b64 exec, exec, s[2:3]
	v_or_b32_e32 v15, 0x500, v0
	v_cmp_le_u32_e32 vcc, v6, v15
	s_and_saveexec_b64 s[2:3], vcc
	s_xor_b64 s[2:3], exec, s[2:3]
	s_cbranch_execz .LBB873_179
; %bb.174:
	v_cmp_le_u32_e32 vcc, v14, v15
	s_and_saveexec_b64 s[4:5], vcc
	s_xor_b64 s[4:5], exec, s[4:5]
	s_cbranch_execz .LBB873_176
; %bb.175:
	v_add_co_u32_e32 v16, vcc, v1, v15
	v_lshlrev_b32_e32 v15, 2, v0
	ds_read_b32 v15, v15 offset:5120
	v_addc_co_u32_e32 v17, vcc, 0, v8, vcc
	v_lshlrev_b64 v[16:17], 2, v[16:17]
	v_mov_b32_e32 v18, s9
	v_sub_co_u32_e32 v16, vcc, s8, v16
	v_subb_co_u32_e32 v17, vcc, v18, v17, vcc
	s_waitcnt lgkmcnt(0)
	global_store_dword v[16:17], v15, off
                                        ; implicit-def: $vgpr15
.LBB873_176:
	s_andn2_saveexec_b64 s[4:5], s[4:5]
	s_cbranch_execz .LBB873_178
; %bb.177:
	v_lshlrev_b32_e32 v16, 2, v0
	ds_read_b32 v16, v16 offset:5120
	v_lshlrev_b32_e32 v15, 2, v15
	v_readfirstlane_b32 s6, v10
	v_readfirstlane_b32 s7, v11
	s_waitcnt lgkmcnt(0)
	s_nop 3
	global_store_dword v15, v16, s[6:7]
.LBB873_178:
	s_or_b64 exec, exec, s[4:5]
                                        ; implicit-def: $vgpr15
.LBB873_179:
	s_andn2_saveexec_b64 s[2:3], s[2:3]
	s_cbranch_execz .LBB873_181
; %bb.180:
	v_lshlrev_b32_e32 v16, 2, v0
	ds_read_b32 v16, v16 offset:5120
	v_lshlrev_b32_e32 v15, 2, v15
	v_readfirstlane_b32 s4, v12
	v_readfirstlane_b32 s5, v13
	s_waitcnt lgkmcnt(0)
	s_nop 3
	global_store_dword v15, v16, s[4:5]
.LBB873_181:
	s_or_b64 exec, exec, s[2:3]
	v_or_b32_e32 v15, 0x600, v0
	v_cmp_le_u32_e32 vcc, v6, v15
	s_and_saveexec_b64 s[2:3], vcc
	s_xor_b64 s[2:3], exec, s[2:3]
	s_cbranch_execz .LBB873_187
; %bb.182:
	v_cmp_le_u32_e32 vcc, v14, v15
	s_and_saveexec_b64 s[4:5], vcc
	s_xor_b64 s[4:5], exec, s[4:5]
	s_cbranch_execz .LBB873_184
; %bb.183:
	v_add_co_u32_e32 v16, vcc, v1, v15
	v_lshlrev_b32_e32 v15, 2, v0
	ds_read_b32 v15, v15 offset:6144
	v_addc_co_u32_e32 v17, vcc, 0, v8, vcc
	v_lshlrev_b64 v[16:17], 2, v[16:17]
	v_mov_b32_e32 v18, s9
	v_sub_co_u32_e32 v16, vcc, s8, v16
	v_subb_co_u32_e32 v17, vcc, v18, v17, vcc
	s_waitcnt lgkmcnt(0)
	global_store_dword v[16:17], v15, off
                                        ; implicit-def: $vgpr15
.LBB873_184:
	s_andn2_saveexec_b64 s[4:5], s[4:5]
	s_cbranch_execz .LBB873_186
; %bb.185:
	v_lshlrev_b32_e32 v16, 2, v0
	ds_read_b32 v16, v16 offset:6144
	v_lshlrev_b32_e32 v15, 2, v15
	v_readfirstlane_b32 s6, v10
	v_readfirstlane_b32 s7, v11
	s_waitcnt lgkmcnt(0)
	s_nop 3
	global_store_dword v15, v16, s[6:7]
.LBB873_186:
	s_or_b64 exec, exec, s[4:5]
                                        ; implicit-def: $vgpr15
.LBB873_187:
	;; [unrolled: 51-line block ×8, first 2 shown]
	s_andn2_saveexec_b64 s[2:3], s[2:3]
	s_cbranch_execz .LBB873_237
; %bb.236:
	v_lshlrev_b32_e32 v16, 2, v0
	ds_read_b32 v16, v16 offset:12288
	v_lshlrev_b32_e32 v15, 2, v15
	v_readfirstlane_b32 s4, v12
	v_readfirstlane_b32 s5, v13
	s_waitcnt lgkmcnt(0)
	s_nop 3
	global_store_dword v15, v16, s[4:5]
.LBB873_237:
	s_or_b64 exec, exec, s[2:3]
	s_branch .LBB873_131
.LBB873_238:
	v_cmp_gt_u32_e32 vcc, s16, v0
	s_and_saveexec_b64 s[2:3], vcc
	s_cbranch_execz .LBB873_247
; %bb.239:
	v_cmp_le_u32_e32 vcc, v6, v0
	s_and_saveexec_b64 s[4:5], vcc
	s_xor_b64 s[4:5], exec, s[4:5]
	s_cbranch_execz .LBB873_245
; %bb.240:
	v_cmp_le_u32_e32 vcc, v14, v0
	s_and_saveexec_b64 s[6:7], vcc
	s_xor_b64 s[6:7], exec, s[6:7]
	s_cbranch_execz .LBB873_242
; %bb.241:
	v_lshlrev_b32_e32 v15, 2, v0
	v_add_co_u32_e32 v16, vcc, v1, v0
	ds_read_b32 v15, v15
	v_addc_co_u32_e32 v17, vcc, 0, v8, vcc
	v_lshlrev_b64 v[16:17], 2, v[16:17]
	v_mov_b32_e32 v18, s35
	v_sub_co_u32_e32 v16, vcc, s34, v16
	v_subb_co_u32_e32 v17, vcc, v18, v17, vcc
	s_waitcnt lgkmcnt(0)
	global_store_dword v[16:17], v15, off offset:-4
.LBB873_242:
	s_andn2_saveexec_b64 s[6:7], s[6:7]
	s_cbranch_execz .LBB873_244
; %bb.243:
	v_lshlrev_b32_e32 v15, 2, v0
	ds_read_b32 v16, v15
	v_readfirstlane_b32 s10, v10
	v_readfirstlane_b32 s11, v11
	s_waitcnt lgkmcnt(0)
	s_nop 3
	global_store_dword v15, v16, s[10:11]
.LBB873_244:
	s_or_b64 exec, exec, s[6:7]
.LBB873_245:
	s_andn2_saveexec_b64 s[4:5], s[4:5]
	s_cbranch_execz .LBB873_247
; %bb.246:
	v_lshlrev_b32_e32 v15, 2, v0
	ds_read_b32 v16, v15
	v_readfirstlane_b32 s4, v12
	v_readfirstlane_b32 s5, v13
	s_waitcnt lgkmcnt(0)
	s_nop 3
	global_store_dword v15, v16, s[4:5]
.LBB873_247:
	s_or_b64 exec, exec, s[2:3]
	v_or_b32_e32 v15, 0x100, v0
	v_cmp_gt_u32_e32 vcc, s16, v15
	s_and_saveexec_b64 s[2:3], vcc
	s_cbranch_execz .LBB873_256
; %bb.248:
	v_cmp_le_u32_e32 vcc, v6, v15
	s_and_saveexec_b64 s[4:5], vcc
	s_xor_b64 s[4:5], exec, s[4:5]
	s_cbranch_execz .LBB873_254
; %bb.249:
	v_cmp_le_u32_e32 vcc, v14, v15
	s_and_saveexec_b64 s[6:7], vcc
	s_xor_b64 s[6:7], exec, s[6:7]
	s_cbranch_execz .LBB873_251
; %bb.250:
	v_lshlrev_b32_e32 v15, 2, v0
	ds_read_b32 v15, v15 offset:1024
	v_add_co_u32_e32 v16, vcc, v1, v0
	v_addc_co_u32_e32 v17, vcc, 0, v8, vcc
	v_lshlrev_b64 v[16:17], 2, v[16:17]
	v_mov_b32_e32 v18, s9
	v_sub_co_u32_e32 v16, vcc, s8, v16
	v_subb_co_u32_e32 v17, vcc, v18, v17, vcc
	s_waitcnt lgkmcnt(0)
	global_store_dword v[16:17], v15, off offset:-1024
.LBB873_251:
	s_andn2_saveexec_b64 s[6:7], s[6:7]
	s_cbranch_execz .LBB873_253
; %bb.252:
	v_lshlrev_b32_e32 v15, 2, v0
	ds_read_b32 v16, v15 offset:1024
	v_readfirstlane_b32 s10, v10
	v_readfirstlane_b32 s11, v11
	s_waitcnt lgkmcnt(0)
	s_nop 3
	global_store_dword v15, v16, s[10:11] offset:1024
.LBB873_253:
	s_or_b64 exec, exec, s[6:7]
.LBB873_254:
	s_andn2_saveexec_b64 s[4:5], s[4:5]
	s_cbranch_execz .LBB873_256
; %bb.255:
	v_lshlrev_b32_e32 v15, 2, v0
	ds_read_b32 v16, v15 offset:1024
	v_readfirstlane_b32 s4, v12
	v_readfirstlane_b32 s5, v13
	s_waitcnt lgkmcnt(0)
	s_nop 3
	global_store_dword v15, v16, s[4:5] offset:1024
.LBB873_256:
	s_or_b64 exec, exec, s[2:3]
	v_or_b32_e32 v15, 0x200, v0
	v_cmp_gt_u32_e32 vcc, s16, v15
	s_and_saveexec_b64 s[2:3], vcc
	s_cbranch_execz .LBB873_265
; %bb.257:
	v_cmp_le_u32_e32 vcc, v6, v15
	s_and_saveexec_b64 s[4:5], vcc
	s_xor_b64 s[4:5], exec, s[4:5]
	s_cbranch_execz .LBB873_263
; %bb.258:
	v_cmp_le_u32_e32 vcc, v14, v15
	s_and_saveexec_b64 s[6:7], vcc
	s_xor_b64 s[6:7], exec, s[6:7]
	s_cbranch_execz .LBB873_260
; %bb.259:
	v_lshlrev_b32_e32 v15, 2, v0
	ds_read_b32 v15, v15 offset:2048
	v_add_co_u32_e32 v16, vcc, v1, v0
	v_addc_co_u32_e32 v17, vcc, 0, v8, vcc
	v_lshlrev_b64 v[16:17], 2, v[16:17]
	v_mov_b32_e32 v18, s9
	v_sub_co_u32_e32 v16, vcc, s8, v16
	v_subb_co_u32_e32 v17, vcc, v18, v17, vcc
	s_waitcnt lgkmcnt(0)
	global_store_dword v[16:17], v15, off offset:-2048
.LBB873_260:
	s_andn2_saveexec_b64 s[6:7], s[6:7]
	s_cbranch_execz .LBB873_262
; %bb.261:
	v_lshlrev_b32_e32 v15, 2, v0
	ds_read_b32 v16, v15 offset:2048
	v_readfirstlane_b32 s10, v10
	v_readfirstlane_b32 s11, v11
	s_waitcnt lgkmcnt(0)
	s_nop 3
	global_store_dword v15, v16, s[10:11] offset:2048
.LBB873_262:
	s_or_b64 exec, exec, s[6:7]
.LBB873_263:
	s_andn2_saveexec_b64 s[4:5], s[4:5]
	s_cbranch_execz .LBB873_265
; %bb.264:
	v_lshlrev_b32_e32 v15, 2, v0
	ds_read_b32 v16, v15 offset:2048
	v_readfirstlane_b32 s4, v12
	v_readfirstlane_b32 s5, v13
	s_waitcnt lgkmcnt(0)
	s_nop 3
	global_store_dword v15, v16, s[4:5] offset:2048
.LBB873_265:
	;; [unrolled: 51-line block ×3, first 2 shown]
	s_or_b64 exec, exec, s[2:3]
	v_or_b32_e32 v15, 0x400, v0
	v_cmp_gt_u32_e32 vcc, s16, v15
	s_and_saveexec_b64 s[2:3], vcc
	s_cbranch_execz .LBB873_283
; %bb.275:
	v_cmp_le_u32_e32 vcc, v6, v15
	s_and_saveexec_b64 s[4:5], vcc
	s_xor_b64 s[4:5], exec, s[4:5]
	s_cbranch_execz .LBB873_281
; %bb.276:
	v_cmp_le_u32_e32 vcc, v14, v15
	s_and_saveexec_b64 s[6:7], vcc
	s_xor_b64 s[6:7], exec, s[6:7]
	s_cbranch_execz .LBB873_278
; %bb.277:
	v_lshlrev_b32_e32 v15, 2, v0
	ds_read_b32 v15, v15 offset:4096
	v_add_co_u32_e32 v16, vcc, v1, v0
	v_addc_co_u32_e32 v17, vcc, 0, v8, vcc
	v_lshlrev_b64 v[16:17], 2, v[16:17]
	v_mov_b32_e32 v18, s9
	v_sub_co_u32_e32 v16, vcc, s8, v16
	v_subb_co_u32_e32 v17, vcc, v18, v17, vcc
	s_waitcnt lgkmcnt(0)
	global_store_dword v[16:17], v15, off offset:-4096
                                        ; implicit-def: $vgpr15
.LBB873_278:
	s_andn2_saveexec_b64 s[6:7], s[6:7]
	s_cbranch_execz .LBB873_280
; %bb.279:
	v_lshlrev_b32_e32 v16, 2, v0
	ds_read_b32 v16, v16 offset:4096
	v_lshlrev_b32_e32 v15, 2, v15
	v_readfirstlane_b32 s10, v10
	v_readfirstlane_b32 s11, v11
	s_waitcnt lgkmcnt(0)
	s_nop 3
	global_store_dword v15, v16, s[10:11]
.LBB873_280:
	s_or_b64 exec, exec, s[6:7]
                                        ; implicit-def: $vgpr15
.LBB873_281:
	s_andn2_saveexec_b64 s[4:5], s[4:5]
	s_cbranch_execz .LBB873_283
; %bb.282:
	v_lshlrev_b32_e32 v16, 2, v0
	ds_read_b32 v16, v16 offset:4096
	v_lshlrev_b32_e32 v15, 2, v15
	v_readfirstlane_b32 s4, v12
	v_readfirstlane_b32 s5, v13
	s_waitcnt lgkmcnt(0)
	s_nop 3
	global_store_dword v15, v16, s[4:5]
.LBB873_283:
	s_or_b64 exec, exec, s[2:3]
	v_or_b32_e32 v15, 0x500, v0
	v_cmp_gt_u32_e32 vcc, s16, v15
	s_and_saveexec_b64 s[2:3], vcc
	s_cbranch_execz .LBB873_292
; %bb.284:
	v_cmp_le_u32_e32 vcc, v6, v15
	s_and_saveexec_b64 s[4:5], vcc
	s_xor_b64 s[4:5], exec, s[4:5]
	s_cbranch_execz .LBB873_290
; %bb.285:
	v_cmp_le_u32_e32 vcc, v14, v15
	s_and_saveexec_b64 s[6:7], vcc
	s_xor_b64 s[6:7], exec, s[6:7]
	s_cbranch_execz .LBB873_287
; %bb.286:
	v_add_co_u32_e32 v16, vcc, v1, v15
	v_lshlrev_b32_e32 v15, 2, v0
	ds_read_b32 v15, v15 offset:5120
	v_addc_co_u32_e32 v17, vcc, 0, v8, vcc
	v_lshlrev_b64 v[16:17], 2, v[16:17]
	v_mov_b32_e32 v18, s9
	v_sub_co_u32_e32 v16, vcc, s8, v16
	v_subb_co_u32_e32 v17, vcc, v18, v17, vcc
	s_waitcnt lgkmcnt(0)
	global_store_dword v[16:17], v15, off
                                        ; implicit-def: $vgpr15
.LBB873_287:
	s_andn2_saveexec_b64 s[6:7], s[6:7]
	s_cbranch_execz .LBB873_289
; %bb.288:
	v_lshlrev_b32_e32 v16, 2, v0
	ds_read_b32 v16, v16 offset:5120
	v_lshlrev_b32_e32 v15, 2, v15
	v_readfirstlane_b32 s10, v10
	v_readfirstlane_b32 s11, v11
	s_waitcnt lgkmcnt(0)
	s_nop 3
	global_store_dword v15, v16, s[10:11]
.LBB873_289:
	s_or_b64 exec, exec, s[6:7]
                                        ; implicit-def: $vgpr15
.LBB873_290:
	s_andn2_saveexec_b64 s[4:5], s[4:5]
	s_cbranch_execz .LBB873_292
; %bb.291:
	v_lshlrev_b32_e32 v16, 2, v0
	ds_read_b32 v16, v16 offset:5120
	v_lshlrev_b32_e32 v15, 2, v15
	v_readfirstlane_b32 s4, v12
	v_readfirstlane_b32 s5, v13
	s_waitcnt lgkmcnt(0)
	s_nop 3
	global_store_dword v15, v16, s[4:5]
.LBB873_292:
	s_or_b64 exec, exec, s[2:3]
	v_or_b32_e32 v15, 0x600, v0
	v_cmp_gt_u32_e32 vcc, s16, v15
	s_and_saveexec_b64 s[2:3], vcc
	s_cbranch_execz .LBB873_301
; %bb.293:
	v_cmp_le_u32_e32 vcc, v6, v15
	s_and_saveexec_b64 s[4:5], vcc
	s_xor_b64 s[4:5], exec, s[4:5]
	s_cbranch_execz .LBB873_299
; %bb.294:
	v_cmp_le_u32_e32 vcc, v14, v15
	s_and_saveexec_b64 s[6:7], vcc
	s_xor_b64 s[6:7], exec, s[6:7]
	s_cbranch_execz .LBB873_296
; %bb.295:
	v_add_co_u32_e32 v16, vcc, v1, v15
	v_lshlrev_b32_e32 v15, 2, v0
	ds_read_b32 v15, v15 offset:6144
	v_addc_co_u32_e32 v17, vcc, 0, v8, vcc
	v_lshlrev_b64 v[16:17], 2, v[16:17]
	v_mov_b32_e32 v18, s9
	v_sub_co_u32_e32 v16, vcc, s8, v16
	v_subb_co_u32_e32 v17, vcc, v18, v17, vcc
	s_waitcnt lgkmcnt(0)
	global_store_dword v[16:17], v15, off
                                        ; implicit-def: $vgpr15
.LBB873_296:
	s_andn2_saveexec_b64 s[6:7], s[6:7]
	s_cbranch_execz .LBB873_298
; %bb.297:
	v_lshlrev_b32_e32 v16, 2, v0
	ds_read_b32 v16, v16 offset:6144
	v_lshlrev_b32_e32 v15, 2, v15
	v_readfirstlane_b32 s10, v10
	v_readfirstlane_b32 s11, v11
	s_waitcnt lgkmcnt(0)
	s_nop 3
	global_store_dword v15, v16, s[10:11]
.LBB873_298:
	s_or_b64 exec, exec, s[6:7]
                                        ; implicit-def: $vgpr15
.LBB873_299:
	s_andn2_saveexec_b64 s[4:5], s[4:5]
	s_cbranch_execz .LBB873_301
; %bb.300:
	v_lshlrev_b32_e32 v16, 2, v0
	ds_read_b32 v16, v16 offset:6144
	v_lshlrev_b32_e32 v15, 2, v15
	v_readfirstlane_b32 s4, v12
	v_readfirstlane_b32 s5, v13
	s_waitcnt lgkmcnt(0)
	s_nop 3
	global_store_dword v15, v16, s[4:5]
.LBB873_301:
	s_or_b64 exec, exec, s[2:3]
	v_or_b32_e32 v15, 0x700, v0
	v_cmp_gt_u32_e32 vcc, s16, v15
	s_and_saveexec_b64 s[2:3], vcc
	s_cbranch_execz .LBB873_310
; %bb.302:
	v_cmp_le_u32_e32 vcc, v6, v15
	s_and_saveexec_b64 s[4:5], vcc
	s_xor_b64 s[4:5], exec, s[4:5]
	s_cbranch_execz .LBB873_308
; %bb.303:
	v_cmp_le_u32_e32 vcc, v14, v15
	s_and_saveexec_b64 s[6:7], vcc
	s_xor_b64 s[6:7], exec, s[6:7]
	s_cbranch_execz .LBB873_305
; %bb.304:
	v_add_co_u32_e32 v16, vcc, v1, v15
	v_lshlrev_b32_e32 v15, 2, v0
	ds_read_b32 v15, v15 offset:7168
	v_addc_co_u32_e32 v17, vcc, 0, v8, vcc
	v_lshlrev_b64 v[16:17], 2, v[16:17]
	v_mov_b32_e32 v18, s9
	v_sub_co_u32_e32 v16, vcc, s8, v16
	v_subb_co_u32_e32 v17, vcc, v18, v17, vcc
	s_waitcnt lgkmcnt(0)
	global_store_dword v[16:17], v15, off
                                        ; implicit-def: $vgpr15
.LBB873_305:
	s_andn2_saveexec_b64 s[6:7], s[6:7]
	s_cbranch_execz .LBB873_307
; %bb.306:
	v_lshlrev_b32_e32 v16, 2, v0
	ds_read_b32 v16, v16 offset:7168
	v_lshlrev_b32_e32 v15, 2, v15
	v_readfirstlane_b32 s10, v10
	v_readfirstlane_b32 s11, v11
	s_waitcnt lgkmcnt(0)
	s_nop 3
	global_store_dword v15, v16, s[10:11]
.LBB873_307:
	s_or_b64 exec, exec, s[6:7]
                                        ; implicit-def: $vgpr15
.LBB873_308:
	s_andn2_saveexec_b64 s[4:5], s[4:5]
	s_cbranch_execz .LBB873_310
; %bb.309:
	v_lshlrev_b32_e32 v16, 2, v0
	ds_read_b32 v16, v16 offset:7168
	v_lshlrev_b32_e32 v15, 2, v15
	v_readfirstlane_b32 s4, v12
	v_readfirstlane_b32 s5, v13
	s_waitcnt lgkmcnt(0)
	s_nop 3
	global_store_dword v15, v16, s[4:5]
.LBB873_310:
	s_or_b64 exec, exec, s[2:3]
	v_or_b32_e32 v15, 0x800, v0
	v_cmp_gt_u32_e32 vcc, s16, v15
	s_and_saveexec_b64 s[2:3], vcc
	s_cbranch_execz .LBB873_319
; %bb.311:
	v_cmp_le_u32_e32 vcc, v6, v15
	s_and_saveexec_b64 s[4:5], vcc
	s_xor_b64 s[4:5], exec, s[4:5]
	s_cbranch_execz .LBB873_317
; %bb.312:
	v_cmp_le_u32_e32 vcc, v14, v15
	s_and_saveexec_b64 s[6:7], vcc
	s_xor_b64 s[6:7], exec, s[6:7]
	s_cbranch_execz .LBB873_314
; %bb.313:
	v_add_co_u32_e32 v16, vcc, v1, v15
	v_lshlrev_b32_e32 v15, 2, v0
	ds_read_b32 v15, v15 offset:8192
	v_addc_co_u32_e32 v17, vcc, 0, v8, vcc
	v_lshlrev_b64 v[16:17], 2, v[16:17]
	v_mov_b32_e32 v18, s9
	v_sub_co_u32_e32 v16, vcc, s8, v16
	v_subb_co_u32_e32 v17, vcc, v18, v17, vcc
	s_waitcnt lgkmcnt(0)
	global_store_dword v[16:17], v15, off
                                        ; implicit-def: $vgpr15
.LBB873_314:
	s_andn2_saveexec_b64 s[6:7], s[6:7]
	s_cbranch_execz .LBB873_316
; %bb.315:
	v_lshlrev_b32_e32 v16, 2, v0
	ds_read_b32 v16, v16 offset:8192
	v_lshlrev_b32_e32 v15, 2, v15
	v_readfirstlane_b32 s10, v10
	v_readfirstlane_b32 s11, v11
	s_waitcnt lgkmcnt(0)
	s_nop 3
	global_store_dword v15, v16, s[10:11]
.LBB873_316:
	s_or_b64 exec, exec, s[6:7]
                                        ; implicit-def: $vgpr15
.LBB873_317:
	s_andn2_saveexec_b64 s[4:5], s[4:5]
	s_cbranch_execz .LBB873_319
; %bb.318:
	v_lshlrev_b32_e32 v16, 2, v0
	ds_read_b32 v16, v16 offset:8192
	v_lshlrev_b32_e32 v15, 2, v15
	v_readfirstlane_b32 s4, v12
	v_readfirstlane_b32 s5, v13
	s_waitcnt lgkmcnt(0)
	s_nop 3
	global_store_dword v15, v16, s[4:5]
.LBB873_319:
	s_or_b64 exec, exec, s[2:3]
	v_or_b32_e32 v15, 0x900, v0
	v_cmp_gt_u32_e32 vcc, s16, v15
	s_and_saveexec_b64 s[2:3], vcc
	s_cbranch_execz .LBB873_328
; %bb.320:
	v_cmp_le_u32_e32 vcc, v6, v15
	s_and_saveexec_b64 s[4:5], vcc
	s_xor_b64 s[4:5], exec, s[4:5]
	s_cbranch_execz .LBB873_326
; %bb.321:
	v_cmp_le_u32_e32 vcc, v14, v15
	s_and_saveexec_b64 s[6:7], vcc
	s_xor_b64 s[6:7], exec, s[6:7]
	s_cbranch_execz .LBB873_323
; %bb.322:
	v_add_co_u32_e32 v16, vcc, v1, v15
	v_lshlrev_b32_e32 v15, 2, v0
	ds_read_b32 v15, v15 offset:9216
	v_addc_co_u32_e32 v17, vcc, 0, v8, vcc
	v_lshlrev_b64 v[16:17], 2, v[16:17]
	v_mov_b32_e32 v18, s9
	v_sub_co_u32_e32 v16, vcc, s8, v16
	v_subb_co_u32_e32 v17, vcc, v18, v17, vcc
	s_waitcnt lgkmcnt(0)
	global_store_dword v[16:17], v15, off
                                        ; implicit-def: $vgpr15
.LBB873_323:
	s_andn2_saveexec_b64 s[6:7], s[6:7]
	s_cbranch_execz .LBB873_325
; %bb.324:
	v_lshlrev_b32_e32 v16, 2, v0
	ds_read_b32 v16, v16 offset:9216
	v_lshlrev_b32_e32 v15, 2, v15
	v_readfirstlane_b32 s10, v10
	v_readfirstlane_b32 s11, v11
	s_waitcnt lgkmcnt(0)
	s_nop 3
	global_store_dword v15, v16, s[10:11]
.LBB873_325:
	s_or_b64 exec, exec, s[6:7]
                                        ; implicit-def: $vgpr15
.LBB873_326:
	s_andn2_saveexec_b64 s[4:5], s[4:5]
	s_cbranch_execz .LBB873_328
; %bb.327:
	v_lshlrev_b32_e32 v16, 2, v0
	ds_read_b32 v16, v16 offset:9216
	v_lshlrev_b32_e32 v15, 2, v15
	v_readfirstlane_b32 s4, v12
	v_readfirstlane_b32 s5, v13
	s_waitcnt lgkmcnt(0)
	s_nop 3
	global_store_dword v15, v16, s[4:5]
.LBB873_328:
	s_or_b64 exec, exec, s[2:3]
	v_or_b32_e32 v15, 0xa00, v0
	v_cmp_gt_u32_e32 vcc, s16, v15
	s_and_saveexec_b64 s[2:3], vcc
	s_cbranch_execz .LBB873_337
; %bb.329:
	v_cmp_le_u32_e32 vcc, v6, v15
	s_and_saveexec_b64 s[4:5], vcc
	s_xor_b64 s[4:5], exec, s[4:5]
	s_cbranch_execz .LBB873_335
; %bb.330:
	v_cmp_le_u32_e32 vcc, v14, v15
	s_and_saveexec_b64 s[6:7], vcc
	s_xor_b64 s[6:7], exec, s[6:7]
	s_cbranch_execz .LBB873_332
; %bb.331:
	v_add_co_u32_e32 v16, vcc, v1, v15
	v_lshlrev_b32_e32 v15, 2, v0
	ds_read_b32 v15, v15 offset:10240
	v_addc_co_u32_e32 v17, vcc, 0, v8, vcc
	v_lshlrev_b64 v[16:17], 2, v[16:17]
	v_mov_b32_e32 v18, s9
	v_sub_co_u32_e32 v16, vcc, s8, v16
	v_subb_co_u32_e32 v17, vcc, v18, v17, vcc
	s_waitcnt lgkmcnt(0)
	global_store_dword v[16:17], v15, off
                                        ; implicit-def: $vgpr15
.LBB873_332:
	s_andn2_saveexec_b64 s[6:7], s[6:7]
	s_cbranch_execz .LBB873_334
; %bb.333:
	v_lshlrev_b32_e32 v16, 2, v0
	ds_read_b32 v16, v16 offset:10240
	v_lshlrev_b32_e32 v15, 2, v15
	v_readfirstlane_b32 s10, v10
	v_readfirstlane_b32 s11, v11
	s_waitcnt lgkmcnt(0)
	s_nop 3
	global_store_dword v15, v16, s[10:11]
.LBB873_334:
	s_or_b64 exec, exec, s[6:7]
                                        ; implicit-def: $vgpr15
.LBB873_335:
	s_andn2_saveexec_b64 s[4:5], s[4:5]
	s_cbranch_execz .LBB873_337
; %bb.336:
	v_lshlrev_b32_e32 v16, 2, v0
	ds_read_b32 v16, v16 offset:10240
	v_lshlrev_b32_e32 v15, 2, v15
	v_readfirstlane_b32 s4, v12
	v_readfirstlane_b32 s5, v13
	s_waitcnt lgkmcnt(0)
	s_nop 3
	global_store_dword v15, v16, s[4:5]
.LBB873_337:
	s_or_b64 exec, exec, s[2:3]
	v_or_b32_e32 v15, 0xb00, v0
	v_cmp_gt_u32_e32 vcc, s16, v15
	s_and_saveexec_b64 s[2:3], vcc
	s_cbranch_execz .LBB873_346
; %bb.338:
	v_cmp_le_u32_e32 vcc, v6, v15
	s_and_saveexec_b64 s[4:5], vcc
	s_xor_b64 s[4:5], exec, s[4:5]
	s_cbranch_execz .LBB873_344
; %bb.339:
	v_cmp_le_u32_e32 vcc, v14, v15
	s_and_saveexec_b64 s[6:7], vcc
	s_xor_b64 s[6:7], exec, s[6:7]
	s_cbranch_execz .LBB873_341
; %bb.340:
	v_add_co_u32_e32 v16, vcc, v1, v15
	v_lshlrev_b32_e32 v15, 2, v0
	ds_read_b32 v15, v15 offset:11264
	v_addc_co_u32_e32 v17, vcc, 0, v8, vcc
	v_lshlrev_b64 v[16:17], 2, v[16:17]
	v_mov_b32_e32 v18, s9
	v_sub_co_u32_e32 v16, vcc, s8, v16
	v_subb_co_u32_e32 v17, vcc, v18, v17, vcc
	s_waitcnt lgkmcnt(0)
	global_store_dword v[16:17], v15, off
                                        ; implicit-def: $vgpr15
.LBB873_341:
	s_andn2_saveexec_b64 s[6:7], s[6:7]
	s_cbranch_execz .LBB873_343
; %bb.342:
	v_lshlrev_b32_e32 v16, 2, v0
	ds_read_b32 v16, v16 offset:11264
	v_lshlrev_b32_e32 v15, 2, v15
	v_readfirstlane_b32 s10, v10
	v_readfirstlane_b32 s11, v11
	s_waitcnt lgkmcnt(0)
	s_nop 3
	global_store_dword v15, v16, s[10:11]
.LBB873_343:
	s_or_b64 exec, exec, s[6:7]
                                        ; implicit-def: $vgpr15
.LBB873_344:
	s_andn2_saveexec_b64 s[4:5], s[4:5]
	s_cbranch_execz .LBB873_346
; %bb.345:
	v_lshlrev_b32_e32 v16, 2, v0
	ds_read_b32 v16, v16 offset:11264
	v_lshlrev_b32_e32 v15, 2, v15
	v_readfirstlane_b32 s4, v12
	v_readfirstlane_b32 s5, v13
	s_waitcnt lgkmcnt(0)
	s_nop 3
	global_store_dword v15, v16, s[4:5]
.LBB873_346:
	s_or_b64 exec, exec, s[2:3]
	v_or_b32_e32 v15, 0xc00, v0
	v_cmp_gt_u32_e32 vcc, s16, v15
	s_and_saveexec_b64 s[2:3], vcc
	s_cbranch_execz .LBB873_355
; %bb.347:
	v_cmp_le_u32_e32 vcc, v6, v15
	s_and_saveexec_b64 s[4:5], vcc
	s_xor_b64 s[4:5], exec, s[4:5]
	s_cbranch_execz .LBB873_353
; %bb.348:
	v_cmp_le_u32_e32 vcc, v14, v15
	s_and_saveexec_b64 s[6:7], vcc
	s_xor_b64 s[6:7], exec, s[6:7]
	s_cbranch_execz .LBB873_350
; %bb.349:
	v_add_co_u32_e32 v10, vcc, v1, v15
	v_lshlrev_b32_e32 v0, 2, v0
	v_addc_co_u32_e32 v11, vcc, 0, v8, vcc
	ds_read_b32 v8, v0 offset:12288
	v_lshlrev_b64 v[0:1], 2, v[10:11]
	v_mov_b32_e32 v10, s9
	v_sub_co_u32_e32 v0, vcc, s8, v0
	v_subb_co_u32_e32 v1, vcc, v10, v1, vcc
	s_waitcnt lgkmcnt(0)
	global_store_dword v[0:1], v8, off
                                        ; implicit-def: $vgpr0
                                        ; implicit-def: $vgpr15
                                        ; implicit-def: $vgpr10_vgpr11
.LBB873_350:
	s_andn2_saveexec_b64 s[6:7], s[6:7]
	s_cbranch_execz .LBB873_352
; %bb.351:
	v_lshlrev_b32_e32 v0, 2, v0
	ds_read_b32 v0, v0 offset:12288
	v_lshlrev_b32_e32 v1, 2, v15
	v_readfirstlane_b32 s8, v10
	v_readfirstlane_b32 s9, v11
	s_waitcnt lgkmcnt(0)
	s_nop 3
	global_store_dword v1, v0, s[8:9]
.LBB873_352:
	s_or_b64 exec, exec, s[6:7]
                                        ; implicit-def: $vgpr0
                                        ; implicit-def: $vgpr15
                                        ; implicit-def: $vgpr12_vgpr13
.LBB873_353:
	s_andn2_saveexec_b64 s[4:5], s[4:5]
	s_cbranch_execz .LBB873_355
; %bb.354:
	v_lshlrev_b32_e32 v0, 2, v0
	ds_read_b32 v0, v0 offset:12288
	v_lshlrev_b32_e32 v1, 2, v15
	v_readfirstlane_b32 s4, v12
	v_readfirstlane_b32 s5, v13
	s_waitcnt lgkmcnt(0)
	s_nop 3
	global_store_dword v1, v0, s[4:5]
.LBB873_355:
	s_or_b64 exec, exec, s[2:3]
	s_and_b64 s[0:1], s[0:1], s[30:31]
	s_and_saveexec_b64 s[2:3], s[0:1]
	s_cbranch_execz .LBB873_132
.LBB873_356:
	v_add_co_u32_e32 v0, vcc, v2, v6
	v_addc_co_u32_e32 v1, vcc, 0, v3, vcc
	v_add_co_u32_e32 v2, vcc, v4, v7
	v_addc_co_u32_e32 v3, vcc, 0, v5, vcc
	v_add_co_u32_e32 v2, vcc, v2, v9
	v_mov_b32_e32 v8, 0
	v_addc_co_u32_e32 v3, vcc, 0, v3, vcc
	global_store_dwordx4 v8, v[0:3], s[28:29]
	s_endpgm
	.section	.rodata,"a",@progbits
	.p2align	6, 0x0
	.amdhsa_kernel _ZN7rocprim17ROCPRIM_400000_NS6detail17trampoline_kernelINS0_13select_configILj256ELj13ELNS0_17block_load_methodE3ELS4_3ELS4_3ELNS0_20block_scan_algorithmE0ELj4294967295EEENS1_25partition_config_selectorILNS1_17partition_subalgoE4EjNS0_10empty_typeEbEEZZNS1_14partition_implILS8_4ELb0ES6_15HIP_vector_typeIjLj2EENS0_17counting_iteratorIjlEEPS9_SG_NS0_5tupleIJPjSI_NS0_16reverse_iteratorISI_EEEEENSH_IJSG_SG_SG_EEES9_SI_JZNS1_25segmented_radix_sort_implINS0_14default_configELb1EPKsPsPKlPlN2at6native12_GLOBAL__N_18offset_tEEE10hipError_tPvRmT1_PNSt15iterator_traitsIS12_E10value_typeET2_T3_PNS13_IS18_E10value_typeET4_jRbjT5_S1E_jjP12ihipStream_tbEUljE_ZNSN_ISO_Lb1ESQ_SR_ST_SU_SY_EESZ_S10_S11_S12_S16_S17_S18_S1B_S1C_jS1D_jS1E_S1E_jjS1G_bEUljE0_EEESZ_S10_S11_S18_S1C_S1E_T6_T7_T9_mT8_S1G_bDpT10_ENKUlT_T0_E_clISt17integral_constantIbLb0EES1T_IbLb1EEEEDaS1P_S1Q_EUlS1P_E_NS1_11comp_targetILNS1_3genE4ELNS1_11target_archE910ELNS1_3gpuE8ELNS1_3repE0EEENS1_30default_config_static_selectorELNS0_4arch9wavefront6targetE1EEEvS12_
		.amdhsa_group_segment_fixed_size 13340
		.amdhsa_private_segment_fixed_size 0
		.amdhsa_kernarg_size 184
		.amdhsa_user_sgpr_count 6
		.amdhsa_user_sgpr_private_segment_buffer 1
		.amdhsa_user_sgpr_dispatch_ptr 0
		.amdhsa_user_sgpr_queue_ptr 0
		.amdhsa_user_sgpr_kernarg_segment_ptr 1
		.amdhsa_user_sgpr_dispatch_id 0
		.amdhsa_user_sgpr_flat_scratch_init 0
		.amdhsa_user_sgpr_kernarg_preload_length 0
		.amdhsa_user_sgpr_kernarg_preload_offset 0
		.amdhsa_user_sgpr_private_segment_size 0
		.amdhsa_uses_dynamic_stack 0
		.amdhsa_system_sgpr_private_segment_wavefront_offset 0
		.amdhsa_system_sgpr_workgroup_id_x 1
		.amdhsa_system_sgpr_workgroup_id_y 0
		.amdhsa_system_sgpr_workgroup_id_z 0
		.amdhsa_system_sgpr_workgroup_info 0
		.amdhsa_system_vgpr_workitem_id 0
		.amdhsa_next_free_vgpr 107
		.amdhsa_next_free_sgpr 87
		.amdhsa_accum_offset 108
		.amdhsa_reserve_vcc 1
		.amdhsa_reserve_flat_scratch 0
		.amdhsa_float_round_mode_32 0
		.amdhsa_float_round_mode_16_64 0
		.amdhsa_float_denorm_mode_32 3
		.amdhsa_float_denorm_mode_16_64 3
		.amdhsa_dx10_clamp 1
		.amdhsa_ieee_mode 1
		.amdhsa_fp16_overflow 0
		.amdhsa_tg_split 0
		.amdhsa_exception_fp_ieee_invalid_op 0
		.amdhsa_exception_fp_denorm_src 0
		.amdhsa_exception_fp_ieee_div_zero 0
		.amdhsa_exception_fp_ieee_overflow 0
		.amdhsa_exception_fp_ieee_underflow 0
		.amdhsa_exception_fp_ieee_inexact 0
		.amdhsa_exception_int_div_zero 0
	.end_amdhsa_kernel
	.section	.text._ZN7rocprim17ROCPRIM_400000_NS6detail17trampoline_kernelINS0_13select_configILj256ELj13ELNS0_17block_load_methodE3ELS4_3ELS4_3ELNS0_20block_scan_algorithmE0ELj4294967295EEENS1_25partition_config_selectorILNS1_17partition_subalgoE4EjNS0_10empty_typeEbEEZZNS1_14partition_implILS8_4ELb0ES6_15HIP_vector_typeIjLj2EENS0_17counting_iteratorIjlEEPS9_SG_NS0_5tupleIJPjSI_NS0_16reverse_iteratorISI_EEEEENSH_IJSG_SG_SG_EEES9_SI_JZNS1_25segmented_radix_sort_implINS0_14default_configELb1EPKsPsPKlPlN2at6native12_GLOBAL__N_18offset_tEEE10hipError_tPvRmT1_PNSt15iterator_traitsIS12_E10value_typeET2_T3_PNS13_IS18_E10value_typeET4_jRbjT5_S1E_jjP12ihipStream_tbEUljE_ZNSN_ISO_Lb1ESQ_SR_ST_SU_SY_EESZ_S10_S11_S12_S16_S17_S18_S1B_S1C_jS1D_jS1E_S1E_jjS1G_bEUljE0_EEESZ_S10_S11_S18_S1C_S1E_T6_T7_T9_mT8_S1G_bDpT10_ENKUlT_T0_E_clISt17integral_constantIbLb0EES1T_IbLb1EEEEDaS1P_S1Q_EUlS1P_E_NS1_11comp_targetILNS1_3genE4ELNS1_11target_archE910ELNS1_3gpuE8ELNS1_3repE0EEENS1_30default_config_static_selectorELNS0_4arch9wavefront6targetE1EEEvS12_,"axG",@progbits,_ZN7rocprim17ROCPRIM_400000_NS6detail17trampoline_kernelINS0_13select_configILj256ELj13ELNS0_17block_load_methodE3ELS4_3ELS4_3ELNS0_20block_scan_algorithmE0ELj4294967295EEENS1_25partition_config_selectorILNS1_17partition_subalgoE4EjNS0_10empty_typeEbEEZZNS1_14partition_implILS8_4ELb0ES6_15HIP_vector_typeIjLj2EENS0_17counting_iteratorIjlEEPS9_SG_NS0_5tupleIJPjSI_NS0_16reverse_iteratorISI_EEEEENSH_IJSG_SG_SG_EEES9_SI_JZNS1_25segmented_radix_sort_implINS0_14default_configELb1EPKsPsPKlPlN2at6native12_GLOBAL__N_18offset_tEEE10hipError_tPvRmT1_PNSt15iterator_traitsIS12_E10value_typeET2_T3_PNS13_IS18_E10value_typeET4_jRbjT5_S1E_jjP12ihipStream_tbEUljE_ZNSN_ISO_Lb1ESQ_SR_ST_SU_SY_EESZ_S10_S11_S12_S16_S17_S18_S1B_S1C_jS1D_jS1E_S1E_jjS1G_bEUljE0_EEESZ_S10_S11_S18_S1C_S1E_T6_T7_T9_mT8_S1G_bDpT10_ENKUlT_T0_E_clISt17integral_constantIbLb0EES1T_IbLb1EEEEDaS1P_S1Q_EUlS1P_E_NS1_11comp_targetILNS1_3genE4ELNS1_11target_archE910ELNS1_3gpuE8ELNS1_3repE0EEENS1_30default_config_static_selectorELNS0_4arch9wavefront6targetE1EEEvS12_,comdat
.Lfunc_end873:
	.size	_ZN7rocprim17ROCPRIM_400000_NS6detail17trampoline_kernelINS0_13select_configILj256ELj13ELNS0_17block_load_methodE3ELS4_3ELS4_3ELNS0_20block_scan_algorithmE0ELj4294967295EEENS1_25partition_config_selectorILNS1_17partition_subalgoE4EjNS0_10empty_typeEbEEZZNS1_14partition_implILS8_4ELb0ES6_15HIP_vector_typeIjLj2EENS0_17counting_iteratorIjlEEPS9_SG_NS0_5tupleIJPjSI_NS0_16reverse_iteratorISI_EEEEENSH_IJSG_SG_SG_EEES9_SI_JZNS1_25segmented_radix_sort_implINS0_14default_configELb1EPKsPsPKlPlN2at6native12_GLOBAL__N_18offset_tEEE10hipError_tPvRmT1_PNSt15iterator_traitsIS12_E10value_typeET2_T3_PNS13_IS18_E10value_typeET4_jRbjT5_S1E_jjP12ihipStream_tbEUljE_ZNSN_ISO_Lb1ESQ_SR_ST_SU_SY_EESZ_S10_S11_S12_S16_S17_S18_S1B_S1C_jS1D_jS1E_S1E_jjS1G_bEUljE0_EEESZ_S10_S11_S18_S1C_S1E_T6_T7_T9_mT8_S1G_bDpT10_ENKUlT_T0_E_clISt17integral_constantIbLb0EES1T_IbLb1EEEEDaS1P_S1Q_EUlS1P_E_NS1_11comp_targetILNS1_3genE4ELNS1_11target_archE910ELNS1_3gpuE8ELNS1_3repE0EEENS1_30default_config_static_selectorELNS0_4arch9wavefront6targetE1EEEvS12_, .Lfunc_end873-_ZN7rocprim17ROCPRIM_400000_NS6detail17trampoline_kernelINS0_13select_configILj256ELj13ELNS0_17block_load_methodE3ELS4_3ELS4_3ELNS0_20block_scan_algorithmE0ELj4294967295EEENS1_25partition_config_selectorILNS1_17partition_subalgoE4EjNS0_10empty_typeEbEEZZNS1_14partition_implILS8_4ELb0ES6_15HIP_vector_typeIjLj2EENS0_17counting_iteratorIjlEEPS9_SG_NS0_5tupleIJPjSI_NS0_16reverse_iteratorISI_EEEEENSH_IJSG_SG_SG_EEES9_SI_JZNS1_25segmented_radix_sort_implINS0_14default_configELb1EPKsPsPKlPlN2at6native12_GLOBAL__N_18offset_tEEE10hipError_tPvRmT1_PNSt15iterator_traitsIS12_E10value_typeET2_T3_PNS13_IS18_E10value_typeET4_jRbjT5_S1E_jjP12ihipStream_tbEUljE_ZNSN_ISO_Lb1ESQ_SR_ST_SU_SY_EESZ_S10_S11_S12_S16_S17_S18_S1B_S1C_jS1D_jS1E_S1E_jjS1G_bEUljE0_EEESZ_S10_S11_S18_S1C_S1E_T6_T7_T9_mT8_S1G_bDpT10_ENKUlT_T0_E_clISt17integral_constantIbLb0EES1T_IbLb1EEEEDaS1P_S1Q_EUlS1P_E_NS1_11comp_targetILNS1_3genE4ELNS1_11target_archE910ELNS1_3gpuE8ELNS1_3repE0EEENS1_30default_config_static_selectorELNS0_4arch9wavefront6targetE1EEEvS12_
                                        ; -- End function
	.section	.AMDGPU.csdata,"",@progbits
; Kernel info:
; codeLenInByte = 13432
; NumSgprs: 91
; NumVgprs: 107
; NumAgprs: 0
; TotalNumVgprs: 107
; ScratchSize: 0
; MemoryBound: 0
; FloatMode: 240
; IeeeMode: 1
; LDSByteSize: 13340 bytes/workgroup (compile time only)
; SGPRBlocks: 11
; VGPRBlocks: 13
; NumSGPRsForWavesPerEU: 91
; NumVGPRsForWavesPerEU: 107
; AccumOffset: 108
; Occupancy: 4
; WaveLimiterHint : 1
; COMPUTE_PGM_RSRC2:SCRATCH_EN: 0
; COMPUTE_PGM_RSRC2:USER_SGPR: 6
; COMPUTE_PGM_RSRC2:TRAP_HANDLER: 0
; COMPUTE_PGM_RSRC2:TGID_X_EN: 1
; COMPUTE_PGM_RSRC2:TGID_Y_EN: 0
; COMPUTE_PGM_RSRC2:TGID_Z_EN: 0
; COMPUTE_PGM_RSRC2:TIDIG_COMP_CNT: 0
; COMPUTE_PGM_RSRC3_GFX90A:ACCUM_OFFSET: 26
; COMPUTE_PGM_RSRC3_GFX90A:TG_SPLIT: 0
	.section	.text._ZN7rocprim17ROCPRIM_400000_NS6detail17trampoline_kernelINS0_13select_configILj256ELj13ELNS0_17block_load_methodE3ELS4_3ELS4_3ELNS0_20block_scan_algorithmE0ELj4294967295EEENS1_25partition_config_selectorILNS1_17partition_subalgoE4EjNS0_10empty_typeEbEEZZNS1_14partition_implILS8_4ELb0ES6_15HIP_vector_typeIjLj2EENS0_17counting_iteratorIjlEEPS9_SG_NS0_5tupleIJPjSI_NS0_16reverse_iteratorISI_EEEEENSH_IJSG_SG_SG_EEES9_SI_JZNS1_25segmented_radix_sort_implINS0_14default_configELb1EPKsPsPKlPlN2at6native12_GLOBAL__N_18offset_tEEE10hipError_tPvRmT1_PNSt15iterator_traitsIS12_E10value_typeET2_T3_PNS13_IS18_E10value_typeET4_jRbjT5_S1E_jjP12ihipStream_tbEUljE_ZNSN_ISO_Lb1ESQ_SR_ST_SU_SY_EESZ_S10_S11_S12_S16_S17_S18_S1B_S1C_jS1D_jS1E_S1E_jjS1G_bEUljE0_EEESZ_S10_S11_S18_S1C_S1E_T6_T7_T9_mT8_S1G_bDpT10_ENKUlT_T0_E_clISt17integral_constantIbLb0EES1T_IbLb1EEEEDaS1P_S1Q_EUlS1P_E_NS1_11comp_targetILNS1_3genE3ELNS1_11target_archE908ELNS1_3gpuE7ELNS1_3repE0EEENS1_30default_config_static_selectorELNS0_4arch9wavefront6targetE1EEEvS12_,"axG",@progbits,_ZN7rocprim17ROCPRIM_400000_NS6detail17trampoline_kernelINS0_13select_configILj256ELj13ELNS0_17block_load_methodE3ELS4_3ELS4_3ELNS0_20block_scan_algorithmE0ELj4294967295EEENS1_25partition_config_selectorILNS1_17partition_subalgoE4EjNS0_10empty_typeEbEEZZNS1_14partition_implILS8_4ELb0ES6_15HIP_vector_typeIjLj2EENS0_17counting_iteratorIjlEEPS9_SG_NS0_5tupleIJPjSI_NS0_16reverse_iteratorISI_EEEEENSH_IJSG_SG_SG_EEES9_SI_JZNS1_25segmented_radix_sort_implINS0_14default_configELb1EPKsPsPKlPlN2at6native12_GLOBAL__N_18offset_tEEE10hipError_tPvRmT1_PNSt15iterator_traitsIS12_E10value_typeET2_T3_PNS13_IS18_E10value_typeET4_jRbjT5_S1E_jjP12ihipStream_tbEUljE_ZNSN_ISO_Lb1ESQ_SR_ST_SU_SY_EESZ_S10_S11_S12_S16_S17_S18_S1B_S1C_jS1D_jS1E_S1E_jjS1G_bEUljE0_EEESZ_S10_S11_S18_S1C_S1E_T6_T7_T9_mT8_S1G_bDpT10_ENKUlT_T0_E_clISt17integral_constantIbLb0EES1T_IbLb1EEEEDaS1P_S1Q_EUlS1P_E_NS1_11comp_targetILNS1_3genE3ELNS1_11target_archE908ELNS1_3gpuE7ELNS1_3repE0EEENS1_30default_config_static_selectorELNS0_4arch9wavefront6targetE1EEEvS12_,comdat
	.globl	_ZN7rocprim17ROCPRIM_400000_NS6detail17trampoline_kernelINS0_13select_configILj256ELj13ELNS0_17block_load_methodE3ELS4_3ELS4_3ELNS0_20block_scan_algorithmE0ELj4294967295EEENS1_25partition_config_selectorILNS1_17partition_subalgoE4EjNS0_10empty_typeEbEEZZNS1_14partition_implILS8_4ELb0ES6_15HIP_vector_typeIjLj2EENS0_17counting_iteratorIjlEEPS9_SG_NS0_5tupleIJPjSI_NS0_16reverse_iteratorISI_EEEEENSH_IJSG_SG_SG_EEES9_SI_JZNS1_25segmented_radix_sort_implINS0_14default_configELb1EPKsPsPKlPlN2at6native12_GLOBAL__N_18offset_tEEE10hipError_tPvRmT1_PNSt15iterator_traitsIS12_E10value_typeET2_T3_PNS13_IS18_E10value_typeET4_jRbjT5_S1E_jjP12ihipStream_tbEUljE_ZNSN_ISO_Lb1ESQ_SR_ST_SU_SY_EESZ_S10_S11_S12_S16_S17_S18_S1B_S1C_jS1D_jS1E_S1E_jjS1G_bEUljE0_EEESZ_S10_S11_S18_S1C_S1E_T6_T7_T9_mT8_S1G_bDpT10_ENKUlT_T0_E_clISt17integral_constantIbLb0EES1T_IbLb1EEEEDaS1P_S1Q_EUlS1P_E_NS1_11comp_targetILNS1_3genE3ELNS1_11target_archE908ELNS1_3gpuE7ELNS1_3repE0EEENS1_30default_config_static_selectorELNS0_4arch9wavefront6targetE1EEEvS12_ ; -- Begin function _ZN7rocprim17ROCPRIM_400000_NS6detail17trampoline_kernelINS0_13select_configILj256ELj13ELNS0_17block_load_methodE3ELS4_3ELS4_3ELNS0_20block_scan_algorithmE0ELj4294967295EEENS1_25partition_config_selectorILNS1_17partition_subalgoE4EjNS0_10empty_typeEbEEZZNS1_14partition_implILS8_4ELb0ES6_15HIP_vector_typeIjLj2EENS0_17counting_iteratorIjlEEPS9_SG_NS0_5tupleIJPjSI_NS0_16reverse_iteratorISI_EEEEENSH_IJSG_SG_SG_EEES9_SI_JZNS1_25segmented_radix_sort_implINS0_14default_configELb1EPKsPsPKlPlN2at6native12_GLOBAL__N_18offset_tEEE10hipError_tPvRmT1_PNSt15iterator_traitsIS12_E10value_typeET2_T3_PNS13_IS18_E10value_typeET4_jRbjT5_S1E_jjP12ihipStream_tbEUljE_ZNSN_ISO_Lb1ESQ_SR_ST_SU_SY_EESZ_S10_S11_S12_S16_S17_S18_S1B_S1C_jS1D_jS1E_S1E_jjS1G_bEUljE0_EEESZ_S10_S11_S18_S1C_S1E_T6_T7_T9_mT8_S1G_bDpT10_ENKUlT_T0_E_clISt17integral_constantIbLb0EES1T_IbLb1EEEEDaS1P_S1Q_EUlS1P_E_NS1_11comp_targetILNS1_3genE3ELNS1_11target_archE908ELNS1_3gpuE7ELNS1_3repE0EEENS1_30default_config_static_selectorELNS0_4arch9wavefront6targetE1EEEvS12_
	.p2align	8
	.type	_ZN7rocprim17ROCPRIM_400000_NS6detail17trampoline_kernelINS0_13select_configILj256ELj13ELNS0_17block_load_methodE3ELS4_3ELS4_3ELNS0_20block_scan_algorithmE0ELj4294967295EEENS1_25partition_config_selectorILNS1_17partition_subalgoE4EjNS0_10empty_typeEbEEZZNS1_14partition_implILS8_4ELb0ES6_15HIP_vector_typeIjLj2EENS0_17counting_iteratorIjlEEPS9_SG_NS0_5tupleIJPjSI_NS0_16reverse_iteratorISI_EEEEENSH_IJSG_SG_SG_EEES9_SI_JZNS1_25segmented_radix_sort_implINS0_14default_configELb1EPKsPsPKlPlN2at6native12_GLOBAL__N_18offset_tEEE10hipError_tPvRmT1_PNSt15iterator_traitsIS12_E10value_typeET2_T3_PNS13_IS18_E10value_typeET4_jRbjT5_S1E_jjP12ihipStream_tbEUljE_ZNSN_ISO_Lb1ESQ_SR_ST_SU_SY_EESZ_S10_S11_S12_S16_S17_S18_S1B_S1C_jS1D_jS1E_S1E_jjS1G_bEUljE0_EEESZ_S10_S11_S18_S1C_S1E_T6_T7_T9_mT8_S1G_bDpT10_ENKUlT_T0_E_clISt17integral_constantIbLb0EES1T_IbLb1EEEEDaS1P_S1Q_EUlS1P_E_NS1_11comp_targetILNS1_3genE3ELNS1_11target_archE908ELNS1_3gpuE7ELNS1_3repE0EEENS1_30default_config_static_selectorELNS0_4arch9wavefront6targetE1EEEvS12_,@function
_ZN7rocprim17ROCPRIM_400000_NS6detail17trampoline_kernelINS0_13select_configILj256ELj13ELNS0_17block_load_methodE3ELS4_3ELS4_3ELNS0_20block_scan_algorithmE0ELj4294967295EEENS1_25partition_config_selectorILNS1_17partition_subalgoE4EjNS0_10empty_typeEbEEZZNS1_14partition_implILS8_4ELb0ES6_15HIP_vector_typeIjLj2EENS0_17counting_iteratorIjlEEPS9_SG_NS0_5tupleIJPjSI_NS0_16reverse_iteratorISI_EEEEENSH_IJSG_SG_SG_EEES9_SI_JZNS1_25segmented_radix_sort_implINS0_14default_configELb1EPKsPsPKlPlN2at6native12_GLOBAL__N_18offset_tEEE10hipError_tPvRmT1_PNSt15iterator_traitsIS12_E10value_typeET2_T3_PNS13_IS18_E10value_typeET4_jRbjT5_S1E_jjP12ihipStream_tbEUljE_ZNSN_ISO_Lb1ESQ_SR_ST_SU_SY_EESZ_S10_S11_S12_S16_S17_S18_S1B_S1C_jS1D_jS1E_S1E_jjS1G_bEUljE0_EEESZ_S10_S11_S18_S1C_S1E_T6_T7_T9_mT8_S1G_bDpT10_ENKUlT_T0_E_clISt17integral_constantIbLb0EES1T_IbLb1EEEEDaS1P_S1Q_EUlS1P_E_NS1_11comp_targetILNS1_3genE3ELNS1_11target_archE908ELNS1_3gpuE7ELNS1_3repE0EEENS1_30default_config_static_selectorELNS0_4arch9wavefront6targetE1EEEvS12_: ; @_ZN7rocprim17ROCPRIM_400000_NS6detail17trampoline_kernelINS0_13select_configILj256ELj13ELNS0_17block_load_methodE3ELS4_3ELS4_3ELNS0_20block_scan_algorithmE0ELj4294967295EEENS1_25partition_config_selectorILNS1_17partition_subalgoE4EjNS0_10empty_typeEbEEZZNS1_14partition_implILS8_4ELb0ES6_15HIP_vector_typeIjLj2EENS0_17counting_iteratorIjlEEPS9_SG_NS0_5tupleIJPjSI_NS0_16reverse_iteratorISI_EEEEENSH_IJSG_SG_SG_EEES9_SI_JZNS1_25segmented_radix_sort_implINS0_14default_configELb1EPKsPsPKlPlN2at6native12_GLOBAL__N_18offset_tEEE10hipError_tPvRmT1_PNSt15iterator_traitsIS12_E10value_typeET2_T3_PNS13_IS18_E10value_typeET4_jRbjT5_S1E_jjP12ihipStream_tbEUljE_ZNSN_ISO_Lb1ESQ_SR_ST_SU_SY_EESZ_S10_S11_S12_S16_S17_S18_S1B_S1C_jS1D_jS1E_S1E_jjS1G_bEUljE0_EEESZ_S10_S11_S18_S1C_S1E_T6_T7_T9_mT8_S1G_bDpT10_ENKUlT_T0_E_clISt17integral_constantIbLb0EES1T_IbLb1EEEEDaS1P_S1Q_EUlS1P_E_NS1_11comp_targetILNS1_3genE3ELNS1_11target_archE908ELNS1_3gpuE7ELNS1_3repE0EEENS1_30default_config_static_selectorELNS0_4arch9wavefront6targetE1EEEvS12_
; %bb.0:
	.section	.rodata,"a",@progbits
	.p2align	6, 0x0
	.amdhsa_kernel _ZN7rocprim17ROCPRIM_400000_NS6detail17trampoline_kernelINS0_13select_configILj256ELj13ELNS0_17block_load_methodE3ELS4_3ELS4_3ELNS0_20block_scan_algorithmE0ELj4294967295EEENS1_25partition_config_selectorILNS1_17partition_subalgoE4EjNS0_10empty_typeEbEEZZNS1_14partition_implILS8_4ELb0ES6_15HIP_vector_typeIjLj2EENS0_17counting_iteratorIjlEEPS9_SG_NS0_5tupleIJPjSI_NS0_16reverse_iteratorISI_EEEEENSH_IJSG_SG_SG_EEES9_SI_JZNS1_25segmented_radix_sort_implINS0_14default_configELb1EPKsPsPKlPlN2at6native12_GLOBAL__N_18offset_tEEE10hipError_tPvRmT1_PNSt15iterator_traitsIS12_E10value_typeET2_T3_PNS13_IS18_E10value_typeET4_jRbjT5_S1E_jjP12ihipStream_tbEUljE_ZNSN_ISO_Lb1ESQ_SR_ST_SU_SY_EESZ_S10_S11_S12_S16_S17_S18_S1B_S1C_jS1D_jS1E_S1E_jjS1G_bEUljE0_EEESZ_S10_S11_S18_S1C_S1E_T6_T7_T9_mT8_S1G_bDpT10_ENKUlT_T0_E_clISt17integral_constantIbLb0EES1T_IbLb1EEEEDaS1P_S1Q_EUlS1P_E_NS1_11comp_targetILNS1_3genE3ELNS1_11target_archE908ELNS1_3gpuE7ELNS1_3repE0EEENS1_30default_config_static_selectorELNS0_4arch9wavefront6targetE1EEEvS12_
		.amdhsa_group_segment_fixed_size 0
		.amdhsa_private_segment_fixed_size 0
		.amdhsa_kernarg_size 184
		.amdhsa_user_sgpr_count 6
		.amdhsa_user_sgpr_private_segment_buffer 1
		.amdhsa_user_sgpr_dispatch_ptr 0
		.amdhsa_user_sgpr_queue_ptr 0
		.amdhsa_user_sgpr_kernarg_segment_ptr 1
		.amdhsa_user_sgpr_dispatch_id 0
		.amdhsa_user_sgpr_flat_scratch_init 0
		.amdhsa_user_sgpr_kernarg_preload_length 0
		.amdhsa_user_sgpr_kernarg_preload_offset 0
		.amdhsa_user_sgpr_private_segment_size 0
		.amdhsa_uses_dynamic_stack 0
		.amdhsa_system_sgpr_private_segment_wavefront_offset 0
		.amdhsa_system_sgpr_workgroup_id_x 1
		.amdhsa_system_sgpr_workgroup_id_y 0
		.amdhsa_system_sgpr_workgroup_id_z 0
		.amdhsa_system_sgpr_workgroup_info 0
		.amdhsa_system_vgpr_workitem_id 0
		.amdhsa_next_free_vgpr 1
		.amdhsa_next_free_sgpr 0
		.amdhsa_accum_offset 4
		.amdhsa_reserve_vcc 0
		.amdhsa_reserve_flat_scratch 0
		.amdhsa_float_round_mode_32 0
		.amdhsa_float_round_mode_16_64 0
		.amdhsa_float_denorm_mode_32 3
		.amdhsa_float_denorm_mode_16_64 3
		.amdhsa_dx10_clamp 1
		.amdhsa_ieee_mode 1
		.amdhsa_fp16_overflow 0
		.amdhsa_tg_split 0
		.amdhsa_exception_fp_ieee_invalid_op 0
		.amdhsa_exception_fp_denorm_src 0
		.amdhsa_exception_fp_ieee_div_zero 0
		.amdhsa_exception_fp_ieee_overflow 0
		.amdhsa_exception_fp_ieee_underflow 0
		.amdhsa_exception_fp_ieee_inexact 0
		.amdhsa_exception_int_div_zero 0
	.end_amdhsa_kernel
	.section	.text._ZN7rocprim17ROCPRIM_400000_NS6detail17trampoline_kernelINS0_13select_configILj256ELj13ELNS0_17block_load_methodE3ELS4_3ELS4_3ELNS0_20block_scan_algorithmE0ELj4294967295EEENS1_25partition_config_selectorILNS1_17partition_subalgoE4EjNS0_10empty_typeEbEEZZNS1_14partition_implILS8_4ELb0ES6_15HIP_vector_typeIjLj2EENS0_17counting_iteratorIjlEEPS9_SG_NS0_5tupleIJPjSI_NS0_16reverse_iteratorISI_EEEEENSH_IJSG_SG_SG_EEES9_SI_JZNS1_25segmented_radix_sort_implINS0_14default_configELb1EPKsPsPKlPlN2at6native12_GLOBAL__N_18offset_tEEE10hipError_tPvRmT1_PNSt15iterator_traitsIS12_E10value_typeET2_T3_PNS13_IS18_E10value_typeET4_jRbjT5_S1E_jjP12ihipStream_tbEUljE_ZNSN_ISO_Lb1ESQ_SR_ST_SU_SY_EESZ_S10_S11_S12_S16_S17_S18_S1B_S1C_jS1D_jS1E_S1E_jjS1G_bEUljE0_EEESZ_S10_S11_S18_S1C_S1E_T6_T7_T9_mT8_S1G_bDpT10_ENKUlT_T0_E_clISt17integral_constantIbLb0EES1T_IbLb1EEEEDaS1P_S1Q_EUlS1P_E_NS1_11comp_targetILNS1_3genE3ELNS1_11target_archE908ELNS1_3gpuE7ELNS1_3repE0EEENS1_30default_config_static_selectorELNS0_4arch9wavefront6targetE1EEEvS12_,"axG",@progbits,_ZN7rocprim17ROCPRIM_400000_NS6detail17trampoline_kernelINS0_13select_configILj256ELj13ELNS0_17block_load_methodE3ELS4_3ELS4_3ELNS0_20block_scan_algorithmE0ELj4294967295EEENS1_25partition_config_selectorILNS1_17partition_subalgoE4EjNS0_10empty_typeEbEEZZNS1_14partition_implILS8_4ELb0ES6_15HIP_vector_typeIjLj2EENS0_17counting_iteratorIjlEEPS9_SG_NS0_5tupleIJPjSI_NS0_16reverse_iteratorISI_EEEEENSH_IJSG_SG_SG_EEES9_SI_JZNS1_25segmented_radix_sort_implINS0_14default_configELb1EPKsPsPKlPlN2at6native12_GLOBAL__N_18offset_tEEE10hipError_tPvRmT1_PNSt15iterator_traitsIS12_E10value_typeET2_T3_PNS13_IS18_E10value_typeET4_jRbjT5_S1E_jjP12ihipStream_tbEUljE_ZNSN_ISO_Lb1ESQ_SR_ST_SU_SY_EESZ_S10_S11_S12_S16_S17_S18_S1B_S1C_jS1D_jS1E_S1E_jjS1G_bEUljE0_EEESZ_S10_S11_S18_S1C_S1E_T6_T7_T9_mT8_S1G_bDpT10_ENKUlT_T0_E_clISt17integral_constantIbLb0EES1T_IbLb1EEEEDaS1P_S1Q_EUlS1P_E_NS1_11comp_targetILNS1_3genE3ELNS1_11target_archE908ELNS1_3gpuE7ELNS1_3repE0EEENS1_30default_config_static_selectorELNS0_4arch9wavefront6targetE1EEEvS12_,comdat
.Lfunc_end874:
	.size	_ZN7rocprim17ROCPRIM_400000_NS6detail17trampoline_kernelINS0_13select_configILj256ELj13ELNS0_17block_load_methodE3ELS4_3ELS4_3ELNS0_20block_scan_algorithmE0ELj4294967295EEENS1_25partition_config_selectorILNS1_17partition_subalgoE4EjNS0_10empty_typeEbEEZZNS1_14partition_implILS8_4ELb0ES6_15HIP_vector_typeIjLj2EENS0_17counting_iteratorIjlEEPS9_SG_NS0_5tupleIJPjSI_NS0_16reverse_iteratorISI_EEEEENSH_IJSG_SG_SG_EEES9_SI_JZNS1_25segmented_radix_sort_implINS0_14default_configELb1EPKsPsPKlPlN2at6native12_GLOBAL__N_18offset_tEEE10hipError_tPvRmT1_PNSt15iterator_traitsIS12_E10value_typeET2_T3_PNS13_IS18_E10value_typeET4_jRbjT5_S1E_jjP12ihipStream_tbEUljE_ZNSN_ISO_Lb1ESQ_SR_ST_SU_SY_EESZ_S10_S11_S12_S16_S17_S18_S1B_S1C_jS1D_jS1E_S1E_jjS1G_bEUljE0_EEESZ_S10_S11_S18_S1C_S1E_T6_T7_T9_mT8_S1G_bDpT10_ENKUlT_T0_E_clISt17integral_constantIbLb0EES1T_IbLb1EEEEDaS1P_S1Q_EUlS1P_E_NS1_11comp_targetILNS1_3genE3ELNS1_11target_archE908ELNS1_3gpuE7ELNS1_3repE0EEENS1_30default_config_static_selectorELNS0_4arch9wavefront6targetE1EEEvS12_, .Lfunc_end874-_ZN7rocprim17ROCPRIM_400000_NS6detail17trampoline_kernelINS0_13select_configILj256ELj13ELNS0_17block_load_methodE3ELS4_3ELS4_3ELNS0_20block_scan_algorithmE0ELj4294967295EEENS1_25partition_config_selectorILNS1_17partition_subalgoE4EjNS0_10empty_typeEbEEZZNS1_14partition_implILS8_4ELb0ES6_15HIP_vector_typeIjLj2EENS0_17counting_iteratorIjlEEPS9_SG_NS0_5tupleIJPjSI_NS0_16reverse_iteratorISI_EEEEENSH_IJSG_SG_SG_EEES9_SI_JZNS1_25segmented_radix_sort_implINS0_14default_configELb1EPKsPsPKlPlN2at6native12_GLOBAL__N_18offset_tEEE10hipError_tPvRmT1_PNSt15iterator_traitsIS12_E10value_typeET2_T3_PNS13_IS18_E10value_typeET4_jRbjT5_S1E_jjP12ihipStream_tbEUljE_ZNSN_ISO_Lb1ESQ_SR_ST_SU_SY_EESZ_S10_S11_S12_S16_S17_S18_S1B_S1C_jS1D_jS1E_S1E_jjS1G_bEUljE0_EEESZ_S10_S11_S18_S1C_S1E_T6_T7_T9_mT8_S1G_bDpT10_ENKUlT_T0_E_clISt17integral_constantIbLb0EES1T_IbLb1EEEEDaS1P_S1Q_EUlS1P_E_NS1_11comp_targetILNS1_3genE3ELNS1_11target_archE908ELNS1_3gpuE7ELNS1_3repE0EEENS1_30default_config_static_selectorELNS0_4arch9wavefront6targetE1EEEvS12_
                                        ; -- End function
	.section	.AMDGPU.csdata,"",@progbits
; Kernel info:
; codeLenInByte = 0
; NumSgprs: 4
; NumVgprs: 0
; NumAgprs: 0
; TotalNumVgprs: 0
; ScratchSize: 0
; MemoryBound: 0
; FloatMode: 240
; IeeeMode: 1
; LDSByteSize: 0 bytes/workgroup (compile time only)
; SGPRBlocks: 0
; VGPRBlocks: 0
; NumSGPRsForWavesPerEU: 4
; NumVGPRsForWavesPerEU: 1
; AccumOffset: 4
; Occupancy: 8
; WaveLimiterHint : 0
; COMPUTE_PGM_RSRC2:SCRATCH_EN: 0
; COMPUTE_PGM_RSRC2:USER_SGPR: 6
; COMPUTE_PGM_RSRC2:TRAP_HANDLER: 0
; COMPUTE_PGM_RSRC2:TGID_X_EN: 1
; COMPUTE_PGM_RSRC2:TGID_Y_EN: 0
; COMPUTE_PGM_RSRC2:TGID_Z_EN: 0
; COMPUTE_PGM_RSRC2:TIDIG_COMP_CNT: 0
; COMPUTE_PGM_RSRC3_GFX90A:ACCUM_OFFSET: 0
; COMPUTE_PGM_RSRC3_GFX90A:TG_SPLIT: 0
	.section	.text._ZN7rocprim17ROCPRIM_400000_NS6detail17trampoline_kernelINS0_13select_configILj256ELj13ELNS0_17block_load_methodE3ELS4_3ELS4_3ELNS0_20block_scan_algorithmE0ELj4294967295EEENS1_25partition_config_selectorILNS1_17partition_subalgoE4EjNS0_10empty_typeEbEEZZNS1_14partition_implILS8_4ELb0ES6_15HIP_vector_typeIjLj2EENS0_17counting_iteratorIjlEEPS9_SG_NS0_5tupleIJPjSI_NS0_16reverse_iteratorISI_EEEEENSH_IJSG_SG_SG_EEES9_SI_JZNS1_25segmented_radix_sort_implINS0_14default_configELb1EPKsPsPKlPlN2at6native12_GLOBAL__N_18offset_tEEE10hipError_tPvRmT1_PNSt15iterator_traitsIS12_E10value_typeET2_T3_PNS13_IS18_E10value_typeET4_jRbjT5_S1E_jjP12ihipStream_tbEUljE_ZNSN_ISO_Lb1ESQ_SR_ST_SU_SY_EESZ_S10_S11_S12_S16_S17_S18_S1B_S1C_jS1D_jS1E_S1E_jjS1G_bEUljE0_EEESZ_S10_S11_S18_S1C_S1E_T6_T7_T9_mT8_S1G_bDpT10_ENKUlT_T0_E_clISt17integral_constantIbLb0EES1T_IbLb1EEEEDaS1P_S1Q_EUlS1P_E_NS1_11comp_targetILNS1_3genE2ELNS1_11target_archE906ELNS1_3gpuE6ELNS1_3repE0EEENS1_30default_config_static_selectorELNS0_4arch9wavefront6targetE1EEEvS12_,"axG",@progbits,_ZN7rocprim17ROCPRIM_400000_NS6detail17trampoline_kernelINS0_13select_configILj256ELj13ELNS0_17block_load_methodE3ELS4_3ELS4_3ELNS0_20block_scan_algorithmE0ELj4294967295EEENS1_25partition_config_selectorILNS1_17partition_subalgoE4EjNS0_10empty_typeEbEEZZNS1_14partition_implILS8_4ELb0ES6_15HIP_vector_typeIjLj2EENS0_17counting_iteratorIjlEEPS9_SG_NS0_5tupleIJPjSI_NS0_16reverse_iteratorISI_EEEEENSH_IJSG_SG_SG_EEES9_SI_JZNS1_25segmented_radix_sort_implINS0_14default_configELb1EPKsPsPKlPlN2at6native12_GLOBAL__N_18offset_tEEE10hipError_tPvRmT1_PNSt15iterator_traitsIS12_E10value_typeET2_T3_PNS13_IS18_E10value_typeET4_jRbjT5_S1E_jjP12ihipStream_tbEUljE_ZNSN_ISO_Lb1ESQ_SR_ST_SU_SY_EESZ_S10_S11_S12_S16_S17_S18_S1B_S1C_jS1D_jS1E_S1E_jjS1G_bEUljE0_EEESZ_S10_S11_S18_S1C_S1E_T6_T7_T9_mT8_S1G_bDpT10_ENKUlT_T0_E_clISt17integral_constantIbLb0EES1T_IbLb1EEEEDaS1P_S1Q_EUlS1P_E_NS1_11comp_targetILNS1_3genE2ELNS1_11target_archE906ELNS1_3gpuE6ELNS1_3repE0EEENS1_30default_config_static_selectorELNS0_4arch9wavefront6targetE1EEEvS12_,comdat
	.globl	_ZN7rocprim17ROCPRIM_400000_NS6detail17trampoline_kernelINS0_13select_configILj256ELj13ELNS0_17block_load_methodE3ELS4_3ELS4_3ELNS0_20block_scan_algorithmE0ELj4294967295EEENS1_25partition_config_selectorILNS1_17partition_subalgoE4EjNS0_10empty_typeEbEEZZNS1_14partition_implILS8_4ELb0ES6_15HIP_vector_typeIjLj2EENS0_17counting_iteratorIjlEEPS9_SG_NS0_5tupleIJPjSI_NS0_16reverse_iteratorISI_EEEEENSH_IJSG_SG_SG_EEES9_SI_JZNS1_25segmented_radix_sort_implINS0_14default_configELb1EPKsPsPKlPlN2at6native12_GLOBAL__N_18offset_tEEE10hipError_tPvRmT1_PNSt15iterator_traitsIS12_E10value_typeET2_T3_PNS13_IS18_E10value_typeET4_jRbjT5_S1E_jjP12ihipStream_tbEUljE_ZNSN_ISO_Lb1ESQ_SR_ST_SU_SY_EESZ_S10_S11_S12_S16_S17_S18_S1B_S1C_jS1D_jS1E_S1E_jjS1G_bEUljE0_EEESZ_S10_S11_S18_S1C_S1E_T6_T7_T9_mT8_S1G_bDpT10_ENKUlT_T0_E_clISt17integral_constantIbLb0EES1T_IbLb1EEEEDaS1P_S1Q_EUlS1P_E_NS1_11comp_targetILNS1_3genE2ELNS1_11target_archE906ELNS1_3gpuE6ELNS1_3repE0EEENS1_30default_config_static_selectorELNS0_4arch9wavefront6targetE1EEEvS12_ ; -- Begin function _ZN7rocprim17ROCPRIM_400000_NS6detail17trampoline_kernelINS0_13select_configILj256ELj13ELNS0_17block_load_methodE3ELS4_3ELS4_3ELNS0_20block_scan_algorithmE0ELj4294967295EEENS1_25partition_config_selectorILNS1_17partition_subalgoE4EjNS0_10empty_typeEbEEZZNS1_14partition_implILS8_4ELb0ES6_15HIP_vector_typeIjLj2EENS0_17counting_iteratorIjlEEPS9_SG_NS0_5tupleIJPjSI_NS0_16reverse_iteratorISI_EEEEENSH_IJSG_SG_SG_EEES9_SI_JZNS1_25segmented_radix_sort_implINS0_14default_configELb1EPKsPsPKlPlN2at6native12_GLOBAL__N_18offset_tEEE10hipError_tPvRmT1_PNSt15iterator_traitsIS12_E10value_typeET2_T3_PNS13_IS18_E10value_typeET4_jRbjT5_S1E_jjP12ihipStream_tbEUljE_ZNSN_ISO_Lb1ESQ_SR_ST_SU_SY_EESZ_S10_S11_S12_S16_S17_S18_S1B_S1C_jS1D_jS1E_S1E_jjS1G_bEUljE0_EEESZ_S10_S11_S18_S1C_S1E_T6_T7_T9_mT8_S1G_bDpT10_ENKUlT_T0_E_clISt17integral_constantIbLb0EES1T_IbLb1EEEEDaS1P_S1Q_EUlS1P_E_NS1_11comp_targetILNS1_3genE2ELNS1_11target_archE906ELNS1_3gpuE6ELNS1_3repE0EEENS1_30default_config_static_selectorELNS0_4arch9wavefront6targetE1EEEvS12_
	.p2align	8
	.type	_ZN7rocprim17ROCPRIM_400000_NS6detail17trampoline_kernelINS0_13select_configILj256ELj13ELNS0_17block_load_methodE3ELS4_3ELS4_3ELNS0_20block_scan_algorithmE0ELj4294967295EEENS1_25partition_config_selectorILNS1_17partition_subalgoE4EjNS0_10empty_typeEbEEZZNS1_14partition_implILS8_4ELb0ES6_15HIP_vector_typeIjLj2EENS0_17counting_iteratorIjlEEPS9_SG_NS0_5tupleIJPjSI_NS0_16reverse_iteratorISI_EEEEENSH_IJSG_SG_SG_EEES9_SI_JZNS1_25segmented_radix_sort_implINS0_14default_configELb1EPKsPsPKlPlN2at6native12_GLOBAL__N_18offset_tEEE10hipError_tPvRmT1_PNSt15iterator_traitsIS12_E10value_typeET2_T3_PNS13_IS18_E10value_typeET4_jRbjT5_S1E_jjP12ihipStream_tbEUljE_ZNSN_ISO_Lb1ESQ_SR_ST_SU_SY_EESZ_S10_S11_S12_S16_S17_S18_S1B_S1C_jS1D_jS1E_S1E_jjS1G_bEUljE0_EEESZ_S10_S11_S18_S1C_S1E_T6_T7_T9_mT8_S1G_bDpT10_ENKUlT_T0_E_clISt17integral_constantIbLb0EES1T_IbLb1EEEEDaS1P_S1Q_EUlS1P_E_NS1_11comp_targetILNS1_3genE2ELNS1_11target_archE906ELNS1_3gpuE6ELNS1_3repE0EEENS1_30default_config_static_selectorELNS0_4arch9wavefront6targetE1EEEvS12_,@function
_ZN7rocprim17ROCPRIM_400000_NS6detail17trampoline_kernelINS0_13select_configILj256ELj13ELNS0_17block_load_methodE3ELS4_3ELS4_3ELNS0_20block_scan_algorithmE0ELj4294967295EEENS1_25partition_config_selectorILNS1_17partition_subalgoE4EjNS0_10empty_typeEbEEZZNS1_14partition_implILS8_4ELb0ES6_15HIP_vector_typeIjLj2EENS0_17counting_iteratorIjlEEPS9_SG_NS0_5tupleIJPjSI_NS0_16reverse_iteratorISI_EEEEENSH_IJSG_SG_SG_EEES9_SI_JZNS1_25segmented_radix_sort_implINS0_14default_configELb1EPKsPsPKlPlN2at6native12_GLOBAL__N_18offset_tEEE10hipError_tPvRmT1_PNSt15iterator_traitsIS12_E10value_typeET2_T3_PNS13_IS18_E10value_typeET4_jRbjT5_S1E_jjP12ihipStream_tbEUljE_ZNSN_ISO_Lb1ESQ_SR_ST_SU_SY_EESZ_S10_S11_S12_S16_S17_S18_S1B_S1C_jS1D_jS1E_S1E_jjS1G_bEUljE0_EEESZ_S10_S11_S18_S1C_S1E_T6_T7_T9_mT8_S1G_bDpT10_ENKUlT_T0_E_clISt17integral_constantIbLb0EES1T_IbLb1EEEEDaS1P_S1Q_EUlS1P_E_NS1_11comp_targetILNS1_3genE2ELNS1_11target_archE906ELNS1_3gpuE6ELNS1_3repE0EEENS1_30default_config_static_selectorELNS0_4arch9wavefront6targetE1EEEvS12_: ; @_ZN7rocprim17ROCPRIM_400000_NS6detail17trampoline_kernelINS0_13select_configILj256ELj13ELNS0_17block_load_methodE3ELS4_3ELS4_3ELNS0_20block_scan_algorithmE0ELj4294967295EEENS1_25partition_config_selectorILNS1_17partition_subalgoE4EjNS0_10empty_typeEbEEZZNS1_14partition_implILS8_4ELb0ES6_15HIP_vector_typeIjLj2EENS0_17counting_iteratorIjlEEPS9_SG_NS0_5tupleIJPjSI_NS0_16reverse_iteratorISI_EEEEENSH_IJSG_SG_SG_EEES9_SI_JZNS1_25segmented_radix_sort_implINS0_14default_configELb1EPKsPsPKlPlN2at6native12_GLOBAL__N_18offset_tEEE10hipError_tPvRmT1_PNSt15iterator_traitsIS12_E10value_typeET2_T3_PNS13_IS18_E10value_typeET4_jRbjT5_S1E_jjP12ihipStream_tbEUljE_ZNSN_ISO_Lb1ESQ_SR_ST_SU_SY_EESZ_S10_S11_S12_S16_S17_S18_S1B_S1C_jS1D_jS1E_S1E_jjS1G_bEUljE0_EEESZ_S10_S11_S18_S1C_S1E_T6_T7_T9_mT8_S1G_bDpT10_ENKUlT_T0_E_clISt17integral_constantIbLb0EES1T_IbLb1EEEEDaS1P_S1Q_EUlS1P_E_NS1_11comp_targetILNS1_3genE2ELNS1_11target_archE906ELNS1_3gpuE6ELNS1_3repE0EEENS1_30default_config_static_selectorELNS0_4arch9wavefront6targetE1EEEvS12_
; %bb.0:
	.section	.rodata,"a",@progbits
	.p2align	6, 0x0
	.amdhsa_kernel _ZN7rocprim17ROCPRIM_400000_NS6detail17trampoline_kernelINS0_13select_configILj256ELj13ELNS0_17block_load_methodE3ELS4_3ELS4_3ELNS0_20block_scan_algorithmE0ELj4294967295EEENS1_25partition_config_selectorILNS1_17partition_subalgoE4EjNS0_10empty_typeEbEEZZNS1_14partition_implILS8_4ELb0ES6_15HIP_vector_typeIjLj2EENS0_17counting_iteratorIjlEEPS9_SG_NS0_5tupleIJPjSI_NS0_16reverse_iteratorISI_EEEEENSH_IJSG_SG_SG_EEES9_SI_JZNS1_25segmented_radix_sort_implINS0_14default_configELb1EPKsPsPKlPlN2at6native12_GLOBAL__N_18offset_tEEE10hipError_tPvRmT1_PNSt15iterator_traitsIS12_E10value_typeET2_T3_PNS13_IS18_E10value_typeET4_jRbjT5_S1E_jjP12ihipStream_tbEUljE_ZNSN_ISO_Lb1ESQ_SR_ST_SU_SY_EESZ_S10_S11_S12_S16_S17_S18_S1B_S1C_jS1D_jS1E_S1E_jjS1G_bEUljE0_EEESZ_S10_S11_S18_S1C_S1E_T6_T7_T9_mT8_S1G_bDpT10_ENKUlT_T0_E_clISt17integral_constantIbLb0EES1T_IbLb1EEEEDaS1P_S1Q_EUlS1P_E_NS1_11comp_targetILNS1_3genE2ELNS1_11target_archE906ELNS1_3gpuE6ELNS1_3repE0EEENS1_30default_config_static_selectorELNS0_4arch9wavefront6targetE1EEEvS12_
		.amdhsa_group_segment_fixed_size 0
		.amdhsa_private_segment_fixed_size 0
		.amdhsa_kernarg_size 184
		.amdhsa_user_sgpr_count 6
		.amdhsa_user_sgpr_private_segment_buffer 1
		.amdhsa_user_sgpr_dispatch_ptr 0
		.amdhsa_user_sgpr_queue_ptr 0
		.amdhsa_user_sgpr_kernarg_segment_ptr 1
		.amdhsa_user_sgpr_dispatch_id 0
		.amdhsa_user_sgpr_flat_scratch_init 0
		.amdhsa_user_sgpr_kernarg_preload_length 0
		.amdhsa_user_sgpr_kernarg_preload_offset 0
		.amdhsa_user_sgpr_private_segment_size 0
		.amdhsa_uses_dynamic_stack 0
		.amdhsa_system_sgpr_private_segment_wavefront_offset 0
		.amdhsa_system_sgpr_workgroup_id_x 1
		.amdhsa_system_sgpr_workgroup_id_y 0
		.amdhsa_system_sgpr_workgroup_id_z 0
		.amdhsa_system_sgpr_workgroup_info 0
		.amdhsa_system_vgpr_workitem_id 0
		.amdhsa_next_free_vgpr 1
		.amdhsa_next_free_sgpr 0
		.amdhsa_accum_offset 4
		.amdhsa_reserve_vcc 0
		.amdhsa_reserve_flat_scratch 0
		.amdhsa_float_round_mode_32 0
		.amdhsa_float_round_mode_16_64 0
		.amdhsa_float_denorm_mode_32 3
		.amdhsa_float_denorm_mode_16_64 3
		.amdhsa_dx10_clamp 1
		.amdhsa_ieee_mode 1
		.amdhsa_fp16_overflow 0
		.amdhsa_tg_split 0
		.amdhsa_exception_fp_ieee_invalid_op 0
		.amdhsa_exception_fp_denorm_src 0
		.amdhsa_exception_fp_ieee_div_zero 0
		.amdhsa_exception_fp_ieee_overflow 0
		.amdhsa_exception_fp_ieee_underflow 0
		.amdhsa_exception_fp_ieee_inexact 0
		.amdhsa_exception_int_div_zero 0
	.end_amdhsa_kernel
	.section	.text._ZN7rocprim17ROCPRIM_400000_NS6detail17trampoline_kernelINS0_13select_configILj256ELj13ELNS0_17block_load_methodE3ELS4_3ELS4_3ELNS0_20block_scan_algorithmE0ELj4294967295EEENS1_25partition_config_selectorILNS1_17partition_subalgoE4EjNS0_10empty_typeEbEEZZNS1_14partition_implILS8_4ELb0ES6_15HIP_vector_typeIjLj2EENS0_17counting_iteratorIjlEEPS9_SG_NS0_5tupleIJPjSI_NS0_16reverse_iteratorISI_EEEEENSH_IJSG_SG_SG_EEES9_SI_JZNS1_25segmented_radix_sort_implINS0_14default_configELb1EPKsPsPKlPlN2at6native12_GLOBAL__N_18offset_tEEE10hipError_tPvRmT1_PNSt15iterator_traitsIS12_E10value_typeET2_T3_PNS13_IS18_E10value_typeET4_jRbjT5_S1E_jjP12ihipStream_tbEUljE_ZNSN_ISO_Lb1ESQ_SR_ST_SU_SY_EESZ_S10_S11_S12_S16_S17_S18_S1B_S1C_jS1D_jS1E_S1E_jjS1G_bEUljE0_EEESZ_S10_S11_S18_S1C_S1E_T6_T7_T9_mT8_S1G_bDpT10_ENKUlT_T0_E_clISt17integral_constantIbLb0EES1T_IbLb1EEEEDaS1P_S1Q_EUlS1P_E_NS1_11comp_targetILNS1_3genE2ELNS1_11target_archE906ELNS1_3gpuE6ELNS1_3repE0EEENS1_30default_config_static_selectorELNS0_4arch9wavefront6targetE1EEEvS12_,"axG",@progbits,_ZN7rocprim17ROCPRIM_400000_NS6detail17trampoline_kernelINS0_13select_configILj256ELj13ELNS0_17block_load_methodE3ELS4_3ELS4_3ELNS0_20block_scan_algorithmE0ELj4294967295EEENS1_25partition_config_selectorILNS1_17partition_subalgoE4EjNS0_10empty_typeEbEEZZNS1_14partition_implILS8_4ELb0ES6_15HIP_vector_typeIjLj2EENS0_17counting_iteratorIjlEEPS9_SG_NS0_5tupleIJPjSI_NS0_16reverse_iteratorISI_EEEEENSH_IJSG_SG_SG_EEES9_SI_JZNS1_25segmented_radix_sort_implINS0_14default_configELb1EPKsPsPKlPlN2at6native12_GLOBAL__N_18offset_tEEE10hipError_tPvRmT1_PNSt15iterator_traitsIS12_E10value_typeET2_T3_PNS13_IS18_E10value_typeET4_jRbjT5_S1E_jjP12ihipStream_tbEUljE_ZNSN_ISO_Lb1ESQ_SR_ST_SU_SY_EESZ_S10_S11_S12_S16_S17_S18_S1B_S1C_jS1D_jS1E_S1E_jjS1G_bEUljE0_EEESZ_S10_S11_S18_S1C_S1E_T6_T7_T9_mT8_S1G_bDpT10_ENKUlT_T0_E_clISt17integral_constantIbLb0EES1T_IbLb1EEEEDaS1P_S1Q_EUlS1P_E_NS1_11comp_targetILNS1_3genE2ELNS1_11target_archE906ELNS1_3gpuE6ELNS1_3repE0EEENS1_30default_config_static_selectorELNS0_4arch9wavefront6targetE1EEEvS12_,comdat
.Lfunc_end875:
	.size	_ZN7rocprim17ROCPRIM_400000_NS6detail17trampoline_kernelINS0_13select_configILj256ELj13ELNS0_17block_load_methodE3ELS4_3ELS4_3ELNS0_20block_scan_algorithmE0ELj4294967295EEENS1_25partition_config_selectorILNS1_17partition_subalgoE4EjNS0_10empty_typeEbEEZZNS1_14partition_implILS8_4ELb0ES6_15HIP_vector_typeIjLj2EENS0_17counting_iteratorIjlEEPS9_SG_NS0_5tupleIJPjSI_NS0_16reverse_iteratorISI_EEEEENSH_IJSG_SG_SG_EEES9_SI_JZNS1_25segmented_radix_sort_implINS0_14default_configELb1EPKsPsPKlPlN2at6native12_GLOBAL__N_18offset_tEEE10hipError_tPvRmT1_PNSt15iterator_traitsIS12_E10value_typeET2_T3_PNS13_IS18_E10value_typeET4_jRbjT5_S1E_jjP12ihipStream_tbEUljE_ZNSN_ISO_Lb1ESQ_SR_ST_SU_SY_EESZ_S10_S11_S12_S16_S17_S18_S1B_S1C_jS1D_jS1E_S1E_jjS1G_bEUljE0_EEESZ_S10_S11_S18_S1C_S1E_T6_T7_T9_mT8_S1G_bDpT10_ENKUlT_T0_E_clISt17integral_constantIbLb0EES1T_IbLb1EEEEDaS1P_S1Q_EUlS1P_E_NS1_11comp_targetILNS1_3genE2ELNS1_11target_archE906ELNS1_3gpuE6ELNS1_3repE0EEENS1_30default_config_static_selectorELNS0_4arch9wavefront6targetE1EEEvS12_, .Lfunc_end875-_ZN7rocprim17ROCPRIM_400000_NS6detail17trampoline_kernelINS0_13select_configILj256ELj13ELNS0_17block_load_methodE3ELS4_3ELS4_3ELNS0_20block_scan_algorithmE0ELj4294967295EEENS1_25partition_config_selectorILNS1_17partition_subalgoE4EjNS0_10empty_typeEbEEZZNS1_14partition_implILS8_4ELb0ES6_15HIP_vector_typeIjLj2EENS0_17counting_iteratorIjlEEPS9_SG_NS0_5tupleIJPjSI_NS0_16reverse_iteratorISI_EEEEENSH_IJSG_SG_SG_EEES9_SI_JZNS1_25segmented_radix_sort_implINS0_14default_configELb1EPKsPsPKlPlN2at6native12_GLOBAL__N_18offset_tEEE10hipError_tPvRmT1_PNSt15iterator_traitsIS12_E10value_typeET2_T3_PNS13_IS18_E10value_typeET4_jRbjT5_S1E_jjP12ihipStream_tbEUljE_ZNSN_ISO_Lb1ESQ_SR_ST_SU_SY_EESZ_S10_S11_S12_S16_S17_S18_S1B_S1C_jS1D_jS1E_S1E_jjS1G_bEUljE0_EEESZ_S10_S11_S18_S1C_S1E_T6_T7_T9_mT8_S1G_bDpT10_ENKUlT_T0_E_clISt17integral_constantIbLb0EES1T_IbLb1EEEEDaS1P_S1Q_EUlS1P_E_NS1_11comp_targetILNS1_3genE2ELNS1_11target_archE906ELNS1_3gpuE6ELNS1_3repE0EEENS1_30default_config_static_selectorELNS0_4arch9wavefront6targetE1EEEvS12_
                                        ; -- End function
	.section	.AMDGPU.csdata,"",@progbits
; Kernel info:
; codeLenInByte = 0
; NumSgprs: 4
; NumVgprs: 0
; NumAgprs: 0
; TotalNumVgprs: 0
; ScratchSize: 0
; MemoryBound: 0
; FloatMode: 240
; IeeeMode: 1
; LDSByteSize: 0 bytes/workgroup (compile time only)
; SGPRBlocks: 0
; VGPRBlocks: 0
; NumSGPRsForWavesPerEU: 4
; NumVGPRsForWavesPerEU: 1
; AccumOffset: 4
; Occupancy: 8
; WaveLimiterHint : 0
; COMPUTE_PGM_RSRC2:SCRATCH_EN: 0
; COMPUTE_PGM_RSRC2:USER_SGPR: 6
; COMPUTE_PGM_RSRC2:TRAP_HANDLER: 0
; COMPUTE_PGM_RSRC2:TGID_X_EN: 1
; COMPUTE_PGM_RSRC2:TGID_Y_EN: 0
; COMPUTE_PGM_RSRC2:TGID_Z_EN: 0
; COMPUTE_PGM_RSRC2:TIDIG_COMP_CNT: 0
; COMPUTE_PGM_RSRC3_GFX90A:ACCUM_OFFSET: 0
; COMPUTE_PGM_RSRC3_GFX90A:TG_SPLIT: 0
	.section	.text._ZN7rocprim17ROCPRIM_400000_NS6detail17trampoline_kernelINS0_13select_configILj256ELj13ELNS0_17block_load_methodE3ELS4_3ELS4_3ELNS0_20block_scan_algorithmE0ELj4294967295EEENS1_25partition_config_selectorILNS1_17partition_subalgoE4EjNS0_10empty_typeEbEEZZNS1_14partition_implILS8_4ELb0ES6_15HIP_vector_typeIjLj2EENS0_17counting_iteratorIjlEEPS9_SG_NS0_5tupleIJPjSI_NS0_16reverse_iteratorISI_EEEEENSH_IJSG_SG_SG_EEES9_SI_JZNS1_25segmented_radix_sort_implINS0_14default_configELb1EPKsPsPKlPlN2at6native12_GLOBAL__N_18offset_tEEE10hipError_tPvRmT1_PNSt15iterator_traitsIS12_E10value_typeET2_T3_PNS13_IS18_E10value_typeET4_jRbjT5_S1E_jjP12ihipStream_tbEUljE_ZNSN_ISO_Lb1ESQ_SR_ST_SU_SY_EESZ_S10_S11_S12_S16_S17_S18_S1B_S1C_jS1D_jS1E_S1E_jjS1G_bEUljE0_EEESZ_S10_S11_S18_S1C_S1E_T6_T7_T9_mT8_S1G_bDpT10_ENKUlT_T0_E_clISt17integral_constantIbLb0EES1T_IbLb1EEEEDaS1P_S1Q_EUlS1P_E_NS1_11comp_targetILNS1_3genE10ELNS1_11target_archE1200ELNS1_3gpuE4ELNS1_3repE0EEENS1_30default_config_static_selectorELNS0_4arch9wavefront6targetE1EEEvS12_,"axG",@progbits,_ZN7rocprim17ROCPRIM_400000_NS6detail17trampoline_kernelINS0_13select_configILj256ELj13ELNS0_17block_load_methodE3ELS4_3ELS4_3ELNS0_20block_scan_algorithmE0ELj4294967295EEENS1_25partition_config_selectorILNS1_17partition_subalgoE4EjNS0_10empty_typeEbEEZZNS1_14partition_implILS8_4ELb0ES6_15HIP_vector_typeIjLj2EENS0_17counting_iteratorIjlEEPS9_SG_NS0_5tupleIJPjSI_NS0_16reverse_iteratorISI_EEEEENSH_IJSG_SG_SG_EEES9_SI_JZNS1_25segmented_radix_sort_implINS0_14default_configELb1EPKsPsPKlPlN2at6native12_GLOBAL__N_18offset_tEEE10hipError_tPvRmT1_PNSt15iterator_traitsIS12_E10value_typeET2_T3_PNS13_IS18_E10value_typeET4_jRbjT5_S1E_jjP12ihipStream_tbEUljE_ZNSN_ISO_Lb1ESQ_SR_ST_SU_SY_EESZ_S10_S11_S12_S16_S17_S18_S1B_S1C_jS1D_jS1E_S1E_jjS1G_bEUljE0_EEESZ_S10_S11_S18_S1C_S1E_T6_T7_T9_mT8_S1G_bDpT10_ENKUlT_T0_E_clISt17integral_constantIbLb0EES1T_IbLb1EEEEDaS1P_S1Q_EUlS1P_E_NS1_11comp_targetILNS1_3genE10ELNS1_11target_archE1200ELNS1_3gpuE4ELNS1_3repE0EEENS1_30default_config_static_selectorELNS0_4arch9wavefront6targetE1EEEvS12_,comdat
	.globl	_ZN7rocprim17ROCPRIM_400000_NS6detail17trampoline_kernelINS0_13select_configILj256ELj13ELNS0_17block_load_methodE3ELS4_3ELS4_3ELNS0_20block_scan_algorithmE0ELj4294967295EEENS1_25partition_config_selectorILNS1_17partition_subalgoE4EjNS0_10empty_typeEbEEZZNS1_14partition_implILS8_4ELb0ES6_15HIP_vector_typeIjLj2EENS0_17counting_iteratorIjlEEPS9_SG_NS0_5tupleIJPjSI_NS0_16reverse_iteratorISI_EEEEENSH_IJSG_SG_SG_EEES9_SI_JZNS1_25segmented_radix_sort_implINS0_14default_configELb1EPKsPsPKlPlN2at6native12_GLOBAL__N_18offset_tEEE10hipError_tPvRmT1_PNSt15iterator_traitsIS12_E10value_typeET2_T3_PNS13_IS18_E10value_typeET4_jRbjT5_S1E_jjP12ihipStream_tbEUljE_ZNSN_ISO_Lb1ESQ_SR_ST_SU_SY_EESZ_S10_S11_S12_S16_S17_S18_S1B_S1C_jS1D_jS1E_S1E_jjS1G_bEUljE0_EEESZ_S10_S11_S18_S1C_S1E_T6_T7_T9_mT8_S1G_bDpT10_ENKUlT_T0_E_clISt17integral_constantIbLb0EES1T_IbLb1EEEEDaS1P_S1Q_EUlS1P_E_NS1_11comp_targetILNS1_3genE10ELNS1_11target_archE1200ELNS1_3gpuE4ELNS1_3repE0EEENS1_30default_config_static_selectorELNS0_4arch9wavefront6targetE1EEEvS12_ ; -- Begin function _ZN7rocprim17ROCPRIM_400000_NS6detail17trampoline_kernelINS0_13select_configILj256ELj13ELNS0_17block_load_methodE3ELS4_3ELS4_3ELNS0_20block_scan_algorithmE0ELj4294967295EEENS1_25partition_config_selectorILNS1_17partition_subalgoE4EjNS0_10empty_typeEbEEZZNS1_14partition_implILS8_4ELb0ES6_15HIP_vector_typeIjLj2EENS0_17counting_iteratorIjlEEPS9_SG_NS0_5tupleIJPjSI_NS0_16reverse_iteratorISI_EEEEENSH_IJSG_SG_SG_EEES9_SI_JZNS1_25segmented_radix_sort_implINS0_14default_configELb1EPKsPsPKlPlN2at6native12_GLOBAL__N_18offset_tEEE10hipError_tPvRmT1_PNSt15iterator_traitsIS12_E10value_typeET2_T3_PNS13_IS18_E10value_typeET4_jRbjT5_S1E_jjP12ihipStream_tbEUljE_ZNSN_ISO_Lb1ESQ_SR_ST_SU_SY_EESZ_S10_S11_S12_S16_S17_S18_S1B_S1C_jS1D_jS1E_S1E_jjS1G_bEUljE0_EEESZ_S10_S11_S18_S1C_S1E_T6_T7_T9_mT8_S1G_bDpT10_ENKUlT_T0_E_clISt17integral_constantIbLb0EES1T_IbLb1EEEEDaS1P_S1Q_EUlS1P_E_NS1_11comp_targetILNS1_3genE10ELNS1_11target_archE1200ELNS1_3gpuE4ELNS1_3repE0EEENS1_30default_config_static_selectorELNS0_4arch9wavefront6targetE1EEEvS12_
	.p2align	8
	.type	_ZN7rocprim17ROCPRIM_400000_NS6detail17trampoline_kernelINS0_13select_configILj256ELj13ELNS0_17block_load_methodE3ELS4_3ELS4_3ELNS0_20block_scan_algorithmE0ELj4294967295EEENS1_25partition_config_selectorILNS1_17partition_subalgoE4EjNS0_10empty_typeEbEEZZNS1_14partition_implILS8_4ELb0ES6_15HIP_vector_typeIjLj2EENS0_17counting_iteratorIjlEEPS9_SG_NS0_5tupleIJPjSI_NS0_16reverse_iteratorISI_EEEEENSH_IJSG_SG_SG_EEES9_SI_JZNS1_25segmented_radix_sort_implINS0_14default_configELb1EPKsPsPKlPlN2at6native12_GLOBAL__N_18offset_tEEE10hipError_tPvRmT1_PNSt15iterator_traitsIS12_E10value_typeET2_T3_PNS13_IS18_E10value_typeET4_jRbjT5_S1E_jjP12ihipStream_tbEUljE_ZNSN_ISO_Lb1ESQ_SR_ST_SU_SY_EESZ_S10_S11_S12_S16_S17_S18_S1B_S1C_jS1D_jS1E_S1E_jjS1G_bEUljE0_EEESZ_S10_S11_S18_S1C_S1E_T6_T7_T9_mT8_S1G_bDpT10_ENKUlT_T0_E_clISt17integral_constantIbLb0EES1T_IbLb1EEEEDaS1P_S1Q_EUlS1P_E_NS1_11comp_targetILNS1_3genE10ELNS1_11target_archE1200ELNS1_3gpuE4ELNS1_3repE0EEENS1_30default_config_static_selectorELNS0_4arch9wavefront6targetE1EEEvS12_,@function
_ZN7rocprim17ROCPRIM_400000_NS6detail17trampoline_kernelINS0_13select_configILj256ELj13ELNS0_17block_load_methodE3ELS4_3ELS4_3ELNS0_20block_scan_algorithmE0ELj4294967295EEENS1_25partition_config_selectorILNS1_17partition_subalgoE4EjNS0_10empty_typeEbEEZZNS1_14partition_implILS8_4ELb0ES6_15HIP_vector_typeIjLj2EENS0_17counting_iteratorIjlEEPS9_SG_NS0_5tupleIJPjSI_NS0_16reverse_iteratorISI_EEEEENSH_IJSG_SG_SG_EEES9_SI_JZNS1_25segmented_radix_sort_implINS0_14default_configELb1EPKsPsPKlPlN2at6native12_GLOBAL__N_18offset_tEEE10hipError_tPvRmT1_PNSt15iterator_traitsIS12_E10value_typeET2_T3_PNS13_IS18_E10value_typeET4_jRbjT5_S1E_jjP12ihipStream_tbEUljE_ZNSN_ISO_Lb1ESQ_SR_ST_SU_SY_EESZ_S10_S11_S12_S16_S17_S18_S1B_S1C_jS1D_jS1E_S1E_jjS1G_bEUljE0_EEESZ_S10_S11_S18_S1C_S1E_T6_T7_T9_mT8_S1G_bDpT10_ENKUlT_T0_E_clISt17integral_constantIbLb0EES1T_IbLb1EEEEDaS1P_S1Q_EUlS1P_E_NS1_11comp_targetILNS1_3genE10ELNS1_11target_archE1200ELNS1_3gpuE4ELNS1_3repE0EEENS1_30default_config_static_selectorELNS0_4arch9wavefront6targetE1EEEvS12_: ; @_ZN7rocprim17ROCPRIM_400000_NS6detail17trampoline_kernelINS0_13select_configILj256ELj13ELNS0_17block_load_methodE3ELS4_3ELS4_3ELNS0_20block_scan_algorithmE0ELj4294967295EEENS1_25partition_config_selectorILNS1_17partition_subalgoE4EjNS0_10empty_typeEbEEZZNS1_14partition_implILS8_4ELb0ES6_15HIP_vector_typeIjLj2EENS0_17counting_iteratorIjlEEPS9_SG_NS0_5tupleIJPjSI_NS0_16reverse_iteratorISI_EEEEENSH_IJSG_SG_SG_EEES9_SI_JZNS1_25segmented_radix_sort_implINS0_14default_configELb1EPKsPsPKlPlN2at6native12_GLOBAL__N_18offset_tEEE10hipError_tPvRmT1_PNSt15iterator_traitsIS12_E10value_typeET2_T3_PNS13_IS18_E10value_typeET4_jRbjT5_S1E_jjP12ihipStream_tbEUljE_ZNSN_ISO_Lb1ESQ_SR_ST_SU_SY_EESZ_S10_S11_S12_S16_S17_S18_S1B_S1C_jS1D_jS1E_S1E_jjS1G_bEUljE0_EEESZ_S10_S11_S18_S1C_S1E_T6_T7_T9_mT8_S1G_bDpT10_ENKUlT_T0_E_clISt17integral_constantIbLb0EES1T_IbLb1EEEEDaS1P_S1Q_EUlS1P_E_NS1_11comp_targetILNS1_3genE10ELNS1_11target_archE1200ELNS1_3gpuE4ELNS1_3repE0EEENS1_30default_config_static_selectorELNS0_4arch9wavefront6targetE1EEEvS12_
; %bb.0:
	.section	.rodata,"a",@progbits
	.p2align	6, 0x0
	.amdhsa_kernel _ZN7rocprim17ROCPRIM_400000_NS6detail17trampoline_kernelINS0_13select_configILj256ELj13ELNS0_17block_load_methodE3ELS4_3ELS4_3ELNS0_20block_scan_algorithmE0ELj4294967295EEENS1_25partition_config_selectorILNS1_17partition_subalgoE4EjNS0_10empty_typeEbEEZZNS1_14partition_implILS8_4ELb0ES6_15HIP_vector_typeIjLj2EENS0_17counting_iteratorIjlEEPS9_SG_NS0_5tupleIJPjSI_NS0_16reverse_iteratorISI_EEEEENSH_IJSG_SG_SG_EEES9_SI_JZNS1_25segmented_radix_sort_implINS0_14default_configELb1EPKsPsPKlPlN2at6native12_GLOBAL__N_18offset_tEEE10hipError_tPvRmT1_PNSt15iterator_traitsIS12_E10value_typeET2_T3_PNS13_IS18_E10value_typeET4_jRbjT5_S1E_jjP12ihipStream_tbEUljE_ZNSN_ISO_Lb1ESQ_SR_ST_SU_SY_EESZ_S10_S11_S12_S16_S17_S18_S1B_S1C_jS1D_jS1E_S1E_jjS1G_bEUljE0_EEESZ_S10_S11_S18_S1C_S1E_T6_T7_T9_mT8_S1G_bDpT10_ENKUlT_T0_E_clISt17integral_constantIbLb0EES1T_IbLb1EEEEDaS1P_S1Q_EUlS1P_E_NS1_11comp_targetILNS1_3genE10ELNS1_11target_archE1200ELNS1_3gpuE4ELNS1_3repE0EEENS1_30default_config_static_selectorELNS0_4arch9wavefront6targetE1EEEvS12_
		.amdhsa_group_segment_fixed_size 0
		.amdhsa_private_segment_fixed_size 0
		.amdhsa_kernarg_size 184
		.amdhsa_user_sgpr_count 6
		.amdhsa_user_sgpr_private_segment_buffer 1
		.amdhsa_user_sgpr_dispatch_ptr 0
		.amdhsa_user_sgpr_queue_ptr 0
		.amdhsa_user_sgpr_kernarg_segment_ptr 1
		.amdhsa_user_sgpr_dispatch_id 0
		.amdhsa_user_sgpr_flat_scratch_init 0
		.amdhsa_user_sgpr_kernarg_preload_length 0
		.amdhsa_user_sgpr_kernarg_preload_offset 0
		.amdhsa_user_sgpr_private_segment_size 0
		.amdhsa_uses_dynamic_stack 0
		.amdhsa_system_sgpr_private_segment_wavefront_offset 0
		.amdhsa_system_sgpr_workgroup_id_x 1
		.amdhsa_system_sgpr_workgroup_id_y 0
		.amdhsa_system_sgpr_workgroup_id_z 0
		.amdhsa_system_sgpr_workgroup_info 0
		.amdhsa_system_vgpr_workitem_id 0
		.amdhsa_next_free_vgpr 1
		.amdhsa_next_free_sgpr 0
		.amdhsa_accum_offset 4
		.amdhsa_reserve_vcc 0
		.amdhsa_reserve_flat_scratch 0
		.amdhsa_float_round_mode_32 0
		.amdhsa_float_round_mode_16_64 0
		.amdhsa_float_denorm_mode_32 3
		.amdhsa_float_denorm_mode_16_64 3
		.amdhsa_dx10_clamp 1
		.amdhsa_ieee_mode 1
		.amdhsa_fp16_overflow 0
		.amdhsa_tg_split 0
		.amdhsa_exception_fp_ieee_invalid_op 0
		.amdhsa_exception_fp_denorm_src 0
		.amdhsa_exception_fp_ieee_div_zero 0
		.amdhsa_exception_fp_ieee_overflow 0
		.amdhsa_exception_fp_ieee_underflow 0
		.amdhsa_exception_fp_ieee_inexact 0
		.amdhsa_exception_int_div_zero 0
	.end_amdhsa_kernel
	.section	.text._ZN7rocprim17ROCPRIM_400000_NS6detail17trampoline_kernelINS0_13select_configILj256ELj13ELNS0_17block_load_methodE3ELS4_3ELS4_3ELNS0_20block_scan_algorithmE0ELj4294967295EEENS1_25partition_config_selectorILNS1_17partition_subalgoE4EjNS0_10empty_typeEbEEZZNS1_14partition_implILS8_4ELb0ES6_15HIP_vector_typeIjLj2EENS0_17counting_iteratorIjlEEPS9_SG_NS0_5tupleIJPjSI_NS0_16reverse_iteratorISI_EEEEENSH_IJSG_SG_SG_EEES9_SI_JZNS1_25segmented_radix_sort_implINS0_14default_configELb1EPKsPsPKlPlN2at6native12_GLOBAL__N_18offset_tEEE10hipError_tPvRmT1_PNSt15iterator_traitsIS12_E10value_typeET2_T3_PNS13_IS18_E10value_typeET4_jRbjT5_S1E_jjP12ihipStream_tbEUljE_ZNSN_ISO_Lb1ESQ_SR_ST_SU_SY_EESZ_S10_S11_S12_S16_S17_S18_S1B_S1C_jS1D_jS1E_S1E_jjS1G_bEUljE0_EEESZ_S10_S11_S18_S1C_S1E_T6_T7_T9_mT8_S1G_bDpT10_ENKUlT_T0_E_clISt17integral_constantIbLb0EES1T_IbLb1EEEEDaS1P_S1Q_EUlS1P_E_NS1_11comp_targetILNS1_3genE10ELNS1_11target_archE1200ELNS1_3gpuE4ELNS1_3repE0EEENS1_30default_config_static_selectorELNS0_4arch9wavefront6targetE1EEEvS12_,"axG",@progbits,_ZN7rocprim17ROCPRIM_400000_NS6detail17trampoline_kernelINS0_13select_configILj256ELj13ELNS0_17block_load_methodE3ELS4_3ELS4_3ELNS0_20block_scan_algorithmE0ELj4294967295EEENS1_25partition_config_selectorILNS1_17partition_subalgoE4EjNS0_10empty_typeEbEEZZNS1_14partition_implILS8_4ELb0ES6_15HIP_vector_typeIjLj2EENS0_17counting_iteratorIjlEEPS9_SG_NS0_5tupleIJPjSI_NS0_16reverse_iteratorISI_EEEEENSH_IJSG_SG_SG_EEES9_SI_JZNS1_25segmented_radix_sort_implINS0_14default_configELb1EPKsPsPKlPlN2at6native12_GLOBAL__N_18offset_tEEE10hipError_tPvRmT1_PNSt15iterator_traitsIS12_E10value_typeET2_T3_PNS13_IS18_E10value_typeET4_jRbjT5_S1E_jjP12ihipStream_tbEUljE_ZNSN_ISO_Lb1ESQ_SR_ST_SU_SY_EESZ_S10_S11_S12_S16_S17_S18_S1B_S1C_jS1D_jS1E_S1E_jjS1G_bEUljE0_EEESZ_S10_S11_S18_S1C_S1E_T6_T7_T9_mT8_S1G_bDpT10_ENKUlT_T0_E_clISt17integral_constantIbLb0EES1T_IbLb1EEEEDaS1P_S1Q_EUlS1P_E_NS1_11comp_targetILNS1_3genE10ELNS1_11target_archE1200ELNS1_3gpuE4ELNS1_3repE0EEENS1_30default_config_static_selectorELNS0_4arch9wavefront6targetE1EEEvS12_,comdat
.Lfunc_end876:
	.size	_ZN7rocprim17ROCPRIM_400000_NS6detail17trampoline_kernelINS0_13select_configILj256ELj13ELNS0_17block_load_methodE3ELS4_3ELS4_3ELNS0_20block_scan_algorithmE0ELj4294967295EEENS1_25partition_config_selectorILNS1_17partition_subalgoE4EjNS0_10empty_typeEbEEZZNS1_14partition_implILS8_4ELb0ES6_15HIP_vector_typeIjLj2EENS0_17counting_iteratorIjlEEPS9_SG_NS0_5tupleIJPjSI_NS0_16reverse_iteratorISI_EEEEENSH_IJSG_SG_SG_EEES9_SI_JZNS1_25segmented_radix_sort_implINS0_14default_configELb1EPKsPsPKlPlN2at6native12_GLOBAL__N_18offset_tEEE10hipError_tPvRmT1_PNSt15iterator_traitsIS12_E10value_typeET2_T3_PNS13_IS18_E10value_typeET4_jRbjT5_S1E_jjP12ihipStream_tbEUljE_ZNSN_ISO_Lb1ESQ_SR_ST_SU_SY_EESZ_S10_S11_S12_S16_S17_S18_S1B_S1C_jS1D_jS1E_S1E_jjS1G_bEUljE0_EEESZ_S10_S11_S18_S1C_S1E_T6_T7_T9_mT8_S1G_bDpT10_ENKUlT_T0_E_clISt17integral_constantIbLb0EES1T_IbLb1EEEEDaS1P_S1Q_EUlS1P_E_NS1_11comp_targetILNS1_3genE10ELNS1_11target_archE1200ELNS1_3gpuE4ELNS1_3repE0EEENS1_30default_config_static_selectorELNS0_4arch9wavefront6targetE1EEEvS12_, .Lfunc_end876-_ZN7rocprim17ROCPRIM_400000_NS6detail17trampoline_kernelINS0_13select_configILj256ELj13ELNS0_17block_load_methodE3ELS4_3ELS4_3ELNS0_20block_scan_algorithmE0ELj4294967295EEENS1_25partition_config_selectorILNS1_17partition_subalgoE4EjNS0_10empty_typeEbEEZZNS1_14partition_implILS8_4ELb0ES6_15HIP_vector_typeIjLj2EENS0_17counting_iteratorIjlEEPS9_SG_NS0_5tupleIJPjSI_NS0_16reverse_iteratorISI_EEEEENSH_IJSG_SG_SG_EEES9_SI_JZNS1_25segmented_radix_sort_implINS0_14default_configELb1EPKsPsPKlPlN2at6native12_GLOBAL__N_18offset_tEEE10hipError_tPvRmT1_PNSt15iterator_traitsIS12_E10value_typeET2_T3_PNS13_IS18_E10value_typeET4_jRbjT5_S1E_jjP12ihipStream_tbEUljE_ZNSN_ISO_Lb1ESQ_SR_ST_SU_SY_EESZ_S10_S11_S12_S16_S17_S18_S1B_S1C_jS1D_jS1E_S1E_jjS1G_bEUljE0_EEESZ_S10_S11_S18_S1C_S1E_T6_T7_T9_mT8_S1G_bDpT10_ENKUlT_T0_E_clISt17integral_constantIbLb0EES1T_IbLb1EEEEDaS1P_S1Q_EUlS1P_E_NS1_11comp_targetILNS1_3genE10ELNS1_11target_archE1200ELNS1_3gpuE4ELNS1_3repE0EEENS1_30default_config_static_selectorELNS0_4arch9wavefront6targetE1EEEvS12_
                                        ; -- End function
	.section	.AMDGPU.csdata,"",@progbits
; Kernel info:
; codeLenInByte = 0
; NumSgprs: 4
; NumVgprs: 0
; NumAgprs: 0
; TotalNumVgprs: 0
; ScratchSize: 0
; MemoryBound: 0
; FloatMode: 240
; IeeeMode: 1
; LDSByteSize: 0 bytes/workgroup (compile time only)
; SGPRBlocks: 0
; VGPRBlocks: 0
; NumSGPRsForWavesPerEU: 4
; NumVGPRsForWavesPerEU: 1
; AccumOffset: 4
; Occupancy: 8
; WaveLimiterHint : 0
; COMPUTE_PGM_RSRC2:SCRATCH_EN: 0
; COMPUTE_PGM_RSRC2:USER_SGPR: 6
; COMPUTE_PGM_RSRC2:TRAP_HANDLER: 0
; COMPUTE_PGM_RSRC2:TGID_X_EN: 1
; COMPUTE_PGM_RSRC2:TGID_Y_EN: 0
; COMPUTE_PGM_RSRC2:TGID_Z_EN: 0
; COMPUTE_PGM_RSRC2:TIDIG_COMP_CNT: 0
; COMPUTE_PGM_RSRC3_GFX90A:ACCUM_OFFSET: 0
; COMPUTE_PGM_RSRC3_GFX90A:TG_SPLIT: 0
	.section	.text._ZN7rocprim17ROCPRIM_400000_NS6detail17trampoline_kernelINS0_13select_configILj256ELj13ELNS0_17block_load_methodE3ELS4_3ELS4_3ELNS0_20block_scan_algorithmE0ELj4294967295EEENS1_25partition_config_selectorILNS1_17partition_subalgoE4EjNS0_10empty_typeEbEEZZNS1_14partition_implILS8_4ELb0ES6_15HIP_vector_typeIjLj2EENS0_17counting_iteratorIjlEEPS9_SG_NS0_5tupleIJPjSI_NS0_16reverse_iteratorISI_EEEEENSH_IJSG_SG_SG_EEES9_SI_JZNS1_25segmented_radix_sort_implINS0_14default_configELb1EPKsPsPKlPlN2at6native12_GLOBAL__N_18offset_tEEE10hipError_tPvRmT1_PNSt15iterator_traitsIS12_E10value_typeET2_T3_PNS13_IS18_E10value_typeET4_jRbjT5_S1E_jjP12ihipStream_tbEUljE_ZNSN_ISO_Lb1ESQ_SR_ST_SU_SY_EESZ_S10_S11_S12_S16_S17_S18_S1B_S1C_jS1D_jS1E_S1E_jjS1G_bEUljE0_EEESZ_S10_S11_S18_S1C_S1E_T6_T7_T9_mT8_S1G_bDpT10_ENKUlT_T0_E_clISt17integral_constantIbLb0EES1T_IbLb1EEEEDaS1P_S1Q_EUlS1P_E_NS1_11comp_targetILNS1_3genE9ELNS1_11target_archE1100ELNS1_3gpuE3ELNS1_3repE0EEENS1_30default_config_static_selectorELNS0_4arch9wavefront6targetE1EEEvS12_,"axG",@progbits,_ZN7rocprim17ROCPRIM_400000_NS6detail17trampoline_kernelINS0_13select_configILj256ELj13ELNS0_17block_load_methodE3ELS4_3ELS4_3ELNS0_20block_scan_algorithmE0ELj4294967295EEENS1_25partition_config_selectorILNS1_17partition_subalgoE4EjNS0_10empty_typeEbEEZZNS1_14partition_implILS8_4ELb0ES6_15HIP_vector_typeIjLj2EENS0_17counting_iteratorIjlEEPS9_SG_NS0_5tupleIJPjSI_NS0_16reverse_iteratorISI_EEEEENSH_IJSG_SG_SG_EEES9_SI_JZNS1_25segmented_radix_sort_implINS0_14default_configELb1EPKsPsPKlPlN2at6native12_GLOBAL__N_18offset_tEEE10hipError_tPvRmT1_PNSt15iterator_traitsIS12_E10value_typeET2_T3_PNS13_IS18_E10value_typeET4_jRbjT5_S1E_jjP12ihipStream_tbEUljE_ZNSN_ISO_Lb1ESQ_SR_ST_SU_SY_EESZ_S10_S11_S12_S16_S17_S18_S1B_S1C_jS1D_jS1E_S1E_jjS1G_bEUljE0_EEESZ_S10_S11_S18_S1C_S1E_T6_T7_T9_mT8_S1G_bDpT10_ENKUlT_T0_E_clISt17integral_constantIbLb0EES1T_IbLb1EEEEDaS1P_S1Q_EUlS1P_E_NS1_11comp_targetILNS1_3genE9ELNS1_11target_archE1100ELNS1_3gpuE3ELNS1_3repE0EEENS1_30default_config_static_selectorELNS0_4arch9wavefront6targetE1EEEvS12_,comdat
	.globl	_ZN7rocprim17ROCPRIM_400000_NS6detail17trampoline_kernelINS0_13select_configILj256ELj13ELNS0_17block_load_methodE3ELS4_3ELS4_3ELNS0_20block_scan_algorithmE0ELj4294967295EEENS1_25partition_config_selectorILNS1_17partition_subalgoE4EjNS0_10empty_typeEbEEZZNS1_14partition_implILS8_4ELb0ES6_15HIP_vector_typeIjLj2EENS0_17counting_iteratorIjlEEPS9_SG_NS0_5tupleIJPjSI_NS0_16reverse_iteratorISI_EEEEENSH_IJSG_SG_SG_EEES9_SI_JZNS1_25segmented_radix_sort_implINS0_14default_configELb1EPKsPsPKlPlN2at6native12_GLOBAL__N_18offset_tEEE10hipError_tPvRmT1_PNSt15iterator_traitsIS12_E10value_typeET2_T3_PNS13_IS18_E10value_typeET4_jRbjT5_S1E_jjP12ihipStream_tbEUljE_ZNSN_ISO_Lb1ESQ_SR_ST_SU_SY_EESZ_S10_S11_S12_S16_S17_S18_S1B_S1C_jS1D_jS1E_S1E_jjS1G_bEUljE0_EEESZ_S10_S11_S18_S1C_S1E_T6_T7_T9_mT8_S1G_bDpT10_ENKUlT_T0_E_clISt17integral_constantIbLb0EES1T_IbLb1EEEEDaS1P_S1Q_EUlS1P_E_NS1_11comp_targetILNS1_3genE9ELNS1_11target_archE1100ELNS1_3gpuE3ELNS1_3repE0EEENS1_30default_config_static_selectorELNS0_4arch9wavefront6targetE1EEEvS12_ ; -- Begin function _ZN7rocprim17ROCPRIM_400000_NS6detail17trampoline_kernelINS0_13select_configILj256ELj13ELNS0_17block_load_methodE3ELS4_3ELS4_3ELNS0_20block_scan_algorithmE0ELj4294967295EEENS1_25partition_config_selectorILNS1_17partition_subalgoE4EjNS0_10empty_typeEbEEZZNS1_14partition_implILS8_4ELb0ES6_15HIP_vector_typeIjLj2EENS0_17counting_iteratorIjlEEPS9_SG_NS0_5tupleIJPjSI_NS0_16reverse_iteratorISI_EEEEENSH_IJSG_SG_SG_EEES9_SI_JZNS1_25segmented_radix_sort_implINS0_14default_configELb1EPKsPsPKlPlN2at6native12_GLOBAL__N_18offset_tEEE10hipError_tPvRmT1_PNSt15iterator_traitsIS12_E10value_typeET2_T3_PNS13_IS18_E10value_typeET4_jRbjT5_S1E_jjP12ihipStream_tbEUljE_ZNSN_ISO_Lb1ESQ_SR_ST_SU_SY_EESZ_S10_S11_S12_S16_S17_S18_S1B_S1C_jS1D_jS1E_S1E_jjS1G_bEUljE0_EEESZ_S10_S11_S18_S1C_S1E_T6_T7_T9_mT8_S1G_bDpT10_ENKUlT_T0_E_clISt17integral_constantIbLb0EES1T_IbLb1EEEEDaS1P_S1Q_EUlS1P_E_NS1_11comp_targetILNS1_3genE9ELNS1_11target_archE1100ELNS1_3gpuE3ELNS1_3repE0EEENS1_30default_config_static_selectorELNS0_4arch9wavefront6targetE1EEEvS12_
	.p2align	8
	.type	_ZN7rocprim17ROCPRIM_400000_NS6detail17trampoline_kernelINS0_13select_configILj256ELj13ELNS0_17block_load_methodE3ELS4_3ELS4_3ELNS0_20block_scan_algorithmE0ELj4294967295EEENS1_25partition_config_selectorILNS1_17partition_subalgoE4EjNS0_10empty_typeEbEEZZNS1_14partition_implILS8_4ELb0ES6_15HIP_vector_typeIjLj2EENS0_17counting_iteratorIjlEEPS9_SG_NS0_5tupleIJPjSI_NS0_16reverse_iteratorISI_EEEEENSH_IJSG_SG_SG_EEES9_SI_JZNS1_25segmented_radix_sort_implINS0_14default_configELb1EPKsPsPKlPlN2at6native12_GLOBAL__N_18offset_tEEE10hipError_tPvRmT1_PNSt15iterator_traitsIS12_E10value_typeET2_T3_PNS13_IS18_E10value_typeET4_jRbjT5_S1E_jjP12ihipStream_tbEUljE_ZNSN_ISO_Lb1ESQ_SR_ST_SU_SY_EESZ_S10_S11_S12_S16_S17_S18_S1B_S1C_jS1D_jS1E_S1E_jjS1G_bEUljE0_EEESZ_S10_S11_S18_S1C_S1E_T6_T7_T9_mT8_S1G_bDpT10_ENKUlT_T0_E_clISt17integral_constantIbLb0EES1T_IbLb1EEEEDaS1P_S1Q_EUlS1P_E_NS1_11comp_targetILNS1_3genE9ELNS1_11target_archE1100ELNS1_3gpuE3ELNS1_3repE0EEENS1_30default_config_static_selectorELNS0_4arch9wavefront6targetE1EEEvS12_,@function
_ZN7rocprim17ROCPRIM_400000_NS6detail17trampoline_kernelINS0_13select_configILj256ELj13ELNS0_17block_load_methodE3ELS4_3ELS4_3ELNS0_20block_scan_algorithmE0ELj4294967295EEENS1_25partition_config_selectorILNS1_17partition_subalgoE4EjNS0_10empty_typeEbEEZZNS1_14partition_implILS8_4ELb0ES6_15HIP_vector_typeIjLj2EENS0_17counting_iteratorIjlEEPS9_SG_NS0_5tupleIJPjSI_NS0_16reverse_iteratorISI_EEEEENSH_IJSG_SG_SG_EEES9_SI_JZNS1_25segmented_radix_sort_implINS0_14default_configELb1EPKsPsPKlPlN2at6native12_GLOBAL__N_18offset_tEEE10hipError_tPvRmT1_PNSt15iterator_traitsIS12_E10value_typeET2_T3_PNS13_IS18_E10value_typeET4_jRbjT5_S1E_jjP12ihipStream_tbEUljE_ZNSN_ISO_Lb1ESQ_SR_ST_SU_SY_EESZ_S10_S11_S12_S16_S17_S18_S1B_S1C_jS1D_jS1E_S1E_jjS1G_bEUljE0_EEESZ_S10_S11_S18_S1C_S1E_T6_T7_T9_mT8_S1G_bDpT10_ENKUlT_T0_E_clISt17integral_constantIbLb0EES1T_IbLb1EEEEDaS1P_S1Q_EUlS1P_E_NS1_11comp_targetILNS1_3genE9ELNS1_11target_archE1100ELNS1_3gpuE3ELNS1_3repE0EEENS1_30default_config_static_selectorELNS0_4arch9wavefront6targetE1EEEvS12_: ; @_ZN7rocprim17ROCPRIM_400000_NS6detail17trampoline_kernelINS0_13select_configILj256ELj13ELNS0_17block_load_methodE3ELS4_3ELS4_3ELNS0_20block_scan_algorithmE0ELj4294967295EEENS1_25partition_config_selectorILNS1_17partition_subalgoE4EjNS0_10empty_typeEbEEZZNS1_14partition_implILS8_4ELb0ES6_15HIP_vector_typeIjLj2EENS0_17counting_iteratorIjlEEPS9_SG_NS0_5tupleIJPjSI_NS0_16reverse_iteratorISI_EEEEENSH_IJSG_SG_SG_EEES9_SI_JZNS1_25segmented_radix_sort_implINS0_14default_configELb1EPKsPsPKlPlN2at6native12_GLOBAL__N_18offset_tEEE10hipError_tPvRmT1_PNSt15iterator_traitsIS12_E10value_typeET2_T3_PNS13_IS18_E10value_typeET4_jRbjT5_S1E_jjP12ihipStream_tbEUljE_ZNSN_ISO_Lb1ESQ_SR_ST_SU_SY_EESZ_S10_S11_S12_S16_S17_S18_S1B_S1C_jS1D_jS1E_S1E_jjS1G_bEUljE0_EEESZ_S10_S11_S18_S1C_S1E_T6_T7_T9_mT8_S1G_bDpT10_ENKUlT_T0_E_clISt17integral_constantIbLb0EES1T_IbLb1EEEEDaS1P_S1Q_EUlS1P_E_NS1_11comp_targetILNS1_3genE9ELNS1_11target_archE1100ELNS1_3gpuE3ELNS1_3repE0EEENS1_30default_config_static_selectorELNS0_4arch9wavefront6targetE1EEEvS12_
; %bb.0:
	.section	.rodata,"a",@progbits
	.p2align	6, 0x0
	.amdhsa_kernel _ZN7rocprim17ROCPRIM_400000_NS6detail17trampoline_kernelINS0_13select_configILj256ELj13ELNS0_17block_load_methodE3ELS4_3ELS4_3ELNS0_20block_scan_algorithmE0ELj4294967295EEENS1_25partition_config_selectorILNS1_17partition_subalgoE4EjNS0_10empty_typeEbEEZZNS1_14partition_implILS8_4ELb0ES6_15HIP_vector_typeIjLj2EENS0_17counting_iteratorIjlEEPS9_SG_NS0_5tupleIJPjSI_NS0_16reverse_iteratorISI_EEEEENSH_IJSG_SG_SG_EEES9_SI_JZNS1_25segmented_radix_sort_implINS0_14default_configELb1EPKsPsPKlPlN2at6native12_GLOBAL__N_18offset_tEEE10hipError_tPvRmT1_PNSt15iterator_traitsIS12_E10value_typeET2_T3_PNS13_IS18_E10value_typeET4_jRbjT5_S1E_jjP12ihipStream_tbEUljE_ZNSN_ISO_Lb1ESQ_SR_ST_SU_SY_EESZ_S10_S11_S12_S16_S17_S18_S1B_S1C_jS1D_jS1E_S1E_jjS1G_bEUljE0_EEESZ_S10_S11_S18_S1C_S1E_T6_T7_T9_mT8_S1G_bDpT10_ENKUlT_T0_E_clISt17integral_constantIbLb0EES1T_IbLb1EEEEDaS1P_S1Q_EUlS1P_E_NS1_11comp_targetILNS1_3genE9ELNS1_11target_archE1100ELNS1_3gpuE3ELNS1_3repE0EEENS1_30default_config_static_selectorELNS0_4arch9wavefront6targetE1EEEvS12_
		.amdhsa_group_segment_fixed_size 0
		.amdhsa_private_segment_fixed_size 0
		.amdhsa_kernarg_size 184
		.amdhsa_user_sgpr_count 6
		.amdhsa_user_sgpr_private_segment_buffer 1
		.amdhsa_user_sgpr_dispatch_ptr 0
		.amdhsa_user_sgpr_queue_ptr 0
		.amdhsa_user_sgpr_kernarg_segment_ptr 1
		.amdhsa_user_sgpr_dispatch_id 0
		.amdhsa_user_sgpr_flat_scratch_init 0
		.amdhsa_user_sgpr_kernarg_preload_length 0
		.amdhsa_user_sgpr_kernarg_preload_offset 0
		.amdhsa_user_sgpr_private_segment_size 0
		.amdhsa_uses_dynamic_stack 0
		.amdhsa_system_sgpr_private_segment_wavefront_offset 0
		.amdhsa_system_sgpr_workgroup_id_x 1
		.amdhsa_system_sgpr_workgroup_id_y 0
		.amdhsa_system_sgpr_workgroup_id_z 0
		.amdhsa_system_sgpr_workgroup_info 0
		.amdhsa_system_vgpr_workitem_id 0
		.amdhsa_next_free_vgpr 1
		.amdhsa_next_free_sgpr 0
		.amdhsa_accum_offset 4
		.amdhsa_reserve_vcc 0
		.amdhsa_reserve_flat_scratch 0
		.amdhsa_float_round_mode_32 0
		.amdhsa_float_round_mode_16_64 0
		.amdhsa_float_denorm_mode_32 3
		.amdhsa_float_denorm_mode_16_64 3
		.amdhsa_dx10_clamp 1
		.amdhsa_ieee_mode 1
		.amdhsa_fp16_overflow 0
		.amdhsa_tg_split 0
		.amdhsa_exception_fp_ieee_invalid_op 0
		.amdhsa_exception_fp_denorm_src 0
		.amdhsa_exception_fp_ieee_div_zero 0
		.amdhsa_exception_fp_ieee_overflow 0
		.amdhsa_exception_fp_ieee_underflow 0
		.amdhsa_exception_fp_ieee_inexact 0
		.amdhsa_exception_int_div_zero 0
	.end_amdhsa_kernel
	.section	.text._ZN7rocprim17ROCPRIM_400000_NS6detail17trampoline_kernelINS0_13select_configILj256ELj13ELNS0_17block_load_methodE3ELS4_3ELS4_3ELNS0_20block_scan_algorithmE0ELj4294967295EEENS1_25partition_config_selectorILNS1_17partition_subalgoE4EjNS0_10empty_typeEbEEZZNS1_14partition_implILS8_4ELb0ES6_15HIP_vector_typeIjLj2EENS0_17counting_iteratorIjlEEPS9_SG_NS0_5tupleIJPjSI_NS0_16reverse_iteratorISI_EEEEENSH_IJSG_SG_SG_EEES9_SI_JZNS1_25segmented_radix_sort_implINS0_14default_configELb1EPKsPsPKlPlN2at6native12_GLOBAL__N_18offset_tEEE10hipError_tPvRmT1_PNSt15iterator_traitsIS12_E10value_typeET2_T3_PNS13_IS18_E10value_typeET4_jRbjT5_S1E_jjP12ihipStream_tbEUljE_ZNSN_ISO_Lb1ESQ_SR_ST_SU_SY_EESZ_S10_S11_S12_S16_S17_S18_S1B_S1C_jS1D_jS1E_S1E_jjS1G_bEUljE0_EEESZ_S10_S11_S18_S1C_S1E_T6_T7_T9_mT8_S1G_bDpT10_ENKUlT_T0_E_clISt17integral_constantIbLb0EES1T_IbLb1EEEEDaS1P_S1Q_EUlS1P_E_NS1_11comp_targetILNS1_3genE9ELNS1_11target_archE1100ELNS1_3gpuE3ELNS1_3repE0EEENS1_30default_config_static_selectorELNS0_4arch9wavefront6targetE1EEEvS12_,"axG",@progbits,_ZN7rocprim17ROCPRIM_400000_NS6detail17trampoline_kernelINS0_13select_configILj256ELj13ELNS0_17block_load_methodE3ELS4_3ELS4_3ELNS0_20block_scan_algorithmE0ELj4294967295EEENS1_25partition_config_selectorILNS1_17partition_subalgoE4EjNS0_10empty_typeEbEEZZNS1_14partition_implILS8_4ELb0ES6_15HIP_vector_typeIjLj2EENS0_17counting_iteratorIjlEEPS9_SG_NS0_5tupleIJPjSI_NS0_16reverse_iteratorISI_EEEEENSH_IJSG_SG_SG_EEES9_SI_JZNS1_25segmented_radix_sort_implINS0_14default_configELb1EPKsPsPKlPlN2at6native12_GLOBAL__N_18offset_tEEE10hipError_tPvRmT1_PNSt15iterator_traitsIS12_E10value_typeET2_T3_PNS13_IS18_E10value_typeET4_jRbjT5_S1E_jjP12ihipStream_tbEUljE_ZNSN_ISO_Lb1ESQ_SR_ST_SU_SY_EESZ_S10_S11_S12_S16_S17_S18_S1B_S1C_jS1D_jS1E_S1E_jjS1G_bEUljE0_EEESZ_S10_S11_S18_S1C_S1E_T6_T7_T9_mT8_S1G_bDpT10_ENKUlT_T0_E_clISt17integral_constantIbLb0EES1T_IbLb1EEEEDaS1P_S1Q_EUlS1P_E_NS1_11comp_targetILNS1_3genE9ELNS1_11target_archE1100ELNS1_3gpuE3ELNS1_3repE0EEENS1_30default_config_static_selectorELNS0_4arch9wavefront6targetE1EEEvS12_,comdat
.Lfunc_end877:
	.size	_ZN7rocprim17ROCPRIM_400000_NS6detail17trampoline_kernelINS0_13select_configILj256ELj13ELNS0_17block_load_methodE3ELS4_3ELS4_3ELNS0_20block_scan_algorithmE0ELj4294967295EEENS1_25partition_config_selectorILNS1_17partition_subalgoE4EjNS0_10empty_typeEbEEZZNS1_14partition_implILS8_4ELb0ES6_15HIP_vector_typeIjLj2EENS0_17counting_iteratorIjlEEPS9_SG_NS0_5tupleIJPjSI_NS0_16reverse_iteratorISI_EEEEENSH_IJSG_SG_SG_EEES9_SI_JZNS1_25segmented_radix_sort_implINS0_14default_configELb1EPKsPsPKlPlN2at6native12_GLOBAL__N_18offset_tEEE10hipError_tPvRmT1_PNSt15iterator_traitsIS12_E10value_typeET2_T3_PNS13_IS18_E10value_typeET4_jRbjT5_S1E_jjP12ihipStream_tbEUljE_ZNSN_ISO_Lb1ESQ_SR_ST_SU_SY_EESZ_S10_S11_S12_S16_S17_S18_S1B_S1C_jS1D_jS1E_S1E_jjS1G_bEUljE0_EEESZ_S10_S11_S18_S1C_S1E_T6_T7_T9_mT8_S1G_bDpT10_ENKUlT_T0_E_clISt17integral_constantIbLb0EES1T_IbLb1EEEEDaS1P_S1Q_EUlS1P_E_NS1_11comp_targetILNS1_3genE9ELNS1_11target_archE1100ELNS1_3gpuE3ELNS1_3repE0EEENS1_30default_config_static_selectorELNS0_4arch9wavefront6targetE1EEEvS12_, .Lfunc_end877-_ZN7rocprim17ROCPRIM_400000_NS6detail17trampoline_kernelINS0_13select_configILj256ELj13ELNS0_17block_load_methodE3ELS4_3ELS4_3ELNS0_20block_scan_algorithmE0ELj4294967295EEENS1_25partition_config_selectorILNS1_17partition_subalgoE4EjNS0_10empty_typeEbEEZZNS1_14partition_implILS8_4ELb0ES6_15HIP_vector_typeIjLj2EENS0_17counting_iteratorIjlEEPS9_SG_NS0_5tupleIJPjSI_NS0_16reverse_iteratorISI_EEEEENSH_IJSG_SG_SG_EEES9_SI_JZNS1_25segmented_radix_sort_implINS0_14default_configELb1EPKsPsPKlPlN2at6native12_GLOBAL__N_18offset_tEEE10hipError_tPvRmT1_PNSt15iterator_traitsIS12_E10value_typeET2_T3_PNS13_IS18_E10value_typeET4_jRbjT5_S1E_jjP12ihipStream_tbEUljE_ZNSN_ISO_Lb1ESQ_SR_ST_SU_SY_EESZ_S10_S11_S12_S16_S17_S18_S1B_S1C_jS1D_jS1E_S1E_jjS1G_bEUljE0_EEESZ_S10_S11_S18_S1C_S1E_T6_T7_T9_mT8_S1G_bDpT10_ENKUlT_T0_E_clISt17integral_constantIbLb0EES1T_IbLb1EEEEDaS1P_S1Q_EUlS1P_E_NS1_11comp_targetILNS1_3genE9ELNS1_11target_archE1100ELNS1_3gpuE3ELNS1_3repE0EEENS1_30default_config_static_selectorELNS0_4arch9wavefront6targetE1EEEvS12_
                                        ; -- End function
	.section	.AMDGPU.csdata,"",@progbits
; Kernel info:
; codeLenInByte = 0
; NumSgprs: 4
; NumVgprs: 0
; NumAgprs: 0
; TotalNumVgprs: 0
; ScratchSize: 0
; MemoryBound: 0
; FloatMode: 240
; IeeeMode: 1
; LDSByteSize: 0 bytes/workgroup (compile time only)
; SGPRBlocks: 0
; VGPRBlocks: 0
; NumSGPRsForWavesPerEU: 4
; NumVGPRsForWavesPerEU: 1
; AccumOffset: 4
; Occupancy: 8
; WaveLimiterHint : 0
; COMPUTE_PGM_RSRC2:SCRATCH_EN: 0
; COMPUTE_PGM_RSRC2:USER_SGPR: 6
; COMPUTE_PGM_RSRC2:TRAP_HANDLER: 0
; COMPUTE_PGM_RSRC2:TGID_X_EN: 1
; COMPUTE_PGM_RSRC2:TGID_Y_EN: 0
; COMPUTE_PGM_RSRC2:TGID_Z_EN: 0
; COMPUTE_PGM_RSRC2:TIDIG_COMP_CNT: 0
; COMPUTE_PGM_RSRC3_GFX90A:ACCUM_OFFSET: 0
; COMPUTE_PGM_RSRC3_GFX90A:TG_SPLIT: 0
	.section	.text._ZN7rocprim17ROCPRIM_400000_NS6detail17trampoline_kernelINS0_13select_configILj256ELj13ELNS0_17block_load_methodE3ELS4_3ELS4_3ELNS0_20block_scan_algorithmE0ELj4294967295EEENS1_25partition_config_selectorILNS1_17partition_subalgoE4EjNS0_10empty_typeEbEEZZNS1_14partition_implILS8_4ELb0ES6_15HIP_vector_typeIjLj2EENS0_17counting_iteratorIjlEEPS9_SG_NS0_5tupleIJPjSI_NS0_16reverse_iteratorISI_EEEEENSH_IJSG_SG_SG_EEES9_SI_JZNS1_25segmented_radix_sort_implINS0_14default_configELb1EPKsPsPKlPlN2at6native12_GLOBAL__N_18offset_tEEE10hipError_tPvRmT1_PNSt15iterator_traitsIS12_E10value_typeET2_T3_PNS13_IS18_E10value_typeET4_jRbjT5_S1E_jjP12ihipStream_tbEUljE_ZNSN_ISO_Lb1ESQ_SR_ST_SU_SY_EESZ_S10_S11_S12_S16_S17_S18_S1B_S1C_jS1D_jS1E_S1E_jjS1G_bEUljE0_EEESZ_S10_S11_S18_S1C_S1E_T6_T7_T9_mT8_S1G_bDpT10_ENKUlT_T0_E_clISt17integral_constantIbLb0EES1T_IbLb1EEEEDaS1P_S1Q_EUlS1P_E_NS1_11comp_targetILNS1_3genE8ELNS1_11target_archE1030ELNS1_3gpuE2ELNS1_3repE0EEENS1_30default_config_static_selectorELNS0_4arch9wavefront6targetE1EEEvS12_,"axG",@progbits,_ZN7rocprim17ROCPRIM_400000_NS6detail17trampoline_kernelINS0_13select_configILj256ELj13ELNS0_17block_load_methodE3ELS4_3ELS4_3ELNS0_20block_scan_algorithmE0ELj4294967295EEENS1_25partition_config_selectorILNS1_17partition_subalgoE4EjNS0_10empty_typeEbEEZZNS1_14partition_implILS8_4ELb0ES6_15HIP_vector_typeIjLj2EENS0_17counting_iteratorIjlEEPS9_SG_NS0_5tupleIJPjSI_NS0_16reverse_iteratorISI_EEEEENSH_IJSG_SG_SG_EEES9_SI_JZNS1_25segmented_radix_sort_implINS0_14default_configELb1EPKsPsPKlPlN2at6native12_GLOBAL__N_18offset_tEEE10hipError_tPvRmT1_PNSt15iterator_traitsIS12_E10value_typeET2_T3_PNS13_IS18_E10value_typeET4_jRbjT5_S1E_jjP12ihipStream_tbEUljE_ZNSN_ISO_Lb1ESQ_SR_ST_SU_SY_EESZ_S10_S11_S12_S16_S17_S18_S1B_S1C_jS1D_jS1E_S1E_jjS1G_bEUljE0_EEESZ_S10_S11_S18_S1C_S1E_T6_T7_T9_mT8_S1G_bDpT10_ENKUlT_T0_E_clISt17integral_constantIbLb0EES1T_IbLb1EEEEDaS1P_S1Q_EUlS1P_E_NS1_11comp_targetILNS1_3genE8ELNS1_11target_archE1030ELNS1_3gpuE2ELNS1_3repE0EEENS1_30default_config_static_selectorELNS0_4arch9wavefront6targetE1EEEvS12_,comdat
	.globl	_ZN7rocprim17ROCPRIM_400000_NS6detail17trampoline_kernelINS0_13select_configILj256ELj13ELNS0_17block_load_methodE3ELS4_3ELS4_3ELNS0_20block_scan_algorithmE0ELj4294967295EEENS1_25partition_config_selectorILNS1_17partition_subalgoE4EjNS0_10empty_typeEbEEZZNS1_14partition_implILS8_4ELb0ES6_15HIP_vector_typeIjLj2EENS0_17counting_iteratorIjlEEPS9_SG_NS0_5tupleIJPjSI_NS0_16reverse_iteratorISI_EEEEENSH_IJSG_SG_SG_EEES9_SI_JZNS1_25segmented_radix_sort_implINS0_14default_configELb1EPKsPsPKlPlN2at6native12_GLOBAL__N_18offset_tEEE10hipError_tPvRmT1_PNSt15iterator_traitsIS12_E10value_typeET2_T3_PNS13_IS18_E10value_typeET4_jRbjT5_S1E_jjP12ihipStream_tbEUljE_ZNSN_ISO_Lb1ESQ_SR_ST_SU_SY_EESZ_S10_S11_S12_S16_S17_S18_S1B_S1C_jS1D_jS1E_S1E_jjS1G_bEUljE0_EEESZ_S10_S11_S18_S1C_S1E_T6_T7_T9_mT8_S1G_bDpT10_ENKUlT_T0_E_clISt17integral_constantIbLb0EES1T_IbLb1EEEEDaS1P_S1Q_EUlS1P_E_NS1_11comp_targetILNS1_3genE8ELNS1_11target_archE1030ELNS1_3gpuE2ELNS1_3repE0EEENS1_30default_config_static_selectorELNS0_4arch9wavefront6targetE1EEEvS12_ ; -- Begin function _ZN7rocprim17ROCPRIM_400000_NS6detail17trampoline_kernelINS0_13select_configILj256ELj13ELNS0_17block_load_methodE3ELS4_3ELS4_3ELNS0_20block_scan_algorithmE0ELj4294967295EEENS1_25partition_config_selectorILNS1_17partition_subalgoE4EjNS0_10empty_typeEbEEZZNS1_14partition_implILS8_4ELb0ES6_15HIP_vector_typeIjLj2EENS0_17counting_iteratorIjlEEPS9_SG_NS0_5tupleIJPjSI_NS0_16reverse_iteratorISI_EEEEENSH_IJSG_SG_SG_EEES9_SI_JZNS1_25segmented_radix_sort_implINS0_14default_configELb1EPKsPsPKlPlN2at6native12_GLOBAL__N_18offset_tEEE10hipError_tPvRmT1_PNSt15iterator_traitsIS12_E10value_typeET2_T3_PNS13_IS18_E10value_typeET4_jRbjT5_S1E_jjP12ihipStream_tbEUljE_ZNSN_ISO_Lb1ESQ_SR_ST_SU_SY_EESZ_S10_S11_S12_S16_S17_S18_S1B_S1C_jS1D_jS1E_S1E_jjS1G_bEUljE0_EEESZ_S10_S11_S18_S1C_S1E_T6_T7_T9_mT8_S1G_bDpT10_ENKUlT_T0_E_clISt17integral_constantIbLb0EES1T_IbLb1EEEEDaS1P_S1Q_EUlS1P_E_NS1_11comp_targetILNS1_3genE8ELNS1_11target_archE1030ELNS1_3gpuE2ELNS1_3repE0EEENS1_30default_config_static_selectorELNS0_4arch9wavefront6targetE1EEEvS12_
	.p2align	8
	.type	_ZN7rocprim17ROCPRIM_400000_NS6detail17trampoline_kernelINS0_13select_configILj256ELj13ELNS0_17block_load_methodE3ELS4_3ELS4_3ELNS0_20block_scan_algorithmE0ELj4294967295EEENS1_25partition_config_selectorILNS1_17partition_subalgoE4EjNS0_10empty_typeEbEEZZNS1_14partition_implILS8_4ELb0ES6_15HIP_vector_typeIjLj2EENS0_17counting_iteratorIjlEEPS9_SG_NS0_5tupleIJPjSI_NS0_16reverse_iteratorISI_EEEEENSH_IJSG_SG_SG_EEES9_SI_JZNS1_25segmented_radix_sort_implINS0_14default_configELb1EPKsPsPKlPlN2at6native12_GLOBAL__N_18offset_tEEE10hipError_tPvRmT1_PNSt15iterator_traitsIS12_E10value_typeET2_T3_PNS13_IS18_E10value_typeET4_jRbjT5_S1E_jjP12ihipStream_tbEUljE_ZNSN_ISO_Lb1ESQ_SR_ST_SU_SY_EESZ_S10_S11_S12_S16_S17_S18_S1B_S1C_jS1D_jS1E_S1E_jjS1G_bEUljE0_EEESZ_S10_S11_S18_S1C_S1E_T6_T7_T9_mT8_S1G_bDpT10_ENKUlT_T0_E_clISt17integral_constantIbLb0EES1T_IbLb1EEEEDaS1P_S1Q_EUlS1P_E_NS1_11comp_targetILNS1_3genE8ELNS1_11target_archE1030ELNS1_3gpuE2ELNS1_3repE0EEENS1_30default_config_static_selectorELNS0_4arch9wavefront6targetE1EEEvS12_,@function
_ZN7rocprim17ROCPRIM_400000_NS6detail17trampoline_kernelINS0_13select_configILj256ELj13ELNS0_17block_load_methodE3ELS4_3ELS4_3ELNS0_20block_scan_algorithmE0ELj4294967295EEENS1_25partition_config_selectorILNS1_17partition_subalgoE4EjNS0_10empty_typeEbEEZZNS1_14partition_implILS8_4ELb0ES6_15HIP_vector_typeIjLj2EENS0_17counting_iteratorIjlEEPS9_SG_NS0_5tupleIJPjSI_NS0_16reverse_iteratorISI_EEEEENSH_IJSG_SG_SG_EEES9_SI_JZNS1_25segmented_radix_sort_implINS0_14default_configELb1EPKsPsPKlPlN2at6native12_GLOBAL__N_18offset_tEEE10hipError_tPvRmT1_PNSt15iterator_traitsIS12_E10value_typeET2_T3_PNS13_IS18_E10value_typeET4_jRbjT5_S1E_jjP12ihipStream_tbEUljE_ZNSN_ISO_Lb1ESQ_SR_ST_SU_SY_EESZ_S10_S11_S12_S16_S17_S18_S1B_S1C_jS1D_jS1E_S1E_jjS1G_bEUljE0_EEESZ_S10_S11_S18_S1C_S1E_T6_T7_T9_mT8_S1G_bDpT10_ENKUlT_T0_E_clISt17integral_constantIbLb0EES1T_IbLb1EEEEDaS1P_S1Q_EUlS1P_E_NS1_11comp_targetILNS1_3genE8ELNS1_11target_archE1030ELNS1_3gpuE2ELNS1_3repE0EEENS1_30default_config_static_selectorELNS0_4arch9wavefront6targetE1EEEvS12_: ; @_ZN7rocprim17ROCPRIM_400000_NS6detail17trampoline_kernelINS0_13select_configILj256ELj13ELNS0_17block_load_methodE3ELS4_3ELS4_3ELNS0_20block_scan_algorithmE0ELj4294967295EEENS1_25partition_config_selectorILNS1_17partition_subalgoE4EjNS0_10empty_typeEbEEZZNS1_14partition_implILS8_4ELb0ES6_15HIP_vector_typeIjLj2EENS0_17counting_iteratorIjlEEPS9_SG_NS0_5tupleIJPjSI_NS0_16reverse_iteratorISI_EEEEENSH_IJSG_SG_SG_EEES9_SI_JZNS1_25segmented_radix_sort_implINS0_14default_configELb1EPKsPsPKlPlN2at6native12_GLOBAL__N_18offset_tEEE10hipError_tPvRmT1_PNSt15iterator_traitsIS12_E10value_typeET2_T3_PNS13_IS18_E10value_typeET4_jRbjT5_S1E_jjP12ihipStream_tbEUljE_ZNSN_ISO_Lb1ESQ_SR_ST_SU_SY_EESZ_S10_S11_S12_S16_S17_S18_S1B_S1C_jS1D_jS1E_S1E_jjS1G_bEUljE0_EEESZ_S10_S11_S18_S1C_S1E_T6_T7_T9_mT8_S1G_bDpT10_ENKUlT_T0_E_clISt17integral_constantIbLb0EES1T_IbLb1EEEEDaS1P_S1Q_EUlS1P_E_NS1_11comp_targetILNS1_3genE8ELNS1_11target_archE1030ELNS1_3gpuE2ELNS1_3repE0EEENS1_30default_config_static_selectorELNS0_4arch9wavefront6targetE1EEEvS12_
; %bb.0:
	.section	.rodata,"a",@progbits
	.p2align	6, 0x0
	.amdhsa_kernel _ZN7rocprim17ROCPRIM_400000_NS6detail17trampoline_kernelINS0_13select_configILj256ELj13ELNS0_17block_load_methodE3ELS4_3ELS4_3ELNS0_20block_scan_algorithmE0ELj4294967295EEENS1_25partition_config_selectorILNS1_17partition_subalgoE4EjNS0_10empty_typeEbEEZZNS1_14partition_implILS8_4ELb0ES6_15HIP_vector_typeIjLj2EENS0_17counting_iteratorIjlEEPS9_SG_NS0_5tupleIJPjSI_NS0_16reverse_iteratorISI_EEEEENSH_IJSG_SG_SG_EEES9_SI_JZNS1_25segmented_radix_sort_implINS0_14default_configELb1EPKsPsPKlPlN2at6native12_GLOBAL__N_18offset_tEEE10hipError_tPvRmT1_PNSt15iterator_traitsIS12_E10value_typeET2_T3_PNS13_IS18_E10value_typeET4_jRbjT5_S1E_jjP12ihipStream_tbEUljE_ZNSN_ISO_Lb1ESQ_SR_ST_SU_SY_EESZ_S10_S11_S12_S16_S17_S18_S1B_S1C_jS1D_jS1E_S1E_jjS1G_bEUljE0_EEESZ_S10_S11_S18_S1C_S1E_T6_T7_T9_mT8_S1G_bDpT10_ENKUlT_T0_E_clISt17integral_constantIbLb0EES1T_IbLb1EEEEDaS1P_S1Q_EUlS1P_E_NS1_11comp_targetILNS1_3genE8ELNS1_11target_archE1030ELNS1_3gpuE2ELNS1_3repE0EEENS1_30default_config_static_selectorELNS0_4arch9wavefront6targetE1EEEvS12_
		.amdhsa_group_segment_fixed_size 0
		.amdhsa_private_segment_fixed_size 0
		.amdhsa_kernarg_size 184
		.amdhsa_user_sgpr_count 6
		.amdhsa_user_sgpr_private_segment_buffer 1
		.amdhsa_user_sgpr_dispatch_ptr 0
		.amdhsa_user_sgpr_queue_ptr 0
		.amdhsa_user_sgpr_kernarg_segment_ptr 1
		.amdhsa_user_sgpr_dispatch_id 0
		.amdhsa_user_sgpr_flat_scratch_init 0
		.amdhsa_user_sgpr_kernarg_preload_length 0
		.amdhsa_user_sgpr_kernarg_preload_offset 0
		.amdhsa_user_sgpr_private_segment_size 0
		.amdhsa_uses_dynamic_stack 0
		.amdhsa_system_sgpr_private_segment_wavefront_offset 0
		.amdhsa_system_sgpr_workgroup_id_x 1
		.amdhsa_system_sgpr_workgroup_id_y 0
		.amdhsa_system_sgpr_workgroup_id_z 0
		.amdhsa_system_sgpr_workgroup_info 0
		.amdhsa_system_vgpr_workitem_id 0
		.amdhsa_next_free_vgpr 1
		.amdhsa_next_free_sgpr 0
		.amdhsa_accum_offset 4
		.amdhsa_reserve_vcc 0
		.amdhsa_reserve_flat_scratch 0
		.amdhsa_float_round_mode_32 0
		.amdhsa_float_round_mode_16_64 0
		.amdhsa_float_denorm_mode_32 3
		.amdhsa_float_denorm_mode_16_64 3
		.amdhsa_dx10_clamp 1
		.amdhsa_ieee_mode 1
		.amdhsa_fp16_overflow 0
		.amdhsa_tg_split 0
		.amdhsa_exception_fp_ieee_invalid_op 0
		.amdhsa_exception_fp_denorm_src 0
		.amdhsa_exception_fp_ieee_div_zero 0
		.amdhsa_exception_fp_ieee_overflow 0
		.amdhsa_exception_fp_ieee_underflow 0
		.amdhsa_exception_fp_ieee_inexact 0
		.amdhsa_exception_int_div_zero 0
	.end_amdhsa_kernel
	.section	.text._ZN7rocprim17ROCPRIM_400000_NS6detail17trampoline_kernelINS0_13select_configILj256ELj13ELNS0_17block_load_methodE3ELS4_3ELS4_3ELNS0_20block_scan_algorithmE0ELj4294967295EEENS1_25partition_config_selectorILNS1_17partition_subalgoE4EjNS0_10empty_typeEbEEZZNS1_14partition_implILS8_4ELb0ES6_15HIP_vector_typeIjLj2EENS0_17counting_iteratorIjlEEPS9_SG_NS0_5tupleIJPjSI_NS0_16reverse_iteratorISI_EEEEENSH_IJSG_SG_SG_EEES9_SI_JZNS1_25segmented_radix_sort_implINS0_14default_configELb1EPKsPsPKlPlN2at6native12_GLOBAL__N_18offset_tEEE10hipError_tPvRmT1_PNSt15iterator_traitsIS12_E10value_typeET2_T3_PNS13_IS18_E10value_typeET4_jRbjT5_S1E_jjP12ihipStream_tbEUljE_ZNSN_ISO_Lb1ESQ_SR_ST_SU_SY_EESZ_S10_S11_S12_S16_S17_S18_S1B_S1C_jS1D_jS1E_S1E_jjS1G_bEUljE0_EEESZ_S10_S11_S18_S1C_S1E_T6_T7_T9_mT8_S1G_bDpT10_ENKUlT_T0_E_clISt17integral_constantIbLb0EES1T_IbLb1EEEEDaS1P_S1Q_EUlS1P_E_NS1_11comp_targetILNS1_3genE8ELNS1_11target_archE1030ELNS1_3gpuE2ELNS1_3repE0EEENS1_30default_config_static_selectorELNS0_4arch9wavefront6targetE1EEEvS12_,"axG",@progbits,_ZN7rocprim17ROCPRIM_400000_NS6detail17trampoline_kernelINS0_13select_configILj256ELj13ELNS0_17block_load_methodE3ELS4_3ELS4_3ELNS0_20block_scan_algorithmE0ELj4294967295EEENS1_25partition_config_selectorILNS1_17partition_subalgoE4EjNS0_10empty_typeEbEEZZNS1_14partition_implILS8_4ELb0ES6_15HIP_vector_typeIjLj2EENS0_17counting_iteratorIjlEEPS9_SG_NS0_5tupleIJPjSI_NS0_16reverse_iteratorISI_EEEEENSH_IJSG_SG_SG_EEES9_SI_JZNS1_25segmented_radix_sort_implINS0_14default_configELb1EPKsPsPKlPlN2at6native12_GLOBAL__N_18offset_tEEE10hipError_tPvRmT1_PNSt15iterator_traitsIS12_E10value_typeET2_T3_PNS13_IS18_E10value_typeET4_jRbjT5_S1E_jjP12ihipStream_tbEUljE_ZNSN_ISO_Lb1ESQ_SR_ST_SU_SY_EESZ_S10_S11_S12_S16_S17_S18_S1B_S1C_jS1D_jS1E_S1E_jjS1G_bEUljE0_EEESZ_S10_S11_S18_S1C_S1E_T6_T7_T9_mT8_S1G_bDpT10_ENKUlT_T0_E_clISt17integral_constantIbLb0EES1T_IbLb1EEEEDaS1P_S1Q_EUlS1P_E_NS1_11comp_targetILNS1_3genE8ELNS1_11target_archE1030ELNS1_3gpuE2ELNS1_3repE0EEENS1_30default_config_static_selectorELNS0_4arch9wavefront6targetE1EEEvS12_,comdat
.Lfunc_end878:
	.size	_ZN7rocprim17ROCPRIM_400000_NS6detail17trampoline_kernelINS0_13select_configILj256ELj13ELNS0_17block_load_methodE3ELS4_3ELS4_3ELNS0_20block_scan_algorithmE0ELj4294967295EEENS1_25partition_config_selectorILNS1_17partition_subalgoE4EjNS0_10empty_typeEbEEZZNS1_14partition_implILS8_4ELb0ES6_15HIP_vector_typeIjLj2EENS0_17counting_iteratorIjlEEPS9_SG_NS0_5tupleIJPjSI_NS0_16reverse_iteratorISI_EEEEENSH_IJSG_SG_SG_EEES9_SI_JZNS1_25segmented_radix_sort_implINS0_14default_configELb1EPKsPsPKlPlN2at6native12_GLOBAL__N_18offset_tEEE10hipError_tPvRmT1_PNSt15iterator_traitsIS12_E10value_typeET2_T3_PNS13_IS18_E10value_typeET4_jRbjT5_S1E_jjP12ihipStream_tbEUljE_ZNSN_ISO_Lb1ESQ_SR_ST_SU_SY_EESZ_S10_S11_S12_S16_S17_S18_S1B_S1C_jS1D_jS1E_S1E_jjS1G_bEUljE0_EEESZ_S10_S11_S18_S1C_S1E_T6_T7_T9_mT8_S1G_bDpT10_ENKUlT_T0_E_clISt17integral_constantIbLb0EES1T_IbLb1EEEEDaS1P_S1Q_EUlS1P_E_NS1_11comp_targetILNS1_3genE8ELNS1_11target_archE1030ELNS1_3gpuE2ELNS1_3repE0EEENS1_30default_config_static_selectorELNS0_4arch9wavefront6targetE1EEEvS12_, .Lfunc_end878-_ZN7rocprim17ROCPRIM_400000_NS6detail17trampoline_kernelINS0_13select_configILj256ELj13ELNS0_17block_load_methodE3ELS4_3ELS4_3ELNS0_20block_scan_algorithmE0ELj4294967295EEENS1_25partition_config_selectorILNS1_17partition_subalgoE4EjNS0_10empty_typeEbEEZZNS1_14partition_implILS8_4ELb0ES6_15HIP_vector_typeIjLj2EENS0_17counting_iteratorIjlEEPS9_SG_NS0_5tupleIJPjSI_NS0_16reverse_iteratorISI_EEEEENSH_IJSG_SG_SG_EEES9_SI_JZNS1_25segmented_radix_sort_implINS0_14default_configELb1EPKsPsPKlPlN2at6native12_GLOBAL__N_18offset_tEEE10hipError_tPvRmT1_PNSt15iterator_traitsIS12_E10value_typeET2_T3_PNS13_IS18_E10value_typeET4_jRbjT5_S1E_jjP12ihipStream_tbEUljE_ZNSN_ISO_Lb1ESQ_SR_ST_SU_SY_EESZ_S10_S11_S12_S16_S17_S18_S1B_S1C_jS1D_jS1E_S1E_jjS1G_bEUljE0_EEESZ_S10_S11_S18_S1C_S1E_T6_T7_T9_mT8_S1G_bDpT10_ENKUlT_T0_E_clISt17integral_constantIbLb0EES1T_IbLb1EEEEDaS1P_S1Q_EUlS1P_E_NS1_11comp_targetILNS1_3genE8ELNS1_11target_archE1030ELNS1_3gpuE2ELNS1_3repE0EEENS1_30default_config_static_selectorELNS0_4arch9wavefront6targetE1EEEvS12_
                                        ; -- End function
	.section	.AMDGPU.csdata,"",@progbits
; Kernel info:
; codeLenInByte = 0
; NumSgprs: 4
; NumVgprs: 0
; NumAgprs: 0
; TotalNumVgprs: 0
; ScratchSize: 0
; MemoryBound: 0
; FloatMode: 240
; IeeeMode: 1
; LDSByteSize: 0 bytes/workgroup (compile time only)
; SGPRBlocks: 0
; VGPRBlocks: 0
; NumSGPRsForWavesPerEU: 4
; NumVGPRsForWavesPerEU: 1
; AccumOffset: 4
; Occupancy: 8
; WaveLimiterHint : 0
; COMPUTE_PGM_RSRC2:SCRATCH_EN: 0
; COMPUTE_PGM_RSRC2:USER_SGPR: 6
; COMPUTE_PGM_RSRC2:TRAP_HANDLER: 0
; COMPUTE_PGM_RSRC2:TGID_X_EN: 1
; COMPUTE_PGM_RSRC2:TGID_Y_EN: 0
; COMPUTE_PGM_RSRC2:TGID_Z_EN: 0
; COMPUTE_PGM_RSRC2:TIDIG_COMP_CNT: 0
; COMPUTE_PGM_RSRC3_GFX90A:ACCUM_OFFSET: 0
; COMPUTE_PGM_RSRC3_GFX90A:TG_SPLIT: 0
	.section	.text._ZN7rocprim17ROCPRIM_400000_NS6detail17trampoline_kernelINS0_13select_configILj256ELj13ELNS0_17block_load_methodE3ELS4_3ELS4_3ELNS0_20block_scan_algorithmE0ELj4294967295EEENS1_25partition_config_selectorILNS1_17partition_subalgoE3EjNS0_10empty_typeEbEEZZNS1_14partition_implILS8_3ELb0ES6_jNS0_17counting_iteratorIjlEEPS9_SE_NS0_5tupleIJPjSE_EEENSF_IJSE_SE_EEES9_SG_JZNS1_25segmented_radix_sort_implINS0_14default_configELb1EPKsPsPKlPlN2at6native12_GLOBAL__N_18offset_tEEE10hipError_tPvRmT1_PNSt15iterator_traitsISY_E10value_typeET2_T3_PNSZ_IS14_E10value_typeET4_jRbjT5_S1A_jjP12ihipStream_tbEUljE_EEESV_SW_SX_S14_S18_S1A_T6_T7_T9_mT8_S1C_bDpT10_ENKUlT_T0_E_clISt17integral_constantIbLb0EES1P_EEDaS1K_S1L_EUlS1K_E_NS1_11comp_targetILNS1_3genE0ELNS1_11target_archE4294967295ELNS1_3gpuE0ELNS1_3repE0EEENS1_30default_config_static_selectorELNS0_4arch9wavefront6targetE1EEEvSY_,"axG",@progbits,_ZN7rocprim17ROCPRIM_400000_NS6detail17trampoline_kernelINS0_13select_configILj256ELj13ELNS0_17block_load_methodE3ELS4_3ELS4_3ELNS0_20block_scan_algorithmE0ELj4294967295EEENS1_25partition_config_selectorILNS1_17partition_subalgoE3EjNS0_10empty_typeEbEEZZNS1_14partition_implILS8_3ELb0ES6_jNS0_17counting_iteratorIjlEEPS9_SE_NS0_5tupleIJPjSE_EEENSF_IJSE_SE_EEES9_SG_JZNS1_25segmented_radix_sort_implINS0_14default_configELb1EPKsPsPKlPlN2at6native12_GLOBAL__N_18offset_tEEE10hipError_tPvRmT1_PNSt15iterator_traitsISY_E10value_typeET2_T3_PNSZ_IS14_E10value_typeET4_jRbjT5_S1A_jjP12ihipStream_tbEUljE_EEESV_SW_SX_S14_S18_S1A_T6_T7_T9_mT8_S1C_bDpT10_ENKUlT_T0_E_clISt17integral_constantIbLb0EES1P_EEDaS1K_S1L_EUlS1K_E_NS1_11comp_targetILNS1_3genE0ELNS1_11target_archE4294967295ELNS1_3gpuE0ELNS1_3repE0EEENS1_30default_config_static_selectorELNS0_4arch9wavefront6targetE1EEEvSY_,comdat
	.globl	_ZN7rocprim17ROCPRIM_400000_NS6detail17trampoline_kernelINS0_13select_configILj256ELj13ELNS0_17block_load_methodE3ELS4_3ELS4_3ELNS0_20block_scan_algorithmE0ELj4294967295EEENS1_25partition_config_selectorILNS1_17partition_subalgoE3EjNS0_10empty_typeEbEEZZNS1_14partition_implILS8_3ELb0ES6_jNS0_17counting_iteratorIjlEEPS9_SE_NS0_5tupleIJPjSE_EEENSF_IJSE_SE_EEES9_SG_JZNS1_25segmented_radix_sort_implINS0_14default_configELb1EPKsPsPKlPlN2at6native12_GLOBAL__N_18offset_tEEE10hipError_tPvRmT1_PNSt15iterator_traitsISY_E10value_typeET2_T3_PNSZ_IS14_E10value_typeET4_jRbjT5_S1A_jjP12ihipStream_tbEUljE_EEESV_SW_SX_S14_S18_S1A_T6_T7_T9_mT8_S1C_bDpT10_ENKUlT_T0_E_clISt17integral_constantIbLb0EES1P_EEDaS1K_S1L_EUlS1K_E_NS1_11comp_targetILNS1_3genE0ELNS1_11target_archE4294967295ELNS1_3gpuE0ELNS1_3repE0EEENS1_30default_config_static_selectorELNS0_4arch9wavefront6targetE1EEEvSY_ ; -- Begin function _ZN7rocprim17ROCPRIM_400000_NS6detail17trampoline_kernelINS0_13select_configILj256ELj13ELNS0_17block_load_methodE3ELS4_3ELS4_3ELNS0_20block_scan_algorithmE0ELj4294967295EEENS1_25partition_config_selectorILNS1_17partition_subalgoE3EjNS0_10empty_typeEbEEZZNS1_14partition_implILS8_3ELb0ES6_jNS0_17counting_iteratorIjlEEPS9_SE_NS0_5tupleIJPjSE_EEENSF_IJSE_SE_EEES9_SG_JZNS1_25segmented_radix_sort_implINS0_14default_configELb1EPKsPsPKlPlN2at6native12_GLOBAL__N_18offset_tEEE10hipError_tPvRmT1_PNSt15iterator_traitsISY_E10value_typeET2_T3_PNSZ_IS14_E10value_typeET4_jRbjT5_S1A_jjP12ihipStream_tbEUljE_EEESV_SW_SX_S14_S18_S1A_T6_T7_T9_mT8_S1C_bDpT10_ENKUlT_T0_E_clISt17integral_constantIbLb0EES1P_EEDaS1K_S1L_EUlS1K_E_NS1_11comp_targetILNS1_3genE0ELNS1_11target_archE4294967295ELNS1_3gpuE0ELNS1_3repE0EEENS1_30default_config_static_selectorELNS0_4arch9wavefront6targetE1EEEvSY_
	.p2align	8
	.type	_ZN7rocprim17ROCPRIM_400000_NS6detail17trampoline_kernelINS0_13select_configILj256ELj13ELNS0_17block_load_methodE3ELS4_3ELS4_3ELNS0_20block_scan_algorithmE0ELj4294967295EEENS1_25partition_config_selectorILNS1_17partition_subalgoE3EjNS0_10empty_typeEbEEZZNS1_14partition_implILS8_3ELb0ES6_jNS0_17counting_iteratorIjlEEPS9_SE_NS0_5tupleIJPjSE_EEENSF_IJSE_SE_EEES9_SG_JZNS1_25segmented_radix_sort_implINS0_14default_configELb1EPKsPsPKlPlN2at6native12_GLOBAL__N_18offset_tEEE10hipError_tPvRmT1_PNSt15iterator_traitsISY_E10value_typeET2_T3_PNSZ_IS14_E10value_typeET4_jRbjT5_S1A_jjP12ihipStream_tbEUljE_EEESV_SW_SX_S14_S18_S1A_T6_T7_T9_mT8_S1C_bDpT10_ENKUlT_T0_E_clISt17integral_constantIbLb0EES1P_EEDaS1K_S1L_EUlS1K_E_NS1_11comp_targetILNS1_3genE0ELNS1_11target_archE4294967295ELNS1_3gpuE0ELNS1_3repE0EEENS1_30default_config_static_selectorELNS0_4arch9wavefront6targetE1EEEvSY_,@function
_ZN7rocprim17ROCPRIM_400000_NS6detail17trampoline_kernelINS0_13select_configILj256ELj13ELNS0_17block_load_methodE3ELS4_3ELS4_3ELNS0_20block_scan_algorithmE0ELj4294967295EEENS1_25partition_config_selectorILNS1_17partition_subalgoE3EjNS0_10empty_typeEbEEZZNS1_14partition_implILS8_3ELb0ES6_jNS0_17counting_iteratorIjlEEPS9_SE_NS0_5tupleIJPjSE_EEENSF_IJSE_SE_EEES9_SG_JZNS1_25segmented_radix_sort_implINS0_14default_configELb1EPKsPsPKlPlN2at6native12_GLOBAL__N_18offset_tEEE10hipError_tPvRmT1_PNSt15iterator_traitsISY_E10value_typeET2_T3_PNSZ_IS14_E10value_typeET4_jRbjT5_S1A_jjP12ihipStream_tbEUljE_EEESV_SW_SX_S14_S18_S1A_T6_T7_T9_mT8_S1C_bDpT10_ENKUlT_T0_E_clISt17integral_constantIbLb0EES1P_EEDaS1K_S1L_EUlS1K_E_NS1_11comp_targetILNS1_3genE0ELNS1_11target_archE4294967295ELNS1_3gpuE0ELNS1_3repE0EEENS1_30default_config_static_selectorELNS0_4arch9wavefront6targetE1EEEvSY_: ; @_ZN7rocprim17ROCPRIM_400000_NS6detail17trampoline_kernelINS0_13select_configILj256ELj13ELNS0_17block_load_methodE3ELS4_3ELS4_3ELNS0_20block_scan_algorithmE0ELj4294967295EEENS1_25partition_config_selectorILNS1_17partition_subalgoE3EjNS0_10empty_typeEbEEZZNS1_14partition_implILS8_3ELb0ES6_jNS0_17counting_iteratorIjlEEPS9_SE_NS0_5tupleIJPjSE_EEENSF_IJSE_SE_EEES9_SG_JZNS1_25segmented_radix_sort_implINS0_14default_configELb1EPKsPsPKlPlN2at6native12_GLOBAL__N_18offset_tEEE10hipError_tPvRmT1_PNSt15iterator_traitsISY_E10value_typeET2_T3_PNSZ_IS14_E10value_typeET4_jRbjT5_S1A_jjP12ihipStream_tbEUljE_EEESV_SW_SX_S14_S18_S1A_T6_T7_T9_mT8_S1C_bDpT10_ENKUlT_T0_E_clISt17integral_constantIbLb0EES1P_EEDaS1K_S1L_EUlS1K_E_NS1_11comp_targetILNS1_3genE0ELNS1_11target_archE4294967295ELNS1_3gpuE0ELNS1_3repE0EEENS1_30default_config_static_selectorELNS0_4arch9wavefront6targetE1EEEvSY_
; %bb.0:
	.section	.rodata,"a",@progbits
	.p2align	6, 0x0
	.amdhsa_kernel _ZN7rocprim17ROCPRIM_400000_NS6detail17trampoline_kernelINS0_13select_configILj256ELj13ELNS0_17block_load_methodE3ELS4_3ELS4_3ELNS0_20block_scan_algorithmE0ELj4294967295EEENS1_25partition_config_selectorILNS1_17partition_subalgoE3EjNS0_10empty_typeEbEEZZNS1_14partition_implILS8_3ELb0ES6_jNS0_17counting_iteratorIjlEEPS9_SE_NS0_5tupleIJPjSE_EEENSF_IJSE_SE_EEES9_SG_JZNS1_25segmented_radix_sort_implINS0_14default_configELb1EPKsPsPKlPlN2at6native12_GLOBAL__N_18offset_tEEE10hipError_tPvRmT1_PNSt15iterator_traitsISY_E10value_typeET2_T3_PNSZ_IS14_E10value_typeET4_jRbjT5_S1A_jjP12ihipStream_tbEUljE_EEESV_SW_SX_S14_S18_S1A_T6_T7_T9_mT8_S1C_bDpT10_ENKUlT_T0_E_clISt17integral_constantIbLb0EES1P_EEDaS1K_S1L_EUlS1K_E_NS1_11comp_targetILNS1_3genE0ELNS1_11target_archE4294967295ELNS1_3gpuE0ELNS1_3repE0EEENS1_30default_config_static_selectorELNS0_4arch9wavefront6targetE1EEEvSY_
		.amdhsa_group_segment_fixed_size 0
		.amdhsa_private_segment_fixed_size 0
		.amdhsa_kernarg_size 144
		.amdhsa_user_sgpr_count 6
		.amdhsa_user_sgpr_private_segment_buffer 1
		.amdhsa_user_sgpr_dispatch_ptr 0
		.amdhsa_user_sgpr_queue_ptr 0
		.amdhsa_user_sgpr_kernarg_segment_ptr 1
		.amdhsa_user_sgpr_dispatch_id 0
		.amdhsa_user_sgpr_flat_scratch_init 0
		.amdhsa_user_sgpr_kernarg_preload_length 0
		.amdhsa_user_sgpr_kernarg_preload_offset 0
		.amdhsa_user_sgpr_private_segment_size 0
		.amdhsa_uses_dynamic_stack 0
		.amdhsa_system_sgpr_private_segment_wavefront_offset 0
		.amdhsa_system_sgpr_workgroup_id_x 1
		.amdhsa_system_sgpr_workgroup_id_y 0
		.amdhsa_system_sgpr_workgroup_id_z 0
		.amdhsa_system_sgpr_workgroup_info 0
		.amdhsa_system_vgpr_workitem_id 0
		.amdhsa_next_free_vgpr 1
		.amdhsa_next_free_sgpr 0
		.amdhsa_accum_offset 4
		.amdhsa_reserve_vcc 0
		.amdhsa_reserve_flat_scratch 0
		.amdhsa_float_round_mode_32 0
		.amdhsa_float_round_mode_16_64 0
		.amdhsa_float_denorm_mode_32 3
		.amdhsa_float_denorm_mode_16_64 3
		.amdhsa_dx10_clamp 1
		.amdhsa_ieee_mode 1
		.amdhsa_fp16_overflow 0
		.amdhsa_tg_split 0
		.amdhsa_exception_fp_ieee_invalid_op 0
		.amdhsa_exception_fp_denorm_src 0
		.amdhsa_exception_fp_ieee_div_zero 0
		.amdhsa_exception_fp_ieee_overflow 0
		.amdhsa_exception_fp_ieee_underflow 0
		.amdhsa_exception_fp_ieee_inexact 0
		.amdhsa_exception_int_div_zero 0
	.end_amdhsa_kernel
	.section	.text._ZN7rocprim17ROCPRIM_400000_NS6detail17trampoline_kernelINS0_13select_configILj256ELj13ELNS0_17block_load_methodE3ELS4_3ELS4_3ELNS0_20block_scan_algorithmE0ELj4294967295EEENS1_25partition_config_selectorILNS1_17partition_subalgoE3EjNS0_10empty_typeEbEEZZNS1_14partition_implILS8_3ELb0ES6_jNS0_17counting_iteratorIjlEEPS9_SE_NS0_5tupleIJPjSE_EEENSF_IJSE_SE_EEES9_SG_JZNS1_25segmented_radix_sort_implINS0_14default_configELb1EPKsPsPKlPlN2at6native12_GLOBAL__N_18offset_tEEE10hipError_tPvRmT1_PNSt15iterator_traitsISY_E10value_typeET2_T3_PNSZ_IS14_E10value_typeET4_jRbjT5_S1A_jjP12ihipStream_tbEUljE_EEESV_SW_SX_S14_S18_S1A_T6_T7_T9_mT8_S1C_bDpT10_ENKUlT_T0_E_clISt17integral_constantIbLb0EES1P_EEDaS1K_S1L_EUlS1K_E_NS1_11comp_targetILNS1_3genE0ELNS1_11target_archE4294967295ELNS1_3gpuE0ELNS1_3repE0EEENS1_30default_config_static_selectorELNS0_4arch9wavefront6targetE1EEEvSY_,"axG",@progbits,_ZN7rocprim17ROCPRIM_400000_NS6detail17trampoline_kernelINS0_13select_configILj256ELj13ELNS0_17block_load_methodE3ELS4_3ELS4_3ELNS0_20block_scan_algorithmE0ELj4294967295EEENS1_25partition_config_selectorILNS1_17partition_subalgoE3EjNS0_10empty_typeEbEEZZNS1_14partition_implILS8_3ELb0ES6_jNS0_17counting_iteratorIjlEEPS9_SE_NS0_5tupleIJPjSE_EEENSF_IJSE_SE_EEES9_SG_JZNS1_25segmented_radix_sort_implINS0_14default_configELb1EPKsPsPKlPlN2at6native12_GLOBAL__N_18offset_tEEE10hipError_tPvRmT1_PNSt15iterator_traitsISY_E10value_typeET2_T3_PNSZ_IS14_E10value_typeET4_jRbjT5_S1A_jjP12ihipStream_tbEUljE_EEESV_SW_SX_S14_S18_S1A_T6_T7_T9_mT8_S1C_bDpT10_ENKUlT_T0_E_clISt17integral_constantIbLb0EES1P_EEDaS1K_S1L_EUlS1K_E_NS1_11comp_targetILNS1_3genE0ELNS1_11target_archE4294967295ELNS1_3gpuE0ELNS1_3repE0EEENS1_30default_config_static_selectorELNS0_4arch9wavefront6targetE1EEEvSY_,comdat
.Lfunc_end879:
	.size	_ZN7rocprim17ROCPRIM_400000_NS6detail17trampoline_kernelINS0_13select_configILj256ELj13ELNS0_17block_load_methodE3ELS4_3ELS4_3ELNS0_20block_scan_algorithmE0ELj4294967295EEENS1_25partition_config_selectorILNS1_17partition_subalgoE3EjNS0_10empty_typeEbEEZZNS1_14partition_implILS8_3ELb0ES6_jNS0_17counting_iteratorIjlEEPS9_SE_NS0_5tupleIJPjSE_EEENSF_IJSE_SE_EEES9_SG_JZNS1_25segmented_radix_sort_implINS0_14default_configELb1EPKsPsPKlPlN2at6native12_GLOBAL__N_18offset_tEEE10hipError_tPvRmT1_PNSt15iterator_traitsISY_E10value_typeET2_T3_PNSZ_IS14_E10value_typeET4_jRbjT5_S1A_jjP12ihipStream_tbEUljE_EEESV_SW_SX_S14_S18_S1A_T6_T7_T9_mT8_S1C_bDpT10_ENKUlT_T0_E_clISt17integral_constantIbLb0EES1P_EEDaS1K_S1L_EUlS1K_E_NS1_11comp_targetILNS1_3genE0ELNS1_11target_archE4294967295ELNS1_3gpuE0ELNS1_3repE0EEENS1_30default_config_static_selectorELNS0_4arch9wavefront6targetE1EEEvSY_, .Lfunc_end879-_ZN7rocprim17ROCPRIM_400000_NS6detail17trampoline_kernelINS0_13select_configILj256ELj13ELNS0_17block_load_methodE3ELS4_3ELS4_3ELNS0_20block_scan_algorithmE0ELj4294967295EEENS1_25partition_config_selectorILNS1_17partition_subalgoE3EjNS0_10empty_typeEbEEZZNS1_14partition_implILS8_3ELb0ES6_jNS0_17counting_iteratorIjlEEPS9_SE_NS0_5tupleIJPjSE_EEENSF_IJSE_SE_EEES9_SG_JZNS1_25segmented_radix_sort_implINS0_14default_configELb1EPKsPsPKlPlN2at6native12_GLOBAL__N_18offset_tEEE10hipError_tPvRmT1_PNSt15iterator_traitsISY_E10value_typeET2_T3_PNSZ_IS14_E10value_typeET4_jRbjT5_S1A_jjP12ihipStream_tbEUljE_EEESV_SW_SX_S14_S18_S1A_T6_T7_T9_mT8_S1C_bDpT10_ENKUlT_T0_E_clISt17integral_constantIbLb0EES1P_EEDaS1K_S1L_EUlS1K_E_NS1_11comp_targetILNS1_3genE0ELNS1_11target_archE4294967295ELNS1_3gpuE0ELNS1_3repE0EEENS1_30default_config_static_selectorELNS0_4arch9wavefront6targetE1EEEvSY_
                                        ; -- End function
	.section	.AMDGPU.csdata,"",@progbits
; Kernel info:
; codeLenInByte = 0
; NumSgprs: 4
; NumVgprs: 0
; NumAgprs: 0
; TotalNumVgprs: 0
; ScratchSize: 0
; MemoryBound: 0
; FloatMode: 240
; IeeeMode: 1
; LDSByteSize: 0 bytes/workgroup (compile time only)
; SGPRBlocks: 0
; VGPRBlocks: 0
; NumSGPRsForWavesPerEU: 4
; NumVGPRsForWavesPerEU: 1
; AccumOffset: 4
; Occupancy: 8
; WaveLimiterHint : 0
; COMPUTE_PGM_RSRC2:SCRATCH_EN: 0
; COMPUTE_PGM_RSRC2:USER_SGPR: 6
; COMPUTE_PGM_RSRC2:TRAP_HANDLER: 0
; COMPUTE_PGM_RSRC2:TGID_X_EN: 1
; COMPUTE_PGM_RSRC2:TGID_Y_EN: 0
; COMPUTE_PGM_RSRC2:TGID_Z_EN: 0
; COMPUTE_PGM_RSRC2:TIDIG_COMP_CNT: 0
; COMPUTE_PGM_RSRC3_GFX90A:ACCUM_OFFSET: 0
; COMPUTE_PGM_RSRC3_GFX90A:TG_SPLIT: 0
	.section	.text._ZN7rocprim17ROCPRIM_400000_NS6detail17trampoline_kernelINS0_13select_configILj256ELj13ELNS0_17block_load_methodE3ELS4_3ELS4_3ELNS0_20block_scan_algorithmE0ELj4294967295EEENS1_25partition_config_selectorILNS1_17partition_subalgoE3EjNS0_10empty_typeEbEEZZNS1_14partition_implILS8_3ELb0ES6_jNS0_17counting_iteratorIjlEEPS9_SE_NS0_5tupleIJPjSE_EEENSF_IJSE_SE_EEES9_SG_JZNS1_25segmented_radix_sort_implINS0_14default_configELb1EPKsPsPKlPlN2at6native12_GLOBAL__N_18offset_tEEE10hipError_tPvRmT1_PNSt15iterator_traitsISY_E10value_typeET2_T3_PNSZ_IS14_E10value_typeET4_jRbjT5_S1A_jjP12ihipStream_tbEUljE_EEESV_SW_SX_S14_S18_S1A_T6_T7_T9_mT8_S1C_bDpT10_ENKUlT_T0_E_clISt17integral_constantIbLb0EES1P_EEDaS1K_S1L_EUlS1K_E_NS1_11comp_targetILNS1_3genE5ELNS1_11target_archE942ELNS1_3gpuE9ELNS1_3repE0EEENS1_30default_config_static_selectorELNS0_4arch9wavefront6targetE1EEEvSY_,"axG",@progbits,_ZN7rocprim17ROCPRIM_400000_NS6detail17trampoline_kernelINS0_13select_configILj256ELj13ELNS0_17block_load_methodE3ELS4_3ELS4_3ELNS0_20block_scan_algorithmE0ELj4294967295EEENS1_25partition_config_selectorILNS1_17partition_subalgoE3EjNS0_10empty_typeEbEEZZNS1_14partition_implILS8_3ELb0ES6_jNS0_17counting_iteratorIjlEEPS9_SE_NS0_5tupleIJPjSE_EEENSF_IJSE_SE_EEES9_SG_JZNS1_25segmented_radix_sort_implINS0_14default_configELb1EPKsPsPKlPlN2at6native12_GLOBAL__N_18offset_tEEE10hipError_tPvRmT1_PNSt15iterator_traitsISY_E10value_typeET2_T3_PNSZ_IS14_E10value_typeET4_jRbjT5_S1A_jjP12ihipStream_tbEUljE_EEESV_SW_SX_S14_S18_S1A_T6_T7_T9_mT8_S1C_bDpT10_ENKUlT_T0_E_clISt17integral_constantIbLb0EES1P_EEDaS1K_S1L_EUlS1K_E_NS1_11comp_targetILNS1_3genE5ELNS1_11target_archE942ELNS1_3gpuE9ELNS1_3repE0EEENS1_30default_config_static_selectorELNS0_4arch9wavefront6targetE1EEEvSY_,comdat
	.globl	_ZN7rocprim17ROCPRIM_400000_NS6detail17trampoline_kernelINS0_13select_configILj256ELj13ELNS0_17block_load_methodE3ELS4_3ELS4_3ELNS0_20block_scan_algorithmE0ELj4294967295EEENS1_25partition_config_selectorILNS1_17partition_subalgoE3EjNS0_10empty_typeEbEEZZNS1_14partition_implILS8_3ELb0ES6_jNS0_17counting_iteratorIjlEEPS9_SE_NS0_5tupleIJPjSE_EEENSF_IJSE_SE_EEES9_SG_JZNS1_25segmented_radix_sort_implINS0_14default_configELb1EPKsPsPKlPlN2at6native12_GLOBAL__N_18offset_tEEE10hipError_tPvRmT1_PNSt15iterator_traitsISY_E10value_typeET2_T3_PNSZ_IS14_E10value_typeET4_jRbjT5_S1A_jjP12ihipStream_tbEUljE_EEESV_SW_SX_S14_S18_S1A_T6_T7_T9_mT8_S1C_bDpT10_ENKUlT_T0_E_clISt17integral_constantIbLb0EES1P_EEDaS1K_S1L_EUlS1K_E_NS1_11comp_targetILNS1_3genE5ELNS1_11target_archE942ELNS1_3gpuE9ELNS1_3repE0EEENS1_30default_config_static_selectorELNS0_4arch9wavefront6targetE1EEEvSY_ ; -- Begin function _ZN7rocprim17ROCPRIM_400000_NS6detail17trampoline_kernelINS0_13select_configILj256ELj13ELNS0_17block_load_methodE3ELS4_3ELS4_3ELNS0_20block_scan_algorithmE0ELj4294967295EEENS1_25partition_config_selectorILNS1_17partition_subalgoE3EjNS0_10empty_typeEbEEZZNS1_14partition_implILS8_3ELb0ES6_jNS0_17counting_iteratorIjlEEPS9_SE_NS0_5tupleIJPjSE_EEENSF_IJSE_SE_EEES9_SG_JZNS1_25segmented_radix_sort_implINS0_14default_configELb1EPKsPsPKlPlN2at6native12_GLOBAL__N_18offset_tEEE10hipError_tPvRmT1_PNSt15iterator_traitsISY_E10value_typeET2_T3_PNSZ_IS14_E10value_typeET4_jRbjT5_S1A_jjP12ihipStream_tbEUljE_EEESV_SW_SX_S14_S18_S1A_T6_T7_T9_mT8_S1C_bDpT10_ENKUlT_T0_E_clISt17integral_constantIbLb0EES1P_EEDaS1K_S1L_EUlS1K_E_NS1_11comp_targetILNS1_3genE5ELNS1_11target_archE942ELNS1_3gpuE9ELNS1_3repE0EEENS1_30default_config_static_selectorELNS0_4arch9wavefront6targetE1EEEvSY_
	.p2align	8
	.type	_ZN7rocprim17ROCPRIM_400000_NS6detail17trampoline_kernelINS0_13select_configILj256ELj13ELNS0_17block_load_methodE3ELS4_3ELS4_3ELNS0_20block_scan_algorithmE0ELj4294967295EEENS1_25partition_config_selectorILNS1_17partition_subalgoE3EjNS0_10empty_typeEbEEZZNS1_14partition_implILS8_3ELb0ES6_jNS0_17counting_iteratorIjlEEPS9_SE_NS0_5tupleIJPjSE_EEENSF_IJSE_SE_EEES9_SG_JZNS1_25segmented_radix_sort_implINS0_14default_configELb1EPKsPsPKlPlN2at6native12_GLOBAL__N_18offset_tEEE10hipError_tPvRmT1_PNSt15iterator_traitsISY_E10value_typeET2_T3_PNSZ_IS14_E10value_typeET4_jRbjT5_S1A_jjP12ihipStream_tbEUljE_EEESV_SW_SX_S14_S18_S1A_T6_T7_T9_mT8_S1C_bDpT10_ENKUlT_T0_E_clISt17integral_constantIbLb0EES1P_EEDaS1K_S1L_EUlS1K_E_NS1_11comp_targetILNS1_3genE5ELNS1_11target_archE942ELNS1_3gpuE9ELNS1_3repE0EEENS1_30default_config_static_selectorELNS0_4arch9wavefront6targetE1EEEvSY_,@function
_ZN7rocprim17ROCPRIM_400000_NS6detail17trampoline_kernelINS0_13select_configILj256ELj13ELNS0_17block_load_methodE3ELS4_3ELS4_3ELNS0_20block_scan_algorithmE0ELj4294967295EEENS1_25partition_config_selectorILNS1_17partition_subalgoE3EjNS0_10empty_typeEbEEZZNS1_14partition_implILS8_3ELb0ES6_jNS0_17counting_iteratorIjlEEPS9_SE_NS0_5tupleIJPjSE_EEENSF_IJSE_SE_EEES9_SG_JZNS1_25segmented_radix_sort_implINS0_14default_configELb1EPKsPsPKlPlN2at6native12_GLOBAL__N_18offset_tEEE10hipError_tPvRmT1_PNSt15iterator_traitsISY_E10value_typeET2_T3_PNSZ_IS14_E10value_typeET4_jRbjT5_S1A_jjP12ihipStream_tbEUljE_EEESV_SW_SX_S14_S18_S1A_T6_T7_T9_mT8_S1C_bDpT10_ENKUlT_T0_E_clISt17integral_constantIbLb0EES1P_EEDaS1K_S1L_EUlS1K_E_NS1_11comp_targetILNS1_3genE5ELNS1_11target_archE942ELNS1_3gpuE9ELNS1_3repE0EEENS1_30default_config_static_selectorELNS0_4arch9wavefront6targetE1EEEvSY_: ; @_ZN7rocprim17ROCPRIM_400000_NS6detail17trampoline_kernelINS0_13select_configILj256ELj13ELNS0_17block_load_methodE3ELS4_3ELS4_3ELNS0_20block_scan_algorithmE0ELj4294967295EEENS1_25partition_config_selectorILNS1_17partition_subalgoE3EjNS0_10empty_typeEbEEZZNS1_14partition_implILS8_3ELb0ES6_jNS0_17counting_iteratorIjlEEPS9_SE_NS0_5tupleIJPjSE_EEENSF_IJSE_SE_EEES9_SG_JZNS1_25segmented_radix_sort_implINS0_14default_configELb1EPKsPsPKlPlN2at6native12_GLOBAL__N_18offset_tEEE10hipError_tPvRmT1_PNSt15iterator_traitsISY_E10value_typeET2_T3_PNSZ_IS14_E10value_typeET4_jRbjT5_S1A_jjP12ihipStream_tbEUljE_EEESV_SW_SX_S14_S18_S1A_T6_T7_T9_mT8_S1C_bDpT10_ENKUlT_T0_E_clISt17integral_constantIbLb0EES1P_EEDaS1K_S1L_EUlS1K_E_NS1_11comp_targetILNS1_3genE5ELNS1_11target_archE942ELNS1_3gpuE9ELNS1_3repE0EEENS1_30default_config_static_selectorELNS0_4arch9wavefront6targetE1EEEvSY_
; %bb.0:
	.section	.rodata,"a",@progbits
	.p2align	6, 0x0
	.amdhsa_kernel _ZN7rocprim17ROCPRIM_400000_NS6detail17trampoline_kernelINS0_13select_configILj256ELj13ELNS0_17block_load_methodE3ELS4_3ELS4_3ELNS0_20block_scan_algorithmE0ELj4294967295EEENS1_25partition_config_selectorILNS1_17partition_subalgoE3EjNS0_10empty_typeEbEEZZNS1_14partition_implILS8_3ELb0ES6_jNS0_17counting_iteratorIjlEEPS9_SE_NS0_5tupleIJPjSE_EEENSF_IJSE_SE_EEES9_SG_JZNS1_25segmented_radix_sort_implINS0_14default_configELb1EPKsPsPKlPlN2at6native12_GLOBAL__N_18offset_tEEE10hipError_tPvRmT1_PNSt15iterator_traitsISY_E10value_typeET2_T3_PNSZ_IS14_E10value_typeET4_jRbjT5_S1A_jjP12ihipStream_tbEUljE_EEESV_SW_SX_S14_S18_S1A_T6_T7_T9_mT8_S1C_bDpT10_ENKUlT_T0_E_clISt17integral_constantIbLb0EES1P_EEDaS1K_S1L_EUlS1K_E_NS1_11comp_targetILNS1_3genE5ELNS1_11target_archE942ELNS1_3gpuE9ELNS1_3repE0EEENS1_30default_config_static_selectorELNS0_4arch9wavefront6targetE1EEEvSY_
		.amdhsa_group_segment_fixed_size 0
		.amdhsa_private_segment_fixed_size 0
		.amdhsa_kernarg_size 144
		.amdhsa_user_sgpr_count 6
		.amdhsa_user_sgpr_private_segment_buffer 1
		.amdhsa_user_sgpr_dispatch_ptr 0
		.amdhsa_user_sgpr_queue_ptr 0
		.amdhsa_user_sgpr_kernarg_segment_ptr 1
		.amdhsa_user_sgpr_dispatch_id 0
		.amdhsa_user_sgpr_flat_scratch_init 0
		.amdhsa_user_sgpr_kernarg_preload_length 0
		.amdhsa_user_sgpr_kernarg_preload_offset 0
		.amdhsa_user_sgpr_private_segment_size 0
		.amdhsa_uses_dynamic_stack 0
		.amdhsa_system_sgpr_private_segment_wavefront_offset 0
		.amdhsa_system_sgpr_workgroup_id_x 1
		.amdhsa_system_sgpr_workgroup_id_y 0
		.amdhsa_system_sgpr_workgroup_id_z 0
		.amdhsa_system_sgpr_workgroup_info 0
		.amdhsa_system_vgpr_workitem_id 0
		.amdhsa_next_free_vgpr 1
		.amdhsa_next_free_sgpr 0
		.amdhsa_accum_offset 4
		.amdhsa_reserve_vcc 0
		.amdhsa_reserve_flat_scratch 0
		.amdhsa_float_round_mode_32 0
		.amdhsa_float_round_mode_16_64 0
		.amdhsa_float_denorm_mode_32 3
		.amdhsa_float_denorm_mode_16_64 3
		.amdhsa_dx10_clamp 1
		.amdhsa_ieee_mode 1
		.amdhsa_fp16_overflow 0
		.amdhsa_tg_split 0
		.amdhsa_exception_fp_ieee_invalid_op 0
		.amdhsa_exception_fp_denorm_src 0
		.amdhsa_exception_fp_ieee_div_zero 0
		.amdhsa_exception_fp_ieee_overflow 0
		.amdhsa_exception_fp_ieee_underflow 0
		.amdhsa_exception_fp_ieee_inexact 0
		.amdhsa_exception_int_div_zero 0
	.end_amdhsa_kernel
	.section	.text._ZN7rocprim17ROCPRIM_400000_NS6detail17trampoline_kernelINS0_13select_configILj256ELj13ELNS0_17block_load_methodE3ELS4_3ELS4_3ELNS0_20block_scan_algorithmE0ELj4294967295EEENS1_25partition_config_selectorILNS1_17partition_subalgoE3EjNS0_10empty_typeEbEEZZNS1_14partition_implILS8_3ELb0ES6_jNS0_17counting_iteratorIjlEEPS9_SE_NS0_5tupleIJPjSE_EEENSF_IJSE_SE_EEES9_SG_JZNS1_25segmented_radix_sort_implINS0_14default_configELb1EPKsPsPKlPlN2at6native12_GLOBAL__N_18offset_tEEE10hipError_tPvRmT1_PNSt15iterator_traitsISY_E10value_typeET2_T3_PNSZ_IS14_E10value_typeET4_jRbjT5_S1A_jjP12ihipStream_tbEUljE_EEESV_SW_SX_S14_S18_S1A_T6_T7_T9_mT8_S1C_bDpT10_ENKUlT_T0_E_clISt17integral_constantIbLb0EES1P_EEDaS1K_S1L_EUlS1K_E_NS1_11comp_targetILNS1_3genE5ELNS1_11target_archE942ELNS1_3gpuE9ELNS1_3repE0EEENS1_30default_config_static_selectorELNS0_4arch9wavefront6targetE1EEEvSY_,"axG",@progbits,_ZN7rocprim17ROCPRIM_400000_NS6detail17trampoline_kernelINS0_13select_configILj256ELj13ELNS0_17block_load_methodE3ELS4_3ELS4_3ELNS0_20block_scan_algorithmE0ELj4294967295EEENS1_25partition_config_selectorILNS1_17partition_subalgoE3EjNS0_10empty_typeEbEEZZNS1_14partition_implILS8_3ELb0ES6_jNS0_17counting_iteratorIjlEEPS9_SE_NS0_5tupleIJPjSE_EEENSF_IJSE_SE_EEES9_SG_JZNS1_25segmented_radix_sort_implINS0_14default_configELb1EPKsPsPKlPlN2at6native12_GLOBAL__N_18offset_tEEE10hipError_tPvRmT1_PNSt15iterator_traitsISY_E10value_typeET2_T3_PNSZ_IS14_E10value_typeET4_jRbjT5_S1A_jjP12ihipStream_tbEUljE_EEESV_SW_SX_S14_S18_S1A_T6_T7_T9_mT8_S1C_bDpT10_ENKUlT_T0_E_clISt17integral_constantIbLb0EES1P_EEDaS1K_S1L_EUlS1K_E_NS1_11comp_targetILNS1_3genE5ELNS1_11target_archE942ELNS1_3gpuE9ELNS1_3repE0EEENS1_30default_config_static_selectorELNS0_4arch9wavefront6targetE1EEEvSY_,comdat
.Lfunc_end880:
	.size	_ZN7rocprim17ROCPRIM_400000_NS6detail17trampoline_kernelINS0_13select_configILj256ELj13ELNS0_17block_load_methodE3ELS4_3ELS4_3ELNS0_20block_scan_algorithmE0ELj4294967295EEENS1_25partition_config_selectorILNS1_17partition_subalgoE3EjNS0_10empty_typeEbEEZZNS1_14partition_implILS8_3ELb0ES6_jNS0_17counting_iteratorIjlEEPS9_SE_NS0_5tupleIJPjSE_EEENSF_IJSE_SE_EEES9_SG_JZNS1_25segmented_radix_sort_implINS0_14default_configELb1EPKsPsPKlPlN2at6native12_GLOBAL__N_18offset_tEEE10hipError_tPvRmT1_PNSt15iterator_traitsISY_E10value_typeET2_T3_PNSZ_IS14_E10value_typeET4_jRbjT5_S1A_jjP12ihipStream_tbEUljE_EEESV_SW_SX_S14_S18_S1A_T6_T7_T9_mT8_S1C_bDpT10_ENKUlT_T0_E_clISt17integral_constantIbLb0EES1P_EEDaS1K_S1L_EUlS1K_E_NS1_11comp_targetILNS1_3genE5ELNS1_11target_archE942ELNS1_3gpuE9ELNS1_3repE0EEENS1_30default_config_static_selectorELNS0_4arch9wavefront6targetE1EEEvSY_, .Lfunc_end880-_ZN7rocprim17ROCPRIM_400000_NS6detail17trampoline_kernelINS0_13select_configILj256ELj13ELNS0_17block_load_methodE3ELS4_3ELS4_3ELNS0_20block_scan_algorithmE0ELj4294967295EEENS1_25partition_config_selectorILNS1_17partition_subalgoE3EjNS0_10empty_typeEbEEZZNS1_14partition_implILS8_3ELb0ES6_jNS0_17counting_iteratorIjlEEPS9_SE_NS0_5tupleIJPjSE_EEENSF_IJSE_SE_EEES9_SG_JZNS1_25segmented_radix_sort_implINS0_14default_configELb1EPKsPsPKlPlN2at6native12_GLOBAL__N_18offset_tEEE10hipError_tPvRmT1_PNSt15iterator_traitsISY_E10value_typeET2_T3_PNSZ_IS14_E10value_typeET4_jRbjT5_S1A_jjP12ihipStream_tbEUljE_EEESV_SW_SX_S14_S18_S1A_T6_T7_T9_mT8_S1C_bDpT10_ENKUlT_T0_E_clISt17integral_constantIbLb0EES1P_EEDaS1K_S1L_EUlS1K_E_NS1_11comp_targetILNS1_3genE5ELNS1_11target_archE942ELNS1_3gpuE9ELNS1_3repE0EEENS1_30default_config_static_selectorELNS0_4arch9wavefront6targetE1EEEvSY_
                                        ; -- End function
	.section	.AMDGPU.csdata,"",@progbits
; Kernel info:
; codeLenInByte = 0
; NumSgprs: 4
; NumVgprs: 0
; NumAgprs: 0
; TotalNumVgprs: 0
; ScratchSize: 0
; MemoryBound: 0
; FloatMode: 240
; IeeeMode: 1
; LDSByteSize: 0 bytes/workgroup (compile time only)
; SGPRBlocks: 0
; VGPRBlocks: 0
; NumSGPRsForWavesPerEU: 4
; NumVGPRsForWavesPerEU: 1
; AccumOffset: 4
; Occupancy: 8
; WaveLimiterHint : 0
; COMPUTE_PGM_RSRC2:SCRATCH_EN: 0
; COMPUTE_PGM_RSRC2:USER_SGPR: 6
; COMPUTE_PGM_RSRC2:TRAP_HANDLER: 0
; COMPUTE_PGM_RSRC2:TGID_X_EN: 1
; COMPUTE_PGM_RSRC2:TGID_Y_EN: 0
; COMPUTE_PGM_RSRC2:TGID_Z_EN: 0
; COMPUTE_PGM_RSRC2:TIDIG_COMP_CNT: 0
; COMPUTE_PGM_RSRC3_GFX90A:ACCUM_OFFSET: 0
; COMPUTE_PGM_RSRC3_GFX90A:TG_SPLIT: 0
	.section	.text._ZN7rocprim17ROCPRIM_400000_NS6detail17trampoline_kernelINS0_13select_configILj256ELj13ELNS0_17block_load_methodE3ELS4_3ELS4_3ELNS0_20block_scan_algorithmE0ELj4294967295EEENS1_25partition_config_selectorILNS1_17partition_subalgoE3EjNS0_10empty_typeEbEEZZNS1_14partition_implILS8_3ELb0ES6_jNS0_17counting_iteratorIjlEEPS9_SE_NS0_5tupleIJPjSE_EEENSF_IJSE_SE_EEES9_SG_JZNS1_25segmented_radix_sort_implINS0_14default_configELb1EPKsPsPKlPlN2at6native12_GLOBAL__N_18offset_tEEE10hipError_tPvRmT1_PNSt15iterator_traitsISY_E10value_typeET2_T3_PNSZ_IS14_E10value_typeET4_jRbjT5_S1A_jjP12ihipStream_tbEUljE_EEESV_SW_SX_S14_S18_S1A_T6_T7_T9_mT8_S1C_bDpT10_ENKUlT_T0_E_clISt17integral_constantIbLb0EES1P_EEDaS1K_S1L_EUlS1K_E_NS1_11comp_targetILNS1_3genE4ELNS1_11target_archE910ELNS1_3gpuE8ELNS1_3repE0EEENS1_30default_config_static_selectorELNS0_4arch9wavefront6targetE1EEEvSY_,"axG",@progbits,_ZN7rocprim17ROCPRIM_400000_NS6detail17trampoline_kernelINS0_13select_configILj256ELj13ELNS0_17block_load_methodE3ELS4_3ELS4_3ELNS0_20block_scan_algorithmE0ELj4294967295EEENS1_25partition_config_selectorILNS1_17partition_subalgoE3EjNS0_10empty_typeEbEEZZNS1_14partition_implILS8_3ELb0ES6_jNS0_17counting_iteratorIjlEEPS9_SE_NS0_5tupleIJPjSE_EEENSF_IJSE_SE_EEES9_SG_JZNS1_25segmented_radix_sort_implINS0_14default_configELb1EPKsPsPKlPlN2at6native12_GLOBAL__N_18offset_tEEE10hipError_tPvRmT1_PNSt15iterator_traitsISY_E10value_typeET2_T3_PNSZ_IS14_E10value_typeET4_jRbjT5_S1A_jjP12ihipStream_tbEUljE_EEESV_SW_SX_S14_S18_S1A_T6_T7_T9_mT8_S1C_bDpT10_ENKUlT_T0_E_clISt17integral_constantIbLb0EES1P_EEDaS1K_S1L_EUlS1K_E_NS1_11comp_targetILNS1_3genE4ELNS1_11target_archE910ELNS1_3gpuE8ELNS1_3repE0EEENS1_30default_config_static_selectorELNS0_4arch9wavefront6targetE1EEEvSY_,comdat
	.globl	_ZN7rocprim17ROCPRIM_400000_NS6detail17trampoline_kernelINS0_13select_configILj256ELj13ELNS0_17block_load_methodE3ELS4_3ELS4_3ELNS0_20block_scan_algorithmE0ELj4294967295EEENS1_25partition_config_selectorILNS1_17partition_subalgoE3EjNS0_10empty_typeEbEEZZNS1_14partition_implILS8_3ELb0ES6_jNS0_17counting_iteratorIjlEEPS9_SE_NS0_5tupleIJPjSE_EEENSF_IJSE_SE_EEES9_SG_JZNS1_25segmented_radix_sort_implINS0_14default_configELb1EPKsPsPKlPlN2at6native12_GLOBAL__N_18offset_tEEE10hipError_tPvRmT1_PNSt15iterator_traitsISY_E10value_typeET2_T3_PNSZ_IS14_E10value_typeET4_jRbjT5_S1A_jjP12ihipStream_tbEUljE_EEESV_SW_SX_S14_S18_S1A_T6_T7_T9_mT8_S1C_bDpT10_ENKUlT_T0_E_clISt17integral_constantIbLb0EES1P_EEDaS1K_S1L_EUlS1K_E_NS1_11comp_targetILNS1_3genE4ELNS1_11target_archE910ELNS1_3gpuE8ELNS1_3repE0EEENS1_30default_config_static_selectorELNS0_4arch9wavefront6targetE1EEEvSY_ ; -- Begin function _ZN7rocprim17ROCPRIM_400000_NS6detail17trampoline_kernelINS0_13select_configILj256ELj13ELNS0_17block_load_methodE3ELS4_3ELS4_3ELNS0_20block_scan_algorithmE0ELj4294967295EEENS1_25partition_config_selectorILNS1_17partition_subalgoE3EjNS0_10empty_typeEbEEZZNS1_14partition_implILS8_3ELb0ES6_jNS0_17counting_iteratorIjlEEPS9_SE_NS0_5tupleIJPjSE_EEENSF_IJSE_SE_EEES9_SG_JZNS1_25segmented_radix_sort_implINS0_14default_configELb1EPKsPsPKlPlN2at6native12_GLOBAL__N_18offset_tEEE10hipError_tPvRmT1_PNSt15iterator_traitsISY_E10value_typeET2_T3_PNSZ_IS14_E10value_typeET4_jRbjT5_S1A_jjP12ihipStream_tbEUljE_EEESV_SW_SX_S14_S18_S1A_T6_T7_T9_mT8_S1C_bDpT10_ENKUlT_T0_E_clISt17integral_constantIbLb0EES1P_EEDaS1K_S1L_EUlS1K_E_NS1_11comp_targetILNS1_3genE4ELNS1_11target_archE910ELNS1_3gpuE8ELNS1_3repE0EEENS1_30default_config_static_selectorELNS0_4arch9wavefront6targetE1EEEvSY_
	.p2align	8
	.type	_ZN7rocprim17ROCPRIM_400000_NS6detail17trampoline_kernelINS0_13select_configILj256ELj13ELNS0_17block_load_methodE3ELS4_3ELS4_3ELNS0_20block_scan_algorithmE0ELj4294967295EEENS1_25partition_config_selectorILNS1_17partition_subalgoE3EjNS0_10empty_typeEbEEZZNS1_14partition_implILS8_3ELb0ES6_jNS0_17counting_iteratorIjlEEPS9_SE_NS0_5tupleIJPjSE_EEENSF_IJSE_SE_EEES9_SG_JZNS1_25segmented_radix_sort_implINS0_14default_configELb1EPKsPsPKlPlN2at6native12_GLOBAL__N_18offset_tEEE10hipError_tPvRmT1_PNSt15iterator_traitsISY_E10value_typeET2_T3_PNSZ_IS14_E10value_typeET4_jRbjT5_S1A_jjP12ihipStream_tbEUljE_EEESV_SW_SX_S14_S18_S1A_T6_T7_T9_mT8_S1C_bDpT10_ENKUlT_T0_E_clISt17integral_constantIbLb0EES1P_EEDaS1K_S1L_EUlS1K_E_NS1_11comp_targetILNS1_3genE4ELNS1_11target_archE910ELNS1_3gpuE8ELNS1_3repE0EEENS1_30default_config_static_selectorELNS0_4arch9wavefront6targetE1EEEvSY_,@function
_ZN7rocprim17ROCPRIM_400000_NS6detail17trampoline_kernelINS0_13select_configILj256ELj13ELNS0_17block_load_methodE3ELS4_3ELS4_3ELNS0_20block_scan_algorithmE0ELj4294967295EEENS1_25partition_config_selectorILNS1_17partition_subalgoE3EjNS0_10empty_typeEbEEZZNS1_14partition_implILS8_3ELb0ES6_jNS0_17counting_iteratorIjlEEPS9_SE_NS0_5tupleIJPjSE_EEENSF_IJSE_SE_EEES9_SG_JZNS1_25segmented_radix_sort_implINS0_14default_configELb1EPKsPsPKlPlN2at6native12_GLOBAL__N_18offset_tEEE10hipError_tPvRmT1_PNSt15iterator_traitsISY_E10value_typeET2_T3_PNSZ_IS14_E10value_typeET4_jRbjT5_S1A_jjP12ihipStream_tbEUljE_EEESV_SW_SX_S14_S18_S1A_T6_T7_T9_mT8_S1C_bDpT10_ENKUlT_T0_E_clISt17integral_constantIbLb0EES1P_EEDaS1K_S1L_EUlS1K_E_NS1_11comp_targetILNS1_3genE4ELNS1_11target_archE910ELNS1_3gpuE8ELNS1_3repE0EEENS1_30default_config_static_selectorELNS0_4arch9wavefront6targetE1EEEvSY_: ; @_ZN7rocprim17ROCPRIM_400000_NS6detail17trampoline_kernelINS0_13select_configILj256ELj13ELNS0_17block_load_methodE3ELS4_3ELS4_3ELNS0_20block_scan_algorithmE0ELj4294967295EEENS1_25partition_config_selectorILNS1_17partition_subalgoE3EjNS0_10empty_typeEbEEZZNS1_14partition_implILS8_3ELb0ES6_jNS0_17counting_iteratorIjlEEPS9_SE_NS0_5tupleIJPjSE_EEENSF_IJSE_SE_EEES9_SG_JZNS1_25segmented_radix_sort_implINS0_14default_configELb1EPKsPsPKlPlN2at6native12_GLOBAL__N_18offset_tEEE10hipError_tPvRmT1_PNSt15iterator_traitsISY_E10value_typeET2_T3_PNSZ_IS14_E10value_typeET4_jRbjT5_S1A_jjP12ihipStream_tbEUljE_EEESV_SW_SX_S14_S18_S1A_T6_T7_T9_mT8_S1C_bDpT10_ENKUlT_T0_E_clISt17integral_constantIbLb0EES1P_EEDaS1K_S1L_EUlS1K_E_NS1_11comp_targetILNS1_3genE4ELNS1_11target_archE910ELNS1_3gpuE8ELNS1_3repE0EEENS1_30default_config_static_selectorELNS0_4arch9wavefront6targetE1EEEvSY_
; %bb.0:
	s_load_dwordx2 s[26:27], s[4:5], 0x58
	s_load_dwordx4 s[20:23], s[4:5], 0x48
	s_load_dword s13, s[4:5], 0x8
	s_load_dwordx2 s[28:29], s[4:5], 0x10
	s_load_dword s12, s[4:5], 0x70
	s_load_dword s7, s[4:5], 0x88
	s_load_dwordx4 s[8:11], s[4:5], 0x78
	s_waitcnt lgkmcnt(0)
	s_load_dwordx2 s[30:31], s[22:23], 0x0
	v_pk_mov_b32 v[2:3], s[26:27], s[26:27] op_sel:[0,1]
	s_add_i32 s2, s12, -1
	s_mulk_i32 s12, 0xd00
	s_add_u32 s0, s28, s12
	s_addc_u32 s1, s29, 0
	s_cmp_eq_u32 s6, s2
	s_cselect_b64 s[22:23], -1, 0
	s_cmp_lg_u32 s6, s2
	s_mul_i32 s42, s6, 0xd00
	v_cmp_lt_u64_e32 vcc, s[0:1], v[2:3]
	s_cselect_b64 s[0:1], -1, 0
	s_or_b64 s[2:3], s[0:1], vcc
	s_add_i32 s0, s13, s42
	s_add_i32 s0, s0, s28
	v_add_u32_e32 v2, s0, v0
	s_mov_b64 s[0:1], -1
	s_and_b64 vcc, exec, s[2:3]
	v_lshlrev_b32_e32 v1, 2, v0
	s_cbranch_vccz .LBB881_2
; %bb.1:
	v_add_u32_e32 v3, 0x100, v2
	v_add_u32_e32 v4, 0x200, v2
	;; [unrolled: 1-line block ×12, first 2 shown]
	ds_write2st64_b32 v1, v2, v3 offset1:4
	ds_write2st64_b32 v1, v4, v5 offset0:8 offset1:12
	ds_write2st64_b32 v1, v6, v7 offset0:16 offset1:20
	;; [unrolled: 1-line block ×5, first 2 shown]
	ds_write_b32 v1, v14 offset:12288
	s_waitcnt lgkmcnt(0)
	s_barrier
	s_mov_b64 s[0:1], 0
.LBB881_2:
	s_andn2_b64 vcc, exec, s[0:1]
	s_add_i32 s12, s12, s28
	s_cbranch_vccnz .LBB881_4
; %bb.3:
	v_add_u32_e32 v3, 0x100, v2
	v_add_u32_e32 v4, 0x200, v2
	;; [unrolled: 1-line block ×12, first 2 shown]
	ds_write2st64_b32 v1, v2, v3 offset1:4
	ds_write2st64_b32 v1, v4, v5 offset0:8 offset1:12
	ds_write2st64_b32 v1, v6, v7 offset0:16 offset1:20
	;; [unrolled: 1-line block ×5, first 2 shown]
	ds_write_b32 v1, v14 offset:12288
	s_waitcnt lgkmcnt(0)
	s_barrier
.LBB881_4:
	v_mul_u32_u24_e32 v33, 13, v0
	v_lshlrev_b32_e32 v2, 2, v33
	s_waitcnt lgkmcnt(0)
	ds_read2_b32 v[30:31], v2 offset1:1
	ds_read2_b32 v[28:29], v2 offset0:2 offset1:3
	ds_read2_b32 v[26:27], v2 offset0:4 offset1:5
	;; [unrolled: 1-line block ×5, first 2 shown]
	ds_read_b32 v32, v2 offset:48
	v_cndmask_b32_e64 v2, 0, 1, s[2:3]
	s_sub_i32 s33, s26, s12
	v_cmp_ne_u32_e64 s[0:1], 1, v2
	s_andn2_b64 vcc, exec, s[2:3]
	s_waitcnt lgkmcnt(0)
	s_barrier
	s_cbranch_vccnz .LBB881_6
; %bb.5:
	v_add_u32_e32 v2, s9, v30
	v_add_u32_e32 v3, s11, v30
	v_mul_lo_u32 v2, v2, s8
	v_mul_lo_u32 v3, v3, s10
	v_sub_u32_e32 v2, v2, v3
	v_add_u32_e32 v3, s9, v31
	v_add_u32_e32 v4, s11, v31
	v_mul_lo_u32 v3, v3, s8
	v_mul_lo_u32 v4, v4, s10
	v_sub_u32_e32 v3, v3, v4
	v_add_u32_e32 v4, s9, v28
	v_add_u32_e32 v5, s11, v28
	v_mul_lo_u32 v4, v4, s8
	v_mul_lo_u32 v5, v5, s10
	v_sub_u32_e32 v4, v4, v5
	v_add_u32_e32 v5, s9, v29
	v_add_u32_e32 v6, s11, v29
	v_mul_lo_u32 v5, v5, s8
	v_mul_lo_u32 v6, v6, s10
	v_sub_u32_e32 v5, v5, v6
	v_add_u32_e32 v6, s9, v26
	v_add_u32_e32 v7, s11, v26
	v_mul_lo_u32 v6, v6, s8
	v_mul_lo_u32 v7, v7, s10
	v_sub_u32_e32 v6, v6, v7
	v_add_u32_e32 v7, s9, v27
	v_add_u32_e32 v8, s11, v27
	v_mul_lo_u32 v7, v7, s8
	v_mul_lo_u32 v8, v8, s10
	v_sub_u32_e32 v7, v7, v8
	v_add_u32_e32 v8, s9, v24
	v_add_u32_e32 v9, s11, v24
	v_mul_lo_u32 v8, v8, s8
	v_mul_lo_u32 v9, v9, s10
	v_cmp_lt_u32_e32 vcc, s7, v2
	v_sub_u32_e32 v8, v8, v9
	v_add_u32_e32 v9, s9, v25
	v_add_u32_e32 v10, s11, v25
	v_cndmask_b32_e64 v2, 0, 1, vcc
	v_cmp_lt_u32_e32 vcc, s7, v3
	v_mul_lo_u32 v9, v9, s8
	v_mul_lo_u32 v10, v10, s10
	v_cndmask_b32_e64 v3, 0, 1, vcc
	v_cmp_lt_u32_e32 vcc, s7, v4
	v_sub_u32_e32 v9, v9, v10
	v_add_u32_e32 v10, s9, v22
	v_add_u32_e32 v11, s11, v22
	v_cndmask_b32_e64 v4, 0, 1, vcc
	v_cmp_lt_u32_e32 vcc, s7, v5
	v_mul_lo_u32 v10, v10, s8
	v_mul_lo_u32 v11, v11, s10
	v_cndmask_b32_e64 v5, 0, 1, vcc
	;; [unrolled: 9-line block ×4, first 2 shown]
	v_cmp_lt_u32_e32 vcc, s7, v10
	v_sub_u32_e32 v12, v12, v13
	v_add_u32_e32 v13, s9, v21
	v_add_u32_e32 v14, s11, v21
	v_lshlrev_b16_e32 v3, 8, v3
	v_cndmask_b32_e64 v10, 0, 1, vcc
	v_cmp_lt_u32_e32 vcc, s7, v11
	v_mul_lo_u32 v13, v13, s8
	v_mul_lo_u32 v14, v14, s10
	v_or_b32_e32 v2, v2, v3
	v_lshlrev_b16_e32 v3, 8, v5
	v_cndmask_b32_e64 v11, 0, 1, vcc
	v_cmp_lt_u32_e32 vcc, s7, v12
	v_sub_u32_e32 v13, v13, v14
	v_or_b32_sdwa v3, v4, v3 dst_sel:WORD_1 dst_unused:UNUSED_PAD src0_sel:DWORD src1_sel:DWORD
	v_cndmask_b32_e64 v12, 0, 1, vcc
	v_cmp_lt_u32_e32 vcc, s7, v13
	v_add_u32_e32 v14, s9, v32
	v_add_u32_e32 v15, s11, v32
	v_or_b32_sdwa v37, v2, v3 dst_sel:DWORD dst_unused:UNUSED_PAD src0_sel:WORD_0 src1_sel:DWORD
	v_lshlrev_b16_e32 v2, 8, v7
	v_lshlrev_b16_e32 v3, 8, v9
	v_cndmask_b32_e64 v13, 0, 1, vcc
	v_mul_lo_u32 v14, v14, s8
	v_mul_lo_u32 v15, v15, s10
	v_or_b32_e32 v2, v6, v2
	v_or_b32_sdwa v3, v8, v3 dst_sel:WORD_1 dst_unused:UNUSED_PAD src0_sel:DWORD src1_sel:DWORD
	v_sub_u32_e32 v14, v14, v15
	v_or_b32_sdwa v36, v2, v3 dst_sel:DWORD dst_unused:UNUSED_PAD src0_sel:WORD_0 src1_sel:DWORD
	v_lshlrev_b16_e32 v2, 8, v11
	v_lshlrev_b16_e32 v3, 8, v13
	v_cmp_lt_u32_e32 vcc, s7, v14
	v_or_b32_e32 v2, v10, v2
	v_or_b32_sdwa v3, v12, v3 dst_sel:WORD_1 dst_unused:UNUSED_PAD src0_sel:DWORD src1_sel:DWORD
	v_cndmask_b32_e64 v34, 0, 1, vcc
	v_or_b32_sdwa v35, v2, v3 dst_sel:DWORD dst_unused:UNUSED_PAD src0_sel:WORD_0 src1_sel:DWORD
	s_mov_b64 s[2:3], 0
	s_branch .LBB881_7
.LBB881_6:
	s_mov_b64 s[2:3], -1
                                        ; implicit-def: $vgpr34
                                        ; implicit-def: $vgpr35
                                        ; implicit-def: $vgpr36
                                        ; implicit-def: $vgpr37
.LBB881_7:
	s_load_dwordx2 s[24:25], s[4:5], 0x28
	s_load_dwordx2 s[34:35], s[4:5], 0x68
	s_andn2_b64 vcc, exec, s[2:3]
	s_addk_i32 s33, 0xd00
	s_cbranch_vccnz .LBB881_35
; %bb.8:
	v_cmp_gt_u32_e32 vcc, s33, v33
	v_mov_b32_e32 v3, 0
	v_mov_b32_e32 v2, 0
	s_and_saveexec_b64 s[2:3], vcc
; %bb.9:
	v_add_u32_e32 v2, s9, v30
	v_add_u32_e32 v4, s11, v30
	v_mul_lo_u32 v2, v2, s8
	v_mul_lo_u32 v4, v4, s10
	v_sub_u32_e32 v2, v2, v4
	v_cmp_lt_u32_e32 vcc, s7, v2
	v_cndmask_b32_e64 v2, 0, 1, vcc
; %bb.10:
	s_or_b64 exec, exec, s[2:3]
	v_add_u32_e32 v4, 1, v33
	v_cmp_gt_u32_e32 vcc, s33, v4
	s_and_saveexec_b64 s[2:3], vcc
; %bb.11:
	v_add_u32_e32 v3, s9, v31
	v_add_u32_e32 v4, s11, v31
	v_mul_lo_u32 v3, v3, s8
	v_mul_lo_u32 v4, v4, s10
	v_sub_u32_e32 v3, v3, v4
	v_cmp_lt_u32_e32 vcc, s7, v3
	v_cndmask_b32_e64 v3, 0, 1, vcc
; %bb.12:
	s_or_b64 exec, exec, s[2:3]
	v_add_u32_e32 v4, 2, v33
	v_cmp_gt_u32_e32 vcc, s33, v4
	v_mov_b32_e32 v5, 0
	v_mov_b32_e32 v4, 0
	s_and_saveexec_b64 s[2:3], vcc
; %bb.13:
	v_add_u32_e32 v4, s9, v28
	v_add_u32_e32 v6, s11, v28
	v_mul_lo_u32 v4, v4, s8
	v_mul_lo_u32 v6, v6, s10
	v_sub_u32_e32 v4, v4, v6
	v_cmp_lt_u32_e32 vcc, s7, v4
	v_cndmask_b32_e64 v4, 0, 1, vcc
; %bb.14:
	s_or_b64 exec, exec, s[2:3]
	v_add_u32_e32 v6, 3, v33
	v_cmp_gt_u32_e32 vcc, s33, v6
	s_and_saveexec_b64 s[2:3], vcc
; %bb.15:
	v_add_u32_e32 v5, s9, v29
	v_add_u32_e32 v6, s11, v29
	v_mul_lo_u32 v5, v5, s8
	v_mul_lo_u32 v6, v6, s10
	v_sub_u32_e32 v5, v5, v6
	v_cmp_lt_u32_e32 vcc, s7, v5
	v_cndmask_b32_e64 v5, 0, 1, vcc
; %bb.16:
	s_or_b64 exec, exec, s[2:3]
	v_add_u32_e32 v6, 4, v33
	;; [unrolled: 28-line block ×6, first 2 shown]
	v_cmp_gt_u32_e32 vcc, s33, v14
	v_mov_b32_e32 v34, 0
	s_and_saveexec_b64 s[2:3], vcc
; %bb.33:
	v_add_u32_e32 v14, s9, v32
	v_add_u32_e32 v15, s11, v32
	v_mul_lo_u32 v14, v14, s8
	v_mul_lo_u32 v15, v15, s10
	v_sub_u32_e32 v14, v14, v15
	v_cmp_lt_u32_e32 vcc, s7, v14
	v_cndmask_b32_e64 v34, 0, 1, vcc
; %bb.34:
	s_or_b64 exec, exec, s[2:3]
	v_lshlrev_b16_e32 v3, 8, v3
	v_or_b32_e32 v2, v2, v3
	v_lshlrev_b16_e32 v3, 8, v5
	v_or_b32_sdwa v3, v4, v3 dst_sel:WORD_1 dst_unused:UNUSED_PAD src0_sel:DWORD src1_sel:DWORD
	v_or_b32_sdwa v37, v2, v3 dst_sel:DWORD dst_unused:UNUSED_PAD src0_sel:WORD_0 src1_sel:DWORD
	v_lshlrev_b16_e32 v2, 8, v7
	v_lshlrev_b16_e32 v3, 8, v9
	v_or_b32_e32 v2, v6, v2
	v_or_b32_sdwa v3, v8, v3 dst_sel:WORD_1 dst_unused:UNUSED_PAD src0_sel:DWORD src1_sel:DWORD
	v_or_b32_sdwa v36, v2, v3 dst_sel:DWORD dst_unused:UNUSED_PAD src0_sel:WORD_0 src1_sel:DWORD
	v_lshlrev_b16_e32 v2, 8, v11
	v_lshlrev_b16_e32 v3, 8, v13
	v_or_b32_e32 v2, v10, v2
	v_or_b32_sdwa v3, v12, v3 dst_sel:WORD_1 dst_unused:UNUSED_PAD src0_sel:DWORD src1_sel:DWORD
	v_or_b32_sdwa v35, v2, v3 dst_sel:DWORD dst_unused:UNUSED_PAD src0_sel:WORD_0 src1_sel:DWORD
.LBB881_35:
	v_and_b32_e32 v41, 0xff, v37
	v_bfe_u32 v42, v37, 8, 8
	v_bfe_u32 v43, v37, 16, 8
	v_lshrrev_b32_e32 v40, 24, v37
	v_and_b32_e32 v44, 0xff, v36
	v_add3_u32 v3, v42, v41, v43
	v_bfe_u32 v45, v36, 8, 8
	v_bfe_u32 v46, v36, 16, 8
	v_add3_u32 v3, v3, v40, v44
	v_lshrrev_b32_e32 v39, 24, v36
	v_and_b32_e32 v47, 0xff, v35
	v_add3_u32 v3, v3, v45, v46
	v_bfe_u32 v48, v35, 8, 8
	v_bfe_u32 v49, v35, 16, 8
	v_add3_u32 v3, v3, v39, v47
	v_lshrrev_b32_e32 v38, 24, v35
	v_and_b32_e32 v2, 0xff, v34
	v_add3_u32 v3, v3, v48, v49
	v_add3_u32 v52, v3, v38, v2
	v_mbcnt_lo_u32_b32 v2, -1, 0
	v_mbcnt_hi_u32_b32 v50, -1, v2
	v_and_b32_e32 v2, 15, v50
	v_cmp_eq_u32_e64 s[14:15], 0, v2
	v_cmp_lt_u32_e64 s[12:13], 1, v2
	v_cmp_lt_u32_e64 s[10:11], 3, v2
	;; [unrolled: 1-line block ×3, first 2 shown]
	v_and_b32_e32 v2, 16, v50
	v_cmp_eq_u32_e64 s[18:19], 0, v2
	v_or_b32_e32 v2, 63, v0
	s_cmp_lg_u32 s6, 0
	v_cmp_lt_u32_e64 s[2:3], 31, v50
	v_lshrrev_b32_e32 v51, 6, v0
	v_cmp_eq_u32_e64 s[4:5], v2, v0
	s_cbranch_scc0 .LBB881_62
; %bb.36:
	v_mov_b32_dpp v2, v52 row_shr:1 row_mask:0xf bank_mask:0xf
	v_cndmask_b32_e64 v2, v2, 0, s[14:15]
	v_add_u32_e32 v2, v2, v52
	s_nop 1
	v_mov_b32_dpp v3, v2 row_shr:2 row_mask:0xf bank_mask:0xf
	v_cndmask_b32_e64 v3, 0, v3, s[12:13]
	v_add_u32_e32 v2, v2, v3
	s_nop 1
	;; [unrolled: 4-line block ×4, first 2 shown]
	v_mov_b32_dpp v3, v2 row_bcast:15 row_mask:0xf bank_mask:0xf
	v_cndmask_b32_e64 v3, v3, 0, s[18:19]
	v_add_u32_e32 v2, v2, v3
	s_nop 1
	v_mov_b32_dpp v3, v2 row_bcast:31 row_mask:0xf bank_mask:0xf
	v_cndmask_b32_e64 v3, 0, v3, s[2:3]
	v_add_u32_e32 v2, v2, v3
	s_and_saveexec_b64 s[16:17], s[4:5]
	s_cbranch_execz .LBB881_38
; %bb.37:
	v_lshlrev_b32_e32 v3, 2, v51
	ds_write_b32 v3, v2
.LBB881_38:
	s_or_b64 exec, exec, s[16:17]
	v_cmp_gt_u32_e32 vcc, 4, v0
	s_waitcnt lgkmcnt(0)
	s_barrier
	s_and_saveexec_b64 s[16:17], vcc
	s_cbranch_execz .LBB881_40
; %bb.39:
	ds_read_b32 v3, v1
	v_and_b32_e32 v4, 3, v50
	v_cmp_ne_u32_e32 vcc, 0, v4
	s_waitcnt lgkmcnt(0)
	v_mov_b32_dpp v5, v3 row_shr:1 row_mask:0xf bank_mask:0xf
	v_cndmask_b32_e32 v5, 0, v5, vcc
	v_add_u32_e32 v3, v5, v3
	v_cmp_lt_u32_e32 vcc, 1, v4
	s_nop 0
	v_mov_b32_dpp v5, v3 row_shr:2 row_mask:0xf bank_mask:0xf
	v_cndmask_b32_e32 v4, 0, v5, vcc
	v_add_u32_e32 v3, v3, v4
	ds_write_b32 v1, v3
.LBB881_40:
	s_or_b64 exec, exec, s[16:17]
	v_cmp_gt_u32_e32 vcc, 64, v0
	v_cmp_lt_u32_e64 s[16:17], 63, v0
	s_waitcnt lgkmcnt(0)
	s_barrier
	s_waitcnt lgkmcnt(0)
                                        ; implicit-def: $vgpr12
	s_and_saveexec_b64 s[36:37], s[16:17]
	s_cbranch_execz .LBB881_42
; %bb.41:
	v_lshl_add_u32 v3, v51, 2, -4
	ds_read_b32 v12, v3
	s_waitcnt lgkmcnt(0)
	v_add_u32_e32 v2, v12, v2
.LBB881_42:
	s_or_b64 exec, exec, s[36:37]
	v_add_u32_e32 v3, -1, v50
	v_and_b32_e32 v4, 64, v50
	v_cmp_lt_i32_e64 s[16:17], v3, v4
	v_cndmask_b32_e64 v3, v3, v50, s[16:17]
	v_lshlrev_b32_e32 v3, 2, v3
	ds_bpermute_b32 v13, v3, v2
	v_cmp_eq_u32_e64 s[16:17], 0, v50
	s_and_saveexec_b64 s[36:37], vcc
	s_cbranch_execz .LBB881_61
; %bb.43:
	v_mov_b32_e32 v9, 0
	ds_read_b32 v2, v9 offset:12
	s_and_saveexec_b64 s[38:39], s[16:17]
	s_cbranch_execz .LBB881_45
; %bb.44:
	s_add_i32 s40, s6, 64
	s_mov_b32 s41, 0
	s_lshl_b64 s[40:41], s[40:41], 3
	s_add_u32 s40, s34, s40
	v_mov_b32_e32 v3, 1
	s_addc_u32 s41, s35, s41
	s_waitcnt lgkmcnt(0)
	global_store_dwordx2 v9, v[2:3], s[40:41]
.LBB881_45:
	s_or_b64 exec, exec, s[38:39]
	v_xad_u32 v4, v50, -1, s6
	v_add_u32_e32 v8, 64, v4
	v_lshlrev_b64 v[6:7], 3, v[8:9]
	v_mov_b32_e32 v3, s35
	v_add_co_u32_e32 v10, vcc, s34, v6
	v_addc_co_u32_e32 v11, vcc, v3, v7, vcc
	global_load_dwordx2 v[6:7], v[10:11], off glc
	s_waitcnt vmcnt(0)
	v_cmp_eq_u16_sdwa s[40:41], v7, v9 src0_sel:BYTE_0 src1_sel:DWORD
	s_and_saveexec_b64 s[38:39], s[40:41]
	s_cbranch_execz .LBB881_49
; %bb.46:
	s_mov_b64 s[40:41], 0
	v_mov_b32_e32 v3, 0
.LBB881_47:                             ; =>This Inner Loop Header: Depth=1
	global_load_dwordx2 v[6:7], v[10:11], off glc
	s_waitcnt vmcnt(0)
	v_cmp_ne_u16_sdwa s[44:45], v7, v3 src0_sel:BYTE_0 src1_sel:DWORD
	s_or_b64 s[40:41], s[44:45], s[40:41]
	s_andn2_b64 exec, exec, s[40:41]
	s_cbranch_execnz .LBB881_47
; %bb.48:
	s_or_b64 exec, exec, s[40:41]
.LBB881_49:
	s_or_b64 exec, exec, s[38:39]
	v_and_b32_e32 v14, 63, v50
	v_mov_b32_e32 v3, 2
	v_cmp_ne_u32_e32 vcc, 63, v14
	v_cmp_eq_u16_sdwa s[38:39], v7, v3 src0_sel:BYTE_0 src1_sel:DWORD
	v_lshlrev_b64 v[8:9], v50, -1
	v_addc_co_u32_e32 v11, vcc, 0, v50, vcc
	v_and_b32_e32 v5, s39, v9
	v_lshlrev_b32_e32 v15, 2, v11
	v_or_b32_e32 v5, 0x80000000, v5
	ds_bpermute_b32 v11, v15, v6
	v_and_b32_e32 v10, s38, v8
	v_ffbl_b32_e32 v5, v5
	v_add_u32_e32 v5, 32, v5
	v_ffbl_b32_e32 v10, v10
	v_min_u32_e32 v5, v10, v5
	v_cmp_lt_u32_e32 vcc, v14, v5
	s_waitcnt lgkmcnt(0)
	v_cndmask_b32_e32 v10, 0, v11, vcc
	v_cmp_gt_u32_e32 vcc, 62, v14
	v_add_u32_e32 v6, v10, v6
	v_cndmask_b32_e64 v10, 0, 1, vcc
	v_lshlrev_b32_e32 v10, 1, v10
	v_add_lshl_u32 v16, v10, v50, 2
	ds_bpermute_b32 v10, v16, v6
	v_add_u32_e32 v17, 2, v14
	v_cmp_le_u32_e32 vcc, v17, v5
	v_add_u32_e32 v19, 4, v14
	v_add_u32_e32 v54, 8, v14
	s_waitcnt lgkmcnt(0)
	v_cndmask_b32_e32 v10, 0, v10, vcc
	v_cmp_gt_u32_e32 vcc, 60, v14
	v_add_u32_e32 v6, v6, v10
	v_cndmask_b32_e64 v10, 0, 1, vcc
	v_lshlrev_b32_e32 v10, 2, v10
	v_add_lshl_u32 v18, v10, v50, 2
	ds_bpermute_b32 v10, v18, v6
	v_cmp_le_u32_e32 vcc, v19, v5
	v_add_u32_e32 v57, 16, v14
	v_add_u32_e32 v59, 32, v14
	s_waitcnt lgkmcnt(0)
	v_cndmask_b32_e32 v10, 0, v10, vcc
	v_cmp_gt_u32_e32 vcc, 56, v14
	v_add_u32_e32 v6, v6, v10
	v_cndmask_b32_e64 v10, 0, 1, vcc
	v_lshlrev_b32_e32 v10, 3, v10
	v_add_lshl_u32 v53, v10, v50, 2
	ds_bpermute_b32 v10, v53, v6
	v_cmp_le_u32_e32 vcc, v54, v5
	s_waitcnt lgkmcnt(0)
	v_cndmask_b32_e32 v10, 0, v10, vcc
	v_cmp_gt_u32_e32 vcc, 48, v14
	v_add_u32_e32 v6, v6, v10
	v_cndmask_b32_e64 v10, 0, 1, vcc
	v_lshlrev_b32_e32 v10, 4, v10
	v_add_lshl_u32 v56, v10, v50, 2
	ds_bpermute_b32 v10, v56, v6
	v_cmp_le_u32_e32 vcc, v57, v5
	;; [unrolled: 9-line block ×3, first 2 shown]
	s_waitcnt lgkmcnt(0)
	v_cndmask_b32_e32 v5, 0, v10, vcc
	v_add_u32_e32 v6, v6, v5
	v_mov_b32_e32 v5, 0
	s_branch .LBB881_51
.LBB881_50:                             ;   in Loop: Header=BB881_51 Depth=1
	s_or_b64 exec, exec, s[38:39]
	v_cmp_eq_u16_sdwa s[38:39], v7, v3 src0_sel:BYTE_0 src1_sel:DWORD
	v_and_b32_e32 v10, s39, v9
	v_or_b32_e32 v10, 0x80000000, v10
	ds_bpermute_b32 v60, v15, v6
	v_and_b32_e32 v11, s38, v8
	v_ffbl_b32_e32 v10, v10
	v_add_u32_e32 v10, 32, v10
	v_ffbl_b32_e32 v11, v11
	v_min_u32_e32 v10, v11, v10
	v_cmp_lt_u32_e32 vcc, v14, v10
	s_waitcnt lgkmcnt(0)
	v_cndmask_b32_e32 v11, 0, v60, vcc
	v_add_u32_e32 v6, v11, v6
	ds_bpermute_b32 v11, v16, v6
	v_cmp_le_u32_e32 vcc, v17, v10
	v_subrev_u32_e32 v4, 64, v4
	s_waitcnt lgkmcnt(0)
	v_cndmask_b32_e32 v11, 0, v11, vcc
	v_add_u32_e32 v6, v6, v11
	ds_bpermute_b32 v11, v18, v6
	v_cmp_le_u32_e32 vcc, v19, v10
	s_waitcnt lgkmcnt(0)
	v_cndmask_b32_e32 v11, 0, v11, vcc
	v_add_u32_e32 v6, v6, v11
	ds_bpermute_b32 v11, v53, v6
	v_cmp_le_u32_e32 vcc, v54, v10
	s_waitcnt lgkmcnt(0)
	v_cndmask_b32_e32 v11, 0, v11, vcc
	v_add_u32_e32 v6, v6, v11
	ds_bpermute_b32 v11, v56, v6
	v_cmp_le_u32_e32 vcc, v57, v10
	s_waitcnt lgkmcnt(0)
	v_cndmask_b32_e32 v11, 0, v11, vcc
	v_add_u32_e32 v6, v6, v11
	ds_bpermute_b32 v11, v58, v6
	v_cmp_le_u32_e32 vcc, v59, v10
	s_waitcnt lgkmcnt(0)
	v_cndmask_b32_e32 v10, 0, v11, vcc
	v_add3_u32 v6, v10, v55, v6
.LBB881_51:                             ; =>This Loop Header: Depth=1
                                        ;     Child Loop BB881_54 Depth 2
	v_cmp_ne_u16_sdwa s[38:39], v7, v3 src0_sel:BYTE_0 src1_sel:DWORD
	v_cndmask_b32_e64 v7, 0, 1, s[38:39]
	;;#ASMSTART
	;;#ASMEND
	v_cmp_ne_u32_e32 vcc, 0, v7
	s_cmp_lg_u64 vcc, exec
	v_mov_b32_e32 v55, v6
	s_cbranch_scc1 .LBB881_56
; %bb.52:                               ;   in Loop: Header=BB881_51 Depth=1
	v_lshlrev_b64 v[6:7], 3, v[4:5]
	v_mov_b32_e32 v11, s35
	v_add_co_u32_e32 v10, vcc, s34, v6
	v_addc_co_u32_e32 v11, vcc, v11, v7, vcc
	global_load_dwordx2 v[6:7], v[10:11], off glc
	s_waitcnt vmcnt(0)
	v_cmp_eq_u16_sdwa s[40:41], v7, v5 src0_sel:BYTE_0 src1_sel:DWORD
	s_and_saveexec_b64 s[38:39], s[40:41]
	s_cbranch_execz .LBB881_50
; %bb.53:                               ;   in Loop: Header=BB881_51 Depth=1
	s_mov_b64 s[40:41], 0
.LBB881_54:                             ;   Parent Loop BB881_51 Depth=1
                                        ; =>  This Inner Loop Header: Depth=2
	global_load_dwordx2 v[6:7], v[10:11], off glc
	s_waitcnt vmcnt(0)
	v_cmp_ne_u16_sdwa s[44:45], v7, v5 src0_sel:BYTE_0 src1_sel:DWORD
	s_or_b64 s[40:41], s[44:45], s[40:41]
	s_andn2_b64 exec, exec, s[40:41]
	s_cbranch_execnz .LBB881_54
; %bb.55:                               ;   in Loop: Header=BB881_51 Depth=1
	s_or_b64 exec, exec, s[40:41]
	s_branch .LBB881_50
.LBB881_56:                             ;   in Loop: Header=BB881_51 Depth=1
                                        ; implicit-def: $vgpr6
                                        ; implicit-def: $vgpr7
	s_cbranch_execz .LBB881_51
; %bb.57:
	s_and_saveexec_b64 s[38:39], s[16:17]
	s_cbranch_execz .LBB881_59
; %bb.58:
	s_add_i32 s6, s6, 64
	s_mov_b32 s7, 0
	s_lshl_b64 s[6:7], s[6:7], 3
	s_add_u32 s6, s34, s6
	v_add_u32_e32 v4, v55, v2
	v_mov_b32_e32 v5, 2
	s_addc_u32 s7, s35, s7
	v_mov_b32_e32 v3, 0
	global_store_dwordx2 v3, v[4:5], s[6:7]
	s_movk_i32 s6, 0x3400
	v_add_u32_e64 v3, s6, 0
	ds_write2_b32 v3, v2, v55 offset1:2
.LBB881_59:
	s_or_b64 exec, exec, s[38:39]
	v_cmp_eq_u32_e32 vcc, 0, v0
	s_and_b64 exec, exec, vcc
	s_cbranch_execz .LBB881_61
; %bb.60:
	v_mov_b32_e32 v2, 0
	ds_write_b32 v2, v55 offset:12
.LBB881_61:
	s_or_b64 exec, exec, s[36:37]
	v_mov_b32_e32 v2, 0
	s_waitcnt lgkmcnt(0)
	s_barrier
	ds_read_b32 v2, v2 offset:12
	v_cndmask_b32_e64 v3, v13, v12, s[16:17]
	v_cmp_ne_u32_e32 vcc, 0, v0
	v_cndmask_b32_e32 v3, 0, v3, vcc
	s_movk_i32 s6, 0x3400
	s_waitcnt lgkmcnt(0)
	v_add_u32_e32 v2, v2, v3
	v_add_u32_e32 v3, v2, v41
	;; [unrolled: 1-line block ×8, first 2 shown]
	v_add_u32_e64 v12, s6, 0
	v_add_u32_e32 v10, v9, v39
	s_barrier
	ds_read2_b32 v[18:19], v12 offset1:2
	v_add_u32_e32 v11, v10, v47
	v_add_u32_e32 v12, v11, v48
	;; [unrolled: 1-line block ×4, first 2 shown]
	s_branch .LBB881_72
.LBB881_62:
                                        ; implicit-def: $vgpr19
                                        ; implicit-def: $vgpr2_vgpr3_vgpr4_vgpr5_vgpr6_vgpr7_vgpr8_vgpr9_vgpr10_vgpr11_vgpr12_vgpr13_vgpr14_vgpr15_vgpr16_vgpr17
	s_cbranch_execz .LBB881_72
; %bb.63:
	s_nop 0
	v_mov_b32_dpp v2, v52 row_shr:1 row_mask:0xf bank_mask:0xf
	v_cndmask_b32_e64 v2, v2, 0, s[14:15]
	v_add_u32_e32 v2, v2, v52
	s_nop 1
	v_mov_b32_dpp v3, v2 row_shr:2 row_mask:0xf bank_mask:0xf
	v_cndmask_b32_e64 v3, 0, v3, s[12:13]
	v_add_u32_e32 v2, v2, v3
	;; [unrolled: 4-line block ×4, first 2 shown]
	s_nop 1
	v_mov_b32_dpp v3, v2 row_bcast:15 row_mask:0xf bank_mask:0xf
	v_cndmask_b32_e64 v3, v3, 0, s[18:19]
	v_add_u32_e32 v2, v2, v3
	s_nop 1
	v_mov_b32_dpp v3, v2 row_bcast:31 row_mask:0xf bank_mask:0xf
	v_cndmask_b32_e64 v3, 0, v3, s[2:3]
	v_add_u32_e32 v2, v2, v3
	s_and_saveexec_b64 s[2:3], s[4:5]
	s_cbranch_execz .LBB881_65
; %bb.64:
	v_lshlrev_b32_e32 v3, 2, v51
	ds_write_b32 v3, v2
.LBB881_65:
	s_or_b64 exec, exec, s[2:3]
	v_cmp_gt_u32_e32 vcc, 4, v0
	s_waitcnt lgkmcnt(0)
	s_barrier
	s_and_saveexec_b64 s[2:3], vcc
	s_cbranch_execz .LBB881_67
; %bb.66:
	ds_read_b32 v3, v1
	v_and_b32_e32 v4, 3, v50
	v_cmp_ne_u32_e32 vcc, 0, v4
	s_waitcnt lgkmcnt(0)
	v_mov_b32_dpp v5, v3 row_shr:1 row_mask:0xf bank_mask:0xf
	v_cndmask_b32_e32 v5, 0, v5, vcc
	v_add_u32_e32 v3, v5, v3
	v_cmp_lt_u32_e32 vcc, 1, v4
	s_nop 0
	v_mov_b32_dpp v5, v3 row_shr:2 row_mask:0xf bank_mask:0xf
	v_cndmask_b32_e32 v4, 0, v5, vcc
	v_add_u32_e32 v3, v3, v4
	ds_write_b32 v1, v3
.LBB881_67:
	s_or_b64 exec, exec, s[2:3]
	v_cmp_lt_u32_e32 vcc, 63, v0
	v_mov_b32_e32 v4, 0
	v_mov_b32_e32 v3, 0
	s_waitcnt lgkmcnt(0)
	s_barrier
	s_and_saveexec_b64 s[2:3], vcc
	s_cbranch_execz .LBB881_69
; %bb.68:
	v_lshl_add_u32 v3, v51, 2, -4
	ds_read_b32 v3, v3
.LBB881_69:
	s_or_b64 exec, exec, s[2:3]
	v_add_u32_e32 v5, -1, v50
	v_and_b32_e32 v6, 64, v50
	v_cmp_lt_i32_e32 vcc, v5, v6
	v_cndmask_b32_e32 v5, v5, v50, vcc
	s_waitcnt lgkmcnt(0)
	v_add_u32_e32 v2, v3, v2
	v_lshlrev_b32_e32 v5, 2, v5
	ds_bpermute_b32 v2, v5, v2
	ds_read_b32 v18, v4 offset:12
	v_cmp_eq_u32_e32 vcc, 0, v0
	s_and_saveexec_b64 s[2:3], vcc
	s_cbranch_execz .LBB881_71
; %bb.70:
	v_mov_b32_e32 v4, 0
	v_mov_b32_e32 v19, 2
	s_waitcnt lgkmcnt(0)
	global_store_dwordx2 v4, v[18:19], s[34:35] offset:512
.LBB881_71:
	s_or_b64 exec, exec, s[2:3]
	v_cmp_eq_u32_e64 s[2:3], 0, v50
	s_waitcnt lgkmcnt(1)
	v_cndmask_b32_e64 v2, v2, v3, s[2:3]
	v_cndmask_b32_e64 v2, v2, 0, vcc
	v_add_u32_e32 v3, v2, v41
	v_add_u32_e32 v4, v3, v42
	;; [unrolled: 1-line block ×11, first 2 shown]
	v_mov_b32_e32 v19, 0
	v_add_u32_e32 v14, v13, v38
	s_waitcnt lgkmcnt(0)
	s_barrier
.LBB881_72:
	s_waitcnt lgkmcnt(0)
	v_add_u32_e32 v33, v18, v33
	v_sub_u32_e32 v2, v2, v19
	v_and_b32_e32 v42, 1, v37
	v_sub_u32_e32 v41, v33, v2
	v_cmp_eq_u32_e32 vcc, 1, v42
	v_cndmask_b32_e32 v2, v41, v2, vcc
	v_lshlrev_b32_e32 v2, 2, v2
	v_lshrrev_b32_e32 v17, 8, v37
	ds_write_b32 v2, v30
	v_sub_u32_e32 v2, v3, v19
	v_sub_u32_e32 v3, v33, v2
	v_and_b32_e32 v17, 1, v17
	v_add_u32_e32 v3, 1, v3
	v_cmp_eq_u32_e32 vcc, 1, v17
	v_cndmask_b32_e32 v2, v3, v2, vcc
	v_lshlrev_b32_e32 v2, 2, v2
	ds_write_b32 v2, v31
	v_sub_u32_e32 v2, v4, v19
	v_mov_b32_e32 v4, 1
	v_sub_u32_e32 v3, v33, v2
	v_and_b32_sdwa v17, v4, v37 dst_sel:DWORD dst_unused:UNUSED_PAD src0_sel:DWORD src1_sel:WORD_1
	v_add_u32_e32 v3, 2, v3
	v_cmp_eq_u32_e32 vcc, 1, v17
	v_cndmask_b32_e32 v2, v3, v2, vcc
	v_lshlrev_b32_e32 v2, 2, v2
	ds_write_b32 v2, v28
	v_sub_u32_e32 v2, v5, v19
	v_sub_u32_e32 v3, v33, v2
	v_and_b32_e32 v5, 1, v40
	v_add_u32_e32 v3, 3, v3
	v_cmp_eq_u32_e32 vcc, 1, v5
	v_cndmask_b32_e32 v2, v3, v2, vcc
	v_lshlrev_b32_e32 v2, 2, v2
	ds_write_b32 v2, v29
	v_sub_u32_e32 v2, v6, v19
	v_sub_u32_e32 v3, v33, v2
	v_and_b32_e32 v5, 1, v36
	v_add_u32_e32 v3, 4, v3
	v_cmp_eq_u32_e32 vcc, 1, v5
	v_cndmask_b32_e32 v2, v3, v2, vcc
	v_lshlrev_b32_e32 v2, 2, v2
	v_lshrrev_b32_e32 v16, 8, v36
	ds_write_b32 v2, v26
	v_sub_u32_e32 v2, v7, v19
	v_sub_u32_e32 v3, v33, v2
	v_and_b32_e32 v5, 1, v16
	v_add_u32_e32 v3, 5, v3
	v_cmp_eq_u32_e32 vcc, 1, v5
	v_cndmask_b32_e32 v2, v3, v2, vcc
	v_lshlrev_b32_e32 v2, 2, v2
	ds_write_b32 v2, v27
	v_sub_u32_e32 v2, v8, v19
	v_sub_u32_e32 v3, v33, v2
	v_and_b32_sdwa v5, v4, v36 dst_sel:DWORD dst_unused:UNUSED_PAD src0_sel:DWORD src1_sel:WORD_1
	v_add_u32_e32 v3, 6, v3
	v_cmp_eq_u32_e32 vcc, 1, v5
	v_cndmask_b32_e32 v2, v3, v2, vcc
	v_lshlrev_b32_e32 v2, 2, v2
	ds_write_b32 v2, v24
	v_sub_u32_e32 v2, v9, v19
	v_sub_u32_e32 v3, v33, v2
	v_and_b32_e32 v5, 1, v39
	v_add_u32_e32 v3, 7, v3
	v_cmp_eq_u32_e32 vcc, 1, v5
	v_cndmask_b32_e32 v2, v3, v2, vcc
	v_lshlrev_b32_e32 v2, 2, v2
	ds_write_b32 v2, v25
	v_sub_u32_e32 v2, v10, v19
	v_sub_u32_e32 v3, v33, v2
	v_and_b32_e32 v5, 1, v35
	v_add_u32_e32 v3, 8, v3
	v_cmp_eq_u32_e32 vcc, 1, v5
	v_cndmask_b32_e32 v2, v3, v2, vcc
	v_lshlrev_b32_e32 v2, 2, v2
	v_lshrrev_b32_e32 v15, 8, v35
	ds_write_b32 v2, v22
	v_sub_u32_e32 v2, v11, v19
	v_sub_u32_e32 v3, v33, v2
	v_and_b32_e32 v5, 1, v15
	v_add_u32_e32 v3, 9, v3
	v_cmp_eq_u32_e32 vcc, 1, v5
	v_cndmask_b32_e32 v2, v3, v2, vcc
	v_lshlrev_b32_e32 v2, 2, v2
	ds_write_b32 v2, v23
	v_sub_u32_e32 v2, v12, v19
	v_sub_u32_e32 v3, v33, v2
	v_and_b32_sdwa v4, v4, v35 dst_sel:DWORD dst_unused:UNUSED_PAD src0_sel:DWORD src1_sel:WORD_1
	v_add_u32_e32 v3, 10, v3
	v_cmp_eq_u32_e32 vcc, 1, v4
	v_cndmask_b32_e32 v2, v3, v2, vcc
	v_lshlrev_b32_e32 v2, 2, v2
	ds_write_b32 v2, v20
	v_sub_u32_e32 v2, v13, v19
	v_sub_u32_e32 v3, v33, v2
	v_and_b32_e32 v4, 1, v38
	v_add_u32_e32 v3, 11, v3
	v_cmp_eq_u32_e32 vcc, 1, v4
	v_cndmask_b32_e32 v2, v3, v2, vcc
	v_lshlrev_b32_e32 v2, 2, v2
	ds_write_b32 v2, v21
	v_sub_u32_e32 v2, v14, v19
	v_sub_u32_e32 v3, v33, v2
	v_and_b32_e32 v4, 1, v34
	v_add_u32_e32 v3, 12, v3
	v_cmp_eq_u32_e32 vcc, 1, v4
	v_cndmask_b32_e32 v2, v3, v2, vcc
	s_add_u32 s2, s28, s42
	v_lshlrev_b32_e32 v2, 2, v2
	s_addc_u32 s3, s29, 0
	ds_write_b32 v2, v32
	s_waitcnt lgkmcnt(0)
	s_barrier
	ds_read2st64_b32 v[12:13], v1 offset1:4
	ds_read2st64_b32 v[10:11], v1 offset0:8 offset1:12
	ds_read2st64_b32 v[8:9], v1 offset0:16 offset1:20
	ds_read2st64_b32 v[6:7], v1 offset0:24 offset1:28
	ds_read2st64_b32 v[4:5], v1 offset0:32 offset1:36
	ds_read2st64_b32 v[2:3], v1 offset0:40 offset1:44
	ds_read_b32 v17, v1 offset:12288
	v_mov_b32_e32 v14, s31
	v_add_co_u32_e32 v1, vcc, s30, v19
	s_sub_u32 s2, s26, s2
	v_addc_co_u32_e32 v16, vcc, 0, v14, vcc
	s_subb_u32 s3, s27, s3
	v_mov_b32_e32 v14, s3
	v_add_co_u32_e32 v15, vcc, s2, v18
	v_addc_co_u32_e32 v14, vcc, 0, v14, vcc
	s_and_b64 vcc, exec, s[0:1]
	v_add_co_u32_e64 v19, s[0:1], v15, v1
	v_or_b32_e32 v32, 0x100, v0
	v_or_b32_e32 v31, 0x200, v0
	;; [unrolled: 1-line block ×12, first 2 shown]
	v_addc_co_u32_e64 v21, s[0:1], v14, v16, s[0:1]
	s_cbranch_vccnz .LBB881_126
; %bb.73:
	v_cmp_ge_u32_e32 vcc, v0, v18
                                        ; implicit-def: $vgpr14_vgpr15
	s_and_saveexec_b64 s[0:1], vcc
	s_xor_b64 s[0:1], exec, s[0:1]
; %bb.74:
	v_not_b32_e32 v14, v0
	v_ashrrev_i32_e32 v15, 31, v14
	v_add_co_u32_e32 v14, vcc, v19, v14
	v_addc_co_u32_e32 v15, vcc, v21, v15, vcc
; %bb.75:
	s_andn2_saveexec_b64 s[0:1], s[0:1]
; %bb.76:
	v_add_co_u32_e32 v14, vcc, v1, v0
	v_addc_co_u32_e32 v15, vcc, 0, v16, vcc
; %bb.77:
	s_or_b64 exec, exec, s[0:1]
	v_lshlrev_b64 v[14:15], 2, v[14:15]
	v_mov_b32_e32 v33, s25
	v_add_co_u32_e32 v14, vcc, s24, v14
	v_addc_co_u32_e32 v15, vcc, v33, v15, vcc
	v_cmp_ge_u32_e32 vcc, v32, v18
	s_waitcnt lgkmcnt(6)
	global_store_dword v[14:15], v12, off
                                        ; implicit-def: $vgpr14_vgpr15
	s_and_saveexec_b64 s[0:1], vcc
	s_xor_b64 s[0:1], exec, s[0:1]
; %bb.78:
	v_xor_b32_e32 v14, 0xfffffeff, v0
	v_ashrrev_i32_e32 v15, 31, v14
	v_add_co_u32_e32 v14, vcc, v19, v14
	v_addc_co_u32_e32 v15, vcc, v21, v15, vcc
; %bb.79:
	s_andn2_saveexec_b64 s[0:1], s[0:1]
; %bb.80:
	v_add_co_u32_e32 v14, vcc, v1, v32
	v_addc_co_u32_e32 v15, vcc, 0, v16, vcc
; %bb.81:
	s_or_b64 exec, exec, s[0:1]
	v_lshlrev_b64 v[14:15], 2, v[14:15]
	v_mov_b32_e32 v33, s25
	v_add_co_u32_e32 v14, vcc, s24, v14
	v_addc_co_u32_e32 v15, vcc, v33, v15, vcc
	v_cmp_ge_u32_e32 vcc, v31, v18
	global_store_dword v[14:15], v13, off
                                        ; implicit-def: $vgpr14_vgpr15
	s_and_saveexec_b64 s[0:1], vcc
	s_xor_b64 s[0:1], exec, s[0:1]
; %bb.82:
	v_xor_b32_e32 v14, 0xfffffdff, v0
	v_ashrrev_i32_e32 v15, 31, v14
	v_add_co_u32_e32 v14, vcc, v19, v14
	v_addc_co_u32_e32 v15, vcc, v21, v15, vcc
; %bb.83:
	s_andn2_saveexec_b64 s[0:1], s[0:1]
; %bb.84:
	v_add_co_u32_e32 v14, vcc, v1, v31
	v_addc_co_u32_e32 v15, vcc, 0, v16, vcc
; %bb.85:
	s_or_b64 exec, exec, s[0:1]
	v_lshlrev_b64 v[14:15], 2, v[14:15]
	v_mov_b32_e32 v33, s25
	v_add_co_u32_e32 v14, vcc, s24, v14
	v_addc_co_u32_e32 v15, vcc, v33, v15, vcc
	v_cmp_ge_u32_e32 vcc, v30, v18
	s_waitcnt lgkmcnt(5)
	global_store_dword v[14:15], v10, off
                                        ; implicit-def: $vgpr14_vgpr15
	s_and_saveexec_b64 s[0:1], vcc
	s_xor_b64 s[0:1], exec, s[0:1]
; %bb.86:
	v_xor_b32_e32 v14, 0xfffffcff, v0
	v_ashrrev_i32_e32 v15, 31, v14
	v_add_co_u32_e32 v14, vcc, v19, v14
	v_addc_co_u32_e32 v15, vcc, v21, v15, vcc
; %bb.87:
	s_andn2_saveexec_b64 s[0:1], s[0:1]
; %bb.88:
	v_add_co_u32_e32 v14, vcc, v1, v30
	v_addc_co_u32_e32 v15, vcc, 0, v16, vcc
; %bb.89:
	s_or_b64 exec, exec, s[0:1]
	v_lshlrev_b64 v[14:15], 2, v[14:15]
	v_mov_b32_e32 v33, s25
	v_add_co_u32_e32 v14, vcc, s24, v14
	v_addc_co_u32_e32 v15, vcc, v33, v15, vcc
	v_cmp_ge_u32_e32 vcc, v29, v18
	global_store_dword v[14:15], v11, off
                                        ; implicit-def: $vgpr14_vgpr15
	s_and_saveexec_b64 s[0:1], vcc
	s_xor_b64 s[0:1], exec, s[0:1]
; %bb.90:
	v_xor_b32_e32 v14, 0xfffffbff, v0
	;; [unrolled: 43-line block ×6, first 2 shown]
	v_ashrrev_i32_e32 v15, 31, v14
	v_add_co_u32_e32 v14, vcc, v19, v14
	v_addc_co_u32_e32 v15, vcc, v21, v15, vcc
; %bb.123:
	s_andn2_saveexec_b64 s[0:1], s[0:1]
; %bb.124:
	v_add_co_u32_e32 v14, vcc, v1, v20
	v_addc_co_u32_e32 v15, vcc, 0, v16, vcc
; %bb.125:
	s_or_b64 exec, exec, s[0:1]
	s_mov_b64 s[0:1], -1
	s_branch .LBB881_206
.LBB881_126:
	s_mov_b64 s[0:1], 0
                                        ; implicit-def: $vgpr14_vgpr15
	s_cbranch_execz .LBB881_206
; %bb.127:
	v_cmp_gt_u32_e32 vcc, s33, v0
	s_and_saveexec_b64 s[2:3], vcc
	s_cbranch_execz .LBB881_163
; %bb.128:
	v_cmp_ge_u32_e32 vcc, v0, v18
                                        ; implicit-def: $vgpr14_vgpr15
	s_and_saveexec_b64 s[4:5], vcc
	s_xor_b64 s[4:5], exec, s[4:5]
; %bb.129:
	v_not_b32_e32 v14, v0
	v_ashrrev_i32_e32 v15, 31, v14
	v_add_co_u32_e32 v14, vcc, v19, v14
	v_addc_co_u32_e32 v15, vcc, v21, v15, vcc
; %bb.130:
	s_andn2_saveexec_b64 s[4:5], s[4:5]
; %bb.131:
	v_add_co_u32_e32 v14, vcc, v1, v0
	v_addc_co_u32_e32 v15, vcc, 0, v16, vcc
; %bb.132:
	s_or_b64 exec, exec, s[4:5]
	v_lshlrev_b64 v[14:15], 2, v[14:15]
	v_mov_b32_e32 v33, s25
	v_add_co_u32_e32 v14, vcc, s24, v14
	v_addc_co_u32_e32 v15, vcc, v33, v15, vcc
	s_waitcnt lgkmcnt(6)
	global_store_dword v[14:15], v12, off
	s_or_b64 exec, exec, s[2:3]
	v_cmp_gt_u32_e32 vcc, s33, v32
	s_and_saveexec_b64 s[2:3], vcc
	s_cbranch_execnz .LBB881_164
.LBB881_133:
	s_or_b64 exec, exec, s[2:3]
	v_cmp_gt_u32_e32 vcc, s33, v31
	s_and_saveexec_b64 s[2:3], vcc
	s_cbranch_execz .LBB881_169
.LBB881_134:
	v_cmp_ge_u32_e32 vcc, v31, v18
                                        ; implicit-def: $vgpr12_vgpr13
	s_and_saveexec_b64 s[4:5], vcc
	s_xor_b64 s[4:5], exec, s[4:5]
	s_cbranch_execz .LBB881_136
; %bb.135:
	s_waitcnt lgkmcnt(6)
	v_xor_b32_e32 v12, 0xfffffdff, v0
	v_ashrrev_i32_e32 v13, 31, v12
	v_add_co_u32_e32 v12, vcc, v19, v12
	v_addc_co_u32_e32 v13, vcc, v21, v13, vcc
                                        ; implicit-def: $vgpr31
.LBB881_136:
	s_andn2_saveexec_b64 s[4:5], s[4:5]
	s_cbranch_execz .LBB881_138
; %bb.137:
	s_waitcnt lgkmcnt(6)
	v_add_co_u32_e32 v12, vcc, v1, v31
	v_addc_co_u32_e32 v13, vcc, 0, v16, vcc
.LBB881_138:
	s_or_b64 exec, exec, s[4:5]
	s_waitcnt lgkmcnt(6)
	v_lshlrev_b64 v[12:13], 2, v[12:13]
	v_mov_b32_e32 v14, s25
	v_add_co_u32_e32 v12, vcc, s24, v12
	v_addc_co_u32_e32 v13, vcc, v14, v13, vcc
	s_waitcnt lgkmcnt(5)
	global_store_dword v[12:13], v10, off
	s_or_b64 exec, exec, s[2:3]
	v_cmp_gt_u32_e32 vcc, s33, v30
	s_and_saveexec_b64 s[2:3], vcc
	s_cbranch_execnz .LBB881_170
.LBB881_139:
	s_or_b64 exec, exec, s[2:3]
	v_cmp_gt_u32_e32 vcc, s33, v29
	s_and_saveexec_b64 s[2:3], vcc
	s_cbranch_execz .LBB881_175
.LBB881_140:
	v_cmp_ge_u32_e32 vcc, v29, v18
                                        ; implicit-def: $vgpr10_vgpr11
	s_and_saveexec_b64 s[4:5], vcc
	s_xor_b64 s[4:5], exec, s[4:5]
	s_cbranch_execz .LBB881_142
; %bb.141:
	s_waitcnt lgkmcnt(5)
	v_xor_b32_e32 v10, 0xfffffbff, v0
	v_ashrrev_i32_e32 v11, 31, v10
	v_add_co_u32_e32 v10, vcc, v19, v10
	v_addc_co_u32_e32 v11, vcc, v21, v11, vcc
                                        ; implicit-def: $vgpr29
.LBB881_142:
	s_andn2_saveexec_b64 s[4:5], s[4:5]
	s_cbranch_execz .LBB881_144
; %bb.143:
	s_waitcnt lgkmcnt(5)
	v_add_co_u32_e32 v10, vcc, v1, v29
	v_addc_co_u32_e32 v11, vcc, 0, v16, vcc
.LBB881_144:
	s_or_b64 exec, exec, s[4:5]
	s_waitcnt lgkmcnt(5)
	v_lshlrev_b64 v[10:11], 2, v[10:11]
	v_mov_b32_e32 v12, s25
	v_add_co_u32_e32 v10, vcc, s24, v10
	v_addc_co_u32_e32 v11, vcc, v12, v11, vcc
	s_waitcnt lgkmcnt(4)
	global_store_dword v[10:11], v8, off
	s_or_b64 exec, exec, s[2:3]
	v_cmp_gt_u32_e32 vcc, s33, v28
	s_and_saveexec_b64 s[2:3], vcc
	s_cbranch_execnz .LBB881_176
.LBB881_145:
	s_or_b64 exec, exec, s[2:3]
	v_cmp_gt_u32_e32 vcc, s33, v27
	s_and_saveexec_b64 s[2:3], vcc
	s_cbranch_execz .LBB881_181
.LBB881_146:
	v_cmp_ge_u32_e32 vcc, v27, v18
                                        ; implicit-def: $vgpr8_vgpr9
	s_and_saveexec_b64 s[4:5], vcc
	s_xor_b64 s[4:5], exec, s[4:5]
	s_cbranch_execz .LBB881_148
; %bb.147:
	s_waitcnt lgkmcnt(4)
	v_xor_b32_e32 v8, 0xfffff9ff, v0
	v_ashrrev_i32_e32 v9, 31, v8
	v_add_co_u32_e32 v8, vcc, v19, v8
	v_addc_co_u32_e32 v9, vcc, v21, v9, vcc
                                        ; implicit-def: $vgpr27
.LBB881_148:
	s_andn2_saveexec_b64 s[4:5], s[4:5]
	s_cbranch_execz .LBB881_150
; %bb.149:
	s_waitcnt lgkmcnt(4)
	v_add_co_u32_e32 v8, vcc, v1, v27
	v_addc_co_u32_e32 v9, vcc, 0, v16, vcc
.LBB881_150:
	s_or_b64 exec, exec, s[4:5]
	s_waitcnt lgkmcnt(4)
	v_lshlrev_b64 v[8:9], 2, v[8:9]
	v_mov_b32_e32 v10, s25
	v_add_co_u32_e32 v8, vcc, s24, v8
	v_addc_co_u32_e32 v9, vcc, v10, v9, vcc
	s_waitcnt lgkmcnt(3)
	global_store_dword v[8:9], v6, off
	s_or_b64 exec, exec, s[2:3]
	v_cmp_gt_u32_e32 vcc, s33, v26
	s_and_saveexec_b64 s[2:3], vcc
	s_cbranch_execnz .LBB881_182
.LBB881_151:
	s_or_b64 exec, exec, s[2:3]
	v_cmp_gt_u32_e32 vcc, s33, v25
	s_and_saveexec_b64 s[2:3], vcc
	s_cbranch_execz .LBB881_187
.LBB881_152:
	v_cmp_ge_u32_e32 vcc, v25, v18
                                        ; implicit-def: $vgpr6_vgpr7
	s_and_saveexec_b64 s[4:5], vcc
	s_xor_b64 s[4:5], exec, s[4:5]
	s_cbranch_execz .LBB881_154
; %bb.153:
	s_waitcnt lgkmcnt(3)
	v_xor_b32_e32 v6, 0xfffff7ff, v0
	v_ashrrev_i32_e32 v7, 31, v6
	v_add_co_u32_e32 v6, vcc, v19, v6
	v_addc_co_u32_e32 v7, vcc, v21, v7, vcc
                                        ; implicit-def: $vgpr25
.LBB881_154:
	s_andn2_saveexec_b64 s[4:5], s[4:5]
	s_cbranch_execz .LBB881_156
; %bb.155:
	s_waitcnt lgkmcnt(3)
	v_add_co_u32_e32 v6, vcc, v1, v25
	v_addc_co_u32_e32 v7, vcc, 0, v16, vcc
.LBB881_156:
	s_or_b64 exec, exec, s[4:5]
	s_waitcnt lgkmcnt(3)
	v_lshlrev_b64 v[6:7], 2, v[6:7]
	v_mov_b32_e32 v8, s25
	v_add_co_u32_e32 v6, vcc, s24, v6
	v_addc_co_u32_e32 v7, vcc, v8, v7, vcc
	s_waitcnt lgkmcnt(2)
	global_store_dword v[6:7], v4, off
	s_or_b64 exec, exec, s[2:3]
	v_cmp_gt_u32_e32 vcc, s33, v24
	s_and_saveexec_b64 s[2:3], vcc
	s_cbranch_execnz .LBB881_188
.LBB881_157:
	s_or_b64 exec, exec, s[2:3]
	v_cmp_gt_u32_e32 vcc, s33, v23
	s_and_saveexec_b64 s[2:3], vcc
	s_cbranch_execz .LBB881_193
.LBB881_158:
	v_cmp_ge_u32_e32 vcc, v23, v18
                                        ; implicit-def: $vgpr4_vgpr5
	s_and_saveexec_b64 s[4:5], vcc
	s_xor_b64 s[4:5], exec, s[4:5]
	s_cbranch_execz .LBB881_160
; %bb.159:
	s_waitcnt lgkmcnt(2)
	v_xor_b32_e32 v4, 0xfffff5ff, v0
	v_ashrrev_i32_e32 v5, 31, v4
	v_add_co_u32_e32 v4, vcc, v19, v4
	v_addc_co_u32_e32 v5, vcc, v21, v5, vcc
                                        ; implicit-def: $vgpr23
.LBB881_160:
	s_andn2_saveexec_b64 s[4:5], s[4:5]
	s_cbranch_execz .LBB881_162
; %bb.161:
	s_waitcnt lgkmcnt(2)
	v_add_co_u32_e32 v4, vcc, v1, v23
	v_addc_co_u32_e32 v5, vcc, 0, v16, vcc
.LBB881_162:
	s_or_b64 exec, exec, s[4:5]
	s_waitcnt lgkmcnt(2)
	v_lshlrev_b64 v[4:5], 2, v[4:5]
	v_mov_b32_e32 v6, s25
	v_add_co_u32_e32 v4, vcc, s24, v4
	v_addc_co_u32_e32 v5, vcc, v6, v5, vcc
	s_waitcnt lgkmcnt(1)
	global_store_dword v[4:5], v2, off
	s_or_b64 exec, exec, s[2:3]
	v_cmp_gt_u32_e32 vcc, s33, v22
	s_and_saveexec_b64 s[2:3], vcc
	s_cbranch_execz .LBB881_199
	s_branch .LBB881_194
.LBB881_163:
	s_or_b64 exec, exec, s[2:3]
	v_cmp_gt_u32_e32 vcc, s33, v32
	s_and_saveexec_b64 s[2:3], vcc
	s_cbranch_execz .LBB881_133
.LBB881_164:
	v_cmp_ge_u32_e32 vcc, v32, v18
                                        ; implicit-def: $vgpr14_vgpr15
	s_and_saveexec_b64 s[4:5], vcc
	s_xor_b64 s[4:5], exec, s[4:5]
	s_cbranch_execz .LBB881_166
; %bb.165:
	s_waitcnt lgkmcnt(6)
	v_xor_b32_e32 v12, 0xfffffeff, v0
	v_ashrrev_i32_e32 v15, 31, v12
	v_add_co_u32_e32 v14, vcc, v19, v12
	v_addc_co_u32_e32 v15, vcc, v21, v15, vcc
                                        ; implicit-def: $vgpr32
.LBB881_166:
	s_andn2_saveexec_b64 s[4:5], s[4:5]
; %bb.167:
	v_add_co_u32_e32 v14, vcc, v1, v32
	v_addc_co_u32_e32 v15, vcc, 0, v16, vcc
; %bb.168:
	s_or_b64 exec, exec, s[4:5]
	v_lshlrev_b64 v[14:15], 2, v[14:15]
	s_waitcnt lgkmcnt(6)
	v_mov_b32_e32 v12, s25
	v_add_co_u32_e32 v14, vcc, s24, v14
	v_addc_co_u32_e32 v15, vcc, v12, v15, vcc
	global_store_dword v[14:15], v13, off
	s_or_b64 exec, exec, s[2:3]
	v_cmp_gt_u32_e32 vcc, s33, v31
	s_and_saveexec_b64 s[2:3], vcc
	s_cbranch_execnz .LBB881_134
.LBB881_169:
	s_or_b64 exec, exec, s[2:3]
	v_cmp_gt_u32_e32 vcc, s33, v30
	s_and_saveexec_b64 s[2:3], vcc
	s_cbranch_execz .LBB881_139
.LBB881_170:
	v_cmp_ge_u32_e32 vcc, v30, v18
                                        ; implicit-def: $vgpr12_vgpr13
	s_and_saveexec_b64 s[4:5], vcc
	s_xor_b64 s[4:5], exec, s[4:5]
	s_cbranch_execz .LBB881_172
; %bb.171:
	s_waitcnt lgkmcnt(5)
	v_xor_b32_e32 v10, 0xfffffcff, v0
	v_ashrrev_i32_e32 v13, 31, v10
	v_add_co_u32_e32 v12, vcc, v19, v10
	v_addc_co_u32_e32 v13, vcc, v21, v13, vcc
                                        ; implicit-def: $vgpr30
.LBB881_172:
	s_andn2_saveexec_b64 s[4:5], s[4:5]
	s_cbranch_execz .LBB881_174
; %bb.173:
	s_waitcnt lgkmcnt(6)
	v_add_co_u32_e32 v12, vcc, v1, v30
	v_addc_co_u32_e32 v13, vcc, 0, v16, vcc
.LBB881_174:
	s_or_b64 exec, exec, s[4:5]
	s_waitcnt lgkmcnt(6)
	v_lshlrev_b64 v[12:13], 2, v[12:13]
	s_waitcnt lgkmcnt(5)
	v_mov_b32_e32 v10, s25
	v_add_co_u32_e32 v12, vcc, s24, v12
	v_addc_co_u32_e32 v13, vcc, v10, v13, vcc
	global_store_dword v[12:13], v11, off
	s_or_b64 exec, exec, s[2:3]
	v_cmp_gt_u32_e32 vcc, s33, v29
	s_and_saveexec_b64 s[2:3], vcc
	s_cbranch_execnz .LBB881_140
.LBB881_175:
	s_or_b64 exec, exec, s[2:3]
	v_cmp_gt_u32_e32 vcc, s33, v28
	s_and_saveexec_b64 s[2:3], vcc
	s_cbranch_execz .LBB881_145
.LBB881_176:
	v_cmp_ge_u32_e32 vcc, v28, v18
                                        ; implicit-def: $vgpr10_vgpr11
	s_and_saveexec_b64 s[4:5], vcc
	s_xor_b64 s[4:5], exec, s[4:5]
	s_cbranch_execz .LBB881_178
; %bb.177:
	s_waitcnt lgkmcnt(4)
	v_xor_b32_e32 v8, 0xfffffaff, v0
	v_ashrrev_i32_e32 v11, 31, v8
	v_add_co_u32_e32 v10, vcc, v19, v8
	v_addc_co_u32_e32 v11, vcc, v21, v11, vcc
                                        ; implicit-def: $vgpr28
.LBB881_178:
	s_andn2_saveexec_b64 s[4:5], s[4:5]
	s_cbranch_execz .LBB881_180
; %bb.179:
	s_waitcnt lgkmcnt(5)
	v_add_co_u32_e32 v10, vcc, v1, v28
	v_addc_co_u32_e32 v11, vcc, 0, v16, vcc
.LBB881_180:
	s_or_b64 exec, exec, s[4:5]
	s_waitcnt lgkmcnt(5)
	v_lshlrev_b64 v[10:11], 2, v[10:11]
	s_waitcnt lgkmcnt(4)
	v_mov_b32_e32 v8, s25
	v_add_co_u32_e32 v10, vcc, s24, v10
	v_addc_co_u32_e32 v11, vcc, v8, v11, vcc
	global_store_dword v[10:11], v9, off
	s_or_b64 exec, exec, s[2:3]
	v_cmp_gt_u32_e32 vcc, s33, v27
	s_and_saveexec_b64 s[2:3], vcc
	s_cbranch_execnz .LBB881_146
.LBB881_181:
	s_or_b64 exec, exec, s[2:3]
	v_cmp_gt_u32_e32 vcc, s33, v26
	s_and_saveexec_b64 s[2:3], vcc
	s_cbranch_execz .LBB881_151
.LBB881_182:
	v_cmp_ge_u32_e32 vcc, v26, v18
                                        ; implicit-def: $vgpr8_vgpr9
	s_and_saveexec_b64 s[4:5], vcc
	s_xor_b64 s[4:5], exec, s[4:5]
	s_cbranch_execz .LBB881_184
; %bb.183:
	s_waitcnt lgkmcnt(3)
	v_xor_b32_e32 v6, 0xfffff8ff, v0
	v_ashrrev_i32_e32 v9, 31, v6
	v_add_co_u32_e32 v8, vcc, v19, v6
	v_addc_co_u32_e32 v9, vcc, v21, v9, vcc
                                        ; implicit-def: $vgpr26
.LBB881_184:
	s_andn2_saveexec_b64 s[4:5], s[4:5]
	s_cbranch_execz .LBB881_186
; %bb.185:
	s_waitcnt lgkmcnt(4)
	v_add_co_u32_e32 v8, vcc, v1, v26
	v_addc_co_u32_e32 v9, vcc, 0, v16, vcc
.LBB881_186:
	s_or_b64 exec, exec, s[4:5]
	s_waitcnt lgkmcnt(4)
	v_lshlrev_b64 v[8:9], 2, v[8:9]
	s_waitcnt lgkmcnt(3)
	v_mov_b32_e32 v6, s25
	v_add_co_u32_e32 v8, vcc, s24, v8
	v_addc_co_u32_e32 v9, vcc, v6, v9, vcc
	global_store_dword v[8:9], v7, off
	s_or_b64 exec, exec, s[2:3]
	v_cmp_gt_u32_e32 vcc, s33, v25
	s_and_saveexec_b64 s[2:3], vcc
	s_cbranch_execnz .LBB881_152
.LBB881_187:
	s_or_b64 exec, exec, s[2:3]
	v_cmp_gt_u32_e32 vcc, s33, v24
	s_and_saveexec_b64 s[2:3], vcc
	s_cbranch_execz .LBB881_157
.LBB881_188:
	v_cmp_ge_u32_e32 vcc, v24, v18
                                        ; implicit-def: $vgpr6_vgpr7
	s_and_saveexec_b64 s[4:5], vcc
	s_xor_b64 s[4:5], exec, s[4:5]
	s_cbranch_execz .LBB881_190
; %bb.189:
	s_waitcnt lgkmcnt(2)
	v_xor_b32_e32 v4, 0xfffff6ff, v0
	v_ashrrev_i32_e32 v7, 31, v4
	v_add_co_u32_e32 v6, vcc, v19, v4
	v_addc_co_u32_e32 v7, vcc, v21, v7, vcc
                                        ; implicit-def: $vgpr24
.LBB881_190:
	s_andn2_saveexec_b64 s[4:5], s[4:5]
	s_cbranch_execz .LBB881_192
; %bb.191:
	s_waitcnt lgkmcnt(3)
	v_add_co_u32_e32 v6, vcc, v1, v24
	v_addc_co_u32_e32 v7, vcc, 0, v16, vcc
.LBB881_192:
	s_or_b64 exec, exec, s[4:5]
	s_waitcnt lgkmcnt(3)
	v_lshlrev_b64 v[6:7], 2, v[6:7]
	s_waitcnt lgkmcnt(2)
	v_mov_b32_e32 v4, s25
	v_add_co_u32_e32 v6, vcc, s24, v6
	v_addc_co_u32_e32 v7, vcc, v4, v7, vcc
	global_store_dword v[6:7], v5, off
	s_or_b64 exec, exec, s[2:3]
	v_cmp_gt_u32_e32 vcc, s33, v23
	s_and_saveexec_b64 s[2:3], vcc
	s_cbranch_execnz .LBB881_158
.LBB881_193:
	s_or_b64 exec, exec, s[2:3]
	v_cmp_gt_u32_e32 vcc, s33, v22
	s_and_saveexec_b64 s[2:3], vcc
	s_cbranch_execz .LBB881_199
.LBB881_194:
	v_cmp_ge_u32_e32 vcc, v22, v18
                                        ; implicit-def: $vgpr4_vgpr5
	s_and_saveexec_b64 s[4:5], vcc
	s_xor_b64 s[4:5], exec, s[4:5]
	s_cbranch_execz .LBB881_196
; %bb.195:
	s_waitcnt lgkmcnt(1)
	v_xor_b32_e32 v2, 0xfffff4ff, v0
	v_ashrrev_i32_e32 v5, 31, v2
	v_add_co_u32_e32 v4, vcc, v19, v2
	v_addc_co_u32_e32 v5, vcc, v21, v5, vcc
                                        ; implicit-def: $vgpr22
.LBB881_196:
	s_andn2_saveexec_b64 s[4:5], s[4:5]
	s_cbranch_execz .LBB881_198
; %bb.197:
	s_waitcnt lgkmcnt(2)
	v_add_co_u32_e32 v4, vcc, v1, v22
	v_addc_co_u32_e32 v5, vcc, 0, v16, vcc
.LBB881_198:
	s_or_b64 exec, exec, s[4:5]
	s_waitcnt lgkmcnt(2)
	v_lshlrev_b64 v[4:5], 2, v[4:5]
	s_waitcnt lgkmcnt(1)
	v_mov_b32_e32 v2, s25
	v_add_co_u32_e32 v4, vcc, s24, v4
	v_addc_co_u32_e32 v5, vcc, v2, v5, vcc
	global_store_dword v[4:5], v3, off
.LBB881_199:
	s_or_b64 exec, exec, s[2:3]
	v_cmp_gt_u32_e32 vcc, s33, v20
                                        ; implicit-def: $vgpr14_vgpr15
	s_and_saveexec_b64 s[2:3], vcc
	s_cbranch_execz .LBB881_205
; %bb.200:
	v_cmp_ge_u32_e32 vcc, v20, v18
                                        ; implicit-def: $vgpr14_vgpr15
	s_and_saveexec_b64 s[4:5], vcc
	s_xor_b64 s[4:5], exec, s[4:5]
	s_cbranch_execz .LBB881_202
; %bb.201:
	s_waitcnt lgkmcnt(1)
	v_xor_b32_e32 v2, 0xfffff3ff, v0
	v_ashrrev_i32_e32 v3, 31, v2
	v_add_co_u32_e32 v14, vcc, v19, v2
	v_addc_co_u32_e32 v15, vcc, v21, v3, vcc
                                        ; implicit-def: $vgpr20
.LBB881_202:
	s_andn2_saveexec_b64 s[4:5], s[4:5]
; %bb.203:
	v_add_co_u32_e32 v14, vcc, v1, v20
	v_addc_co_u32_e32 v15, vcc, 0, v16, vcc
; %bb.204:
	s_or_b64 exec, exec, s[4:5]
	s_or_b64 s[0:1], s[0:1], exec
.LBB881_205:
	s_or_b64 exec, exec, s[2:3]
.LBB881_206:
	s_and_saveexec_b64 s[2:3], s[0:1]
	s_cbranch_execz .LBB881_208
; %bb.207:
	s_waitcnt lgkmcnt(1)
	v_lshlrev_b64 v[2:3], 2, v[14:15]
	v_mov_b32_e32 v4, s25
	v_add_co_u32_e32 v2, vcc, s24, v2
	v_addc_co_u32_e32 v3, vcc, v4, v3, vcc
	s_waitcnt lgkmcnt(0)
	global_store_dword v[2:3], v17, off
.LBB881_208:
	s_or_b64 exec, exec, s[2:3]
	v_cmp_eq_u32_e32 vcc, 0, v0
	s_and_b64 s[0:1], vcc, s[22:23]
	s_and_saveexec_b64 s[2:3], s[0:1]
	s_cbranch_execz .LBB881_210
; %bb.209:
	v_add_co_u32_e32 v0, vcc, v1, v18
	s_waitcnt lgkmcnt(1)
	v_mov_b32_e32 v2, 0
	v_addc_co_u32_e32 v1, vcc, 0, v16, vcc
	global_store_dwordx2 v2, v[0:1], s[20:21]
.LBB881_210:
	s_endpgm
	.section	.rodata,"a",@progbits
	.p2align	6, 0x0
	.amdhsa_kernel _ZN7rocprim17ROCPRIM_400000_NS6detail17trampoline_kernelINS0_13select_configILj256ELj13ELNS0_17block_load_methodE3ELS4_3ELS4_3ELNS0_20block_scan_algorithmE0ELj4294967295EEENS1_25partition_config_selectorILNS1_17partition_subalgoE3EjNS0_10empty_typeEbEEZZNS1_14partition_implILS8_3ELb0ES6_jNS0_17counting_iteratorIjlEEPS9_SE_NS0_5tupleIJPjSE_EEENSF_IJSE_SE_EEES9_SG_JZNS1_25segmented_radix_sort_implINS0_14default_configELb1EPKsPsPKlPlN2at6native12_GLOBAL__N_18offset_tEEE10hipError_tPvRmT1_PNSt15iterator_traitsISY_E10value_typeET2_T3_PNSZ_IS14_E10value_typeET4_jRbjT5_S1A_jjP12ihipStream_tbEUljE_EEESV_SW_SX_S14_S18_S1A_T6_T7_T9_mT8_S1C_bDpT10_ENKUlT_T0_E_clISt17integral_constantIbLb0EES1P_EEDaS1K_S1L_EUlS1K_E_NS1_11comp_targetILNS1_3genE4ELNS1_11target_archE910ELNS1_3gpuE8ELNS1_3repE0EEENS1_30default_config_static_selectorELNS0_4arch9wavefront6targetE1EEEvSY_
		.amdhsa_group_segment_fixed_size 13324
		.amdhsa_private_segment_fixed_size 0
		.amdhsa_kernarg_size 144
		.amdhsa_user_sgpr_count 6
		.amdhsa_user_sgpr_private_segment_buffer 1
		.amdhsa_user_sgpr_dispatch_ptr 0
		.amdhsa_user_sgpr_queue_ptr 0
		.amdhsa_user_sgpr_kernarg_segment_ptr 1
		.amdhsa_user_sgpr_dispatch_id 0
		.amdhsa_user_sgpr_flat_scratch_init 0
		.amdhsa_user_sgpr_kernarg_preload_length 0
		.amdhsa_user_sgpr_kernarg_preload_offset 0
		.amdhsa_user_sgpr_private_segment_size 0
		.amdhsa_uses_dynamic_stack 0
		.amdhsa_system_sgpr_private_segment_wavefront_offset 0
		.amdhsa_system_sgpr_workgroup_id_x 1
		.amdhsa_system_sgpr_workgroup_id_y 0
		.amdhsa_system_sgpr_workgroup_id_z 0
		.amdhsa_system_sgpr_workgroup_info 0
		.amdhsa_system_vgpr_workitem_id 0
		.amdhsa_next_free_vgpr 61
		.amdhsa_next_free_sgpr 46
		.amdhsa_accum_offset 64
		.amdhsa_reserve_vcc 1
		.amdhsa_reserve_flat_scratch 0
		.amdhsa_float_round_mode_32 0
		.amdhsa_float_round_mode_16_64 0
		.amdhsa_float_denorm_mode_32 3
		.amdhsa_float_denorm_mode_16_64 3
		.amdhsa_dx10_clamp 1
		.amdhsa_ieee_mode 1
		.amdhsa_fp16_overflow 0
		.amdhsa_tg_split 0
		.amdhsa_exception_fp_ieee_invalid_op 0
		.amdhsa_exception_fp_denorm_src 0
		.amdhsa_exception_fp_ieee_div_zero 0
		.amdhsa_exception_fp_ieee_overflow 0
		.amdhsa_exception_fp_ieee_underflow 0
		.amdhsa_exception_fp_ieee_inexact 0
		.amdhsa_exception_int_div_zero 0
	.end_amdhsa_kernel
	.section	.text._ZN7rocprim17ROCPRIM_400000_NS6detail17trampoline_kernelINS0_13select_configILj256ELj13ELNS0_17block_load_methodE3ELS4_3ELS4_3ELNS0_20block_scan_algorithmE0ELj4294967295EEENS1_25partition_config_selectorILNS1_17partition_subalgoE3EjNS0_10empty_typeEbEEZZNS1_14partition_implILS8_3ELb0ES6_jNS0_17counting_iteratorIjlEEPS9_SE_NS0_5tupleIJPjSE_EEENSF_IJSE_SE_EEES9_SG_JZNS1_25segmented_radix_sort_implINS0_14default_configELb1EPKsPsPKlPlN2at6native12_GLOBAL__N_18offset_tEEE10hipError_tPvRmT1_PNSt15iterator_traitsISY_E10value_typeET2_T3_PNSZ_IS14_E10value_typeET4_jRbjT5_S1A_jjP12ihipStream_tbEUljE_EEESV_SW_SX_S14_S18_S1A_T6_T7_T9_mT8_S1C_bDpT10_ENKUlT_T0_E_clISt17integral_constantIbLb0EES1P_EEDaS1K_S1L_EUlS1K_E_NS1_11comp_targetILNS1_3genE4ELNS1_11target_archE910ELNS1_3gpuE8ELNS1_3repE0EEENS1_30default_config_static_selectorELNS0_4arch9wavefront6targetE1EEEvSY_,"axG",@progbits,_ZN7rocprim17ROCPRIM_400000_NS6detail17trampoline_kernelINS0_13select_configILj256ELj13ELNS0_17block_load_methodE3ELS4_3ELS4_3ELNS0_20block_scan_algorithmE0ELj4294967295EEENS1_25partition_config_selectorILNS1_17partition_subalgoE3EjNS0_10empty_typeEbEEZZNS1_14partition_implILS8_3ELb0ES6_jNS0_17counting_iteratorIjlEEPS9_SE_NS0_5tupleIJPjSE_EEENSF_IJSE_SE_EEES9_SG_JZNS1_25segmented_radix_sort_implINS0_14default_configELb1EPKsPsPKlPlN2at6native12_GLOBAL__N_18offset_tEEE10hipError_tPvRmT1_PNSt15iterator_traitsISY_E10value_typeET2_T3_PNSZ_IS14_E10value_typeET4_jRbjT5_S1A_jjP12ihipStream_tbEUljE_EEESV_SW_SX_S14_S18_S1A_T6_T7_T9_mT8_S1C_bDpT10_ENKUlT_T0_E_clISt17integral_constantIbLb0EES1P_EEDaS1K_S1L_EUlS1K_E_NS1_11comp_targetILNS1_3genE4ELNS1_11target_archE910ELNS1_3gpuE8ELNS1_3repE0EEENS1_30default_config_static_selectorELNS0_4arch9wavefront6targetE1EEEvSY_,comdat
.Lfunc_end881:
	.size	_ZN7rocprim17ROCPRIM_400000_NS6detail17trampoline_kernelINS0_13select_configILj256ELj13ELNS0_17block_load_methodE3ELS4_3ELS4_3ELNS0_20block_scan_algorithmE0ELj4294967295EEENS1_25partition_config_selectorILNS1_17partition_subalgoE3EjNS0_10empty_typeEbEEZZNS1_14partition_implILS8_3ELb0ES6_jNS0_17counting_iteratorIjlEEPS9_SE_NS0_5tupleIJPjSE_EEENSF_IJSE_SE_EEES9_SG_JZNS1_25segmented_radix_sort_implINS0_14default_configELb1EPKsPsPKlPlN2at6native12_GLOBAL__N_18offset_tEEE10hipError_tPvRmT1_PNSt15iterator_traitsISY_E10value_typeET2_T3_PNSZ_IS14_E10value_typeET4_jRbjT5_S1A_jjP12ihipStream_tbEUljE_EEESV_SW_SX_S14_S18_S1A_T6_T7_T9_mT8_S1C_bDpT10_ENKUlT_T0_E_clISt17integral_constantIbLb0EES1P_EEDaS1K_S1L_EUlS1K_E_NS1_11comp_targetILNS1_3genE4ELNS1_11target_archE910ELNS1_3gpuE8ELNS1_3repE0EEENS1_30default_config_static_selectorELNS0_4arch9wavefront6targetE1EEEvSY_, .Lfunc_end881-_ZN7rocprim17ROCPRIM_400000_NS6detail17trampoline_kernelINS0_13select_configILj256ELj13ELNS0_17block_load_methodE3ELS4_3ELS4_3ELNS0_20block_scan_algorithmE0ELj4294967295EEENS1_25partition_config_selectorILNS1_17partition_subalgoE3EjNS0_10empty_typeEbEEZZNS1_14partition_implILS8_3ELb0ES6_jNS0_17counting_iteratorIjlEEPS9_SE_NS0_5tupleIJPjSE_EEENSF_IJSE_SE_EEES9_SG_JZNS1_25segmented_radix_sort_implINS0_14default_configELb1EPKsPsPKlPlN2at6native12_GLOBAL__N_18offset_tEEE10hipError_tPvRmT1_PNSt15iterator_traitsISY_E10value_typeET2_T3_PNSZ_IS14_E10value_typeET4_jRbjT5_S1A_jjP12ihipStream_tbEUljE_EEESV_SW_SX_S14_S18_S1A_T6_T7_T9_mT8_S1C_bDpT10_ENKUlT_T0_E_clISt17integral_constantIbLb0EES1P_EEDaS1K_S1L_EUlS1K_E_NS1_11comp_targetILNS1_3genE4ELNS1_11target_archE910ELNS1_3gpuE8ELNS1_3repE0EEENS1_30default_config_static_selectorELNS0_4arch9wavefront6targetE1EEEvSY_
                                        ; -- End function
	.section	.AMDGPU.csdata,"",@progbits
; Kernel info:
; codeLenInByte = 7676
; NumSgprs: 50
; NumVgprs: 61
; NumAgprs: 0
; TotalNumVgprs: 61
; ScratchSize: 0
; MemoryBound: 0
; FloatMode: 240
; IeeeMode: 1
; LDSByteSize: 13324 bytes/workgroup (compile time only)
; SGPRBlocks: 6
; VGPRBlocks: 7
; NumSGPRsForWavesPerEU: 50
; NumVGPRsForWavesPerEU: 61
; AccumOffset: 64
; Occupancy: 4
; WaveLimiterHint : 0
; COMPUTE_PGM_RSRC2:SCRATCH_EN: 0
; COMPUTE_PGM_RSRC2:USER_SGPR: 6
; COMPUTE_PGM_RSRC2:TRAP_HANDLER: 0
; COMPUTE_PGM_RSRC2:TGID_X_EN: 1
; COMPUTE_PGM_RSRC2:TGID_Y_EN: 0
; COMPUTE_PGM_RSRC2:TGID_Z_EN: 0
; COMPUTE_PGM_RSRC2:TIDIG_COMP_CNT: 0
; COMPUTE_PGM_RSRC3_GFX90A:ACCUM_OFFSET: 15
; COMPUTE_PGM_RSRC3_GFX90A:TG_SPLIT: 0
	.section	.text._ZN7rocprim17ROCPRIM_400000_NS6detail17trampoline_kernelINS0_13select_configILj256ELj13ELNS0_17block_load_methodE3ELS4_3ELS4_3ELNS0_20block_scan_algorithmE0ELj4294967295EEENS1_25partition_config_selectorILNS1_17partition_subalgoE3EjNS0_10empty_typeEbEEZZNS1_14partition_implILS8_3ELb0ES6_jNS0_17counting_iteratorIjlEEPS9_SE_NS0_5tupleIJPjSE_EEENSF_IJSE_SE_EEES9_SG_JZNS1_25segmented_radix_sort_implINS0_14default_configELb1EPKsPsPKlPlN2at6native12_GLOBAL__N_18offset_tEEE10hipError_tPvRmT1_PNSt15iterator_traitsISY_E10value_typeET2_T3_PNSZ_IS14_E10value_typeET4_jRbjT5_S1A_jjP12ihipStream_tbEUljE_EEESV_SW_SX_S14_S18_S1A_T6_T7_T9_mT8_S1C_bDpT10_ENKUlT_T0_E_clISt17integral_constantIbLb0EES1P_EEDaS1K_S1L_EUlS1K_E_NS1_11comp_targetILNS1_3genE3ELNS1_11target_archE908ELNS1_3gpuE7ELNS1_3repE0EEENS1_30default_config_static_selectorELNS0_4arch9wavefront6targetE1EEEvSY_,"axG",@progbits,_ZN7rocprim17ROCPRIM_400000_NS6detail17trampoline_kernelINS0_13select_configILj256ELj13ELNS0_17block_load_methodE3ELS4_3ELS4_3ELNS0_20block_scan_algorithmE0ELj4294967295EEENS1_25partition_config_selectorILNS1_17partition_subalgoE3EjNS0_10empty_typeEbEEZZNS1_14partition_implILS8_3ELb0ES6_jNS0_17counting_iteratorIjlEEPS9_SE_NS0_5tupleIJPjSE_EEENSF_IJSE_SE_EEES9_SG_JZNS1_25segmented_radix_sort_implINS0_14default_configELb1EPKsPsPKlPlN2at6native12_GLOBAL__N_18offset_tEEE10hipError_tPvRmT1_PNSt15iterator_traitsISY_E10value_typeET2_T3_PNSZ_IS14_E10value_typeET4_jRbjT5_S1A_jjP12ihipStream_tbEUljE_EEESV_SW_SX_S14_S18_S1A_T6_T7_T9_mT8_S1C_bDpT10_ENKUlT_T0_E_clISt17integral_constantIbLb0EES1P_EEDaS1K_S1L_EUlS1K_E_NS1_11comp_targetILNS1_3genE3ELNS1_11target_archE908ELNS1_3gpuE7ELNS1_3repE0EEENS1_30default_config_static_selectorELNS0_4arch9wavefront6targetE1EEEvSY_,comdat
	.globl	_ZN7rocprim17ROCPRIM_400000_NS6detail17trampoline_kernelINS0_13select_configILj256ELj13ELNS0_17block_load_methodE3ELS4_3ELS4_3ELNS0_20block_scan_algorithmE0ELj4294967295EEENS1_25partition_config_selectorILNS1_17partition_subalgoE3EjNS0_10empty_typeEbEEZZNS1_14partition_implILS8_3ELb0ES6_jNS0_17counting_iteratorIjlEEPS9_SE_NS0_5tupleIJPjSE_EEENSF_IJSE_SE_EEES9_SG_JZNS1_25segmented_radix_sort_implINS0_14default_configELb1EPKsPsPKlPlN2at6native12_GLOBAL__N_18offset_tEEE10hipError_tPvRmT1_PNSt15iterator_traitsISY_E10value_typeET2_T3_PNSZ_IS14_E10value_typeET4_jRbjT5_S1A_jjP12ihipStream_tbEUljE_EEESV_SW_SX_S14_S18_S1A_T6_T7_T9_mT8_S1C_bDpT10_ENKUlT_T0_E_clISt17integral_constantIbLb0EES1P_EEDaS1K_S1L_EUlS1K_E_NS1_11comp_targetILNS1_3genE3ELNS1_11target_archE908ELNS1_3gpuE7ELNS1_3repE0EEENS1_30default_config_static_selectorELNS0_4arch9wavefront6targetE1EEEvSY_ ; -- Begin function _ZN7rocprim17ROCPRIM_400000_NS6detail17trampoline_kernelINS0_13select_configILj256ELj13ELNS0_17block_load_methodE3ELS4_3ELS4_3ELNS0_20block_scan_algorithmE0ELj4294967295EEENS1_25partition_config_selectorILNS1_17partition_subalgoE3EjNS0_10empty_typeEbEEZZNS1_14partition_implILS8_3ELb0ES6_jNS0_17counting_iteratorIjlEEPS9_SE_NS0_5tupleIJPjSE_EEENSF_IJSE_SE_EEES9_SG_JZNS1_25segmented_radix_sort_implINS0_14default_configELb1EPKsPsPKlPlN2at6native12_GLOBAL__N_18offset_tEEE10hipError_tPvRmT1_PNSt15iterator_traitsISY_E10value_typeET2_T3_PNSZ_IS14_E10value_typeET4_jRbjT5_S1A_jjP12ihipStream_tbEUljE_EEESV_SW_SX_S14_S18_S1A_T6_T7_T9_mT8_S1C_bDpT10_ENKUlT_T0_E_clISt17integral_constantIbLb0EES1P_EEDaS1K_S1L_EUlS1K_E_NS1_11comp_targetILNS1_3genE3ELNS1_11target_archE908ELNS1_3gpuE7ELNS1_3repE0EEENS1_30default_config_static_selectorELNS0_4arch9wavefront6targetE1EEEvSY_
	.p2align	8
	.type	_ZN7rocprim17ROCPRIM_400000_NS6detail17trampoline_kernelINS0_13select_configILj256ELj13ELNS0_17block_load_methodE3ELS4_3ELS4_3ELNS0_20block_scan_algorithmE0ELj4294967295EEENS1_25partition_config_selectorILNS1_17partition_subalgoE3EjNS0_10empty_typeEbEEZZNS1_14partition_implILS8_3ELb0ES6_jNS0_17counting_iteratorIjlEEPS9_SE_NS0_5tupleIJPjSE_EEENSF_IJSE_SE_EEES9_SG_JZNS1_25segmented_radix_sort_implINS0_14default_configELb1EPKsPsPKlPlN2at6native12_GLOBAL__N_18offset_tEEE10hipError_tPvRmT1_PNSt15iterator_traitsISY_E10value_typeET2_T3_PNSZ_IS14_E10value_typeET4_jRbjT5_S1A_jjP12ihipStream_tbEUljE_EEESV_SW_SX_S14_S18_S1A_T6_T7_T9_mT8_S1C_bDpT10_ENKUlT_T0_E_clISt17integral_constantIbLb0EES1P_EEDaS1K_S1L_EUlS1K_E_NS1_11comp_targetILNS1_3genE3ELNS1_11target_archE908ELNS1_3gpuE7ELNS1_3repE0EEENS1_30default_config_static_selectorELNS0_4arch9wavefront6targetE1EEEvSY_,@function
_ZN7rocprim17ROCPRIM_400000_NS6detail17trampoline_kernelINS0_13select_configILj256ELj13ELNS0_17block_load_methodE3ELS4_3ELS4_3ELNS0_20block_scan_algorithmE0ELj4294967295EEENS1_25partition_config_selectorILNS1_17partition_subalgoE3EjNS0_10empty_typeEbEEZZNS1_14partition_implILS8_3ELb0ES6_jNS0_17counting_iteratorIjlEEPS9_SE_NS0_5tupleIJPjSE_EEENSF_IJSE_SE_EEES9_SG_JZNS1_25segmented_radix_sort_implINS0_14default_configELb1EPKsPsPKlPlN2at6native12_GLOBAL__N_18offset_tEEE10hipError_tPvRmT1_PNSt15iterator_traitsISY_E10value_typeET2_T3_PNSZ_IS14_E10value_typeET4_jRbjT5_S1A_jjP12ihipStream_tbEUljE_EEESV_SW_SX_S14_S18_S1A_T6_T7_T9_mT8_S1C_bDpT10_ENKUlT_T0_E_clISt17integral_constantIbLb0EES1P_EEDaS1K_S1L_EUlS1K_E_NS1_11comp_targetILNS1_3genE3ELNS1_11target_archE908ELNS1_3gpuE7ELNS1_3repE0EEENS1_30default_config_static_selectorELNS0_4arch9wavefront6targetE1EEEvSY_: ; @_ZN7rocprim17ROCPRIM_400000_NS6detail17trampoline_kernelINS0_13select_configILj256ELj13ELNS0_17block_load_methodE3ELS4_3ELS4_3ELNS0_20block_scan_algorithmE0ELj4294967295EEENS1_25partition_config_selectorILNS1_17partition_subalgoE3EjNS0_10empty_typeEbEEZZNS1_14partition_implILS8_3ELb0ES6_jNS0_17counting_iteratorIjlEEPS9_SE_NS0_5tupleIJPjSE_EEENSF_IJSE_SE_EEES9_SG_JZNS1_25segmented_radix_sort_implINS0_14default_configELb1EPKsPsPKlPlN2at6native12_GLOBAL__N_18offset_tEEE10hipError_tPvRmT1_PNSt15iterator_traitsISY_E10value_typeET2_T3_PNSZ_IS14_E10value_typeET4_jRbjT5_S1A_jjP12ihipStream_tbEUljE_EEESV_SW_SX_S14_S18_S1A_T6_T7_T9_mT8_S1C_bDpT10_ENKUlT_T0_E_clISt17integral_constantIbLb0EES1P_EEDaS1K_S1L_EUlS1K_E_NS1_11comp_targetILNS1_3genE3ELNS1_11target_archE908ELNS1_3gpuE7ELNS1_3repE0EEENS1_30default_config_static_selectorELNS0_4arch9wavefront6targetE1EEEvSY_
; %bb.0:
	.section	.rodata,"a",@progbits
	.p2align	6, 0x0
	.amdhsa_kernel _ZN7rocprim17ROCPRIM_400000_NS6detail17trampoline_kernelINS0_13select_configILj256ELj13ELNS0_17block_load_methodE3ELS4_3ELS4_3ELNS0_20block_scan_algorithmE0ELj4294967295EEENS1_25partition_config_selectorILNS1_17partition_subalgoE3EjNS0_10empty_typeEbEEZZNS1_14partition_implILS8_3ELb0ES6_jNS0_17counting_iteratorIjlEEPS9_SE_NS0_5tupleIJPjSE_EEENSF_IJSE_SE_EEES9_SG_JZNS1_25segmented_radix_sort_implINS0_14default_configELb1EPKsPsPKlPlN2at6native12_GLOBAL__N_18offset_tEEE10hipError_tPvRmT1_PNSt15iterator_traitsISY_E10value_typeET2_T3_PNSZ_IS14_E10value_typeET4_jRbjT5_S1A_jjP12ihipStream_tbEUljE_EEESV_SW_SX_S14_S18_S1A_T6_T7_T9_mT8_S1C_bDpT10_ENKUlT_T0_E_clISt17integral_constantIbLb0EES1P_EEDaS1K_S1L_EUlS1K_E_NS1_11comp_targetILNS1_3genE3ELNS1_11target_archE908ELNS1_3gpuE7ELNS1_3repE0EEENS1_30default_config_static_selectorELNS0_4arch9wavefront6targetE1EEEvSY_
		.amdhsa_group_segment_fixed_size 0
		.amdhsa_private_segment_fixed_size 0
		.amdhsa_kernarg_size 144
		.amdhsa_user_sgpr_count 6
		.amdhsa_user_sgpr_private_segment_buffer 1
		.amdhsa_user_sgpr_dispatch_ptr 0
		.amdhsa_user_sgpr_queue_ptr 0
		.amdhsa_user_sgpr_kernarg_segment_ptr 1
		.amdhsa_user_sgpr_dispatch_id 0
		.amdhsa_user_sgpr_flat_scratch_init 0
		.amdhsa_user_sgpr_kernarg_preload_length 0
		.amdhsa_user_sgpr_kernarg_preload_offset 0
		.amdhsa_user_sgpr_private_segment_size 0
		.amdhsa_uses_dynamic_stack 0
		.amdhsa_system_sgpr_private_segment_wavefront_offset 0
		.amdhsa_system_sgpr_workgroup_id_x 1
		.amdhsa_system_sgpr_workgroup_id_y 0
		.amdhsa_system_sgpr_workgroup_id_z 0
		.amdhsa_system_sgpr_workgroup_info 0
		.amdhsa_system_vgpr_workitem_id 0
		.amdhsa_next_free_vgpr 1
		.amdhsa_next_free_sgpr 0
		.amdhsa_accum_offset 4
		.amdhsa_reserve_vcc 0
		.amdhsa_reserve_flat_scratch 0
		.amdhsa_float_round_mode_32 0
		.amdhsa_float_round_mode_16_64 0
		.amdhsa_float_denorm_mode_32 3
		.amdhsa_float_denorm_mode_16_64 3
		.amdhsa_dx10_clamp 1
		.amdhsa_ieee_mode 1
		.amdhsa_fp16_overflow 0
		.amdhsa_tg_split 0
		.amdhsa_exception_fp_ieee_invalid_op 0
		.amdhsa_exception_fp_denorm_src 0
		.amdhsa_exception_fp_ieee_div_zero 0
		.amdhsa_exception_fp_ieee_overflow 0
		.amdhsa_exception_fp_ieee_underflow 0
		.amdhsa_exception_fp_ieee_inexact 0
		.amdhsa_exception_int_div_zero 0
	.end_amdhsa_kernel
	.section	.text._ZN7rocprim17ROCPRIM_400000_NS6detail17trampoline_kernelINS0_13select_configILj256ELj13ELNS0_17block_load_methodE3ELS4_3ELS4_3ELNS0_20block_scan_algorithmE0ELj4294967295EEENS1_25partition_config_selectorILNS1_17partition_subalgoE3EjNS0_10empty_typeEbEEZZNS1_14partition_implILS8_3ELb0ES6_jNS0_17counting_iteratorIjlEEPS9_SE_NS0_5tupleIJPjSE_EEENSF_IJSE_SE_EEES9_SG_JZNS1_25segmented_radix_sort_implINS0_14default_configELb1EPKsPsPKlPlN2at6native12_GLOBAL__N_18offset_tEEE10hipError_tPvRmT1_PNSt15iterator_traitsISY_E10value_typeET2_T3_PNSZ_IS14_E10value_typeET4_jRbjT5_S1A_jjP12ihipStream_tbEUljE_EEESV_SW_SX_S14_S18_S1A_T6_T7_T9_mT8_S1C_bDpT10_ENKUlT_T0_E_clISt17integral_constantIbLb0EES1P_EEDaS1K_S1L_EUlS1K_E_NS1_11comp_targetILNS1_3genE3ELNS1_11target_archE908ELNS1_3gpuE7ELNS1_3repE0EEENS1_30default_config_static_selectorELNS0_4arch9wavefront6targetE1EEEvSY_,"axG",@progbits,_ZN7rocprim17ROCPRIM_400000_NS6detail17trampoline_kernelINS0_13select_configILj256ELj13ELNS0_17block_load_methodE3ELS4_3ELS4_3ELNS0_20block_scan_algorithmE0ELj4294967295EEENS1_25partition_config_selectorILNS1_17partition_subalgoE3EjNS0_10empty_typeEbEEZZNS1_14partition_implILS8_3ELb0ES6_jNS0_17counting_iteratorIjlEEPS9_SE_NS0_5tupleIJPjSE_EEENSF_IJSE_SE_EEES9_SG_JZNS1_25segmented_radix_sort_implINS0_14default_configELb1EPKsPsPKlPlN2at6native12_GLOBAL__N_18offset_tEEE10hipError_tPvRmT1_PNSt15iterator_traitsISY_E10value_typeET2_T3_PNSZ_IS14_E10value_typeET4_jRbjT5_S1A_jjP12ihipStream_tbEUljE_EEESV_SW_SX_S14_S18_S1A_T6_T7_T9_mT8_S1C_bDpT10_ENKUlT_T0_E_clISt17integral_constantIbLb0EES1P_EEDaS1K_S1L_EUlS1K_E_NS1_11comp_targetILNS1_3genE3ELNS1_11target_archE908ELNS1_3gpuE7ELNS1_3repE0EEENS1_30default_config_static_selectorELNS0_4arch9wavefront6targetE1EEEvSY_,comdat
.Lfunc_end882:
	.size	_ZN7rocprim17ROCPRIM_400000_NS6detail17trampoline_kernelINS0_13select_configILj256ELj13ELNS0_17block_load_methodE3ELS4_3ELS4_3ELNS0_20block_scan_algorithmE0ELj4294967295EEENS1_25partition_config_selectorILNS1_17partition_subalgoE3EjNS0_10empty_typeEbEEZZNS1_14partition_implILS8_3ELb0ES6_jNS0_17counting_iteratorIjlEEPS9_SE_NS0_5tupleIJPjSE_EEENSF_IJSE_SE_EEES9_SG_JZNS1_25segmented_radix_sort_implINS0_14default_configELb1EPKsPsPKlPlN2at6native12_GLOBAL__N_18offset_tEEE10hipError_tPvRmT1_PNSt15iterator_traitsISY_E10value_typeET2_T3_PNSZ_IS14_E10value_typeET4_jRbjT5_S1A_jjP12ihipStream_tbEUljE_EEESV_SW_SX_S14_S18_S1A_T6_T7_T9_mT8_S1C_bDpT10_ENKUlT_T0_E_clISt17integral_constantIbLb0EES1P_EEDaS1K_S1L_EUlS1K_E_NS1_11comp_targetILNS1_3genE3ELNS1_11target_archE908ELNS1_3gpuE7ELNS1_3repE0EEENS1_30default_config_static_selectorELNS0_4arch9wavefront6targetE1EEEvSY_, .Lfunc_end882-_ZN7rocprim17ROCPRIM_400000_NS6detail17trampoline_kernelINS0_13select_configILj256ELj13ELNS0_17block_load_methodE3ELS4_3ELS4_3ELNS0_20block_scan_algorithmE0ELj4294967295EEENS1_25partition_config_selectorILNS1_17partition_subalgoE3EjNS0_10empty_typeEbEEZZNS1_14partition_implILS8_3ELb0ES6_jNS0_17counting_iteratorIjlEEPS9_SE_NS0_5tupleIJPjSE_EEENSF_IJSE_SE_EEES9_SG_JZNS1_25segmented_radix_sort_implINS0_14default_configELb1EPKsPsPKlPlN2at6native12_GLOBAL__N_18offset_tEEE10hipError_tPvRmT1_PNSt15iterator_traitsISY_E10value_typeET2_T3_PNSZ_IS14_E10value_typeET4_jRbjT5_S1A_jjP12ihipStream_tbEUljE_EEESV_SW_SX_S14_S18_S1A_T6_T7_T9_mT8_S1C_bDpT10_ENKUlT_T0_E_clISt17integral_constantIbLb0EES1P_EEDaS1K_S1L_EUlS1K_E_NS1_11comp_targetILNS1_3genE3ELNS1_11target_archE908ELNS1_3gpuE7ELNS1_3repE0EEENS1_30default_config_static_selectorELNS0_4arch9wavefront6targetE1EEEvSY_
                                        ; -- End function
	.section	.AMDGPU.csdata,"",@progbits
; Kernel info:
; codeLenInByte = 0
; NumSgprs: 4
; NumVgprs: 0
; NumAgprs: 0
; TotalNumVgprs: 0
; ScratchSize: 0
; MemoryBound: 0
; FloatMode: 240
; IeeeMode: 1
; LDSByteSize: 0 bytes/workgroup (compile time only)
; SGPRBlocks: 0
; VGPRBlocks: 0
; NumSGPRsForWavesPerEU: 4
; NumVGPRsForWavesPerEU: 1
; AccumOffset: 4
; Occupancy: 8
; WaveLimiterHint : 0
; COMPUTE_PGM_RSRC2:SCRATCH_EN: 0
; COMPUTE_PGM_RSRC2:USER_SGPR: 6
; COMPUTE_PGM_RSRC2:TRAP_HANDLER: 0
; COMPUTE_PGM_RSRC2:TGID_X_EN: 1
; COMPUTE_PGM_RSRC2:TGID_Y_EN: 0
; COMPUTE_PGM_RSRC2:TGID_Z_EN: 0
; COMPUTE_PGM_RSRC2:TIDIG_COMP_CNT: 0
; COMPUTE_PGM_RSRC3_GFX90A:ACCUM_OFFSET: 0
; COMPUTE_PGM_RSRC3_GFX90A:TG_SPLIT: 0
	.section	.text._ZN7rocprim17ROCPRIM_400000_NS6detail17trampoline_kernelINS0_13select_configILj256ELj13ELNS0_17block_load_methodE3ELS4_3ELS4_3ELNS0_20block_scan_algorithmE0ELj4294967295EEENS1_25partition_config_selectorILNS1_17partition_subalgoE3EjNS0_10empty_typeEbEEZZNS1_14partition_implILS8_3ELb0ES6_jNS0_17counting_iteratorIjlEEPS9_SE_NS0_5tupleIJPjSE_EEENSF_IJSE_SE_EEES9_SG_JZNS1_25segmented_radix_sort_implINS0_14default_configELb1EPKsPsPKlPlN2at6native12_GLOBAL__N_18offset_tEEE10hipError_tPvRmT1_PNSt15iterator_traitsISY_E10value_typeET2_T3_PNSZ_IS14_E10value_typeET4_jRbjT5_S1A_jjP12ihipStream_tbEUljE_EEESV_SW_SX_S14_S18_S1A_T6_T7_T9_mT8_S1C_bDpT10_ENKUlT_T0_E_clISt17integral_constantIbLb0EES1P_EEDaS1K_S1L_EUlS1K_E_NS1_11comp_targetILNS1_3genE2ELNS1_11target_archE906ELNS1_3gpuE6ELNS1_3repE0EEENS1_30default_config_static_selectorELNS0_4arch9wavefront6targetE1EEEvSY_,"axG",@progbits,_ZN7rocprim17ROCPRIM_400000_NS6detail17trampoline_kernelINS0_13select_configILj256ELj13ELNS0_17block_load_methodE3ELS4_3ELS4_3ELNS0_20block_scan_algorithmE0ELj4294967295EEENS1_25partition_config_selectorILNS1_17partition_subalgoE3EjNS0_10empty_typeEbEEZZNS1_14partition_implILS8_3ELb0ES6_jNS0_17counting_iteratorIjlEEPS9_SE_NS0_5tupleIJPjSE_EEENSF_IJSE_SE_EEES9_SG_JZNS1_25segmented_radix_sort_implINS0_14default_configELb1EPKsPsPKlPlN2at6native12_GLOBAL__N_18offset_tEEE10hipError_tPvRmT1_PNSt15iterator_traitsISY_E10value_typeET2_T3_PNSZ_IS14_E10value_typeET4_jRbjT5_S1A_jjP12ihipStream_tbEUljE_EEESV_SW_SX_S14_S18_S1A_T6_T7_T9_mT8_S1C_bDpT10_ENKUlT_T0_E_clISt17integral_constantIbLb0EES1P_EEDaS1K_S1L_EUlS1K_E_NS1_11comp_targetILNS1_3genE2ELNS1_11target_archE906ELNS1_3gpuE6ELNS1_3repE0EEENS1_30default_config_static_selectorELNS0_4arch9wavefront6targetE1EEEvSY_,comdat
	.globl	_ZN7rocprim17ROCPRIM_400000_NS6detail17trampoline_kernelINS0_13select_configILj256ELj13ELNS0_17block_load_methodE3ELS4_3ELS4_3ELNS0_20block_scan_algorithmE0ELj4294967295EEENS1_25partition_config_selectorILNS1_17partition_subalgoE3EjNS0_10empty_typeEbEEZZNS1_14partition_implILS8_3ELb0ES6_jNS0_17counting_iteratorIjlEEPS9_SE_NS0_5tupleIJPjSE_EEENSF_IJSE_SE_EEES9_SG_JZNS1_25segmented_radix_sort_implINS0_14default_configELb1EPKsPsPKlPlN2at6native12_GLOBAL__N_18offset_tEEE10hipError_tPvRmT1_PNSt15iterator_traitsISY_E10value_typeET2_T3_PNSZ_IS14_E10value_typeET4_jRbjT5_S1A_jjP12ihipStream_tbEUljE_EEESV_SW_SX_S14_S18_S1A_T6_T7_T9_mT8_S1C_bDpT10_ENKUlT_T0_E_clISt17integral_constantIbLb0EES1P_EEDaS1K_S1L_EUlS1K_E_NS1_11comp_targetILNS1_3genE2ELNS1_11target_archE906ELNS1_3gpuE6ELNS1_3repE0EEENS1_30default_config_static_selectorELNS0_4arch9wavefront6targetE1EEEvSY_ ; -- Begin function _ZN7rocprim17ROCPRIM_400000_NS6detail17trampoline_kernelINS0_13select_configILj256ELj13ELNS0_17block_load_methodE3ELS4_3ELS4_3ELNS0_20block_scan_algorithmE0ELj4294967295EEENS1_25partition_config_selectorILNS1_17partition_subalgoE3EjNS0_10empty_typeEbEEZZNS1_14partition_implILS8_3ELb0ES6_jNS0_17counting_iteratorIjlEEPS9_SE_NS0_5tupleIJPjSE_EEENSF_IJSE_SE_EEES9_SG_JZNS1_25segmented_radix_sort_implINS0_14default_configELb1EPKsPsPKlPlN2at6native12_GLOBAL__N_18offset_tEEE10hipError_tPvRmT1_PNSt15iterator_traitsISY_E10value_typeET2_T3_PNSZ_IS14_E10value_typeET4_jRbjT5_S1A_jjP12ihipStream_tbEUljE_EEESV_SW_SX_S14_S18_S1A_T6_T7_T9_mT8_S1C_bDpT10_ENKUlT_T0_E_clISt17integral_constantIbLb0EES1P_EEDaS1K_S1L_EUlS1K_E_NS1_11comp_targetILNS1_3genE2ELNS1_11target_archE906ELNS1_3gpuE6ELNS1_3repE0EEENS1_30default_config_static_selectorELNS0_4arch9wavefront6targetE1EEEvSY_
	.p2align	8
	.type	_ZN7rocprim17ROCPRIM_400000_NS6detail17trampoline_kernelINS0_13select_configILj256ELj13ELNS0_17block_load_methodE3ELS4_3ELS4_3ELNS0_20block_scan_algorithmE0ELj4294967295EEENS1_25partition_config_selectorILNS1_17partition_subalgoE3EjNS0_10empty_typeEbEEZZNS1_14partition_implILS8_3ELb0ES6_jNS0_17counting_iteratorIjlEEPS9_SE_NS0_5tupleIJPjSE_EEENSF_IJSE_SE_EEES9_SG_JZNS1_25segmented_radix_sort_implINS0_14default_configELb1EPKsPsPKlPlN2at6native12_GLOBAL__N_18offset_tEEE10hipError_tPvRmT1_PNSt15iterator_traitsISY_E10value_typeET2_T3_PNSZ_IS14_E10value_typeET4_jRbjT5_S1A_jjP12ihipStream_tbEUljE_EEESV_SW_SX_S14_S18_S1A_T6_T7_T9_mT8_S1C_bDpT10_ENKUlT_T0_E_clISt17integral_constantIbLb0EES1P_EEDaS1K_S1L_EUlS1K_E_NS1_11comp_targetILNS1_3genE2ELNS1_11target_archE906ELNS1_3gpuE6ELNS1_3repE0EEENS1_30default_config_static_selectorELNS0_4arch9wavefront6targetE1EEEvSY_,@function
_ZN7rocprim17ROCPRIM_400000_NS6detail17trampoline_kernelINS0_13select_configILj256ELj13ELNS0_17block_load_methodE3ELS4_3ELS4_3ELNS0_20block_scan_algorithmE0ELj4294967295EEENS1_25partition_config_selectorILNS1_17partition_subalgoE3EjNS0_10empty_typeEbEEZZNS1_14partition_implILS8_3ELb0ES6_jNS0_17counting_iteratorIjlEEPS9_SE_NS0_5tupleIJPjSE_EEENSF_IJSE_SE_EEES9_SG_JZNS1_25segmented_radix_sort_implINS0_14default_configELb1EPKsPsPKlPlN2at6native12_GLOBAL__N_18offset_tEEE10hipError_tPvRmT1_PNSt15iterator_traitsISY_E10value_typeET2_T3_PNSZ_IS14_E10value_typeET4_jRbjT5_S1A_jjP12ihipStream_tbEUljE_EEESV_SW_SX_S14_S18_S1A_T6_T7_T9_mT8_S1C_bDpT10_ENKUlT_T0_E_clISt17integral_constantIbLb0EES1P_EEDaS1K_S1L_EUlS1K_E_NS1_11comp_targetILNS1_3genE2ELNS1_11target_archE906ELNS1_3gpuE6ELNS1_3repE0EEENS1_30default_config_static_selectorELNS0_4arch9wavefront6targetE1EEEvSY_: ; @_ZN7rocprim17ROCPRIM_400000_NS6detail17trampoline_kernelINS0_13select_configILj256ELj13ELNS0_17block_load_methodE3ELS4_3ELS4_3ELNS0_20block_scan_algorithmE0ELj4294967295EEENS1_25partition_config_selectorILNS1_17partition_subalgoE3EjNS0_10empty_typeEbEEZZNS1_14partition_implILS8_3ELb0ES6_jNS0_17counting_iteratorIjlEEPS9_SE_NS0_5tupleIJPjSE_EEENSF_IJSE_SE_EEES9_SG_JZNS1_25segmented_radix_sort_implINS0_14default_configELb1EPKsPsPKlPlN2at6native12_GLOBAL__N_18offset_tEEE10hipError_tPvRmT1_PNSt15iterator_traitsISY_E10value_typeET2_T3_PNSZ_IS14_E10value_typeET4_jRbjT5_S1A_jjP12ihipStream_tbEUljE_EEESV_SW_SX_S14_S18_S1A_T6_T7_T9_mT8_S1C_bDpT10_ENKUlT_T0_E_clISt17integral_constantIbLb0EES1P_EEDaS1K_S1L_EUlS1K_E_NS1_11comp_targetILNS1_3genE2ELNS1_11target_archE906ELNS1_3gpuE6ELNS1_3repE0EEENS1_30default_config_static_selectorELNS0_4arch9wavefront6targetE1EEEvSY_
; %bb.0:
	.section	.rodata,"a",@progbits
	.p2align	6, 0x0
	.amdhsa_kernel _ZN7rocprim17ROCPRIM_400000_NS6detail17trampoline_kernelINS0_13select_configILj256ELj13ELNS0_17block_load_methodE3ELS4_3ELS4_3ELNS0_20block_scan_algorithmE0ELj4294967295EEENS1_25partition_config_selectorILNS1_17partition_subalgoE3EjNS0_10empty_typeEbEEZZNS1_14partition_implILS8_3ELb0ES6_jNS0_17counting_iteratorIjlEEPS9_SE_NS0_5tupleIJPjSE_EEENSF_IJSE_SE_EEES9_SG_JZNS1_25segmented_radix_sort_implINS0_14default_configELb1EPKsPsPKlPlN2at6native12_GLOBAL__N_18offset_tEEE10hipError_tPvRmT1_PNSt15iterator_traitsISY_E10value_typeET2_T3_PNSZ_IS14_E10value_typeET4_jRbjT5_S1A_jjP12ihipStream_tbEUljE_EEESV_SW_SX_S14_S18_S1A_T6_T7_T9_mT8_S1C_bDpT10_ENKUlT_T0_E_clISt17integral_constantIbLb0EES1P_EEDaS1K_S1L_EUlS1K_E_NS1_11comp_targetILNS1_3genE2ELNS1_11target_archE906ELNS1_3gpuE6ELNS1_3repE0EEENS1_30default_config_static_selectorELNS0_4arch9wavefront6targetE1EEEvSY_
		.amdhsa_group_segment_fixed_size 0
		.amdhsa_private_segment_fixed_size 0
		.amdhsa_kernarg_size 144
		.amdhsa_user_sgpr_count 6
		.amdhsa_user_sgpr_private_segment_buffer 1
		.amdhsa_user_sgpr_dispatch_ptr 0
		.amdhsa_user_sgpr_queue_ptr 0
		.amdhsa_user_sgpr_kernarg_segment_ptr 1
		.amdhsa_user_sgpr_dispatch_id 0
		.amdhsa_user_sgpr_flat_scratch_init 0
		.amdhsa_user_sgpr_kernarg_preload_length 0
		.amdhsa_user_sgpr_kernarg_preload_offset 0
		.amdhsa_user_sgpr_private_segment_size 0
		.amdhsa_uses_dynamic_stack 0
		.amdhsa_system_sgpr_private_segment_wavefront_offset 0
		.amdhsa_system_sgpr_workgroup_id_x 1
		.amdhsa_system_sgpr_workgroup_id_y 0
		.amdhsa_system_sgpr_workgroup_id_z 0
		.amdhsa_system_sgpr_workgroup_info 0
		.amdhsa_system_vgpr_workitem_id 0
		.amdhsa_next_free_vgpr 1
		.amdhsa_next_free_sgpr 0
		.amdhsa_accum_offset 4
		.amdhsa_reserve_vcc 0
		.amdhsa_reserve_flat_scratch 0
		.amdhsa_float_round_mode_32 0
		.amdhsa_float_round_mode_16_64 0
		.amdhsa_float_denorm_mode_32 3
		.amdhsa_float_denorm_mode_16_64 3
		.amdhsa_dx10_clamp 1
		.amdhsa_ieee_mode 1
		.amdhsa_fp16_overflow 0
		.amdhsa_tg_split 0
		.amdhsa_exception_fp_ieee_invalid_op 0
		.amdhsa_exception_fp_denorm_src 0
		.amdhsa_exception_fp_ieee_div_zero 0
		.amdhsa_exception_fp_ieee_overflow 0
		.amdhsa_exception_fp_ieee_underflow 0
		.amdhsa_exception_fp_ieee_inexact 0
		.amdhsa_exception_int_div_zero 0
	.end_amdhsa_kernel
	.section	.text._ZN7rocprim17ROCPRIM_400000_NS6detail17trampoline_kernelINS0_13select_configILj256ELj13ELNS0_17block_load_methodE3ELS4_3ELS4_3ELNS0_20block_scan_algorithmE0ELj4294967295EEENS1_25partition_config_selectorILNS1_17partition_subalgoE3EjNS0_10empty_typeEbEEZZNS1_14partition_implILS8_3ELb0ES6_jNS0_17counting_iteratorIjlEEPS9_SE_NS0_5tupleIJPjSE_EEENSF_IJSE_SE_EEES9_SG_JZNS1_25segmented_radix_sort_implINS0_14default_configELb1EPKsPsPKlPlN2at6native12_GLOBAL__N_18offset_tEEE10hipError_tPvRmT1_PNSt15iterator_traitsISY_E10value_typeET2_T3_PNSZ_IS14_E10value_typeET4_jRbjT5_S1A_jjP12ihipStream_tbEUljE_EEESV_SW_SX_S14_S18_S1A_T6_T7_T9_mT8_S1C_bDpT10_ENKUlT_T0_E_clISt17integral_constantIbLb0EES1P_EEDaS1K_S1L_EUlS1K_E_NS1_11comp_targetILNS1_3genE2ELNS1_11target_archE906ELNS1_3gpuE6ELNS1_3repE0EEENS1_30default_config_static_selectorELNS0_4arch9wavefront6targetE1EEEvSY_,"axG",@progbits,_ZN7rocprim17ROCPRIM_400000_NS6detail17trampoline_kernelINS0_13select_configILj256ELj13ELNS0_17block_load_methodE3ELS4_3ELS4_3ELNS0_20block_scan_algorithmE0ELj4294967295EEENS1_25partition_config_selectorILNS1_17partition_subalgoE3EjNS0_10empty_typeEbEEZZNS1_14partition_implILS8_3ELb0ES6_jNS0_17counting_iteratorIjlEEPS9_SE_NS0_5tupleIJPjSE_EEENSF_IJSE_SE_EEES9_SG_JZNS1_25segmented_radix_sort_implINS0_14default_configELb1EPKsPsPKlPlN2at6native12_GLOBAL__N_18offset_tEEE10hipError_tPvRmT1_PNSt15iterator_traitsISY_E10value_typeET2_T3_PNSZ_IS14_E10value_typeET4_jRbjT5_S1A_jjP12ihipStream_tbEUljE_EEESV_SW_SX_S14_S18_S1A_T6_T7_T9_mT8_S1C_bDpT10_ENKUlT_T0_E_clISt17integral_constantIbLb0EES1P_EEDaS1K_S1L_EUlS1K_E_NS1_11comp_targetILNS1_3genE2ELNS1_11target_archE906ELNS1_3gpuE6ELNS1_3repE0EEENS1_30default_config_static_selectorELNS0_4arch9wavefront6targetE1EEEvSY_,comdat
.Lfunc_end883:
	.size	_ZN7rocprim17ROCPRIM_400000_NS6detail17trampoline_kernelINS0_13select_configILj256ELj13ELNS0_17block_load_methodE3ELS4_3ELS4_3ELNS0_20block_scan_algorithmE0ELj4294967295EEENS1_25partition_config_selectorILNS1_17partition_subalgoE3EjNS0_10empty_typeEbEEZZNS1_14partition_implILS8_3ELb0ES6_jNS0_17counting_iteratorIjlEEPS9_SE_NS0_5tupleIJPjSE_EEENSF_IJSE_SE_EEES9_SG_JZNS1_25segmented_radix_sort_implINS0_14default_configELb1EPKsPsPKlPlN2at6native12_GLOBAL__N_18offset_tEEE10hipError_tPvRmT1_PNSt15iterator_traitsISY_E10value_typeET2_T3_PNSZ_IS14_E10value_typeET4_jRbjT5_S1A_jjP12ihipStream_tbEUljE_EEESV_SW_SX_S14_S18_S1A_T6_T7_T9_mT8_S1C_bDpT10_ENKUlT_T0_E_clISt17integral_constantIbLb0EES1P_EEDaS1K_S1L_EUlS1K_E_NS1_11comp_targetILNS1_3genE2ELNS1_11target_archE906ELNS1_3gpuE6ELNS1_3repE0EEENS1_30default_config_static_selectorELNS0_4arch9wavefront6targetE1EEEvSY_, .Lfunc_end883-_ZN7rocprim17ROCPRIM_400000_NS6detail17trampoline_kernelINS0_13select_configILj256ELj13ELNS0_17block_load_methodE3ELS4_3ELS4_3ELNS0_20block_scan_algorithmE0ELj4294967295EEENS1_25partition_config_selectorILNS1_17partition_subalgoE3EjNS0_10empty_typeEbEEZZNS1_14partition_implILS8_3ELb0ES6_jNS0_17counting_iteratorIjlEEPS9_SE_NS0_5tupleIJPjSE_EEENSF_IJSE_SE_EEES9_SG_JZNS1_25segmented_radix_sort_implINS0_14default_configELb1EPKsPsPKlPlN2at6native12_GLOBAL__N_18offset_tEEE10hipError_tPvRmT1_PNSt15iterator_traitsISY_E10value_typeET2_T3_PNSZ_IS14_E10value_typeET4_jRbjT5_S1A_jjP12ihipStream_tbEUljE_EEESV_SW_SX_S14_S18_S1A_T6_T7_T9_mT8_S1C_bDpT10_ENKUlT_T0_E_clISt17integral_constantIbLb0EES1P_EEDaS1K_S1L_EUlS1K_E_NS1_11comp_targetILNS1_3genE2ELNS1_11target_archE906ELNS1_3gpuE6ELNS1_3repE0EEENS1_30default_config_static_selectorELNS0_4arch9wavefront6targetE1EEEvSY_
                                        ; -- End function
	.section	.AMDGPU.csdata,"",@progbits
; Kernel info:
; codeLenInByte = 0
; NumSgprs: 4
; NumVgprs: 0
; NumAgprs: 0
; TotalNumVgprs: 0
; ScratchSize: 0
; MemoryBound: 0
; FloatMode: 240
; IeeeMode: 1
; LDSByteSize: 0 bytes/workgroup (compile time only)
; SGPRBlocks: 0
; VGPRBlocks: 0
; NumSGPRsForWavesPerEU: 4
; NumVGPRsForWavesPerEU: 1
; AccumOffset: 4
; Occupancy: 8
; WaveLimiterHint : 0
; COMPUTE_PGM_RSRC2:SCRATCH_EN: 0
; COMPUTE_PGM_RSRC2:USER_SGPR: 6
; COMPUTE_PGM_RSRC2:TRAP_HANDLER: 0
; COMPUTE_PGM_RSRC2:TGID_X_EN: 1
; COMPUTE_PGM_RSRC2:TGID_Y_EN: 0
; COMPUTE_PGM_RSRC2:TGID_Z_EN: 0
; COMPUTE_PGM_RSRC2:TIDIG_COMP_CNT: 0
; COMPUTE_PGM_RSRC3_GFX90A:ACCUM_OFFSET: 0
; COMPUTE_PGM_RSRC3_GFX90A:TG_SPLIT: 0
	.section	.text._ZN7rocprim17ROCPRIM_400000_NS6detail17trampoline_kernelINS0_13select_configILj256ELj13ELNS0_17block_load_methodE3ELS4_3ELS4_3ELNS0_20block_scan_algorithmE0ELj4294967295EEENS1_25partition_config_selectorILNS1_17partition_subalgoE3EjNS0_10empty_typeEbEEZZNS1_14partition_implILS8_3ELb0ES6_jNS0_17counting_iteratorIjlEEPS9_SE_NS0_5tupleIJPjSE_EEENSF_IJSE_SE_EEES9_SG_JZNS1_25segmented_radix_sort_implINS0_14default_configELb1EPKsPsPKlPlN2at6native12_GLOBAL__N_18offset_tEEE10hipError_tPvRmT1_PNSt15iterator_traitsISY_E10value_typeET2_T3_PNSZ_IS14_E10value_typeET4_jRbjT5_S1A_jjP12ihipStream_tbEUljE_EEESV_SW_SX_S14_S18_S1A_T6_T7_T9_mT8_S1C_bDpT10_ENKUlT_T0_E_clISt17integral_constantIbLb0EES1P_EEDaS1K_S1L_EUlS1K_E_NS1_11comp_targetILNS1_3genE10ELNS1_11target_archE1200ELNS1_3gpuE4ELNS1_3repE0EEENS1_30default_config_static_selectorELNS0_4arch9wavefront6targetE1EEEvSY_,"axG",@progbits,_ZN7rocprim17ROCPRIM_400000_NS6detail17trampoline_kernelINS0_13select_configILj256ELj13ELNS0_17block_load_methodE3ELS4_3ELS4_3ELNS0_20block_scan_algorithmE0ELj4294967295EEENS1_25partition_config_selectorILNS1_17partition_subalgoE3EjNS0_10empty_typeEbEEZZNS1_14partition_implILS8_3ELb0ES6_jNS0_17counting_iteratorIjlEEPS9_SE_NS0_5tupleIJPjSE_EEENSF_IJSE_SE_EEES9_SG_JZNS1_25segmented_radix_sort_implINS0_14default_configELb1EPKsPsPKlPlN2at6native12_GLOBAL__N_18offset_tEEE10hipError_tPvRmT1_PNSt15iterator_traitsISY_E10value_typeET2_T3_PNSZ_IS14_E10value_typeET4_jRbjT5_S1A_jjP12ihipStream_tbEUljE_EEESV_SW_SX_S14_S18_S1A_T6_T7_T9_mT8_S1C_bDpT10_ENKUlT_T0_E_clISt17integral_constantIbLb0EES1P_EEDaS1K_S1L_EUlS1K_E_NS1_11comp_targetILNS1_3genE10ELNS1_11target_archE1200ELNS1_3gpuE4ELNS1_3repE0EEENS1_30default_config_static_selectorELNS0_4arch9wavefront6targetE1EEEvSY_,comdat
	.globl	_ZN7rocprim17ROCPRIM_400000_NS6detail17trampoline_kernelINS0_13select_configILj256ELj13ELNS0_17block_load_methodE3ELS4_3ELS4_3ELNS0_20block_scan_algorithmE0ELj4294967295EEENS1_25partition_config_selectorILNS1_17partition_subalgoE3EjNS0_10empty_typeEbEEZZNS1_14partition_implILS8_3ELb0ES6_jNS0_17counting_iteratorIjlEEPS9_SE_NS0_5tupleIJPjSE_EEENSF_IJSE_SE_EEES9_SG_JZNS1_25segmented_radix_sort_implINS0_14default_configELb1EPKsPsPKlPlN2at6native12_GLOBAL__N_18offset_tEEE10hipError_tPvRmT1_PNSt15iterator_traitsISY_E10value_typeET2_T3_PNSZ_IS14_E10value_typeET4_jRbjT5_S1A_jjP12ihipStream_tbEUljE_EEESV_SW_SX_S14_S18_S1A_T6_T7_T9_mT8_S1C_bDpT10_ENKUlT_T0_E_clISt17integral_constantIbLb0EES1P_EEDaS1K_S1L_EUlS1K_E_NS1_11comp_targetILNS1_3genE10ELNS1_11target_archE1200ELNS1_3gpuE4ELNS1_3repE0EEENS1_30default_config_static_selectorELNS0_4arch9wavefront6targetE1EEEvSY_ ; -- Begin function _ZN7rocprim17ROCPRIM_400000_NS6detail17trampoline_kernelINS0_13select_configILj256ELj13ELNS0_17block_load_methodE3ELS4_3ELS4_3ELNS0_20block_scan_algorithmE0ELj4294967295EEENS1_25partition_config_selectorILNS1_17partition_subalgoE3EjNS0_10empty_typeEbEEZZNS1_14partition_implILS8_3ELb0ES6_jNS0_17counting_iteratorIjlEEPS9_SE_NS0_5tupleIJPjSE_EEENSF_IJSE_SE_EEES9_SG_JZNS1_25segmented_radix_sort_implINS0_14default_configELb1EPKsPsPKlPlN2at6native12_GLOBAL__N_18offset_tEEE10hipError_tPvRmT1_PNSt15iterator_traitsISY_E10value_typeET2_T3_PNSZ_IS14_E10value_typeET4_jRbjT5_S1A_jjP12ihipStream_tbEUljE_EEESV_SW_SX_S14_S18_S1A_T6_T7_T9_mT8_S1C_bDpT10_ENKUlT_T0_E_clISt17integral_constantIbLb0EES1P_EEDaS1K_S1L_EUlS1K_E_NS1_11comp_targetILNS1_3genE10ELNS1_11target_archE1200ELNS1_3gpuE4ELNS1_3repE0EEENS1_30default_config_static_selectorELNS0_4arch9wavefront6targetE1EEEvSY_
	.p2align	8
	.type	_ZN7rocprim17ROCPRIM_400000_NS6detail17trampoline_kernelINS0_13select_configILj256ELj13ELNS0_17block_load_methodE3ELS4_3ELS4_3ELNS0_20block_scan_algorithmE0ELj4294967295EEENS1_25partition_config_selectorILNS1_17partition_subalgoE3EjNS0_10empty_typeEbEEZZNS1_14partition_implILS8_3ELb0ES6_jNS0_17counting_iteratorIjlEEPS9_SE_NS0_5tupleIJPjSE_EEENSF_IJSE_SE_EEES9_SG_JZNS1_25segmented_radix_sort_implINS0_14default_configELb1EPKsPsPKlPlN2at6native12_GLOBAL__N_18offset_tEEE10hipError_tPvRmT1_PNSt15iterator_traitsISY_E10value_typeET2_T3_PNSZ_IS14_E10value_typeET4_jRbjT5_S1A_jjP12ihipStream_tbEUljE_EEESV_SW_SX_S14_S18_S1A_T6_T7_T9_mT8_S1C_bDpT10_ENKUlT_T0_E_clISt17integral_constantIbLb0EES1P_EEDaS1K_S1L_EUlS1K_E_NS1_11comp_targetILNS1_3genE10ELNS1_11target_archE1200ELNS1_3gpuE4ELNS1_3repE0EEENS1_30default_config_static_selectorELNS0_4arch9wavefront6targetE1EEEvSY_,@function
_ZN7rocprim17ROCPRIM_400000_NS6detail17trampoline_kernelINS0_13select_configILj256ELj13ELNS0_17block_load_methodE3ELS4_3ELS4_3ELNS0_20block_scan_algorithmE0ELj4294967295EEENS1_25partition_config_selectorILNS1_17partition_subalgoE3EjNS0_10empty_typeEbEEZZNS1_14partition_implILS8_3ELb0ES6_jNS0_17counting_iteratorIjlEEPS9_SE_NS0_5tupleIJPjSE_EEENSF_IJSE_SE_EEES9_SG_JZNS1_25segmented_radix_sort_implINS0_14default_configELb1EPKsPsPKlPlN2at6native12_GLOBAL__N_18offset_tEEE10hipError_tPvRmT1_PNSt15iterator_traitsISY_E10value_typeET2_T3_PNSZ_IS14_E10value_typeET4_jRbjT5_S1A_jjP12ihipStream_tbEUljE_EEESV_SW_SX_S14_S18_S1A_T6_T7_T9_mT8_S1C_bDpT10_ENKUlT_T0_E_clISt17integral_constantIbLb0EES1P_EEDaS1K_S1L_EUlS1K_E_NS1_11comp_targetILNS1_3genE10ELNS1_11target_archE1200ELNS1_3gpuE4ELNS1_3repE0EEENS1_30default_config_static_selectorELNS0_4arch9wavefront6targetE1EEEvSY_: ; @_ZN7rocprim17ROCPRIM_400000_NS6detail17trampoline_kernelINS0_13select_configILj256ELj13ELNS0_17block_load_methodE3ELS4_3ELS4_3ELNS0_20block_scan_algorithmE0ELj4294967295EEENS1_25partition_config_selectorILNS1_17partition_subalgoE3EjNS0_10empty_typeEbEEZZNS1_14partition_implILS8_3ELb0ES6_jNS0_17counting_iteratorIjlEEPS9_SE_NS0_5tupleIJPjSE_EEENSF_IJSE_SE_EEES9_SG_JZNS1_25segmented_radix_sort_implINS0_14default_configELb1EPKsPsPKlPlN2at6native12_GLOBAL__N_18offset_tEEE10hipError_tPvRmT1_PNSt15iterator_traitsISY_E10value_typeET2_T3_PNSZ_IS14_E10value_typeET4_jRbjT5_S1A_jjP12ihipStream_tbEUljE_EEESV_SW_SX_S14_S18_S1A_T6_T7_T9_mT8_S1C_bDpT10_ENKUlT_T0_E_clISt17integral_constantIbLb0EES1P_EEDaS1K_S1L_EUlS1K_E_NS1_11comp_targetILNS1_3genE10ELNS1_11target_archE1200ELNS1_3gpuE4ELNS1_3repE0EEENS1_30default_config_static_selectorELNS0_4arch9wavefront6targetE1EEEvSY_
; %bb.0:
	.section	.rodata,"a",@progbits
	.p2align	6, 0x0
	.amdhsa_kernel _ZN7rocprim17ROCPRIM_400000_NS6detail17trampoline_kernelINS0_13select_configILj256ELj13ELNS0_17block_load_methodE3ELS4_3ELS4_3ELNS0_20block_scan_algorithmE0ELj4294967295EEENS1_25partition_config_selectorILNS1_17partition_subalgoE3EjNS0_10empty_typeEbEEZZNS1_14partition_implILS8_3ELb0ES6_jNS0_17counting_iteratorIjlEEPS9_SE_NS0_5tupleIJPjSE_EEENSF_IJSE_SE_EEES9_SG_JZNS1_25segmented_radix_sort_implINS0_14default_configELb1EPKsPsPKlPlN2at6native12_GLOBAL__N_18offset_tEEE10hipError_tPvRmT1_PNSt15iterator_traitsISY_E10value_typeET2_T3_PNSZ_IS14_E10value_typeET4_jRbjT5_S1A_jjP12ihipStream_tbEUljE_EEESV_SW_SX_S14_S18_S1A_T6_T7_T9_mT8_S1C_bDpT10_ENKUlT_T0_E_clISt17integral_constantIbLb0EES1P_EEDaS1K_S1L_EUlS1K_E_NS1_11comp_targetILNS1_3genE10ELNS1_11target_archE1200ELNS1_3gpuE4ELNS1_3repE0EEENS1_30default_config_static_selectorELNS0_4arch9wavefront6targetE1EEEvSY_
		.amdhsa_group_segment_fixed_size 0
		.amdhsa_private_segment_fixed_size 0
		.amdhsa_kernarg_size 144
		.amdhsa_user_sgpr_count 6
		.amdhsa_user_sgpr_private_segment_buffer 1
		.amdhsa_user_sgpr_dispatch_ptr 0
		.amdhsa_user_sgpr_queue_ptr 0
		.amdhsa_user_sgpr_kernarg_segment_ptr 1
		.amdhsa_user_sgpr_dispatch_id 0
		.amdhsa_user_sgpr_flat_scratch_init 0
		.amdhsa_user_sgpr_kernarg_preload_length 0
		.amdhsa_user_sgpr_kernarg_preload_offset 0
		.amdhsa_user_sgpr_private_segment_size 0
		.amdhsa_uses_dynamic_stack 0
		.amdhsa_system_sgpr_private_segment_wavefront_offset 0
		.amdhsa_system_sgpr_workgroup_id_x 1
		.amdhsa_system_sgpr_workgroup_id_y 0
		.amdhsa_system_sgpr_workgroup_id_z 0
		.amdhsa_system_sgpr_workgroup_info 0
		.amdhsa_system_vgpr_workitem_id 0
		.amdhsa_next_free_vgpr 1
		.amdhsa_next_free_sgpr 0
		.amdhsa_accum_offset 4
		.amdhsa_reserve_vcc 0
		.amdhsa_reserve_flat_scratch 0
		.amdhsa_float_round_mode_32 0
		.amdhsa_float_round_mode_16_64 0
		.amdhsa_float_denorm_mode_32 3
		.amdhsa_float_denorm_mode_16_64 3
		.amdhsa_dx10_clamp 1
		.amdhsa_ieee_mode 1
		.amdhsa_fp16_overflow 0
		.amdhsa_tg_split 0
		.amdhsa_exception_fp_ieee_invalid_op 0
		.amdhsa_exception_fp_denorm_src 0
		.amdhsa_exception_fp_ieee_div_zero 0
		.amdhsa_exception_fp_ieee_overflow 0
		.amdhsa_exception_fp_ieee_underflow 0
		.amdhsa_exception_fp_ieee_inexact 0
		.amdhsa_exception_int_div_zero 0
	.end_amdhsa_kernel
	.section	.text._ZN7rocprim17ROCPRIM_400000_NS6detail17trampoline_kernelINS0_13select_configILj256ELj13ELNS0_17block_load_methodE3ELS4_3ELS4_3ELNS0_20block_scan_algorithmE0ELj4294967295EEENS1_25partition_config_selectorILNS1_17partition_subalgoE3EjNS0_10empty_typeEbEEZZNS1_14partition_implILS8_3ELb0ES6_jNS0_17counting_iteratorIjlEEPS9_SE_NS0_5tupleIJPjSE_EEENSF_IJSE_SE_EEES9_SG_JZNS1_25segmented_radix_sort_implINS0_14default_configELb1EPKsPsPKlPlN2at6native12_GLOBAL__N_18offset_tEEE10hipError_tPvRmT1_PNSt15iterator_traitsISY_E10value_typeET2_T3_PNSZ_IS14_E10value_typeET4_jRbjT5_S1A_jjP12ihipStream_tbEUljE_EEESV_SW_SX_S14_S18_S1A_T6_T7_T9_mT8_S1C_bDpT10_ENKUlT_T0_E_clISt17integral_constantIbLb0EES1P_EEDaS1K_S1L_EUlS1K_E_NS1_11comp_targetILNS1_3genE10ELNS1_11target_archE1200ELNS1_3gpuE4ELNS1_3repE0EEENS1_30default_config_static_selectorELNS0_4arch9wavefront6targetE1EEEvSY_,"axG",@progbits,_ZN7rocprim17ROCPRIM_400000_NS6detail17trampoline_kernelINS0_13select_configILj256ELj13ELNS0_17block_load_methodE3ELS4_3ELS4_3ELNS0_20block_scan_algorithmE0ELj4294967295EEENS1_25partition_config_selectorILNS1_17partition_subalgoE3EjNS0_10empty_typeEbEEZZNS1_14partition_implILS8_3ELb0ES6_jNS0_17counting_iteratorIjlEEPS9_SE_NS0_5tupleIJPjSE_EEENSF_IJSE_SE_EEES9_SG_JZNS1_25segmented_radix_sort_implINS0_14default_configELb1EPKsPsPKlPlN2at6native12_GLOBAL__N_18offset_tEEE10hipError_tPvRmT1_PNSt15iterator_traitsISY_E10value_typeET2_T3_PNSZ_IS14_E10value_typeET4_jRbjT5_S1A_jjP12ihipStream_tbEUljE_EEESV_SW_SX_S14_S18_S1A_T6_T7_T9_mT8_S1C_bDpT10_ENKUlT_T0_E_clISt17integral_constantIbLb0EES1P_EEDaS1K_S1L_EUlS1K_E_NS1_11comp_targetILNS1_3genE10ELNS1_11target_archE1200ELNS1_3gpuE4ELNS1_3repE0EEENS1_30default_config_static_selectorELNS0_4arch9wavefront6targetE1EEEvSY_,comdat
.Lfunc_end884:
	.size	_ZN7rocprim17ROCPRIM_400000_NS6detail17trampoline_kernelINS0_13select_configILj256ELj13ELNS0_17block_load_methodE3ELS4_3ELS4_3ELNS0_20block_scan_algorithmE0ELj4294967295EEENS1_25partition_config_selectorILNS1_17partition_subalgoE3EjNS0_10empty_typeEbEEZZNS1_14partition_implILS8_3ELb0ES6_jNS0_17counting_iteratorIjlEEPS9_SE_NS0_5tupleIJPjSE_EEENSF_IJSE_SE_EEES9_SG_JZNS1_25segmented_radix_sort_implINS0_14default_configELb1EPKsPsPKlPlN2at6native12_GLOBAL__N_18offset_tEEE10hipError_tPvRmT1_PNSt15iterator_traitsISY_E10value_typeET2_T3_PNSZ_IS14_E10value_typeET4_jRbjT5_S1A_jjP12ihipStream_tbEUljE_EEESV_SW_SX_S14_S18_S1A_T6_T7_T9_mT8_S1C_bDpT10_ENKUlT_T0_E_clISt17integral_constantIbLb0EES1P_EEDaS1K_S1L_EUlS1K_E_NS1_11comp_targetILNS1_3genE10ELNS1_11target_archE1200ELNS1_3gpuE4ELNS1_3repE0EEENS1_30default_config_static_selectorELNS0_4arch9wavefront6targetE1EEEvSY_, .Lfunc_end884-_ZN7rocprim17ROCPRIM_400000_NS6detail17trampoline_kernelINS0_13select_configILj256ELj13ELNS0_17block_load_methodE3ELS4_3ELS4_3ELNS0_20block_scan_algorithmE0ELj4294967295EEENS1_25partition_config_selectorILNS1_17partition_subalgoE3EjNS0_10empty_typeEbEEZZNS1_14partition_implILS8_3ELb0ES6_jNS0_17counting_iteratorIjlEEPS9_SE_NS0_5tupleIJPjSE_EEENSF_IJSE_SE_EEES9_SG_JZNS1_25segmented_radix_sort_implINS0_14default_configELb1EPKsPsPKlPlN2at6native12_GLOBAL__N_18offset_tEEE10hipError_tPvRmT1_PNSt15iterator_traitsISY_E10value_typeET2_T3_PNSZ_IS14_E10value_typeET4_jRbjT5_S1A_jjP12ihipStream_tbEUljE_EEESV_SW_SX_S14_S18_S1A_T6_T7_T9_mT8_S1C_bDpT10_ENKUlT_T0_E_clISt17integral_constantIbLb0EES1P_EEDaS1K_S1L_EUlS1K_E_NS1_11comp_targetILNS1_3genE10ELNS1_11target_archE1200ELNS1_3gpuE4ELNS1_3repE0EEENS1_30default_config_static_selectorELNS0_4arch9wavefront6targetE1EEEvSY_
                                        ; -- End function
	.section	.AMDGPU.csdata,"",@progbits
; Kernel info:
; codeLenInByte = 0
; NumSgprs: 4
; NumVgprs: 0
; NumAgprs: 0
; TotalNumVgprs: 0
; ScratchSize: 0
; MemoryBound: 0
; FloatMode: 240
; IeeeMode: 1
; LDSByteSize: 0 bytes/workgroup (compile time only)
; SGPRBlocks: 0
; VGPRBlocks: 0
; NumSGPRsForWavesPerEU: 4
; NumVGPRsForWavesPerEU: 1
; AccumOffset: 4
; Occupancy: 8
; WaveLimiterHint : 0
; COMPUTE_PGM_RSRC2:SCRATCH_EN: 0
; COMPUTE_PGM_RSRC2:USER_SGPR: 6
; COMPUTE_PGM_RSRC2:TRAP_HANDLER: 0
; COMPUTE_PGM_RSRC2:TGID_X_EN: 1
; COMPUTE_PGM_RSRC2:TGID_Y_EN: 0
; COMPUTE_PGM_RSRC2:TGID_Z_EN: 0
; COMPUTE_PGM_RSRC2:TIDIG_COMP_CNT: 0
; COMPUTE_PGM_RSRC3_GFX90A:ACCUM_OFFSET: 0
; COMPUTE_PGM_RSRC3_GFX90A:TG_SPLIT: 0
	.section	.text._ZN7rocprim17ROCPRIM_400000_NS6detail17trampoline_kernelINS0_13select_configILj256ELj13ELNS0_17block_load_methodE3ELS4_3ELS4_3ELNS0_20block_scan_algorithmE0ELj4294967295EEENS1_25partition_config_selectorILNS1_17partition_subalgoE3EjNS0_10empty_typeEbEEZZNS1_14partition_implILS8_3ELb0ES6_jNS0_17counting_iteratorIjlEEPS9_SE_NS0_5tupleIJPjSE_EEENSF_IJSE_SE_EEES9_SG_JZNS1_25segmented_radix_sort_implINS0_14default_configELb1EPKsPsPKlPlN2at6native12_GLOBAL__N_18offset_tEEE10hipError_tPvRmT1_PNSt15iterator_traitsISY_E10value_typeET2_T3_PNSZ_IS14_E10value_typeET4_jRbjT5_S1A_jjP12ihipStream_tbEUljE_EEESV_SW_SX_S14_S18_S1A_T6_T7_T9_mT8_S1C_bDpT10_ENKUlT_T0_E_clISt17integral_constantIbLb0EES1P_EEDaS1K_S1L_EUlS1K_E_NS1_11comp_targetILNS1_3genE9ELNS1_11target_archE1100ELNS1_3gpuE3ELNS1_3repE0EEENS1_30default_config_static_selectorELNS0_4arch9wavefront6targetE1EEEvSY_,"axG",@progbits,_ZN7rocprim17ROCPRIM_400000_NS6detail17trampoline_kernelINS0_13select_configILj256ELj13ELNS0_17block_load_methodE3ELS4_3ELS4_3ELNS0_20block_scan_algorithmE0ELj4294967295EEENS1_25partition_config_selectorILNS1_17partition_subalgoE3EjNS0_10empty_typeEbEEZZNS1_14partition_implILS8_3ELb0ES6_jNS0_17counting_iteratorIjlEEPS9_SE_NS0_5tupleIJPjSE_EEENSF_IJSE_SE_EEES9_SG_JZNS1_25segmented_radix_sort_implINS0_14default_configELb1EPKsPsPKlPlN2at6native12_GLOBAL__N_18offset_tEEE10hipError_tPvRmT1_PNSt15iterator_traitsISY_E10value_typeET2_T3_PNSZ_IS14_E10value_typeET4_jRbjT5_S1A_jjP12ihipStream_tbEUljE_EEESV_SW_SX_S14_S18_S1A_T6_T7_T9_mT8_S1C_bDpT10_ENKUlT_T0_E_clISt17integral_constantIbLb0EES1P_EEDaS1K_S1L_EUlS1K_E_NS1_11comp_targetILNS1_3genE9ELNS1_11target_archE1100ELNS1_3gpuE3ELNS1_3repE0EEENS1_30default_config_static_selectorELNS0_4arch9wavefront6targetE1EEEvSY_,comdat
	.globl	_ZN7rocprim17ROCPRIM_400000_NS6detail17trampoline_kernelINS0_13select_configILj256ELj13ELNS0_17block_load_methodE3ELS4_3ELS4_3ELNS0_20block_scan_algorithmE0ELj4294967295EEENS1_25partition_config_selectorILNS1_17partition_subalgoE3EjNS0_10empty_typeEbEEZZNS1_14partition_implILS8_3ELb0ES6_jNS0_17counting_iteratorIjlEEPS9_SE_NS0_5tupleIJPjSE_EEENSF_IJSE_SE_EEES9_SG_JZNS1_25segmented_radix_sort_implINS0_14default_configELb1EPKsPsPKlPlN2at6native12_GLOBAL__N_18offset_tEEE10hipError_tPvRmT1_PNSt15iterator_traitsISY_E10value_typeET2_T3_PNSZ_IS14_E10value_typeET4_jRbjT5_S1A_jjP12ihipStream_tbEUljE_EEESV_SW_SX_S14_S18_S1A_T6_T7_T9_mT8_S1C_bDpT10_ENKUlT_T0_E_clISt17integral_constantIbLb0EES1P_EEDaS1K_S1L_EUlS1K_E_NS1_11comp_targetILNS1_3genE9ELNS1_11target_archE1100ELNS1_3gpuE3ELNS1_3repE0EEENS1_30default_config_static_selectorELNS0_4arch9wavefront6targetE1EEEvSY_ ; -- Begin function _ZN7rocprim17ROCPRIM_400000_NS6detail17trampoline_kernelINS0_13select_configILj256ELj13ELNS0_17block_load_methodE3ELS4_3ELS4_3ELNS0_20block_scan_algorithmE0ELj4294967295EEENS1_25partition_config_selectorILNS1_17partition_subalgoE3EjNS0_10empty_typeEbEEZZNS1_14partition_implILS8_3ELb0ES6_jNS0_17counting_iteratorIjlEEPS9_SE_NS0_5tupleIJPjSE_EEENSF_IJSE_SE_EEES9_SG_JZNS1_25segmented_radix_sort_implINS0_14default_configELb1EPKsPsPKlPlN2at6native12_GLOBAL__N_18offset_tEEE10hipError_tPvRmT1_PNSt15iterator_traitsISY_E10value_typeET2_T3_PNSZ_IS14_E10value_typeET4_jRbjT5_S1A_jjP12ihipStream_tbEUljE_EEESV_SW_SX_S14_S18_S1A_T6_T7_T9_mT8_S1C_bDpT10_ENKUlT_T0_E_clISt17integral_constantIbLb0EES1P_EEDaS1K_S1L_EUlS1K_E_NS1_11comp_targetILNS1_3genE9ELNS1_11target_archE1100ELNS1_3gpuE3ELNS1_3repE0EEENS1_30default_config_static_selectorELNS0_4arch9wavefront6targetE1EEEvSY_
	.p2align	8
	.type	_ZN7rocprim17ROCPRIM_400000_NS6detail17trampoline_kernelINS0_13select_configILj256ELj13ELNS0_17block_load_methodE3ELS4_3ELS4_3ELNS0_20block_scan_algorithmE0ELj4294967295EEENS1_25partition_config_selectorILNS1_17partition_subalgoE3EjNS0_10empty_typeEbEEZZNS1_14partition_implILS8_3ELb0ES6_jNS0_17counting_iteratorIjlEEPS9_SE_NS0_5tupleIJPjSE_EEENSF_IJSE_SE_EEES9_SG_JZNS1_25segmented_radix_sort_implINS0_14default_configELb1EPKsPsPKlPlN2at6native12_GLOBAL__N_18offset_tEEE10hipError_tPvRmT1_PNSt15iterator_traitsISY_E10value_typeET2_T3_PNSZ_IS14_E10value_typeET4_jRbjT5_S1A_jjP12ihipStream_tbEUljE_EEESV_SW_SX_S14_S18_S1A_T6_T7_T9_mT8_S1C_bDpT10_ENKUlT_T0_E_clISt17integral_constantIbLb0EES1P_EEDaS1K_S1L_EUlS1K_E_NS1_11comp_targetILNS1_3genE9ELNS1_11target_archE1100ELNS1_3gpuE3ELNS1_3repE0EEENS1_30default_config_static_selectorELNS0_4arch9wavefront6targetE1EEEvSY_,@function
_ZN7rocprim17ROCPRIM_400000_NS6detail17trampoline_kernelINS0_13select_configILj256ELj13ELNS0_17block_load_methodE3ELS4_3ELS4_3ELNS0_20block_scan_algorithmE0ELj4294967295EEENS1_25partition_config_selectorILNS1_17partition_subalgoE3EjNS0_10empty_typeEbEEZZNS1_14partition_implILS8_3ELb0ES6_jNS0_17counting_iteratorIjlEEPS9_SE_NS0_5tupleIJPjSE_EEENSF_IJSE_SE_EEES9_SG_JZNS1_25segmented_radix_sort_implINS0_14default_configELb1EPKsPsPKlPlN2at6native12_GLOBAL__N_18offset_tEEE10hipError_tPvRmT1_PNSt15iterator_traitsISY_E10value_typeET2_T3_PNSZ_IS14_E10value_typeET4_jRbjT5_S1A_jjP12ihipStream_tbEUljE_EEESV_SW_SX_S14_S18_S1A_T6_T7_T9_mT8_S1C_bDpT10_ENKUlT_T0_E_clISt17integral_constantIbLb0EES1P_EEDaS1K_S1L_EUlS1K_E_NS1_11comp_targetILNS1_3genE9ELNS1_11target_archE1100ELNS1_3gpuE3ELNS1_3repE0EEENS1_30default_config_static_selectorELNS0_4arch9wavefront6targetE1EEEvSY_: ; @_ZN7rocprim17ROCPRIM_400000_NS6detail17trampoline_kernelINS0_13select_configILj256ELj13ELNS0_17block_load_methodE3ELS4_3ELS4_3ELNS0_20block_scan_algorithmE0ELj4294967295EEENS1_25partition_config_selectorILNS1_17partition_subalgoE3EjNS0_10empty_typeEbEEZZNS1_14partition_implILS8_3ELb0ES6_jNS0_17counting_iteratorIjlEEPS9_SE_NS0_5tupleIJPjSE_EEENSF_IJSE_SE_EEES9_SG_JZNS1_25segmented_radix_sort_implINS0_14default_configELb1EPKsPsPKlPlN2at6native12_GLOBAL__N_18offset_tEEE10hipError_tPvRmT1_PNSt15iterator_traitsISY_E10value_typeET2_T3_PNSZ_IS14_E10value_typeET4_jRbjT5_S1A_jjP12ihipStream_tbEUljE_EEESV_SW_SX_S14_S18_S1A_T6_T7_T9_mT8_S1C_bDpT10_ENKUlT_T0_E_clISt17integral_constantIbLb0EES1P_EEDaS1K_S1L_EUlS1K_E_NS1_11comp_targetILNS1_3genE9ELNS1_11target_archE1100ELNS1_3gpuE3ELNS1_3repE0EEENS1_30default_config_static_selectorELNS0_4arch9wavefront6targetE1EEEvSY_
; %bb.0:
	.section	.rodata,"a",@progbits
	.p2align	6, 0x0
	.amdhsa_kernel _ZN7rocprim17ROCPRIM_400000_NS6detail17trampoline_kernelINS0_13select_configILj256ELj13ELNS0_17block_load_methodE3ELS4_3ELS4_3ELNS0_20block_scan_algorithmE0ELj4294967295EEENS1_25partition_config_selectorILNS1_17partition_subalgoE3EjNS0_10empty_typeEbEEZZNS1_14partition_implILS8_3ELb0ES6_jNS0_17counting_iteratorIjlEEPS9_SE_NS0_5tupleIJPjSE_EEENSF_IJSE_SE_EEES9_SG_JZNS1_25segmented_radix_sort_implINS0_14default_configELb1EPKsPsPKlPlN2at6native12_GLOBAL__N_18offset_tEEE10hipError_tPvRmT1_PNSt15iterator_traitsISY_E10value_typeET2_T3_PNSZ_IS14_E10value_typeET4_jRbjT5_S1A_jjP12ihipStream_tbEUljE_EEESV_SW_SX_S14_S18_S1A_T6_T7_T9_mT8_S1C_bDpT10_ENKUlT_T0_E_clISt17integral_constantIbLb0EES1P_EEDaS1K_S1L_EUlS1K_E_NS1_11comp_targetILNS1_3genE9ELNS1_11target_archE1100ELNS1_3gpuE3ELNS1_3repE0EEENS1_30default_config_static_selectorELNS0_4arch9wavefront6targetE1EEEvSY_
		.amdhsa_group_segment_fixed_size 0
		.amdhsa_private_segment_fixed_size 0
		.amdhsa_kernarg_size 144
		.amdhsa_user_sgpr_count 6
		.amdhsa_user_sgpr_private_segment_buffer 1
		.amdhsa_user_sgpr_dispatch_ptr 0
		.amdhsa_user_sgpr_queue_ptr 0
		.amdhsa_user_sgpr_kernarg_segment_ptr 1
		.amdhsa_user_sgpr_dispatch_id 0
		.amdhsa_user_sgpr_flat_scratch_init 0
		.amdhsa_user_sgpr_kernarg_preload_length 0
		.amdhsa_user_sgpr_kernarg_preload_offset 0
		.amdhsa_user_sgpr_private_segment_size 0
		.amdhsa_uses_dynamic_stack 0
		.amdhsa_system_sgpr_private_segment_wavefront_offset 0
		.amdhsa_system_sgpr_workgroup_id_x 1
		.amdhsa_system_sgpr_workgroup_id_y 0
		.amdhsa_system_sgpr_workgroup_id_z 0
		.amdhsa_system_sgpr_workgroup_info 0
		.amdhsa_system_vgpr_workitem_id 0
		.amdhsa_next_free_vgpr 1
		.amdhsa_next_free_sgpr 0
		.amdhsa_accum_offset 4
		.amdhsa_reserve_vcc 0
		.amdhsa_reserve_flat_scratch 0
		.amdhsa_float_round_mode_32 0
		.amdhsa_float_round_mode_16_64 0
		.amdhsa_float_denorm_mode_32 3
		.amdhsa_float_denorm_mode_16_64 3
		.amdhsa_dx10_clamp 1
		.amdhsa_ieee_mode 1
		.amdhsa_fp16_overflow 0
		.amdhsa_tg_split 0
		.amdhsa_exception_fp_ieee_invalid_op 0
		.amdhsa_exception_fp_denorm_src 0
		.amdhsa_exception_fp_ieee_div_zero 0
		.amdhsa_exception_fp_ieee_overflow 0
		.amdhsa_exception_fp_ieee_underflow 0
		.amdhsa_exception_fp_ieee_inexact 0
		.amdhsa_exception_int_div_zero 0
	.end_amdhsa_kernel
	.section	.text._ZN7rocprim17ROCPRIM_400000_NS6detail17trampoline_kernelINS0_13select_configILj256ELj13ELNS0_17block_load_methodE3ELS4_3ELS4_3ELNS0_20block_scan_algorithmE0ELj4294967295EEENS1_25partition_config_selectorILNS1_17partition_subalgoE3EjNS0_10empty_typeEbEEZZNS1_14partition_implILS8_3ELb0ES6_jNS0_17counting_iteratorIjlEEPS9_SE_NS0_5tupleIJPjSE_EEENSF_IJSE_SE_EEES9_SG_JZNS1_25segmented_radix_sort_implINS0_14default_configELb1EPKsPsPKlPlN2at6native12_GLOBAL__N_18offset_tEEE10hipError_tPvRmT1_PNSt15iterator_traitsISY_E10value_typeET2_T3_PNSZ_IS14_E10value_typeET4_jRbjT5_S1A_jjP12ihipStream_tbEUljE_EEESV_SW_SX_S14_S18_S1A_T6_T7_T9_mT8_S1C_bDpT10_ENKUlT_T0_E_clISt17integral_constantIbLb0EES1P_EEDaS1K_S1L_EUlS1K_E_NS1_11comp_targetILNS1_3genE9ELNS1_11target_archE1100ELNS1_3gpuE3ELNS1_3repE0EEENS1_30default_config_static_selectorELNS0_4arch9wavefront6targetE1EEEvSY_,"axG",@progbits,_ZN7rocprim17ROCPRIM_400000_NS6detail17trampoline_kernelINS0_13select_configILj256ELj13ELNS0_17block_load_methodE3ELS4_3ELS4_3ELNS0_20block_scan_algorithmE0ELj4294967295EEENS1_25partition_config_selectorILNS1_17partition_subalgoE3EjNS0_10empty_typeEbEEZZNS1_14partition_implILS8_3ELb0ES6_jNS0_17counting_iteratorIjlEEPS9_SE_NS0_5tupleIJPjSE_EEENSF_IJSE_SE_EEES9_SG_JZNS1_25segmented_radix_sort_implINS0_14default_configELb1EPKsPsPKlPlN2at6native12_GLOBAL__N_18offset_tEEE10hipError_tPvRmT1_PNSt15iterator_traitsISY_E10value_typeET2_T3_PNSZ_IS14_E10value_typeET4_jRbjT5_S1A_jjP12ihipStream_tbEUljE_EEESV_SW_SX_S14_S18_S1A_T6_T7_T9_mT8_S1C_bDpT10_ENKUlT_T0_E_clISt17integral_constantIbLb0EES1P_EEDaS1K_S1L_EUlS1K_E_NS1_11comp_targetILNS1_3genE9ELNS1_11target_archE1100ELNS1_3gpuE3ELNS1_3repE0EEENS1_30default_config_static_selectorELNS0_4arch9wavefront6targetE1EEEvSY_,comdat
.Lfunc_end885:
	.size	_ZN7rocprim17ROCPRIM_400000_NS6detail17trampoline_kernelINS0_13select_configILj256ELj13ELNS0_17block_load_methodE3ELS4_3ELS4_3ELNS0_20block_scan_algorithmE0ELj4294967295EEENS1_25partition_config_selectorILNS1_17partition_subalgoE3EjNS0_10empty_typeEbEEZZNS1_14partition_implILS8_3ELb0ES6_jNS0_17counting_iteratorIjlEEPS9_SE_NS0_5tupleIJPjSE_EEENSF_IJSE_SE_EEES9_SG_JZNS1_25segmented_radix_sort_implINS0_14default_configELb1EPKsPsPKlPlN2at6native12_GLOBAL__N_18offset_tEEE10hipError_tPvRmT1_PNSt15iterator_traitsISY_E10value_typeET2_T3_PNSZ_IS14_E10value_typeET4_jRbjT5_S1A_jjP12ihipStream_tbEUljE_EEESV_SW_SX_S14_S18_S1A_T6_T7_T9_mT8_S1C_bDpT10_ENKUlT_T0_E_clISt17integral_constantIbLb0EES1P_EEDaS1K_S1L_EUlS1K_E_NS1_11comp_targetILNS1_3genE9ELNS1_11target_archE1100ELNS1_3gpuE3ELNS1_3repE0EEENS1_30default_config_static_selectorELNS0_4arch9wavefront6targetE1EEEvSY_, .Lfunc_end885-_ZN7rocprim17ROCPRIM_400000_NS6detail17trampoline_kernelINS0_13select_configILj256ELj13ELNS0_17block_load_methodE3ELS4_3ELS4_3ELNS0_20block_scan_algorithmE0ELj4294967295EEENS1_25partition_config_selectorILNS1_17partition_subalgoE3EjNS0_10empty_typeEbEEZZNS1_14partition_implILS8_3ELb0ES6_jNS0_17counting_iteratorIjlEEPS9_SE_NS0_5tupleIJPjSE_EEENSF_IJSE_SE_EEES9_SG_JZNS1_25segmented_radix_sort_implINS0_14default_configELb1EPKsPsPKlPlN2at6native12_GLOBAL__N_18offset_tEEE10hipError_tPvRmT1_PNSt15iterator_traitsISY_E10value_typeET2_T3_PNSZ_IS14_E10value_typeET4_jRbjT5_S1A_jjP12ihipStream_tbEUljE_EEESV_SW_SX_S14_S18_S1A_T6_T7_T9_mT8_S1C_bDpT10_ENKUlT_T0_E_clISt17integral_constantIbLb0EES1P_EEDaS1K_S1L_EUlS1K_E_NS1_11comp_targetILNS1_3genE9ELNS1_11target_archE1100ELNS1_3gpuE3ELNS1_3repE0EEENS1_30default_config_static_selectorELNS0_4arch9wavefront6targetE1EEEvSY_
                                        ; -- End function
	.section	.AMDGPU.csdata,"",@progbits
; Kernel info:
; codeLenInByte = 0
; NumSgprs: 4
; NumVgprs: 0
; NumAgprs: 0
; TotalNumVgprs: 0
; ScratchSize: 0
; MemoryBound: 0
; FloatMode: 240
; IeeeMode: 1
; LDSByteSize: 0 bytes/workgroup (compile time only)
; SGPRBlocks: 0
; VGPRBlocks: 0
; NumSGPRsForWavesPerEU: 4
; NumVGPRsForWavesPerEU: 1
; AccumOffset: 4
; Occupancy: 8
; WaveLimiterHint : 0
; COMPUTE_PGM_RSRC2:SCRATCH_EN: 0
; COMPUTE_PGM_RSRC2:USER_SGPR: 6
; COMPUTE_PGM_RSRC2:TRAP_HANDLER: 0
; COMPUTE_PGM_RSRC2:TGID_X_EN: 1
; COMPUTE_PGM_RSRC2:TGID_Y_EN: 0
; COMPUTE_PGM_RSRC2:TGID_Z_EN: 0
; COMPUTE_PGM_RSRC2:TIDIG_COMP_CNT: 0
; COMPUTE_PGM_RSRC3_GFX90A:ACCUM_OFFSET: 0
; COMPUTE_PGM_RSRC3_GFX90A:TG_SPLIT: 0
	.section	.text._ZN7rocprim17ROCPRIM_400000_NS6detail17trampoline_kernelINS0_13select_configILj256ELj13ELNS0_17block_load_methodE3ELS4_3ELS4_3ELNS0_20block_scan_algorithmE0ELj4294967295EEENS1_25partition_config_selectorILNS1_17partition_subalgoE3EjNS0_10empty_typeEbEEZZNS1_14partition_implILS8_3ELb0ES6_jNS0_17counting_iteratorIjlEEPS9_SE_NS0_5tupleIJPjSE_EEENSF_IJSE_SE_EEES9_SG_JZNS1_25segmented_radix_sort_implINS0_14default_configELb1EPKsPsPKlPlN2at6native12_GLOBAL__N_18offset_tEEE10hipError_tPvRmT1_PNSt15iterator_traitsISY_E10value_typeET2_T3_PNSZ_IS14_E10value_typeET4_jRbjT5_S1A_jjP12ihipStream_tbEUljE_EEESV_SW_SX_S14_S18_S1A_T6_T7_T9_mT8_S1C_bDpT10_ENKUlT_T0_E_clISt17integral_constantIbLb0EES1P_EEDaS1K_S1L_EUlS1K_E_NS1_11comp_targetILNS1_3genE8ELNS1_11target_archE1030ELNS1_3gpuE2ELNS1_3repE0EEENS1_30default_config_static_selectorELNS0_4arch9wavefront6targetE1EEEvSY_,"axG",@progbits,_ZN7rocprim17ROCPRIM_400000_NS6detail17trampoline_kernelINS0_13select_configILj256ELj13ELNS0_17block_load_methodE3ELS4_3ELS4_3ELNS0_20block_scan_algorithmE0ELj4294967295EEENS1_25partition_config_selectorILNS1_17partition_subalgoE3EjNS0_10empty_typeEbEEZZNS1_14partition_implILS8_3ELb0ES6_jNS0_17counting_iteratorIjlEEPS9_SE_NS0_5tupleIJPjSE_EEENSF_IJSE_SE_EEES9_SG_JZNS1_25segmented_radix_sort_implINS0_14default_configELb1EPKsPsPKlPlN2at6native12_GLOBAL__N_18offset_tEEE10hipError_tPvRmT1_PNSt15iterator_traitsISY_E10value_typeET2_T3_PNSZ_IS14_E10value_typeET4_jRbjT5_S1A_jjP12ihipStream_tbEUljE_EEESV_SW_SX_S14_S18_S1A_T6_T7_T9_mT8_S1C_bDpT10_ENKUlT_T0_E_clISt17integral_constantIbLb0EES1P_EEDaS1K_S1L_EUlS1K_E_NS1_11comp_targetILNS1_3genE8ELNS1_11target_archE1030ELNS1_3gpuE2ELNS1_3repE0EEENS1_30default_config_static_selectorELNS0_4arch9wavefront6targetE1EEEvSY_,comdat
	.globl	_ZN7rocprim17ROCPRIM_400000_NS6detail17trampoline_kernelINS0_13select_configILj256ELj13ELNS0_17block_load_methodE3ELS4_3ELS4_3ELNS0_20block_scan_algorithmE0ELj4294967295EEENS1_25partition_config_selectorILNS1_17partition_subalgoE3EjNS0_10empty_typeEbEEZZNS1_14partition_implILS8_3ELb0ES6_jNS0_17counting_iteratorIjlEEPS9_SE_NS0_5tupleIJPjSE_EEENSF_IJSE_SE_EEES9_SG_JZNS1_25segmented_radix_sort_implINS0_14default_configELb1EPKsPsPKlPlN2at6native12_GLOBAL__N_18offset_tEEE10hipError_tPvRmT1_PNSt15iterator_traitsISY_E10value_typeET2_T3_PNSZ_IS14_E10value_typeET4_jRbjT5_S1A_jjP12ihipStream_tbEUljE_EEESV_SW_SX_S14_S18_S1A_T6_T7_T9_mT8_S1C_bDpT10_ENKUlT_T0_E_clISt17integral_constantIbLb0EES1P_EEDaS1K_S1L_EUlS1K_E_NS1_11comp_targetILNS1_3genE8ELNS1_11target_archE1030ELNS1_3gpuE2ELNS1_3repE0EEENS1_30default_config_static_selectorELNS0_4arch9wavefront6targetE1EEEvSY_ ; -- Begin function _ZN7rocprim17ROCPRIM_400000_NS6detail17trampoline_kernelINS0_13select_configILj256ELj13ELNS0_17block_load_methodE3ELS4_3ELS4_3ELNS0_20block_scan_algorithmE0ELj4294967295EEENS1_25partition_config_selectorILNS1_17partition_subalgoE3EjNS0_10empty_typeEbEEZZNS1_14partition_implILS8_3ELb0ES6_jNS0_17counting_iteratorIjlEEPS9_SE_NS0_5tupleIJPjSE_EEENSF_IJSE_SE_EEES9_SG_JZNS1_25segmented_radix_sort_implINS0_14default_configELb1EPKsPsPKlPlN2at6native12_GLOBAL__N_18offset_tEEE10hipError_tPvRmT1_PNSt15iterator_traitsISY_E10value_typeET2_T3_PNSZ_IS14_E10value_typeET4_jRbjT5_S1A_jjP12ihipStream_tbEUljE_EEESV_SW_SX_S14_S18_S1A_T6_T7_T9_mT8_S1C_bDpT10_ENKUlT_T0_E_clISt17integral_constantIbLb0EES1P_EEDaS1K_S1L_EUlS1K_E_NS1_11comp_targetILNS1_3genE8ELNS1_11target_archE1030ELNS1_3gpuE2ELNS1_3repE0EEENS1_30default_config_static_selectorELNS0_4arch9wavefront6targetE1EEEvSY_
	.p2align	8
	.type	_ZN7rocprim17ROCPRIM_400000_NS6detail17trampoline_kernelINS0_13select_configILj256ELj13ELNS0_17block_load_methodE3ELS4_3ELS4_3ELNS0_20block_scan_algorithmE0ELj4294967295EEENS1_25partition_config_selectorILNS1_17partition_subalgoE3EjNS0_10empty_typeEbEEZZNS1_14partition_implILS8_3ELb0ES6_jNS0_17counting_iteratorIjlEEPS9_SE_NS0_5tupleIJPjSE_EEENSF_IJSE_SE_EEES9_SG_JZNS1_25segmented_radix_sort_implINS0_14default_configELb1EPKsPsPKlPlN2at6native12_GLOBAL__N_18offset_tEEE10hipError_tPvRmT1_PNSt15iterator_traitsISY_E10value_typeET2_T3_PNSZ_IS14_E10value_typeET4_jRbjT5_S1A_jjP12ihipStream_tbEUljE_EEESV_SW_SX_S14_S18_S1A_T6_T7_T9_mT8_S1C_bDpT10_ENKUlT_T0_E_clISt17integral_constantIbLb0EES1P_EEDaS1K_S1L_EUlS1K_E_NS1_11comp_targetILNS1_3genE8ELNS1_11target_archE1030ELNS1_3gpuE2ELNS1_3repE0EEENS1_30default_config_static_selectorELNS0_4arch9wavefront6targetE1EEEvSY_,@function
_ZN7rocprim17ROCPRIM_400000_NS6detail17trampoline_kernelINS0_13select_configILj256ELj13ELNS0_17block_load_methodE3ELS4_3ELS4_3ELNS0_20block_scan_algorithmE0ELj4294967295EEENS1_25partition_config_selectorILNS1_17partition_subalgoE3EjNS0_10empty_typeEbEEZZNS1_14partition_implILS8_3ELb0ES6_jNS0_17counting_iteratorIjlEEPS9_SE_NS0_5tupleIJPjSE_EEENSF_IJSE_SE_EEES9_SG_JZNS1_25segmented_radix_sort_implINS0_14default_configELb1EPKsPsPKlPlN2at6native12_GLOBAL__N_18offset_tEEE10hipError_tPvRmT1_PNSt15iterator_traitsISY_E10value_typeET2_T3_PNSZ_IS14_E10value_typeET4_jRbjT5_S1A_jjP12ihipStream_tbEUljE_EEESV_SW_SX_S14_S18_S1A_T6_T7_T9_mT8_S1C_bDpT10_ENKUlT_T0_E_clISt17integral_constantIbLb0EES1P_EEDaS1K_S1L_EUlS1K_E_NS1_11comp_targetILNS1_3genE8ELNS1_11target_archE1030ELNS1_3gpuE2ELNS1_3repE0EEENS1_30default_config_static_selectorELNS0_4arch9wavefront6targetE1EEEvSY_: ; @_ZN7rocprim17ROCPRIM_400000_NS6detail17trampoline_kernelINS0_13select_configILj256ELj13ELNS0_17block_load_methodE3ELS4_3ELS4_3ELNS0_20block_scan_algorithmE0ELj4294967295EEENS1_25partition_config_selectorILNS1_17partition_subalgoE3EjNS0_10empty_typeEbEEZZNS1_14partition_implILS8_3ELb0ES6_jNS0_17counting_iteratorIjlEEPS9_SE_NS0_5tupleIJPjSE_EEENSF_IJSE_SE_EEES9_SG_JZNS1_25segmented_radix_sort_implINS0_14default_configELb1EPKsPsPKlPlN2at6native12_GLOBAL__N_18offset_tEEE10hipError_tPvRmT1_PNSt15iterator_traitsISY_E10value_typeET2_T3_PNSZ_IS14_E10value_typeET4_jRbjT5_S1A_jjP12ihipStream_tbEUljE_EEESV_SW_SX_S14_S18_S1A_T6_T7_T9_mT8_S1C_bDpT10_ENKUlT_T0_E_clISt17integral_constantIbLb0EES1P_EEDaS1K_S1L_EUlS1K_E_NS1_11comp_targetILNS1_3genE8ELNS1_11target_archE1030ELNS1_3gpuE2ELNS1_3repE0EEENS1_30default_config_static_selectorELNS0_4arch9wavefront6targetE1EEEvSY_
; %bb.0:
	.section	.rodata,"a",@progbits
	.p2align	6, 0x0
	.amdhsa_kernel _ZN7rocprim17ROCPRIM_400000_NS6detail17trampoline_kernelINS0_13select_configILj256ELj13ELNS0_17block_load_methodE3ELS4_3ELS4_3ELNS0_20block_scan_algorithmE0ELj4294967295EEENS1_25partition_config_selectorILNS1_17partition_subalgoE3EjNS0_10empty_typeEbEEZZNS1_14partition_implILS8_3ELb0ES6_jNS0_17counting_iteratorIjlEEPS9_SE_NS0_5tupleIJPjSE_EEENSF_IJSE_SE_EEES9_SG_JZNS1_25segmented_radix_sort_implINS0_14default_configELb1EPKsPsPKlPlN2at6native12_GLOBAL__N_18offset_tEEE10hipError_tPvRmT1_PNSt15iterator_traitsISY_E10value_typeET2_T3_PNSZ_IS14_E10value_typeET4_jRbjT5_S1A_jjP12ihipStream_tbEUljE_EEESV_SW_SX_S14_S18_S1A_T6_T7_T9_mT8_S1C_bDpT10_ENKUlT_T0_E_clISt17integral_constantIbLb0EES1P_EEDaS1K_S1L_EUlS1K_E_NS1_11comp_targetILNS1_3genE8ELNS1_11target_archE1030ELNS1_3gpuE2ELNS1_3repE0EEENS1_30default_config_static_selectorELNS0_4arch9wavefront6targetE1EEEvSY_
		.amdhsa_group_segment_fixed_size 0
		.amdhsa_private_segment_fixed_size 0
		.amdhsa_kernarg_size 144
		.amdhsa_user_sgpr_count 6
		.amdhsa_user_sgpr_private_segment_buffer 1
		.amdhsa_user_sgpr_dispatch_ptr 0
		.amdhsa_user_sgpr_queue_ptr 0
		.amdhsa_user_sgpr_kernarg_segment_ptr 1
		.amdhsa_user_sgpr_dispatch_id 0
		.amdhsa_user_sgpr_flat_scratch_init 0
		.amdhsa_user_sgpr_kernarg_preload_length 0
		.amdhsa_user_sgpr_kernarg_preload_offset 0
		.amdhsa_user_sgpr_private_segment_size 0
		.amdhsa_uses_dynamic_stack 0
		.amdhsa_system_sgpr_private_segment_wavefront_offset 0
		.amdhsa_system_sgpr_workgroup_id_x 1
		.amdhsa_system_sgpr_workgroup_id_y 0
		.amdhsa_system_sgpr_workgroup_id_z 0
		.amdhsa_system_sgpr_workgroup_info 0
		.amdhsa_system_vgpr_workitem_id 0
		.amdhsa_next_free_vgpr 1
		.amdhsa_next_free_sgpr 0
		.amdhsa_accum_offset 4
		.amdhsa_reserve_vcc 0
		.amdhsa_reserve_flat_scratch 0
		.amdhsa_float_round_mode_32 0
		.amdhsa_float_round_mode_16_64 0
		.amdhsa_float_denorm_mode_32 3
		.amdhsa_float_denorm_mode_16_64 3
		.amdhsa_dx10_clamp 1
		.amdhsa_ieee_mode 1
		.amdhsa_fp16_overflow 0
		.amdhsa_tg_split 0
		.amdhsa_exception_fp_ieee_invalid_op 0
		.amdhsa_exception_fp_denorm_src 0
		.amdhsa_exception_fp_ieee_div_zero 0
		.amdhsa_exception_fp_ieee_overflow 0
		.amdhsa_exception_fp_ieee_underflow 0
		.amdhsa_exception_fp_ieee_inexact 0
		.amdhsa_exception_int_div_zero 0
	.end_amdhsa_kernel
	.section	.text._ZN7rocprim17ROCPRIM_400000_NS6detail17trampoline_kernelINS0_13select_configILj256ELj13ELNS0_17block_load_methodE3ELS4_3ELS4_3ELNS0_20block_scan_algorithmE0ELj4294967295EEENS1_25partition_config_selectorILNS1_17partition_subalgoE3EjNS0_10empty_typeEbEEZZNS1_14partition_implILS8_3ELb0ES6_jNS0_17counting_iteratorIjlEEPS9_SE_NS0_5tupleIJPjSE_EEENSF_IJSE_SE_EEES9_SG_JZNS1_25segmented_radix_sort_implINS0_14default_configELb1EPKsPsPKlPlN2at6native12_GLOBAL__N_18offset_tEEE10hipError_tPvRmT1_PNSt15iterator_traitsISY_E10value_typeET2_T3_PNSZ_IS14_E10value_typeET4_jRbjT5_S1A_jjP12ihipStream_tbEUljE_EEESV_SW_SX_S14_S18_S1A_T6_T7_T9_mT8_S1C_bDpT10_ENKUlT_T0_E_clISt17integral_constantIbLb0EES1P_EEDaS1K_S1L_EUlS1K_E_NS1_11comp_targetILNS1_3genE8ELNS1_11target_archE1030ELNS1_3gpuE2ELNS1_3repE0EEENS1_30default_config_static_selectorELNS0_4arch9wavefront6targetE1EEEvSY_,"axG",@progbits,_ZN7rocprim17ROCPRIM_400000_NS6detail17trampoline_kernelINS0_13select_configILj256ELj13ELNS0_17block_load_methodE3ELS4_3ELS4_3ELNS0_20block_scan_algorithmE0ELj4294967295EEENS1_25partition_config_selectorILNS1_17partition_subalgoE3EjNS0_10empty_typeEbEEZZNS1_14partition_implILS8_3ELb0ES6_jNS0_17counting_iteratorIjlEEPS9_SE_NS0_5tupleIJPjSE_EEENSF_IJSE_SE_EEES9_SG_JZNS1_25segmented_radix_sort_implINS0_14default_configELb1EPKsPsPKlPlN2at6native12_GLOBAL__N_18offset_tEEE10hipError_tPvRmT1_PNSt15iterator_traitsISY_E10value_typeET2_T3_PNSZ_IS14_E10value_typeET4_jRbjT5_S1A_jjP12ihipStream_tbEUljE_EEESV_SW_SX_S14_S18_S1A_T6_T7_T9_mT8_S1C_bDpT10_ENKUlT_T0_E_clISt17integral_constantIbLb0EES1P_EEDaS1K_S1L_EUlS1K_E_NS1_11comp_targetILNS1_3genE8ELNS1_11target_archE1030ELNS1_3gpuE2ELNS1_3repE0EEENS1_30default_config_static_selectorELNS0_4arch9wavefront6targetE1EEEvSY_,comdat
.Lfunc_end886:
	.size	_ZN7rocprim17ROCPRIM_400000_NS6detail17trampoline_kernelINS0_13select_configILj256ELj13ELNS0_17block_load_methodE3ELS4_3ELS4_3ELNS0_20block_scan_algorithmE0ELj4294967295EEENS1_25partition_config_selectorILNS1_17partition_subalgoE3EjNS0_10empty_typeEbEEZZNS1_14partition_implILS8_3ELb0ES6_jNS0_17counting_iteratorIjlEEPS9_SE_NS0_5tupleIJPjSE_EEENSF_IJSE_SE_EEES9_SG_JZNS1_25segmented_radix_sort_implINS0_14default_configELb1EPKsPsPKlPlN2at6native12_GLOBAL__N_18offset_tEEE10hipError_tPvRmT1_PNSt15iterator_traitsISY_E10value_typeET2_T3_PNSZ_IS14_E10value_typeET4_jRbjT5_S1A_jjP12ihipStream_tbEUljE_EEESV_SW_SX_S14_S18_S1A_T6_T7_T9_mT8_S1C_bDpT10_ENKUlT_T0_E_clISt17integral_constantIbLb0EES1P_EEDaS1K_S1L_EUlS1K_E_NS1_11comp_targetILNS1_3genE8ELNS1_11target_archE1030ELNS1_3gpuE2ELNS1_3repE0EEENS1_30default_config_static_selectorELNS0_4arch9wavefront6targetE1EEEvSY_, .Lfunc_end886-_ZN7rocprim17ROCPRIM_400000_NS6detail17trampoline_kernelINS0_13select_configILj256ELj13ELNS0_17block_load_methodE3ELS4_3ELS4_3ELNS0_20block_scan_algorithmE0ELj4294967295EEENS1_25partition_config_selectorILNS1_17partition_subalgoE3EjNS0_10empty_typeEbEEZZNS1_14partition_implILS8_3ELb0ES6_jNS0_17counting_iteratorIjlEEPS9_SE_NS0_5tupleIJPjSE_EEENSF_IJSE_SE_EEES9_SG_JZNS1_25segmented_radix_sort_implINS0_14default_configELb1EPKsPsPKlPlN2at6native12_GLOBAL__N_18offset_tEEE10hipError_tPvRmT1_PNSt15iterator_traitsISY_E10value_typeET2_T3_PNSZ_IS14_E10value_typeET4_jRbjT5_S1A_jjP12ihipStream_tbEUljE_EEESV_SW_SX_S14_S18_S1A_T6_T7_T9_mT8_S1C_bDpT10_ENKUlT_T0_E_clISt17integral_constantIbLb0EES1P_EEDaS1K_S1L_EUlS1K_E_NS1_11comp_targetILNS1_3genE8ELNS1_11target_archE1030ELNS1_3gpuE2ELNS1_3repE0EEENS1_30default_config_static_selectorELNS0_4arch9wavefront6targetE1EEEvSY_
                                        ; -- End function
	.section	.AMDGPU.csdata,"",@progbits
; Kernel info:
; codeLenInByte = 0
; NumSgprs: 4
; NumVgprs: 0
; NumAgprs: 0
; TotalNumVgprs: 0
; ScratchSize: 0
; MemoryBound: 0
; FloatMode: 240
; IeeeMode: 1
; LDSByteSize: 0 bytes/workgroup (compile time only)
; SGPRBlocks: 0
; VGPRBlocks: 0
; NumSGPRsForWavesPerEU: 4
; NumVGPRsForWavesPerEU: 1
; AccumOffset: 4
; Occupancy: 8
; WaveLimiterHint : 0
; COMPUTE_PGM_RSRC2:SCRATCH_EN: 0
; COMPUTE_PGM_RSRC2:USER_SGPR: 6
; COMPUTE_PGM_RSRC2:TRAP_HANDLER: 0
; COMPUTE_PGM_RSRC2:TGID_X_EN: 1
; COMPUTE_PGM_RSRC2:TGID_Y_EN: 0
; COMPUTE_PGM_RSRC2:TGID_Z_EN: 0
; COMPUTE_PGM_RSRC2:TIDIG_COMP_CNT: 0
; COMPUTE_PGM_RSRC3_GFX90A:ACCUM_OFFSET: 0
; COMPUTE_PGM_RSRC3_GFX90A:TG_SPLIT: 0
	.section	.text._ZN7rocprim17ROCPRIM_400000_NS6detail17trampoline_kernelINS0_13select_configILj256ELj13ELNS0_17block_load_methodE3ELS4_3ELS4_3ELNS0_20block_scan_algorithmE0ELj4294967295EEENS1_25partition_config_selectorILNS1_17partition_subalgoE3EjNS0_10empty_typeEbEEZZNS1_14partition_implILS8_3ELb0ES6_jNS0_17counting_iteratorIjlEEPS9_SE_NS0_5tupleIJPjSE_EEENSF_IJSE_SE_EEES9_SG_JZNS1_25segmented_radix_sort_implINS0_14default_configELb1EPKsPsPKlPlN2at6native12_GLOBAL__N_18offset_tEEE10hipError_tPvRmT1_PNSt15iterator_traitsISY_E10value_typeET2_T3_PNSZ_IS14_E10value_typeET4_jRbjT5_S1A_jjP12ihipStream_tbEUljE_EEESV_SW_SX_S14_S18_S1A_T6_T7_T9_mT8_S1C_bDpT10_ENKUlT_T0_E_clISt17integral_constantIbLb1EES1P_EEDaS1K_S1L_EUlS1K_E_NS1_11comp_targetILNS1_3genE0ELNS1_11target_archE4294967295ELNS1_3gpuE0ELNS1_3repE0EEENS1_30default_config_static_selectorELNS0_4arch9wavefront6targetE1EEEvSY_,"axG",@progbits,_ZN7rocprim17ROCPRIM_400000_NS6detail17trampoline_kernelINS0_13select_configILj256ELj13ELNS0_17block_load_methodE3ELS4_3ELS4_3ELNS0_20block_scan_algorithmE0ELj4294967295EEENS1_25partition_config_selectorILNS1_17partition_subalgoE3EjNS0_10empty_typeEbEEZZNS1_14partition_implILS8_3ELb0ES6_jNS0_17counting_iteratorIjlEEPS9_SE_NS0_5tupleIJPjSE_EEENSF_IJSE_SE_EEES9_SG_JZNS1_25segmented_radix_sort_implINS0_14default_configELb1EPKsPsPKlPlN2at6native12_GLOBAL__N_18offset_tEEE10hipError_tPvRmT1_PNSt15iterator_traitsISY_E10value_typeET2_T3_PNSZ_IS14_E10value_typeET4_jRbjT5_S1A_jjP12ihipStream_tbEUljE_EEESV_SW_SX_S14_S18_S1A_T6_T7_T9_mT8_S1C_bDpT10_ENKUlT_T0_E_clISt17integral_constantIbLb1EES1P_EEDaS1K_S1L_EUlS1K_E_NS1_11comp_targetILNS1_3genE0ELNS1_11target_archE4294967295ELNS1_3gpuE0ELNS1_3repE0EEENS1_30default_config_static_selectorELNS0_4arch9wavefront6targetE1EEEvSY_,comdat
	.globl	_ZN7rocprim17ROCPRIM_400000_NS6detail17trampoline_kernelINS0_13select_configILj256ELj13ELNS0_17block_load_methodE3ELS4_3ELS4_3ELNS0_20block_scan_algorithmE0ELj4294967295EEENS1_25partition_config_selectorILNS1_17partition_subalgoE3EjNS0_10empty_typeEbEEZZNS1_14partition_implILS8_3ELb0ES6_jNS0_17counting_iteratorIjlEEPS9_SE_NS0_5tupleIJPjSE_EEENSF_IJSE_SE_EEES9_SG_JZNS1_25segmented_radix_sort_implINS0_14default_configELb1EPKsPsPKlPlN2at6native12_GLOBAL__N_18offset_tEEE10hipError_tPvRmT1_PNSt15iterator_traitsISY_E10value_typeET2_T3_PNSZ_IS14_E10value_typeET4_jRbjT5_S1A_jjP12ihipStream_tbEUljE_EEESV_SW_SX_S14_S18_S1A_T6_T7_T9_mT8_S1C_bDpT10_ENKUlT_T0_E_clISt17integral_constantIbLb1EES1P_EEDaS1K_S1L_EUlS1K_E_NS1_11comp_targetILNS1_3genE0ELNS1_11target_archE4294967295ELNS1_3gpuE0ELNS1_3repE0EEENS1_30default_config_static_selectorELNS0_4arch9wavefront6targetE1EEEvSY_ ; -- Begin function _ZN7rocprim17ROCPRIM_400000_NS6detail17trampoline_kernelINS0_13select_configILj256ELj13ELNS0_17block_load_methodE3ELS4_3ELS4_3ELNS0_20block_scan_algorithmE0ELj4294967295EEENS1_25partition_config_selectorILNS1_17partition_subalgoE3EjNS0_10empty_typeEbEEZZNS1_14partition_implILS8_3ELb0ES6_jNS0_17counting_iteratorIjlEEPS9_SE_NS0_5tupleIJPjSE_EEENSF_IJSE_SE_EEES9_SG_JZNS1_25segmented_radix_sort_implINS0_14default_configELb1EPKsPsPKlPlN2at6native12_GLOBAL__N_18offset_tEEE10hipError_tPvRmT1_PNSt15iterator_traitsISY_E10value_typeET2_T3_PNSZ_IS14_E10value_typeET4_jRbjT5_S1A_jjP12ihipStream_tbEUljE_EEESV_SW_SX_S14_S18_S1A_T6_T7_T9_mT8_S1C_bDpT10_ENKUlT_T0_E_clISt17integral_constantIbLb1EES1P_EEDaS1K_S1L_EUlS1K_E_NS1_11comp_targetILNS1_3genE0ELNS1_11target_archE4294967295ELNS1_3gpuE0ELNS1_3repE0EEENS1_30default_config_static_selectorELNS0_4arch9wavefront6targetE1EEEvSY_
	.p2align	8
	.type	_ZN7rocprim17ROCPRIM_400000_NS6detail17trampoline_kernelINS0_13select_configILj256ELj13ELNS0_17block_load_methodE3ELS4_3ELS4_3ELNS0_20block_scan_algorithmE0ELj4294967295EEENS1_25partition_config_selectorILNS1_17partition_subalgoE3EjNS0_10empty_typeEbEEZZNS1_14partition_implILS8_3ELb0ES6_jNS0_17counting_iteratorIjlEEPS9_SE_NS0_5tupleIJPjSE_EEENSF_IJSE_SE_EEES9_SG_JZNS1_25segmented_radix_sort_implINS0_14default_configELb1EPKsPsPKlPlN2at6native12_GLOBAL__N_18offset_tEEE10hipError_tPvRmT1_PNSt15iterator_traitsISY_E10value_typeET2_T3_PNSZ_IS14_E10value_typeET4_jRbjT5_S1A_jjP12ihipStream_tbEUljE_EEESV_SW_SX_S14_S18_S1A_T6_T7_T9_mT8_S1C_bDpT10_ENKUlT_T0_E_clISt17integral_constantIbLb1EES1P_EEDaS1K_S1L_EUlS1K_E_NS1_11comp_targetILNS1_3genE0ELNS1_11target_archE4294967295ELNS1_3gpuE0ELNS1_3repE0EEENS1_30default_config_static_selectorELNS0_4arch9wavefront6targetE1EEEvSY_,@function
_ZN7rocprim17ROCPRIM_400000_NS6detail17trampoline_kernelINS0_13select_configILj256ELj13ELNS0_17block_load_methodE3ELS4_3ELS4_3ELNS0_20block_scan_algorithmE0ELj4294967295EEENS1_25partition_config_selectorILNS1_17partition_subalgoE3EjNS0_10empty_typeEbEEZZNS1_14partition_implILS8_3ELb0ES6_jNS0_17counting_iteratorIjlEEPS9_SE_NS0_5tupleIJPjSE_EEENSF_IJSE_SE_EEES9_SG_JZNS1_25segmented_radix_sort_implINS0_14default_configELb1EPKsPsPKlPlN2at6native12_GLOBAL__N_18offset_tEEE10hipError_tPvRmT1_PNSt15iterator_traitsISY_E10value_typeET2_T3_PNSZ_IS14_E10value_typeET4_jRbjT5_S1A_jjP12ihipStream_tbEUljE_EEESV_SW_SX_S14_S18_S1A_T6_T7_T9_mT8_S1C_bDpT10_ENKUlT_T0_E_clISt17integral_constantIbLb1EES1P_EEDaS1K_S1L_EUlS1K_E_NS1_11comp_targetILNS1_3genE0ELNS1_11target_archE4294967295ELNS1_3gpuE0ELNS1_3repE0EEENS1_30default_config_static_selectorELNS0_4arch9wavefront6targetE1EEEvSY_: ; @_ZN7rocprim17ROCPRIM_400000_NS6detail17trampoline_kernelINS0_13select_configILj256ELj13ELNS0_17block_load_methodE3ELS4_3ELS4_3ELNS0_20block_scan_algorithmE0ELj4294967295EEENS1_25partition_config_selectorILNS1_17partition_subalgoE3EjNS0_10empty_typeEbEEZZNS1_14partition_implILS8_3ELb0ES6_jNS0_17counting_iteratorIjlEEPS9_SE_NS0_5tupleIJPjSE_EEENSF_IJSE_SE_EEES9_SG_JZNS1_25segmented_radix_sort_implINS0_14default_configELb1EPKsPsPKlPlN2at6native12_GLOBAL__N_18offset_tEEE10hipError_tPvRmT1_PNSt15iterator_traitsISY_E10value_typeET2_T3_PNSZ_IS14_E10value_typeET4_jRbjT5_S1A_jjP12ihipStream_tbEUljE_EEESV_SW_SX_S14_S18_S1A_T6_T7_T9_mT8_S1C_bDpT10_ENKUlT_T0_E_clISt17integral_constantIbLb1EES1P_EEDaS1K_S1L_EUlS1K_E_NS1_11comp_targetILNS1_3genE0ELNS1_11target_archE4294967295ELNS1_3gpuE0ELNS1_3repE0EEENS1_30default_config_static_selectorELNS0_4arch9wavefront6targetE1EEEvSY_
; %bb.0:
	.section	.rodata,"a",@progbits
	.p2align	6, 0x0
	.amdhsa_kernel _ZN7rocprim17ROCPRIM_400000_NS6detail17trampoline_kernelINS0_13select_configILj256ELj13ELNS0_17block_load_methodE3ELS4_3ELS4_3ELNS0_20block_scan_algorithmE0ELj4294967295EEENS1_25partition_config_selectorILNS1_17partition_subalgoE3EjNS0_10empty_typeEbEEZZNS1_14partition_implILS8_3ELb0ES6_jNS0_17counting_iteratorIjlEEPS9_SE_NS0_5tupleIJPjSE_EEENSF_IJSE_SE_EEES9_SG_JZNS1_25segmented_radix_sort_implINS0_14default_configELb1EPKsPsPKlPlN2at6native12_GLOBAL__N_18offset_tEEE10hipError_tPvRmT1_PNSt15iterator_traitsISY_E10value_typeET2_T3_PNSZ_IS14_E10value_typeET4_jRbjT5_S1A_jjP12ihipStream_tbEUljE_EEESV_SW_SX_S14_S18_S1A_T6_T7_T9_mT8_S1C_bDpT10_ENKUlT_T0_E_clISt17integral_constantIbLb1EES1P_EEDaS1K_S1L_EUlS1K_E_NS1_11comp_targetILNS1_3genE0ELNS1_11target_archE4294967295ELNS1_3gpuE0ELNS1_3repE0EEENS1_30default_config_static_selectorELNS0_4arch9wavefront6targetE1EEEvSY_
		.amdhsa_group_segment_fixed_size 0
		.amdhsa_private_segment_fixed_size 0
		.amdhsa_kernarg_size 152
		.amdhsa_user_sgpr_count 6
		.amdhsa_user_sgpr_private_segment_buffer 1
		.amdhsa_user_sgpr_dispatch_ptr 0
		.amdhsa_user_sgpr_queue_ptr 0
		.amdhsa_user_sgpr_kernarg_segment_ptr 1
		.amdhsa_user_sgpr_dispatch_id 0
		.amdhsa_user_sgpr_flat_scratch_init 0
		.amdhsa_user_sgpr_kernarg_preload_length 0
		.amdhsa_user_sgpr_kernarg_preload_offset 0
		.amdhsa_user_sgpr_private_segment_size 0
		.amdhsa_uses_dynamic_stack 0
		.amdhsa_system_sgpr_private_segment_wavefront_offset 0
		.amdhsa_system_sgpr_workgroup_id_x 1
		.amdhsa_system_sgpr_workgroup_id_y 0
		.amdhsa_system_sgpr_workgroup_id_z 0
		.amdhsa_system_sgpr_workgroup_info 0
		.amdhsa_system_vgpr_workitem_id 0
		.amdhsa_next_free_vgpr 1
		.amdhsa_next_free_sgpr 0
		.amdhsa_accum_offset 4
		.amdhsa_reserve_vcc 0
		.amdhsa_reserve_flat_scratch 0
		.amdhsa_float_round_mode_32 0
		.amdhsa_float_round_mode_16_64 0
		.amdhsa_float_denorm_mode_32 3
		.amdhsa_float_denorm_mode_16_64 3
		.amdhsa_dx10_clamp 1
		.amdhsa_ieee_mode 1
		.amdhsa_fp16_overflow 0
		.amdhsa_tg_split 0
		.amdhsa_exception_fp_ieee_invalid_op 0
		.amdhsa_exception_fp_denorm_src 0
		.amdhsa_exception_fp_ieee_div_zero 0
		.amdhsa_exception_fp_ieee_overflow 0
		.amdhsa_exception_fp_ieee_underflow 0
		.amdhsa_exception_fp_ieee_inexact 0
		.amdhsa_exception_int_div_zero 0
	.end_amdhsa_kernel
	.section	.text._ZN7rocprim17ROCPRIM_400000_NS6detail17trampoline_kernelINS0_13select_configILj256ELj13ELNS0_17block_load_methodE3ELS4_3ELS4_3ELNS0_20block_scan_algorithmE0ELj4294967295EEENS1_25partition_config_selectorILNS1_17partition_subalgoE3EjNS0_10empty_typeEbEEZZNS1_14partition_implILS8_3ELb0ES6_jNS0_17counting_iteratorIjlEEPS9_SE_NS0_5tupleIJPjSE_EEENSF_IJSE_SE_EEES9_SG_JZNS1_25segmented_radix_sort_implINS0_14default_configELb1EPKsPsPKlPlN2at6native12_GLOBAL__N_18offset_tEEE10hipError_tPvRmT1_PNSt15iterator_traitsISY_E10value_typeET2_T3_PNSZ_IS14_E10value_typeET4_jRbjT5_S1A_jjP12ihipStream_tbEUljE_EEESV_SW_SX_S14_S18_S1A_T6_T7_T9_mT8_S1C_bDpT10_ENKUlT_T0_E_clISt17integral_constantIbLb1EES1P_EEDaS1K_S1L_EUlS1K_E_NS1_11comp_targetILNS1_3genE0ELNS1_11target_archE4294967295ELNS1_3gpuE0ELNS1_3repE0EEENS1_30default_config_static_selectorELNS0_4arch9wavefront6targetE1EEEvSY_,"axG",@progbits,_ZN7rocprim17ROCPRIM_400000_NS6detail17trampoline_kernelINS0_13select_configILj256ELj13ELNS0_17block_load_methodE3ELS4_3ELS4_3ELNS0_20block_scan_algorithmE0ELj4294967295EEENS1_25partition_config_selectorILNS1_17partition_subalgoE3EjNS0_10empty_typeEbEEZZNS1_14partition_implILS8_3ELb0ES6_jNS0_17counting_iteratorIjlEEPS9_SE_NS0_5tupleIJPjSE_EEENSF_IJSE_SE_EEES9_SG_JZNS1_25segmented_radix_sort_implINS0_14default_configELb1EPKsPsPKlPlN2at6native12_GLOBAL__N_18offset_tEEE10hipError_tPvRmT1_PNSt15iterator_traitsISY_E10value_typeET2_T3_PNSZ_IS14_E10value_typeET4_jRbjT5_S1A_jjP12ihipStream_tbEUljE_EEESV_SW_SX_S14_S18_S1A_T6_T7_T9_mT8_S1C_bDpT10_ENKUlT_T0_E_clISt17integral_constantIbLb1EES1P_EEDaS1K_S1L_EUlS1K_E_NS1_11comp_targetILNS1_3genE0ELNS1_11target_archE4294967295ELNS1_3gpuE0ELNS1_3repE0EEENS1_30default_config_static_selectorELNS0_4arch9wavefront6targetE1EEEvSY_,comdat
.Lfunc_end887:
	.size	_ZN7rocprim17ROCPRIM_400000_NS6detail17trampoline_kernelINS0_13select_configILj256ELj13ELNS0_17block_load_methodE3ELS4_3ELS4_3ELNS0_20block_scan_algorithmE0ELj4294967295EEENS1_25partition_config_selectorILNS1_17partition_subalgoE3EjNS0_10empty_typeEbEEZZNS1_14partition_implILS8_3ELb0ES6_jNS0_17counting_iteratorIjlEEPS9_SE_NS0_5tupleIJPjSE_EEENSF_IJSE_SE_EEES9_SG_JZNS1_25segmented_radix_sort_implINS0_14default_configELb1EPKsPsPKlPlN2at6native12_GLOBAL__N_18offset_tEEE10hipError_tPvRmT1_PNSt15iterator_traitsISY_E10value_typeET2_T3_PNSZ_IS14_E10value_typeET4_jRbjT5_S1A_jjP12ihipStream_tbEUljE_EEESV_SW_SX_S14_S18_S1A_T6_T7_T9_mT8_S1C_bDpT10_ENKUlT_T0_E_clISt17integral_constantIbLb1EES1P_EEDaS1K_S1L_EUlS1K_E_NS1_11comp_targetILNS1_3genE0ELNS1_11target_archE4294967295ELNS1_3gpuE0ELNS1_3repE0EEENS1_30default_config_static_selectorELNS0_4arch9wavefront6targetE1EEEvSY_, .Lfunc_end887-_ZN7rocprim17ROCPRIM_400000_NS6detail17trampoline_kernelINS0_13select_configILj256ELj13ELNS0_17block_load_methodE3ELS4_3ELS4_3ELNS0_20block_scan_algorithmE0ELj4294967295EEENS1_25partition_config_selectorILNS1_17partition_subalgoE3EjNS0_10empty_typeEbEEZZNS1_14partition_implILS8_3ELb0ES6_jNS0_17counting_iteratorIjlEEPS9_SE_NS0_5tupleIJPjSE_EEENSF_IJSE_SE_EEES9_SG_JZNS1_25segmented_radix_sort_implINS0_14default_configELb1EPKsPsPKlPlN2at6native12_GLOBAL__N_18offset_tEEE10hipError_tPvRmT1_PNSt15iterator_traitsISY_E10value_typeET2_T3_PNSZ_IS14_E10value_typeET4_jRbjT5_S1A_jjP12ihipStream_tbEUljE_EEESV_SW_SX_S14_S18_S1A_T6_T7_T9_mT8_S1C_bDpT10_ENKUlT_T0_E_clISt17integral_constantIbLb1EES1P_EEDaS1K_S1L_EUlS1K_E_NS1_11comp_targetILNS1_3genE0ELNS1_11target_archE4294967295ELNS1_3gpuE0ELNS1_3repE0EEENS1_30default_config_static_selectorELNS0_4arch9wavefront6targetE1EEEvSY_
                                        ; -- End function
	.section	.AMDGPU.csdata,"",@progbits
; Kernel info:
; codeLenInByte = 0
; NumSgprs: 4
; NumVgprs: 0
; NumAgprs: 0
; TotalNumVgprs: 0
; ScratchSize: 0
; MemoryBound: 0
; FloatMode: 240
; IeeeMode: 1
; LDSByteSize: 0 bytes/workgroup (compile time only)
; SGPRBlocks: 0
; VGPRBlocks: 0
; NumSGPRsForWavesPerEU: 4
; NumVGPRsForWavesPerEU: 1
; AccumOffset: 4
; Occupancy: 8
; WaveLimiterHint : 0
; COMPUTE_PGM_RSRC2:SCRATCH_EN: 0
; COMPUTE_PGM_RSRC2:USER_SGPR: 6
; COMPUTE_PGM_RSRC2:TRAP_HANDLER: 0
; COMPUTE_PGM_RSRC2:TGID_X_EN: 1
; COMPUTE_PGM_RSRC2:TGID_Y_EN: 0
; COMPUTE_PGM_RSRC2:TGID_Z_EN: 0
; COMPUTE_PGM_RSRC2:TIDIG_COMP_CNT: 0
; COMPUTE_PGM_RSRC3_GFX90A:ACCUM_OFFSET: 0
; COMPUTE_PGM_RSRC3_GFX90A:TG_SPLIT: 0
	.section	.text._ZN7rocprim17ROCPRIM_400000_NS6detail17trampoline_kernelINS0_13select_configILj256ELj13ELNS0_17block_load_methodE3ELS4_3ELS4_3ELNS0_20block_scan_algorithmE0ELj4294967295EEENS1_25partition_config_selectorILNS1_17partition_subalgoE3EjNS0_10empty_typeEbEEZZNS1_14partition_implILS8_3ELb0ES6_jNS0_17counting_iteratorIjlEEPS9_SE_NS0_5tupleIJPjSE_EEENSF_IJSE_SE_EEES9_SG_JZNS1_25segmented_radix_sort_implINS0_14default_configELb1EPKsPsPKlPlN2at6native12_GLOBAL__N_18offset_tEEE10hipError_tPvRmT1_PNSt15iterator_traitsISY_E10value_typeET2_T3_PNSZ_IS14_E10value_typeET4_jRbjT5_S1A_jjP12ihipStream_tbEUljE_EEESV_SW_SX_S14_S18_S1A_T6_T7_T9_mT8_S1C_bDpT10_ENKUlT_T0_E_clISt17integral_constantIbLb1EES1P_EEDaS1K_S1L_EUlS1K_E_NS1_11comp_targetILNS1_3genE5ELNS1_11target_archE942ELNS1_3gpuE9ELNS1_3repE0EEENS1_30default_config_static_selectorELNS0_4arch9wavefront6targetE1EEEvSY_,"axG",@progbits,_ZN7rocprim17ROCPRIM_400000_NS6detail17trampoline_kernelINS0_13select_configILj256ELj13ELNS0_17block_load_methodE3ELS4_3ELS4_3ELNS0_20block_scan_algorithmE0ELj4294967295EEENS1_25partition_config_selectorILNS1_17partition_subalgoE3EjNS0_10empty_typeEbEEZZNS1_14partition_implILS8_3ELb0ES6_jNS0_17counting_iteratorIjlEEPS9_SE_NS0_5tupleIJPjSE_EEENSF_IJSE_SE_EEES9_SG_JZNS1_25segmented_radix_sort_implINS0_14default_configELb1EPKsPsPKlPlN2at6native12_GLOBAL__N_18offset_tEEE10hipError_tPvRmT1_PNSt15iterator_traitsISY_E10value_typeET2_T3_PNSZ_IS14_E10value_typeET4_jRbjT5_S1A_jjP12ihipStream_tbEUljE_EEESV_SW_SX_S14_S18_S1A_T6_T7_T9_mT8_S1C_bDpT10_ENKUlT_T0_E_clISt17integral_constantIbLb1EES1P_EEDaS1K_S1L_EUlS1K_E_NS1_11comp_targetILNS1_3genE5ELNS1_11target_archE942ELNS1_3gpuE9ELNS1_3repE0EEENS1_30default_config_static_selectorELNS0_4arch9wavefront6targetE1EEEvSY_,comdat
	.globl	_ZN7rocprim17ROCPRIM_400000_NS6detail17trampoline_kernelINS0_13select_configILj256ELj13ELNS0_17block_load_methodE3ELS4_3ELS4_3ELNS0_20block_scan_algorithmE0ELj4294967295EEENS1_25partition_config_selectorILNS1_17partition_subalgoE3EjNS0_10empty_typeEbEEZZNS1_14partition_implILS8_3ELb0ES6_jNS0_17counting_iteratorIjlEEPS9_SE_NS0_5tupleIJPjSE_EEENSF_IJSE_SE_EEES9_SG_JZNS1_25segmented_radix_sort_implINS0_14default_configELb1EPKsPsPKlPlN2at6native12_GLOBAL__N_18offset_tEEE10hipError_tPvRmT1_PNSt15iterator_traitsISY_E10value_typeET2_T3_PNSZ_IS14_E10value_typeET4_jRbjT5_S1A_jjP12ihipStream_tbEUljE_EEESV_SW_SX_S14_S18_S1A_T6_T7_T9_mT8_S1C_bDpT10_ENKUlT_T0_E_clISt17integral_constantIbLb1EES1P_EEDaS1K_S1L_EUlS1K_E_NS1_11comp_targetILNS1_3genE5ELNS1_11target_archE942ELNS1_3gpuE9ELNS1_3repE0EEENS1_30default_config_static_selectorELNS0_4arch9wavefront6targetE1EEEvSY_ ; -- Begin function _ZN7rocprim17ROCPRIM_400000_NS6detail17trampoline_kernelINS0_13select_configILj256ELj13ELNS0_17block_load_methodE3ELS4_3ELS4_3ELNS0_20block_scan_algorithmE0ELj4294967295EEENS1_25partition_config_selectorILNS1_17partition_subalgoE3EjNS0_10empty_typeEbEEZZNS1_14partition_implILS8_3ELb0ES6_jNS0_17counting_iteratorIjlEEPS9_SE_NS0_5tupleIJPjSE_EEENSF_IJSE_SE_EEES9_SG_JZNS1_25segmented_radix_sort_implINS0_14default_configELb1EPKsPsPKlPlN2at6native12_GLOBAL__N_18offset_tEEE10hipError_tPvRmT1_PNSt15iterator_traitsISY_E10value_typeET2_T3_PNSZ_IS14_E10value_typeET4_jRbjT5_S1A_jjP12ihipStream_tbEUljE_EEESV_SW_SX_S14_S18_S1A_T6_T7_T9_mT8_S1C_bDpT10_ENKUlT_T0_E_clISt17integral_constantIbLb1EES1P_EEDaS1K_S1L_EUlS1K_E_NS1_11comp_targetILNS1_3genE5ELNS1_11target_archE942ELNS1_3gpuE9ELNS1_3repE0EEENS1_30default_config_static_selectorELNS0_4arch9wavefront6targetE1EEEvSY_
	.p2align	8
	.type	_ZN7rocprim17ROCPRIM_400000_NS6detail17trampoline_kernelINS0_13select_configILj256ELj13ELNS0_17block_load_methodE3ELS4_3ELS4_3ELNS0_20block_scan_algorithmE0ELj4294967295EEENS1_25partition_config_selectorILNS1_17partition_subalgoE3EjNS0_10empty_typeEbEEZZNS1_14partition_implILS8_3ELb0ES6_jNS0_17counting_iteratorIjlEEPS9_SE_NS0_5tupleIJPjSE_EEENSF_IJSE_SE_EEES9_SG_JZNS1_25segmented_radix_sort_implINS0_14default_configELb1EPKsPsPKlPlN2at6native12_GLOBAL__N_18offset_tEEE10hipError_tPvRmT1_PNSt15iterator_traitsISY_E10value_typeET2_T3_PNSZ_IS14_E10value_typeET4_jRbjT5_S1A_jjP12ihipStream_tbEUljE_EEESV_SW_SX_S14_S18_S1A_T6_T7_T9_mT8_S1C_bDpT10_ENKUlT_T0_E_clISt17integral_constantIbLb1EES1P_EEDaS1K_S1L_EUlS1K_E_NS1_11comp_targetILNS1_3genE5ELNS1_11target_archE942ELNS1_3gpuE9ELNS1_3repE0EEENS1_30default_config_static_selectorELNS0_4arch9wavefront6targetE1EEEvSY_,@function
_ZN7rocprim17ROCPRIM_400000_NS6detail17trampoline_kernelINS0_13select_configILj256ELj13ELNS0_17block_load_methodE3ELS4_3ELS4_3ELNS0_20block_scan_algorithmE0ELj4294967295EEENS1_25partition_config_selectorILNS1_17partition_subalgoE3EjNS0_10empty_typeEbEEZZNS1_14partition_implILS8_3ELb0ES6_jNS0_17counting_iteratorIjlEEPS9_SE_NS0_5tupleIJPjSE_EEENSF_IJSE_SE_EEES9_SG_JZNS1_25segmented_radix_sort_implINS0_14default_configELb1EPKsPsPKlPlN2at6native12_GLOBAL__N_18offset_tEEE10hipError_tPvRmT1_PNSt15iterator_traitsISY_E10value_typeET2_T3_PNSZ_IS14_E10value_typeET4_jRbjT5_S1A_jjP12ihipStream_tbEUljE_EEESV_SW_SX_S14_S18_S1A_T6_T7_T9_mT8_S1C_bDpT10_ENKUlT_T0_E_clISt17integral_constantIbLb1EES1P_EEDaS1K_S1L_EUlS1K_E_NS1_11comp_targetILNS1_3genE5ELNS1_11target_archE942ELNS1_3gpuE9ELNS1_3repE0EEENS1_30default_config_static_selectorELNS0_4arch9wavefront6targetE1EEEvSY_: ; @_ZN7rocprim17ROCPRIM_400000_NS6detail17trampoline_kernelINS0_13select_configILj256ELj13ELNS0_17block_load_methodE3ELS4_3ELS4_3ELNS0_20block_scan_algorithmE0ELj4294967295EEENS1_25partition_config_selectorILNS1_17partition_subalgoE3EjNS0_10empty_typeEbEEZZNS1_14partition_implILS8_3ELb0ES6_jNS0_17counting_iteratorIjlEEPS9_SE_NS0_5tupleIJPjSE_EEENSF_IJSE_SE_EEES9_SG_JZNS1_25segmented_radix_sort_implINS0_14default_configELb1EPKsPsPKlPlN2at6native12_GLOBAL__N_18offset_tEEE10hipError_tPvRmT1_PNSt15iterator_traitsISY_E10value_typeET2_T3_PNSZ_IS14_E10value_typeET4_jRbjT5_S1A_jjP12ihipStream_tbEUljE_EEESV_SW_SX_S14_S18_S1A_T6_T7_T9_mT8_S1C_bDpT10_ENKUlT_T0_E_clISt17integral_constantIbLb1EES1P_EEDaS1K_S1L_EUlS1K_E_NS1_11comp_targetILNS1_3genE5ELNS1_11target_archE942ELNS1_3gpuE9ELNS1_3repE0EEENS1_30default_config_static_selectorELNS0_4arch9wavefront6targetE1EEEvSY_
; %bb.0:
	.section	.rodata,"a",@progbits
	.p2align	6, 0x0
	.amdhsa_kernel _ZN7rocprim17ROCPRIM_400000_NS6detail17trampoline_kernelINS0_13select_configILj256ELj13ELNS0_17block_load_methodE3ELS4_3ELS4_3ELNS0_20block_scan_algorithmE0ELj4294967295EEENS1_25partition_config_selectorILNS1_17partition_subalgoE3EjNS0_10empty_typeEbEEZZNS1_14partition_implILS8_3ELb0ES6_jNS0_17counting_iteratorIjlEEPS9_SE_NS0_5tupleIJPjSE_EEENSF_IJSE_SE_EEES9_SG_JZNS1_25segmented_radix_sort_implINS0_14default_configELb1EPKsPsPKlPlN2at6native12_GLOBAL__N_18offset_tEEE10hipError_tPvRmT1_PNSt15iterator_traitsISY_E10value_typeET2_T3_PNSZ_IS14_E10value_typeET4_jRbjT5_S1A_jjP12ihipStream_tbEUljE_EEESV_SW_SX_S14_S18_S1A_T6_T7_T9_mT8_S1C_bDpT10_ENKUlT_T0_E_clISt17integral_constantIbLb1EES1P_EEDaS1K_S1L_EUlS1K_E_NS1_11comp_targetILNS1_3genE5ELNS1_11target_archE942ELNS1_3gpuE9ELNS1_3repE0EEENS1_30default_config_static_selectorELNS0_4arch9wavefront6targetE1EEEvSY_
		.amdhsa_group_segment_fixed_size 0
		.amdhsa_private_segment_fixed_size 0
		.amdhsa_kernarg_size 152
		.amdhsa_user_sgpr_count 6
		.amdhsa_user_sgpr_private_segment_buffer 1
		.amdhsa_user_sgpr_dispatch_ptr 0
		.amdhsa_user_sgpr_queue_ptr 0
		.amdhsa_user_sgpr_kernarg_segment_ptr 1
		.amdhsa_user_sgpr_dispatch_id 0
		.amdhsa_user_sgpr_flat_scratch_init 0
		.amdhsa_user_sgpr_kernarg_preload_length 0
		.amdhsa_user_sgpr_kernarg_preload_offset 0
		.amdhsa_user_sgpr_private_segment_size 0
		.amdhsa_uses_dynamic_stack 0
		.amdhsa_system_sgpr_private_segment_wavefront_offset 0
		.amdhsa_system_sgpr_workgroup_id_x 1
		.amdhsa_system_sgpr_workgroup_id_y 0
		.amdhsa_system_sgpr_workgroup_id_z 0
		.amdhsa_system_sgpr_workgroup_info 0
		.amdhsa_system_vgpr_workitem_id 0
		.amdhsa_next_free_vgpr 1
		.amdhsa_next_free_sgpr 0
		.amdhsa_accum_offset 4
		.amdhsa_reserve_vcc 0
		.amdhsa_reserve_flat_scratch 0
		.amdhsa_float_round_mode_32 0
		.amdhsa_float_round_mode_16_64 0
		.amdhsa_float_denorm_mode_32 3
		.amdhsa_float_denorm_mode_16_64 3
		.amdhsa_dx10_clamp 1
		.amdhsa_ieee_mode 1
		.amdhsa_fp16_overflow 0
		.amdhsa_tg_split 0
		.amdhsa_exception_fp_ieee_invalid_op 0
		.amdhsa_exception_fp_denorm_src 0
		.amdhsa_exception_fp_ieee_div_zero 0
		.amdhsa_exception_fp_ieee_overflow 0
		.amdhsa_exception_fp_ieee_underflow 0
		.amdhsa_exception_fp_ieee_inexact 0
		.amdhsa_exception_int_div_zero 0
	.end_amdhsa_kernel
	.section	.text._ZN7rocprim17ROCPRIM_400000_NS6detail17trampoline_kernelINS0_13select_configILj256ELj13ELNS0_17block_load_methodE3ELS4_3ELS4_3ELNS0_20block_scan_algorithmE0ELj4294967295EEENS1_25partition_config_selectorILNS1_17partition_subalgoE3EjNS0_10empty_typeEbEEZZNS1_14partition_implILS8_3ELb0ES6_jNS0_17counting_iteratorIjlEEPS9_SE_NS0_5tupleIJPjSE_EEENSF_IJSE_SE_EEES9_SG_JZNS1_25segmented_radix_sort_implINS0_14default_configELb1EPKsPsPKlPlN2at6native12_GLOBAL__N_18offset_tEEE10hipError_tPvRmT1_PNSt15iterator_traitsISY_E10value_typeET2_T3_PNSZ_IS14_E10value_typeET4_jRbjT5_S1A_jjP12ihipStream_tbEUljE_EEESV_SW_SX_S14_S18_S1A_T6_T7_T9_mT8_S1C_bDpT10_ENKUlT_T0_E_clISt17integral_constantIbLb1EES1P_EEDaS1K_S1L_EUlS1K_E_NS1_11comp_targetILNS1_3genE5ELNS1_11target_archE942ELNS1_3gpuE9ELNS1_3repE0EEENS1_30default_config_static_selectorELNS0_4arch9wavefront6targetE1EEEvSY_,"axG",@progbits,_ZN7rocprim17ROCPRIM_400000_NS6detail17trampoline_kernelINS0_13select_configILj256ELj13ELNS0_17block_load_methodE3ELS4_3ELS4_3ELNS0_20block_scan_algorithmE0ELj4294967295EEENS1_25partition_config_selectorILNS1_17partition_subalgoE3EjNS0_10empty_typeEbEEZZNS1_14partition_implILS8_3ELb0ES6_jNS0_17counting_iteratorIjlEEPS9_SE_NS0_5tupleIJPjSE_EEENSF_IJSE_SE_EEES9_SG_JZNS1_25segmented_radix_sort_implINS0_14default_configELb1EPKsPsPKlPlN2at6native12_GLOBAL__N_18offset_tEEE10hipError_tPvRmT1_PNSt15iterator_traitsISY_E10value_typeET2_T3_PNSZ_IS14_E10value_typeET4_jRbjT5_S1A_jjP12ihipStream_tbEUljE_EEESV_SW_SX_S14_S18_S1A_T6_T7_T9_mT8_S1C_bDpT10_ENKUlT_T0_E_clISt17integral_constantIbLb1EES1P_EEDaS1K_S1L_EUlS1K_E_NS1_11comp_targetILNS1_3genE5ELNS1_11target_archE942ELNS1_3gpuE9ELNS1_3repE0EEENS1_30default_config_static_selectorELNS0_4arch9wavefront6targetE1EEEvSY_,comdat
.Lfunc_end888:
	.size	_ZN7rocprim17ROCPRIM_400000_NS6detail17trampoline_kernelINS0_13select_configILj256ELj13ELNS0_17block_load_methodE3ELS4_3ELS4_3ELNS0_20block_scan_algorithmE0ELj4294967295EEENS1_25partition_config_selectorILNS1_17partition_subalgoE3EjNS0_10empty_typeEbEEZZNS1_14partition_implILS8_3ELb0ES6_jNS0_17counting_iteratorIjlEEPS9_SE_NS0_5tupleIJPjSE_EEENSF_IJSE_SE_EEES9_SG_JZNS1_25segmented_radix_sort_implINS0_14default_configELb1EPKsPsPKlPlN2at6native12_GLOBAL__N_18offset_tEEE10hipError_tPvRmT1_PNSt15iterator_traitsISY_E10value_typeET2_T3_PNSZ_IS14_E10value_typeET4_jRbjT5_S1A_jjP12ihipStream_tbEUljE_EEESV_SW_SX_S14_S18_S1A_T6_T7_T9_mT8_S1C_bDpT10_ENKUlT_T0_E_clISt17integral_constantIbLb1EES1P_EEDaS1K_S1L_EUlS1K_E_NS1_11comp_targetILNS1_3genE5ELNS1_11target_archE942ELNS1_3gpuE9ELNS1_3repE0EEENS1_30default_config_static_selectorELNS0_4arch9wavefront6targetE1EEEvSY_, .Lfunc_end888-_ZN7rocprim17ROCPRIM_400000_NS6detail17trampoline_kernelINS0_13select_configILj256ELj13ELNS0_17block_load_methodE3ELS4_3ELS4_3ELNS0_20block_scan_algorithmE0ELj4294967295EEENS1_25partition_config_selectorILNS1_17partition_subalgoE3EjNS0_10empty_typeEbEEZZNS1_14partition_implILS8_3ELb0ES6_jNS0_17counting_iteratorIjlEEPS9_SE_NS0_5tupleIJPjSE_EEENSF_IJSE_SE_EEES9_SG_JZNS1_25segmented_radix_sort_implINS0_14default_configELb1EPKsPsPKlPlN2at6native12_GLOBAL__N_18offset_tEEE10hipError_tPvRmT1_PNSt15iterator_traitsISY_E10value_typeET2_T3_PNSZ_IS14_E10value_typeET4_jRbjT5_S1A_jjP12ihipStream_tbEUljE_EEESV_SW_SX_S14_S18_S1A_T6_T7_T9_mT8_S1C_bDpT10_ENKUlT_T0_E_clISt17integral_constantIbLb1EES1P_EEDaS1K_S1L_EUlS1K_E_NS1_11comp_targetILNS1_3genE5ELNS1_11target_archE942ELNS1_3gpuE9ELNS1_3repE0EEENS1_30default_config_static_selectorELNS0_4arch9wavefront6targetE1EEEvSY_
                                        ; -- End function
	.section	.AMDGPU.csdata,"",@progbits
; Kernel info:
; codeLenInByte = 0
; NumSgprs: 4
; NumVgprs: 0
; NumAgprs: 0
; TotalNumVgprs: 0
; ScratchSize: 0
; MemoryBound: 0
; FloatMode: 240
; IeeeMode: 1
; LDSByteSize: 0 bytes/workgroup (compile time only)
; SGPRBlocks: 0
; VGPRBlocks: 0
; NumSGPRsForWavesPerEU: 4
; NumVGPRsForWavesPerEU: 1
; AccumOffset: 4
; Occupancy: 8
; WaveLimiterHint : 0
; COMPUTE_PGM_RSRC2:SCRATCH_EN: 0
; COMPUTE_PGM_RSRC2:USER_SGPR: 6
; COMPUTE_PGM_RSRC2:TRAP_HANDLER: 0
; COMPUTE_PGM_RSRC2:TGID_X_EN: 1
; COMPUTE_PGM_RSRC2:TGID_Y_EN: 0
; COMPUTE_PGM_RSRC2:TGID_Z_EN: 0
; COMPUTE_PGM_RSRC2:TIDIG_COMP_CNT: 0
; COMPUTE_PGM_RSRC3_GFX90A:ACCUM_OFFSET: 0
; COMPUTE_PGM_RSRC3_GFX90A:TG_SPLIT: 0
	.section	.text._ZN7rocprim17ROCPRIM_400000_NS6detail17trampoline_kernelINS0_13select_configILj256ELj13ELNS0_17block_load_methodE3ELS4_3ELS4_3ELNS0_20block_scan_algorithmE0ELj4294967295EEENS1_25partition_config_selectorILNS1_17partition_subalgoE3EjNS0_10empty_typeEbEEZZNS1_14partition_implILS8_3ELb0ES6_jNS0_17counting_iteratorIjlEEPS9_SE_NS0_5tupleIJPjSE_EEENSF_IJSE_SE_EEES9_SG_JZNS1_25segmented_radix_sort_implINS0_14default_configELb1EPKsPsPKlPlN2at6native12_GLOBAL__N_18offset_tEEE10hipError_tPvRmT1_PNSt15iterator_traitsISY_E10value_typeET2_T3_PNSZ_IS14_E10value_typeET4_jRbjT5_S1A_jjP12ihipStream_tbEUljE_EEESV_SW_SX_S14_S18_S1A_T6_T7_T9_mT8_S1C_bDpT10_ENKUlT_T0_E_clISt17integral_constantIbLb1EES1P_EEDaS1K_S1L_EUlS1K_E_NS1_11comp_targetILNS1_3genE4ELNS1_11target_archE910ELNS1_3gpuE8ELNS1_3repE0EEENS1_30default_config_static_selectorELNS0_4arch9wavefront6targetE1EEEvSY_,"axG",@progbits,_ZN7rocprim17ROCPRIM_400000_NS6detail17trampoline_kernelINS0_13select_configILj256ELj13ELNS0_17block_load_methodE3ELS4_3ELS4_3ELNS0_20block_scan_algorithmE0ELj4294967295EEENS1_25partition_config_selectorILNS1_17partition_subalgoE3EjNS0_10empty_typeEbEEZZNS1_14partition_implILS8_3ELb0ES6_jNS0_17counting_iteratorIjlEEPS9_SE_NS0_5tupleIJPjSE_EEENSF_IJSE_SE_EEES9_SG_JZNS1_25segmented_radix_sort_implINS0_14default_configELb1EPKsPsPKlPlN2at6native12_GLOBAL__N_18offset_tEEE10hipError_tPvRmT1_PNSt15iterator_traitsISY_E10value_typeET2_T3_PNSZ_IS14_E10value_typeET4_jRbjT5_S1A_jjP12ihipStream_tbEUljE_EEESV_SW_SX_S14_S18_S1A_T6_T7_T9_mT8_S1C_bDpT10_ENKUlT_T0_E_clISt17integral_constantIbLb1EES1P_EEDaS1K_S1L_EUlS1K_E_NS1_11comp_targetILNS1_3genE4ELNS1_11target_archE910ELNS1_3gpuE8ELNS1_3repE0EEENS1_30default_config_static_selectorELNS0_4arch9wavefront6targetE1EEEvSY_,comdat
	.globl	_ZN7rocprim17ROCPRIM_400000_NS6detail17trampoline_kernelINS0_13select_configILj256ELj13ELNS0_17block_load_methodE3ELS4_3ELS4_3ELNS0_20block_scan_algorithmE0ELj4294967295EEENS1_25partition_config_selectorILNS1_17partition_subalgoE3EjNS0_10empty_typeEbEEZZNS1_14partition_implILS8_3ELb0ES6_jNS0_17counting_iteratorIjlEEPS9_SE_NS0_5tupleIJPjSE_EEENSF_IJSE_SE_EEES9_SG_JZNS1_25segmented_radix_sort_implINS0_14default_configELb1EPKsPsPKlPlN2at6native12_GLOBAL__N_18offset_tEEE10hipError_tPvRmT1_PNSt15iterator_traitsISY_E10value_typeET2_T3_PNSZ_IS14_E10value_typeET4_jRbjT5_S1A_jjP12ihipStream_tbEUljE_EEESV_SW_SX_S14_S18_S1A_T6_T7_T9_mT8_S1C_bDpT10_ENKUlT_T0_E_clISt17integral_constantIbLb1EES1P_EEDaS1K_S1L_EUlS1K_E_NS1_11comp_targetILNS1_3genE4ELNS1_11target_archE910ELNS1_3gpuE8ELNS1_3repE0EEENS1_30default_config_static_selectorELNS0_4arch9wavefront6targetE1EEEvSY_ ; -- Begin function _ZN7rocprim17ROCPRIM_400000_NS6detail17trampoline_kernelINS0_13select_configILj256ELj13ELNS0_17block_load_methodE3ELS4_3ELS4_3ELNS0_20block_scan_algorithmE0ELj4294967295EEENS1_25partition_config_selectorILNS1_17partition_subalgoE3EjNS0_10empty_typeEbEEZZNS1_14partition_implILS8_3ELb0ES6_jNS0_17counting_iteratorIjlEEPS9_SE_NS0_5tupleIJPjSE_EEENSF_IJSE_SE_EEES9_SG_JZNS1_25segmented_radix_sort_implINS0_14default_configELb1EPKsPsPKlPlN2at6native12_GLOBAL__N_18offset_tEEE10hipError_tPvRmT1_PNSt15iterator_traitsISY_E10value_typeET2_T3_PNSZ_IS14_E10value_typeET4_jRbjT5_S1A_jjP12ihipStream_tbEUljE_EEESV_SW_SX_S14_S18_S1A_T6_T7_T9_mT8_S1C_bDpT10_ENKUlT_T0_E_clISt17integral_constantIbLb1EES1P_EEDaS1K_S1L_EUlS1K_E_NS1_11comp_targetILNS1_3genE4ELNS1_11target_archE910ELNS1_3gpuE8ELNS1_3repE0EEENS1_30default_config_static_selectorELNS0_4arch9wavefront6targetE1EEEvSY_
	.p2align	8
	.type	_ZN7rocprim17ROCPRIM_400000_NS6detail17trampoline_kernelINS0_13select_configILj256ELj13ELNS0_17block_load_methodE3ELS4_3ELS4_3ELNS0_20block_scan_algorithmE0ELj4294967295EEENS1_25partition_config_selectorILNS1_17partition_subalgoE3EjNS0_10empty_typeEbEEZZNS1_14partition_implILS8_3ELb0ES6_jNS0_17counting_iteratorIjlEEPS9_SE_NS0_5tupleIJPjSE_EEENSF_IJSE_SE_EEES9_SG_JZNS1_25segmented_radix_sort_implINS0_14default_configELb1EPKsPsPKlPlN2at6native12_GLOBAL__N_18offset_tEEE10hipError_tPvRmT1_PNSt15iterator_traitsISY_E10value_typeET2_T3_PNSZ_IS14_E10value_typeET4_jRbjT5_S1A_jjP12ihipStream_tbEUljE_EEESV_SW_SX_S14_S18_S1A_T6_T7_T9_mT8_S1C_bDpT10_ENKUlT_T0_E_clISt17integral_constantIbLb1EES1P_EEDaS1K_S1L_EUlS1K_E_NS1_11comp_targetILNS1_3genE4ELNS1_11target_archE910ELNS1_3gpuE8ELNS1_3repE0EEENS1_30default_config_static_selectorELNS0_4arch9wavefront6targetE1EEEvSY_,@function
_ZN7rocprim17ROCPRIM_400000_NS6detail17trampoline_kernelINS0_13select_configILj256ELj13ELNS0_17block_load_methodE3ELS4_3ELS4_3ELNS0_20block_scan_algorithmE0ELj4294967295EEENS1_25partition_config_selectorILNS1_17partition_subalgoE3EjNS0_10empty_typeEbEEZZNS1_14partition_implILS8_3ELb0ES6_jNS0_17counting_iteratorIjlEEPS9_SE_NS0_5tupleIJPjSE_EEENSF_IJSE_SE_EEES9_SG_JZNS1_25segmented_radix_sort_implINS0_14default_configELb1EPKsPsPKlPlN2at6native12_GLOBAL__N_18offset_tEEE10hipError_tPvRmT1_PNSt15iterator_traitsISY_E10value_typeET2_T3_PNSZ_IS14_E10value_typeET4_jRbjT5_S1A_jjP12ihipStream_tbEUljE_EEESV_SW_SX_S14_S18_S1A_T6_T7_T9_mT8_S1C_bDpT10_ENKUlT_T0_E_clISt17integral_constantIbLb1EES1P_EEDaS1K_S1L_EUlS1K_E_NS1_11comp_targetILNS1_3genE4ELNS1_11target_archE910ELNS1_3gpuE8ELNS1_3repE0EEENS1_30default_config_static_selectorELNS0_4arch9wavefront6targetE1EEEvSY_: ; @_ZN7rocprim17ROCPRIM_400000_NS6detail17trampoline_kernelINS0_13select_configILj256ELj13ELNS0_17block_load_methodE3ELS4_3ELS4_3ELNS0_20block_scan_algorithmE0ELj4294967295EEENS1_25partition_config_selectorILNS1_17partition_subalgoE3EjNS0_10empty_typeEbEEZZNS1_14partition_implILS8_3ELb0ES6_jNS0_17counting_iteratorIjlEEPS9_SE_NS0_5tupleIJPjSE_EEENSF_IJSE_SE_EEES9_SG_JZNS1_25segmented_radix_sort_implINS0_14default_configELb1EPKsPsPKlPlN2at6native12_GLOBAL__N_18offset_tEEE10hipError_tPvRmT1_PNSt15iterator_traitsISY_E10value_typeET2_T3_PNSZ_IS14_E10value_typeET4_jRbjT5_S1A_jjP12ihipStream_tbEUljE_EEESV_SW_SX_S14_S18_S1A_T6_T7_T9_mT8_S1C_bDpT10_ENKUlT_T0_E_clISt17integral_constantIbLb1EES1P_EEDaS1K_S1L_EUlS1K_E_NS1_11comp_targetILNS1_3genE4ELNS1_11target_archE910ELNS1_3gpuE8ELNS1_3repE0EEENS1_30default_config_static_selectorELNS0_4arch9wavefront6targetE1EEEvSY_
; %bb.0:
	s_load_dwordx2 s[28:29], s[4:5], 0x10
	s_load_dwordx2 s[24:25], s[4:5], 0x28
	;; [unrolled: 1-line block ×3, first 2 shown]
	s_load_dwordx4 s[20:23], s[4:5], 0x48
	s_load_dword s14, s[4:5], 0x90
	s_load_dwordx2 s[30:31], s[4:5], 0x68
	s_load_dwordx4 s[8:11], s[4:5], 0x80
	v_cmp_eq_u32_e64 s[0:1], 0, v0
	s_and_saveexec_b64 s[2:3], s[0:1]
	s_cbranch_execz .LBB889_4
; %bb.1:
	s_mov_b64 s[12:13], exec
	v_mbcnt_lo_u32_b32 v1, s12, 0
	v_mbcnt_hi_u32_b32 v1, s13, v1
	v_cmp_eq_u32_e32 vcc, 0, v1
                                        ; implicit-def: $vgpr2
	s_and_saveexec_b64 s[6:7], vcc
	s_cbranch_execz .LBB889_3
; %bb.2:
	s_load_dwordx2 s[16:17], s[4:5], 0x78
	s_bcnt1_i32_b64 s12, s[12:13]
	v_mov_b32_e32 v2, 0
	v_mov_b32_e32 v3, s12
	s_waitcnt lgkmcnt(0)
	global_atomic_add v2, v2, v3, s[16:17] glc
.LBB889_3:
	s_or_b64 exec, exec, s[6:7]
	s_waitcnt vmcnt(0)
	v_readfirstlane_b32 s6, v2
	v_add_u32_e32 v1, s6, v1
	v_mov_b32_e32 v2, 0
	ds_write_b32 v2, v1
.LBB889_4:
	s_or_b64 exec, exec, s[2:3]
	v_mov_b32_e32 v1, 0
	s_load_dword s2, s[4:5], 0x8
	s_load_dword s6, s[4:5], 0x70
	s_waitcnt lgkmcnt(0)
	s_barrier
	ds_read_b32 v2, v1
	s_waitcnt lgkmcnt(0)
	s_barrier
	global_load_dwordx2 v[20:21], v1, s[22:23]
	s_add_i32 s7, s2, s28
	s_movk_i32 s2, 0xd00
	s_add_i32 s4, s6, -1
	s_mulk_i32 s6, 0xd00
	v_mul_lo_u32 v1, v2, s2
	s_add_u32 s2, s28, s6
	v_readfirstlane_b32 s40, v2
	s_addc_u32 s3, s29, 0
	s_cmp_eq_u32 s40, s4
	v_pk_mov_b32 v[2:3], s[26:27], s[26:27] op_sel:[0,1]
	s_cselect_b64 s[22:23], -1, 0
	s_cmp_lg_u32 s40, s4
	v_cmp_lt_u64_e32 vcc, s[2:3], v[2:3]
	s_cselect_b64 s[2:3], -1, 0
	s_or_b64 s[4:5], vcc, s[2:3]
	v_add_u32_e32 v2, s7, v1
	s_mov_b64 s[2:3], -1
	s_and_b64 vcc, exec, s[4:5]
	v_add_u32_e32 v2, v2, v0
	v_lshlrev_b32_e32 v34, 2, v0
	s_cbranch_vccz .LBB889_6
; %bb.5:
	v_add_u32_e32 v3, 0x100, v2
	v_add_u32_e32 v4, 0x200, v2
	;; [unrolled: 1-line block ×12, first 2 shown]
	ds_write2st64_b32 v34, v2, v3 offset1:4
	ds_write2st64_b32 v34, v4, v5 offset0:8 offset1:12
	ds_write2st64_b32 v34, v6, v7 offset0:16 offset1:20
	;; [unrolled: 1-line block ×5, first 2 shown]
	ds_write_b32 v34, v14 offset:12288
	s_waitcnt lgkmcnt(0)
	s_barrier
	s_mov_b64 s[2:3], 0
.LBB889_6:
	s_andn2_b64 vcc, exec, s[2:3]
	s_add_i32 s6, s6, s28
	s_cbranch_vccnz .LBB889_8
; %bb.7:
	v_add_u32_e32 v3, 0x100, v2
	v_add_u32_e32 v4, 0x200, v2
	;; [unrolled: 1-line block ×12, first 2 shown]
	ds_write2st64_b32 v34, v2, v3 offset1:4
	ds_write2st64_b32 v34, v4, v5 offset0:8 offset1:12
	ds_write2st64_b32 v34, v6, v7 offset0:16 offset1:20
	;; [unrolled: 1-line block ×5, first 2 shown]
	ds_write_b32 v34, v14 offset:12288
	s_waitcnt lgkmcnt(0)
	s_barrier
.LBB889_8:
	v_mul_u32_u24_e32 v36, 13, v0
	v_lshlrev_b32_e32 v2, 2, v36
	ds_read2_b32 v[32:33], v2 offset1:1
	ds_read2_b32 v[30:31], v2 offset0:2 offset1:3
	ds_read2_b32 v[28:29], v2 offset0:4 offset1:5
	;; [unrolled: 1-line block ×5, first 2 shown]
	ds_read_b32 v35, v2 offset:48
	v_cndmask_b32_e64 v2, 0, 1, s[4:5]
	s_sub_i32 s33, s26, s6
	v_cmp_ne_u32_e64 s[2:3], 1, v2
	s_andn2_b64 vcc, exec, s[4:5]
	s_waitcnt lgkmcnt(0)
	s_barrier
	s_cbranch_vccnz .LBB889_10
; %bb.9:
	v_add_u32_e32 v2, s9, v32
	v_add_u32_e32 v3, s11, v32
	v_mul_lo_u32 v2, v2, s8
	v_mul_lo_u32 v3, v3, s10
	v_sub_u32_e32 v2, v2, v3
	v_add_u32_e32 v3, s9, v33
	v_add_u32_e32 v4, s11, v33
	v_mul_lo_u32 v3, v3, s8
	v_mul_lo_u32 v4, v4, s10
	v_sub_u32_e32 v3, v3, v4
	;; [unrolled: 5-line block ×6, first 2 shown]
	v_add_u32_e32 v8, s9, v26
	v_add_u32_e32 v9, s11, v26
	v_mul_lo_u32 v8, v8, s8
	v_mul_lo_u32 v9, v9, s10
	v_cmp_lt_u32_e32 vcc, s14, v2
	v_sub_u32_e32 v8, v8, v9
	v_add_u32_e32 v9, s9, v27
	v_add_u32_e32 v10, s11, v27
	v_cndmask_b32_e64 v2, 0, 1, vcc
	v_cmp_lt_u32_e32 vcc, s14, v3
	v_mul_lo_u32 v9, v9, s8
	v_mul_lo_u32 v10, v10, s10
	v_cndmask_b32_e64 v3, 0, 1, vcc
	v_cmp_lt_u32_e32 vcc, s14, v4
	v_sub_u32_e32 v9, v9, v10
	v_add_u32_e32 v10, s9, v24
	v_add_u32_e32 v11, s11, v24
	v_cndmask_b32_e64 v4, 0, 1, vcc
	v_cmp_lt_u32_e32 vcc, s14, v5
	v_mul_lo_u32 v10, v10, s8
	v_mul_lo_u32 v11, v11, s10
	v_cndmask_b32_e64 v5, 0, 1, vcc
	;; [unrolled: 9-line block ×4, first 2 shown]
	v_cmp_lt_u32_e32 vcc, s14, v10
	v_sub_u32_e32 v12, v12, v13
	v_add_u32_e32 v13, s9, v23
	v_add_u32_e32 v14, s11, v23
	v_lshlrev_b16_e32 v3, 8, v3
	v_cndmask_b32_e64 v10, 0, 1, vcc
	v_cmp_lt_u32_e32 vcc, s14, v11
	v_mul_lo_u32 v13, v13, s8
	v_mul_lo_u32 v14, v14, s10
	v_or_b32_e32 v2, v2, v3
	v_lshlrev_b16_e32 v3, 8, v5
	v_cndmask_b32_e64 v11, 0, 1, vcc
	v_cmp_lt_u32_e32 vcc, s14, v12
	v_sub_u32_e32 v13, v13, v14
	v_or_b32_sdwa v3, v4, v3 dst_sel:WORD_1 dst_unused:UNUSED_PAD src0_sel:DWORD src1_sel:DWORD
	v_cndmask_b32_e64 v12, 0, 1, vcc
	v_cmp_lt_u32_e32 vcc, s14, v13
	v_add_u32_e32 v14, s9, v35
	v_add_u32_e32 v15, s11, v35
	v_or_b32_sdwa v40, v2, v3 dst_sel:DWORD dst_unused:UNUSED_PAD src0_sel:WORD_0 src1_sel:DWORD
	v_lshlrev_b16_e32 v2, 8, v7
	v_lshlrev_b16_e32 v3, 8, v9
	v_cndmask_b32_e64 v13, 0, 1, vcc
	v_mul_lo_u32 v14, v14, s8
	v_mul_lo_u32 v15, v15, s10
	v_or_b32_e32 v2, v6, v2
	v_or_b32_sdwa v3, v8, v3 dst_sel:WORD_1 dst_unused:UNUSED_PAD src0_sel:DWORD src1_sel:DWORD
	v_sub_u32_e32 v14, v14, v15
	v_or_b32_sdwa v39, v2, v3 dst_sel:DWORD dst_unused:UNUSED_PAD src0_sel:WORD_0 src1_sel:DWORD
	v_lshlrev_b16_e32 v2, 8, v11
	v_lshlrev_b16_e32 v3, 8, v13
	v_cmp_lt_u32_e32 vcc, s14, v14
	v_or_b32_e32 v2, v10, v2
	v_or_b32_sdwa v3, v12, v3 dst_sel:WORD_1 dst_unused:UNUSED_PAD src0_sel:DWORD src1_sel:DWORD
	v_cndmask_b32_e64 v37, 0, 1, vcc
	v_or_b32_sdwa v38, v2, v3 dst_sel:DWORD dst_unused:UNUSED_PAD src0_sel:WORD_0 src1_sel:DWORD
	s_addk_i32 s33, 0xd00
	s_cbranch_execz .LBB889_11
	s_branch .LBB889_38
.LBB889_10:
                                        ; implicit-def: $vgpr37
                                        ; implicit-def: $vgpr38
                                        ; implicit-def: $vgpr39
                                        ; implicit-def: $vgpr40
	s_addk_i32 s33, 0xd00
.LBB889_11:
	v_cmp_gt_u32_e32 vcc, s33, v36
	v_mov_b32_e32 v3, 0
	v_mov_b32_e32 v2, 0
	s_and_saveexec_b64 s[4:5], vcc
; %bb.12:
	v_add_u32_e32 v2, s9, v32
	v_add_u32_e32 v4, s11, v32
	v_mul_lo_u32 v2, v2, s8
	v_mul_lo_u32 v4, v4, s10
	v_sub_u32_e32 v2, v2, v4
	v_cmp_lt_u32_e32 vcc, s14, v2
	v_cndmask_b32_e64 v2, 0, 1, vcc
; %bb.13:
	s_or_b64 exec, exec, s[4:5]
	v_add_u32_e32 v4, 1, v36
	v_cmp_gt_u32_e32 vcc, s33, v4
	s_and_saveexec_b64 s[4:5], vcc
; %bb.14:
	v_add_u32_e32 v3, s9, v33
	v_add_u32_e32 v4, s11, v33
	v_mul_lo_u32 v3, v3, s8
	v_mul_lo_u32 v4, v4, s10
	v_sub_u32_e32 v3, v3, v4
	v_cmp_lt_u32_e32 vcc, s14, v3
	v_cndmask_b32_e64 v3, 0, 1, vcc
; %bb.15:
	s_or_b64 exec, exec, s[4:5]
	v_add_u32_e32 v4, 2, v36
	v_cmp_gt_u32_e32 vcc, s33, v4
	v_mov_b32_e32 v5, 0
	v_mov_b32_e32 v4, 0
	s_and_saveexec_b64 s[4:5], vcc
; %bb.16:
	v_add_u32_e32 v4, s9, v30
	v_add_u32_e32 v6, s11, v30
	v_mul_lo_u32 v4, v4, s8
	v_mul_lo_u32 v6, v6, s10
	v_sub_u32_e32 v4, v4, v6
	v_cmp_lt_u32_e32 vcc, s14, v4
	v_cndmask_b32_e64 v4, 0, 1, vcc
; %bb.17:
	s_or_b64 exec, exec, s[4:5]
	v_add_u32_e32 v6, 3, v36
	v_cmp_gt_u32_e32 vcc, s33, v6
	s_and_saveexec_b64 s[4:5], vcc
; %bb.18:
	v_add_u32_e32 v5, s9, v31
	v_add_u32_e32 v6, s11, v31
	v_mul_lo_u32 v5, v5, s8
	v_mul_lo_u32 v6, v6, s10
	v_sub_u32_e32 v5, v5, v6
	v_cmp_lt_u32_e32 vcc, s14, v5
	v_cndmask_b32_e64 v5, 0, 1, vcc
; %bb.19:
	s_or_b64 exec, exec, s[4:5]
	v_add_u32_e32 v6, 4, v36
	;; [unrolled: 28-line block ×6, first 2 shown]
	v_cmp_gt_u32_e32 vcc, s33, v14
	v_mov_b32_e32 v37, 0
	s_and_saveexec_b64 s[4:5], vcc
; %bb.36:
	v_add_u32_e32 v14, s9, v35
	v_add_u32_e32 v15, s11, v35
	v_mul_lo_u32 v14, v14, s8
	v_mul_lo_u32 v15, v15, s10
	v_sub_u32_e32 v14, v14, v15
	v_cmp_lt_u32_e32 vcc, s14, v14
	v_cndmask_b32_e64 v37, 0, 1, vcc
; %bb.37:
	s_or_b64 exec, exec, s[4:5]
	v_lshlrev_b16_e32 v3, 8, v3
	v_or_b32_e32 v2, v2, v3
	v_lshlrev_b16_e32 v3, 8, v5
	v_or_b32_sdwa v3, v4, v3 dst_sel:WORD_1 dst_unused:UNUSED_PAD src0_sel:DWORD src1_sel:DWORD
	v_or_b32_sdwa v40, v2, v3 dst_sel:DWORD dst_unused:UNUSED_PAD src0_sel:WORD_0 src1_sel:DWORD
	v_lshlrev_b16_e32 v2, 8, v7
	v_lshlrev_b16_e32 v3, 8, v9
	v_or_b32_e32 v2, v6, v2
	v_or_b32_sdwa v3, v8, v3 dst_sel:WORD_1 dst_unused:UNUSED_PAD src0_sel:DWORD src1_sel:DWORD
	v_or_b32_sdwa v39, v2, v3 dst_sel:DWORD dst_unused:UNUSED_PAD src0_sel:WORD_0 src1_sel:DWORD
	v_lshlrev_b16_e32 v2, 8, v11
	v_lshlrev_b16_e32 v3, 8, v13
	v_or_b32_e32 v2, v10, v2
	v_or_b32_sdwa v3, v12, v3 dst_sel:WORD_1 dst_unused:UNUSED_PAD src0_sel:DWORD src1_sel:DWORD
	v_or_b32_sdwa v38, v2, v3 dst_sel:DWORD dst_unused:UNUSED_PAD src0_sel:WORD_0 src1_sel:DWORD
.LBB889_38:
	v_and_b32_e32 v44, 0xff, v40
	v_bfe_u32 v45, v40, 8, 8
	v_bfe_u32 v46, v40, 16, 8
	v_lshrrev_b32_e32 v43, 24, v40
	v_and_b32_e32 v47, 0xff, v39
	v_add3_u32 v3, v45, v44, v46
	v_bfe_u32 v48, v39, 8, 8
	v_bfe_u32 v49, v39, 16, 8
	v_add3_u32 v3, v3, v43, v47
	v_lshrrev_b32_e32 v42, 24, v39
	v_and_b32_e32 v50, 0xff, v38
	v_add3_u32 v3, v3, v48, v49
	v_bfe_u32 v51, v38, 8, 8
	v_bfe_u32 v52, v38, 16, 8
	v_add3_u32 v3, v3, v42, v50
	v_lshrrev_b32_e32 v41, 24, v38
	v_and_b32_e32 v2, 0xff, v37
	v_add3_u32 v3, v3, v51, v52
	v_add3_u32 v55, v3, v41, v2
	v_mbcnt_lo_u32_b32 v2, -1, 0
	v_mbcnt_hi_u32_b32 v53, -1, v2
	v_and_b32_e32 v2, 15, v53
	v_cmp_eq_u32_e64 s[16:17], 0, v2
	v_cmp_lt_u32_e64 s[14:15], 1, v2
	v_cmp_lt_u32_e64 s[12:13], 3, v2
	v_cmp_lt_u32_e64 s[10:11], 7, v2
	v_and_b32_e32 v2, 16, v53
	v_cmp_eq_u32_e64 s[8:9], 0, v2
	v_or_b32_e32 v2, 63, v0
	s_cmp_lg_u32 s40, 0
	v_cmp_lt_u32_e64 s[4:5], 31, v53
	v_lshrrev_b32_e32 v54, 6, v0
	v_cmp_eq_u32_e64 s[6:7], v2, v0
	s_cbranch_scc0 .LBB889_69
; %bb.39:
	v_mov_b32_dpp v2, v55 row_shr:1 row_mask:0xf bank_mask:0xf
	v_cndmask_b32_e64 v2, v2, 0, s[16:17]
	v_add_u32_e32 v2, v2, v55
	s_nop 1
	v_mov_b32_dpp v3, v2 row_shr:2 row_mask:0xf bank_mask:0xf
	v_cndmask_b32_e64 v3, 0, v3, s[14:15]
	v_add_u32_e32 v2, v2, v3
	s_nop 1
	;; [unrolled: 4-line block ×4, first 2 shown]
	v_mov_b32_dpp v3, v2 row_bcast:15 row_mask:0xf bank_mask:0xf
	v_cndmask_b32_e64 v3, v3, 0, s[8:9]
	v_add_u32_e32 v2, v2, v3
	s_nop 1
	v_mov_b32_dpp v3, v2 row_bcast:31 row_mask:0xf bank_mask:0xf
	v_cndmask_b32_e64 v3, 0, v3, s[4:5]
	v_add_u32_e32 v2, v2, v3
	s_and_saveexec_b64 s[18:19], s[6:7]
	s_cbranch_execz .LBB889_41
; %bb.40:
	v_lshlrev_b32_e32 v3, 2, v54
	ds_write_b32 v3, v2
.LBB889_41:
	s_or_b64 exec, exec, s[18:19]
	v_cmp_gt_u32_e32 vcc, 4, v0
	s_waitcnt lgkmcnt(0)
	s_barrier
	s_and_saveexec_b64 s[18:19], vcc
	s_cbranch_execz .LBB889_43
; %bb.42:
	ds_read_b32 v3, v34
	v_and_b32_e32 v4, 3, v53
	v_cmp_ne_u32_e32 vcc, 0, v4
	s_waitcnt lgkmcnt(0)
	v_mov_b32_dpp v5, v3 row_shr:1 row_mask:0xf bank_mask:0xf
	v_cndmask_b32_e32 v5, 0, v5, vcc
	v_add_u32_e32 v3, v5, v3
	v_cmp_lt_u32_e32 vcc, 1, v4
	s_nop 0
	v_mov_b32_dpp v5, v3 row_shr:2 row_mask:0xf bank_mask:0xf
	v_cndmask_b32_e32 v4, 0, v5, vcc
	v_add_u32_e32 v3, v3, v4
	ds_write_b32 v34, v3
.LBB889_43:
	s_or_b64 exec, exec, s[18:19]
	v_cmp_gt_u32_e32 vcc, 64, v0
	v_cmp_lt_u32_e64 s[18:19], 63, v0
	s_waitcnt lgkmcnt(0)
	s_barrier
	s_waitcnt lgkmcnt(0)
                                        ; implicit-def: $vgpr12
	s_and_saveexec_b64 s[34:35], s[18:19]
	s_cbranch_execz .LBB889_45
; %bb.44:
	v_lshl_add_u32 v3, v54, 2, -4
	ds_read_b32 v12, v3
	s_waitcnt lgkmcnt(0)
	v_add_u32_e32 v2, v12, v2
.LBB889_45:
	s_or_b64 exec, exec, s[34:35]
	v_add_u32_e32 v3, -1, v53
	v_and_b32_e32 v4, 64, v53
	v_cmp_lt_i32_e64 s[18:19], v3, v4
	v_cndmask_b32_e64 v3, v3, v53, s[18:19]
	v_lshlrev_b32_e32 v3, 2, v3
	ds_bpermute_b32 v13, v3, v2
	v_cmp_eq_u32_e64 s[18:19], 0, v53
	s_and_saveexec_b64 s[34:35], vcc
	s_cbranch_execz .LBB889_68
; %bb.46:
	v_mov_b32_e32 v11, 0
	ds_read_b32 v2, v11 offset:12
	s_and_saveexec_b64 s[36:37], s[18:19]
	s_cbranch_execz .LBB889_48
; %bb.47:
	s_add_i32 s38, s40, 64
	s_mov_b32 s39, 0
	s_lshl_b64 s[38:39], s[38:39], 3
	s_add_u32 s38, s30, s38
	v_mov_b32_e32 v3, 1
	s_addc_u32 s39, s31, s39
	s_waitcnt lgkmcnt(0)
	global_store_dwordx2 v11, v[2:3], s[38:39]
.LBB889_48:
	s_or_b64 exec, exec, s[36:37]
	v_xad_u32 v4, v53, -1, s40
	v_add_u32_e32 v10, 64, v4
	v_lshlrev_b64 v[6:7], 3, v[10:11]
	v_mov_b32_e32 v3, s31
	v_add_co_u32_e32 v6, vcc, s30, v6
	v_addc_co_u32_e32 v7, vcc, v3, v7, vcc
	global_load_dwordx2 v[8:9], v[6:7], off glc
	s_waitcnt vmcnt(0)
	v_cmp_eq_u16_sdwa s[38:39], v9, v11 src0_sel:BYTE_0 src1_sel:DWORD
	s_and_saveexec_b64 s[36:37], s[38:39]
	s_cbranch_execz .LBB889_54
; %bb.49:
	s_mov_b32 s41, 1
	s_mov_b64 s[38:39], 0
	v_mov_b32_e32 v3, 0
.LBB889_50:                             ; =>This Loop Header: Depth=1
                                        ;     Child Loop BB889_51 Depth 2
	s_max_u32 s42, s41, 1
.LBB889_51:                             ;   Parent Loop BB889_50 Depth=1
                                        ; =>  This Inner Loop Header: Depth=2
	s_add_i32 s42, s42, -1
	s_cmp_eq_u32 s42, 0
	s_sleep 1
	s_cbranch_scc0 .LBB889_51
; %bb.52:                               ;   in Loop: Header=BB889_50 Depth=1
	global_load_dwordx2 v[8:9], v[6:7], off glc
	s_cmp_lt_u32 s41, 32
	s_cselect_b64 s[42:43], -1, 0
	s_cmp_lg_u64 s[42:43], 0
	s_addc_u32 s41, s41, 0
	s_waitcnt vmcnt(0)
	v_cmp_ne_u16_sdwa s[42:43], v9, v3 src0_sel:BYTE_0 src1_sel:DWORD
	s_or_b64 s[38:39], s[42:43], s[38:39]
	s_andn2_b64 exec, exec, s[38:39]
	s_cbranch_execnz .LBB889_50
; %bb.53:
	s_or_b64 exec, exec, s[38:39]
.LBB889_54:
	s_or_b64 exec, exec, s[36:37]
	v_and_b32_e32 v14, 63, v53
	v_mov_b32_e32 v3, 2
	v_cmp_ne_u32_e32 vcc, 63, v14
	v_cmp_eq_u16_sdwa s[36:37], v9, v3 src0_sel:BYTE_0 src1_sel:DWORD
	v_lshlrev_b64 v[6:7], v53, -1
	v_addc_co_u32_e32 v11, vcc, 0, v53, vcc
	v_and_b32_e32 v5, s37, v7
	v_lshlrev_b32_e32 v15, 2, v11
	v_or_b32_e32 v5, 0x80000000, v5
	ds_bpermute_b32 v11, v15, v8
	v_and_b32_e32 v10, s36, v6
	v_ffbl_b32_e32 v5, v5
	v_add_u32_e32 v5, 32, v5
	v_ffbl_b32_e32 v10, v10
	v_min_u32_e32 v5, v10, v5
	v_cmp_lt_u32_e32 vcc, v14, v5
	s_waitcnt lgkmcnt(0)
	v_cndmask_b32_e32 v10, 0, v11, vcc
	v_cmp_gt_u32_e32 vcc, 62, v14
	v_add_u32_e32 v8, v10, v8
	v_cndmask_b32_e64 v10, 0, 1, vcc
	v_lshlrev_b32_e32 v10, 1, v10
	v_add_lshl_u32 v16, v10, v53, 2
	ds_bpermute_b32 v10, v16, v8
	v_add_u32_e32 v17, 2, v14
	v_cmp_le_u32_e32 vcc, v17, v5
	v_add_u32_e32 v19, 4, v14
	v_add_u32_e32 v57, 8, v14
	s_waitcnt lgkmcnt(0)
	v_cndmask_b32_e32 v10, 0, v10, vcc
	v_cmp_gt_u32_e32 vcc, 60, v14
	v_add_u32_e32 v8, v8, v10
	v_cndmask_b32_e64 v10, 0, 1, vcc
	v_lshlrev_b32_e32 v10, 2, v10
	v_add_lshl_u32 v18, v10, v53, 2
	ds_bpermute_b32 v10, v18, v8
	v_cmp_le_u32_e32 vcc, v19, v5
	v_add_u32_e32 v60, 16, v14
	v_add_u32_e32 v62, 32, v14
	s_waitcnt lgkmcnt(0)
	v_cndmask_b32_e32 v10, 0, v10, vcc
	v_cmp_gt_u32_e32 vcc, 56, v14
	v_add_u32_e32 v8, v8, v10
	v_cndmask_b32_e64 v10, 0, 1, vcc
	v_lshlrev_b32_e32 v10, 3, v10
	v_add_lshl_u32 v56, v10, v53, 2
	ds_bpermute_b32 v10, v56, v8
	v_cmp_le_u32_e32 vcc, v57, v5
	s_waitcnt lgkmcnt(0)
	v_cndmask_b32_e32 v10, 0, v10, vcc
	v_cmp_gt_u32_e32 vcc, 48, v14
	v_add_u32_e32 v8, v8, v10
	v_cndmask_b32_e64 v10, 0, 1, vcc
	v_lshlrev_b32_e32 v10, 4, v10
	v_add_lshl_u32 v59, v10, v53, 2
	ds_bpermute_b32 v10, v59, v8
	v_cmp_le_u32_e32 vcc, v60, v5
	;; [unrolled: 9-line block ×3, first 2 shown]
	s_waitcnt lgkmcnt(0)
	v_cndmask_b32_e32 v5, 0, v10, vcc
	v_add_u32_e32 v8, v8, v5
	v_mov_b32_e32 v5, 0
	s_branch .LBB889_56
.LBB889_55:                             ;   in Loop: Header=BB889_56 Depth=1
	s_or_b64 exec, exec, s[36:37]
	v_cmp_eq_u16_sdwa s[36:37], v9, v3 src0_sel:BYTE_0 src1_sel:DWORD
	v_and_b32_e32 v10, s37, v7
	v_or_b32_e32 v10, 0x80000000, v10
	ds_bpermute_b32 v63, v15, v8
	v_and_b32_e32 v11, s36, v6
	v_ffbl_b32_e32 v10, v10
	v_add_u32_e32 v10, 32, v10
	v_ffbl_b32_e32 v11, v11
	v_min_u32_e32 v10, v11, v10
	v_cmp_lt_u32_e32 vcc, v14, v10
	s_waitcnt lgkmcnt(0)
	v_cndmask_b32_e32 v11, 0, v63, vcc
	v_add_u32_e32 v8, v11, v8
	ds_bpermute_b32 v11, v16, v8
	v_cmp_le_u32_e32 vcc, v17, v10
	v_subrev_u32_e32 v4, 64, v4
	s_waitcnt lgkmcnt(0)
	v_cndmask_b32_e32 v11, 0, v11, vcc
	v_add_u32_e32 v8, v8, v11
	ds_bpermute_b32 v11, v18, v8
	v_cmp_le_u32_e32 vcc, v19, v10
	s_waitcnt lgkmcnt(0)
	v_cndmask_b32_e32 v11, 0, v11, vcc
	v_add_u32_e32 v8, v8, v11
	ds_bpermute_b32 v11, v56, v8
	v_cmp_le_u32_e32 vcc, v57, v10
	;; [unrolled: 5-line block ×4, first 2 shown]
	s_waitcnt lgkmcnt(0)
	v_cndmask_b32_e32 v10, 0, v11, vcc
	v_add3_u32 v8, v10, v58, v8
.LBB889_56:                             ; =>This Loop Header: Depth=1
                                        ;     Child Loop BB889_59 Depth 2
                                        ;       Child Loop BB889_60 Depth 3
	v_cmp_ne_u16_sdwa s[36:37], v9, v3 src0_sel:BYTE_0 src1_sel:DWORD
	v_cndmask_b32_e64 v9, 0, 1, s[36:37]
	;;#ASMSTART
	;;#ASMEND
	v_cmp_ne_u32_e32 vcc, 0, v9
	s_cmp_lg_u64 vcc, exec
	v_mov_b32_e32 v58, v8
	s_cbranch_scc1 .LBB889_63
; %bb.57:                               ;   in Loop: Header=BB889_56 Depth=1
	v_lshlrev_b64 v[8:9], 3, v[4:5]
	v_mov_b32_e32 v11, s31
	v_add_co_u32_e32 v10, vcc, s30, v8
	v_addc_co_u32_e32 v11, vcc, v11, v9, vcc
	global_load_dwordx2 v[8:9], v[10:11], off glc
	s_waitcnt vmcnt(0)
	v_cmp_eq_u16_sdwa s[38:39], v9, v5 src0_sel:BYTE_0 src1_sel:DWORD
	s_and_saveexec_b64 s[36:37], s[38:39]
	s_cbranch_execz .LBB889_55
; %bb.58:                               ;   in Loop: Header=BB889_56 Depth=1
	s_mov_b32 s41, 1
	s_mov_b64 s[38:39], 0
.LBB889_59:                             ;   Parent Loop BB889_56 Depth=1
                                        ; =>  This Loop Header: Depth=2
                                        ;       Child Loop BB889_60 Depth 3
	s_max_u32 s42, s41, 1
.LBB889_60:                             ;   Parent Loop BB889_56 Depth=1
                                        ;     Parent Loop BB889_59 Depth=2
                                        ; =>    This Inner Loop Header: Depth=3
	s_add_i32 s42, s42, -1
	s_cmp_eq_u32 s42, 0
	s_sleep 1
	s_cbranch_scc0 .LBB889_60
; %bb.61:                               ;   in Loop: Header=BB889_59 Depth=2
	global_load_dwordx2 v[8:9], v[10:11], off glc
	s_cmp_lt_u32 s41, 32
	s_cselect_b64 s[42:43], -1, 0
	s_cmp_lg_u64 s[42:43], 0
	s_addc_u32 s41, s41, 0
	s_waitcnt vmcnt(0)
	v_cmp_ne_u16_sdwa s[42:43], v9, v5 src0_sel:BYTE_0 src1_sel:DWORD
	s_or_b64 s[38:39], s[42:43], s[38:39]
	s_andn2_b64 exec, exec, s[38:39]
	s_cbranch_execnz .LBB889_59
; %bb.62:                               ;   in Loop: Header=BB889_56 Depth=1
	s_or_b64 exec, exec, s[38:39]
	s_branch .LBB889_55
.LBB889_63:                             ;   in Loop: Header=BB889_56 Depth=1
                                        ; implicit-def: $vgpr8
                                        ; implicit-def: $vgpr9
	s_cbranch_execz .LBB889_56
; %bb.64:
	s_and_saveexec_b64 s[36:37], s[18:19]
	s_cbranch_execz .LBB889_66
; %bb.65:
	s_add_i32 s38, s40, 64
	s_mov_b32 s39, 0
	s_lshl_b64 s[38:39], s[38:39], 3
	s_add_u32 s38, s30, s38
	v_add_u32_e32 v4, v58, v2
	v_mov_b32_e32 v5, 2
	s_addc_u32 s39, s31, s39
	v_mov_b32_e32 v3, 0
	global_store_dwordx2 v3, v[4:5], s[38:39]
	s_movk_i32 s38, 0x3400
	v_add_u32_e64 v3, s38, 0
	ds_write2_b32 v3, v2, v58 offset1:2
.LBB889_66:
	s_or_b64 exec, exec, s[36:37]
	s_and_b64 exec, exec, s[0:1]
	s_cbranch_execz .LBB889_68
; %bb.67:
	v_mov_b32_e32 v2, 0
	ds_write_b32 v2, v58 offset:12
.LBB889_68:
	s_or_b64 exec, exec, s[34:35]
	v_mov_b32_e32 v2, 0
	s_waitcnt lgkmcnt(0)
	s_barrier
	ds_read_b32 v2, v2 offset:12
	v_cndmask_b32_e64 v3, v13, v12, s[18:19]
	v_cndmask_b32_e64 v3, v3, 0, s[0:1]
	s_movk_i32 s18, 0x3400
	v_add_u32_e64 v12, s18, 0
	s_waitcnt lgkmcnt(0)
	v_add_u32_e32 v2, v2, v3
	v_add_u32_e32 v3, v2, v44
	;; [unrolled: 1-line block ×9, first 2 shown]
	s_barrier
	ds_read2_b32 v[18:19], v12 offset1:2
	v_add_u32_e32 v11, v10, v50
	v_add_u32_e32 v12, v11, v51
	;; [unrolled: 1-line block ×4, first 2 shown]
	s_branch .LBB889_79
.LBB889_69:
                                        ; implicit-def: $vgpr19
                                        ; implicit-def: $vgpr2_vgpr3_vgpr4_vgpr5_vgpr6_vgpr7_vgpr8_vgpr9_vgpr10_vgpr11_vgpr12_vgpr13_vgpr14_vgpr15_vgpr16_vgpr17
	s_cbranch_execz .LBB889_79
; %bb.70:
	s_nop 0
	v_mov_b32_dpp v2, v55 row_shr:1 row_mask:0xf bank_mask:0xf
	v_cndmask_b32_e64 v2, v2, 0, s[16:17]
	v_add_u32_e32 v2, v2, v55
	s_nop 1
	v_mov_b32_dpp v3, v2 row_shr:2 row_mask:0xf bank_mask:0xf
	v_cndmask_b32_e64 v3, 0, v3, s[14:15]
	v_add_u32_e32 v2, v2, v3
	;; [unrolled: 4-line block ×4, first 2 shown]
	s_nop 1
	v_mov_b32_dpp v3, v2 row_bcast:15 row_mask:0xf bank_mask:0xf
	v_cndmask_b32_e64 v3, v3, 0, s[8:9]
	v_add_u32_e32 v2, v2, v3
	s_nop 1
	v_mov_b32_dpp v3, v2 row_bcast:31 row_mask:0xf bank_mask:0xf
	v_cndmask_b32_e64 v3, 0, v3, s[4:5]
	v_add_u32_e32 v2, v2, v3
	s_and_saveexec_b64 s[4:5], s[6:7]
	s_cbranch_execz .LBB889_72
; %bb.71:
	v_lshlrev_b32_e32 v3, 2, v54
	ds_write_b32 v3, v2
.LBB889_72:
	s_or_b64 exec, exec, s[4:5]
	v_cmp_gt_u32_e32 vcc, 4, v0
	s_waitcnt lgkmcnt(0)
	s_barrier
	s_and_saveexec_b64 s[4:5], vcc
	s_cbranch_execz .LBB889_74
; %bb.73:
	ds_read_b32 v3, v34
	v_and_b32_e32 v4, 3, v53
	v_cmp_ne_u32_e32 vcc, 0, v4
	s_waitcnt lgkmcnt(0)
	v_mov_b32_dpp v5, v3 row_shr:1 row_mask:0xf bank_mask:0xf
	v_cndmask_b32_e32 v5, 0, v5, vcc
	v_add_u32_e32 v3, v5, v3
	v_cmp_lt_u32_e32 vcc, 1, v4
	s_nop 0
	v_mov_b32_dpp v5, v3 row_shr:2 row_mask:0xf bank_mask:0xf
	v_cndmask_b32_e32 v4, 0, v5, vcc
	v_add_u32_e32 v3, v3, v4
	ds_write_b32 v34, v3
.LBB889_74:
	s_or_b64 exec, exec, s[4:5]
	v_cmp_lt_u32_e32 vcc, 63, v0
	v_mov_b32_e32 v4, 0
	v_mov_b32_e32 v3, 0
	s_waitcnt lgkmcnt(0)
	s_barrier
	s_and_saveexec_b64 s[4:5], vcc
	s_cbranch_execz .LBB889_76
; %bb.75:
	v_lshl_add_u32 v3, v54, 2, -4
	ds_read_b32 v3, v3
.LBB889_76:
	s_or_b64 exec, exec, s[4:5]
	v_add_u32_e32 v5, -1, v53
	v_and_b32_e32 v6, 64, v53
	v_cmp_lt_i32_e32 vcc, v5, v6
	v_cndmask_b32_e32 v5, v5, v53, vcc
	s_waitcnt lgkmcnt(0)
	v_add_u32_e32 v2, v3, v2
	v_lshlrev_b32_e32 v5, 2, v5
	ds_bpermute_b32 v2, v5, v2
	ds_read_b32 v18, v4 offset:12
	s_and_saveexec_b64 s[4:5], s[0:1]
	s_cbranch_execz .LBB889_78
; %bb.77:
	v_mov_b32_e32 v4, 0
	v_mov_b32_e32 v19, 2
	s_waitcnt lgkmcnt(0)
	global_store_dwordx2 v4, v[18:19], s[30:31] offset:512
.LBB889_78:
	s_or_b64 exec, exec, s[4:5]
	v_cmp_eq_u32_e32 vcc, 0, v53
	s_waitcnt lgkmcnt(1)
	v_cndmask_b32_e32 v2, v2, v3, vcc
	v_cndmask_b32_e64 v2, v2, 0, s[0:1]
	v_add_u32_e32 v3, v2, v44
	v_add_u32_e32 v4, v3, v45
	;; [unrolled: 1-line block ×11, first 2 shown]
	v_mov_b32_e32 v19, 0
	v_add_u32_e32 v14, v13, v41
	s_waitcnt lgkmcnt(0)
	s_barrier
.LBB889_79:
	s_waitcnt lgkmcnt(0)
	v_add_u32_e32 v36, v18, v36
	v_sub_u32_e32 v2, v2, v19
	v_and_b32_e32 v45, 1, v40
	v_sub_u32_e32 v44, v36, v2
	v_cmp_eq_u32_e32 vcc, 1, v45
	v_cndmask_b32_e32 v2, v44, v2, vcc
	v_lshlrev_b32_e32 v2, 2, v2
	v_lshrrev_b32_e32 v17, 8, v40
	ds_write_b32 v2, v32
	v_sub_u32_e32 v2, v3, v19
	v_sub_u32_e32 v3, v36, v2
	v_and_b32_e32 v17, 1, v17
	v_add_u32_e32 v3, 1, v3
	v_cmp_eq_u32_e32 vcc, 1, v17
	v_cndmask_b32_e32 v2, v3, v2, vcc
	v_lshlrev_b32_e32 v2, 2, v2
	ds_write_b32 v2, v33
	v_sub_u32_e32 v2, v4, v19
	v_mov_b32_e32 v4, 1
	v_sub_u32_e32 v3, v36, v2
	v_and_b32_sdwa v17, v4, v40 dst_sel:DWORD dst_unused:UNUSED_PAD src0_sel:DWORD src1_sel:WORD_1
	v_add_u32_e32 v3, 2, v3
	v_cmp_eq_u32_e32 vcc, 1, v17
	v_cndmask_b32_e32 v2, v3, v2, vcc
	v_lshlrev_b32_e32 v2, 2, v2
	ds_write_b32 v2, v30
	v_sub_u32_e32 v2, v5, v19
	v_sub_u32_e32 v3, v36, v2
	v_and_b32_e32 v5, 1, v43
	v_add_u32_e32 v3, 3, v3
	v_cmp_eq_u32_e32 vcc, 1, v5
	v_cndmask_b32_e32 v2, v3, v2, vcc
	v_lshlrev_b32_e32 v2, 2, v2
	ds_write_b32 v2, v31
	v_sub_u32_e32 v2, v6, v19
	v_sub_u32_e32 v3, v36, v2
	v_and_b32_e32 v5, 1, v39
	v_add_u32_e32 v3, 4, v3
	v_cmp_eq_u32_e32 vcc, 1, v5
	v_cndmask_b32_e32 v2, v3, v2, vcc
	v_lshlrev_b32_e32 v2, 2, v2
	v_lshrrev_b32_e32 v16, 8, v39
	ds_write_b32 v2, v28
	v_sub_u32_e32 v2, v7, v19
	v_sub_u32_e32 v3, v36, v2
	v_and_b32_e32 v5, 1, v16
	v_add_u32_e32 v3, 5, v3
	v_cmp_eq_u32_e32 vcc, 1, v5
	v_cndmask_b32_e32 v2, v3, v2, vcc
	v_lshlrev_b32_e32 v2, 2, v2
	ds_write_b32 v2, v29
	v_sub_u32_e32 v2, v8, v19
	v_sub_u32_e32 v3, v36, v2
	v_and_b32_sdwa v5, v4, v39 dst_sel:DWORD dst_unused:UNUSED_PAD src0_sel:DWORD src1_sel:WORD_1
	v_add_u32_e32 v3, 6, v3
	v_cmp_eq_u32_e32 vcc, 1, v5
	v_cndmask_b32_e32 v2, v3, v2, vcc
	v_lshlrev_b32_e32 v2, 2, v2
	ds_write_b32 v2, v26
	v_sub_u32_e32 v2, v9, v19
	v_sub_u32_e32 v3, v36, v2
	v_and_b32_e32 v5, 1, v42
	v_add_u32_e32 v3, 7, v3
	v_cmp_eq_u32_e32 vcc, 1, v5
	v_cndmask_b32_e32 v2, v3, v2, vcc
	v_lshlrev_b32_e32 v2, 2, v2
	ds_write_b32 v2, v27
	v_sub_u32_e32 v2, v10, v19
	v_sub_u32_e32 v3, v36, v2
	v_and_b32_e32 v5, 1, v38
	v_add_u32_e32 v3, 8, v3
	v_cmp_eq_u32_e32 vcc, 1, v5
	v_cndmask_b32_e32 v2, v3, v2, vcc
	v_lshlrev_b32_e32 v2, 2, v2
	v_lshrrev_b32_e32 v15, 8, v38
	ds_write_b32 v2, v24
	v_sub_u32_e32 v2, v11, v19
	v_sub_u32_e32 v3, v36, v2
	v_and_b32_e32 v5, 1, v15
	v_add_u32_e32 v3, 9, v3
	v_cmp_eq_u32_e32 vcc, 1, v5
	v_cndmask_b32_e32 v2, v3, v2, vcc
	v_lshlrev_b32_e32 v2, 2, v2
	ds_write_b32 v2, v25
	v_sub_u32_e32 v2, v12, v19
	v_sub_u32_e32 v3, v36, v2
	v_and_b32_sdwa v4, v4, v38 dst_sel:DWORD dst_unused:UNUSED_PAD src0_sel:DWORD src1_sel:WORD_1
	v_add_u32_e32 v3, 10, v3
	v_cmp_eq_u32_e32 vcc, 1, v4
	v_cndmask_b32_e32 v2, v3, v2, vcc
	v_lshlrev_b32_e32 v2, 2, v2
	ds_write_b32 v2, v22
	v_sub_u32_e32 v2, v13, v19
	v_sub_u32_e32 v3, v36, v2
	v_and_b32_e32 v4, 1, v41
	v_add_u32_e32 v3, 11, v3
	v_cmp_eq_u32_e32 vcc, 1, v4
	v_cndmask_b32_e32 v2, v3, v2, vcc
	v_lshlrev_b32_e32 v2, 2, v2
	ds_write_b32 v2, v23
	v_sub_u32_e32 v2, v14, v19
	v_sub_u32_e32 v3, v36, v2
	v_and_b32_e32 v4, 1, v37
	v_add_u32_e32 v3, 12, v3
	v_cmp_eq_u32_e32 vcc, 1, v4
	v_cndmask_b32_e32 v2, v3, v2, vcc
	s_waitcnt vmcnt(0)
	v_add_co_u32_e32 v16, vcc, v20, v19
	v_addc_co_u32_e32 v17, vcc, 0, v21, vcc
	v_mov_b32_e32 v14, s29
	v_add_co_u32_e32 v1, vcc, s28, v1
	v_addc_co_u32_e32 v14, vcc, 0, v14, vcc
	v_lshlrev_b32_e32 v2, 2, v2
	v_mov_b32_e32 v15, s27
	v_sub_co_u32_e32 v1, vcc, s26, v1
	ds_write_b32 v2, v35
	s_waitcnt lgkmcnt(0)
	s_barrier
	ds_read2st64_b32 v[12:13], v34 offset1:4
	ds_read2st64_b32 v[10:11], v34 offset0:8 offset1:12
	ds_read2st64_b32 v[8:9], v34 offset0:16 offset1:20
	;; [unrolled: 1-line block ×5, first 2 shown]
	ds_read_b32 v22, v34 offset:12288
	v_subb_co_u32_e32 v14, vcc, v15, v14, vcc
	v_add_co_u32_e32 v1, vcc, v1, v18
	v_addc_co_u32_e32 v14, vcc, 0, v14, vcc
	s_and_b64 vcc, exec, s[2:3]
	v_add_co_u32_e64 v1, s[2:3], v1, v16
	v_or_b32_e32 v35, 0x100, v0
	v_or_b32_e32 v33, 0x200, v0
	;; [unrolled: 1-line block ×12, first 2 shown]
	v_addc_co_u32_e64 v19, s[2:3], v14, v17, s[2:3]
	s_cbranch_vccnz .LBB889_136
; %bb.80:
	v_cmp_ge_u32_e32 vcc, v0, v18
                                        ; implicit-def: $vgpr14_vgpr15
	s_and_saveexec_b64 s[2:3], vcc
	s_xor_b64 s[2:3], exec, s[2:3]
; %bb.81:
	v_not_b32_e32 v14, v0
	v_ashrrev_i32_e32 v15, 31, v14
	v_add_co_u32_e32 v14, vcc, v1, v14
	v_addc_co_u32_e32 v15, vcc, v19, v15, vcc
; %bb.82:
	s_andn2_saveexec_b64 s[2:3], s[2:3]
; %bb.83:
	v_add_co_u32_e32 v14, vcc, v16, v0
	v_addc_co_u32_e32 v15, vcc, 0, v17, vcc
; %bb.84:
	s_or_b64 exec, exec, s[2:3]
	v_lshlrev_b64 v[14:15], 2, v[14:15]
	v_mov_b32_e32 v20, s25
	v_add_co_u32_e32 v14, vcc, s24, v14
	v_addc_co_u32_e32 v15, vcc, v20, v15, vcc
	v_cmp_ge_u32_e32 vcc, v35, v18
	s_waitcnt lgkmcnt(6)
	global_store_dword v[14:15], v12, off
                                        ; implicit-def: $vgpr14_vgpr15
	s_and_saveexec_b64 s[2:3], vcc
	s_xor_b64 s[2:3], exec, s[2:3]
; %bb.85:
	v_xor_b32_e32 v14, 0xfffffeff, v0
	v_ashrrev_i32_e32 v15, 31, v14
	v_add_co_u32_e32 v14, vcc, v1, v14
	v_addc_co_u32_e32 v15, vcc, v19, v15, vcc
; %bb.86:
	s_andn2_saveexec_b64 s[2:3], s[2:3]
; %bb.87:
	v_add_co_u32_e32 v14, vcc, v16, v35
	v_addc_co_u32_e32 v15, vcc, 0, v17, vcc
; %bb.88:
	s_or_b64 exec, exec, s[2:3]
	v_lshlrev_b64 v[14:15], 2, v[14:15]
	v_mov_b32_e32 v20, s25
	v_add_co_u32_e32 v14, vcc, s24, v14
	v_addc_co_u32_e32 v15, vcc, v20, v15, vcc
	v_cmp_ge_u32_e32 vcc, v33, v18
	global_store_dword v[14:15], v13, off
                                        ; implicit-def: $vgpr14_vgpr15
	s_and_saveexec_b64 s[2:3], vcc
	s_xor_b64 s[2:3], exec, s[2:3]
; %bb.89:
	v_xor_b32_e32 v14, 0xfffffdff, v0
	v_ashrrev_i32_e32 v15, 31, v14
	v_add_co_u32_e32 v14, vcc, v1, v14
	v_addc_co_u32_e32 v15, vcc, v19, v15, vcc
; %bb.90:
	s_andn2_saveexec_b64 s[2:3], s[2:3]
; %bb.91:
	v_add_co_u32_e32 v14, vcc, v16, v33
	v_addc_co_u32_e32 v15, vcc, 0, v17, vcc
; %bb.92:
	s_or_b64 exec, exec, s[2:3]
	v_lshlrev_b64 v[14:15], 2, v[14:15]
	v_mov_b32_e32 v20, s25
	v_add_co_u32_e32 v14, vcc, s24, v14
	v_addc_co_u32_e32 v15, vcc, v20, v15, vcc
	v_cmp_ge_u32_e32 vcc, v32, v18
	s_waitcnt lgkmcnt(5)
	global_store_dword v[14:15], v10, off
                                        ; implicit-def: $vgpr14_vgpr15
	s_and_saveexec_b64 s[2:3], vcc
	s_xor_b64 s[2:3], exec, s[2:3]
; %bb.93:
	v_xor_b32_e32 v14, 0xfffffcff, v0
	v_ashrrev_i32_e32 v15, 31, v14
	v_add_co_u32_e32 v14, vcc, v1, v14
	v_addc_co_u32_e32 v15, vcc, v19, v15, vcc
; %bb.94:
	s_andn2_saveexec_b64 s[2:3], s[2:3]
; %bb.95:
	v_add_co_u32_e32 v14, vcc, v16, v32
	v_addc_co_u32_e32 v15, vcc, 0, v17, vcc
; %bb.96:
	s_or_b64 exec, exec, s[2:3]
	v_lshlrev_b64 v[14:15], 2, v[14:15]
	v_mov_b32_e32 v20, s25
	v_add_co_u32_e32 v14, vcc, s24, v14
	v_addc_co_u32_e32 v15, vcc, v20, v15, vcc
	v_cmp_ge_u32_e32 vcc, v31, v18
	global_store_dword v[14:15], v11, off
                                        ; implicit-def: $vgpr14_vgpr15
	s_and_saveexec_b64 s[2:3], vcc
	s_xor_b64 s[2:3], exec, s[2:3]
; %bb.97:
	v_xor_b32_e32 v14, 0xfffffbff, v0
	;; [unrolled: 43-line block ×6, first 2 shown]
	v_ashrrev_i32_e32 v15, 31, v14
	v_add_co_u32_e32 v14, vcc, v1, v14
	v_addc_co_u32_e32 v15, vcc, v19, v15, vcc
; %bb.130:
	s_andn2_saveexec_b64 s[2:3], s[2:3]
; %bb.131:
	v_add_co_u32_e32 v14, vcc, v16, v23
	v_addc_co_u32_e32 v15, vcc, 0, v17, vcc
; %bb.132:
	s_or_b64 exec, exec, s[2:3]
	s_mov_b64 s[2:3], -1
.LBB889_133:
	s_and_saveexec_b64 s[4:5], s[2:3]
	s_cbranch_execz .LBB889_216
.LBB889_134:
	v_lshlrev_b64 v[0:1], 2, v[14:15]
	s_waitcnt lgkmcnt(1)
	v_mov_b32_e32 v2, s25
	v_add_co_u32_e32 v0, vcc, s24, v0
	v_addc_co_u32_e32 v1, vcc, v2, v1, vcc
	s_waitcnt lgkmcnt(0)
	global_store_dword v[0:1], v22, off
	s_or_b64 exec, exec, s[4:5]
	s_and_b64 s[0:1], s[0:1], s[22:23]
	s_and_saveexec_b64 s[2:3], s[0:1]
	s_cbranch_execnz .LBB889_217
.LBB889_135:
	s_endpgm
.LBB889_136:
	s_mov_b64 s[2:3], 0
                                        ; implicit-def: $vgpr14_vgpr15
	s_cbranch_execz .LBB889_133
; %bb.137:
	v_cmp_gt_u32_e32 vcc, s33, v0
	s_and_saveexec_b64 s[4:5], vcc
	s_cbranch_execz .LBB889_173
; %bb.138:
	v_cmp_ge_u32_e32 vcc, v0, v18
                                        ; implicit-def: $vgpr14_vgpr15
	s_and_saveexec_b64 s[6:7], vcc
	s_xor_b64 s[6:7], exec, s[6:7]
; %bb.139:
	v_not_b32_e32 v14, v0
	v_ashrrev_i32_e32 v15, 31, v14
	v_add_co_u32_e32 v14, vcc, v1, v14
	v_addc_co_u32_e32 v15, vcc, v19, v15, vcc
; %bb.140:
	s_andn2_saveexec_b64 s[6:7], s[6:7]
; %bb.141:
	v_add_co_u32_e32 v14, vcc, v16, v0
	v_addc_co_u32_e32 v15, vcc, 0, v17, vcc
; %bb.142:
	s_or_b64 exec, exec, s[6:7]
	v_lshlrev_b64 v[14:15], 2, v[14:15]
	v_mov_b32_e32 v20, s25
	v_add_co_u32_e32 v14, vcc, s24, v14
	v_addc_co_u32_e32 v15, vcc, v20, v15, vcc
	s_waitcnt lgkmcnt(6)
	global_store_dword v[14:15], v12, off
	s_or_b64 exec, exec, s[4:5]
	v_cmp_gt_u32_e32 vcc, s33, v35
	s_and_saveexec_b64 s[4:5], vcc
	s_cbranch_execnz .LBB889_174
.LBB889_143:
	s_or_b64 exec, exec, s[4:5]
	v_cmp_gt_u32_e32 vcc, s33, v33
	s_and_saveexec_b64 s[4:5], vcc
	s_cbranch_execz .LBB889_179
.LBB889_144:
	v_cmp_ge_u32_e32 vcc, v33, v18
                                        ; implicit-def: $vgpr12_vgpr13
	s_and_saveexec_b64 s[6:7], vcc
	s_xor_b64 s[6:7], exec, s[6:7]
	s_cbranch_execz .LBB889_146
; %bb.145:
	s_waitcnt lgkmcnt(6)
	v_xor_b32_e32 v12, 0xfffffdff, v0
	v_ashrrev_i32_e32 v13, 31, v12
	v_add_co_u32_e32 v12, vcc, v1, v12
	v_addc_co_u32_e32 v13, vcc, v19, v13, vcc
                                        ; implicit-def: $vgpr33
.LBB889_146:
	s_andn2_saveexec_b64 s[6:7], s[6:7]
	s_cbranch_execz .LBB889_148
; %bb.147:
	s_waitcnt lgkmcnt(6)
	v_add_co_u32_e32 v12, vcc, v16, v33
	v_addc_co_u32_e32 v13, vcc, 0, v17, vcc
.LBB889_148:
	s_or_b64 exec, exec, s[6:7]
	s_waitcnt lgkmcnt(6)
	v_lshlrev_b64 v[12:13], 2, v[12:13]
	v_mov_b32_e32 v14, s25
	v_add_co_u32_e32 v12, vcc, s24, v12
	v_addc_co_u32_e32 v13, vcc, v14, v13, vcc
	s_waitcnt lgkmcnt(5)
	global_store_dword v[12:13], v10, off
	s_or_b64 exec, exec, s[4:5]
	v_cmp_gt_u32_e32 vcc, s33, v32
	s_and_saveexec_b64 s[4:5], vcc
	s_cbranch_execnz .LBB889_180
.LBB889_149:
	s_or_b64 exec, exec, s[4:5]
	v_cmp_gt_u32_e32 vcc, s33, v31
	s_and_saveexec_b64 s[4:5], vcc
	s_cbranch_execz .LBB889_185
.LBB889_150:
	v_cmp_ge_u32_e32 vcc, v31, v18
                                        ; implicit-def: $vgpr10_vgpr11
	s_and_saveexec_b64 s[6:7], vcc
	s_xor_b64 s[6:7], exec, s[6:7]
	s_cbranch_execz .LBB889_152
; %bb.151:
	s_waitcnt lgkmcnt(5)
	v_xor_b32_e32 v10, 0xfffffbff, v0
	v_ashrrev_i32_e32 v11, 31, v10
	v_add_co_u32_e32 v10, vcc, v1, v10
	v_addc_co_u32_e32 v11, vcc, v19, v11, vcc
                                        ; implicit-def: $vgpr31
.LBB889_152:
	s_andn2_saveexec_b64 s[6:7], s[6:7]
	s_cbranch_execz .LBB889_154
; %bb.153:
	s_waitcnt lgkmcnt(5)
	v_add_co_u32_e32 v10, vcc, v16, v31
	v_addc_co_u32_e32 v11, vcc, 0, v17, vcc
.LBB889_154:
	s_or_b64 exec, exec, s[6:7]
	s_waitcnt lgkmcnt(5)
	v_lshlrev_b64 v[10:11], 2, v[10:11]
	v_mov_b32_e32 v12, s25
	v_add_co_u32_e32 v10, vcc, s24, v10
	v_addc_co_u32_e32 v11, vcc, v12, v11, vcc
	s_waitcnt lgkmcnt(4)
	global_store_dword v[10:11], v8, off
	s_or_b64 exec, exec, s[4:5]
	v_cmp_gt_u32_e32 vcc, s33, v30
	s_and_saveexec_b64 s[4:5], vcc
	s_cbranch_execnz .LBB889_186
.LBB889_155:
	s_or_b64 exec, exec, s[4:5]
	v_cmp_gt_u32_e32 vcc, s33, v29
	s_and_saveexec_b64 s[4:5], vcc
	s_cbranch_execz .LBB889_191
.LBB889_156:
	v_cmp_ge_u32_e32 vcc, v29, v18
                                        ; implicit-def: $vgpr8_vgpr9
	s_and_saveexec_b64 s[6:7], vcc
	s_xor_b64 s[6:7], exec, s[6:7]
	s_cbranch_execz .LBB889_158
; %bb.157:
	s_waitcnt lgkmcnt(4)
	v_xor_b32_e32 v8, 0xfffff9ff, v0
	v_ashrrev_i32_e32 v9, 31, v8
	v_add_co_u32_e32 v8, vcc, v1, v8
	v_addc_co_u32_e32 v9, vcc, v19, v9, vcc
                                        ; implicit-def: $vgpr29
.LBB889_158:
	s_andn2_saveexec_b64 s[6:7], s[6:7]
	s_cbranch_execz .LBB889_160
; %bb.159:
	s_waitcnt lgkmcnt(4)
	v_add_co_u32_e32 v8, vcc, v16, v29
	v_addc_co_u32_e32 v9, vcc, 0, v17, vcc
.LBB889_160:
	s_or_b64 exec, exec, s[6:7]
	s_waitcnt lgkmcnt(4)
	v_lshlrev_b64 v[8:9], 2, v[8:9]
	v_mov_b32_e32 v10, s25
	v_add_co_u32_e32 v8, vcc, s24, v8
	v_addc_co_u32_e32 v9, vcc, v10, v9, vcc
	s_waitcnt lgkmcnt(3)
	global_store_dword v[8:9], v6, off
	s_or_b64 exec, exec, s[4:5]
	v_cmp_gt_u32_e32 vcc, s33, v28
	s_and_saveexec_b64 s[4:5], vcc
	s_cbranch_execnz .LBB889_192
.LBB889_161:
	s_or_b64 exec, exec, s[4:5]
	v_cmp_gt_u32_e32 vcc, s33, v27
	s_and_saveexec_b64 s[4:5], vcc
	s_cbranch_execz .LBB889_197
.LBB889_162:
	v_cmp_ge_u32_e32 vcc, v27, v18
                                        ; implicit-def: $vgpr6_vgpr7
	s_and_saveexec_b64 s[6:7], vcc
	s_xor_b64 s[6:7], exec, s[6:7]
	s_cbranch_execz .LBB889_164
; %bb.163:
	s_waitcnt lgkmcnt(3)
	v_xor_b32_e32 v6, 0xfffff7ff, v0
	v_ashrrev_i32_e32 v7, 31, v6
	v_add_co_u32_e32 v6, vcc, v1, v6
	v_addc_co_u32_e32 v7, vcc, v19, v7, vcc
                                        ; implicit-def: $vgpr27
.LBB889_164:
	s_andn2_saveexec_b64 s[6:7], s[6:7]
	s_cbranch_execz .LBB889_166
; %bb.165:
	s_waitcnt lgkmcnt(3)
	v_add_co_u32_e32 v6, vcc, v16, v27
	v_addc_co_u32_e32 v7, vcc, 0, v17, vcc
.LBB889_166:
	s_or_b64 exec, exec, s[6:7]
	s_waitcnt lgkmcnt(3)
	v_lshlrev_b64 v[6:7], 2, v[6:7]
	v_mov_b32_e32 v8, s25
	v_add_co_u32_e32 v6, vcc, s24, v6
	v_addc_co_u32_e32 v7, vcc, v8, v7, vcc
	s_waitcnt lgkmcnt(2)
	global_store_dword v[6:7], v4, off
	s_or_b64 exec, exec, s[4:5]
	v_cmp_gt_u32_e32 vcc, s33, v26
	s_and_saveexec_b64 s[4:5], vcc
	s_cbranch_execnz .LBB889_198
.LBB889_167:
	s_or_b64 exec, exec, s[4:5]
	v_cmp_gt_u32_e32 vcc, s33, v25
	s_and_saveexec_b64 s[4:5], vcc
	s_cbranch_execz .LBB889_203
.LBB889_168:
	v_cmp_ge_u32_e32 vcc, v25, v18
                                        ; implicit-def: $vgpr4_vgpr5
	s_and_saveexec_b64 s[6:7], vcc
	s_xor_b64 s[6:7], exec, s[6:7]
	s_cbranch_execz .LBB889_170
; %bb.169:
	s_waitcnt lgkmcnt(2)
	v_xor_b32_e32 v4, 0xfffff5ff, v0
	v_ashrrev_i32_e32 v5, 31, v4
	v_add_co_u32_e32 v4, vcc, v1, v4
	v_addc_co_u32_e32 v5, vcc, v19, v5, vcc
                                        ; implicit-def: $vgpr25
.LBB889_170:
	s_andn2_saveexec_b64 s[6:7], s[6:7]
	s_cbranch_execz .LBB889_172
; %bb.171:
	s_waitcnt lgkmcnt(2)
	v_add_co_u32_e32 v4, vcc, v16, v25
	v_addc_co_u32_e32 v5, vcc, 0, v17, vcc
.LBB889_172:
	s_or_b64 exec, exec, s[6:7]
	s_waitcnt lgkmcnt(2)
	v_lshlrev_b64 v[4:5], 2, v[4:5]
	v_mov_b32_e32 v6, s25
	v_add_co_u32_e32 v4, vcc, s24, v4
	v_addc_co_u32_e32 v5, vcc, v6, v5, vcc
	s_waitcnt lgkmcnt(1)
	global_store_dword v[4:5], v2, off
	s_or_b64 exec, exec, s[4:5]
	v_cmp_gt_u32_e32 vcc, s33, v24
	s_and_saveexec_b64 s[4:5], vcc
	s_cbranch_execz .LBB889_209
	s_branch .LBB889_204
.LBB889_173:
	s_or_b64 exec, exec, s[4:5]
	v_cmp_gt_u32_e32 vcc, s33, v35
	s_and_saveexec_b64 s[4:5], vcc
	s_cbranch_execz .LBB889_143
.LBB889_174:
	v_cmp_ge_u32_e32 vcc, v35, v18
                                        ; implicit-def: $vgpr14_vgpr15
	s_and_saveexec_b64 s[6:7], vcc
	s_xor_b64 s[6:7], exec, s[6:7]
	s_cbranch_execz .LBB889_176
; %bb.175:
	s_waitcnt lgkmcnt(6)
	v_xor_b32_e32 v12, 0xfffffeff, v0
	v_ashrrev_i32_e32 v15, 31, v12
	v_add_co_u32_e32 v14, vcc, v1, v12
	v_addc_co_u32_e32 v15, vcc, v19, v15, vcc
                                        ; implicit-def: $vgpr35
.LBB889_176:
	s_andn2_saveexec_b64 s[6:7], s[6:7]
; %bb.177:
	v_add_co_u32_e32 v14, vcc, v16, v35
	v_addc_co_u32_e32 v15, vcc, 0, v17, vcc
; %bb.178:
	s_or_b64 exec, exec, s[6:7]
	v_lshlrev_b64 v[14:15], 2, v[14:15]
	s_waitcnt lgkmcnt(6)
	v_mov_b32_e32 v12, s25
	v_add_co_u32_e32 v14, vcc, s24, v14
	v_addc_co_u32_e32 v15, vcc, v12, v15, vcc
	global_store_dword v[14:15], v13, off
	s_or_b64 exec, exec, s[4:5]
	v_cmp_gt_u32_e32 vcc, s33, v33
	s_and_saveexec_b64 s[4:5], vcc
	s_cbranch_execnz .LBB889_144
.LBB889_179:
	s_or_b64 exec, exec, s[4:5]
	v_cmp_gt_u32_e32 vcc, s33, v32
	s_and_saveexec_b64 s[4:5], vcc
	s_cbranch_execz .LBB889_149
.LBB889_180:
	v_cmp_ge_u32_e32 vcc, v32, v18
                                        ; implicit-def: $vgpr12_vgpr13
	s_and_saveexec_b64 s[6:7], vcc
	s_xor_b64 s[6:7], exec, s[6:7]
	s_cbranch_execz .LBB889_182
; %bb.181:
	s_waitcnt lgkmcnt(5)
	v_xor_b32_e32 v10, 0xfffffcff, v0
	v_ashrrev_i32_e32 v13, 31, v10
	v_add_co_u32_e32 v12, vcc, v1, v10
	v_addc_co_u32_e32 v13, vcc, v19, v13, vcc
                                        ; implicit-def: $vgpr32
.LBB889_182:
	s_andn2_saveexec_b64 s[6:7], s[6:7]
	s_cbranch_execz .LBB889_184
; %bb.183:
	s_waitcnt lgkmcnt(6)
	v_add_co_u32_e32 v12, vcc, v16, v32
	v_addc_co_u32_e32 v13, vcc, 0, v17, vcc
.LBB889_184:
	s_or_b64 exec, exec, s[6:7]
	s_waitcnt lgkmcnt(6)
	v_lshlrev_b64 v[12:13], 2, v[12:13]
	s_waitcnt lgkmcnt(5)
	v_mov_b32_e32 v10, s25
	v_add_co_u32_e32 v12, vcc, s24, v12
	v_addc_co_u32_e32 v13, vcc, v10, v13, vcc
	global_store_dword v[12:13], v11, off
	s_or_b64 exec, exec, s[4:5]
	v_cmp_gt_u32_e32 vcc, s33, v31
	s_and_saveexec_b64 s[4:5], vcc
	s_cbranch_execnz .LBB889_150
.LBB889_185:
	s_or_b64 exec, exec, s[4:5]
	v_cmp_gt_u32_e32 vcc, s33, v30
	s_and_saveexec_b64 s[4:5], vcc
	s_cbranch_execz .LBB889_155
.LBB889_186:
	v_cmp_ge_u32_e32 vcc, v30, v18
                                        ; implicit-def: $vgpr10_vgpr11
	s_and_saveexec_b64 s[6:7], vcc
	s_xor_b64 s[6:7], exec, s[6:7]
	s_cbranch_execz .LBB889_188
; %bb.187:
	s_waitcnt lgkmcnt(4)
	v_xor_b32_e32 v8, 0xfffffaff, v0
	v_ashrrev_i32_e32 v11, 31, v8
	v_add_co_u32_e32 v10, vcc, v1, v8
	v_addc_co_u32_e32 v11, vcc, v19, v11, vcc
                                        ; implicit-def: $vgpr30
.LBB889_188:
	s_andn2_saveexec_b64 s[6:7], s[6:7]
	s_cbranch_execz .LBB889_190
; %bb.189:
	s_waitcnt lgkmcnt(5)
	v_add_co_u32_e32 v10, vcc, v16, v30
	v_addc_co_u32_e32 v11, vcc, 0, v17, vcc
.LBB889_190:
	s_or_b64 exec, exec, s[6:7]
	s_waitcnt lgkmcnt(5)
	v_lshlrev_b64 v[10:11], 2, v[10:11]
	s_waitcnt lgkmcnt(4)
	v_mov_b32_e32 v8, s25
	v_add_co_u32_e32 v10, vcc, s24, v10
	v_addc_co_u32_e32 v11, vcc, v8, v11, vcc
	global_store_dword v[10:11], v9, off
	s_or_b64 exec, exec, s[4:5]
	v_cmp_gt_u32_e32 vcc, s33, v29
	s_and_saveexec_b64 s[4:5], vcc
	s_cbranch_execnz .LBB889_156
.LBB889_191:
	s_or_b64 exec, exec, s[4:5]
	v_cmp_gt_u32_e32 vcc, s33, v28
	s_and_saveexec_b64 s[4:5], vcc
	s_cbranch_execz .LBB889_161
.LBB889_192:
	v_cmp_ge_u32_e32 vcc, v28, v18
                                        ; implicit-def: $vgpr8_vgpr9
	s_and_saveexec_b64 s[6:7], vcc
	s_xor_b64 s[6:7], exec, s[6:7]
	s_cbranch_execz .LBB889_194
; %bb.193:
	s_waitcnt lgkmcnt(3)
	v_xor_b32_e32 v6, 0xfffff8ff, v0
	v_ashrrev_i32_e32 v9, 31, v6
	v_add_co_u32_e32 v8, vcc, v1, v6
	v_addc_co_u32_e32 v9, vcc, v19, v9, vcc
                                        ; implicit-def: $vgpr28
.LBB889_194:
	s_andn2_saveexec_b64 s[6:7], s[6:7]
	s_cbranch_execz .LBB889_196
; %bb.195:
	s_waitcnt lgkmcnt(4)
	v_add_co_u32_e32 v8, vcc, v16, v28
	v_addc_co_u32_e32 v9, vcc, 0, v17, vcc
.LBB889_196:
	s_or_b64 exec, exec, s[6:7]
	s_waitcnt lgkmcnt(4)
	v_lshlrev_b64 v[8:9], 2, v[8:9]
	s_waitcnt lgkmcnt(3)
	v_mov_b32_e32 v6, s25
	v_add_co_u32_e32 v8, vcc, s24, v8
	v_addc_co_u32_e32 v9, vcc, v6, v9, vcc
	global_store_dword v[8:9], v7, off
	s_or_b64 exec, exec, s[4:5]
	v_cmp_gt_u32_e32 vcc, s33, v27
	s_and_saveexec_b64 s[4:5], vcc
	s_cbranch_execnz .LBB889_162
.LBB889_197:
	s_or_b64 exec, exec, s[4:5]
	v_cmp_gt_u32_e32 vcc, s33, v26
	s_and_saveexec_b64 s[4:5], vcc
	s_cbranch_execz .LBB889_167
.LBB889_198:
	v_cmp_ge_u32_e32 vcc, v26, v18
                                        ; implicit-def: $vgpr6_vgpr7
	s_and_saveexec_b64 s[6:7], vcc
	s_xor_b64 s[6:7], exec, s[6:7]
	s_cbranch_execz .LBB889_200
; %bb.199:
	s_waitcnt lgkmcnt(2)
	v_xor_b32_e32 v4, 0xfffff6ff, v0
	v_ashrrev_i32_e32 v7, 31, v4
	v_add_co_u32_e32 v6, vcc, v1, v4
	v_addc_co_u32_e32 v7, vcc, v19, v7, vcc
                                        ; implicit-def: $vgpr26
.LBB889_200:
	s_andn2_saveexec_b64 s[6:7], s[6:7]
	s_cbranch_execz .LBB889_202
; %bb.201:
	s_waitcnt lgkmcnt(3)
	v_add_co_u32_e32 v6, vcc, v16, v26
	v_addc_co_u32_e32 v7, vcc, 0, v17, vcc
.LBB889_202:
	s_or_b64 exec, exec, s[6:7]
	s_waitcnt lgkmcnt(3)
	v_lshlrev_b64 v[6:7], 2, v[6:7]
	s_waitcnt lgkmcnt(2)
	v_mov_b32_e32 v4, s25
	v_add_co_u32_e32 v6, vcc, s24, v6
	v_addc_co_u32_e32 v7, vcc, v4, v7, vcc
	global_store_dword v[6:7], v5, off
	s_or_b64 exec, exec, s[4:5]
	v_cmp_gt_u32_e32 vcc, s33, v25
	s_and_saveexec_b64 s[4:5], vcc
	s_cbranch_execnz .LBB889_168
.LBB889_203:
	s_or_b64 exec, exec, s[4:5]
	v_cmp_gt_u32_e32 vcc, s33, v24
	s_and_saveexec_b64 s[4:5], vcc
	s_cbranch_execz .LBB889_209
.LBB889_204:
	v_cmp_ge_u32_e32 vcc, v24, v18
                                        ; implicit-def: $vgpr4_vgpr5
	s_and_saveexec_b64 s[6:7], vcc
	s_xor_b64 s[6:7], exec, s[6:7]
	s_cbranch_execz .LBB889_206
; %bb.205:
	s_waitcnt lgkmcnt(1)
	v_xor_b32_e32 v2, 0xfffff4ff, v0
	v_ashrrev_i32_e32 v5, 31, v2
	v_add_co_u32_e32 v4, vcc, v1, v2
	v_addc_co_u32_e32 v5, vcc, v19, v5, vcc
                                        ; implicit-def: $vgpr24
.LBB889_206:
	s_andn2_saveexec_b64 s[6:7], s[6:7]
	s_cbranch_execz .LBB889_208
; %bb.207:
	s_waitcnt lgkmcnt(2)
	v_add_co_u32_e32 v4, vcc, v16, v24
	v_addc_co_u32_e32 v5, vcc, 0, v17, vcc
.LBB889_208:
	s_or_b64 exec, exec, s[6:7]
	s_waitcnt lgkmcnt(2)
	v_lshlrev_b64 v[4:5], 2, v[4:5]
	s_waitcnt lgkmcnt(1)
	v_mov_b32_e32 v2, s25
	v_add_co_u32_e32 v4, vcc, s24, v4
	v_addc_co_u32_e32 v5, vcc, v2, v5, vcc
	global_store_dword v[4:5], v3, off
.LBB889_209:
	s_or_b64 exec, exec, s[4:5]
	v_cmp_gt_u32_e32 vcc, s33, v23
                                        ; implicit-def: $vgpr14_vgpr15
	s_and_saveexec_b64 s[4:5], vcc
	s_cbranch_execz .LBB889_215
; %bb.210:
	v_cmp_ge_u32_e32 vcc, v23, v18
                                        ; implicit-def: $vgpr14_vgpr15
	s_and_saveexec_b64 s[6:7], vcc
	s_xor_b64 s[6:7], exec, s[6:7]
	s_cbranch_execz .LBB889_212
; %bb.211:
	v_xor_b32_e32 v0, 0xfffff3ff, v0
	s_waitcnt lgkmcnt(1)
	v_ashrrev_i32_e32 v2, 31, v0
	v_add_co_u32_e32 v14, vcc, v1, v0
	v_addc_co_u32_e32 v15, vcc, v19, v2, vcc
                                        ; implicit-def: $vgpr23
.LBB889_212:
	s_andn2_saveexec_b64 s[6:7], s[6:7]
; %bb.213:
	v_add_co_u32_e32 v14, vcc, v16, v23
	v_addc_co_u32_e32 v15, vcc, 0, v17, vcc
; %bb.214:
	s_or_b64 exec, exec, s[6:7]
	s_or_b64 s[2:3], s[2:3], exec
.LBB889_215:
	s_or_b64 exec, exec, s[4:5]
	s_and_saveexec_b64 s[4:5], s[2:3]
	s_cbranch_execnz .LBB889_134
.LBB889_216:
	s_or_b64 exec, exec, s[4:5]
	s_and_b64 s[0:1], s[0:1], s[22:23]
	s_and_saveexec_b64 s[2:3], s[0:1]
	s_cbranch_execz .LBB889_135
.LBB889_217:
	v_add_co_u32_e32 v0, vcc, v16, v18
	s_waitcnt lgkmcnt(1)
	v_mov_b32_e32 v2, 0
	v_addc_co_u32_e32 v1, vcc, 0, v17, vcc
	global_store_dwordx2 v2, v[0:1], s[20:21]
	s_endpgm
	.section	.rodata,"a",@progbits
	.p2align	6, 0x0
	.amdhsa_kernel _ZN7rocprim17ROCPRIM_400000_NS6detail17trampoline_kernelINS0_13select_configILj256ELj13ELNS0_17block_load_methodE3ELS4_3ELS4_3ELNS0_20block_scan_algorithmE0ELj4294967295EEENS1_25partition_config_selectorILNS1_17partition_subalgoE3EjNS0_10empty_typeEbEEZZNS1_14partition_implILS8_3ELb0ES6_jNS0_17counting_iteratorIjlEEPS9_SE_NS0_5tupleIJPjSE_EEENSF_IJSE_SE_EEES9_SG_JZNS1_25segmented_radix_sort_implINS0_14default_configELb1EPKsPsPKlPlN2at6native12_GLOBAL__N_18offset_tEEE10hipError_tPvRmT1_PNSt15iterator_traitsISY_E10value_typeET2_T3_PNSZ_IS14_E10value_typeET4_jRbjT5_S1A_jjP12ihipStream_tbEUljE_EEESV_SW_SX_S14_S18_S1A_T6_T7_T9_mT8_S1C_bDpT10_ENKUlT_T0_E_clISt17integral_constantIbLb1EES1P_EEDaS1K_S1L_EUlS1K_E_NS1_11comp_targetILNS1_3genE4ELNS1_11target_archE910ELNS1_3gpuE8ELNS1_3repE0EEENS1_30default_config_static_selectorELNS0_4arch9wavefront6targetE1EEEvSY_
		.amdhsa_group_segment_fixed_size 13324
		.amdhsa_private_segment_fixed_size 0
		.amdhsa_kernarg_size 152
		.amdhsa_user_sgpr_count 6
		.amdhsa_user_sgpr_private_segment_buffer 1
		.amdhsa_user_sgpr_dispatch_ptr 0
		.amdhsa_user_sgpr_queue_ptr 0
		.amdhsa_user_sgpr_kernarg_segment_ptr 1
		.amdhsa_user_sgpr_dispatch_id 0
		.amdhsa_user_sgpr_flat_scratch_init 0
		.amdhsa_user_sgpr_kernarg_preload_length 0
		.amdhsa_user_sgpr_kernarg_preload_offset 0
		.amdhsa_user_sgpr_private_segment_size 0
		.amdhsa_uses_dynamic_stack 0
		.amdhsa_system_sgpr_private_segment_wavefront_offset 0
		.amdhsa_system_sgpr_workgroup_id_x 1
		.amdhsa_system_sgpr_workgroup_id_y 0
		.amdhsa_system_sgpr_workgroup_id_z 0
		.amdhsa_system_sgpr_workgroup_info 0
		.amdhsa_system_vgpr_workitem_id 0
		.amdhsa_next_free_vgpr 64
		.amdhsa_next_free_sgpr 44
		.amdhsa_accum_offset 64
		.amdhsa_reserve_vcc 1
		.amdhsa_reserve_flat_scratch 0
		.amdhsa_float_round_mode_32 0
		.amdhsa_float_round_mode_16_64 0
		.amdhsa_float_denorm_mode_32 3
		.amdhsa_float_denorm_mode_16_64 3
		.amdhsa_dx10_clamp 1
		.amdhsa_ieee_mode 1
		.amdhsa_fp16_overflow 0
		.amdhsa_tg_split 0
		.amdhsa_exception_fp_ieee_invalid_op 0
		.amdhsa_exception_fp_denorm_src 0
		.amdhsa_exception_fp_ieee_div_zero 0
		.amdhsa_exception_fp_ieee_overflow 0
		.amdhsa_exception_fp_ieee_underflow 0
		.amdhsa_exception_fp_ieee_inexact 0
		.amdhsa_exception_int_div_zero 0
	.end_amdhsa_kernel
	.section	.text._ZN7rocprim17ROCPRIM_400000_NS6detail17trampoline_kernelINS0_13select_configILj256ELj13ELNS0_17block_load_methodE3ELS4_3ELS4_3ELNS0_20block_scan_algorithmE0ELj4294967295EEENS1_25partition_config_selectorILNS1_17partition_subalgoE3EjNS0_10empty_typeEbEEZZNS1_14partition_implILS8_3ELb0ES6_jNS0_17counting_iteratorIjlEEPS9_SE_NS0_5tupleIJPjSE_EEENSF_IJSE_SE_EEES9_SG_JZNS1_25segmented_radix_sort_implINS0_14default_configELb1EPKsPsPKlPlN2at6native12_GLOBAL__N_18offset_tEEE10hipError_tPvRmT1_PNSt15iterator_traitsISY_E10value_typeET2_T3_PNSZ_IS14_E10value_typeET4_jRbjT5_S1A_jjP12ihipStream_tbEUljE_EEESV_SW_SX_S14_S18_S1A_T6_T7_T9_mT8_S1C_bDpT10_ENKUlT_T0_E_clISt17integral_constantIbLb1EES1P_EEDaS1K_S1L_EUlS1K_E_NS1_11comp_targetILNS1_3genE4ELNS1_11target_archE910ELNS1_3gpuE8ELNS1_3repE0EEENS1_30default_config_static_selectorELNS0_4arch9wavefront6targetE1EEEvSY_,"axG",@progbits,_ZN7rocprim17ROCPRIM_400000_NS6detail17trampoline_kernelINS0_13select_configILj256ELj13ELNS0_17block_load_methodE3ELS4_3ELS4_3ELNS0_20block_scan_algorithmE0ELj4294967295EEENS1_25partition_config_selectorILNS1_17partition_subalgoE3EjNS0_10empty_typeEbEEZZNS1_14partition_implILS8_3ELb0ES6_jNS0_17counting_iteratorIjlEEPS9_SE_NS0_5tupleIJPjSE_EEENSF_IJSE_SE_EEES9_SG_JZNS1_25segmented_radix_sort_implINS0_14default_configELb1EPKsPsPKlPlN2at6native12_GLOBAL__N_18offset_tEEE10hipError_tPvRmT1_PNSt15iterator_traitsISY_E10value_typeET2_T3_PNSZ_IS14_E10value_typeET4_jRbjT5_S1A_jjP12ihipStream_tbEUljE_EEESV_SW_SX_S14_S18_S1A_T6_T7_T9_mT8_S1C_bDpT10_ENKUlT_T0_E_clISt17integral_constantIbLb1EES1P_EEDaS1K_S1L_EUlS1K_E_NS1_11comp_targetILNS1_3genE4ELNS1_11target_archE910ELNS1_3gpuE8ELNS1_3repE0EEENS1_30default_config_static_selectorELNS0_4arch9wavefront6targetE1EEEvSY_,comdat
.Lfunc_end889:
	.size	_ZN7rocprim17ROCPRIM_400000_NS6detail17trampoline_kernelINS0_13select_configILj256ELj13ELNS0_17block_load_methodE3ELS4_3ELS4_3ELNS0_20block_scan_algorithmE0ELj4294967295EEENS1_25partition_config_selectorILNS1_17partition_subalgoE3EjNS0_10empty_typeEbEEZZNS1_14partition_implILS8_3ELb0ES6_jNS0_17counting_iteratorIjlEEPS9_SE_NS0_5tupleIJPjSE_EEENSF_IJSE_SE_EEES9_SG_JZNS1_25segmented_radix_sort_implINS0_14default_configELb1EPKsPsPKlPlN2at6native12_GLOBAL__N_18offset_tEEE10hipError_tPvRmT1_PNSt15iterator_traitsISY_E10value_typeET2_T3_PNSZ_IS14_E10value_typeET4_jRbjT5_S1A_jjP12ihipStream_tbEUljE_EEESV_SW_SX_S14_S18_S1A_T6_T7_T9_mT8_S1C_bDpT10_ENKUlT_T0_E_clISt17integral_constantIbLb1EES1P_EEDaS1K_S1L_EUlS1K_E_NS1_11comp_targetILNS1_3genE4ELNS1_11target_archE910ELNS1_3gpuE8ELNS1_3repE0EEENS1_30default_config_static_selectorELNS0_4arch9wavefront6targetE1EEEvSY_, .Lfunc_end889-_ZN7rocprim17ROCPRIM_400000_NS6detail17trampoline_kernelINS0_13select_configILj256ELj13ELNS0_17block_load_methodE3ELS4_3ELS4_3ELNS0_20block_scan_algorithmE0ELj4294967295EEENS1_25partition_config_selectorILNS1_17partition_subalgoE3EjNS0_10empty_typeEbEEZZNS1_14partition_implILS8_3ELb0ES6_jNS0_17counting_iteratorIjlEEPS9_SE_NS0_5tupleIJPjSE_EEENSF_IJSE_SE_EEES9_SG_JZNS1_25segmented_radix_sort_implINS0_14default_configELb1EPKsPsPKlPlN2at6native12_GLOBAL__N_18offset_tEEE10hipError_tPvRmT1_PNSt15iterator_traitsISY_E10value_typeET2_T3_PNSZ_IS14_E10value_typeET4_jRbjT5_S1A_jjP12ihipStream_tbEUljE_EEESV_SW_SX_S14_S18_S1A_T6_T7_T9_mT8_S1C_bDpT10_ENKUlT_T0_E_clISt17integral_constantIbLb1EES1P_EEDaS1K_S1L_EUlS1K_E_NS1_11comp_targetILNS1_3genE4ELNS1_11target_archE910ELNS1_3gpuE8ELNS1_3repE0EEENS1_30default_config_static_selectorELNS0_4arch9wavefront6targetE1EEEvSY_
                                        ; -- End function
	.section	.AMDGPU.csdata,"",@progbits
; Kernel info:
; codeLenInByte = 7896
; NumSgprs: 48
; NumVgprs: 64
; NumAgprs: 0
; TotalNumVgprs: 64
; ScratchSize: 0
; MemoryBound: 0
; FloatMode: 240
; IeeeMode: 1
; LDSByteSize: 13324 bytes/workgroup (compile time only)
; SGPRBlocks: 5
; VGPRBlocks: 7
; NumSGPRsForWavesPerEU: 48
; NumVGPRsForWavesPerEU: 64
; AccumOffset: 64
; Occupancy: 4
; WaveLimiterHint : 0
; COMPUTE_PGM_RSRC2:SCRATCH_EN: 0
; COMPUTE_PGM_RSRC2:USER_SGPR: 6
; COMPUTE_PGM_RSRC2:TRAP_HANDLER: 0
; COMPUTE_PGM_RSRC2:TGID_X_EN: 1
; COMPUTE_PGM_RSRC2:TGID_Y_EN: 0
; COMPUTE_PGM_RSRC2:TGID_Z_EN: 0
; COMPUTE_PGM_RSRC2:TIDIG_COMP_CNT: 0
; COMPUTE_PGM_RSRC3_GFX90A:ACCUM_OFFSET: 15
; COMPUTE_PGM_RSRC3_GFX90A:TG_SPLIT: 0
	.section	.text._ZN7rocprim17ROCPRIM_400000_NS6detail17trampoline_kernelINS0_13select_configILj256ELj13ELNS0_17block_load_methodE3ELS4_3ELS4_3ELNS0_20block_scan_algorithmE0ELj4294967295EEENS1_25partition_config_selectorILNS1_17partition_subalgoE3EjNS0_10empty_typeEbEEZZNS1_14partition_implILS8_3ELb0ES6_jNS0_17counting_iteratorIjlEEPS9_SE_NS0_5tupleIJPjSE_EEENSF_IJSE_SE_EEES9_SG_JZNS1_25segmented_radix_sort_implINS0_14default_configELb1EPKsPsPKlPlN2at6native12_GLOBAL__N_18offset_tEEE10hipError_tPvRmT1_PNSt15iterator_traitsISY_E10value_typeET2_T3_PNSZ_IS14_E10value_typeET4_jRbjT5_S1A_jjP12ihipStream_tbEUljE_EEESV_SW_SX_S14_S18_S1A_T6_T7_T9_mT8_S1C_bDpT10_ENKUlT_T0_E_clISt17integral_constantIbLb1EES1P_EEDaS1K_S1L_EUlS1K_E_NS1_11comp_targetILNS1_3genE3ELNS1_11target_archE908ELNS1_3gpuE7ELNS1_3repE0EEENS1_30default_config_static_selectorELNS0_4arch9wavefront6targetE1EEEvSY_,"axG",@progbits,_ZN7rocprim17ROCPRIM_400000_NS6detail17trampoline_kernelINS0_13select_configILj256ELj13ELNS0_17block_load_methodE3ELS4_3ELS4_3ELNS0_20block_scan_algorithmE0ELj4294967295EEENS1_25partition_config_selectorILNS1_17partition_subalgoE3EjNS0_10empty_typeEbEEZZNS1_14partition_implILS8_3ELb0ES6_jNS0_17counting_iteratorIjlEEPS9_SE_NS0_5tupleIJPjSE_EEENSF_IJSE_SE_EEES9_SG_JZNS1_25segmented_radix_sort_implINS0_14default_configELb1EPKsPsPKlPlN2at6native12_GLOBAL__N_18offset_tEEE10hipError_tPvRmT1_PNSt15iterator_traitsISY_E10value_typeET2_T3_PNSZ_IS14_E10value_typeET4_jRbjT5_S1A_jjP12ihipStream_tbEUljE_EEESV_SW_SX_S14_S18_S1A_T6_T7_T9_mT8_S1C_bDpT10_ENKUlT_T0_E_clISt17integral_constantIbLb1EES1P_EEDaS1K_S1L_EUlS1K_E_NS1_11comp_targetILNS1_3genE3ELNS1_11target_archE908ELNS1_3gpuE7ELNS1_3repE0EEENS1_30default_config_static_selectorELNS0_4arch9wavefront6targetE1EEEvSY_,comdat
	.globl	_ZN7rocprim17ROCPRIM_400000_NS6detail17trampoline_kernelINS0_13select_configILj256ELj13ELNS0_17block_load_methodE3ELS4_3ELS4_3ELNS0_20block_scan_algorithmE0ELj4294967295EEENS1_25partition_config_selectorILNS1_17partition_subalgoE3EjNS0_10empty_typeEbEEZZNS1_14partition_implILS8_3ELb0ES6_jNS0_17counting_iteratorIjlEEPS9_SE_NS0_5tupleIJPjSE_EEENSF_IJSE_SE_EEES9_SG_JZNS1_25segmented_radix_sort_implINS0_14default_configELb1EPKsPsPKlPlN2at6native12_GLOBAL__N_18offset_tEEE10hipError_tPvRmT1_PNSt15iterator_traitsISY_E10value_typeET2_T3_PNSZ_IS14_E10value_typeET4_jRbjT5_S1A_jjP12ihipStream_tbEUljE_EEESV_SW_SX_S14_S18_S1A_T6_T7_T9_mT8_S1C_bDpT10_ENKUlT_T0_E_clISt17integral_constantIbLb1EES1P_EEDaS1K_S1L_EUlS1K_E_NS1_11comp_targetILNS1_3genE3ELNS1_11target_archE908ELNS1_3gpuE7ELNS1_3repE0EEENS1_30default_config_static_selectorELNS0_4arch9wavefront6targetE1EEEvSY_ ; -- Begin function _ZN7rocprim17ROCPRIM_400000_NS6detail17trampoline_kernelINS0_13select_configILj256ELj13ELNS0_17block_load_methodE3ELS4_3ELS4_3ELNS0_20block_scan_algorithmE0ELj4294967295EEENS1_25partition_config_selectorILNS1_17partition_subalgoE3EjNS0_10empty_typeEbEEZZNS1_14partition_implILS8_3ELb0ES6_jNS0_17counting_iteratorIjlEEPS9_SE_NS0_5tupleIJPjSE_EEENSF_IJSE_SE_EEES9_SG_JZNS1_25segmented_radix_sort_implINS0_14default_configELb1EPKsPsPKlPlN2at6native12_GLOBAL__N_18offset_tEEE10hipError_tPvRmT1_PNSt15iterator_traitsISY_E10value_typeET2_T3_PNSZ_IS14_E10value_typeET4_jRbjT5_S1A_jjP12ihipStream_tbEUljE_EEESV_SW_SX_S14_S18_S1A_T6_T7_T9_mT8_S1C_bDpT10_ENKUlT_T0_E_clISt17integral_constantIbLb1EES1P_EEDaS1K_S1L_EUlS1K_E_NS1_11comp_targetILNS1_3genE3ELNS1_11target_archE908ELNS1_3gpuE7ELNS1_3repE0EEENS1_30default_config_static_selectorELNS0_4arch9wavefront6targetE1EEEvSY_
	.p2align	8
	.type	_ZN7rocprim17ROCPRIM_400000_NS6detail17trampoline_kernelINS0_13select_configILj256ELj13ELNS0_17block_load_methodE3ELS4_3ELS4_3ELNS0_20block_scan_algorithmE0ELj4294967295EEENS1_25partition_config_selectorILNS1_17partition_subalgoE3EjNS0_10empty_typeEbEEZZNS1_14partition_implILS8_3ELb0ES6_jNS0_17counting_iteratorIjlEEPS9_SE_NS0_5tupleIJPjSE_EEENSF_IJSE_SE_EEES9_SG_JZNS1_25segmented_radix_sort_implINS0_14default_configELb1EPKsPsPKlPlN2at6native12_GLOBAL__N_18offset_tEEE10hipError_tPvRmT1_PNSt15iterator_traitsISY_E10value_typeET2_T3_PNSZ_IS14_E10value_typeET4_jRbjT5_S1A_jjP12ihipStream_tbEUljE_EEESV_SW_SX_S14_S18_S1A_T6_T7_T9_mT8_S1C_bDpT10_ENKUlT_T0_E_clISt17integral_constantIbLb1EES1P_EEDaS1K_S1L_EUlS1K_E_NS1_11comp_targetILNS1_3genE3ELNS1_11target_archE908ELNS1_3gpuE7ELNS1_3repE0EEENS1_30default_config_static_selectorELNS0_4arch9wavefront6targetE1EEEvSY_,@function
_ZN7rocprim17ROCPRIM_400000_NS6detail17trampoline_kernelINS0_13select_configILj256ELj13ELNS0_17block_load_methodE3ELS4_3ELS4_3ELNS0_20block_scan_algorithmE0ELj4294967295EEENS1_25partition_config_selectorILNS1_17partition_subalgoE3EjNS0_10empty_typeEbEEZZNS1_14partition_implILS8_3ELb0ES6_jNS0_17counting_iteratorIjlEEPS9_SE_NS0_5tupleIJPjSE_EEENSF_IJSE_SE_EEES9_SG_JZNS1_25segmented_radix_sort_implINS0_14default_configELb1EPKsPsPKlPlN2at6native12_GLOBAL__N_18offset_tEEE10hipError_tPvRmT1_PNSt15iterator_traitsISY_E10value_typeET2_T3_PNSZ_IS14_E10value_typeET4_jRbjT5_S1A_jjP12ihipStream_tbEUljE_EEESV_SW_SX_S14_S18_S1A_T6_T7_T9_mT8_S1C_bDpT10_ENKUlT_T0_E_clISt17integral_constantIbLb1EES1P_EEDaS1K_S1L_EUlS1K_E_NS1_11comp_targetILNS1_3genE3ELNS1_11target_archE908ELNS1_3gpuE7ELNS1_3repE0EEENS1_30default_config_static_selectorELNS0_4arch9wavefront6targetE1EEEvSY_: ; @_ZN7rocprim17ROCPRIM_400000_NS6detail17trampoline_kernelINS0_13select_configILj256ELj13ELNS0_17block_load_methodE3ELS4_3ELS4_3ELNS0_20block_scan_algorithmE0ELj4294967295EEENS1_25partition_config_selectorILNS1_17partition_subalgoE3EjNS0_10empty_typeEbEEZZNS1_14partition_implILS8_3ELb0ES6_jNS0_17counting_iteratorIjlEEPS9_SE_NS0_5tupleIJPjSE_EEENSF_IJSE_SE_EEES9_SG_JZNS1_25segmented_radix_sort_implINS0_14default_configELb1EPKsPsPKlPlN2at6native12_GLOBAL__N_18offset_tEEE10hipError_tPvRmT1_PNSt15iterator_traitsISY_E10value_typeET2_T3_PNSZ_IS14_E10value_typeET4_jRbjT5_S1A_jjP12ihipStream_tbEUljE_EEESV_SW_SX_S14_S18_S1A_T6_T7_T9_mT8_S1C_bDpT10_ENKUlT_T0_E_clISt17integral_constantIbLb1EES1P_EEDaS1K_S1L_EUlS1K_E_NS1_11comp_targetILNS1_3genE3ELNS1_11target_archE908ELNS1_3gpuE7ELNS1_3repE0EEENS1_30default_config_static_selectorELNS0_4arch9wavefront6targetE1EEEvSY_
; %bb.0:
	.section	.rodata,"a",@progbits
	.p2align	6, 0x0
	.amdhsa_kernel _ZN7rocprim17ROCPRIM_400000_NS6detail17trampoline_kernelINS0_13select_configILj256ELj13ELNS0_17block_load_methodE3ELS4_3ELS4_3ELNS0_20block_scan_algorithmE0ELj4294967295EEENS1_25partition_config_selectorILNS1_17partition_subalgoE3EjNS0_10empty_typeEbEEZZNS1_14partition_implILS8_3ELb0ES6_jNS0_17counting_iteratorIjlEEPS9_SE_NS0_5tupleIJPjSE_EEENSF_IJSE_SE_EEES9_SG_JZNS1_25segmented_radix_sort_implINS0_14default_configELb1EPKsPsPKlPlN2at6native12_GLOBAL__N_18offset_tEEE10hipError_tPvRmT1_PNSt15iterator_traitsISY_E10value_typeET2_T3_PNSZ_IS14_E10value_typeET4_jRbjT5_S1A_jjP12ihipStream_tbEUljE_EEESV_SW_SX_S14_S18_S1A_T6_T7_T9_mT8_S1C_bDpT10_ENKUlT_T0_E_clISt17integral_constantIbLb1EES1P_EEDaS1K_S1L_EUlS1K_E_NS1_11comp_targetILNS1_3genE3ELNS1_11target_archE908ELNS1_3gpuE7ELNS1_3repE0EEENS1_30default_config_static_selectorELNS0_4arch9wavefront6targetE1EEEvSY_
		.amdhsa_group_segment_fixed_size 0
		.amdhsa_private_segment_fixed_size 0
		.amdhsa_kernarg_size 152
		.amdhsa_user_sgpr_count 6
		.amdhsa_user_sgpr_private_segment_buffer 1
		.amdhsa_user_sgpr_dispatch_ptr 0
		.amdhsa_user_sgpr_queue_ptr 0
		.amdhsa_user_sgpr_kernarg_segment_ptr 1
		.amdhsa_user_sgpr_dispatch_id 0
		.amdhsa_user_sgpr_flat_scratch_init 0
		.amdhsa_user_sgpr_kernarg_preload_length 0
		.amdhsa_user_sgpr_kernarg_preload_offset 0
		.amdhsa_user_sgpr_private_segment_size 0
		.amdhsa_uses_dynamic_stack 0
		.amdhsa_system_sgpr_private_segment_wavefront_offset 0
		.amdhsa_system_sgpr_workgroup_id_x 1
		.amdhsa_system_sgpr_workgroup_id_y 0
		.amdhsa_system_sgpr_workgroup_id_z 0
		.amdhsa_system_sgpr_workgroup_info 0
		.amdhsa_system_vgpr_workitem_id 0
		.amdhsa_next_free_vgpr 1
		.amdhsa_next_free_sgpr 0
		.amdhsa_accum_offset 4
		.amdhsa_reserve_vcc 0
		.amdhsa_reserve_flat_scratch 0
		.amdhsa_float_round_mode_32 0
		.amdhsa_float_round_mode_16_64 0
		.amdhsa_float_denorm_mode_32 3
		.amdhsa_float_denorm_mode_16_64 3
		.amdhsa_dx10_clamp 1
		.amdhsa_ieee_mode 1
		.amdhsa_fp16_overflow 0
		.amdhsa_tg_split 0
		.amdhsa_exception_fp_ieee_invalid_op 0
		.amdhsa_exception_fp_denorm_src 0
		.amdhsa_exception_fp_ieee_div_zero 0
		.amdhsa_exception_fp_ieee_overflow 0
		.amdhsa_exception_fp_ieee_underflow 0
		.amdhsa_exception_fp_ieee_inexact 0
		.amdhsa_exception_int_div_zero 0
	.end_amdhsa_kernel
	.section	.text._ZN7rocprim17ROCPRIM_400000_NS6detail17trampoline_kernelINS0_13select_configILj256ELj13ELNS0_17block_load_methodE3ELS4_3ELS4_3ELNS0_20block_scan_algorithmE0ELj4294967295EEENS1_25partition_config_selectorILNS1_17partition_subalgoE3EjNS0_10empty_typeEbEEZZNS1_14partition_implILS8_3ELb0ES6_jNS0_17counting_iteratorIjlEEPS9_SE_NS0_5tupleIJPjSE_EEENSF_IJSE_SE_EEES9_SG_JZNS1_25segmented_radix_sort_implINS0_14default_configELb1EPKsPsPKlPlN2at6native12_GLOBAL__N_18offset_tEEE10hipError_tPvRmT1_PNSt15iterator_traitsISY_E10value_typeET2_T3_PNSZ_IS14_E10value_typeET4_jRbjT5_S1A_jjP12ihipStream_tbEUljE_EEESV_SW_SX_S14_S18_S1A_T6_T7_T9_mT8_S1C_bDpT10_ENKUlT_T0_E_clISt17integral_constantIbLb1EES1P_EEDaS1K_S1L_EUlS1K_E_NS1_11comp_targetILNS1_3genE3ELNS1_11target_archE908ELNS1_3gpuE7ELNS1_3repE0EEENS1_30default_config_static_selectorELNS0_4arch9wavefront6targetE1EEEvSY_,"axG",@progbits,_ZN7rocprim17ROCPRIM_400000_NS6detail17trampoline_kernelINS0_13select_configILj256ELj13ELNS0_17block_load_methodE3ELS4_3ELS4_3ELNS0_20block_scan_algorithmE0ELj4294967295EEENS1_25partition_config_selectorILNS1_17partition_subalgoE3EjNS0_10empty_typeEbEEZZNS1_14partition_implILS8_3ELb0ES6_jNS0_17counting_iteratorIjlEEPS9_SE_NS0_5tupleIJPjSE_EEENSF_IJSE_SE_EEES9_SG_JZNS1_25segmented_radix_sort_implINS0_14default_configELb1EPKsPsPKlPlN2at6native12_GLOBAL__N_18offset_tEEE10hipError_tPvRmT1_PNSt15iterator_traitsISY_E10value_typeET2_T3_PNSZ_IS14_E10value_typeET4_jRbjT5_S1A_jjP12ihipStream_tbEUljE_EEESV_SW_SX_S14_S18_S1A_T6_T7_T9_mT8_S1C_bDpT10_ENKUlT_T0_E_clISt17integral_constantIbLb1EES1P_EEDaS1K_S1L_EUlS1K_E_NS1_11comp_targetILNS1_3genE3ELNS1_11target_archE908ELNS1_3gpuE7ELNS1_3repE0EEENS1_30default_config_static_selectorELNS0_4arch9wavefront6targetE1EEEvSY_,comdat
.Lfunc_end890:
	.size	_ZN7rocprim17ROCPRIM_400000_NS6detail17trampoline_kernelINS0_13select_configILj256ELj13ELNS0_17block_load_methodE3ELS4_3ELS4_3ELNS0_20block_scan_algorithmE0ELj4294967295EEENS1_25partition_config_selectorILNS1_17partition_subalgoE3EjNS0_10empty_typeEbEEZZNS1_14partition_implILS8_3ELb0ES6_jNS0_17counting_iteratorIjlEEPS9_SE_NS0_5tupleIJPjSE_EEENSF_IJSE_SE_EEES9_SG_JZNS1_25segmented_radix_sort_implINS0_14default_configELb1EPKsPsPKlPlN2at6native12_GLOBAL__N_18offset_tEEE10hipError_tPvRmT1_PNSt15iterator_traitsISY_E10value_typeET2_T3_PNSZ_IS14_E10value_typeET4_jRbjT5_S1A_jjP12ihipStream_tbEUljE_EEESV_SW_SX_S14_S18_S1A_T6_T7_T9_mT8_S1C_bDpT10_ENKUlT_T0_E_clISt17integral_constantIbLb1EES1P_EEDaS1K_S1L_EUlS1K_E_NS1_11comp_targetILNS1_3genE3ELNS1_11target_archE908ELNS1_3gpuE7ELNS1_3repE0EEENS1_30default_config_static_selectorELNS0_4arch9wavefront6targetE1EEEvSY_, .Lfunc_end890-_ZN7rocprim17ROCPRIM_400000_NS6detail17trampoline_kernelINS0_13select_configILj256ELj13ELNS0_17block_load_methodE3ELS4_3ELS4_3ELNS0_20block_scan_algorithmE0ELj4294967295EEENS1_25partition_config_selectorILNS1_17partition_subalgoE3EjNS0_10empty_typeEbEEZZNS1_14partition_implILS8_3ELb0ES6_jNS0_17counting_iteratorIjlEEPS9_SE_NS0_5tupleIJPjSE_EEENSF_IJSE_SE_EEES9_SG_JZNS1_25segmented_radix_sort_implINS0_14default_configELb1EPKsPsPKlPlN2at6native12_GLOBAL__N_18offset_tEEE10hipError_tPvRmT1_PNSt15iterator_traitsISY_E10value_typeET2_T3_PNSZ_IS14_E10value_typeET4_jRbjT5_S1A_jjP12ihipStream_tbEUljE_EEESV_SW_SX_S14_S18_S1A_T6_T7_T9_mT8_S1C_bDpT10_ENKUlT_T0_E_clISt17integral_constantIbLb1EES1P_EEDaS1K_S1L_EUlS1K_E_NS1_11comp_targetILNS1_3genE3ELNS1_11target_archE908ELNS1_3gpuE7ELNS1_3repE0EEENS1_30default_config_static_selectorELNS0_4arch9wavefront6targetE1EEEvSY_
                                        ; -- End function
	.section	.AMDGPU.csdata,"",@progbits
; Kernel info:
; codeLenInByte = 0
; NumSgprs: 4
; NumVgprs: 0
; NumAgprs: 0
; TotalNumVgprs: 0
; ScratchSize: 0
; MemoryBound: 0
; FloatMode: 240
; IeeeMode: 1
; LDSByteSize: 0 bytes/workgroup (compile time only)
; SGPRBlocks: 0
; VGPRBlocks: 0
; NumSGPRsForWavesPerEU: 4
; NumVGPRsForWavesPerEU: 1
; AccumOffset: 4
; Occupancy: 8
; WaveLimiterHint : 0
; COMPUTE_PGM_RSRC2:SCRATCH_EN: 0
; COMPUTE_PGM_RSRC2:USER_SGPR: 6
; COMPUTE_PGM_RSRC2:TRAP_HANDLER: 0
; COMPUTE_PGM_RSRC2:TGID_X_EN: 1
; COMPUTE_PGM_RSRC2:TGID_Y_EN: 0
; COMPUTE_PGM_RSRC2:TGID_Z_EN: 0
; COMPUTE_PGM_RSRC2:TIDIG_COMP_CNT: 0
; COMPUTE_PGM_RSRC3_GFX90A:ACCUM_OFFSET: 0
; COMPUTE_PGM_RSRC3_GFX90A:TG_SPLIT: 0
	.section	.text._ZN7rocprim17ROCPRIM_400000_NS6detail17trampoline_kernelINS0_13select_configILj256ELj13ELNS0_17block_load_methodE3ELS4_3ELS4_3ELNS0_20block_scan_algorithmE0ELj4294967295EEENS1_25partition_config_selectorILNS1_17partition_subalgoE3EjNS0_10empty_typeEbEEZZNS1_14partition_implILS8_3ELb0ES6_jNS0_17counting_iteratorIjlEEPS9_SE_NS0_5tupleIJPjSE_EEENSF_IJSE_SE_EEES9_SG_JZNS1_25segmented_radix_sort_implINS0_14default_configELb1EPKsPsPKlPlN2at6native12_GLOBAL__N_18offset_tEEE10hipError_tPvRmT1_PNSt15iterator_traitsISY_E10value_typeET2_T3_PNSZ_IS14_E10value_typeET4_jRbjT5_S1A_jjP12ihipStream_tbEUljE_EEESV_SW_SX_S14_S18_S1A_T6_T7_T9_mT8_S1C_bDpT10_ENKUlT_T0_E_clISt17integral_constantIbLb1EES1P_EEDaS1K_S1L_EUlS1K_E_NS1_11comp_targetILNS1_3genE2ELNS1_11target_archE906ELNS1_3gpuE6ELNS1_3repE0EEENS1_30default_config_static_selectorELNS0_4arch9wavefront6targetE1EEEvSY_,"axG",@progbits,_ZN7rocprim17ROCPRIM_400000_NS6detail17trampoline_kernelINS0_13select_configILj256ELj13ELNS0_17block_load_methodE3ELS4_3ELS4_3ELNS0_20block_scan_algorithmE0ELj4294967295EEENS1_25partition_config_selectorILNS1_17partition_subalgoE3EjNS0_10empty_typeEbEEZZNS1_14partition_implILS8_3ELb0ES6_jNS0_17counting_iteratorIjlEEPS9_SE_NS0_5tupleIJPjSE_EEENSF_IJSE_SE_EEES9_SG_JZNS1_25segmented_radix_sort_implINS0_14default_configELb1EPKsPsPKlPlN2at6native12_GLOBAL__N_18offset_tEEE10hipError_tPvRmT1_PNSt15iterator_traitsISY_E10value_typeET2_T3_PNSZ_IS14_E10value_typeET4_jRbjT5_S1A_jjP12ihipStream_tbEUljE_EEESV_SW_SX_S14_S18_S1A_T6_T7_T9_mT8_S1C_bDpT10_ENKUlT_T0_E_clISt17integral_constantIbLb1EES1P_EEDaS1K_S1L_EUlS1K_E_NS1_11comp_targetILNS1_3genE2ELNS1_11target_archE906ELNS1_3gpuE6ELNS1_3repE0EEENS1_30default_config_static_selectorELNS0_4arch9wavefront6targetE1EEEvSY_,comdat
	.globl	_ZN7rocprim17ROCPRIM_400000_NS6detail17trampoline_kernelINS0_13select_configILj256ELj13ELNS0_17block_load_methodE3ELS4_3ELS4_3ELNS0_20block_scan_algorithmE0ELj4294967295EEENS1_25partition_config_selectorILNS1_17partition_subalgoE3EjNS0_10empty_typeEbEEZZNS1_14partition_implILS8_3ELb0ES6_jNS0_17counting_iteratorIjlEEPS9_SE_NS0_5tupleIJPjSE_EEENSF_IJSE_SE_EEES9_SG_JZNS1_25segmented_radix_sort_implINS0_14default_configELb1EPKsPsPKlPlN2at6native12_GLOBAL__N_18offset_tEEE10hipError_tPvRmT1_PNSt15iterator_traitsISY_E10value_typeET2_T3_PNSZ_IS14_E10value_typeET4_jRbjT5_S1A_jjP12ihipStream_tbEUljE_EEESV_SW_SX_S14_S18_S1A_T6_T7_T9_mT8_S1C_bDpT10_ENKUlT_T0_E_clISt17integral_constantIbLb1EES1P_EEDaS1K_S1L_EUlS1K_E_NS1_11comp_targetILNS1_3genE2ELNS1_11target_archE906ELNS1_3gpuE6ELNS1_3repE0EEENS1_30default_config_static_selectorELNS0_4arch9wavefront6targetE1EEEvSY_ ; -- Begin function _ZN7rocprim17ROCPRIM_400000_NS6detail17trampoline_kernelINS0_13select_configILj256ELj13ELNS0_17block_load_methodE3ELS4_3ELS4_3ELNS0_20block_scan_algorithmE0ELj4294967295EEENS1_25partition_config_selectorILNS1_17partition_subalgoE3EjNS0_10empty_typeEbEEZZNS1_14partition_implILS8_3ELb0ES6_jNS0_17counting_iteratorIjlEEPS9_SE_NS0_5tupleIJPjSE_EEENSF_IJSE_SE_EEES9_SG_JZNS1_25segmented_radix_sort_implINS0_14default_configELb1EPKsPsPKlPlN2at6native12_GLOBAL__N_18offset_tEEE10hipError_tPvRmT1_PNSt15iterator_traitsISY_E10value_typeET2_T3_PNSZ_IS14_E10value_typeET4_jRbjT5_S1A_jjP12ihipStream_tbEUljE_EEESV_SW_SX_S14_S18_S1A_T6_T7_T9_mT8_S1C_bDpT10_ENKUlT_T0_E_clISt17integral_constantIbLb1EES1P_EEDaS1K_S1L_EUlS1K_E_NS1_11comp_targetILNS1_3genE2ELNS1_11target_archE906ELNS1_3gpuE6ELNS1_3repE0EEENS1_30default_config_static_selectorELNS0_4arch9wavefront6targetE1EEEvSY_
	.p2align	8
	.type	_ZN7rocprim17ROCPRIM_400000_NS6detail17trampoline_kernelINS0_13select_configILj256ELj13ELNS0_17block_load_methodE3ELS4_3ELS4_3ELNS0_20block_scan_algorithmE0ELj4294967295EEENS1_25partition_config_selectorILNS1_17partition_subalgoE3EjNS0_10empty_typeEbEEZZNS1_14partition_implILS8_3ELb0ES6_jNS0_17counting_iteratorIjlEEPS9_SE_NS0_5tupleIJPjSE_EEENSF_IJSE_SE_EEES9_SG_JZNS1_25segmented_radix_sort_implINS0_14default_configELb1EPKsPsPKlPlN2at6native12_GLOBAL__N_18offset_tEEE10hipError_tPvRmT1_PNSt15iterator_traitsISY_E10value_typeET2_T3_PNSZ_IS14_E10value_typeET4_jRbjT5_S1A_jjP12ihipStream_tbEUljE_EEESV_SW_SX_S14_S18_S1A_T6_T7_T9_mT8_S1C_bDpT10_ENKUlT_T0_E_clISt17integral_constantIbLb1EES1P_EEDaS1K_S1L_EUlS1K_E_NS1_11comp_targetILNS1_3genE2ELNS1_11target_archE906ELNS1_3gpuE6ELNS1_3repE0EEENS1_30default_config_static_selectorELNS0_4arch9wavefront6targetE1EEEvSY_,@function
_ZN7rocprim17ROCPRIM_400000_NS6detail17trampoline_kernelINS0_13select_configILj256ELj13ELNS0_17block_load_methodE3ELS4_3ELS4_3ELNS0_20block_scan_algorithmE0ELj4294967295EEENS1_25partition_config_selectorILNS1_17partition_subalgoE3EjNS0_10empty_typeEbEEZZNS1_14partition_implILS8_3ELb0ES6_jNS0_17counting_iteratorIjlEEPS9_SE_NS0_5tupleIJPjSE_EEENSF_IJSE_SE_EEES9_SG_JZNS1_25segmented_radix_sort_implINS0_14default_configELb1EPKsPsPKlPlN2at6native12_GLOBAL__N_18offset_tEEE10hipError_tPvRmT1_PNSt15iterator_traitsISY_E10value_typeET2_T3_PNSZ_IS14_E10value_typeET4_jRbjT5_S1A_jjP12ihipStream_tbEUljE_EEESV_SW_SX_S14_S18_S1A_T6_T7_T9_mT8_S1C_bDpT10_ENKUlT_T0_E_clISt17integral_constantIbLb1EES1P_EEDaS1K_S1L_EUlS1K_E_NS1_11comp_targetILNS1_3genE2ELNS1_11target_archE906ELNS1_3gpuE6ELNS1_3repE0EEENS1_30default_config_static_selectorELNS0_4arch9wavefront6targetE1EEEvSY_: ; @_ZN7rocprim17ROCPRIM_400000_NS6detail17trampoline_kernelINS0_13select_configILj256ELj13ELNS0_17block_load_methodE3ELS4_3ELS4_3ELNS0_20block_scan_algorithmE0ELj4294967295EEENS1_25partition_config_selectorILNS1_17partition_subalgoE3EjNS0_10empty_typeEbEEZZNS1_14partition_implILS8_3ELb0ES6_jNS0_17counting_iteratorIjlEEPS9_SE_NS0_5tupleIJPjSE_EEENSF_IJSE_SE_EEES9_SG_JZNS1_25segmented_radix_sort_implINS0_14default_configELb1EPKsPsPKlPlN2at6native12_GLOBAL__N_18offset_tEEE10hipError_tPvRmT1_PNSt15iterator_traitsISY_E10value_typeET2_T3_PNSZ_IS14_E10value_typeET4_jRbjT5_S1A_jjP12ihipStream_tbEUljE_EEESV_SW_SX_S14_S18_S1A_T6_T7_T9_mT8_S1C_bDpT10_ENKUlT_T0_E_clISt17integral_constantIbLb1EES1P_EEDaS1K_S1L_EUlS1K_E_NS1_11comp_targetILNS1_3genE2ELNS1_11target_archE906ELNS1_3gpuE6ELNS1_3repE0EEENS1_30default_config_static_selectorELNS0_4arch9wavefront6targetE1EEEvSY_
; %bb.0:
	.section	.rodata,"a",@progbits
	.p2align	6, 0x0
	.amdhsa_kernel _ZN7rocprim17ROCPRIM_400000_NS6detail17trampoline_kernelINS0_13select_configILj256ELj13ELNS0_17block_load_methodE3ELS4_3ELS4_3ELNS0_20block_scan_algorithmE0ELj4294967295EEENS1_25partition_config_selectorILNS1_17partition_subalgoE3EjNS0_10empty_typeEbEEZZNS1_14partition_implILS8_3ELb0ES6_jNS0_17counting_iteratorIjlEEPS9_SE_NS0_5tupleIJPjSE_EEENSF_IJSE_SE_EEES9_SG_JZNS1_25segmented_radix_sort_implINS0_14default_configELb1EPKsPsPKlPlN2at6native12_GLOBAL__N_18offset_tEEE10hipError_tPvRmT1_PNSt15iterator_traitsISY_E10value_typeET2_T3_PNSZ_IS14_E10value_typeET4_jRbjT5_S1A_jjP12ihipStream_tbEUljE_EEESV_SW_SX_S14_S18_S1A_T6_T7_T9_mT8_S1C_bDpT10_ENKUlT_T0_E_clISt17integral_constantIbLb1EES1P_EEDaS1K_S1L_EUlS1K_E_NS1_11comp_targetILNS1_3genE2ELNS1_11target_archE906ELNS1_3gpuE6ELNS1_3repE0EEENS1_30default_config_static_selectorELNS0_4arch9wavefront6targetE1EEEvSY_
		.amdhsa_group_segment_fixed_size 0
		.amdhsa_private_segment_fixed_size 0
		.amdhsa_kernarg_size 152
		.amdhsa_user_sgpr_count 6
		.amdhsa_user_sgpr_private_segment_buffer 1
		.amdhsa_user_sgpr_dispatch_ptr 0
		.amdhsa_user_sgpr_queue_ptr 0
		.amdhsa_user_sgpr_kernarg_segment_ptr 1
		.amdhsa_user_sgpr_dispatch_id 0
		.amdhsa_user_sgpr_flat_scratch_init 0
		.amdhsa_user_sgpr_kernarg_preload_length 0
		.amdhsa_user_sgpr_kernarg_preload_offset 0
		.amdhsa_user_sgpr_private_segment_size 0
		.amdhsa_uses_dynamic_stack 0
		.amdhsa_system_sgpr_private_segment_wavefront_offset 0
		.amdhsa_system_sgpr_workgroup_id_x 1
		.amdhsa_system_sgpr_workgroup_id_y 0
		.amdhsa_system_sgpr_workgroup_id_z 0
		.amdhsa_system_sgpr_workgroup_info 0
		.amdhsa_system_vgpr_workitem_id 0
		.amdhsa_next_free_vgpr 1
		.amdhsa_next_free_sgpr 0
		.amdhsa_accum_offset 4
		.amdhsa_reserve_vcc 0
		.amdhsa_reserve_flat_scratch 0
		.amdhsa_float_round_mode_32 0
		.amdhsa_float_round_mode_16_64 0
		.amdhsa_float_denorm_mode_32 3
		.amdhsa_float_denorm_mode_16_64 3
		.amdhsa_dx10_clamp 1
		.amdhsa_ieee_mode 1
		.amdhsa_fp16_overflow 0
		.amdhsa_tg_split 0
		.amdhsa_exception_fp_ieee_invalid_op 0
		.amdhsa_exception_fp_denorm_src 0
		.amdhsa_exception_fp_ieee_div_zero 0
		.amdhsa_exception_fp_ieee_overflow 0
		.amdhsa_exception_fp_ieee_underflow 0
		.amdhsa_exception_fp_ieee_inexact 0
		.amdhsa_exception_int_div_zero 0
	.end_amdhsa_kernel
	.section	.text._ZN7rocprim17ROCPRIM_400000_NS6detail17trampoline_kernelINS0_13select_configILj256ELj13ELNS0_17block_load_methodE3ELS4_3ELS4_3ELNS0_20block_scan_algorithmE0ELj4294967295EEENS1_25partition_config_selectorILNS1_17partition_subalgoE3EjNS0_10empty_typeEbEEZZNS1_14partition_implILS8_3ELb0ES6_jNS0_17counting_iteratorIjlEEPS9_SE_NS0_5tupleIJPjSE_EEENSF_IJSE_SE_EEES9_SG_JZNS1_25segmented_radix_sort_implINS0_14default_configELb1EPKsPsPKlPlN2at6native12_GLOBAL__N_18offset_tEEE10hipError_tPvRmT1_PNSt15iterator_traitsISY_E10value_typeET2_T3_PNSZ_IS14_E10value_typeET4_jRbjT5_S1A_jjP12ihipStream_tbEUljE_EEESV_SW_SX_S14_S18_S1A_T6_T7_T9_mT8_S1C_bDpT10_ENKUlT_T0_E_clISt17integral_constantIbLb1EES1P_EEDaS1K_S1L_EUlS1K_E_NS1_11comp_targetILNS1_3genE2ELNS1_11target_archE906ELNS1_3gpuE6ELNS1_3repE0EEENS1_30default_config_static_selectorELNS0_4arch9wavefront6targetE1EEEvSY_,"axG",@progbits,_ZN7rocprim17ROCPRIM_400000_NS6detail17trampoline_kernelINS0_13select_configILj256ELj13ELNS0_17block_load_methodE3ELS4_3ELS4_3ELNS0_20block_scan_algorithmE0ELj4294967295EEENS1_25partition_config_selectorILNS1_17partition_subalgoE3EjNS0_10empty_typeEbEEZZNS1_14partition_implILS8_3ELb0ES6_jNS0_17counting_iteratorIjlEEPS9_SE_NS0_5tupleIJPjSE_EEENSF_IJSE_SE_EEES9_SG_JZNS1_25segmented_radix_sort_implINS0_14default_configELb1EPKsPsPKlPlN2at6native12_GLOBAL__N_18offset_tEEE10hipError_tPvRmT1_PNSt15iterator_traitsISY_E10value_typeET2_T3_PNSZ_IS14_E10value_typeET4_jRbjT5_S1A_jjP12ihipStream_tbEUljE_EEESV_SW_SX_S14_S18_S1A_T6_T7_T9_mT8_S1C_bDpT10_ENKUlT_T0_E_clISt17integral_constantIbLb1EES1P_EEDaS1K_S1L_EUlS1K_E_NS1_11comp_targetILNS1_3genE2ELNS1_11target_archE906ELNS1_3gpuE6ELNS1_3repE0EEENS1_30default_config_static_selectorELNS0_4arch9wavefront6targetE1EEEvSY_,comdat
.Lfunc_end891:
	.size	_ZN7rocprim17ROCPRIM_400000_NS6detail17trampoline_kernelINS0_13select_configILj256ELj13ELNS0_17block_load_methodE3ELS4_3ELS4_3ELNS0_20block_scan_algorithmE0ELj4294967295EEENS1_25partition_config_selectorILNS1_17partition_subalgoE3EjNS0_10empty_typeEbEEZZNS1_14partition_implILS8_3ELb0ES6_jNS0_17counting_iteratorIjlEEPS9_SE_NS0_5tupleIJPjSE_EEENSF_IJSE_SE_EEES9_SG_JZNS1_25segmented_radix_sort_implINS0_14default_configELb1EPKsPsPKlPlN2at6native12_GLOBAL__N_18offset_tEEE10hipError_tPvRmT1_PNSt15iterator_traitsISY_E10value_typeET2_T3_PNSZ_IS14_E10value_typeET4_jRbjT5_S1A_jjP12ihipStream_tbEUljE_EEESV_SW_SX_S14_S18_S1A_T6_T7_T9_mT8_S1C_bDpT10_ENKUlT_T0_E_clISt17integral_constantIbLb1EES1P_EEDaS1K_S1L_EUlS1K_E_NS1_11comp_targetILNS1_3genE2ELNS1_11target_archE906ELNS1_3gpuE6ELNS1_3repE0EEENS1_30default_config_static_selectorELNS0_4arch9wavefront6targetE1EEEvSY_, .Lfunc_end891-_ZN7rocprim17ROCPRIM_400000_NS6detail17trampoline_kernelINS0_13select_configILj256ELj13ELNS0_17block_load_methodE3ELS4_3ELS4_3ELNS0_20block_scan_algorithmE0ELj4294967295EEENS1_25partition_config_selectorILNS1_17partition_subalgoE3EjNS0_10empty_typeEbEEZZNS1_14partition_implILS8_3ELb0ES6_jNS0_17counting_iteratorIjlEEPS9_SE_NS0_5tupleIJPjSE_EEENSF_IJSE_SE_EEES9_SG_JZNS1_25segmented_radix_sort_implINS0_14default_configELb1EPKsPsPKlPlN2at6native12_GLOBAL__N_18offset_tEEE10hipError_tPvRmT1_PNSt15iterator_traitsISY_E10value_typeET2_T3_PNSZ_IS14_E10value_typeET4_jRbjT5_S1A_jjP12ihipStream_tbEUljE_EEESV_SW_SX_S14_S18_S1A_T6_T7_T9_mT8_S1C_bDpT10_ENKUlT_T0_E_clISt17integral_constantIbLb1EES1P_EEDaS1K_S1L_EUlS1K_E_NS1_11comp_targetILNS1_3genE2ELNS1_11target_archE906ELNS1_3gpuE6ELNS1_3repE0EEENS1_30default_config_static_selectorELNS0_4arch9wavefront6targetE1EEEvSY_
                                        ; -- End function
	.section	.AMDGPU.csdata,"",@progbits
; Kernel info:
; codeLenInByte = 0
; NumSgprs: 4
; NumVgprs: 0
; NumAgprs: 0
; TotalNumVgprs: 0
; ScratchSize: 0
; MemoryBound: 0
; FloatMode: 240
; IeeeMode: 1
; LDSByteSize: 0 bytes/workgroup (compile time only)
; SGPRBlocks: 0
; VGPRBlocks: 0
; NumSGPRsForWavesPerEU: 4
; NumVGPRsForWavesPerEU: 1
; AccumOffset: 4
; Occupancy: 8
; WaveLimiterHint : 0
; COMPUTE_PGM_RSRC2:SCRATCH_EN: 0
; COMPUTE_PGM_RSRC2:USER_SGPR: 6
; COMPUTE_PGM_RSRC2:TRAP_HANDLER: 0
; COMPUTE_PGM_RSRC2:TGID_X_EN: 1
; COMPUTE_PGM_RSRC2:TGID_Y_EN: 0
; COMPUTE_PGM_RSRC2:TGID_Z_EN: 0
; COMPUTE_PGM_RSRC2:TIDIG_COMP_CNT: 0
; COMPUTE_PGM_RSRC3_GFX90A:ACCUM_OFFSET: 0
; COMPUTE_PGM_RSRC3_GFX90A:TG_SPLIT: 0
	.section	.text._ZN7rocprim17ROCPRIM_400000_NS6detail17trampoline_kernelINS0_13select_configILj256ELj13ELNS0_17block_load_methodE3ELS4_3ELS4_3ELNS0_20block_scan_algorithmE0ELj4294967295EEENS1_25partition_config_selectorILNS1_17partition_subalgoE3EjNS0_10empty_typeEbEEZZNS1_14partition_implILS8_3ELb0ES6_jNS0_17counting_iteratorIjlEEPS9_SE_NS0_5tupleIJPjSE_EEENSF_IJSE_SE_EEES9_SG_JZNS1_25segmented_radix_sort_implINS0_14default_configELb1EPKsPsPKlPlN2at6native12_GLOBAL__N_18offset_tEEE10hipError_tPvRmT1_PNSt15iterator_traitsISY_E10value_typeET2_T3_PNSZ_IS14_E10value_typeET4_jRbjT5_S1A_jjP12ihipStream_tbEUljE_EEESV_SW_SX_S14_S18_S1A_T6_T7_T9_mT8_S1C_bDpT10_ENKUlT_T0_E_clISt17integral_constantIbLb1EES1P_EEDaS1K_S1L_EUlS1K_E_NS1_11comp_targetILNS1_3genE10ELNS1_11target_archE1200ELNS1_3gpuE4ELNS1_3repE0EEENS1_30default_config_static_selectorELNS0_4arch9wavefront6targetE1EEEvSY_,"axG",@progbits,_ZN7rocprim17ROCPRIM_400000_NS6detail17trampoline_kernelINS0_13select_configILj256ELj13ELNS0_17block_load_methodE3ELS4_3ELS4_3ELNS0_20block_scan_algorithmE0ELj4294967295EEENS1_25partition_config_selectorILNS1_17partition_subalgoE3EjNS0_10empty_typeEbEEZZNS1_14partition_implILS8_3ELb0ES6_jNS0_17counting_iteratorIjlEEPS9_SE_NS0_5tupleIJPjSE_EEENSF_IJSE_SE_EEES9_SG_JZNS1_25segmented_radix_sort_implINS0_14default_configELb1EPKsPsPKlPlN2at6native12_GLOBAL__N_18offset_tEEE10hipError_tPvRmT1_PNSt15iterator_traitsISY_E10value_typeET2_T3_PNSZ_IS14_E10value_typeET4_jRbjT5_S1A_jjP12ihipStream_tbEUljE_EEESV_SW_SX_S14_S18_S1A_T6_T7_T9_mT8_S1C_bDpT10_ENKUlT_T0_E_clISt17integral_constantIbLb1EES1P_EEDaS1K_S1L_EUlS1K_E_NS1_11comp_targetILNS1_3genE10ELNS1_11target_archE1200ELNS1_3gpuE4ELNS1_3repE0EEENS1_30default_config_static_selectorELNS0_4arch9wavefront6targetE1EEEvSY_,comdat
	.globl	_ZN7rocprim17ROCPRIM_400000_NS6detail17trampoline_kernelINS0_13select_configILj256ELj13ELNS0_17block_load_methodE3ELS4_3ELS4_3ELNS0_20block_scan_algorithmE0ELj4294967295EEENS1_25partition_config_selectorILNS1_17partition_subalgoE3EjNS0_10empty_typeEbEEZZNS1_14partition_implILS8_3ELb0ES6_jNS0_17counting_iteratorIjlEEPS9_SE_NS0_5tupleIJPjSE_EEENSF_IJSE_SE_EEES9_SG_JZNS1_25segmented_radix_sort_implINS0_14default_configELb1EPKsPsPKlPlN2at6native12_GLOBAL__N_18offset_tEEE10hipError_tPvRmT1_PNSt15iterator_traitsISY_E10value_typeET2_T3_PNSZ_IS14_E10value_typeET4_jRbjT5_S1A_jjP12ihipStream_tbEUljE_EEESV_SW_SX_S14_S18_S1A_T6_T7_T9_mT8_S1C_bDpT10_ENKUlT_T0_E_clISt17integral_constantIbLb1EES1P_EEDaS1K_S1L_EUlS1K_E_NS1_11comp_targetILNS1_3genE10ELNS1_11target_archE1200ELNS1_3gpuE4ELNS1_3repE0EEENS1_30default_config_static_selectorELNS0_4arch9wavefront6targetE1EEEvSY_ ; -- Begin function _ZN7rocprim17ROCPRIM_400000_NS6detail17trampoline_kernelINS0_13select_configILj256ELj13ELNS0_17block_load_methodE3ELS4_3ELS4_3ELNS0_20block_scan_algorithmE0ELj4294967295EEENS1_25partition_config_selectorILNS1_17partition_subalgoE3EjNS0_10empty_typeEbEEZZNS1_14partition_implILS8_3ELb0ES6_jNS0_17counting_iteratorIjlEEPS9_SE_NS0_5tupleIJPjSE_EEENSF_IJSE_SE_EEES9_SG_JZNS1_25segmented_radix_sort_implINS0_14default_configELb1EPKsPsPKlPlN2at6native12_GLOBAL__N_18offset_tEEE10hipError_tPvRmT1_PNSt15iterator_traitsISY_E10value_typeET2_T3_PNSZ_IS14_E10value_typeET4_jRbjT5_S1A_jjP12ihipStream_tbEUljE_EEESV_SW_SX_S14_S18_S1A_T6_T7_T9_mT8_S1C_bDpT10_ENKUlT_T0_E_clISt17integral_constantIbLb1EES1P_EEDaS1K_S1L_EUlS1K_E_NS1_11comp_targetILNS1_3genE10ELNS1_11target_archE1200ELNS1_3gpuE4ELNS1_3repE0EEENS1_30default_config_static_selectorELNS0_4arch9wavefront6targetE1EEEvSY_
	.p2align	8
	.type	_ZN7rocprim17ROCPRIM_400000_NS6detail17trampoline_kernelINS0_13select_configILj256ELj13ELNS0_17block_load_methodE3ELS4_3ELS4_3ELNS0_20block_scan_algorithmE0ELj4294967295EEENS1_25partition_config_selectorILNS1_17partition_subalgoE3EjNS0_10empty_typeEbEEZZNS1_14partition_implILS8_3ELb0ES6_jNS0_17counting_iteratorIjlEEPS9_SE_NS0_5tupleIJPjSE_EEENSF_IJSE_SE_EEES9_SG_JZNS1_25segmented_radix_sort_implINS0_14default_configELb1EPKsPsPKlPlN2at6native12_GLOBAL__N_18offset_tEEE10hipError_tPvRmT1_PNSt15iterator_traitsISY_E10value_typeET2_T3_PNSZ_IS14_E10value_typeET4_jRbjT5_S1A_jjP12ihipStream_tbEUljE_EEESV_SW_SX_S14_S18_S1A_T6_T7_T9_mT8_S1C_bDpT10_ENKUlT_T0_E_clISt17integral_constantIbLb1EES1P_EEDaS1K_S1L_EUlS1K_E_NS1_11comp_targetILNS1_3genE10ELNS1_11target_archE1200ELNS1_3gpuE4ELNS1_3repE0EEENS1_30default_config_static_selectorELNS0_4arch9wavefront6targetE1EEEvSY_,@function
_ZN7rocprim17ROCPRIM_400000_NS6detail17trampoline_kernelINS0_13select_configILj256ELj13ELNS0_17block_load_methodE3ELS4_3ELS4_3ELNS0_20block_scan_algorithmE0ELj4294967295EEENS1_25partition_config_selectorILNS1_17partition_subalgoE3EjNS0_10empty_typeEbEEZZNS1_14partition_implILS8_3ELb0ES6_jNS0_17counting_iteratorIjlEEPS9_SE_NS0_5tupleIJPjSE_EEENSF_IJSE_SE_EEES9_SG_JZNS1_25segmented_radix_sort_implINS0_14default_configELb1EPKsPsPKlPlN2at6native12_GLOBAL__N_18offset_tEEE10hipError_tPvRmT1_PNSt15iterator_traitsISY_E10value_typeET2_T3_PNSZ_IS14_E10value_typeET4_jRbjT5_S1A_jjP12ihipStream_tbEUljE_EEESV_SW_SX_S14_S18_S1A_T6_T7_T9_mT8_S1C_bDpT10_ENKUlT_T0_E_clISt17integral_constantIbLb1EES1P_EEDaS1K_S1L_EUlS1K_E_NS1_11comp_targetILNS1_3genE10ELNS1_11target_archE1200ELNS1_3gpuE4ELNS1_3repE0EEENS1_30default_config_static_selectorELNS0_4arch9wavefront6targetE1EEEvSY_: ; @_ZN7rocprim17ROCPRIM_400000_NS6detail17trampoline_kernelINS0_13select_configILj256ELj13ELNS0_17block_load_methodE3ELS4_3ELS4_3ELNS0_20block_scan_algorithmE0ELj4294967295EEENS1_25partition_config_selectorILNS1_17partition_subalgoE3EjNS0_10empty_typeEbEEZZNS1_14partition_implILS8_3ELb0ES6_jNS0_17counting_iteratorIjlEEPS9_SE_NS0_5tupleIJPjSE_EEENSF_IJSE_SE_EEES9_SG_JZNS1_25segmented_radix_sort_implINS0_14default_configELb1EPKsPsPKlPlN2at6native12_GLOBAL__N_18offset_tEEE10hipError_tPvRmT1_PNSt15iterator_traitsISY_E10value_typeET2_T3_PNSZ_IS14_E10value_typeET4_jRbjT5_S1A_jjP12ihipStream_tbEUljE_EEESV_SW_SX_S14_S18_S1A_T6_T7_T9_mT8_S1C_bDpT10_ENKUlT_T0_E_clISt17integral_constantIbLb1EES1P_EEDaS1K_S1L_EUlS1K_E_NS1_11comp_targetILNS1_3genE10ELNS1_11target_archE1200ELNS1_3gpuE4ELNS1_3repE0EEENS1_30default_config_static_selectorELNS0_4arch9wavefront6targetE1EEEvSY_
; %bb.0:
	.section	.rodata,"a",@progbits
	.p2align	6, 0x0
	.amdhsa_kernel _ZN7rocprim17ROCPRIM_400000_NS6detail17trampoline_kernelINS0_13select_configILj256ELj13ELNS0_17block_load_methodE3ELS4_3ELS4_3ELNS0_20block_scan_algorithmE0ELj4294967295EEENS1_25partition_config_selectorILNS1_17partition_subalgoE3EjNS0_10empty_typeEbEEZZNS1_14partition_implILS8_3ELb0ES6_jNS0_17counting_iteratorIjlEEPS9_SE_NS0_5tupleIJPjSE_EEENSF_IJSE_SE_EEES9_SG_JZNS1_25segmented_radix_sort_implINS0_14default_configELb1EPKsPsPKlPlN2at6native12_GLOBAL__N_18offset_tEEE10hipError_tPvRmT1_PNSt15iterator_traitsISY_E10value_typeET2_T3_PNSZ_IS14_E10value_typeET4_jRbjT5_S1A_jjP12ihipStream_tbEUljE_EEESV_SW_SX_S14_S18_S1A_T6_T7_T9_mT8_S1C_bDpT10_ENKUlT_T0_E_clISt17integral_constantIbLb1EES1P_EEDaS1K_S1L_EUlS1K_E_NS1_11comp_targetILNS1_3genE10ELNS1_11target_archE1200ELNS1_3gpuE4ELNS1_3repE0EEENS1_30default_config_static_selectorELNS0_4arch9wavefront6targetE1EEEvSY_
		.amdhsa_group_segment_fixed_size 0
		.amdhsa_private_segment_fixed_size 0
		.amdhsa_kernarg_size 152
		.amdhsa_user_sgpr_count 6
		.amdhsa_user_sgpr_private_segment_buffer 1
		.amdhsa_user_sgpr_dispatch_ptr 0
		.amdhsa_user_sgpr_queue_ptr 0
		.amdhsa_user_sgpr_kernarg_segment_ptr 1
		.amdhsa_user_sgpr_dispatch_id 0
		.amdhsa_user_sgpr_flat_scratch_init 0
		.amdhsa_user_sgpr_kernarg_preload_length 0
		.amdhsa_user_sgpr_kernarg_preload_offset 0
		.amdhsa_user_sgpr_private_segment_size 0
		.amdhsa_uses_dynamic_stack 0
		.amdhsa_system_sgpr_private_segment_wavefront_offset 0
		.amdhsa_system_sgpr_workgroup_id_x 1
		.amdhsa_system_sgpr_workgroup_id_y 0
		.amdhsa_system_sgpr_workgroup_id_z 0
		.amdhsa_system_sgpr_workgroup_info 0
		.amdhsa_system_vgpr_workitem_id 0
		.amdhsa_next_free_vgpr 1
		.amdhsa_next_free_sgpr 0
		.amdhsa_accum_offset 4
		.amdhsa_reserve_vcc 0
		.amdhsa_reserve_flat_scratch 0
		.amdhsa_float_round_mode_32 0
		.amdhsa_float_round_mode_16_64 0
		.amdhsa_float_denorm_mode_32 3
		.amdhsa_float_denorm_mode_16_64 3
		.amdhsa_dx10_clamp 1
		.amdhsa_ieee_mode 1
		.amdhsa_fp16_overflow 0
		.amdhsa_tg_split 0
		.amdhsa_exception_fp_ieee_invalid_op 0
		.amdhsa_exception_fp_denorm_src 0
		.amdhsa_exception_fp_ieee_div_zero 0
		.amdhsa_exception_fp_ieee_overflow 0
		.amdhsa_exception_fp_ieee_underflow 0
		.amdhsa_exception_fp_ieee_inexact 0
		.amdhsa_exception_int_div_zero 0
	.end_amdhsa_kernel
	.section	.text._ZN7rocprim17ROCPRIM_400000_NS6detail17trampoline_kernelINS0_13select_configILj256ELj13ELNS0_17block_load_methodE3ELS4_3ELS4_3ELNS0_20block_scan_algorithmE0ELj4294967295EEENS1_25partition_config_selectorILNS1_17partition_subalgoE3EjNS0_10empty_typeEbEEZZNS1_14partition_implILS8_3ELb0ES6_jNS0_17counting_iteratorIjlEEPS9_SE_NS0_5tupleIJPjSE_EEENSF_IJSE_SE_EEES9_SG_JZNS1_25segmented_radix_sort_implINS0_14default_configELb1EPKsPsPKlPlN2at6native12_GLOBAL__N_18offset_tEEE10hipError_tPvRmT1_PNSt15iterator_traitsISY_E10value_typeET2_T3_PNSZ_IS14_E10value_typeET4_jRbjT5_S1A_jjP12ihipStream_tbEUljE_EEESV_SW_SX_S14_S18_S1A_T6_T7_T9_mT8_S1C_bDpT10_ENKUlT_T0_E_clISt17integral_constantIbLb1EES1P_EEDaS1K_S1L_EUlS1K_E_NS1_11comp_targetILNS1_3genE10ELNS1_11target_archE1200ELNS1_3gpuE4ELNS1_3repE0EEENS1_30default_config_static_selectorELNS0_4arch9wavefront6targetE1EEEvSY_,"axG",@progbits,_ZN7rocprim17ROCPRIM_400000_NS6detail17trampoline_kernelINS0_13select_configILj256ELj13ELNS0_17block_load_methodE3ELS4_3ELS4_3ELNS0_20block_scan_algorithmE0ELj4294967295EEENS1_25partition_config_selectorILNS1_17partition_subalgoE3EjNS0_10empty_typeEbEEZZNS1_14partition_implILS8_3ELb0ES6_jNS0_17counting_iteratorIjlEEPS9_SE_NS0_5tupleIJPjSE_EEENSF_IJSE_SE_EEES9_SG_JZNS1_25segmented_radix_sort_implINS0_14default_configELb1EPKsPsPKlPlN2at6native12_GLOBAL__N_18offset_tEEE10hipError_tPvRmT1_PNSt15iterator_traitsISY_E10value_typeET2_T3_PNSZ_IS14_E10value_typeET4_jRbjT5_S1A_jjP12ihipStream_tbEUljE_EEESV_SW_SX_S14_S18_S1A_T6_T7_T9_mT8_S1C_bDpT10_ENKUlT_T0_E_clISt17integral_constantIbLb1EES1P_EEDaS1K_S1L_EUlS1K_E_NS1_11comp_targetILNS1_3genE10ELNS1_11target_archE1200ELNS1_3gpuE4ELNS1_3repE0EEENS1_30default_config_static_selectorELNS0_4arch9wavefront6targetE1EEEvSY_,comdat
.Lfunc_end892:
	.size	_ZN7rocprim17ROCPRIM_400000_NS6detail17trampoline_kernelINS0_13select_configILj256ELj13ELNS0_17block_load_methodE3ELS4_3ELS4_3ELNS0_20block_scan_algorithmE0ELj4294967295EEENS1_25partition_config_selectorILNS1_17partition_subalgoE3EjNS0_10empty_typeEbEEZZNS1_14partition_implILS8_3ELb0ES6_jNS0_17counting_iteratorIjlEEPS9_SE_NS0_5tupleIJPjSE_EEENSF_IJSE_SE_EEES9_SG_JZNS1_25segmented_radix_sort_implINS0_14default_configELb1EPKsPsPKlPlN2at6native12_GLOBAL__N_18offset_tEEE10hipError_tPvRmT1_PNSt15iterator_traitsISY_E10value_typeET2_T3_PNSZ_IS14_E10value_typeET4_jRbjT5_S1A_jjP12ihipStream_tbEUljE_EEESV_SW_SX_S14_S18_S1A_T6_T7_T9_mT8_S1C_bDpT10_ENKUlT_T0_E_clISt17integral_constantIbLb1EES1P_EEDaS1K_S1L_EUlS1K_E_NS1_11comp_targetILNS1_3genE10ELNS1_11target_archE1200ELNS1_3gpuE4ELNS1_3repE0EEENS1_30default_config_static_selectorELNS0_4arch9wavefront6targetE1EEEvSY_, .Lfunc_end892-_ZN7rocprim17ROCPRIM_400000_NS6detail17trampoline_kernelINS0_13select_configILj256ELj13ELNS0_17block_load_methodE3ELS4_3ELS4_3ELNS0_20block_scan_algorithmE0ELj4294967295EEENS1_25partition_config_selectorILNS1_17partition_subalgoE3EjNS0_10empty_typeEbEEZZNS1_14partition_implILS8_3ELb0ES6_jNS0_17counting_iteratorIjlEEPS9_SE_NS0_5tupleIJPjSE_EEENSF_IJSE_SE_EEES9_SG_JZNS1_25segmented_radix_sort_implINS0_14default_configELb1EPKsPsPKlPlN2at6native12_GLOBAL__N_18offset_tEEE10hipError_tPvRmT1_PNSt15iterator_traitsISY_E10value_typeET2_T3_PNSZ_IS14_E10value_typeET4_jRbjT5_S1A_jjP12ihipStream_tbEUljE_EEESV_SW_SX_S14_S18_S1A_T6_T7_T9_mT8_S1C_bDpT10_ENKUlT_T0_E_clISt17integral_constantIbLb1EES1P_EEDaS1K_S1L_EUlS1K_E_NS1_11comp_targetILNS1_3genE10ELNS1_11target_archE1200ELNS1_3gpuE4ELNS1_3repE0EEENS1_30default_config_static_selectorELNS0_4arch9wavefront6targetE1EEEvSY_
                                        ; -- End function
	.section	.AMDGPU.csdata,"",@progbits
; Kernel info:
; codeLenInByte = 0
; NumSgprs: 4
; NumVgprs: 0
; NumAgprs: 0
; TotalNumVgprs: 0
; ScratchSize: 0
; MemoryBound: 0
; FloatMode: 240
; IeeeMode: 1
; LDSByteSize: 0 bytes/workgroup (compile time only)
; SGPRBlocks: 0
; VGPRBlocks: 0
; NumSGPRsForWavesPerEU: 4
; NumVGPRsForWavesPerEU: 1
; AccumOffset: 4
; Occupancy: 8
; WaveLimiterHint : 0
; COMPUTE_PGM_RSRC2:SCRATCH_EN: 0
; COMPUTE_PGM_RSRC2:USER_SGPR: 6
; COMPUTE_PGM_RSRC2:TRAP_HANDLER: 0
; COMPUTE_PGM_RSRC2:TGID_X_EN: 1
; COMPUTE_PGM_RSRC2:TGID_Y_EN: 0
; COMPUTE_PGM_RSRC2:TGID_Z_EN: 0
; COMPUTE_PGM_RSRC2:TIDIG_COMP_CNT: 0
; COMPUTE_PGM_RSRC3_GFX90A:ACCUM_OFFSET: 0
; COMPUTE_PGM_RSRC3_GFX90A:TG_SPLIT: 0
	.section	.text._ZN7rocprim17ROCPRIM_400000_NS6detail17trampoline_kernelINS0_13select_configILj256ELj13ELNS0_17block_load_methodE3ELS4_3ELS4_3ELNS0_20block_scan_algorithmE0ELj4294967295EEENS1_25partition_config_selectorILNS1_17partition_subalgoE3EjNS0_10empty_typeEbEEZZNS1_14partition_implILS8_3ELb0ES6_jNS0_17counting_iteratorIjlEEPS9_SE_NS0_5tupleIJPjSE_EEENSF_IJSE_SE_EEES9_SG_JZNS1_25segmented_radix_sort_implINS0_14default_configELb1EPKsPsPKlPlN2at6native12_GLOBAL__N_18offset_tEEE10hipError_tPvRmT1_PNSt15iterator_traitsISY_E10value_typeET2_T3_PNSZ_IS14_E10value_typeET4_jRbjT5_S1A_jjP12ihipStream_tbEUljE_EEESV_SW_SX_S14_S18_S1A_T6_T7_T9_mT8_S1C_bDpT10_ENKUlT_T0_E_clISt17integral_constantIbLb1EES1P_EEDaS1K_S1L_EUlS1K_E_NS1_11comp_targetILNS1_3genE9ELNS1_11target_archE1100ELNS1_3gpuE3ELNS1_3repE0EEENS1_30default_config_static_selectorELNS0_4arch9wavefront6targetE1EEEvSY_,"axG",@progbits,_ZN7rocprim17ROCPRIM_400000_NS6detail17trampoline_kernelINS0_13select_configILj256ELj13ELNS0_17block_load_methodE3ELS4_3ELS4_3ELNS0_20block_scan_algorithmE0ELj4294967295EEENS1_25partition_config_selectorILNS1_17partition_subalgoE3EjNS0_10empty_typeEbEEZZNS1_14partition_implILS8_3ELb0ES6_jNS0_17counting_iteratorIjlEEPS9_SE_NS0_5tupleIJPjSE_EEENSF_IJSE_SE_EEES9_SG_JZNS1_25segmented_radix_sort_implINS0_14default_configELb1EPKsPsPKlPlN2at6native12_GLOBAL__N_18offset_tEEE10hipError_tPvRmT1_PNSt15iterator_traitsISY_E10value_typeET2_T3_PNSZ_IS14_E10value_typeET4_jRbjT5_S1A_jjP12ihipStream_tbEUljE_EEESV_SW_SX_S14_S18_S1A_T6_T7_T9_mT8_S1C_bDpT10_ENKUlT_T0_E_clISt17integral_constantIbLb1EES1P_EEDaS1K_S1L_EUlS1K_E_NS1_11comp_targetILNS1_3genE9ELNS1_11target_archE1100ELNS1_3gpuE3ELNS1_3repE0EEENS1_30default_config_static_selectorELNS0_4arch9wavefront6targetE1EEEvSY_,comdat
	.globl	_ZN7rocprim17ROCPRIM_400000_NS6detail17trampoline_kernelINS0_13select_configILj256ELj13ELNS0_17block_load_methodE3ELS4_3ELS4_3ELNS0_20block_scan_algorithmE0ELj4294967295EEENS1_25partition_config_selectorILNS1_17partition_subalgoE3EjNS0_10empty_typeEbEEZZNS1_14partition_implILS8_3ELb0ES6_jNS0_17counting_iteratorIjlEEPS9_SE_NS0_5tupleIJPjSE_EEENSF_IJSE_SE_EEES9_SG_JZNS1_25segmented_radix_sort_implINS0_14default_configELb1EPKsPsPKlPlN2at6native12_GLOBAL__N_18offset_tEEE10hipError_tPvRmT1_PNSt15iterator_traitsISY_E10value_typeET2_T3_PNSZ_IS14_E10value_typeET4_jRbjT5_S1A_jjP12ihipStream_tbEUljE_EEESV_SW_SX_S14_S18_S1A_T6_T7_T9_mT8_S1C_bDpT10_ENKUlT_T0_E_clISt17integral_constantIbLb1EES1P_EEDaS1K_S1L_EUlS1K_E_NS1_11comp_targetILNS1_3genE9ELNS1_11target_archE1100ELNS1_3gpuE3ELNS1_3repE0EEENS1_30default_config_static_selectorELNS0_4arch9wavefront6targetE1EEEvSY_ ; -- Begin function _ZN7rocprim17ROCPRIM_400000_NS6detail17trampoline_kernelINS0_13select_configILj256ELj13ELNS0_17block_load_methodE3ELS4_3ELS4_3ELNS0_20block_scan_algorithmE0ELj4294967295EEENS1_25partition_config_selectorILNS1_17partition_subalgoE3EjNS0_10empty_typeEbEEZZNS1_14partition_implILS8_3ELb0ES6_jNS0_17counting_iteratorIjlEEPS9_SE_NS0_5tupleIJPjSE_EEENSF_IJSE_SE_EEES9_SG_JZNS1_25segmented_radix_sort_implINS0_14default_configELb1EPKsPsPKlPlN2at6native12_GLOBAL__N_18offset_tEEE10hipError_tPvRmT1_PNSt15iterator_traitsISY_E10value_typeET2_T3_PNSZ_IS14_E10value_typeET4_jRbjT5_S1A_jjP12ihipStream_tbEUljE_EEESV_SW_SX_S14_S18_S1A_T6_T7_T9_mT8_S1C_bDpT10_ENKUlT_T0_E_clISt17integral_constantIbLb1EES1P_EEDaS1K_S1L_EUlS1K_E_NS1_11comp_targetILNS1_3genE9ELNS1_11target_archE1100ELNS1_3gpuE3ELNS1_3repE0EEENS1_30default_config_static_selectorELNS0_4arch9wavefront6targetE1EEEvSY_
	.p2align	8
	.type	_ZN7rocprim17ROCPRIM_400000_NS6detail17trampoline_kernelINS0_13select_configILj256ELj13ELNS0_17block_load_methodE3ELS4_3ELS4_3ELNS0_20block_scan_algorithmE0ELj4294967295EEENS1_25partition_config_selectorILNS1_17partition_subalgoE3EjNS0_10empty_typeEbEEZZNS1_14partition_implILS8_3ELb0ES6_jNS0_17counting_iteratorIjlEEPS9_SE_NS0_5tupleIJPjSE_EEENSF_IJSE_SE_EEES9_SG_JZNS1_25segmented_radix_sort_implINS0_14default_configELb1EPKsPsPKlPlN2at6native12_GLOBAL__N_18offset_tEEE10hipError_tPvRmT1_PNSt15iterator_traitsISY_E10value_typeET2_T3_PNSZ_IS14_E10value_typeET4_jRbjT5_S1A_jjP12ihipStream_tbEUljE_EEESV_SW_SX_S14_S18_S1A_T6_T7_T9_mT8_S1C_bDpT10_ENKUlT_T0_E_clISt17integral_constantIbLb1EES1P_EEDaS1K_S1L_EUlS1K_E_NS1_11comp_targetILNS1_3genE9ELNS1_11target_archE1100ELNS1_3gpuE3ELNS1_3repE0EEENS1_30default_config_static_selectorELNS0_4arch9wavefront6targetE1EEEvSY_,@function
_ZN7rocprim17ROCPRIM_400000_NS6detail17trampoline_kernelINS0_13select_configILj256ELj13ELNS0_17block_load_methodE3ELS4_3ELS4_3ELNS0_20block_scan_algorithmE0ELj4294967295EEENS1_25partition_config_selectorILNS1_17partition_subalgoE3EjNS0_10empty_typeEbEEZZNS1_14partition_implILS8_3ELb0ES6_jNS0_17counting_iteratorIjlEEPS9_SE_NS0_5tupleIJPjSE_EEENSF_IJSE_SE_EEES9_SG_JZNS1_25segmented_radix_sort_implINS0_14default_configELb1EPKsPsPKlPlN2at6native12_GLOBAL__N_18offset_tEEE10hipError_tPvRmT1_PNSt15iterator_traitsISY_E10value_typeET2_T3_PNSZ_IS14_E10value_typeET4_jRbjT5_S1A_jjP12ihipStream_tbEUljE_EEESV_SW_SX_S14_S18_S1A_T6_T7_T9_mT8_S1C_bDpT10_ENKUlT_T0_E_clISt17integral_constantIbLb1EES1P_EEDaS1K_S1L_EUlS1K_E_NS1_11comp_targetILNS1_3genE9ELNS1_11target_archE1100ELNS1_3gpuE3ELNS1_3repE0EEENS1_30default_config_static_selectorELNS0_4arch9wavefront6targetE1EEEvSY_: ; @_ZN7rocprim17ROCPRIM_400000_NS6detail17trampoline_kernelINS0_13select_configILj256ELj13ELNS0_17block_load_methodE3ELS4_3ELS4_3ELNS0_20block_scan_algorithmE0ELj4294967295EEENS1_25partition_config_selectorILNS1_17partition_subalgoE3EjNS0_10empty_typeEbEEZZNS1_14partition_implILS8_3ELb0ES6_jNS0_17counting_iteratorIjlEEPS9_SE_NS0_5tupleIJPjSE_EEENSF_IJSE_SE_EEES9_SG_JZNS1_25segmented_radix_sort_implINS0_14default_configELb1EPKsPsPKlPlN2at6native12_GLOBAL__N_18offset_tEEE10hipError_tPvRmT1_PNSt15iterator_traitsISY_E10value_typeET2_T3_PNSZ_IS14_E10value_typeET4_jRbjT5_S1A_jjP12ihipStream_tbEUljE_EEESV_SW_SX_S14_S18_S1A_T6_T7_T9_mT8_S1C_bDpT10_ENKUlT_T0_E_clISt17integral_constantIbLb1EES1P_EEDaS1K_S1L_EUlS1K_E_NS1_11comp_targetILNS1_3genE9ELNS1_11target_archE1100ELNS1_3gpuE3ELNS1_3repE0EEENS1_30default_config_static_selectorELNS0_4arch9wavefront6targetE1EEEvSY_
; %bb.0:
	.section	.rodata,"a",@progbits
	.p2align	6, 0x0
	.amdhsa_kernel _ZN7rocprim17ROCPRIM_400000_NS6detail17trampoline_kernelINS0_13select_configILj256ELj13ELNS0_17block_load_methodE3ELS4_3ELS4_3ELNS0_20block_scan_algorithmE0ELj4294967295EEENS1_25partition_config_selectorILNS1_17partition_subalgoE3EjNS0_10empty_typeEbEEZZNS1_14partition_implILS8_3ELb0ES6_jNS0_17counting_iteratorIjlEEPS9_SE_NS0_5tupleIJPjSE_EEENSF_IJSE_SE_EEES9_SG_JZNS1_25segmented_radix_sort_implINS0_14default_configELb1EPKsPsPKlPlN2at6native12_GLOBAL__N_18offset_tEEE10hipError_tPvRmT1_PNSt15iterator_traitsISY_E10value_typeET2_T3_PNSZ_IS14_E10value_typeET4_jRbjT5_S1A_jjP12ihipStream_tbEUljE_EEESV_SW_SX_S14_S18_S1A_T6_T7_T9_mT8_S1C_bDpT10_ENKUlT_T0_E_clISt17integral_constantIbLb1EES1P_EEDaS1K_S1L_EUlS1K_E_NS1_11comp_targetILNS1_3genE9ELNS1_11target_archE1100ELNS1_3gpuE3ELNS1_3repE0EEENS1_30default_config_static_selectorELNS0_4arch9wavefront6targetE1EEEvSY_
		.amdhsa_group_segment_fixed_size 0
		.amdhsa_private_segment_fixed_size 0
		.amdhsa_kernarg_size 152
		.amdhsa_user_sgpr_count 6
		.amdhsa_user_sgpr_private_segment_buffer 1
		.amdhsa_user_sgpr_dispatch_ptr 0
		.amdhsa_user_sgpr_queue_ptr 0
		.amdhsa_user_sgpr_kernarg_segment_ptr 1
		.amdhsa_user_sgpr_dispatch_id 0
		.amdhsa_user_sgpr_flat_scratch_init 0
		.amdhsa_user_sgpr_kernarg_preload_length 0
		.amdhsa_user_sgpr_kernarg_preload_offset 0
		.amdhsa_user_sgpr_private_segment_size 0
		.amdhsa_uses_dynamic_stack 0
		.amdhsa_system_sgpr_private_segment_wavefront_offset 0
		.amdhsa_system_sgpr_workgroup_id_x 1
		.amdhsa_system_sgpr_workgroup_id_y 0
		.amdhsa_system_sgpr_workgroup_id_z 0
		.amdhsa_system_sgpr_workgroup_info 0
		.amdhsa_system_vgpr_workitem_id 0
		.amdhsa_next_free_vgpr 1
		.amdhsa_next_free_sgpr 0
		.amdhsa_accum_offset 4
		.amdhsa_reserve_vcc 0
		.amdhsa_reserve_flat_scratch 0
		.amdhsa_float_round_mode_32 0
		.amdhsa_float_round_mode_16_64 0
		.amdhsa_float_denorm_mode_32 3
		.amdhsa_float_denorm_mode_16_64 3
		.amdhsa_dx10_clamp 1
		.amdhsa_ieee_mode 1
		.amdhsa_fp16_overflow 0
		.amdhsa_tg_split 0
		.amdhsa_exception_fp_ieee_invalid_op 0
		.amdhsa_exception_fp_denorm_src 0
		.amdhsa_exception_fp_ieee_div_zero 0
		.amdhsa_exception_fp_ieee_overflow 0
		.amdhsa_exception_fp_ieee_underflow 0
		.amdhsa_exception_fp_ieee_inexact 0
		.amdhsa_exception_int_div_zero 0
	.end_amdhsa_kernel
	.section	.text._ZN7rocprim17ROCPRIM_400000_NS6detail17trampoline_kernelINS0_13select_configILj256ELj13ELNS0_17block_load_methodE3ELS4_3ELS4_3ELNS0_20block_scan_algorithmE0ELj4294967295EEENS1_25partition_config_selectorILNS1_17partition_subalgoE3EjNS0_10empty_typeEbEEZZNS1_14partition_implILS8_3ELb0ES6_jNS0_17counting_iteratorIjlEEPS9_SE_NS0_5tupleIJPjSE_EEENSF_IJSE_SE_EEES9_SG_JZNS1_25segmented_radix_sort_implINS0_14default_configELb1EPKsPsPKlPlN2at6native12_GLOBAL__N_18offset_tEEE10hipError_tPvRmT1_PNSt15iterator_traitsISY_E10value_typeET2_T3_PNSZ_IS14_E10value_typeET4_jRbjT5_S1A_jjP12ihipStream_tbEUljE_EEESV_SW_SX_S14_S18_S1A_T6_T7_T9_mT8_S1C_bDpT10_ENKUlT_T0_E_clISt17integral_constantIbLb1EES1P_EEDaS1K_S1L_EUlS1K_E_NS1_11comp_targetILNS1_3genE9ELNS1_11target_archE1100ELNS1_3gpuE3ELNS1_3repE0EEENS1_30default_config_static_selectorELNS0_4arch9wavefront6targetE1EEEvSY_,"axG",@progbits,_ZN7rocprim17ROCPRIM_400000_NS6detail17trampoline_kernelINS0_13select_configILj256ELj13ELNS0_17block_load_methodE3ELS4_3ELS4_3ELNS0_20block_scan_algorithmE0ELj4294967295EEENS1_25partition_config_selectorILNS1_17partition_subalgoE3EjNS0_10empty_typeEbEEZZNS1_14partition_implILS8_3ELb0ES6_jNS0_17counting_iteratorIjlEEPS9_SE_NS0_5tupleIJPjSE_EEENSF_IJSE_SE_EEES9_SG_JZNS1_25segmented_radix_sort_implINS0_14default_configELb1EPKsPsPKlPlN2at6native12_GLOBAL__N_18offset_tEEE10hipError_tPvRmT1_PNSt15iterator_traitsISY_E10value_typeET2_T3_PNSZ_IS14_E10value_typeET4_jRbjT5_S1A_jjP12ihipStream_tbEUljE_EEESV_SW_SX_S14_S18_S1A_T6_T7_T9_mT8_S1C_bDpT10_ENKUlT_T0_E_clISt17integral_constantIbLb1EES1P_EEDaS1K_S1L_EUlS1K_E_NS1_11comp_targetILNS1_3genE9ELNS1_11target_archE1100ELNS1_3gpuE3ELNS1_3repE0EEENS1_30default_config_static_selectorELNS0_4arch9wavefront6targetE1EEEvSY_,comdat
.Lfunc_end893:
	.size	_ZN7rocprim17ROCPRIM_400000_NS6detail17trampoline_kernelINS0_13select_configILj256ELj13ELNS0_17block_load_methodE3ELS4_3ELS4_3ELNS0_20block_scan_algorithmE0ELj4294967295EEENS1_25partition_config_selectorILNS1_17partition_subalgoE3EjNS0_10empty_typeEbEEZZNS1_14partition_implILS8_3ELb0ES6_jNS0_17counting_iteratorIjlEEPS9_SE_NS0_5tupleIJPjSE_EEENSF_IJSE_SE_EEES9_SG_JZNS1_25segmented_radix_sort_implINS0_14default_configELb1EPKsPsPKlPlN2at6native12_GLOBAL__N_18offset_tEEE10hipError_tPvRmT1_PNSt15iterator_traitsISY_E10value_typeET2_T3_PNSZ_IS14_E10value_typeET4_jRbjT5_S1A_jjP12ihipStream_tbEUljE_EEESV_SW_SX_S14_S18_S1A_T6_T7_T9_mT8_S1C_bDpT10_ENKUlT_T0_E_clISt17integral_constantIbLb1EES1P_EEDaS1K_S1L_EUlS1K_E_NS1_11comp_targetILNS1_3genE9ELNS1_11target_archE1100ELNS1_3gpuE3ELNS1_3repE0EEENS1_30default_config_static_selectorELNS0_4arch9wavefront6targetE1EEEvSY_, .Lfunc_end893-_ZN7rocprim17ROCPRIM_400000_NS6detail17trampoline_kernelINS0_13select_configILj256ELj13ELNS0_17block_load_methodE3ELS4_3ELS4_3ELNS0_20block_scan_algorithmE0ELj4294967295EEENS1_25partition_config_selectorILNS1_17partition_subalgoE3EjNS0_10empty_typeEbEEZZNS1_14partition_implILS8_3ELb0ES6_jNS0_17counting_iteratorIjlEEPS9_SE_NS0_5tupleIJPjSE_EEENSF_IJSE_SE_EEES9_SG_JZNS1_25segmented_radix_sort_implINS0_14default_configELb1EPKsPsPKlPlN2at6native12_GLOBAL__N_18offset_tEEE10hipError_tPvRmT1_PNSt15iterator_traitsISY_E10value_typeET2_T3_PNSZ_IS14_E10value_typeET4_jRbjT5_S1A_jjP12ihipStream_tbEUljE_EEESV_SW_SX_S14_S18_S1A_T6_T7_T9_mT8_S1C_bDpT10_ENKUlT_T0_E_clISt17integral_constantIbLb1EES1P_EEDaS1K_S1L_EUlS1K_E_NS1_11comp_targetILNS1_3genE9ELNS1_11target_archE1100ELNS1_3gpuE3ELNS1_3repE0EEENS1_30default_config_static_selectorELNS0_4arch9wavefront6targetE1EEEvSY_
                                        ; -- End function
	.section	.AMDGPU.csdata,"",@progbits
; Kernel info:
; codeLenInByte = 0
; NumSgprs: 4
; NumVgprs: 0
; NumAgprs: 0
; TotalNumVgprs: 0
; ScratchSize: 0
; MemoryBound: 0
; FloatMode: 240
; IeeeMode: 1
; LDSByteSize: 0 bytes/workgroup (compile time only)
; SGPRBlocks: 0
; VGPRBlocks: 0
; NumSGPRsForWavesPerEU: 4
; NumVGPRsForWavesPerEU: 1
; AccumOffset: 4
; Occupancy: 8
; WaveLimiterHint : 0
; COMPUTE_PGM_RSRC2:SCRATCH_EN: 0
; COMPUTE_PGM_RSRC2:USER_SGPR: 6
; COMPUTE_PGM_RSRC2:TRAP_HANDLER: 0
; COMPUTE_PGM_RSRC2:TGID_X_EN: 1
; COMPUTE_PGM_RSRC2:TGID_Y_EN: 0
; COMPUTE_PGM_RSRC2:TGID_Z_EN: 0
; COMPUTE_PGM_RSRC2:TIDIG_COMP_CNT: 0
; COMPUTE_PGM_RSRC3_GFX90A:ACCUM_OFFSET: 0
; COMPUTE_PGM_RSRC3_GFX90A:TG_SPLIT: 0
	.section	.text._ZN7rocprim17ROCPRIM_400000_NS6detail17trampoline_kernelINS0_13select_configILj256ELj13ELNS0_17block_load_methodE3ELS4_3ELS4_3ELNS0_20block_scan_algorithmE0ELj4294967295EEENS1_25partition_config_selectorILNS1_17partition_subalgoE3EjNS0_10empty_typeEbEEZZNS1_14partition_implILS8_3ELb0ES6_jNS0_17counting_iteratorIjlEEPS9_SE_NS0_5tupleIJPjSE_EEENSF_IJSE_SE_EEES9_SG_JZNS1_25segmented_radix_sort_implINS0_14default_configELb1EPKsPsPKlPlN2at6native12_GLOBAL__N_18offset_tEEE10hipError_tPvRmT1_PNSt15iterator_traitsISY_E10value_typeET2_T3_PNSZ_IS14_E10value_typeET4_jRbjT5_S1A_jjP12ihipStream_tbEUljE_EEESV_SW_SX_S14_S18_S1A_T6_T7_T9_mT8_S1C_bDpT10_ENKUlT_T0_E_clISt17integral_constantIbLb1EES1P_EEDaS1K_S1L_EUlS1K_E_NS1_11comp_targetILNS1_3genE8ELNS1_11target_archE1030ELNS1_3gpuE2ELNS1_3repE0EEENS1_30default_config_static_selectorELNS0_4arch9wavefront6targetE1EEEvSY_,"axG",@progbits,_ZN7rocprim17ROCPRIM_400000_NS6detail17trampoline_kernelINS0_13select_configILj256ELj13ELNS0_17block_load_methodE3ELS4_3ELS4_3ELNS0_20block_scan_algorithmE0ELj4294967295EEENS1_25partition_config_selectorILNS1_17partition_subalgoE3EjNS0_10empty_typeEbEEZZNS1_14partition_implILS8_3ELb0ES6_jNS0_17counting_iteratorIjlEEPS9_SE_NS0_5tupleIJPjSE_EEENSF_IJSE_SE_EEES9_SG_JZNS1_25segmented_radix_sort_implINS0_14default_configELb1EPKsPsPKlPlN2at6native12_GLOBAL__N_18offset_tEEE10hipError_tPvRmT1_PNSt15iterator_traitsISY_E10value_typeET2_T3_PNSZ_IS14_E10value_typeET4_jRbjT5_S1A_jjP12ihipStream_tbEUljE_EEESV_SW_SX_S14_S18_S1A_T6_T7_T9_mT8_S1C_bDpT10_ENKUlT_T0_E_clISt17integral_constantIbLb1EES1P_EEDaS1K_S1L_EUlS1K_E_NS1_11comp_targetILNS1_3genE8ELNS1_11target_archE1030ELNS1_3gpuE2ELNS1_3repE0EEENS1_30default_config_static_selectorELNS0_4arch9wavefront6targetE1EEEvSY_,comdat
	.globl	_ZN7rocprim17ROCPRIM_400000_NS6detail17trampoline_kernelINS0_13select_configILj256ELj13ELNS0_17block_load_methodE3ELS4_3ELS4_3ELNS0_20block_scan_algorithmE0ELj4294967295EEENS1_25partition_config_selectorILNS1_17partition_subalgoE3EjNS0_10empty_typeEbEEZZNS1_14partition_implILS8_3ELb0ES6_jNS0_17counting_iteratorIjlEEPS9_SE_NS0_5tupleIJPjSE_EEENSF_IJSE_SE_EEES9_SG_JZNS1_25segmented_radix_sort_implINS0_14default_configELb1EPKsPsPKlPlN2at6native12_GLOBAL__N_18offset_tEEE10hipError_tPvRmT1_PNSt15iterator_traitsISY_E10value_typeET2_T3_PNSZ_IS14_E10value_typeET4_jRbjT5_S1A_jjP12ihipStream_tbEUljE_EEESV_SW_SX_S14_S18_S1A_T6_T7_T9_mT8_S1C_bDpT10_ENKUlT_T0_E_clISt17integral_constantIbLb1EES1P_EEDaS1K_S1L_EUlS1K_E_NS1_11comp_targetILNS1_3genE8ELNS1_11target_archE1030ELNS1_3gpuE2ELNS1_3repE0EEENS1_30default_config_static_selectorELNS0_4arch9wavefront6targetE1EEEvSY_ ; -- Begin function _ZN7rocprim17ROCPRIM_400000_NS6detail17trampoline_kernelINS0_13select_configILj256ELj13ELNS0_17block_load_methodE3ELS4_3ELS4_3ELNS0_20block_scan_algorithmE0ELj4294967295EEENS1_25partition_config_selectorILNS1_17partition_subalgoE3EjNS0_10empty_typeEbEEZZNS1_14partition_implILS8_3ELb0ES6_jNS0_17counting_iteratorIjlEEPS9_SE_NS0_5tupleIJPjSE_EEENSF_IJSE_SE_EEES9_SG_JZNS1_25segmented_radix_sort_implINS0_14default_configELb1EPKsPsPKlPlN2at6native12_GLOBAL__N_18offset_tEEE10hipError_tPvRmT1_PNSt15iterator_traitsISY_E10value_typeET2_T3_PNSZ_IS14_E10value_typeET4_jRbjT5_S1A_jjP12ihipStream_tbEUljE_EEESV_SW_SX_S14_S18_S1A_T6_T7_T9_mT8_S1C_bDpT10_ENKUlT_T0_E_clISt17integral_constantIbLb1EES1P_EEDaS1K_S1L_EUlS1K_E_NS1_11comp_targetILNS1_3genE8ELNS1_11target_archE1030ELNS1_3gpuE2ELNS1_3repE0EEENS1_30default_config_static_selectorELNS0_4arch9wavefront6targetE1EEEvSY_
	.p2align	8
	.type	_ZN7rocprim17ROCPRIM_400000_NS6detail17trampoline_kernelINS0_13select_configILj256ELj13ELNS0_17block_load_methodE3ELS4_3ELS4_3ELNS0_20block_scan_algorithmE0ELj4294967295EEENS1_25partition_config_selectorILNS1_17partition_subalgoE3EjNS0_10empty_typeEbEEZZNS1_14partition_implILS8_3ELb0ES6_jNS0_17counting_iteratorIjlEEPS9_SE_NS0_5tupleIJPjSE_EEENSF_IJSE_SE_EEES9_SG_JZNS1_25segmented_radix_sort_implINS0_14default_configELb1EPKsPsPKlPlN2at6native12_GLOBAL__N_18offset_tEEE10hipError_tPvRmT1_PNSt15iterator_traitsISY_E10value_typeET2_T3_PNSZ_IS14_E10value_typeET4_jRbjT5_S1A_jjP12ihipStream_tbEUljE_EEESV_SW_SX_S14_S18_S1A_T6_T7_T9_mT8_S1C_bDpT10_ENKUlT_T0_E_clISt17integral_constantIbLb1EES1P_EEDaS1K_S1L_EUlS1K_E_NS1_11comp_targetILNS1_3genE8ELNS1_11target_archE1030ELNS1_3gpuE2ELNS1_3repE0EEENS1_30default_config_static_selectorELNS0_4arch9wavefront6targetE1EEEvSY_,@function
_ZN7rocprim17ROCPRIM_400000_NS6detail17trampoline_kernelINS0_13select_configILj256ELj13ELNS0_17block_load_methodE3ELS4_3ELS4_3ELNS0_20block_scan_algorithmE0ELj4294967295EEENS1_25partition_config_selectorILNS1_17partition_subalgoE3EjNS0_10empty_typeEbEEZZNS1_14partition_implILS8_3ELb0ES6_jNS0_17counting_iteratorIjlEEPS9_SE_NS0_5tupleIJPjSE_EEENSF_IJSE_SE_EEES9_SG_JZNS1_25segmented_radix_sort_implINS0_14default_configELb1EPKsPsPKlPlN2at6native12_GLOBAL__N_18offset_tEEE10hipError_tPvRmT1_PNSt15iterator_traitsISY_E10value_typeET2_T3_PNSZ_IS14_E10value_typeET4_jRbjT5_S1A_jjP12ihipStream_tbEUljE_EEESV_SW_SX_S14_S18_S1A_T6_T7_T9_mT8_S1C_bDpT10_ENKUlT_T0_E_clISt17integral_constantIbLb1EES1P_EEDaS1K_S1L_EUlS1K_E_NS1_11comp_targetILNS1_3genE8ELNS1_11target_archE1030ELNS1_3gpuE2ELNS1_3repE0EEENS1_30default_config_static_selectorELNS0_4arch9wavefront6targetE1EEEvSY_: ; @_ZN7rocprim17ROCPRIM_400000_NS6detail17trampoline_kernelINS0_13select_configILj256ELj13ELNS0_17block_load_methodE3ELS4_3ELS4_3ELNS0_20block_scan_algorithmE0ELj4294967295EEENS1_25partition_config_selectorILNS1_17partition_subalgoE3EjNS0_10empty_typeEbEEZZNS1_14partition_implILS8_3ELb0ES6_jNS0_17counting_iteratorIjlEEPS9_SE_NS0_5tupleIJPjSE_EEENSF_IJSE_SE_EEES9_SG_JZNS1_25segmented_radix_sort_implINS0_14default_configELb1EPKsPsPKlPlN2at6native12_GLOBAL__N_18offset_tEEE10hipError_tPvRmT1_PNSt15iterator_traitsISY_E10value_typeET2_T3_PNSZ_IS14_E10value_typeET4_jRbjT5_S1A_jjP12ihipStream_tbEUljE_EEESV_SW_SX_S14_S18_S1A_T6_T7_T9_mT8_S1C_bDpT10_ENKUlT_T0_E_clISt17integral_constantIbLb1EES1P_EEDaS1K_S1L_EUlS1K_E_NS1_11comp_targetILNS1_3genE8ELNS1_11target_archE1030ELNS1_3gpuE2ELNS1_3repE0EEENS1_30default_config_static_selectorELNS0_4arch9wavefront6targetE1EEEvSY_
; %bb.0:
	.section	.rodata,"a",@progbits
	.p2align	6, 0x0
	.amdhsa_kernel _ZN7rocprim17ROCPRIM_400000_NS6detail17trampoline_kernelINS0_13select_configILj256ELj13ELNS0_17block_load_methodE3ELS4_3ELS4_3ELNS0_20block_scan_algorithmE0ELj4294967295EEENS1_25partition_config_selectorILNS1_17partition_subalgoE3EjNS0_10empty_typeEbEEZZNS1_14partition_implILS8_3ELb0ES6_jNS0_17counting_iteratorIjlEEPS9_SE_NS0_5tupleIJPjSE_EEENSF_IJSE_SE_EEES9_SG_JZNS1_25segmented_radix_sort_implINS0_14default_configELb1EPKsPsPKlPlN2at6native12_GLOBAL__N_18offset_tEEE10hipError_tPvRmT1_PNSt15iterator_traitsISY_E10value_typeET2_T3_PNSZ_IS14_E10value_typeET4_jRbjT5_S1A_jjP12ihipStream_tbEUljE_EEESV_SW_SX_S14_S18_S1A_T6_T7_T9_mT8_S1C_bDpT10_ENKUlT_T0_E_clISt17integral_constantIbLb1EES1P_EEDaS1K_S1L_EUlS1K_E_NS1_11comp_targetILNS1_3genE8ELNS1_11target_archE1030ELNS1_3gpuE2ELNS1_3repE0EEENS1_30default_config_static_selectorELNS0_4arch9wavefront6targetE1EEEvSY_
		.amdhsa_group_segment_fixed_size 0
		.amdhsa_private_segment_fixed_size 0
		.amdhsa_kernarg_size 152
		.amdhsa_user_sgpr_count 6
		.amdhsa_user_sgpr_private_segment_buffer 1
		.amdhsa_user_sgpr_dispatch_ptr 0
		.amdhsa_user_sgpr_queue_ptr 0
		.amdhsa_user_sgpr_kernarg_segment_ptr 1
		.amdhsa_user_sgpr_dispatch_id 0
		.amdhsa_user_sgpr_flat_scratch_init 0
		.amdhsa_user_sgpr_kernarg_preload_length 0
		.amdhsa_user_sgpr_kernarg_preload_offset 0
		.amdhsa_user_sgpr_private_segment_size 0
		.amdhsa_uses_dynamic_stack 0
		.amdhsa_system_sgpr_private_segment_wavefront_offset 0
		.amdhsa_system_sgpr_workgroup_id_x 1
		.amdhsa_system_sgpr_workgroup_id_y 0
		.amdhsa_system_sgpr_workgroup_id_z 0
		.amdhsa_system_sgpr_workgroup_info 0
		.amdhsa_system_vgpr_workitem_id 0
		.amdhsa_next_free_vgpr 1
		.amdhsa_next_free_sgpr 0
		.amdhsa_accum_offset 4
		.amdhsa_reserve_vcc 0
		.amdhsa_reserve_flat_scratch 0
		.amdhsa_float_round_mode_32 0
		.amdhsa_float_round_mode_16_64 0
		.amdhsa_float_denorm_mode_32 3
		.amdhsa_float_denorm_mode_16_64 3
		.amdhsa_dx10_clamp 1
		.amdhsa_ieee_mode 1
		.amdhsa_fp16_overflow 0
		.amdhsa_tg_split 0
		.amdhsa_exception_fp_ieee_invalid_op 0
		.amdhsa_exception_fp_denorm_src 0
		.amdhsa_exception_fp_ieee_div_zero 0
		.amdhsa_exception_fp_ieee_overflow 0
		.amdhsa_exception_fp_ieee_underflow 0
		.amdhsa_exception_fp_ieee_inexact 0
		.amdhsa_exception_int_div_zero 0
	.end_amdhsa_kernel
	.section	.text._ZN7rocprim17ROCPRIM_400000_NS6detail17trampoline_kernelINS0_13select_configILj256ELj13ELNS0_17block_load_methodE3ELS4_3ELS4_3ELNS0_20block_scan_algorithmE0ELj4294967295EEENS1_25partition_config_selectorILNS1_17partition_subalgoE3EjNS0_10empty_typeEbEEZZNS1_14partition_implILS8_3ELb0ES6_jNS0_17counting_iteratorIjlEEPS9_SE_NS0_5tupleIJPjSE_EEENSF_IJSE_SE_EEES9_SG_JZNS1_25segmented_radix_sort_implINS0_14default_configELb1EPKsPsPKlPlN2at6native12_GLOBAL__N_18offset_tEEE10hipError_tPvRmT1_PNSt15iterator_traitsISY_E10value_typeET2_T3_PNSZ_IS14_E10value_typeET4_jRbjT5_S1A_jjP12ihipStream_tbEUljE_EEESV_SW_SX_S14_S18_S1A_T6_T7_T9_mT8_S1C_bDpT10_ENKUlT_T0_E_clISt17integral_constantIbLb1EES1P_EEDaS1K_S1L_EUlS1K_E_NS1_11comp_targetILNS1_3genE8ELNS1_11target_archE1030ELNS1_3gpuE2ELNS1_3repE0EEENS1_30default_config_static_selectorELNS0_4arch9wavefront6targetE1EEEvSY_,"axG",@progbits,_ZN7rocprim17ROCPRIM_400000_NS6detail17trampoline_kernelINS0_13select_configILj256ELj13ELNS0_17block_load_methodE3ELS4_3ELS4_3ELNS0_20block_scan_algorithmE0ELj4294967295EEENS1_25partition_config_selectorILNS1_17partition_subalgoE3EjNS0_10empty_typeEbEEZZNS1_14partition_implILS8_3ELb0ES6_jNS0_17counting_iteratorIjlEEPS9_SE_NS0_5tupleIJPjSE_EEENSF_IJSE_SE_EEES9_SG_JZNS1_25segmented_radix_sort_implINS0_14default_configELb1EPKsPsPKlPlN2at6native12_GLOBAL__N_18offset_tEEE10hipError_tPvRmT1_PNSt15iterator_traitsISY_E10value_typeET2_T3_PNSZ_IS14_E10value_typeET4_jRbjT5_S1A_jjP12ihipStream_tbEUljE_EEESV_SW_SX_S14_S18_S1A_T6_T7_T9_mT8_S1C_bDpT10_ENKUlT_T0_E_clISt17integral_constantIbLb1EES1P_EEDaS1K_S1L_EUlS1K_E_NS1_11comp_targetILNS1_3genE8ELNS1_11target_archE1030ELNS1_3gpuE2ELNS1_3repE0EEENS1_30default_config_static_selectorELNS0_4arch9wavefront6targetE1EEEvSY_,comdat
.Lfunc_end894:
	.size	_ZN7rocprim17ROCPRIM_400000_NS6detail17trampoline_kernelINS0_13select_configILj256ELj13ELNS0_17block_load_methodE3ELS4_3ELS4_3ELNS0_20block_scan_algorithmE0ELj4294967295EEENS1_25partition_config_selectorILNS1_17partition_subalgoE3EjNS0_10empty_typeEbEEZZNS1_14partition_implILS8_3ELb0ES6_jNS0_17counting_iteratorIjlEEPS9_SE_NS0_5tupleIJPjSE_EEENSF_IJSE_SE_EEES9_SG_JZNS1_25segmented_radix_sort_implINS0_14default_configELb1EPKsPsPKlPlN2at6native12_GLOBAL__N_18offset_tEEE10hipError_tPvRmT1_PNSt15iterator_traitsISY_E10value_typeET2_T3_PNSZ_IS14_E10value_typeET4_jRbjT5_S1A_jjP12ihipStream_tbEUljE_EEESV_SW_SX_S14_S18_S1A_T6_T7_T9_mT8_S1C_bDpT10_ENKUlT_T0_E_clISt17integral_constantIbLb1EES1P_EEDaS1K_S1L_EUlS1K_E_NS1_11comp_targetILNS1_3genE8ELNS1_11target_archE1030ELNS1_3gpuE2ELNS1_3repE0EEENS1_30default_config_static_selectorELNS0_4arch9wavefront6targetE1EEEvSY_, .Lfunc_end894-_ZN7rocprim17ROCPRIM_400000_NS6detail17trampoline_kernelINS0_13select_configILj256ELj13ELNS0_17block_load_methodE3ELS4_3ELS4_3ELNS0_20block_scan_algorithmE0ELj4294967295EEENS1_25partition_config_selectorILNS1_17partition_subalgoE3EjNS0_10empty_typeEbEEZZNS1_14partition_implILS8_3ELb0ES6_jNS0_17counting_iteratorIjlEEPS9_SE_NS0_5tupleIJPjSE_EEENSF_IJSE_SE_EEES9_SG_JZNS1_25segmented_radix_sort_implINS0_14default_configELb1EPKsPsPKlPlN2at6native12_GLOBAL__N_18offset_tEEE10hipError_tPvRmT1_PNSt15iterator_traitsISY_E10value_typeET2_T3_PNSZ_IS14_E10value_typeET4_jRbjT5_S1A_jjP12ihipStream_tbEUljE_EEESV_SW_SX_S14_S18_S1A_T6_T7_T9_mT8_S1C_bDpT10_ENKUlT_T0_E_clISt17integral_constantIbLb1EES1P_EEDaS1K_S1L_EUlS1K_E_NS1_11comp_targetILNS1_3genE8ELNS1_11target_archE1030ELNS1_3gpuE2ELNS1_3repE0EEENS1_30default_config_static_selectorELNS0_4arch9wavefront6targetE1EEEvSY_
                                        ; -- End function
	.section	.AMDGPU.csdata,"",@progbits
; Kernel info:
; codeLenInByte = 0
; NumSgprs: 4
; NumVgprs: 0
; NumAgprs: 0
; TotalNumVgprs: 0
; ScratchSize: 0
; MemoryBound: 0
; FloatMode: 240
; IeeeMode: 1
; LDSByteSize: 0 bytes/workgroup (compile time only)
; SGPRBlocks: 0
; VGPRBlocks: 0
; NumSGPRsForWavesPerEU: 4
; NumVGPRsForWavesPerEU: 1
; AccumOffset: 4
; Occupancy: 8
; WaveLimiterHint : 0
; COMPUTE_PGM_RSRC2:SCRATCH_EN: 0
; COMPUTE_PGM_RSRC2:USER_SGPR: 6
; COMPUTE_PGM_RSRC2:TRAP_HANDLER: 0
; COMPUTE_PGM_RSRC2:TGID_X_EN: 1
; COMPUTE_PGM_RSRC2:TGID_Y_EN: 0
; COMPUTE_PGM_RSRC2:TGID_Z_EN: 0
; COMPUTE_PGM_RSRC2:TIDIG_COMP_CNT: 0
; COMPUTE_PGM_RSRC3_GFX90A:ACCUM_OFFSET: 0
; COMPUTE_PGM_RSRC3_GFX90A:TG_SPLIT: 0
	.section	.text._ZN7rocprim17ROCPRIM_400000_NS6detail17trampoline_kernelINS0_13select_configILj256ELj13ELNS0_17block_load_methodE3ELS4_3ELS4_3ELNS0_20block_scan_algorithmE0ELj4294967295EEENS1_25partition_config_selectorILNS1_17partition_subalgoE3EjNS0_10empty_typeEbEEZZNS1_14partition_implILS8_3ELb0ES6_jNS0_17counting_iteratorIjlEEPS9_SE_NS0_5tupleIJPjSE_EEENSF_IJSE_SE_EEES9_SG_JZNS1_25segmented_radix_sort_implINS0_14default_configELb1EPKsPsPKlPlN2at6native12_GLOBAL__N_18offset_tEEE10hipError_tPvRmT1_PNSt15iterator_traitsISY_E10value_typeET2_T3_PNSZ_IS14_E10value_typeET4_jRbjT5_S1A_jjP12ihipStream_tbEUljE_EEESV_SW_SX_S14_S18_S1A_T6_T7_T9_mT8_S1C_bDpT10_ENKUlT_T0_E_clISt17integral_constantIbLb1EES1O_IbLb0EEEEDaS1K_S1L_EUlS1K_E_NS1_11comp_targetILNS1_3genE0ELNS1_11target_archE4294967295ELNS1_3gpuE0ELNS1_3repE0EEENS1_30default_config_static_selectorELNS0_4arch9wavefront6targetE1EEEvSY_,"axG",@progbits,_ZN7rocprim17ROCPRIM_400000_NS6detail17trampoline_kernelINS0_13select_configILj256ELj13ELNS0_17block_load_methodE3ELS4_3ELS4_3ELNS0_20block_scan_algorithmE0ELj4294967295EEENS1_25partition_config_selectorILNS1_17partition_subalgoE3EjNS0_10empty_typeEbEEZZNS1_14partition_implILS8_3ELb0ES6_jNS0_17counting_iteratorIjlEEPS9_SE_NS0_5tupleIJPjSE_EEENSF_IJSE_SE_EEES9_SG_JZNS1_25segmented_radix_sort_implINS0_14default_configELb1EPKsPsPKlPlN2at6native12_GLOBAL__N_18offset_tEEE10hipError_tPvRmT1_PNSt15iterator_traitsISY_E10value_typeET2_T3_PNSZ_IS14_E10value_typeET4_jRbjT5_S1A_jjP12ihipStream_tbEUljE_EEESV_SW_SX_S14_S18_S1A_T6_T7_T9_mT8_S1C_bDpT10_ENKUlT_T0_E_clISt17integral_constantIbLb1EES1O_IbLb0EEEEDaS1K_S1L_EUlS1K_E_NS1_11comp_targetILNS1_3genE0ELNS1_11target_archE4294967295ELNS1_3gpuE0ELNS1_3repE0EEENS1_30default_config_static_selectorELNS0_4arch9wavefront6targetE1EEEvSY_,comdat
	.globl	_ZN7rocprim17ROCPRIM_400000_NS6detail17trampoline_kernelINS0_13select_configILj256ELj13ELNS0_17block_load_methodE3ELS4_3ELS4_3ELNS0_20block_scan_algorithmE0ELj4294967295EEENS1_25partition_config_selectorILNS1_17partition_subalgoE3EjNS0_10empty_typeEbEEZZNS1_14partition_implILS8_3ELb0ES6_jNS0_17counting_iteratorIjlEEPS9_SE_NS0_5tupleIJPjSE_EEENSF_IJSE_SE_EEES9_SG_JZNS1_25segmented_radix_sort_implINS0_14default_configELb1EPKsPsPKlPlN2at6native12_GLOBAL__N_18offset_tEEE10hipError_tPvRmT1_PNSt15iterator_traitsISY_E10value_typeET2_T3_PNSZ_IS14_E10value_typeET4_jRbjT5_S1A_jjP12ihipStream_tbEUljE_EEESV_SW_SX_S14_S18_S1A_T6_T7_T9_mT8_S1C_bDpT10_ENKUlT_T0_E_clISt17integral_constantIbLb1EES1O_IbLb0EEEEDaS1K_S1L_EUlS1K_E_NS1_11comp_targetILNS1_3genE0ELNS1_11target_archE4294967295ELNS1_3gpuE0ELNS1_3repE0EEENS1_30default_config_static_selectorELNS0_4arch9wavefront6targetE1EEEvSY_ ; -- Begin function _ZN7rocprim17ROCPRIM_400000_NS6detail17trampoline_kernelINS0_13select_configILj256ELj13ELNS0_17block_load_methodE3ELS4_3ELS4_3ELNS0_20block_scan_algorithmE0ELj4294967295EEENS1_25partition_config_selectorILNS1_17partition_subalgoE3EjNS0_10empty_typeEbEEZZNS1_14partition_implILS8_3ELb0ES6_jNS0_17counting_iteratorIjlEEPS9_SE_NS0_5tupleIJPjSE_EEENSF_IJSE_SE_EEES9_SG_JZNS1_25segmented_radix_sort_implINS0_14default_configELb1EPKsPsPKlPlN2at6native12_GLOBAL__N_18offset_tEEE10hipError_tPvRmT1_PNSt15iterator_traitsISY_E10value_typeET2_T3_PNSZ_IS14_E10value_typeET4_jRbjT5_S1A_jjP12ihipStream_tbEUljE_EEESV_SW_SX_S14_S18_S1A_T6_T7_T9_mT8_S1C_bDpT10_ENKUlT_T0_E_clISt17integral_constantIbLb1EES1O_IbLb0EEEEDaS1K_S1L_EUlS1K_E_NS1_11comp_targetILNS1_3genE0ELNS1_11target_archE4294967295ELNS1_3gpuE0ELNS1_3repE0EEENS1_30default_config_static_selectorELNS0_4arch9wavefront6targetE1EEEvSY_
	.p2align	8
	.type	_ZN7rocprim17ROCPRIM_400000_NS6detail17trampoline_kernelINS0_13select_configILj256ELj13ELNS0_17block_load_methodE3ELS4_3ELS4_3ELNS0_20block_scan_algorithmE0ELj4294967295EEENS1_25partition_config_selectorILNS1_17partition_subalgoE3EjNS0_10empty_typeEbEEZZNS1_14partition_implILS8_3ELb0ES6_jNS0_17counting_iteratorIjlEEPS9_SE_NS0_5tupleIJPjSE_EEENSF_IJSE_SE_EEES9_SG_JZNS1_25segmented_radix_sort_implINS0_14default_configELb1EPKsPsPKlPlN2at6native12_GLOBAL__N_18offset_tEEE10hipError_tPvRmT1_PNSt15iterator_traitsISY_E10value_typeET2_T3_PNSZ_IS14_E10value_typeET4_jRbjT5_S1A_jjP12ihipStream_tbEUljE_EEESV_SW_SX_S14_S18_S1A_T6_T7_T9_mT8_S1C_bDpT10_ENKUlT_T0_E_clISt17integral_constantIbLb1EES1O_IbLb0EEEEDaS1K_S1L_EUlS1K_E_NS1_11comp_targetILNS1_3genE0ELNS1_11target_archE4294967295ELNS1_3gpuE0ELNS1_3repE0EEENS1_30default_config_static_selectorELNS0_4arch9wavefront6targetE1EEEvSY_,@function
_ZN7rocprim17ROCPRIM_400000_NS6detail17trampoline_kernelINS0_13select_configILj256ELj13ELNS0_17block_load_methodE3ELS4_3ELS4_3ELNS0_20block_scan_algorithmE0ELj4294967295EEENS1_25partition_config_selectorILNS1_17partition_subalgoE3EjNS0_10empty_typeEbEEZZNS1_14partition_implILS8_3ELb0ES6_jNS0_17counting_iteratorIjlEEPS9_SE_NS0_5tupleIJPjSE_EEENSF_IJSE_SE_EEES9_SG_JZNS1_25segmented_radix_sort_implINS0_14default_configELb1EPKsPsPKlPlN2at6native12_GLOBAL__N_18offset_tEEE10hipError_tPvRmT1_PNSt15iterator_traitsISY_E10value_typeET2_T3_PNSZ_IS14_E10value_typeET4_jRbjT5_S1A_jjP12ihipStream_tbEUljE_EEESV_SW_SX_S14_S18_S1A_T6_T7_T9_mT8_S1C_bDpT10_ENKUlT_T0_E_clISt17integral_constantIbLb1EES1O_IbLb0EEEEDaS1K_S1L_EUlS1K_E_NS1_11comp_targetILNS1_3genE0ELNS1_11target_archE4294967295ELNS1_3gpuE0ELNS1_3repE0EEENS1_30default_config_static_selectorELNS0_4arch9wavefront6targetE1EEEvSY_: ; @_ZN7rocprim17ROCPRIM_400000_NS6detail17trampoline_kernelINS0_13select_configILj256ELj13ELNS0_17block_load_methodE3ELS4_3ELS4_3ELNS0_20block_scan_algorithmE0ELj4294967295EEENS1_25partition_config_selectorILNS1_17partition_subalgoE3EjNS0_10empty_typeEbEEZZNS1_14partition_implILS8_3ELb0ES6_jNS0_17counting_iteratorIjlEEPS9_SE_NS0_5tupleIJPjSE_EEENSF_IJSE_SE_EEES9_SG_JZNS1_25segmented_radix_sort_implINS0_14default_configELb1EPKsPsPKlPlN2at6native12_GLOBAL__N_18offset_tEEE10hipError_tPvRmT1_PNSt15iterator_traitsISY_E10value_typeET2_T3_PNSZ_IS14_E10value_typeET4_jRbjT5_S1A_jjP12ihipStream_tbEUljE_EEESV_SW_SX_S14_S18_S1A_T6_T7_T9_mT8_S1C_bDpT10_ENKUlT_T0_E_clISt17integral_constantIbLb1EES1O_IbLb0EEEEDaS1K_S1L_EUlS1K_E_NS1_11comp_targetILNS1_3genE0ELNS1_11target_archE4294967295ELNS1_3gpuE0ELNS1_3repE0EEENS1_30default_config_static_selectorELNS0_4arch9wavefront6targetE1EEEvSY_
; %bb.0:
	.section	.rodata,"a",@progbits
	.p2align	6, 0x0
	.amdhsa_kernel _ZN7rocprim17ROCPRIM_400000_NS6detail17trampoline_kernelINS0_13select_configILj256ELj13ELNS0_17block_load_methodE3ELS4_3ELS4_3ELNS0_20block_scan_algorithmE0ELj4294967295EEENS1_25partition_config_selectorILNS1_17partition_subalgoE3EjNS0_10empty_typeEbEEZZNS1_14partition_implILS8_3ELb0ES6_jNS0_17counting_iteratorIjlEEPS9_SE_NS0_5tupleIJPjSE_EEENSF_IJSE_SE_EEES9_SG_JZNS1_25segmented_radix_sort_implINS0_14default_configELb1EPKsPsPKlPlN2at6native12_GLOBAL__N_18offset_tEEE10hipError_tPvRmT1_PNSt15iterator_traitsISY_E10value_typeET2_T3_PNSZ_IS14_E10value_typeET4_jRbjT5_S1A_jjP12ihipStream_tbEUljE_EEESV_SW_SX_S14_S18_S1A_T6_T7_T9_mT8_S1C_bDpT10_ENKUlT_T0_E_clISt17integral_constantIbLb1EES1O_IbLb0EEEEDaS1K_S1L_EUlS1K_E_NS1_11comp_targetILNS1_3genE0ELNS1_11target_archE4294967295ELNS1_3gpuE0ELNS1_3repE0EEENS1_30default_config_static_selectorELNS0_4arch9wavefront6targetE1EEEvSY_
		.amdhsa_group_segment_fixed_size 0
		.amdhsa_private_segment_fixed_size 0
		.amdhsa_kernarg_size 144
		.amdhsa_user_sgpr_count 6
		.amdhsa_user_sgpr_private_segment_buffer 1
		.amdhsa_user_sgpr_dispatch_ptr 0
		.amdhsa_user_sgpr_queue_ptr 0
		.amdhsa_user_sgpr_kernarg_segment_ptr 1
		.amdhsa_user_sgpr_dispatch_id 0
		.amdhsa_user_sgpr_flat_scratch_init 0
		.amdhsa_user_sgpr_kernarg_preload_length 0
		.amdhsa_user_sgpr_kernarg_preload_offset 0
		.amdhsa_user_sgpr_private_segment_size 0
		.amdhsa_uses_dynamic_stack 0
		.amdhsa_system_sgpr_private_segment_wavefront_offset 0
		.amdhsa_system_sgpr_workgroup_id_x 1
		.amdhsa_system_sgpr_workgroup_id_y 0
		.amdhsa_system_sgpr_workgroup_id_z 0
		.amdhsa_system_sgpr_workgroup_info 0
		.amdhsa_system_vgpr_workitem_id 0
		.amdhsa_next_free_vgpr 1
		.amdhsa_next_free_sgpr 0
		.amdhsa_accum_offset 4
		.amdhsa_reserve_vcc 0
		.amdhsa_reserve_flat_scratch 0
		.amdhsa_float_round_mode_32 0
		.amdhsa_float_round_mode_16_64 0
		.amdhsa_float_denorm_mode_32 3
		.amdhsa_float_denorm_mode_16_64 3
		.amdhsa_dx10_clamp 1
		.amdhsa_ieee_mode 1
		.amdhsa_fp16_overflow 0
		.amdhsa_tg_split 0
		.amdhsa_exception_fp_ieee_invalid_op 0
		.amdhsa_exception_fp_denorm_src 0
		.amdhsa_exception_fp_ieee_div_zero 0
		.amdhsa_exception_fp_ieee_overflow 0
		.amdhsa_exception_fp_ieee_underflow 0
		.amdhsa_exception_fp_ieee_inexact 0
		.amdhsa_exception_int_div_zero 0
	.end_amdhsa_kernel
	.section	.text._ZN7rocprim17ROCPRIM_400000_NS6detail17trampoline_kernelINS0_13select_configILj256ELj13ELNS0_17block_load_methodE3ELS4_3ELS4_3ELNS0_20block_scan_algorithmE0ELj4294967295EEENS1_25partition_config_selectorILNS1_17partition_subalgoE3EjNS0_10empty_typeEbEEZZNS1_14partition_implILS8_3ELb0ES6_jNS0_17counting_iteratorIjlEEPS9_SE_NS0_5tupleIJPjSE_EEENSF_IJSE_SE_EEES9_SG_JZNS1_25segmented_radix_sort_implINS0_14default_configELb1EPKsPsPKlPlN2at6native12_GLOBAL__N_18offset_tEEE10hipError_tPvRmT1_PNSt15iterator_traitsISY_E10value_typeET2_T3_PNSZ_IS14_E10value_typeET4_jRbjT5_S1A_jjP12ihipStream_tbEUljE_EEESV_SW_SX_S14_S18_S1A_T6_T7_T9_mT8_S1C_bDpT10_ENKUlT_T0_E_clISt17integral_constantIbLb1EES1O_IbLb0EEEEDaS1K_S1L_EUlS1K_E_NS1_11comp_targetILNS1_3genE0ELNS1_11target_archE4294967295ELNS1_3gpuE0ELNS1_3repE0EEENS1_30default_config_static_selectorELNS0_4arch9wavefront6targetE1EEEvSY_,"axG",@progbits,_ZN7rocprim17ROCPRIM_400000_NS6detail17trampoline_kernelINS0_13select_configILj256ELj13ELNS0_17block_load_methodE3ELS4_3ELS4_3ELNS0_20block_scan_algorithmE0ELj4294967295EEENS1_25partition_config_selectorILNS1_17partition_subalgoE3EjNS0_10empty_typeEbEEZZNS1_14partition_implILS8_3ELb0ES6_jNS0_17counting_iteratorIjlEEPS9_SE_NS0_5tupleIJPjSE_EEENSF_IJSE_SE_EEES9_SG_JZNS1_25segmented_radix_sort_implINS0_14default_configELb1EPKsPsPKlPlN2at6native12_GLOBAL__N_18offset_tEEE10hipError_tPvRmT1_PNSt15iterator_traitsISY_E10value_typeET2_T3_PNSZ_IS14_E10value_typeET4_jRbjT5_S1A_jjP12ihipStream_tbEUljE_EEESV_SW_SX_S14_S18_S1A_T6_T7_T9_mT8_S1C_bDpT10_ENKUlT_T0_E_clISt17integral_constantIbLb1EES1O_IbLb0EEEEDaS1K_S1L_EUlS1K_E_NS1_11comp_targetILNS1_3genE0ELNS1_11target_archE4294967295ELNS1_3gpuE0ELNS1_3repE0EEENS1_30default_config_static_selectorELNS0_4arch9wavefront6targetE1EEEvSY_,comdat
.Lfunc_end895:
	.size	_ZN7rocprim17ROCPRIM_400000_NS6detail17trampoline_kernelINS0_13select_configILj256ELj13ELNS0_17block_load_methodE3ELS4_3ELS4_3ELNS0_20block_scan_algorithmE0ELj4294967295EEENS1_25partition_config_selectorILNS1_17partition_subalgoE3EjNS0_10empty_typeEbEEZZNS1_14partition_implILS8_3ELb0ES6_jNS0_17counting_iteratorIjlEEPS9_SE_NS0_5tupleIJPjSE_EEENSF_IJSE_SE_EEES9_SG_JZNS1_25segmented_radix_sort_implINS0_14default_configELb1EPKsPsPKlPlN2at6native12_GLOBAL__N_18offset_tEEE10hipError_tPvRmT1_PNSt15iterator_traitsISY_E10value_typeET2_T3_PNSZ_IS14_E10value_typeET4_jRbjT5_S1A_jjP12ihipStream_tbEUljE_EEESV_SW_SX_S14_S18_S1A_T6_T7_T9_mT8_S1C_bDpT10_ENKUlT_T0_E_clISt17integral_constantIbLb1EES1O_IbLb0EEEEDaS1K_S1L_EUlS1K_E_NS1_11comp_targetILNS1_3genE0ELNS1_11target_archE4294967295ELNS1_3gpuE0ELNS1_3repE0EEENS1_30default_config_static_selectorELNS0_4arch9wavefront6targetE1EEEvSY_, .Lfunc_end895-_ZN7rocprim17ROCPRIM_400000_NS6detail17trampoline_kernelINS0_13select_configILj256ELj13ELNS0_17block_load_methodE3ELS4_3ELS4_3ELNS0_20block_scan_algorithmE0ELj4294967295EEENS1_25partition_config_selectorILNS1_17partition_subalgoE3EjNS0_10empty_typeEbEEZZNS1_14partition_implILS8_3ELb0ES6_jNS0_17counting_iteratorIjlEEPS9_SE_NS0_5tupleIJPjSE_EEENSF_IJSE_SE_EEES9_SG_JZNS1_25segmented_radix_sort_implINS0_14default_configELb1EPKsPsPKlPlN2at6native12_GLOBAL__N_18offset_tEEE10hipError_tPvRmT1_PNSt15iterator_traitsISY_E10value_typeET2_T3_PNSZ_IS14_E10value_typeET4_jRbjT5_S1A_jjP12ihipStream_tbEUljE_EEESV_SW_SX_S14_S18_S1A_T6_T7_T9_mT8_S1C_bDpT10_ENKUlT_T0_E_clISt17integral_constantIbLb1EES1O_IbLb0EEEEDaS1K_S1L_EUlS1K_E_NS1_11comp_targetILNS1_3genE0ELNS1_11target_archE4294967295ELNS1_3gpuE0ELNS1_3repE0EEENS1_30default_config_static_selectorELNS0_4arch9wavefront6targetE1EEEvSY_
                                        ; -- End function
	.section	.AMDGPU.csdata,"",@progbits
; Kernel info:
; codeLenInByte = 0
; NumSgprs: 4
; NumVgprs: 0
; NumAgprs: 0
; TotalNumVgprs: 0
; ScratchSize: 0
; MemoryBound: 0
; FloatMode: 240
; IeeeMode: 1
; LDSByteSize: 0 bytes/workgroup (compile time only)
; SGPRBlocks: 0
; VGPRBlocks: 0
; NumSGPRsForWavesPerEU: 4
; NumVGPRsForWavesPerEU: 1
; AccumOffset: 4
; Occupancy: 8
; WaveLimiterHint : 0
; COMPUTE_PGM_RSRC2:SCRATCH_EN: 0
; COMPUTE_PGM_RSRC2:USER_SGPR: 6
; COMPUTE_PGM_RSRC2:TRAP_HANDLER: 0
; COMPUTE_PGM_RSRC2:TGID_X_EN: 1
; COMPUTE_PGM_RSRC2:TGID_Y_EN: 0
; COMPUTE_PGM_RSRC2:TGID_Z_EN: 0
; COMPUTE_PGM_RSRC2:TIDIG_COMP_CNT: 0
; COMPUTE_PGM_RSRC3_GFX90A:ACCUM_OFFSET: 0
; COMPUTE_PGM_RSRC3_GFX90A:TG_SPLIT: 0
	.section	.text._ZN7rocprim17ROCPRIM_400000_NS6detail17trampoline_kernelINS0_13select_configILj256ELj13ELNS0_17block_load_methodE3ELS4_3ELS4_3ELNS0_20block_scan_algorithmE0ELj4294967295EEENS1_25partition_config_selectorILNS1_17partition_subalgoE3EjNS0_10empty_typeEbEEZZNS1_14partition_implILS8_3ELb0ES6_jNS0_17counting_iteratorIjlEEPS9_SE_NS0_5tupleIJPjSE_EEENSF_IJSE_SE_EEES9_SG_JZNS1_25segmented_radix_sort_implINS0_14default_configELb1EPKsPsPKlPlN2at6native12_GLOBAL__N_18offset_tEEE10hipError_tPvRmT1_PNSt15iterator_traitsISY_E10value_typeET2_T3_PNSZ_IS14_E10value_typeET4_jRbjT5_S1A_jjP12ihipStream_tbEUljE_EEESV_SW_SX_S14_S18_S1A_T6_T7_T9_mT8_S1C_bDpT10_ENKUlT_T0_E_clISt17integral_constantIbLb1EES1O_IbLb0EEEEDaS1K_S1L_EUlS1K_E_NS1_11comp_targetILNS1_3genE5ELNS1_11target_archE942ELNS1_3gpuE9ELNS1_3repE0EEENS1_30default_config_static_selectorELNS0_4arch9wavefront6targetE1EEEvSY_,"axG",@progbits,_ZN7rocprim17ROCPRIM_400000_NS6detail17trampoline_kernelINS0_13select_configILj256ELj13ELNS0_17block_load_methodE3ELS4_3ELS4_3ELNS0_20block_scan_algorithmE0ELj4294967295EEENS1_25partition_config_selectorILNS1_17partition_subalgoE3EjNS0_10empty_typeEbEEZZNS1_14partition_implILS8_3ELb0ES6_jNS0_17counting_iteratorIjlEEPS9_SE_NS0_5tupleIJPjSE_EEENSF_IJSE_SE_EEES9_SG_JZNS1_25segmented_radix_sort_implINS0_14default_configELb1EPKsPsPKlPlN2at6native12_GLOBAL__N_18offset_tEEE10hipError_tPvRmT1_PNSt15iterator_traitsISY_E10value_typeET2_T3_PNSZ_IS14_E10value_typeET4_jRbjT5_S1A_jjP12ihipStream_tbEUljE_EEESV_SW_SX_S14_S18_S1A_T6_T7_T9_mT8_S1C_bDpT10_ENKUlT_T0_E_clISt17integral_constantIbLb1EES1O_IbLb0EEEEDaS1K_S1L_EUlS1K_E_NS1_11comp_targetILNS1_3genE5ELNS1_11target_archE942ELNS1_3gpuE9ELNS1_3repE0EEENS1_30default_config_static_selectorELNS0_4arch9wavefront6targetE1EEEvSY_,comdat
	.globl	_ZN7rocprim17ROCPRIM_400000_NS6detail17trampoline_kernelINS0_13select_configILj256ELj13ELNS0_17block_load_methodE3ELS4_3ELS4_3ELNS0_20block_scan_algorithmE0ELj4294967295EEENS1_25partition_config_selectorILNS1_17partition_subalgoE3EjNS0_10empty_typeEbEEZZNS1_14partition_implILS8_3ELb0ES6_jNS0_17counting_iteratorIjlEEPS9_SE_NS0_5tupleIJPjSE_EEENSF_IJSE_SE_EEES9_SG_JZNS1_25segmented_radix_sort_implINS0_14default_configELb1EPKsPsPKlPlN2at6native12_GLOBAL__N_18offset_tEEE10hipError_tPvRmT1_PNSt15iterator_traitsISY_E10value_typeET2_T3_PNSZ_IS14_E10value_typeET4_jRbjT5_S1A_jjP12ihipStream_tbEUljE_EEESV_SW_SX_S14_S18_S1A_T6_T7_T9_mT8_S1C_bDpT10_ENKUlT_T0_E_clISt17integral_constantIbLb1EES1O_IbLb0EEEEDaS1K_S1L_EUlS1K_E_NS1_11comp_targetILNS1_3genE5ELNS1_11target_archE942ELNS1_3gpuE9ELNS1_3repE0EEENS1_30default_config_static_selectorELNS0_4arch9wavefront6targetE1EEEvSY_ ; -- Begin function _ZN7rocprim17ROCPRIM_400000_NS6detail17trampoline_kernelINS0_13select_configILj256ELj13ELNS0_17block_load_methodE3ELS4_3ELS4_3ELNS0_20block_scan_algorithmE0ELj4294967295EEENS1_25partition_config_selectorILNS1_17partition_subalgoE3EjNS0_10empty_typeEbEEZZNS1_14partition_implILS8_3ELb0ES6_jNS0_17counting_iteratorIjlEEPS9_SE_NS0_5tupleIJPjSE_EEENSF_IJSE_SE_EEES9_SG_JZNS1_25segmented_radix_sort_implINS0_14default_configELb1EPKsPsPKlPlN2at6native12_GLOBAL__N_18offset_tEEE10hipError_tPvRmT1_PNSt15iterator_traitsISY_E10value_typeET2_T3_PNSZ_IS14_E10value_typeET4_jRbjT5_S1A_jjP12ihipStream_tbEUljE_EEESV_SW_SX_S14_S18_S1A_T6_T7_T9_mT8_S1C_bDpT10_ENKUlT_T0_E_clISt17integral_constantIbLb1EES1O_IbLb0EEEEDaS1K_S1L_EUlS1K_E_NS1_11comp_targetILNS1_3genE5ELNS1_11target_archE942ELNS1_3gpuE9ELNS1_3repE0EEENS1_30default_config_static_selectorELNS0_4arch9wavefront6targetE1EEEvSY_
	.p2align	8
	.type	_ZN7rocprim17ROCPRIM_400000_NS6detail17trampoline_kernelINS0_13select_configILj256ELj13ELNS0_17block_load_methodE3ELS4_3ELS4_3ELNS0_20block_scan_algorithmE0ELj4294967295EEENS1_25partition_config_selectorILNS1_17partition_subalgoE3EjNS0_10empty_typeEbEEZZNS1_14partition_implILS8_3ELb0ES6_jNS0_17counting_iteratorIjlEEPS9_SE_NS0_5tupleIJPjSE_EEENSF_IJSE_SE_EEES9_SG_JZNS1_25segmented_radix_sort_implINS0_14default_configELb1EPKsPsPKlPlN2at6native12_GLOBAL__N_18offset_tEEE10hipError_tPvRmT1_PNSt15iterator_traitsISY_E10value_typeET2_T3_PNSZ_IS14_E10value_typeET4_jRbjT5_S1A_jjP12ihipStream_tbEUljE_EEESV_SW_SX_S14_S18_S1A_T6_T7_T9_mT8_S1C_bDpT10_ENKUlT_T0_E_clISt17integral_constantIbLb1EES1O_IbLb0EEEEDaS1K_S1L_EUlS1K_E_NS1_11comp_targetILNS1_3genE5ELNS1_11target_archE942ELNS1_3gpuE9ELNS1_3repE0EEENS1_30default_config_static_selectorELNS0_4arch9wavefront6targetE1EEEvSY_,@function
_ZN7rocprim17ROCPRIM_400000_NS6detail17trampoline_kernelINS0_13select_configILj256ELj13ELNS0_17block_load_methodE3ELS4_3ELS4_3ELNS0_20block_scan_algorithmE0ELj4294967295EEENS1_25partition_config_selectorILNS1_17partition_subalgoE3EjNS0_10empty_typeEbEEZZNS1_14partition_implILS8_3ELb0ES6_jNS0_17counting_iteratorIjlEEPS9_SE_NS0_5tupleIJPjSE_EEENSF_IJSE_SE_EEES9_SG_JZNS1_25segmented_radix_sort_implINS0_14default_configELb1EPKsPsPKlPlN2at6native12_GLOBAL__N_18offset_tEEE10hipError_tPvRmT1_PNSt15iterator_traitsISY_E10value_typeET2_T3_PNSZ_IS14_E10value_typeET4_jRbjT5_S1A_jjP12ihipStream_tbEUljE_EEESV_SW_SX_S14_S18_S1A_T6_T7_T9_mT8_S1C_bDpT10_ENKUlT_T0_E_clISt17integral_constantIbLb1EES1O_IbLb0EEEEDaS1K_S1L_EUlS1K_E_NS1_11comp_targetILNS1_3genE5ELNS1_11target_archE942ELNS1_3gpuE9ELNS1_3repE0EEENS1_30default_config_static_selectorELNS0_4arch9wavefront6targetE1EEEvSY_: ; @_ZN7rocprim17ROCPRIM_400000_NS6detail17trampoline_kernelINS0_13select_configILj256ELj13ELNS0_17block_load_methodE3ELS4_3ELS4_3ELNS0_20block_scan_algorithmE0ELj4294967295EEENS1_25partition_config_selectorILNS1_17partition_subalgoE3EjNS0_10empty_typeEbEEZZNS1_14partition_implILS8_3ELb0ES6_jNS0_17counting_iteratorIjlEEPS9_SE_NS0_5tupleIJPjSE_EEENSF_IJSE_SE_EEES9_SG_JZNS1_25segmented_radix_sort_implINS0_14default_configELb1EPKsPsPKlPlN2at6native12_GLOBAL__N_18offset_tEEE10hipError_tPvRmT1_PNSt15iterator_traitsISY_E10value_typeET2_T3_PNSZ_IS14_E10value_typeET4_jRbjT5_S1A_jjP12ihipStream_tbEUljE_EEESV_SW_SX_S14_S18_S1A_T6_T7_T9_mT8_S1C_bDpT10_ENKUlT_T0_E_clISt17integral_constantIbLb1EES1O_IbLb0EEEEDaS1K_S1L_EUlS1K_E_NS1_11comp_targetILNS1_3genE5ELNS1_11target_archE942ELNS1_3gpuE9ELNS1_3repE0EEENS1_30default_config_static_selectorELNS0_4arch9wavefront6targetE1EEEvSY_
; %bb.0:
	.section	.rodata,"a",@progbits
	.p2align	6, 0x0
	.amdhsa_kernel _ZN7rocprim17ROCPRIM_400000_NS6detail17trampoline_kernelINS0_13select_configILj256ELj13ELNS0_17block_load_methodE3ELS4_3ELS4_3ELNS0_20block_scan_algorithmE0ELj4294967295EEENS1_25partition_config_selectorILNS1_17partition_subalgoE3EjNS0_10empty_typeEbEEZZNS1_14partition_implILS8_3ELb0ES6_jNS0_17counting_iteratorIjlEEPS9_SE_NS0_5tupleIJPjSE_EEENSF_IJSE_SE_EEES9_SG_JZNS1_25segmented_radix_sort_implINS0_14default_configELb1EPKsPsPKlPlN2at6native12_GLOBAL__N_18offset_tEEE10hipError_tPvRmT1_PNSt15iterator_traitsISY_E10value_typeET2_T3_PNSZ_IS14_E10value_typeET4_jRbjT5_S1A_jjP12ihipStream_tbEUljE_EEESV_SW_SX_S14_S18_S1A_T6_T7_T9_mT8_S1C_bDpT10_ENKUlT_T0_E_clISt17integral_constantIbLb1EES1O_IbLb0EEEEDaS1K_S1L_EUlS1K_E_NS1_11comp_targetILNS1_3genE5ELNS1_11target_archE942ELNS1_3gpuE9ELNS1_3repE0EEENS1_30default_config_static_selectorELNS0_4arch9wavefront6targetE1EEEvSY_
		.amdhsa_group_segment_fixed_size 0
		.amdhsa_private_segment_fixed_size 0
		.amdhsa_kernarg_size 144
		.amdhsa_user_sgpr_count 6
		.amdhsa_user_sgpr_private_segment_buffer 1
		.amdhsa_user_sgpr_dispatch_ptr 0
		.amdhsa_user_sgpr_queue_ptr 0
		.amdhsa_user_sgpr_kernarg_segment_ptr 1
		.amdhsa_user_sgpr_dispatch_id 0
		.amdhsa_user_sgpr_flat_scratch_init 0
		.amdhsa_user_sgpr_kernarg_preload_length 0
		.amdhsa_user_sgpr_kernarg_preload_offset 0
		.amdhsa_user_sgpr_private_segment_size 0
		.amdhsa_uses_dynamic_stack 0
		.amdhsa_system_sgpr_private_segment_wavefront_offset 0
		.amdhsa_system_sgpr_workgroup_id_x 1
		.amdhsa_system_sgpr_workgroup_id_y 0
		.amdhsa_system_sgpr_workgroup_id_z 0
		.amdhsa_system_sgpr_workgroup_info 0
		.amdhsa_system_vgpr_workitem_id 0
		.amdhsa_next_free_vgpr 1
		.amdhsa_next_free_sgpr 0
		.amdhsa_accum_offset 4
		.amdhsa_reserve_vcc 0
		.amdhsa_reserve_flat_scratch 0
		.amdhsa_float_round_mode_32 0
		.amdhsa_float_round_mode_16_64 0
		.amdhsa_float_denorm_mode_32 3
		.amdhsa_float_denorm_mode_16_64 3
		.amdhsa_dx10_clamp 1
		.amdhsa_ieee_mode 1
		.amdhsa_fp16_overflow 0
		.amdhsa_tg_split 0
		.amdhsa_exception_fp_ieee_invalid_op 0
		.amdhsa_exception_fp_denorm_src 0
		.amdhsa_exception_fp_ieee_div_zero 0
		.amdhsa_exception_fp_ieee_overflow 0
		.amdhsa_exception_fp_ieee_underflow 0
		.amdhsa_exception_fp_ieee_inexact 0
		.amdhsa_exception_int_div_zero 0
	.end_amdhsa_kernel
	.section	.text._ZN7rocprim17ROCPRIM_400000_NS6detail17trampoline_kernelINS0_13select_configILj256ELj13ELNS0_17block_load_methodE3ELS4_3ELS4_3ELNS0_20block_scan_algorithmE0ELj4294967295EEENS1_25partition_config_selectorILNS1_17partition_subalgoE3EjNS0_10empty_typeEbEEZZNS1_14partition_implILS8_3ELb0ES6_jNS0_17counting_iteratorIjlEEPS9_SE_NS0_5tupleIJPjSE_EEENSF_IJSE_SE_EEES9_SG_JZNS1_25segmented_radix_sort_implINS0_14default_configELb1EPKsPsPKlPlN2at6native12_GLOBAL__N_18offset_tEEE10hipError_tPvRmT1_PNSt15iterator_traitsISY_E10value_typeET2_T3_PNSZ_IS14_E10value_typeET4_jRbjT5_S1A_jjP12ihipStream_tbEUljE_EEESV_SW_SX_S14_S18_S1A_T6_T7_T9_mT8_S1C_bDpT10_ENKUlT_T0_E_clISt17integral_constantIbLb1EES1O_IbLb0EEEEDaS1K_S1L_EUlS1K_E_NS1_11comp_targetILNS1_3genE5ELNS1_11target_archE942ELNS1_3gpuE9ELNS1_3repE0EEENS1_30default_config_static_selectorELNS0_4arch9wavefront6targetE1EEEvSY_,"axG",@progbits,_ZN7rocprim17ROCPRIM_400000_NS6detail17trampoline_kernelINS0_13select_configILj256ELj13ELNS0_17block_load_methodE3ELS4_3ELS4_3ELNS0_20block_scan_algorithmE0ELj4294967295EEENS1_25partition_config_selectorILNS1_17partition_subalgoE3EjNS0_10empty_typeEbEEZZNS1_14partition_implILS8_3ELb0ES6_jNS0_17counting_iteratorIjlEEPS9_SE_NS0_5tupleIJPjSE_EEENSF_IJSE_SE_EEES9_SG_JZNS1_25segmented_radix_sort_implINS0_14default_configELb1EPKsPsPKlPlN2at6native12_GLOBAL__N_18offset_tEEE10hipError_tPvRmT1_PNSt15iterator_traitsISY_E10value_typeET2_T3_PNSZ_IS14_E10value_typeET4_jRbjT5_S1A_jjP12ihipStream_tbEUljE_EEESV_SW_SX_S14_S18_S1A_T6_T7_T9_mT8_S1C_bDpT10_ENKUlT_T0_E_clISt17integral_constantIbLb1EES1O_IbLb0EEEEDaS1K_S1L_EUlS1K_E_NS1_11comp_targetILNS1_3genE5ELNS1_11target_archE942ELNS1_3gpuE9ELNS1_3repE0EEENS1_30default_config_static_selectorELNS0_4arch9wavefront6targetE1EEEvSY_,comdat
.Lfunc_end896:
	.size	_ZN7rocprim17ROCPRIM_400000_NS6detail17trampoline_kernelINS0_13select_configILj256ELj13ELNS0_17block_load_methodE3ELS4_3ELS4_3ELNS0_20block_scan_algorithmE0ELj4294967295EEENS1_25partition_config_selectorILNS1_17partition_subalgoE3EjNS0_10empty_typeEbEEZZNS1_14partition_implILS8_3ELb0ES6_jNS0_17counting_iteratorIjlEEPS9_SE_NS0_5tupleIJPjSE_EEENSF_IJSE_SE_EEES9_SG_JZNS1_25segmented_radix_sort_implINS0_14default_configELb1EPKsPsPKlPlN2at6native12_GLOBAL__N_18offset_tEEE10hipError_tPvRmT1_PNSt15iterator_traitsISY_E10value_typeET2_T3_PNSZ_IS14_E10value_typeET4_jRbjT5_S1A_jjP12ihipStream_tbEUljE_EEESV_SW_SX_S14_S18_S1A_T6_T7_T9_mT8_S1C_bDpT10_ENKUlT_T0_E_clISt17integral_constantIbLb1EES1O_IbLb0EEEEDaS1K_S1L_EUlS1K_E_NS1_11comp_targetILNS1_3genE5ELNS1_11target_archE942ELNS1_3gpuE9ELNS1_3repE0EEENS1_30default_config_static_selectorELNS0_4arch9wavefront6targetE1EEEvSY_, .Lfunc_end896-_ZN7rocprim17ROCPRIM_400000_NS6detail17trampoline_kernelINS0_13select_configILj256ELj13ELNS0_17block_load_methodE3ELS4_3ELS4_3ELNS0_20block_scan_algorithmE0ELj4294967295EEENS1_25partition_config_selectorILNS1_17partition_subalgoE3EjNS0_10empty_typeEbEEZZNS1_14partition_implILS8_3ELb0ES6_jNS0_17counting_iteratorIjlEEPS9_SE_NS0_5tupleIJPjSE_EEENSF_IJSE_SE_EEES9_SG_JZNS1_25segmented_radix_sort_implINS0_14default_configELb1EPKsPsPKlPlN2at6native12_GLOBAL__N_18offset_tEEE10hipError_tPvRmT1_PNSt15iterator_traitsISY_E10value_typeET2_T3_PNSZ_IS14_E10value_typeET4_jRbjT5_S1A_jjP12ihipStream_tbEUljE_EEESV_SW_SX_S14_S18_S1A_T6_T7_T9_mT8_S1C_bDpT10_ENKUlT_T0_E_clISt17integral_constantIbLb1EES1O_IbLb0EEEEDaS1K_S1L_EUlS1K_E_NS1_11comp_targetILNS1_3genE5ELNS1_11target_archE942ELNS1_3gpuE9ELNS1_3repE0EEENS1_30default_config_static_selectorELNS0_4arch9wavefront6targetE1EEEvSY_
                                        ; -- End function
	.section	.AMDGPU.csdata,"",@progbits
; Kernel info:
; codeLenInByte = 0
; NumSgprs: 4
; NumVgprs: 0
; NumAgprs: 0
; TotalNumVgprs: 0
; ScratchSize: 0
; MemoryBound: 0
; FloatMode: 240
; IeeeMode: 1
; LDSByteSize: 0 bytes/workgroup (compile time only)
; SGPRBlocks: 0
; VGPRBlocks: 0
; NumSGPRsForWavesPerEU: 4
; NumVGPRsForWavesPerEU: 1
; AccumOffset: 4
; Occupancy: 8
; WaveLimiterHint : 0
; COMPUTE_PGM_RSRC2:SCRATCH_EN: 0
; COMPUTE_PGM_RSRC2:USER_SGPR: 6
; COMPUTE_PGM_RSRC2:TRAP_HANDLER: 0
; COMPUTE_PGM_RSRC2:TGID_X_EN: 1
; COMPUTE_PGM_RSRC2:TGID_Y_EN: 0
; COMPUTE_PGM_RSRC2:TGID_Z_EN: 0
; COMPUTE_PGM_RSRC2:TIDIG_COMP_CNT: 0
; COMPUTE_PGM_RSRC3_GFX90A:ACCUM_OFFSET: 0
; COMPUTE_PGM_RSRC3_GFX90A:TG_SPLIT: 0
	.section	.text._ZN7rocprim17ROCPRIM_400000_NS6detail17trampoline_kernelINS0_13select_configILj256ELj13ELNS0_17block_load_methodE3ELS4_3ELS4_3ELNS0_20block_scan_algorithmE0ELj4294967295EEENS1_25partition_config_selectorILNS1_17partition_subalgoE3EjNS0_10empty_typeEbEEZZNS1_14partition_implILS8_3ELb0ES6_jNS0_17counting_iteratorIjlEEPS9_SE_NS0_5tupleIJPjSE_EEENSF_IJSE_SE_EEES9_SG_JZNS1_25segmented_radix_sort_implINS0_14default_configELb1EPKsPsPKlPlN2at6native12_GLOBAL__N_18offset_tEEE10hipError_tPvRmT1_PNSt15iterator_traitsISY_E10value_typeET2_T3_PNSZ_IS14_E10value_typeET4_jRbjT5_S1A_jjP12ihipStream_tbEUljE_EEESV_SW_SX_S14_S18_S1A_T6_T7_T9_mT8_S1C_bDpT10_ENKUlT_T0_E_clISt17integral_constantIbLb1EES1O_IbLb0EEEEDaS1K_S1L_EUlS1K_E_NS1_11comp_targetILNS1_3genE4ELNS1_11target_archE910ELNS1_3gpuE8ELNS1_3repE0EEENS1_30default_config_static_selectorELNS0_4arch9wavefront6targetE1EEEvSY_,"axG",@progbits,_ZN7rocprim17ROCPRIM_400000_NS6detail17trampoline_kernelINS0_13select_configILj256ELj13ELNS0_17block_load_methodE3ELS4_3ELS4_3ELNS0_20block_scan_algorithmE0ELj4294967295EEENS1_25partition_config_selectorILNS1_17partition_subalgoE3EjNS0_10empty_typeEbEEZZNS1_14partition_implILS8_3ELb0ES6_jNS0_17counting_iteratorIjlEEPS9_SE_NS0_5tupleIJPjSE_EEENSF_IJSE_SE_EEES9_SG_JZNS1_25segmented_radix_sort_implINS0_14default_configELb1EPKsPsPKlPlN2at6native12_GLOBAL__N_18offset_tEEE10hipError_tPvRmT1_PNSt15iterator_traitsISY_E10value_typeET2_T3_PNSZ_IS14_E10value_typeET4_jRbjT5_S1A_jjP12ihipStream_tbEUljE_EEESV_SW_SX_S14_S18_S1A_T6_T7_T9_mT8_S1C_bDpT10_ENKUlT_T0_E_clISt17integral_constantIbLb1EES1O_IbLb0EEEEDaS1K_S1L_EUlS1K_E_NS1_11comp_targetILNS1_3genE4ELNS1_11target_archE910ELNS1_3gpuE8ELNS1_3repE0EEENS1_30default_config_static_selectorELNS0_4arch9wavefront6targetE1EEEvSY_,comdat
	.globl	_ZN7rocprim17ROCPRIM_400000_NS6detail17trampoline_kernelINS0_13select_configILj256ELj13ELNS0_17block_load_methodE3ELS4_3ELS4_3ELNS0_20block_scan_algorithmE0ELj4294967295EEENS1_25partition_config_selectorILNS1_17partition_subalgoE3EjNS0_10empty_typeEbEEZZNS1_14partition_implILS8_3ELb0ES6_jNS0_17counting_iteratorIjlEEPS9_SE_NS0_5tupleIJPjSE_EEENSF_IJSE_SE_EEES9_SG_JZNS1_25segmented_radix_sort_implINS0_14default_configELb1EPKsPsPKlPlN2at6native12_GLOBAL__N_18offset_tEEE10hipError_tPvRmT1_PNSt15iterator_traitsISY_E10value_typeET2_T3_PNSZ_IS14_E10value_typeET4_jRbjT5_S1A_jjP12ihipStream_tbEUljE_EEESV_SW_SX_S14_S18_S1A_T6_T7_T9_mT8_S1C_bDpT10_ENKUlT_T0_E_clISt17integral_constantIbLb1EES1O_IbLb0EEEEDaS1K_S1L_EUlS1K_E_NS1_11comp_targetILNS1_3genE4ELNS1_11target_archE910ELNS1_3gpuE8ELNS1_3repE0EEENS1_30default_config_static_selectorELNS0_4arch9wavefront6targetE1EEEvSY_ ; -- Begin function _ZN7rocprim17ROCPRIM_400000_NS6detail17trampoline_kernelINS0_13select_configILj256ELj13ELNS0_17block_load_methodE3ELS4_3ELS4_3ELNS0_20block_scan_algorithmE0ELj4294967295EEENS1_25partition_config_selectorILNS1_17partition_subalgoE3EjNS0_10empty_typeEbEEZZNS1_14partition_implILS8_3ELb0ES6_jNS0_17counting_iteratorIjlEEPS9_SE_NS0_5tupleIJPjSE_EEENSF_IJSE_SE_EEES9_SG_JZNS1_25segmented_radix_sort_implINS0_14default_configELb1EPKsPsPKlPlN2at6native12_GLOBAL__N_18offset_tEEE10hipError_tPvRmT1_PNSt15iterator_traitsISY_E10value_typeET2_T3_PNSZ_IS14_E10value_typeET4_jRbjT5_S1A_jjP12ihipStream_tbEUljE_EEESV_SW_SX_S14_S18_S1A_T6_T7_T9_mT8_S1C_bDpT10_ENKUlT_T0_E_clISt17integral_constantIbLb1EES1O_IbLb0EEEEDaS1K_S1L_EUlS1K_E_NS1_11comp_targetILNS1_3genE4ELNS1_11target_archE910ELNS1_3gpuE8ELNS1_3repE0EEENS1_30default_config_static_selectorELNS0_4arch9wavefront6targetE1EEEvSY_
	.p2align	8
	.type	_ZN7rocprim17ROCPRIM_400000_NS6detail17trampoline_kernelINS0_13select_configILj256ELj13ELNS0_17block_load_methodE3ELS4_3ELS4_3ELNS0_20block_scan_algorithmE0ELj4294967295EEENS1_25partition_config_selectorILNS1_17partition_subalgoE3EjNS0_10empty_typeEbEEZZNS1_14partition_implILS8_3ELb0ES6_jNS0_17counting_iteratorIjlEEPS9_SE_NS0_5tupleIJPjSE_EEENSF_IJSE_SE_EEES9_SG_JZNS1_25segmented_radix_sort_implINS0_14default_configELb1EPKsPsPKlPlN2at6native12_GLOBAL__N_18offset_tEEE10hipError_tPvRmT1_PNSt15iterator_traitsISY_E10value_typeET2_T3_PNSZ_IS14_E10value_typeET4_jRbjT5_S1A_jjP12ihipStream_tbEUljE_EEESV_SW_SX_S14_S18_S1A_T6_T7_T9_mT8_S1C_bDpT10_ENKUlT_T0_E_clISt17integral_constantIbLb1EES1O_IbLb0EEEEDaS1K_S1L_EUlS1K_E_NS1_11comp_targetILNS1_3genE4ELNS1_11target_archE910ELNS1_3gpuE8ELNS1_3repE0EEENS1_30default_config_static_selectorELNS0_4arch9wavefront6targetE1EEEvSY_,@function
_ZN7rocprim17ROCPRIM_400000_NS6detail17trampoline_kernelINS0_13select_configILj256ELj13ELNS0_17block_load_methodE3ELS4_3ELS4_3ELNS0_20block_scan_algorithmE0ELj4294967295EEENS1_25partition_config_selectorILNS1_17partition_subalgoE3EjNS0_10empty_typeEbEEZZNS1_14partition_implILS8_3ELb0ES6_jNS0_17counting_iteratorIjlEEPS9_SE_NS0_5tupleIJPjSE_EEENSF_IJSE_SE_EEES9_SG_JZNS1_25segmented_radix_sort_implINS0_14default_configELb1EPKsPsPKlPlN2at6native12_GLOBAL__N_18offset_tEEE10hipError_tPvRmT1_PNSt15iterator_traitsISY_E10value_typeET2_T3_PNSZ_IS14_E10value_typeET4_jRbjT5_S1A_jjP12ihipStream_tbEUljE_EEESV_SW_SX_S14_S18_S1A_T6_T7_T9_mT8_S1C_bDpT10_ENKUlT_T0_E_clISt17integral_constantIbLb1EES1O_IbLb0EEEEDaS1K_S1L_EUlS1K_E_NS1_11comp_targetILNS1_3genE4ELNS1_11target_archE910ELNS1_3gpuE8ELNS1_3repE0EEENS1_30default_config_static_selectorELNS0_4arch9wavefront6targetE1EEEvSY_: ; @_ZN7rocprim17ROCPRIM_400000_NS6detail17trampoline_kernelINS0_13select_configILj256ELj13ELNS0_17block_load_methodE3ELS4_3ELS4_3ELNS0_20block_scan_algorithmE0ELj4294967295EEENS1_25partition_config_selectorILNS1_17partition_subalgoE3EjNS0_10empty_typeEbEEZZNS1_14partition_implILS8_3ELb0ES6_jNS0_17counting_iteratorIjlEEPS9_SE_NS0_5tupleIJPjSE_EEENSF_IJSE_SE_EEES9_SG_JZNS1_25segmented_radix_sort_implINS0_14default_configELb1EPKsPsPKlPlN2at6native12_GLOBAL__N_18offset_tEEE10hipError_tPvRmT1_PNSt15iterator_traitsISY_E10value_typeET2_T3_PNSZ_IS14_E10value_typeET4_jRbjT5_S1A_jjP12ihipStream_tbEUljE_EEESV_SW_SX_S14_S18_S1A_T6_T7_T9_mT8_S1C_bDpT10_ENKUlT_T0_E_clISt17integral_constantIbLb1EES1O_IbLb0EEEEDaS1K_S1L_EUlS1K_E_NS1_11comp_targetILNS1_3genE4ELNS1_11target_archE910ELNS1_3gpuE8ELNS1_3repE0EEENS1_30default_config_static_selectorELNS0_4arch9wavefront6targetE1EEEvSY_
; %bb.0:
	s_load_dwordx2 s[26:27], s[4:5], 0x58
	s_load_dwordx4 s[20:23], s[4:5], 0x48
	s_load_dword s13, s[4:5], 0x8
	s_load_dwordx2 s[28:29], s[4:5], 0x10
	s_load_dword s12, s[4:5], 0x70
	s_load_dword s7, s[4:5], 0x88
	s_load_dwordx4 s[8:11], s[4:5], 0x78
	s_waitcnt lgkmcnt(0)
	s_load_dwordx2 s[30:31], s[22:23], 0x0
	v_pk_mov_b32 v[2:3], s[26:27], s[26:27] op_sel:[0,1]
	s_add_i32 s2, s12, -1
	s_mulk_i32 s12, 0xd00
	s_add_u32 s0, s28, s12
	s_addc_u32 s1, s29, 0
	s_cmp_eq_u32 s6, s2
	s_cselect_b64 s[22:23], -1, 0
	s_cmp_lg_u32 s6, s2
	s_mul_i32 s42, s6, 0xd00
	v_cmp_lt_u64_e32 vcc, s[0:1], v[2:3]
	s_cselect_b64 s[0:1], -1, 0
	s_or_b64 s[2:3], s[0:1], vcc
	s_add_i32 s0, s13, s42
	s_add_i32 s0, s0, s28
	v_add_u32_e32 v2, s0, v0
	s_mov_b64 s[0:1], -1
	s_and_b64 vcc, exec, s[2:3]
	v_lshlrev_b32_e32 v1, 2, v0
	s_cbranch_vccz .LBB897_2
; %bb.1:
	v_add_u32_e32 v3, 0x100, v2
	v_add_u32_e32 v4, 0x200, v2
	;; [unrolled: 1-line block ×12, first 2 shown]
	ds_write2st64_b32 v1, v2, v3 offset1:4
	ds_write2st64_b32 v1, v4, v5 offset0:8 offset1:12
	ds_write2st64_b32 v1, v6, v7 offset0:16 offset1:20
	;; [unrolled: 1-line block ×5, first 2 shown]
	ds_write_b32 v1, v14 offset:12288
	s_waitcnt lgkmcnt(0)
	s_barrier
	s_mov_b64 s[0:1], 0
.LBB897_2:
	s_andn2_b64 vcc, exec, s[0:1]
	s_add_i32 s12, s12, s28
	s_cbranch_vccnz .LBB897_4
; %bb.3:
	v_add_u32_e32 v3, 0x100, v2
	v_add_u32_e32 v4, 0x200, v2
	;; [unrolled: 1-line block ×12, first 2 shown]
	ds_write2st64_b32 v1, v2, v3 offset1:4
	ds_write2st64_b32 v1, v4, v5 offset0:8 offset1:12
	ds_write2st64_b32 v1, v6, v7 offset0:16 offset1:20
	;; [unrolled: 1-line block ×5, first 2 shown]
	ds_write_b32 v1, v14 offset:12288
	s_waitcnt lgkmcnt(0)
	s_barrier
.LBB897_4:
	v_mul_u32_u24_e32 v33, 13, v0
	v_lshlrev_b32_e32 v2, 2, v33
	s_waitcnt lgkmcnt(0)
	ds_read2_b32 v[30:31], v2 offset1:1
	ds_read2_b32 v[28:29], v2 offset0:2 offset1:3
	ds_read2_b32 v[26:27], v2 offset0:4 offset1:5
	;; [unrolled: 1-line block ×5, first 2 shown]
	ds_read_b32 v32, v2 offset:48
	v_cndmask_b32_e64 v2, 0, 1, s[2:3]
	s_sub_i32 s33, s26, s12
	v_cmp_ne_u32_e64 s[0:1], 1, v2
	s_andn2_b64 vcc, exec, s[2:3]
	s_waitcnt lgkmcnt(0)
	s_barrier
	s_cbranch_vccnz .LBB897_6
; %bb.5:
	v_add_u32_e32 v2, s9, v30
	v_add_u32_e32 v3, s11, v30
	v_mul_lo_u32 v2, v2, s8
	v_mul_lo_u32 v3, v3, s10
	v_sub_u32_e32 v2, v2, v3
	v_add_u32_e32 v3, s9, v31
	v_add_u32_e32 v4, s11, v31
	v_mul_lo_u32 v3, v3, s8
	v_mul_lo_u32 v4, v4, s10
	v_sub_u32_e32 v3, v3, v4
	;; [unrolled: 5-line block ×6, first 2 shown]
	v_add_u32_e32 v8, s9, v24
	v_add_u32_e32 v9, s11, v24
	v_mul_lo_u32 v8, v8, s8
	v_mul_lo_u32 v9, v9, s10
	v_cmp_lt_u32_e32 vcc, s7, v2
	v_sub_u32_e32 v8, v8, v9
	v_add_u32_e32 v9, s9, v25
	v_add_u32_e32 v10, s11, v25
	v_cndmask_b32_e64 v2, 0, 1, vcc
	v_cmp_lt_u32_e32 vcc, s7, v3
	v_mul_lo_u32 v9, v9, s8
	v_mul_lo_u32 v10, v10, s10
	v_cndmask_b32_e64 v3, 0, 1, vcc
	v_cmp_lt_u32_e32 vcc, s7, v4
	v_sub_u32_e32 v9, v9, v10
	v_add_u32_e32 v10, s9, v22
	v_add_u32_e32 v11, s11, v22
	v_cndmask_b32_e64 v4, 0, 1, vcc
	v_cmp_lt_u32_e32 vcc, s7, v5
	v_mul_lo_u32 v10, v10, s8
	v_mul_lo_u32 v11, v11, s10
	v_cndmask_b32_e64 v5, 0, 1, vcc
	;; [unrolled: 9-line block ×4, first 2 shown]
	v_cmp_lt_u32_e32 vcc, s7, v10
	v_sub_u32_e32 v12, v12, v13
	v_add_u32_e32 v13, s9, v21
	v_add_u32_e32 v14, s11, v21
	v_lshlrev_b16_e32 v3, 8, v3
	v_cndmask_b32_e64 v10, 0, 1, vcc
	v_cmp_lt_u32_e32 vcc, s7, v11
	v_mul_lo_u32 v13, v13, s8
	v_mul_lo_u32 v14, v14, s10
	v_or_b32_e32 v2, v2, v3
	v_lshlrev_b16_e32 v3, 8, v5
	v_cndmask_b32_e64 v11, 0, 1, vcc
	v_cmp_lt_u32_e32 vcc, s7, v12
	v_sub_u32_e32 v13, v13, v14
	v_or_b32_sdwa v3, v4, v3 dst_sel:WORD_1 dst_unused:UNUSED_PAD src0_sel:DWORD src1_sel:DWORD
	v_cndmask_b32_e64 v12, 0, 1, vcc
	v_cmp_lt_u32_e32 vcc, s7, v13
	v_add_u32_e32 v14, s9, v32
	v_add_u32_e32 v15, s11, v32
	v_or_b32_sdwa v37, v2, v3 dst_sel:DWORD dst_unused:UNUSED_PAD src0_sel:WORD_0 src1_sel:DWORD
	v_lshlrev_b16_e32 v2, 8, v7
	v_lshlrev_b16_e32 v3, 8, v9
	v_cndmask_b32_e64 v13, 0, 1, vcc
	v_mul_lo_u32 v14, v14, s8
	v_mul_lo_u32 v15, v15, s10
	v_or_b32_e32 v2, v6, v2
	v_or_b32_sdwa v3, v8, v3 dst_sel:WORD_1 dst_unused:UNUSED_PAD src0_sel:DWORD src1_sel:DWORD
	v_sub_u32_e32 v14, v14, v15
	v_or_b32_sdwa v36, v2, v3 dst_sel:DWORD dst_unused:UNUSED_PAD src0_sel:WORD_0 src1_sel:DWORD
	v_lshlrev_b16_e32 v2, 8, v11
	v_lshlrev_b16_e32 v3, 8, v13
	v_cmp_lt_u32_e32 vcc, s7, v14
	v_or_b32_e32 v2, v10, v2
	v_or_b32_sdwa v3, v12, v3 dst_sel:WORD_1 dst_unused:UNUSED_PAD src0_sel:DWORD src1_sel:DWORD
	v_cndmask_b32_e64 v34, 0, 1, vcc
	v_or_b32_sdwa v35, v2, v3 dst_sel:DWORD dst_unused:UNUSED_PAD src0_sel:WORD_0 src1_sel:DWORD
	s_mov_b64 s[2:3], 0
	s_branch .LBB897_7
.LBB897_6:
	s_mov_b64 s[2:3], -1
                                        ; implicit-def: $vgpr34
                                        ; implicit-def: $vgpr35
                                        ; implicit-def: $vgpr36
                                        ; implicit-def: $vgpr37
.LBB897_7:
	s_load_dwordx2 s[24:25], s[4:5], 0x28
	s_load_dwordx2 s[34:35], s[4:5], 0x68
	s_andn2_b64 vcc, exec, s[2:3]
	s_addk_i32 s33, 0xd00
	s_cbranch_vccnz .LBB897_35
; %bb.8:
	v_cmp_gt_u32_e32 vcc, s33, v33
	v_mov_b32_e32 v3, 0
	v_mov_b32_e32 v2, 0
	s_and_saveexec_b64 s[2:3], vcc
; %bb.9:
	v_add_u32_e32 v2, s9, v30
	v_add_u32_e32 v4, s11, v30
	v_mul_lo_u32 v2, v2, s8
	v_mul_lo_u32 v4, v4, s10
	v_sub_u32_e32 v2, v2, v4
	v_cmp_lt_u32_e32 vcc, s7, v2
	v_cndmask_b32_e64 v2, 0, 1, vcc
; %bb.10:
	s_or_b64 exec, exec, s[2:3]
	v_add_u32_e32 v4, 1, v33
	v_cmp_gt_u32_e32 vcc, s33, v4
	s_and_saveexec_b64 s[2:3], vcc
; %bb.11:
	v_add_u32_e32 v3, s9, v31
	v_add_u32_e32 v4, s11, v31
	v_mul_lo_u32 v3, v3, s8
	v_mul_lo_u32 v4, v4, s10
	v_sub_u32_e32 v3, v3, v4
	v_cmp_lt_u32_e32 vcc, s7, v3
	v_cndmask_b32_e64 v3, 0, 1, vcc
; %bb.12:
	s_or_b64 exec, exec, s[2:3]
	v_add_u32_e32 v4, 2, v33
	v_cmp_gt_u32_e32 vcc, s33, v4
	v_mov_b32_e32 v5, 0
	v_mov_b32_e32 v4, 0
	s_and_saveexec_b64 s[2:3], vcc
; %bb.13:
	v_add_u32_e32 v4, s9, v28
	v_add_u32_e32 v6, s11, v28
	v_mul_lo_u32 v4, v4, s8
	v_mul_lo_u32 v6, v6, s10
	v_sub_u32_e32 v4, v4, v6
	v_cmp_lt_u32_e32 vcc, s7, v4
	v_cndmask_b32_e64 v4, 0, 1, vcc
; %bb.14:
	s_or_b64 exec, exec, s[2:3]
	v_add_u32_e32 v6, 3, v33
	v_cmp_gt_u32_e32 vcc, s33, v6
	s_and_saveexec_b64 s[2:3], vcc
; %bb.15:
	v_add_u32_e32 v5, s9, v29
	v_add_u32_e32 v6, s11, v29
	v_mul_lo_u32 v5, v5, s8
	v_mul_lo_u32 v6, v6, s10
	v_sub_u32_e32 v5, v5, v6
	v_cmp_lt_u32_e32 vcc, s7, v5
	v_cndmask_b32_e64 v5, 0, 1, vcc
; %bb.16:
	s_or_b64 exec, exec, s[2:3]
	v_add_u32_e32 v6, 4, v33
	;; [unrolled: 28-line block ×6, first 2 shown]
	v_cmp_gt_u32_e32 vcc, s33, v14
	v_mov_b32_e32 v34, 0
	s_and_saveexec_b64 s[2:3], vcc
; %bb.33:
	v_add_u32_e32 v14, s9, v32
	v_add_u32_e32 v15, s11, v32
	v_mul_lo_u32 v14, v14, s8
	v_mul_lo_u32 v15, v15, s10
	v_sub_u32_e32 v14, v14, v15
	v_cmp_lt_u32_e32 vcc, s7, v14
	v_cndmask_b32_e64 v34, 0, 1, vcc
; %bb.34:
	s_or_b64 exec, exec, s[2:3]
	v_lshlrev_b16_e32 v3, 8, v3
	v_or_b32_e32 v2, v2, v3
	v_lshlrev_b16_e32 v3, 8, v5
	v_or_b32_sdwa v3, v4, v3 dst_sel:WORD_1 dst_unused:UNUSED_PAD src0_sel:DWORD src1_sel:DWORD
	v_or_b32_sdwa v37, v2, v3 dst_sel:DWORD dst_unused:UNUSED_PAD src0_sel:WORD_0 src1_sel:DWORD
	v_lshlrev_b16_e32 v2, 8, v7
	v_lshlrev_b16_e32 v3, 8, v9
	v_or_b32_e32 v2, v6, v2
	v_or_b32_sdwa v3, v8, v3 dst_sel:WORD_1 dst_unused:UNUSED_PAD src0_sel:DWORD src1_sel:DWORD
	v_or_b32_sdwa v36, v2, v3 dst_sel:DWORD dst_unused:UNUSED_PAD src0_sel:WORD_0 src1_sel:DWORD
	v_lshlrev_b16_e32 v2, 8, v11
	v_lshlrev_b16_e32 v3, 8, v13
	v_or_b32_e32 v2, v10, v2
	v_or_b32_sdwa v3, v12, v3 dst_sel:WORD_1 dst_unused:UNUSED_PAD src0_sel:DWORD src1_sel:DWORD
	v_or_b32_sdwa v35, v2, v3 dst_sel:DWORD dst_unused:UNUSED_PAD src0_sel:WORD_0 src1_sel:DWORD
.LBB897_35:
	v_and_b32_e32 v41, 0xff, v37
	v_bfe_u32 v42, v37, 8, 8
	v_bfe_u32 v43, v37, 16, 8
	v_lshrrev_b32_e32 v40, 24, v37
	v_and_b32_e32 v44, 0xff, v36
	v_add3_u32 v3, v42, v41, v43
	v_bfe_u32 v45, v36, 8, 8
	v_bfe_u32 v46, v36, 16, 8
	v_add3_u32 v3, v3, v40, v44
	v_lshrrev_b32_e32 v39, 24, v36
	v_and_b32_e32 v47, 0xff, v35
	v_add3_u32 v3, v3, v45, v46
	v_bfe_u32 v48, v35, 8, 8
	v_bfe_u32 v49, v35, 16, 8
	v_add3_u32 v3, v3, v39, v47
	v_lshrrev_b32_e32 v38, 24, v35
	v_and_b32_e32 v2, 0xff, v34
	v_add3_u32 v3, v3, v48, v49
	v_add3_u32 v52, v3, v38, v2
	v_mbcnt_lo_u32_b32 v2, -1, 0
	v_mbcnt_hi_u32_b32 v50, -1, v2
	v_and_b32_e32 v2, 15, v50
	v_cmp_eq_u32_e64 s[14:15], 0, v2
	v_cmp_lt_u32_e64 s[12:13], 1, v2
	v_cmp_lt_u32_e64 s[10:11], 3, v2
	;; [unrolled: 1-line block ×3, first 2 shown]
	v_and_b32_e32 v2, 16, v50
	v_cmp_eq_u32_e64 s[18:19], 0, v2
	v_or_b32_e32 v2, 63, v0
	s_cmp_lg_u32 s6, 0
	v_cmp_lt_u32_e64 s[2:3], 31, v50
	v_lshrrev_b32_e32 v51, 6, v0
	v_cmp_eq_u32_e64 s[4:5], v2, v0
	s_cbranch_scc0 .LBB897_66
; %bb.36:
	v_mov_b32_dpp v2, v52 row_shr:1 row_mask:0xf bank_mask:0xf
	v_cndmask_b32_e64 v2, v2, 0, s[14:15]
	v_add_u32_e32 v2, v2, v52
	s_nop 1
	v_mov_b32_dpp v3, v2 row_shr:2 row_mask:0xf bank_mask:0xf
	v_cndmask_b32_e64 v3, 0, v3, s[12:13]
	v_add_u32_e32 v2, v2, v3
	s_nop 1
	;; [unrolled: 4-line block ×4, first 2 shown]
	v_mov_b32_dpp v3, v2 row_bcast:15 row_mask:0xf bank_mask:0xf
	v_cndmask_b32_e64 v3, v3, 0, s[18:19]
	v_add_u32_e32 v2, v2, v3
	s_nop 1
	v_mov_b32_dpp v3, v2 row_bcast:31 row_mask:0xf bank_mask:0xf
	v_cndmask_b32_e64 v3, 0, v3, s[2:3]
	v_add_u32_e32 v2, v2, v3
	s_and_saveexec_b64 s[16:17], s[4:5]
	s_cbranch_execz .LBB897_38
; %bb.37:
	v_lshlrev_b32_e32 v3, 2, v51
	ds_write_b32 v3, v2
.LBB897_38:
	s_or_b64 exec, exec, s[16:17]
	v_cmp_gt_u32_e32 vcc, 4, v0
	s_waitcnt lgkmcnt(0)
	s_barrier
	s_and_saveexec_b64 s[16:17], vcc
	s_cbranch_execz .LBB897_40
; %bb.39:
	ds_read_b32 v3, v1
	v_and_b32_e32 v4, 3, v50
	v_cmp_ne_u32_e32 vcc, 0, v4
	s_waitcnt lgkmcnt(0)
	v_mov_b32_dpp v5, v3 row_shr:1 row_mask:0xf bank_mask:0xf
	v_cndmask_b32_e32 v5, 0, v5, vcc
	v_add_u32_e32 v3, v5, v3
	v_cmp_lt_u32_e32 vcc, 1, v4
	s_nop 0
	v_mov_b32_dpp v5, v3 row_shr:2 row_mask:0xf bank_mask:0xf
	v_cndmask_b32_e32 v4, 0, v5, vcc
	v_add_u32_e32 v3, v3, v4
	ds_write_b32 v1, v3
.LBB897_40:
	s_or_b64 exec, exec, s[16:17]
	v_cmp_gt_u32_e32 vcc, 64, v0
	v_cmp_lt_u32_e64 s[16:17], 63, v0
	s_waitcnt lgkmcnt(0)
	s_barrier
	s_waitcnt lgkmcnt(0)
                                        ; implicit-def: $vgpr12
	s_and_saveexec_b64 s[36:37], s[16:17]
	s_cbranch_execz .LBB897_42
; %bb.41:
	v_lshl_add_u32 v3, v51, 2, -4
	ds_read_b32 v12, v3
	s_waitcnt lgkmcnt(0)
	v_add_u32_e32 v2, v12, v2
.LBB897_42:
	s_or_b64 exec, exec, s[36:37]
	v_add_u32_e32 v3, -1, v50
	v_and_b32_e32 v4, 64, v50
	v_cmp_lt_i32_e64 s[16:17], v3, v4
	v_cndmask_b32_e64 v3, v3, v50, s[16:17]
	v_lshlrev_b32_e32 v3, 2, v3
	ds_bpermute_b32 v13, v3, v2
	v_cmp_eq_u32_e64 s[16:17], 0, v50
	s_and_saveexec_b64 s[36:37], vcc
	s_cbranch_execz .LBB897_65
; %bb.43:
	v_mov_b32_e32 v11, 0
	ds_read_b32 v2, v11 offset:12
	s_and_saveexec_b64 s[38:39], s[16:17]
	s_cbranch_execz .LBB897_45
; %bb.44:
	s_add_i32 s40, s6, 64
	s_mov_b32 s41, 0
	s_lshl_b64 s[40:41], s[40:41], 3
	s_add_u32 s40, s34, s40
	v_mov_b32_e32 v3, 1
	s_addc_u32 s41, s35, s41
	s_waitcnt lgkmcnt(0)
	global_store_dwordx2 v11, v[2:3], s[40:41]
.LBB897_45:
	s_or_b64 exec, exec, s[38:39]
	v_xad_u32 v4, v50, -1, s6
	v_add_u32_e32 v10, 64, v4
	v_lshlrev_b64 v[6:7], 3, v[10:11]
	v_mov_b32_e32 v3, s35
	v_add_co_u32_e32 v6, vcc, s34, v6
	v_addc_co_u32_e32 v7, vcc, v3, v7, vcc
	global_load_dwordx2 v[8:9], v[6:7], off glc
	s_waitcnt vmcnt(0)
	v_cmp_eq_u16_sdwa s[40:41], v9, v11 src0_sel:BYTE_0 src1_sel:DWORD
	s_and_saveexec_b64 s[38:39], s[40:41]
	s_cbranch_execz .LBB897_51
; %bb.46:
	s_mov_b32 s7, 1
	s_mov_b64 s[40:41], 0
	v_mov_b32_e32 v3, 0
.LBB897_47:                             ; =>This Loop Header: Depth=1
                                        ;     Child Loop BB897_48 Depth 2
	s_max_u32 s43, s7, 1
.LBB897_48:                             ;   Parent Loop BB897_47 Depth=1
                                        ; =>  This Inner Loop Header: Depth=2
	s_add_i32 s43, s43, -1
	s_cmp_eq_u32 s43, 0
	s_sleep 1
	s_cbranch_scc0 .LBB897_48
; %bb.49:                               ;   in Loop: Header=BB897_47 Depth=1
	global_load_dwordx2 v[8:9], v[6:7], off glc
	s_cmp_lt_u32 s7, 32
	s_cselect_b64 s[44:45], -1, 0
	s_cmp_lg_u64 s[44:45], 0
	s_addc_u32 s7, s7, 0
	s_waitcnt vmcnt(0)
	v_cmp_ne_u16_sdwa s[44:45], v9, v3 src0_sel:BYTE_0 src1_sel:DWORD
	s_or_b64 s[40:41], s[44:45], s[40:41]
	s_andn2_b64 exec, exec, s[40:41]
	s_cbranch_execnz .LBB897_47
; %bb.50:
	s_or_b64 exec, exec, s[40:41]
.LBB897_51:
	s_or_b64 exec, exec, s[38:39]
	v_and_b32_e32 v14, 63, v50
	v_mov_b32_e32 v3, 2
	v_cmp_ne_u32_e32 vcc, 63, v14
	v_cmp_eq_u16_sdwa s[38:39], v9, v3 src0_sel:BYTE_0 src1_sel:DWORD
	v_lshlrev_b64 v[6:7], v50, -1
	v_addc_co_u32_e32 v11, vcc, 0, v50, vcc
	v_and_b32_e32 v5, s39, v7
	v_lshlrev_b32_e32 v15, 2, v11
	v_or_b32_e32 v5, 0x80000000, v5
	ds_bpermute_b32 v11, v15, v8
	v_and_b32_e32 v10, s38, v6
	v_ffbl_b32_e32 v5, v5
	v_add_u32_e32 v5, 32, v5
	v_ffbl_b32_e32 v10, v10
	v_min_u32_e32 v5, v10, v5
	v_cmp_lt_u32_e32 vcc, v14, v5
	s_waitcnt lgkmcnt(0)
	v_cndmask_b32_e32 v10, 0, v11, vcc
	v_cmp_gt_u32_e32 vcc, 62, v14
	v_add_u32_e32 v8, v10, v8
	v_cndmask_b32_e64 v10, 0, 1, vcc
	v_lshlrev_b32_e32 v10, 1, v10
	v_add_lshl_u32 v16, v10, v50, 2
	ds_bpermute_b32 v10, v16, v8
	v_add_u32_e32 v17, 2, v14
	v_cmp_le_u32_e32 vcc, v17, v5
	v_add_u32_e32 v19, 4, v14
	v_add_u32_e32 v54, 8, v14
	s_waitcnt lgkmcnt(0)
	v_cndmask_b32_e32 v10, 0, v10, vcc
	v_cmp_gt_u32_e32 vcc, 60, v14
	v_add_u32_e32 v8, v8, v10
	v_cndmask_b32_e64 v10, 0, 1, vcc
	v_lshlrev_b32_e32 v10, 2, v10
	v_add_lshl_u32 v18, v10, v50, 2
	ds_bpermute_b32 v10, v18, v8
	v_cmp_le_u32_e32 vcc, v19, v5
	v_add_u32_e32 v57, 16, v14
	v_add_u32_e32 v59, 32, v14
	s_waitcnt lgkmcnt(0)
	v_cndmask_b32_e32 v10, 0, v10, vcc
	v_cmp_gt_u32_e32 vcc, 56, v14
	v_add_u32_e32 v8, v8, v10
	v_cndmask_b32_e64 v10, 0, 1, vcc
	v_lshlrev_b32_e32 v10, 3, v10
	v_add_lshl_u32 v53, v10, v50, 2
	ds_bpermute_b32 v10, v53, v8
	v_cmp_le_u32_e32 vcc, v54, v5
	s_waitcnt lgkmcnt(0)
	v_cndmask_b32_e32 v10, 0, v10, vcc
	v_cmp_gt_u32_e32 vcc, 48, v14
	v_add_u32_e32 v8, v8, v10
	v_cndmask_b32_e64 v10, 0, 1, vcc
	v_lshlrev_b32_e32 v10, 4, v10
	v_add_lshl_u32 v56, v10, v50, 2
	ds_bpermute_b32 v10, v56, v8
	v_cmp_le_u32_e32 vcc, v57, v5
	;; [unrolled: 9-line block ×3, first 2 shown]
	s_waitcnt lgkmcnt(0)
	v_cndmask_b32_e32 v5, 0, v10, vcc
	v_add_u32_e32 v8, v8, v5
	v_mov_b32_e32 v5, 0
	s_branch .LBB897_53
.LBB897_52:                             ;   in Loop: Header=BB897_53 Depth=1
	s_or_b64 exec, exec, s[38:39]
	v_cmp_eq_u16_sdwa s[38:39], v9, v3 src0_sel:BYTE_0 src1_sel:DWORD
	v_and_b32_e32 v10, s39, v7
	v_or_b32_e32 v10, 0x80000000, v10
	ds_bpermute_b32 v60, v15, v8
	v_and_b32_e32 v11, s38, v6
	v_ffbl_b32_e32 v10, v10
	v_add_u32_e32 v10, 32, v10
	v_ffbl_b32_e32 v11, v11
	v_min_u32_e32 v10, v11, v10
	v_cmp_lt_u32_e32 vcc, v14, v10
	s_waitcnt lgkmcnt(0)
	v_cndmask_b32_e32 v11, 0, v60, vcc
	v_add_u32_e32 v8, v11, v8
	ds_bpermute_b32 v11, v16, v8
	v_cmp_le_u32_e32 vcc, v17, v10
	v_subrev_u32_e32 v4, 64, v4
	s_waitcnt lgkmcnt(0)
	v_cndmask_b32_e32 v11, 0, v11, vcc
	v_add_u32_e32 v8, v8, v11
	ds_bpermute_b32 v11, v18, v8
	v_cmp_le_u32_e32 vcc, v19, v10
	s_waitcnt lgkmcnt(0)
	v_cndmask_b32_e32 v11, 0, v11, vcc
	v_add_u32_e32 v8, v8, v11
	ds_bpermute_b32 v11, v53, v8
	v_cmp_le_u32_e32 vcc, v54, v10
	;; [unrolled: 5-line block ×4, first 2 shown]
	s_waitcnt lgkmcnt(0)
	v_cndmask_b32_e32 v10, 0, v11, vcc
	v_add3_u32 v8, v10, v55, v8
.LBB897_53:                             ; =>This Loop Header: Depth=1
                                        ;     Child Loop BB897_56 Depth 2
                                        ;       Child Loop BB897_57 Depth 3
	v_cmp_ne_u16_sdwa s[38:39], v9, v3 src0_sel:BYTE_0 src1_sel:DWORD
	v_cndmask_b32_e64 v9, 0, 1, s[38:39]
	;;#ASMSTART
	;;#ASMEND
	v_cmp_ne_u32_e32 vcc, 0, v9
	s_cmp_lg_u64 vcc, exec
	v_mov_b32_e32 v55, v8
	s_cbranch_scc1 .LBB897_60
; %bb.54:                               ;   in Loop: Header=BB897_53 Depth=1
	v_lshlrev_b64 v[8:9], 3, v[4:5]
	v_mov_b32_e32 v11, s35
	v_add_co_u32_e32 v10, vcc, s34, v8
	v_addc_co_u32_e32 v11, vcc, v11, v9, vcc
	global_load_dwordx2 v[8:9], v[10:11], off glc
	s_waitcnt vmcnt(0)
	v_cmp_eq_u16_sdwa s[40:41], v9, v5 src0_sel:BYTE_0 src1_sel:DWORD
	s_and_saveexec_b64 s[38:39], s[40:41]
	s_cbranch_execz .LBB897_52
; %bb.55:                               ;   in Loop: Header=BB897_53 Depth=1
	s_mov_b32 s7, 1
	s_mov_b64 s[40:41], 0
.LBB897_56:                             ;   Parent Loop BB897_53 Depth=1
                                        ; =>  This Loop Header: Depth=2
                                        ;       Child Loop BB897_57 Depth 3
	s_max_u32 s43, s7, 1
.LBB897_57:                             ;   Parent Loop BB897_53 Depth=1
                                        ;     Parent Loop BB897_56 Depth=2
                                        ; =>    This Inner Loop Header: Depth=3
	s_add_i32 s43, s43, -1
	s_cmp_eq_u32 s43, 0
	s_sleep 1
	s_cbranch_scc0 .LBB897_57
; %bb.58:                               ;   in Loop: Header=BB897_56 Depth=2
	global_load_dwordx2 v[8:9], v[10:11], off glc
	s_cmp_lt_u32 s7, 32
	s_cselect_b64 s[44:45], -1, 0
	s_cmp_lg_u64 s[44:45], 0
	s_addc_u32 s7, s7, 0
	s_waitcnt vmcnt(0)
	v_cmp_ne_u16_sdwa s[44:45], v9, v5 src0_sel:BYTE_0 src1_sel:DWORD
	s_or_b64 s[40:41], s[44:45], s[40:41]
	s_andn2_b64 exec, exec, s[40:41]
	s_cbranch_execnz .LBB897_56
; %bb.59:                               ;   in Loop: Header=BB897_53 Depth=1
	s_or_b64 exec, exec, s[40:41]
	s_branch .LBB897_52
.LBB897_60:                             ;   in Loop: Header=BB897_53 Depth=1
                                        ; implicit-def: $vgpr8
                                        ; implicit-def: $vgpr9
	s_cbranch_execz .LBB897_53
; %bb.61:
	s_and_saveexec_b64 s[38:39], s[16:17]
	s_cbranch_execz .LBB897_63
; %bb.62:
	s_add_i32 s6, s6, 64
	s_mov_b32 s7, 0
	s_lshl_b64 s[6:7], s[6:7], 3
	s_add_u32 s6, s34, s6
	v_add_u32_e32 v4, v55, v2
	v_mov_b32_e32 v5, 2
	s_addc_u32 s7, s35, s7
	v_mov_b32_e32 v3, 0
	global_store_dwordx2 v3, v[4:5], s[6:7]
	s_movk_i32 s6, 0x3400
	v_add_u32_e64 v3, s6, 0
	ds_write2_b32 v3, v2, v55 offset1:2
.LBB897_63:
	s_or_b64 exec, exec, s[38:39]
	v_cmp_eq_u32_e32 vcc, 0, v0
	s_and_b64 exec, exec, vcc
	s_cbranch_execz .LBB897_65
; %bb.64:
	v_mov_b32_e32 v2, 0
	ds_write_b32 v2, v55 offset:12
.LBB897_65:
	s_or_b64 exec, exec, s[36:37]
	v_mov_b32_e32 v2, 0
	s_waitcnt lgkmcnt(0)
	s_barrier
	ds_read_b32 v2, v2 offset:12
	v_cndmask_b32_e64 v3, v13, v12, s[16:17]
	v_cmp_ne_u32_e32 vcc, 0, v0
	v_cndmask_b32_e32 v3, 0, v3, vcc
	s_movk_i32 s6, 0x3400
	s_waitcnt lgkmcnt(0)
	v_add_u32_e32 v2, v2, v3
	v_add_u32_e32 v3, v2, v41
	;; [unrolled: 1-line block ×8, first 2 shown]
	v_add_u32_e64 v12, s6, 0
	v_add_u32_e32 v10, v9, v39
	s_barrier
	ds_read2_b32 v[18:19], v12 offset1:2
	v_add_u32_e32 v11, v10, v47
	v_add_u32_e32 v12, v11, v48
	;; [unrolled: 1-line block ×4, first 2 shown]
	s_branch .LBB897_76
.LBB897_66:
                                        ; implicit-def: $vgpr19
                                        ; implicit-def: $vgpr2_vgpr3_vgpr4_vgpr5_vgpr6_vgpr7_vgpr8_vgpr9_vgpr10_vgpr11_vgpr12_vgpr13_vgpr14_vgpr15_vgpr16_vgpr17
	s_cbranch_execz .LBB897_76
; %bb.67:
	s_nop 0
	v_mov_b32_dpp v2, v52 row_shr:1 row_mask:0xf bank_mask:0xf
	v_cndmask_b32_e64 v2, v2, 0, s[14:15]
	v_add_u32_e32 v2, v2, v52
	s_nop 1
	v_mov_b32_dpp v3, v2 row_shr:2 row_mask:0xf bank_mask:0xf
	v_cndmask_b32_e64 v3, 0, v3, s[12:13]
	v_add_u32_e32 v2, v2, v3
	;; [unrolled: 4-line block ×4, first 2 shown]
	s_nop 1
	v_mov_b32_dpp v3, v2 row_bcast:15 row_mask:0xf bank_mask:0xf
	v_cndmask_b32_e64 v3, v3, 0, s[18:19]
	v_add_u32_e32 v2, v2, v3
	s_nop 1
	v_mov_b32_dpp v3, v2 row_bcast:31 row_mask:0xf bank_mask:0xf
	v_cndmask_b32_e64 v3, 0, v3, s[2:3]
	v_add_u32_e32 v2, v2, v3
	s_and_saveexec_b64 s[2:3], s[4:5]
	s_cbranch_execz .LBB897_69
; %bb.68:
	v_lshlrev_b32_e32 v3, 2, v51
	ds_write_b32 v3, v2
.LBB897_69:
	s_or_b64 exec, exec, s[2:3]
	v_cmp_gt_u32_e32 vcc, 4, v0
	s_waitcnt lgkmcnt(0)
	s_barrier
	s_and_saveexec_b64 s[2:3], vcc
	s_cbranch_execz .LBB897_71
; %bb.70:
	ds_read_b32 v3, v1
	v_and_b32_e32 v4, 3, v50
	v_cmp_ne_u32_e32 vcc, 0, v4
	s_waitcnt lgkmcnt(0)
	v_mov_b32_dpp v5, v3 row_shr:1 row_mask:0xf bank_mask:0xf
	v_cndmask_b32_e32 v5, 0, v5, vcc
	v_add_u32_e32 v3, v5, v3
	v_cmp_lt_u32_e32 vcc, 1, v4
	s_nop 0
	v_mov_b32_dpp v5, v3 row_shr:2 row_mask:0xf bank_mask:0xf
	v_cndmask_b32_e32 v4, 0, v5, vcc
	v_add_u32_e32 v3, v3, v4
	ds_write_b32 v1, v3
.LBB897_71:
	s_or_b64 exec, exec, s[2:3]
	v_cmp_lt_u32_e32 vcc, 63, v0
	v_mov_b32_e32 v4, 0
	v_mov_b32_e32 v3, 0
	s_waitcnt lgkmcnt(0)
	s_barrier
	s_and_saveexec_b64 s[2:3], vcc
	s_cbranch_execz .LBB897_73
; %bb.72:
	v_lshl_add_u32 v3, v51, 2, -4
	ds_read_b32 v3, v3
.LBB897_73:
	s_or_b64 exec, exec, s[2:3]
	v_add_u32_e32 v5, -1, v50
	v_and_b32_e32 v6, 64, v50
	v_cmp_lt_i32_e32 vcc, v5, v6
	v_cndmask_b32_e32 v5, v5, v50, vcc
	s_waitcnt lgkmcnt(0)
	v_add_u32_e32 v2, v3, v2
	v_lshlrev_b32_e32 v5, 2, v5
	ds_bpermute_b32 v2, v5, v2
	ds_read_b32 v18, v4 offset:12
	v_cmp_eq_u32_e32 vcc, 0, v0
	s_and_saveexec_b64 s[2:3], vcc
	s_cbranch_execz .LBB897_75
; %bb.74:
	v_mov_b32_e32 v4, 0
	v_mov_b32_e32 v19, 2
	s_waitcnt lgkmcnt(0)
	global_store_dwordx2 v4, v[18:19], s[34:35] offset:512
.LBB897_75:
	s_or_b64 exec, exec, s[2:3]
	v_cmp_eq_u32_e64 s[2:3], 0, v50
	s_waitcnt lgkmcnt(1)
	v_cndmask_b32_e64 v2, v2, v3, s[2:3]
	v_cndmask_b32_e64 v2, v2, 0, vcc
	v_add_u32_e32 v3, v2, v41
	v_add_u32_e32 v4, v3, v42
	;; [unrolled: 1-line block ×11, first 2 shown]
	v_mov_b32_e32 v19, 0
	v_add_u32_e32 v14, v13, v38
	s_waitcnt lgkmcnt(0)
	s_barrier
.LBB897_76:
	s_waitcnt lgkmcnt(0)
	v_add_u32_e32 v33, v18, v33
	v_sub_u32_e32 v2, v2, v19
	v_and_b32_e32 v42, 1, v37
	v_sub_u32_e32 v41, v33, v2
	v_cmp_eq_u32_e32 vcc, 1, v42
	v_cndmask_b32_e32 v2, v41, v2, vcc
	v_lshlrev_b32_e32 v2, 2, v2
	v_lshrrev_b32_e32 v17, 8, v37
	ds_write_b32 v2, v30
	v_sub_u32_e32 v2, v3, v19
	v_sub_u32_e32 v3, v33, v2
	v_and_b32_e32 v17, 1, v17
	v_add_u32_e32 v3, 1, v3
	v_cmp_eq_u32_e32 vcc, 1, v17
	v_cndmask_b32_e32 v2, v3, v2, vcc
	v_lshlrev_b32_e32 v2, 2, v2
	ds_write_b32 v2, v31
	v_sub_u32_e32 v2, v4, v19
	v_mov_b32_e32 v4, 1
	v_sub_u32_e32 v3, v33, v2
	v_and_b32_sdwa v17, v4, v37 dst_sel:DWORD dst_unused:UNUSED_PAD src0_sel:DWORD src1_sel:WORD_1
	v_add_u32_e32 v3, 2, v3
	v_cmp_eq_u32_e32 vcc, 1, v17
	v_cndmask_b32_e32 v2, v3, v2, vcc
	v_lshlrev_b32_e32 v2, 2, v2
	ds_write_b32 v2, v28
	v_sub_u32_e32 v2, v5, v19
	v_sub_u32_e32 v3, v33, v2
	v_and_b32_e32 v5, 1, v40
	v_add_u32_e32 v3, 3, v3
	v_cmp_eq_u32_e32 vcc, 1, v5
	v_cndmask_b32_e32 v2, v3, v2, vcc
	v_lshlrev_b32_e32 v2, 2, v2
	ds_write_b32 v2, v29
	v_sub_u32_e32 v2, v6, v19
	v_sub_u32_e32 v3, v33, v2
	v_and_b32_e32 v5, 1, v36
	v_add_u32_e32 v3, 4, v3
	v_cmp_eq_u32_e32 vcc, 1, v5
	v_cndmask_b32_e32 v2, v3, v2, vcc
	v_lshlrev_b32_e32 v2, 2, v2
	v_lshrrev_b32_e32 v16, 8, v36
	ds_write_b32 v2, v26
	v_sub_u32_e32 v2, v7, v19
	v_sub_u32_e32 v3, v33, v2
	v_and_b32_e32 v5, 1, v16
	v_add_u32_e32 v3, 5, v3
	v_cmp_eq_u32_e32 vcc, 1, v5
	v_cndmask_b32_e32 v2, v3, v2, vcc
	v_lshlrev_b32_e32 v2, 2, v2
	ds_write_b32 v2, v27
	v_sub_u32_e32 v2, v8, v19
	v_sub_u32_e32 v3, v33, v2
	v_and_b32_sdwa v5, v4, v36 dst_sel:DWORD dst_unused:UNUSED_PAD src0_sel:DWORD src1_sel:WORD_1
	v_add_u32_e32 v3, 6, v3
	v_cmp_eq_u32_e32 vcc, 1, v5
	v_cndmask_b32_e32 v2, v3, v2, vcc
	v_lshlrev_b32_e32 v2, 2, v2
	ds_write_b32 v2, v24
	v_sub_u32_e32 v2, v9, v19
	v_sub_u32_e32 v3, v33, v2
	v_and_b32_e32 v5, 1, v39
	v_add_u32_e32 v3, 7, v3
	v_cmp_eq_u32_e32 vcc, 1, v5
	v_cndmask_b32_e32 v2, v3, v2, vcc
	v_lshlrev_b32_e32 v2, 2, v2
	ds_write_b32 v2, v25
	v_sub_u32_e32 v2, v10, v19
	v_sub_u32_e32 v3, v33, v2
	v_and_b32_e32 v5, 1, v35
	v_add_u32_e32 v3, 8, v3
	v_cmp_eq_u32_e32 vcc, 1, v5
	v_cndmask_b32_e32 v2, v3, v2, vcc
	v_lshlrev_b32_e32 v2, 2, v2
	v_lshrrev_b32_e32 v15, 8, v35
	ds_write_b32 v2, v22
	v_sub_u32_e32 v2, v11, v19
	v_sub_u32_e32 v3, v33, v2
	v_and_b32_e32 v5, 1, v15
	v_add_u32_e32 v3, 9, v3
	v_cmp_eq_u32_e32 vcc, 1, v5
	v_cndmask_b32_e32 v2, v3, v2, vcc
	v_lshlrev_b32_e32 v2, 2, v2
	ds_write_b32 v2, v23
	v_sub_u32_e32 v2, v12, v19
	v_sub_u32_e32 v3, v33, v2
	v_and_b32_sdwa v4, v4, v35 dst_sel:DWORD dst_unused:UNUSED_PAD src0_sel:DWORD src1_sel:WORD_1
	v_add_u32_e32 v3, 10, v3
	v_cmp_eq_u32_e32 vcc, 1, v4
	v_cndmask_b32_e32 v2, v3, v2, vcc
	v_lshlrev_b32_e32 v2, 2, v2
	ds_write_b32 v2, v20
	v_sub_u32_e32 v2, v13, v19
	v_sub_u32_e32 v3, v33, v2
	v_and_b32_e32 v4, 1, v38
	v_add_u32_e32 v3, 11, v3
	v_cmp_eq_u32_e32 vcc, 1, v4
	v_cndmask_b32_e32 v2, v3, v2, vcc
	v_lshlrev_b32_e32 v2, 2, v2
	ds_write_b32 v2, v21
	v_sub_u32_e32 v2, v14, v19
	v_sub_u32_e32 v3, v33, v2
	v_and_b32_e32 v4, 1, v34
	v_add_u32_e32 v3, 12, v3
	v_cmp_eq_u32_e32 vcc, 1, v4
	v_cndmask_b32_e32 v2, v3, v2, vcc
	s_add_u32 s2, s28, s42
	v_lshlrev_b32_e32 v2, 2, v2
	s_addc_u32 s3, s29, 0
	ds_write_b32 v2, v32
	s_waitcnt lgkmcnt(0)
	s_barrier
	ds_read2st64_b32 v[12:13], v1 offset1:4
	ds_read2st64_b32 v[10:11], v1 offset0:8 offset1:12
	ds_read2st64_b32 v[8:9], v1 offset0:16 offset1:20
	ds_read2st64_b32 v[6:7], v1 offset0:24 offset1:28
	ds_read2st64_b32 v[4:5], v1 offset0:32 offset1:36
	ds_read2st64_b32 v[2:3], v1 offset0:40 offset1:44
	ds_read_b32 v17, v1 offset:12288
	v_mov_b32_e32 v14, s31
	v_add_co_u32_e32 v1, vcc, s30, v19
	s_sub_u32 s2, s26, s2
	v_addc_co_u32_e32 v16, vcc, 0, v14, vcc
	s_subb_u32 s3, s27, s3
	v_mov_b32_e32 v14, s3
	v_add_co_u32_e32 v15, vcc, s2, v18
	v_addc_co_u32_e32 v14, vcc, 0, v14, vcc
	s_and_b64 vcc, exec, s[0:1]
	v_add_co_u32_e64 v19, s[0:1], v15, v1
	v_or_b32_e32 v32, 0x100, v0
	v_or_b32_e32 v31, 0x200, v0
	;; [unrolled: 1-line block ×12, first 2 shown]
	v_addc_co_u32_e64 v21, s[0:1], v14, v16, s[0:1]
	s_cbranch_vccnz .LBB897_130
; %bb.77:
	v_cmp_ge_u32_e32 vcc, v0, v18
                                        ; implicit-def: $vgpr14_vgpr15
	s_and_saveexec_b64 s[0:1], vcc
	s_xor_b64 s[0:1], exec, s[0:1]
; %bb.78:
	v_not_b32_e32 v14, v0
	v_ashrrev_i32_e32 v15, 31, v14
	v_add_co_u32_e32 v14, vcc, v19, v14
	v_addc_co_u32_e32 v15, vcc, v21, v15, vcc
; %bb.79:
	s_andn2_saveexec_b64 s[0:1], s[0:1]
; %bb.80:
	v_add_co_u32_e32 v14, vcc, v1, v0
	v_addc_co_u32_e32 v15, vcc, 0, v16, vcc
; %bb.81:
	s_or_b64 exec, exec, s[0:1]
	v_lshlrev_b64 v[14:15], 2, v[14:15]
	v_mov_b32_e32 v33, s25
	v_add_co_u32_e32 v14, vcc, s24, v14
	v_addc_co_u32_e32 v15, vcc, v33, v15, vcc
	v_cmp_ge_u32_e32 vcc, v32, v18
	s_waitcnt lgkmcnt(6)
	global_store_dword v[14:15], v12, off
                                        ; implicit-def: $vgpr14_vgpr15
	s_and_saveexec_b64 s[0:1], vcc
	s_xor_b64 s[0:1], exec, s[0:1]
; %bb.82:
	v_xor_b32_e32 v14, 0xfffffeff, v0
	v_ashrrev_i32_e32 v15, 31, v14
	v_add_co_u32_e32 v14, vcc, v19, v14
	v_addc_co_u32_e32 v15, vcc, v21, v15, vcc
; %bb.83:
	s_andn2_saveexec_b64 s[0:1], s[0:1]
; %bb.84:
	v_add_co_u32_e32 v14, vcc, v1, v32
	v_addc_co_u32_e32 v15, vcc, 0, v16, vcc
; %bb.85:
	s_or_b64 exec, exec, s[0:1]
	v_lshlrev_b64 v[14:15], 2, v[14:15]
	v_mov_b32_e32 v33, s25
	v_add_co_u32_e32 v14, vcc, s24, v14
	v_addc_co_u32_e32 v15, vcc, v33, v15, vcc
	v_cmp_ge_u32_e32 vcc, v31, v18
	global_store_dword v[14:15], v13, off
                                        ; implicit-def: $vgpr14_vgpr15
	s_and_saveexec_b64 s[0:1], vcc
	s_xor_b64 s[0:1], exec, s[0:1]
; %bb.86:
	v_xor_b32_e32 v14, 0xfffffdff, v0
	v_ashrrev_i32_e32 v15, 31, v14
	v_add_co_u32_e32 v14, vcc, v19, v14
	v_addc_co_u32_e32 v15, vcc, v21, v15, vcc
; %bb.87:
	s_andn2_saveexec_b64 s[0:1], s[0:1]
; %bb.88:
	v_add_co_u32_e32 v14, vcc, v1, v31
	v_addc_co_u32_e32 v15, vcc, 0, v16, vcc
; %bb.89:
	s_or_b64 exec, exec, s[0:1]
	v_lshlrev_b64 v[14:15], 2, v[14:15]
	v_mov_b32_e32 v33, s25
	v_add_co_u32_e32 v14, vcc, s24, v14
	v_addc_co_u32_e32 v15, vcc, v33, v15, vcc
	v_cmp_ge_u32_e32 vcc, v30, v18
	s_waitcnt lgkmcnt(5)
	global_store_dword v[14:15], v10, off
                                        ; implicit-def: $vgpr14_vgpr15
	s_and_saveexec_b64 s[0:1], vcc
	s_xor_b64 s[0:1], exec, s[0:1]
; %bb.90:
	v_xor_b32_e32 v14, 0xfffffcff, v0
	v_ashrrev_i32_e32 v15, 31, v14
	v_add_co_u32_e32 v14, vcc, v19, v14
	v_addc_co_u32_e32 v15, vcc, v21, v15, vcc
; %bb.91:
	s_andn2_saveexec_b64 s[0:1], s[0:1]
; %bb.92:
	v_add_co_u32_e32 v14, vcc, v1, v30
	v_addc_co_u32_e32 v15, vcc, 0, v16, vcc
; %bb.93:
	s_or_b64 exec, exec, s[0:1]
	v_lshlrev_b64 v[14:15], 2, v[14:15]
	v_mov_b32_e32 v33, s25
	v_add_co_u32_e32 v14, vcc, s24, v14
	v_addc_co_u32_e32 v15, vcc, v33, v15, vcc
	v_cmp_ge_u32_e32 vcc, v29, v18
	global_store_dword v[14:15], v11, off
                                        ; implicit-def: $vgpr14_vgpr15
	s_and_saveexec_b64 s[0:1], vcc
	s_xor_b64 s[0:1], exec, s[0:1]
; %bb.94:
	v_xor_b32_e32 v14, 0xfffffbff, v0
	;; [unrolled: 43-line block ×6, first 2 shown]
	v_ashrrev_i32_e32 v15, 31, v14
	v_add_co_u32_e32 v14, vcc, v19, v14
	v_addc_co_u32_e32 v15, vcc, v21, v15, vcc
; %bb.127:
	s_andn2_saveexec_b64 s[0:1], s[0:1]
; %bb.128:
	v_add_co_u32_e32 v14, vcc, v1, v20
	v_addc_co_u32_e32 v15, vcc, 0, v16, vcc
; %bb.129:
	s_or_b64 exec, exec, s[0:1]
	s_mov_b64 s[0:1], -1
	s_branch .LBB897_210
.LBB897_130:
	s_mov_b64 s[0:1], 0
                                        ; implicit-def: $vgpr14_vgpr15
	s_cbranch_execz .LBB897_210
; %bb.131:
	v_cmp_gt_u32_e32 vcc, s33, v0
	s_and_saveexec_b64 s[2:3], vcc
	s_cbranch_execz .LBB897_167
; %bb.132:
	v_cmp_ge_u32_e32 vcc, v0, v18
                                        ; implicit-def: $vgpr14_vgpr15
	s_and_saveexec_b64 s[4:5], vcc
	s_xor_b64 s[4:5], exec, s[4:5]
; %bb.133:
	v_not_b32_e32 v14, v0
	v_ashrrev_i32_e32 v15, 31, v14
	v_add_co_u32_e32 v14, vcc, v19, v14
	v_addc_co_u32_e32 v15, vcc, v21, v15, vcc
; %bb.134:
	s_andn2_saveexec_b64 s[4:5], s[4:5]
; %bb.135:
	v_add_co_u32_e32 v14, vcc, v1, v0
	v_addc_co_u32_e32 v15, vcc, 0, v16, vcc
; %bb.136:
	s_or_b64 exec, exec, s[4:5]
	v_lshlrev_b64 v[14:15], 2, v[14:15]
	v_mov_b32_e32 v33, s25
	v_add_co_u32_e32 v14, vcc, s24, v14
	v_addc_co_u32_e32 v15, vcc, v33, v15, vcc
	s_waitcnt lgkmcnt(6)
	global_store_dword v[14:15], v12, off
	s_or_b64 exec, exec, s[2:3]
	v_cmp_gt_u32_e32 vcc, s33, v32
	s_and_saveexec_b64 s[2:3], vcc
	s_cbranch_execnz .LBB897_168
.LBB897_137:
	s_or_b64 exec, exec, s[2:3]
	v_cmp_gt_u32_e32 vcc, s33, v31
	s_and_saveexec_b64 s[2:3], vcc
	s_cbranch_execz .LBB897_173
.LBB897_138:
	v_cmp_ge_u32_e32 vcc, v31, v18
                                        ; implicit-def: $vgpr12_vgpr13
	s_and_saveexec_b64 s[4:5], vcc
	s_xor_b64 s[4:5], exec, s[4:5]
	s_cbranch_execz .LBB897_140
; %bb.139:
	s_waitcnt lgkmcnt(6)
	v_xor_b32_e32 v12, 0xfffffdff, v0
	v_ashrrev_i32_e32 v13, 31, v12
	v_add_co_u32_e32 v12, vcc, v19, v12
	v_addc_co_u32_e32 v13, vcc, v21, v13, vcc
                                        ; implicit-def: $vgpr31
.LBB897_140:
	s_andn2_saveexec_b64 s[4:5], s[4:5]
	s_cbranch_execz .LBB897_142
; %bb.141:
	s_waitcnt lgkmcnt(6)
	v_add_co_u32_e32 v12, vcc, v1, v31
	v_addc_co_u32_e32 v13, vcc, 0, v16, vcc
.LBB897_142:
	s_or_b64 exec, exec, s[4:5]
	s_waitcnt lgkmcnt(6)
	v_lshlrev_b64 v[12:13], 2, v[12:13]
	v_mov_b32_e32 v14, s25
	v_add_co_u32_e32 v12, vcc, s24, v12
	v_addc_co_u32_e32 v13, vcc, v14, v13, vcc
	s_waitcnt lgkmcnt(5)
	global_store_dword v[12:13], v10, off
	s_or_b64 exec, exec, s[2:3]
	v_cmp_gt_u32_e32 vcc, s33, v30
	s_and_saveexec_b64 s[2:3], vcc
	s_cbranch_execnz .LBB897_174
.LBB897_143:
	s_or_b64 exec, exec, s[2:3]
	v_cmp_gt_u32_e32 vcc, s33, v29
	s_and_saveexec_b64 s[2:3], vcc
	s_cbranch_execz .LBB897_179
.LBB897_144:
	v_cmp_ge_u32_e32 vcc, v29, v18
                                        ; implicit-def: $vgpr10_vgpr11
	s_and_saveexec_b64 s[4:5], vcc
	s_xor_b64 s[4:5], exec, s[4:5]
	s_cbranch_execz .LBB897_146
; %bb.145:
	s_waitcnt lgkmcnt(5)
	v_xor_b32_e32 v10, 0xfffffbff, v0
	v_ashrrev_i32_e32 v11, 31, v10
	v_add_co_u32_e32 v10, vcc, v19, v10
	v_addc_co_u32_e32 v11, vcc, v21, v11, vcc
                                        ; implicit-def: $vgpr29
.LBB897_146:
	s_andn2_saveexec_b64 s[4:5], s[4:5]
	s_cbranch_execz .LBB897_148
; %bb.147:
	s_waitcnt lgkmcnt(5)
	v_add_co_u32_e32 v10, vcc, v1, v29
	v_addc_co_u32_e32 v11, vcc, 0, v16, vcc
.LBB897_148:
	s_or_b64 exec, exec, s[4:5]
	s_waitcnt lgkmcnt(5)
	v_lshlrev_b64 v[10:11], 2, v[10:11]
	v_mov_b32_e32 v12, s25
	v_add_co_u32_e32 v10, vcc, s24, v10
	v_addc_co_u32_e32 v11, vcc, v12, v11, vcc
	s_waitcnt lgkmcnt(4)
	global_store_dword v[10:11], v8, off
	s_or_b64 exec, exec, s[2:3]
	v_cmp_gt_u32_e32 vcc, s33, v28
	s_and_saveexec_b64 s[2:3], vcc
	s_cbranch_execnz .LBB897_180
.LBB897_149:
	s_or_b64 exec, exec, s[2:3]
	v_cmp_gt_u32_e32 vcc, s33, v27
	s_and_saveexec_b64 s[2:3], vcc
	s_cbranch_execz .LBB897_185
.LBB897_150:
	v_cmp_ge_u32_e32 vcc, v27, v18
                                        ; implicit-def: $vgpr8_vgpr9
	s_and_saveexec_b64 s[4:5], vcc
	s_xor_b64 s[4:5], exec, s[4:5]
	s_cbranch_execz .LBB897_152
; %bb.151:
	s_waitcnt lgkmcnt(4)
	v_xor_b32_e32 v8, 0xfffff9ff, v0
	v_ashrrev_i32_e32 v9, 31, v8
	v_add_co_u32_e32 v8, vcc, v19, v8
	v_addc_co_u32_e32 v9, vcc, v21, v9, vcc
                                        ; implicit-def: $vgpr27
.LBB897_152:
	s_andn2_saveexec_b64 s[4:5], s[4:5]
	s_cbranch_execz .LBB897_154
; %bb.153:
	s_waitcnt lgkmcnt(4)
	v_add_co_u32_e32 v8, vcc, v1, v27
	v_addc_co_u32_e32 v9, vcc, 0, v16, vcc
.LBB897_154:
	s_or_b64 exec, exec, s[4:5]
	s_waitcnt lgkmcnt(4)
	v_lshlrev_b64 v[8:9], 2, v[8:9]
	v_mov_b32_e32 v10, s25
	v_add_co_u32_e32 v8, vcc, s24, v8
	v_addc_co_u32_e32 v9, vcc, v10, v9, vcc
	s_waitcnt lgkmcnt(3)
	global_store_dword v[8:9], v6, off
	s_or_b64 exec, exec, s[2:3]
	v_cmp_gt_u32_e32 vcc, s33, v26
	s_and_saveexec_b64 s[2:3], vcc
	s_cbranch_execnz .LBB897_186
.LBB897_155:
	s_or_b64 exec, exec, s[2:3]
	v_cmp_gt_u32_e32 vcc, s33, v25
	s_and_saveexec_b64 s[2:3], vcc
	s_cbranch_execz .LBB897_191
.LBB897_156:
	v_cmp_ge_u32_e32 vcc, v25, v18
                                        ; implicit-def: $vgpr6_vgpr7
	s_and_saveexec_b64 s[4:5], vcc
	s_xor_b64 s[4:5], exec, s[4:5]
	s_cbranch_execz .LBB897_158
; %bb.157:
	s_waitcnt lgkmcnt(3)
	v_xor_b32_e32 v6, 0xfffff7ff, v0
	v_ashrrev_i32_e32 v7, 31, v6
	v_add_co_u32_e32 v6, vcc, v19, v6
	v_addc_co_u32_e32 v7, vcc, v21, v7, vcc
                                        ; implicit-def: $vgpr25
.LBB897_158:
	s_andn2_saveexec_b64 s[4:5], s[4:5]
	s_cbranch_execz .LBB897_160
; %bb.159:
	s_waitcnt lgkmcnt(3)
	v_add_co_u32_e32 v6, vcc, v1, v25
	v_addc_co_u32_e32 v7, vcc, 0, v16, vcc
.LBB897_160:
	s_or_b64 exec, exec, s[4:5]
	s_waitcnt lgkmcnt(3)
	v_lshlrev_b64 v[6:7], 2, v[6:7]
	v_mov_b32_e32 v8, s25
	v_add_co_u32_e32 v6, vcc, s24, v6
	v_addc_co_u32_e32 v7, vcc, v8, v7, vcc
	s_waitcnt lgkmcnt(2)
	global_store_dword v[6:7], v4, off
	s_or_b64 exec, exec, s[2:3]
	v_cmp_gt_u32_e32 vcc, s33, v24
	s_and_saveexec_b64 s[2:3], vcc
	s_cbranch_execnz .LBB897_192
.LBB897_161:
	s_or_b64 exec, exec, s[2:3]
	v_cmp_gt_u32_e32 vcc, s33, v23
	s_and_saveexec_b64 s[2:3], vcc
	s_cbranch_execz .LBB897_197
.LBB897_162:
	v_cmp_ge_u32_e32 vcc, v23, v18
                                        ; implicit-def: $vgpr4_vgpr5
	s_and_saveexec_b64 s[4:5], vcc
	s_xor_b64 s[4:5], exec, s[4:5]
	s_cbranch_execz .LBB897_164
; %bb.163:
	s_waitcnt lgkmcnt(2)
	v_xor_b32_e32 v4, 0xfffff5ff, v0
	v_ashrrev_i32_e32 v5, 31, v4
	v_add_co_u32_e32 v4, vcc, v19, v4
	v_addc_co_u32_e32 v5, vcc, v21, v5, vcc
                                        ; implicit-def: $vgpr23
.LBB897_164:
	s_andn2_saveexec_b64 s[4:5], s[4:5]
	s_cbranch_execz .LBB897_166
; %bb.165:
	s_waitcnt lgkmcnt(2)
	v_add_co_u32_e32 v4, vcc, v1, v23
	v_addc_co_u32_e32 v5, vcc, 0, v16, vcc
.LBB897_166:
	s_or_b64 exec, exec, s[4:5]
	s_waitcnt lgkmcnt(2)
	v_lshlrev_b64 v[4:5], 2, v[4:5]
	v_mov_b32_e32 v6, s25
	v_add_co_u32_e32 v4, vcc, s24, v4
	v_addc_co_u32_e32 v5, vcc, v6, v5, vcc
	s_waitcnt lgkmcnt(1)
	global_store_dword v[4:5], v2, off
	s_or_b64 exec, exec, s[2:3]
	v_cmp_gt_u32_e32 vcc, s33, v22
	s_and_saveexec_b64 s[2:3], vcc
	s_cbranch_execz .LBB897_203
	s_branch .LBB897_198
.LBB897_167:
	s_or_b64 exec, exec, s[2:3]
	v_cmp_gt_u32_e32 vcc, s33, v32
	s_and_saveexec_b64 s[2:3], vcc
	s_cbranch_execz .LBB897_137
.LBB897_168:
	v_cmp_ge_u32_e32 vcc, v32, v18
                                        ; implicit-def: $vgpr14_vgpr15
	s_and_saveexec_b64 s[4:5], vcc
	s_xor_b64 s[4:5], exec, s[4:5]
	s_cbranch_execz .LBB897_170
; %bb.169:
	s_waitcnt lgkmcnt(6)
	v_xor_b32_e32 v12, 0xfffffeff, v0
	v_ashrrev_i32_e32 v15, 31, v12
	v_add_co_u32_e32 v14, vcc, v19, v12
	v_addc_co_u32_e32 v15, vcc, v21, v15, vcc
                                        ; implicit-def: $vgpr32
.LBB897_170:
	s_andn2_saveexec_b64 s[4:5], s[4:5]
; %bb.171:
	v_add_co_u32_e32 v14, vcc, v1, v32
	v_addc_co_u32_e32 v15, vcc, 0, v16, vcc
; %bb.172:
	s_or_b64 exec, exec, s[4:5]
	v_lshlrev_b64 v[14:15], 2, v[14:15]
	s_waitcnt lgkmcnt(6)
	v_mov_b32_e32 v12, s25
	v_add_co_u32_e32 v14, vcc, s24, v14
	v_addc_co_u32_e32 v15, vcc, v12, v15, vcc
	global_store_dword v[14:15], v13, off
	s_or_b64 exec, exec, s[2:3]
	v_cmp_gt_u32_e32 vcc, s33, v31
	s_and_saveexec_b64 s[2:3], vcc
	s_cbranch_execnz .LBB897_138
.LBB897_173:
	s_or_b64 exec, exec, s[2:3]
	v_cmp_gt_u32_e32 vcc, s33, v30
	s_and_saveexec_b64 s[2:3], vcc
	s_cbranch_execz .LBB897_143
.LBB897_174:
	v_cmp_ge_u32_e32 vcc, v30, v18
                                        ; implicit-def: $vgpr12_vgpr13
	s_and_saveexec_b64 s[4:5], vcc
	s_xor_b64 s[4:5], exec, s[4:5]
	s_cbranch_execz .LBB897_176
; %bb.175:
	s_waitcnt lgkmcnt(5)
	v_xor_b32_e32 v10, 0xfffffcff, v0
	v_ashrrev_i32_e32 v13, 31, v10
	v_add_co_u32_e32 v12, vcc, v19, v10
	v_addc_co_u32_e32 v13, vcc, v21, v13, vcc
                                        ; implicit-def: $vgpr30
.LBB897_176:
	s_andn2_saveexec_b64 s[4:5], s[4:5]
	s_cbranch_execz .LBB897_178
; %bb.177:
	s_waitcnt lgkmcnt(6)
	v_add_co_u32_e32 v12, vcc, v1, v30
	v_addc_co_u32_e32 v13, vcc, 0, v16, vcc
.LBB897_178:
	s_or_b64 exec, exec, s[4:5]
	s_waitcnt lgkmcnt(6)
	v_lshlrev_b64 v[12:13], 2, v[12:13]
	s_waitcnt lgkmcnt(5)
	v_mov_b32_e32 v10, s25
	v_add_co_u32_e32 v12, vcc, s24, v12
	v_addc_co_u32_e32 v13, vcc, v10, v13, vcc
	global_store_dword v[12:13], v11, off
	s_or_b64 exec, exec, s[2:3]
	v_cmp_gt_u32_e32 vcc, s33, v29
	s_and_saveexec_b64 s[2:3], vcc
	s_cbranch_execnz .LBB897_144
.LBB897_179:
	s_or_b64 exec, exec, s[2:3]
	v_cmp_gt_u32_e32 vcc, s33, v28
	s_and_saveexec_b64 s[2:3], vcc
	s_cbranch_execz .LBB897_149
.LBB897_180:
	v_cmp_ge_u32_e32 vcc, v28, v18
                                        ; implicit-def: $vgpr10_vgpr11
	s_and_saveexec_b64 s[4:5], vcc
	s_xor_b64 s[4:5], exec, s[4:5]
	s_cbranch_execz .LBB897_182
; %bb.181:
	s_waitcnt lgkmcnt(4)
	v_xor_b32_e32 v8, 0xfffffaff, v0
	v_ashrrev_i32_e32 v11, 31, v8
	v_add_co_u32_e32 v10, vcc, v19, v8
	v_addc_co_u32_e32 v11, vcc, v21, v11, vcc
                                        ; implicit-def: $vgpr28
.LBB897_182:
	s_andn2_saveexec_b64 s[4:5], s[4:5]
	s_cbranch_execz .LBB897_184
; %bb.183:
	s_waitcnt lgkmcnt(5)
	v_add_co_u32_e32 v10, vcc, v1, v28
	v_addc_co_u32_e32 v11, vcc, 0, v16, vcc
.LBB897_184:
	s_or_b64 exec, exec, s[4:5]
	s_waitcnt lgkmcnt(5)
	v_lshlrev_b64 v[10:11], 2, v[10:11]
	s_waitcnt lgkmcnt(4)
	v_mov_b32_e32 v8, s25
	v_add_co_u32_e32 v10, vcc, s24, v10
	v_addc_co_u32_e32 v11, vcc, v8, v11, vcc
	global_store_dword v[10:11], v9, off
	s_or_b64 exec, exec, s[2:3]
	v_cmp_gt_u32_e32 vcc, s33, v27
	s_and_saveexec_b64 s[2:3], vcc
	s_cbranch_execnz .LBB897_150
.LBB897_185:
	s_or_b64 exec, exec, s[2:3]
	v_cmp_gt_u32_e32 vcc, s33, v26
	s_and_saveexec_b64 s[2:3], vcc
	s_cbranch_execz .LBB897_155
.LBB897_186:
	v_cmp_ge_u32_e32 vcc, v26, v18
                                        ; implicit-def: $vgpr8_vgpr9
	s_and_saveexec_b64 s[4:5], vcc
	s_xor_b64 s[4:5], exec, s[4:5]
	s_cbranch_execz .LBB897_188
; %bb.187:
	s_waitcnt lgkmcnt(3)
	v_xor_b32_e32 v6, 0xfffff8ff, v0
	v_ashrrev_i32_e32 v9, 31, v6
	v_add_co_u32_e32 v8, vcc, v19, v6
	v_addc_co_u32_e32 v9, vcc, v21, v9, vcc
                                        ; implicit-def: $vgpr26
.LBB897_188:
	s_andn2_saveexec_b64 s[4:5], s[4:5]
	s_cbranch_execz .LBB897_190
; %bb.189:
	s_waitcnt lgkmcnt(4)
	v_add_co_u32_e32 v8, vcc, v1, v26
	v_addc_co_u32_e32 v9, vcc, 0, v16, vcc
.LBB897_190:
	s_or_b64 exec, exec, s[4:5]
	s_waitcnt lgkmcnt(4)
	v_lshlrev_b64 v[8:9], 2, v[8:9]
	s_waitcnt lgkmcnt(3)
	v_mov_b32_e32 v6, s25
	v_add_co_u32_e32 v8, vcc, s24, v8
	v_addc_co_u32_e32 v9, vcc, v6, v9, vcc
	global_store_dword v[8:9], v7, off
	s_or_b64 exec, exec, s[2:3]
	v_cmp_gt_u32_e32 vcc, s33, v25
	s_and_saveexec_b64 s[2:3], vcc
	s_cbranch_execnz .LBB897_156
.LBB897_191:
	s_or_b64 exec, exec, s[2:3]
	v_cmp_gt_u32_e32 vcc, s33, v24
	s_and_saveexec_b64 s[2:3], vcc
	s_cbranch_execz .LBB897_161
.LBB897_192:
	v_cmp_ge_u32_e32 vcc, v24, v18
                                        ; implicit-def: $vgpr6_vgpr7
	s_and_saveexec_b64 s[4:5], vcc
	s_xor_b64 s[4:5], exec, s[4:5]
	s_cbranch_execz .LBB897_194
; %bb.193:
	s_waitcnt lgkmcnt(2)
	v_xor_b32_e32 v4, 0xfffff6ff, v0
	v_ashrrev_i32_e32 v7, 31, v4
	v_add_co_u32_e32 v6, vcc, v19, v4
	v_addc_co_u32_e32 v7, vcc, v21, v7, vcc
                                        ; implicit-def: $vgpr24
.LBB897_194:
	s_andn2_saveexec_b64 s[4:5], s[4:5]
	s_cbranch_execz .LBB897_196
; %bb.195:
	s_waitcnt lgkmcnt(3)
	v_add_co_u32_e32 v6, vcc, v1, v24
	v_addc_co_u32_e32 v7, vcc, 0, v16, vcc
.LBB897_196:
	s_or_b64 exec, exec, s[4:5]
	s_waitcnt lgkmcnt(3)
	v_lshlrev_b64 v[6:7], 2, v[6:7]
	s_waitcnt lgkmcnt(2)
	v_mov_b32_e32 v4, s25
	v_add_co_u32_e32 v6, vcc, s24, v6
	v_addc_co_u32_e32 v7, vcc, v4, v7, vcc
	global_store_dword v[6:7], v5, off
	s_or_b64 exec, exec, s[2:3]
	v_cmp_gt_u32_e32 vcc, s33, v23
	s_and_saveexec_b64 s[2:3], vcc
	s_cbranch_execnz .LBB897_162
.LBB897_197:
	s_or_b64 exec, exec, s[2:3]
	v_cmp_gt_u32_e32 vcc, s33, v22
	s_and_saveexec_b64 s[2:3], vcc
	s_cbranch_execz .LBB897_203
.LBB897_198:
	v_cmp_ge_u32_e32 vcc, v22, v18
                                        ; implicit-def: $vgpr4_vgpr5
	s_and_saveexec_b64 s[4:5], vcc
	s_xor_b64 s[4:5], exec, s[4:5]
	s_cbranch_execz .LBB897_200
; %bb.199:
	s_waitcnt lgkmcnt(1)
	v_xor_b32_e32 v2, 0xfffff4ff, v0
	v_ashrrev_i32_e32 v5, 31, v2
	v_add_co_u32_e32 v4, vcc, v19, v2
	v_addc_co_u32_e32 v5, vcc, v21, v5, vcc
                                        ; implicit-def: $vgpr22
.LBB897_200:
	s_andn2_saveexec_b64 s[4:5], s[4:5]
	s_cbranch_execz .LBB897_202
; %bb.201:
	s_waitcnt lgkmcnt(2)
	v_add_co_u32_e32 v4, vcc, v1, v22
	v_addc_co_u32_e32 v5, vcc, 0, v16, vcc
.LBB897_202:
	s_or_b64 exec, exec, s[4:5]
	s_waitcnt lgkmcnt(2)
	v_lshlrev_b64 v[4:5], 2, v[4:5]
	s_waitcnt lgkmcnt(1)
	v_mov_b32_e32 v2, s25
	v_add_co_u32_e32 v4, vcc, s24, v4
	v_addc_co_u32_e32 v5, vcc, v2, v5, vcc
	global_store_dword v[4:5], v3, off
.LBB897_203:
	s_or_b64 exec, exec, s[2:3]
	v_cmp_gt_u32_e32 vcc, s33, v20
                                        ; implicit-def: $vgpr14_vgpr15
	s_and_saveexec_b64 s[2:3], vcc
	s_cbranch_execz .LBB897_209
; %bb.204:
	v_cmp_ge_u32_e32 vcc, v20, v18
                                        ; implicit-def: $vgpr14_vgpr15
	s_and_saveexec_b64 s[4:5], vcc
	s_xor_b64 s[4:5], exec, s[4:5]
	s_cbranch_execz .LBB897_206
; %bb.205:
	s_waitcnt lgkmcnt(1)
	v_xor_b32_e32 v2, 0xfffff3ff, v0
	v_ashrrev_i32_e32 v3, 31, v2
	v_add_co_u32_e32 v14, vcc, v19, v2
	v_addc_co_u32_e32 v15, vcc, v21, v3, vcc
                                        ; implicit-def: $vgpr20
.LBB897_206:
	s_andn2_saveexec_b64 s[4:5], s[4:5]
; %bb.207:
	v_add_co_u32_e32 v14, vcc, v1, v20
	v_addc_co_u32_e32 v15, vcc, 0, v16, vcc
; %bb.208:
	s_or_b64 exec, exec, s[4:5]
	s_or_b64 s[0:1], s[0:1], exec
.LBB897_209:
	s_or_b64 exec, exec, s[2:3]
.LBB897_210:
	s_and_saveexec_b64 s[2:3], s[0:1]
	s_cbranch_execz .LBB897_212
; %bb.211:
	s_waitcnt lgkmcnt(1)
	v_lshlrev_b64 v[2:3], 2, v[14:15]
	v_mov_b32_e32 v4, s25
	v_add_co_u32_e32 v2, vcc, s24, v2
	v_addc_co_u32_e32 v3, vcc, v4, v3, vcc
	s_waitcnt lgkmcnt(0)
	global_store_dword v[2:3], v17, off
.LBB897_212:
	s_or_b64 exec, exec, s[2:3]
	v_cmp_eq_u32_e32 vcc, 0, v0
	s_and_b64 s[0:1], vcc, s[22:23]
	s_and_saveexec_b64 s[2:3], s[0:1]
	s_cbranch_execz .LBB897_214
; %bb.213:
	v_add_co_u32_e32 v0, vcc, v1, v18
	s_waitcnt lgkmcnt(1)
	v_mov_b32_e32 v2, 0
	v_addc_co_u32_e32 v1, vcc, 0, v16, vcc
	global_store_dwordx2 v2, v[0:1], s[20:21]
.LBB897_214:
	s_endpgm
	.section	.rodata,"a",@progbits
	.p2align	6, 0x0
	.amdhsa_kernel _ZN7rocprim17ROCPRIM_400000_NS6detail17trampoline_kernelINS0_13select_configILj256ELj13ELNS0_17block_load_methodE3ELS4_3ELS4_3ELNS0_20block_scan_algorithmE0ELj4294967295EEENS1_25partition_config_selectorILNS1_17partition_subalgoE3EjNS0_10empty_typeEbEEZZNS1_14partition_implILS8_3ELb0ES6_jNS0_17counting_iteratorIjlEEPS9_SE_NS0_5tupleIJPjSE_EEENSF_IJSE_SE_EEES9_SG_JZNS1_25segmented_radix_sort_implINS0_14default_configELb1EPKsPsPKlPlN2at6native12_GLOBAL__N_18offset_tEEE10hipError_tPvRmT1_PNSt15iterator_traitsISY_E10value_typeET2_T3_PNSZ_IS14_E10value_typeET4_jRbjT5_S1A_jjP12ihipStream_tbEUljE_EEESV_SW_SX_S14_S18_S1A_T6_T7_T9_mT8_S1C_bDpT10_ENKUlT_T0_E_clISt17integral_constantIbLb1EES1O_IbLb0EEEEDaS1K_S1L_EUlS1K_E_NS1_11comp_targetILNS1_3genE4ELNS1_11target_archE910ELNS1_3gpuE8ELNS1_3repE0EEENS1_30default_config_static_selectorELNS0_4arch9wavefront6targetE1EEEvSY_
		.amdhsa_group_segment_fixed_size 13324
		.amdhsa_private_segment_fixed_size 0
		.amdhsa_kernarg_size 144
		.amdhsa_user_sgpr_count 6
		.amdhsa_user_sgpr_private_segment_buffer 1
		.amdhsa_user_sgpr_dispatch_ptr 0
		.amdhsa_user_sgpr_queue_ptr 0
		.amdhsa_user_sgpr_kernarg_segment_ptr 1
		.amdhsa_user_sgpr_dispatch_id 0
		.amdhsa_user_sgpr_flat_scratch_init 0
		.amdhsa_user_sgpr_kernarg_preload_length 0
		.amdhsa_user_sgpr_kernarg_preload_offset 0
		.amdhsa_user_sgpr_private_segment_size 0
		.amdhsa_uses_dynamic_stack 0
		.amdhsa_system_sgpr_private_segment_wavefront_offset 0
		.amdhsa_system_sgpr_workgroup_id_x 1
		.amdhsa_system_sgpr_workgroup_id_y 0
		.amdhsa_system_sgpr_workgroup_id_z 0
		.amdhsa_system_sgpr_workgroup_info 0
		.amdhsa_system_vgpr_workitem_id 0
		.amdhsa_next_free_vgpr 61
		.amdhsa_next_free_sgpr 46
		.amdhsa_accum_offset 64
		.amdhsa_reserve_vcc 1
		.amdhsa_reserve_flat_scratch 0
		.amdhsa_float_round_mode_32 0
		.amdhsa_float_round_mode_16_64 0
		.amdhsa_float_denorm_mode_32 3
		.amdhsa_float_denorm_mode_16_64 3
		.amdhsa_dx10_clamp 1
		.amdhsa_ieee_mode 1
		.amdhsa_fp16_overflow 0
		.amdhsa_tg_split 0
		.amdhsa_exception_fp_ieee_invalid_op 0
		.amdhsa_exception_fp_denorm_src 0
		.amdhsa_exception_fp_ieee_div_zero 0
		.amdhsa_exception_fp_ieee_overflow 0
		.amdhsa_exception_fp_ieee_underflow 0
		.amdhsa_exception_fp_ieee_inexact 0
		.amdhsa_exception_int_div_zero 0
	.end_amdhsa_kernel
	.section	.text._ZN7rocprim17ROCPRIM_400000_NS6detail17trampoline_kernelINS0_13select_configILj256ELj13ELNS0_17block_load_methodE3ELS4_3ELS4_3ELNS0_20block_scan_algorithmE0ELj4294967295EEENS1_25partition_config_selectorILNS1_17partition_subalgoE3EjNS0_10empty_typeEbEEZZNS1_14partition_implILS8_3ELb0ES6_jNS0_17counting_iteratorIjlEEPS9_SE_NS0_5tupleIJPjSE_EEENSF_IJSE_SE_EEES9_SG_JZNS1_25segmented_radix_sort_implINS0_14default_configELb1EPKsPsPKlPlN2at6native12_GLOBAL__N_18offset_tEEE10hipError_tPvRmT1_PNSt15iterator_traitsISY_E10value_typeET2_T3_PNSZ_IS14_E10value_typeET4_jRbjT5_S1A_jjP12ihipStream_tbEUljE_EEESV_SW_SX_S14_S18_S1A_T6_T7_T9_mT8_S1C_bDpT10_ENKUlT_T0_E_clISt17integral_constantIbLb1EES1O_IbLb0EEEEDaS1K_S1L_EUlS1K_E_NS1_11comp_targetILNS1_3genE4ELNS1_11target_archE910ELNS1_3gpuE8ELNS1_3repE0EEENS1_30default_config_static_selectorELNS0_4arch9wavefront6targetE1EEEvSY_,"axG",@progbits,_ZN7rocprim17ROCPRIM_400000_NS6detail17trampoline_kernelINS0_13select_configILj256ELj13ELNS0_17block_load_methodE3ELS4_3ELS4_3ELNS0_20block_scan_algorithmE0ELj4294967295EEENS1_25partition_config_selectorILNS1_17partition_subalgoE3EjNS0_10empty_typeEbEEZZNS1_14partition_implILS8_3ELb0ES6_jNS0_17counting_iteratorIjlEEPS9_SE_NS0_5tupleIJPjSE_EEENSF_IJSE_SE_EEES9_SG_JZNS1_25segmented_radix_sort_implINS0_14default_configELb1EPKsPsPKlPlN2at6native12_GLOBAL__N_18offset_tEEE10hipError_tPvRmT1_PNSt15iterator_traitsISY_E10value_typeET2_T3_PNSZ_IS14_E10value_typeET4_jRbjT5_S1A_jjP12ihipStream_tbEUljE_EEESV_SW_SX_S14_S18_S1A_T6_T7_T9_mT8_S1C_bDpT10_ENKUlT_T0_E_clISt17integral_constantIbLb1EES1O_IbLb0EEEEDaS1K_S1L_EUlS1K_E_NS1_11comp_targetILNS1_3genE4ELNS1_11target_archE910ELNS1_3gpuE8ELNS1_3repE0EEENS1_30default_config_static_selectorELNS0_4arch9wavefront6targetE1EEEvSY_,comdat
.Lfunc_end897:
	.size	_ZN7rocprim17ROCPRIM_400000_NS6detail17trampoline_kernelINS0_13select_configILj256ELj13ELNS0_17block_load_methodE3ELS4_3ELS4_3ELNS0_20block_scan_algorithmE0ELj4294967295EEENS1_25partition_config_selectorILNS1_17partition_subalgoE3EjNS0_10empty_typeEbEEZZNS1_14partition_implILS8_3ELb0ES6_jNS0_17counting_iteratorIjlEEPS9_SE_NS0_5tupleIJPjSE_EEENSF_IJSE_SE_EEES9_SG_JZNS1_25segmented_radix_sort_implINS0_14default_configELb1EPKsPsPKlPlN2at6native12_GLOBAL__N_18offset_tEEE10hipError_tPvRmT1_PNSt15iterator_traitsISY_E10value_typeET2_T3_PNSZ_IS14_E10value_typeET4_jRbjT5_S1A_jjP12ihipStream_tbEUljE_EEESV_SW_SX_S14_S18_S1A_T6_T7_T9_mT8_S1C_bDpT10_ENKUlT_T0_E_clISt17integral_constantIbLb1EES1O_IbLb0EEEEDaS1K_S1L_EUlS1K_E_NS1_11comp_targetILNS1_3genE4ELNS1_11target_archE910ELNS1_3gpuE8ELNS1_3repE0EEENS1_30default_config_static_selectorELNS0_4arch9wavefront6targetE1EEEvSY_, .Lfunc_end897-_ZN7rocprim17ROCPRIM_400000_NS6detail17trampoline_kernelINS0_13select_configILj256ELj13ELNS0_17block_load_methodE3ELS4_3ELS4_3ELNS0_20block_scan_algorithmE0ELj4294967295EEENS1_25partition_config_selectorILNS1_17partition_subalgoE3EjNS0_10empty_typeEbEEZZNS1_14partition_implILS8_3ELb0ES6_jNS0_17counting_iteratorIjlEEPS9_SE_NS0_5tupleIJPjSE_EEENSF_IJSE_SE_EEES9_SG_JZNS1_25segmented_radix_sort_implINS0_14default_configELb1EPKsPsPKlPlN2at6native12_GLOBAL__N_18offset_tEEE10hipError_tPvRmT1_PNSt15iterator_traitsISY_E10value_typeET2_T3_PNSZ_IS14_E10value_typeET4_jRbjT5_S1A_jjP12ihipStream_tbEUljE_EEESV_SW_SX_S14_S18_S1A_T6_T7_T9_mT8_S1C_bDpT10_ENKUlT_T0_E_clISt17integral_constantIbLb1EES1O_IbLb0EEEEDaS1K_S1L_EUlS1K_E_NS1_11comp_targetILNS1_3genE4ELNS1_11target_archE910ELNS1_3gpuE8ELNS1_3repE0EEENS1_30default_config_static_selectorELNS0_4arch9wavefront6targetE1EEEvSY_
                                        ; -- End function
	.section	.AMDGPU.csdata,"",@progbits
; Kernel info:
; codeLenInByte = 7756
; NumSgprs: 50
; NumVgprs: 61
; NumAgprs: 0
; TotalNumVgprs: 61
; ScratchSize: 0
; MemoryBound: 0
; FloatMode: 240
; IeeeMode: 1
; LDSByteSize: 13324 bytes/workgroup (compile time only)
; SGPRBlocks: 6
; VGPRBlocks: 7
; NumSGPRsForWavesPerEU: 50
; NumVGPRsForWavesPerEU: 61
; AccumOffset: 64
; Occupancy: 4
; WaveLimiterHint : 0
; COMPUTE_PGM_RSRC2:SCRATCH_EN: 0
; COMPUTE_PGM_RSRC2:USER_SGPR: 6
; COMPUTE_PGM_RSRC2:TRAP_HANDLER: 0
; COMPUTE_PGM_RSRC2:TGID_X_EN: 1
; COMPUTE_PGM_RSRC2:TGID_Y_EN: 0
; COMPUTE_PGM_RSRC2:TGID_Z_EN: 0
; COMPUTE_PGM_RSRC2:TIDIG_COMP_CNT: 0
; COMPUTE_PGM_RSRC3_GFX90A:ACCUM_OFFSET: 15
; COMPUTE_PGM_RSRC3_GFX90A:TG_SPLIT: 0
	.section	.text._ZN7rocprim17ROCPRIM_400000_NS6detail17trampoline_kernelINS0_13select_configILj256ELj13ELNS0_17block_load_methodE3ELS4_3ELS4_3ELNS0_20block_scan_algorithmE0ELj4294967295EEENS1_25partition_config_selectorILNS1_17partition_subalgoE3EjNS0_10empty_typeEbEEZZNS1_14partition_implILS8_3ELb0ES6_jNS0_17counting_iteratorIjlEEPS9_SE_NS0_5tupleIJPjSE_EEENSF_IJSE_SE_EEES9_SG_JZNS1_25segmented_radix_sort_implINS0_14default_configELb1EPKsPsPKlPlN2at6native12_GLOBAL__N_18offset_tEEE10hipError_tPvRmT1_PNSt15iterator_traitsISY_E10value_typeET2_T3_PNSZ_IS14_E10value_typeET4_jRbjT5_S1A_jjP12ihipStream_tbEUljE_EEESV_SW_SX_S14_S18_S1A_T6_T7_T9_mT8_S1C_bDpT10_ENKUlT_T0_E_clISt17integral_constantIbLb1EES1O_IbLb0EEEEDaS1K_S1L_EUlS1K_E_NS1_11comp_targetILNS1_3genE3ELNS1_11target_archE908ELNS1_3gpuE7ELNS1_3repE0EEENS1_30default_config_static_selectorELNS0_4arch9wavefront6targetE1EEEvSY_,"axG",@progbits,_ZN7rocprim17ROCPRIM_400000_NS6detail17trampoline_kernelINS0_13select_configILj256ELj13ELNS0_17block_load_methodE3ELS4_3ELS4_3ELNS0_20block_scan_algorithmE0ELj4294967295EEENS1_25partition_config_selectorILNS1_17partition_subalgoE3EjNS0_10empty_typeEbEEZZNS1_14partition_implILS8_3ELb0ES6_jNS0_17counting_iteratorIjlEEPS9_SE_NS0_5tupleIJPjSE_EEENSF_IJSE_SE_EEES9_SG_JZNS1_25segmented_radix_sort_implINS0_14default_configELb1EPKsPsPKlPlN2at6native12_GLOBAL__N_18offset_tEEE10hipError_tPvRmT1_PNSt15iterator_traitsISY_E10value_typeET2_T3_PNSZ_IS14_E10value_typeET4_jRbjT5_S1A_jjP12ihipStream_tbEUljE_EEESV_SW_SX_S14_S18_S1A_T6_T7_T9_mT8_S1C_bDpT10_ENKUlT_T0_E_clISt17integral_constantIbLb1EES1O_IbLb0EEEEDaS1K_S1L_EUlS1K_E_NS1_11comp_targetILNS1_3genE3ELNS1_11target_archE908ELNS1_3gpuE7ELNS1_3repE0EEENS1_30default_config_static_selectorELNS0_4arch9wavefront6targetE1EEEvSY_,comdat
	.globl	_ZN7rocprim17ROCPRIM_400000_NS6detail17trampoline_kernelINS0_13select_configILj256ELj13ELNS0_17block_load_methodE3ELS4_3ELS4_3ELNS0_20block_scan_algorithmE0ELj4294967295EEENS1_25partition_config_selectorILNS1_17partition_subalgoE3EjNS0_10empty_typeEbEEZZNS1_14partition_implILS8_3ELb0ES6_jNS0_17counting_iteratorIjlEEPS9_SE_NS0_5tupleIJPjSE_EEENSF_IJSE_SE_EEES9_SG_JZNS1_25segmented_radix_sort_implINS0_14default_configELb1EPKsPsPKlPlN2at6native12_GLOBAL__N_18offset_tEEE10hipError_tPvRmT1_PNSt15iterator_traitsISY_E10value_typeET2_T3_PNSZ_IS14_E10value_typeET4_jRbjT5_S1A_jjP12ihipStream_tbEUljE_EEESV_SW_SX_S14_S18_S1A_T6_T7_T9_mT8_S1C_bDpT10_ENKUlT_T0_E_clISt17integral_constantIbLb1EES1O_IbLb0EEEEDaS1K_S1L_EUlS1K_E_NS1_11comp_targetILNS1_3genE3ELNS1_11target_archE908ELNS1_3gpuE7ELNS1_3repE0EEENS1_30default_config_static_selectorELNS0_4arch9wavefront6targetE1EEEvSY_ ; -- Begin function _ZN7rocprim17ROCPRIM_400000_NS6detail17trampoline_kernelINS0_13select_configILj256ELj13ELNS0_17block_load_methodE3ELS4_3ELS4_3ELNS0_20block_scan_algorithmE0ELj4294967295EEENS1_25partition_config_selectorILNS1_17partition_subalgoE3EjNS0_10empty_typeEbEEZZNS1_14partition_implILS8_3ELb0ES6_jNS0_17counting_iteratorIjlEEPS9_SE_NS0_5tupleIJPjSE_EEENSF_IJSE_SE_EEES9_SG_JZNS1_25segmented_radix_sort_implINS0_14default_configELb1EPKsPsPKlPlN2at6native12_GLOBAL__N_18offset_tEEE10hipError_tPvRmT1_PNSt15iterator_traitsISY_E10value_typeET2_T3_PNSZ_IS14_E10value_typeET4_jRbjT5_S1A_jjP12ihipStream_tbEUljE_EEESV_SW_SX_S14_S18_S1A_T6_T7_T9_mT8_S1C_bDpT10_ENKUlT_T0_E_clISt17integral_constantIbLb1EES1O_IbLb0EEEEDaS1K_S1L_EUlS1K_E_NS1_11comp_targetILNS1_3genE3ELNS1_11target_archE908ELNS1_3gpuE7ELNS1_3repE0EEENS1_30default_config_static_selectorELNS0_4arch9wavefront6targetE1EEEvSY_
	.p2align	8
	.type	_ZN7rocprim17ROCPRIM_400000_NS6detail17trampoline_kernelINS0_13select_configILj256ELj13ELNS0_17block_load_methodE3ELS4_3ELS4_3ELNS0_20block_scan_algorithmE0ELj4294967295EEENS1_25partition_config_selectorILNS1_17partition_subalgoE3EjNS0_10empty_typeEbEEZZNS1_14partition_implILS8_3ELb0ES6_jNS0_17counting_iteratorIjlEEPS9_SE_NS0_5tupleIJPjSE_EEENSF_IJSE_SE_EEES9_SG_JZNS1_25segmented_radix_sort_implINS0_14default_configELb1EPKsPsPKlPlN2at6native12_GLOBAL__N_18offset_tEEE10hipError_tPvRmT1_PNSt15iterator_traitsISY_E10value_typeET2_T3_PNSZ_IS14_E10value_typeET4_jRbjT5_S1A_jjP12ihipStream_tbEUljE_EEESV_SW_SX_S14_S18_S1A_T6_T7_T9_mT8_S1C_bDpT10_ENKUlT_T0_E_clISt17integral_constantIbLb1EES1O_IbLb0EEEEDaS1K_S1L_EUlS1K_E_NS1_11comp_targetILNS1_3genE3ELNS1_11target_archE908ELNS1_3gpuE7ELNS1_3repE0EEENS1_30default_config_static_selectorELNS0_4arch9wavefront6targetE1EEEvSY_,@function
_ZN7rocprim17ROCPRIM_400000_NS6detail17trampoline_kernelINS0_13select_configILj256ELj13ELNS0_17block_load_methodE3ELS4_3ELS4_3ELNS0_20block_scan_algorithmE0ELj4294967295EEENS1_25partition_config_selectorILNS1_17partition_subalgoE3EjNS0_10empty_typeEbEEZZNS1_14partition_implILS8_3ELb0ES6_jNS0_17counting_iteratorIjlEEPS9_SE_NS0_5tupleIJPjSE_EEENSF_IJSE_SE_EEES9_SG_JZNS1_25segmented_radix_sort_implINS0_14default_configELb1EPKsPsPKlPlN2at6native12_GLOBAL__N_18offset_tEEE10hipError_tPvRmT1_PNSt15iterator_traitsISY_E10value_typeET2_T3_PNSZ_IS14_E10value_typeET4_jRbjT5_S1A_jjP12ihipStream_tbEUljE_EEESV_SW_SX_S14_S18_S1A_T6_T7_T9_mT8_S1C_bDpT10_ENKUlT_T0_E_clISt17integral_constantIbLb1EES1O_IbLb0EEEEDaS1K_S1L_EUlS1K_E_NS1_11comp_targetILNS1_3genE3ELNS1_11target_archE908ELNS1_3gpuE7ELNS1_3repE0EEENS1_30default_config_static_selectorELNS0_4arch9wavefront6targetE1EEEvSY_: ; @_ZN7rocprim17ROCPRIM_400000_NS6detail17trampoline_kernelINS0_13select_configILj256ELj13ELNS0_17block_load_methodE3ELS4_3ELS4_3ELNS0_20block_scan_algorithmE0ELj4294967295EEENS1_25partition_config_selectorILNS1_17partition_subalgoE3EjNS0_10empty_typeEbEEZZNS1_14partition_implILS8_3ELb0ES6_jNS0_17counting_iteratorIjlEEPS9_SE_NS0_5tupleIJPjSE_EEENSF_IJSE_SE_EEES9_SG_JZNS1_25segmented_radix_sort_implINS0_14default_configELb1EPKsPsPKlPlN2at6native12_GLOBAL__N_18offset_tEEE10hipError_tPvRmT1_PNSt15iterator_traitsISY_E10value_typeET2_T3_PNSZ_IS14_E10value_typeET4_jRbjT5_S1A_jjP12ihipStream_tbEUljE_EEESV_SW_SX_S14_S18_S1A_T6_T7_T9_mT8_S1C_bDpT10_ENKUlT_T0_E_clISt17integral_constantIbLb1EES1O_IbLb0EEEEDaS1K_S1L_EUlS1K_E_NS1_11comp_targetILNS1_3genE3ELNS1_11target_archE908ELNS1_3gpuE7ELNS1_3repE0EEENS1_30default_config_static_selectorELNS0_4arch9wavefront6targetE1EEEvSY_
; %bb.0:
	.section	.rodata,"a",@progbits
	.p2align	6, 0x0
	.amdhsa_kernel _ZN7rocprim17ROCPRIM_400000_NS6detail17trampoline_kernelINS0_13select_configILj256ELj13ELNS0_17block_load_methodE3ELS4_3ELS4_3ELNS0_20block_scan_algorithmE0ELj4294967295EEENS1_25partition_config_selectorILNS1_17partition_subalgoE3EjNS0_10empty_typeEbEEZZNS1_14partition_implILS8_3ELb0ES6_jNS0_17counting_iteratorIjlEEPS9_SE_NS0_5tupleIJPjSE_EEENSF_IJSE_SE_EEES9_SG_JZNS1_25segmented_radix_sort_implINS0_14default_configELb1EPKsPsPKlPlN2at6native12_GLOBAL__N_18offset_tEEE10hipError_tPvRmT1_PNSt15iterator_traitsISY_E10value_typeET2_T3_PNSZ_IS14_E10value_typeET4_jRbjT5_S1A_jjP12ihipStream_tbEUljE_EEESV_SW_SX_S14_S18_S1A_T6_T7_T9_mT8_S1C_bDpT10_ENKUlT_T0_E_clISt17integral_constantIbLb1EES1O_IbLb0EEEEDaS1K_S1L_EUlS1K_E_NS1_11comp_targetILNS1_3genE3ELNS1_11target_archE908ELNS1_3gpuE7ELNS1_3repE0EEENS1_30default_config_static_selectorELNS0_4arch9wavefront6targetE1EEEvSY_
		.amdhsa_group_segment_fixed_size 0
		.amdhsa_private_segment_fixed_size 0
		.amdhsa_kernarg_size 144
		.amdhsa_user_sgpr_count 6
		.amdhsa_user_sgpr_private_segment_buffer 1
		.amdhsa_user_sgpr_dispatch_ptr 0
		.amdhsa_user_sgpr_queue_ptr 0
		.amdhsa_user_sgpr_kernarg_segment_ptr 1
		.amdhsa_user_sgpr_dispatch_id 0
		.amdhsa_user_sgpr_flat_scratch_init 0
		.amdhsa_user_sgpr_kernarg_preload_length 0
		.amdhsa_user_sgpr_kernarg_preload_offset 0
		.amdhsa_user_sgpr_private_segment_size 0
		.amdhsa_uses_dynamic_stack 0
		.amdhsa_system_sgpr_private_segment_wavefront_offset 0
		.amdhsa_system_sgpr_workgroup_id_x 1
		.amdhsa_system_sgpr_workgroup_id_y 0
		.amdhsa_system_sgpr_workgroup_id_z 0
		.amdhsa_system_sgpr_workgroup_info 0
		.amdhsa_system_vgpr_workitem_id 0
		.amdhsa_next_free_vgpr 1
		.amdhsa_next_free_sgpr 0
		.amdhsa_accum_offset 4
		.amdhsa_reserve_vcc 0
		.amdhsa_reserve_flat_scratch 0
		.amdhsa_float_round_mode_32 0
		.amdhsa_float_round_mode_16_64 0
		.amdhsa_float_denorm_mode_32 3
		.amdhsa_float_denorm_mode_16_64 3
		.amdhsa_dx10_clamp 1
		.amdhsa_ieee_mode 1
		.amdhsa_fp16_overflow 0
		.amdhsa_tg_split 0
		.amdhsa_exception_fp_ieee_invalid_op 0
		.amdhsa_exception_fp_denorm_src 0
		.amdhsa_exception_fp_ieee_div_zero 0
		.amdhsa_exception_fp_ieee_overflow 0
		.amdhsa_exception_fp_ieee_underflow 0
		.amdhsa_exception_fp_ieee_inexact 0
		.amdhsa_exception_int_div_zero 0
	.end_amdhsa_kernel
	.section	.text._ZN7rocprim17ROCPRIM_400000_NS6detail17trampoline_kernelINS0_13select_configILj256ELj13ELNS0_17block_load_methodE3ELS4_3ELS4_3ELNS0_20block_scan_algorithmE0ELj4294967295EEENS1_25partition_config_selectorILNS1_17partition_subalgoE3EjNS0_10empty_typeEbEEZZNS1_14partition_implILS8_3ELb0ES6_jNS0_17counting_iteratorIjlEEPS9_SE_NS0_5tupleIJPjSE_EEENSF_IJSE_SE_EEES9_SG_JZNS1_25segmented_radix_sort_implINS0_14default_configELb1EPKsPsPKlPlN2at6native12_GLOBAL__N_18offset_tEEE10hipError_tPvRmT1_PNSt15iterator_traitsISY_E10value_typeET2_T3_PNSZ_IS14_E10value_typeET4_jRbjT5_S1A_jjP12ihipStream_tbEUljE_EEESV_SW_SX_S14_S18_S1A_T6_T7_T9_mT8_S1C_bDpT10_ENKUlT_T0_E_clISt17integral_constantIbLb1EES1O_IbLb0EEEEDaS1K_S1L_EUlS1K_E_NS1_11comp_targetILNS1_3genE3ELNS1_11target_archE908ELNS1_3gpuE7ELNS1_3repE0EEENS1_30default_config_static_selectorELNS0_4arch9wavefront6targetE1EEEvSY_,"axG",@progbits,_ZN7rocprim17ROCPRIM_400000_NS6detail17trampoline_kernelINS0_13select_configILj256ELj13ELNS0_17block_load_methodE3ELS4_3ELS4_3ELNS0_20block_scan_algorithmE0ELj4294967295EEENS1_25partition_config_selectorILNS1_17partition_subalgoE3EjNS0_10empty_typeEbEEZZNS1_14partition_implILS8_3ELb0ES6_jNS0_17counting_iteratorIjlEEPS9_SE_NS0_5tupleIJPjSE_EEENSF_IJSE_SE_EEES9_SG_JZNS1_25segmented_radix_sort_implINS0_14default_configELb1EPKsPsPKlPlN2at6native12_GLOBAL__N_18offset_tEEE10hipError_tPvRmT1_PNSt15iterator_traitsISY_E10value_typeET2_T3_PNSZ_IS14_E10value_typeET4_jRbjT5_S1A_jjP12ihipStream_tbEUljE_EEESV_SW_SX_S14_S18_S1A_T6_T7_T9_mT8_S1C_bDpT10_ENKUlT_T0_E_clISt17integral_constantIbLb1EES1O_IbLb0EEEEDaS1K_S1L_EUlS1K_E_NS1_11comp_targetILNS1_3genE3ELNS1_11target_archE908ELNS1_3gpuE7ELNS1_3repE0EEENS1_30default_config_static_selectorELNS0_4arch9wavefront6targetE1EEEvSY_,comdat
.Lfunc_end898:
	.size	_ZN7rocprim17ROCPRIM_400000_NS6detail17trampoline_kernelINS0_13select_configILj256ELj13ELNS0_17block_load_methodE3ELS4_3ELS4_3ELNS0_20block_scan_algorithmE0ELj4294967295EEENS1_25partition_config_selectorILNS1_17partition_subalgoE3EjNS0_10empty_typeEbEEZZNS1_14partition_implILS8_3ELb0ES6_jNS0_17counting_iteratorIjlEEPS9_SE_NS0_5tupleIJPjSE_EEENSF_IJSE_SE_EEES9_SG_JZNS1_25segmented_radix_sort_implINS0_14default_configELb1EPKsPsPKlPlN2at6native12_GLOBAL__N_18offset_tEEE10hipError_tPvRmT1_PNSt15iterator_traitsISY_E10value_typeET2_T3_PNSZ_IS14_E10value_typeET4_jRbjT5_S1A_jjP12ihipStream_tbEUljE_EEESV_SW_SX_S14_S18_S1A_T6_T7_T9_mT8_S1C_bDpT10_ENKUlT_T0_E_clISt17integral_constantIbLb1EES1O_IbLb0EEEEDaS1K_S1L_EUlS1K_E_NS1_11comp_targetILNS1_3genE3ELNS1_11target_archE908ELNS1_3gpuE7ELNS1_3repE0EEENS1_30default_config_static_selectorELNS0_4arch9wavefront6targetE1EEEvSY_, .Lfunc_end898-_ZN7rocprim17ROCPRIM_400000_NS6detail17trampoline_kernelINS0_13select_configILj256ELj13ELNS0_17block_load_methodE3ELS4_3ELS4_3ELNS0_20block_scan_algorithmE0ELj4294967295EEENS1_25partition_config_selectorILNS1_17partition_subalgoE3EjNS0_10empty_typeEbEEZZNS1_14partition_implILS8_3ELb0ES6_jNS0_17counting_iteratorIjlEEPS9_SE_NS0_5tupleIJPjSE_EEENSF_IJSE_SE_EEES9_SG_JZNS1_25segmented_radix_sort_implINS0_14default_configELb1EPKsPsPKlPlN2at6native12_GLOBAL__N_18offset_tEEE10hipError_tPvRmT1_PNSt15iterator_traitsISY_E10value_typeET2_T3_PNSZ_IS14_E10value_typeET4_jRbjT5_S1A_jjP12ihipStream_tbEUljE_EEESV_SW_SX_S14_S18_S1A_T6_T7_T9_mT8_S1C_bDpT10_ENKUlT_T0_E_clISt17integral_constantIbLb1EES1O_IbLb0EEEEDaS1K_S1L_EUlS1K_E_NS1_11comp_targetILNS1_3genE3ELNS1_11target_archE908ELNS1_3gpuE7ELNS1_3repE0EEENS1_30default_config_static_selectorELNS0_4arch9wavefront6targetE1EEEvSY_
                                        ; -- End function
	.section	.AMDGPU.csdata,"",@progbits
; Kernel info:
; codeLenInByte = 0
; NumSgprs: 4
; NumVgprs: 0
; NumAgprs: 0
; TotalNumVgprs: 0
; ScratchSize: 0
; MemoryBound: 0
; FloatMode: 240
; IeeeMode: 1
; LDSByteSize: 0 bytes/workgroup (compile time only)
; SGPRBlocks: 0
; VGPRBlocks: 0
; NumSGPRsForWavesPerEU: 4
; NumVGPRsForWavesPerEU: 1
; AccumOffset: 4
; Occupancy: 8
; WaveLimiterHint : 0
; COMPUTE_PGM_RSRC2:SCRATCH_EN: 0
; COMPUTE_PGM_RSRC2:USER_SGPR: 6
; COMPUTE_PGM_RSRC2:TRAP_HANDLER: 0
; COMPUTE_PGM_RSRC2:TGID_X_EN: 1
; COMPUTE_PGM_RSRC2:TGID_Y_EN: 0
; COMPUTE_PGM_RSRC2:TGID_Z_EN: 0
; COMPUTE_PGM_RSRC2:TIDIG_COMP_CNT: 0
; COMPUTE_PGM_RSRC3_GFX90A:ACCUM_OFFSET: 0
; COMPUTE_PGM_RSRC3_GFX90A:TG_SPLIT: 0
	.section	.text._ZN7rocprim17ROCPRIM_400000_NS6detail17trampoline_kernelINS0_13select_configILj256ELj13ELNS0_17block_load_methodE3ELS4_3ELS4_3ELNS0_20block_scan_algorithmE0ELj4294967295EEENS1_25partition_config_selectorILNS1_17partition_subalgoE3EjNS0_10empty_typeEbEEZZNS1_14partition_implILS8_3ELb0ES6_jNS0_17counting_iteratorIjlEEPS9_SE_NS0_5tupleIJPjSE_EEENSF_IJSE_SE_EEES9_SG_JZNS1_25segmented_radix_sort_implINS0_14default_configELb1EPKsPsPKlPlN2at6native12_GLOBAL__N_18offset_tEEE10hipError_tPvRmT1_PNSt15iterator_traitsISY_E10value_typeET2_T3_PNSZ_IS14_E10value_typeET4_jRbjT5_S1A_jjP12ihipStream_tbEUljE_EEESV_SW_SX_S14_S18_S1A_T6_T7_T9_mT8_S1C_bDpT10_ENKUlT_T0_E_clISt17integral_constantIbLb1EES1O_IbLb0EEEEDaS1K_S1L_EUlS1K_E_NS1_11comp_targetILNS1_3genE2ELNS1_11target_archE906ELNS1_3gpuE6ELNS1_3repE0EEENS1_30default_config_static_selectorELNS0_4arch9wavefront6targetE1EEEvSY_,"axG",@progbits,_ZN7rocprim17ROCPRIM_400000_NS6detail17trampoline_kernelINS0_13select_configILj256ELj13ELNS0_17block_load_methodE3ELS4_3ELS4_3ELNS0_20block_scan_algorithmE0ELj4294967295EEENS1_25partition_config_selectorILNS1_17partition_subalgoE3EjNS0_10empty_typeEbEEZZNS1_14partition_implILS8_3ELb0ES6_jNS0_17counting_iteratorIjlEEPS9_SE_NS0_5tupleIJPjSE_EEENSF_IJSE_SE_EEES9_SG_JZNS1_25segmented_radix_sort_implINS0_14default_configELb1EPKsPsPKlPlN2at6native12_GLOBAL__N_18offset_tEEE10hipError_tPvRmT1_PNSt15iterator_traitsISY_E10value_typeET2_T3_PNSZ_IS14_E10value_typeET4_jRbjT5_S1A_jjP12ihipStream_tbEUljE_EEESV_SW_SX_S14_S18_S1A_T6_T7_T9_mT8_S1C_bDpT10_ENKUlT_T0_E_clISt17integral_constantIbLb1EES1O_IbLb0EEEEDaS1K_S1L_EUlS1K_E_NS1_11comp_targetILNS1_3genE2ELNS1_11target_archE906ELNS1_3gpuE6ELNS1_3repE0EEENS1_30default_config_static_selectorELNS0_4arch9wavefront6targetE1EEEvSY_,comdat
	.globl	_ZN7rocprim17ROCPRIM_400000_NS6detail17trampoline_kernelINS0_13select_configILj256ELj13ELNS0_17block_load_methodE3ELS4_3ELS4_3ELNS0_20block_scan_algorithmE0ELj4294967295EEENS1_25partition_config_selectorILNS1_17partition_subalgoE3EjNS0_10empty_typeEbEEZZNS1_14partition_implILS8_3ELb0ES6_jNS0_17counting_iteratorIjlEEPS9_SE_NS0_5tupleIJPjSE_EEENSF_IJSE_SE_EEES9_SG_JZNS1_25segmented_radix_sort_implINS0_14default_configELb1EPKsPsPKlPlN2at6native12_GLOBAL__N_18offset_tEEE10hipError_tPvRmT1_PNSt15iterator_traitsISY_E10value_typeET2_T3_PNSZ_IS14_E10value_typeET4_jRbjT5_S1A_jjP12ihipStream_tbEUljE_EEESV_SW_SX_S14_S18_S1A_T6_T7_T9_mT8_S1C_bDpT10_ENKUlT_T0_E_clISt17integral_constantIbLb1EES1O_IbLb0EEEEDaS1K_S1L_EUlS1K_E_NS1_11comp_targetILNS1_3genE2ELNS1_11target_archE906ELNS1_3gpuE6ELNS1_3repE0EEENS1_30default_config_static_selectorELNS0_4arch9wavefront6targetE1EEEvSY_ ; -- Begin function _ZN7rocprim17ROCPRIM_400000_NS6detail17trampoline_kernelINS0_13select_configILj256ELj13ELNS0_17block_load_methodE3ELS4_3ELS4_3ELNS0_20block_scan_algorithmE0ELj4294967295EEENS1_25partition_config_selectorILNS1_17partition_subalgoE3EjNS0_10empty_typeEbEEZZNS1_14partition_implILS8_3ELb0ES6_jNS0_17counting_iteratorIjlEEPS9_SE_NS0_5tupleIJPjSE_EEENSF_IJSE_SE_EEES9_SG_JZNS1_25segmented_radix_sort_implINS0_14default_configELb1EPKsPsPKlPlN2at6native12_GLOBAL__N_18offset_tEEE10hipError_tPvRmT1_PNSt15iterator_traitsISY_E10value_typeET2_T3_PNSZ_IS14_E10value_typeET4_jRbjT5_S1A_jjP12ihipStream_tbEUljE_EEESV_SW_SX_S14_S18_S1A_T6_T7_T9_mT8_S1C_bDpT10_ENKUlT_T0_E_clISt17integral_constantIbLb1EES1O_IbLb0EEEEDaS1K_S1L_EUlS1K_E_NS1_11comp_targetILNS1_3genE2ELNS1_11target_archE906ELNS1_3gpuE6ELNS1_3repE0EEENS1_30default_config_static_selectorELNS0_4arch9wavefront6targetE1EEEvSY_
	.p2align	8
	.type	_ZN7rocprim17ROCPRIM_400000_NS6detail17trampoline_kernelINS0_13select_configILj256ELj13ELNS0_17block_load_methodE3ELS4_3ELS4_3ELNS0_20block_scan_algorithmE0ELj4294967295EEENS1_25partition_config_selectorILNS1_17partition_subalgoE3EjNS0_10empty_typeEbEEZZNS1_14partition_implILS8_3ELb0ES6_jNS0_17counting_iteratorIjlEEPS9_SE_NS0_5tupleIJPjSE_EEENSF_IJSE_SE_EEES9_SG_JZNS1_25segmented_radix_sort_implINS0_14default_configELb1EPKsPsPKlPlN2at6native12_GLOBAL__N_18offset_tEEE10hipError_tPvRmT1_PNSt15iterator_traitsISY_E10value_typeET2_T3_PNSZ_IS14_E10value_typeET4_jRbjT5_S1A_jjP12ihipStream_tbEUljE_EEESV_SW_SX_S14_S18_S1A_T6_T7_T9_mT8_S1C_bDpT10_ENKUlT_T0_E_clISt17integral_constantIbLb1EES1O_IbLb0EEEEDaS1K_S1L_EUlS1K_E_NS1_11comp_targetILNS1_3genE2ELNS1_11target_archE906ELNS1_3gpuE6ELNS1_3repE0EEENS1_30default_config_static_selectorELNS0_4arch9wavefront6targetE1EEEvSY_,@function
_ZN7rocprim17ROCPRIM_400000_NS6detail17trampoline_kernelINS0_13select_configILj256ELj13ELNS0_17block_load_methodE3ELS4_3ELS4_3ELNS0_20block_scan_algorithmE0ELj4294967295EEENS1_25partition_config_selectorILNS1_17partition_subalgoE3EjNS0_10empty_typeEbEEZZNS1_14partition_implILS8_3ELb0ES6_jNS0_17counting_iteratorIjlEEPS9_SE_NS0_5tupleIJPjSE_EEENSF_IJSE_SE_EEES9_SG_JZNS1_25segmented_radix_sort_implINS0_14default_configELb1EPKsPsPKlPlN2at6native12_GLOBAL__N_18offset_tEEE10hipError_tPvRmT1_PNSt15iterator_traitsISY_E10value_typeET2_T3_PNSZ_IS14_E10value_typeET4_jRbjT5_S1A_jjP12ihipStream_tbEUljE_EEESV_SW_SX_S14_S18_S1A_T6_T7_T9_mT8_S1C_bDpT10_ENKUlT_T0_E_clISt17integral_constantIbLb1EES1O_IbLb0EEEEDaS1K_S1L_EUlS1K_E_NS1_11comp_targetILNS1_3genE2ELNS1_11target_archE906ELNS1_3gpuE6ELNS1_3repE0EEENS1_30default_config_static_selectorELNS0_4arch9wavefront6targetE1EEEvSY_: ; @_ZN7rocprim17ROCPRIM_400000_NS6detail17trampoline_kernelINS0_13select_configILj256ELj13ELNS0_17block_load_methodE3ELS4_3ELS4_3ELNS0_20block_scan_algorithmE0ELj4294967295EEENS1_25partition_config_selectorILNS1_17partition_subalgoE3EjNS0_10empty_typeEbEEZZNS1_14partition_implILS8_3ELb0ES6_jNS0_17counting_iteratorIjlEEPS9_SE_NS0_5tupleIJPjSE_EEENSF_IJSE_SE_EEES9_SG_JZNS1_25segmented_radix_sort_implINS0_14default_configELb1EPKsPsPKlPlN2at6native12_GLOBAL__N_18offset_tEEE10hipError_tPvRmT1_PNSt15iterator_traitsISY_E10value_typeET2_T3_PNSZ_IS14_E10value_typeET4_jRbjT5_S1A_jjP12ihipStream_tbEUljE_EEESV_SW_SX_S14_S18_S1A_T6_T7_T9_mT8_S1C_bDpT10_ENKUlT_T0_E_clISt17integral_constantIbLb1EES1O_IbLb0EEEEDaS1K_S1L_EUlS1K_E_NS1_11comp_targetILNS1_3genE2ELNS1_11target_archE906ELNS1_3gpuE6ELNS1_3repE0EEENS1_30default_config_static_selectorELNS0_4arch9wavefront6targetE1EEEvSY_
; %bb.0:
	.section	.rodata,"a",@progbits
	.p2align	6, 0x0
	.amdhsa_kernel _ZN7rocprim17ROCPRIM_400000_NS6detail17trampoline_kernelINS0_13select_configILj256ELj13ELNS0_17block_load_methodE3ELS4_3ELS4_3ELNS0_20block_scan_algorithmE0ELj4294967295EEENS1_25partition_config_selectorILNS1_17partition_subalgoE3EjNS0_10empty_typeEbEEZZNS1_14partition_implILS8_3ELb0ES6_jNS0_17counting_iteratorIjlEEPS9_SE_NS0_5tupleIJPjSE_EEENSF_IJSE_SE_EEES9_SG_JZNS1_25segmented_radix_sort_implINS0_14default_configELb1EPKsPsPKlPlN2at6native12_GLOBAL__N_18offset_tEEE10hipError_tPvRmT1_PNSt15iterator_traitsISY_E10value_typeET2_T3_PNSZ_IS14_E10value_typeET4_jRbjT5_S1A_jjP12ihipStream_tbEUljE_EEESV_SW_SX_S14_S18_S1A_T6_T7_T9_mT8_S1C_bDpT10_ENKUlT_T0_E_clISt17integral_constantIbLb1EES1O_IbLb0EEEEDaS1K_S1L_EUlS1K_E_NS1_11comp_targetILNS1_3genE2ELNS1_11target_archE906ELNS1_3gpuE6ELNS1_3repE0EEENS1_30default_config_static_selectorELNS0_4arch9wavefront6targetE1EEEvSY_
		.amdhsa_group_segment_fixed_size 0
		.amdhsa_private_segment_fixed_size 0
		.amdhsa_kernarg_size 144
		.amdhsa_user_sgpr_count 6
		.amdhsa_user_sgpr_private_segment_buffer 1
		.amdhsa_user_sgpr_dispatch_ptr 0
		.amdhsa_user_sgpr_queue_ptr 0
		.amdhsa_user_sgpr_kernarg_segment_ptr 1
		.amdhsa_user_sgpr_dispatch_id 0
		.amdhsa_user_sgpr_flat_scratch_init 0
		.amdhsa_user_sgpr_kernarg_preload_length 0
		.amdhsa_user_sgpr_kernarg_preload_offset 0
		.amdhsa_user_sgpr_private_segment_size 0
		.amdhsa_uses_dynamic_stack 0
		.amdhsa_system_sgpr_private_segment_wavefront_offset 0
		.amdhsa_system_sgpr_workgroup_id_x 1
		.amdhsa_system_sgpr_workgroup_id_y 0
		.amdhsa_system_sgpr_workgroup_id_z 0
		.amdhsa_system_sgpr_workgroup_info 0
		.amdhsa_system_vgpr_workitem_id 0
		.amdhsa_next_free_vgpr 1
		.amdhsa_next_free_sgpr 0
		.amdhsa_accum_offset 4
		.amdhsa_reserve_vcc 0
		.amdhsa_reserve_flat_scratch 0
		.amdhsa_float_round_mode_32 0
		.amdhsa_float_round_mode_16_64 0
		.amdhsa_float_denorm_mode_32 3
		.amdhsa_float_denorm_mode_16_64 3
		.amdhsa_dx10_clamp 1
		.amdhsa_ieee_mode 1
		.amdhsa_fp16_overflow 0
		.amdhsa_tg_split 0
		.amdhsa_exception_fp_ieee_invalid_op 0
		.amdhsa_exception_fp_denorm_src 0
		.amdhsa_exception_fp_ieee_div_zero 0
		.amdhsa_exception_fp_ieee_overflow 0
		.amdhsa_exception_fp_ieee_underflow 0
		.amdhsa_exception_fp_ieee_inexact 0
		.amdhsa_exception_int_div_zero 0
	.end_amdhsa_kernel
	.section	.text._ZN7rocprim17ROCPRIM_400000_NS6detail17trampoline_kernelINS0_13select_configILj256ELj13ELNS0_17block_load_methodE3ELS4_3ELS4_3ELNS0_20block_scan_algorithmE0ELj4294967295EEENS1_25partition_config_selectorILNS1_17partition_subalgoE3EjNS0_10empty_typeEbEEZZNS1_14partition_implILS8_3ELb0ES6_jNS0_17counting_iteratorIjlEEPS9_SE_NS0_5tupleIJPjSE_EEENSF_IJSE_SE_EEES9_SG_JZNS1_25segmented_radix_sort_implINS0_14default_configELb1EPKsPsPKlPlN2at6native12_GLOBAL__N_18offset_tEEE10hipError_tPvRmT1_PNSt15iterator_traitsISY_E10value_typeET2_T3_PNSZ_IS14_E10value_typeET4_jRbjT5_S1A_jjP12ihipStream_tbEUljE_EEESV_SW_SX_S14_S18_S1A_T6_T7_T9_mT8_S1C_bDpT10_ENKUlT_T0_E_clISt17integral_constantIbLb1EES1O_IbLb0EEEEDaS1K_S1L_EUlS1K_E_NS1_11comp_targetILNS1_3genE2ELNS1_11target_archE906ELNS1_3gpuE6ELNS1_3repE0EEENS1_30default_config_static_selectorELNS0_4arch9wavefront6targetE1EEEvSY_,"axG",@progbits,_ZN7rocprim17ROCPRIM_400000_NS6detail17trampoline_kernelINS0_13select_configILj256ELj13ELNS0_17block_load_methodE3ELS4_3ELS4_3ELNS0_20block_scan_algorithmE0ELj4294967295EEENS1_25partition_config_selectorILNS1_17partition_subalgoE3EjNS0_10empty_typeEbEEZZNS1_14partition_implILS8_3ELb0ES6_jNS0_17counting_iteratorIjlEEPS9_SE_NS0_5tupleIJPjSE_EEENSF_IJSE_SE_EEES9_SG_JZNS1_25segmented_radix_sort_implINS0_14default_configELb1EPKsPsPKlPlN2at6native12_GLOBAL__N_18offset_tEEE10hipError_tPvRmT1_PNSt15iterator_traitsISY_E10value_typeET2_T3_PNSZ_IS14_E10value_typeET4_jRbjT5_S1A_jjP12ihipStream_tbEUljE_EEESV_SW_SX_S14_S18_S1A_T6_T7_T9_mT8_S1C_bDpT10_ENKUlT_T0_E_clISt17integral_constantIbLb1EES1O_IbLb0EEEEDaS1K_S1L_EUlS1K_E_NS1_11comp_targetILNS1_3genE2ELNS1_11target_archE906ELNS1_3gpuE6ELNS1_3repE0EEENS1_30default_config_static_selectorELNS0_4arch9wavefront6targetE1EEEvSY_,comdat
.Lfunc_end899:
	.size	_ZN7rocprim17ROCPRIM_400000_NS6detail17trampoline_kernelINS0_13select_configILj256ELj13ELNS0_17block_load_methodE3ELS4_3ELS4_3ELNS0_20block_scan_algorithmE0ELj4294967295EEENS1_25partition_config_selectorILNS1_17partition_subalgoE3EjNS0_10empty_typeEbEEZZNS1_14partition_implILS8_3ELb0ES6_jNS0_17counting_iteratorIjlEEPS9_SE_NS0_5tupleIJPjSE_EEENSF_IJSE_SE_EEES9_SG_JZNS1_25segmented_radix_sort_implINS0_14default_configELb1EPKsPsPKlPlN2at6native12_GLOBAL__N_18offset_tEEE10hipError_tPvRmT1_PNSt15iterator_traitsISY_E10value_typeET2_T3_PNSZ_IS14_E10value_typeET4_jRbjT5_S1A_jjP12ihipStream_tbEUljE_EEESV_SW_SX_S14_S18_S1A_T6_T7_T9_mT8_S1C_bDpT10_ENKUlT_T0_E_clISt17integral_constantIbLb1EES1O_IbLb0EEEEDaS1K_S1L_EUlS1K_E_NS1_11comp_targetILNS1_3genE2ELNS1_11target_archE906ELNS1_3gpuE6ELNS1_3repE0EEENS1_30default_config_static_selectorELNS0_4arch9wavefront6targetE1EEEvSY_, .Lfunc_end899-_ZN7rocprim17ROCPRIM_400000_NS6detail17trampoline_kernelINS0_13select_configILj256ELj13ELNS0_17block_load_methodE3ELS4_3ELS4_3ELNS0_20block_scan_algorithmE0ELj4294967295EEENS1_25partition_config_selectorILNS1_17partition_subalgoE3EjNS0_10empty_typeEbEEZZNS1_14partition_implILS8_3ELb0ES6_jNS0_17counting_iteratorIjlEEPS9_SE_NS0_5tupleIJPjSE_EEENSF_IJSE_SE_EEES9_SG_JZNS1_25segmented_radix_sort_implINS0_14default_configELb1EPKsPsPKlPlN2at6native12_GLOBAL__N_18offset_tEEE10hipError_tPvRmT1_PNSt15iterator_traitsISY_E10value_typeET2_T3_PNSZ_IS14_E10value_typeET4_jRbjT5_S1A_jjP12ihipStream_tbEUljE_EEESV_SW_SX_S14_S18_S1A_T6_T7_T9_mT8_S1C_bDpT10_ENKUlT_T0_E_clISt17integral_constantIbLb1EES1O_IbLb0EEEEDaS1K_S1L_EUlS1K_E_NS1_11comp_targetILNS1_3genE2ELNS1_11target_archE906ELNS1_3gpuE6ELNS1_3repE0EEENS1_30default_config_static_selectorELNS0_4arch9wavefront6targetE1EEEvSY_
                                        ; -- End function
	.section	.AMDGPU.csdata,"",@progbits
; Kernel info:
; codeLenInByte = 0
; NumSgprs: 4
; NumVgprs: 0
; NumAgprs: 0
; TotalNumVgprs: 0
; ScratchSize: 0
; MemoryBound: 0
; FloatMode: 240
; IeeeMode: 1
; LDSByteSize: 0 bytes/workgroup (compile time only)
; SGPRBlocks: 0
; VGPRBlocks: 0
; NumSGPRsForWavesPerEU: 4
; NumVGPRsForWavesPerEU: 1
; AccumOffset: 4
; Occupancy: 8
; WaveLimiterHint : 0
; COMPUTE_PGM_RSRC2:SCRATCH_EN: 0
; COMPUTE_PGM_RSRC2:USER_SGPR: 6
; COMPUTE_PGM_RSRC2:TRAP_HANDLER: 0
; COMPUTE_PGM_RSRC2:TGID_X_EN: 1
; COMPUTE_PGM_RSRC2:TGID_Y_EN: 0
; COMPUTE_PGM_RSRC2:TGID_Z_EN: 0
; COMPUTE_PGM_RSRC2:TIDIG_COMP_CNT: 0
; COMPUTE_PGM_RSRC3_GFX90A:ACCUM_OFFSET: 0
; COMPUTE_PGM_RSRC3_GFX90A:TG_SPLIT: 0
	.section	.text._ZN7rocprim17ROCPRIM_400000_NS6detail17trampoline_kernelINS0_13select_configILj256ELj13ELNS0_17block_load_methodE3ELS4_3ELS4_3ELNS0_20block_scan_algorithmE0ELj4294967295EEENS1_25partition_config_selectorILNS1_17partition_subalgoE3EjNS0_10empty_typeEbEEZZNS1_14partition_implILS8_3ELb0ES6_jNS0_17counting_iteratorIjlEEPS9_SE_NS0_5tupleIJPjSE_EEENSF_IJSE_SE_EEES9_SG_JZNS1_25segmented_radix_sort_implINS0_14default_configELb1EPKsPsPKlPlN2at6native12_GLOBAL__N_18offset_tEEE10hipError_tPvRmT1_PNSt15iterator_traitsISY_E10value_typeET2_T3_PNSZ_IS14_E10value_typeET4_jRbjT5_S1A_jjP12ihipStream_tbEUljE_EEESV_SW_SX_S14_S18_S1A_T6_T7_T9_mT8_S1C_bDpT10_ENKUlT_T0_E_clISt17integral_constantIbLb1EES1O_IbLb0EEEEDaS1K_S1L_EUlS1K_E_NS1_11comp_targetILNS1_3genE10ELNS1_11target_archE1200ELNS1_3gpuE4ELNS1_3repE0EEENS1_30default_config_static_selectorELNS0_4arch9wavefront6targetE1EEEvSY_,"axG",@progbits,_ZN7rocprim17ROCPRIM_400000_NS6detail17trampoline_kernelINS0_13select_configILj256ELj13ELNS0_17block_load_methodE3ELS4_3ELS4_3ELNS0_20block_scan_algorithmE0ELj4294967295EEENS1_25partition_config_selectorILNS1_17partition_subalgoE3EjNS0_10empty_typeEbEEZZNS1_14partition_implILS8_3ELb0ES6_jNS0_17counting_iteratorIjlEEPS9_SE_NS0_5tupleIJPjSE_EEENSF_IJSE_SE_EEES9_SG_JZNS1_25segmented_radix_sort_implINS0_14default_configELb1EPKsPsPKlPlN2at6native12_GLOBAL__N_18offset_tEEE10hipError_tPvRmT1_PNSt15iterator_traitsISY_E10value_typeET2_T3_PNSZ_IS14_E10value_typeET4_jRbjT5_S1A_jjP12ihipStream_tbEUljE_EEESV_SW_SX_S14_S18_S1A_T6_T7_T9_mT8_S1C_bDpT10_ENKUlT_T0_E_clISt17integral_constantIbLb1EES1O_IbLb0EEEEDaS1K_S1L_EUlS1K_E_NS1_11comp_targetILNS1_3genE10ELNS1_11target_archE1200ELNS1_3gpuE4ELNS1_3repE0EEENS1_30default_config_static_selectorELNS0_4arch9wavefront6targetE1EEEvSY_,comdat
	.globl	_ZN7rocprim17ROCPRIM_400000_NS6detail17trampoline_kernelINS0_13select_configILj256ELj13ELNS0_17block_load_methodE3ELS4_3ELS4_3ELNS0_20block_scan_algorithmE0ELj4294967295EEENS1_25partition_config_selectorILNS1_17partition_subalgoE3EjNS0_10empty_typeEbEEZZNS1_14partition_implILS8_3ELb0ES6_jNS0_17counting_iteratorIjlEEPS9_SE_NS0_5tupleIJPjSE_EEENSF_IJSE_SE_EEES9_SG_JZNS1_25segmented_radix_sort_implINS0_14default_configELb1EPKsPsPKlPlN2at6native12_GLOBAL__N_18offset_tEEE10hipError_tPvRmT1_PNSt15iterator_traitsISY_E10value_typeET2_T3_PNSZ_IS14_E10value_typeET4_jRbjT5_S1A_jjP12ihipStream_tbEUljE_EEESV_SW_SX_S14_S18_S1A_T6_T7_T9_mT8_S1C_bDpT10_ENKUlT_T0_E_clISt17integral_constantIbLb1EES1O_IbLb0EEEEDaS1K_S1L_EUlS1K_E_NS1_11comp_targetILNS1_3genE10ELNS1_11target_archE1200ELNS1_3gpuE4ELNS1_3repE0EEENS1_30default_config_static_selectorELNS0_4arch9wavefront6targetE1EEEvSY_ ; -- Begin function _ZN7rocprim17ROCPRIM_400000_NS6detail17trampoline_kernelINS0_13select_configILj256ELj13ELNS0_17block_load_methodE3ELS4_3ELS4_3ELNS0_20block_scan_algorithmE0ELj4294967295EEENS1_25partition_config_selectorILNS1_17partition_subalgoE3EjNS0_10empty_typeEbEEZZNS1_14partition_implILS8_3ELb0ES6_jNS0_17counting_iteratorIjlEEPS9_SE_NS0_5tupleIJPjSE_EEENSF_IJSE_SE_EEES9_SG_JZNS1_25segmented_radix_sort_implINS0_14default_configELb1EPKsPsPKlPlN2at6native12_GLOBAL__N_18offset_tEEE10hipError_tPvRmT1_PNSt15iterator_traitsISY_E10value_typeET2_T3_PNSZ_IS14_E10value_typeET4_jRbjT5_S1A_jjP12ihipStream_tbEUljE_EEESV_SW_SX_S14_S18_S1A_T6_T7_T9_mT8_S1C_bDpT10_ENKUlT_T0_E_clISt17integral_constantIbLb1EES1O_IbLb0EEEEDaS1K_S1L_EUlS1K_E_NS1_11comp_targetILNS1_3genE10ELNS1_11target_archE1200ELNS1_3gpuE4ELNS1_3repE0EEENS1_30default_config_static_selectorELNS0_4arch9wavefront6targetE1EEEvSY_
	.p2align	8
	.type	_ZN7rocprim17ROCPRIM_400000_NS6detail17trampoline_kernelINS0_13select_configILj256ELj13ELNS0_17block_load_methodE3ELS4_3ELS4_3ELNS0_20block_scan_algorithmE0ELj4294967295EEENS1_25partition_config_selectorILNS1_17partition_subalgoE3EjNS0_10empty_typeEbEEZZNS1_14partition_implILS8_3ELb0ES6_jNS0_17counting_iteratorIjlEEPS9_SE_NS0_5tupleIJPjSE_EEENSF_IJSE_SE_EEES9_SG_JZNS1_25segmented_radix_sort_implINS0_14default_configELb1EPKsPsPKlPlN2at6native12_GLOBAL__N_18offset_tEEE10hipError_tPvRmT1_PNSt15iterator_traitsISY_E10value_typeET2_T3_PNSZ_IS14_E10value_typeET4_jRbjT5_S1A_jjP12ihipStream_tbEUljE_EEESV_SW_SX_S14_S18_S1A_T6_T7_T9_mT8_S1C_bDpT10_ENKUlT_T0_E_clISt17integral_constantIbLb1EES1O_IbLb0EEEEDaS1K_S1L_EUlS1K_E_NS1_11comp_targetILNS1_3genE10ELNS1_11target_archE1200ELNS1_3gpuE4ELNS1_3repE0EEENS1_30default_config_static_selectorELNS0_4arch9wavefront6targetE1EEEvSY_,@function
_ZN7rocprim17ROCPRIM_400000_NS6detail17trampoline_kernelINS0_13select_configILj256ELj13ELNS0_17block_load_methodE3ELS4_3ELS4_3ELNS0_20block_scan_algorithmE0ELj4294967295EEENS1_25partition_config_selectorILNS1_17partition_subalgoE3EjNS0_10empty_typeEbEEZZNS1_14partition_implILS8_3ELb0ES6_jNS0_17counting_iteratorIjlEEPS9_SE_NS0_5tupleIJPjSE_EEENSF_IJSE_SE_EEES9_SG_JZNS1_25segmented_radix_sort_implINS0_14default_configELb1EPKsPsPKlPlN2at6native12_GLOBAL__N_18offset_tEEE10hipError_tPvRmT1_PNSt15iterator_traitsISY_E10value_typeET2_T3_PNSZ_IS14_E10value_typeET4_jRbjT5_S1A_jjP12ihipStream_tbEUljE_EEESV_SW_SX_S14_S18_S1A_T6_T7_T9_mT8_S1C_bDpT10_ENKUlT_T0_E_clISt17integral_constantIbLb1EES1O_IbLb0EEEEDaS1K_S1L_EUlS1K_E_NS1_11comp_targetILNS1_3genE10ELNS1_11target_archE1200ELNS1_3gpuE4ELNS1_3repE0EEENS1_30default_config_static_selectorELNS0_4arch9wavefront6targetE1EEEvSY_: ; @_ZN7rocprim17ROCPRIM_400000_NS6detail17trampoline_kernelINS0_13select_configILj256ELj13ELNS0_17block_load_methodE3ELS4_3ELS4_3ELNS0_20block_scan_algorithmE0ELj4294967295EEENS1_25partition_config_selectorILNS1_17partition_subalgoE3EjNS0_10empty_typeEbEEZZNS1_14partition_implILS8_3ELb0ES6_jNS0_17counting_iteratorIjlEEPS9_SE_NS0_5tupleIJPjSE_EEENSF_IJSE_SE_EEES9_SG_JZNS1_25segmented_radix_sort_implINS0_14default_configELb1EPKsPsPKlPlN2at6native12_GLOBAL__N_18offset_tEEE10hipError_tPvRmT1_PNSt15iterator_traitsISY_E10value_typeET2_T3_PNSZ_IS14_E10value_typeET4_jRbjT5_S1A_jjP12ihipStream_tbEUljE_EEESV_SW_SX_S14_S18_S1A_T6_T7_T9_mT8_S1C_bDpT10_ENKUlT_T0_E_clISt17integral_constantIbLb1EES1O_IbLb0EEEEDaS1K_S1L_EUlS1K_E_NS1_11comp_targetILNS1_3genE10ELNS1_11target_archE1200ELNS1_3gpuE4ELNS1_3repE0EEENS1_30default_config_static_selectorELNS0_4arch9wavefront6targetE1EEEvSY_
; %bb.0:
	.section	.rodata,"a",@progbits
	.p2align	6, 0x0
	.amdhsa_kernel _ZN7rocprim17ROCPRIM_400000_NS6detail17trampoline_kernelINS0_13select_configILj256ELj13ELNS0_17block_load_methodE3ELS4_3ELS4_3ELNS0_20block_scan_algorithmE0ELj4294967295EEENS1_25partition_config_selectorILNS1_17partition_subalgoE3EjNS0_10empty_typeEbEEZZNS1_14partition_implILS8_3ELb0ES6_jNS0_17counting_iteratorIjlEEPS9_SE_NS0_5tupleIJPjSE_EEENSF_IJSE_SE_EEES9_SG_JZNS1_25segmented_radix_sort_implINS0_14default_configELb1EPKsPsPKlPlN2at6native12_GLOBAL__N_18offset_tEEE10hipError_tPvRmT1_PNSt15iterator_traitsISY_E10value_typeET2_T3_PNSZ_IS14_E10value_typeET4_jRbjT5_S1A_jjP12ihipStream_tbEUljE_EEESV_SW_SX_S14_S18_S1A_T6_T7_T9_mT8_S1C_bDpT10_ENKUlT_T0_E_clISt17integral_constantIbLb1EES1O_IbLb0EEEEDaS1K_S1L_EUlS1K_E_NS1_11comp_targetILNS1_3genE10ELNS1_11target_archE1200ELNS1_3gpuE4ELNS1_3repE0EEENS1_30default_config_static_selectorELNS0_4arch9wavefront6targetE1EEEvSY_
		.amdhsa_group_segment_fixed_size 0
		.amdhsa_private_segment_fixed_size 0
		.amdhsa_kernarg_size 144
		.amdhsa_user_sgpr_count 6
		.amdhsa_user_sgpr_private_segment_buffer 1
		.amdhsa_user_sgpr_dispatch_ptr 0
		.amdhsa_user_sgpr_queue_ptr 0
		.amdhsa_user_sgpr_kernarg_segment_ptr 1
		.amdhsa_user_sgpr_dispatch_id 0
		.amdhsa_user_sgpr_flat_scratch_init 0
		.amdhsa_user_sgpr_kernarg_preload_length 0
		.amdhsa_user_sgpr_kernarg_preload_offset 0
		.amdhsa_user_sgpr_private_segment_size 0
		.amdhsa_uses_dynamic_stack 0
		.amdhsa_system_sgpr_private_segment_wavefront_offset 0
		.amdhsa_system_sgpr_workgroup_id_x 1
		.amdhsa_system_sgpr_workgroup_id_y 0
		.amdhsa_system_sgpr_workgroup_id_z 0
		.amdhsa_system_sgpr_workgroup_info 0
		.amdhsa_system_vgpr_workitem_id 0
		.amdhsa_next_free_vgpr 1
		.amdhsa_next_free_sgpr 0
		.amdhsa_accum_offset 4
		.amdhsa_reserve_vcc 0
		.amdhsa_reserve_flat_scratch 0
		.amdhsa_float_round_mode_32 0
		.amdhsa_float_round_mode_16_64 0
		.amdhsa_float_denorm_mode_32 3
		.amdhsa_float_denorm_mode_16_64 3
		.amdhsa_dx10_clamp 1
		.amdhsa_ieee_mode 1
		.amdhsa_fp16_overflow 0
		.amdhsa_tg_split 0
		.amdhsa_exception_fp_ieee_invalid_op 0
		.amdhsa_exception_fp_denorm_src 0
		.amdhsa_exception_fp_ieee_div_zero 0
		.amdhsa_exception_fp_ieee_overflow 0
		.amdhsa_exception_fp_ieee_underflow 0
		.amdhsa_exception_fp_ieee_inexact 0
		.amdhsa_exception_int_div_zero 0
	.end_amdhsa_kernel
	.section	.text._ZN7rocprim17ROCPRIM_400000_NS6detail17trampoline_kernelINS0_13select_configILj256ELj13ELNS0_17block_load_methodE3ELS4_3ELS4_3ELNS0_20block_scan_algorithmE0ELj4294967295EEENS1_25partition_config_selectorILNS1_17partition_subalgoE3EjNS0_10empty_typeEbEEZZNS1_14partition_implILS8_3ELb0ES6_jNS0_17counting_iteratorIjlEEPS9_SE_NS0_5tupleIJPjSE_EEENSF_IJSE_SE_EEES9_SG_JZNS1_25segmented_radix_sort_implINS0_14default_configELb1EPKsPsPKlPlN2at6native12_GLOBAL__N_18offset_tEEE10hipError_tPvRmT1_PNSt15iterator_traitsISY_E10value_typeET2_T3_PNSZ_IS14_E10value_typeET4_jRbjT5_S1A_jjP12ihipStream_tbEUljE_EEESV_SW_SX_S14_S18_S1A_T6_T7_T9_mT8_S1C_bDpT10_ENKUlT_T0_E_clISt17integral_constantIbLb1EES1O_IbLb0EEEEDaS1K_S1L_EUlS1K_E_NS1_11comp_targetILNS1_3genE10ELNS1_11target_archE1200ELNS1_3gpuE4ELNS1_3repE0EEENS1_30default_config_static_selectorELNS0_4arch9wavefront6targetE1EEEvSY_,"axG",@progbits,_ZN7rocprim17ROCPRIM_400000_NS6detail17trampoline_kernelINS0_13select_configILj256ELj13ELNS0_17block_load_methodE3ELS4_3ELS4_3ELNS0_20block_scan_algorithmE0ELj4294967295EEENS1_25partition_config_selectorILNS1_17partition_subalgoE3EjNS0_10empty_typeEbEEZZNS1_14partition_implILS8_3ELb0ES6_jNS0_17counting_iteratorIjlEEPS9_SE_NS0_5tupleIJPjSE_EEENSF_IJSE_SE_EEES9_SG_JZNS1_25segmented_radix_sort_implINS0_14default_configELb1EPKsPsPKlPlN2at6native12_GLOBAL__N_18offset_tEEE10hipError_tPvRmT1_PNSt15iterator_traitsISY_E10value_typeET2_T3_PNSZ_IS14_E10value_typeET4_jRbjT5_S1A_jjP12ihipStream_tbEUljE_EEESV_SW_SX_S14_S18_S1A_T6_T7_T9_mT8_S1C_bDpT10_ENKUlT_T0_E_clISt17integral_constantIbLb1EES1O_IbLb0EEEEDaS1K_S1L_EUlS1K_E_NS1_11comp_targetILNS1_3genE10ELNS1_11target_archE1200ELNS1_3gpuE4ELNS1_3repE0EEENS1_30default_config_static_selectorELNS0_4arch9wavefront6targetE1EEEvSY_,comdat
.Lfunc_end900:
	.size	_ZN7rocprim17ROCPRIM_400000_NS6detail17trampoline_kernelINS0_13select_configILj256ELj13ELNS0_17block_load_methodE3ELS4_3ELS4_3ELNS0_20block_scan_algorithmE0ELj4294967295EEENS1_25partition_config_selectorILNS1_17partition_subalgoE3EjNS0_10empty_typeEbEEZZNS1_14partition_implILS8_3ELb0ES6_jNS0_17counting_iteratorIjlEEPS9_SE_NS0_5tupleIJPjSE_EEENSF_IJSE_SE_EEES9_SG_JZNS1_25segmented_radix_sort_implINS0_14default_configELb1EPKsPsPKlPlN2at6native12_GLOBAL__N_18offset_tEEE10hipError_tPvRmT1_PNSt15iterator_traitsISY_E10value_typeET2_T3_PNSZ_IS14_E10value_typeET4_jRbjT5_S1A_jjP12ihipStream_tbEUljE_EEESV_SW_SX_S14_S18_S1A_T6_T7_T9_mT8_S1C_bDpT10_ENKUlT_T0_E_clISt17integral_constantIbLb1EES1O_IbLb0EEEEDaS1K_S1L_EUlS1K_E_NS1_11comp_targetILNS1_3genE10ELNS1_11target_archE1200ELNS1_3gpuE4ELNS1_3repE0EEENS1_30default_config_static_selectorELNS0_4arch9wavefront6targetE1EEEvSY_, .Lfunc_end900-_ZN7rocprim17ROCPRIM_400000_NS6detail17trampoline_kernelINS0_13select_configILj256ELj13ELNS0_17block_load_methodE3ELS4_3ELS4_3ELNS0_20block_scan_algorithmE0ELj4294967295EEENS1_25partition_config_selectorILNS1_17partition_subalgoE3EjNS0_10empty_typeEbEEZZNS1_14partition_implILS8_3ELb0ES6_jNS0_17counting_iteratorIjlEEPS9_SE_NS0_5tupleIJPjSE_EEENSF_IJSE_SE_EEES9_SG_JZNS1_25segmented_radix_sort_implINS0_14default_configELb1EPKsPsPKlPlN2at6native12_GLOBAL__N_18offset_tEEE10hipError_tPvRmT1_PNSt15iterator_traitsISY_E10value_typeET2_T3_PNSZ_IS14_E10value_typeET4_jRbjT5_S1A_jjP12ihipStream_tbEUljE_EEESV_SW_SX_S14_S18_S1A_T6_T7_T9_mT8_S1C_bDpT10_ENKUlT_T0_E_clISt17integral_constantIbLb1EES1O_IbLb0EEEEDaS1K_S1L_EUlS1K_E_NS1_11comp_targetILNS1_3genE10ELNS1_11target_archE1200ELNS1_3gpuE4ELNS1_3repE0EEENS1_30default_config_static_selectorELNS0_4arch9wavefront6targetE1EEEvSY_
                                        ; -- End function
	.section	.AMDGPU.csdata,"",@progbits
; Kernel info:
; codeLenInByte = 0
; NumSgprs: 4
; NumVgprs: 0
; NumAgprs: 0
; TotalNumVgprs: 0
; ScratchSize: 0
; MemoryBound: 0
; FloatMode: 240
; IeeeMode: 1
; LDSByteSize: 0 bytes/workgroup (compile time only)
; SGPRBlocks: 0
; VGPRBlocks: 0
; NumSGPRsForWavesPerEU: 4
; NumVGPRsForWavesPerEU: 1
; AccumOffset: 4
; Occupancy: 8
; WaveLimiterHint : 0
; COMPUTE_PGM_RSRC2:SCRATCH_EN: 0
; COMPUTE_PGM_RSRC2:USER_SGPR: 6
; COMPUTE_PGM_RSRC2:TRAP_HANDLER: 0
; COMPUTE_PGM_RSRC2:TGID_X_EN: 1
; COMPUTE_PGM_RSRC2:TGID_Y_EN: 0
; COMPUTE_PGM_RSRC2:TGID_Z_EN: 0
; COMPUTE_PGM_RSRC2:TIDIG_COMP_CNT: 0
; COMPUTE_PGM_RSRC3_GFX90A:ACCUM_OFFSET: 0
; COMPUTE_PGM_RSRC3_GFX90A:TG_SPLIT: 0
	.section	.text._ZN7rocprim17ROCPRIM_400000_NS6detail17trampoline_kernelINS0_13select_configILj256ELj13ELNS0_17block_load_methodE3ELS4_3ELS4_3ELNS0_20block_scan_algorithmE0ELj4294967295EEENS1_25partition_config_selectorILNS1_17partition_subalgoE3EjNS0_10empty_typeEbEEZZNS1_14partition_implILS8_3ELb0ES6_jNS0_17counting_iteratorIjlEEPS9_SE_NS0_5tupleIJPjSE_EEENSF_IJSE_SE_EEES9_SG_JZNS1_25segmented_radix_sort_implINS0_14default_configELb1EPKsPsPKlPlN2at6native12_GLOBAL__N_18offset_tEEE10hipError_tPvRmT1_PNSt15iterator_traitsISY_E10value_typeET2_T3_PNSZ_IS14_E10value_typeET4_jRbjT5_S1A_jjP12ihipStream_tbEUljE_EEESV_SW_SX_S14_S18_S1A_T6_T7_T9_mT8_S1C_bDpT10_ENKUlT_T0_E_clISt17integral_constantIbLb1EES1O_IbLb0EEEEDaS1K_S1L_EUlS1K_E_NS1_11comp_targetILNS1_3genE9ELNS1_11target_archE1100ELNS1_3gpuE3ELNS1_3repE0EEENS1_30default_config_static_selectorELNS0_4arch9wavefront6targetE1EEEvSY_,"axG",@progbits,_ZN7rocprim17ROCPRIM_400000_NS6detail17trampoline_kernelINS0_13select_configILj256ELj13ELNS0_17block_load_methodE3ELS4_3ELS4_3ELNS0_20block_scan_algorithmE0ELj4294967295EEENS1_25partition_config_selectorILNS1_17partition_subalgoE3EjNS0_10empty_typeEbEEZZNS1_14partition_implILS8_3ELb0ES6_jNS0_17counting_iteratorIjlEEPS9_SE_NS0_5tupleIJPjSE_EEENSF_IJSE_SE_EEES9_SG_JZNS1_25segmented_radix_sort_implINS0_14default_configELb1EPKsPsPKlPlN2at6native12_GLOBAL__N_18offset_tEEE10hipError_tPvRmT1_PNSt15iterator_traitsISY_E10value_typeET2_T3_PNSZ_IS14_E10value_typeET4_jRbjT5_S1A_jjP12ihipStream_tbEUljE_EEESV_SW_SX_S14_S18_S1A_T6_T7_T9_mT8_S1C_bDpT10_ENKUlT_T0_E_clISt17integral_constantIbLb1EES1O_IbLb0EEEEDaS1K_S1L_EUlS1K_E_NS1_11comp_targetILNS1_3genE9ELNS1_11target_archE1100ELNS1_3gpuE3ELNS1_3repE0EEENS1_30default_config_static_selectorELNS0_4arch9wavefront6targetE1EEEvSY_,comdat
	.globl	_ZN7rocprim17ROCPRIM_400000_NS6detail17trampoline_kernelINS0_13select_configILj256ELj13ELNS0_17block_load_methodE3ELS4_3ELS4_3ELNS0_20block_scan_algorithmE0ELj4294967295EEENS1_25partition_config_selectorILNS1_17partition_subalgoE3EjNS0_10empty_typeEbEEZZNS1_14partition_implILS8_3ELb0ES6_jNS0_17counting_iteratorIjlEEPS9_SE_NS0_5tupleIJPjSE_EEENSF_IJSE_SE_EEES9_SG_JZNS1_25segmented_radix_sort_implINS0_14default_configELb1EPKsPsPKlPlN2at6native12_GLOBAL__N_18offset_tEEE10hipError_tPvRmT1_PNSt15iterator_traitsISY_E10value_typeET2_T3_PNSZ_IS14_E10value_typeET4_jRbjT5_S1A_jjP12ihipStream_tbEUljE_EEESV_SW_SX_S14_S18_S1A_T6_T7_T9_mT8_S1C_bDpT10_ENKUlT_T0_E_clISt17integral_constantIbLb1EES1O_IbLb0EEEEDaS1K_S1L_EUlS1K_E_NS1_11comp_targetILNS1_3genE9ELNS1_11target_archE1100ELNS1_3gpuE3ELNS1_3repE0EEENS1_30default_config_static_selectorELNS0_4arch9wavefront6targetE1EEEvSY_ ; -- Begin function _ZN7rocprim17ROCPRIM_400000_NS6detail17trampoline_kernelINS0_13select_configILj256ELj13ELNS0_17block_load_methodE3ELS4_3ELS4_3ELNS0_20block_scan_algorithmE0ELj4294967295EEENS1_25partition_config_selectorILNS1_17partition_subalgoE3EjNS0_10empty_typeEbEEZZNS1_14partition_implILS8_3ELb0ES6_jNS0_17counting_iteratorIjlEEPS9_SE_NS0_5tupleIJPjSE_EEENSF_IJSE_SE_EEES9_SG_JZNS1_25segmented_radix_sort_implINS0_14default_configELb1EPKsPsPKlPlN2at6native12_GLOBAL__N_18offset_tEEE10hipError_tPvRmT1_PNSt15iterator_traitsISY_E10value_typeET2_T3_PNSZ_IS14_E10value_typeET4_jRbjT5_S1A_jjP12ihipStream_tbEUljE_EEESV_SW_SX_S14_S18_S1A_T6_T7_T9_mT8_S1C_bDpT10_ENKUlT_T0_E_clISt17integral_constantIbLb1EES1O_IbLb0EEEEDaS1K_S1L_EUlS1K_E_NS1_11comp_targetILNS1_3genE9ELNS1_11target_archE1100ELNS1_3gpuE3ELNS1_3repE0EEENS1_30default_config_static_selectorELNS0_4arch9wavefront6targetE1EEEvSY_
	.p2align	8
	.type	_ZN7rocprim17ROCPRIM_400000_NS6detail17trampoline_kernelINS0_13select_configILj256ELj13ELNS0_17block_load_methodE3ELS4_3ELS4_3ELNS0_20block_scan_algorithmE0ELj4294967295EEENS1_25partition_config_selectorILNS1_17partition_subalgoE3EjNS0_10empty_typeEbEEZZNS1_14partition_implILS8_3ELb0ES6_jNS0_17counting_iteratorIjlEEPS9_SE_NS0_5tupleIJPjSE_EEENSF_IJSE_SE_EEES9_SG_JZNS1_25segmented_radix_sort_implINS0_14default_configELb1EPKsPsPKlPlN2at6native12_GLOBAL__N_18offset_tEEE10hipError_tPvRmT1_PNSt15iterator_traitsISY_E10value_typeET2_T3_PNSZ_IS14_E10value_typeET4_jRbjT5_S1A_jjP12ihipStream_tbEUljE_EEESV_SW_SX_S14_S18_S1A_T6_T7_T9_mT8_S1C_bDpT10_ENKUlT_T0_E_clISt17integral_constantIbLb1EES1O_IbLb0EEEEDaS1K_S1L_EUlS1K_E_NS1_11comp_targetILNS1_3genE9ELNS1_11target_archE1100ELNS1_3gpuE3ELNS1_3repE0EEENS1_30default_config_static_selectorELNS0_4arch9wavefront6targetE1EEEvSY_,@function
_ZN7rocprim17ROCPRIM_400000_NS6detail17trampoline_kernelINS0_13select_configILj256ELj13ELNS0_17block_load_methodE3ELS4_3ELS4_3ELNS0_20block_scan_algorithmE0ELj4294967295EEENS1_25partition_config_selectorILNS1_17partition_subalgoE3EjNS0_10empty_typeEbEEZZNS1_14partition_implILS8_3ELb0ES6_jNS0_17counting_iteratorIjlEEPS9_SE_NS0_5tupleIJPjSE_EEENSF_IJSE_SE_EEES9_SG_JZNS1_25segmented_radix_sort_implINS0_14default_configELb1EPKsPsPKlPlN2at6native12_GLOBAL__N_18offset_tEEE10hipError_tPvRmT1_PNSt15iterator_traitsISY_E10value_typeET2_T3_PNSZ_IS14_E10value_typeET4_jRbjT5_S1A_jjP12ihipStream_tbEUljE_EEESV_SW_SX_S14_S18_S1A_T6_T7_T9_mT8_S1C_bDpT10_ENKUlT_T0_E_clISt17integral_constantIbLb1EES1O_IbLb0EEEEDaS1K_S1L_EUlS1K_E_NS1_11comp_targetILNS1_3genE9ELNS1_11target_archE1100ELNS1_3gpuE3ELNS1_3repE0EEENS1_30default_config_static_selectorELNS0_4arch9wavefront6targetE1EEEvSY_: ; @_ZN7rocprim17ROCPRIM_400000_NS6detail17trampoline_kernelINS0_13select_configILj256ELj13ELNS0_17block_load_methodE3ELS4_3ELS4_3ELNS0_20block_scan_algorithmE0ELj4294967295EEENS1_25partition_config_selectorILNS1_17partition_subalgoE3EjNS0_10empty_typeEbEEZZNS1_14partition_implILS8_3ELb0ES6_jNS0_17counting_iteratorIjlEEPS9_SE_NS0_5tupleIJPjSE_EEENSF_IJSE_SE_EEES9_SG_JZNS1_25segmented_radix_sort_implINS0_14default_configELb1EPKsPsPKlPlN2at6native12_GLOBAL__N_18offset_tEEE10hipError_tPvRmT1_PNSt15iterator_traitsISY_E10value_typeET2_T3_PNSZ_IS14_E10value_typeET4_jRbjT5_S1A_jjP12ihipStream_tbEUljE_EEESV_SW_SX_S14_S18_S1A_T6_T7_T9_mT8_S1C_bDpT10_ENKUlT_T0_E_clISt17integral_constantIbLb1EES1O_IbLb0EEEEDaS1K_S1L_EUlS1K_E_NS1_11comp_targetILNS1_3genE9ELNS1_11target_archE1100ELNS1_3gpuE3ELNS1_3repE0EEENS1_30default_config_static_selectorELNS0_4arch9wavefront6targetE1EEEvSY_
; %bb.0:
	.section	.rodata,"a",@progbits
	.p2align	6, 0x0
	.amdhsa_kernel _ZN7rocprim17ROCPRIM_400000_NS6detail17trampoline_kernelINS0_13select_configILj256ELj13ELNS0_17block_load_methodE3ELS4_3ELS4_3ELNS0_20block_scan_algorithmE0ELj4294967295EEENS1_25partition_config_selectorILNS1_17partition_subalgoE3EjNS0_10empty_typeEbEEZZNS1_14partition_implILS8_3ELb0ES6_jNS0_17counting_iteratorIjlEEPS9_SE_NS0_5tupleIJPjSE_EEENSF_IJSE_SE_EEES9_SG_JZNS1_25segmented_radix_sort_implINS0_14default_configELb1EPKsPsPKlPlN2at6native12_GLOBAL__N_18offset_tEEE10hipError_tPvRmT1_PNSt15iterator_traitsISY_E10value_typeET2_T3_PNSZ_IS14_E10value_typeET4_jRbjT5_S1A_jjP12ihipStream_tbEUljE_EEESV_SW_SX_S14_S18_S1A_T6_T7_T9_mT8_S1C_bDpT10_ENKUlT_T0_E_clISt17integral_constantIbLb1EES1O_IbLb0EEEEDaS1K_S1L_EUlS1K_E_NS1_11comp_targetILNS1_3genE9ELNS1_11target_archE1100ELNS1_3gpuE3ELNS1_3repE0EEENS1_30default_config_static_selectorELNS0_4arch9wavefront6targetE1EEEvSY_
		.amdhsa_group_segment_fixed_size 0
		.amdhsa_private_segment_fixed_size 0
		.amdhsa_kernarg_size 144
		.amdhsa_user_sgpr_count 6
		.amdhsa_user_sgpr_private_segment_buffer 1
		.amdhsa_user_sgpr_dispatch_ptr 0
		.amdhsa_user_sgpr_queue_ptr 0
		.amdhsa_user_sgpr_kernarg_segment_ptr 1
		.amdhsa_user_sgpr_dispatch_id 0
		.amdhsa_user_sgpr_flat_scratch_init 0
		.amdhsa_user_sgpr_kernarg_preload_length 0
		.amdhsa_user_sgpr_kernarg_preload_offset 0
		.amdhsa_user_sgpr_private_segment_size 0
		.amdhsa_uses_dynamic_stack 0
		.amdhsa_system_sgpr_private_segment_wavefront_offset 0
		.amdhsa_system_sgpr_workgroup_id_x 1
		.amdhsa_system_sgpr_workgroup_id_y 0
		.amdhsa_system_sgpr_workgroup_id_z 0
		.amdhsa_system_sgpr_workgroup_info 0
		.amdhsa_system_vgpr_workitem_id 0
		.amdhsa_next_free_vgpr 1
		.amdhsa_next_free_sgpr 0
		.amdhsa_accum_offset 4
		.amdhsa_reserve_vcc 0
		.amdhsa_reserve_flat_scratch 0
		.amdhsa_float_round_mode_32 0
		.amdhsa_float_round_mode_16_64 0
		.amdhsa_float_denorm_mode_32 3
		.amdhsa_float_denorm_mode_16_64 3
		.amdhsa_dx10_clamp 1
		.amdhsa_ieee_mode 1
		.amdhsa_fp16_overflow 0
		.amdhsa_tg_split 0
		.amdhsa_exception_fp_ieee_invalid_op 0
		.amdhsa_exception_fp_denorm_src 0
		.amdhsa_exception_fp_ieee_div_zero 0
		.amdhsa_exception_fp_ieee_overflow 0
		.amdhsa_exception_fp_ieee_underflow 0
		.amdhsa_exception_fp_ieee_inexact 0
		.amdhsa_exception_int_div_zero 0
	.end_amdhsa_kernel
	.section	.text._ZN7rocprim17ROCPRIM_400000_NS6detail17trampoline_kernelINS0_13select_configILj256ELj13ELNS0_17block_load_methodE3ELS4_3ELS4_3ELNS0_20block_scan_algorithmE0ELj4294967295EEENS1_25partition_config_selectorILNS1_17partition_subalgoE3EjNS0_10empty_typeEbEEZZNS1_14partition_implILS8_3ELb0ES6_jNS0_17counting_iteratorIjlEEPS9_SE_NS0_5tupleIJPjSE_EEENSF_IJSE_SE_EEES9_SG_JZNS1_25segmented_radix_sort_implINS0_14default_configELb1EPKsPsPKlPlN2at6native12_GLOBAL__N_18offset_tEEE10hipError_tPvRmT1_PNSt15iterator_traitsISY_E10value_typeET2_T3_PNSZ_IS14_E10value_typeET4_jRbjT5_S1A_jjP12ihipStream_tbEUljE_EEESV_SW_SX_S14_S18_S1A_T6_T7_T9_mT8_S1C_bDpT10_ENKUlT_T0_E_clISt17integral_constantIbLb1EES1O_IbLb0EEEEDaS1K_S1L_EUlS1K_E_NS1_11comp_targetILNS1_3genE9ELNS1_11target_archE1100ELNS1_3gpuE3ELNS1_3repE0EEENS1_30default_config_static_selectorELNS0_4arch9wavefront6targetE1EEEvSY_,"axG",@progbits,_ZN7rocprim17ROCPRIM_400000_NS6detail17trampoline_kernelINS0_13select_configILj256ELj13ELNS0_17block_load_methodE3ELS4_3ELS4_3ELNS0_20block_scan_algorithmE0ELj4294967295EEENS1_25partition_config_selectorILNS1_17partition_subalgoE3EjNS0_10empty_typeEbEEZZNS1_14partition_implILS8_3ELb0ES6_jNS0_17counting_iteratorIjlEEPS9_SE_NS0_5tupleIJPjSE_EEENSF_IJSE_SE_EEES9_SG_JZNS1_25segmented_radix_sort_implINS0_14default_configELb1EPKsPsPKlPlN2at6native12_GLOBAL__N_18offset_tEEE10hipError_tPvRmT1_PNSt15iterator_traitsISY_E10value_typeET2_T3_PNSZ_IS14_E10value_typeET4_jRbjT5_S1A_jjP12ihipStream_tbEUljE_EEESV_SW_SX_S14_S18_S1A_T6_T7_T9_mT8_S1C_bDpT10_ENKUlT_T0_E_clISt17integral_constantIbLb1EES1O_IbLb0EEEEDaS1K_S1L_EUlS1K_E_NS1_11comp_targetILNS1_3genE9ELNS1_11target_archE1100ELNS1_3gpuE3ELNS1_3repE0EEENS1_30default_config_static_selectorELNS0_4arch9wavefront6targetE1EEEvSY_,comdat
.Lfunc_end901:
	.size	_ZN7rocprim17ROCPRIM_400000_NS6detail17trampoline_kernelINS0_13select_configILj256ELj13ELNS0_17block_load_methodE3ELS4_3ELS4_3ELNS0_20block_scan_algorithmE0ELj4294967295EEENS1_25partition_config_selectorILNS1_17partition_subalgoE3EjNS0_10empty_typeEbEEZZNS1_14partition_implILS8_3ELb0ES6_jNS0_17counting_iteratorIjlEEPS9_SE_NS0_5tupleIJPjSE_EEENSF_IJSE_SE_EEES9_SG_JZNS1_25segmented_radix_sort_implINS0_14default_configELb1EPKsPsPKlPlN2at6native12_GLOBAL__N_18offset_tEEE10hipError_tPvRmT1_PNSt15iterator_traitsISY_E10value_typeET2_T3_PNSZ_IS14_E10value_typeET4_jRbjT5_S1A_jjP12ihipStream_tbEUljE_EEESV_SW_SX_S14_S18_S1A_T6_T7_T9_mT8_S1C_bDpT10_ENKUlT_T0_E_clISt17integral_constantIbLb1EES1O_IbLb0EEEEDaS1K_S1L_EUlS1K_E_NS1_11comp_targetILNS1_3genE9ELNS1_11target_archE1100ELNS1_3gpuE3ELNS1_3repE0EEENS1_30default_config_static_selectorELNS0_4arch9wavefront6targetE1EEEvSY_, .Lfunc_end901-_ZN7rocprim17ROCPRIM_400000_NS6detail17trampoline_kernelINS0_13select_configILj256ELj13ELNS0_17block_load_methodE3ELS4_3ELS4_3ELNS0_20block_scan_algorithmE0ELj4294967295EEENS1_25partition_config_selectorILNS1_17partition_subalgoE3EjNS0_10empty_typeEbEEZZNS1_14partition_implILS8_3ELb0ES6_jNS0_17counting_iteratorIjlEEPS9_SE_NS0_5tupleIJPjSE_EEENSF_IJSE_SE_EEES9_SG_JZNS1_25segmented_radix_sort_implINS0_14default_configELb1EPKsPsPKlPlN2at6native12_GLOBAL__N_18offset_tEEE10hipError_tPvRmT1_PNSt15iterator_traitsISY_E10value_typeET2_T3_PNSZ_IS14_E10value_typeET4_jRbjT5_S1A_jjP12ihipStream_tbEUljE_EEESV_SW_SX_S14_S18_S1A_T6_T7_T9_mT8_S1C_bDpT10_ENKUlT_T0_E_clISt17integral_constantIbLb1EES1O_IbLb0EEEEDaS1K_S1L_EUlS1K_E_NS1_11comp_targetILNS1_3genE9ELNS1_11target_archE1100ELNS1_3gpuE3ELNS1_3repE0EEENS1_30default_config_static_selectorELNS0_4arch9wavefront6targetE1EEEvSY_
                                        ; -- End function
	.section	.AMDGPU.csdata,"",@progbits
; Kernel info:
; codeLenInByte = 0
; NumSgprs: 4
; NumVgprs: 0
; NumAgprs: 0
; TotalNumVgprs: 0
; ScratchSize: 0
; MemoryBound: 0
; FloatMode: 240
; IeeeMode: 1
; LDSByteSize: 0 bytes/workgroup (compile time only)
; SGPRBlocks: 0
; VGPRBlocks: 0
; NumSGPRsForWavesPerEU: 4
; NumVGPRsForWavesPerEU: 1
; AccumOffset: 4
; Occupancy: 8
; WaveLimiterHint : 0
; COMPUTE_PGM_RSRC2:SCRATCH_EN: 0
; COMPUTE_PGM_RSRC2:USER_SGPR: 6
; COMPUTE_PGM_RSRC2:TRAP_HANDLER: 0
; COMPUTE_PGM_RSRC2:TGID_X_EN: 1
; COMPUTE_PGM_RSRC2:TGID_Y_EN: 0
; COMPUTE_PGM_RSRC2:TGID_Z_EN: 0
; COMPUTE_PGM_RSRC2:TIDIG_COMP_CNT: 0
; COMPUTE_PGM_RSRC3_GFX90A:ACCUM_OFFSET: 0
; COMPUTE_PGM_RSRC3_GFX90A:TG_SPLIT: 0
	.section	.text._ZN7rocprim17ROCPRIM_400000_NS6detail17trampoline_kernelINS0_13select_configILj256ELj13ELNS0_17block_load_methodE3ELS4_3ELS4_3ELNS0_20block_scan_algorithmE0ELj4294967295EEENS1_25partition_config_selectorILNS1_17partition_subalgoE3EjNS0_10empty_typeEbEEZZNS1_14partition_implILS8_3ELb0ES6_jNS0_17counting_iteratorIjlEEPS9_SE_NS0_5tupleIJPjSE_EEENSF_IJSE_SE_EEES9_SG_JZNS1_25segmented_radix_sort_implINS0_14default_configELb1EPKsPsPKlPlN2at6native12_GLOBAL__N_18offset_tEEE10hipError_tPvRmT1_PNSt15iterator_traitsISY_E10value_typeET2_T3_PNSZ_IS14_E10value_typeET4_jRbjT5_S1A_jjP12ihipStream_tbEUljE_EEESV_SW_SX_S14_S18_S1A_T6_T7_T9_mT8_S1C_bDpT10_ENKUlT_T0_E_clISt17integral_constantIbLb1EES1O_IbLb0EEEEDaS1K_S1L_EUlS1K_E_NS1_11comp_targetILNS1_3genE8ELNS1_11target_archE1030ELNS1_3gpuE2ELNS1_3repE0EEENS1_30default_config_static_selectorELNS0_4arch9wavefront6targetE1EEEvSY_,"axG",@progbits,_ZN7rocprim17ROCPRIM_400000_NS6detail17trampoline_kernelINS0_13select_configILj256ELj13ELNS0_17block_load_methodE3ELS4_3ELS4_3ELNS0_20block_scan_algorithmE0ELj4294967295EEENS1_25partition_config_selectorILNS1_17partition_subalgoE3EjNS0_10empty_typeEbEEZZNS1_14partition_implILS8_3ELb0ES6_jNS0_17counting_iteratorIjlEEPS9_SE_NS0_5tupleIJPjSE_EEENSF_IJSE_SE_EEES9_SG_JZNS1_25segmented_radix_sort_implINS0_14default_configELb1EPKsPsPKlPlN2at6native12_GLOBAL__N_18offset_tEEE10hipError_tPvRmT1_PNSt15iterator_traitsISY_E10value_typeET2_T3_PNSZ_IS14_E10value_typeET4_jRbjT5_S1A_jjP12ihipStream_tbEUljE_EEESV_SW_SX_S14_S18_S1A_T6_T7_T9_mT8_S1C_bDpT10_ENKUlT_T0_E_clISt17integral_constantIbLb1EES1O_IbLb0EEEEDaS1K_S1L_EUlS1K_E_NS1_11comp_targetILNS1_3genE8ELNS1_11target_archE1030ELNS1_3gpuE2ELNS1_3repE0EEENS1_30default_config_static_selectorELNS0_4arch9wavefront6targetE1EEEvSY_,comdat
	.globl	_ZN7rocprim17ROCPRIM_400000_NS6detail17trampoline_kernelINS0_13select_configILj256ELj13ELNS0_17block_load_methodE3ELS4_3ELS4_3ELNS0_20block_scan_algorithmE0ELj4294967295EEENS1_25partition_config_selectorILNS1_17partition_subalgoE3EjNS0_10empty_typeEbEEZZNS1_14partition_implILS8_3ELb0ES6_jNS0_17counting_iteratorIjlEEPS9_SE_NS0_5tupleIJPjSE_EEENSF_IJSE_SE_EEES9_SG_JZNS1_25segmented_radix_sort_implINS0_14default_configELb1EPKsPsPKlPlN2at6native12_GLOBAL__N_18offset_tEEE10hipError_tPvRmT1_PNSt15iterator_traitsISY_E10value_typeET2_T3_PNSZ_IS14_E10value_typeET4_jRbjT5_S1A_jjP12ihipStream_tbEUljE_EEESV_SW_SX_S14_S18_S1A_T6_T7_T9_mT8_S1C_bDpT10_ENKUlT_T0_E_clISt17integral_constantIbLb1EES1O_IbLb0EEEEDaS1K_S1L_EUlS1K_E_NS1_11comp_targetILNS1_3genE8ELNS1_11target_archE1030ELNS1_3gpuE2ELNS1_3repE0EEENS1_30default_config_static_selectorELNS0_4arch9wavefront6targetE1EEEvSY_ ; -- Begin function _ZN7rocprim17ROCPRIM_400000_NS6detail17trampoline_kernelINS0_13select_configILj256ELj13ELNS0_17block_load_methodE3ELS4_3ELS4_3ELNS0_20block_scan_algorithmE0ELj4294967295EEENS1_25partition_config_selectorILNS1_17partition_subalgoE3EjNS0_10empty_typeEbEEZZNS1_14partition_implILS8_3ELb0ES6_jNS0_17counting_iteratorIjlEEPS9_SE_NS0_5tupleIJPjSE_EEENSF_IJSE_SE_EEES9_SG_JZNS1_25segmented_radix_sort_implINS0_14default_configELb1EPKsPsPKlPlN2at6native12_GLOBAL__N_18offset_tEEE10hipError_tPvRmT1_PNSt15iterator_traitsISY_E10value_typeET2_T3_PNSZ_IS14_E10value_typeET4_jRbjT5_S1A_jjP12ihipStream_tbEUljE_EEESV_SW_SX_S14_S18_S1A_T6_T7_T9_mT8_S1C_bDpT10_ENKUlT_T0_E_clISt17integral_constantIbLb1EES1O_IbLb0EEEEDaS1K_S1L_EUlS1K_E_NS1_11comp_targetILNS1_3genE8ELNS1_11target_archE1030ELNS1_3gpuE2ELNS1_3repE0EEENS1_30default_config_static_selectorELNS0_4arch9wavefront6targetE1EEEvSY_
	.p2align	8
	.type	_ZN7rocprim17ROCPRIM_400000_NS6detail17trampoline_kernelINS0_13select_configILj256ELj13ELNS0_17block_load_methodE3ELS4_3ELS4_3ELNS0_20block_scan_algorithmE0ELj4294967295EEENS1_25partition_config_selectorILNS1_17partition_subalgoE3EjNS0_10empty_typeEbEEZZNS1_14partition_implILS8_3ELb0ES6_jNS0_17counting_iteratorIjlEEPS9_SE_NS0_5tupleIJPjSE_EEENSF_IJSE_SE_EEES9_SG_JZNS1_25segmented_radix_sort_implINS0_14default_configELb1EPKsPsPKlPlN2at6native12_GLOBAL__N_18offset_tEEE10hipError_tPvRmT1_PNSt15iterator_traitsISY_E10value_typeET2_T3_PNSZ_IS14_E10value_typeET4_jRbjT5_S1A_jjP12ihipStream_tbEUljE_EEESV_SW_SX_S14_S18_S1A_T6_T7_T9_mT8_S1C_bDpT10_ENKUlT_T0_E_clISt17integral_constantIbLb1EES1O_IbLb0EEEEDaS1K_S1L_EUlS1K_E_NS1_11comp_targetILNS1_3genE8ELNS1_11target_archE1030ELNS1_3gpuE2ELNS1_3repE0EEENS1_30default_config_static_selectorELNS0_4arch9wavefront6targetE1EEEvSY_,@function
_ZN7rocprim17ROCPRIM_400000_NS6detail17trampoline_kernelINS0_13select_configILj256ELj13ELNS0_17block_load_methodE3ELS4_3ELS4_3ELNS0_20block_scan_algorithmE0ELj4294967295EEENS1_25partition_config_selectorILNS1_17partition_subalgoE3EjNS0_10empty_typeEbEEZZNS1_14partition_implILS8_3ELb0ES6_jNS0_17counting_iteratorIjlEEPS9_SE_NS0_5tupleIJPjSE_EEENSF_IJSE_SE_EEES9_SG_JZNS1_25segmented_radix_sort_implINS0_14default_configELb1EPKsPsPKlPlN2at6native12_GLOBAL__N_18offset_tEEE10hipError_tPvRmT1_PNSt15iterator_traitsISY_E10value_typeET2_T3_PNSZ_IS14_E10value_typeET4_jRbjT5_S1A_jjP12ihipStream_tbEUljE_EEESV_SW_SX_S14_S18_S1A_T6_T7_T9_mT8_S1C_bDpT10_ENKUlT_T0_E_clISt17integral_constantIbLb1EES1O_IbLb0EEEEDaS1K_S1L_EUlS1K_E_NS1_11comp_targetILNS1_3genE8ELNS1_11target_archE1030ELNS1_3gpuE2ELNS1_3repE0EEENS1_30default_config_static_selectorELNS0_4arch9wavefront6targetE1EEEvSY_: ; @_ZN7rocprim17ROCPRIM_400000_NS6detail17trampoline_kernelINS0_13select_configILj256ELj13ELNS0_17block_load_methodE3ELS4_3ELS4_3ELNS0_20block_scan_algorithmE0ELj4294967295EEENS1_25partition_config_selectorILNS1_17partition_subalgoE3EjNS0_10empty_typeEbEEZZNS1_14partition_implILS8_3ELb0ES6_jNS0_17counting_iteratorIjlEEPS9_SE_NS0_5tupleIJPjSE_EEENSF_IJSE_SE_EEES9_SG_JZNS1_25segmented_radix_sort_implINS0_14default_configELb1EPKsPsPKlPlN2at6native12_GLOBAL__N_18offset_tEEE10hipError_tPvRmT1_PNSt15iterator_traitsISY_E10value_typeET2_T3_PNSZ_IS14_E10value_typeET4_jRbjT5_S1A_jjP12ihipStream_tbEUljE_EEESV_SW_SX_S14_S18_S1A_T6_T7_T9_mT8_S1C_bDpT10_ENKUlT_T0_E_clISt17integral_constantIbLb1EES1O_IbLb0EEEEDaS1K_S1L_EUlS1K_E_NS1_11comp_targetILNS1_3genE8ELNS1_11target_archE1030ELNS1_3gpuE2ELNS1_3repE0EEENS1_30default_config_static_selectorELNS0_4arch9wavefront6targetE1EEEvSY_
; %bb.0:
	.section	.rodata,"a",@progbits
	.p2align	6, 0x0
	.amdhsa_kernel _ZN7rocprim17ROCPRIM_400000_NS6detail17trampoline_kernelINS0_13select_configILj256ELj13ELNS0_17block_load_methodE3ELS4_3ELS4_3ELNS0_20block_scan_algorithmE0ELj4294967295EEENS1_25partition_config_selectorILNS1_17partition_subalgoE3EjNS0_10empty_typeEbEEZZNS1_14partition_implILS8_3ELb0ES6_jNS0_17counting_iteratorIjlEEPS9_SE_NS0_5tupleIJPjSE_EEENSF_IJSE_SE_EEES9_SG_JZNS1_25segmented_radix_sort_implINS0_14default_configELb1EPKsPsPKlPlN2at6native12_GLOBAL__N_18offset_tEEE10hipError_tPvRmT1_PNSt15iterator_traitsISY_E10value_typeET2_T3_PNSZ_IS14_E10value_typeET4_jRbjT5_S1A_jjP12ihipStream_tbEUljE_EEESV_SW_SX_S14_S18_S1A_T6_T7_T9_mT8_S1C_bDpT10_ENKUlT_T0_E_clISt17integral_constantIbLb1EES1O_IbLb0EEEEDaS1K_S1L_EUlS1K_E_NS1_11comp_targetILNS1_3genE8ELNS1_11target_archE1030ELNS1_3gpuE2ELNS1_3repE0EEENS1_30default_config_static_selectorELNS0_4arch9wavefront6targetE1EEEvSY_
		.amdhsa_group_segment_fixed_size 0
		.amdhsa_private_segment_fixed_size 0
		.amdhsa_kernarg_size 144
		.amdhsa_user_sgpr_count 6
		.amdhsa_user_sgpr_private_segment_buffer 1
		.amdhsa_user_sgpr_dispatch_ptr 0
		.amdhsa_user_sgpr_queue_ptr 0
		.amdhsa_user_sgpr_kernarg_segment_ptr 1
		.amdhsa_user_sgpr_dispatch_id 0
		.amdhsa_user_sgpr_flat_scratch_init 0
		.amdhsa_user_sgpr_kernarg_preload_length 0
		.amdhsa_user_sgpr_kernarg_preload_offset 0
		.amdhsa_user_sgpr_private_segment_size 0
		.amdhsa_uses_dynamic_stack 0
		.amdhsa_system_sgpr_private_segment_wavefront_offset 0
		.amdhsa_system_sgpr_workgroup_id_x 1
		.amdhsa_system_sgpr_workgroup_id_y 0
		.amdhsa_system_sgpr_workgroup_id_z 0
		.amdhsa_system_sgpr_workgroup_info 0
		.amdhsa_system_vgpr_workitem_id 0
		.amdhsa_next_free_vgpr 1
		.amdhsa_next_free_sgpr 0
		.amdhsa_accum_offset 4
		.amdhsa_reserve_vcc 0
		.amdhsa_reserve_flat_scratch 0
		.amdhsa_float_round_mode_32 0
		.amdhsa_float_round_mode_16_64 0
		.amdhsa_float_denorm_mode_32 3
		.amdhsa_float_denorm_mode_16_64 3
		.amdhsa_dx10_clamp 1
		.amdhsa_ieee_mode 1
		.amdhsa_fp16_overflow 0
		.amdhsa_tg_split 0
		.amdhsa_exception_fp_ieee_invalid_op 0
		.amdhsa_exception_fp_denorm_src 0
		.amdhsa_exception_fp_ieee_div_zero 0
		.amdhsa_exception_fp_ieee_overflow 0
		.amdhsa_exception_fp_ieee_underflow 0
		.amdhsa_exception_fp_ieee_inexact 0
		.amdhsa_exception_int_div_zero 0
	.end_amdhsa_kernel
	.section	.text._ZN7rocprim17ROCPRIM_400000_NS6detail17trampoline_kernelINS0_13select_configILj256ELj13ELNS0_17block_load_methodE3ELS4_3ELS4_3ELNS0_20block_scan_algorithmE0ELj4294967295EEENS1_25partition_config_selectorILNS1_17partition_subalgoE3EjNS0_10empty_typeEbEEZZNS1_14partition_implILS8_3ELb0ES6_jNS0_17counting_iteratorIjlEEPS9_SE_NS0_5tupleIJPjSE_EEENSF_IJSE_SE_EEES9_SG_JZNS1_25segmented_radix_sort_implINS0_14default_configELb1EPKsPsPKlPlN2at6native12_GLOBAL__N_18offset_tEEE10hipError_tPvRmT1_PNSt15iterator_traitsISY_E10value_typeET2_T3_PNSZ_IS14_E10value_typeET4_jRbjT5_S1A_jjP12ihipStream_tbEUljE_EEESV_SW_SX_S14_S18_S1A_T6_T7_T9_mT8_S1C_bDpT10_ENKUlT_T0_E_clISt17integral_constantIbLb1EES1O_IbLb0EEEEDaS1K_S1L_EUlS1K_E_NS1_11comp_targetILNS1_3genE8ELNS1_11target_archE1030ELNS1_3gpuE2ELNS1_3repE0EEENS1_30default_config_static_selectorELNS0_4arch9wavefront6targetE1EEEvSY_,"axG",@progbits,_ZN7rocprim17ROCPRIM_400000_NS6detail17trampoline_kernelINS0_13select_configILj256ELj13ELNS0_17block_load_methodE3ELS4_3ELS4_3ELNS0_20block_scan_algorithmE0ELj4294967295EEENS1_25partition_config_selectorILNS1_17partition_subalgoE3EjNS0_10empty_typeEbEEZZNS1_14partition_implILS8_3ELb0ES6_jNS0_17counting_iteratorIjlEEPS9_SE_NS0_5tupleIJPjSE_EEENSF_IJSE_SE_EEES9_SG_JZNS1_25segmented_radix_sort_implINS0_14default_configELb1EPKsPsPKlPlN2at6native12_GLOBAL__N_18offset_tEEE10hipError_tPvRmT1_PNSt15iterator_traitsISY_E10value_typeET2_T3_PNSZ_IS14_E10value_typeET4_jRbjT5_S1A_jjP12ihipStream_tbEUljE_EEESV_SW_SX_S14_S18_S1A_T6_T7_T9_mT8_S1C_bDpT10_ENKUlT_T0_E_clISt17integral_constantIbLb1EES1O_IbLb0EEEEDaS1K_S1L_EUlS1K_E_NS1_11comp_targetILNS1_3genE8ELNS1_11target_archE1030ELNS1_3gpuE2ELNS1_3repE0EEENS1_30default_config_static_selectorELNS0_4arch9wavefront6targetE1EEEvSY_,comdat
.Lfunc_end902:
	.size	_ZN7rocprim17ROCPRIM_400000_NS6detail17trampoline_kernelINS0_13select_configILj256ELj13ELNS0_17block_load_methodE3ELS4_3ELS4_3ELNS0_20block_scan_algorithmE0ELj4294967295EEENS1_25partition_config_selectorILNS1_17partition_subalgoE3EjNS0_10empty_typeEbEEZZNS1_14partition_implILS8_3ELb0ES6_jNS0_17counting_iteratorIjlEEPS9_SE_NS0_5tupleIJPjSE_EEENSF_IJSE_SE_EEES9_SG_JZNS1_25segmented_radix_sort_implINS0_14default_configELb1EPKsPsPKlPlN2at6native12_GLOBAL__N_18offset_tEEE10hipError_tPvRmT1_PNSt15iterator_traitsISY_E10value_typeET2_T3_PNSZ_IS14_E10value_typeET4_jRbjT5_S1A_jjP12ihipStream_tbEUljE_EEESV_SW_SX_S14_S18_S1A_T6_T7_T9_mT8_S1C_bDpT10_ENKUlT_T0_E_clISt17integral_constantIbLb1EES1O_IbLb0EEEEDaS1K_S1L_EUlS1K_E_NS1_11comp_targetILNS1_3genE8ELNS1_11target_archE1030ELNS1_3gpuE2ELNS1_3repE0EEENS1_30default_config_static_selectorELNS0_4arch9wavefront6targetE1EEEvSY_, .Lfunc_end902-_ZN7rocprim17ROCPRIM_400000_NS6detail17trampoline_kernelINS0_13select_configILj256ELj13ELNS0_17block_load_methodE3ELS4_3ELS4_3ELNS0_20block_scan_algorithmE0ELj4294967295EEENS1_25partition_config_selectorILNS1_17partition_subalgoE3EjNS0_10empty_typeEbEEZZNS1_14partition_implILS8_3ELb0ES6_jNS0_17counting_iteratorIjlEEPS9_SE_NS0_5tupleIJPjSE_EEENSF_IJSE_SE_EEES9_SG_JZNS1_25segmented_radix_sort_implINS0_14default_configELb1EPKsPsPKlPlN2at6native12_GLOBAL__N_18offset_tEEE10hipError_tPvRmT1_PNSt15iterator_traitsISY_E10value_typeET2_T3_PNSZ_IS14_E10value_typeET4_jRbjT5_S1A_jjP12ihipStream_tbEUljE_EEESV_SW_SX_S14_S18_S1A_T6_T7_T9_mT8_S1C_bDpT10_ENKUlT_T0_E_clISt17integral_constantIbLb1EES1O_IbLb0EEEEDaS1K_S1L_EUlS1K_E_NS1_11comp_targetILNS1_3genE8ELNS1_11target_archE1030ELNS1_3gpuE2ELNS1_3repE0EEENS1_30default_config_static_selectorELNS0_4arch9wavefront6targetE1EEEvSY_
                                        ; -- End function
	.section	.AMDGPU.csdata,"",@progbits
; Kernel info:
; codeLenInByte = 0
; NumSgprs: 4
; NumVgprs: 0
; NumAgprs: 0
; TotalNumVgprs: 0
; ScratchSize: 0
; MemoryBound: 0
; FloatMode: 240
; IeeeMode: 1
; LDSByteSize: 0 bytes/workgroup (compile time only)
; SGPRBlocks: 0
; VGPRBlocks: 0
; NumSGPRsForWavesPerEU: 4
; NumVGPRsForWavesPerEU: 1
; AccumOffset: 4
; Occupancy: 8
; WaveLimiterHint : 0
; COMPUTE_PGM_RSRC2:SCRATCH_EN: 0
; COMPUTE_PGM_RSRC2:USER_SGPR: 6
; COMPUTE_PGM_RSRC2:TRAP_HANDLER: 0
; COMPUTE_PGM_RSRC2:TGID_X_EN: 1
; COMPUTE_PGM_RSRC2:TGID_Y_EN: 0
; COMPUTE_PGM_RSRC2:TGID_Z_EN: 0
; COMPUTE_PGM_RSRC2:TIDIG_COMP_CNT: 0
; COMPUTE_PGM_RSRC3_GFX90A:ACCUM_OFFSET: 0
; COMPUTE_PGM_RSRC3_GFX90A:TG_SPLIT: 0
	.section	.text._ZN7rocprim17ROCPRIM_400000_NS6detail17trampoline_kernelINS0_13select_configILj256ELj13ELNS0_17block_load_methodE3ELS4_3ELS4_3ELNS0_20block_scan_algorithmE0ELj4294967295EEENS1_25partition_config_selectorILNS1_17partition_subalgoE3EjNS0_10empty_typeEbEEZZNS1_14partition_implILS8_3ELb0ES6_jNS0_17counting_iteratorIjlEEPS9_SE_NS0_5tupleIJPjSE_EEENSF_IJSE_SE_EEES9_SG_JZNS1_25segmented_radix_sort_implINS0_14default_configELb1EPKsPsPKlPlN2at6native12_GLOBAL__N_18offset_tEEE10hipError_tPvRmT1_PNSt15iterator_traitsISY_E10value_typeET2_T3_PNSZ_IS14_E10value_typeET4_jRbjT5_S1A_jjP12ihipStream_tbEUljE_EEESV_SW_SX_S14_S18_S1A_T6_T7_T9_mT8_S1C_bDpT10_ENKUlT_T0_E_clISt17integral_constantIbLb0EES1O_IbLb1EEEEDaS1K_S1L_EUlS1K_E_NS1_11comp_targetILNS1_3genE0ELNS1_11target_archE4294967295ELNS1_3gpuE0ELNS1_3repE0EEENS1_30default_config_static_selectorELNS0_4arch9wavefront6targetE1EEEvSY_,"axG",@progbits,_ZN7rocprim17ROCPRIM_400000_NS6detail17trampoline_kernelINS0_13select_configILj256ELj13ELNS0_17block_load_methodE3ELS4_3ELS4_3ELNS0_20block_scan_algorithmE0ELj4294967295EEENS1_25partition_config_selectorILNS1_17partition_subalgoE3EjNS0_10empty_typeEbEEZZNS1_14partition_implILS8_3ELb0ES6_jNS0_17counting_iteratorIjlEEPS9_SE_NS0_5tupleIJPjSE_EEENSF_IJSE_SE_EEES9_SG_JZNS1_25segmented_radix_sort_implINS0_14default_configELb1EPKsPsPKlPlN2at6native12_GLOBAL__N_18offset_tEEE10hipError_tPvRmT1_PNSt15iterator_traitsISY_E10value_typeET2_T3_PNSZ_IS14_E10value_typeET4_jRbjT5_S1A_jjP12ihipStream_tbEUljE_EEESV_SW_SX_S14_S18_S1A_T6_T7_T9_mT8_S1C_bDpT10_ENKUlT_T0_E_clISt17integral_constantIbLb0EES1O_IbLb1EEEEDaS1K_S1L_EUlS1K_E_NS1_11comp_targetILNS1_3genE0ELNS1_11target_archE4294967295ELNS1_3gpuE0ELNS1_3repE0EEENS1_30default_config_static_selectorELNS0_4arch9wavefront6targetE1EEEvSY_,comdat
	.globl	_ZN7rocprim17ROCPRIM_400000_NS6detail17trampoline_kernelINS0_13select_configILj256ELj13ELNS0_17block_load_methodE3ELS4_3ELS4_3ELNS0_20block_scan_algorithmE0ELj4294967295EEENS1_25partition_config_selectorILNS1_17partition_subalgoE3EjNS0_10empty_typeEbEEZZNS1_14partition_implILS8_3ELb0ES6_jNS0_17counting_iteratorIjlEEPS9_SE_NS0_5tupleIJPjSE_EEENSF_IJSE_SE_EEES9_SG_JZNS1_25segmented_radix_sort_implINS0_14default_configELb1EPKsPsPKlPlN2at6native12_GLOBAL__N_18offset_tEEE10hipError_tPvRmT1_PNSt15iterator_traitsISY_E10value_typeET2_T3_PNSZ_IS14_E10value_typeET4_jRbjT5_S1A_jjP12ihipStream_tbEUljE_EEESV_SW_SX_S14_S18_S1A_T6_T7_T9_mT8_S1C_bDpT10_ENKUlT_T0_E_clISt17integral_constantIbLb0EES1O_IbLb1EEEEDaS1K_S1L_EUlS1K_E_NS1_11comp_targetILNS1_3genE0ELNS1_11target_archE4294967295ELNS1_3gpuE0ELNS1_3repE0EEENS1_30default_config_static_selectorELNS0_4arch9wavefront6targetE1EEEvSY_ ; -- Begin function _ZN7rocprim17ROCPRIM_400000_NS6detail17trampoline_kernelINS0_13select_configILj256ELj13ELNS0_17block_load_methodE3ELS4_3ELS4_3ELNS0_20block_scan_algorithmE0ELj4294967295EEENS1_25partition_config_selectorILNS1_17partition_subalgoE3EjNS0_10empty_typeEbEEZZNS1_14partition_implILS8_3ELb0ES6_jNS0_17counting_iteratorIjlEEPS9_SE_NS0_5tupleIJPjSE_EEENSF_IJSE_SE_EEES9_SG_JZNS1_25segmented_radix_sort_implINS0_14default_configELb1EPKsPsPKlPlN2at6native12_GLOBAL__N_18offset_tEEE10hipError_tPvRmT1_PNSt15iterator_traitsISY_E10value_typeET2_T3_PNSZ_IS14_E10value_typeET4_jRbjT5_S1A_jjP12ihipStream_tbEUljE_EEESV_SW_SX_S14_S18_S1A_T6_T7_T9_mT8_S1C_bDpT10_ENKUlT_T0_E_clISt17integral_constantIbLb0EES1O_IbLb1EEEEDaS1K_S1L_EUlS1K_E_NS1_11comp_targetILNS1_3genE0ELNS1_11target_archE4294967295ELNS1_3gpuE0ELNS1_3repE0EEENS1_30default_config_static_selectorELNS0_4arch9wavefront6targetE1EEEvSY_
	.p2align	8
	.type	_ZN7rocprim17ROCPRIM_400000_NS6detail17trampoline_kernelINS0_13select_configILj256ELj13ELNS0_17block_load_methodE3ELS4_3ELS4_3ELNS0_20block_scan_algorithmE0ELj4294967295EEENS1_25partition_config_selectorILNS1_17partition_subalgoE3EjNS0_10empty_typeEbEEZZNS1_14partition_implILS8_3ELb0ES6_jNS0_17counting_iteratorIjlEEPS9_SE_NS0_5tupleIJPjSE_EEENSF_IJSE_SE_EEES9_SG_JZNS1_25segmented_radix_sort_implINS0_14default_configELb1EPKsPsPKlPlN2at6native12_GLOBAL__N_18offset_tEEE10hipError_tPvRmT1_PNSt15iterator_traitsISY_E10value_typeET2_T3_PNSZ_IS14_E10value_typeET4_jRbjT5_S1A_jjP12ihipStream_tbEUljE_EEESV_SW_SX_S14_S18_S1A_T6_T7_T9_mT8_S1C_bDpT10_ENKUlT_T0_E_clISt17integral_constantIbLb0EES1O_IbLb1EEEEDaS1K_S1L_EUlS1K_E_NS1_11comp_targetILNS1_3genE0ELNS1_11target_archE4294967295ELNS1_3gpuE0ELNS1_3repE0EEENS1_30default_config_static_selectorELNS0_4arch9wavefront6targetE1EEEvSY_,@function
_ZN7rocprim17ROCPRIM_400000_NS6detail17trampoline_kernelINS0_13select_configILj256ELj13ELNS0_17block_load_methodE3ELS4_3ELS4_3ELNS0_20block_scan_algorithmE0ELj4294967295EEENS1_25partition_config_selectorILNS1_17partition_subalgoE3EjNS0_10empty_typeEbEEZZNS1_14partition_implILS8_3ELb0ES6_jNS0_17counting_iteratorIjlEEPS9_SE_NS0_5tupleIJPjSE_EEENSF_IJSE_SE_EEES9_SG_JZNS1_25segmented_radix_sort_implINS0_14default_configELb1EPKsPsPKlPlN2at6native12_GLOBAL__N_18offset_tEEE10hipError_tPvRmT1_PNSt15iterator_traitsISY_E10value_typeET2_T3_PNSZ_IS14_E10value_typeET4_jRbjT5_S1A_jjP12ihipStream_tbEUljE_EEESV_SW_SX_S14_S18_S1A_T6_T7_T9_mT8_S1C_bDpT10_ENKUlT_T0_E_clISt17integral_constantIbLb0EES1O_IbLb1EEEEDaS1K_S1L_EUlS1K_E_NS1_11comp_targetILNS1_3genE0ELNS1_11target_archE4294967295ELNS1_3gpuE0ELNS1_3repE0EEENS1_30default_config_static_selectorELNS0_4arch9wavefront6targetE1EEEvSY_: ; @_ZN7rocprim17ROCPRIM_400000_NS6detail17trampoline_kernelINS0_13select_configILj256ELj13ELNS0_17block_load_methodE3ELS4_3ELS4_3ELNS0_20block_scan_algorithmE0ELj4294967295EEENS1_25partition_config_selectorILNS1_17partition_subalgoE3EjNS0_10empty_typeEbEEZZNS1_14partition_implILS8_3ELb0ES6_jNS0_17counting_iteratorIjlEEPS9_SE_NS0_5tupleIJPjSE_EEENSF_IJSE_SE_EEES9_SG_JZNS1_25segmented_radix_sort_implINS0_14default_configELb1EPKsPsPKlPlN2at6native12_GLOBAL__N_18offset_tEEE10hipError_tPvRmT1_PNSt15iterator_traitsISY_E10value_typeET2_T3_PNSZ_IS14_E10value_typeET4_jRbjT5_S1A_jjP12ihipStream_tbEUljE_EEESV_SW_SX_S14_S18_S1A_T6_T7_T9_mT8_S1C_bDpT10_ENKUlT_T0_E_clISt17integral_constantIbLb0EES1O_IbLb1EEEEDaS1K_S1L_EUlS1K_E_NS1_11comp_targetILNS1_3genE0ELNS1_11target_archE4294967295ELNS1_3gpuE0ELNS1_3repE0EEENS1_30default_config_static_selectorELNS0_4arch9wavefront6targetE1EEEvSY_
; %bb.0:
	.section	.rodata,"a",@progbits
	.p2align	6, 0x0
	.amdhsa_kernel _ZN7rocprim17ROCPRIM_400000_NS6detail17trampoline_kernelINS0_13select_configILj256ELj13ELNS0_17block_load_methodE3ELS4_3ELS4_3ELNS0_20block_scan_algorithmE0ELj4294967295EEENS1_25partition_config_selectorILNS1_17partition_subalgoE3EjNS0_10empty_typeEbEEZZNS1_14partition_implILS8_3ELb0ES6_jNS0_17counting_iteratorIjlEEPS9_SE_NS0_5tupleIJPjSE_EEENSF_IJSE_SE_EEES9_SG_JZNS1_25segmented_radix_sort_implINS0_14default_configELb1EPKsPsPKlPlN2at6native12_GLOBAL__N_18offset_tEEE10hipError_tPvRmT1_PNSt15iterator_traitsISY_E10value_typeET2_T3_PNSZ_IS14_E10value_typeET4_jRbjT5_S1A_jjP12ihipStream_tbEUljE_EEESV_SW_SX_S14_S18_S1A_T6_T7_T9_mT8_S1C_bDpT10_ENKUlT_T0_E_clISt17integral_constantIbLb0EES1O_IbLb1EEEEDaS1K_S1L_EUlS1K_E_NS1_11comp_targetILNS1_3genE0ELNS1_11target_archE4294967295ELNS1_3gpuE0ELNS1_3repE0EEENS1_30default_config_static_selectorELNS0_4arch9wavefront6targetE1EEEvSY_
		.amdhsa_group_segment_fixed_size 0
		.amdhsa_private_segment_fixed_size 0
		.amdhsa_kernarg_size 152
		.amdhsa_user_sgpr_count 6
		.amdhsa_user_sgpr_private_segment_buffer 1
		.amdhsa_user_sgpr_dispatch_ptr 0
		.amdhsa_user_sgpr_queue_ptr 0
		.amdhsa_user_sgpr_kernarg_segment_ptr 1
		.amdhsa_user_sgpr_dispatch_id 0
		.amdhsa_user_sgpr_flat_scratch_init 0
		.amdhsa_user_sgpr_kernarg_preload_length 0
		.amdhsa_user_sgpr_kernarg_preload_offset 0
		.amdhsa_user_sgpr_private_segment_size 0
		.amdhsa_uses_dynamic_stack 0
		.amdhsa_system_sgpr_private_segment_wavefront_offset 0
		.amdhsa_system_sgpr_workgroup_id_x 1
		.amdhsa_system_sgpr_workgroup_id_y 0
		.amdhsa_system_sgpr_workgroup_id_z 0
		.amdhsa_system_sgpr_workgroup_info 0
		.amdhsa_system_vgpr_workitem_id 0
		.amdhsa_next_free_vgpr 1
		.amdhsa_next_free_sgpr 0
		.amdhsa_accum_offset 4
		.amdhsa_reserve_vcc 0
		.amdhsa_reserve_flat_scratch 0
		.amdhsa_float_round_mode_32 0
		.amdhsa_float_round_mode_16_64 0
		.amdhsa_float_denorm_mode_32 3
		.amdhsa_float_denorm_mode_16_64 3
		.amdhsa_dx10_clamp 1
		.amdhsa_ieee_mode 1
		.amdhsa_fp16_overflow 0
		.amdhsa_tg_split 0
		.amdhsa_exception_fp_ieee_invalid_op 0
		.amdhsa_exception_fp_denorm_src 0
		.amdhsa_exception_fp_ieee_div_zero 0
		.amdhsa_exception_fp_ieee_overflow 0
		.amdhsa_exception_fp_ieee_underflow 0
		.amdhsa_exception_fp_ieee_inexact 0
		.amdhsa_exception_int_div_zero 0
	.end_amdhsa_kernel
	.section	.text._ZN7rocprim17ROCPRIM_400000_NS6detail17trampoline_kernelINS0_13select_configILj256ELj13ELNS0_17block_load_methodE3ELS4_3ELS4_3ELNS0_20block_scan_algorithmE0ELj4294967295EEENS1_25partition_config_selectorILNS1_17partition_subalgoE3EjNS0_10empty_typeEbEEZZNS1_14partition_implILS8_3ELb0ES6_jNS0_17counting_iteratorIjlEEPS9_SE_NS0_5tupleIJPjSE_EEENSF_IJSE_SE_EEES9_SG_JZNS1_25segmented_radix_sort_implINS0_14default_configELb1EPKsPsPKlPlN2at6native12_GLOBAL__N_18offset_tEEE10hipError_tPvRmT1_PNSt15iterator_traitsISY_E10value_typeET2_T3_PNSZ_IS14_E10value_typeET4_jRbjT5_S1A_jjP12ihipStream_tbEUljE_EEESV_SW_SX_S14_S18_S1A_T6_T7_T9_mT8_S1C_bDpT10_ENKUlT_T0_E_clISt17integral_constantIbLb0EES1O_IbLb1EEEEDaS1K_S1L_EUlS1K_E_NS1_11comp_targetILNS1_3genE0ELNS1_11target_archE4294967295ELNS1_3gpuE0ELNS1_3repE0EEENS1_30default_config_static_selectorELNS0_4arch9wavefront6targetE1EEEvSY_,"axG",@progbits,_ZN7rocprim17ROCPRIM_400000_NS6detail17trampoline_kernelINS0_13select_configILj256ELj13ELNS0_17block_load_methodE3ELS4_3ELS4_3ELNS0_20block_scan_algorithmE0ELj4294967295EEENS1_25partition_config_selectorILNS1_17partition_subalgoE3EjNS0_10empty_typeEbEEZZNS1_14partition_implILS8_3ELb0ES6_jNS0_17counting_iteratorIjlEEPS9_SE_NS0_5tupleIJPjSE_EEENSF_IJSE_SE_EEES9_SG_JZNS1_25segmented_radix_sort_implINS0_14default_configELb1EPKsPsPKlPlN2at6native12_GLOBAL__N_18offset_tEEE10hipError_tPvRmT1_PNSt15iterator_traitsISY_E10value_typeET2_T3_PNSZ_IS14_E10value_typeET4_jRbjT5_S1A_jjP12ihipStream_tbEUljE_EEESV_SW_SX_S14_S18_S1A_T6_T7_T9_mT8_S1C_bDpT10_ENKUlT_T0_E_clISt17integral_constantIbLb0EES1O_IbLb1EEEEDaS1K_S1L_EUlS1K_E_NS1_11comp_targetILNS1_3genE0ELNS1_11target_archE4294967295ELNS1_3gpuE0ELNS1_3repE0EEENS1_30default_config_static_selectorELNS0_4arch9wavefront6targetE1EEEvSY_,comdat
.Lfunc_end903:
	.size	_ZN7rocprim17ROCPRIM_400000_NS6detail17trampoline_kernelINS0_13select_configILj256ELj13ELNS0_17block_load_methodE3ELS4_3ELS4_3ELNS0_20block_scan_algorithmE0ELj4294967295EEENS1_25partition_config_selectorILNS1_17partition_subalgoE3EjNS0_10empty_typeEbEEZZNS1_14partition_implILS8_3ELb0ES6_jNS0_17counting_iteratorIjlEEPS9_SE_NS0_5tupleIJPjSE_EEENSF_IJSE_SE_EEES9_SG_JZNS1_25segmented_radix_sort_implINS0_14default_configELb1EPKsPsPKlPlN2at6native12_GLOBAL__N_18offset_tEEE10hipError_tPvRmT1_PNSt15iterator_traitsISY_E10value_typeET2_T3_PNSZ_IS14_E10value_typeET4_jRbjT5_S1A_jjP12ihipStream_tbEUljE_EEESV_SW_SX_S14_S18_S1A_T6_T7_T9_mT8_S1C_bDpT10_ENKUlT_T0_E_clISt17integral_constantIbLb0EES1O_IbLb1EEEEDaS1K_S1L_EUlS1K_E_NS1_11comp_targetILNS1_3genE0ELNS1_11target_archE4294967295ELNS1_3gpuE0ELNS1_3repE0EEENS1_30default_config_static_selectorELNS0_4arch9wavefront6targetE1EEEvSY_, .Lfunc_end903-_ZN7rocprim17ROCPRIM_400000_NS6detail17trampoline_kernelINS0_13select_configILj256ELj13ELNS0_17block_load_methodE3ELS4_3ELS4_3ELNS0_20block_scan_algorithmE0ELj4294967295EEENS1_25partition_config_selectorILNS1_17partition_subalgoE3EjNS0_10empty_typeEbEEZZNS1_14partition_implILS8_3ELb0ES6_jNS0_17counting_iteratorIjlEEPS9_SE_NS0_5tupleIJPjSE_EEENSF_IJSE_SE_EEES9_SG_JZNS1_25segmented_radix_sort_implINS0_14default_configELb1EPKsPsPKlPlN2at6native12_GLOBAL__N_18offset_tEEE10hipError_tPvRmT1_PNSt15iterator_traitsISY_E10value_typeET2_T3_PNSZ_IS14_E10value_typeET4_jRbjT5_S1A_jjP12ihipStream_tbEUljE_EEESV_SW_SX_S14_S18_S1A_T6_T7_T9_mT8_S1C_bDpT10_ENKUlT_T0_E_clISt17integral_constantIbLb0EES1O_IbLb1EEEEDaS1K_S1L_EUlS1K_E_NS1_11comp_targetILNS1_3genE0ELNS1_11target_archE4294967295ELNS1_3gpuE0ELNS1_3repE0EEENS1_30default_config_static_selectorELNS0_4arch9wavefront6targetE1EEEvSY_
                                        ; -- End function
	.section	.AMDGPU.csdata,"",@progbits
; Kernel info:
; codeLenInByte = 0
; NumSgprs: 4
; NumVgprs: 0
; NumAgprs: 0
; TotalNumVgprs: 0
; ScratchSize: 0
; MemoryBound: 0
; FloatMode: 240
; IeeeMode: 1
; LDSByteSize: 0 bytes/workgroup (compile time only)
; SGPRBlocks: 0
; VGPRBlocks: 0
; NumSGPRsForWavesPerEU: 4
; NumVGPRsForWavesPerEU: 1
; AccumOffset: 4
; Occupancy: 8
; WaveLimiterHint : 0
; COMPUTE_PGM_RSRC2:SCRATCH_EN: 0
; COMPUTE_PGM_RSRC2:USER_SGPR: 6
; COMPUTE_PGM_RSRC2:TRAP_HANDLER: 0
; COMPUTE_PGM_RSRC2:TGID_X_EN: 1
; COMPUTE_PGM_RSRC2:TGID_Y_EN: 0
; COMPUTE_PGM_RSRC2:TGID_Z_EN: 0
; COMPUTE_PGM_RSRC2:TIDIG_COMP_CNT: 0
; COMPUTE_PGM_RSRC3_GFX90A:ACCUM_OFFSET: 0
; COMPUTE_PGM_RSRC3_GFX90A:TG_SPLIT: 0
	.section	.text._ZN7rocprim17ROCPRIM_400000_NS6detail17trampoline_kernelINS0_13select_configILj256ELj13ELNS0_17block_load_methodE3ELS4_3ELS4_3ELNS0_20block_scan_algorithmE0ELj4294967295EEENS1_25partition_config_selectorILNS1_17partition_subalgoE3EjNS0_10empty_typeEbEEZZNS1_14partition_implILS8_3ELb0ES6_jNS0_17counting_iteratorIjlEEPS9_SE_NS0_5tupleIJPjSE_EEENSF_IJSE_SE_EEES9_SG_JZNS1_25segmented_radix_sort_implINS0_14default_configELb1EPKsPsPKlPlN2at6native12_GLOBAL__N_18offset_tEEE10hipError_tPvRmT1_PNSt15iterator_traitsISY_E10value_typeET2_T3_PNSZ_IS14_E10value_typeET4_jRbjT5_S1A_jjP12ihipStream_tbEUljE_EEESV_SW_SX_S14_S18_S1A_T6_T7_T9_mT8_S1C_bDpT10_ENKUlT_T0_E_clISt17integral_constantIbLb0EES1O_IbLb1EEEEDaS1K_S1L_EUlS1K_E_NS1_11comp_targetILNS1_3genE5ELNS1_11target_archE942ELNS1_3gpuE9ELNS1_3repE0EEENS1_30default_config_static_selectorELNS0_4arch9wavefront6targetE1EEEvSY_,"axG",@progbits,_ZN7rocprim17ROCPRIM_400000_NS6detail17trampoline_kernelINS0_13select_configILj256ELj13ELNS0_17block_load_methodE3ELS4_3ELS4_3ELNS0_20block_scan_algorithmE0ELj4294967295EEENS1_25partition_config_selectorILNS1_17partition_subalgoE3EjNS0_10empty_typeEbEEZZNS1_14partition_implILS8_3ELb0ES6_jNS0_17counting_iteratorIjlEEPS9_SE_NS0_5tupleIJPjSE_EEENSF_IJSE_SE_EEES9_SG_JZNS1_25segmented_radix_sort_implINS0_14default_configELb1EPKsPsPKlPlN2at6native12_GLOBAL__N_18offset_tEEE10hipError_tPvRmT1_PNSt15iterator_traitsISY_E10value_typeET2_T3_PNSZ_IS14_E10value_typeET4_jRbjT5_S1A_jjP12ihipStream_tbEUljE_EEESV_SW_SX_S14_S18_S1A_T6_T7_T9_mT8_S1C_bDpT10_ENKUlT_T0_E_clISt17integral_constantIbLb0EES1O_IbLb1EEEEDaS1K_S1L_EUlS1K_E_NS1_11comp_targetILNS1_3genE5ELNS1_11target_archE942ELNS1_3gpuE9ELNS1_3repE0EEENS1_30default_config_static_selectorELNS0_4arch9wavefront6targetE1EEEvSY_,comdat
	.globl	_ZN7rocprim17ROCPRIM_400000_NS6detail17trampoline_kernelINS0_13select_configILj256ELj13ELNS0_17block_load_methodE3ELS4_3ELS4_3ELNS0_20block_scan_algorithmE0ELj4294967295EEENS1_25partition_config_selectorILNS1_17partition_subalgoE3EjNS0_10empty_typeEbEEZZNS1_14partition_implILS8_3ELb0ES6_jNS0_17counting_iteratorIjlEEPS9_SE_NS0_5tupleIJPjSE_EEENSF_IJSE_SE_EEES9_SG_JZNS1_25segmented_radix_sort_implINS0_14default_configELb1EPKsPsPKlPlN2at6native12_GLOBAL__N_18offset_tEEE10hipError_tPvRmT1_PNSt15iterator_traitsISY_E10value_typeET2_T3_PNSZ_IS14_E10value_typeET4_jRbjT5_S1A_jjP12ihipStream_tbEUljE_EEESV_SW_SX_S14_S18_S1A_T6_T7_T9_mT8_S1C_bDpT10_ENKUlT_T0_E_clISt17integral_constantIbLb0EES1O_IbLb1EEEEDaS1K_S1L_EUlS1K_E_NS1_11comp_targetILNS1_3genE5ELNS1_11target_archE942ELNS1_3gpuE9ELNS1_3repE0EEENS1_30default_config_static_selectorELNS0_4arch9wavefront6targetE1EEEvSY_ ; -- Begin function _ZN7rocprim17ROCPRIM_400000_NS6detail17trampoline_kernelINS0_13select_configILj256ELj13ELNS0_17block_load_methodE3ELS4_3ELS4_3ELNS0_20block_scan_algorithmE0ELj4294967295EEENS1_25partition_config_selectorILNS1_17partition_subalgoE3EjNS0_10empty_typeEbEEZZNS1_14partition_implILS8_3ELb0ES6_jNS0_17counting_iteratorIjlEEPS9_SE_NS0_5tupleIJPjSE_EEENSF_IJSE_SE_EEES9_SG_JZNS1_25segmented_radix_sort_implINS0_14default_configELb1EPKsPsPKlPlN2at6native12_GLOBAL__N_18offset_tEEE10hipError_tPvRmT1_PNSt15iterator_traitsISY_E10value_typeET2_T3_PNSZ_IS14_E10value_typeET4_jRbjT5_S1A_jjP12ihipStream_tbEUljE_EEESV_SW_SX_S14_S18_S1A_T6_T7_T9_mT8_S1C_bDpT10_ENKUlT_T0_E_clISt17integral_constantIbLb0EES1O_IbLb1EEEEDaS1K_S1L_EUlS1K_E_NS1_11comp_targetILNS1_3genE5ELNS1_11target_archE942ELNS1_3gpuE9ELNS1_3repE0EEENS1_30default_config_static_selectorELNS0_4arch9wavefront6targetE1EEEvSY_
	.p2align	8
	.type	_ZN7rocprim17ROCPRIM_400000_NS6detail17trampoline_kernelINS0_13select_configILj256ELj13ELNS0_17block_load_methodE3ELS4_3ELS4_3ELNS0_20block_scan_algorithmE0ELj4294967295EEENS1_25partition_config_selectorILNS1_17partition_subalgoE3EjNS0_10empty_typeEbEEZZNS1_14partition_implILS8_3ELb0ES6_jNS0_17counting_iteratorIjlEEPS9_SE_NS0_5tupleIJPjSE_EEENSF_IJSE_SE_EEES9_SG_JZNS1_25segmented_radix_sort_implINS0_14default_configELb1EPKsPsPKlPlN2at6native12_GLOBAL__N_18offset_tEEE10hipError_tPvRmT1_PNSt15iterator_traitsISY_E10value_typeET2_T3_PNSZ_IS14_E10value_typeET4_jRbjT5_S1A_jjP12ihipStream_tbEUljE_EEESV_SW_SX_S14_S18_S1A_T6_T7_T9_mT8_S1C_bDpT10_ENKUlT_T0_E_clISt17integral_constantIbLb0EES1O_IbLb1EEEEDaS1K_S1L_EUlS1K_E_NS1_11comp_targetILNS1_3genE5ELNS1_11target_archE942ELNS1_3gpuE9ELNS1_3repE0EEENS1_30default_config_static_selectorELNS0_4arch9wavefront6targetE1EEEvSY_,@function
_ZN7rocprim17ROCPRIM_400000_NS6detail17trampoline_kernelINS0_13select_configILj256ELj13ELNS0_17block_load_methodE3ELS4_3ELS4_3ELNS0_20block_scan_algorithmE0ELj4294967295EEENS1_25partition_config_selectorILNS1_17partition_subalgoE3EjNS0_10empty_typeEbEEZZNS1_14partition_implILS8_3ELb0ES6_jNS0_17counting_iteratorIjlEEPS9_SE_NS0_5tupleIJPjSE_EEENSF_IJSE_SE_EEES9_SG_JZNS1_25segmented_radix_sort_implINS0_14default_configELb1EPKsPsPKlPlN2at6native12_GLOBAL__N_18offset_tEEE10hipError_tPvRmT1_PNSt15iterator_traitsISY_E10value_typeET2_T3_PNSZ_IS14_E10value_typeET4_jRbjT5_S1A_jjP12ihipStream_tbEUljE_EEESV_SW_SX_S14_S18_S1A_T6_T7_T9_mT8_S1C_bDpT10_ENKUlT_T0_E_clISt17integral_constantIbLb0EES1O_IbLb1EEEEDaS1K_S1L_EUlS1K_E_NS1_11comp_targetILNS1_3genE5ELNS1_11target_archE942ELNS1_3gpuE9ELNS1_3repE0EEENS1_30default_config_static_selectorELNS0_4arch9wavefront6targetE1EEEvSY_: ; @_ZN7rocprim17ROCPRIM_400000_NS6detail17trampoline_kernelINS0_13select_configILj256ELj13ELNS0_17block_load_methodE3ELS4_3ELS4_3ELNS0_20block_scan_algorithmE0ELj4294967295EEENS1_25partition_config_selectorILNS1_17partition_subalgoE3EjNS0_10empty_typeEbEEZZNS1_14partition_implILS8_3ELb0ES6_jNS0_17counting_iteratorIjlEEPS9_SE_NS0_5tupleIJPjSE_EEENSF_IJSE_SE_EEES9_SG_JZNS1_25segmented_radix_sort_implINS0_14default_configELb1EPKsPsPKlPlN2at6native12_GLOBAL__N_18offset_tEEE10hipError_tPvRmT1_PNSt15iterator_traitsISY_E10value_typeET2_T3_PNSZ_IS14_E10value_typeET4_jRbjT5_S1A_jjP12ihipStream_tbEUljE_EEESV_SW_SX_S14_S18_S1A_T6_T7_T9_mT8_S1C_bDpT10_ENKUlT_T0_E_clISt17integral_constantIbLb0EES1O_IbLb1EEEEDaS1K_S1L_EUlS1K_E_NS1_11comp_targetILNS1_3genE5ELNS1_11target_archE942ELNS1_3gpuE9ELNS1_3repE0EEENS1_30default_config_static_selectorELNS0_4arch9wavefront6targetE1EEEvSY_
; %bb.0:
	.section	.rodata,"a",@progbits
	.p2align	6, 0x0
	.amdhsa_kernel _ZN7rocprim17ROCPRIM_400000_NS6detail17trampoline_kernelINS0_13select_configILj256ELj13ELNS0_17block_load_methodE3ELS4_3ELS4_3ELNS0_20block_scan_algorithmE0ELj4294967295EEENS1_25partition_config_selectorILNS1_17partition_subalgoE3EjNS0_10empty_typeEbEEZZNS1_14partition_implILS8_3ELb0ES6_jNS0_17counting_iteratorIjlEEPS9_SE_NS0_5tupleIJPjSE_EEENSF_IJSE_SE_EEES9_SG_JZNS1_25segmented_radix_sort_implINS0_14default_configELb1EPKsPsPKlPlN2at6native12_GLOBAL__N_18offset_tEEE10hipError_tPvRmT1_PNSt15iterator_traitsISY_E10value_typeET2_T3_PNSZ_IS14_E10value_typeET4_jRbjT5_S1A_jjP12ihipStream_tbEUljE_EEESV_SW_SX_S14_S18_S1A_T6_T7_T9_mT8_S1C_bDpT10_ENKUlT_T0_E_clISt17integral_constantIbLb0EES1O_IbLb1EEEEDaS1K_S1L_EUlS1K_E_NS1_11comp_targetILNS1_3genE5ELNS1_11target_archE942ELNS1_3gpuE9ELNS1_3repE0EEENS1_30default_config_static_selectorELNS0_4arch9wavefront6targetE1EEEvSY_
		.amdhsa_group_segment_fixed_size 0
		.amdhsa_private_segment_fixed_size 0
		.amdhsa_kernarg_size 152
		.amdhsa_user_sgpr_count 6
		.amdhsa_user_sgpr_private_segment_buffer 1
		.amdhsa_user_sgpr_dispatch_ptr 0
		.amdhsa_user_sgpr_queue_ptr 0
		.amdhsa_user_sgpr_kernarg_segment_ptr 1
		.amdhsa_user_sgpr_dispatch_id 0
		.amdhsa_user_sgpr_flat_scratch_init 0
		.amdhsa_user_sgpr_kernarg_preload_length 0
		.amdhsa_user_sgpr_kernarg_preload_offset 0
		.amdhsa_user_sgpr_private_segment_size 0
		.amdhsa_uses_dynamic_stack 0
		.amdhsa_system_sgpr_private_segment_wavefront_offset 0
		.amdhsa_system_sgpr_workgroup_id_x 1
		.amdhsa_system_sgpr_workgroup_id_y 0
		.amdhsa_system_sgpr_workgroup_id_z 0
		.amdhsa_system_sgpr_workgroup_info 0
		.amdhsa_system_vgpr_workitem_id 0
		.amdhsa_next_free_vgpr 1
		.amdhsa_next_free_sgpr 0
		.amdhsa_accum_offset 4
		.amdhsa_reserve_vcc 0
		.amdhsa_reserve_flat_scratch 0
		.amdhsa_float_round_mode_32 0
		.amdhsa_float_round_mode_16_64 0
		.amdhsa_float_denorm_mode_32 3
		.amdhsa_float_denorm_mode_16_64 3
		.amdhsa_dx10_clamp 1
		.amdhsa_ieee_mode 1
		.amdhsa_fp16_overflow 0
		.amdhsa_tg_split 0
		.amdhsa_exception_fp_ieee_invalid_op 0
		.amdhsa_exception_fp_denorm_src 0
		.amdhsa_exception_fp_ieee_div_zero 0
		.amdhsa_exception_fp_ieee_overflow 0
		.amdhsa_exception_fp_ieee_underflow 0
		.amdhsa_exception_fp_ieee_inexact 0
		.amdhsa_exception_int_div_zero 0
	.end_amdhsa_kernel
	.section	.text._ZN7rocprim17ROCPRIM_400000_NS6detail17trampoline_kernelINS0_13select_configILj256ELj13ELNS0_17block_load_methodE3ELS4_3ELS4_3ELNS0_20block_scan_algorithmE0ELj4294967295EEENS1_25partition_config_selectorILNS1_17partition_subalgoE3EjNS0_10empty_typeEbEEZZNS1_14partition_implILS8_3ELb0ES6_jNS0_17counting_iteratorIjlEEPS9_SE_NS0_5tupleIJPjSE_EEENSF_IJSE_SE_EEES9_SG_JZNS1_25segmented_radix_sort_implINS0_14default_configELb1EPKsPsPKlPlN2at6native12_GLOBAL__N_18offset_tEEE10hipError_tPvRmT1_PNSt15iterator_traitsISY_E10value_typeET2_T3_PNSZ_IS14_E10value_typeET4_jRbjT5_S1A_jjP12ihipStream_tbEUljE_EEESV_SW_SX_S14_S18_S1A_T6_T7_T9_mT8_S1C_bDpT10_ENKUlT_T0_E_clISt17integral_constantIbLb0EES1O_IbLb1EEEEDaS1K_S1L_EUlS1K_E_NS1_11comp_targetILNS1_3genE5ELNS1_11target_archE942ELNS1_3gpuE9ELNS1_3repE0EEENS1_30default_config_static_selectorELNS0_4arch9wavefront6targetE1EEEvSY_,"axG",@progbits,_ZN7rocprim17ROCPRIM_400000_NS6detail17trampoline_kernelINS0_13select_configILj256ELj13ELNS0_17block_load_methodE3ELS4_3ELS4_3ELNS0_20block_scan_algorithmE0ELj4294967295EEENS1_25partition_config_selectorILNS1_17partition_subalgoE3EjNS0_10empty_typeEbEEZZNS1_14partition_implILS8_3ELb0ES6_jNS0_17counting_iteratorIjlEEPS9_SE_NS0_5tupleIJPjSE_EEENSF_IJSE_SE_EEES9_SG_JZNS1_25segmented_radix_sort_implINS0_14default_configELb1EPKsPsPKlPlN2at6native12_GLOBAL__N_18offset_tEEE10hipError_tPvRmT1_PNSt15iterator_traitsISY_E10value_typeET2_T3_PNSZ_IS14_E10value_typeET4_jRbjT5_S1A_jjP12ihipStream_tbEUljE_EEESV_SW_SX_S14_S18_S1A_T6_T7_T9_mT8_S1C_bDpT10_ENKUlT_T0_E_clISt17integral_constantIbLb0EES1O_IbLb1EEEEDaS1K_S1L_EUlS1K_E_NS1_11comp_targetILNS1_3genE5ELNS1_11target_archE942ELNS1_3gpuE9ELNS1_3repE0EEENS1_30default_config_static_selectorELNS0_4arch9wavefront6targetE1EEEvSY_,comdat
.Lfunc_end904:
	.size	_ZN7rocprim17ROCPRIM_400000_NS6detail17trampoline_kernelINS0_13select_configILj256ELj13ELNS0_17block_load_methodE3ELS4_3ELS4_3ELNS0_20block_scan_algorithmE0ELj4294967295EEENS1_25partition_config_selectorILNS1_17partition_subalgoE3EjNS0_10empty_typeEbEEZZNS1_14partition_implILS8_3ELb0ES6_jNS0_17counting_iteratorIjlEEPS9_SE_NS0_5tupleIJPjSE_EEENSF_IJSE_SE_EEES9_SG_JZNS1_25segmented_radix_sort_implINS0_14default_configELb1EPKsPsPKlPlN2at6native12_GLOBAL__N_18offset_tEEE10hipError_tPvRmT1_PNSt15iterator_traitsISY_E10value_typeET2_T3_PNSZ_IS14_E10value_typeET4_jRbjT5_S1A_jjP12ihipStream_tbEUljE_EEESV_SW_SX_S14_S18_S1A_T6_T7_T9_mT8_S1C_bDpT10_ENKUlT_T0_E_clISt17integral_constantIbLb0EES1O_IbLb1EEEEDaS1K_S1L_EUlS1K_E_NS1_11comp_targetILNS1_3genE5ELNS1_11target_archE942ELNS1_3gpuE9ELNS1_3repE0EEENS1_30default_config_static_selectorELNS0_4arch9wavefront6targetE1EEEvSY_, .Lfunc_end904-_ZN7rocprim17ROCPRIM_400000_NS6detail17trampoline_kernelINS0_13select_configILj256ELj13ELNS0_17block_load_methodE3ELS4_3ELS4_3ELNS0_20block_scan_algorithmE0ELj4294967295EEENS1_25partition_config_selectorILNS1_17partition_subalgoE3EjNS0_10empty_typeEbEEZZNS1_14partition_implILS8_3ELb0ES6_jNS0_17counting_iteratorIjlEEPS9_SE_NS0_5tupleIJPjSE_EEENSF_IJSE_SE_EEES9_SG_JZNS1_25segmented_radix_sort_implINS0_14default_configELb1EPKsPsPKlPlN2at6native12_GLOBAL__N_18offset_tEEE10hipError_tPvRmT1_PNSt15iterator_traitsISY_E10value_typeET2_T3_PNSZ_IS14_E10value_typeET4_jRbjT5_S1A_jjP12ihipStream_tbEUljE_EEESV_SW_SX_S14_S18_S1A_T6_T7_T9_mT8_S1C_bDpT10_ENKUlT_T0_E_clISt17integral_constantIbLb0EES1O_IbLb1EEEEDaS1K_S1L_EUlS1K_E_NS1_11comp_targetILNS1_3genE5ELNS1_11target_archE942ELNS1_3gpuE9ELNS1_3repE0EEENS1_30default_config_static_selectorELNS0_4arch9wavefront6targetE1EEEvSY_
                                        ; -- End function
	.section	.AMDGPU.csdata,"",@progbits
; Kernel info:
; codeLenInByte = 0
; NumSgprs: 4
; NumVgprs: 0
; NumAgprs: 0
; TotalNumVgprs: 0
; ScratchSize: 0
; MemoryBound: 0
; FloatMode: 240
; IeeeMode: 1
; LDSByteSize: 0 bytes/workgroup (compile time only)
; SGPRBlocks: 0
; VGPRBlocks: 0
; NumSGPRsForWavesPerEU: 4
; NumVGPRsForWavesPerEU: 1
; AccumOffset: 4
; Occupancy: 8
; WaveLimiterHint : 0
; COMPUTE_PGM_RSRC2:SCRATCH_EN: 0
; COMPUTE_PGM_RSRC2:USER_SGPR: 6
; COMPUTE_PGM_RSRC2:TRAP_HANDLER: 0
; COMPUTE_PGM_RSRC2:TGID_X_EN: 1
; COMPUTE_PGM_RSRC2:TGID_Y_EN: 0
; COMPUTE_PGM_RSRC2:TGID_Z_EN: 0
; COMPUTE_PGM_RSRC2:TIDIG_COMP_CNT: 0
; COMPUTE_PGM_RSRC3_GFX90A:ACCUM_OFFSET: 0
; COMPUTE_PGM_RSRC3_GFX90A:TG_SPLIT: 0
	.section	.text._ZN7rocprim17ROCPRIM_400000_NS6detail17trampoline_kernelINS0_13select_configILj256ELj13ELNS0_17block_load_methodE3ELS4_3ELS4_3ELNS0_20block_scan_algorithmE0ELj4294967295EEENS1_25partition_config_selectorILNS1_17partition_subalgoE3EjNS0_10empty_typeEbEEZZNS1_14partition_implILS8_3ELb0ES6_jNS0_17counting_iteratorIjlEEPS9_SE_NS0_5tupleIJPjSE_EEENSF_IJSE_SE_EEES9_SG_JZNS1_25segmented_radix_sort_implINS0_14default_configELb1EPKsPsPKlPlN2at6native12_GLOBAL__N_18offset_tEEE10hipError_tPvRmT1_PNSt15iterator_traitsISY_E10value_typeET2_T3_PNSZ_IS14_E10value_typeET4_jRbjT5_S1A_jjP12ihipStream_tbEUljE_EEESV_SW_SX_S14_S18_S1A_T6_T7_T9_mT8_S1C_bDpT10_ENKUlT_T0_E_clISt17integral_constantIbLb0EES1O_IbLb1EEEEDaS1K_S1L_EUlS1K_E_NS1_11comp_targetILNS1_3genE4ELNS1_11target_archE910ELNS1_3gpuE8ELNS1_3repE0EEENS1_30default_config_static_selectorELNS0_4arch9wavefront6targetE1EEEvSY_,"axG",@progbits,_ZN7rocprim17ROCPRIM_400000_NS6detail17trampoline_kernelINS0_13select_configILj256ELj13ELNS0_17block_load_methodE3ELS4_3ELS4_3ELNS0_20block_scan_algorithmE0ELj4294967295EEENS1_25partition_config_selectorILNS1_17partition_subalgoE3EjNS0_10empty_typeEbEEZZNS1_14partition_implILS8_3ELb0ES6_jNS0_17counting_iteratorIjlEEPS9_SE_NS0_5tupleIJPjSE_EEENSF_IJSE_SE_EEES9_SG_JZNS1_25segmented_radix_sort_implINS0_14default_configELb1EPKsPsPKlPlN2at6native12_GLOBAL__N_18offset_tEEE10hipError_tPvRmT1_PNSt15iterator_traitsISY_E10value_typeET2_T3_PNSZ_IS14_E10value_typeET4_jRbjT5_S1A_jjP12ihipStream_tbEUljE_EEESV_SW_SX_S14_S18_S1A_T6_T7_T9_mT8_S1C_bDpT10_ENKUlT_T0_E_clISt17integral_constantIbLb0EES1O_IbLb1EEEEDaS1K_S1L_EUlS1K_E_NS1_11comp_targetILNS1_3genE4ELNS1_11target_archE910ELNS1_3gpuE8ELNS1_3repE0EEENS1_30default_config_static_selectorELNS0_4arch9wavefront6targetE1EEEvSY_,comdat
	.globl	_ZN7rocprim17ROCPRIM_400000_NS6detail17trampoline_kernelINS0_13select_configILj256ELj13ELNS0_17block_load_methodE3ELS4_3ELS4_3ELNS0_20block_scan_algorithmE0ELj4294967295EEENS1_25partition_config_selectorILNS1_17partition_subalgoE3EjNS0_10empty_typeEbEEZZNS1_14partition_implILS8_3ELb0ES6_jNS0_17counting_iteratorIjlEEPS9_SE_NS0_5tupleIJPjSE_EEENSF_IJSE_SE_EEES9_SG_JZNS1_25segmented_radix_sort_implINS0_14default_configELb1EPKsPsPKlPlN2at6native12_GLOBAL__N_18offset_tEEE10hipError_tPvRmT1_PNSt15iterator_traitsISY_E10value_typeET2_T3_PNSZ_IS14_E10value_typeET4_jRbjT5_S1A_jjP12ihipStream_tbEUljE_EEESV_SW_SX_S14_S18_S1A_T6_T7_T9_mT8_S1C_bDpT10_ENKUlT_T0_E_clISt17integral_constantIbLb0EES1O_IbLb1EEEEDaS1K_S1L_EUlS1K_E_NS1_11comp_targetILNS1_3genE4ELNS1_11target_archE910ELNS1_3gpuE8ELNS1_3repE0EEENS1_30default_config_static_selectorELNS0_4arch9wavefront6targetE1EEEvSY_ ; -- Begin function _ZN7rocprim17ROCPRIM_400000_NS6detail17trampoline_kernelINS0_13select_configILj256ELj13ELNS0_17block_load_methodE3ELS4_3ELS4_3ELNS0_20block_scan_algorithmE0ELj4294967295EEENS1_25partition_config_selectorILNS1_17partition_subalgoE3EjNS0_10empty_typeEbEEZZNS1_14partition_implILS8_3ELb0ES6_jNS0_17counting_iteratorIjlEEPS9_SE_NS0_5tupleIJPjSE_EEENSF_IJSE_SE_EEES9_SG_JZNS1_25segmented_radix_sort_implINS0_14default_configELb1EPKsPsPKlPlN2at6native12_GLOBAL__N_18offset_tEEE10hipError_tPvRmT1_PNSt15iterator_traitsISY_E10value_typeET2_T3_PNSZ_IS14_E10value_typeET4_jRbjT5_S1A_jjP12ihipStream_tbEUljE_EEESV_SW_SX_S14_S18_S1A_T6_T7_T9_mT8_S1C_bDpT10_ENKUlT_T0_E_clISt17integral_constantIbLb0EES1O_IbLb1EEEEDaS1K_S1L_EUlS1K_E_NS1_11comp_targetILNS1_3genE4ELNS1_11target_archE910ELNS1_3gpuE8ELNS1_3repE0EEENS1_30default_config_static_selectorELNS0_4arch9wavefront6targetE1EEEvSY_
	.p2align	8
	.type	_ZN7rocprim17ROCPRIM_400000_NS6detail17trampoline_kernelINS0_13select_configILj256ELj13ELNS0_17block_load_methodE3ELS4_3ELS4_3ELNS0_20block_scan_algorithmE0ELj4294967295EEENS1_25partition_config_selectorILNS1_17partition_subalgoE3EjNS0_10empty_typeEbEEZZNS1_14partition_implILS8_3ELb0ES6_jNS0_17counting_iteratorIjlEEPS9_SE_NS0_5tupleIJPjSE_EEENSF_IJSE_SE_EEES9_SG_JZNS1_25segmented_radix_sort_implINS0_14default_configELb1EPKsPsPKlPlN2at6native12_GLOBAL__N_18offset_tEEE10hipError_tPvRmT1_PNSt15iterator_traitsISY_E10value_typeET2_T3_PNSZ_IS14_E10value_typeET4_jRbjT5_S1A_jjP12ihipStream_tbEUljE_EEESV_SW_SX_S14_S18_S1A_T6_T7_T9_mT8_S1C_bDpT10_ENKUlT_T0_E_clISt17integral_constantIbLb0EES1O_IbLb1EEEEDaS1K_S1L_EUlS1K_E_NS1_11comp_targetILNS1_3genE4ELNS1_11target_archE910ELNS1_3gpuE8ELNS1_3repE0EEENS1_30default_config_static_selectorELNS0_4arch9wavefront6targetE1EEEvSY_,@function
_ZN7rocprim17ROCPRIM_400000_NS6detail17trampoline_kernelINS0_13select_configILj256ELj13ELNS0_17block_load_methodE3ELS4_3ELS4_3ELNS0_20block_scan_algorithmE0ELj4294967295EEENS1_25partition_config_selectorILNS1_17partition_subalgoE3EjNS0_10empty_typeEbEEZZNS1_14partition_implILS8_3ELb0ES6_jNS0_17counting_iteratorIjlEEPS9_SE_NS0_5tupleIJPjSE_EEENSF_IJSE_SE_EEES9_SG_JZNS1_25segmented_radix_sort_implINS0_14default_configELb1EPKsPsPKlPlN2at6native12_GLOBAL__N_18offset_tEEE10hipError_tPvRmT1_PNSt15iterator_traitsISY_E10value_typeET2_T3_PNSZ_IS14_E10value_typeET4_jRbjT5_S1A_jjP12ihipStream_tbEUljE_EEESV_SW_SX_S14_S18_S1A_T6_T7_T9_mT8_S1C_bDpT10_ENKUlT_T0_E_clISt17integral_constantIbLb0EES1O_IbLb1EEEEDaS1K_S1L_EUlS1K_E_NS1_11comp_targetILNS1_3genE4ELNS1_11target_archE910ELNS1_3gpuE8ELNS1_3repE0EEENS1_30default_config_static_selectorELNS0_4arch9wavefront6targetE1EEEvSY_: ; @_ZN7rocprim17ROCPRIM_400000_NS6detail17trampoline_kernelINS0_13select_configILj256ELj13ELNS0_17block_load_methodE3ELS4_3ELS4_3ELNS0_20block_scan_algorithmE0ELj4294967295EEENS1_25partition_config_selectorILNS1_17partition_subalgoE3EjNS0_10empty_typeEbEEZZNS1_14partition_implILS8_3ELb0ES6_jNS0_17counting_iteratorIjlEEPS9_SE_NS0_5tupleIJPjSE_EEENSF_IJSE_SE_EEES9_SG_JZNS1_25segmented_radix_sort_implINS0_14default_configELb1EPKsPsPKlPlN2at6native12_GLOBAL__N_18offset_tEEE10hipError_tPvRmT1_PNSt15iterator_traitsISY_E10value_typeET2_T3_PNSZ_IS14_E10value_typeET4_jRbjT5_S1A_jjP12ihipStream_tbEUljE_EEESV_SW_SX_S14_S18_S1A_T6_T7_T9_mT8_S1C_bDpT10_ENKUlT_T0_E_clISt17integral_constantIbLb0EES1O_IbLb1EEEEDaS1K_S1L_EUlS1K_E_NS1_11comp_targetILNS1_3genE4ELNS1_11target_archE910ELNS1_3gpuE8ELNS1_3repE0EEENS1_30default_config_static_selectorELNS0_4arch9wavefront6targetE1EEEvSY_
; %bb.0:
	s_load_dwordx2 s[28:29], s[4:5], 0x10
	s_load_dwordx2 s[24:25], s[4:5], 0x28
	;; [unrolled: 1-line block ×3, first 2 shown]
	s_load_dwordx4 s[20:23], s[4:5], 0x48
	s_load_dword s14, s[4:5], 0x90
	s_load_dwordx2 s[30:31], s[4:5], 0x68
	s_load_dwordx4 s[8:11], s[4:5], 0x80
	v_cmp_eq_u32_e64 s[0:1], 0, v0
	s_and_saveexec_b64 s[2:3], s[0:1]
	s_cbranch_execz .LBB905_4
; %bb.1:
	s_mov_b64 s[12:13], exec
	v_mbcnt_lo_u32_b32 v1, s12, 0
	v_mbcnt_hi_u32_b32 v1, s13, v1
	v_cmp_eq_u32_e32 vcc, 0, v1
                                        ; implicit-def: $vgpr2
	s_and_saveexec_b64 s[6:7], vcc
	s_cbranch_execz .LBB905_3
; %bb.2:
	s_load_dwordx2 s[16:17], s[4:5], 0x78
	s_bcnt1_i32_b64 s12, s[12:13]
	v_mov_b32_e32 v2, 0
	v_mov_b32_e32 v3, s12
	s_waitcnt lgkmcnt(0)
	global_atomic_add v2, v2, v3, s[16:17] glc
.LBB905_3:
	s_or_b64 exec, exec, s[6:7]
	s_waitcnt vmcnt(0)
	v_readfirstlane_b32 s6, v2
	v_add_u32_e32 v1, s6, v1
	v_mov_b32_e32 v2, 0
	ds_write_b32 v2, v1
.LBB905_4:
	s_or_b64 exec, exec, s[2:3]
	v_mov_b32_e32 v1, 0
	s_load_dword s2, s[4:5], 0x8
	s_load_dword s6, s[4:5], 0x70
	s_waitcnt lgkmcnt(0)
	s_barrier
	ds_read_b32 v2, v1
	s_waitcnt lgkmcnt(0)
	s_barrier
	global_load_dwordx2 v[20:21], v1, s[22:23]
	s_add_i32 s7, s2, s28
	s_movk_i32 s2, 0xd00
	s_add_i32 s4, s6, -1
	s_mulk_i32 s6, 0xd00
	v_mul_lo_u32 v34, v2, s2
	s_add_u32 s2, s28, s6
	v_readfirstlane_b32 s40, v2
	s_addc_u32 s3, s29, 0
	s_cmp_eq_u32 s40, s4
	v_pk_mov_b32 v[2:3], s[26:27], s[26:27] op_sel:[0,1]
	s_cselect_b64 s[22:23], -1, 0
	s_cmp_lg_u32 s40, s4
	v_cmp_lt_u64_e32 vcc, s[2:3], v[2:3]
	s_cselect_b64 s[2:3], -1, 0
	s_or_b64 s[4:5], vcc, s[2:3]
	v_add_u32_e32 v1, s7, v34
	s_mov_b64 s[2:3], -1
	s_and_b64 vcc, exec, s[4:5]
	v_add_u32_e32 v2, v1, v0
	v_lshlrev_b32_e32 v1, 2, v0
	s_cbranch_vccz .LBB905_6
; %bb.5:
	v_add_u32_e32 v3, 0x100, v2
	v_add_u32_e32 v4, 0x200, v2
	;; [unrolled: 1-line block ×12, first 2 shown]
	ds_write2st64_b32 v1, v2, v3 offset1:4
	ds_write2st64_b32 v1, v4, v5 offset0:8 offset1:12
	ds_write2st64_b32 v1, v6, v7 offset0:16 offset1:20
	;; [unrolled: 1-line block ×5, first 2 shown]
	ds_write_b32 v1, v14 offset:12288
	s_waitcnt lgkmcnt(0)
	s_barrier
	s_mov_b64 s[2:3], 0
.LBB905_6:
	s_andn2_b64 vcc, exec, s[2:3]
	s_add_i32 s6, s6, s28
	s_cbranch_vccnz .LBB905_8
; %bb.7:
	v_add_u32_e32 v3, 0x100, v2
	v_add_u32_e32 v4, 0x200, v2
	;; [unrolled: 1-line block ×12, first 2 shown]
	ds_write2st64_b32 v1, v2, v3 offset1:4
	ds_write2st64_b32 v1, v4, v5 offset0:8 offset1:12
	ds_write2st64_b32 v1, v6, v7 offset0:16 offset1:20
	;; [unrolled: 1-line block ×5, first 2 shown]
	ds_write_b32 v1, v14 offset:12288
	s_waitcnt lgkmcnt(0)
	s_barrier
.LBB905_8:
	v_mul_u32_u24_e32 v36, 13, v0
	v_lshlrev_b32_e32 v2, 2, v36
	ds_read2_b32 v[32:33], v2 offset1:1
	ds_read2_b32 v[30:31], v2 offset0:2 offset1:3
	ds_read2_b32 v[28:29], v2 offset0:4 offset1:5
	;; [unrolled: 1-line block ×5, first 2 shown]
	ds_read_b32 v35, v2 offset:48
	v_cndmask_b32_e64 v2, 0, 1, s[4:5]
	s_sub_i32 s33, s26, s6
	v_cmp_ne_u32_e64 s[2:3], 1, v2
	s_andn2_b64 vcc, exec, s[4:5]
	s_waitcnt lgkmcnt(0)
	s_barrier
	s_cbranch_vccnz .LBB905_10
; %bb.9:
	v_add_u32_e32 v2, s9, v32
	v_add_u32_e32 v3, s11, v32
	v_mul_lo_u32 v2, v2, s8
	v_mul_lo_u32 v3, v3, s10
	v_sub_u32_e32 v2, v2, v3
	v_add_u32_e32 v3, s9, v33
	v_add_u32_e32 v4, s11, v33
	v_mul_lo_u32 v3, v3, s8
	v_mul_lo_u32 v4, v4, s10
	v_sub_u32_e32 v3, v3, v4
	v_add_u32_e32 v4, s9, v30
	v_add_u32_e32 v5, s11, v30
	v_mul_lo_u32 v4, v4, s8
	v_mul_lo_u32 v5, v5, s10
	v_sub_u32_e32 v4, v4, v5
	v_add_u32_e32 v5, s9, v31
	v_add_u32_e32 v6, s11, v31
	v_mul_lo_u32 v5, v5, s8
	v_mul_lo_u32 v6, v6, s10
	v_sub_u32_e32 v5, v5, v6
	v_add_u32_e32 v6, s9, v28
	v_add_u32_e32 v7, s11, v28
	v_mul_lo_u32 v6, v6, s8
	v_mul_lo_u32 v7, v7, s10
	v_sub_u32_e32 v6, v6, v7
	v_add_u32_e32 v7, s9, v29
	v_add_u32_e32 v8, s11, v29
	v_mul_lo_u32 v7, v7, s8
	v_mul_lo_u32 v8, v8, s10
	v_sub_u32_e32 v7, v7, v8
	v_add_u32_e32 v8, s9, v26
	v_add_u32_e32 v9, s11, v26
	v_mul_lo_u32 v8, v8, s8
	v_mul_lo_u32 v9, v9, s10
	v_cmp_lt_u32_e32 vcc, s14, v2
	v_sub_u32_e32 v8, v8, v9
	v_add_u32_e32 v9, s9, v27
	v_add_u32_e32 v10, s11, v27
	v_cndmask_b32_e64 v2, 0, 1, vcc
	v_cmp_lt_u32_e32 vcc, s14, v3
	v_mul_lo_u32 v9, v9, s8
	v_mul_lo_u32 v10, v10, s10
	v_cndmask_b32_e64 v3, 0, 1, vcc
	v_cmp_lt_u32_e32 vcc, s14, v4
	v_sub_u32_e32 v9, v9, v10
	v_add_u32_e32 v10, s9, v24
	v_add_u32_e32 v11, s11, v24
	v_cndmask_b32_e64 v4, 0, 1, vcc
	v_cmp_lt_u32_e32 vcc, s14, v5
	v_mul_lo_u32 v10, v10, s8
	v_mul_lo_u32 v11, v11, s10
	v_cndmask_b32_e64 v5, 0, 1, vcc
	;; [unrolled: 9-line block ×4, first 2 shown]
	v_cmp_lt_u32_e32 vcc, s14, v10
	v_sub_u32_e32 v12, v12, v13
	v_add_u32_e32 v13, s9, v23
	v_add_u32_e32 v14, s11, v23
	v_lshlrev_b16_e32 v3, 8, v3
	v_cndmask_b32_e64 v10, 0, 1, vcc
	v_cmp_lt_u32_e32 vcc, s14, v11
	v_mul_lo_u32 v13, v13, s8
	v_mul_lo_u32 v14, v14, s10
	v_or_b32_e32 v2, v2, v3
	v_lshlrev_b16_e32 v3, 8, v5
	v_cndmask_b32_e64 v11, 0, 1, vcc
	v_cmp_lt_u32_e32 vcc, s14, v12
	v_sub_u32_e32 v13, v13, v14
	v_or_b32_sdwa v3, v4, v3 dst_sel:WORD_1 dst_unused:UNUSED_PAD src0_sel:DWORD src1_sel:DWORD
	v_cndmask_b32_e64 v12, 0, 1, vcc
	v_cmp_lt_u32_e32 vcc, s14, v13
	v_add_u32_e32 v14, s9, v35
	v_add_u32_e32 v15, s11, v35
	v_or_b32_sdwa v40, v2, v3 dst_sel:DWORD dst_unused:UNUSED_PAD src0_sel:WORD_0 src1_sel:DWORD
	v_lshlrev_b16_e32 v2, 8, v7
	v_lshlrev_b16_e32 v3, 8, v9
	v_cndmask_b32_e64 v13, 0, 1, vcc
	v_mul_lo_u32 v14, v14, s8
	v_mul_lo_u32 v15, v15, s10
	v_or_b32_e32 v2, v6, v2
	v_or_b32_sdwa v3, v8, v3 dst_sel:WORD_1 dst_unused:UNUSED_PAD src0_sel:DWORD src1_sel:DWORD
	v_sub_u32_e32 v14, v14, v15
	v_or_b32_sdwa v39, v2, v3 dst_sel:DWORD dst_unused:UNUSED_PAD src0_sel:WORD_0 src1_sel:DWORD
	v_lshlrev_b16_e32 v2, 8, v11
	v_lshlrev_b16_e32 v3, 8, v13
	v_cmp_lt_u32_e32 vcc, s14, v14
	v_or_b32_e32 v2, v10, v2
	v_or_b32_sdwa v3, v12, v3 dst_sel:WORD_1 dst_unused:UNUSED_PAD src0_sel:DWORD src1_sel:DWORD
	v_cndmask_b32_e64 v37, 0, 1, vcc
	v_or_b32_sdwa v38, v2, v3 dst_sel:DWORD dst_unused:UNUSED_PAD src0_sel:WORD_0 src1_sel:DWORD
	s_addk_i32 s33, 0xd00
	s_cbranch_execz .LBB905_11
	s_branch .LBB905_38
.LBB905_10:
                                        ; implicit-def: $vgpr37
                                        ; implicit-def: $vgpr38
                                        ; implicit-def: $vgpr39
                                        ; implicit-def: $vgpr40
	s_addk_i32 s33, 0xd00
.LBB905_11:
	v_cmp_gt_u32_e32 vcc, s33, v36
	v_mov_b32_e32 v3, 0
	v_mov_b32_e32 v2, 0
	s_and_saveexec_b64 s[4:5], vcc
; %bb.12:
	v_add_u32_e32 v2, s9, v32
	v_add_u32_e32 v4, s11, v32
	v_mul_lo_u32 v2, v2, s8
	v_mul_lo_u32 v4, v4, s10
	v_sub_u32_e32 v2, v2, v4
	v_cmp_lt_u32_e32 vcc, s14, v2
	v_cndmask_b32_e64 v2, 0, 1, vcc
; %bb.13:
	s_or_b64 exec, exec, s[4:5]
	v_add_u32_e32 v4, 1, v36
	v_cmp_gt_u32_e32 vcc, s33, v4
	s_and_saveexec_b64 s[4:5], vcc
; %bb.14:
	v_add_u32_e32 v3, s9, v33
	v_add_u32_e32 v4, s11, v33
	v_mul_lo_u32 v3, v3, s8
	v_mul_lo_u32 v4, v4, s10
	v_sub_u32_e32 v3, v3, v4
	v_cmp_lt_u32_e32 vcc, s14, v3
	v_cndmask_b32_e64 v3, 0, 1, vcc
; %bb.15:
	s_or_b64 exec, exec, s[4:5]
	v_add_u32_e32 v4, 2, v36
	v_cmp_gt_u32_e32 vcc, s33, v4
	v_mov_b32_e32 v5, 0
	v_mov_b32_e32 v4, 0
	s_and_saveexec_b64 s[4:5], vcc
; %bb.16:
	v_add_u32_e32 v4, s9, v30
	v_add_u32_e32 v6, s11, v30
	v_mul_lo_u32 v4, v4, s8
	v_mul_lo_u32 v6, v6, s10
	v_sub_u32_e32 v4, v4, v6
	v_cmp_lt_u32_e32 vcc, s14, v4
	v_cndmask_b32_e64 v4, 0, 1, vcc
; %bb.17:
	s_or_b64 exec, exec, s[4:5]
	v_add_u32_e32 v6, 3, v36
	v_cmp_gt_u32_e32 vcc, s33, v6
	s_and_saveexec_b64 s[4:5], vcc
; %bb.18:
	v_add_u32_e32 v5, s9, v31
	v_add_u32_e32 v6, s11, v31
	v_mul_lo_u32 v5, v5, s8
	v_mul_lo_u32 v6, v6, s10
	v_sub_u32_e32 v5, v5, v6
	v_cmp_lt_u32_e32 vcc, s14, v5
	v_cndmask_b32_e64 v5, 0, 1, vcc
; %bb.19:
	s_or_b64 exec, exec, s[4:5]
	v_add_u32_e32 v6, 4, v36
	v_cmp_gt_u32_e32 vcc, s33, v6
	v_mov_b32_e32 v7, 0
	v_mov_b32_e32 v6, 0
	s_and_saveexec_b64 s[4:5], vcc
; %bb.20:
	v_add_u32_e32 v6, s9, v28
	v_add_u32_e32 v8, s11, v28
	v_mul_lo_u32 v6, v6, s8
	v_mul_lo_u32 v8, v8, s10
	v_sub_u32_e32 v6, v6, v8
	v_cmp_lt_u32_e32 vcc, s14, v6
	v_cndmask_b32_e64 v6, 0, 1, vcc
; %bb.21:
	s_or_b64 exec, exec, s[4:5]
	v_add_u32_e32 v8, 5, v36
	v_cmp_gt_u32_e32 vcc, s33, v8
	s_and_saveexec_b64 s[4:5], vcc
; %bb.22:
	v_add_u32_e32 v7, s9, v29
	v_add_u32_e32 v8, s11, v29
	v_mul_lo_u32 v7, v7, s8
	v_mul_lo_u32 v8, v8, s10
	v_sub_u32_e32 v7, v7, v8
	v_cmp_lt_u32_e32 vcc, s14, v7
	v_cndmask_b32_e64 v7, 0, 1, vcc
; %bb.23:
	s_or_b64 exec, exec, s[4:5]
	v_add_u32_e32 v8, 6, v36
	v_cmp_gt_u32_e32 vcc, s33, v8
	v_mov_b32_e32 v9, 0
	v_mov_b32_e32 v8, 0
	s_and_saveexec_b64 s[4:5], vcc
; %bb.24:
	v_add_u32_e32 v8, s9, v26
	v_add_u32_e32 v10, s11, v26
	v_mul_lo_u32 v8, v8, s8
	v_mul_lo_u32 v10, v10, s10
	v_sub_u32_e32 v8, v8, v10
	v_cmp_lt_u32_e32 vcc, s14, v8
	v_cndmask_b32_e64 v8, 0, 1, vcc
; %bb.25:
	s_or_b64 exec, exec, s[4:5]
	v_add_u32_e32 v10, 7, v36
	v_cmp_gt_u32_e32 vcc, s33, v10
	s_and_saveexec_b64 s[4:5], vcc
; %bb.26:
	v_add_u32_e32 v9, s9, v27
	v_add_u32_e32 v10, s11, v27
	v_mul_lo_u32 v9, v9, s8
	v_mul_lo_u32 v10, v10, s10
	v_sub_u32_e32 v9, v9, v10
	v_cmp_lt_u32_e32 vcc, s14, v9
	v_cndmask_b32_e64 v9, 0, 1, vcc
; %bb.27:
	s_or_b64 exec, exec, s[4:5]
	v_add_u32_e32 v10, 8, v36
	v_cmp_gt_u32_e32 vcc, s33, v10
	v_mov_b32_e32 v11, 0
	v_mov_b32_e32 v10, 0
	s_and_saveexec_b64 s[4:5], vcc
; %bb.28:
	v_add_u32_e32 v10, s9, v24
	v_add_u32_e32 v12, s11, v24
	v_mul_lo_u32 v10, v10, s8
	v_mul_lo_u32 v12, v12, s10
	v_sub_u32_e32 v10, v10, v12
	v_cmp_lt_u32_e32 vcc, s14, v10
	v_cndmask_b32_e64 v10, 0, 1, vcc
; %bb.29:
	s_or_b64 exec, exec, s[4:5]
	v_add_u32_e32 v12, 9, v36
	v_cmp_gt_u32_e32 vcc, s33, v12
	s_and_saveexec_b64 s[4:5], vcc
; %bb.30:
	v_add_u32_e32 v11, s9, v25
	v_add_u32_e32 v12, s11, v25
	v_mul_lo_u32 v11, v11, s8
	v_mul_lo_u32 v12, v12, s10
	v_sub_u32_e32 v11, v11, v12
	v_cmp_lt_u32_e32 vcc, s14, v11
	v_cndmask_b32_e64 v11, 0, 1, vcc
; %bb.31:
	s_or_b64 exec, exec, s[4:5]
	v_add_u32_e32 v12, 10, v36
	v_cmp_gt_u32_e32 vcc, s33, v12
	v_mov_b32_e32 v13, 0
	v_mov_b32_e32 v12, 0
	s_and_saveexec_b64 s[4:5], vcc
; %bb.32:
	v_add_u32_e32 v12, s9, v22
	v_add_u32_e32 v14, s11, v22
	v_mul_lo_u32 v12, v12, s8
	v_mul_lo_u32 v14, v14, s10
	v_sub_u32_e32 v12, v12, v14
	v_cmp_lt_u32_e32 vcc, s14, v12
	v_cndmask_b32_e64 v12, 0, 1, vcc
; %bb.33:
	s_or_b64 exec, exec, s[4:5]
	v_add_u32_e32 v14, 11, v36
	v_cmp_gt_u32_e32 vcc, s33, v14
	s_and_saveexec_b64 s[4:5], vcc
; %bb.34:
	v_add_u32_e32 v13, s9, v23
	v_add_u32_e32 v14, s11, v23
	v_mul_lo_u32 v13, v13, s8
	v_mul_lo_u32 v14, v14, s10
	v_sub_u32_e32 v13, v13, v14
	v_cmp_lt_u32_e32 vcc, s14, v13
	v_cndmask_b32_e64 v13, 0, 1, vcc
; %bb.35:
	s_or_b64 exec, exec, s[4:5]
	v_add_u32_e32 v14, 12, v36
	v_cmp_gt_u32_e32 vcc, s33, v14
	v_mov_b32_e32 v37, 0
	s_and_saveexec_b64 s[4:5], vcc
; %bb.36:
	v_add_u32_e32 v14, s9, v35
	v_add_u32_e32 v15, s11, v35
	v_mul_lo_u32 v14, v14, s8
	v_mul_lo_u32 v15, v15, s10
	v_sub_u32_e32 v14, v14, v15
	v_cmp_lt_u32_e32 vcc, s14, v14
	v_cndmask_b32_e64 v37, 0, 1, vcc
; %bb.37:
	s_or_b64 exec, exec, s[4:5]
	v_lshlrev_b16_e32 v3, 8, v3
	v_or_b32_e32 v2, v2, v3
	v_lshlrev_b16_e32 v3, 8, v5
	v_or_b32_sdwa v3, v4, v3 dst_sel:WORD_1 dst_unused:UNUSED_PAD src0_sel:DWORD src1_sel:DWORD
	v_or_b32_sdwa v40, v2, v3 dst_sel:DWORD dst_unused:UNUSED_PAD src0_sel:WORD_0 src1_sel:DWORD
	v_lshlrev_b16_e32 v2, 8, v7
	v_lshlrev_b16_e32 v3, 8, v9
	v_or_b32_e32 v2, v6, v2
	v_or_b32_sdwa v3, v8, v3 dst_sel:WORD_1 dst_unused:UNUSED_PAD src0_sel:DWORD src1_sel:DWORD
	v_or_b32_sdwa v39, v2, v3 dst_sel:DWORD dst_unused:UNUSED_PAD src0_sel:WORD_0 src1_sel:DWORD
	v_lshlrev_b16_e32 v2, 8, v11
	v_lshlrev_b16_e32 v3, 8, v13
	v_or_b32_e32 v2, v10, v2
	v_or_b32_sdwa v3, v12, v3 dst_sel:WORD_1 dst_unused:UNUSED_PAD src0_sel:DWORD src1_sel:DWORD
	v_or_b32_sdwa v38, v2, v3 dst_sel:DWORD dst_unused:UNUSED_PAD src0_sel:WORD_0 src1_sel:DWORD
.LBB905_38:
	v_and_b32_e32 v44, 0xff, v40
	v_bfe_u32 v45, v40, 8, 8
	v_bfe_u32 v46, v40, 16, 8
	v_lshrrev_b32_e32 v43, 24, v40
	v_and_b32_e32 v47, 0xff, v39
	v_add3_u32 v3, v45, v44, v46
	v_bfe_u32 v48, v39, 8, 8
	v_bfe_u32 v49, v39, 16, 8
	v_add3_u32 v3, v3, v43, v47
	v_lshrrev_b32_e32 v42, 24, v39
	v_and_b32_e32 v50, 0xff, v38
	v_add3_u32 v3, v3, v48, v49
	v_bfe_u32 v51, v38, 8, 8
	v_bfe_u32 v52, v38, 16, 8
	v_add3_u32 v3, v3, v42, v50
	v_lshrrev_b32_e32 v41, 24, v38
	v_and_b32_e32 v2, 0xff, v37
	v_add3_u32 v3, v3, v51, v52
	v_add3_u32 v55, v3, v41, v2
	v_mbcnt_lo_u32_b32 v2, -1, 0
	v_mbcnt_hi_u32_b32 v53, -1, v2
	v_and_b32_e32 v2, 15, v53
	v_cmp_eq_u32_e64 s[16:17], 0, v2
	v_cmp_lt_u32_e64 s[14:15], 1, v2
	v_cmp_lt_u32_e64 s[12:13], 3, v2
	;; [unrolled: 1-line block ×3, first 2 shown]
	v_and_b32_e32 v2, 16, v53
	v_cmp_eq_u32_e64 s[8:9], 0, v2
	v_or_b32_e32 v2, 63, v0
	s_cmp_lg_u32 s40, 0
	v_cmp_lt_u32_e64 s[4:5], 31, v53
	v_lshrrev_b32_e32 v54, 6, v0
	v_cmp_eq_u32_e64 s[6:7], v2, v0
	s_cbranch_scc0 .LBB905_65
; %bb.39:
	v_mov_b32_dpp v2, v55 row_shr:1 row_mask:0xf bank_mask:0xf
	v_cndmask_b32_e64 v2, v2, 0, s[16:17]
	v_add_u32_e32 v2, v2, v55
	s_nop 1
	v_mov_b32_dpp v3, v2 row_shr:2 row_mask:0xf bank_mask:0xf
	v_cndmask_b32_e64 v3, 0, v3, s[14:15]
	v_add_u32_e32 v2, v2, v3
	s_nop 1
	v_mov_b32_dpp v3, v2 row_shr:4 row_mask:0xf bank_mask:0xf
	v_cndmask_b32_e64 v3, 0, v3, s[12:13]
	v_add_u32_e32 v2, v2, v3
	s_nop 1
	v_mov_b32_dpp v3, v2 row_shr:8 row_mask:0xf bank_mask:0xf
	v_cndmask_b32_e64 v3, 0, v3, s[10:11]
	v_add_u32_e32 v2, v2, v3
	s_nop 1
	v_mov_b32_dpp v3, v2 row_bcast:15 row_mask:0xf bank_mask:0xf
	v_cndmask_b32_e64 v3, v3, 0, s[8:9]
	v_add_u32_e32 v2, v2, v3
	s_nop 1
	v_mov_b32_dpp v3, v2 row_bcast:31 row_mask:0xf bank_mask:0xf
	v_cndmask_b32_e64 v3, 0, v3, s[4:5]
	v_add_u32_e32 v2, v2, v3
	s_and_saveexec_b64 s[18:19], s[6:7]
	s_cbranch_execz .LBB905_41
; %bb.40:
	v_lshlrev_b32_e32 v3, 2, v54
	ds_write_b32 v3, v2
.LBB905_41:
	s_or_b64 exec, exec, s[18:19]
	v_cmp_gt_u32_e32 vcc, 4, v0
	s_waitcnt lgkmcnt(0)
	s_barrier
	s_and_saveexec_b64 s[18:19], vcc
	s_cbranch_execz .LBB905_43
; %bb.42:
	ds_read_b32 v3, v1
	v_and_b32_e32 v4, 3, v53
	v_cmp_ne_u32_e32 vcc, 0, v4
	s_waitcnt lgkmcnt(0)
	v_mov_b32_dpp v5, v3 row_shr:1 row_mask:0xf bank_mask:0xf
	v_cndmask_b32_e32 v5, 0, v5, vcc
	v_add_u32_e32 v3, v5, v3
	v_cmp_lt_u32_e32 vcc, 1, v4
	s_nop 0
	v_mov_b32_dpp v5, v3 row_shr:2 row_mask:0xf bank_mask:0xf
	v_cndmask_b32_e32 v4, 0, v5, vcc
	v_add_u32_e32 v3, v3, v4
	ds_write_b32 v1, v3
.LBB905_43:
	s_or_b64 exec, exec, s[18:19]
	v_cmp_gt_u32_e32 vcc, 64, v0
	v_cmp_lt_u32_e64 s[18:19], 63, v0
	s_waitcnt lgkmcnt(0)
	s_barrier
	s_waitcnt lgkmcnt(0)
                                        ; implicit-def: $vgpr12
	s_and_saveexec_b64 s[34:35], s[18:19]
	s_cbranch_execz .LBB905_45
; %bb.44:
	v_lshl_add_u32 v3, v54, 2, -4
	ds_read_b32 v12, v3
	s_waitcnt lgkmcnt(0)
	v_add_u32_e32 v2, v12, v2
.LBB905_45:
	s_or_b64 exec, exec, s[34:35]
	v_add_u32_e32 v3, -1, v53
	v_and_b32_e32 v4, 64, v53
	v_cmp_lt_i32_e64 s[18:19], v3, v4
	v_cndmask_b32_e64 v3, v3, v53, s[18:19]
	v_lshlrev_b32_e32 v3, 2, v3
	ds_bpermute_b32 v13, v3, v2
	v_cmp_eq_u32_e64 s[18:19], 0, v53
	s_and_saveexec_b64 s[34:35], vcc
	s_cbranch_execz .LBB905_64
; %bb.46:
	v_mov_b32_e32 v9, 0
	ds_read_b32 v2, v9 offset:12
	s_and_saveexec_b64 s[36:37], s[18:19]
	s_cbranch_execz .LBB905_48
; %bb.47:
	s_add_i32 s38, s40, 64
	s_mov_b32 s39, 0
	s_lshl_b64 s[38:39], s[38:39], 3
	s_add_u32 s38, s30, s38
	v_mov_b32_e32 v3, 1
	s_addc_u32 s39, s31, s39
	s_waitcnt lgkmcnt(0)
	global_store_dwordx2 v9, v[2:3], s[38:39]
.LBB905_48:
	s_or_b64 exec, exec, s[36:37]
	v_xad_u32 v4, v53, -1, s40
	v_add_u32_e32 v8, 64, v4
	v_lshlrev_b64 v[6:7], 3, v[8:9]
	v_mov_b32_e32 v3, s31
	v_add_co_u32_e32 v10, vcc, s30, v6
	v_addc_co_u32_e32 v11, vcc, v3, v7, vcc
	global_load_dwordx2 v[6:7], v[10:11], off glc
	s_waitcnt vmcnt(0)
	v_cmp_eq_u16_sdwa s[38:39], v7, v9 src0_sel:BYTE_0 src1_sel:DWORD
	s_and_saveexec_b64 s[36:37], s[38:39]
	s_cbranch_execz .LBB905_52
; %bb.49:
	s_mov_b64 s[38:39], 0
	v_mov_b32_e32 v3, 0
.LBB905_50:                             ; =>This Inner Loop Header: Depth=1
	global_load_dwordx2 v[6:7], v[10:11], off glc
	s_waitcnt vmcnt(0)
	v_cmp_ne_u16_sdwa s[42:43], v7, v3 src0_sel:BYTE_0 src1_sel:DWORD
	s_or_b64 s[38:39], s[42:43], s[38:39]
	s_andn2_b64 exec, exec, s[38:39]
	s_cbranch_execnz .LBB905_50
; %bb.51:
	s_or_b64 exec, exec, s[38:39]
.LBB905_52:
	s_or_b64 exec, exec, s[36:37]
	v_and_b32_e32 v14, 63, v53
	v_mov_b32_e32 v3, 2
	v_cmp_ne_u32_e32 vcc, 63, v14
	v_cmp_eq_u16_sdwa s[36:37], v7, v3 src0_sel:BYTE_0 src1_sel:DWORD
	v_lshlrev_b64 v[8:9], v53, -1
	v_addc_co_u32_e32 v11, vcc, 0, v53, vcc
	v_and_b32_e32 v5, s37, v9
	v_lshlrev_b32_e32 v15, 2, v11
	v_or_b32_e32 v5, 0x80000000, v5
	ds_bpermute_b32 v11, v15, v6
	v_and_b32_e32 v10, s36, v8
	v_ffbl_b32_e32 v5, v5
	v_add_u32_e32 v5, 32, v5
	v_ffbl_b32_e32 v10, v10
	v_min_u32_e32 v5, v10, v5
	v_cmp_lt_u32_e32 vcc, v14, v5
	s_waitcnt lgkmcnt(0)
	v_cndmask_b32_e32 v10, 0, v11, vcc
	v_cmp_gt_u32_e32 vcc, 62, v14
	v_add_u32_e32 v6, v10, v6
	v_cndmask_b32_e64 v10, 0, 1, vcc
	v_lshlrev_b32_e32 v10, 1, v10
	v_add_lshl_u32 v16, v10, v53, 2
	ds_bpermute_b32 v10, v16, v6
	v_add_u32_e32 v17, 2, v14
	v_cmp_le_u32_e32 vcc, v17, v5
	v_add_u32_e32 v19, 4, v14
	v_add_u32_e32 v57, 8, v14
	s_waitcnt lgkmcnt(0)
	v_cndmask_b32_e32 v10, 0, v10, vcc
	v_cmp_gt_u32_e32 vcc, 60, v14
	v_add_u32_e32 v6, v6, v10
	v_cndmask_b32_e64 v10, 0, 1, vcc
	v_lshlrev_b32_e32 v10, 2, v10
	v_add_lshl_u32 v18, v10, v53, 2
	ds_bpermute_b32 v10, v18, v6
	v_cmp_le_u32_e32 vcc, v19, v5
	v_add_u32_e32 v60, 16, v14
	v_add_u32_e32 v62, 32, v14
	s_waitcnt lgkmcnt(0)
	v_cndmask_b32_e32 v10, 0, v10, vcc
	v_cmp_gt_u32_e32 vcc, 56, v14
	v_add_u32_e32 v6, v6, v10
	v_cndmask_b32_e64 v10, 0, 1, vcc
	v_lshlrev_b32_e32 v10, 3, v10
	v_add_lshl_u32 v56, v10, v53, 2
	ds_bpermute_b32 v10, v56, v6
	v_cmp_le_u32_e32 vcc, v57, v5
	s_waitcnt lgkmcnt(0)
	v_cndmask_b32_e32 v10, 0, v10, vcc
	v_cmp_gt_u32_e32 vcc, 48, v14
	v_add_u32_e32 v6, v6, v10
	v_cndmask_b32_e64 v10, 0, 1, vcc
	v_lshlrev_b32_e32 v10, 4, v10
	v_add_lshl_u32 v59, v10, v53, 2
	ds_bpermute_b32 v10, v59, v6
	v_cmp_le_u32_e32 vcc, v60, v5
	;; [unrolled: 9-line block ×3, first 2 shown]
	s_waitcnt lgkmcnt(0)
	v_cndmask_b32_e32 v5, 0, v10, vcc
	v_add_u32_e32 v6, v6, v5
	v_mov_b32_e32 v5, 0
	s_branch .LBB905_54
.LBB905_53:                             ;   in Loop: Header=BB905_54 Depth=1
	s_or_b64 exec, exec, s[36:37]
	v_cmp_eq_u16_sdwa s[36:37], v7, v3 src0_sel:BYTE_0 src1_sel:DWORD
	v_and_b32_e32 v10, s37, v9
	v_or_b32_e32 v10, 0x80000000, v10
	ds_bpermute_b32 v63, v15, v6
	v_and_b32_e32 v11, s36, v8
	v_ffbl_b32_e32 v10, v10
	v_add_u32_e32 v10, 32, v10
	v_ffbl_b32_e32 v11, v11
	v_min_u32_e32 v10, v11, v10
	v_cmp_lt_u32_e32 vcc, v14, v10
	s_waitcnt lgkmcnt(0)
	v_cndmask_b32_e32 v11, 0, v63, vcc
	v_add_u32_e32 v6, v11, v6
	ds_bpermute_b32 v11, v16, v6
	v_cmp_le_u32_e32 vcc, v17, v10
	v_subrev_u32_e32 v4, 64, v4
	s_waitcnt lgkmcnt(0)
	v_cndmask_b32_e32 v11, 0, v11, vcc
	v_add_u32_e32 v6, v6, v11
	ds_bpermute_b32 v11, v18, v6
	v_cmp_le_u32_e32 vcc, v19, v10
	s_waitcnt lgkmcnt(0)
	v_cndmask_b32_e32 v11, 0, v11, vcc
	v_add_u32_e32 v6, v6, v11
	ds_bpermute_b32 v11, v56, v6
	v_cmp_le_u32_e32 vcc, v57, v10
	;; [unrolled: 5-line block ×4, first 2 shown]
	s_waitcnt lgkmcnt(0)
	v_cndmask_b32_e32 v10, 0, v11, vcc
	v_add3_u32 v6, v10, v58, v6
.LBB905_54:                             ; =>This Loop Header: Depth=1
                                        ;     Child Loop BB905_57 Depth 2
	v_cmp_ne_u16_sdwa s[36:37], v7, v3 src0_sel:BYTE_0 src1_sel:DWORD
	v_cndmask_b32_e64 v7, 0, 1, s[36:37]
	;;#ASMSTART
	;;#ASMEND
	v_cmp_ne_u32_e32 vcc, 0, v7
	s_cmp_lg_u64 vcc, exec
	v_mov_b32_e32 v58, v6
	s_cbranch_scc1 .LBB905_59
; %bb.55:                               ;   in Loop: Header=BB905_54 Depth=1
	v_lshlrev_b64 v[6:7], 3, v[4:5]
	v_mov_b32_e32 v11, s31
	v_add_co_u32_e32 v10, vcc, s30, v6
	v_addc_co_u32_e32 v11, vcc, v11, v7, vcc
	global_load_dwordx2 v[6:7], v[10:11], off glc
	s_waitcnt vmcnt(0)
	v_cmp_eq_u16_sdwa s[38:39], v7, v5 src0_sel:BYTE_0 src1_sel:DWORD
	s_and_saveexec_b64 s[36:37], s[38:39]
	s_cbranch_execz .LBB905_53
; %bb.56:                               ;   in Loop: Header=BB905_54 Depth=1
	s_mov_b64 s[38:39], 0
.LBB905_57:                             ;   Parent Loop BB905_54 Depth=1
                                        ; =>  This Inner Loop Header: Depth=2
	global_load_dwordx2 v[6:7], v[10:11], off glc
	s_waitcnt vmcnt(0)
	v_cmp_ne_u16_sdwa s[42:43], v7, v5 src0_sel:BYTE_0 src1_sel:DWORD
	s_or_b64 s[38:39], s[42:43], s[38:39]
	s_andn2_b64 exec, exec, s[38:39]
	s_cbranch_execnz .LBB905_57
; %bb.58:                               ;   in Loop: Header=BB905_54 Depth=1
	s_or_b64 exec, exec, s[38:39]
	s_branch .LBB905_53
.LBB905_59:                             ;   in Loop: Header=BB905_54 Depth=1
                                        ; implicit-def: $vgpr6
                                        ; implicit-def: $vgpr7
	s_cbranch_execz .LBB905_54
; %bb.60:
	s_and_saveexec_b64 s[36:37], s[18:19]
	s_cbranch_execz .LBB905_62
; %bb.61:
	s_add_i32 s38, s40, 64
	s_mov_b32 s39, 0
	s_lshl_b64 s[38:39], s[38:39], 3
	s_add_u32 s38, s30, s38
	v_add_u32_e32 v4, v58, v2
	v_mov_b32_e32 v5, 2
	s_addc_u32 s39, s31, s39
	v_mov_b32_e32 v3, 0
	global_store_dwordx2 v3, v[4:5], s[38:39]
	s_movk_i32 s38, 0x3400
	v_add_u32_e64 v3, s38, 0
	ds_write2_b32 v3, v2, v58 offset1:2
.LBB905_62:
	s_or_b64 exec, exec, s[36:37]
	s_and_b64 exec, exec, s[0:1]
	s_cbranch_execz .LBB905_64
; %bb.63:
	v_mov_b32_e32 v2, 0
	ds_write_b32 v2, v58 offset:12
.LBB905_64:
	s_or_b64 exec, exec, s[34:35]
	v_mov_b32_e32 v2, 0
	s_waitcnt lgkmcnt(0)
	s_barrier
	ds_read_b32 v2, v2 offset:12
	v_cndmask_b32_e64 v3, v13, v12, s[18:19]
	v_cndmask_b32_e64 v3, v3, 0, s[0:1]
	s_movk_i32 s18, 0x3400
	v_add_u32_e64 v12, s18, 0
	s_waitcnt lgkmcnt(0)
	v_add_u32_e32 v2, v2, v3
	v_add_u32_e32 v3, v2, v44
	;; [unrolled: 1-line block ×9, first 2 shown]
	s_barrier
	ds_read2_b32 v[18:19], v12 offset1:2
	v_add_u32_e32 v11, v10, v50
	v_add_u32_e32 v12, v11, v51
	v_add_u32_e32 v13, v12, v52
	v_add_u32_e32 v14, v13, v41
	s_branch .LBB905_75
.LBB905_65:
                                        ; implicit-def: $vgpr19
                                        ; implicit-def: $vgpr2_vgpr3_vgpr4_vgpr5_vgpr6_vgpr7_vgpr8_vgpr9_vgpr10_vgpr11_vgpr12_vgpr13_vgpr14_vgpr15_vgpr16_vgpr17
	s_cbranch_execz .LBB905_75
; %bb.66:
	s_nop 0
	v_mov_b32_dpp v2, v55 row_shr:1 row_mask:0xf bank_mask:0xf
	v_cndmask_b32_e64 v2, v2, 0, s[16:17]
	v_add_u32_e32 v2, v2, v55
	s_nop 1
	v_mov_b32_dpp v3, v2 row_shr:2 row_mask:0xf bank_mask:0xf
	v_cndmask_b32_e64 v3, 0, v3, s[14:15]
	v_add_u32_e32 v2, v2, v3
	;; [unrolled: 4-line block ×4, first 2 shown]
	s_nop 1
	v_mov_b32_dpp v3, v2 row_bcast:15 row_mask:0xf bank_mask:0xf
	v_cndmask_b32_e64 v3, v3, 0, s[8:9]
	v_add_u32_e32 v2, v2, v3
	s_nop 1
	v_mov_b32_dpp v3, v2 row_bcast:31 row_mask:0xf bank_mask:0xf
	v_cndmask_b32_e64 v3, 0, v3, s[4:5]
	v_add_u32_e32 v2, v2, v3
	s_and_saveexec_b64 s[4:5], s[6:7]
	s_cbranch_execz .LBB905_68
; %bb.67:
	v_lshlrev_b32_e32 v3, 2, v54
	ds_write_b32 v3, v2
.LBB905_68:
	s_or_b64 exec, exec, s[4:5]
	v_cmp_gt_u32_e32 vcc, 4, v0
	s_waitcnt lgkmcnt(0)
	s_barrier
	s_and_saveexec_b64 s[4:5], vcc
	s_cbranch_execz .LBB905_70
; %bb.69:
	ds_read_b32 v3, v1
	v_and_b32_e32 v4, 3, v53
	v_cmp_ne_u32_e32 vcc, 0, v4
	s_waitcnt lgkmcnt(0)
	v_mov_b32_dpp v5, v3 row_shr:1 row_mask:0xf bank_mask:0xf
	v_cndmask_b32_e32 v5, 0, v5, vcc
	v_add_u32_e32 v3, v5, v3
	v_cmp_lt_u32_e32 vcc, 1, v4
	s_nop 0
	v_mov_b32_dpp v5, v3 row_shr:2 row_mask:0xf bank_mask:0xf
	v_cndmask_b32_e32 v4, 0, v5, vcc
	v_add_u32_e32 v3, v3, v4
	ds_write_b32 v1, v3
.LBB905_70:
	s_or_b64 exec, exec, s[4:5]
	v_cmp_lt_u32_e32 vcc, 63, v0
	v_mov_b32_e32 v4, 0
	v_mov_b32_e32 v3, 0
	s_waitcnt lgkmcnt(0)
	s_barrier
	s_and_saveexec_b64 s[4:5], vcc
	s_cbranch_execz .LBB905_72
; %bb.71:
	v_lshl_add_u32 v3, v54, 2, -4
	ds_read_b32 v3, v3
.LBB905_72:
	s_or_b64 exec, exec, s[4:5]
	v_add_u32_e32 v5, -1, v53
	v_and_b32_e32 v6, 64, v53
	v_cmp_lt_i32_e32 vcc, v5, v6
	v_cndmask_b32_e32 v5, v5, v53, vcc
	s_waitcnt lgkmcnt(0)
	v_add_u32_e32 v2, v3, v2
	v_lshlrev_b32_e32 v5, 2, v5
	ds_bpermute_b32 v2, v5, v2
	ds_read_b32 v18, v4 offset:12
	s_and_saveexec_b64 s[4:5], s[0:1]
	s_cbranch_execz .LBB905_74
; %bb.73:
	v_mov_b32_e32 v4, 0
	v_mov_b32_e32 v19, 2
	s_waitcnt lgkmcnt(0)
	global_store_dwordx2 v4, v[18:19], s[30:31] offset:512
.LBB905_74:
	s_or_b64 exec, exec, s[4:5]
	v_cmp_eq_u32_e32 vcc, 0, v53
	s_waitcnt lgkmcnt(1)
	v_cndmask_b32_e32 v2, v2, v3, vcc
	v_cndmask_b32_e64 v2, v2, 0, s[0:1]
	v_add_u32_e32 v3, v2, v44
	v_add_u32_e32 v4, v3, v45
	;; [unrolled: 1-line block ×11, first 2 shown]
	v_mov_b32_e32 v19, 0
	v_add_u32_e32 v14, v13, v41
	s_waitcnt lgkmcnt(0)
	s_barrier
.LBB905_75:
	s_waitcnt lgkmcnt(0)
	v_add_u32_e32 v36, v18, v36
	v_sub_u32_e32 v2, v2, v19
	v_and_b32_e32 v45, 1, v40
	v_sub_u32_e32 v44, v36, v2
	v_cmp_eq_u32_e32 vcc, 1, v45
	v_cndmask_b32_e32 v2, v44, v2, vcc
	v_lshlrev_b32_e32 v2, 2, v2
	v_lshrrev_b32_e32 v17, 8, v40
	ds_write_b32 v2, v32
	v_sub_u32_e32 v2, v3, v19
	v_sub_u32_e32 v3, v36, v2
	v_and_b32_e32 v17, 1, v17
	v_add_u32_e32 v3, 1, v3
	v_cmp_eq_u32_e32 vcc, 1, v17
	v_cndmask_b32_e32 v2, v3, v2, vcc
	v_lshlrev_b32_e32 v2, 2, v2
	ds_write_b32 v2, v33
	v_sub_u32_e32 v2, v4, v19
	v_mov_b32_e32 v4, 1
	v_sub_u32_e32 v3, v36, v2
	v_and_b32_sdwa v17, v4, v40 dst_sel:DWORD dst_unused:UNUSED_PAD src0_sel:DWORD src1_sel:WORD_1
	v_add_u32_e32 v3, 2, v3
	v_cmp_eq_u32_e32 vcc, 1, v17
	v_cndmask_b32_e32 v2, v3, v2, vcc
	v_lshlrev_b32_e32 v2, 2, v2
	ds_write_b32 v2, v30
	v_sub_u32_e32 v2, v5, v19
	v_sub_u32_e32 v3, v36, v2
	v_and_b32_e32 v5, 1, v43
	v_add_u32_e32 v3, 3, v3
	v_cmp_eq_u32_e32 vcc, 1, v5
	v_cndmask_b32_e32 v2, v3, v2, vcc
	v_lshlrev_b32_e32 v2, 2, v2
	ds_write_b32 v2, v31
	v_sub_u32_e32 v2, v6, v19
	v_sub_u32_e32 v3, v36, v2
	v_and_b32_e32 v5, 1, v39
	v_add_u32_e32 v3, 4, v3
	v_cmp_eq_u32_e32 vcc, 1, v5
	v_cndmask_b32_e32 v2, v3, v2, vcc
	v_lshlrev_b32_e32 v2, 2, v2
	v_lshrrev_b32_e32 v16, 8, v39
	ds_write_b32 v2, v28
	v_sub_u32_e32 v2, v7, v19
	v_sub_u32_e32 v3, v36, v2
	v_and_b32_e32 v5, 1, v16
	v_add_u32_e32 v3, 5, v3
	v_cmp_eq_u32_e32 vcc, 1, v5
	v_cndmask_b32_e32 v2, v3, v2, vcc
	v_lshlrev_b32_e32 v2, 2, v2
	ds_write_b32 v2, v29
	v_sub_u32_e32 v2, v8, v19
	v_sub_u32_e32 v3, v36, v2
	v_and_b32_sdwa v5, v4, v39 dst_sel:DWORD dst_unused:UNUSED_PAD src0_sel:DWORD src1_sel:WORD_1
	v_add_u32_e32 v3, 6, v3
	v_cmp_eq_u32_e32 vcc, 1, v5
	v_cndmask_b32_e32 v2, v3, v2, vcc
	v_lshlrev_b32_e32 v2, 2, v2
	ds_write_b32 v2, v26
	v_sub_u32_e32 v2, v9, v19
	v_sub_u32_e32 v3, v36, v2
	v_and_b32_e32 v5, 1, v42
	v_add_u32_e32 v3, 7, v3
	v_cmp_eq_u32_e32 vcc, 1, v5
	v_cndmask_b32_e32 v2, v3, v2, vcc
	v_lshlrev_b32_e32 v2, 2, v2
	ds_write_b32 v2, v27
	v_sub_u32_e32 v2, v10, v19
	v_sub_u32_e32 v3, v36, v2
	v_and_b32_e32 v5, 1, v38
	v_add_u32_e32 v3, 8, v3
	v_cmp_eq_u32_e32 vcc, 1, v5
	v_cndmask_b32_e32 v2, v3, v2, vcc
	v_lshlrev_b32_e32 v2, 2, v2
	v_lshrrev_b32_e32 v15, 8, v38
	ds_write_b32 v2, v24
	v_sub_u32_e32 v2, v11, v19
	v_sub_u32_e32 v3, v36, v2
	v_and_b32_e32 v5, 1, v15
	v_add_u32_e32 v3, 9, v3
	v_cmp_eq_u32_e32 vcc, 1, v5
	v_cndmask_b32_e32 v2, v3, v2, vcc
	v_lshlrev_b32_e32 v2, 2, v2
	ds_write_b32 v2, v25
	v_sub_u32_e32 v2, v12, v19
	v_sub_u32_e32 v3, v36, v2
	v_and_b32_sdwa v4, v4, v38 dst_sel:DWORD dst_unused:UNUSED_PAD src0_sel:DWORD src1_sel:WORD_1
	v_add_u32_e32 v3, 10, v3
	v_cmp_eq_u32_e32 vcc, 1, v4
	v_cndmask_b32_e32 v2, v3, v2, vcc
	v_lshlrev_b32_e32 v2, 2, v2
	ds_write_b32 v2, v22
	v_sub_u32_e32 v2, v13, v19
	v_sub_u32_e32 v3, v36, v2
	v_and_b32_e32 v4, 1, v41
	v_add_u32_e32 v3, 11, v3
	v_cmp_eq_u32_e32 vcc, 1, v4
	v_cndmask_b32_e32 v2, v3, v2, vcc
	v_lshlrev_b32_e32 v2, 2, v2
	ds_write_b32 v2, v23
	v_sub_u32_e32 v2, v14, v19
	v_sub_u32_e32 v3, v36, v2
	v_and_b32_e32 v4, 1, v37
	v_add_u32_e32 v3, 12, v3
	v_cmp_eq_u32_e32 vcc, 1, v4
	v_cndmask_b32_e32 v2, v3, v2, vcc
	v_lshlrev_b32_e32 v2, 2, v2
	ds_write_b32 v2, v35
	s_waitcnt lgkmcnt(0)
	s_barrier
	ds_read2st64_b32 v[12:13], v1 offset1:4
	ds_read2st64_b32 v[10:11], v1 offset0:8 offset1:12
	ds_read2st64_b32 v[8:9], v1 offset0:16 offset1:20
	ds_read2st64_b32 v[6:7], v1 offset0:24 offset1:28
	ds_read2st64_b32 v[4:5], v1 offset0:32 offset1:36
	ds_read2st64_b32 v[2:3], v1 offset0:40 offset1:44
	ds_read_b32 v17, v1 offset:12288
	s_waitcnt vmcnt(0)
	v_add_co_u32_e32 v1, vcc, v20, v19
	v_addc_co_u32_e32 v16, vcc, 0, v21, vcc
	v_mov_b32_e32 v14, s29
	v_add_co_u32_e32 v15, vcc, s28, v34
	v_addc_co_u32_e32 v14, vcc, 0, v14, vcc
	v_mov_b32_e32 v19, s27
	v_sub_co_u32_e32 v15, vcc, s26, v15
	v_subb_co_u32_e32 v14, vcc, v19, v14, vcc
	v_add_co_u32_e32 v15, vcc, v15, v18
	v_addc_co_u32_e32 v14, vcc, 0, v14, vcc
	s_and_b64 vcc, exec, s[2:3]
	v_add_co_u32_e64 v19, s[2:3], v15, v1
	v_or_b32_e32 v33, 0x100, v0
	v_or_b32_e32 v32, 0x200, v0
	;; [unrolled: 1-line block ×12, first 2 shown]
	v_addc_co_u32_e64 v20, s[2:3], v14, v16, s[2:3]
	s_cbranch_vccnz .LBB905_132
; %bb.76:
	v_cmp_ge_u32_e32 vcc, v0, v18
                                        ; implicit-def: $vgpr14_vgpr15
	s_and_saveexec_b64 s[2:3], vcc
	s_xor_b64 s[2:3], exec, s[2:3]
; %bb.77:
	v_not_b32_e32 v14, v0
	v_ashrrev_i32_e32 v15, 31, v14
	v_add_co_u32_e32 v14, vcc, v19, v14
	v_addc_co_u32_e32 v15, vcc, v20, v15, vcc
; %bb.78:
	s_andn2_saveexec_b64 s[2:3], s[2:3]
; %bb.79:
	v_add_co_u32_e32 v14, vcc, v1, v0
	v_addc_co_u32_e32 v15, vcc, 0, v16, vcc
; %bb.80:
	s_or_b64 exec, exec, s[2:3]
	v_lshlrev_b64 v[14:15], 2, v[14:15]
	v_mov_b32_e32 v21, s25
	v_add_co_u32_e32 v14, vcc, s24, v14
	v_addc_co_u32_e32 v15, vcc, v21, v15, vcc
	v_cmp_ge_u32_e32 vcc, v33, v18
	s_waitcnt lgkmcnt(6)
	global_store_dword v[14:15], v12, off
                                        ; implicit-def: $vgpr14_vgpr15
	s_and_saveexec_b64 s[2:3], vcc
	s_xor_b64 s[2:3], exec, s[2:3]
; %bb.81:
	v_xor_b32_e32 v14, 0xfffffeff, v0
	v_ashrrev_i32_e32 v15, 31, v14
	v_add_co_u32_e32 v14, vcc, v19, v14
	v_addc_co_u32_e32 v15, vcc, v20, v15, vcc
; %bb.82:
	s_andn2_saveexec_b64 s[2:3], s[2:3]
; %bb.83:
	v_add_co_u32_e32 v14, vcc, v1, v33
	v_addc_co_u32_e32 v15, vcc, 0, v16, vcc
; %bb.84:
	s_or_b64 exec, exec, s[2:3]
	v_lshlrev_b64 v[14:15], 2, v[14:15]
	v_mov_b32_e32 v21, s25
	v_add_co_u32_e32 v14, vcc, s24, v14
	v_addc_co_u32_e32 v15, vcc, v21, v15, vcc
	v_cmp_ge_u32_e32 vcc, v32, v18
	global_store_dword v[14:15], v13, off
                                        ; implicit-def: $vgpr14_vgpr15
	s_and_saveexec_b64 s[2:3], vcc
	s_xor_b64 s[2:3], exec, s[2:3]
; %bb.85:
	v_xor_b32_e32 v14, 0xfffffdff, v0
	v_ashrrev_i32_e32 v15, 31, v14
	v_add_co_u32_e32 v14, vcc, v19, v14
	v_addc_co_u32_e32 v15, vcc, v20, v15, vcc
; %bb.86:
	s_andn2_saveexec_b64 s[2:3], s[2:3]
; %bb.87:
	v_add_co_u32_e32 v14, vcc, v1, v32
	v_addc_co_u32_e32 v15, vcc, 0, v16, vcc
; %bb.88:
	s_or_b64 exec, exec, s[2:3]
	v_lshlrev_b64 v[14:15], 2, v[14:15]
	v_mov_b32_e32 v21, s25
	v_add_co_u32_e32 v14, vcc, s24, v14
	v_addc_co_u32_e32 v15, vcc, v21, v15, vcc
	v_cmp_ge_u32_e32 vcc, v31, v18
	s_waitcnt lgkmcnt(5)
	global_store_dword v[14:15], v10, off
                                        ; implicit-def: $vgpr14_vgpr15
	s_and_saveexec_b64 s[2:3], vcc
	s_xor_b64 s[2:3], exec, s[2:3]
; %bb.89:
	v_xor_b32_e32 v14, 0xfffffcff, v0
	v_ashrrev_i32_e32 v15, 31, v14
	v_add_co_u32_e32 v14, vcc, v19, v14
	v_addc_co_u32_e32 v15, vcc, v20, v15, vcc
; %bb.90:
	s_andn2_saveexec_b64 s[2:3], s[2:3]
; %bb.91:
	v_add_co_u32_e32 v14, vcc, v1, v31
	v_addc_co_u32_e32 v15, vcc, 0, v16, vcc
; %bb.92:
	s_or_b64 exec, exec, s[2:3]
	v_lshlrev_b64 v[14:15], 2, v[14:15]
	v_mov_b32_e32 v21, s25
	v_add_co_u32_e32 v14, vcc, s24, v14
	v_addc_co_u32_e32 v15, vcc, v21, v15, vcc
	v_cmp_ge_u32_e32 vcc, v30, v18
	global_store_dword v[14:15], v11, off
                                        ; implicit-def: $vgpr14_vgpr15
	s_and_saveexec_b64 s[2:3], vcc
	s_xor_b64 s[2:3], exec, s[2:3]
; %bb.93:
	v_xor_b32_e32 v14, 0xfffffbff, v0
	;; [unrolled: 43-line block ×6, first 2 shown]
	v_ashrrev_i32_e32 v15, 31, v14
	v_add_co_u32_e32 v14, vcc, v19, v14
	v_addc_co_u32_e32 v15, vcc, v20, v15, vcc
; %bb.126:
	s_andn2_saveexec_b64 s[2:3], s[2:3]
; %bb.127:
	v_add_co_u32_e32 v14, vcc, v1, v22
	v_addc_co_u32_e32 v15, vcc, 0, v16, vcc
; %bb.128:
	s_or_b64 exec, exec, s[2:3]
	s_mov_b64 s[2:3], -1
.LBB905_129:
	s_and_saveexec_b64 s[4:5], s[2:3]
	s_cbranch_execz .LBB905_212
.LBB905_130:
	s_waitcnt lgkmcnt(1)
	v_lshlrev_b64 v[2:3], 2, v[14:15]
	v_mov_b32_e32 v0, s25
	v_add_co_u32_e32 v2, vcc, s24, v2
	v_addc_co_u32_e32 v3, vcc, v0, v3, vcc
	s_waitcnt lgkmcnt(0)
	global_store_dword v[2:3], v17, off
	s_or_b64 exec, exec, s[4:5]
	s_and_b64 s[0:1], s[0:1], s[22:23]
	s_and_saveexec_b64 s[2:3], s[0:1]
	s_cbranch_execnz .LBB905_213
.LBB905_131:
	s_endpgm
.LBB905_132:
	s_mov_b64 s[2:3], 0
                                        ; implicit-def: $vgpr14_vgpr15
	s_cbranch_execz .LBB905_129
; %bb.133:
	v_cmp_gt_u32_e32 vcc, s33, v0
	s_and_saveexec_b64 s[4:5], vcc
	s_cbranch_execz .LBB905_169
; %bb.134:
	v_cmp_ge_u32_e32 vcc, v0, v18
                                        ; implicit-def: $vgpr14_vgpr15
	s_and_saveexec_b64 s[6:7], vcc
	s_xor_b64 s[6:7], exec, s[6:7]
; %bb.135:
	v_not_b32_e32 v14, v0
	v_ashrrev_i32_e32 v15, 31, v14
	v_add_co_u32_e32 v14, vcc, v19, v14
	v_addc_co_u32_e32 v15, vcc, v20, v15, vcc
; %bb.136:
	s_andn2_saveexec_b64 s[6:7], s[6:7]
; %bb.137:
	v_add_co_u32_e32 v14, vcc, v1, v0
	v_addc_co_u32_e32 v15, vcc, 0, v16, vcc
; %bb.138:
	s_or_b64 exec, exec, s[6:7]
	v_lshlrev_b64 v[14:15], 2, v[14:15]
	v_mov_b32_e32 v21, s25
	v_add_co_u32_e32 v14, vcc, s24, v14
	v_addc_co_u32_e32 v15, vcc, v21, v15, vcc
	s_waitcnt lgkmcnt(6)
	global_store_dword v[14:15], v12, off
	s_or_b64 exec, exec, s[4:5]
	v_cmp_gt_u32_e32 vcc, s33, v33
	s_and_saveexec_b64 s[4:5], vcc
	s_cbranch_execnz .LBB905_170
.LBB905_139:
	s_or_b64 exec, exec, s[4:5]
	v_cmp_gt_u32_e32 vcc, s33, v32
	s_and_saveexec_b64 s[4:5], vcc
	s_cbranch_execz .LBB905_175
.LBB905_140:
	v_cmp_ge_u32_e32 vcc, v32, v18
                                        ; implicit-def: $vgpr12_vgpr13
	s_and_saveexec_b64 s[6:7], vcc
	s_xor_b64 s[6:7], exec, s[6:7]
	s_cbranch_execz .LBB905_142
; %bb.141:
	s_waitcnt lgkmcnt(6)
	v_xor_b32_e32 v12, 0xfffffdff, v0
	v_ashrrev_i32_e32 v13, 31, v12
	v_add_co_u32_e32 v12, vcc, v19, v12
	v_addc_co_u32_e32 v13, vcc, v20, v13, vcc
                                        ; implicit-def: $vgpr32
.LBB905_142:
	s_andn2_saveexec_b64 s[6:7], s[6:7]
	s_cbranch_execz .LBB905_144
; %bb.143:
	s_waitcnt lgkmcnt(6)
	v_add_co_u32_e32 v12, vcc, v1, v32
	v_addc_co_u32_e32 v13, vcc, 0, v16, vcc
.LBB905_144:
	s_or_b64 exec, exec, s[6:7]
	s_waitcnt lgkmcnt(6)
	v_lshlrev_b64 v[12:13], 2, v[12:13]
	v_mov_b32_e32 v14, s25
	v_add_co_u32_e32 v12, vcc, s24, v12
	v_addc_co_u32_e32 v13, vcc, v14, v13, vcc
	s_waitcnt lgkmcnt(5)
	global_store_dword v[12:13], v10, off
	s_or_b64 exec, exec, s[4:5]
	v_cmp_gt_u32_e32 vcc, s33, v31
	s_and_saveexec_b64 s[4:5], vcc
	s_cbranch_execnz .LBB905_176
.LBB905_145:
	s_or_b64 exec, exec, s[4:5]
	v_cmp_gt_u32_e32 vcc, s33, v30
	s_and_saveexec_b64 s[4:5], vcc
	s_cbranch_execz .LBB905_181
.LBB905_146:
	v_cmp_ge_u32_e32 vcc, v30, v18
                                        ; implicit-def: $vgpr10_vgpr11
	s_and_saveexec_b64 s[6:7], vcc
	s_xor_b64 s[6:7], exec, s[6:7]
	s_cbranch_execz .LBB905_148
; %bb.147:
	s_waitcnt lgkmcnt(5)
	v_xor_b32_e32 v10, 0xfffffbff, v0
	v_ashrrev_i32_e32 v11, 31, v10
	v_add_co_u32_e32 v10, vcc, v19, v10
	v_addc_co_u32_e32 v11, vcc, v20, v11, vcc
                                        ; implicit-def: $vgpr30
.LBB905_148:
	s_andn2_saveexec_b64 s[6:7], s[6:7]
	s_cbranch_execz .LBB905_150
; %bb.149:
	s_waitcnt lgkmcnt(5)
	v_add_co_u32_e32 v10, vcc, v1, v30
	v_addc_co_u32_e32 v11, vcc, 0, v16, vcc
.LBB905_150:
	s_or_b64 exec, exec, s[6:7]
	s_waitcnt lgkmcnt(5)
	v_lshlrev_b64 v[10:11], 2, v[10:11]
	v_mov_b32_e32 v12, s25
	v_add_co_u32_e32 v10, vcc, s24, v10
	v_addc_co_u32_e32 v11, vcc, v12, v11, vcc
	s_waitcnt lgkmcnt(4)
	global_store_dword v[10:11], v8, off
	s_or_b64 exec, exec, s[4:5]
	v_cmp_gt_u32_e32 vcc, s33, v29
	s_and_saveexec_b64 s[4:5], vcc
	s_cbranch_execnz .LBB905_182
.LBB905_151:
	s_or_b64 exec, exec, s[4:5]
	v_cmp_gt_u32_e32 vcc, s33, v28
	s_and_saveexec_b64 s[4:5], vcc
	s_cbranch_execz .LBB905_187
.LBB905_152:
	v_cmp_ge_u32_e32 vcc, v28, v18
                                        ; implicit-def: $vgpr8_vgpr9
	s_and_saveexec_b64 s[6:7], vcc
	s_xor_b64 s[6:7], exec, s[6:7]
	s_cbranch_execz .LBB905_154
; %bb.153:
	s_waitcnt lgkmcnt(4)
	v_xor_b32_e32 v8, 0xfffff9ff, v0
	v_ashrrev_i32_e32 v9, 31, v8
	v_add_co_u32_e32 v8, vcc, v19, v8
	v_addc_co_u32_e32 v9, vcc, v20, v9, vcc
                                        ; implicit-def: $vgpr28
.LBB905_154:
	s_andn2_saveexec_b64 s[6:7], s[6:7]
	s_cbranch_execz .LBB905_156
; %bb.155:
	s_waitcnt lgkmcnt(4)
	v_add_co_u32_e32 v8, vcc, v1, v28
	v_addc_co_u32_e32 v9, vcc, 0, v16, vcc
.LBB905_156:
	s_or_b64 exec, exec, s[6:7]
	s_waitcnt lgkmcnt(4)
	v_lshlrev_b64 v[8:9], 2, v[8:9]
	v_mov_b32_e32 v10, s25
	v_add_co_u32_e32 v8, vcc, s24, v8
	v_addc_co_u32_e32 v9, vcc, v10, v9, vcc
	s_waitcnt lgkmcnt(3)
	global_store_dword v[8:9], v6, off
	s_or_b64 exec, exec, s[4:5]
	v_cmp_gt_u32_e32 vcc, s33, v27
	s_and_saveexec_b64 s[4:5], vcc
	s_cbranch_execnz .LBB905_188
.LBB905_157:
	s_or_b64 exec, exec, s[4:5]
	v_cmp_gt_u32_e32 vcc, s33, v26
	s_and_saveexec_b64 s[4:5], vcc
	s_cbranch_execz .LBB905_193
.LBB905_158:
	v_cmp_ge_u32_e32 vcc, v26, v18
                                        ; implicit-def: $vgpr6_vgpr7
	s_and_saveexec_b64 s[6:7], vcc
	s_xor_b64 s[6:7], exec, s[6:7]
	s_cbranch_execz .LBB905_160
; %bb.159:
	s_waitcnt lgkmcnt(3)
	v_xor_b32_e32 v6, 0xfffff7ff, v0
	v_ashrrev_i32_e32 v7, 31, v6
	v_add_co_u32_e32 v6, vcc, v19, v6
	v_addc_co_u32_e32 v7, vcc, v20, v7, vcc
                                        ; implicit-def: $vgpr26
.LBB905_160:
	s_andn2_saveexec_b64 s[6:7], s[6:7]
	s_cbranch_execz .LBB905_162
; %bb.161:
	s_waitcnt lgkmcnt(3)
	v_add_co_u32_e32 v6, vcc, v1, v26
	v_addc_co_u32_e32 v7, vcc, 0, v16, vcc
.LBB905_162:
	s_or_b64 exec, exec, s[6:7]
	s_waitcnt lgkmcnt(3)
	v_lshlrev_b64 v[6:7], 2, v[6:7]
	v_mov_b32_e32 v8, s25
	v_add_co_u32_e32 v6, vcc, s24, v6
	v_addc_co_u32_e32 v7, vcc, v8, v7, vcc
	s_waitcnt lgkmcnt(2)
	global_store_dword v[6:7], v4, off
	s_or_b64 exec, exec, s[4:5]
	v_cmp_gt_u32_e32 vcc, s33, v25
	s_and_saveexec_b64 s[4:5], vcc
	s_cbranch_execnz .LBB905_194
.LBB905_163:
	s_or_b64 exec, exec, s[4:5]
	v_cmp_gt_u32_e32 vcc, s33, v24
	s_and_saveexec_b64 s[4:5], vcc
	s_cbranch_execz .LBB905_199
.LBB905_164:
	v_cmp_ge_u32_e32 vcc, v24, v18
                                        ; implicit-def: $vgpr4_vgpr5
	s_and_saveexec_b64 s[6:7], vcc
	s_xor_b64 s[6:7], exec, s[6:7]
	s_cbranch_execz .LBB905_166
; %bb.165:
	s_waitcnt lgkmcnt(2)
	v_xor_b32_e32 v4, 0xfffff5ff, v0
	v_ashrrev_i32_e32 v5, 31, v4
	v_add_co_u32_e32 v4, vcc, v19, v4
	v_addc_co_u32_e32 v5, vcc, v20, v5, vcc
                                        ; implicit-def: $vgpr24
.LBB905_166:
	s_andn2_saveexec_b64 s[6:7], s[6:7]
	s_cbranch_execz .LBB905_168
; %bb.167:
	s_waitcnt lgkmcnt(2)
	v_add_co_u32_e32 v4, vcc, v1, v24
	v_addc_co_u32_e32 v5, vcc, 0, v16, vcc
.LBB905_168:
	s_or_b64 exec, exec, s[6:7]
	s_waitcnt lgkmcnt(2)
	v_lshlrev_b64 v[4:5], 2, v[4:5]
	v_mov_b32_e32 v6, s25
	v_add_co_u32_e32 v4, vcc, s24, v4
	v_addc_co_u32_e32 v5, vcc, v6, v5, vcc
	s_waitcnt lgkmcnt(1)
	global_store_dword v[4:5], v2, off
	s_or_b64 exec, exec, s[4:5]
	v_cmp_gt_u32_e32 vcc, s33, v23
	s_and_saveexec_b64 s[4:5], vcc
	s_cbranch_execz .LBB905_205
	s_branch .LBB905_200
.LBB905_169:
	s_or_b64 exec, exec, s[4:5]
	v_cmp_gt_u32_e32 vcc, s33, v33
	s_and_saveexec_b64 s[4:5], vcc
	s_cbranch_execz .LBB905_139
.LBB905_170:
	v_cmp_ge_u32_e32 vcc, v33, v18
                                        ; implicit-def: $vgpr14_vgpr15
	s_and_saveexec_b64 s[6:7], vcc
	s_xor_b64 s[6:7], exec, s[6:7]
	s_cbranch_execz .LBB905_172
; %bb.171:
	s_waitcnt lgkmcnt(6)
	v_xor_b32_e32 v12, 0xfffffeff, v0
	v_ashrrev_i32_e32 v15, 31, v12
	v_add_co_u32_e32 v14, vcc, v19, v12
	v_addc_co_u32_e32 v15, vcc, v20, v15, vcc
                                        ; implicit-def: $vgpr33
.LBB905_172:
	s_andn2_saveexec_b64 s[6:7], s[6:7]
; %bb.173:
	v_add_co_u32_e32 v14, vcc, v1, v33
	v_addc_co_u32_e32 v15, vcc, 0, v16, vcc
; %bb.174:
	s_or_b64 exec, exec, s[6:7]
	v_lshlrev_b64 v[14:15], 2, v[14:15]
	s_waitcnt lgkmcnt(6)
	v_mov_b32_e32 v12, s25
	v_add_co_u32_e32 v14, vcc, s24, v14
	v_addc_co_u32_e32 v15, vcc, v12, v15, vcc
	global_store_dword v[14:15], v13, off
	s_or_b64 exec, exec, s[4:5]
	v_cmp_gt_u32_e32 vcc, s33, v32
	s_and_saveexec_b64 s[4:5], vcc
	s_cbranch_execnz .LBB905_140
.LBB905_175:
	s_or_b64 exec, exec, s[4:5]
	v_cmp_gt_u32_e32 vcc, s33, v31
	s_and_saveexec_b64 s[4:5], vcc
	s_cbranch_execz .LBB905_145
.LBB905_176:
	v_cmp_ge_u32_e32 vcc, v31, v18
                                        ; implicit-def: $vgpr12_vgpr13
	s_and_saveexec_b64 s[6:7], vcc
	s_xor_b64 s[6:7], exec, s[6:7]
	s_cbranch_execz .LBB905_178
; %bb.177:
	s_waitcnt lgkmcnt(5)
	v_xor_b32_e32 v10, 0xfffffcff, v0
	v_ashrrev_i32_e32 v13, 31, v10
	v_add_co_u32_e32 v12, vcc, v19, v10
	v_addc_co_u32_e32 v13, vcc, v20, v13, vcc
                                        ; implicit-def: $vgpr31
.LBB905_178:
	s_andn2_saveexec_b64 s[6:7], s[6:7]
	s_cbranch_execz .LBB905_180
; %bb.179:
	s_waitcnt lgkmcnt(6)
	v_add_co_u32_e32 v12, vcc, v1, v31
	v_addc_co_u32_e32 v13, vcc, 0, v16, vcc
.LBB905_180:
	s_or_b64 exec, exec, s[6:7]
	s_waitcnt lgkmcnt(6)
	v_lshlrev_b64 v[12:13], 2, v[12:13]
	s_waitcnt lgkmcnt(5)
	v_mov_b32_e32 v10, s25
	v_add_co_u32_e32 v12, vcc, s24, v12
	v_addc_co_u32_e32 v13, vcc, v10, v13, vcc
	global_store_dword v[12:13], v11, off
	s_or_b64 exec, exec, s[4:5]
	v_cmp_gt_u32_e32 vcc, s33, v30
	s_and_saveexec_b64 s[4:5], vcc
	s_cbranch_execnz .LBB905_146
.LBB905_181:
	s_or_b64 exec, exec, s[4:5]
	v_cmp_gt_u32_e32 vcc, s33, v29
	s_and_saveexec_b64 s[4:5], vcc
	s_cbranch_execz .LBB905_151
.LBB905_182:
	v_cmp_ge_u32_e32 vcc, v29, v18
                                        ; implicit-def: $vgpr10_vgpr11
	s_and_saveexec_b64 s[6:7], vcc
	s_xor_b64 s[6:7], exec, s[6:7]
	s_cbranch_execz .LBB905_184
; %bb.183:
	s_waitcnt lgkmcnt(4)
	v_xor_b32_e32 v8, 0xfffffaff, v0
	v_ashrrev_i32_e32 v11, 31, v8
	v_add_co_u32_e32 v10, vcc, v19, v8
	v_addc_co_u32_e32 v11, vcc, v20, v11, vcc
                                        ; implicit-def: $vgpr29
.LBB905_184:
	s_andn2_saveexec_b64 s[6:7], s[6:7]
	s_cbranch_execz .LBB905_186
; %bb.185:
	s_waitcnt lgkmcnt(5)
	v_add_co_u32_e32 v10, vcc, v1, v29
	v_addc_co_u32_e32 v11, vcc, 0, v16, vcc
.LBB905_186:
	s_or_b64 exec, exec, s[6:7]
	s_waitcnt lgkmcnt(5)
	v_lshlrev_b64 v[10:11], 2, v[10:11]
	s_waitcnt lgkmcnt(4)
	v_mov_b32_e32 v8, s25
	v_add_co_u32_e32 v10, vcc, s24, v10
	v_addc_co_u32_e32 v11, vcc, v8, v11, vcc
	global_store_dword v[10:11], v9, off
	s_or_b64 exec, exec, s[4:5]
	v_cmp_gt_u32_e32 vcc, s33, v28
	s_and_saveexec_b64 s[4:5], vcc
	s_cbranch_execnz .LBB905_152
.LBB905_187:
	s_or_b64 exec, exec, s[4:5]
	v_cmp_gt_u32_e32 vcc, s33, v27
	s_and_saveexec_b64 s[4:5], vcc
	s_cbranch_execz .LBB905_157
.LBB905_188:
	v_cmp_ge_u32_e32 vcc, v27, v18
                                        ; implicit-def: $vgpr8_vgpr9
	s_and_saveexec_b64 s[6:7], vcc
	s_xor_b64 s[6:7], exec, s[6:7]
	s_cbranch_execz .LBB905_190
; %bb.189:
	s_waitcnt lgkmcnt(3)
	v_xor_b32_e32 v6, 0xfffff8ff, v0
	v_ashrrev_i32_e32 v9, 31, v6
	v_add_co_u32_e32 v8, vcc, v19, v6
	v_addc_co_u32_e32 v9, vcc, v20, v9, vcc
                                        ; implicit-def: $vgpr27
.LBB905_190:
	s_andn2_saveexec_b64 s[6:7], s[6:7]
	s_cbranch_execz .LBB905_192
; %bb.191:
	s_waitcnt lgkmcnt(4)
	v_add_co_u32_e32 v8, vcc, v1, v27
	v_addc_co_u32_e32 v9, vcc, 0, v16, vcc
.LBB905_192:
	s_or_b64 exec, exec, s[6:7]
	s_waitcnt lgkmcnt(4)
	v_lshlrev_b64 v[8:9], 2, v[8:9]
	s_waitcnt lgkmcnt(3)
	v_mov_b32_e32 v6, s25
	v_add_co_u32_e32 v8, vcc, s24, v8
	v_addc_co_u32_e32 v9, vcc, v6, v9, vcc
	global_store_dword v[8:9], v7, off
	s_or_b64 exec, exec, s[4:5]
	v_cmp_gt_u32_e32 vcc, s33, v26
	s_and_saveexec_b64 s[4:5], vcc
	s_cbranch_execnz .LBB905_158
.LBB905_193:
	s_or_b64 exec, exec, s[4:5]
	v_cmp_gt_u32_e32 vcc, s33, v25
	s_and_saveexec_b64 s[4:5], vcc
	s_cbranch_execz .LBB905_163
.LBB905_194:
	v_cmp_ge_u32_e32 vcc, v25, v18
                                        ; implicit-def: $vgpr6_vgpr7
	s_and_saveexec_b64 s[6:7], vcc
	s_xor_b64 s[6:7], exec, s[6:7]
	s_cbranch_execz .LBB905_196
; %bb.195:
	s_waitcnt lgkmcnt(2)
	v_xor_b32_e32 v4, 0xfffff6ff, v0
	v_ashrrev_i32_e32 v7, 31, v4
	v_add_co_u32_e32 v6, vcc, v19, v4
	v_addc_co_u32_e32 v7, vcc, v20, v7, vcc
                                        ; implicit-def: $vgpr25
.LBB905_196:
	s_andn2_saveexec_b64 s[6:7], s[6:7]
	s_cbranch_execz .LBB905_198
; %bb.197:
	s_waitcnt lgkmcnt(3)
	v_add_co_u32_e32 v6, vcc, v1, v25
	v_addc_co_u32_e32 v7, vcc, 0, v16, vcc
.LBB905_198:
	s_or_b64 exec, exec, s[6:7]
	s_waitcnt lgkmcnt(3)
	v_lshlrev_b64 v[6:7], 2, v[6:7]
	s_waitcnt lgkmcnt(2)
	v_mov_b32_e32 v4, s25
	v_add_co_u32_e32 v6, vcc, s24, v6
	v_addc_co_u32_e32 v7, vcc, v4, v7, vcc
	global_store_dword v[6:7], v5, off
	s_or_b64 exec, exec, s[4:5]
	v_cmp_gt_u32_e32 vcc, s33, v24
	s_and_saveexec_b64 s[4:5], vcc
	s_cbranch_execnz .LBB905_164
.LBB905_199:
	s_or_b64 exec, exec, s[4:5]
	v_cmp_gt_u32_e32 vcc, s33, v23
	s_and_saveexec_b64 s[4:5], vcc
	s_cbranch_execz .LBB905_205
.LBB905_200:
	v_cmp_ge_u32_e32 vcc, v23, v18
                                        ; implicit-def: $vgpr4_vgpr5
	s_and_saveexec_b64 s[6:7], vcc
	s_xor_b64 s[6:7], exec, s[6:7]
	s_cbranch_execz .LBB905_202
; %bb.201:
	s_waitcnt lgkmcnt(1)
	v_xor_b32_e32 v2, 0xfffff4ff, v0
	v_ashrrev_i32_e32 v5, 31, v2
	v_add_co_u32_e32 v4, vcc, v19, v2
	v_addc_co_u32_e32 v5, vcc, v20, v5, vcc
                                        ; implicit-def: $vgpr23
.LBB905_202:
	s_andn2_saveexec_b64 s[6:7], s[6:7]
	s_cbranch_execz .LBB905_204
; %bb.203:
	s_waitcnt lgkmcnt(2)
	v_add_co_u32_e32 v4, vcc, v1, v23
	v_addc_co_u32_e32 v5, vcc, 0, v16, vcc
.LBB905_204:
	s_or_b64 exec, exec, s[6:7]
	s_waitcnt lgkmcnt(2)
	v_lshlrev_b64 v[4:5], 2, v[4:5]
	s_waitcnt lgkmcnt(1)
	v_mov_b32_e32 v2, s25
	v_add_co_u32_e32 v4, vcc, s24, v4
	v_addc_co_u32_e32 v5, vcc, v2, v5, vcc
	global_store_dword v[4:5], v3, off
.LBB905_205:
	s_or_b64 exec, exec, s[4:5]
	v_cmp_gt_u32_e32 vcc, s33, v22
                                        ; implicit-def: $vgpr14_vgpr15
	s_and_saveexec_b64 s[4:5], vcc
	s_cbranch_execz .LBB905_211
; %bb.206:
	v_cmp_ge_u32_e32 vcc, v22, v18
                                        ; implicit-def: $vgpr14_vgpr15
	s_and_saveexec_b64 s[6:7], vcc
	s_xor_b64 s[6:7], exec, s[6:7]
	s_cbranch_execz .LBB905_208
; %bb.207:
	v_xor_b32_e32 v0, 0xfffff3ff, v0
	s_waitcnt lgkmcnt(1)
	v_ashrrev_i32_e32 v2, 31, v0
	v_add_co_u32_e32 v14, vcc, v19, v0
	v_addc_co_u32_e32 v15, vcc, v20, v2, vcc
                                        ; implicit-def: $vgpr22
.LBB905_208:
	s_andn2_saveexec_b64 s[6:7], s[6:7]
; %bb.209:
	v_add_co_u32_e32 v14, vcc, v1, v22
	v_addc_co_u32_e32 v15, vcc, 0, v16, vcc
; %bb.210:
	s_or_b64 exec, exec, s[6:7]
	s_or_b64 s[2:3], s[2:3], exec
.LBB905_211:
	s_or_b64 exec, exec, s[4:5]
	s_and_saveexec_b64 s[4:5], s[2:3]
	s_cbranch_execnz .LBB905_130
.LBB905_212:
	s_or_b64 exec, exec, s[4:5]
	s_and_b64 s[0:1], s[0:1], s[22:23]
	s_and_saveexec_b64 s[2:3], s[0:1]
	s_cbranch_execz .LBB905_131
.LBB905_213:
	v_add_co_u32_e32 v0, vcc, v1, v18
	s_waitcnt lgkmcnt(1)
	v_mov_b32_e32 v2, 0
	v_addc_co_u32_e32 v1, vcc, 0, v16, vcc
	global_store_dwordx2 v2, v[0:1], s[20:21]
	s_endpgm
	.section	.rodata,"a",@progbits
	.p2align	6, 0x0
	.amdhsa_kernel _ZN7rocprim17ROCPRIM_400000_NS6detail17trampoline_kernelINS0_13select_configILj256ELj13ELNS0_17block_load_methodE3ELS4_3ELS4_3ELNS0_20block_scan_algorithmE0ELj4294967295EEENS1_25partition_config_selectorILNS1_17partition_subalgoE3EjNS0_10empty_typeEbEEZZNS1_14partition_implILS8_3ELb0ES6_jNS0_17counting_iteratorIjlEEPS9_SE_NS0_5tupleIJPjSE_EEENSF_IJSE_SE_EEES9_SG_JZNS1_25segmented_radix_sort_implINS0_14default_configELb1EPKsPsPKlPlN2at6native12_GLOBAL__N_18offset_tEEE10hipError_tPvRmT1_PNSt15iterator_traitsISY_E10value_typeET2_T3_PNSZ_IS14_E10value_typeET4_jRbjT5_S1A_jjP12ihipStream_tbEUljE_EEESV_SW_SX_S14_S18_S1A_T6_T7_T9_mT8_S1C_bDpT10_ENKUlT_T0_E_clISt17integral_constantIbLb0EES1O_IbLb1EEEEDaS1K_S1L_EUlS1K_E_NS1_11comp_targetILNS1_3genE4ELNS1_11target_archE910ELNS1_3gpuE8ELNS1_3repE0EEENS1_30default_config_static_selectorELNS0_4arch9wavefront6targetE1EEEvSY_
		.amdhsa_group_segment_fixed_size 13324
		.amdhsa_private_segment_fixed_size 0
		.amdhsa_kernarg_size 152
		.amdhsa_user_sgpr_count 6
		.amdhsa_user_sgpr_private_segment_buffer 1
		.amdhsa_user_sgpr_dispatch_ptr 0
		.amdhsa_user_sgpr_queue_ptr 0
		.amdhsa_user_sgpr_kernarg_segment_ptr 1
		.amdhsa_user_sgpr_dispatch_id 0
		.amdhsa_user_sgpr_flat_scratch_init 0
		.amdhsa_user_sgpr_kernarg_preload_length 0
		.amdhsa_user_sgpr_kernarg_preload_offset 0
		.amdhsa_user_sgpr_private_segment_size 0
		.amdhsa_uses_dynamic_stack 0
		.amdhsa_system_sgpr_private_segment_wavefront_offset 0
		.amdhsa_system_sgpr_workgroup_id_x 1
		.amdhsa_system_sgpr_workgroup_id_y 0
		.amdhsa_system_sgpr_workgroup_id_z 0
		.amdhsa_system_sgpr_workgroup_info 0
		.amdhsa_system_vgpr_workitem_id 0
		.amdhsa_next_free_vgpr 64
		.amdhsa_next_free_sgpr 44
		.amdhsa_accum_offset 64
		.amdhsa_reserve_vcc 1
		.amdhsa_reserve_flat_scratch 0
		.amdhsa_float_round_mode_32 0
		.amdhsa_float_round_mode_16_64 0
		.amdhsa_float_denorm_mode_32 3
		.amdhsa_float_denorm_mode_16_64 3
		.amdhsa_dx10_clamp 1
		.amdhsa_ieee_mode 1
		.amdhsa_fp16_overflow 0
		.amdhsa_tg_split 0
		.amdhsa_exception_fp_ieee_invalid_op 0
		.amdhsa_exception_fp_denorm_src 0
		.amdhsa_exception_fp_ieee_div_zero 0
		.amdhsa_exception_fp_ieee_overflow 0
		.amdhsa_exception_fp_ieee_underflow 0
		.amdhsa_exception_fp_ieee_inexact 0
		.amdhsa_exception_int_div_zero 0
	.end_amdhsa_kernel
	.section	.text._ZN7rocprim17ROCPRIM_400000_NS6detail17trampoline_kernelINS0_13select_configILj256ELj13ELNS0_17block_load_methodE3ELS4_3ELS4_3ELNS0_20block_scan_algorithmE0ELj4294967295EEENS1_25partition_config_selectorILNS1_17partition_subalgoE3EjNS0_10empty_typeEbEEZZNS1_14partition_implILS8_3ELb0ES6_jNS0_17counting_iteratorIjlEEPS9_SE_NS0_5tupleIJPjSE_EEENSF_IJSE_SE_EEES9_SG_JZNS1_25segmented_radix_sort_implINS0_14default_configELb1EPKsPsPKlPlN2at6native12_GLOBAL__N_18offset_tEEE10hipError_tPvRmT1_PNSt15iterator_traitsISY_E10value_typeET2_T3_PNSZ_IS14_E10value_typeET4_jRbjT5_S1A_jjP12ihipStream_tbEUljE_EEESV_SW_SX_S14_S18_S1A_T6_T7_T9_mT8_S1C_bDpT10_ENKUlT_T0_E_clISt17integral_constantIbLb0EES1O_IbLb1EEEEDaS1K_S1L_EUlS1K_E_NS1_11comp_targetILNS1_3genE4ELNS1_11target_archE910ELNS1_3gpuE8ELNS1_3repE0EEENS1_30default_config_static_selectorELNS0_4arch9wavefront6targetE1EEEvSY_,"axG",@progbits,_ZN7rocprim17ROCPRIM_400000_NS6detail17trampoline_kernelINS0_13select_configILj256ELj13ELNS0_17block_load_methodE3ELS4_3ELS4_3ELNS0_20block_scan_algorithmE0ELj4294967295EEENS1_25partition_config_selectorILNS1_17partition_subalgoE3EjNS0_10empty_typeEbEEZZNS1_14partition_implILS8_3ELb0ES6_jNS0_17counting_iteratorIjlEEPS9_SE_NS0_5tupleIJPjSE_EEENSF_IJSE_SE_EEES9_SG_JZNS1_25segmented_radix_sort_implINS0_14default_configELb1EPKsPsPKlPlN2at6native12_GLOBAL__N_18offset_tEEE10hipError_tPvRmT1_PNSt15iterator_traitsISY_E10value_typeET2_T3_PNSZ_IS14_E10value_typeET4_jRbjT5_S1A_jjP12ihipStream_tbEUljE_EEESV_SW_SX_S14_S18_S1A_T6_T7_T9_mT8_S1C_bDpT10_ENKUlT_T0_E_clISt17integral_constantIbLb0EES1O_IbLb1EEEEDaS1K_S1L_EUlS1K_E_NS1_11comp_targetILNS1_3genE4ELNS1_11target_archE910ELNS1_3gpuE8ELNS1_3repE0EEENS1_30default_config_static_selectorELNS0_4arch9wavefront6targetE1EEEvSY_,comdat
.Lfunc_end905:
	.size	_ZN7rocprim17ROCPRIM_400000_NS6detail17trampoline_kernelINS0_13select_configILj256ELj13ELNS0_17block_load_methodE3ELS4_3ELS4_3ELNS0_20block_scan_algorithmE0ELj4294967295EEENS1_25partition_config_selectorILNS1_17partition_subalgoE3EjNS0_10empty_typeEbEEZZNS1_14partition_implILS8_3ELb0ES6_jNS0_17counting_iteratorIjlEEPS9_SE_NS0_5tupleIJPjSE_EEENSF_IJSE_SE_EEES9_SG_JZNS1_25segmented_radix_sort_implINS0_14default_configELb1EPKsPsPKlPlN2at6native12_GLOBAL__N_18offset_tEEE10hipError_tPvRmT1_PNSt15iterator_traitsISY_E10value_typeET2_T3_PNSZ_IS14_E10value_typeET4_jRbjT5_S1A_jjP12ihipStream_tbEUljE_EEESV_SW_SX_S14_S18_S1A_T6_T7_T9_mT8_S1C_bDpT10_ENKUlT_T0_E_clISt17integral_constantIbLb0EES1O_IbLb1EEEEDaS1K_S1L_EUlS1K_E_NS1_11comp_targetILNS1_3genE4ELNS1_11target_archE910ELNS1_3gpuE8ELNS1_3repE0EEENS1_30default_config_static_selectorELNS0_4arch9wavefront6targetE1EEEvSY_, .Lfunc_end905-_ZN7rocprim17ROCPRIM_400000_NS6detail17trampoline_kernelINS0_13select_configILj256ELj13ELNS0_17block_load_methodE3ELS4_3ELS4_3ELNS0_20block_scan_algorithmE0ELj4294967295EEENS1_25partition_config_selectorILNS1_17partition_subalgoE3EjNS0_10empty_typeEbEEZZNS1_14partition_implILS8_3ELb0ES6_jNS0_17counting_iteratorIjlEEPS9_SE_NS0_5tupleIJPjSE_EEENSF_IJSE_SE_EEES9_SG_JZNS1_25segmented_radix_sort_implINS0_14default_configELb1EPKsPsPKlPlN2at6native12_GLOBAL__N_18offset_tEEE10hipError_tPvRmT1_PNSt15iterator_traitsISY_E10value_typeET2_T3_PNSZ_IS14_E10value_typeET4_jRbjT5_S1A_jjP12ihipStream_tbEUljE_EEESV_SW_SX_S14_S18_S1A_T6_T7_T9_mT8_S1C_bDpT10_ENKUlT_T0_E_clISt17integral_constantIbLb0EES1O_IbLb1EEEEDaS1K_S1L_EUlS1K_E_NS1_11comp_targetILNS1_3genE4ELNS1_11target_archE910ELNS1_3gpuE8ELNS1_3repE0EEENS1_30default_config_static_selectorELNS0_4arch9wavefront6targetE1EEEvSY_
                                        ; -- End function
	.section	.AMDGPU.csdata,"",@progbits
; Kernel info:
; codeLenInByte = 7816
; NumSgprs: 48
; NumVgprs: 64
; NumAgprs: 0
; TotalNumVgprs: 64
; ScratchSize: 0
; MemoryBound: 0
; FloatMode: 240
; IeeeMode: 1
; LDSByteSize: 13324 bytes/workgroup (compile time only)
; SGPRBlocks: 5
; VGPRBlocks: 7
; NumSGPRsForWavesPerEU: 48
; NumVGPRsForWavesPerEU: 64
; AccumOffset: 64
; Occupancy: 4
; WaveLimiterHint : 0
; COMPUTE_PGM_RSRC2:SCRATCH_EN: 0
; COMPUTE_PGM_RSRC2:USER_SGPR: 6
; COMPUTE_PGM_RSRC2:TRAP_HANDLER: 0
; COMPUTE_PGM_RSRC2:TGID_X_EN: 1
; COMPUTE_PGM_RSRC2:TGID_Y_EN: 0
; COMPUTE_PGM_RSRC2:TGID_Z_EN: 0
; COMPUTE_PGM_RSRC2:TIDIG_COMP_CNT: 0
; COMPUTE_PGM_RSRC3_GFX90A:ACCUM_OFFSET: 15
; COMPUTE_PGM_RSRC3_GFX90A:TG_SPLIT: 0
	.section	.text._ZN7rocprim17ROCPRIM_400000_NS6detail17trampoline_kernelINS0_13select_configILj256ELj13ELNS0_17block_load_methodE3ELS4_3ELS4_3ELNS0_20block_scan_algorithmE0ELj4294967295EEENS1_25partition_config_selectorILNS1_17partition_subalgoE3EjNS0_10empty_typeEbEEZZNS1_14partition_implILS8_3ELb0ES6_jNS0_17counting_iteratorIjlEEPS9_SE_NS0_5tupleIJPjSE_EEENSF_IJSE_SE_EEES9_SG_JZNS1_25segmented_radix_sort_implINS0_14default_configELb1EPKsPsPKlPlN2at6native12_GLOBAL__N_18offset_tEEE10hipError_tPvRmT1_PNSt15iterator_traitsISY_E10value_typeET2_T3_PNSZ_IS14_E10value_typeET4_jRbjT5_S1A_jjP12ihipStream_tbEUljE_EEESV_SW_SX_S14_S18_S1A_T6_T7_T9_mT8_S1C_bDpT10_ENKUlT_T0_E_clISt17integral_constantIbLb0EES1O_IbLb1EEEEDaS1K_S1L_EUlS1K_E_NS1_11comp_targetILNS1_3genE3ELNS1_11target_archE908ELNS1_3gpuE7ELNS1_3repE0EEENS1_30default_config_static_selectorELNS0_4arch9wavefront6targetE1EEEvSY_,"axG",@progbits,_ZN7rocprim17ROCPRIM_400000_NS6detail17trampoline_kernelINS0_13select_configILj256ELj13ELNS0_17block_load_methodE3ELS4_3ELS4_3ELNS0_20block_scan_algorithmE0ELj4294967295EEENS1_25partition_config_selectorILNS1_17partition_subalgoE3EjNS0_10empty_typeEbEEZZNS1_14partition_implILS8_3ELb0ES6_jNS0_17counting_iteratorIjlEEPS9_SE_NS0_5tupleIJPjSE_EEENSF_IJSE_SE_EEES9_SG_JZNS1_25segmented_radix_sort_implINS0_14default_configELb1EPKsPsPKlPlN2at6native12_GLOBAL__N_18offset_tEEE10hipError_tPvRmT1_PNSt15iterator_traitsISY_E10value_typeET2_T3_PNSZ_IS14_E10value_typeET4_jRbjT5_S1A_jjP12ihipStream_tbEUljE_EEESV_SW_SX_S14_S18_S1A_T6_T7_T9_mT8_S1C_bDpT10_ENKUlT_T0_E_clISt17integral_constantIbLb0EES1O_IbLb1EEEEDaS1K_S1L_EUlS1K_E_NS1_11comp_targetILNS1_3genE3ELNS1_11target_archE908ELNS1_3gpuE7ELNS1_3repE0EEENS1_30default_config_static_selectorELNS0_4arch9wavefront6targetE1EEEvSY_,comdat
	.globl	_ZN7rocprim17ROCPRIM_400000_NS6detail17trampoline_kernelINS0_13select_configILj256ELj13ELNS0_17block_load_methodE3ELS4_3ELS4_3ELNS0_20block_scan_algorithmE0ELj4294967295EEENS1_25partition_config_selectorILNS1_17partition_subalgoE3EjNS0_10empty_typeEbEEZZNS1_14partition_implILS8_3ELb0ES6_jNS0_17counting_iteratorIjlEEPS9_SE_NS0_5tupleIJPjSE_EEENSF_IJSE_SE_EEES9_SG_JZNS1_25segmented_radix_sort_implINS0_14default_configELb1EPKsPsPKlPlN2at6native12_GLOBAL__N_18offset_tEEE10hipError_tPvRmT1_PNSt15iterator_traitsISY_E10value_typeET2_T3_PNSZ_IS14_E10value_typeET4_jRbjT5_S1A_jjP12ihipStream_tbEUljE_EEESV_SW_SX_S14_S18_S1A_T6_T7_T9_mT8_S1C_bDpT10_ENKUlT_T0_E_clISt17integral_constantIbLb0EES1O_IbLb1EEEEDaS1K_S1L_EUlS1K_E_NS1_11comp_targetILNS1_3genE3ELNS1_11target_archE908ELNS1_3gpuE7ELNS1_3repE0EEENS1_30default_config_static_selectorELNS0_4arch9wavefront6targetE1EEEvSY_ ; -- Begin function _ZN7rocprim17ROCPRIM_400000_NS6detail17trampoline_kernelINS0_13select_configILj256ELj13ELNS0_17block_load_methodE3ELS4_3ELS4_3ELNS0_20block_scan_algorithmE0ELj4294967295EEENS1_25partition_config_selectorILNS1_17partition_subalgoE3EjNS0_10empty_typeEbEEZZNS1_14partition_implILS8_3ELb0ES6_jNS0_17counting_iteratorIjlEEPS9_SE_NS0_5tupleIJPjSE_EEENSF_IJSE_SE_EEES9_SG_JZNS1_25segmented_radix_sort_implINS0_14default_configELb1EPKsPsPKlPlN2at6native12_GLOBAL__N_18offset_tEEE10hipError_tPvRmT1_PNSt15iterator_traitsISY_E10value_typeET2_T3_PNSZ_IS14_E10value_typeET4_jRbjT5_S1A_jjP12ihipStream_tbEUljE_EEESV_SW_SX_S14_S18_S1A_T6_T7_T9_mT8_S1C_bDpT10_ENKUlT_T0_E_clISt17integral_constantIbLb0EES1O_IbLb1EEEEDaS1K_S1L_EUlS1K_E_NS1_11comp_targetILNS1_3genE3ELNS1_11target_archE908ELNS1_3gpuE7ELNS1_3repE0EEENS1_30default_config_static_selectorELNS0_4arch9wavefront6targetE1EEEvSY_
	.p2align	8
	.type	_ZN7rocprim17ROCPRIM_400000_NS6detail17trampoline_kernelINS0_13select_configILj256ELj13ELNS0_17block_load_methodE3ELS4_3ELS4_3ELNS0_20block_scan_algorithmE0ELj4294967295EEENS1_25partition_config_selectorILNS1_17partition_subalgoE3EjNS0_10empty_typeEbEEZZNS1_14partition_implILS8_3ELb0ES6_jNS0_17counting_iteratorIjlEEPS9_SE_NS0_5tupleIJPjSE_EEENSF_IJSE_SE_EEES9_SG_JZNS1_25segmented_radix_sort_implINS0_14default_configELb1EPKsPsPKlPlN2at6native12_GLOBAL__N_18offset_tEEE10hipError_tPvRmT1_PNSt15iterator_traitsISY_E10value_typeET2_T3_PNSZ_IS14_E10value_typeET4_jRbjT5_S1A_jjP12ihipStream_tbEUljE_EEESV_SW_SX_S14_S18_S1A_T6_T7_T9_mT8_S1C_bDpT10_ENKUlT_T0_E_clISt17integral_constantIbLb0EES1O_IbLb1EEEEDaS1K_S1L_EUlS1K_E_NS1_11comp_targetILNS1_3genE3ELNS1_11target_archE908ELNS1_3gpuE7ELNS1_3repE0EEENS1_30default_config_static_selectorELNS0_4arch9wavefront6targetE1EEEvSY_,@function
_ZN7rocprim17ROCPRIM_400000_NS6detail17trampoline_kernelINS0_13select_configILj256ELj13ELNS0_17block_load_methodE3ELS4_3ELS4_3ELNS0_20block_scan_algorithmE0ELj4294967295EEENS1_25partition_config_selectorILNS1_17partition_subalgoE3EjNS0_10empty_typeEbEEZZNS1_14partition_implILS8_3ELb0ES6_jNS0_17counting_iteratorIjlEEPS9_SE_NS0_5tupleIJPjSE_EEENSF_IJSE_SE_EEES9_SG_JZNS1_25segmented_radix_sort_implINS0_14default_configELb1EPKsPsPKlPlN2at6native12_GLOBAL__N_18offset_tEEE10hipError_tPvRmT1_PNSt15iterator_traitsISY_E10value_typeET2_T3_PNSZ_IS14_E10value_typeET4_jRbjT5_S1A_jjP12ihipStream_tbEUljE_EEESV_SW_SX_S14_S18_S1A_T6_T7_T9_mT8_S1C_bDpT10_ENKUlT_T0_E_clISt17integral_constantIbLb0EES1O_IbLb1EEEEDaS1K_S1L_EUlS1K_E_NS1_11comp_targetILNS1_3genE3ELNS1_11target_archE908ELNS1_3gpuE7ELNS1_3repE0EEENS1_30default_config_static_selectorELNS0_4arch9wavefront6targetE1EEEvSY_: ; @_ZN7rocprim17ROCPRIM_400000_NS6detail17trampoline_kernelINS0_13select_configILj256ELj13ELNS0_17block_load_methodE3ELS4_3ELS4_3ELNS0_20block_scan_algorithmE0ELj4294967295EEENS1_25partition_config_selectorILNS1_17partition_subalgoE3EjNS0_10empty_typeEbEEZZNS1_14partition_implILS8_3ELb0ES6_jNS0_17counting_iteratorIjlEEPS9_SE_NS0_5tupleIJPjSE_EEENSF_IJSE_SE_EEES9_SG_JZNS1_25segmented_radix_sort_implINS0_14default_configELb1EPKsPsPKlPlN2at6native12_GLOBAL__N_18offset_tEEE10hipError_tPvRmT1_PNSt15iterator_traitsISY_E10value_typeET2_T3_PNSZ_IS14_E10value_typeET4_jRbjT5_S1A_jjP12ihipStream_tbEUljE_EEESV_SW_SX_S14_S18_S1A_T6_T7_T9_mT8_S1C_bDpT10_ENKUlT_T0_E_clISt17integral_constantIbLb0EES1O_IbLb1EEEEDaS1K_S1L_EUlS1K_E_NS1_11comp_targetILNS1_3genE3ELNS1_11target_archE908ELNS1_3gpuE7ELNS1_3repE0EEENS1_30default_config_static_selectorELNS0_4arch9wavefront6targetE1EEEvSY_
; %bb.0:
	.section	.rodata,"a",@progbits
	.p2align	6, 0x0
	.amdhsa_kernel _ZN7rocprim17ROCPRIM_400000_NS6detail17trampoline_kernelINS0_13select_configILj256ELj13ELNS0_17block_load_methodE3ELS4_3ELS4_3ELNS0_20block_scan_algorithmE0ELj4294967295EEENS1_25partition_config_selectorILNS1_17partition_subalgoE3EjNS0_10empty_typeEbEEZZNS1_14partition_implILS8_3ELb0ES6_jNS0_17counting_iteratorIjlEEPS9_SE_NS0_5tupleIJPjSE_EEENSF_IJSE_SE_EEES9_SG_JZNS1_25segmented_radix_sort_implINS0_14default_configELb1EPKsPsPKlPlN2at6native12_GLOBAL__N_18offset_tEEE10hipError_tPvRmT1_PNSt15iterator_traitsISY_E10value_typeET2_T3_PNSZ_IS14_E10value_typeET4_jRbjT5_S1A_jjP12ihipStream_tbEUljE_EEESV_SW_SX_S14_S18_S1A_T6_T7_T9_mT8_S1C_bDpT10_ENKUlT_T0_E_clISt17integral_constantIbLb0EES1O_IbLb1EEEEDaS1K_S1L_EUlS1K_E_NS1_11comp_targetILNS1_3genE3ELNS1_11target_archE908ELNS1_3gpuE7ELNS1_3repE0EEENS1_30default_config_static_selectorELNS0_4arch9wavefront6targetE1EEEvSY_
		.amdhsa_group_segment_fixed_size 0
		.amdhsa_private_segment_fixed_size 0
		.amdhsa_kernarg_size 152
		.amdhsa_user_sgpr_count 6
		.amdhsa_user_sgpr_private_segment_buffer 1
		.amdhsa_user_sgpr_dispatch_ptr 0
		.amdhsa_user_sgpr_queue_ptr 0
		.amdhsa_user_sgpr_kernarg_segment_ptr 1
		.amdhsa_user_sgpr_dispatch_id 0
		.amdhsa_user_sgpr_flat_scratch_init 0
		.amdhsa_user_sgpr_kernarg_preload_length 0
		.amdhsa_user_sgpr_kernarg_preload_offset 0
		.amdhsa_user_sgpr_private_segment_size 0
		.amdhsa_uses_dynamic_stack 0
		.amdhsa_system_sgpr_private_segment_wavefront_offset 0
		.amdhsa_system_sgpr_workgroup_id_x 1
		.amdhsa_system_sgpr_workgroup_id_y 0
		.amdhsa_system_sgpr_workgroup_id_z 0
		.amdhsa_system_sgpr_workgroup_info 0
		.amdhsa_system_vgpr_workitem_id 0
		.amdhsa_next_free_vgpr 1
		.amdhsa_next_free_sgpr 0
		.amdhsa_accum_offset 4
		.amdhsa_reserve_vcc 0
		.amdhsa_reserve_flat_scratch 0
		.amdhsa_float_round_mode_32 0
		.amdhsa_float_round_mode_16_64 0
		.amdhsa_float_denorm_mode_32 3
		.amdhsa_float_denorm_mode_16_64 3
		.amdhsa_dx10_clamp 1
		.amdhsa_ieee_mode 1
		.amdhsa_fp16_overflow 0
		.amdhsa_tg_split 0
		.amdhsa_exception_fp_ieee_invalid_op 0
		.amdhsa_exception_fp_denorm_src 0
		.amdhsa_exception_fp_ieee_div_zero 0
		.amdhsa_exception_fp_ieee_overflow 0
		.amdhsa_exception_fp_ieee_underflow 0
		.amdhsa_exception_fp_ieee_inexact 0
		.amdhsa_exception_int_div_zero 0
	.end_amdhsa_kernel
	.section	.text._ZN7rocprim17ROCPRIM_400000_NS6detail17trampoline_kernelINS0_13select_configILj256ELj13ELNS0_17block_load_methodE3ELS4_3ELS4_3ELNS0_20block_scan_algorithmE0ELj4294967295EEENS1_25partition_config_selectorILNS1_17partition_subalgoE3EjNS0_10empty_typeEbEEZZNS1_14partition_implILS8_3ELb0ES6_jNS0_17counting_iteratorIjlEEPS9_SE_NS0_5tupleIJPjSE_EEENSF_IJSE_SE_EEES9_SG_JZNS1_25segmented_radix_sort_implINS0_14default_configELb1EPKsPsPKlPlN2at6native12_GLOBAL__N_18offset_tEEE10hipError_tPvRmT1_PNSt15iterator_traitsISY_E10value_typeET2_T3_PNSZ_IS14_E10value_typeET4_jRbjT5_S1A_jjP12ihipStream_tbEUljE_EEESV_SW_SX_S14_S18_S1A_T6_T7_T9_mT8_S1C_bDpT10_ENKUlT_T0_E_clISt17integral_constantIbLb0EES1O_IbLb1EEEEDaS1K_S1L_EUlS1K_E_NS1_11comp_targetILNS1_3genE3ELNS1_11target_archE908ELNS1_3gpuE7ELNS1_3repE0EEENS1_30default_config_static_selectorELNS0_4arch9wavefront6targetE1EEEvSY_,"axG",@progbits,_ZN7rocprim17ROCPRIM_400000_NS6detail17trampoline_kernelINS0_13select_configILj256ELj13ELNS0_17block_load_methodE3ELS4_3ELS4_3ELNS0_20block_scan_algorithmE0ELj4294967295EEENS1_25partition_config_selectorILNS1_17partition_subalgoE3EjNS0_10empty_typeEbEEZZNS1_14partition_implILS8_3ELb0ES6_jNS0_17counting_iteratorIjlEEPS9_SE_NS0_5tupleIJPjSE_EEENSF_IJSE_SE_EEES9_SG_JZNS1_25segmented_radix_sort_implINS0_14default_configELb1EPKsPsPKlPlN2at6native12_GLOBAL__N_18offset_tEEE10hipError_tPvRmT1_PNSt15iterator_traitsISY_E10value_typeET2_T3_PNSZ_IS14_E10value_typeET4_jRbjT5_S1A_jjP12ihipStream_tbEUljE_EEESV_SW_SX_S14_S18_S1A_T6_T7_T9_mT8_S1C_bDpT10_ENKUlT_T0_E_clISt17integral_constantIbLb0EES1O_IbLb1EEEEDaS1K_S1L_EUlS1K_E_NS1_11comp_targetILNS1_3genE3ELNS1_11target_archE908ELNS1_3gpuE7ELNS1_3repE0EEENS1_30default_config_static_selectorELNS0_4arch9wavefront6targetE1EEEvSY_,comdat
.Lfunc_end906:
	.size	_ZN7rocprim17ROCPRIM_400000_NS6detail17trampoline_kernelINS0_13select_configILj256ELj13ELNS0_17block_load_methodE3ELS4_3ELS4_3ELNS0_20block_scan_algorithmE0ELj4294967295EEENS1_25partition_config_selectorILNS1_17partition_subalgoE3EjNS0_10empty_typeEbEEZZNS1_14partition_implILS8_3ELb0ES6_jNS0_17counting_iteratorIjlEEPS9_SE_NS0_5tupleIJPjSE_EEENSF_IJSE_SE_EEES9_SG_JZNS1_25segmented_radix_sort_implINS0_14default_configELb1EPKsPsPKlPlN2at6native12_GLOBAL__N_18offset_tEEE10hipError_tPvRmT1_PNSt15iterator_traitsISY_E10value_typeET2_T3_PNSZ_IS14_E10value_typeET4_jRbjT5_S1A_jjP12ihipStream_tbEUljE_EEESV_SW_SX_S14_S18_S1A_T6_T7_T9_mT8_S1C_bDpT10_ENKUlT_T0_E_clISt17integral_constantIbLb0EES1O_IbLb1EEEEDaS1K_S1L_EUlS1K_E_NS1_11comp_targetILNS1_3genE3ELNS1_11target_archE908ELNS1_3gpuE7ELNS1_3repE0EEENS1_30default_config_static_selectorELNS0_4arch9wavefront6targetE1EEEvSY_, .Lfunc_end906-_ZN7rocprim17ROCPRIM_400000_NS6detail17trampoline_kernelINS0_13select_configILj256ELj13ELNS0_17block_load_methodE3ELS4_3ELS4_3ELNS0_20block_scan_algorithmE0ELj4294967295EEENS1_25partition_config_selectorILNS1_17partition_subalgoE3EjNS0_10empty_typeEbEEZZNS1_14partition_implILS8_3ELb0ES6_jNS0_17counting_iteratorIjlEEPS9_SE_NS0_5tupleIJPjSE_EEENSF_IJSE_SE_EEES9_SG_JZNS1_25segmented_radix_sort_implINS0_14default_configELb1EPKsPsPKlPlN2at6native12_GLOBAL__N_18offset_tEEE10hipError_tPvRmT1_PNSt15iterator_traitsISY_E10value_typeET2_T3_PNSZ_IS14_E10value_typeET4_jRbjT5_S1A_jjP12ihipStream_tbEUljE_EEESV_SW_SX_S14_S18_S1A_T6_T7_T9_mT8_S1C_bDpT10_ENKUlT_T0_E_clISt17integral_constantIbLb0EES1O_IbLb1EEEEDaS1K_S1L_EUlS1K_E_NS1_11comp_targetILNS1_3genE3ELNS1_11target_archE908ELNS1_3gpuE7ELNS1_3repE0EEENS1_30default_config_static_selectorELNS0_4arch9wavefront6targetE1EEEvSY_
                                        ; -- End function
	.section	.AMDGPU.csdata,"",@progbits
; Kernel info:
; codeLenInByte = 0
; NumSgprs: 4
; NumVgprs: 0
; NumAgprs: 0
; TotalNumVgprs: 0
; ScratchSize: 0
; MemoryBound: 0
; FloatMode: 240
; IeeeMode: 1
; LDSByteSize: 0 bytes/workgroup (compile time only)
; SGPRBlocks: 0
; VGPRBlocks: 0
; NumSGPRsForWavesPerEU: 4
; NumVGPRsForWavesPerEU: 1
; AccumOffset: 4
; Occupancy: 8
; WaveLimiterHint : 0
; COMPUTE_PGM_RSRC2:SCRATCH_EN: 0
; COMPUTE_PGM_RSRC2:USER_SGPR: 6
; COMPUTE_PGM_RSRC2:TRAP_HANDLER: 0
; COMPUTE_PGM_RSRC2:TGID_X_EN: 1
; COMPUTE_PGM_RSRC2:TGID_Y_EN: 0
; COMPUTE_PGM_RSRC2:TGID_Z_EN: 0
; COMPUTE_PGM_RSRC2:TIDIG_COMP_CNT: 0
; COMPUTE_PGM_RSRC3_GFX90A:ACCUM_OFFSET: 0
; COMPUTE_PGM_RSRC3_GFX90A:TG_SPLIT: 0
	.section	.text._ZN7rocprim17ROCPRIM_400000_NS6detail17trampoline_kernelINS0_13select_configILj256ELj13ELNS0_17block_load_methodE3ELS4_3ELS4_3ELNS0_20block_scan_algorithmE0ELj4294967295EEENS1_25partition_config_selectorILNS1_17partition_subalgoE3EjNS0_10empty_typeEbEEZZNS1_14partition_implILS8_3ELb0ES6_jNS0_17counting_iteratorIjlEEPS9_SE_NS0_5tupleIJPjSE_EEENSF_IJSE_SE_EEES9_SG_JZNS1_25segmented_radix_sort_implINS0_14default_configELb1EPKsPsPKlPlN2at6native12_GLOBAL__N_18offset_tEEE10hipError_tPvRmT1_PNSt15iterator_traitsISY_E10value_typeET2_T3_PNSZ_IS14_E10value_typeET4_jRbjT5_S1A_jjP12ihipStream_tbEUljE_EEESV_SW_SX_S14_S18_S1A_T6_T7_T9_mT8_S1C_bDpT10_ENKUlT_T0_E_clISt17integral_constantIbLb0EES1O_IbLb1EEEEDaS1K_S1L_EUlS1K_E_NS1_11comp_targetILNS1_3genE2ELNS1_11target_archE906ELNS1_3gpuE6ELNS1_3repE0EEENS1_30default_config_static_selectorELNS0_4arch9wavefront6targetE1EEEvSY_,"axG",@progbits,_ZN7rocprim17ROCPRIM_400000_NS6detail17trampoline_kernelINS0_13select_configILj256ELj13ELNS0_17block_load_methodE3ELS4_3ELS4_3ELNS0_20block_scan_algorithmE0ELj4294967295EEENS1_25partition_config_selectorILNS1_17partition_subalgoE3EjNS0_10empty_typeEbEEZZNS1_14partition_implILS8_3ELb0ES6_jNS0_17counting_iteratorIjlEEPS9_SE_NS0_5tupleIJPjSE_EEENSF_IJSE_SE_EEES9_SG_JZNS1_25segmented_radix_sort_implINS0_14default_configELb1EPKsPsPKlPlN2at6native12_GLOBAL__N_18offset_tEEE10hipError_tPvRmT1_PNSt15iterator_traitsISY_E10value_typeET2_T3_PNSZ_IS14_E10value_typeET4_jRbjT5_S1A_jjP12ihipStream_tbEUljE_EEESV_SW_SX_S14_S18_S1A_T6_T7_T9_mT8_S1C_bDpT10_ENKUlT_T0_E_clISt17integral_constantIbLb0EES1O_IbLb1EEEEDaS1K_S1L_EUlS1K_E_NS1_11comp_targetILNS1_3genE2ELNS1_11target_archE906ELNS1_3gpuE6ELNS1_3repE0EEENS1_30default_config_static_selectorELNS0_4arch9wavefront6targetE1EEEvSY_,comdat
	.globl	_ZN7rocprim17ROCPRIM_400000_NS6detail17trampoline_kernelINS0_13select_configILj256ELj13ELNS0_17block_load_methodE3ELS4_3ELS4_3ELNS0_20block_scan_algorithmE0ELj4294967295EEENS1_25partition_config_selectorILNS1_17partition_subalgoE3EjNS0_10empty_typeEbEEZZNS1_14partition_implILS8_3ELb0ES6_jNS0_17counting_iteratorIjlEEPS9_SE_NS0_5tupleIJPjSE_EEENSF_IJSE_SE_EEES9_SG_JZNS1_25segmented_radix_sort_implINS0_14default_configELb1EPKsPsPKlPlN2at6native12_GLOBAL__N_18offset_tEEE10hipError_tPvRmT1_PNSt15iterator_traitsISY_E10value_typeET2_T3_PNSZ_IS14_E10value_typeET4_jRbjT5_S1A_jjP12ihipStream_tbEUljE_EEESV_SW_SX_S14_S18_S1A_T6_T7_T9_mT8_S1C_bDpT10_ENKUlT_T0_E_clISt17integral_constantIbLb0EES1O_IbLb1EEEEDaS1K_S1L_EUlS1K_E_NS1_11comp_targetILNS1_3genE2ELNS1_11target_archE906ELNS1_3gpuE6ELNS1_3repE0EEENS1_30default_config_static_selectorELNS0_4arch9wavefront6targetE1EEEvSY_ ; -- Begin function _ZN7rocprim17ROCPRIM_400000_NS6detail17trampoline_kernelINS0_13select_configILj256ELj13ELNS0_17block_load_methodE3ELS4_3ELS4_3ELNS0_20block_scan_algorithmE0ELj4294967295EEENS1_25partition_config_selectorILNS1_17partition_subalgoE3EjNS0_10empty_typeEbEEZZNS1_14partition_implILS8_3ELb0ES6_jNS0_17counting_iteratorIjlEEPS9_SE_NS0_5tupleIJPjSE_EEENSF_IJSE_SE_EEES9_SG_JZNS1_25segmented_radix_sort_implINS0_14default_configELb1EPKsPsPKlPlN2at6native12_GLOBAL__N_18offset_tEEE10hipError_tPvRmT1_PNSt15iterator_traitsISY_E10value_typeET2_T3_PNSZ_IS14_E10value_typeET4_jRbjT5_S1A_jjP12ihipStream_tbEUljE_EEESV_SW_SX_S14_S18_S1A_T6_T7_T9_mT8_S1C_bDpT10_ENKUlT_T0_E_clISt17integral_constantIbLb0EES1O_IbLb1EEEEDaS1K_S1L_EUlS1K_E_NS1_11comp_targetILNS1_3genE2ELNS1_11target_archE906ELNS1_3gpuE6ELNS1_3repE0EEENS1_30default_config_static_selectorELNS0_4arch9wavefront6targetE1EEEvSY_
	.p2align	8
	.type	_ZN7rocprim17ROCPRIM_400000_NS6detail17trampoline_kernelINS0_13select_configILj256ELj13ELNS0_17block_load_methodE3ELS4_3ELS4_3ELNS0_20block_scan_algorithmE0ELj4294967295EEENS1_25partition_config_selectorILNS1_17partition_subalgoE3EjNS0_10empty_typeEbEEZZNS1_14partition_implILS8_3ELb0ES6_jNS0_17counting_iteratorIjlEEPS9_SE_NS0_5tupleIJPjSE_EEENSF_IJSE_SE_EEES9_SG_JZNS1_25segmented_radix_sort_implINS0_14default_configELb1EPKsPsPKlPlN2at6native12_GLOBAL__N_18offset_tEEE10hipError_tPvRmT1_PNSt15iterator_traitsISY_E10value_typeET2_T3_PNSZ_IS14_E10value_typeET4_jRbjT5_S1A_jjP12ihipStream_tbEUljE_EEESV_SW_SX_S14_S18_S1A_T6_T7_T9_mT8_S1C_bDpT10_ENKUlT_T0_E_clISt17integral_constantIbLb0EES1O_IbLb1EEEEDaS1K_S1L_EUlS1K_E_NS1_11comp_targetILNS1_3genE2ELNS1_11target_archE906ELNS1_3gpuE6ELNS1_3repE0EEENS1_30default_config_static_selectorELNS0_4arch9wavefront6targetE1EEEvSY_,@function
_ZN7rocprim17ROCPRIM_400000_NS6detail17trampoline_kernelINS0_13select_configILj256ELj13ELNS0_17block_load_methodE3ELS4_3ELS4_3ELNS0_20block_scan_algorithmE0ELj4294967295EEENS1_25partition_config_selectorILNS1_17partition_subalgoE3EjNS0_10empty_typeEbEEZZNS1_14partition_implILS8_3ELb0ES6_jNS0_17counting_iteratorIjlEEPS9_SE_NS0_5tupleIJPjSE_EEENSF_IJSE_SE_EEES9_SG_JZNS1_25segmented_radix_sort_implINS0_14default_configELb1EPKsPsPKlPlN2at6native12_GLOBAL__N_18offset_tEEE10hipError_tPvRmT1_PNSt15iterator_traitsISY_E10value_typeET2_T3_PNSZ_IS14_E10value_typeET4_jRbjT5_S1A_jjP12ihipStream_tbEUljE_EEESV_SW_SX_S14_S18_S1A_T6_T7_T9_mT8_S1C_bDpT10_ENKUlT_T0_E_clISt17integral_constantIbLb0EES1O_IbLb1EEEEDaS1K_S1L_EUlS1K_E_NS1_11comp_targetILNS1_3genE2ELNS1_11target_archE906ELNS1_3gpuE6ELNS1_3repE0EEENS1_30default_config_static_selectorELNS0_4arch9wavefront6targetE1EEEvSY_: ; @_ZN7rocprim17ROCPRIM_400000_NS6detail17trampoline_kernelINS0_13select_configILj256ELj13ELNS0_17block_load_methodE3ELS4_3ELS4_3ELNS0_20block_scan_algorithmE0ELj4294967295EEENS1_25partition_config_selectorILNS1_17partition_subalgoE3EjNS0_10empty_typeEbEEZZNS1_14partition_implILS8_3ELb0ES6_jNS0_17counting_iteratorIjlEEPS9_SE_NS0_5tupleIJPjSE_EEENSF_IJSE_SE_EEES9_SG_JZNS1_25segmented_radix_sort_implINS0_14default_configELb1EPKsPsPKlPlN2at6native12_GLOBAL__N_18offset_tEEE10hipError_tPvRmT1_PNSt15iterator_traitsISY_E10value_typeET2_T3_PNSZ_IS14_E10value_typeET4_jRbjT5_S1A_jjP12ihipStream_tbEUljE_EEESV_SW_SX_S14_S18_S1A_T6_T7_T9_mT8_S1C_bDpT10_ENKUlT_T0_E_clISt17integral_constantIbLb0EES1O_IbLb1EEEEDaS1K_S1L_EUlS1K_E_NS1_11comp_targetILNS1_3genE2ELNS1_11target_archE906ELNS1_3gpuE6ELNS1_3repE0EEENS1_30default_config_static_selectorELNS0_4arch9wavefront6targetE1EEEvSY_
; %bb.0:
	.section	.rodata,"a",@progbits
	.p2align	6, 0x0
	.amdhsa_kernel _ZN7rocprim17ROCPRIM_400000_NS6detail17trampoline_kernelINS0_13select_configILj256ELj13ELNS0_17block_load_methodE3ELS4_3ELS4_3ELNS0_20block_scan_algorithmE0ELj4294967295EEENS1_25partition_config_selectorILNS1_17partition_subalgoE3EjNS0_10empty_typeEbEEZZNS1_14partition_implILS8_3ELb0ES6_jNS0_17counting_iteratorIjlEEPS9_SE_NS0_5tupleIJPjSE_EEENSF_IJSE_SE_EEES9_SG_JZNS1_25segmented_radix_sort_implINS0_14default_configELb1EPKsPsPKlPlN2at6native12_GLOBAL__N_18offset_tEEE10hipError_tPvRmT1_PNSt15iterator_traitsISY_E10value_typeET2_T3_PNSZ_IS14_E10value_typeET4_jRbjT5_S1A_jjP12ihipStream_tbEUljE_EEESV_SW_SX_S14_S18_S1A_T6_T7_T9_mT8_S1C_bDpT10_ENKUlT_T0_E_clISt17integral_constantIbLb0EES1O_IbLb1EEEEDaS1K_S1L_EUlS1K_E_NS1_11comp_targetILNS1_3genE2ELNS1_11target_archE906ELNS1_3gpuE6ELNS1_3repE0EEENS1_30default_config_static_selectorELNS0_4arch9wavefront6targetE1EEEvSY_
		.amdhsa_group_segment_fixed_size 0
		.amdhsa_private_segment_fixed_size 0
		.amdhsa_kernarg_size 152
		.amdhsa_user_sgpr_count 6
		.amdhsa_user_sgpr_private_segment_buffer 1
		.amdhsa_user_sgpr_dispatch_ptr 0
		.amdhsa_user_sgpr_queue_ptr 0
		.amdhsa_user_sgpr_kernarg_segment_ptr 1
		.amdhsa_user_sgpr_dispatch_id 0
		.amdhsa_user_sgpr_flat_scratch_init 0
		.amdhsa_user_sgpr_kernarg_preload_length 0
		.amdhsa_user_sgpr_kernarg_preload_offset 0
		.amdhsa_user_sgpr_private_segment_size 0
		.amdhsa_uses_dynamic_stack 0
		.amdhsa_system_sgpr_private_segment_wavefront_offset 0
		.amdhsa_system_sgpr_workgroup_id_x 1
		.amdhsa_system_sgpr_workgroup_id_y 0
		.amdhsa_system_sgpr_workgroup_id_z 0
		.amdhsa_system_sgpr_workgroup_info 0
		.amdhsa_system_vgpr_workitem_id 0
		.amdhsa_next_free_vgpr 1
		.amdhsa_next_free_sgpr 0
		.amdhsa_accum_offset 4
		.amdhsa_reserve_vcc 0
		.amdhsa_reserve_flat_scratch 0
		.amdhsa_float_round_mode_32 0
		.amdhsa_float_round_mode_16_64 0
		.amdhsa_float_denorm_mode_32 3
		.amdhsa_float_denorm_mode_16_64 3
		.amdhsa_dx10_clamp 1
		.amdhsa_ieee_mode 1
		.amdhsa_fp16_overflow 0
		.amdhsa_tg_split 0
		.amdhsa_exception_fp_ieee_invalid_op 0
		.amdhsa_exception_fp_denorm_src 0
		.amdhsa_exception_fp_ieee_div_zero 0
		.amdhsa_exception_fp_ieee_overflow 0
		.amdhsa_exception_fp_ieee_underflow 0
		.amdhsa_exception_fp_ieee_inexact 0
		.amdhsa_exception_int_div_zero 0
	.end_amdhsa_kernel
	.section	.text._ZN7rocprim17ROCPRIM_400000_NS6detail17trampoline_kernelINS0_13select_configILj256ELj13ELNS0_17block_load_methodE3ELS4_3ELS4_3ELNS0_20block_scan_algorithmE0ELj4294967295EEENS1_25partition_config_selectorILNS1_17partition_subalgoE3EjNS0_10empty_typeEbEEZZNS1_14partition_implILS8_3ELb0ES6_jNS0_17counting_iteratorIjlEEPS9_SE_NS0_5tupleIJPjSE_EEENSF_IJSE_SE_EEES9_SG_JZNS1_25segmented_radix_sort_implINS0_14default_configELb1EPKsPsPKlPlN2at6native12_GLOBAL__N_18offset_tEEE10hipError_tPvRmT1_PNSt15iterator_traitsISY_E10value_typeET2_T3_PNSZ_IS14_E10value_typeET4_jRbjT5_S1A_jjP12ihipStream_tbEUljE_EEESV_SW_SX_S14_S18_S1A_T6_T7_T9_mT8_S1C_bDpT10_ENKUlT_T0_E_clISt17integral_constantIbLb0EES1O_IbLb1EEEEDaS1K_S1L_EUlS1K_E_NS1_11comp_targetILNS1_3genE2ELNS1_11target_archE906ELNS1_3gpuE6ELNS1_3repE0EEENS1_30default_config_static_selectorELNS0_4arch9wavefront6targetE1EEEvSY_,"axG",@progbits,_ZN7rocprim17ROCPRIM_400000_NS6detail17trampoline_kernelINS0_13select_configILj256ELj13ELNS0_17block_load_methodE3ELS4_3ELS4_3ELNS0_20block_scan_algorithmE0ELj4294967295EEENS1_25partition_config_selectorILNS1_17partition_subalgoE3EjNS0_10empty_typeEbEEZZNS1_14partition_implILS8_3ELb0ES6_jNS0_17counting_iteratorIjlEEPS9_SE_NS0_5tupleIJPjSE_EEENSF_IJSE_SE_EEES9_SG_JZNS1_25segmented_radix_sort_implINS0_14default_configELb1EPKsPsPKlPlN2at6native12_GLOBAL__N_18offset_tEEE10hipError_tPvRmT1_PNSt15iterator_traitsISY_E10value_typeET2_T3_PNSZ_IS14_E10value_typeET4_jRbjT5_S1A_jjP12ihipStream_tbEUljE_EEESV_SW_SX_S14_S18_S1A_T6_T7_T9_mT8_S1C_bDpT10_ENKUlT_T0_E_clISt17integral_constantIbLb0EES1O_IbLb1EEEEDaS1K_S1L_EUlS1K_E_NS1_11comp_targetILNS1_3genE2ELNS1_11target_archE906ELNS1_3gpuE6ELNS1_3repE0EEENS1_30default_config_static_selectorELNS0_4arch9wavefront6targetE1EEEvSY_,comdat
.Lfunc_end907:
	.size	_ZN7rocprim17ROCPRIM_400000_NS6detail17trampoline_kernelINS0_13select_configILj256ELj13ELNS0_17block_load_methodE3ELS4_3ELS4_3ELNS0_20block_scan_algorithmE0ELj4294967295EEENS1_25partition_config_selectorILNS1_17partition_subalgoE3EjNS0_10empty_typeEbEEZZNS1_14partition_implILS8_3ELb0ES6_jNS0_17counting_iteratorIjlEEPS9_SE_NS0_5tupleIJPjSE_EEENSF_IJSE_SE_EEES9_SG_JZNS1_25segmented_radix_sort_implINS0_14default_configELb1EPKsPsPKlPlN2at6native12_GLOBAL__N_18offset_tEEE10hipError_tPvRmT1_PNSt15iterator_traitsISY_E10value_typeET2_T3_PNSZ_IS14_E10value_typeET4_jRbjT5_S1A_jjP12ihipStream_tbEUljE_EEESV_SW_SX_S14_S18_S1A_T6_T7_T9_mT8_S1C_bDpT10_ENKUlT_T0_E_clISt17integral_constantIbLb0EES1O_IbLb1EEEEDaS1K_S1L_EUlS1K_E_NS1_11comp_targetILNS1_3genE2ELNS1_11target_archE906ELNS1_3gpuE6ELNS1_3repE0EEENS1_30default_config_static_selectorELNS0_4arch9wavefront6targetE1EEEvSY_, .Lfunc_end907-_ZN7rocprim17ROCPRIM_400000_NS6detail17trampoline_kernelINS0_13select_configILj256ELj13ELNS0_17block_load_methodE3ELS4_3ELS4_3ELNS0_20block_scan_algorithmE0ELj4294967295EEENS1_25partition_config_selectorILNS1_17partition_subalgoE3EjNS0_10empty_typeEbEEZZNS1_14partition_implILS8_3ELb0ES6_jNS0_17counting_iteratorIjlEEPS9_SE_NS0_5tupleIJPjSE_EEENSF_IJSE_SE_EEES9_SG_JZNS1_25segmented_radix_sort_implINS0_14default_configELb1EPKsPsPKlPlN2at6native12_GLOBAL__N_18offset_tEEE10hipError_tPvRmT1_PNSt15iterator_traitsISY_E10value_typeET2_T3_PNSZ_IS14_E10value_typeET4_jRbjT5_S1A_jjP12ihipStream_tbEUljE_EEESV_SW_SX_S14_S18_S1A_T6_T7_T9_mT8_S1C_bDpT10_ENKUlT_T0_E_clISt17integral_constantIbLb0EES1O_IbLb1EEEEDaS1K_S1L_EUlS1K_E_NS1_11comp_targetILNS1_3genE2ELNS1_11target_archE906ELNS1_3gpuE6ELNS1_3repE0EEENS1_30default_config_static_selectorELNS0_4arch9wavefront6targetE1EEEvSY_
                                        ; -- End function
	.section	.AMDGPU.csdata,"",@progbits
; Kernel info:
; codeLenInByte = 0
; NumSgprs: 4
; NumVgprs: 0
; NumAgprs: 0
; TotalNumVgprs: 0
; ScratchSize: 0
; MemoryBound: 0
; FloatMode: 240
; IeeeMode: 1
; LDSByteSize: 0 bytes/workgroup (compile time only)
; SGPRBlocks: 0
; VGPRBlocks: 0
; NumSGPRsForWavesPerEU: 4
; NumVGPRsForWavesPerEU: 1
; AccumOffset: 4
; Occupancy: 8
; WaveLimiterHint : 0
; COMPUTE_PGM_RSRC2:SCRATCH_EN: 0
; COMPUTE_PGM_RSRC2:USER_SGPR: 6
; COMPUTE_PGM_RSRC2:TRAP_HANDLER: 0
; COMPUTE_PGM_RSRC2:TGID_X_EN: 1
; COMPUTE_PGM_RSRC2:TGID_Y_EN: 0
; COMPUTE_PGM_RSRC2:TGID_Z_EN: 0
; COMPUTE_PGM_RSRC2:TIDIG_COMP_CNT: 0
; COMPUTE_PGM_RSRC3_GFX90A:ACCUM_OFFSET: 0
; COMPUTE_PGM_RSRC3_GFX90A:TG_SPLIT: 0
	.section	.text._ZN7rocprim17ROCPRIM_400000_NS6detail17trampoline_kernelINS0_13select_configILj256ELj13ELNS0_17block_load_methodE3ELS4_3ELS4_3ELNS0_20block_scan_algorithmE0ELj4294967295EEENS1_25partition_config_selectorILNS1_17partition_subalgoE3EjNS0_10empty_typeEbEEZZNS1_14partition_implILS8_3ELb0ES6_jNS0_17counting_iteratorIjlEEPS9_SE_NS0_5tupleIJPjSE_EEENSF_IJSE_SE_EEES9_SG_JZNS1_25segmented_radix_sort_implINS0_14default_configELb1EPKsPsPKlPlN2at6native12_GLOBAL__N_18offset_tEEE10hipError_tPvRmT1_PNSt15iterator_traitsISY_E10value_typeET2_T3_PNSZ_IS14_E10value_typeET4_jRbjT5_S1A_jjP12ihipStream_tbEUljE_EEESV_SW_SX_S14_S18_S1A_T6_T7_T9_mT8_S1C_bDpT10_ENKUlT_T0_E_clISt17integral_constantIbLb0EES1O_IbLb1EEEEDaS1K_S1L_EUlS1K_E_NS1_11comp_targetILNS1_3genE10ELNS1_11target_archE1200ELNS1_3gpuE4ELNS1_3repE0EEENS1_30default_config_static_selectorELNS0_4arch9wavefront6targetE1EEEvSY_,"axG",@progbits,_ZN7rocprim17ROCPRIM_400000_NS6detail17trampoline_kernelINS0_13select_configILj256ELj13ELNS0_17block_load_methodE3ELS4_3ELS4_3ELNS0_20block_scan_algorithmE0ELj4294967295EEENS1_25partition_config_selectorILNS1_17partition_subalgoE3EjNS0_10empty_typeEbEEZZNS1_14partition_implILS8_3ELb0ES6_jNS0_17counting_iteratorIjlEEPS9_SE_NS0_5tupleIJPjSE_EEENSF_IJSE_SE_EEES9_SG_JZNS1_25segmented_radix_sort_implINS0_14default_configELb1EPKsPsPKlPlN2at6native12_GLOBAL__N_18offset_tEEE10hipError_tPvRmT1_PNSt15iterator_traitsISY_E10value_typeET2_T3_PNSZ_IS14_E10value_typeET4_jRbjT5_S1A_jjP12ihipStream_tbEUljE_EEESV_SW_SX_S14_S18_S1A_T6_T7_T9_mT8_S1C_bDpT10_ENKUlT_T0_E_clISt17integral_constantIbLb0EES1O_IbLb1EEEEDaS1K_S1L_EUlS1K_E_NS1_11comp_targetILNS1_3genE10ELNS1_11target_archE1200ELNS1_3gpuE4ELNS1_3repE0EEENS1_30default_config_static_selectorELNS0_4arch9wavefront6targetE1EEEvSY_,comdat
	.globl	_ZN7rocprim17ROCPRIM_400000_NS6detail17trampoline_kernelINS0_13select_configILj256ELj13ELNS0_17block_load_methodE3ELS4_3ELS4_3ELNS0_20block_scan_algorithmE0ELj4294967295EEENS1_25partition_config_selectorILNS1_17partition_subalgoE3EjNS0_10empty_typeEbEEZZNS1_14partition_implILS8_3ELb0ES6_jNS0_17counting_iteratorIjlEEPS9_SE_NS0_5tupleIJPjSE_EEENSF_IJSE_SE_EEES9_SG_JZNS1_25segmented_radix_sort_implINS0_14default_configELb1EPKsPsPKlPlN2at6native12_GLOBAL__N_18offset_tEEE10hipError_tPvRmT1_PNSt15iterator_traitsISY_E10value_typeET2_T3_PNSZ_IS14_E10value_typeET4_jRbjT5_S1A_jjP12ihipStream_tbEUljE_EEESV_SW_SX_S14_S18_S1A_T6_T7_T9_mT8_S1C_bDpT10_ENKUlT_T0_E_clISt17integral_constantIbLb0EES1O_IbLb1EEEEDaS1K_S1L_EUlS1K_E_NS1_11comp_targetILNS1_3genE10ELNS1_11target_archE1200ELNS1_3gpuE4ELNS1_3repE0EEENS1_30default_config_static_selectorELNS0_4arch9wavefront6targetE1EEEvSY_ ; -- Begin function _ZN7rocprim17ROCPRIM_400000_NS6detail17trampoline_kernelINS0_13select_configILj256ELj13ELNS0_17block_load_methodE3ELS4_3ELS4_3ELNS0_20block_scan_algorithmE0ELj4294967295EEENS1_25partition_config_selectorILNS1_17partition_subalgoE3EjNS0_10empty_typeEbEEZZNS1_14partition_implILS8_3ELb0ES6_jNS0_17counting_iteratorIjlEEPS9_SE_NS0_5tupleIJPjSE_EEENSF_IJSE_SE_EEES9_SG_JZNS1_25segmented_radix_sort_implINS0_14default_configELb1EPKsPsPKlPlN2at6native12_GLOBAL__N_18offset_tEEE10hipError_tPvRmT1_PNSt15iterator_traitsISY_E10value_typeET2_T3_PNSZ_IS14_E10value_typeET4_jRbjT5_S1A_jjP12ihipStream_tbEUljE_EEESV_SW_SX_S14_S18_S1A_T6_T7_T9_mT8_S1C_bDpT10_ENKUlT_T0_E_clISt17integral_constantIbLb0EES1O_IbLb1EEEEDaS1K_S1L_EUlS1K_E_NS1_11comp_targetILNS1_3genE10ELNS1_11target_archE1200ELNS1_3gpuE4ELNS1_3repE0EEENS1_30default_config_static_selectorELNS0_4arch9wavefront6targetE1EEEvSY_
	.p2align	8
	.type	_ZN7rocprim17ROCPRIM_400000_NS6detail17trampoline_kernelINS0_13select_configILj256ELj13ELNS0_17block_load_methodE3ELS4_3ELS4_3ELNS0_20block_scan_algorithmE0ELj4294967295EEENS1_25partition_config_selectorILNS1_17partition_subalgoE3EjNS0_10empty_typeEbEEZZNS1_14partition_implILS8_3ELb0ES6_jNS0_17counting_iteratorIjlEEPS9_SE_NS0_5tupleIJPjSE_EEENSF_IJSE_SE_EEES9_SG_JZNS1_25segmented_radix_sort_implINS0_14default_configELb1EPKsPsPKlPlN2at6native12_GLOBAL__N_18offset_tEEE10hipError_tPvRmT1_PNSt15iterator_traitsISY_E10value_typeET2_T3_PNSZ_IS14_E10value_typeET4_jRbjT5_S1A_jjP12ihipStream_tbEUljE_EEESV_SW_SX_S14_S18_S1A_T6_T7_T9_mT8_S1C_bDpT10_ENKUlT_T0_E_clISt17integral_constantIbLb0EES1O_IbLb1EEEEDaS1K_S1L_EUlS1K_E_NS1_11comp_targetILNS1_3genE10ELNS1_11target_archE1200ELNS1_3gpuE4ELNS1_3repE0EEENS1_30default_config_static_selectorELNS0_4arch9wavefront6targetE1EEEvSY_,@function
_ZN7rocprim17ROCPRIM_400000_NS6detail17trampoline_kernelINS0_13select_configILj256ELj13ELNS0_17block_load_methodE3ELS4_3ELS4_3ELNS0_20block_scan_algorithmE0ELj4294967295EEENS1_25partition_config_selectorILNS1_17partition_subalgoE3EjNS0_10empty_typeEbEEZZNS1_14partition_implILS8_3ELb0ES6_jNS0_17counting_iteratorIjlEEPS9_SE_NS0_5tupleIJPjSE_EEENSF_IJSE_SE_EEES9_SG_JZNS1_25segmented_radix_sort_implINS0_14default_configELb1EPKsPsPKlPlN2at6native12_GLOBAL__N_18offset_tEEE10hipError_tPvRmT1_PNSt15iterator_traitsISY_E10value_typeET2_T3_PNSZ_IS14_E10value_typeET4_jRbjT5_S1A_jjP12ihipStream_tbEUljE_EEESV_SW_SX_S14_S18_S1A_T6_T7_T9_mT8_S1C_bDpT10_ENKUlT_T0_E_clISt17integral_constantIbLb0EES1O_IbLb1EEEEDaS1K_S1L_EUlS1K_E_NS1_11comp_targetILNS1_3genE10ELNS1_11target_archE1200ELNS1_3gpuE4ELNS1_3repE0EEENS1_30default_config_static_selectorELNS0_4arch9wavefront6targetE1EEEvSY_: ; @_ZN7rocprim17ROCPRIM_400000_NS6detail17trampoline_kernelINS0_13select_configILj256ELj13ELNS0_17block_load_methodE3ELS4_3ELS4_3ELNS0_20block_scan_algorithmE0ELj4294967295EEENS1_25partition_config_selectorILNS1_17partition_subalgoE3EjNS0_10empty_typeEbEEZZNS1_14partition_implILS8_3ELb0ES6_jNS0_17counting_iteratorIjlEEPS9_SE_NS0_5tupleIJPjSE_EEENSF_IJSE_SE_EEES9_SG_JZNS1_25segmented_radix_sort_implINS0_14default_configELb1EPKsPsPKlPlN2at6native12_GLOBAL__N_18offset_tEEE10hipError_tPvRmT1_PNSt15iterator_traitsISY_E10value_typeET2_T3_PNSZ_IS14_E10value_typeET4_jRbjT5_S1A_jjP12ihipStream_tbEUljE_EEESV_SW_SX_S14_S18_S1A_T6_T7_T9_mT8_S1C_bDpT10_ENKUlT_T0_E_clISt17integral_constantIbLb0EES1O_IbLb1EEEEDaS1K_S1L_EUlS1K_E_NS1_11comp_targetILNS1_3genE10ELNS1_11target_archE1200ELNS1_3gpuE4ELNS1_3repE0EEENS1_30default_config_static_selectorELNS0_4arch9wavefront6targetE1EEEvSY_
; %bb.0:
	.section	.rodata,"a",@progbits
	.p2align	6, 0x0
	.amdhsa_kernel _ZN7rocprim17ROCPRIM_400000_NS6detail17trampoline_kernelINS0_13select_configILj256ELj13ELNS0_17block_load_methodE3ELS4_3ELS4_3ELNS0_20block_scan_algorithmE0ELj4294967295EEENS1_25partition_config_selectorILNS1_17partition_subalgoE3EjNS0_10empty_typeEbEEZZNS1_14partition_implILS8_3ELb0ES6_jNS0_17counting_iteratorIjlEEPS9_SE_NS0_5tupleIJPjSE_EEENSF_IJSE_SE_EEES9_SG_JZNS1_25segmented_radix_sort_implINS0_14default_configELb1EPKsPsPKlPlN2at6native12_GLOBAL__N_18offset_tEEE10hipError_tPvRmT1_PNSt15iterator_traitsISY_E10value_typeET2_T3_PNSZ_IS14_E10value_typeET4_jRbjT5_S1A_jjP12ihipStream_tbEUljE_EEESV_SW_SX_S14_S18_S1A_T6_T7_T9_mT8_S1C_bDpT10_ENKUlT_T0_E_clISt17integral_constantIbLb0EES1O_IbLb1EEEEDaS1K_S1L_EUlS1K_E_NS1_11comp_targetILNS1_3genE10ELNS1_11target_archE1200ELNS1_3gpuE4ELNS1_3repE0EEENS1_30default_config_static_selectorELNS0_4arch9wavefront6targetE1EEEvSY_
		.amdhsa_group_segment_fixed_size 0
		.amdhsa_private_segment_fixed_size 0
		.amdhsa_kernarg_size 152
		.amdhsa_user_sgpr_count 6
		.amdhsa_user_sgpr_private_segment_buffer 1
		.amdhsa_user_sgpr_dispatch_ptr 0
		.amdhsa_user_sgpr_queue_ptr 0
		.amdhsa_user_sgpr_kernarg_segment_ptr 1
		.amdhsa_user_sgpr_dispatch_id 0
		.amdhsa_user_sgpr_flat_scratch_init 0
		.amdhsa_user_sgpr_kernarg_preload_length 0
		.amdhsa_user_sgpr_kernarg_preload_offset 0
		.amdhsa_user_sgpr_private_segment_size 0
		.amdhsa_uses_dynamic_stack 0
		.amdhsa_system_sgpr_private_segment_wavefront_offset 0
		.amdhsa_system_sgpr_workgroup_id_x 1
		.amdhsa_system_sgpr_workgroup_id_y 0
		.amdhsa_system_sgpr_workgroup_id_z 0
		.amdhsa_system_sgpr_workgroup_info 0
		.amdhsa_system_vgpr_workitem_id 0
		.amdhsa_next_free_vgpr 1
		.amdhsa_next_free_sgpr 0
		.amdhsa_accum_offset 4
		.amdhsa_reserve_vcc 0
		.amdhsa_reserve_flat_scratch 0
		.amdhsa_float_round_mode_32 0
		.amdhsa_float_round_mode_16_64 0
		.amdhsa_float_denorm_mode_32 3
		.amdhsa_float_denorm_mode_16_64 3
		.amdhsa_dx10_clamp 1
		.amdhsa_ieee_mode 1
		.amdhsa_fp16_overflow 0
		.amdhsa_tg_split 0
		.amdhsa_exception_fp_ieee_invalid_op 0
		.amdhsa_exception_fp_denorm_src 0
		.amdhsa_exception_fp_ieee_div_zero 0
		.amdhsa_exception_fp_ieee_overflow 0
		.amdhsa_exception_fp_ieee_underflow 0
		.amdhsa_exception_fp_ieee_inexact 0
		.amdhsa_exception_int_div_zero 0
	.end_amdhsa_kernel
	.section	.text._ZN7rocprim17ROCPRIM_400000_NS6detail17trampoline_kernelINS0_13select_configILj256ELj13ELNS0_17block_load_methodE3ELS4_3ELS4_3ELNS0_20block_scan_algorithmE0ELj4294967295EEENS1_25partition_config_selectorILNS1_17partition_subalgoE3EjNS0_10empty_typeEbEEZZNS1_14partition_implILS8_3ELb0ES6_jNS0_17counting_iteratorIjlEEPS9_SE_NS0_5tupleIJPjSE_EEENSF_IJSE_SE_EEES9_SG_JZNS1_25segmented_radix_sort_implINS0_14default_configELb1EPKsPsPKlPlN2at6native12_GLOBAL__N_18offset_tEEE10hipError_tPvRmT1_PNSt15iterator_traitsISY_E10value_typeET2_T3_PNSZ_IS14_E10value_typeET4_jRbjT5_S1A_jjP12ihipStream_tbEUljE_EEESV_SW_SX_S14_S18_S1A_T6_T7_T9_mT8_S1C_bDpT10_ENKUlT_T0_E_clISt17integral_constantIbLb0EES1O_IbLb1EEEEDaS1K_S1L_EUlS1K_E_NS1_11comp_targetILNS1_3genE10ELNS1_11target_archE1200ELNS1_3gpuE4ELNS1_3repE0EEENS1_30default_config_static_selectorELNS0_4arch9wavefront6targetE1EEEvSY_,"axG",@progbits,_ZN7rocprim17ROCPRIM_400000_NS6detail17trampoline_kernelINS0_13select_configILj256ELj13ELNS0_17block_load_methodE3ELS4_3ELS4_3ELNS0_20block_scan_algorithmE0ELj4294967295EEENS1_25partition_config_selectorILNS1_17partition_subalgoE3EjNS0_10empty_typeEbEEZZNS1_14partition_implILS8_3ELb0ES6_jNS0_17counting_iteratorIjlEEPS9_SE_NS0_5tupleIJPjSE_EEENSF_IJSE_SE_EEES9_SG_JZNS1_25segmented_radix_sort_implINS0_14default_configELb1EPKsPsPKlPlN2at6native12_GLOBAL__N_18offset_tEEE10hipError_tPvRmT1_PNSt15iterator_traitsISY_E10value_typeET2_T3_PNSZ_IS14_E10value_typeET4_jRbjT5_S1A_jjP12ihipStream_tbEUljE_EEESV_SW_SX_S14_S18_S1A_T6_T7_T9_mT8_S1C_bDpT10_ENKUlT_T0_E_clISt17integral_constantIbLb0EES1O_IbLb1EEEEDaS1K_S1L_EUlS1K_E_NS1_11comp_targetILNS1_3genE10ELNS1_11target_archE1200ELNS1_3gpuE4ELNS1_3repE0EEENS1_30default_config_static_selectorELNS0_4arch9wavefront6targetE1EEEvSY_,comdat
.Lfunc_end908:
	.size	_ZN7rocprim17ROCPRIM_400000_NS6detail17trampoline_kernelINS0_13select_configILj256ELj13ELNS0_17block_load_methodE3ELS4_3ELS4_3ELNS0_20block_scan_algorithmE0ELj4294967295EEENS1_25partition_config_selectorILNS1_17partition_subalgoE3EjNS0_10empty_typeEbEEZZNS1_14partition_implILS8_3ELb0ES6_jNS0_17counting_iteratorIjlEEPS9_SE_NS0_5tupleIJPjSE_EEENSF_IJSE_SE_EEES9_SG_JZNS1_25segmented_radix_sort_implINS0_14default_configELb1EPKsPsPKlPlN2at6native12_GLOBAL__N_18offset_tEEE10hipError_tPvRmT1_PNSt15iterator_traitsISY_E10value_typeET2_T3_PNSZ_IS14_E10value_typeET4_jRbjT5_S1A_jjP12ihipStream_tbEUljE_EEESV_SW_SX_S14_S18_S1A_T6_T7_T9_mT8_S1C_bDpT10_ENKUlT_T0_E_clISt17integral_constantIbLb0EES1O_IbLb1EEEEDaS1K_S1L_EUlS1K_E_NS1_11comp_targetILNS1_3genE10ELNS1_11target_archE1200ELNS1_3gpuE4ELNS1_3repE0EEENS1_30default_config_static_selectorELNS0_4arch9wavefront6targetE1EEEvSY_, .Lfunc_end908-_ZN7rocprim17ROCPRIM_400000_NS6detail17trampoline_kernelINS0_13select_configILj256ELj13ELNS0_17block_load_methodE3ELS4_3ELS4_3ELNS0_20block_scan_algorithmE0ELj4294967295EEENS1_25partition_config_selectorILNS1_17partition_subalgoE3EjNS0_10empty_typeEbEEZZNS1_14partition_implILS8_3ELb0ES6_jNS0_17counting_iteratorIjlEEPS9_SE_NS0_5tupleIJPjSE_EEENSF_IJSE_SE_EEES9_SG_JZNS1_25segmented_radix_sort_implINS0_14default_configELb1EPKsPsPKlPlN2at6native12_GLOBAL__N_18offset_tEEE10hipError_tPvRmT1_PNSt15iterator_traitsISY_E10value_typeET2_T3_PNSZ_IS14_E10value_typeET4_jRbjT5_S1A_jjP12ihipStream_tbEUljE_EEESV_SW_SX_S14_S18_S1A_T6_T7_T9_mT8_S1C_bDpT10_ENKUlT_T0_E_clISt17integral_constantIbLb0EES1O_IbLb1EEEEDaS1K_S1L_EUlS1K_E_NS1_11comp_targetILNS1_3genE10ELNS1_11target_archE1200ELNS1_3gpuE4ELNS1_3repE0EEENS1_30default_config_static_selectorELNS0_4arch9wavefront6targetE1EEEvSY_
                                        ; -- End function
	.section	.AMDGPU.csdata,"",@progbits
; Kernel info:
; codeLenInByte = 0
; NumSgprs: 4
; NumVgprs: 0
; NumAgprs: 0
; TotalNumVgprs: 0
; ScratchSize: 0
; MemoryBound: 0
; FloatMode: 240
; IeeeMode: 1
; LDSByteSize: 0 bytes/workgroup (compile time only)
; SGPRBlocks: 0
; VGPRBlocks: 0
; NumSGPRsForWavesPerEU: 4
; NumVGPRsForWavesPerEU: 1
; AccumOffset: 4
; Occupancy: 8
; WaveLimiterHint : 0
; COMPUTE_PGM_RSRC2:SCRATCH_EN: 0
; COMPUTE_PGM_RSRC2:USER_SGPR: 6
; COMPUTE_PGM_RSRC2:TRAP_HANDLER: 0
; COMPUTE_PGM_RSRC2:TGID_X_EN: 1
; COMPUTE_PGM_RSRC2:TGID_Y_EN: 0
; COMPUTE_PGM_RSRC2:TGID_Z_EN: 0
; COMPUTE_PGM_RSRC2:TIDIG_COMP_CNT: 0
; COMPUTE_PGM_RSRC3_GFX90A:ACCUM_OFFSET: 0
; COMPUTE_PGM_RSRC3_GFX90A:TG_SPLIT: 0
	.section	.text._ZN7rocprim17ROCPRIM_400000_NS6detail17trampoline_kernelINS0_13select_configILj256ELj13ELNS0_17block_load_methodE3ELS4_3ELS4_3ELNS0_20block_scan_algorithmE0ELj4294967295EEENS1_25partition_config_selectorILNS1_17partition_subalgoE3EjNS0_10empty_typeEbEEZZNS1_14partition_implILS8_3ELb0ES6_jNS0_17counting_iteratorIjlEEPS9_SE_NS0_5tupleIJPjSE_EEENSF_IJSE_SE_EEES9_SG_JZNS1_25segmented_radix_sort_implINS0_14default_configELb1EPKsPsPKlPlN2at6native12_GLOBAL__N_18offset_tEEE10hipError_tPvRmT1_PNSt15iterator_traitsISY_E10value_typeET2_T3_PNSZ_IS14_E10value_typeET4_jRbjT5_S1A_jjP12ihipStream_tbEUljE_EEESV_SW_SX_S14_S18_S1A_T6_T7_T9_mT8_S1C_bDpT10_ENKUlT_T0_E_clISt17integral_constantIbLb0EES1O_IbLb1EEEEDaS1K_S1L_EUlS1K_E_NS1_11comp_targetILNS1_3genE9ELNS1_11target_archE1100ELNS1_3gpuE3ELNS1_3repE0EEENS1_30default_config_static_selectorELNS0_4arch9wavefront6targetE1EEEvSY_,"axG",@progbits,_ZN7rocprim17ROCPRIM_400000_NS6detail17trampoline_kernelINS0_13select_configILj256ELj13ELNS0_17block_load_methodE3ELS4_3ELS4_3ELNS0_20block_scan_algorithmE0ELj4294967295EEENS1_25partition_config_selectorILNS1_17partition_subalgoE3EjNS0_10empty_typeEbEEZZNS1_14partition_implILS8_3ELb0ES6_jNS0_17counting_iteratorIjlEEPS9_SE_NS0_5tupleIJPjSE_EEENSF_IJSE_SE_EEES9_SG_JZNS1_25segmented_radix_sort_implINS0_14default_configELb1EPKsPsPKlPlN2at6native12_GLOBAL__N_18offset_tEEE10hipError_tPvRmT1_PNSt15iterator_traitsISY_E10value_typeET2_T3_PNSZ_IS14_E10value_typeET4_jRbjT5_S1A_jjP12ihipStream_tbEUljE_EEESV_SW_SX_S14_S18_S1A_T6_T7_T9_mT8_S1C_bDpT10_ENKUlT_T0_E_clISt17integral_constantIbLb0EES1O_IbLb1EEEEDaS1K_S1L_EUlS1K_E_NS1_11comp_targetILNS1_3genE9ELNS1_11target_archE1100ELNS1_3gpuE3ELNS1_3repE0EEENS1_30default_config_static_selectorELNS0_4arch9wavefront6targetE1EEEvSY_,comdat
	.globl	_ZN7rocprim17ROCPRIM_400000_NS6detail17trampoline_kernelINS0_13select_configILj256ELj13ELNS0_17block_load_methodE3ELS4_3ELS4_3ELNS0_20block_scan_algorithmE0ELj4294967295EEENS1_25partition_config_selectorILNS1_17partition_subalgoE3EjNS0_10empty_typeEbEEZZNS1_14partition_implILS8_3ELb0ES6_jNS0_17counting_iteratorIjlEEPS9_SE_NS0_5tupleIJPjSE_EEENSF_IJSE_SE_EEES9_SG_JZNS1_25segmented_radix_sort_implINS0_14default_configELb1EPKsPsPKlPlN2at6native12_GLOBAL__N_18offset_tEEE10hipError_tPvRmT1_PNSt15iterator_traitsISY_E10value_typeET2_T3_PNSZ_IS14_E10value_typeET4_jRbjT5_S1A_jjP12ihipStream_tbEUljE_EEESV_SW_SX_S14_S18_S1A_T6_T7_T9_mT8_S1C_bDpT10_ENKUlT_T0_E_clISt17integral_constantIbLb0EES1O_IbLb1EEEEDaS1K_S1L_EUlS1K_E_NS1_11comp_targetILNS1_3genE9ELNS1_11target_archE1100ELNS1_3gpuE3ELNS1_3repE0EEENS1_30default_config_static_selectorELNS0_4arch9wavefront6targetE1EEEvSY_ ; -- Begin function _ZN7rocprim17ROCPRIM_400000_NS6detail17trampoline_kernelINS0_13select_configILj256ELj13ELNS0_17block_load_methodE3ELS4_3ELS4_3ELNS0_20block_scan_algorithmE0ELj4294967295EEENS1_25partition_config_selectorILNS1_17partition_subalgoE3EjNS0_10empty_typeEbEEZZNS1_14partition_implILS8_3ELb0ES6_jNS0_17counting_iteratorIjlEEPS9_SE_NS0_5tupleIJPjSE_EEENSF_IJSE_SE_EEES9_SG_JZNS1_25segmented_radix_sort_implINS0_14default_configELb1EPKsPsPKlPlN2at6native12_GLOBAL__N_18offset_tEEE10hipError_tPvRmT1_PNSt15iterator_traitsISY_E10value_typeET2_T3_PNSZ_IS14_E10value_typeET4_jRbjT5_S1A_jjP12ihipStream_tbEUljE_EEESV_SW_SX_S14_S18_S1A_T6_T7_T9_mT8_S1C_bDpT10_ENKUlT_T0_E_clISt17integral_constantIbLb0EES1O_IbLb1EEEEDaS1K_S1L_EUlS1K_E_NS1_11comp_targetILNS1_3genE9ELNS1_11target_archE1100ELNS1_3gpuE3ELNS1_3repE0EEENS1_30default_config_static_selectorELNS0_4arch9wavefront6targetE1EEEvSY_
	.p2align	8
	.type	_ZN7rocprim17ROCPRIM_400000_NS6detail17trampoline_kernelINS0_13select_configILj256ELj13ELNS0_17block_load_methodE3ELS4_3ELS4_3ELNS0_20block_scan_algorithmE0ELj4294967295EEENS1_25partition_config_selectorILNS1_17partition_subalgoE3EjNS0_10empty_typeEbEEZZNS1_14partition_implILS8_3ELb0ES6_jNS0_17counting_iteratorIjlEEPS9_SE_NS0_5tupleIJPjSE_EEENSF_IJSE_SE_EEES9_SG_JZNS1_25segmented_radix_sort_implINS0_14default_configELb1EPKsPsPKlPlN2at6native12_GLOBAL__N_18offset_tEEE10hipError_tPvRmT1_PNSt15iterator_traitsISY_E10value_typeET2_T3_PNSZ_IS14_E10value_typeET4_jRbjT5_S1A_jjP12ihipStream_tbEUljE_EEESV_SW_SX_S14_S18_S1A_T6_T7_T9_mT8_S1C_bDpT10_ENKUlT_T0_E_clISt17integral_constantIbLb0EES1O_IbLb1EEEEDaS1K_S1L_EUlS1K_E_NS1_11comp_targetILNS1_3genE9ELNS1_11target_archE1100ELNS1_3gpuE3ELNS1_3repE0EEENS1_30default_config_static_selectorELNS0_4arch9wavefront6targetE1EEEvSY_,@function
_ZN7rocprim17ROCPRIM_400000_NS6detail17trampoline_kernelINS0_13select_configILj256ELj13ELNS0_17block_load_methodE3ELS4_3ELS4_3ELNS0_20block_scan_algorithmE0ELj4294967295EEENS1_25partition_config_selectorILNS1_17partition_subalgoE3EjNS0_10empty_typeEbEEZZNS1_14partition_implILS8_3ELb0ES6_jNS0_17counting_iteratorIjlEEPS9_SE_NS0_5tupleIJPjSE_EEENSF_IJSE_SE_EEES9_SG_JZNS1_25segmented_radix_sort_implINS0_14default_configELb1EPKsPsPKlPlN2at6native12_GLOBAL__N_18offset_tEEE10hipError_tPvRmT1_PNSt15iterator_traitsISY_E10value_typeET2_T3_PNSZ_IS14_E10value_typeET4_jRbjT5_S1A_jjP12ihipStream_tbEUljE_EEESV_SW_SX_S14_S18_S1A_T6_T7_T9_mT8_S1C_bDpT10_ENKUlT_T0_E_clISt17integral_constantIbLb0EES1O_IbLb1EEEEDaS1K_S1L_EUlS1K_E_NS1_11comp_targetILNS1_3genE9ELNS1_11target_archE1100ELNS1_3gpuE3ELNS1_3repE0EEENS1_30default_config_static_selectorELNS0_4arch9wavefront6targetE1EEEvSY_: ; @_ZN7rocprim17ROCPRIM_400000_NS6detail17trampoline_kernelINS0_13select_configILj256ELj13ELNS0_17block_load_methodE3ELS4_3ELS4_3ELNS0_20block_scan_algorithmE0ELj4294967295EEENS1_25partition_config_selectorILNS1_17partition_subalgoE3EjNS0_10empty_typeEbEEZZNS1_14partition_implILS8_3ELb0ES6_jNS0_17counting_iteratorIjlEEPS9_SE_NS0_5tupleIJPjSE_EEENSF_IJSE_SE_EEES9_SG_JZNS1_25segmented_radix_sort_implINS0_14default_configELb1EPKsPsPKlPlN2at6native12_GLOBAL__N_18offset_tEEE10hipError_tPvRmT1_PNSt15iterator_traitsISY_E10value_typeET2_T3_PNSZ_IS14_E10value_typeET4_jRbjT5_S1A_jjP12ihipStream_tbEUljE_EEESV_SW_SX_S14_S18_S1A_T6_T7_T9_mT8_S1C_bDpT10_ENKUlT_T0_E_clISt17integral_constantIbLb0EES1O_IbLb1EEEEDaS1K_S1L_EUlS1K_E_NS1_11comp_targetILNS1_3genE9ELNS1_11target_archE1100ELNS1_3gpuE3ELNS1_3repE0EEENS1_30default_config_static_selectorELNS0_4arch9wavefront6targetE1EEEvSY_
; %bb.0:
	.section	.rodata,"a",@progbits
	.p2align	6, 0x0
	.amdhsa_kernel _ZN7rocprim17ROCPRIM_400000_NS6detail17trampoline_kernelINS0_13select_configILj256ELj13ELNS0_17block_load_methodE3ELS4_3ELS4_3ELNS0_20block_scan_algorithmE0ELj4294967295EEENS1_25partition_config_selectorILNS1_17partition_subalgoE3EjNS0_10empty_typeEbEEZZNS1_14partition_implILS8_3ELb0ES6_jNS0_17counting_iteratorIjlEEPS9_SE_NS0_5tupleIJPjSE_EEENSF_IJSE_SE_EEES9_SG_JZNS1_25segmented_radix_sort_implINS0_14default_configELb1EPKsPsPKlPlN2at6native12_GLOBAL__N_18offset_tEEE10hipError_tPvRmT1_PNSt15iterator_traitsISY_E10value_typeET2_T3_PNSZ_IS14_E10value_typeET4_jRbjT5_S1A_jjP12ihipStream_tbEUljE_EEESV_SW_SX_S14_S18_S1A_T6_T7_T9_mT8_S1C_bDpT10_ENKUlT_T0_E_clISt17integral_constantIbLb0EES1O_IbLb1EEEEDaS1K_S1L_EUlS1K_E_NS1_11comp_targetILNS1_3genE9ELNS1_11target_archE1100ELNS1_3gpuE3ELNS1_3repE0EEENS1_30default_config_static_selectorELNS0_4arch9wavefront6targetE1EEEvSY_
		.amdhsa_group_segment_fixed_size 0
		.amdhsa_private_segment_fixed_size 0
		.amdhsa_kernarg_size 152
		.amdhsa_user_sgpr_count 6
		.amdhsa_user_sgpr_private_segment_buffer 1
		.amdhsa_user_sgpr_dispatch_ptr 0
		.amdhsa_user_sgpr_queue_ptr 0
		.amdhsa_user_sgpr_kernarg_segment_ptr 1
		.amdhsa_user_sgpr_dispatch_id 0
		.amdhsa_user_sgpr_flat_scratch_init 0
		.amdhsa_user_sgpr_kernarg_preload_length 0
		.amdhsa_user_sgpr_kernarg_preload_offset 0
		.amdhsa_user_sgpr_private_segment_size 0
		.amdhsa_uses_dynamic_stack 0
		.amdhsa_system_sgpr_private_segment_wavefront_offset 0
		.amdhsa_system_sgpr_workgroup_id_x 1
		.amdhsa_system_sgpr_workgroup_id_y 0
		.amdhsa_system_sgpr_workgroup_id_z 0
		.amdhsa_system_sgpr_workgroup_info 0
		.amdhsa_system_vgpr_workitem_id 0
		.amdhsa_next_free_vgpr 1
		.amdhsa_next_free_sgpr 0
		.amdhsa_accum_offset 4
		.amdhsa_reserve_vcc 0
		.amdhsa_reserve_flat_scratch 0
		.amdhsa_float_round_mode_32 0
		.amdhsa_float_round_mode_16_64 0
		.amdhsa_float_denorm_mode_32 3
		.amdhsa_float_denorm_mode_16_64 3
		.amdhsa_dx10_clamp 1
		.amdhsa_ieee_mode 1
		.amdhsa_fp16_overflow 0
		.amdhsa_tg_split 0
		.amdhsa_exception_fp_ieee_invalid_op 0
		.amdhsa_exception_fp_denorm_src 0
		.amdhsa_exception_fp_ieee_div_zero 0
		.amdhsa_exception_fp_ieee_overflow 0
		.amdhsa_exception_fp_ieee_underflow 0
		.amdhsa_exception_fp_ieee_inexact 0
		.amdhsa_exception_int_div_zero 0
	.end_amdhsa_kernel
	.section	.text._ZN7rocprim17ROCPRIM_400000_NS6detail17trampoline_kernelINS0_13select_configILj256ELj13ELNS0_17block_load_methodE3ELS4_3ELS4_3ELNS0_20block_scan_algorithmE0ELj4294967295EEENS1_25partition_config_selectorILNS1_17partition_subalgoE3EjNS0_10empty_typeEbEEZZNS1_14partition_implILS8_3ELb0ES6_jNS0_17counting_iteratorIjlEEPS9_SE_NS0_5tupleIJPjSE_EEENSF_IJSE_SE_EEES9_SG_JZNS1_25segmented_radix_sort_implINS0_14default_configELb1EPKsPsPKlPlN2at6native12_GLOBAL__N_18offset_tEEE10hipError_tPvRmT1_PNSt15iterator_traitsISY_E10value_typeET2_T3_PNSZ_IS14_E10value_typeET4_jRbjT5_S1A_jjP12ihipStream_tbEUljE_EEESV_SW_SX_S14_S18_S1A_T6_T7_T9_mT8_S1C_bDpT10_ENKUlT_T0_E_clISt17integral_constantIbLb0EES1O_IbLb1EEEEDaS1K_S1L_EUlS1K_E_NS1_11comp_targetILNS1_3genE9ELNS1_11target_archE1100ELNS1_3gpuE3ELNS1_3repE0EEENS1_30default_config_static_selectorELNS0_4arch9wavefront6targetE1EEEvSY_,"axG",@progbits,_ZN7rocprim17ROCPRIM_400000_NS6detail17trampoline_kernelINS0_13select_configILj256ELj13ELNS0_17block_load_methodE3ELS4_3ELS4_3ELNS0_20block_scan_algorithmE0ELj4294967295EEENS1_25partition_config_selectorILNS1_17partition_subalgoE3EjNS0_10empty_typeEbEEZZNS1_14partition_implILS8_3ELb0ES6_jNS0_17counting_iteratorIjlEEPS9_SE_NS0_5tupleIJPjSE_EEENSF_IJSE_SE_EEES9_SG_JZNS1_25segmented_radix_sort_implINS0_14default_configELb1EPKsPsPKlPlN2at6native12_GLOBAL__N_18offset_tEEE10hipError_tPvRmT1_PNSt15iterator_traitsISY_E10value_typeET2_T3_PNSZ_IS14_E10value_typeET4_jRbjT5_S1A_jjP12ihipStream_tbEUljE_EEESV_SW_SX_S14_S18_S1A_T6_T7_T9_mT8_S1C_bDpT10_ENKUlT_T0_E_clISt17integral_constantIbLb0EES1O_IbLb1EEEEDaS1K_S1L_EUlS1K_E_NS1_11comp_targetILNS1_3genE9ELNS1_11target_archE1100ELNS1_3gpuE3ELNS1_3repE0EEENS1_30default_config_static_selectorELNS0_4arch9wavefront6targetE1EEEvSY_,comdat
.Lfunc_end909:
	.size	_ZN7rocprim17ROCPRIM_400000_NS6detail17trampoline_kernelINS0_13select_configILj256ELj13ELNS0_17block_load_methodE3ELS4_3ELS4_3ELNS0_20block_scan_algorithmE0ELj4294967295EEENS1_25partition_config_selectorILNS1_17partition_subalgoE3EjNS0_10empty_typeEbEEZZNS1_14partition_implILS8_3ELb0ES6_jNS0_17counting_iteratorIjlEEPS9_SE_NS0_5tupleIJPjSE_EEENSF_IJSE_SE_EEES9_SG_JZNS1_25segmented_radix_sort_implINS0_14default_configELb1EPKsPsPKlPlN2at6native12_GLOBAL__N_18offset_tEEE10hipError_tPvRmT1_PNSt15iterator_traitsISY_E10value_typeET2_T3_PNSZ_IS14_E10value_typeET4_jRbjT5_S1A_jjP12ihipStream_tbEUljE_EEESV_SW_SX_S14_S18_S1A_T6_T7_T9_mT8_S1C_bDpT10_ENKUlT_T0_E_clISt17integral_constantIbLb0EES1O_IbLb1EEEEDaS1K_S1L_EUlS1K_E_NS1_11comp_targetILNS1_3genE9ELNS1_11target_archE1100ELNS1_3gpuE3ELNS1_3repE0EEENS1_30default_config_static_selectorELNS0_4arch9wavefront6targetE1EEEvSY_, .Lfunc_end909-_ZN7rocprim17ROCPRIM_400000_NS6detail17trampoline_kernelINS0_13select_configILj256ELj13ELNS0_17block_load_methodE3ELS4_3ELS4_3ELNS0_20block_scan_algorithmE0ELj4294967295EEENS1_25partition_config_selectorILNS1_17partition_subalgoE3EjNS0_10empty_typeEbEEZZNS1_14partition_implILS8_3ELb0ES6_jNS0_17counting_iteratorIjlEEPS9_SE_NS0_5tupleIJPjSE_EEENSF_IJSE_SE_EEES9_SG_JZNS1_25segmented_radix_sort_implINS0_14default_configELb1EPKsPsPKlPlN2at6native12_GLOBAL__N_18offset_tEEE10hipError_tPvRmT1_PNSt15iterator_traitsISY_E10value_typeET2_T3_PNSZ_IS14_E10value_typeET4_jRbjT5_S1A_jjP12ihipStream_tbEUljE_EEESV_SW_SX_S14_S18_S1A_T6_T7_T9_mT8_S1C_bDpT10_ENKUlT_T0_E_clISt17integral_constantIbLb0EES1O_IbLb1EEEEDaS1K_S1L_EUlS1K_E_NS1_11comp_targetILNS1_3genE9ELNS1_11target_archE1100ELNS1_3gpuE3ELNS1_3repE0EEENS1_30default_config_static_selectorELNS0_4arch9wavefront6targetE1EEEvSY_
                                        ; -- End function
	.section	.AMDGPU.csdata,"",@progbits
; Kernel info:
; codeLenInByte = 0
; NumSgprs: 4
; NumVgprs: 0
; NumAgprs: 0
; TotalNumVgprs: 0
; ScratchSize: 0
; MemoryBound: 0
; FloatMode: 240
; IeeeMode: 1
; LDSByteSize: 0 bytes/workgroup (compile time only)
; SGPRBlocks: 0
; VGPRBlocks: 0
; NumSGPRsForWavesPerEU: 4
; NumVGPRsForWavesPerEU: 1
; AccumOffset: 4
; Occupancy: 8
; WaveLimiterHint : 0
; COMPUTE_PGM_RSRC2:SCRATCH_EN: 0
; COMPUTE_PGM_RSRC2:USER_SGPR: 6
; COMPUTE_PGM_RSRC2:TRAP_HANDLER: 0
; COMPUTE_PGM_RSRC2:TGID_X_EN: 1
; COMPUTE_PGM_RSRC2:TGID_Y_EN: 0
; COMPUTE_PGM_RSRC2:TGID_Z_EN: 0
; COMPUTE_PGM_RSRC2:TIDIG_COMP_CNT: 0
; COMPUTE_PGM_RSRC3_GFX90A:ACCUM_OFFSET: 0
; COMPUTE_PGM_RSRC3_GFX90A:TG_SPLIT: 0
	.section	.text._ZN7rocprim17ROCPRIM_400000_NS6detail17trampoline_kernelINS0_13select_configILj256ELj13ELNS0_17block_load_methodE3ELS4_3ELS4_3ELNS0_20block_scan_algorithmE0ELj4294967295EEENS1_25partition_config_selectorILNS1_17partition_subalgoE3EjNS0_10empty_typeEbEEZZNS1_14partition_implILS8_3ELb0ES6_jNS0_17counting_iteratorIjlEEPS9_SE_NS0_5tupleIJPjSE_EEENSF_IJSE_SE_EEES9_SG_JZNS1_25segmented_radix_sort_implINS0_14default_configELb1EPKsPsPKlPlN2at6native12_GLOBAL__N_18offset_tEEE10hipError_tPvRmT1_PNSt15iterator_traitsISY_E10value_typeET2_T3_PNSZ_IS14_E10value_typeET4_jRbjT5_S1A_jjP12ihipStream_tbEUljE_EEESV_SW_SX_S14_S18_S1A_T6_T7_T9_mT8_S1C_bDpT10_ENKUlT_T0_E_clISt17integral_constantIbLb0EES1O_IbLb1EEEEDaS1K_S1L_EUlS1K_E_NS1_11comp_targetILNS1_3genE8ELNS1_11target_archE1030ELNS1_3gpuE2ELNS1_3repE0EEENS1_30default_config_static_selectorELNS0_4arch9wavefront6targetE1EEEvSY_,"axG",@progbits,_ZN7rocprim17ROCPRIM_400000_NS6detail17trampoline_kernelINS0_13select_configILj256ELj13ELNS0_17block_load_methodE3ELS4_3ELS4_3ELNS0_20block_scan_algorithmE0ELj4294967295EEENS1_25partition_config_selectorILNS1_17partition_subalgoE3EjNS0_10empty_typeEbEEZZNS1_14partition_implILS8_3ELb0ES6_jNS0_17counting_iteratorIjlEEPS9_SE_NS0_5tupleIJPjSE_EEENSF_IJSE_SE_EEES9_SG_JZNS1_25segmented_radix_sort_implINS0_14default_configELb1EPKsPsPKlPlN2at6native12_GLOBAL__N_18offset_tEEE10hipError_tPvRmT1_PNSt15iterator_traitsISY_E10value_typeET2_T3_PNSZ_IS14_E10value_typeET4_jRbjT5_S1A_jjP12ihipStream_tbEUljE_EEESV_SW_SX_S14_S18_S1A_T6_T7_T9_mT8_S1C_bDpT10_ENKUlT_T0_E_clISt17integral_constantIbLb0EES1O_IbLb1EEEEDaS1K_S1L_EUlS1K_E_NS1_11comp_targetILNS1_3genE8ELNS1_11target_archE1030ELNS1_3gpuE2ELNS1_3repE0EEENS1_30default_config_static_selectorELNS0_4arch9wavefront6targetE1EEEvSY_,comdat
	.globl	_ZN7rocprim17ROCPRIM_400000_NS6detail17trampoline_kernelINS0_13select_configILj256ELj13ELNS0_17block_load_methodE3ELS4_3ELS4_3ELNS0_20block_scan_algorithmE0ELj4294967295EEENS1_25partition_config_selectorILNS1_17partition_subalgoE3EjNS0_10empty_typeEbEEZZNS1_14partition_implILS8_3ELb0ES6_jNS0_17counting_iteratorIjlEEPS9_SE_NS0_5tupleIJPjSE_EEENSF_IJSE_SE_EEES9_SG_JZNS1_25segmented_radix_sort_implINS0_14default_configELb1EPKsPsPKlPlN2at6native12_GLOBAL__N_18offset_tEEE10hipError_tPvRmT1_PNSt15iterator_traitsISY_E10value_typeET2_T3_PNSZ_IS14_E10value_typeET4_jRbjT5_S1A_jjP12ihipStream_tbEUljE_EEESV_SW_SX_S14_S18_S1A_T6_T7_T9_mT8_S1C_bDpT10_ENKUlT_T0_E_clISt17integral_constantIbLb0EES1O_IbLb1EEEEDaS1K_S1L_EUlS1K_E_NS1_11comp_targetILNS1_3genE8ELNS1_11target_archE1030ELNS1_3gpuE2ELNS1_3repE0EEENS1_30default_config_static_selectorELNS0_4arch9wavefront6targetE1EEEvSY_ ; -- Begin function _ZN7rocprim17ROCPRIM_400000_NS6detail17trampoline_kernelINS0_13select_configILj256ELj13ELNS0_17block_load_methodE3ELS4_3ELS4_3ELNS0_20block_scan_algorithmE0ELj4294967295EEENS1_25partition_config_selectorILNS1_17partition_subalgoE3EjNS0_10empty_typeEbEEZZNS1_14partition_implILS8_3ELb0ES6_jNS0_17counting_iteratorIjlEEPS9_SE_NS0_5tupleIJPjSE_EEENSF_IJSE_SE_EEES9_SG_JZNS1_25segmented_radix_sort_implINS0_14default_configELb1EPKsPsPKlPlN2at6native12_GLOBAL__N_18offset_tEEE10hipError_tPvRmT1_PNSt15iterator_traitsISY_E10value_typeET2_T3_PNSZ_IS14_E10value_typeET4_jRbjT5_S1A_jjP12ihipStream_tbEUljE_EEESV_SW_SX_S14_S18_S1A_T6_T7_T9_mT8_S1C_bDpT10_ENKUlT_T0_E_clISt17integral_constantIbLb0EES1O_IbLb1EEEEDaS1K_S1L_EUlS1K_E_NS1_11comp_targetILNS1_3genE8ELNS1_11target_archE1030ELNS1_3gpuE2ELNS1_3repE0EEENS1_30default_config_static_selectorELNS0_4arch9wavefront6targetE1EEEvSY_
	.p2align	8
	.type	_ZN7rocprim17ROCPRIM_400000_NS6detail17trampoline_kernelINS0_13select_configILj256ELj13ELNS0_17block_load_methodE3ELS4_3ELS4_3ELNS0_20block_scan_algorithmE0ELj4294967295EEENS1_25partition_config_selectorILNS1_17partition_subalgoE3EjNS0_10empty_typeEbEEZZNS1_14partition_implILS8_3ELb0ES6_jNS0_17counting_iteratorIjlEEPS9_SE_NS0_5tupleIJPjSE_EEENSF_IJSE_SE_EEES9_SG_JZNS1_25segmented_radix_sort_implINS0_14default_configELb1EPKsPsPKlPlN2at6native12_GLOBAL__N_18offset_tEEE10hipError_tPvRmT1_PNSt15iterator_traitsISY_E10value_typeET2_T3_PNSZ_IS14_E10value_typeET4_jRbjT5_S1A_jjP12ihipStream_tbEUljE_EEESV_SW_SX_S14_S18_S1A_T6_T7_T9_mT8_S1C_bDpT10_ENKUlT_T0_E_clISt17integral_constantIbLb0EES1O_IbLb1EEEEDaS1K_S1L_EUlS1K_E_NS1_11comp_targetILNS1_3genE8ELNS1_11target_archE1030ELNS1_3gpuE2ELNS1_3repE0EEENS1_30default_config_static_selectorELNS0_4arch9wavefront6targetE1EEEvSY_,@function
_ZN7rocprim17ROCPRIM_400000_NS6detail17trampoline_kernelINS0_13select_configILj256ELj13ELNS0_17block_load_methodE3ELS4_3ELS4_3ELNS0_20block_scan_algorithmE0ELj4294967295EEENS1_25partition_config_selectorILNS1_17partition_subalgoE3EjNS0_10empty_typeEbEEZZNS1_14partition_implILS8_3ELb0ES6_jNS0_17counting_iteratorIjlEEPS9_SE_NS0_5tupleIJPjSE_EEENSF_IJSE_SE_EEES9_SG_JZNS1_25segmented_radix_sort_implINS0_14default_configELb1EPKsPsPKlPlN2at6native12_GLOBAL__N_18offset_tEEE10hipError_tPvRmT1_PNSt15iterator_traitsISY_E10value_typeET2_T3_PNSZ_IS14_E10value_typeET4_jRbjT5_S1A_jjP12ihipStream_tbEUljE_EEESV_SW_SX_S14_S18_S1A_T6_T7_T9_mT8_S1C_bDpT10_ENKUlT_T0_E_clISt17integral_constantIbLb0EES1O_IbLb1EEEEDaS1K_S1L_EUlS1K_E_NS1_11comp_targetILNS1_3genE8ELNS1_11target_archE1030ELNS1_3gpuE2ELNS1_3repE0EEENS1_30default_config_static_selectorELNS0_4arch9wavefront6targetE1EEEvSY_: ; @_ZN7rocprim17ROCPRIM_400000_NS6detail17trampoline_kernelINS0_13select_configILj256ELj13ELNS0_17block_load_methodE3ELS4_3ELS4_3ELNS0_20block_scan_algorithmE0ELj4294967295EEENS1_25partition_config_selectorILNS1_17partition_subalgoE3EjNS0_10empty_typeEbEEZZNS1_14partition_implILS8_3ELb0ES6_jNS0_17counting_iteratorIjlEEPS9_SE_NS0_5tupleIJPjSE_EEENSF_IJSE_SE_EEES9_SG_JZNS1_25segmented_radix_sort_implINS0_14default_configELb1EPKsPsPKlPlN2at6native12_GLOBAL__N_18offset_tEEE10hipError_tPvRmT1_PNSt15iterator_traitsISY_E10value_typeET2_T3_PNSZ_IS14_E10value_typeET4_jRbjT5_S1A_jjP12ihipStream_tbEUljE_EEESV_SW_SX_S14_S18_S1A_T6_T7_T9_mT8_S1C_bDpT10_ENKUlT_T0_E_clISt17integral_constantIbLb0EES1O_IbLb1EEEEDaS1K_S1L_EUlS1K_E_NS1_11comp_targetILNS1_3genE8ELNS1_11target_archE1030ELNS1_3gpuE2ELNS1_3repE0EEENS1_30default_config_static_selectorELNS0_4arch9wavefront6targetE1EEEvSY_
; %bb.0:
	.section	.rodata,"a",@progbits
	.p2align	6, 0x0
	.amdhsa_kernel _ZN7rocprim17ROCPRIM_400000_NS6detail17trampoline_kernelINS0_13select_configILj256ELj13ELNS0_17block_load_methodE3ELS4_3ELS4_3ELNS0_20block_scan_algorithmE0ELj4294967295EEENS1_25partition_config_selectorILNS1_17partition_subalgoE3EjNS0_10empty_typeEbEEZZNS1_14partition_implILS8_3ELb0ES6_jNS0_17counting_iteratorIjlEEPS9_SE_NS0_5tupleIJPjSE_EEENSF_IJSE_SE_EEES9_SG_JZNS1_25segmented_radix_sort_implINS0_14default_configELb1EPKsPsPKlPlN2at6native12_GLOBAL__N_18offset_tEEE10hipError_tPvRmT1_PNSt15iterator_traitsISY_E10value_typeET2_T3_PNSZ_IS14_E10value_typeET4_jRbjT5_S1A_jjP12ihipStream_tbEUljE_EEESV_SW_SX_S14_S18_S1A_T6_T7_T9_mT8_S1C_bDpT10_ENKUlT_T0_E_clISt17integral_constantIbLb0EES1O_IbLb1EEEEDaS1K_S1L_EUlS1K_E_NS1_11comp_targetILNS1_3genE8ELNS1_11target_archE1030ELNS1_3gpuE2ELNS1_3repE0EEENS1_30default_config_static_selectorELNS0_4arch9wavefront6targetE1EEEvSY_
		.amdhsa_group_segment_fixed_size 0
		.amdhsa_private_segment_fixed_size 0
		.amdhsa_kernarg_size 152
		.amdhsa_user_sgpr_count 6
		.amdhsa_user_sgpr_private_segment_buffer 1
		.amdhsa_user_sgpr_dispatch_ptr 0
		.amdhsa_user_sgpr_queue_ptr 0
		.amdhsa_user_sgpr_kernarg_segment_ptr 1
		.amdhsa_user_sgpr_dispatch_id 0
		.amdhsa_user_sgpr_flat_scratch_init 0
		.amdhsa_user_sgpr_kernarg_preload_length 0
		.amdhsa_user_sgpr_kernarg_preload_offset 0
		.amdhsa_user_sgpr_private_segment_size 0
		.amdhsa_uses_dynamic_stack 0
		.amdhsa_system_sgpr_private_segment_wavefront_offset 0
		.amdhsa_system_sgpr_workgroup_id_x 1
		.amdhsa_system_sgpr_workgroup_id_y 0
		.amdhsa_system_sgpr_workgroup_id_z 0
		.amdhsa_system_sgpr_workgroup_info 0
		.amdhsa_system_vgpr_workitem_id 0
		.amdhsa_next_free_vgpr 1
		.amdhsa_next_free_sgpr 0
		.amdhsa_accum_offset 4
		.amdhsa_reserve_vcc 0
		.amdhsa_reserve_flat_scratch 0
		.amdhsa_float_round_mode_32 0
		.amdhsa_float_round_mode_16_64 0
		.amdhsa_float_denorm_mode_32 3
		.amdhsa_float_denorm_mode_16_64 3
		.amdhsa_dx10_clamp 1
		.amdhsa_ieee_mode 1
		.amdhsa_fp16_overflow 0
		.amdhsa_tg_split 0
		.amdhsa_exception_fp_ieee_invalid_op 0
		.amdhsa_exception_fp_denorm_src 0
		.amdhsa_exception_fp_ieee_div_zero 0
		.amdhsa_exception_fp_ieee_overflow 0
		.amdhsa_exception_fp_ieee_underflow 0
		.amdhsa_exception_fp_ieee_inexact 0
		.amdhsa_exception_int_div_zero 0
	.end_amdhsa_kernel
	.section	.text._ZN7rocprim17ROCPRIM_400000_NS6detail17trampoline_kernelINS0_13select_configILj256ELj13ELNS0_17block_load_methodE3ELS4_3ELS4_3ELNS0_20block_scan_algorithmE0ELj4294967295EEENS1_25partition_config_selectorILNS1_17partition_subalgoE3EjNS0_10empty_typeEbEEZZNS1_14partition_implILS8_3ELb0ES6_jNS0_17counting_iteratorIjlEEPS9_SE_NS0_5tupleIJPjSE_EEENSF_IJSE_SE_EEES9_SG_JZNS1_25segmented_radix_sort_implINS0_14default_configELb1EPKsPsPKlPlN2at6native12_GLOBAL__N_18offset_tEEE10hipError_tPvRmT1_PNSt15iterator_traitsISY_E10value_typeET2_T3_PNSZ_IS14_E10value_typeET4_jRbjT5_S1A_jjP12ihipStream_tbEUljE_EEESV_SW_SX_S14_S18_S1A_T6_T7_T9_mT8_S1C_bDpT10_ENKUlT_T0_E_clISt17integral_constantIbLb0EES1O_IbLb1EEEEDaS1K_S1L_EUlS1K_E_NS1_11comp_targetILNS1_3genE8ELNS1_11target_archE1030ELNS1_3gpuE2ELNS1_3repE0EEENS1_30default_config_static_selectorELNS0_4arch9wavefront6targetE1EEEvSY_,"axG",@progbits,_ZN7rocprim17ROCPRIM_400000_NS6detail17trampoline_kernelINS0_13select_configILj256ELj13ELNS0_17block_load_methodE3ELS4_3ELS4_3ELNS0_20block_scan_algorithmE0ELj4294967295EEENS1_25partition_config_selectorILNS1_17partition_subalgoE3EjNS0_10empty_typeEbEEZZNS1_14partition_implILS8_3ELb0ES6_jNS0_17counting_iteratorIjlEEPS9_SE_NS0_5tupleIJPjSE_EEENSF_IJSE_SE_EEES9_SG_JZNS1_25segmented_radix_sort_implINS0_14default_configELb1EPKsPsPKlPlN2at6native12_GLOBAL__N_18offset_tEEE10hipError_tPvRmT1_PNSt15iterator_traitsISY_E10value_typeET2_T3_PNSZ_IS14_E10value_typeET4_jRbjT5_S1A_jjP12ihipStream_tbEUljE_EEESV_SW_SX_S14_S18_S1A_T6_T7_T9_mT8_S1C_bDpT10_ENKUlT_T0_E_clISt17integral_constantIbLb0EES1O_IbLb1EEEEDaS1K_S1L_EUlS1K_E_NS1_11comp_targetILNS1_3genE8ELNS1_11target_archE1030ELNS1_3gpuE2ELNS1_3repE0EEENS1_30default_config_static_selectorELNS0_4arch9wavefront6targetE1EEEvSY_,comdat
.Lfunc_end910:
	.size	_ZN7rocprim17ROCPRIM_400000_NS6detail17trampoline_kernelINS0_13select_configILj256ELj13ELNS0_17block_load_methodE3ELS4_3ELS4_3ELNS0_20block_scan_algorithmE0ELj4294967295EEENS1_25partition_config_selectorILNS1_17partition_subalgoE3EjNS0_10empty_typeEbEEZZNS1_14partition_implILS8_3ELb0ES6_jNS0_17counting_iteratorIjlEEPS9_SE_NS0_5tupleIJPjSE_EEENSF_IJSE_SE_EEES9_SG_JZNS1_25segmented_radix_sort_implINS0_14default_configELb1EPKsPsPKlPlN2at6native12_GLOBAL__N_18offset_tEEE10hipError_tPvRmT1_PNSt15iterator_traitsISY_E10value_typeET2_T3_PNSZ_IS14_E10value_typeET4_jRbjT5_S1A_jjP12ihipStream_tbEUljE_EEESV_SW_SX_S14_S18_S1A_T6_T7_T9_mT8_S1C_bDpT10_ENKUlT_T0_E_clISt17integral_constantIbLb0EES1O_IbLb1EEEEDaS1K_S1L_EUlS1K_E_NS1_11comp_targetILNS1_3genE8ELNS1_11target_archE1030ELNS1_3gpuE2ELNS1_3repE0EEENS1_30default_config_static_selectorELNS0_4arch9wavefront6targetE1EEEvSY_, .Lfunc_end910-_ZN7rocprim17ROCPRIM_400000_NS6detail17trampoline_kernelINS0_13select_configILj256ELj13ELNS0_17block_load_methodE3ELS4_3ELS4_3ELNS0_20block_scan_algorithmE0ELj4294967295EEENS1_25partition_config_selectorILNS1_17partition_subalgoE3EjNS0_10empty_typeEbEEZZNS1_14partition_implILS8_3ELb0ES6_jNS0_17counting_iteratorIjlEEPS9_SE_NS0_5tupleIJPjSE_EEENSF_IJSE_SE_EEES9_SG_JZNS1_25segmented_radix_sort_implINS0_14default_configELb1EPKsPsPKlPlN2at6native12_GLOBAL__N_18offset_tEEE10hipError_tPvRmT1_PNSt15iterator_traitsISY_E10value_typeET2_T3_PNSZ_IS14_E10value_typeET4_jRbjT5_S1A_jjP12ihipStream_tbEUljE_EEESV_SW_SX_S14_S18_S1A_T6_T7_T9_mT8_S1C_bDpT10_ENKUlT_T0_E_clISt17integral_constantIbLb0EES1O_IbLb1EEEEDaS1K_S1L_EUlS1K_E_NS1_11comp_targetILNS1_3genE8ELNS1_11target_archE1030ELNS1_3gpuE2ELNS1_3repE0EEENS1_30default_config_static_selectorELNS0_4arch9wavefront6targetE1EEEvSY_
                                        ; -- End function
	.section	.AMDGPU.csdata,"",@progbits
; Kernel info:
; codeLenInByte = 0
; NumSgprs: 4
; NumVgprs: 0
; NumAgprs: 0
; TotalNumVgprs: 0
; ScratchSize: 0
; MemoryBound: 0
; FloatMode: 240
; IeeeMode: 1
; LDSByteSize: 0 bytes/workgroup (compile time only)
; SGPRBlocks: 0
; VGPRBlocks: 0
; NumSGPRsForWavesPerEU: 4
; NumVGPRsForWavesPerEU: 1
; AccumOffset: 4
; Occupancy: 8
; WaveLimiterHint : 0
; COMPUTE_PGM_RSRC2:SCRATCH_EN: 0
; COMPUTE_PGM_RSRC2:USER_SGPR: 6
; COMPUTE_PGM_RSRC2:TRAP_HANDLER: 0
; COMPUTE_PGM_RSRC2:TGID_X_EN: 1
; COMPUTE_PGM_RSRC2:TGID_Y_EN: 0
; COMPUTE_PGM_RSRC2:TGID_Z_EN: 0
; COMPUTE_PGM_RSRC2:TIDIG_COMP_CNT: 0
; COMPUTE_PGM_RSRC3_GFX90A:ACCUM_OFFSET: 0
; COMPUTE_PGM_RSRC3_GFX90A:TG_SPLIT: 0
	.section	.text._ZN7rocprim17ROCPRIM_400000_NS6detail17trampoline_kernelINS0_14default_configENS1_36segmented_radix_sort_config_selectorIslEEZNS1_25segmented_radix_sort_implIS3_Lb1EPKsPsPKlPlN2at6native12_GLOBAL__N_18offset_tEEE10hipError_tPvRmT1_PNSt15iterator_traitsISK_E10value_typeET2_T3_PNSL_ISQ_E10value_typeET4_jRbjT5_SW_jjP12ihipStream_tbEUlT_E_NS1_11comp_targetILNS1_3genE0ELNS1_11target_archE4294967295ELNS1_3gpuE0ELNS1_3repE0EEENS1_30default_config_static_selectorELNS0_4arch9wavefront6targetE1EEEvSK_,"axG",@progbits,_ZN7rocprim17ROCPRIM_400000_NS6detail17trampoline_kernelINS0_14default_configENS1_36segmented_radix_sort_config_selectorIslEEZNS1_25segmented_radix_sort_implIS3_Lb1EPKsPsPKlPlN2at6native12_GLOBAL__N_18offset_tEEE10hipError_tPvRmT1_PNSt15iterator_traitsISK_E10value_typeET2_T3_PNSL_ISQ_E10value_typeET4_jRbjT5_SW_jjP12ihipStream_tbEUlT_E_NS1_11comp_targetILNS1_3genE0ELNS1_11target_archE4294967295ELNS1_3gpuE0ELNS1_3repE0EEENS1_30default_config_static_selectorELNS0_4arch9wavefront6targetE1EEEvSK_,comdat
	.globl	_ZN7rocprim17ROCPRIM_400000_NS6detail17trampoline_kernelINS0_14default_configENS1_36segmented_radix_sort_config_selectorIslEEZNS1_25segmented_radix_sort_implIS3_Lb1EPKsPsPKlPlN2at6native12_GLOBAL__N_18offset_tEEE10hipError_tPvRmT1_PNSt15iterator_traitsISK_E10value_typeET2_T3_PNSL_ISQ_E10value_typeET4_jRbjT5_SW_jjP12ihipStream_tbEUlT_E_NS1_11comp_targetILNS1_3genE0ELNS1_11target_archE4294967295ELNS1_3gpuE0ELNS1_3repE0EEENS1_30default_config_static_selectorELNS0_4arch9wavefront6targetE1EEEvSK_ ; -- Begin function _ZN7rocprim17ROCPRIM_400000_NS6detail17trampoline_kernelINS0_14default_configENS1_36segmented_radix_sort_config_selectorIslEEZNS1_25segmented_radix_sort_implIS3_Lb1EPKsPsPKlPlN2at6native12_GLOBAL__N_18offset_tEEE10hipError_tPvRmT1_PNSt15iterator_traitsISK_E10value_typeET2_T3_PNSL_ISQ_E10value_typeET4_jRbjT5_SW_jjP12ihipStream_tbEUlT_E_NS1_11comp_targetILNS1_3genE0ELNS1_11target_archE4294967295ELNS1_3gpuE0ELNS1_3repE0EEENS1_30default_config_static_selectorELNS0_4arch9wavefront6targetE1EEEvSK_
	.p2align	8
	.type	_ZN7rocprim17ROCPRIM_400000_NS6detail17trampoline_kernelINS0_14default_configENS1_36segmented_radix_sort_config_selectorIslEEZNS1_25segmented_radix_sort_implIS3_Lb1EPKsPsPKlPlN2at6native12_GLOBAL__N_18offset_tEEE10hipError_tPvRmT1_PNSt15iterator_traitsISK_E10value_typeET2_T3_PNSL_ISQ_E10value_typeET4_jRbjT5_SW_jjP12ihipStream_tbEUlT_E_NS1_11comp_targetILNS1_3genE0ELNS1_11target_archE4294967295ELNS1_3gpuE0ELNS1_3repE0EEENS1_30default_config_static_selectorELNS0_4arch9wavefront6targetE1EEEvSK_,@function
_ZN7rocprim17ROCPRIM_400000_NS6detail17trampoline_kernelINS0_14default_configENS1_36segmented_radix_sort_config_selectorIslEEZNS1_25segmented_radix_sort_implIS3_Lb1EPKsPsPKlPlN2at6native12_GLOBAL__N_18offset_tEEE10hipError_tPvRmT1_PNSt15iterator_traitsISK_E10value_typeET2_T3_PNSL_ISQ_E10value_typeET4_jRbjT5_SW_jjP12ihipStream_tbEUlT_E_NS1_11comp_targetILNS1_3genE0ELNS1_11target_archE4294967295ELNS1_3gpuE0ELNS1_3repE0EEENS1_30default_config_static_selectorELNS0_4arch9wavefront6targetE1EEEvSK_: ; @_ZN7rocprim17ROCPRIM_400000_NS6detail17trampoline_kernelINS0_14default_configENS1_36segmented_radix_sort_config_selectorIslEEZNS1_25segmented_radix_sort_implIS3_Lb1EPKsPsPKlPlN2at6native12_GLOBAL__N_18offset_tEEE10hipError_tPvRmT1_PNSt15iterator_traitsISK_E10value_typeET2_T3_PNSL_ISQ_E10value_typeET4_jRbjT5_SW_jjP12ihipStream_tbEUlT_E_NS1_11comp_targetILNS1_3genE0ELNS1_11target_archE4294967295ELNS1_3gpuE0ELNS1_3repE0EEENS1_30default_config_static_selectorELNS0_4arch9wavefront6targetE1EEEvSK_
; %bb.0:
	.section	.rodata,"a",@progbits
	.p2align	6, 0x0
	.amdhsa_kernel _ZN7rocprim17ROCPRIM_400000_NS6detail17trampoline_kernelINS0_14default_configENS1_36segmented_radix_sort_config_selectorIslEEZNS1_25segmented_radix_sort_implIS3_Lb1EPKsPsPKlPlN2at6native12_GLOBAL__N_18offset_tEEE10hipError_tPvRmT1_PNSt15iterator_traitsISK_E10value_typeET2_T3_PNSL_ISQ_E10value_typeET4_jRbjT5_SW_jjP12ihipStream_tbEUlT_E_NS1_11comp_targetILNS1_3genE0ELNS1_11target_archE4294967295ELNS1_3gpuE0ELNS1_3repE0EEENS1_30default_config_static_selectorELNS0_4arch9wavefront6targetE1EEEvSK_
		.amdhsa_group_segment_fixed_size 0
		.amdhsa_private_segment_fixed_size 0
		.amdhsa_kernarg_size 96
		.amdhsa_user_sgpr_count 6
		.amdhsa_user_sgpr_private_segment_buffer 1
		.amdhsa_user_sgpr_dispatch_ptr 0
		.amdhsa_user_sgpr_queue_ptr 0
		.amdhsa_user_sgpr_kernarg_segment_ptr 1
		.amdhsa_user_sgpr_dispatch_id 0
		.amdhsa_user_sgpr_flat_scratch_init 0
		.amdhsa_user_sgpr_kernarg_preload_length 0
		.amdhsa_user_sgpr_kernarg_preload_offset 0
		.amdhsa_user_sgpr_private_segment_size 0
		.amdhsa_uses_dynamic_stack 0
		.amdhsa_system_sgpr_private_segment_wavefront_offset 0
		.amdhsa_system_sgpr_workgroup_id_x 1
		.amdhsa_system_sgpr_workgroup_id_y 0
		.amdhsa_system_sgpr_workgroup_id_z 0
		.amdhsa_system_sgpr_workgroup_info 0
		.amdhsa_system_vgpr_workitem_id 0
		.amdhsa_next_free_vgpr 1
		.amdhsa_next_free_sgpr 0
		.amdhsa_accum_offset 4
		.amdhsa_reserve_vcc 0
		.amdhsa_reserve_flat_scratch 0
		.amdhsa_float_round_mode_32 0
		.amdhsa_float_round_mode_16_64 0
		.amdhsa_float_denorm_mode_32 3
		.amdhsa_float_denorm_mode_16_64 3
		.amdhsa_dx10_clamp 1
		.amdhsa_ieee_mode 1
		.amdhsa_fp16_overflow 0
		.amdhsa_tg_split 0
		.amdhsa_exception_fp_ieee_invalid_op 0
		.amdhsa_exception_fp_denorm_src 0
		.amdhsa_exception_fp_ieee_div_zero 0
		.amdhsa_exception_fp_ieee_overflow 0
		.amdhsa_exception_fp_ieee_underflow 0
		.amdhsa_exception_fp_ieee_inexact 0
		.amdhsa_exception_int_div_zero 0
	.end_amdhsa_kernel
	.section	.text._ZN7rocprim17ROCPRIM_400000_NS6detail17trampoline_kernelINS0_14default_configENS1_36segmented_radix_sort_config_selectorIslEEZNS1_25segmented_radix_sort_implIS3_Lb1EPKsPsPKlPlN2at6native12_GLOBAL__N_18offset_tEEE10hipError_tPvRmT1_PNSt15iterator_traitsISK_E10value_typeET2_T3_PNSL_ISQ_E10value_typeET4_jRbjT5_SW_jjP12ihipStream_tbEUlT_E_NS1_11comp_targetILNS1_3genE0ELNS1_11target_archE4294967295ELNS1_3gpuE0ELNS1_3repE0EEENS1_30default_config_static_selectorELNS0_4arch9wavefront6targetE1EEEvSK_,"axG",@progbits,_ZN7rocprim17ROCPRIM_400000_NS6detail17trampoline_kernelINS0_14default_configENS1_36segmented_radix_sort_config_selectorIslEEZNS1_25segmented_radix_sort_implIS3_Lb1EPKsPsPKlPlN2at6native12_GLOBAL__N_18offset_tEEE10hipError_tPvRmT1_PNSt15iterator_traitsISK_E10value_typeET2_T3_PNSL_ISQ_E10value_typeET4_jRbjT5_SW_jjP12ihipStream_tbEUlT_E_NS1_11comp_targetILNS1_3genE0ELNS1_11target_archE4294967295ELNS1_3gpuE0ELNS1_3repE0EEENS1_30default_config_static_selectorELNS0_4arch9wavefront6targetE1EEEvSK_,comdat
.Lfunc_end911:
	.size	_ZN7rocprim17ROCPRIM_400000_NS6detail17trampoline_kernelINS0_14default_configENS1_36segmented_radix_sort_config_selectorIslEEZNS1_25segmented_radix_sort_implIS3_Lb1EPKsPsPKlPlN2at6native12_GLOBAL__N_18offset_tEEE10hipError_tPvRmT1_PNSt15iterator_traitsISK_E10value_typeET2_T3_PNSL_ISQ_E10value_typeET4_jRbjT5_SW_jjP12ihipStream_tbEUlT_E_NS1_11comp_targetILNS1_3genE0ELNS1_11target_archE4294967295ELNS1_3gpuE0ELNS1_3repE0EEENS1_30default_config_static_selectorELNS0_4arch9wavefront6targetE1EEEvSK_, .Lfunc_end911-_ZN7rocprim17ROCPRIM_400000_NS6detail17trampoline_kernelINS0_14default_configENS1_36segmented_radix_sort_config_selectorIslEEZNS1_25segmented_radix_sort_implIS3_Lb1EPKsPsPKlPlN2at6native12_GLOBAL__N_18offset_tEEE10hipError_tPvRmT1_PNSt15iterator_traitsISK_E10value_typeET2_T3_PNSL_ISQ_E10value_typeET4_jRbjT5_SW_jjP12ihipStream_tbEUlT_E_NS1_11comp_targetILNS1_3genE0ELNS1_11target_archE4294967295ELNS1_3gpuE0ELNS1_3repE0EEENS1_30default_config_static_selectorELNS0_4arch9wavefront6targetE1EEEvSK_
                                        ; -- End function
	.section	.AMDGPU.csdata,"",@progbits
; Kernel info:
; codeLenInByte = 0
; NumSgprs: 4
; NumVgprs: 0
; NumAgprs: 0
; TotalNumVgprs: 0
; ScratchSize: 0
; MemoryBound: 0
; FloatMode: 240
; IeeeMode: 1
; LDSByteSize: 0 bytes/workgroup (compile time only)
; SGPRBlocks: 0
; VGPRBlocks: 0
; NumSGPRsForWavesPerEU: 4
; NumVGPRsForWavesPerEU: 1
; AccumOffset: 4
; Occupancy: 8
; WaveLimiterHint : 0
; COMPUTE_PGM_RSRC2:SCRATCH_EN: 0
; COMPUTE_PGM_RSRC2:USER_SGPR: 6
; COMPUTE_PGM_RSRC2:TRAP_HANDLER: 0
; COMPUTE_PGM_RSRC2:TGID_X_EN: 1
; COMPUTE_PGM_RSRC2:TGID_Y_EN: 0
; COMPUTE_PGM_RSRC2:TGID_Z_EN: 0
; COMPUTE_PGM_RSRC2:TIDIG_COMP_CNT: 0
; COMPUTE_PGM_RSRC3_GFX90A:ACCUM_OFFSET: 0
; COMPUTE_PGM_RSRC3_GFX90A:TG_SPLIT: 0
	.section	.text._ZN7rocprim17ROCPRIM_400000_NS6detail17trampoline_kernelINS0_14default_configENS1_36segmented_radix_sort_config_selectorIslEEZNS1_25segmented_radix_sort_implIS3_Lb1EPKsPsPKlPlN2at6native12_GLOBAL__N_18offset_tEEE10hipError_tPvRmT1_PNSt15iterator_traitsISK_E10value_typeET2_T3_PNSL_ISQ_E10value_typeET4_jRbjT5_SW_jjP12ihipStream_tbEUlT_E_NS1_11comp_targetILNS1_3genE5ELNS1_11target_archE942ELNS1_3gpuE9ELNS1_3repE0EEENS1_30default_config_static_selectorELNS0_4arch9wavefront6targetE1EEEvSK_,"axG",@progbits,_ZN7rocprim17ROCPRIM_400000_NS6detail17trampoline_kernelINS0_14default_configENS1_36segmented_radix_sort_config_selectorIslEEZNS1_25segmented_radix_sort_implIS3_Lb1EPKsPsPKlPlN2at6native12_GLOBAL__N_18offset_tEEE10hipError_tPvRmT1_PNSt15iterator_traitsISK_E10value_typeET2_T3_PNSL_ISQ_E10value_typeET4_jRbjT5_SW_jjP12ihipStream_tbEUlT_E_NS1_11comp_targetILNS1_3genE5ELNS1_11target_archE942ELNS1_3gpuE9ELNS1_3repE0EEENS1_30default_config_static_selectorELNS0_4arch9wavefront6targetE1EEEvSK_,comdat
	.globl	_ZN7rocprim17ROCPRIM_400000_NS6detail17trampoline_kernelINS0_14default_configENS1_36segmented_radix_sort_config_selectorIslEEZNS1_25segmented_radix_sort_implIS3_Lb1EPKsPsPKlPlN2at6native12_GLOBAL__N_18offset_tEEE10hipError_tPvRmT1_PNSt15iterator_traitsISK_E10value_typeET2_T3_PNSL_ISQ_E10value_typeET4_jRbjT5_SW_jjP12ihipStream_tbEUlT_E_NS1_11comp_targetILNS1_3genE5ELNS1_11target_archE942ELNS1_3gpuE9ELNS1_3repE0EEENS1_30default_config_static_selectorELNS0_4arch9wavefront6targetE1EEEvSK_ ; -- Begin function _ZN7rocprim17ROCPRIM_400000_NS6detail17trampoline_kernelINS0_14default_configENS1_36segmented_radix_sort_config_selectorIslEEZNS1_25segmented_radix_sort_implIS3_Lb1EPKsPsPKlPlN2at6native12_GLOBAL__N_18offset_tEEE10hipError_tPvRmT1_PNSt15iterator_traitsISK_E10value_typeET2_T3_PNSL_ISQ_E10value_typeET4_jRbjT5_SW_jjP12ihipStream_tbEUlT_E_NS1_11comp_targetILNS1_3genE5ELNS1_11target_archE942ELNS1_3gpuE9ELNS1_3repE0EEENS1_30default_config_static_selectorELNS0_4arch9wavefront6targetE1EEEvSK_
	.p2align	8
	.type	_ZN7rocprim17ROCPRIM_400000_NS6detail17trampoline_kernelINS0_14default_configENS1_36segmented_radix_sort_config_selectorIslEEZNS1_25segmented_radix_sort_implIS3_Lb1EPKsPsPKlPlN2at6native12_GLOBAL__N_18offset_tEEE10hipError_tPvRmT1_PNSt15iterator_traitsISK_E10value_typeET2_T3_PNSL_ISQ_E10value_typeET4_jRbjT5_SW_jjP12ihipStream_tbEUlT_E_NS1_11comp_targetILNS1_3genE5ELNS1_11target_archE942ELNS1_3gpuE9ELNS1_3repE0EEENS1_30default_config_static_selectorELNS0_4arch9wavefront6targetE1EEEvSK_,@function
_ZN7rocprim17ROCPRIM_400000_NS6detail17trampoline_kernelINS0_14default_configENS1_36segmented_radix_sort_config_selectorIslEEZNS1_25segmented_radix_sort_implIS3_Lb1EPKsPsPKlPlN2at6native12_GLOBAL__N_18offset_tEEE10hipError_tPvRmT1_PNSt15iterator_traitsISK_E10value_typeET2_T3_PNSL_ISQ_E10value_typeET4_jRbjT5_SW_jjP12ihipStream_tbEUlT_E_NS1_11comp_targetILNS1_3genE5ELNS1_11target_archE942ELNS1_3gpuE9ELNS1_3repE0EEENS1_30default_config_static_selectorELNS0_4arch9wavefront6targetE1EEEvSK_: ; @_ZN7rocprim17ROCPRIM_400000_NS6detail17trampoline_kernelINS0_14default_configENS1_36segmented_radix_sort_config_selectorIslEEZNS1_25segmented_radix_sort_implIS3_Lb1EPKsPsPKlPlN2at6native12_GLOBAL__N_18offset_tEEE10hipError_tPvRmT1_PNSt15iterator_traitsISK_E10value_typeET2_T3_PNSL_ISQ_E10value_typeET4_jRbjT5_SW_jjP12ihipStream_tbEUlT_E_NS1_11comp_targetILNS1_3genE5ELNS1_11target_archE942ELNS1_3gpuE9ELNS1_3repE0EEENS1_30default_config_static_selectorELNS0_4arch9wavefront6targetE1EEEvSK_
; %bb.0:
	.section	.rodata,"a",@progbits
	.p2align	6, 0x0
	.amdhsa_kernel _ZN7rocprim17ROCPRIM_400000_NS6detail17trampoline_kernelINS0_14default_configENS1_36segmented_radix_sort_config_selectorIslEEZNS1_25segmented_radix_sort_implIS3_Lb1EPKsPsPKlPlN2at6native12_GLOBAL__N_18offset_tEEE10hipError_tPvRmT1_PNSt15iterator_traitsISK_E10value_typeET2_T3_PNSL_ISQ_E10value_typeET4_jRbjT5_SW_jjP12ihipStream_tbEUlT_E_NS1_11comp_targetILNS1_3genE5ELNS1_11target_archE942ELNS1_3gpuE9ELNS1_3repE0EEENS1_30default_config_static_selectorELNS0_4arch9wavefront6targetE1EEEvSK_
		.amdhsa_group_segment_fixed_size 0
		.amdhsa_private_segment_fixed_size 0
		.amdhsa_kernarg_size 96
		.amdhsa_user_sgpr_count 6
		.amdhsa_user_sgpr_private_segment_buffer 1
		.amdhsa_user_sgpr_dispatch_ptr 0
		.amdhsa_user_sgpr_queue_ptr 0
		.amdhsa_user_sgpr_kernarg_segment_ptr 1
		.amdhsa_user_sgpr_dispatch_id 0
		.amdhsa_user_sgpr_flat_scratch_init 0
		.amdhsa_user_sgpr_kernarg_preload_length 0
		.amdhsa_user_sgpr_kernarg_preload_offset 0
		.amdhsa_user_sgpr_private_segment_size 0
		.amdhsa_uses_dynamic_stack 0
		.amdhsa_system_sgpr_private_segment_wavefront_offset 0
		.amdhsa_system_sgpr_workgroup_id_x 1
		.amdhsa_system_sgpr_workgroup_id_y 0
		.amdhsa_system_sgpr_workgroup_id_z 0
		.amdhsa_system_sgpr_workgroup_info 0
		.amdhsa_system_vgpr_workitem_id 0
		.amdhsa_next_free_vgpr 1
		.amdhsa_next_free_sgpr 0
		.amdhsa_accum_offset 4
		.amdhsa_reserve_vcc 0
		.amdhsa_reserve_flat_scratch 0
		.amdhsa_float_round_mode_32 0
		.amdhsa_float_round_mode_16_64 0
		.amdhsa_float_denorm_mode_32 3
		.amdhsa_float_denorm_mode_16_64 3
		.amdhsa_dx10_clamp 1
		.amdhsa_ieee_mode 1
		.amdhsa_fp16_overflow 0
		.amdhsa_tg_split 0
		.amdhsa_exception_fp_ieee_invalid_op 0
		.amdhsa_exception_fp_denorm_src 0
		.amdhsa_exception_fp_ieee_div_zero 0
		.amdhsa_exception_fp_ieee_overflow 0
		.amdhsa_exception_fp_ieee_underflow 0
		.amdhsa_exception_fp_ieee_inexact 0
		.amdhsa_exception_int_div_zero 0
	.end_amdhsa_kernel
	.section	.text._ZN7rocprim17ROCPRIM_400000_NS6detail17trampoline_kernelINS0_14default_configENS1_36segmented_radix_sort_config_selectorIslEEZNS1_25segmented_radix_sort_implIS3_Lb1EPKsPsPKlPlN2at6native12_GLOBAL__N_18offset_tEEE10hipError_tPvRmT1_PNSt15iterator_traitsISK_E10value_typeET2_T3_PNSL_ISQ_E10value_typeET4_jRbjT5_SW_jjP12ihipStream_tbEUlT_E_NS1_11comp_targetILNS1_3genE5ELNS1_11target_archE942ELNS1_3gpuE9ELNS1_3repE0EEENS1_30default_config_static_selectorELNS0_4arch9wavefront6targetE1EEEvSK_,"axG",@progbits,_ZN7rocprim17ROCPRIM_400000_NS6detail17trampoline_kernelINS0_14default_configENS1_36segmented_radix_sort_config_selectorIslEEZNS1_25segmented_radix_sort_implIS3_Lb1EPKsPsPKlPlN2at6native12_GLOBAL__N_18offset_tEEE10hipError_tPvRmT1_PNSt15iterator_traitsISK_E10value_typeET2_T3_PNSL_ISQ_E10value_typeET4_jRbjT5_SW_jjP12ihipStream_tbEUlT_E_NS1_11comp_targetILNS1_3genE5ELNS1_11target_archE942ELNS1_3gpuE9ELNS1_3repE0EEENS1_30default_config_static_selectorELNS0_4arch9wavefront6targetE1EEEvSK_,comdat
.Lfunc_end912:
	.size	_ZN7rocprim17ROCPRIM_400000_NS6detail17trampoline_kernelINS0_14default_configENS1_36segmented_radix_sort_config_selectorIslEEZNS1_25segmented_radix_sort_implIS3_Lb1EPKsPsPKlPlN2at6native12_GLOBAL__N_18offset_tEEE10hipError_tPvRmT1_PNSt15iterator_traitsISK_E10value_typeET2_T3_PNSL_ISQ_E10value_typeET4_jRbjT5_SW_jjP12ihipStream_tbEUlT_E_NS1_11comp_targetILNS1_3genE5ELNS1_11target_archE942ELNS1_3gpuE9ELNS1_3repE0EEENS1_30default_config_static_selectorELNS0_4arch9wavefront6targetE1EEEvSK_, .Lfunc_end912-_ZN7rocprim17ROCPRIM_400000_NS6detail17trampoline_kernelINS0_14default_configENS1_36segmented_radix_sort_config_selectorIslEEZNS1_25segmented_radix_sort_implIS3_Lb1EPKsPsPKlPlN2at6native12_GLOBAL__N_18offset_tEEE10hipError_tPvRmT1_PNSt15iterator_traitsISK_E10value_typeET2_T3_PNSL_ISQ_E10value_typeET4_jRbjT5_SW_jjP12ihipStream_tbEUlT_E_NS1_11comp_targetILNS1_3genE5ELNS1_11target_archE942ELNS1_3gpuE9ELNS1_3repE0EEENS1_30default_config_static_selectorELNS0_4arch9wavefront6targetE1EEEvSK_
                                        ; -- End function
	.section	.AMDGPU.csdata,"",@progbits
; Kernel info:
; codeLenInByte = 0
; NumSgprs: 4
; NumVgprs: 0
; NumAgprs: 0
; TotalNumVgprs: 0
; ScratchSize: 0
; MemoryBound: 0
; FloatMode: 240
; IeeeMode: 1
; LDSByteSize: 0 bytes/workgroup (compile time only)
; SGPRBlocks: 0
; VGPRBlocks: 0
; NumSGPRsForWavesPerEU: 4
; NumVGPRsForWavesPerEU: 1
; AccumOffset: 4
; Occupancy: 8
; WaveLimiterHint : 0
; COMPUTE_PGM_RSRC2:SCRATCH_EN: 0
; COMPUTE_PGM_RSRC2:USER_SGPR: 6
; COMPUTE_PGM_RSRC2:TRAP_HANDLER: 0
; COMPUTE_PGM_RSRC2:TGID_X_EN: 1
; COMPUTE_PGM_RSRC2:TGID_Y_EN: 0
; COMPUTE_PGM_RSRC2:TGID_Z_EN: 0
; COMPUTE_PGM_RSRC2:TIDIG_COMP_CNT: 0
; COMPUTE_PGM_RSRC3_GFX90A:ACCUM_OFFSET: 0
; COMPUTE_PGM_RSRC3_GFX90A:TG_SPLIT: 0
	.text
	.p2align	2                               ; -- Begin function _ZN7rocprim17ROCPRIM_400000_NS6detail40segmented_radix_sort_single_block_helperIslLj256ELj17ELb1EE4sortIPKsPsPKlPlEEbT_T0_T1_T2_jjjjRNS3_12storage_typeE
	.type	_ZN7rocprim17ROCPRIM_400000_NS6detail40segmented_radix_sort_single_block_helperIslLj256ELj17ELb1EE4sortIPKsPsPKlPlEEbT_T0_T1_T2_jjjjRNS3_12storage_typeE,@function
_ZN7rocprim17ROCPRIM_400000_NS6detail40segmented_radix_sort_single_block_helperIslLj256ELj17ELb1EE4sortIPKsPsPKlPlEEbT_T0_T1_T2_jjjjRNS3_12storage_typeE: ; @_ZN7rocprim17ROCPRIM_400000_NS6detail40segmented_radix_sort_single_block_helperIslLj256ELj17ELb1EE4sortIPKsPsPKlPlEEbT_T0_T1_T2_jjjjRNS3_12storage_typeE
; %bb.0:
	s_waitcnt vmcnt(0) expcnt(0) lgkmcnt(0)
	s_or_saveexec_b64 s[4:5], -1
	buffer_store_dword v184, off, s[0:3], s32 offset:176 ; 4-byte Folded Spill
	s_mov_b64 exec, s[4:5]
	v_accvgpr_write_b32 a4, v40             ;  Reload Reuse
	v_accvgpr_write_b32 a5, v41             ;  Reload Reuse
	v_accvgpr_write_b32 a6, v42             ;  Reload Reuse
	v_accvgpr_write_b32 a7, v43             ;  Reload Reuse
	v_accvgpr_write_b32 a8, v44             ;  Reload Reuse
	v_accvgpr_write_b32 a9, v45             ;  Reload Reuse
	v_accvgpr_write_b32 a10, v46            ;  Reload Reuse
	v_accvgpr_write_b32 a11, v47            ;  Reload Reuse
	;; [unrolled: 1-line block ×22, first 2 shown]
	buffer_store_dword v92, off, s[0:3], s32 offset:172 ; 4-byte Folded Spill
	buffer_store_dword v93, off, s[0:3], s32 offset:168 ; 4-byte Folded Spill
	;; [unrolled: 1-line block ×43, first 2 shown]
	buffer_store_dword v175, off, s[0:3], s32 ; 4-byte Folded Spill
	v_writelane_b32 v184, s34, 0
	v_writelane_b32 v184, s35, 1
	v_writelane_b32 v184, s36, 2
	v_writelane_b32 v184, s37, 3
	v_writelane_b32 v184, s38, 4
	v_writelane_b32 v184, s39, 5
	v_writelane_b32 v184, s40, 6
	v_writelane_b32 v184, s41, 7
	v_writelane_b32 v184, s42, 8
	v_writelane_b32 v184, s43, 9
	v_writelane_b32 v184, s44, 10
	v_writelane_b32 v184, s45, 11
	v_writelane_b32 v184, s46, 12
	v_writelane_b32 v184, s47, 13
	v_writelane_b32 v184, s48, 14
	v_writelane_b32 v184, s49, 15
	v_writelane_b32 v184, s30, 16
	v_writelane_b32 v184, s31, 17
	v_sub_u32_e32 v106, v9, v8
	s_movk_i32 s4, 0x1101
	v_cmp_gt_u32_e32 vcc, s4, v106
	s_and_saveexec_b64 s[44:45], vcc
	s_cbranch_execz .LBB913_382
; %bb.1:
	s_movk_i32 s4, 0x800
	v_cmp_lt_u32_e32 vcc, s4, v106
	v_bfe_u32 v14, v31, 10, 10
	v_bfe_u32 v16, v31, 20, 10
	v_mbcnt_lo_u32_b32 v15, -1, 0
	s_and_saveexec_b64 s[4:5], vcc
	s_xor_b64 s[46:47], exec, s[4:5]
	s_cbranch_execz .LBB913_151
; %bb.2:
	s_load_dwordx2 s[4:5], s[8:9], 0x0
	v_mov_b32_e32 v9, 0
	v_mbcnt_hi_u32_b32 v24, -1, v15
	v_lshlrev_b64 v[20:21], 1, v[8:9]
	v_and_b32_e32 v25, 63, v24
	s_waitcnt lgkmcnt(0)
	s_cmp_lt_u32 s12, s4
	s_cselect_b32 s6, 12, 18
	s_cmp_lt_u32 s13, s5
	s_cselect_b32 s4, 14, 20
	s_add_u32 s4, s8, s4
	s_addc_u32 s5, s9, 0
	s_add_u32 s6, s8, s6
	global_load_ushort v17, v9, s[4:5]
	s_addc_u32 s7, s9, 0
	global_load_ushort v18, v9, s[6:7]
	v_add_co_u32_e32 v0, vcc, v0, v20
	v_addc_co_u32_e32 v1, vcc, v1, v21, vcc
	v_lshlrev_b32_e32 v19, 1, v25
	v_and_b32_e32 v22, 0x3ff, v31
	v_mov_b32_e32 v23, 0xffff8000
	v_add_co_u32_e32 v19, vcc, v0, v19
	v_addc_co_u32_e32 v26, vcc, 0, v1, vcc
	v_mov_b32_e32 v15, v9
	s_waitcnt vmcnt(1)
	v_mad_u32_u24 v0, v16, v17, v14
	s_waitcnt vmcnt(0)
	v_mad_u64_u32 v[0:1], s[4:5], v0, v18, v[22:23]
	v_and_b32_e32 v1, 0xffffffc0, v0
	v_lshl_add_u32 v14, v1, 4, v1
	v_lshlrev_b64 v[16:17], 1, v[14:15]
	v_add_co_u32_e32 v16, vcc, v19, v16
	v_or_b32_e32 v18, v14, v25
	v_addc_co_u32_e32 v17, vcc, v26, v17, vcc
	v_cmp_lt_u32_e32 vcc, v18, v106
	v_mov_b32_e32 v1, 0xffff8000
	s_and_saveexec_b64 s[4:5], vcc
	s_cbranch_execz .LBB913_4
; %bb.3:
	flat_load_ushort v1, v[16:17]
.LBB913_4:
	s_or_b64 exec, exec, s[4:5]
	v_add_u32_e32 v19, 64, v18
	v_cmp_lt_u32_e64 s[40:41], v19, v106
	s_and_saveexec_b64 s[4:5], s[40:41]
	s_cbranch_execz .LBB913_6
; %bb.5:
	flat_load_ushort v23, v[16:17] offset:128
.LBB913_6:
	s_or_b64 exec, exec, s[4:5]
	v_add_u32_e32 v19, 0x80, v18
	v_cmp_lt_u32_e64 s[16:17], v19, v106
	v_mov_b32_e32 v26, 0xffff8000
	v_mov_b32_e32 v27, 0xffff8000
	s_and_saveexec_b64 s[4:5], s[16:17]
	s_cbranch_execz .LBB913_8
; %bb.7:
	flat_load_ushort v27, v[16:17] offset:256
.LBB913_8:
	s_or_b64 exec, exec, s[4:5]
	v_add_u32_e32 v19, 0xc0, v18
	v_cmp_lt_u32_e64 s[20:21], v19, v106
	s_and_saveexec_b64 s[4:5], s[20:21]
	s_cbranch_execz .LBB913_10
; %bb.9:
	flat_load_ushort v26, v[16:17] offset:384
.LBB913_10:
	s_or_b64 exec, exec, s[4:5]
	v_add_u32_e32 v19, 0x100, v18
	v_cmp_lt_u32_e64 s[22:23], v19, v106
	v_mov_b32_e32 v28, 0xffff8000
	v_mov_b32_e32 v29, 0xffff8000
	s_and_saveexec_b64 s[4:5], s[22:23]
	s_cbranch_execz .LBB913_12
; %bb.11:
	flat_load_ushort v29, v[16:17] offset:512
.LBB913_12:
	;; [unrolled: 18-line block ×7, first 2 shown]
	s_or_b64 exec, exec, s[4:5]
	v_add_u32_e32 v19, 0x3c0, v18
	v_cmp_lt_u32_e64 s[6:7], v19, v106
	s_and_saveexec_b64 s[4:5], s[6:7]
	s_cbranch_execz .LBB913_34
; %bb.33:
	flat_load_ushort v38, v[16:17] offset:1920
.LBB913_34:
	s_or_b64 exec, exec, s[4:5]
	v_add_u32_e32 v18, 0x400, v18
	v_cmp_lt_u32_e64 s[4:5], v18, v106
	v_mov_b32_e32 v48, 0xffff8000
	s_and_saveexec_b64 s[42:43], s[4:5]
	s_cbranch_execz .LBB913_36
; %bb.35:
	flat_load_ushort v48, v[16:17] offset:2048
.LBB913_36:
	s_or_b64 exec, exec, s[42:43]
	v_lshlrev_b64 v[8:9], 3, v[8:9]
	v_add_co_u32_e64 v4, s[42:43], v4, v8
	v_addc_co_u32_e64 v5, s[42:43], v5, v9, s[42:43]
	v_lshlrev_b32_e32 v16, 3, v25
	v_add_co_u32_e64 v16, s[42:43], v4, v16
	v_addc_co_u32_e64 v17, s[42:43], 0, v5, s[42:43]
	v_lshlrev_b64 v[4:5], 3, v[14:15]
	v_add_co_u32_e64 v4, s[42:43], v16, v4
	v_addc_co_u32_e64 v5, s[42:43], v17, v5, s[42:43]
                                        ; implicit-def: $vgpr16_vgpr17
	s_and_saveexec_b64 s[42:43], vcc
	s_cbranch_execnz .LBB913_204
; %bb.37:
	s_or_b64 exec, exec, s[42:43]
                                        ; implicit-def: $vgpr18_vgpr19
	s_and_saveexec_b64 vcc, s[40:41]
	s_cbranch_execnz .LBB913_205
.LBB913_38:
	s_or_b64 exec, exec, vcc
                                        ; implicit-def: $vgpr134_vgpr135
	s_and_saveexec_b64 vcc, s[16:17]
	s_cbranch_execnz .LBB913_206
.LBB913_39:
	s_or_b64 exec, exec, vcc
                                        ; implicit-def: $vgpr144_vgpr145
	s_and_saveexec_b64 s[16:17], s[20:21]
	s_cbranch_execnz .LBB913_207
.LBB913_40:
	s_or_b64 exec, exec, s[16:17]
                                        ; implicit-def: $vgpr146_vgpr147
	s_and_saveexec_b64 s[16:17], s[22:23]
	s_cbranch_execnz .LBB913_208
.LBB913_41:
	s_or_b64 exec, exec, s[16:17]
                                        ; implicit-def: $vgpr148_vgpr149
	s_and_saveexec_b64 s[16:17], s[26:27]
	s_cbranch_execnz .LBB913_209
.LBB913_42:
	s_or_b64 exec, exec, s[16:17]
                                        ; implicit-def: $vgpr150_vgpr151
	s_and_saveexec_b64 s[16:17], s[30:31]
	s_cbranch_execnz .LBB913_210
.LBB913_43:
	s_or_b64 exec, exec, s[16:17]
                                        ; implicit-def: $vgpr166_vgpr167
	s_and_saveexec_b64 s[16:17], s[36:37]
	s_cbranch_execnz .LBB913_211
.LBB913_44:
	s_or_b64 exec, exec, s[16:17]
                                        ; implicit-def: $vgpr198_vgpr199
	s_and_saveexec_b64 s[16:17], s[38:39]
	s_cbranch_execnz .LBB913_212
.LBB913_45:
	s_or_b64 exec, exec, s[16:17]
                                        ; implicit-def: $vgpr228_vgpr229
	s_and_saveexec_b64 s[16:17], s[34:35]
	s_cbranch_execnz .LBB913_213
.LBB913_46:
	s_or_b64 exec, exec, s[16:17]
                                        ; implicit-def: $vgpr230_vgpr231
	s_and_saveexec_b64 s[16:17], s[28:29]
	s_cbranch_execnz .LBB913_214
.LBB913_47:
	s_or_b64 exec, exec, s[16:17]
                                        ; implicit-def: $vgpr240_vgpr241
	s_and_saveexec_b64 s[16:17], s[24:25]
	s_cbranch_execnz .LBB913_215
.LBB913_48:
	s_or_b64 exec, exec, s[16:17]
                                        ; implicit-def: $vgpr242_vgpr243
	s_and_saveexec_b64 s[16:17], s[18:19]
	s_cbranch_execnz .LBB913_216
.LBB913_49:
	s_or_b64 exec, exec, s[16:17]
                                        ; implicit-def: $vgpr244_vgpr245
	s_and_saveexec_b64 s[16:17], s[14:15]
	s_cbranch_execnz .LBB913_217
.LBB913_50:
	s_or_b64 exec, exec, s[16:17]
                                        ; implicit-def: $vgpr246_vgpr247
	s_and_saveexec_b64 s[14:15], s[10:11]
	s_cbranch_execnz .LBB913_218
.LBB913_51:
	s_or_b64 exec, exec, s[14:15]
                                        ; implicit-def: $agpr0_agpr1
	s_and_saveexec_b64 s[10:11], s[6:7]
	s_cbranch_execnz .LBB913_219
.LBB913_52:
	s_or_b64 exec, exec, s[10:11]
                                        ; implicit-def: $agpr2_agpr3
	s_and_saveexec_b64 s[6:7], s[4:5]
	s_cbranch_execz .LBB913_54
.LBB913_53:
	v_add_co_u32_e32 v4, vcc, 0x2000, v4
	v_addc_co_u32_e32 v5, vcc, 0, v5, vcc
	flat_load_dwordx2 a[2:3], v[4:5]
.LBB913_54:
	s_or_b64 exec, exec, s[6:7]
	s_waitcnt vmcnt(0) lgkmcnt(0)
	v_xor_b32_e32 v143, 0x7fff, v1
	v_xor_b32_e32 v154, 0x7fff, v26
	v_add_co_u32_e32 v1, vcc, 16, v12
	v_and_b32_e32 v26, 0x3c0, v22
	v_xor_b32_e32 v152, 0x7fff, v23
	v_addc_co_u32_e32 v23, vcc, 0, v13, vcc
	v_lshlrev_b32_e32 v5, 4, v22
	v_min_u32_e32 v14, 0xc0, v26
	v_xor_b32_e32 v168, 0x7fff, v32
	v_add_co_u32_e32 v32, vcc, v12, v5
	v_or_b32_e32 v14, 63, v14
	v_xor_b32_e32 v153, 0x7fff, v27
	v_xor_b32_e32 v159, 0x7fff, v33
	s_getpc_b64 s[4:5]
	s_add_u32 s4, s4, _ZN7rocprim17ROCPRIM_400000_NS16block_radix_sortIsLj256ELj17ElLj1ELj1ELj8ELNS0_26block_radix_rank_algorithmE2ELNS0_18block_padding_hintE2ELNS0_4arch9wavefront6targetE1EE19radix_bits_per_passE@rel32@lo+4
	s_addc_u32 s5, s5, _ZN7rocprim17ROCPRIM_400000_NS16block_radix_sortIsLj256ELj17ElLj1ELj1ELj8ELNS0_26block_radix_rank_algorithmE2ELNS0_18block_padding_hintE2ELNS0_4arch9wavefront6targetE1EE19radix_bits_per_passE@rel32@hi+12
	v_addc_co_u32_e32 v33, vcc, 0, v13, vcc
	v_and_b32_e32 v5, 15, v24
	v_cmp_eq_u32_e64 s[16:17], v14, v22
	v_add_u32_e32 v14, -1, v24
	v_and_b32_e32 v27, 64, v24
	s_load_dword s42, s[4:5], 0x0
	v_cmp_eq_u32_e32 vcc, 0, v5
	v_cmp_lt_u32_e64 s[4:5], 1, v5
	v_cmp_lt_u32_e64 s[6:7], 3, v5
	;; [unrolled: 1-line block ×3, first 2 shown]
	v_and_b32_e32 v5, 16, v24
	v_cmp_lt_i32_e64 s[22:23], v14, v27
	v_cmp_eq_u32_e64 s[34:35], 0, v5
	v_lshrrev_b32_e32 v5, 6, v22
	v_cndmask_b32_e64 v14, v14, v24, s[22:23]
	v_lshlrev_b32_e32 v108, 2, v14
	v_lshlrev_b32_e32 v14, 2, v5
	v_add_co_u32_e64 v52, s[26:27], v12, v14
	v_lshlrev_b32_e32 v4, 2, v22
	v_addc_co_u32_e64 v53, s[26:27], 0, v13, s[26:27]
	v_add_co_u32_e64 v64, s[26:27], v12, v4
	v_mov_b32_e32 v15, 0
	v_addc_co_u32_e64 v65, s[26:27], 0, v13, s[26:27]
	v_and_b32_e32 v4, 3, v24
	v_add_u32_e32 v14, -1, v5
	v_cmp_eq_u32_e64 s[26:27], 0, v4
	v_cmp_lt_u32_e64 s[28:29], 1, v4
	v_lshlrev_b64 v[4:5], 2, v[14:15]
	v_add_co_u32_e64 v80, s[30:31], v12, v4
	v_mul_u32_u24_e32 v4, 17, v26
	v_or_b32_e32 v4, v25, v4
	v_addc_co_u32_e64 v81, s[30:31], v13, v5, s[30:31]
	v_lshlrev_b32_e32 v5, 1, v4
	v_add_co_u32_e64 v84, s[30:31], v12, v5
	v_addc_co_u32_e64 v85, s[30:31], 0, v13, s[30:31]
	v_lshlrev_b32_e32 v4, 3, v4
	v_add_co_u32_e64 v96, s[30:31], v12, v4
	v_addc_co_u32_e64 v97, s[30:31], 0, v13, s[30:31]
	v_add_u32_e32 v5, 0x1000, v4
	v_add_co_u32_e64 v100, s[30:31], v12, v5
	v_addc_co_u32_e64 v101, s[30:31], 0, v13, s[30:31]
	v_add_u32_e32 v5, 0x1200, v4
	;; [unrolled: 3-line block ×9, first 2 shown]
	v_add_co_u32_e64 v132, s[30:31], v12, v4
	v_xor_b32_e32 v155, 0x7fff, v29
	v_xor_b32_e32 v156, 0x7fff, v28
	;; [unrolled: 1-line block ×11, first 2 shown]
	v_lshrrev_b32_e32 v107, 6, v0
	v_cmp_lt_u32_e64 s[14:15], 31, v24
	v_cmp_gt_u32_e64 s[18:19], 4, v22
	v_cmp_lt_u32_e64 s[20:21], 63, v22
	v_cmp_eq_u32_e64 s[22:23], 0, v24
	v_cmp_eq_u32_e64 s[24:25], 0, v22
	v_addc_co_u32_e64 v133, s[30:31], 0, v13, s[30:31]
	v_sub_u32_e32 v109, v11, v10
	s_mov_b64 s[38:39], 0
	s_waitcnt lgkmcnt(0)
	s_barrier
	s_branch .LBB913_56
.LBB913_55:                             ;   in Loop: Header=BB913_56 Depth=1
	s_or_b64 exec, exec, s[36:37]
	s_and_b64 s[30:31], exec, s[40:41]
	s_or_b64 s[38:39], s[30:31], s[38:39]
	s_andn2_b64 exec, exec, s[38:39]
	s_cbranch_execz .LBB913_98
.LBB913_56:                             ; =>This Inner Loop Header: Depth=1
	s_waitcnt vmcnt(0)
	v_pk_mov_b32 v[98:99], v[16:17], v[16:17] op_sel:[0,1]
	v_pk_mov_b32 v[86:87], v[18:19], v[18:19] op_sel:[0,1]
	v_min_u32_e32 v18, s42, v109
	v_mov_b32_e32 v14, v15
	v_mov_b32_e32 v16, v15
	;; [unrolled: 1-line block ×4, first 2 shown]
	flat_store_dwordx4 v[32:33], v[14:17] offset:16
	v_pk_mov_b32 v[82:83], v[134:135], v[134:135] op_sel:[0,1]
	v_lshlrev_b32_e64 v14, v18, -1
	v_not_b32_e32 v18, v14
	v_lshrrev_b32_sdwa v14, v10, v142 dst_sel:DWORD dst_unused:UNUSED_PAD src0_sel:DWORD src1_sel:WORD_0
	v_and_b32_e32 v14, v14, v18
	v_lshlrev_b32_e32 v16, 2, v14
	v_add_lshl_u32 v16, v16, v107, 2
	v_add_co_u32_e64 v134, s[30:31], v1, v16
	v_addc_co_u32_e64 v135, s[30:31], 0, v23, s[30:31]
	v_and_b32_e32 v16, 1, v14
	v_add_co_u32_e64 v17, s[30:31], -1, v16
	v_addc_co_u32_e64 v19, s[30:31], 0, -1, s[30:31]
	v_cmp_ne_u32_e64 s[30:31], 0, v16
	v_xor_b32_e32 v16, s31, v19
	v_xor_b32_e32 v17, s30, v17
	v_pk_mov_b32 v[70:71], v[144:145], v[144:145] op_sel:[0,1]
	v_and_b32_e32 v19, exec_hi, v16
	v_and_b32_e32 v144, exec_lo, v17
	v_lshlrev_b32_e32 v17, 30, v14
	v_mov_b32_e32 v16, v15
	v_cmp_gt_i64_e64 s[30:31], 0, v[16:17]
	v_not_b32_e32 v16, v17
	v_ashrrev_i32_e32 v16, 31, v16
	v_xor_b32_e32 v17, s31, v16
	v_xor_b32_e32 v16, s30, v16
	v_and_b32_e32 v19, v19, v17
	v_and_b32_e32 v144, v144, v16
	v_lshlrev_b32_e32 v17, 29, v14
	v_mov_b32_e32 v16, v15
	v_cmp_gt_i64_e64 s[30:31], 0, v[16:17]
	v_not_b32_e32 v16, v17
	v_ashrrev_i32_e32 v16, 31, v16
	v_xor_b32_e32 v17, s31, v16
	v_xor_b32_e32 v16, s30, v16
	v_and_b32_e32 v19, v19, v17
	v_and_b32_e32 v144, v144, v16
	;; [unrolled: 9-line block ×5, first 2 shown]
	v_lshlrev_b32_e32 v17, 25, v14
	v_mov_b32_e32 v16, v15
	v_cmp_gt_i64_e64 s[30:31], 0, v[16:17]
	v_not_b32_e32 v16, v17
	v_ashrrev_i32_e32 v16, 31, v16
	v_xor_b32_e32 v17, s31, v16
	v_xor_b32_e32 v16, s30, v16
	v_and_b32_e32 v19, v19, v17
	v_lshlrev_b32_e32 v17, 24, v14
	v_and_b32_e32 v144, v144, v16
	v_mov_b32_e32 v16, v15
	v_not_b32_e32 v14, v17
	v_cmp_gt_i64_e64 s[30:31], 0, v[16:17]
	v_ashrrev_i32_e32 v14, 31, v14
	v_xor_b32_e32 v16, s31, v14
	v_xor_b32_e32 v14, s30, v14
	v_and_b32_e32 v17, v19, v16
	v_and_b32_e32 v16, v144, v14
	v_mbcnt_lo_u32_b32 v14, v16, 0
	v_mbcnt_hi_u32_b32 v14, v17, v14
	v_accvgpr_read_b32 v25, a1
	v_accvgpr_read_b32 v5, a3
	v_cmp_eq_u32_e64 s[30:31], 0, v14
	v_cmp_ne_u64_e64 s[36:37], 0, v[16:17]
	v_pk_mov_b32 v[68:69], v[146:147], v[146:147] op_sel:[0,1]
	v_pk_mov_b32 v[66:67], v[148:149], v[148:149] op_sel:[0,1]
	;; [unrolled: 1-line block ×11, first 2 shown]
	v_accvgpr_read_b32 v24, a0
	v_accvgpr_read_b32 v4, a2
	v_mov_b32_e32 v141, v152
	v_mov_b32_e32 v140, v153
	;; [unrolled: 1-line block ×16, first 2 shown]
	s_and_b64 s[36:37], s[36:37], s[30:31]
	s_waitcnt lgkmcnt(0)
	s_barrier
	s_waitcnt lgkmcnt(0)
	; wave barrier
	s_and_saveexec_b64 s[30:31], s[36:37]
	s_cbranch_execz .LBB913_58
; %bb.57:                               ;   in Loop: Header=BB913_56 Depth=1
	v_bcnt_u32_b32 v16, v16, 0
	v_bcnt_u32_b32 v16, v17, v16
	flat_store_dword v[134:135], v16
.LBB913_58:                             ;   in Loop: Header=BB913_56 Depth=1
	s_or_b64 exec, exec, s[30:31]
	v_lshrrev_b32_sdwa v16, v10, v141 dst_sel:DWORD dst_unused:UNUSED_PAD src0_sel:DWORD src1_sel:WORD_0
	v_and_b32_e32 v19, v16, v18
	v_lshlrev_b32_e32 v16, 2, v19
	v_add_lshl_u32 v16, v16, v107, 2
	v_add_co_u32_e64 v144, s[30:31], v1, v16
	v_addc_co_u32_e64 v145, s[30:31], 0, v23, s[30:31]
	; wave barrier
	flat_load_dword v208, v[144:145]
	v_and_b32_e32 v16, 1, v19
	v_add_co_u32_e64 v17, s[30:31], -1, v16
	v_addc_co_u32_e64 v146, s[30:31], 0, -1, s[30:31]
	v_cmp_ne_u32_e64 s[30:31], 0, v16
	v_xor_b32_e32 v16, s31, v146
	v_xor_b32_e32 v17, s30, v17
	v_and_b32_e32 v146, exec_hi, v16
	v_and_b32_e32 v147, exec_lo, v17
	v_lshlrev_b32_e32 v17, 30, v19
	v_mov_b32_e32 v16, v15
	v_cmp_gt_i64_e64 s[30:31], 0, v[16:17]
	v_not_b32_e32 v16, v17
	v_ashrrev_i32_e32 v16, 31, v16
	v_xor_b32_e32 v17, s31, v16
	v_xor_b32_e32 v16, s30, v16
	v_and_b32_e32 v146, v146, v17
	v_and_b32_e32 v147, v147, v16
	v_lshlrev_b32_e32 v17, 29, v19
	v_mov_b32_e32 v16, v15
	v_cmp_gt_i64_e64 s[30:31], 0, v[16:17]
	v_not_b32_e32 v16, v17
	v_ashrrev_i32_e32 v16, 31, v16
	v_xor_b32_e32 v17, s31, v16
	v_xor_b32_e32 v16, s30, v16
	v_and_b32_e32 v146, v146, v17
	v_and_b32_e32 v147, v147, v16
	v_lshlrev_b32_e32 v17, 28, v19
	v_mov_b32_e32 v16, v15
	v_cmp_gt_i64_e64 s[30:31], 0, v[16:17]
	v_not_b32_e32 v16, v17
	v_ashrrev_i32_e32 v16, 31, v16
	v_xor_b32_e32 v17, s31, v16
	v_xor_b32_e32 v16, s30, v16
	v_and_b32_e32 v146, v146, v17
	v_and_b32_e32 v147, v147, v16
	v_lshlrev_b32_e32 v17, 27, v19
	v_mov_b32_e32 v16, v15
	v_cmp_gt_i64_e64 s[30:31], 0, v[16:17]
	v_not_b32_e32 v16, v17
	v_ashrrev_i32_e32 v16, 31, v16
	v_xor_b32_e32 v17, s31, v16
	v_xor_b32_e32 v16, s30, v16
	v_and_b32_e32 v146, v146, v17
	v_and_b32_e32 v147, v147, v16
	v_lshlrev_b32_e32 v17, 26, v19
	v_mov_b32_e32 v16, v15
	v_cmp_gt_i64_e64 s[30:31], 0, v[16:17]
	v_not_b32_e32 v16, v17
	v_ashrrev_i32_e32 v16, 31, v16
	v_xor_b32_e32 v17, s31, v16
	v_xor_b32_e32 v16, s30, v16
	v_and_b32_e32 v146, v146, v17
	v_and_b32_e32 v147, v147, v16
	v_lshlrev_b32_e32 v17, 25, v19
	v_mov_b32_e32 v16, v15
	v_cmp_gt_i64_e64 s[30:31], 0, v[16:17]
	v_not_b32_e32 v16, v17
	v_ashrrev_i32_e32 v16, 31, v16
	v_xor_b32_e32 v17, s31, v16
	v_xor_b32_e32 v16, s30, v16
	v_and_b32_e32 v146, v146, v17
	v_and_b32_e32 v147, v147, v16
	v_lshlrev_b32_e32 v17, 24, v19
	v_mov_b32_e32 v16, v15
	v_cmp_gt_i64_e64 s[30:31], 0, v[16:17]
	v_not_b32_e32 v16, v17
	v_ashrrev_i32_e32 v16, 31, v16
	v_xor_b32_e32 v17, s31, v16
	v_xor_b32_e32 v16, s30, v16
	v_and_b32_e32 v16, v147, v16
	v_and_b32_e32 v17, v146, v17
	v_mbcnt_lo_u32_b32 v19, v16, 0
	v_mbcnt_hi_u32_b32 v210, v17, v19
	v_cmp_eq_u32_e64 s[30:31], 0, v210
	v_cmp_ne_u64_e64 s[36:37], 0, v[16:17]
	s_and_b64 s[36:37], s[36:37], s[30:31]
	; wave barrier
	s_and_saveexec_b64 s[30:31], s[36:37]
	s_cbranch_execz .LBB913_60
; %bb.59:                               ;   in Loop: Header=BB913_56 Depth=1
	v_bcnt_u32_b32 v16, v16, 0
	v_bcnt_u32_b32 v16, v17, v16
	s_waitcnt vmcnt(0) lgkmcnt(0)
	v_add_u32_e32 v16, v208, v16
	flat_store_dword v[144:145], v16
.LBB913_60:                             ;   in Loop: Header=BB913_56 Depth=1
	s_or_b64 exec, exec, s[30:31]
	v_lshrrev_b32_sdwa v16, v10, v140 dst_sel:DWORD dst_unused:UNUSED_PAD src0_sel:DWORD src1_sel:WORD_0
	v_and_b32_e32 v19, v16, v18
	v_lshlrev_b32_e32 v16, 2, v19
	v_add_lshl_u32 v16, v16, v107, 2
	v_add_co_u32_e64 v146, s[30:31], v1, v16
	v_addc_co_u32_e64 v147, s[30:31], 0, v23, s[30:31]
	; wave barrier
	flat_load_dword v212, v[146:147]
	v_and_b32_e32 v16, 1, v19
	v_add_co_u32_e64 v17, s[30:31], -1, v16
	v_addc_co_u32_e64 v148, s[30:31], 0, -1, s[30:31]
	v_cmp_ne_u32_e64 s[30:31], 0, v16
	v_xor_b32_e32 v16, s31, v148
	v_xor_b32_e32 v17, s30, v17
	v_and_b32_e32 v148, exec_hi, v16
	v_and_b32_e32 v149, exec_lo, v17
	v_lshlrev_b32_e32 v17, 30, v19
	v_mov_b32_e32 v16, v15
	v_cmp_gt_i64_e64 s[30:31], 0, v[16:17]
	v_not_b32_e32 v16, v17
	v_ashrrev_i32_e32 v16, 31, v16
	v_xor_b32_e32 v17, s31, v16
	v_xor_b32_e32 v16, s30, v16
	v_and_b32_e32 v148, v148, v17
	v_and_b32_e32 v149, v149, v16
	v_lshlrev_b32_e32 v17, 29, v19
	v_mov_b32_e32 v16, v15
	v_cmp_gt_i64_e64 s[30:31], 0, v[16:17]
	v_not_b32_e32 v16, v17
	v_ashrrev_i32_e32 v16, 31, v16
	v_xor_b32_e32 v17, s31, v16
	v_xor_b32_e32 v16, s30, v16
	v_and_b32_e32 v148, v148, v17
	v_and_b32_e32 v149, v149, v16
	;; [unrolled: 9-line block ×7, first 2 shown]
	v_mbcnt_lo_u32_b32 v19, v16, 0
	v_mbcnt_hi_u32_b32 v214, v17, v19
	v_cmp_eq_u32_e64 s[30:31], 0, v214
	v_cmp_ne_u64_e64 s[36:37], 0, v[16:17]
	s_and_b64 s[36:37], s[36:37], s[30:31]
	; wave barrier
	s_and_saveexec_b64 s[30:31], s[36:37]
	s_cbranch_execz .LBB913_62
; %bb.61:                               ;   in Loop: Header=BB913_56 Depth=1
	v_bcnt_u32_b32 v16, v16, 0
	v_bcnt_u32_b32 v16, v17, v16
	s_waitcnt vmcnt(0) lgkmcnt(0)
	v_add_u32_e32 v16, v212, v16
	flat_store_dword v[146:147], v16
.LBB913_62:                             ;   in Loop: Header=BB913_56 Depth=1
	s_or_b64 exec, exec, s[30:31]
	v_lshrrev_b32_sdwa v16, v10, v139 dst_sel:DWORD dst_unused:UNUSED_PAD src0_sel:DWORD src1_sel:WORD_0
	v_and_b32_e32 v19, v16, v18
	v_lshlrev_b32_e32 v16, 2, v19
	v_add_lshl_u32 v16, v16, v107, 2
	v_add_co_u32_e64 v148, s[30:31], v1, v16
	v_addc_co_u32_e64 v149, s[30:31], 0, v23, s[30:31]
	; wave barrier
	flat_load_dword v215, v[148:149]
	v_and_b32_e32 v16, 1, v19
	v_add_co_u32_e64 v17, s[30:31], -1, v16
	v_addc_co_u32_e64 v150, s[30:31], 0, -1, s[30:31]
	v_cmp_ne_u32_e64 s[30:31], 0, v16
	v_xor_b32_e32 v16, s31, v150
	v_xor_b32_e32 v17, s30, v17
	v_and_b32_e32 v150, exec_hi, v16
	v_and_b32_e32 v151, exec_lo, v17
	v_lshlrev_b32_e32 v17, 30, v19
	v_mov_b32_e32 v16, v15
	v_cmp_gt_i64_e64 s[30:31], 0, v[16:17]
	v_not_b32_e32 v16, v17
	v_ashrrev_i32_e32 v16, 31, v16
	v_xor_b32_e32 v17, s31, v16
	v_xor_b32_e32 v16, s30, v16
	v_and_b32_e32 v150, v150, v17
	v_and_b32_e32 v151, v151, v16
	v_lshlrev_b32_e32 v17, 29, v19
	v_mov_b32_e32 v16, v15
	v_cmp_gt_i64_e64 s[30:31], 0, v[16:17]
	v_not_b32_e32 v16, v17
	v_ashrrev_i32_e32 v16, 31, v16
	v_xor_b32_e32 v17, s31, v16
	v_xor_b32_e32 v16, s30, v16
	v_and_b32_e32 v150, v150, v17
	v_and_b32_e32 v151, v151, v16
	v_lshlrev_b32_e32 v17, 28, v19
	v_mov_b32_e32 v16, v15
	v_cmp_gt_i64_e64 s[30:31], 0, v[16:17]
	v_not_b32_e32 v16, v17
	v_ashrrev_i32_e32 v16, 31, v16
	v_xor_b32_e32 v17, s31, v16
	v_xor_b32_e32 v16, s30, v16
	v_and_b32_e32 v150, v150, v17
	v_and_b32_e32 v151, v151, v16
	v_lshlrev_b32_e32 v17, 27, v19
	v_mov_b32_e32 v16, v15
	v_cmp_gt_i64_e64 s[30:31], 0, v[16:17]
	v_not_b32_e32 v16, v17
	v_ashrrev_i32_e32 v16, 31, v16
	v_xor_b32_e32 v17, s31, v16
	v_xor_b32_e32 v16, s30, v16
	v_and_b32_e32 v150, v150, v17
	v_and_b32_e32 v151, v151, v16
	v_lshlrev_b32_e32 v17, 26, v19
	v_mov_b32_e32 v16, v15
	v_cmp_gt_i64_e64 s[30:31], 0, v[16:17]
	v_not_b32_e32 v16, v17
	v_ashrrev_i32_e32 v16, 31, v16
	v_xor_b32_e32 v17, s31, v16
	v_xor_b32_e32 v16, s30, v16
	v_and_b32_e32 v150, v150, v17
	v_and_b32_e32 v151, v151, v16
	v_lshlrev_b32_e32 v17, 25, v19
	v_mov_b32_e32 v16, v15
	v_cmp_gt_i64_e64 s[30:31], 0, v[16:17]
	v_not_b32_e32 v16, v17
	v_ashrrev_i32_e32 v16, 31, v16
	v_xor_b32_e32 v17, s31, v16
	v_xor_b32_e32 v16, s30, v16
	v_and_b32_e32 v150, v150, v17
	v_and_b32_e32 v151, v151, v16
	v_lshlrev_b32_e32 v17, 24, v19
	v_mov_b32_e32 v16, v15
	v_cmp_gt_i64_e64 s[30:31], 0, v[16:17]
	v_not_b32_e32 v16, v17
	v_ashrrev_i32_e32 v16, 31, v16
	v_xor_b32_e32 v17, s31, v16
	v_xor_b32_e32 v16, s30, v16
	v_and_b32_e32 v16, v151, v16
	v_and_b32_e32 v17, v150, v17
	v_mbcnt_lo_u32_b32 v19, v16, 0
	v_mbcnt_hi_u32_b32 v224, v17, v19
	v_cmp_eq_u32_e64 s[30:31], 0, v224
	v_cmp_ne_u64_e64 s[36:37], 0, v[16:17]
	s_and_b64 s[36:37], s[36:37], s[30:31]
	; wave barrier
	s_and_saveexec_b64 s[30:31], s[36:37]
	s_cbranch_execz .LBB913_64
; %bb.63:                               ;   in Loop: Header=BB913_56 Depth=1
	v_bcnt_u32_b32 v16, v16, 0
	v_bcnt_u32_b32 v16, v17, v16
	s_waitcnt vmcnt(0) lgkmcnt(0)
	v_add_u32_e32 v16, v215, v16
	flat_store_dword v[148:149], v16
.LBB913_64:                             ;   in Loop: Header=BB913_56 Depth=1
	s_or_b64 exec, exec, s[30:31]
	v_lshrrev_b32_sdwa v16, v10, v138 dst_sel:DWORD dst_unused:UNUSED_PAD src0_sel:DWORD src1_sel:WORD_0
	v_and_b32_e32 v19, v16, v18
	v_lshlrev_b32_e32 v16, 2, v19
	v_add_lshl_u32 v16, v16, v107, 2
	v_add_co_u32_e64 v150, s[30:31], v1, v16
	v_addc_co_u32_e64 v151, s[30:31], 0, v23, s[30:31]
	; wave barrier
	flat_load_dword v226, v[150:151]
	v_and_b32_e32 v16, 1, v19
	v_add_co_u32_e64 v17, s[30:31], -1, v16
	v_addc_co_u32_e64 v160, s[30:31], 0, -1, s[30:31]
	v_cmp_ne_u32_e64 s[30:31], 0, v16
	v_xor_b32_e32 v16, s31, v160
	v_xor_b32_e32 v17, s30, v17
	v_and_b32_e32 v160, exec_hi, v16
	v_and_b32_e32 v161, exec_lo, v17
	v_lshlrev_b32_e32 v17, 30, v19
	v_mov_b32_e32 v16, v15
	v_cmp_gt_i64_e64 s[30:31], 0, v[16:17]
	v_not_b32_e32 v16, v17
	v_ashrrev_i32_e32 v16, 31, v16
	v_xor_b32_e32 v17, s31, v16
	v_xor_b32_e32 v16, s30, v16
	v_and_b32_e32 v160, v160, v17
	v_and_b32_e32 v161, v161, v16
	v_lshlrev_b32_e32 v17, 29, v19
	v_mov_b32_e32 v16, v15
	v_cmp_gt_i64_e64 s[30:31], 0, v[16:17]
	v_not_b32_e32 v16, v17
	v_ashrrev_i32_e32 v16, 31, v16
	v_xor_b32_e32 v17, s31, v16
	v_xor_b32_e32 v16, s30, v16
	v_and_b32_e32 v160, v160, v17
	v_and_b32_e32 v161, v161, v16
	;; [unrolled: 9-line block ×7, first 2 shown]
	v_mbcnt_lo_u32_b32 v19, v16, 0
	v_mbcnt_hi_u32_b32 v227, v17, v19
	v_cmp_eq_u32_e64 s[30:31], 0, v227
	v_cmp_ne_u64_e64 s[36:37], 0, v[16:17]
	s_and_b64 s[36:37], s[36:37], s[30:31]
	; wave barrier
	s_and_saveexec_b64 s[30:31], s[36:37]
	s_cbranch_execz .LBB913_66
; %bb.65:                               ;   in Loop: Header=BB913_56 Depth=1
	v_bcnt_u32_b32 v16, v16, 0
	v_bcnt_u32_b32 v16, v17, v16
	s_waitcnt vmcnt(0) lgkmcnt(0)
	v_add_u32_e32 v16, v226, v16
	flat_store_dword v[150:151], v16
.LBB913_66:                             ;   in Loop: Header=BB913_56 Depth=1
	s_or_b64 exec, exec, s[30:31]
	v_lshrrev_b32_sdwa v16, v10, v137 dst_sel:DWORD dst_unused:UNUSED_PAD src0_sel:DWORD src1_sel:WORD_0
	v_and_b32_e32 v19, v16, v18
	v_lshlrev_b32_e32 v16, 2, v19
	v_add_lshl_u32 v16, v16, v107, 2
	v_add_co_u32_e64 v160, s[30:31], v1, v16
	v_addc_co_u32_e64 v161, s[30:31], 0, v23, s[30:31]
	; wave barrier
	flat_load_dword v228, v[160:161]
	v_and_b32_e32 v16, 1, v19
	v_add_co_u32_e64 v17, s[30:31], -1, v16
	v_addc_co_u32_e64 v162, s[30:31], 0, -1, s[30:31]
	v_cmp_ne_u32_e64 s[30:31], 0, v16
	v_xor_b32_e32 v16, s31, v162
	v_xor_b32_e32 v17, s30, v17
	v_and_b32_e32 v162, exec_hi, v16
	v_and_b32_e32 v163, exec_lo, v17
	v_lshlrev_b32_e32 v17, 30, v19
	v_mov_b32_e32 v16, v15
	v_cmp_gt_i64_e64 s[30:31], 0, v[16:17]
	v_not_b32_e32 v16, v17
	v_ashrrev_i32_e32 v16, 31, v16
	v_xor_b32_e32 v17, s31, v16
	v_xor_b32_e32 v16, s30, v16
	v_and_b32_e32 v162, v162, v17
	v_and_b32_e32 v163, v163, v16
	v_lshlrev_b32_e32 v17, 29, v19
	v_mov_b32_e32 v16, v15
	v_cmp_gt_i64_e64 s[30:31], 0, v[16:17]
	v_not_b32_e32 v16, v17
	v_ashrrev_i32_e32 v16, 31, v16
	v_xor_b32_e32 v17, s31, v16
	v_xor_b32_e32 v16, s30, v16
	v_and_b32_e32 v162, v162, v17
	v_and_b32_e32 v163, v163, v16
	;; [unrolled: 9-line block ×7, first 2 shown]
	v_mbcnt_lo_u32_b32 v19, v16, 0
	v_mbcnt_hi_u32_b32 v229, v17, v19
	v_cmp_eq_u32_e64 s[30:31], 0, v229
	v_cmp_ne_u64_e64 s[36:37], 0, v[16:17]
	s_and_b64 s[36:37], s[36:37], s[30:31]
	; wave barrier
	s_and_saveexec_b64 s[30:31], s[36:37]
	s_cbranch_execz .LBB913_68
; %bb.67:                               ;   in Loop: Header=BB913_56 Depth=1
	v_bcnt_u32_b32 v16, v16, 0
	v_bcnt_u32_b32 v16, v17, v16
	s_waitcnt vmcnt(0) lgkmcnt(0)
	v_add_u32_e32 v16, v228, v16
	flat_store_dword v[160:161], v16
.LBB913_68:                             ;   in Loop: Header=BB913_56 Depth=1
	s_or_b64 exec, exec, s[30:31]
	v_lshrrev_b32_sdwa v16, v10, v136 dst_sel:DWORD dst_unused:UNUSED_PAD src0_sel:DWORD src1_sel:WORD_0
	v_and_b32_e32 v19, v16, v18
	v_lshlrev_b32_e32 v16, 2, v19
	v_add_lshl_u32 v16, v16, v107, 2
	v_add_co_u32_e64 v162, s[30:31], v1, v16
	v_addc_co_u32_e64 v163, s[30:31], 0, v23, s[30:31]
	; wave barrier
	flat_load_dword v230, v[162:163]
	v_and_b32_e32 v16, 1, v19
	v_add_co_u32_e64 v17, s[30:31], -1, v16
	v_addc_co_u32_e64 v164, s[30:31], 0, -1, s[30:31]
	v_cmp_ne_u32_e64 s[30:31], 0, v16
	v_xor_b32_e32 v16, s31, v164
	v_xor_b32_e32 v17, s30, v17
	v_and_b32_e32 v164, exec_hi, v16
	v_and_b32_e32 v165, exec_lo, v17
	v_lshlrev_b32_e32 v17, 30, v19
	v_mov_b32_e32 v16, v15
	v_cmp_gt_i64_e64 s[30:31], 0, v[16:17]
	v_not_b32_e32 v16, v17
	v_ashrrev_i32_e32 v16, 31, v16
	v_xor_b32_e32 v17, s31, v16
	v_xor_b32_e32 v16, s30, v16
	v_and_b32_e32 v164, v164, v17
	v_and_b32_e32 v165, v165, v16
	v_lshlrev_b32_e32 v17, 29, v19
	v_mov_b32_e32 v16, v15
	v_cmp_gt_i64_e64 s[30:31], 0, v[16:17]
	v_not_b32_e32 v16, v17
	v_ashrrev_i32_e32 v16, 31, v16
	v_xor_b32_e32 v17, s31, v16
	v_xor_b32_e32 v16, s30, v16
	v_and_b32_e32 v164, v164, v17
	v_and_b32_e32 v165, v165, v16
	;; [unrolled: 9-line block ×7, first 2 shown]
	v_mbcnt_lo_u32_b32 v19, v16, 0
	v_mbcnt_hi_u32_b32 v231, v17, v19
	v_cmp_eq_u32_e64 s[30:31], 0, v231
	v_cmp_ne_u64_e64 s[36:37], 0, v[16:17]
	s_and_b64 s[36:37], s[36:37], s[30:31]
	; wave barrier
	s_and_saveexec_b64 s[30:31], s[36:37]
	s_cbranch_execz .LBB913_70
; %bb.69:                               ;   in Loop: Header=BB913_56 Depth=1
	v_bcnt_u32_b32 v16, v16, 0
	v_bcnt_u32_b32 v16, v17, v16
	s_waitcnt vmcnt(0) lgkmcnt(0)
	v_add_u32_e32 v16, v230, v16
	flat_store_dword v[162:163], v16
.LBB913_70:                             ;   in Loop: Header=BB913_56 Depth=1
	s_or_b64 exec, exec, s[30:31]
	v_lshrrev_b32_sdwa v16, v10, v127 dst_sel:DWORD dst_unused:UNUSED_PAD src0_sel:DWORD src1_sel:WORD_0
	v_and_b32_e32 v19, v16, v18
	v_lshlrev_b32_e32 v16, 2, v19
	v_add_lshl_u32 v16, v16, v107, 2
	v_add_co_u32_e64 v164, s[30:31], v1, v16
	v_addc_co_u32_e64 v165, s[30:31], 0, v23, s[30:31]
	; wave barrier
	flat_load_dword v240, v[164:165]
	v_and_b32_e32 v16, 1, v19
	v_add_co_u32_e64 v17, s[30:31], -1, v16
	v_addc_co_u32_e64 v166, s[30:31], 0, -1, s[30:31]
	v_cmp_ne_u32_e64 s[30:31], 0, v16
	v_xor_b32_e32 v16, s31, v166
	v_xor_b32_e32 v17, s30, v17
	v_and_b32_e32 v166, exec_hi, v16
	v_and_b32_e32 v167, exec_lo, v17
	v_lshlrev_b32_e32 v17, 30, v19
	v_mov_b32_e32 v16, v15
	v_cmp_gt_i64_e64 s[30:31], 0, v[16:17]
	v_not_b32_e32 v16, v17
	v_ashrrev_i32_e32 v16, 31, v16
	v_xor_b32_e32 v17, s31, v16
	v_xor_b32_e32 v16, s30, v16
	v_and_b32_e32 v166, v166, v17
	v_and_b32_e32 v167, v167, v16
	v_lshlrev_b32_e32 v17, 29, v19
	v_mov_b32_e32 v16, v15
	v_cmp_gt_i64_e64 s[30:31], 0, v[16:17]
	v_not_b32_e32 v16, v17
	v_ashrrev_i32_e32 v16, 31, v16
	v_xor_b32_e32 v17, s31, v16
	v_xor_b32_e32 v16, s30, v16
	v_and_b32_e32 v166, v166, v17
	v_and_b32_e32 v167, v167, v16
	;; [unrolled: 9-line block ×7, first 2 shown]
	v_mbcnt_lo_u32_b32 v19, v16, 0
	v_mbcnt_hi_u32_b32 v241, v17, v19
	v_cmp_eq_u32_e64 s[30:31], 0, v241
	v_cmp_ne_u64_e64 s[36:37], 0, v[16:17]
	s_and_b64 s[36:37], s[36:37], s[30:31]
	; wave barrier
	s_and_saveexec_b64 s[30:31], s[36:37]
	s_cbranch_execz .LBB913_72
; %bb.71:                               ;   in Loop: Header=BB913_56 Depth=1
	v_bcnt_u32_b32 v16, v16, 0
	v_bcnt_u32_b32 v16, v17, v16
	s_waitcnt vmcnt(0) lgkmcnt(0)
	v_add_u32_e32 v16, v240, v16
	flat_store_dword v[164:165], v16
.LBB913_72:                             ;   in Loop: Header=BB913_56 Depth=1
	s_or_b64 exec, exec, s[30:31]
	v_lshrrev_b32_sdwa v16, v10, v126 dst_sel:DWORD dst_unused:UNUSED_PAD src0_sel:DWORD src1_sel:WORD_0
	v_and_b32_e32 v19, v16, v18
	v_lshlrev_b32_e32 v16, 2, v19
	v_add_lshl_u32 v16, v16, v107, 2
	v_add_co_u32_e64 v166, s[30:31], v1, v16
	v_addc_co_u32_e64 v167, s[30:31], 0, v23, s[30:31]
	; wave barrier
	flat_load_dword v242, v[166:167]
	v_and_b32_e32 v16, 1, v19
	v_add_co_u32_e64 v17, s[30:31], -1, v16
	v_addc_co_u32_e64 v176, s[30:31], 0, -1, s[30:31]
	v_cmp_ne_u32_e64 s[30:31], 0, v16
	v_xor_b32_e32 v16, s31, v176
	v_xor_b32_e32 v17, s30, v17
	v_and_b32_e32 v176, exec_hi, v16
	v_and_b32_e32 v177, exec_lo, v17
	v_lshlrev_b32_e32 v17, 30, v19
	v_mov_b32_e32 v16, v15
	v_cmp_gt_i64_e64 s[30:31], 0, v[16:17]
	v_not_b32_e32 v16, v17
	v_ashrrev_i32_e32 v16, 31, v16
	v_xor_b32_e32 v17, s31, v16
	v_xor_b32_e32 v16, s30, v16
	v_and_b32_e32 v176, v176, v17
	v_and_b32_e32 v177, v177, v16
	v_lshlrev_b32_e32 v17, 29, v19
	v_mov_b32_e32 v16, v15
	v_cmp_gt_i64_e64 s[30:31], 0, v[16:17]
	v_not_b32_e32 v16, v17
	v_ashrrev_i32_e32 v16, 31, v16
	v_xor_b32_e32 v17, s31, v16
	v_xor_b32_e32 v16, s30, v16
	v_and_b32_e32 v176, v176, v17
	v_and_b32_e32 v177, v177, v16
	;; [unrolled: 9-line block ×7, first 2 shown]
	v_mbcnt_lo_u32_b32 v19, v16, 0
	v_mbcnt_hi_u32_b32 v243, v17, v19
	v_cmp_eq_u32_e64 s[30:31], 0, v243
	v_cmp_ne_u64_e64 s[36:37], 0, v[16:17]
	s_and_b64 s[36:37], s[36:37], s[30:31]
	; wave barrier
	s_and_saveexec_b64 s[30:31], s[36:37]
	s_cbranch_execz .LBB913_74
; %bb.73:                               ;   in Loop: Header=BB913_56 Depth=1
	v_bcnt_u32_b32 v16, v16, 0
	v_bcnt_u32_b32 v16, v17, v16
	s_waitcnt vmcnt(0) lgkmcnt(0)
	v_add_u32_e32 v16, v242, v16
	flat_store_dword v[166:167], v16
.LBB913_74:                             ;   in Loop: Header=BB913_56 Depth=1
	s_or_b64 exec, exec, s[30:31]
	v_lshrrev_b32_sdwa v16, v10, v125 dst_sel:DWORD dst_unused:UNUSED_PAD src0_sel:DWORD src1_sel:WORD_0
	v_and_b32_e32 v19, v16, v18
	v_lshlrev_b32_e32 v16, 2, v19
	v_add_lshl_u32 v16, v16, v107, 2
	v_add_co_u32_e64 v176, s[30:31], v1, v16
	v_addc_co_u32_e64 v177, s[30:31], 0, v23, s[30:31]
	; wave barrier
	flat_load_dword v244, v[176:177]
	v_and_b32_e32 v16, 1, v19
	v_add_co_u32_e64 v17, s[30:31], -1, v16
	v_addc_co_u32_e64 v178, s[30:31], 0, -1, s[30:31]
	v_cmp_ne_u32_e64 s[30:31], 0, v16
	v_xor_b32_e32 v16, s31, v178
	v_xor_b32_e32 v17, s30, v17
	v_and_b32_e32 v178, exec_hi, v16
	v_and_b32_e32 v179, exec_lo, v17
	v_lshlrev_b32_e32 v17, 30, v19
	v_mov_b32_e32 v16, v15
	v_cmp_gt_i64_e64 s[30:31], 0, v[16:17]
	v_not_b32_e32 v16, v17
	v_ashrrev_i32_e32 v16, 31, v16
	v_xor_b32_e32 v17, s31, v16
	v_xor_b32_e32 v16, s30, v16
	v_and_b32_e32 v178, v178, v17
	v_and_b32_e32 v179, v179, v16
	v_lshlrev_b32_e32 v17, 29, v19
	v_mov_b32_e32 v16, v15
	v_cmp_gt_i64_e64 s[30:31], 0, v[16:17]
	v_not_b32_e32 v16, v17
	v_ashrrev_i32_e32 v16, 31, v16
	v_xor_b32_e32 v17, s31, v16
	v_xor_b32_e32 v16, s30, v16
	v_and_b32_e32 v178, v178, v17
	v_and_b32_e32 v179, v179, v16
	;; [unrolled: 9-line block ×7, first 2 shown]
	v_mbcnt_lo_u32_b32 v19, v16, 0
	v_mbcnt_hi_u32_b32 v245, v17, v19
	v_cmp_eq_u32_e64 s[30:31], 0, v245
	v_cmp_ne_u64_e64 s[36:37], 0, v[16:17]
	s_and_b64 s[36:37], s[36:37], s[30:31]
	; wave barrier
	s_and_saveexec_b64 s[30:31], s[36:37]
	s_cbranch_execz .LBB913_76
; %bb.75:                               ;   in Loop: Header=BB913_56 Depth=1
	v_bcnt_u32_b32 v16, v16, 0
	v_bcnt_u32_b32 v16, v17, v16
	s_waitcnt vmcnt(0) lgkmcnt(0)
	v_add_u32_e32 v16, v244, v16
	flat_store_dword v[176:177], v16
.LBB913_76:                             ;   in Loop: Header=BB913_56 Depth=1
	s_or_b64 exec, exec, s[30:31]
	v_lshrrev_b32_sdwa v16, v10, v124 dst_sel:DWORD dst_unused:UNUSED_PAD src0_sel:DWORD src1_sel:WORD_0
	v_and_b32_e32 v19, v16, v18
	v_lshlrev_b32_e32 v16, 2, v19
	v_add_lshl_u32 v16, v16, v107, 2
	v_add_co_u32_e64 v178, s[30:31], v1, v16
	v_addc_co_u32_e64 v179, s[30:31], 0, v23, s[30:31]
	; wave barrier
	flat_load_dword v246, v[178:179]
	v_and_b32_e32 v16, 1, v19
	v_add_co_u32_e64 v17, s[30:31], -1, v16
	v_addc_co_u32_e64 v180, s[30:31], 0, -1, s[30:31]
	v_cmp_ne_u32_e64 s[30:31], 0, v16
	v_xor_b32_e32 v16, s31, v180
	v_xor_b32_e32 v17, s30, v17
	v_and_b32_e32 v180, exec_hi, v16
	v_and_b32_e32 v181, exec_lo, v17
	v_lshlrev_b32_e32 v17, 30, v19
	v_mov_b32_e32 v16, v15
	v_cmp_gt_i64_e64 s[30:31], 0, v[16:17]
	v_not_b32_e32 v16, v17
	v_ashrrev_i32_e32 v16, 31, v16
	v_xor_b32_e32 v17, s31, v16
	v_xor_b32_e32 v16, s30, v16
	v_and_b32_e32 v180, v180, v17
	v_and_b32_e32 v181, v181, v16
	v_lshlrev_b32_e32 v17, 29, v19
	v_mov_b32_e32 v16, v15
	v_cmp_gt_i64_e64 s[30:31], 0, v[16:17]
	v_not_b32_e32 v16, v17
	v_ashrrev_i32_e32 v16, 31, v16
	v_xor_b32_e32 v17, s31, v16
	v_xor_b32_e32 v16, s30, v16
	v_and_b32_e32 v180, v180, v17
	v_and_b32_e32 v181, v181, v16
	;; [unrolled: 9-line block ×7, first 2 shown]
	v_mbcnt_lo_u32_b32 v19, v16, 0
	v_mbcnt_hi_u32_b32 v247, v17, v19
	v_cmp_eq_u32_e64 s[30:31], 0, v247
	v_cmp_ne_u64_e64 s[36:37], 0, v[16:17]
	s_and_b64 s[36:37], s[36:37], s[30:31]
	; wave barrier
	s_and_saveexec_b64 s[30:31], s[36:37]
	s_cbranch_execz .LBB913_78
; %bb.77:                               ;   in Loop: Header=BB913_56 Depth=1
	v_bcnt_u32_b32 v16, v16, 0
	v_bcnt_u32_b32 v16, v17, v16
	s_waitcnt vmcnt(0) lgkmcnt(0)
	v_add_u32_e32 v16, v246, v16
	flat_store_dword v[178:179], v16
.LBB913_78:                             ;   in Loop: Header=BB913_56 Depth=1
	s_or_b64 exec, exec, s[30:31]
	v_lshrrev_b32_sdwa v16, v10, v123 dst_sel:DWORD dst_unused:UNUSED_PAD src0_sel:DWORD src1_sel:WORD_0
	v_and_b32_e32 v19, v16, v18
	v_lshlrev_b32_e32 v16, 2, v19
	v_add_lshl_u32 v16, v16, v107, 2
	v_add_co_u32_e64 v180, s[30:31], v1, v16
	v_addc_co_u32_e64 v181, s[30:31], 0, v23, s[30:31]
	; wave barrier
	flat_load_dword v40, v[180:181]
	v_and_b32_e32 v16, 1, v19
	v_add_co_u32_e64 v17, s[30:31], -1, v16
	v_addc_co_u32_e64 v182, s[30:31], 0, -1, s[30:31]
	v_cmp_ne_u32_e64 s[30:31], 0, v16
	v_xor_b32_e32 v16, s31, v182
	v_xor_b32_e32 v17, s30, v17
	v_and_b32_e32 v182, exec_hi, v16
	v_and_b32_e32 v183, exec_lo, v17
	v_lshlrev_b32_e32 v17, 30, v19
	v_mov_b32_e32 v16, v15
	v_cmp_gt_i64_e64 s[30:31], 0, v[16:17]
	v_not_b32_e32 v16, v17
	v_ashrrev_i32_e32 v16, 31, v16
	v_xor_b32_e32 v17, s31, v16
	v_xor_b32_e32 v16, s30, v16
	v_and_b32_e32 v182, v182, v17
	v_and_b32_e32 v183, v183, v16
	v_lshlrev_b32_e32 v17, 29, v19
	v_mov_b32_e32 v16, v15
	v_cmp_gt_i64_e64 s[30:31], 0, v[16:17]
	v_not_b32_e32 v16, v17
	v_ashrrev_i32_e32 v16, 31, v16
	v_xor_b32_e32 v17, s31, v16
	v_xor_b32_e32 v16, s30, v16
	v_and_b32_e32 v182, v182, v17
	v_and_b32_e32 v183, v183, v16
	;; [unrolled: 9-line block ×7, first 2 shown]
	v_mbcnt_lo_u32_b32 v19, v16, 0
	v_mbcnt_hi_u32_b32 v41, v17, v19
	v_cmp_eq_u32_e64 s[30:31], 0, v41
	v_cmp_ne_u64_e64 s[36:37], 0, v[16:17]
	s_and_b64 s[36:37], s[36:37], s[30:31]
	; wave barrier
	s_and_saveexec_b64 s[30:31], s[36:37]
	s_cbranch_execz .LBB913_80
; %bb.79:                               ;   in Loop: Header=BB913_56 Depth=1
	v_bcnt_u32_b32 v16, v16, 0
	v_bcnt_u32_b32 v16, v17, v16
	s_waitcnt vmcnt(0) lgkmcnt(0)
	v_add_u32_e32 v16, v40, v16
	flat_store_dword v[180:181], v16
.LBB913_80:                             ;   in Loop: Header=BB913_56 Depth=1
	s_or_b64 exec, exec, s[30:31]
	v_lshrrev_b32_sdwa v16, v10, v122 dst_sel:DWORD dst_unused:UNUSED_PAD src0_sel:DWORD src1_sel:WORD_0
	v_and_b32_e32 v19, v16, v18
	v_lshlrev_b32_e32 v16, 2, v19
	v_add_lshl_u32 v16, v16, v107, 2
	v_add_co_u32_e64 v182, s[30:31], v1, v16
	v_addc_co_u32_e64 v183, s[30:31], 0, v23, s[30:31]
	; wave barrier
	flat_load_dword v42, v[182:183]
	v_and_b32_e32 v16, 1, v19
	v_add_co_u32_e64 v17, s[30:31], -1, v16
	v_addc_co_u32_e64 v192, s[30:31], 0, -1, s[30:31]
	v_cmp_ne_u32_e64 s[30:31], 0, v16
	v_xor_b32_e32 v16, s31, v192
	v_xor_b32_e32 v17, s30, v17
	v_and_b32_e32 v192, exec_hi, v16
	v_and_b32_e32 v193, exec_lo, v17
	v_lshlrev_b32_e32 v17, 30, v19
	v_mov_b32_e32 v16, v15
	v_cmp_gt_i64_e64 s[30:31], 0, v[16:17]
	v_not_b32_e32 v16, v17
	v_ashrrev_i32_e32 v16, 31, v16
	v_xor_b32_e32 v17, s31, v16
	v_xor_b32_e32 v16, s30, v16
	v_and_b32_e32 v192, v192, v17
	v_and_b32_e32 v193, v193, v16
	v_lshlrev_b32_e32 v17, 29, v19
	v_mov_b32_e32 v16, v15
	v_cmp_gt_i64_e64 s[30:31], 0, v[16:17]
	v_not_b32_e32 v16, v17
	v_ashrrev_i32_e32 v16, 31, v16
	v_xor_b32_e32 v17, s31, v16
	v_xor_b32_e32 v16, s30, v16
	v_and_b32_e32 v192, v192, v17
	v_and_b32_e32 v193, v193, v16
	;; [unrolled: 9-line block ×7, first 2 shown]
	v_mbcnt_lo_u32_b32 v19, v16, 0
	v_mbcnt_hi_u32_b32 v43, v17, v19
	v_cmp_eq_u32_e64 s[30:31], 0, v43
	v_cmp_ne_u64_e64 s[36:37], 0, v[16:17]
	s_and_b64 s[36:37], s[36:37], s[30:31]
	; wave barrier
	s_and_saveexec_b64 s[30:31], s[36:37]
	s_cbranch_execz .LBB913_82
; %bb.81:                               ;   in Loop: Header=BB913_56 Depth=1
	v_bcnt_u32_b32 v16, v16, 0
	v_bcnt_u32_b32 v16, v17, v16
	s_waitcnt vmcnt(0) lgkmcnt(0)
	v_add_u32_e32 v16, v42, v16
	flat_store_dword v[182:183], v16
.LBB913_82:                             ;   in Loop: Header=BB913_56 Depth=1
	s_or_b64 exec, exec, s[30:31]
	v_lshrrev_b32_sdwa v16, v10, v121 dst_sel:DWORD dst_unused:UNUSED_PAD src0_sel:DWORD src1_sel:WORD_0
	v_and_b32_e32 v19, v16, v18
	v_lshlrev_b32_e32 v16, 2, v19
	v_add_lshl_u32 v16, v16, v107, 2
	v_add_co_u32_e64 v192, s[30:31], v1, v16
	v_addc_co_u32_e64 v193, s[30:31], 0, v23, s[30:31]
	; wave barrier
	flat_load_dword v44, v[192:193]
	v_and_b32_e32 v16, 1, v19
	v_add_co_u32_e64 v17, s[30:31], -1, v16
	v_addc_co_u32_e64 v194, s[30:31], 0, -1, s[30:31]
	v_cmp_ne_u32_e64 s[30:31], 0, v16
	v_xor_b32_e32 v16, s31, v194
	v_xor_b32_e32 v17, s30, v17
	v_and_b32_e32 v194, exec_hi, v16
	v_and_b32_e32 v195, exec_lo, v17
	v_lshlrev_b32_e32 v17, 30, v19
	v_mov_b32_e32 v16, v15
	v_cmp_gt_i64_e64 s[30:31], 0, v[16:17]
	v_not_b32_e32 v16, v17
	v_ashrrev_i32_e32 v16, 31, v16
	v_xor_b32_e32 v17, s31, v16
	v_xor_b32_e32 v16, s30, v16
	v_and_b32_e32 v194, v194, v17
	v_and_b32_e32 v195, v195, v16
	v_lshlrev_b32_e32 v17, 29, v19
	v_mov_b32_e32 v16, v15
	v_cmp_gt_i64_e64 s[30:31], 0, v[16:17]
	v_not_b32_e32 v16, v17
	v_ashrrev_i32_e32 v16, 31, v16
	v_xor_b32_e32 v17, s31, v16
	v_xor_b32_e32 v16, s30, v16
	v_and_b32_e32 v194, v194, v17
	v_and_b32_e32 v195, v195, v16
	;; [unrolled: 9-line block ×7, first 2 shown]
	v_mbcnt_lo_u32_b32 v19, v16, 0
	v_mbcnt_hi_u32_b32 v45, v17, v19
	v_cmp_eq_u32_e64 s[30:31], 0, v45
	v_cmp_ne_u64_e64 s[36:37], 0, v[16:17]
	s_and_b64 s[36:37], s[36:37], s[30:31]
	; wave barrier
	s_and_saveexec_b64 s[30:31], s[36:37]
	s_cbranch_execz .LBB913_84
; %bb.83:                               ;   in Loop: Header=BB913_56 Depth=1
	v_bcnt_u32_b32 v16, v16, 0
	v_bcnt_u32_b32 v16, v17, v16
	s_waitcnt vmcnt(0) lgkmcnt(0)
	v_add_u32_e32 v16, v44, v16
	flat_store_dword v[192:193], v16
.LBB913_84:                             ;   in Loop: Header=BB913_56 Depth=1
	s_or_b64 exec, exec, s[30:31]
	v_lshrrev_b32_sdwa v16, v10, v120 dst_sel:DWORD dst_unused:UNUSED_PAD src0_sel:DWORD src1_sel:WORD_0
	v_and_b32_e32 v19, v16, v18
	v_lshlrev_b32_e32 v16, 2, v19
	v_add_lshl_u32 v16, v16, v107, 2
	v_add_co_u32_e64 v194, s[30:31], v1, v16
	v_addc_co_u32_e64 v195, s[30:31], 0, v23, s[30:31]
	; wave barrier
	flat_load_dword v46, v[194:195]
	v_and_b32_e32 v16, 1, v19
	v_add_co_u32_e64 v17, s[30:31], -1, v16
	v_addc_co_u32_e64 v196, s[30:31], 0, -1, s[30:31]
	v_cmp_ne_u32_e64 s[30:31], 0, v16
	v_xor_b32_e32 v16, s31, v196
	v_xor_b32_e32 v17, s30, v17
	v_and_b32_e32 v196, exec_hi, v16
	v_and_b32_e32 v197, exec_lo, v17
	v_lshlrev_b32_e32 v17, 30, v19
	v_mov_b32_e32 v16, v15
	v_cmp_gt_i64_e64 s[30:31], 0, v[16:17]
	v_not_b32_e32 v16, v17
	v_ashrrev_i32_e32 v16, 31, v16
	v_xor_b32_e32 v17, s31, v16
	v_xor_b32_e32 v16, s30, v16
	v_and_b32_e32 v196, v196, v17
	v_and_b32_e32 v197, v197, v16
	v_lshlrev_b32_e32 v17, 29, v19
	v_mov_b32_e32 v16, v15
	v_cmp_gt_i64_e64 s[30:31], 0, v[16:17]
	v_not_b32_e32 v16, v17
	v_ashrrev_i32_e32 v16, 31, v16
	v_xor_b32_e32 v17, s31, v16
	v_xor_b32_e32 v16, s30, v16
	v_and_b32_e32 v196, v196, v17
	v_and_b32_e32 v197, v197, v16
	v_lshlrev_b32_e32 v17, 28, v19
	v_mov_b32_e32 v16, v15
	v_cmp_gt_i64_e64 s[30:31], 0, v[16:17]
	v_not_b32_e32 v16, v17
	v_ashrrev_i32_e32 v16, 31, v16
	v_xor_b32_e32 v17, s31, v16
	v_xor_b32_e32 v16, s30, v16
	v_and_b32_e32 v196, v196, v17
	v_and_b32_e32 v197, v197, v16
	v_lshlrev_b32_e32 v17, 27, v19
	v_mov_b32_e32 v16, v15
	v_cmp_gt_i64_e64 s[30:31], 0, v[16:17]
	v_not_b32_e32 v16, v17
	v_ashrrev_i32_e32 v16, 31, v16
	v_xor_b32_e32 v17, s31, v16
	v_xor_b32_e32 v16, s30, v16
	v_and_b32_e32 v196, v196, v17
	v_and_b32_e32 v197, v197, v16
	v_lshlrev_b32_e32 v17, 26, v19
	v_mov_b32_e32 v16, v15
	v_cmp_gt_i64_e64 s[30:31], 0, v[16:17]
	v_not_b32_e32 v16, v17
	v_ashrrev_i32_e32 v16, 31, v16
	v_xor_b32_e32 v17, s31, v16
	v_xor_b32_e32 v16, s30, v16
	v_and_b32_e32 v196, v196, v17
	v_and_b32_e32 v197, v197, v16
	v_lshlrev_b32_e32 v17, 25, v19
	v_mov_b32_e32 v16, v15
	v_cmp_gt_i64_e64 s[30:31], 0, v[16:17]
	v_not_b32_e32 v16, v17
	v_ashrrev_i32_e32 v16, 31, v16
	v_xor_b32_e32 v17, s31, v16
	v_xor_b32_e32 v16, s30, v16
	v_and_b32_e32 v196, v196, v17
	v_and_b32_e32 v197, v197, v16
	v_lshlrev_b32_e32 v17, 24, v19
	v_mov_b32_e32 v16, v15
	v_cmp_gt_i64_e64 s[30:31], 0, v[16:17]
	v_not_b32_e32 v16, v17
	v_ashrrev_i32_e32 v16, 31, v16
	v_xor_b32_e32 v17, s31, v16
	v_xor_b32_e32 v16, s30, v16
	v_and_b32_e32 v16, v197, v16
	v_and_b32_e32 v17, v196, v17
	v_mbcnt_lo_u32_b32 v19, v16, 0
	v_mbcnt_hi_u32_b32 v47, v17, v19
	v_cmp_eq_u32_e64 s[30:31], 0, v47
	v_cmp_ne_u64_e64 s[36:37], 0, v[16:17]
	s_and_b64 s[36:37], s[36:37], s[30:31]
	; wave barrier
	s_and_saveexec_b64 s[30:31], s[36:37]
	s_cbranch_execz .LBB913_86
; %bb.85:                               ;   in Loop: Header=BB913_56 Depth=1
	v_bcnt_u32_b32 v16, v16, 0
	v_bcnt_u32_b32 v16, v17, v16
	s_waitcnt vmcnt(0) lgkmcnt(0)
	v_add_u32_e32 v16, v46, v16
	flat_store_dword v[194:195], v16
.LBB913_86:                             ;   in Loop: Header=BB913_56 Depth=1
	s_or_b64 exec, exec, s[30:31]
	v_lshrrev_b32_sdwa v16, v10, v111 dst_sel:DWORD dst_unused:UNUSED_PAD src0_sel:DWORD src1_sel:WORD_0
	v_and_b32_e32 v19, v16, v18
	v_lshlrev_b32_e32 v16, 2, v19
	v_add_lshl_u32 v16, v16, v107, 2
	v_add_co_u32_e64 v196, s[30:31], v1, v16
	v_addc_co_u32_e64 v197, s[30:31], 0, v23, s[30:31]
	; wave barrier
	flat_load_dword v56, v[196:197]
	v_and_b32_e32 v16, 1, v19
	v_add_co_u32_e64 v17, s[30:31], -1, v16
	v_addc_co_u32_e64 v198, s[30:31], 0, -1, s[30:31]
	v_cmp_ne_u32_e64 s[30:31], 0, v16
	v_xor_b32_e32 v16, s31, v198
	v_xor_b32_e32 v17, s30, v17
	v_and_b32_e32 v198, exec_hi, v16
	v_and_b32_e32 v199, exec_lo, v17
	v_lshlrev_b32_e32 v17, 30, v19
	v_mov_b32_e32 v16, v15
	v_cmp_gt_i64_e64 s[30:31], 0, v[16:17]
	v_not_b32_e32 v16, v17
	v_ashrrev_i32_e32 v16, 31, v16
	v_xor_b32_e32 v17, s31, v16
	v_xor_b32_e32 v16, s30, v16
	v_and_b32_e32 v198, v198, v17
	v_and_b32_e32 v199, v199, v16
	v_lshlrev_b32_e32 v17, 29, v19
	v_mov_b32_e32 v16, v15
	v_cmp_gt_i64_e64 s[30:31], 0, v[16:17]
	v_not_b32_e32 v16, v17
	v_ashrrev_i32_e32 v16, 31, v16
	v_xor_b32_e32 v17, s31, v16
	v_xor_b32_e32 v16, s30, v16
	v_and_b32_e32 v198, v198, v17
	v_and_b32_e32 v199, v199, v16
	;; [unrolled: 9-line block ×7, first 2 shown]
	v_mbcnt_lo_u32_b32 v19, v16, 0
	v_mbcnt_hi_u32_b32 v57, v17, v19
	v_cmp_eq_u32_e64 s[30:31], 0, v57
	v_cmp_ne_u64_e64 s[36:37], 0, v[16:17]
	s_and_b64 s[36:37], s[36:37], s[30:31]
	; wave barrier
	s_and_saveexec_b64 s[30:31], s[36:37]
	s_cbranch_execz .LBB913_88
; %bb.87:                               ;   in Loop: Header=BB913_56 Depth=1
	v_bcnt_u32_b32 v16, v16, 0
	v_bcnt_u32_b32 v16, v17, v16
	s_waitcnt vmcnt(0) lgkmcnt(0)
	v_add_u32_e32 v16, v56, v16
	flat_store_dword v[196:197], v16
.LBB913_88:                             ;   in Loop: Header=BB913_56 Depth=1
	s_or_b64 exec, exec, s[30:31]
	v_lshrrev_b32_sdwa v16, v10, v110 dst_sel:DWORD dst_unused:UNUSED_PAD src0_sel:DWORD src1_sel:WORD_0
	v_and_b32_e32 v18, v16, v18
	v_lshlrev_b32_e32 v16, 2, v18
	v_add_lshl_u32 v16, v16, v107, 2
	v_add_co_u32_e64 v198, s[30:31], v1, v16
	v_addc_co_u32_e64 v199, s[30:31], 0, v23, s[30:31]
	; wave barrier
	flat_load_dword v58, v[198:199]
	v_and_b32_e32 v16, 1, v18
	v_add_co_u32_e64 v17, s[30:31], -1, v16
	v_addc_co_u32_e64 v19, s[30:31], 0, -1, s[30:31]
	v_cmp_ne_u32_e64 s[30:31], 0, v16
	v_xor_b32_e32 v16, s31, v19
	v_xor_b32_e32 v17, s30, v17
	v_and_b32_e32 v19, exec_hi, v16
	v_and_b32_e32 v209, exec_lo, v17
	v_lshlrev_b32_e32 v17, 30, v18
	v_mov_b32_e32 v16, v15
	v_cmp_gt_i64_e64 s[30:31], 0, v[16:17]
	v_not_b32_e32 v16, v17
	v_ashrrev_i32_e32 v16, 31, v16
	v_xor_b32_e32 v17, s31, v16
	v_xor_b32_e32 v16, s30, v16
	v_and_b32_e32 v19, v19, v17
	v_and_b32_e32 v209, v209, v16
	v_lshlrev_b32_e32 v17, 29, v18
	v_mov_b32_e32 v16, v15
	v_cmp_gt_i64_e64 s[30:31], 0, v[16:17]
	v_not_b32_e32 v16, v17
	v_ashrrev_i32_e32 v16, 31, v16
	v_xor_b32_e32 v17, s31, v16
	v_xor_b32_e32 v16, s30, v16
	v_and_b32_e32 v19, v19, v17
	v_and_b32_e32 v209, v209, v16
	;; [unrolled: 9-line block ×7, first 2 shown]
	v_mbcnt_lo_u32_b32 v18, v16, 0
	v_mbcnt_hi_u32_b32 v59, v17, v18
	v_cmp_eq_u32_e64 s[30:31], 0, v59
	v_cmp_ne_u64_e64 s[36:37], 0, v[16:17]
	s_and_b64 s[36:37], s[36:37], s[30:31]
	; wave barrier
	s_and_saveexec_b64 s[30:31], s[36:37]
	s_cbranch_execz .LBB913_90
; %bb.89:                               ;   in Loop: Header=BB913_56 Depth=1
	v_bcnt_u32_b32 v16, v16, 0
	v_bcnt_u32_b32 v16, v17, v16
	s_waitcnt vmcnt(0) lgkmcnt(0)
	v_add_u32_e32 v16, v58, v16
	flat_store_dword v[198:199], v16
.LBB913_90:                             ;   in Loop: Header=BB913_56 Depth=1
	s_or_b64 exec, exec, s[30:31]
	; wave barrier
	s_waitcnt lgkmcnt(0)
	s_barrier
	flat_load_dwordx4 v[16:19], v[32:33] offset:16
	s_waitcnt vmcnt(0) lgkmcnt(0)
	v_add_u32_e32 v209, v17, v16
	v_add3_u32 v19, v209, v18, v19
	s_nop 1
	v_mov_b32_dpp v209, v19 row_shr:1 row_mask:0xf bank_mask:0xf
	v_cndmask_b32_e64 v209, v209, 0, vcc
	v_add_u32_e32 v19, v209, v19
	s_nop 1
	v_mov_b32_dpp v209, v19 row_shr:2 row_mask:0xf bank_mask:0xf
	v_cndmask_b32_e64 v209, 0, v209, s[4:5]
	v_add_u32_e32 v19, v19, v209
	s_nop 1
	v_mov_b32_dpp v209, v19 row_shr:4 row_mask:0xf bank_mask:0xf
	v_cndmask_b32_e64 v209, 0, v209, s[6:7]
	v_add_u32_e32 v19, v19, v209
	s_nop 1
	v_mov_b32_dpp v209, v19 row_shr:8 row_mask:0xf bank_mask:0xf
	v_cndmask_b32_e64 v209, 0, v209, s[10:11]
	v_add_u32_e32 v19, v19, v209
	s_nop 1
	v_mov_b32_dpp v209, v19 row_bcast:15 row_mask:0xf bank_mask:0xf
	v_cndmask_b32_e64 v209, v209, 0, s[34:35]
	v_add_u32_e32 v19, v19, v209
	s_nop 1
	v_mov_b32_dpp v209, v19 row_bcast:31 row_mask:0xf bank_mask:0xf
	v_cndmask_b32_e64 v209, 0, v209, s[14:15]
	v_add_u32_e32 v19, v19, v209
	s_and_saveexec_b64 s[30:31], s[16:17]
	s_cbranch_execz .LBB913_92
; %bb.91:                               ;   in Loop: Header=BB913_56 Depth=1
	flat_store_dword v[52:53], v19
.LBB913_92:                             ;   in Loop: Header=BB913_56 Depth=1
	s_or_b64 exec, exec, s[30:31]
	s_waitcnt lgkmcnt(0)
	s_barrier
	s_and_saveexec_b64 s[30:31], s[18:19]
	s_cbranch_execz .LBB913_94
; %bb.93:                               ;   in Loop: Header=BB913_56 Depth=1
	flat_load_dword v209, v[64:65]
	s_waitcnt vmcnt(0) lgkmcnt(0)
	s_nop 0
	v_mov_b32_dpp v211, v209 row_shr:1 row_mask:0xf bank_mask:0xf
	v_cndmask_b32_e64 v211, v211, 0, s[26:27]
	v_add_u32_e32 v209, v211, v209
	s_nop 1
	v_mov_b32_dpp v211, v209 row_shr:2 row_mask:0xf bank_mask:0xf
	v_cndmask_b32_e64 v211, 0, v211, s[28:29]
	v_add_u32_e32 v209, v209, v211
	flat_store_dword v[64:65], v209
.LBB913_94:                             ;   in Loop: Header=BB913_56 Depth=1
	s_or_b64 exec, exec, s[30:31]
	v_mov_b32_e32 v209, 0
	s_waitcnt lgkmcnt(0)
	s_barrier
	s_and_saveexec_b64 s[30:31], s[20:21]
	s_cbranch_execz .LBB913_96
; %bb.95:                               ;   in Loop: Header=BB913_56 Depth=1
	flat_load_dword v209, v[80:81]
.LBB913_96:                             ;   in Loop: Header=BB913_56 Depth=1
	s_or_b64 exec, exec, s[30:31]
	s_waitcnt vmcnt(0) lgkmcnt(0)
	v_add_u32_e32 v19, v209, v19
	ds_bpermute_b32 v19, v108, v19
	v_mov_b32_e32 v211, v15
	v_mov_b32_e32 v213, v15
	;; [unrolled: 1-line block ×3, first 2 shown]
	v_add_u32_e32 v10, 8, v10
	s_waitcnt lgkmcnt(0)
	v_cndmask_b32_e64 v19, v19, v209, s[22:23]
	v_cndmask_b32_e64 v60, v19, 0, s[24:25]
	v_add_u32_e32 v61, v60, v16
	v_add_u32_e32 v62, v61, v17
	v_add_u32_e32 v63, v62, v18
	flat_store_dwordx4 v[32:33], v[60:63] offset:16
	s_waitcnt lgkmcnt(0)
	s_barrier
	flat_load_dword v16, v[134:135]
	flat_load_dword v17, v[144:145]
	;; [unrolled: 1-line block ×4, first 2 shown]
	s_nop 0
	flat_load_dword v134, v[150:151]
	flat_load_dword v135, v[160:161]
	;; [unrolled: 1-line block ×8, first 2 shown]
	s_nop 0
	flat_load_dword v150, v[182:183]
	flat_load_dword v151, v[192:193]
	;; [unrolled: 1-line block ×5, first 2 shown]
	v_mov_b32_e32 v183, v15
	v_mov_b32_e32 v195, v15
	;; [unrolled: 1-line block ×9, first 2 shown]
	v_cmp_lt_u32_e64 s[30:31], v10, v11
	s_mov_b64 s[40:41], -1
	s_waitcnt lgkmcnt(0)
                                        ; implicit-def: $vgpr198_vgpr199
                                        ; implicit-def: $agpr0_agpr1
                                        ; implicit-def: $agpr2_agpr3
                                        ; implicit-def: $vgpr143
                                        ; implicit-def: $vgpr152
                                        ; implicit-def: $vgpr153
                                        ; implicit-def: $vgpr154
                                        ; implicit-def: $vgpr155
                                        ; implicit-def: $vgpr156
                                        ; implicit-def: $vgpr157
                                        ; implicit-def: $vgpr158
                                        ; implicit-def: $vgpr159
                                        ; implicit-def: $vgpr168
                                        ; implicit-def: $vgpr169
                                        ; implicit-def: $vgpr170
                                        ; implicit-def: $vgpr171
                                        ; implicit-def: $vgpr172
                                        ; implicit-def: $vgpr173
                                        ; implicit-def: $vgpr174
                                        ; implicit-def: $vgpr175
	s_waitcnt vmcnt(0) lgkmcnt(0)
	v_add_u32_e32 v14, v16, v14
	v_add3_u32 v182, v210, v208, v17
	v_lshlrev_b64 v[16:17], 1, v[14:15]
	v_add3_u32 v194, v214, v212, v18
	v_add3_u32 v196, v224, v215, v19
	v_lshlrev_b64 v[18:19], 1, v[182:183]
	v_add3_u32 v208, v227, v226, v134
	;; [unrolled: 3-line block ×3, first 2 shown]
	v_add3_u32 v224, v241, v240, v145
	v_add3_u32 v180, v41, v40, v149
	v_add_co_u32_e64 v40, s[36:37], v12, v16
	v_addc_co_u32_e64 v41, s[36:37], v13, v17, s[36:37]
	v_add3_u32 v178, v43, v42, v150
	v_add_co_u32_e64 v42, s[36:37], v12, v18
	v_addc_co_u32_e64 v43, s[36:37], v13, v19, s[36:37]
	v_add3_u32 v176, v45, v44, v151
	v_add_co_u32_e64 v44, s[36:37], v12, v134
	v_lshlrev_b64 v[144:145], 1, v[196:197]
	v_addc_co_u32_e64 v45, s[36:37], v13, v135, s[36:37]
	v_add3_u32 v164, v47, v46, v160
	v_add_co_u32_e64 v46, s[36:37], v12, v144
	v_add3_u32 v226, v243, v242, v146
	v_add3_u32 v214, v245, v244, v147
	v_lshlrev_b64 v[146:147], 1, v[208:209]
	v_addc_co_u32_e64 v47, s[36:37], v13, v145, s[36:37]
	v_add3_u32 v162, v57, v56, v161
	v_add_co_u32_e64 v56, s[36:37], v12, v146
	v_add3_u32 v192, v247, v246, v148
	v_lshlrev_b64 v[148:149], 1, v[210:211]
	v_addc_co_u32_e64 v57, s[36:37], v13, v147, s[36:37]
	v_add3_u32 v160, v59, v58, v163
	v_add_co_u32_e64 v58, s[36:37], v12, v148
	v_lshlrev_b64 v[150:151], 1, v[212:213]
	v_addc_co_u32_e64 v59, s[36:37], v13, v149, s[36:37]
	v_add_co_u32_e64 v60, s[36:37], v12, v150
	v_lshlrev_b64 v[166:167], 1, v[224:225]
	v_addc_co_u32_e64 v61, s[36:37], v13, v151, s[36:37]
	v_add_co_u32_e64 v62, s[36:37], v12, v166
	v_mov_b32_e32 v227, v15
	v_addc_co_u32_e64 v63, s[36:37], v13, v167, s[36:37]
	v_lshlrev_b64 v[16:17], 1, v[226:227]
	v_add_co_u32_e64 v72, s[36:37], v12, v16
	v_mov_b32_e32 v215, v15
	v_addc_co_u32_e64 v73, s[36:37], v13, v17, s[36:37]
	v_lshlrev_b64 v[16:17], 1, v[214:215]
	v_add_co_u32_e64 v74, s[36:37], v12, v16
	v_addc_co_u32_e64 v75, s[36:37], v13, v17, s[36:37]
	v_lshlrev_b64 v[16:17], 1, v[192:193]
	v_add_co_u32_e64 v76, s[36:37], v12, v16
	;; [unrolled: 3-line block ×6, first 2 shown]
	v_mov_b32_e32 v163, v15
	v_addc_co_u32_e64 v93, s[36:37], v13, v17, s[36:37]
	v_lshlrev_b64 v[16:17], 1, v[162:163]
	v_add_co_u32_e64 v94, s[36:37], v12, v16
	v_mov_b32_e32 v161, v15
	v_addc_co_u32_e64 v95, s[36:37], v13, v17, s[36:37]
	v_lshlrev_b64 v[16:17], 1, v[160:161]
	v_add_co_u32_e64 v104, s[36:37], v12, v16
	v_addc_co_u32_e64 v105, s[36:37], v13, v17, s[36:37]
                                        ; implicit-def: $vgpr16_vgpr17
                                        ; implicit-def: $vgpr18_vgpr19
                                        ; implicit-def: $vgpr134_vgpr135
                                        ; implicit-def: $vgpr144_vgpr145
                                        ; implicit-def: $vgpr146_vgpr147
                                        ; implicit-def: $vgpr148_vgpr149
                                        ; implicit-def: $vgpr150_vgpr151
                                        ; implicit-def: $vgpr166_vgpr167
                                        ; implicit-def: $vgpr228_vgpr229
                                        ; implicit-def: $vgpr230_vgpr231
                                        ; implicit-def: $vgpr240_vgpr241
                                        ; implicit-def: $vgpr242_vgpr243
                                        ; implicit-def: $vgpr244_vgpr245
                                        ; implicit-def: $vgpr246_vgpr247
	s_and_saveexec_b64 s[36:37], s[30:31]
	s_cbranch_execz .LBB913_55
; %bb.97:                               ;   in Loop: Header=BB913_56 Depth=1
	v_mad_u64_u32 v[16:17], s[30:31], v14, 6, v[40:41]
	s_barrier
	flat_store_short v[40:41], v142
	flat_store_short v[42:43], v141
	;; [unrolled: 1-line block ×17, first 2 shown]
	s_waitcnt lgkmcnt(0)
	s_barrier
	flat_load_ushort v143, v[84:85]
	flat_load_ushort v152, v[84:85] offset:128
	flat_load_ushort v153, v[84:85] offset:256
	;; [unrolled: 1-line block ×16, first 2 shown]
	s_waitcnt lgkmcnt(0)
	s_barrier
	flat_store_dwordx2 v[16:17], v[98:99]
	v_mad_u64_u32 v[16:17], s[30:31], v182, 6, v[42:43]
	flat_store_dwordx2 v[16:17], v[86:87]
	v_mad_u64_u32 v[16:17], s[30:31], v194, 6, v[44:45]
	;; [unrolled: 2-line block ×16, first 2 shown]
	flat_store_dwordx2 v[16:17], v[4:5]
	s_waitcnt lgkmcnt(0)
	s_barrier
	flat_load_dwordx2 v[16:17], v[96:97]
	flat_load_dwordx2 v[18:19], v[96:97] offset:512
	flat_load_dwordx2 v[134:135], v[96:97] offset:1024
	;; [unrolled: 1-line block ×7, first 2 shown]
	flat_load_dwordx2 v[198:199], v[100:101]
	flat_load_dwordx2 v[228:229], v[102:103]
	;; [unrolled: 1-line block ×9, first 2 shown]
	v_add_u32_e32 v109, -8, v109
	s_xor_b64 s[40:41], exec, -1
	s_waitcnt lgkmcnt(0)
	s_barrier
	s_branch .LBB913_55
.LBB913_98:
	s_or_b64 exec, exec, s[38:39]
	v_lshlrev_b32_e32 v1, 1, v22
	v_add_co_u32_e32 v10, vcc, v12, v1
	v_or_b32_e32 v1, 0x800, v22
	v_addc_co_u32_e32 v11, vcc, 0, v13, vcc
	s_waitcnt vmcnt(0)
	v_lshlrev_b32_e32 v16, 1, v1
	v_add_co_u32_e32 v16, vcc, v12, v16
	v_addc_co_u32_e32 v17, vcc, 0, v13, vcc
	s_movk_i32 s4, 0x1000
	s_barrier
	flat_store_short v[40:41], v142
	flat_store_short v[42:43], v141
	;; [unrolled: 1-line block ×17, first 2 shown]
	s_waitcnt lgkmcnt(0)
	s_barrier
	flat_load_ushort v116, v[10:11]
	flat_load_ushort v115, v[10:11] offset:512
	flat_load_ushort v114, v[10:11] offset:1024
	;; [unrolled: 1-line block ×7, first 2 shown]
	v_add_co_u32_e32 v10, vcc, s4, v10
	v_or_b32_e32 v23, 0xc00, v22
	v_addc_co_u32_e32 v11, vcc, 0, v11, vcc
	v_lshlrev_b32_e32 v18, 1, v23
	v_add_co_u32_e32 v18, vcc, v12, v18
	v_or_b32_e32 v117, 0x1000, v22
	v_addc_co_u32_e32 v19, vcc, 0, v13, vcc
	flat_load_ushort v101, v[16:17]
	flat_load_ushort v97, v[10:11] offset:512
	flat_load_ushort v96, v[10:11] offset:1024
	;; [unrolled: 1-line block ×5, first 2 shown]
	flat_load_ushort v84, v[18:19]
	flat_load_ushort v65, v[10:11] offset:3584
	v_lshlrev_b32_e32 v10, 1, v117
	v_add_co_u32_e32 v10, vcc, v12, v10
	v_addc_co_u32_e32 v11, vcc, 0, v13, vcc
	flat_load_ushort v64, v[10:11]
	v_lshlrev_b64 v[10:11], 3, v[14:15]
	v_add_co_u32_e32 v10, vcc, v12, v10
	v_addc_co_u32_e32 v11, vcc, v13, v11, vcc
	s_waitcnt lgkmcnt(0)
	s_barrier
	flat_store_dwordx2 v[10:11], v[98:99]
	v_lshlrev_b64 v[10:11], 3, v[182:183]
	v_add_co_u32_e32 v10, vcc, v12, v10
	v_addc_co_u32_e32 v11, vcc, v13, v11, vcc
	flat_store_dwordx2 v[10:11], v[86:87]
	v_lshlrev_b64 v[10:11], 3, v[194:195]
	v_add_co_u32_e32 v10, vcc, v12, v10
	v_addc_co_u32_e32 v11, vcc, v13, v11, vcc
	;; [unrolled: 4-line block ×16, first 2 shown]
	flat_store_dwordx2 v[10:11], v[4:5]
	v_lshlrev_b32_e32 v4, 3, v22
	v_add_co_u32_e32 v4, vcc, v12, v4
	v_addc_co_u32_e32 v5, vcc, 0, v13, vcc
	v_add_co_u32_e32 v10, vcc, s4, v4
	s_waitcnt lgkmcnt(0)
	s_barrier
	v_addc_co_u32_e32 v11, vcc, 0, v5, vcc
	flat_load_dwordx2 v[52:53], v[4:5]
	flat_load_dwordx2 v[50:51], v[4:5] offset:2048
	flat_load_dwordx2 v[48:49], v[10:11]
	flat_load_dwordx2 v[36:37], v[10:11] offset:2048
	v_mov_b32_e32 v10, 0x2000
	v_lshl_or_b32 v10, v22, 3, v10
	v_add_co_u32_e32 v10, vcc, v12, v10
	s_movk_i32 s4, 0x2000
	v_addc_co_u32_e32 v11, vcc, 0, v13, vcc
	v_add_co_u32_e32 v14, vcc, s4, v4
	v_addc_co_u32_e32 v15, vcc, 0, v5, vcc
	s_movk_i32 s4, 0x3000
	v_add_co_u32_e32 v16, vcc, s4, v4
	v_addc_co_u32_e32 v17, vcc, 0, v5, vcc
	v_lshlrev_b32_e32 v1, 3, v1
	flat_load_dwordx2 v[38:39], v[10:11]
	flat_load_dwordx2 v[34:35], v[14:15] offset:2048
	flat_load_dwordx2 v[32:33], v[16:17]
	flat_load_dwordx2 v[28:29], v[16:17] offset:2048
	v_add_co_u32_e32 v10, vcc, v12, v1
	v_addc_co_u32_e32 v11, vcc, 0, v13, vcc
	s_movk_i32 s4, 0x4000
	v_add_co_u32_e32 v14, vcc, s4, v4
	v_addc_co_u32_e32 v15, vcc, 0, v5, vcc
	s_movk_i32 s4, 0x5000
	v_add_co_u32_e32 v16, vcc, s4, v4
	v_addc_co_u32_e32 v17, vcc, 0, v5, vcc
	v_lshlrev_b32_e32 v1, 3, v23
	v_add_co_u32_e32 v54, vcc, v12, v1
	v_addc_co_u32_e32 v55, vcc, 0, v13, vcc
	s_movk_i32 s4, 0x6000
	v_add_co_u32_e32 v66, vcc, s4, v4
	v_addc_co_u32_e32 v67, vcc, 0, v5, vcc
	s_movk_i32 s4, 0x7000
	v_add_co_u32_e32 v4, vcc, s4, v4
	v_addc_co_u32_e32 v5, vcc, 0, v5, vcc
	v_lshlrev_b32_e32 v1, 3, v117
	flat_load_dwordx2 v[30:31], v[10:11]
	flat_load_dwordx2 v[26:27], v[14:15] offset:2048
	flat_load_dwordx2 v[24:25], v[16:17]
	flat_load_dwordx2 v[18:19], v[16:17] offset:2048
	flat_load_dwordx2 v[22:23], v[54:55]
	s_nop 0
	flat_load_dwordx2 v[16:17], v[66:67] offset:2048
	flat_load_dwordx2 v[14:15], v[4:5]
	flat_load_dwordx2 v[10:11], v[4:5] offset:2048
	v_add_co_u32_e32 v4, vcc, v12, v1
	v_addc_co_u32_e32 v5, vcc, 0, v13, vcc
	flat_load_dwordx2 v[4:5], v[4:5]
	v_mov_b32_e32 v1, 0
	v_add_co_u32_e32 v12, vcc, v2, v20
	v_addc_co_u32_e32 v13, vcc, v3, v21, vcc
	v_lshlrev_b64 v[2:3], 1, v[0:1]
	v_add_co_u32_e32 v2, vcc, v12, v2
	v_addc_co_u32_e32 v3, vcc, v13, v3, vcc
	v_cmp_lt_u32_e64 s[20:21], v0, v106
	s_waitcnt lgkmcnt(0)
	s_barrier
	s_and_saveexec_b64 s[4:5], s[20:21]
	s_cbranch_execz .LBB913_100
; %bb.99:
	s_waitcnt vmcnt(0)
	v_xor_b32_e32 v12, 0x7fff, v116
	flat_store_short v[2:3], v12
.LBB913_100:
	s_or_b64 exec, exec, s[4:5]
	v_add_u32_e32 v12, 0x100, v0
	v_cmp_lt_u32_e64 s[26:27], v12, v106
	s_and_saveexec_b64 s[4:5], s[26:27]
	s_cbranch_execz .LBB913_102
; %bb.101:
	s_waitcnt vmcnt(0)
	v_xor_b32_e32 v12, 0x7fff, v115
	flat_store_short v[2:3], v12 offset:512
.LBB913_102:
	s_or_b64 exec, exec, s[4:5]
	v_add_u32_e32 v12, 0x200, v0
	v_cmp_lt_u32_e64 s[34:35], v12, v106
	s_and_saveexec_b64 s[4:5], s[34:35]
	s_cbranch_execz .LBB913_104
; %bb.103:
	s_waitcnt vmcnt(0)
	v_xor_b32_e32 v12, 0x7fff, v114
	flat_store_short v[2:3], v12 offset:1024
.LBB913_104:
	;; [unrolled: 10-line block ×7, first 2 shown]
	s_or_b64 exec, exec, s[4:5]
	v_add_u32_e32 v12, 0x800, v0
	v_cmp_lt_u32_e64 s[4:5], v12, v106
	s_and_saveexec_b64 s[10:11], s[4:5]
	s_cbranch_execz .LBB913_116
; %bb.115:
	v_add_co_u32_e32 v12, vcc, 0x1000, v2
	s_waitcnt vmcnt(0)
	v_xor_b32_e32 v20, 0x7fff, v101
	v_addc_co_u32_e32 v13, vcc, 0, v3, vcc
	flat_store_short v[12:13], v20
.LBB913_116:
	s_or_b64 exec, exec, s[10:11]
	v_add_u32_e32 v12, 0x900, v0
	v_cmp_lt_u32_e64 s[10:11], v12, v106
	s_and_saveexec_b64 s[14:15], s[10:11]
	s_cbranch_execz .LBB913_118
; %bb.117:
	v_add_co_u32_e32 v12, vcc, 0x1000, v2
	s_waitcnt vmcnt(0)
	v_xor_b32_e32 v20, 0x7fff, v97
	v_addc_co_u32_e32 v13, vcc, 0, v3, vcc
	flat_store_short v[12:13], v20 offset:512
.LBB913_118:
	s_or_b64 exec, exec, s[14:15]
	v_add_u32_e32 v12, 0xa00, v0
	v_cmp_lt_u32_e64 s[14:15], v12, v106
	s_and_saveexec_b64 s[18:19], s[14:15]
	s_cbranch_execz .LBB913_120
; %bb.119:
	v_add_co_u32_e32 v12, vcc, 0x1000, v2
	s_waitcnt vmcnt(0)
	v_xor_b32_e32 v20, 0x7fff, v96
	v_addc_co_u32_e32 v13, vcc, 0, v3, vcc
	flat_store_short v[12:13], v20 offset:1024
.LBB913_120:
	;; [unrolled: 12-line block ×7, first 2 shown]
	s_or_b64 exec, exec, s[40:41]
	v_add_u32_e32 v12, 0x1000, v0
	v_cmp_lt_u32_e64 s[40:41], v12, v106
	s_and_saveexec_b64 s[48:49], s[40:41]
	s_cbranch_execz .LBB913_132
; %bb.131:
	v_add_co_u32_e32 v2, vcc, 0x2000, v2
	s_waitcnt vmcnt(0)
	v_xor_b32_e32 v12, 0x7fff, v64
	v_addc_co_u32_e32 v3, vcc, 0, v3, vcc
	flat_store_short v[2:3], v12
.LBB913_132:
	s_or_b64 exec, exec, s[48:49]
	v_add_co_u32_e32 v2, vcc, v6, v8
	v_addc_co_u32_e32 v3, vcc, v7, v9, vcc
	v_lshlrev_b64 v[0:1], 3, v[0:1]
	v_add_co_u32_e32 v0, vcc, v2, v0
	v_addc_co_u32_e32 v1, vcc, v3, v1, vcc
	s_and_saveexec_b64 vcc, s[20:21]
	s_cbranch_execnz .LBB913_220
; %bb.133:
	s_or_b64 exec, exec, vcc
	s_and_saveexec_b64 s[20:21], s[26:27]
	s_cbranch_execnz .LBB913_221
.LBB913_134:
	s_or_b64 exec, exec, s[20:21]
	s_and_saveexec_b64 s[20:21], s[34:35]
	s_cbranch_execnz .LBB913_222
.LBB913_135:
	s_or_b64 exec, exec, s[20:21]
	s_and_saveexec_b64 s[20:21], s[28:29]
	s_cbranch_execnz .LBB913_223
.LBB913_136:
	s_or_b64 exec, exec, s[20:21]
	s_and_saveexec_b64 s[20:21], s[22:23]
	s_cbranch_execnz .LBB913_224
.LBB913_137:
	s_or_b64 exec, exec, s[20:21]
	s_and_saveexec_b64 s[20:21], s[16:17]
	s_cbranch_execnz .LBB913_225
.LBB913_138:
	s_or_b64 exec, exec, s[20:21]
	s_and_saveexec_b64 s[16:17], s[42:43]
	s_cbranch_execnz .LBB913_226
.LBB913_139:
	s_or_b64 exec, exec, s[16:17]
	s_and_saveexec_b64 s[16:17], s[6:7]
	s_cbranch_execnz .LBB913_227
.LBB913_140:
	s_or_b64 exec, exec, s[16:17]
	s_and_saveexec_b64 s[6:7], s[4:5]
	s_cbranch_execnz .LBB913_228
.LBB913_141:
	s_or_b64 exec, exec, s[6:7]
	s_and_saveexec_b64 s[4:5], s[10:11]
	s_cbranch_execnz .LBB913_229
.LBB913_142:
	s_or_b64 exec, exec, s[4:5]
	s_and_saveexec_b64 s[4:5], s[14:15]
	s_cbranch_execnz .LBB913_230
.LBB913_143:
	s_or_b64 exec, exec, s[4:5]
	s_and_saveexec_b64 s[4:5], s[18:19]
	s_cbranch_execnz .LBB913_231
.LBB913_144:
	s_or_b64 exec, exec, s[4:5]
	s_and_saveexec_b64 s[4:5], s[24:25]
	s_cbranch_execnz .LBB913_232
.LBB913_145:
	s_or_b64 exec, exec, s[4:5]
	s_and_saveexec_b64 s[4:5], s[30:31]
	s_cbranch_execnz .LBB913_233
.LBB913_146:
	s_or_b64 exec, exec, s[4:5]
	s_and_saveexec_b64 s[4:5], s[36:37]
	s_cbranch_execnz .LBB913_234
.LBB913_147:
	s_or_b64 exec, exec, s[4:5]
	s_and_saveexec_b64 s[4:5], s[38:39]
	s_cbranch_execnz .LBB913_235
.LBB913_148:
	s_or_b64 exec, exec, s[4:5]
	s_and_saveexec_b64 s[4:5], s[40:41]
	s_cbranch_execz .LBB913_150
.LBB913_149:
	v_add_co_u32_e32 v0, vcc, 0x8000, v0
	v_addc_co_u32_e32 v1, vcc, 0, v1, vcc
	s_waitcnt vmcnt(0)
	flat_store_dwordx2 v[0:1], v[4:5]
.LBB913_150:
	s_or_b64 exec, exec, s[4:5]
                                        ; implicit-def: $vgpr106
                                        ; implicit-def: $vgpr0
                                        ; implicit-def: $vgpr1
                                        ; implicit-def: $vgpr2
                                        ; implicit-def: $vgpr3
                                        ; implicit-def: $vgpr4
                                        ; implicit-def: $vgpr5
                                        ; implicit-def: $vgpr6
                                        ; implicit-def: $vgpr7
                                        ; implicit-def: $vgpr8
                                        ; implicit-def: $vgpr10
                                        ; implicit-def: $vgpr11
                                        ; implicit-def: $vgpr12
                                        ; implicit-def: $vgpr13
                                        ; implicit-def: $vgpr31
                                        ; implicit-def: $vgpr14
                                        ; implicit-def: $vgpr16
                                        ; implicit-def: $vgpr15
.LBB913_151:
	s_andn2_saveexec_b64 s[4:5], s[46:47]
	s_cbranch_execz .LBB913_382
; %bb.152:
	s_movk_i32 s4, 0x400
	v_cmp_lt_u32_e32 vcc, s4, v106
	s_and_saveexec_b64 s[4:5], vcc
	s_xor_b64 s[38:39], exec, s[4:5]
	s_cbranch_execz .LBB913_262
; %bb.153:
	s_load_dwordx2 s[4:5], s[8:9], 0x0
	v_mov_b32_e32 v9, 0
	s_waitcnt vmcnt(0)
	v_mbcnt_hi_u32_b32 v32, -1, v15
	v_lshlrev_b64 v[22:23], 1, v[8:9]
	v_and_b32_e32 v34, 63, v32
	s_waitcnt lgkmcnt(0)
	s_cmp_lt_u32 s12, s4
	s_cselect_b32 s6, 12, 18
	s_cmp_lt_u32 s13, s5
	s_cselect_b32 s4, 14, 20
	s_add_u32 s4, s8, s4
	s_addc_u32 s5, s9, 0
	s_add_u32 s6, s8, s6
	global_load_ushort v17, v9, s[4:5]
	s_addc_u32 s7, s9, 0
	global_load_ushort v18, v9, s[6:7]
	v_add_co_u32_e32 v0, vcc, v0, v22
	v_addc_co_u32_e32 v1, vcc, v1, v23, vcc
	v_lshlrev_b32_e32 v15, 1, v34
	v_and_b32_e32 v24, 0x3ff, v31
	v_add_co_u32_e32 v20, vcc, v0, v15
	v_addc_co_u32_e32 v21, vcc, 0, v1, vcc
	v_mov_b32_e32 v19, v9
	s_mov_b32 s4, 0x80008000
	s_mov_b32 s6, s4
	;; [unrolled: 1-line block ×4, first 2 shown]
	s_waitcnt vmcnt(1)
	v_mad_u32_u24 v0, v16, v17, v14
	s_waitcnt vmcnt(0)
	v_mad_u64_u32 v[0:1], s[10:11], v0, v18, v[24:25]
	v_lshlrev_b32_e32 v1, 3, v0
	v_and_b32_e32 v18, 0xfffffe00, v1
	v_lshlrev_b64 v[14:15], 1, v[18:19]
	v_add_co_u32_e32 v20, vcc, v20, v14
	v_or_b32_e32 v1, v18, v34
	v_addc_co_u32_e32 v21, vcc, v21, v15, vcc
	v_pk_mov_b32 v[16:17], s[6:7], s[6:7] op_sel:[0,1]
	v_cmp_lt_u32_e32 vcc, v1, v106
	v_pk_mov_b32 v[14:15], s[4:5], s[4:5] op_sel:[0,1]
	s_and_saveexec_b64 s[4:5], vcc
	s_cbranch_execz .LBB913_155
; %bb.154:
	flat_load_ushort v14, v[20:21]
	s_movk_i32 s6, 0x8000
	v_mov_b32_e32 v17, 0x5040100
	v_mov_b32_e32 v15, 0x80008000
	;; [unrolled: 1-line block ×3, first 2 shown]
	s_waitcnt vmcnt(0) lgkmcnt(0)
	v_perm_b32 v14, s6, v14, v17
	v_mov_b32_e32 v17, v15
.LBB913_155:
	s_or_b64 exec, exec, s[4:5]
	v_or_b32_e32 v25, 64, v1
	v_cmp_lt_u32_e64 s[4:5], v25, v106
	s_and_saveexec_b64 s[6:7], s[4:5]
	s_cbranch_execz .LBB913_157
; %bb.156:
	flat_load_ushort v25, v[20:21] offset:128
	s_mov_b32 s10, 0x5040100
	s_waitcnt vmcnt(0) lgkmcnt(0)
	v_perm_b32 v14, v25, v14, s10
.LBB913_157:
	s_or_b64 exec, exec, s[6:7]
	v_or_b32_e32 v25, 0x80, v1
	v_cmp_lt_u32_e64 s[6:7], v25, v106
	s_and_saveexec_b64 s[10:11], s[6:7]
	s_cbranch_execz .LBB913_159
; %bb.158:
	flat_load_ushort v25, v[20:21] offset:256
	s_mov_b32 s14, 0xffff
	s_waitcnt vmcnt(0) lgkmcnt(0)
	v_bfi_b32 v15, s14, v25, v15
.LBB913_159:
	s_or_b64 exec, exec, s[10:11]
	v_or_b32_e32 v25, 0xc0, v1
	v_cmp_lt_u32_e64 s[10:11], v25, v106
	s_and_saveexec_b64 s[14:15], s[10:11]
	s_cbranch_execz .LBB913_161
; %bb.160:
	flat_load_ushort v25, v[20:21] offset:384
	s_mov_b32 s16, 0x5040100
	s_waitcnt vmcnt(0) lgkmcnt(0)
	v_perm_b32 v15, v25, v15, s16
.LBB913_161:
	s_or_b64 exec, exec, s[14:15]
	v_or_b32_e32 v25, 0x100, v1
	v_cmp_lt_u32_e64 s[20:21], v25, v106
	s_and_saveexec_b64 s[14:15], s[20:21]
	s_cbranch_execz .LBB913_163
; %bb.162:
	flat_load_ushort v25, v[20:21] offset:512
	s_mov_b32 s16, 0xffff
	s_waitcnt vmcnt(0) lgkmcnt(0)
	v_bfi_b32 v16, s16, v25, v16
.LBB913_163:
	;; [unrolled: 22-line block ×3, first 2 shown]
	s_or_b64 exec, exec, s[18:19]
	v_or_b32_e32 v1, 0x1c0, v1
	v_cmp_lt_u32_e64 s[18:19], v1, v106
	s_and_saveexec_b64 s[22:23], s[18:19]
	s_cbranch_execz .LBB913_169
; %bb.168:
	flat_load_ushort v1, v[20:21] offset:896
	s_mov_b32 s24, 0x5040100
	s_waitcnt vmcnt(0) lgkmcnt(0)
	v_perm_b32 v17, v1, v17, s24
.LBB913_169:
	s_or_b64 exec, exec, s[22:23]
	v_lshlrev_b64 v[8:9], 3, v[8:9]
	v_add_co_u32_e64 v1, s[22:23], v4, v8
	v_addc_co_u32_e64 v4, s[22:23], v5, v9, s[22:23]
	v_lshlrev_b32_e32 v5, 3, v34
	v_add_co_u32_e64 v1, s[22:23], v1, v5
	v_addc_co_u32_e64 v20, s[22:23], 0, v4, s[22:23]
	v_lshlrev_b64 v[4:5], 3, v[18:19]
	v_add_co_u32_e64 v4, s[22:23], v1, v4
	v_addc_co_u32_e64 v5, s[22:23], v20, v5, s[22:23]
                                        ; implicit-def: $vgpr18_vgpr19
	s_and_saveexec_b64 s[22:23], vcc
	s_cbranch_execnz .LBB913_295
; %bb.170:
	s_or_b64 exec, exec, s[22:23]
                                        ; implicit-def: $vgpr20_vgpr21
	s_and_saveexec_b64 s[22:23], s[4:5]
	s_cbranch_execnz .LBB913_296
.LBB913_171:
	s_or_b64 exec, exec, s[22:23]
                                        ; implicit-def: $vgpr70_vgpr71
	s_and_saveexec_b64 s[4:5], s[6:7]
	s_cbranch_execnz .LBB913_297
.LBB913_172:
	s_or_b64 exec, exec, s[4:5]
                                        ; implicit-def: $vgpr84_vgpr85
	s_and_saveexec_b64 s[4:5], s[10:11]
	s_cbranch_execnz .LBB913_298
.LBB913_173:
	s_or_b64 exec, exec, s[4:5]
                                        ; implicit-def: $vgpr100_vgpr101
	s_and_saveexec_b64 s[4:5], s[20:21]
	s_cbranch_execnz .LBB913_299
.LBB913_174:
	s_or_b64 exec, exec, s[4:5]
                                        ; implicit-def: $vgpr114_vgpr115
	s_and_saveexec_b64 s[4:5], s[14:15]
	s_cbranch_execnz .LBB913_300
.LBB913_175:
	s_or_b64 exec, exec, s[4:5]
                                        ; implicit-def: $vgpr116_vgpr117
	s_and_saveexec_b64 s[4:5], s[16:17]
	s_cbranch_execnz .LBB913_301
.LBB913_176:
	s_or_b64 exec, exec, s[4:5]
                                        ; implicit-def: $vgpr118_vgpr119
	s_and_saveexec_b64 s[4:5], s[18:19]
	s_cbranch_execz .LBB913_178
.LBB913_177:
	flat_load_dwordx2 v[118:119], v[4:5] offset:3584
.LBB913_178:
	s_or_b64 exec, exec, s[4:5]
	v_xor_b32_e32 v83, 0x7fff7fff, v16
	v_add_co_u32_e32 v1, vcc, 16, v12
	v_and_b32_e32 v16, 0x3c0, v24
	v_xor_b32_e32 v81, 0x7fff7fff, v15
	v_addc_co_u32_e32 v25, vcc, 0, v13, vcc
	v_lshlrev_b32_e32 v15, 4, v24
	v_min_u32_e32 v16, 0xc0, v16
	v_add_co_u32_e32 v26, vcc, v12, v15
	v_or_b32_e32 v16, 63, v16
	v_xor_b32_e32 v87, 0x7fff7fff, v17
	s_getpc_b64 s[4:5]
	s_add_u32 s4, s4, _ZN7rocprim17ROCPRIM_400000_NS16block_radix_sortIsLj256ELj8ElLj1ELj1ELj8ELNS0_26block_radix_rank_algorithmE2ELNS0_18block_padding_hintE2ELNS0_4arch9wavefront6targetE1EE19radix_bits_per_passE@rel32@lo+4
	s_addc_u32 s5, s5, _ZN7rocprim17ROCPRIM_400000_NS16block_radix_sortIsLj256ELj8ElLj1ELj1ELj8ELNS0_26block_radix_rank_algorithmE2ELNS0_18block_padding_hintE2ELNS0_4arch9wavefront6targetE1EE19radix_bits_per_passE@rel32@hi+12
	v_addc_co_u32_e32 v27, vcc, 0, v13, vcc
	v_and_b32_e32 v15, 15, v32
	v_cmp_eq_u32_e64 s[16:17], v16, v24
	v_add_u32_e32 v16, -1, v32
	v_and_b32_e32 v17, 64, v32
	s_load_dword s46, s[4:5], 0x0
	v_cmp_eq_u32_e32 vcc, 0, v15
	v_cmp_lt_u32_e64 s[4:5], 1, v15
	v_cmp_lt_u32_e64 s[6:7], 3, v15
	;; [unrolled: 1-line block ×3, first 2 shown]
	v_and_b32_e32 v15, 16, v32
	v_cmp_lt_i32_e64 s[22:23], v16, v17
	v_cmp_eq_u32_e64 s[30:31], 0, v15
	v_lshrrev_b32_e32 v15, 6, v24
	v_cndmask_b32_e64 v16, v16, v32, s[22:23]
	v_lshlrev_b32_e32 v161, 2, v16
	v_lshlrev_b32_e32 v16, 2, v15
	v_add_co_u32_e64 v28, s[26:27], v12, v16
	v_lshlrev_b32_e32 v4, 2, v24
	v_addc_co_u32_e64 v29, s[26:27], 0, v13, s[26:27]
	v_add_co_u32_e64 v30, s[26:27], v12, v4
	v_addc_co_u32_e64 v31, s[26:27], 0, v13, s[26:27]
	v_and_b32_e32 v4, 3, v32
	v_mov_b32_e32 v5, 0
	v_cmp_eq_u32_e64 s[26:27], 0, v4
	v_cmp_lt_u32_e64 s[28:29], 1, v4
	v_add_u32_e32 v4, -1, v15
	v_lshlrev_b64 v[16:17], 2, v[4:5]
	v_cmp_lt_u32_e64 s[14:15], 31, v32
	v_cmp_eq_u32_e64 s[22:23], 0, v32
	v_add_co_u32_e64 v32, s[34:35], v12, v16
	v_addc_co_u32_e64 v33, s[34:35], v13, v17, s[34:35]
	v_lshlrev_b32_e32 v4, 3, v24
	s_movk_i32 s34, 0x1e00
	v_and_or_b32 v4, v4, s34, v34
	v_lshlrev_b32_e32 v15, 1, v4
	v_add_co_u32_e64 v64, s[34:35], v12, v15
	v_addc_co_u32_e64 v65, s[34:35], 0, v13, s[34:35]
	v_lshrrev_b32_e32 v160, 6, v0
	v_cmp_gt_u32_e64 s[18:19], 4, v24
	v_cmp_lt_u32_e64 s[20:21], 63, v24
	v_cmp_eq_u32_e64 s[24:25], 0, v24
	v_mad_u64_u32 v[68:69], s[34:35], v4, 6, v[64:65]
	v_xor_b32_e32 v166, 0x7fff7fff, v14
	v_sub_u32_e32 v162, v11, v10
	s_mov_b64 s[40:41], 0
	s_mov_b32 s47, 0x5040100
	v_mov_b32_e32 v14, v5
	v_mov_b32_e32 v15, v5
	;; [unrolled: 1-line block ×4, first 2 shown]
	s_waitcnt lgkmcnt(0)
	s_barrier
	s_branch .LBB913_180
.LBB913_179:                            ;   in Loop: Header=BB913_180 Depth=1
	s_or_b64 exec, exec, s[36:37]
	s_and_b64 s[34:35], exec, s[42:43]
	s_or_b64 s[40:41], s[34:35], s[40:41]
	s_andn2_b64 exec, exec, s[40:41]
	s_cbranch_execz .LBB913_236
.LBB913_180:                            ; =>This Inner Loop Header: Depth=1
	v_min_u32_e32 v4, s46, v162
	v_lshlrev_b32_e64 v4, v4, -1
	s_waitcnt vmcnt(0)
	v_pk_mov_b32 v[54:55], v[20:21], v[20:21] op_sel:[0,1]
	v_not_b32_e32 v20, v4
	v_lshrrev_b32_sdwa v4, v10, v166 dst_sel:DWORD dst_unused:UNUSED_PAD src0_sel:DWORD src1_sel:WORD_0
	v_and_b32_e32 v4, v4, v20
	v_pk_mov_b32 v[66:67], v[18:19], v[18:19] op_sel:[0,1]
	v_lshlrev_b32_e32 v18, 2, v4
	v_add_lshl_u32 v18, v18, v160, 2
	v_pk_mov_b32 v[52:53], v[70:71], v[70:71] op_sel:[0,1]
	v_add_co_u32_e64 v70, s[34:35], v1, v18
	v_addc_co_u32_e64 v71, s[34:35], 0, v25, s[34:35]
	v_and_b32_e32 v18, 1, v4
	v_add_co_u32_e64 v19, s[34:35], -1, v18
	v_addc_co_u32_e64 v21, s[34:35], 0, -1, s[34:35]
	v_cmp_ne_u32_e64 s[34:35], 0, v18
	v_xor_b32_e32 v18, s35, v21
	v_xor_b32_e32 v19, s34, v19
	v_and_b32_e32 v21, exec_hi, v18
	v_and_b32_e32 v80, exec_lo, v19
	v_lshlrev_b32_e32 v19, 30, v4
	v_mov_b32_e32 v18, v5
	v_cmp_gt_i64_e64 s[34:35], 0, v[18:19]
	v_not_b32_e32 v18, v19
	v_ashrrev_i32_e32 v18, 31, v18
	v_xor_b32_e32 v19, s35, v18
	v_xor_b32_e32 v18, s34, v18
	v_and_b32_e32 v21, v21, v19
	v_and_b32_e32 v80, v80, v18
	v_lshlrev_b32_e32 v19, 29, v4
	v_mov_b32_e32 v18, v5
	v_cmp_gt_i64_e64 s[34:35], 0, v[18:19]
	v_not_b32_e32 v18, v19
	v_ashrrev_i32_e32 v18, 31, v18
	v_xor_b32_e32 v19, s35, v18
	v_xor_b32_e32 v18, s34, v18
	v_and_b32_e32 v21, v21, v19
	v_and_b32_e32 v80, v80, v18
	;; [unrolled: 9-line block ×5, first 2 shown]
	v_lshlrev_b32_e32 v19, 25, v4
	v_mov_b32_e32 v18, v5
	v_cmp_gt_i64_e64 s[34:35], 0, v[18:19]
	v_not_b32_e32 v18, v19
	v_ashrrev_i32_e32 v18, 31, v18
	v_xor_b32_e32 v19, s35, v18
	v_xor_b32_e32 v18, s34, v18
	v_and_b32_e32 v21, v21, v19
	v_lshlrev_b32_e32 v19, 24, v4
	v_and_b32_e32 v80, v80, v18
	v_mov_b32_e32 v18, v5
	v_not_b32_e32 v4, v19
	v_cmp_gt_i64_e64 s[34:35], 0, v[18:19]
	v_ashrrev_i32_e32 v4, 31, v4
	v_xor_b32_e32 v18, s35, v4
	v_xor_b32_e32 v4, s34, v4
	v_and_b32_e32 v19, v21, v18
	v_and_b32_e32 v18, v80, v4
	v_mbcnt_lo_u32_b32 v4, v18, 0
	v_mbcnt_hi_u32_b32 v4, v19, v4
	v_cmp_eq_u32_e64 s[34:35], 0, v4
	v_cmp_ne_u64_e64 s[36:37], 0, v[18:19]
	v_mov_b32_e32 v163, v87
	v_mov_b32_e32 v164, v83
	;; [unrolled: 1-line block ×3, first 2 shown]
	v_pk_mov_b32 v[50:51], v[84:85], v[84:85] op_sel:[0,1]
	v_pk_mov_b32 v[48:49], v[100:101], v[100:101] op_sel:[0,1]
	;; [unrolled: 1-line block ×5, first 2 shown]
	s_and_b64 s[36:37], s[36:37], s[34:35]
	flat_store_dwordx4 v[26:27], v[14:17] offset:16
	s_waitcnt lgkmcnt(0)
	s_barrier
	s_waitcnt lgkmcnt(0)
	; wave barrier
	s_and_saveexec_b64 s[34:35], s[36:37]
	s_cbranch_execz .LBB913_182
; %bb.181:                              ;   in Loop: Header=BB913_180 Depth=1
	v_bcnt_u32_b32 v18, v18, 0
	v_bcnt_u32_b32 v18, v19, v18
	flat_store_dword v[70:71], v18
.LBB913_182:                            ;   in Loop: Header=BB913_180 Depth=1
	s_or_b64 exec, exec, s[34:35]
	v_lshrrev_b32_e32 v167, 16, v166
	v_lshrrev_b32_e32 v18, v10, v167
	v_and_b32_e32 v21, v18, v20
	v_lshlrev_b32_e32 v18, 2, v21
	v_add_lshl_u32 v18, v18, v160, 2
	v_add_co_u32_e64 v80, s[34:35], v1, v18
	v_addc_co_u32_e64 v81, s[34:35], 0, v25, s[34:35]
	; wave barrier
	flat_load_dword v102, v[80:81]
	v_and_b32_e32 v18, 1, v21
	v_add_co_u32_e64 v19, s[34:35], -1, v18
	v_addc_co_u32_e64 v82, s[34:35], 0, -1, s[34:35]
	v_cmp_ne_u32_e64 s[34:35], 0, v18
	v_xor_b32_e32 v18, s35, v82
	v_xor_b32_e32 v19, s34, v19
	v_and_b32_e32 v82, exec_hi, v18
	v_and_b32_e32 v83, exec_lo, v19
	v_lshlrev_b32_e32 v19, 30, v21
	v_mov_b32_e32 v18, v5
	v_cmp_gt_i64_e64 s[34:35], 0, v[18:19]
	v_not_b32_e32 v18, v19
	v_ashrrev_i32_e32 v18, 31, v18
	v_xor_b32_e32 v19, s35, v18
	v_xor_b32_e32 v18, s34, v18
	v_and_b32_e32 v82, v82, v19
	v_and_b32_e32 v83, v83, v18
	v_lshlrev_b32_e32 v19, 29, v21
	v_mov_b32_e32 v18, v5
	v_cmp_gt_i64_e64 s[34:35], 0, v[18:19]
	v_not_b32_e32 v18, v19
	v_ashrrev_i32_e32 v18, 31, v18
	v_xor_b32_e32 v19, s35, v18
	v_xor_b32_e32 v18, s34, v18
	v_and_b32_e32 v82, v82, v19
	v_and_b32_e32 v83, v83, v18
	;; [unrolled: 9-line block ×7, first 2 shown]
	v_mbcnt_lo_u32_b32 v21, v18, 0
	v_mbcnt_hi_u32_b32 v112, v19, v21
	v_cmp_eq_u32_e64 s[34:35], 0, v112
	v_cmp_ne_u64_e64 s[36:37], 0, v[18:19]
	s_and_b64 s[36:37], s[36:37], s[34:35]
	; wave barrier
	s_and_saveexec_b64 s[34:35], s[36:37]
	s_cbranch_execz .LBB913_184
; %bb.183:                              ;   in Loop: Header=BB913_180 Depth=1
	v_bcnt_u32_b32 v18, v18, 0
	v_bcnt_u32_b32 v18, v19, v18
	s_waitcnt vmcnt(0) lgkmcnt(0)
	v_add_u32_e32 v18, v102, v18
	flat_store_dword v[80:81], v18
.LBB913_184:                            ;   in Loop: Header=BB913_180 Depth=1
	s_or_b64 exec, exec, s[34:35]
	v_lshrrev_b32_sdwa v18, v10, v165 dst_sel:DWORD dst_unused:UNUSED_PAD src0_sel:DWORD src1_sel:WORD_0
	v_and_b32_e32 v21, v18, v20
	v_lshlrev_b32_e32 v18, 2, v21
	v_add_lshl_u32 v18, v18, v160, 2
	v_add_co_u32_e64 v82, s[34:35], v1, v18
	v_addc_co_u32_e64 v83, s[34:35], 0, v25, s[34:35]
	; wave barrier
	flat_load_dword v114, v[82:83]
	v_and_b32_e32 v18, 1, v21
	v_add_co_u32_e64 v19, s[34:35], -1, v18
	v_addc_co_u32_e64 v84, s[34:35], 0, -1, s[34:35]
	v_cmp_ne_u32_e64 s[34:35], 0, v18
	v_xor_b32_e32 v18, s35, v84
	v_xor_b32_e32 v19, s34, v19
	v_and_b32_e32 v84, exec_hi, v18
	v_and_b32_e32 v85, exec_lo, v19
	v_lshlrev_b32_e32 v19, 30, v21
	v_mov_b32_e32 v18, v5
	v_cmp_gt_i64_e64 s[34:35], 0, v[18:19]
	v_not_b32_e32 v18, v19
	v_ashrrev_i32_e32 v18, 31, v18
	v_xor_b32_e32 v19, s35, v18
	v_xor_b32_e32 v18, s34, v18
	v_and_b32_e32 v84, v84, v19
	v_and_b32_e32 v85, v85, v18
	v_lshlrev_b32_e32 v19, 29, v21
	v_mov_b32_e32 v18, v5
	v_cmp_gt_i64_e64 s[34:35], 0, v[18:19]
	v_not_b32_e32 v18, v19
	v_ashrrev_i32_e32 v18, 31, v18
	v_xor_b32_e32 v19, s35, v18
	v_xor_b32_e32 v18, s34, v18
	v_and_b32_e32 v84, v84, v19
	v_and_b32_e32 v85, v85, v18
	;; [unrolled: 9-line block ×7, first 2 shown]
	v_mbcnt_lo_u32_b32 v21, v18, 0
	v_mbcnt_hi_u32_b32 v115, v19, v21
	v_cmp_eq_u32_e64 s[34:35], 0, v115
	v_cmp_ne_u64_e64 s[36:37], 0, v[18:19]
	s_and_b64 s[36:37], s[36:37], s[34:35]
	; wave barrier
	s_and_saveexec_b64 s[34:35], s[36:37]
	s_cbranch_execz .LBB913_186
; %bb.185:                              ;   in Loop: Header=BB913_180 Depth=1
	v_bcnt_u32_b32 v18, v18, 0
	v_bcnt_u32_b32 v18, v19, v18
	s_waitcnt vmcnt(0) lgkmcnt(0)
	v_add_u32_e32 v18, v114, v18
	flat_store_dword v[82:83], v18
.LBB913_186:                            ;   in Loop: Header=BB913_180 Depth=1
	s_or_b64 exec, exec, s[34:35]
	v_lshrrev_b32_e32 v176, 16, v165
	v_lshrrev_b32_e32 v18, v10, v176
	v_and_b32_e32 v21, v18, v20
	v_lshlrev_b32_e32 v18, 2, v21
	v_add_lshl_u32 v18, v18, v160, 2
	v_add_co_u32_e64 v84, s[34:35], v1, v18
	v_addc_co_u32_e64 v85, s[34:35], 0, v25, s[34:35]
	; wave barrier
	flat_load_dword v116, v[84:85]
	v_and_b32_e32 v18, 1, v21
	v_add_co_u32_e64 v19, s[34:35], -1, v18
	v_addc_co_u32_e64 v86, s[34:35], 0, -1, s[34:35]
	v_cmp_ne_u32_e64 s[34:35], 0, v18
	v_xor_b32_e32 v18, s35, v86
	v_xor_b32_e32 v19, s34, v19
	v_and_b32_e32 v86, exec_hi, v18
	v_and_b32_e32 v87, exec_lo, v19
	v_lshlrev_b32_e32 v19, 30, v21
	v_mov_b32_e32 v18, v5
	v_cmp_gt_i64_e64 s[34:35], 0, v[18:19]
	v_not_b32_e32 v18, v19
	v_ashrrev_i32_e32 v18, 31, v18
	v_xor_b32_e32 v19, s35, v18
	v_xor_b32_e32 v18, s34, v18
	v_and_b32_e32 v86, v86, v19
	v_and_b32_e32 v87, v87, v18
	v_lshlrev_b32_e32 v19, 29, v21
	v_mov_b32_e32 v18, v5
	v_cmp_gt_i64_e64 s[34:35], 0, v[18:19]
	v_not_b32_e32 v18, v19
	v_ashrrev_i32_e32 v18, 31, v18
	v_xor_b32_e32 v19, s35, v18
	v_xor_b32_e32 v18, s34, v18
	v_and_b32_e32 v86, v86, v19
	v_and_b32_e32 v87, v87, v18
	;; [unrolled: 9-line block ×7, first 2 shown]
	v_mbcnt_lo_u32_b32 v21, v18, 0
	v_mbcnt_hi_u32_b32 v117, v19, v21
	v_cmp_eq_u32_e64 s[34:35], 0, v117
	v_cmp_ne_u64_e64 s[36:37], 0, v[18:19]
	s_and_b64 s[36:37], s[36:37], s[34:35]
	; wave barrier
	s_and_saveexec_b64 s[34:35], s[36:37]
	s_cbranch_execz .LBB913_188
; %bb.187:                              ;   in Loop: Header=BB913_180 Depth=1
	v_bcnt_u32_b32 v18, v18, 0
	v_bcnt_u32_b32 v18, v19, v18
	s_waitcnt vmcnt(0) lgkmcnt(0)
	v_add_u32_e32 v18, v116, v18
	flat_store_dword v[84:85], v18
.LBB913_188:                            ;   in Loop: Header=BB913_180 Depth=1
	s_or_b64 exec, exec, s[34:35]
	v_lshrrev_b32_sdwa v18, v10, v164 dst_sel:DWORD dst_unused:UNUSED_PAD src0_sel:DWORD src1_sel:WORD_0
	v_and_b32_e32 v21, v18, v20
	v_lshlrev_b32_e32 v18, 2, v21
	v_add_lshl_u32 v18, v18, v160, 2
	v_add_co_u32_e64 v86, s[34:35], v1, v18
	v_addc_co_u32_e64 v87, s[34:35], 0, v25, s[34:35]
	; wave barrier
	flat_load_dword v118, v[86:87]
	v_and_b32_e32 v18, 1, v21
	v_add_co_u32_e64 v19, s[34:35], -1, v18
	v_addc_co_u32_e64 v96, s[34:35], 0, -1, s[34:35]
	v_cmp_ne_u32_e64 s[34:35], 0, v18
	v_xor_b32_e32 v18, s35, v96
	v_xor_b32_e32 v19, s34, v19
	v_and_b32_e32 v96, exec_hi, v18
	v_and_b32_e32 v97, exec_lo, v19
	v_lshlrev_b32_e32 v19, 30, v21
	v_mov_b32_e32 v18, v5
	v_cmp_gt_i64_e64 s[34:35], 0, v[18:19]
	v_not_b32_e32 v18, v19
	v_ashrrev_i32_e32 v18, 31, v18
	v_xor_b32_e32 v19, s35, v18
	v_xor_b32_e32 v18, s34, v18
	v_and_b32_e32 v96, v96, v19
	v_and_b32_e32 v97, v97, v18
	v_lshlrev_b32_e32 v19, 29, v21
	v_mov_b32_e32 v18, v5
	v_cmp_gt_i64_e64 s[34:35], 0, v[18:19]
	v_not_b32_e32 v18, v19
	v_ashrrev_i32_e32 v18, 31, v18
	v_xor_b32_e32 v19, s35, v18
	v_xor_b32_e32 v18, s34, v18
	v_and_b32_e32 v96, v96, v19
	v_and_b32_e32 v97, v97, v18
	;; [unrolled: 9-line block ×7, first 2 shown]
	v_mbcnt_lo_u32_b32 v21, v18, 0
	v_mbcnt_hi_u32_b32 v119, v19, v21
	v_cmp_eq_u32_e64 s[34:35], 0, v119
	v_cmp_ne_u64_e64 s[36:37], 0, v[18:19]
	s_and_b64 s[36:37], s[36:37], s[34:35]
	; wave barrier
	s_and_saveexec_b64 s[34:35], s[36:37]
	s_cbranch_execz .LBB913_190
; %bb.189:                              ;   in Loop: Header=BB913_180 Depth=1
	v_bcnt_u32_b32 v18, v18, 0
	v_bcnt_u32_b32 v18, v19, v18
	s_waitcnt vmcnt(0) lgkmcnt(0)
	v_add_u32_e32 v18, v118, v18
	flat_store_dword v[86:87], v18
.LBB913_190:                            ;   in Loop: Header=BB913_180 Depth=1
	s_or_b64 exec, exec, s[34:35]
	v_lshrrev_b32_e32 v177, 16, v164
	v_lshrrev_b32_e32 v18, v10, v177
	v_and_b32_e32 v21, v18, v20
	v_lshlrev_b32_e32 v18, 2, v21
	v_add_lshl_u32 v18, v18, v160, 2
	v_add_co_u32_e64 v96, s[34:35], v1, v18
	v_addc_co_u32_e64 v97, s[34:35], 0, v25, s[34:35]
	; wave barrier
	flat_load_dword v128, v[96:97]
	v_and_b32_e32 v18, 1, v21
	v_add_co_u32_e64 v19, s[34:35], -1, v18
	v_addc_co_u32_e64 v98, s[34:35], 0, -1, s[34:35]
	v_cmp_ne_u32_e64 s[34:35], 0, v18
	v_xor_b32_e32 v18, s35, v98
	v_xor_b32_e32 v19, s34, v19
	v_and_b32_e32 v98, exec_hi, v18
	v_and_b32_e32 v99, exec_lo, v19
	v_lshlrev_b32_e32 v19, 30, v21
	v_mov_b32_e32 v18, v5
	v_cmp_gt_i64_e64 s[34:35], 0, v[18:19]
	v_not_b32_e32 v18, v19
	v_ashrrev_i32_e32 v18, 31, v18
	v_xor_b32_e32 v19, s35, v18
	v_xor_b32_e32 v18, s34, v18
	v_and_b32_e32 v98, v98, v19
	v_and_b32_e32 v99, v99, v18
	v_lshlrev_b32_e32 v19, 29, v21
	v_mov_b32_e32 v18, v5
	v_cmp_gt_i64_e64 s[34:35], 0, v[18:19]
	v_not_b32_e32 v18, v19
	v_ashrrev_i32_e32 v18, 31, v18
	v_xor_b32_e32 v19, s35, v18
	v_xor_b32_e32 v18, s34, v18
	v_and_b32_e32 v98, v98, v19
	v_and_b32_e32 v99, v99, v18
	;; [unrolled: 9-line block ×7, first 2 shown]
	v_mbcnt_lo_u32_b32 v21, v18, 0
	v_mbcnt_hi_u32_b32 v129, v19, v21
	v_cmp_eq_u32_e64 s[34:35], 0, v129
	v_cmp_ne_u64_e64 s[36:37], 0, v[18:19]
	s_and_b64 s[36:37], s[36:37], s[34:35]
	; wave barrier
	s_and_saveexec_b64 s[34:35], s[36:37]
	s_cbranch_execz .LBB913_192
; %bb.191:                              ;   in Loop: Header=BB913_180 Depth=1
	v_bcnt_u32_b32 v18, v18, 0
	v_bcnt_u32_b32 v18, v19, v18
	s_waitcnt vmcnt(0) lgkmcnt(0)
	v_add_u32_e32 v18, v128, v18
	flat_store_dword v[96:97], v18
.LBB913_192:                            ;   in Loop: Header=BB913_180 Depth=1
	s_or_b64 exec, exec, s[34:35]
	v_lshrrev_b32_sdwa v18, v10, v163 dst_sel:DWORD dst_unused:UNUSED_PAD src0_sel:DWORD src1_sel:WORD_0
	v_and_b32_e32 v21, v18, v20
	v_lshlrev_b32_e32 v18, 2, v21
	v_add_lshl_u32 v18, v18, v160, 2
	v_add_co_u32_e64 v98, s[34:35], v1, v18
	v_addc_co_u32_e64 v99, s[34:35], 0, v25, s[34:35]
	; wave barrier
	flat_load_dword v130, v[98:99]
	v_and_b32_e32 v18, 1, v21
	v_add_co_u32_e64 v19, s[34:35], -1, v18
	v_addc_co_u32_e64 v100, s[34:35], 0, -1, s[34:35]
	v_cmp_ne_u32_e64 s[34:35], 0, v18
	v_xor_b32_e32 v18, s35, v100
	v_xor_b32_e32 v19, s34, v19
	v_and_b32_e32 v100, exec_hi, v18
	v_and_b32_e32 v101, exec_lo, v19
	v_lshlrev_b32_e32 v19, 30, v21
	v_mov_b32_e32 v18, v5
	v_cmp_gt_i64_e64 s[34:35], 0, v[18:19]
	v_not_b32_e32 v18, v19
	v_ashrrev_i32_e32 v18, 31, v18
	v_xor_b32_e32 v19, s35, v18
	v_xor_b32_e32 v18, s34, v18
	v_and_b32_e32 v100, v100, v19
	v_and_b32_e32 v101, v101, v18
	v_lshlrev_b32_e32 v19, 29, v21
	v_mov_b32_e32 v18, v5
	v_cmp_gt_i64_e64 s[34:35], 0, v[18:19]
	v_not_b32_e32 v18, v19
	v_ashrrev_i32_e32 v18, 31, v18
	v_xor_b32_e32 v19, s35, v18
	v_xor_b32_e32 v18, s34, v18
	v_and_b32_e32 v100, v100, v19
	v_and_b32_e32 v101, v101, v18
	;; [unrolled: 9-line block ×7, first 2 shown]
	v_mbcnt_lo_u32_b32 v21, v18, 0
	v_mbcnt_hi_u32_b32 v131, v19, v21
	v_cmp_eq_u32_e64 s[34:35], 0, v131
	v_cmp_ne_u64_e64 s[36:37], 0, v[18:19]
	s_and_b64 s[36:37], s[36:37], s[34:35]
	; wave barrier
	s_and_saveexec_b64 s[34:35], s[36:37]
	s_cbranch_execz .LBB913_194
; %bb.193:                              ;   in Loop: Header=BB913_180 Depth=1
	v_bcnt_u32_b32 v18, v18, 0
	v_bcnt_u32_b32 v18, v19, v18
	s_waitcnt vmcnt(0) lgkmcnt(0)
	v_add_u32_e32 v18, v130, v18
	flat_store_dword v[98:99], v18
.LBB913_194:                            ;   in Loop: Header=BB913_180 Depth=1
	s_or_b64 exec, exec, s[34:35]
	v_lshrrev_b32_e32 v178, 16, v163
	v_lshrrev_b32_e32 v18, v10, v178
	v_and_b32_e32 v20, v18, v20
	v_lshlrev_b32_e32 v18, 2, v20
	v_add_lshl_u32 v18, v18, v160, 2
	v_add_co_u32_e64 v100, s[34:35], v1, v18
	v_addc_co_u32_e64 v101, s[34:35], 0, v25, s[34:35]
	; wave barrier
	flat_load_dword v132, v[100:101]
	v_and_b32_e32 v18, 1, v20
	v_add_co_u32_e64 v19, s[34:35], -1, v18
	v_addc_co_u32_e64 v21, s[34:35], 0, -1, s[34:35]
	v_cmp_ne_u32_e64 s[34:35], 0, v18
	v_xor_b32_e32 v18, s35, v21
	v_xor_b32_e32 v19, s34, v19
	v_and_b32_e32 v21, exec_hi, v18
	v_and_b32_e32 v103, exec_lo, v19
	v_lshlrev_b32_e32 v19, 30, v20
	v_mov_b32_e32 v18, v5
	v_cmp_gt_i64_e64 s[34:35], 0, v[18:19]
	v_not_b32_e32 v18, v19
	v_ashrrev_i32_e32 v18, 31, v18
	v_xor_b32_e32 v19, s35, v18
	v_xor_b32_e32 v18, s34, v18
	v_and_b32_e32 v21, v21, v19
	v_and_b32_e32 v103, v103, v18
	v_lshlrev_b32_e32 v19, 29, v20
	v_mov_b32_e32 v18, v5
	v_cmp_gt_i64_e64 s[34:35], 0, v[18:19]
	v_not_b32_e32 v18, v19
	v_ashrrev_i32_e32 v18, 31, v18
	v_xor_b32_e32 v19, s35, v18
	v_xor_b32_e32 v18, s34, v18
	v_and_b32_e32 v21, v21, v19
	v_and_b32_e32 v103, v103, v18
	;; [unrolled: 9-line block ×7, first 2 shown]
	v_mbcnt_lo_u32_b32 v20, v18, 0
	v_mbcnt_hi_u32_b32 v133, v19, v20
	v_cmp_eq_u32_e64 s[34:35], 0, v133
	v_cmp_ne_u64_e64 s[36:37], 0, v[18:19]
	s_and_b64 s[36:37], s[36:37], s[34:35]
	; wave barrier
	s_and_saveexec_b64 s[34:35], s[36:37]
	s_cbranch_execz .LBB913_196
; %bb.195:                              ;   in Loop: Header=BB913_180 Depth=1
	v_bcnt_u32_b32 v18, v18, 0
	v_bcnt_u32_b32 v18, v19, v18
	s_waitcnt vmcnt(0) lgkmcnt(0)
	v_add_u32_e32 v18, v132, v18
	flat_store_dword v[100:101], v18
.LBB913_196:                            ;   in Loop: Header=BB913_180 Depth=1
	s_or_b64 exec, exec, s[34:35]
	; wave barrier
	s_waitcnt lgkmcnt(0)
	s_barrier
	flat_load_dwordx4 v[18:21], v[26:27] offset:16
	s_waitcnt vmcnt(0) lgkmcnt(0)
	v_add_u32_e32 v103, v19, v18
	v_add3_u32 v21, v103, v20, v21
	s_nop 1
	v_mov_b32_dpp v103, v21 row_shr:1 row_mask:0xf bank_mask:0xf
	v_cndmask_b32_e64 v103, v103, 0, vcc
	v_add_u32_e32 v21, v103, v21
	s_nop 1
	v_mov_b32_dpp v103, v21 row_shr:2 row_mask:0xf bank_mask:0xf
	v_cndmask_b32_e64 v103, 0, v103, s[4:5]
	v_add_u32_e32 v21, v21, v103
	s_nop 1
	v_mov_b32_dpp v103, v21 row_shr:4 row_mask:0xf bank_mask:0xf
	v_cndmask_b32_e64 v103, 0, v103, s[6:7]
	;; [unrolled: 4-line block ×3, first 2 shown]
	v_add_u32_e32 v21, v21, v103
	s_nop 1
	v_mov_b32_dpp v103, v21 row_bcast:15 row_mask:0xf bank_mask:0xf
	v_cndmask_b32_e64 v103, v103, 0, s[30:31]
	v_add_u32_e32 v21, v21, v103
	s_nop 1
	v_mov_b32_dpp v103, v21 row_bcast:31 row_mask:0xf bank_mask:0xf
	v_cndmask_b32_e64 v103, 0, v103, s[14:15]
	v_add_u32_e32 v21, v21, v103
	s_and_saveexec_b64 s[34:35], s[16:17]
	s_cbranch_execz .LBB913_198
; %bb.197:                              ;   in Loop: Header=BB913_180 Depth=1
	flat_store_dword v[28:29], v21
.LBB913_198:                            ;   in Loop: Header=BB913_180 Depth=1
	s_or_b64 exec, exec, s[34:35]
	s_waitcnt lgkmcnt(0)
	s_barrier
	s_and_saveexec_b64 s[34:35], s[18:19]
	s_cbranch_execz .LBB913_200
; %bb.199:                              ;   in Loop: Header=BB913_180 Depth=1
	flat_load_dword v103, v[30:31]
	s_waitcnt vmcnt(0) lgkmcnt(0)
	s_nop 0
	v_mov_b32_dpp v113, v103 row_shr:1 row_mask:0xf bank_mask:0xf
	v_cndmask_b32_e64 v113, v113, 0, s[26:27]
	v_add_u32_e32 v103, v113, v103
	s_nop 1
	v_mov_b32_dpp v113, v103 row_shr:2 row_mask:0xf bank_mask:0xf
	v_cndmask_b32_e64 v113, 0, v113, s[28:29]
	v_add_u32_e32 v103, v103, v113
	flat_store_dword v[30:31], v103
.LBB913_200:                            ;   in Loop: Header=BB913_180 Depth=1
	s_or_b64 exec, exec, s[34:35]
	v_mov_b32_e32 v103, 0
	s_waitcnt lgkmcnt(0)
	s_barrier
	s_and_saveexec_b64 s[34:35], s[20:21]
	s_cbranch_execz .LBB913_202
; %bb.201:                              ;   in Loop: Header=BB913_180 Depth=1
	flat_load_dword v103, v[32:33]
.LBB913_202:                            ;   in Loop: Header=BB913_180 Depth=1
	s_or_b64 exec, exec, s[34:35]
	s_waitcnt vmcnt(0) lgkmcnt(0)
	v_add_u32_e32 v21, v103, v21
	ds_bpermute_b32 v21, v161, v21
	v_mov_b32_e32 v113, v5
	v_add_u32_e32 v10, 8, v10
	v_mov_b32_e32 v179, v166
	v_cmp_lt_u32_e64 s[34:35], v10, v11
	s_waitcnt lgkmcnt(0)
	v_cndmask_b32_e64 v21, v21, v103, s[22:23]
	v_cndmask_b32_e64 v144, v21, 0, s[24:25]
	v_add_u32_e32 v145, v144, v18
	v_add_u32_e32 v146, v145, v19
	;; [unrolled: 1-line block ×3, first 2 shown]
	flat_store_dwordx4 v[26:27], v[144:147] offset:16
	s_waitcnt lgkmcnt(0)
	s_barrier
	flat_load_dword v18, v[70:71]
	flat_load_dword v19, v[80:81]
	;; [unrolled: 1-line block ×8, first 2 shown]
	v_mov_b32_e32 v81, v5
	v_mov_b32_e32 v83, v5
	;; [unrolled: 1-line block ×6, first 2 shown]
	s_mov_b64 s[42:43], -1
	s_waitcnt vmcnt(0) lgkmcnt(0)
	v_add_u32_e32 v4, v18, v4
	v_add3_u32 v80, v112, v102, v19
	v_lshlrev_b64 v[18:19], 1, v[4:5]
	v_add3_u32 v82, v115, v114, v20
	v_add3_u32 v86, v117, v116, v21
	v_add3_u32 v98, v129, v128, v135
	v_add_co_u32_e64 v128, s[36:37], v12, v18
	v_lshlrev_b64 v[20:21], 1, v[80:81]
	v_addc_co_u32_e64 v129, s[36:37], v13, v19, s[36:37]
	v_add3_u32 v102, v131, v130, v144
	v_add_co_u32_e64 v130, s[36:37], v12, v20
	v_lshlrev_b64 v[70:71], 1, v[82:83]
	v_addc_co_u32_e64 v131, s[36:37], v13, v21, s[36:37]
	v_add3_u32 v112, v133, v132, v145
	;; [unrolled: 4-line block ×3, first 2 shown]
	v_add_co_u32_e64 v134, s[36:37], v12, v84
	v_lshlrev_b64 v[100:101], 1, v[96:97]
	v_addc_co_u32_e64 v135, s[36:37], v13, v85, s[36:37]
	v_add_co_u32_e64 v144, s[36:37], v12, v100
	v_lshlrev_b64 v[114:115], 1, v[98:99]
	v_addc_co_u32_e64 v145, s[36:37], v13, v101, s[36:37]
	;; [unrolled: 3-line block ×4, first 2 shown]
	v_add_co_u32_e64 v150, s[36:37], v12, v118
	v_addc_co_u32_e64 v151, s[36:37], v13, v119, s[36:37]
                                        ; implicit-def: $vgpr87
                                        ; implicit-def: $vgpr83
                                        ; implicit-def: $vgpr81
                                        ; implicit-def: $vgpr18_vgpr19
                                        ; implicit-def: $vgpr20_vgpr21
                                        ; implicit-def: $vgpr70_vgpr71
                                        ; implicit-def: $vgpr84_vgpr85
                                        ; implicit-def: $vgpr100_vgpr101
                                        ; implicit-def: $vgpr114_vgpr115
                                        ; implicit-def: $vgpr116_vgpr117
                                        ; implicit-def: $vgpr118_vgpr119
	s_and_saveexec_b64 s[36:37], s[34:35]
	s_cbranch_execz .LBB913_179
; %bb.203:                              ;   in Loop: Header=BB913_180 Depth=1
	v_mad_u64_u32 v[18:19], s[34:35], v4, 6, v[128:129]
	s_barrier
	flat_store_short v[128:129], v166
	flat_store_short v[130:131], v167
	;; [unrolled: 1-line block ×8, first 2 shown]
	s_waitcnt lgkmcnt(0)
	s_barrier
	flat_load_ushort v81, v[64:65]
	flat_load_ushort v83, v[64:65] offset:128
	flat_load_ushort v87, v[64:65] offset:256
	;; [unrolled: 1-line block ×7, first 2 shown]
	s_waitcnt lgkmcnt(0)
	s_barrier
	flat_store_dwordx2 v[18:19], v[66:67]
	v_mad_u64_u32 v[18:19], s[34:35], v80, 6, v[130:131]
	flat_store_dwordx2 v[18:19], v[54:55]
	v_mad_u64_u32 v[18:19], s[34:35], v82, 6, v[132:133]
	;; [unrolled: 2-line block ×7, first 2 shown]
	flat_store_dwordx2 v[18:19], v[34:35]
	s_waitcnt lgkmcnt(0)
	s_barrier
	flat_load_dwordx2 v[18:19], v[68:69]
	flat_load_dwordx2 v[20:21], v[68:69] offset:512
	flat_load_dwordx2 v[70:71], v[68:69] offset:1024
	;; [unrolled: 1-line block ×7, first 2 shown]
	v_add_u32_e32 v162, -8, v162
	s_xor_b64 s[42:43], exec, -1
	s_waitcnt lgkmcnt(0)
	s_barrier
	s_waitcnt vmcnt(0)
	v_perm_b32 v166, v83, v81, s47
	v_perm_b32 v81, v97, v87, s47
	;; [unrolled: 1-line block ×4, first 2 shown]
	s_branch .LBB913_179
.LBB913_204:
	flat_load_dwordx2 v[16:17], v[4:5]
	s_or_b64 exec, exec, s[42:43]
                                        ; implicit-def: $vgpr18_vgpr19
	s_and_saveexec_b64 vcc, s[40:41]
	s_cbranch_execz .LBB913_38
.LBB913_205:
	flat_load_dwordx2 v[18:19], v[4:5] offset:512
	s_or_b64 exec, exec, vcc
                                        ; implicit-def: $vgpr134_vgpr135
	s_and_saveexec_b64 vcc, s[16:17]
	s_cbranch_execz .LBB913_39
.LBB913_206:
	flat_load_dwordx2 v[134:135], v[4:5] offset:1024
	s_or_b64 exec, exec, vcc
                                        ; implicit-def: $vgpr144_vgpr145
	s_and_saveexec_b64 s[16:17], s[20:21]
	s_cbranch_execz .LBB913_40
.LBB913_207:
	flat_load_dwordx2 v[144:145], v[4:5] offset:1536
	s_or_b64 exec, exec, s[16:17]
                                        ; implicit-def: $vgpr146_vgpr147
	s_and_saveexec_b64 s[16:17], s[22:23]
	s_cbranch_execz .LBB913_41
.LBB913_208:
	flat_load_dwordx2 v[146:147], v[4:5] offset:2048
	s_or_b64 exec, exec, s[16:17]
                                        ; implicit-def: $vgpr148_vgpr149
	s_and_saveexec_b64 s[16:17], s[26:27]
	s_cbranch_execz .LBB913_42
.LBB913_209:
	flat_load_dwordx2 v[148:149], v[4:5] offset:2560
	s_or_b64 exec, exec, s[16:17]
                                        ; implicit-def: $vgpr150_vgpr151
	s_and_saveexec_b64 s[16:17], s[30:31]
	s_cbranch_execz .LBB913_43
.LBB913_210:
	flat_load_dwordx2 v[150:151], v[4:5] offset:3072
	s_or_b64 exec, exec, s[16:17]
                                        ; implicit-def: $vgpr166_vgpr167
	s_and_saveexec_b64 s[16:17], s[36:37]
	s_cbranch_execz .LBB913_44
.LBB913_211:
	flat_load_dwordx2 v[166:167], v[4:5] offset:3584
	s_or_b64 exec, exec, s[16:17]
                                        ; implicit-def: $vgpr198_vgpr199
	s_and_saveexec_b64 s[16:17], s[38:39]
	s_cbranch_execz .LBB913_45
.LBB913_212:
	v_add_co_u32_e32 v14, vcc, 0x1000, v4
	v_addc_co_u32_e32 v15, vcc, 0, v5, vcc
	flat_load_dwordx2 v[198:199], v[14:15]
	s_or_b64 exec, exec, s[16:17]
                                        ; implicit-def: $vgpr228_vgpr229
	s_and_saveexec_b64 s[16:17], s[34:35]
	s_cbranch_execz .LBB913_46
.LBB913_213:
	v_add_co_u32_e32 v14, vcc, 0x1000, v4
	v_addc_co_u32_e32 v15, vcc, 0, v5, vcc
	flat_load_dwordx2 v[228:229], v[14:15] offset:512
	s_or_b64 exec, exec, s[16:17]
                                        ; implicit-def: $vgpr230_vgpr231
	s_and_saveexec_b64 s[16:17], s[28:29]
	s_cbranch_execz .LBB913_47
.LBB913_214:
	v_add_co_u32_e32 v14, vcc, 0x1000, v4
	v_addc_co_u32_e32 v15, vcc, 0, v5, vcc
	flat_load_dwordx2 v[230:231], v[14:15] offset:1024
	s_or_b64 exec, exec, s[16:17]
                                        ; implicit-def: $vgpr240_vgpr241
	s_and_saveexec_b64 s[16:17], s[24:25]
	s_cbranch_execz .LBB913_48
.LBB913_215:
	v_add_co_u32_e32 v14, vcc, 0x1000, v4
	v_addc_co_u32_e32 v15, vcc, 0, v5, vcc
	flat_load_dwordx2 v[240:241], v[14:15] offset:1536
	s_or_b64 exec, exec, s[16:17]
                                        ; implicit-def: $vgpr242_vgpr243
	s_and_saveexec_b64 s[16:17], s[18:19]
	s_cbranch_execz .LBB913_49
.LBB913_216:
	v_add_co_u32_e32 v14, vcc, 0x1000, v4
	v_addc_co_u32_e32 v15, vcc, 0, v5, vcc
	flat_load_dwordx2 v[242:243], v[14:15] offset:2048
	s_or_b64 exec, exec, s[16:17]
                                        ; implicit-def: $vgpr244_vgpr245
	s_and_saveexec_b64 s[16:17], s[14:15]
	s_cbranch_execz .LBB913_50
.LBB913_217:
	v_add_co_u32_e32 v14, vcc, 0x1000, v4
	v_addc_co_u32_e32 v15, vcc, 0, v5, vcc
	flat_load_dwordx2 v[244:245], v[14:15] offset:2560
	s_or_b64 exec, exec, s[16:17]
                                        ; implicit-def: $vgpr246_vgpr247
	s_and_saveexec_b64 s[14:15], s[10:11]
	s_cbranch_execz .LBB913_51
.LBB913_218:
	v_add_co_u32_e32 v14, vcc, 0x1000, v4
	v_addc_co_u32_e32 v15, vcc, 0, v5, vcc
	flat_load_dwordx2 v[246:247], v[14:15] offset:3072
	s_or_b64 exec, exec, s[14:15]
                                        ; implicit-def: $agpr0_agpr1
	s_and_saveexec_b64 s[10:11], s[6:7]
	s_cbranch_execz .LBB913_52
.LBB913_219:
	v_add_co_u32_e32 v14, vcc, 0x1000, v4
	v_addc_co_u32_e32 v15, vcc, 0, v5, vcc
	flat_load_dwordx2 a[0:1], v[14:15] offset:3584
	s_or_b64 exec, exec, s[10:11]
                                        ; implicit-def: $agpr2_agpr3
	s_and_saveexec_b64 s[6:7], s[4:5]
	s_cbranch_execnz .LBB913_53
	s_branch .LBB913_54
.LBB913_220:
	s_waitcnt vmcnt(0)
	flat_store_dwordx2 v[0:1], v[52:53]
	s_or_b64 exec, exec, vcc
	s_and_saveexec_b64 s[20:21], s[26:27]
	s_cbranch_execz .LBB913_134
.LBB913_221:
	s_waitcnt vmcnt(0)
	flat_store_dwordx2 v[0:1], v[50:51] offset:2048
	s_or_b64 exec, exec, s[20:21]
	s_and_saveexec_b64 s[20:21], s[34:35]
	s_cbranch_execz .LBB913_135
.LBB913_222:
	v_add_co_u32_e32 v2, vcc, 0x1000, v0
	v_addc_co_u32_e32 v3, vcc, 0, v1, vcc
	s_waitcnt vmcnt(0)
	flat_store_dwordx2 v[2:3], v[48:49]
	s_or_b64 exec, exec, s[20:21]
	s_and_saveexec_b64 s[20:21], s[28:29]
	s_cbranch_execz .LBB913_136
.LBB913_223:
	v_add_co_u32_e32 v2, vcc, 0x1000, v0
	v_addc_co_u32_e32 v3, vcc, 0, v1, vcc
	s_waitcnt vmcnt(0)
	flat_store_dwordx2 v[2:3], v[36:37] offset:2048
	s_or_b64 exec, exec, s[20:21]
	s_and_saveexec_b64 s[20:21], s[22:23]
	s_cbranch_execz .LBB913_137
.LBB913_224:
	v_add_co_u32_e32 v2, vcc, 0x2000, v0
	v_addc_co_u32_e32 v3, vcc, 0, v1, vcc
	s_waitcnt vmcnt(0)
	flat_store_dwordx2 v[2:3], v[38:39]
	s_or_b64 exec, exec, s[20:21]
	s_and_saveexec_b64 s[20:21], s[16:17]
	s_cbranch_execz .LBB913_138
.LBB913_225:
	v_add_co_u32_e32 v2, vcc, 0x2000, v0
	v_addc_co_u32_e32 v3, vcc, 0, v1, vcc
	s_waitcnt vmcnt(0)
	flat_store_dwordx2 v[2:3], v[34:35] offset:2048
	s_or_b64 exec, exec, s[20:21]
	s_and_saveexec_b64 s[16:17], s[42:43]
	s_cbranch_execz .LBB913_139
.LBB913_226:
	v_add_co_u32_e32 v2, vcc, 0x3000, v0
	v_addc_co_u32_e32 v3, vcc, 0, v1, vcc
	s_waitcnt vmcnt(0)
	flat_store_dwordx2 v[2:3], v[32:33]
	s_or_b64 exec, exec, s[16:17]
	s_and_saveexec_b64 s[16:17], s[6:7]
	s_cbranch_execz .LBB913_140
.LBB913_227:
	v_add_co_u32_e32 v2, vcc, 0x3000, v0
	v_addc_co_u32_e32 v3, vcc, 0, v1, vcc
	s_waitcnt vmcnt(0)
	flat_store_dwordx2 v[2:3], v[28:29] offset:2048
	s_or_b64 exec, exec, s[16:17]
	s_and_saveexec_b64 s[6:7], s[4:5]
	s_cbranch_execz .LBB913_141
.LBB913_228:
	v_add_co_u32_e32 v2, vcc, 0x4000, v0
	v_addc_co_u32_e32 v3, vcc, 0, v1, vcc
	s_waitcnt vmcnt(0)
	flat_store_dwordx2 v[2:3], v[30:31]
	s_or_b64 exec, exec, s[6:7]
	s_and_saveexec_b64 s[4:5], s[10:11]
	s_cbranch_execz .LBB913_142
.LBB913_229:
	v_add_co_u32_e32 v2, vcc, 0x4000, v0
	v_addc_co_u32_e32 v3, vcc, 0, v1, vcc
	s_waitcnt vmcnt(0)
	flat_store_dwordx2 v[2:3], v[26:27] offset:2048
	s_or_b64 exec, exec, s[4:5]
	s_and_saveexec_b64 s[4:5], s[14:15]
	s_cbranch_execz .LBB913_143
.LBB913_230:
	v_add_co_u32_e32 v2, vcc, 0x5000, v0
	v_addc_co_u32_e32 v3, vcc, 0, v1, vcc
	s_waitcnt vmcnt(0)
	flat_store_dwordx2 v[2:3], v[24:25]
	s_or_b64 exec, exec, s[4:5]
	s_and_saveexec_b64 s[4:5], s[18:19]
	s_cbranch_execz .LBB913_144
.LBB913_231:
	v_add_co_u32_e32 v2, vcc, 0x5000, v0
	v_addc_co_u32_e32 v3, vcc, 0, v1, vcc
	s_waitcnt vmcnt(0)
	flat_store_dwordx2 v[2:3], v[18:19] offset:2048
	s_or_b64 exec, exec, s[4:5]
	s_and_saveexec_b64 s[4:5], s[24:25]
	s_cbranch_execz .LBB913_145
.LBB913_232:
	v_add_co_u32_e32 v2, vcc, 0x6000, v0
	v_addc_co_u32_e32 v3, vcc, 0, v1, vcc
	s_waitcnt vmcnt(0)
	flat_store_dwordx2 v[2:3], v[22:23]
	s_or_b64 exec, exec, s[4:5]
	s_and_saveexec_b64 s[4:5], s[30:31]
	s_cbranch_execz .LBB913_146
.LBB913_233:
	v_add_co_u32_e32 v2, vcc, 0x6000, v0
	v_addc_co_u32_e32 v3, vcc, 0, v1, vcc
	s_waitcnt vmcnt(0)
	flat_store_dwordx2 v[2:3], v[16:17] offset:2048
	s_or_b64 exec, exec, s[4:5]
	s_and_saveexec_b64 s[4:5], s[36:37]
	s_cbranch_execz .LBB913_147
.LBB913_234:
	v_add_co_u32_e32 v2, vcc, 0x7000, v0
	v_addc_co_u32_e32 v3, vcc, 0, v1, vcc
	s_waitcnt vmcnt(0)
	flat_store_dwordx2 v[2:3], v[14:15]
	s_or_b64 exec, exec, s[4:5]
	s_and_saveexec_b64 s[4:5], s[38:39]
	s_cbranch_execz .LBB913_148
.LBB913_235:
	v_add_co_u32_e32 v2, vcc, 0x7000, v0
	v_addc_co_u32_e32 v3, vcc, 0, v1, vcc
	s_waitcnt vmcnt(0)
	flat_store_dwordx2 v[2:3], v[10:11] offset:2048
	s_or_b64 exec, exec, s[4:5]
	s_and_saveexec_b64 s[4:5], s[40:41]
	s_cbranch_execnz .LBB913_149
	s_branch .LBB913_150
.LBB913_236:
	s_or_b64 exec, exec, s[40:41]
	v_lshlrev_b32_e32 v1, 1, v24
	v_add_co_u32_e32 v10, vcc, v12, v1
	v_addc_co_u32_e32 v11, vcc, 0, v13, vcc
	v_mad_u64_u32 v[4:5], s[4:5], v4, 6, v[128:129]
	s_barrier
	flat_store_short v[128:129], v179
	flat_store_short v[130:131], v167
	;; [unrolled: 1-line block ×8, first 2 shown]
	s_waitcnt lgkmcnt(0)
	s_barrier
	flat_load_ushort v64, v[10:11]
	flat_load_ushort v33, v[10:11] offset:512
	flat_load_ushort v32, v[10:11] offset:1024
	;; [unrolled: 1-line block ×7, first 2 shown]
	s_waitcnt lgkmcnt(0)
	s_barrier
	flat_store_dwordx2 v[4:5], v[66:67]
	v_mad_u64_u32 v[4:5], s[4:5], v80, 6, v[130:131]
	flat_store_dwordx2 v[4:5], v[54:55]
	v_mad_u64_u32 v[4:5], s[4:5], v82, 6, v[132:133]
	flat_store_dwordx2 v[4:5], v[52:53]
	v_mad_u64_u32 v[4:5], s[4:5], v86, 6, v[134:135]
	flat_store_dwordx2 v[4:5], v[50:51]
	v_mad_u64_u32 v[4:5], s[4:5], v96, 6, v[144:145]
	flat_store_dwordx2 v[4:5], v[48:49]
	v_mad_u64_u32 v[4:5], s[4:5], v98, 6, v[146:147]
	flat_store_dwordx2 v[4:5], v[38:39]
	v_mad_u64_u32 v[4:5], s[4:5], v102, 6, v[148:149]
	flat_store_dwordx2 v[4:5], v[36:37]
	v_mad_u64_u32 v[4:5], s[4:5], v112, 6, v[150:151]
	flat_store_dwordx2 v[4:5], v[34:35]
	v_mad_u64_u32 v[4:5], s[4:5], v24, 6, v[10:11]
	s_movk_i32 s4, 0x1000
	v_add_co_u32_e32 v10, vcc, s4, v4
	v_mov_b32_e32 v1, 0x2000
	v_addc_co_u32_e32 v11, vcc, 0, v5, vcc
	v_lshl_or_b32 v1, v24, 3, v1
	v_add_co_u32_e32 v34, vcc, v12, v1
	s_movk_i32 s4, 0x2000
	v_addc_co_u32_e32 v35, vcc, 0, v13, vcc
	v_add_co_u32_e32 v36, vcc, s4, v4
	v_addc_co_u32_e32 v37, vcc, 0, v5, vcc
	s_movk_i32 s4, 0x3000
	v_add_co_u32_e32 v38, vcc, s4, v4
	s_waitcnt lgkmcnt(0)
	s_barrier
	flat_load_dwordx2 v[26:27], v[4:5]
	flat_load_dwordx2 v[20:21], v[4:5] offset:2048
	flat_load_dwordx2 v[18:19], v[10:11]
	flat_load_dwordx2 v[14:15], v[10:11] offset:2048
	v_addc_co_u32_e32 v39, vcc, 0, v5, vcc
	flat_load_dwordx2 v[16:17], v[34:35]
	flat_load_dwordx2 v[12:13], v[36:37] offset:2048
	flat_load_dwordx2 v[10:11], v[38:39]
	flat_load_dwordx2 v[4:5], v[38:39] offset:2048
	v_mov_b32_e32 v1, 0
	v_add_co_u32_e32 v22, vcc, v2, v22
	v_addc_co_u32_e32 v23, vcc, v3, v23, vcc
	v_lshlrev_b64 v[2:3], 1, v[0:1]
	v_add_co_u32_e32 v2, vcc, v22, v2
	v_addc_co_u32_e32 v3, vcc, v23, v3, vcc
	v_cmp_lt_u32_e32 vcc, v0, v106
	s_waitcnt lgkmcnt(0)
	s_barrier
	s_and_saveexec_b64 s[4:5], vcc
	s_cbranch_execz .LBB913_238
; %bb.237:
	s_waitcnt vmcnt(0)
	v_xor_b32_e32 v22, 0x7fff, v64
	flat_store_short v[2:3], v22
.LBB913_238:
	s_or_b64 exec, exec, s[4:5]
	v_add_u32_e32 v22, 0x100, v0
	v_cmp_lt_u32_e64 s[14:15], v22, v106
	s_and_saveexec_b64 s[4:5], s[14:15]
	s_cbranch_execz .LBB913_240
; %bb.239:
	s_waitcnt vmcnt(0)
	v_xor_b32_e32 v22, 0x7fff, v33
	flat_store_short v[2:3], v22 offset:512
.LBB913_240:
	s_or_b64 exec, exec, s[4:5]
	v_add_u32_e32 v22, 0x200, v0
	v_cmp_lt_u32_e64 s[18:19], v22, v106
	s_and_saveexec_b64 s[4:5], s[18:19]
	s_cbranch_execz .LBB913_242
; %bb.241:
	s_waitcnt vmcnt(0)
	v_xor_b32_e32 v22, 0x7fff, v32
	flat_store_short v[2:3], v22 offset:1024
.LBB913_242:
	;; [unrolled: 10-line block ×7, first 2 shown]
	s_or_b64 exec, exec, s[22:23]
	v_add_co_u32_e64 v2, s[22:23], v6, v8
	v_addc_co_u32_e64 v3, s[22:23], v7, v9, s[22:23]
	v_lshlrev_b64 v[0:1], 3, v[0:1]
	v_add_co_u32_e64 v0, s[22:23], v2, v0
	v_addc_co_u32_e64 v1, s[22:23], v3, v1, s[22:23]
	s_and_saveexec_b64 s[22:23], vcc
	s_cbranch_execnz .LBB913_302
; %bb.253:
	s_or_b64 exec, exec, s[22:23]
	s_and_saveexec_b64 s[22:23], s[14:15]
	s_cbranch_execnz .LBB913_303
.LBB913_254:
	s_or_b64 exec, exec, s[22:23]
	s_and_saveexec_b64 s[14:15], s[18:19]
	s_cbranch_execnz .LBB913_304
.LBB913_255:
	s_or_b64 exec, exec, s[14:15]
	s_and_saveexec_b64 s[14:15], s[16:17]
	s_cbranch_execnz .LBB913_305
.LBB913_256:
	s_or_b64 exec, exec, s[14:15]
	s_and_saveexec_b64 s[14:15], s[20:21]
	s_cbranch_execnz .LBB913_306
.LBB913_257:
	s_or_b64 exec, exec, s[14:15]
	s_and_saveexec_b64 s[14:15], s[10:11]
	s_cbranch_execnz .LBB913_307
.LBB913_258:
	s_or_b64 exec, exec, s[14:15]
	s_and_saveexec_b64 s[10:11], s[6:7]
	s_cbranch_execnz .LBB913_308
.LBB913_259:
	s_or_b64 exec, exec, s[10:11]
	s_and_saveexec_b64 s[6:7], s[4:5]
	s_cbranch_execz .LBB913_261
.LBB913_260:
	v_add_co_u32_e32 v0, vcc, 0x3000, v0
	v_addc_co_u32_e32 v1, vcc, 0, v1, vcc
	s_waitcnt vmcnt(0)
	flat_store_dwordx2 v[0:1], v[4:5] offset:2048
.LBB913_261:
	s_or_b64 exec, exec, s[6:7]
                                        ; implicit-def: $vgpr106
                                        ; implicit-def: $vgpr0
                                        ; implicit-def: $vgpr1
                                        ; implicit-def: $vgpr2
                                        ; implicit-def: $vgpr3
                                        ; implicit-def: $vgpr4
                                        ; implicit-def: $vgpr5
                                        ; implicit-def: $vgpr6
                                        ; implicit-def: $vgpr7
                                        ; implicit-def: $vgpr8
                                        ; implicit-def: $vgpr10
                                        ; implicit-def: $vgpr11
                                        ; implicit-def: $vgpr12
                                        ; implicit-def: $vgpr13
                                        ; implicit-def: $vgpr31
                                        ; implicit-def: $vgpr14
                                        ; implicit-def: $vgpr16
                                        ; implicit-def: $vgpr15
.LBB913_262:
	s_andn2_saveexec_b64 s[4:5], s[38:39]
	s_cbranch_execz .LBB913_382
; %bb.263:
	s_movk_i32 s4, 0x200
	v_cmp_lt_u32_e32 vcc, s4, v106
	s_and_saveexec_b64 s[4:5], vcc
	s_xor_b64 s[38:39], exec, s[4:5]
	s_cbranch_execz .LBB913_323
; %bb.264:
	s_load_dwordx2 s[4:5], s[8:9], 0x0
	v_mov_b32_e32 v9, 0
	s_waitcnt vmcnt(0)
	v_mbcnt_hi_u32_b32 v32, -1, v15
	v_lshlrev_b64 v[24:25], 1, v[8:9]
	v_and_b32_e32 v34, 63, v32
	s_waitcnt lgkmcnt(0)
	s_cmp_lt_u32 s12, s4
	s_cselect_b32 s6, 12, 18
	s_cmp_lt_u32 s13, s5
	s_cselect_b32 s4, 14, 20
	s_add_u32 s4, s8, s4
	s_addc_u32 s5, s9, 0
	s_add_u32 s6, s8, s6
	global_load_ushort v18, v9, s[4:5]
	s_addc_u32 s7, s9, 0
	global_load_ushort v19, v9, s[6:7]
	v_add_co_u32_e32 v0, vcc, v0, v24
	v_addc_co_u32_e32 v1, vcc, v1, v25, vcc
	v_lshlrev_b32_e32 v15, 1, v34
	v_and_b32_e32 v22, 0x3ff, v31
	v_add_co_u32_e32 v20, vcc, v0, v15
	v_addc_co_u32_e32 v21, vcc, 0, v1, vcc
	v_mov_b32_e32 v17, v9
	s_mov_b32 s4, 0x80008000
	s_mov_b32 s5, s4
	s_waitcnt vmcnt(1)
	v_mad_u32_u24 v0, v16, v18, v14
	s_waitcnt vmcnt(0)
	v_mad_u64_u32 v[0:1], s[6:7], v0, v19, v[22:23]
	v_lshlrev_b32_e32 v1, 2, v0
	v_and_b32_e32 v16, 0xffffff00, v1
	v_lshlrev_b64 v[14:15], 1, v[16:17]
	v_add_co_u32_e32 v18, vcc, v20, v14
	v_or_b32_e32 v1, v16, v34
	v_addc_co_u32_e32 v19, vcc, v21, v15, vcc
	v_cmp_lt_u32_e32 vcc, v1, v106
	v_pk_mov_b32 v[14:15], s[4:5], s[4:5] op_sel:[0,1]
	s_and_saveexec_b64 s[4:5], vcc
	s_cbranch_execz .LBB913_266
; %bb.265:
	flat_load_ushort v14, v[18:19]
	s_movk_i32 s6, 0x8000
	v_mov_b32_e32 v15, 0x5040100
	s_waitcnt vmcnt(0) lgkmcnt(0)
	v_perm_b32 v14, s6, v14, v15
	v_mov_b32_e32 v15, 0x80008000
.LBB913_266:
	s_or_b64 exec, exec, s[4:5]
	v_or_b32_e32 v20, 64, v1
	v_cmp_lt_u32_e64 s[4:5], v20, v106
	s_and_saveexec_b64 s[6:7], s[4:5]
	s_cbranch_execz .LBB913_268
; %bb.267:
	flat_load_ushort v20, v[18:19] offset:128
	s_mov_b32 s10, 0x5040100
	s_waitcnt vmcnt(0) lgkmcnt(0)
	v_perm_b32 v14, v20, v14, s10
.LBB913_268:
	s_or_b64 exec, exec, s[6:7]
	v_or_b32_e32 v20, 0x80, v1
	v_cmp_lt_u32_e64 s[6:7], v20, v106
	s_and_saveexec_b64 s[10:11], s[6:7]
	s_cbranch_execz .LBB913_270
; %bb.269:
	flat_load_ushort v20, v[18:19] offset:256
	s_mov_b32 s14, 0xffff
	s_waitcnt vmcnt(0) lgkmcnt(0)
	v_bfi_b32 v15, s14, v20, v15
.LBB913_270:
	s_or_b64 exec, exec, s[10:11]
	v_or_b32_e32 v1, 0xc0, v1
	v_cmp_lt_u32_e64 s[10:11], v1, v106
	s_and_saveexec_b64 s[14:15], s[10:11]
	s_cbranch_execz .LBB913_272
; %bb.271:
	flat_load_ushort v1, v[18:19] offset:384
	s_mov_b32 s16, 0x5040100
	s_waitcnt vmcnt(0) lgkmcnt(0)
	v_perm_b32 v15, v1, v15, s16
.LBB913_272:
	s_or_b64 exec, exec, s[14:15]
	v_lshlrev_b64 v[8:9], 3, v[8:9]
	v_add_co_u32_e64 v1, s[14:15], v4, v8
	v_addc_co_u32_e64 v4, s[14:15], v5, v9, s[14:15]
	v_lshlrev_b32_e32 v5, 3, v34
	v_add_co_u32_e64 v1, s[14:15], v1, v5
	v_addc_co_u32_e64 v18, s[14:15], 0, v4, s[14:15]
	v_lshlrev_b64 v[4:5], 3, v[16:17]
	v_add_co_u32_e64 v4, s[14:15], v1, v4
	v_addc_co_u32_e64 v5, s[14:15], v18, v5, s[14:15]
                                        ; implicit-def: $vgpr18_vgpr19
	s_and_saveexec_b64 s[14:15], vcc
	s_cbranch_execnz .LBB913_347
; %bb.273:
	s_or_b64 exec, exec, s[14:15]
                                        ; implicit-def: $vgpr20_vgpr21
	s_and_saveexec_b64 s[14:15], s[4:5]
	s_cbranch_execnz .LBB913_348
.LBB913_274:
	s_or_b64 exec, exec, s[14:15]
                                        ; implicit-def: $vgpr54_vgpr55
	s_and_saveexec_b64 s[4:5], s[6:7]
	s_cbranch_execnz .LBB913_349
.LBB913_275:
	s_or_b64 exec, exec, s[4:5]
                                        ; implicit-def: $vgpr64_vgpr65
	s_and_saveexec_b64 s[4:5], s[10:11]
	s_cbranch_execz .LBB913_277
.LBB913_276:
	flat_load_dwordx2 v[64:65], v[4:5] offset:1536
.LBB913_277:
	s_or_b64 exec, exec, s[4:5]
	v_add_co_u32_e32 v1, vcc, 16, v12
	v_and_b32_e32 v16, 0x3c0, v22
	v_addc_co_u32_e32 v23, vcc, 0, v13, vcc
	v_lshlrev_b32_e32 v4, 4, v22
	v_min_u32_e32 v16, 0xc0, v16
	v_add_co_u32_e32 v26, vcc, v12, v4
	v_or_b32_e32 v16, 63, v16
	s_getpc_b64 s[4:5]
	s_add_u32 s4, s4, _ZN7rocprim17ROCPRIM_400000_NS16block_radix_sortIsLj256ELj4ElLj1ELj1ELj8ELNS0_26block_radix_rank_algorithmE2ELNS0_18block_padding_hintE2ELNS0_4arch9wavefront6targetE1EE19radix_bits_per_passE@rel32@lo+4
	s_addc_u32 s5, s5, _ZN7rocprim17ROCPRIM_400000_NS16block_radix_sortIsLj256ELj4ElLj1ELj1ELj8ELNS0_26block_radix_rank_algorithmE2ELNS0_18block_padding_hintE2ELNS0_4arch9wavefront6targetE1EE19radix_bits_per_passE@rel32@hi+12
	v_addc_co_u32_e32 v27, vcc, 0, v13, vcc
	v_and_b32_e32 v4, 15, v32
	v_cmp_eq_u32_e64 s[16:17], v16, v22
	v_add_u32_e32 v16, -1, v32
	v_and_b32_e32 v17, 64, v32
	s_load_dword s46, s[4:5], 0x0
	v_cmp_eq_u32_e32 vcc, 0, v4
	v_cmp_lt_u32_e64 s[4:5], 1, v4
	v_cmp_lt_u32_e64 s[6:7], 3, v4
	;; [unrolled: 1-line block ×3, first 2 shown]
	v_and_b32_e32 v4, 16, v32
	v_cmp_lt_i32_e64 s[22:23], v16, v17
	v_cmp_eq_u32_e64 s[30:31], 0, v4
	v_lshrrev_b32_e32 v4, 6, v22
	v_cndmask_b32_e64 v16, v16, v32, s[22:23]
	v_lshlrev_b32_e32 v97, 2, v16
	v_lshlrev_b32_e32 v16, 2, v4
	v_add_co_u32_e64 v28, s[26:27], v12, v16
	v_xor_b32_e32 v67, 0x7fff7fff, v15
	v_lshlrev_b32_e32 v15, 2, v22
	v_addc_co_u32_e64 v29, s[26:27], 0, v13, s[26:27]
	v_add_co_u32_e64 v30, s[26:27], v12, v15
	v_mov_b32_e32 v5, 0
	v_addc_co_u32_e64 v31, s[26:27], 0, v13, s[26:27]
	v_and_b32_e32 v16, 3, v32
	v_add_u32_e32 v4, -1, v4
	v_cmp_eq_u32_e64 s[26:27], 0, v16
	v_cmp_lt_u32_e64 s[28:29], 1, v16
	v_lshlrev_b64 v[16:17], 2, v[4:5]
	v_cmp_lt_u32_e64 s[14:15], 31, v32
	v_cmp_eq_u32_e64 s[22:23], 0, v32
	v_add_co_u32_e64 v32, s[34:35], v12, v16
	v_addc_co_u32_e64 v33, s[34:35], v13, v17, s[34:35]
	s_movk_i32 s34, 0xf00
	v_and_or_b32 v4, v15, s34, v34
	v_lshlrev_b32_e32 v15, 1, v4
	v_add_co_u32_e64 v48, s[34:35], v12, v15
	v_addc_co_u32_e64 v49, s[34:35], 0, v13, s[34:35]
	v_lshrrev_b32_e32 v96, 6, v0
	v_cmp_gt_u32_e64 s[18:19], 4, v22
	v_cmp_lt_u32_e64 s[20:21], 63, v22
	v_cmp_eq_u32_e64 s[24:25], 0, v22
	v_mad_u64_u32 v[52:53], s[34:35], v4, 6, v[48:49]
	v_xor_b32_e32 v100, 0x7fff7fff, v14
	v_sub_u32_e32 v98, v11, v10
	s_mov_b64 s[40:41], 0
	s_mov_b32 s47, 0x5040100
	v_mov_b32_e32 v14, v5
	v_mov_b32_e32 v15, v5
	;; [unrolled: 1-line block ×4, first 2 shown]
	s_waitcnt lgkmcnt(0)
	s_barrier
	s_branch .LBB913_279
.LBB913_278:                            ;   in Loop: Header=BB913_279 Depth=1
	s_or_b64 exec, exec, s[36:37]
	s_and_b64 s[34:35], exec, s[42:43]
	s_or_b64 s[40:41], s[34:35], s[40:41]
	s_andn2_b64 exec, exec, s[40:41]
	s_cbranch_execz .LBB913_309
.LBB913_279:                            ; =>This Inner Loop Header: Depth=1
	v_min_u32_e32 v4, s46, v98
	v_lshlrev_b32_e64 v4, v4, -1
	s_waitcnt vmcnt(0)
	v_pk_mov_b32 v[38:39], v[20:21], v[20:21] op_sel:[0,1]
	v_not_b32_e32 v20, v4
	v_lshrrev_b32_sdwa v4, v10, v100 dst_sel:DWORD dst_unused:UNUSED_PAD src0_sel:DWORD src1_sel:WORD_0
	v_and_b32_e32 v4, v4, v20
	v_pk_mov_b32 v[50:51], v[18:19], v[18:19] op_sel:[0,1]
	v_lshlrev_b32_e32 v18, 2, v4
	v_add_lshl_u32 v18, v18, v96, 2
	v_pk_mov_b32 v[36:37], v[54:55], v[54:55] op_sel:[0,1]
	v_add_co_u32_e64 v54, s[34:35], v1, v18
	v_addc_co_u32_e64 v55, s[34:35], 0, v23, s[34:35]
	v_and_b32_e32 v18, 1, v4
	v_add_co_u32_e64 v19, s[34:35], -1, v18
	v_addc_co_u32_e64 v21, s[34:35], 0, -1, s[34:35]
	v_cmp_ne_u32_e64 s[34:35], 0, v18
	v_xor_b32_e32 v18, s35, v21
	v_xor_b32_e32 v19, s34, v19
	v_pk_mov_b32 v[34:35], v[64:65], v[64:65] op_sel:[0,1]
	v_and_b32_e32 v21, exec_hi, v18
	v_and_b32_e32 v64, exec_lo, v19
	v_lshlrev_b32_e32 v19, 30, v4
	v_mov_b32_e32 v18, v5
	v_cmp_gt_i64_e64 s[34:35], 0, v[18:19]
	v_not_b32_e32 v18, v19
	v_ashrrev_i32_e32 v18, 31, v18
	v_xor_b32_e32 v19, s35, v18
	v_xor_b32_e32 v18, s34, v18
	v_and_b32_e32 v21, v21, v19
	v_and_b32_e32 v64, v64, v18
	v_lshlrev_b32_e32 v19, 29, v4
	v_mov_b32_e32 v18, v5
	v_cmp_gt_i64_e64 s[34:35], 0, v[18:19]
	v_not_b32_e32 v18, v19
	v_ashrrev_i32_e32 v18, 31, v18
	v_xor_b32_e32 v19, s35, v18
	v_xor_b32_e32 v18, s34, v18
	v_and_b32_e32 v21, v21, v19
	v_and_b32_e32 v64, v64, v18
	;; [unrolled: 9-line block ×5, first 2 shown]
	v_lshlrev_b32_e32 v19, 25, v4
	v_mov_b32_e32 v18, v5
	v_cmp_gt_i64_e64 s[34:35], 0, v[18:19]
	v_not_b32_e32 v18, v19
	v_ashrrev_i32_e32 v18, 31, v18
	v_xor_b32_e32 v19, s35, v18
	v_xor_b32_e32 v18, s34, v18
	v_and_b32_e32 v21, v21, v19
	v_lshlrev_b32_e32 v19, 24, v4
	v_and_b32_e32 v64, v64, v18
	v_mov_b32_e32 v18, v5
	v_not_b32_e32 v4, v19
	v_cmp_gt_i64_e64 s[34:35], 0, v[18:19]
	v_ashrrev_i32_e32 v4, 31, v4
	v_xor_b32_e32 v18, s35, v4
	v_xor_b32_e32 v4, s34, v4
	v_and_b32_e32 v19, v21, v18
	v_and_b32_e32 v18, v64, v4
	v_mbcnt_lo_u32_b32 v4, v18, 0
	v_mbcnt_hi_u32_b32 v4, v19, v4
	v_cmp_eq_u32_e64 s[34:35], 0, v4
	v_cmp_ne_u64_e64 s[36:37], 0, v[18:19]
	v_mov_b32_e32 v99, v67
	s_and_b64 s[36:37], s[36:37], s[34:35]
	flat_store_dwordx4 v[26:27], v[14:17] offset:16
	s_waitcnt lgkmcnt(0)
	s_barrier
	s_waitcnt lgkmcnt(0)
	; wave barrier
	s_and_saveexec_b64 s[34:35], s[36:37]
	s_cbranch_execz .LBB913_281
; %bb.280:                              ;   in Loop: Header=BB913_279 Depth=1
	v_bcnt_u32_b32 v18, v18, 0
	v_bcnt_u32_b32 v18, v19, v18
	flat_store_dword v[54:55], v18
.LBB913_281:                            ;   in Loop: Header=BB913_279 Depth=1
	s_or_b64 exec, exec, s[34:35]
	v_lshrrev_b32_e32 v101, 16, v100
	v_lshrrev_b32_e32 v18, v10, v101
	v_and_b32_e32 v21, v18, v20
	v_lshlrev_b32_e32 v18, 2, v21
	v_add_lshl_u32 v18, v18, v96, 2
	v_add_co_u32_e64 v64, s[34:35], v1, v18
	v_addc_co_u32_e64 v65, s[34:35], 0, v23, s[34:35]
	; wave barrier
	flat_load_dword v70, v[64:65]
	v_and_b32_e32 v18, 1, v21
	v_add_co_u32_e64 v19, s[34:35], -1, v18
	v_addc_co_u32_e64 v66, s[34:35], 0, -1, s[34:35]
	v_cmp_ne_u32_e64 s[34:35], 0, v18
	v_xor_b32_e32 v18, s35, v66
	v_xor_b32_e32 v19, s34, v19
	v_and_b32_e32 v66, exec_hi, v18
	v_and_b32_e32 v67, exec_lo, v19
	v_lshlrev_b32_e32 v19, 30, v21
	v_mov_b32_e32 v18, v5
	v_cmp_gt_i64_e64 s[34:35], 0, v[18:19]
	v_not_b32_e32 v18, v19
	v_ashrrev_i32_e32 v18, 31, v18
	v_xor_b32_e32 v19, s35, v18
	v_xor_b32_e32 v18, s34, v18
	v_and_b32_e32 v66, v66, v19
	v_and_b32_e32 v67, v67, v18
	v_lshlrev_b32_e32 v19, 29, v21
	v_mov_b32_e32 v18, v5
	v_cmp_gt_i64_e64 s[34:35], 0, v[18:19]
	v_not_b32_e32 v18, v19
	v_ashrrev_i32_e32 v18, 31, v18
	v_xor_b32_e32 v19, s35, v18
	v_xor_b32_e32 v18, s34, v18
	v_and_b32_e32 v66, v66, v19
	v_and_b32_e32 v67, v67, v18
	;; [unrolled: 9-line block ×7, first 2 shown]
	v_mbcnt_lo_u32_b32 v21, v18, 0
	v_mbcnt_hi_u32_b32 v80, v19, v21
	v_cmp_eq_u32_e64 s[34:35], 0, v80
	v_cmp_ne_u64_e64 s[36:37], 0, v[18:19]
	s_and_b64 s[36:37], s[36:37], s[34:35]
	; wave barrier
	s_and_saveexec_b64 s[34:35], s[36:37]
	s_cbranch_execz .LBB913_283
; %bb.282:                              ;   in Loop: Header=BB913_279 Depth=1
	v_bcnt_u32_b32 v18, v18, 0
	v_bcnt_u32_b32 v18, v19, v18
	s_waitcnt vmcnt(0) lgkmcnt(0)
	v_add_u32_e32 v18, v70, v18
	flat_store_dword v[64:65], v18
.LBB913_283:                            ;   in Loop: Header=BB913_279 Depth=1
	s_or_b64 exec, exec, s[34:35]
	v_lshrrev_b32_sdwa v18, v10, v99 dst_sel:DWORD dst_unused:UNUSED_PAD src0_sel:DWORD src1_sel:WORD_0
	v_and_b32_e32 v21, v18, v20
	v_lshlrev_b32_e32 v18, 2, v21
	v_add_lshl_u32 v18, v18, v96, 2
	v_add_co_u32_e64 v66, s[34:35], v1, v18
	v_addc_co_u32_e64 v67, s[34:35], 0, v23, s[34:35]
	; wave barrier
	flat_load_dword v81, v[66:67]
	v_and_b32_e32 v18, 1, v21
	v_add_co_u32_e64 v19, s[34:35], -1, v18
	v_addc_co_u32_e64 v68, s[34:35], 0, -1, s[34:35]
	v_cmp_ne_u32_e64 s[34:35], 0, v18
	v_xor_b32_e32 v18, s35, v68
	v_xor_b32_e32 v19, s34, v19
	v_and_b32_e32 v68, exec_hi, v18
	v_and_b32_e32 v69, exec_lo, v19
	v_lshlrev_b32_e32 v19, 30, v21
	v_mov_b32_e32 v18, v5
	v_cmp_gt_i64_e64 s[34:35], 0, v[18:19]
	v_not_b32_e32 v18, v19
	v_ashrrev_i32_e32 v18, 31, v18
	v_xor_b32_e32 v19, s35, v18
	v_xor_b32_e32 v18, s34, v18
	v_and_b32_e32 v68, v68, v19
	v_and_b32_e32 v69, v69, v18
	v_lshlrev_b32_e32 v19, 29, v21
	v_mov_b32_e32 v18, v5
	v_cmp_gt_i64_e64 s[34:35], 0, v[18:19]
	v_not_b32_e32 v18, v19
	v_ashrrev_i32_e32 v18, 31, v18
	v_xor_b32_e32 v19, s35, v18
	v_xor_b32_e32 v18, s34, v18
	v_and_b32_e32 v68, v68, v19
	v_and_b32_e32 v69, v69, v18
	;; [unrolled: 9-line block ×7, first 2 shown]
	v_mbcnt_lo_u32_b32 v21, v18, 0
	v_mbcnt_hi_u32_b32 v82, v19, v21
	v_cmp_eq_u32_e64 s[34:35], 0, v82
	v_cmp_ne_u64_e64 s[36:37], 0, v[18:19]
	s_and_b64 s[36:37], s[36:37], s[34:35]
	; wave barrier
	s_and_saveexec_b64 s[34:35], s[36:37]
	s_cbranch_execz .LBB913_285
; %bb.284:                              ;   in Loop: Header=BB913_279 Depth=1
	v_bcnt_u32_b32 v18, v18, 0
	v_bcnt_u32_b32 v18, v19, v18
	s_waitcnt vmcnt(0) lgkmcnt(0)
	v_add_u32_e32 v18, v81, v18
	flat_store_dword v[66:67], v18
.LBB913_285:                            ;   in Loop: Header=BB913_279 Depth=1
	s_or_b64 exec, exec, s[34:35]
	v_lshrrev_b32_e32 v102, 16, v99
	v_lshrrev_b32_e32 v18, v10, v102
	v_and_b32_e32 v20, v18, v20
	v_lshlrev_b32_e32 v18, 2, v20
	v_add_lshl_u32 v18, v18, v96, 2
	v_add_co_u32_e64 v68, s[34:35], v1, v18
	v_addc_co_u32_e64 v69, s[34:35], 0, v23, s[34:35]
	; wave barrier
	flat_load_dword v83, v[68:69]
	v_and_b32_e32 v18, 1, v20
	v_add_co_u32_e64 v19, s[34:35], -1, v18
	v_addc_co_u32_e64 v21, s[34:35], 0, -1, s[34:35]
	v_cmp_ne_u32_e64 s[34:35], 0, v18
	v_xor_b32_e32 v18, s35, v21
	v_xor_b32_e32 v19, s34, v19
	v_and_b32_e32 v21, exec_hi, v18
	v_and_b32_e32 v71, exec_lo, v19
	v_lshlrev_b32_e32 v19, 30, v20
	v_mov_b32_e32 v18, v5
	v_cmp_gt_i64_e64 s[34:35], 0, v[18:19]
	v_not_b32_e32 v18, v19
	v_ashrrev_i32_e32 v18, 31, v18
	v_xor_b32_e32 v19, s35, v18
	v_xor_b32_e32 v18, s34, v18
	v_and_b32_e32 v21, v21, v19
	v_and_b32_e32 v71, v71, v18
	v_lshlrev_b32_e32 v19, 29, v20
	v_mov_b32_e32 v18, v5
	v_cmp_gt_i64_e64 s[34:35], 0, v[18:19]
	v_not_b32_e32 v18, v19
	v_ashrrev_i32_e32 v18, 31, v18
	v_xor_b32_e32 v19, s35, v18
	v_xor_b32_e32 v18, s34, v18
	v_and_b32_e32 v21, v21, v19
	v_and_b32_e32 v71, v71, v18
	v_lshlrev_b32_e32 v19, 28, v20
	v_mov_b32_e32 v18, v5
	v_cmp_gt_i64_e64 s[34:35], 0, v[18:19]
	v_not_b32_e32 v18, v19
	v_ashrrev_i32_e32 v18, 31, v18
	v_xor_b32_e32 v19, s35, v18
	v_xor_b32_e32 v18, s34, v18
	v_and_b32_e32 v21, v21, v19
	v_and_b32_e32 v71, v71, v18
	v_lshlrev_b32_e32 v19, 27, v20
	v_mov_b32_e32 v18, v5
	v_cmp_gt_i64_e64 s[34:35], 0, v[18:19]
	v_not_b32_e32 v18, v19
	v_ashrrev_i32_e32 v18, 31, v18
	v_xor_b32_e32 v19, s35, v18
	v_xor_b32_e32 v18, s34, v18
	v_and_b32_e32 v21, v21, v19
	v_and_b32_e32 v71, v71, v18
	v_lshlrev_b32_e32 v19, 26, v20
	v_mov_b32_e32 v18, v5
	v_cmp_gt_i64_e64 s[34:35], 0, v[18:19]
	v_not_b32_e32 v18, v19
	v_ashrrev_i32_e32 v18, 31, v18
	v_xor_b32_e32 v19, s35, v18
	v_xor_b32_e32 v18, s34, v18
	v_and_b32_e32 v21, v21, v19
	v_and_b32_e32 v71, v71, v18
	v_lshlrev_b32_e32 v19, 25, v20
	v_mov_b32_e32 v18, v5
	v_cmp_gt_i64_e64 s[34:35], 0, v[18:19]
	v_not_b32_e32 v18, v19
	v_ashrrev_i32_e32 v18, 31, v18
	v_xor_b32_e32 v19, s35, v18
	v_xor_b32_e32 v18, s34, v18
	v_and_b32_e32 v21, v21, v19
	v_and_b32_e32 v71, v71, v18
	v_lshlrev_b32_e32 v19, 24, v20
	v_mov_b32_e32 v18, v5
	v_cmp_gt_i64_e64 s[34:35], 0, v[18:19]
	v_not_b32_e32 v18, v19
	v_ashrrev_i32_e32 v18, 31, v18
	v_xor_b32_e32 v19, s35, v18
	v_xor_b32_e32 v18, s34, v18
	v_and_b32_e32 v18, v71, v18
	v_and_b32_e32 v19, v21, v19
	v_mbcnt_lo_u32_b32 v20, v18, 0
	v_mbcnt_hi_u32_b32 v84, v19, v20
	v_cmp_eq_u32_e64 s[34:35], 0, v84
	v_cmp_ne_u64_e64 s[36:37], 0, v[18:19]
	s_and_b64 s[36:37], s[36:37], s[34:35]
	; wave barrier
	s_and_saveexec_b64 s[34:35], s[36:37]
	s_cbranch_execz .LBB913_287
; %bb.286:                              ;   in Loop: Header=BB913_279 Depth=1
	v_bcnt_u32_b32 v18, v18, 0
	v_bcnt_u32_b32 v18, v19, v18
	s_waitcnt vmcnt(0) lgkmcnt(0)
	v_add_u32_e32 v18, v83, v18
	flat_store_dword v[68:69], v18
.LBB913_287:                            ;   in Loop: Header=BB913_279 Depth=1
	s_or_b64 exec, exec, s[34:35]
	; wave barrier
	s_waitcnt lgkmcnt(0)
	s_barrier
	flat_load_dwordx4 v[18:21], v[26:27] offset:16
	s_waitcnt vmcnt(0) lgkmcnt(0)
	v_add_u32_e32 v71, v19, v18
	v_add3_u32 v21, v71, v20, v21
	s_nop 1
	v_mov_b32_dpp v71, v21 row_shr:1 row_mask:0xf bank_mask:0xf
	v_cndmask_b32_e64 v71, v71, 0, vcc
	v_add_u32_e32 v21, v71, v21
	s_nop 1
	v_mov_b32_dpp v71, v21 row_shr:2 row_mask:0xf bank_mask:0xf
	v_cndmask_b32_e64 v71, 0, v71, s[4:5]
	v_add_u32_e32 v21, v21, v71
	s_nop 1
	v_mov_b32_dpp v71, v21 row_shr:4 row_mask:0xf bank_mask:0xf
	v_cndmask_b32_e64 v71, 0, v71, s[6:7]
	;; [unrolled: 4-line block ×3, first 2 shown]
	v_add_u32_e32 v21, v21, v71
	s_nop 1
	v_mov_b32_dpp v71, v21 row_bcast:15 row_mask:0xf bank_mask:0xf
	v_cndmask_b32_e64 v71, v71, 0, s[30:31]
	v_add_u32_e32 v21, v21, v71
	s_nop 1
	v_mov_b32_dpp v71, v21 row_bcast:31 row_mask:0xf bank_mask:0xf
	v_cndmask_b32_e64 v71, 0, v71, s[14:15]
	v_add_u32_e32 v21, v21, v71
	s_and_saveexec_b64 s[34:35], s[16:17]
	s_cbranch_execz .LBB913_289
; %bb.288:                              ;   in Loop: Header=BB913_279 Depth=1
	flat_store_dword v[28:29], v21
.LBB913_289:                            ;   in Loop: Header=BB913_279 Depth=1
	s_or_b64 exec, exec, s[34:35]
	s_waitcnt lgkmcnt(0)
	s_barrier
	s_and_saveexec_b64 s[34:35], s[18:19]
	s_cbranch_execz .LBB913_291
; %bb.290:                              ;   in Loop: Header=BB913_279 Depth=1
	flat_load_dword v71, v[30:31]
	s_waitcnt vmcnt(0) lgkmcnt(0)
	s_nop 0
	v_mov_b32_dpp v85, v71 row_shr:1 row_mask:0xf bank_mask:0xf
	v_cndmask_b32_e64 v85, v85, 0, s[26:27]
	v_add_u32_e32 v71, v85, v71
	s_nop 1
	v_mov_b32_dpp v85, v71 row_shr:2 row_mask:0xf bank_mask:0xf
	v_cndmask_b32_e64 v85, 0, v85, s[28:29]
	v_add_u32_e32 v71, v71, v85
	flat_store_dword v[30:31], v71
.LBB913_291:                            ;   in Loop: Header=BB913_279 Depth=1
	s_or_b64 exec, exec, s[34:35]
	v_mov_b32_e32 v71, 0
	s_waitcnt lgkmcnt(0)
	s_barrier
	s_and_saveexec_b64 s[34:35], s[20:21]
	s_cbranch_execz .LBB913_293
; %bb.292:                              ;   in Loop: Header=BB913_279 Depth=1
	flat_load_dword v71, v[32:33]
.LBB913_293:                            ;   in Loop: Header=BB913_279 Depth=1
	s_or_b64 exec, exec, s[34:35]
	s_waitcnt vmcnt(0) lgkmcnt(0)
	v_add_u32_e32 v21, v71, v21
	ds_bpermute_b32 v21, v97, v21
	v_add_u32_e32 v10, 8, v10
	v_mov_b32_e32 v103, v100
	v_cmp_lt_u32_e64 s[34:35], v10, v11
	s_mov_b64 s[42:43], -1
	s_waitcnt lgkmcnt(0)
	v_cndmask_b32_e64 v21, v21, v71, s[22:23]
	v_cndmask_b32_e64 v112, v21, 0, s[24:25]
	v_add_u32_e32 v113, v112, v18
	v_add_u32_e32 v114, v113, v19
	;; [unrolled: 1-line block ×3, first 2 shown]
	flat_store_dwordx4 v[26:27], v[112:115] offset:16
	s_waitcnt lgkmcnt(0)
	s_barrier
	flat_load_dword v18, v[54:55]
	flat_load_dword v19, v[64:65]
	;; [unrolled: 1-line block ×4, first 2 shown]
	v_mov_b32_e32 v67, v5
	v_mov_b32_e32 v69, v5
	v_mov_b32_e32 v71, v5
	s_waitcnt vmcnt(0) lgkmcnt(0)
	v_add_u32_e32 v4, v18, v4
	v_add3_u32 v66, v80, v70, v19
	v_lshlrev_b64 v[18:19], 1, v[4:5]
	v_add_co_u32_e64 v80, s[36:37], v12, v18
	v_add3_u32 v68, v82, v81, v20
	v_add3_u32 v70, v84, v83, v21
	v_lshlrev_b64 v[20:21], 1, v[66:67]
	v_addc_co_u32_e64 v81, s[36:37], v13, v19, s[36:37]
	v_add_co_u32_e64 v82, s[36:37], v12, v20
	v_lshlrev_b64 v[54:55], 1, v[68:69]
	v_addc_co_u32_e64 v83, s[36:37], v13, v21, s[36:37]
	v_add_co_u32_e64 v84, s[36:37], v12, v54
	;; [unrolled: 3-line block ×3, first 2 shown]
	v_addc_co_u32_e64 v87, s[36:37], v13, v65, s[36:37]
                                        ; implicit-def: $vgpr67
                                        ; implicit-def: $vgpr18_vgpr19
                                        ; implicit-def: $vgpr20_vgpr21
                                        ; implicit-def: $vgpr54_vgpr55
                                        ; implicit-def: $vgpr64_vgpr65
	s_and_saveexec_b64 s[36:37], s[34:35]
	s_cbranch_execz .LBB913_278
; %bb.294:                              ;   in Loop: Header=BB913_279 Depth=1
	v_mad_u64_u32 v[18:19], s[34:35], v4, 6, v[80:81]
	s_barrier
	flat_store_short v[80:81], v100
	flat_store_short v[82:83], v101
	;; [unrolled: 1-line block ×4, first 2 shown]
	s_waitcnt lgkmcnt(0)
	s_barrier
	flat_load_ushort v67, v[48:49]
	flat_load_ushort v69, v[48:49] offset:128
	flat_load_ushort v71, v[48:49] offset:256
	;; [unrolled: 1-line block ×3, first 2 shown]
	s_waitcnt lgkmcnt(0)
	s_barrier
	flat_store_dwordx2 v[18:19], v[50:51]
	v_mad_u64_u32 v[18:19], s[34:35], v66, 6, v[82:83]
	flat_store_dwordx2 v[18:19], v[38:39]
	v_mad_u64_u32 v[18:19], s[34:35], v68, 6, v[84:85]
	;; [unrolled: 2-line block ×3, first 2 shown]
	flat_store_dwordx2 v[18:19], v[34:35]
	s_waitcnt lgkmcnt(0)
	s_barrier
	flat_load_dwordx2 v[18:19], v[52:53]
	flat_load_dwordx2 v[20:21], v[52:53] offset:512
	flat_load_dwordx2 v[54:55], v[52:53] offset:1024
	flat_load_dwordx2 v[64:65], v[52:53] offset:1536
	v_add_u32_e32 v98, -8, v98
	s_xor_b64 s[42:43], exec, -1
	s_waitcnt lgkmcnt(0)
	s_barrier
	s_waitcnt vmcnt(0)
	v_perm_b32 v100, v69, v67, s47
	v_perm_b32 v67, v112, v71, s47
	s_branch .LBB913_278
.LBB913_295:
	flat_load_dwordx2 v[18:19], v[4:5]
	s_or_b64 exec, exec, s[22:23]
                                        ; implicit-def: $vgpr20_vgpr21
	s_and_saveexec_b64 s[22:23], s[4:5]
	s_cbranch_execz .LBB913_171
.LBB913_296:
	flat_load_dwordx2 v[20:21], v[4:5] offset:512
	s_or_b64 exec, exec, s[22:23]
                                        ; implicit-def: $vgpr70_vgpr71
	s_and_saveexec_b64 s[4:5], s[6:7]
	s_cbranch_execz .LBB913_172
.LBB913_297:
	flat_load_dwordx2 v[70:71], v[4:5] offset:1024
	s_or_b64 exec, exec, s[4:5]
                                        ; implicit-def: $vgpr84_vgpr85
	s_and_saveexec_b64 s[4:5], s[10:11]
	s_cbranch_execz .LBB913_173
.LBB913_298:
	flat_load_dwordx2 v[84:85], v[4:5] offset:1536
	s_or_b64 exec, exec, s[4:5]
                                        ; implicit-def: $vgpr100_vgpr101
	s_and_saveexec_b64 s[4:5], s[20:21]
	s_cbranch_execz .LBB913_174
.LBB913_299:
	flat_load_dwordx2 v[100:101], v[4:5] offset:2048
	s_or_b64 exec, exec, s[4:5]
                                        ; implicit-def: $vgpr114_vgpr115
	s_and_saveexec_b64 s[4:5], s[14:15]
	s_cbranch_execz .LBB913_175
.LBB913_300:
	flat_load_dwordx2 v[114:115], v[4:5] offset:2560
	s_or_b64 exec, exec, s[4:5]
                                        ; implicit-def: $vgpr116_vgpr117
	s_and_saveexec_b64 s[4:5], s[16:17]
	s_cbranch_execz .LBB913_176
.LBB913_301:
	flat_load_dwordx2 v[116:117], v[4:5] offset:3072
	s_or_b64 exec, exec, s[4:5]
                                        ; implicit-def: $vgpr118_vgpr119
	s_and_saveexec_b64 s[4:5], s[18:19]
	s_cbranch_execnz .LBB913_177
	s_branch .LBB913_178
.LBB913_302:
	s_waitcnt vmcnt(0)
	flat_store_dwordx2 v[0:1], v[26:27]
	s_or_b64 exec, exec, s[22:23]
	s_and_saveexec_b64 s[22:23], s[14:15]
	s_cbranch_execz .LBB913_254
.LBB913_303:
	s_waitcnt vmcnt(0)
	flat_store_dwordx2 v[0:1], v[20:21] offset:2048
	s_or_b64 exec, exec, s[22:23]
	s_and_saveexec_b64 s[14:15], s[18:19]
	s_cbranch_execz .LBB913_255
.LBB913_304:
	v_add_co_u32_e32 v2, vcc, 0x1000, v0
	v_addc_co_u32_e32 v3, vcc, 0, v1, vcc
	s_waitcnt vmcnt(0)
	flat_store_dwordx2 v[2:3], v[18:19]
	s_or_b64 exec, exec, s[14:15]
	s_and_saveexec_b64 s[14:15], s[16:17]
	s_cbranch_execz .LBB913_256
.LBB913_305:
	v_add_co_u32_e32 v2, vcc, 0x1000, v0
	v_addc_co_u32_e32 v3, vcc, 0, v1, vcc
	s_waitcnt vmcnt(0)
	flat_store_dwordx2 v[2:3], v[14:15] offset:2048
	s_or_b64 exec, exec, s[14:15]
	s_and_saveexec_b64 s[14:15], s[20:21]
	s_cbranch_execz .LBB913_257
.LBB913_306:
	v_add_co_u32_e32 v2, vcc, 0x2000, v0
	v_addc_co_u32_e32 v3, vcc, 0, v1, vcc
	s_waitcnt vmcnt(0)
	flat_store_dwordx2 v[2:3], v[16:17]
	s_or_b64 exec, exec, s[14:15]
	s_and_saveexec_b64 s[14:15], s[10:11]
	s_cbranch_execz .LBB913_258
.LBB913_307:
	v_add_co_u32_e32 v2, vcc, 0x2000, v0
	v_addc_co_u32_e32 v3, vcc, 0, v1, vcc
	s_waitcnt vmcnt(0)
	flat_store_dwordx2 v[2:3], v[12:13] offset:2048
	s_or_b64 exec, exec, s[14:15]
	s_and_saveexec_b64 s[10:11], s[6:7]
	s_cbranch_execz .LBB913_259
.LBB913_308:
	v_add_co_u32_e32 v2, vcc, 0x3000, v0
	v_addc_co_u32_e32 v3, vcc, 0, v1, vcc
	s_waitcnt vmcnt(0)
	flat_store_dwordx2 v[2:3], v[10:11]
	s_or_b64 exec, exec, s[10:11]
	s_and_saveexec_b64 s[6:7], s[4:5]
	s_cbranch_execnz .LBB913_260
	s_branch .LBB913_261
.LBB913_309:
	s_or_b64 exec, exec, s[40:41]
	v_lshlrev_b32_e32 v1, 1, v22
	v_add_co_u32_e32 v10, vcc, v12, v1
	v_addc_co_u32_e32 v11, vcc, 0, v13, vcc
	v_mad_u64_u32 v[4:5], s[4:5], v4, 6, v[80:81]
	s_barrier
	flat_store_short v[80:81], v103
	flat_store_short v[82:83], v101
	;; [unrolled: 1-line block ×4, first 2 shown]
	s_waitcnt lgkmcnt(0)
	s_barrier
	flat_load_ushort v19, v[10:11]
	flat_load_ushort v18, v[10:11] offset:512
	flat_load_ushort v17, v[10:11] offset:1024
	;; [unrolled: 1-line block ×3, first 2 shown]
	s_waitcnt lgkmcnt(0)
	s_barrier
	flat_store_dwordx2 v[4:5], v[50:51]
	v_mad_u64_u32 v[4:5], s[4:5], v66, 6, v[82:83]
	flat_store_dwordx2 v[4:5], v[38:39]
	v_mad_u64_u32 v[4:5], s[4:5], v68, 6, v[84:85]
	;; [unrolled: 2-line block ×3, first 2 shown]
	v_mad_u64_u32 v[20:21], s[4:5], v22, 6, v[10:11]
	s_movk_i32 s4, 0x1000
	v_add_co_u32_e32 v22, vcc, s4, v20
	flat_store_dwordx2 v[4:5], v[34:35]
	s_waitcnt lgkmcnt(0)
	s_barrier
	v_addc_co_u32_e32 v23, vcc, 0, v21, vcc
	flat_load_dwordx2 v[14:15], v[20:21]
	flat_load_dwordx2 v[12:13], v[20:21] offset:2048
	flat_load_dwordx2 v[10:11], v[22:23]
	flat_load_dwordx2 v[4:5], v[22:23] offset:2048
	v_mov_b32_e32 v1, 0
	v_add_co_u32_e32 v20, vcc, v2, v24
	v_addc_co_u32_e32 v21, vcc, v3, v25, vcc
	v_lshlrev_b64 v[2:3], 1, v[0:1]
	v_add_co_u32_e32 v2, vcc, v20, v2
	v_addc_co_u32_e32 v3, vcc, v21, v3, vcc
	v_cmp_lt_u32_e32 vcc, v0, v106
	s_waitcnt lgkmcnt(0)
	s_barrier
	s_and_saveexec_b64 s[4:5], vcc
	s_cbranch_execz .LBB913_311
; %bb.310:
	s_waitcnt vmcnt(0)
	v_xor_b32_e32 v19, 0x7fff, v19
	flat_store_short v[2:3], v19
.LBB913_311:
	s_or_b64 exec, exec, s[4:5]
	s_waitcnt vmcnt(0)
	v_add_u32_e32 v19, 0x100, v0
	v_cmp_lt_u32_e64 s[4:5], v19, v106
	s_and_saveexec_b64 s[6:7], s[4:5]
	s_cbranch_execz .LBB913_313
; %bb.312:
	v_xor_b32_e32 v18, 0x7fff, v18
	flat_store_short v[2:3], v18 offset:512
.LBB913_313:
	s_or_b64 exec, exec, s[6:7]
	v_add_u32_e32 v18, 0x200, v0
	v_cmp_lt_u32_e64 s[10:11], v18, v106
	s_and_saveexec_b64 s[6:7], s[10:11]
	s_cbranch_execz .LBB913_315
; %bb.314:
	v_xor_b32_e32 v17, 0x7fff, v17
	flat_store_short v[2:3], v17 offset:1024
.LBB913_315:
	s_or_b64 exec, exec, s[6:7]
	;; [unrolled: 9-line block ×3, first 2 shown]
	v_add_co_u32_e64 v2, s[14:15], v6, v8
	v_addc_co_u32_e64 v3, s[14:15], v7, v9, s[14:15]
	v_lshlrev_b64 v[0:1], 3, v[0:1]
	v_add_co_u32_e64 v0, s[14:15], v2, v0
	v_addc_co_u32_e64 v1, s[14:15], v3, v1, s[14:15]
	s_and_saveexec_b64 s[14:15], vcc
	s_cbranch_execnz .LBB913_350
; %bb.318:
	s_or_b64 exec, exec, s[14:15]
	s_and_saveexec_b64 s[14:15], s[4:5]
	s_cbranch_execnz .LBB913_351
.LBB913_319:
	s_or_b64 exec, exec, s[14:15]
	s_and_saveexec_b64 s[4:5], s[10:11]
	s_cbranch_execnz .LBB913_352
.LBB913_320:
	s_or_b64 exec, exec, s[4:5]
	s_and_saveexec_b64 s[4:5], s[6:7]
	s_cbranch_execz .LBB913_322
.LBB913_321:
	v_add_co_u32_e32 v0, vcc, 0x1000, v0
	v_addc_co_u32_e32 v1, vcc, 0, v1, vcc
	flat_store_dwordx2 v[0:1], v[4:5] offset:2048
.LBB913_322:
	s_or_b64 exec, exec, s[4:5]
                                        ; implicit-def: $vgpr106
                                        ; implicit-def: $vgpr0
                                        ; implicit-def: $vgpr1
                                        ; implicit-def: $vgpr2
                                        ; implicit-def: $vgpr3
                                        ; implicit-def: $vgpr4
                                        ; implicit-def: $vgpr5
                                        ; implicit-def: $vgpr6
                                        ; implicit-def: $vgpr7
                                        ; implicit-def: $vgpr8
                                        ; implicit-def: $vgpr10
                                        ; implicit-def: $vgpr11
                                        ; implicit-def: $vgpr12
                                        ; implicit-def: $vgpr13
                                        ; implicit-def: $vgpr31
                                        ; implicit-def: $vgpr14
                                        ; implicit-def: $vgpr16
                                        ; implicit-def: $vgpr15
.LBB913_323:
	s_andn2_saveexec_b64 s[4:5], s[38:39]
	s_cbranch_execz .LBB913_382
; %bb.324:
	s_load_dwordx2 s[4:5], s[8:9], 0x0
	v_mov_b32_e32 v9, 0
	s_waitcnt vmcnt(0)
	v_and_b32_e32 v26, 0x3ff, v31
	v_lshlrev_b64 v[24:25], 1, v[8:9]
	s_waitcnt lgkmcnt(0)
	s_cmp_lt_u32 s12, s4
	s_cselect_b32 s6, 12, 18
	s_cmp_lt_u32 s13, s5
	s_cselect_b32 s4, 14, 20
	s_add_u32 s4, s8, s4
	s_addc_u32 s5, s9, 0
	s_add_u32 s6, s8, s6
	global_load_ushort v17, v9, s[4:5]
	s_addc_u32 s7, s9, 0
	global_load_ushort v18, v9, s[6:7]
	s_movk_i32 s4, 0x100
	v_cmp_lt_u32_e32 vcc, s4, v106
	s_waitcnt vmcnt(1)
	v_mad_u32_u24 v14, v16, v17, v14
	s_waitcnt vmcnt(0)
	v_mad_u64_u32 v[22:23], s[4:5], v14, v18, v[26:27]
	s_and_saveexec_b64 s[4:5], vcc
	s_xor_b64 s[34:35], exec, s[4:5]
	s_cbranch_execz .LBB913_362
; %bb.325:
	v_mbcnt_hi_u32_b32 v17, -1, v15
	v_add_co_u32_e32 v0, vcc, v0, v24
	v_and_b32_e32 v16, 63, v17
	v_addc_co_u32_e32 v1, vcc, v1, v25, vcc
	v_lshlrev_b32_e32 v14, 1, v22
	v_lshlrev_b32_e32 v15, 1, v16
	v_and_b32_e32 v14, 0xffffff80, v14
	v_add_co_u32_e32 v18, vcc, v0, v15
	v_mov_b32_e32 v15, v9
	v_addc_co_u32_e32 v19, vcc, 0, v1, vcc
	v_lshlrev_b64 v[0:1], 1, v[14:15]
	v_add_co_u32_e32 v0, vcc, v18, v0
	v_addc_co_u32_e32 v1, vcc, v19, v1, vcc
	v_or_b32_e32 v18, v16, v14
	v_cmp_lt_u32_e32 vcc, v18, v106
	v_mov_b32_e32 v23, 0x80008000
	s_and_saveexec_b64 s[4:5], vcc
	s_cbranch_execz .LBB913_327
; %bb.326:
	flat_load_ushort v19, v[0:1]
	s_movk_i32 s6, 0x8000
	v_mov_b32_e32 v20, 0x5040100
	s_waitcnt vmcnt(0) lgkmcnt(0)
	v_perm_b32 v23, s6, v19, v20
.LBB913_327:
	s_or_b64 exec, exec, s[4:5]
	v_or_b32_e32 v18, 64, v18
	v_cmp_lt_u32_e64 s[4:5], v18, v106
	s_and_saveexec_b64 s[6:7], s[4:5]
	s_cbranch_execz .LBB913_329
; %bb.328:
	flat_load_ushort v0, v[0:1] offset:128
	s_mov_b32 s8, 0x5040100
	s_waitcnt vmcnt(0) lgkmcnt(0)
	v_perm_b32 v23, v0, v23, s8
.LBB913_329:
	s_or_b64 exec, exec, s[6:7]
	v_lshlrev_b64 v[0:1], 3, v[8:9]
	v_add_co_u32_e64 v4, s[6:7], v4, v0
	v_addc_co_u32_e64 v5, s[6:7], v5, v1, s[6:7]
	v_lshlrev_b32_e32 v8, 3, v16
	v_add_co_u32_e64 v8, s[6:7], v4, v8
	v_addc_co_u32_e64 v9, s[6:7], 0, v5, s[6:7]
	v_lshlrev_b64 v[4:5], 3, v[14:15]
	v_add_co_u32_e64 v4, s[6:7], v8, v4
	v_addc_co_u32_e64 v5, s[6:7], v9, v5, s[6:7]
                                        ; implicit-def: $vgpr18_vgpr19
	s_and_saveexec_b64 s[6:7], vcc
	s_cbranch_execz .LBB913_331
; %bb.330:
	flat_load_dwordx2 v[18:19], v[4:5]
.LBB913_331:
	s_or_b64 exec, exec, s[6:7]
                                        ; implicit-def: $vgpr20_vgpr21
	s_and_saveexec_b64 s[6:7], s[4:5]
	s_cbranch_execz .LBB913_333
; %bb.332:
	flat_load_dwordx2 v[20:21], v[4:5] offset:512
.LBB913_333:
	s_or_b64 exec, exec, s[6:7]
	v_xor_b32_e32 v65, 0x7fff7fff, v23
	v_add_co_u32_e32 v23, vcc, 16, v12
	v_and_b32_e32 v15, 0x3c0, v26
	v_addc_co_u32_e32 v27, vcc, 0, v13, vcc
	v_lshlrev_b32_e32 v8, 4, v26
	v_min_u32_e32 v15, 0xc0, v15
	v_add_co_u32_e32 v8, vcc, v12, v8
	v_or_b32_e32 v15, 63, v15
	s_getpc_b64 s[4:5]
	s_add_u32 s4, s4, _ZN7rocprim17ROCPRIM_400000_NS16block_radix_sortIsLj256ELj2ElLj1ELj1ELj8ELNS0_26block_radix_rank_algorithmE2ELNS0_18block_padding_hintE2ELNS0_4arch9wavefront6targetE1EE19radix_bits_per_passE@rel32@lo+4
	s_addc_u32 s5, s5, _ZN7rocprim17ROCPRIM_400000_NS16block_radix_sortIsLj256ELj2ElLj1ELj1ELj8ELNS0_26block_radix_rank_algorithmE2ELNS0_18block_padding_hintE2ELNS0_4arch9wavefront6targetE1EE19radix_bits_per_passE@rel32@hi+12
	v_addc_co_u32_e32 v9, vcc, 0, v13, vcc
	v_and_b32_e32 v14, 15, v17
	v_cmp_eq_u32_e64 s[14:15], v15, v26
	v_add_u32_e32 v15, -1, v17
	v_and_b32_e32 v28, 64, v17
	s_load_dword s40, s[4:5], 0x0
	v_cmp_eq_u32_e32 vcc, 0, v14
	v_cmp_lt_u32_e64 s[4:5], 1, v14
	v_cmp_lt_u32_e64 s[6:7], 3, v14
	;; [unrolled: 1-line block ×3, first 2 shown]
	v_and_b32_e32 v14, 16, v17
	v_cmp_lt_i32_e64 s[20:21], v15, v28
	v_cmp_eq_u32_e64 s[10:11], 0, v14
	v_lshrrev_b32_e32 v14, 6, v26
	v_cndmask_b32_e64 v15, v15, v17, s[20:21]
	v_lshlrev_b32_e32 v66, 2, v15
	v_lshlrev_b32_e32 v15, 2, v14
	v_add_co_u32_e64 v28, s[24:25], v12, v15
	v_lshlrev_b32_e32 v4, 2, v26
	v_addc_co_u32_e64 v29, s[24:25], 0, v13, s[24:25]
	v_add_co_u32_e64 v30, s[24:25], v12, v4
	v_addc_co_u32_e64 v31, s[24:25], 0, v13, s[24:25]
	v_and_b32_e32 v4, 3, v17
	v_mov_b32_e32 v5, 0
	v_cmp_eq_u32_e64 s[24:25], 0, v4
	v_cmp_lt_u32_e64 s[26:27], 1, v4
	v_add_u32_e32 v4, -1, v14
	v_lshlrev_b64 v[14:15], 2, v[4:5]
	v_add_co_u32_e64 v32, s[28:29], v12, v14
	v_addc_co_u32_e64 v33, s[28:29], v13, v15, s[28:29]
	v_lshlrev_b32_e32 v4, 1, v26
	s_movk_i32 s28, 0x780
	v_and_or_b32 v4, v4, s28, v16
	v_lshlrev_b32_e32 v14, 1, v4
	v_add_co_u32_e64 v38, s[28:29], v12, v14
	v_addc_co_u32_e64 v39, s[28:29], 0, v13, s[28:29]
	v_lshrrev_b32_e32 v64, 6, v22
	v_cmp_lt_u32_e64 s[12:13], 31, v17
	v_cmp_gt_u32_e64 s[16:17], 4, v26
	v_cmp_lt_u32_e64 s[18:19], 63, v26
	v_cmp_eq_u32_e64 s[20:21], 0, v17
	v_cmp_eq_u32_e64 s[22:23], 0, v26
	v_mad_u64_u32 v[48:49], s[28:29], v4, 6, v[38:39]
	v_sub_u32_e32 v67, v11, v10
	s_mov_b64 s[36:37], 0
	v_mov_b32_e32 v14, v5
	v_mov_b32_e32 v15, v5
	;; [unrolled: 1-line block ×4, first 2 shown]
	s_mov_b32 s41, 0x5040100
	s_waitcnt lgkmcnt(0)
	s_barrier
	s_branch .LBB913_335
.LBB913_334:                            ;   in Loop: Header=BB913_335 Depth=1
	s_or_b64 exec, exec, s[30:31]
	s_and_b64 s[28:29], exec, s[38:39]
	s_or_b64 s[36:37], s[28:29], s[36:37]
	s_andn2_b64 exec, exec, s[36:37]
	s_cbranch_execz .LBB913_353
.LBB913_335:                            ; =>This Inner Loop Header: Depth=1
	v_min_u32_e32 v4, s40, v67
	v_lshlrev_b32_e64 v4, v4, -1
	s_waitcnt vmcnt(0)
	v_pk_mov_b32 v[34:35], v[20:21], v[20:21] op_sel:[0,1]
	v_not_b32_e32 v20, v4
	v_lshrrev_b32_sdwa v4, v10, v65 dst_sel:DWORD dst_unused:UNUSED_PAD src0_sel:DWORD src1_sel:WORD_0
	v_and_b32_e32 v4, v4, v20
	v_pk_mov_b32 v[36:37], v[18:19], v[18:19] op_sel:[0,1]
	v_lshlrev_b32_e32 v18, 2, v4
	v_add_lshl_u32 v18, v18, v64, 2
	v_add_co_u32_e64 v50, s[28:29], v23, v18
	v_addc_co_u32_e64 v51, s[28:29], 0, v27, s[28:29]
	v_and_b32_e32 v18, 1, v4
	v_add_co_u32_e64 v19, s[28:29], -1, v18
	v_addc_co_u32_e64 v21, s[28:29], 0, -1, s[28:29]
	v_cmp_ne_u32_e64 s[28:29], 0, v18
	v_xor_b32_e32 v18, s29, v21
	v_xor_b32_e32 v19, s28, v19
	v_and_b32_e32 v21, exec_hi, v18
	v_and_b32_e32 v52, exec_lo, v19
	v_lshlrev_b32_e32 v19, 30, v4
	v_mov_b32_e32 v18, v5
	v_cmp_gt_i64_e64 s[28:29], 0, v[18:19]
	v_not_b32_e32 v18, v19
	v_ashrrev_i32_e32 v18, 31, v18
	v_xor_b32_e32 v19, s29, v18
	v_xor_b32_e32 v18, s28, v18
	v_and_b32_e32 v21, v21, v19
	v_and_b32_e32 v52, v52, v18
	v_lshlrev_b32_e32 v19, 29, v4
	v_mov_b32_e32 v18, v5
	v_cmp_gt_i64_e64 s[28:29], 0, v[18:19]
	v_not_b32_e32 v18, v19
	v_ashrrev_i32_e32 v18, 31, v18
	v_xor_b32_e32 v19, s29, v18
	v_xor_b32_e32 v18, s28, v18
	v_and_b32_e32 v21, v21, v19
	v_and_b32_e32 v52, v52, v18
	;; [unrolled: 9-line block ×5, first 2 shown]
	v_lshlrev_b32_e32 v19, 25, v4
	v_mov_b32_e32 v18, v5
	v_cmp_gt_i64_e64 s[28:29], 0, v[18:19]
	v_not_b32_e32 v18, v19
	v_ashrrev_i32_e32 v18, 31, v18
	v_xor_b32_e32 v19, s29, v18
	v_xor_b32_e32 v18, s28, v18
	v_and_b32_e32 v21, v21, v19
	v_lshlrev_b32_e32 v19, 24, v4
	v_and_b32_e32 v52, v52, v18
	v_mov_b32_e32 v18, v5
	v_not_b32_e32 v4, v19
	v_cmp_gt_i64_e64 s[28:29], 0, v[18:19]
	v_ashrrev_i32_e32 v4, 31, v4
	v_xor_b32_e32 v18, s29, v4
	v_xor_b32_e32 v4, s28, v4
	v_and_b32_e32 v19, v21, v18
	v_and_b32_e32 v18, v52, v4
	v_mbcnt_lo_u32_b32 v4, v18, 0
	v_mbcnt_hi_u32_b32 v4, v19, v4
	v_cmp_eq_u32_e64 s[28:29], 0, v4
	v_cmp_ne_u64_e64 s[30:31], 0, v[18:19]
	s_and_b64 s[30:31], s[30:31], s[28:29]
	flat_store_dwordx4 v[8:9], v[14:17] offset:16
	s_waitcnt lgkmcnt(0)
	s_barrier
	s_waitcnt lgkmcnt(0)
	; wave barrier
	s_and_saveexec_b64 s[28:29], s[30:31]
	s_cbranch_execz .LBB913_337
; %bb.336:                              ;   in Loop: Header=BB913_335 Depth=1
	v_bcnt_u32_b32 v18, v18, 0
	v_bcnt_u32_b32 v18, v19, v18
	flat_store_dword v[50:51], v18
.LBB913_337:                            ;   in Loop: Header=BB913_335 Depth=1
	s_or_b64 exec, exec, s[28:29]
	v_lshrrev_b32_e32 v68, 16, v65
	v_lshrrev_b32_e32 v18, v10, v68
	v_and_b32_e32 v20, v18, v20
	v_lshlrev_b32_e32 v18, 2, v20
	v_add_lshl_u32 v18, v18, v64, 2
	v_add_co_u32_e64 v52, s[28:29], v23, v18
	v_addc_co_u32_e64 v53, s[28:29], 0, v27, s[28:29]
	; wave barrier
	flat_load_dword v54, v[52:53]
	v_and_b32_e32 v18, 1, v20
	v_add_co_u32_e64 v19, s[28:29], -1, v18
	v_addc_co_u32_e64 v21, s[28:29], 0, -1, s[28:29]
	v_cmp_ne_u32_e64 s[28:29], 0, v18
	v_xor_b32_e32 v18, s29, v21
	v_xor_b32_e32 v19, s28, v19
	v_and_b32_e32 v21, exec_hi, v18
	v_and_b32_e32 v55, exec_lo, v19
	v_lshlrev_b32_e32 v19, 30, v20
	v_mov_b32_e32 v18, v5
	v_cmp_gt_i64_e64 s[28:29], 0, v[18:19]
	v_not_b32_e32 v18, v19
	v_ashrrev_i32_e32 v18, 31, v18
	v_xor_b32_e32 v19, s29, v18
	v_xor_b32_e32 v18, s28, v18
	v_and_b32_e32 v21, v21, v19
	v_and_b32_e32 v55, v55, v18
	v_lshlrev_b32_e32 v19, 29, v20
	v_mov_b32_e32 v18, v5
	v_cmp_gt_i64_e64 s[28:29], 0, v[18:19]
	v_not_b32_e32 v18, v19
	v_ashrrev_i32_e32 v18, 31, v18
	v_xor_b32_e32 v19, s29, v18
	v_xor_b32_e32 v18, s28, v18
	v_and_b32_e32 v21, v21, v19
	v_and_b32_e32 v55, v55, v18
	;; [unrolled: 9-line block ×7, first 2 shown]
	v_mbcnt_lo_u32_b32 v20, v18, 0
	v_mbcnt_hi_u32_b32 v55, v19, v20
	v_cmp_eq_u32_e64 s[28:29], 0, v55
	v_cmp_ne_u64_e64 s[30:31], 0, v[18:19]
	s_and_b64 s[30:31], s[30:31], s[28:29]
	; wave barrier
	s_and_saveexec_b64 s[28:29], s[30:31]
	s_cbranch_execz .LBB913_339
; %bb.338:                              ;   in Loop: Header=BB913_335 Depth=1
	v_bcnt_u32_b32 v18, v18, 0
	v_bcnt_u32_b32 v18, v19, v18
	s_waitcnt vmcnt(0) lgkmcnt(0)
	v_add_u32_e32 v18, v54, v18
	flat_store_dword v[52:53], v18
.LBB913_339:                            ;   in Loop: Header=BB913_335 Depth=1
	s_or_b64 exec, exec, s[28:29]
	; wave barrier
	s_waitcnt lgkmcnt(0)
	s_barrier
	flat_load_dwordx4 v[18:21], v[8:9] offset:16
	s_waitcnt vmcnt(0) lgkmcnt(0)
	v_add_u32_e32 v69, v19, v18
	v_add3_u32 v21, v69, v20, v21
	s_nop 1
	v_mov_b32_dpp v69, v21 row_shr:1 row_mask:0xf bank_mask:0xf
	v_cndmask_b32_e64 v69, v69, 0, vcc
	v_add_u32_e32 v21, v69, v21
	s_nop 1
	v_mov_b32_dpp v69, v21 row_shr:2 row_mask:0xf bank_mask:0xf
	v_cndmask_b32_e64 v69, 0, v69, s[4:5]
	v_add_u32_e32 v21, v21, v69
	s_nop 1
	v_mov_b32_dpp v69, v21 row_shr:4 row_mask:0xf bank_mask:0xf
	v_cndmask_b32_e64 v69, 0, v69, s[6:7]
	;; [unrolled: 4-line block ×3, first 2 shown]
	v_add_u32_e32 v21, v21, v69
	s_nop 1
	v_mov_b32_dpp v69, v21 row_bcast:15 row_mask:0xf bank_mask:0xf
	v_cndmask_b32_e64 v69, v69, 0, s[10:11]
	v_add_u32_e32 v21, v21, v69
	s_nop 1
	v_mov_b32_dpp v69, v21 row_bcast:31 row_mask:0xf bank_mask:0xf
	v_cndmask_b32_e64 v69, 0, v69, s[12:13]
	v_add_u32_e32 v21, v21, v69
	s_and_saveexec_b64 s[28:29], s[14:15]
	s_cbranch_execz .LBB913_341
; %bb.340:                              ;   in Loop: Header=BB913_335 Depth=1
	flat_store_dword v[28:29], v21
.LBB913_341:                            ;   in Loop: Header=BB913_335 Depth=1
	s_or_b64 exec, exec, s[28:29]
	s_waitcnt lgkmcnt(0)
	s_barrier
	s_and_saveexec_b64 s[28:29], s[16:17]
	s_cbranch_execz .LBB913_343
; %bb.342:                              ;   in Loop: Header=BB913_335 Depth=1
	flat_load_dword v69, v[30:31]
	s_waitcnt vmcnt(0) lgkmcnt(0)
	s_nop 0
	v_mov_b32_dpp v70, v69 row_shr:1 row_mask:0xf bank_mask:0xf
	v_cndmask_b32_e64 v70, v70, 0, s[24:25]
	v_add_u32_e32 v69, v70, v69
	s_nop 1
	v_mov_b32_dpp v70, v69 row_shr:2 row_mask:0xf bank_mask:0xf
	v_cndmask_b32_e64 v70, 0, v70, s[26:27]
	v_add_u32_e32 v69, v69, v70
	flat_store_dword v[30:31], v69
.LBB913_343:                            ;   in Loop: Header=BB913_335 Depth=1
	s_or_b64 exec, exec, s[28:29]
	v_mov_b32_e32 v69, 0
	s_waitcnt lgkmcnt(0)
	s_barrier
	s_and_saveexec_b64 s[28:29], s[18:19]
	s_cbranch_execz .LBB913_345
; %bb.344:                              ;   in Loop: Header=BB913_335 Depth=1
	flat_load_dword v69, v[32:33]
.LBB913_345:                            ;   in Loop: Header=BB913_335 Depth=1
	s_or_b64 exec, exec, s[28:29]
	s_waitcnt vmcnt(0) lgkmcnt(0)
	v_add_u32_e32 v21, v69, v21
	ds_bpermute_b32 v21, v66, v21
	v_add_u32_e32 v10, 8, v10
	v_cmp_lt_u32_e64 s[28:29], v10, v11
	s_mov_b64 s[38:39], -1
	s_waitcnt lgkmcnt(0)
	v_cndmask_b32_e64 v21, v21, v69, s[20:21]
	v_cndmask_b32_e64 v80, v21, 0, s[22:23]
	v_add_u32_e32 v81, v80, v18
	v_add_u32_e32 v82, v81, v19
	;; [unrolled: 1-line block ×3, first 2 shown]
	flat_store_dwordx4 v[8:9], v[80:83] offset:16
	s_waitcnt lgkmcnt(0)
	s_barrier
	flat_load_dword v18, v[50:51]
	flat_load_dword v19, v[52:53]
	v_mov_b32_e32 v51, v5
	v_mov_b32_e32 v69, v65
	s_waitcnt vmcnt(0) lgkmcnt(0)
	v_add_u32_e32 v4, v18, v4
	v_add3_u32 v50, v55, v54, v19
	v_lshlrev_b64 v[18:19], 1, v[4:5]
	v_add_co_u32_e64 v52, s[30:31], v12, v18
	v_lshlrev_b64 v[20:21], 1, v[50:51]
	v_addc_co_u32_e64 v53, s[30:31], v13, v19, s[30:31]
	v_add_co_u32_e64 v54, s[30:31], v12, v20
	v_addc_co_u32_e64 v55, s[30:31], v13, v21, s[30:31]
                                        ; implicit-def: $vgpr20_vgpr21
                                        ; implicit-def: $vgpr18_vgpr19
	s_and_saveexec_b64 s[30:31], s[28:29]
	s_cbranch_execz .LBB913_334
; %bb.346:                              ;   in Loop: Header=BB913_335 Depth=1
	v_mad_u64_u32 v[18:19], s[28:29], v4, 6, v[52:53]
	s_barrier
	flat_store_short v[52:53], v65
	flat_store_short v[54:55], v68
	s_waitcnt lgkmcnt(0)
	s_barrier
	flat_load_ushort v51, v[38:39]
	flat_load_ushort v65, v[38:39] offset:128
	s_waitcnt lgkmcnt(0)
	s_barrier
	flat_store_dwordx2 v[18:19], v[36:37]
	v_mad_u64_u32 v[18:19], s[28:29], v50, 6, v[54:55]
	flat_store_dwordx2 v[18:19], v[34:35]
	s_waitcnt lgkmcnt(0)
	s_barrier
	flat_load_dwordx2 v[18:19], v[48:49]
	flat_load_dwordx2 v[20:21], v[48:49] offset:512
	v_add_u32_e32 v67, -8, v67
	s_xor_b64 s[38:39], exec, -1
	s_waitcnt lgkmcnt(0)
	s_barrier
	s_waitcnt vmcnt(0)
	v_perm_b32 v65, v65, v51, s41
	s_branch .LBB913_334
.LBB913_347:
	flat_load_dwordx2 v[18:19], v[4:5]
	s_or_b64 exec, exec, s[14:15]
                                        ; implicit-def: $vgpr20_vgpr21
	s_and_saveexec_b64 s[14:15], s[4:5]
	s_cbranch_execz .LBB913_274
.LBB913_348:
	flat_load_dwordx2 v[20:21], v[4:5] offset:512
	s_or_b64 exec, exec, s[14:15]
                                        ; implicit-def: $vgpr54_vgpr55
	s_and_saveexec_b64 s[4:5], s[6:7]
	s_cbranch_execz .LBB913_275
.LBB913_349:
	flat_load_dwordx2 v[54:55], v[4:5] offset:1024
	s_or_b64 exec, exec, s[4:5]
                                        ; implicit-def: $vgpr64_vgpr65
	s_and_saveexec_b64 s[4:5], s[10:11]
	s_cbranch_execnz .LBB913_276
	s_branch .LBB913_277
.LBB913_350:
	flat_store_dwordx2 v[0:1], v[14:15]
	s_or_b64 exec, exec, s[14:15]
	s_and_saveexec_b64 s[14:15], s[4:5]
	s_cbranch_execz .LBB913_319
.LBB913_351:
	flat_store_dwordx2 v[0:1], v[12:13] offset:2048
	s_or_b64 exec, exec, s[14:15]
	s_and_saveexec_b64 s[4:5], s[10:11]
	s_cbranch_execz .LBB913_320
.LBB913_352:
	v_add_co_u32_e32 v2, vcc, 0x1000, v0
	v_addc_co_u32_e32 v3, vcc, 0, v1, vcc
	flat_store_dwordx2 v[2:3], v[10:11]
	s_or_b64 exec, exec, s[4:5]
	s_and_saveexec_b64 s[4:5], s[6:7]
	s_cbranch_execnz .LBB913_321
	s_branch .LBB913_322
.LBB913_353:
	s_or_b64 exec, exec, s[36:37]
	v_lshlrev_b32_e32 v5, 1, v26
	v_add_co_u32_e32 v8, vcc, v12, v5
	v_addc_co_u32_e32 v9, vcc, 0, v13, vcc
	v_mad_u64_u32 v[4:5], s[4:5], v4, 6, v[52:53]
	s_barrier
	flat_store_short v[52:53], v69
	flat_store_short v[54:55], v68
	s_waitcnt lgkmcnt(0)
	s_barrier
	flat_load_ushort v11, v[8:9]
	flat_load_ushort v10, v[8:9] offset:512
	s_waitcnt lgkmcnt(0)
	s_barrier
	flat_store_dwordx2 v[4:5], v[36:37]
	v_mad_u64_u32 v[4:5], s[4:5], v50, 6, v[54:55]
	v_mad_u64_u32 v[12:13], s[4:5], v26, 6, v[8:9]
	flat_store_dwordx2 v[4:5], v[34:35]
	s_waitcnt lgkmcnt(0)
	s_barrier
	flat_load_dwordx2 v[8:9], v[12:13]
	flat_load_dwordx2 v[4:5], v[12:13] offset:2048
	v_mov_b32_e32 v23, 0
	v_add_co_u32_e32 v12, vcc, v2, v24
	v_addc_co_u32_e32 v13, vcc, v3, v25, vcc
	v_lshlrev_b64 v[2:3], 1, v[22:23]
	v_add_co_u32_e32 v2, vcc, v12, v2
	v_addc_co_u32_e32 v3, vcc, v13, v3, vcc
	v_cmp_lt_u32_e32 vcc, v22, v106
	s_waitcnt lgkmcnt(0)
	s_barrier
	s_and_saveexec_b64 s[4:5], vcc
	s_cbranch_execz .LBB913_355
; %bb.354:
	s_waitcnt vmcnt(0)
	v_xor_b32_e32 v11, 0x7fff, v11
	flat_store_short v[2:3], v11
.LBB913_355:
	s_or_b64 exec, exec, s[4:5]
	s_waitcnt vmcnt(0)
	v_add_u32_e32 v11, 0x100, v22
	v_cmp_lt_u32_e64 s[4:5], v11, v106
	s_and_saveexec_b64 s[6:7], s[4:5]
	s_cbranch_execz .LBB913_357
; %bb.356:
	v_xor_b32_e32 v10, 0x7fff, v10
	flat_store_short v[2:3], v10 offset:512
.LBB913_357:
	s_or_b64 exec, exec, s[6:7]
	v_add_co_u32_e64 v2, s[6:7], v6, v0
	v_addc_co_u32_e64 v3, s[6:7], v7, v1, s[6:7]
	v_lshlrev_b64 v[0:1], 3, v[22:23]
	v_add_co_u32_e64 v0, s[6:7], v2, v0
	v_addc_co_u32_e64 v1, s[6:7], v3, v1, s[6:7]
	s_and_saveexec_b64 s[6:7], vcc
	s_cbranch_execz .LBB913_359
; %bb.358:
	flat_store_dwordx2 v[0:1], v[8:9]
.LBB913_359:
	s_or_b64 exec, exec, s[6:7]
	s_and_saveexec_b64 s[6:7], s[4:5]
	s_cbranch_execz .LBB913_361
; %bb.360:
	flat_store_dwordx2 v[0:1], v[4:5] offset:2048
.LBB913_361:
	s_or_b64 exec, exec, s[6:7]
                                        ; implicit-def: $vgpr26
                                        ; implicit-def: $vgpr22_vgpr23
                                        ; implicit-def: $vgpr8_vgpr9
                                        ; implicit-def: $vgpr24_vgpr25
                                        ; implicit-def: $vgpr106
                                        ; implicit-def: $vgpr0
                                        ; implicit-def: $vgpr1
                                        ; implicit-def: $vgpr2
                                        ; implicit-def: $vgpr3
                                        ; implicit-def: $vgpr4
                                        ; implicit-def: $vgpr5
                                        ; implicit-def: $vgpr6
                                        ; implicit-def: $vgpr7
                                        ; implicit-def: $vgpr10
                                        ; implicit-def: $vgpr11
                                        ; implicit-def: $vgpr12
                                        ; implicit-def: $vgpr13
                                        ; implicit-def: $vgpr15
.LBB913_362:
	s_andn2_saveexec_b64 s[4:5], s[34:35]
	s_cbranch_execz .LBB913_382
; %bb.363:
	v_mbcnt_hi_u32_b32 v17, -1, v15
	v_bfi_b32 v15, 63, v17, v22
	v_and_b32_e32 v16, 63, v17
	v_and_b32_e32 v14, 0xffffffc0, v22
	v_cmp_lt_u32_e32 vcc, v15, v106
	v_mov_b32_e32 v48, -1
	s_and_saveexec_b64 s[6:7], vcc
	s_cbranch_execz .LBB913_365
; %bb.364:
	v_add_co_u32_e64 v0, s[4:5], v0, v24
	v_addc_co_u32_e64 v1, s[4:5], v1, v25, s[4:5]
	v_lshlrev_b32_e32 v18, 1, v16
	v_mov_b32_e32 v15, 0
	v_add_co_u32_e64 v18, s[4:5], v0, v18
	v_addc_co_u32_e64 v19, s[4:5], 0, v1, s[4:5]
	v_lshlrev_b64 v[0:1], 1, v[14:15]
	v_add_co_u32_e64 v0, s[4:5], v18, v0
	v_addc_co_u32_e64 v1, s[4:5], v19, v1, s[4:5]
	flat_load_ushort v0, v[0:1]
	s_waitcnt vmcnt(0) lgkmcnt(0)
	v_xor_b32_e32 v48, 0x7fff, v0
.LBB913_365:
	s_or_b64 exec, exec, s[6:7]
	v_lshlrev_b64 v[0:1], 3, v[8:9]
                                        ; implicit-def: $vgpr18_vgpr19
	s_and_saveexec_b64 s[4:5], vcc
	s_cbranch_execz .LBB913_367
; %bb.366:
	v_add_co_u32_e32 v4, vcc, v4, v0
	v_addc_co_u32_e32 v5, vcc, v5, v1, vcc
	v_lshlrev_b32_e32 v8, 3, v16
	v_mov_b32_e32 v15, 0
	v_add_co_u32_e32 v8, vcc, v4, v8
	v_addc_co_u32_e32 v9, vcc, 0, v5, vcc
	v_lshlrev_b64 v[4:5], 3, v[14:15]
	v_add_co_u32_e32 v4, vcc, v8, v4
	v_addc_co_u32_e32 v5, vcc, v9, v5, vcc
	flat_load_dwordx2 v[18:19], v[4:5]
.LBB913_367:
	s_or_b64 exec, exec, s[4:5]
	v_add_co_u32_e32 v23, vcc, 16, v12
	v_and_b32_e32 v20, 0x3c0, v26
	v_addc_co_u32_e32 v27, vcc, 0, v13, vcc
	v_lshlrev_b32_e32 v8, 4, v26
	v_min_u32_e32 v15, 0xc0, v20
	v_add_co_u32_e32 v8, vcc, v12, v8
	v_or_b32_e32 v15, 63, v15
	s_getpc_b64 s[4:5]
	s_add_u32 s4, s4, _ZN7rocprim17ROCPRIM_400000_NS16block_radix_sortIsLj256ELj1ElLj1ELj1ELj8ELNS0_26block_radix_rank_algorithmE2ELNS0_18block_padding_hintE2ELNS0_4arch9wavefront6targetE1EE19radix_bits_per_passE@rel32@lo+4
	s_addc_u32 s5, s5, _ZN7rocprim17ROCPRIM_400000_NS16block_radix_sortIsLj256ELj1ElLj1ELj1ELj8ELNS0_26block_radix_rank_algorithmE2ELNS0_18block_padding_hintE2ELNS0_4arch9wavefront6targetE1EE19radix_bits_per_passE@rel32@hi+12
	v_addc_co_u32_e32 v9, vcc, 0, v13, vcc
	v_and_b32_e32 v14, 15, v17
	v_cmp_eq_u32_e64 s[14:15], v15, v26
	v_add_u32_e32 v15, -1, v17
	v_and_b32_e32 v21, 64, v17
	s_load_dword s38, s[4:5], 0x0
	v_cmp_eq_u32_e32 vcc, 0, v14
	v_cmp_lt_u32_e64 s[4:5], 1, v14
	v_cmp_lt_u32_e64 s[6:7], 3, v14
	;; [unrolled: 1-line block ×3, first 2 shown]
	v_and_b32_e32 v14, 16, v17
	v_cmp_lt_i32_e64 s[20:21], v15, v21
	v_cmp_eq_u32_e64 s[10:11], 0, v14
	v_lshrrev_b32_e32 v14, 6, v26
	v_cndmask_b32_e64 v15, v15, v17, s[20:21]
	v_lshlrev_b32_e32 v51, 2, v15
	v_lshlrev_b32_e32 v15, 2, v14
	v_add_co_u32_e64 v28, s[24:25], v12, v15
	v_lshlrev_b32_e32 v4, 2, v26
	v_addc_co_u32_e64 v29, s[24:25], 0, v13, s[24:25]
	v_add_co_u32_e64 v30, s[24:25], v12, v4
	v_addc_co_u32_e64 v31, s[24:25], 0, v13, s[24:25]
	v_and_b32_e32 v4, 3, v17
	v_mov_b32_e32 v5, 0
	v_cmp_eq_u32_e64 s[24:25], 0, v4
	v_cmp_lt_u32_e64 s[26:27], 1, v4
	v_add_u32_e32 v4, -1, v14
	v_lshlrev_b64 v[14:15], 2, v[4:5]
	v_add_co_u32_e64 v32, s[28:29], v12, v14
	v_or_b32_e32 v4, v16, v20
	v_addc_co_u32_e64 v33, s[28:29], v13, v15, s[28:29]
	v_lshlrev_b32_e32 v14, 1, v4
	v_add_co_u32_e64 v36, s[28:29], v12, v14
	v_addc_co_u32_e64 v37, s[28:29], 0, v13, s[28:29]
	v_lshrrev_b32_e32 v50, 6, v22
	v_cmp_lt_u32_e64 s[12:13], 31, v17
	v_cmp_gt_u32_e64 s[16:17], 4, v26
	v_cmp_lt_u32_e64 s[18:19], 63, v26
	v_cmp_eq_u32_e64 s[20:21], 0, v17
	v_cmp_eq_u32_e64 s[22:23], 0, v26
	v_mad_u64_u32 v[38:39], s[28:29], v4, 6, v[36:37]
	v_sub_u32_e32 v52, v11, v10
	s_mov_b64 s[34:35], 0
	v_mov_b32_e32 v14, v5
	v_mov_b32_e32 v15, v5
	;; [unrolled: 1-line block ×4, first 2 shown]
	s_waitcnt lgkmcnt(0)
	s_barrier
	s_branch .LBB913_369
.LBB913_368:                            ;   in Loop: Header=BB913_369 Depth=1
	s_or_b64 exec, exec, s[30:31]
	s_and_b64 s[28:29], exec, s[36:37]
	s_or_b64 s[34:35], s[28:29], s[34:35]
	s_andn2_b64 exec, exec, s[34:35]
	s_cbranch_execz .LBB913_379
.LBB913_369:                            ; =>This Inner Loop Header: Depth=1
	s_waitcnt vmcnt(0)
	v_mov_b32_e32 v53, v48
	s_waitcnt vmcnt(0)
	v_pk_mov_b32 v[34:35], v[18:19], v[18:19] op_sel:[0,1]
	v_min_u32_e32 v4, s38, v52
	v_lshrrev_b32_sdwa v18, v10, v53 dst_sel:DWORD dst_unused:UNUSED_PAD src0_sel:DWORD src1_sel:WORD_0
	v_bfe_u32 v4, v18, 0, v4
	v_lshlrev_b32_e32 v18, 2, v4
	v_add_lshl_u32 v18, v18, v50, 2
	v_add_co_u32_e64 v48, s[28:29], v23, v18
	v_addc_co_u32_e64 v49, s[28:29], 0, v27, s[28:29]
	v_and_b32_e32 v18, 1, v4
	v_add_co_u32_e64 v19, s[28:29], -1, v18
	v_addc_co_u32_e64 v20, s[28:29], 0, -1, s[28:29]
	v_cmp_ne_u32_e64 s[28:29], 0, v18
	v_xor_b32_e32 v18, s29, v20
	v_xor_b32_e32 v19, s28, v19
	v_and_b32_e32 v20, exec_hi, v18
	v_and_b32_e32 v21, exec_lo, v19
	v_lshlrev_b32_e32 v19, 30, v4
	v_mov_b32_e32 v18, v5
	v_cmp_gt_i64_e64 s[28:29], 0, v[18:19]
	v_not_b32_e32 v18, v19
	v_ashrrev_i32_e32 v18, 31, v18
	v_xor_b32_e32 v19, s29, v18
	v_xor_b32_e32 v18, s28, v18
	v_and_b32_e32 v20, v20, v19
	v_and_b32_e32 v21, v21, v18
	v_lshlrev_b32_e32 v19, 29, v4
	v_mov_b32_e32 v18, v5
	v_cmp_gt_i64_e64 s[28:29], 0, v[18:19]
	v_not_b32_e32 v18, v19
	v_ashrrev_i32_e32 v18, 31, v18
	v_xor_b32_e32 v19, s29, v18
	v_xor_b32_e32 v18, s28, v18
	v_and_b32_e32 v20, v20, v19
	v_and_b32_e32 v21, v21, v18
	;; [unrolled: 9-line block ×5, first 2 shown]
	v_lshlrev_b32_e32 v19, 25, v4
	v_mov_b32_e32 v18, v5
	v_cmp_gt_i64_e64 s[28:29], 0, v[18:19]
	v_not_b32_e32 v18, v19
	v_ashrrev_i32_e32 v18, 31, v18
	v_xor_b32_e32 v19, s29, v18
	v_xor_b32_e32 v18, s28, v18
	v_and_b32_e32 v20, v20, v19
	v_lshlrev_b32_e32 v19, 24, v4
	v_and_b32_e32 v21, v21, v18
	v_mov_b32_e32 v18, v5
	v_not_b32_e32 v4, v19
	v_cmp_gt_i64_e64 s[28:29], 0, v[18:19]
	v_ashrrev_i32_e32 v4, 31, v4
	v_xor_b32_e32 v18, s29, v4
	v_xor_b32_e32 v4, s28, v4
	v_and_b32_e32 v19, v20, v18
	v_and_b32_e32 v18, v21, v4
	v_mbcnt_lo_u32_b32 v4, v18, 0
	v_mbcnt_hi_u32_b32 v4, v19, v4
	v_cmp_eq_u32_e64 s[28:29], 0, v4
	v_cmp_ne_u64_e64 s[30:31], 0, v[18:19]
	s_and_b64 s[30:31], s[30:31], s[28:29]
	flat_store_dwordx4 v[8:9], v[14:17] offset:16
	s_waitcnt lgkmcnt(0)
	s_barrier
	s_waitcnt lgkmcnt(0)
	; wave barrier
	s_and_saveexec_b64 s[28:29], s[30:31]
	s_cbranch_execz .LBB913_371
; %bb.370:                              ;   in Loop: Header=BB913_369 Depth=1
	v_bcnt_u32_b32 v18, v18, 0
	v_bcnt_u32_b32 v18, v19, v18
	flat_store_dword v[48:49], v18
.LBB913_371:                            ;   in Loop: Header=BB913_369 Depth=1
	s_or_b64 exec, exec, s[28:29]
	; wave barrier
	s_waitcnt lgkmcnt(0)
	s_barrier
	flat_load_dwordx4 v[18:21], v[8:9] offset:16
	s_waitcnt vmcnt(0) lgkmcnt(0)
	v_add_u32_e32 v54, v19, v18
	v_add3_u32 v21, v54, v20, v21
	s_nop 1
	v_mov_b32_dpp v54, v21 row_shr:1 row_mask:0xf bank_mask:0xf
	v_cndmask_b32_e64 v54, v54, 0, vcc
	v_add_u32_e32 v21, v54, v21
	s_nop 1
	v_mov_b32_dpp v54, v21 row_shr:2 row_mask:0xf bank_mask:0xf
	v_cndmask_b32_e64 v54, 0, v54, s[4:5]
	v_add_u32_e32 v21, v21, v54
	s_nop 1
	v_mov_b32_dpp v54, v21 row_shr:4 row_mask:0xf bank_mask:0xf
	v_cndmask_b32_e64 v54, 0, v54, s[6:7]
	;; [unrolled: 4-line block ×3, first 2 shown]
	v_add_u32_e32 v21, v21, v54
	s_nop 1
	v_mov_b32_dpp v54, v21 row_bcast:15 row_mask:0xf bank_mask:0xf
	v_cndmask_b32_e64 v54, v54, 0, s[10:11]
	v_add_u32_e32 v21, v21, v54
	s_nop 1
	v_mov_b32_dpp v54, v21 row_bcast:31 row_mask:0xf bank_mask:0xf
	v_cndmask_b32_e64 v54, 0, v54, s[12:13]
	v_add_u32_e32 v21, v21, v54
	s_and_saveexec_b64 s[28:29], s[14:15]
	s_cbranch_execz .LBB913_373
; %bb.372:                              ;   in Loop: Header=BB913_369 Depth=1
	flat_store_dword v[28:29], v21
.LBB913_373:                            ;   in Loop: Header=BB913_369 Depth=1
	s_or_b64 exec, exec, s[28:29]
	s_waitcnt lgkmcnt(0)
	s_barrier
	s_and_saveexec_b64 s[28:29], s[16:17]
	s_cbranch_execz .LBB913_375
; %bb.374:                              ;   in Loop: Header=BB913_369 Depth=1
	flat_load_dword v54, v[30:31]
	s_waitcnt vmcnt(0) lgkmcnt(0)
	s_nop 0
	v_mov_b32_dpp v55, v54 row_shr:1 row_mask:0xf bank_mask:0xf
	v_cndmask_b32_e64 v55, v55, 0, s[24:25]
	v_add_u32_e32 v54, v55, v54
	s_nop 1
	v_mov_b32_dpp v55, v54 row_shr:2 row_mask:0xf bank_mask:0xf
	v_cndmask_b32_e64 v55, 0, v55, s[26:27]
	v_add_u32_e32 v54, v54, v55
	flat_store_dword v[30:31], v54
.LBB913_375:                            ;   in Loop: Header=BB913_369 Depth=1
	s_or_b64 exec, exec, s[28:29]
	v_mov_b32_e32 v54, 0
	s_waitcnt lgkmcnt(0)
	s_barrier
	s_and_saveexec_b64 s[28:29], s[18:19]
	s_cbranch_execz .LBB913_377
; %bb.376:                              ;   in Loop: Header=BB913_369 Depth=1
	flat_load_dword v54, v[32:33]
.LBB913_377:                            ;   in Loop: Header=BB913_369 Depth=1
	s_or_b64 exec, exec, s[28:29]
	s_waitcnt vmcnt(0) lgkmcnt(0)
	v_add_u32_e32 v21, v54, v21
	ds_bpermute_b32 v21, v51, v21
	v_add_u32_e32 v10, 8, v10
	v_cmp_lt_u32_e64 s[28:29], v10, v11
	s_mov_b64 s[36:37], -1
	s_waitcnt lgkmcnt(0)
	v_cndmask_b32_e64 v21, v21, v54, s[20:21]
	v_cndmask_b32_e64 v64, v21, 0, s[22:23]
	v_add_u32_e32 v65, v64, v18
	v_add_u32_e32 v66, v65, v19
	;; [unrolled: 1-line block ×3, first 2 shown]
	flat_store_dwordx4 v[8:9], v[64:67] offset:16
	s_waitcnt lgkmcnt(0)
	s_barrier
	flat_load_dword v18, v[48:49]
	s_waitcnt lgkmcnt(0)
                                        ; implicit-def: $vgpr48
	s_waitcnt vmcnt(0) lgkmcnt(0)
	v_add_u32_e32 v4, v18, v4
	v_lshlrev_b64 v[18:19], 1, v[4:5]
	v_add_co_u32_e64 v20, s[30:31], v12, v18
	v_addc_co_u32_e64 v21, s[30:31], v13, v19, s[30:31]
                                        ; implicit-def: $vgpr18_vgpr19
	s_and_saveexec_b64 s[30:31], s[28:29]
	s_cbranch_execz .LBB913_368
; %bb.378:                              ;   in Loop: Header=BB913_369 Depth=1
	v_mad_u64_u32 v[18:19], s[28:29], v4, 6, v[20:21]
	s_barrier
	flat_store_short v[20:21], v53
	s_waitcnt lgkmcnt(0)
	s_barrier
	flat_load_ushort v48, v[36:37]
	s_waitcnt lgkmcnt(0)
	s_barrier
	flat_store_dwordx2 v[18:19], v[34:35]
	s_waitcnt lgkmcnt(0)
	s_barrier
	flat_load_dwordx2 v[18:19], v[38:39]
	v_add_u32_e32 v52, -8, v52
	s_xor_b64 s[36:37], exec, -1
	s_waitcnt lgkmcnt(0)
	s_barrier
	s_branch .LBB913_368
.LBB913_379:
	s_or_b64 exec, exec, s[34:35]
	v_lshlrev_b32_e32 v5, 1, v26
	v_add_co_u32_e32 v10, vcc, v12, v5
	v_addc_co_u32_e32 v11, vcc, 0, v13, vcc
	v_mad_u64_u32 v[4:5], s[4:5], v4, 6, v[20:21]
	s_barrier
	flat_store_short v[20:21], v53
	s_waitcnt lgkmcnt(0)
	s_barrier
	flat_load_ushort v8, v[10:11]
	s_waitcnt lgkmcnt(0)
	s_barrier
	flat_store_dwordx2 v[4:5], v[34:35]
	v_mad_u64_u32 v[4:5], s[4:5], v26, 6, v[10:11]
	s_waitcnt lgkmcnt(0)
	s_barrier
	flat_load_dwordx2 v[4:5], v[4:5]
	v_mov_b32_e32 v23, 0
	v_cmp_lt_u32_e32 vcc, v22, v106
	s_waitcnt lgkmcnt(0)
	s_barrier
	s_and_saveexec_b64 s[4:5], vcc
	s_cbranch_execz .LBB913_381
; %bb.380:
	v_add_co_u32_e32 v9, vcc, v2, v24
	v_addc_co_u32_e32 v10, vcc, v3, v25, vcc
	v_lshlrev_b64 v[2:3], 1, v[22:23]
	v_add_co_u32_e32 v2, vcc, v9, v2
	v_addc_co_u32_e32 v3, vcc, v10, v3, vcc
	v_add_co_u32_e32 v6, vcc, v6, v0
	v_addc_co_u32_e32 v7, vcc, v7, v1, vcc
	v_lshlrev_b64 v[0:1], 3, v[22:23]
	s_waitcnt vmcnt(0)
	v_xor_b32_e32 v8, 0x7fff, v8
	v_add_co_u32_e32 v0, vcc, v6, v0
	v_addc_co_u32_e32 v1, vcc, v7, v1, vcc
	flat_store_short v[2:3], v8
	flat_store_dwordx2 v[0:1], v[4:5]
.LBB913_381:
	s_or_b64 exec, exec, s[4:5]
.LBB913_382:
	s_or_b64 exec, exec, s[44:45]
	buffer_load_dword v175, off, s[0:3], s32 ; 4-byte Folded Reload
	buffer_load_dword v174, off, s[0:3], s32 offset:4 ; 4-byte Folded Reload
	buffer_load_dword v173, off, s[0:3], s32 offset:8 ; 4-byte Folded Reload
	;; [unrolled: 1-line block ×43, first 2 shown]
	v_readlane_b32 s30, v184, 16
	v_readlane_b32 s31, v184, 17
	v_readlane_b32 s49, v184, 15
	v_readlane_b32 s48, v184, 14
	v_readlane_b32 s47, v184, 13
	v_readlane_b32 s46, v184, 12
	v_readlane_b32 s45, v184, 11
	v_readlane_b32 s44, v184, 10
	v_readlane_b32 s43, v184, 9
	v_readlane_b32 s42, v184, 8
	v_readlane_b32 s41, v184, 7
	v_readlane_b32 s40, v184, 6
	v_readlane_b32 s39, v184, 5
	v_readlane_b32 s38, v184, 4
	v_readlane_b32 s37, v184, 3
	v_readlane_b32 s36, v184, 2
	v_readlane_b32 s35, v184, 1
	v_readlane_b32 s34, v184, 0
	v_accvgpr_read_b32 v91, a31             ;  Reload Reuse
	v_accvgpr_read_b32 v90, a30             ;  Reload Reuse
	;; [unrolled: 1-line block ×22, first 2 shown]
	v_accvgpr_read_b32 v45, a9              ;  Reload Reuse
	v_accvgpr_read_b32 v44, a8              ;  Reload Reuse
	;; [unrolled: 1-line block ×6, first 2 shown]
	s_or_saveexec_b64 s[4:5], -1
	buffer_load_dword v184, off, s[0:3], s32 offset:176 ; 4-byte Folded Reload
	s_mov_b64 exec, s[4:5]
	s_waitcnt vmcnt(0) lgkmcnt(0)
	s_setpc_b64 s[30:31]
.Lfunc_end913:
	.size	_ZN7rocprim17ROCPRIM_400000_NS6detail40segmented_radix_sort_single_block_helperIslLj256ELj17ELb1EE4sortIPKsPsPKlPlEEbT_T0_T1_T2_jjjjRNS3_12storage_typeE, .Lfunc_end913-_ZN7rocprim17ROCPRIM_400000_NS6detail40segmented_radix_sort_single_block_helperIslLj256ELj17ELb1EE4sortIPKsPsPKlPlEEbT_T0_T1_T2_jjjjRNS3_12storage_typeE
                                        ; -- End function
	.section	.AMDGPU.csdata,"",@progbits
; Function info:
; codeLenInByte = 32992
; NumSgprs: 54
; NumVgprs: 248
; NumAgprs: 32
; TotalNumVgprs: 280
; ScratchSize: 184
; MemoryBound: 1
	.section	.text._ZN7rocprim17ROCPRIM_400000_NS6detail17trampoline_kernelINS0_14default_configENS1_36segmented_radix_sort_config_selectorIslEEZNS1_25segmented_radix_sort_implIS3_Lb1EPKsPsPKlPlN2at6native12_GLOBAL__N_18offset_tEEE10hipError_tPvRmT1_PNSt15iterator_traitsISK_E10value_typeET2_T3_PNSL_ISQ_E10value_typeET4_jRbjT5_SW_jjP12ihipStream_tbEUlT_E_NS1_11comp_targetILNS1_3genE4ELNS1_11target_archE910ELNS1_3gpuE8ELNS1_3repE0EEENS1_30default_config_static_selectorELNS0_4arch9wavefront6targetE1EEEvSK_,"axG",@progbits,_ZN7rocprim17ROCPRIM_400000_NS6detail17trampoline_kernelINS0_14default_configENS1_36segmented_radix_sort_config_selectorIslEEZNS1_25segmented_radix_sort_implIS3_Lb1EPKsPsPKlPlN2at6native12_GLOBAL__N_18offset_tEEE10hipError_tPvRmT1_PNSt15iterator_traitsISK_E10value_typeET2_T3_PNSL_ISQ_E10value_typeET4_jRbjT5_SW_jjP12ihipStream_tbEUlT_E_NS1_11comp_targetILNS1_3genE4ELNS1_11target_archE910ELNS1_3gpuE8ELNS1_3repE0EEENS1_30default_config_static_selectorELNS0_4arch9wavefront6targetE1EEEvSK_,comdat
	.globl	_ZN7rocprim17ROCPRIM_400000_NS6detail17trampoline_kernelINS0_14default_configENS1_36segmented_radix_sort_config_selectorIslEEZNS1_25segmented_radix_sort_implIS3_Lb1EPKsPsPKlPlN2at6native12_GLOBAL__N_18offset_tEEE10hipError_tPvRmT1_PNSt15iterator_traitsISK_E10value_typeET2_T3_PNSL_ISQ_E10value_typeET4_jRbjT5_SW_jjP12ihipStream_tbEUlT_E_NS1_11comp_targetILNS1_3genE4ELNS1_11target_archE910ELNS1_3gpuE8ELNS1_3repE0EEENS1_30default_config_static_selectorELNS0_4arch9wavefront6targetE1EEEvSK_ ; -- Begin function _ZN7rocprim17ROCPRIM_400000_NS6detail17trampoline_kernelINS0_14default_configENS1_36segmented_radix_sort_config_selectorIslEEZNS1_25segmented_radix_sort_implIS3_Lb1EPKsPsPKlPlN2at6native12_GLOBAL__N_18offset_tEEE10hipError_tPvRmT1_PNSt15iterator_traitsISK_E10value_typeET2_T3_PNSL_ISQ_E10value_typeET4_jRbjT5_SW_jjP12ihipStream_tbEUlT_E_NS1_11comp_targetILNS1_3genE4ELNS1_11target_archE910ELNS1_3gpuE8ELNS1_3repE0EEENS1_30default_config_static_selectorELNS0_4arch9wavefront6targetE1EEEvSK_
	.p2align	8
	.type	_ZN7rocprim17ROCPRIM_400000_NS6detail17trampoline_kernelINS0_14default_configENS1_36segmented_radix_sort_config_selectorIslEEZNS1_25segmented_radix_sort_implIS3_Lb1EPKsPsPKlPlN2at6native12_GLOBAL__N_18offset_tEEE10hipError_tPvRmT1_PNSt15iterator_traitsISK_E10value_typeET2_T3_PNSL_ISQ_E10value_typeET4_jRbjT5_SW_jjP12ihipStream_tbEUlT_E_NS1_11comp_targetILNS1_3genE4ELNS1_11target_archE910ELNS1_3gpuE8ELNS1_3repE0EEENS1_30default_config_static_selectorELNS0_4arch9wavefront6targetE1EEEvSK_,@function
_ZN7rocprim17ROCPRIM_400000_NS6detail17trampoline_kernelINS0_14default_configENS1_36segmented_radix_sort_config_selectorIslEEZNS1_25segmented_radix_sort_implIS3_Lb1EPKsPsPKlPlN2at6native12_GLOBAL__N_18offset_tEEE10hipError_tPvRmT1_PNSt15iterator_traitsISK_E10value_typeET2_T3_PNSL_ISQ_E10value_typeET4_jRbjT5_SW_jjP12ihipStream_tbEUlT_E_NS1_11comp_targetILNS1_3genE4ELNS1_11target_archE910ELNS1_3gpuE8ELNS1_3repE0EEENS1_30default_config_static_selectorELNS0_4arch9wavefront6targetE1EEEvSK_: ; @_ZN7rocprim17ROCPRIM_400000_NS6detail17trampoline_kernelINS0_14default_configENS1_36segmented_radix_sort_config_selectorIslEEZNS1_25segmented_radix_sort_implIS3_Lb1EPKsPsPKlPlN2at6native12_GLOBAL__N_18offset_tEEE10hipError_tPvRmT1_PNSt15iterator_traitsISK_E10value_typeET2_T3_PNSL_ISQ_E10value_typeET4_jRbjT5_SW_jjP12ihipStream_tbEUlT_E_NS1_11comp_targetILNS1_3genE4ELNS1_11target_archE910ELNS1_3gpuE8ELNS1_3repE0EEENS1_30default_config_static_selectorELNS0_4arch9wavefront6targetE1EEEvSK_
; %bb.0:
	s_add_u32 flat_scratch_lo, s6, s10
	s_addc_u32 flat_scratch_hi, s7, 0
	s_mov_b32 s33, s9
	s_mov_b64 s[50:51], s[4:5]
	s_mov_b32 s74, s8
	s_load_dwordx2 s[8:9], s[4:5], 0x38
	s_nop 0
	s_load_dwordx4 s[4:7], s[4:5], 0x40
	s_add_u32 s0, s0, s10
	s_mov_b32 s11, 0
	s_mov_b32 s10, s74
	s_addc_u32 s1, s1, 0
	s_lshl_b64 s[10:11], s[10:11], 2
	s_waitcnt lgkmcnt(0)
	s_add_u32 s8, s8, s10
	s_addc_u32 s9, s9, s11
	s_load_dword s8, s[8:9], 0x0
	s_mov_b32 s32, 0
	s_waitcnt lgkmcnt(0)
	s_add_i32 s75, s8, s5
	s_add_i32 s98, s8, s7
	s_mul_i32 s75, s75, s4
	s_mul_i32 s98, s98, s6
	s_cmp_le_u32 s98, s75
	s_cbranch_scc1 .LBB914_1262
; %bb.1:
	s_load_dword s4, s[50:51], 0x30
	s_load_dwordx4 s[84:87], s[50:51], 0x20
	s_load_dwordx4 s[88:91], s[50:51], 0x50
	s_load_dwordx8 s[76:83], s[50:51], 0x0
	s_waitcnt lgkmcnt(0)
	s_bitcmp1_b32 s4, 0
	s_cselect_b64 s[92:93], -1, 0
	s_sub_i32 s91, s98, s75
	s_cmpk_lt_u32 s91, 0x1101
	s_mov_b64 s[4:5], -1
	s_cbranch_scc0 .LBB914_7
; %bb.2:
	s_and_b32 s4, s88, 1
	v_cndmask_b32_e64 v1, 0, 1, s[92:93]
	v_cmp_ne_u32_e32 vcc, s4, v1
	s_mov_b64 s[4:5], -1
	s_cbranch_vccnz .LBB914_4
; %bb.3:
	s_add_u32 s8, s50, 0x60
	s_mov_b64 s[4:5], src_shared_base
	s_addc_u32 s9, s51, 0
	s_mov_b32 s12, s74
	s_mov_b32 s13, s33
	v_mov_b32_e32 v31, v0
	v_mov_b32_e32 v40, v0
	;; [unrolled: 1-line block ×16, first 2 shown]
	s_getpc_b64 s[6:7]
	s_add_u32 s6, s6, _ZN7rocprim17ROCPRIM_400000_NS6detail40segmented_radix_sort_single_block_helperIslLj256ELj17ELb1EE4sortIPKsPsPKlPlEEbT_T0_T1_T2_jjjjRNS3_12storage_typeE@rel32@lo+4
	s_addc_u32 s7, s7, _ZN7rocprim17ROCPRIM_400000_NS6detail40segmented_radix_sort_single_block_helperIslLj256ELj17ELb1EE4sortIPKsPsPKlPlEEbT_T0_T1_T2_jjjjRNS3_12storage_typeE@rel32@hi+12
	s_swappc_b64 s[30:31], s[6:7]
	v_mov_b32_e32 v0, v40
	s_mov_b64 s[4:5], 0
.LBB914_4:
	s_andn2_b64 vcc, exec, s[4:5]
	s_cbranch_vccnz .LBB914_6
; %bb.5:
	s_add_u32 s8, s50, 0x60
	s_mov_b64 s[4:5], src_shared_base
	s_addc_u32 s9, s51, 0
	s_mov_b32 s12, s74
	s_mov_b32 s13, s33
	v_mov_b32_e32 v31, v0
	v_mov_b32_e32 v40, v0
	;; [unrolled: 1-line block ×16, first 2 shown]
	s_getpc_b64 s[6:7]
	s_add_u32 s6, s6, _ZN7rocprim17ROCPRIM_400000_NS6detail40segmented_radix_sort_single_block_helperIslLj256ELj17ELb1EE4sortIPKsPsPKlPlEEbT_T0_T1_T2_jjjjRNS3_12storage_typeE@rel32@lo+4
	s_addc_u32 s7, s7, _ZN7rocprim17ROCPRIM_400000_NS6detail40segmented_radix_sort_single_block_helperIslLj256ELj17ELb1EE4sortIPKsPsPKlPlEEbT_T0_T1_T2_jjjjRNS3_12storage_typeE@rel32@hi+12
	s_swappc_b64 s[30:31], s[6:7]
	v_mov_b32_e32 v0, v40
.LBB914_6:
	s_mov_b64 s[4:5], 0
.LBB914_7:
	s_andn2_b64 vcc, exec, s[4:5]
	s_cbranch_vccnz .LBB914_1262
; %bb.8:
	s_cmp_ge_u32 s89, s90
	s_cbranch_scc1 .LBB914_1262
; %bb.9:
	v_and_b32_e32 v2, 0x3ff, v0
	v_and_b32_e32 v24, 0xc0, v2
	v_min_u32_e32 v25, 64, v24
	v_or_b32_e32 v25, 63, v25
	v_lshlrev_b32_e32 v5, 1, v2
	v_cmp_eq_u32_e64 s[6:7], v25, v2
	v_lshrrev_b32_e32 v25, 4, v2
	v_bfe_u32 v64, v0, 20, 10
	v_bfe_u32 v65, v0, 10, 10
	v_mul_u32_u24_e32 v0, 3, v2
	v_mov_b32_e32 v66, 0x210
	v_mov_b32_e32 v6, s81
	v_add_co_u32_e32 v9, vcc, s80, v5
	v_and_b32_e32 v60, 12, v25
	v_mul_u32_u24_e32 v25, 17, v24
	v_lshl_add_u32 v67, v0, 2, v66
	v_or_b32_e32 v0, 63, v24
	v_addc_co_u32_e32 v11, vcc, 0, v6, vcc
	v_cmp_eq_u32_e64 s[12:13], v0, v2
	v_lshlrev_b32_e32 v0, 3, v25
	v_mov_b32_e32 v24, s87
	v_add_co_u32_e32 v71, vcc, s86, v0
	v_addc_co_u32_e32 v72, vcc, 0, v24, vcc
	v_lshlrev_b32_e32 v24, 1, v25
	v_mov_b32_e32 v26, s81
	v_add_co_u32_e32 v73, vcc, s80, v24
	v_addc_co_u32_e32 v74, vcc, 0, v26, vcc
	v_mov_b32_e32 v26, s79
	v_add_co_u32_e32 v78, vcc, s78, v5
	v_addc_co_u32_e32 v79, vcc, 0, v26, vcc
	;; [unrolled: 3-line block ×5, first 2 shown]
	v_add_u32_e32 v76, 0x200, v5
	v_mov_b32_e32 v5, s83
	v_add_co_u32_e32 v86, vcc, s82, v0
	v_addc_co_u32_e32 v87, vcc, 0, v5, vcc
                                        ; implicit-def: $vgpr232 : SGPR spill to VGPR lane
	v_mov_b32_e32 v0, s77
	v_add_co_u32_e32 v88, vcc, s76, v24
	v_writelane_b32 v232, s6, 0
	v_addc_co_u32_e32 v89, vcc, 0, v0, vcc
	v_mbcnt_lo_u32_b32 v0, -1, 0
	v_writelane_b32 v232, s7, 1
	v_cmp_gt_u32_e64 s[6:7], 2, v2
	v_mbcnt_hi_u32_b32 v102, -1, v0
	v_mul_u32_u24_e32 v58, 12, v2
	v_writelane_b32 v232, s6, 2
	v_lshlrev_b32_e32 v68, 3, v2
	v_and_b32_e32 v0, 63, v102
	v_lshlrev_b32_e32 v3, 2, v2
	v_and_b32_e32 v1, 3, v2
	v_or_b32_e32 v6, 0x800, v2
	v_or_b32_e32 v8, 0x900, v2
	;; [unrolled: 1-line block ×9, first 2 shown]
	s_movk_i32 s4, 0x80
	v_writelane_b32 v232, s7, 3
	s_add_u32 s96, s50, 0x60
	v_sub_u32_e32 v69, v58, v68
	s_movk_i32 s6, 0x7f
	v_or_b32_e32 v111, v0, v25
	s_mov_b32 s95, 0
	v_mov_b32_e32 v4, 0
	v_or_b32_e32 v7, 0x100, v2
	v_or_b32_e32 v13, 0x200, v2
	;; [unrolled: 1-line block ×7, first 2 shown]
	s_movk_i32 s88, 0x1000
	v_cmp_gt_u32_e64 s[4:5], s4, v2
	v_mad_u32_u24 v59, v2, 12, v3
	v_or_b32_e32 v61, 0x8a00, v60
	v_add_u32_e32 v62, 0x8a00, v3
	v_cmp_lt_u32_e64 s[10:11], 63, v2
	v_add_u32_e32 v63, 0x89fc, v60
	s_addc_u32 s97, s51, 0
	v_cmp_gt_u32_e64 s[14:15], 4, v2
	v_cmp_eq_u32_e64 s[16:17], 0, v2
	v_lshl_add_u32 v70, v2, 4, v69
	v_cmp_ne_u32_e64 s[18:19], s6, v2
	v_mul_i32_i24_e32 v75, 0xffffffee, v2
	v_mul_u32_u24_e32 v77, 6, v2
	v_lshlrev_b32_e32 v90, 2, v1
	v_mov_b32_e32 v91, 1
	v_lshlrev_b32_e32 v92, 1, v2
	v_lshlrev_b32_e32 v93, 1, v6
	;; [unrolled: 1-line block ×10, first 2 shown]
	v_and_b32_e32 v103, 15, v102
	v_bfe_i32 v104, v102, 4, 1
	v_and_b32_e32 v105, 16, v102
	v_bfe_i32 v106, v102, 0, 1
	v_add_u32_e32 v107, -1, v102
	v_and_b32_e32 v108, 64, v102
	v_and_b32_e32 v109, 3, v102
	v_lshlrev_b32_e32 v110, 3, v0
	v_add_u32_e32 v112, 64, v111
	v_add_u32_e32 v113, 0x80, v111
	;; [unrolled: 1-line block ×16, first 2 shown]
	v_lshlrev_b32_e32 v128, 1, v0
	s_mov_b32 s99, s89
	s_branch .LBB914_12
.LBB914_10:                             ;   in Loop: Header=BB914_12 Depth=1
	s_waitcnt lgkmcnt(0)
	s_barrier
.LBB914_11:                             ;   in Loop: Header=BB914_12 Depth=1
	s_add_i32 s99, s99, 7
	s_cmp_ge_u32 s99, s90
	s_cbranch_scc1 .LBB914_1262
.LBB914_12:                             ; =>This Loop Header: Depth=1
                                        ;     Child Loop BB914_16 Depth 2
                                        ;     Child Loop BB914_102 Depth 2
	;; [unrolled: 1-line block ×8, first 2 shown]
	s_sub_i32 s6, s90, s99
	s_min_u32 s6, s6, 7
	s_lshl_b32 s6, -1, s6
	s_xor_b64 s[92:93], s[92:93], -1
	s_not_b32 s6, s6
	s_cmp_lg_u32 s99, s89
	s_mov_b64 s[20:21], -1
	ds_write2st64_b32 v3, v4, v4 offset1:4
	s_waitcnt lgkmcnt(0)
	s_cbranch_scc0 .LBB914_638
; %bb.13:                               ;   in Loop: Header=BB914_12 Depth=1
	s_and_b64 vcc, exec, s[92:93]
	s_cbranch_vccz .LBB914_325
; %bb.14:                               ;   in Loop: Header=BB914_12 Depth=1
	s_mov_b32 s7, s91
	s_mov_b32 s94, s75
	s_barrier
	s_waitcnt lgkmcnt(0)
                                        ; implicit-def: $vgpr39
                                        ; implicit-def: $vgpr5
                                        ; implicit-def: $vgpr24
                                        ; implicit-def: $vgpr25
                                        ; implicit-def: $vgpr26
                                        ; implicit-def: $vgpr27
                                        ; implicit-def: $vgpr28
                                        ; implicit-def: $vgpr29
                                        ; implicit-def: $vgpr30
                                        ; implicit-def: $vgpr31
                                        ; implicit-def: $vgpr32
                                        ; implicit-def: $vgpr33
                                        ; implicit-def: $vgpr34
                                        ; implicit-def: $vgpr35
                                        ; implicit-def: $vgpr36
                                        ; implicit-def: $vgpr37
                                        ; implicit-def: $vgpr38
	s_branch .LBB914_16
.LBB914_15:                             ;   in Loop: Header=BB914_16 Depth=2
	s_or_b64 exec, exec, s[20:21]
	s_addk_i32 s7, 0xef00
	s_cmp_ge_u32 s8, s98
	s_mov_b32 s94, s8
	s_cbranch_scc1 .LBB914_90
.LBB914_16:                             ;   Parent Loop BB914_12 Depth=1
                                        ; =>  This Inner Loop Header: Depth=2
	s_add_i32 s8, s94, 0x1100
	s_cmp_gt_u32 s8, s98
	s_cbranch_scc1 .LBB914_19
; %bb.17:                               ;   in Loop: Header=BB914_16 Depth=2
	s_lshl_b64 s[20:21], s[94:95], 1
	v_mov_b32_e32 v1, s21
	v_add_co_u32_e32 v0, vcc, s20, v9
	v_addc_co_u32_e32 v1, vcc, v11, v1, vcc
	s_waitcnt vmcnt(0)
	v_add_co_u32_e32 v56, vcc, s88, v0
	v_addc_co_u32_e32 v57, vcc, 0, v1, vcc
	global_load_ushort v41, v[0:1], off
	global_load_ushort v42, v[0:1], off offset:512
	global_load_ushort v43, v[0:1], off offset:1024
	;; [unrolled: 1-line block ×7, first 2 shown]
	global_load_ushort v49, v[56:57], off
	global_load_ushort v50, v[56:57], off offset:512
	global_load_ushort v51, v[56:57], off offset:1024
	;; [unrolled: 1-line block ×6, first 2 shown]
	s_nop 0
	global_load_ushort v56, v[56:57], off offset:3584
	v_add_co_u32_e32 v0, vcc, 0x2000, v0
	v_addc_co_u32_e32 v1, vcc, 0, v1, vcc
	s_mov_b64 s[20:21], -1
	s_movk_i32 s9, 0x1100
	s_cbranch_execz .LBB914_20
; %bb.18:                               ;   in Loop: Header=BB914_16 Depth=2
                                        ; implicit-def: $vgpr38
                                        ; implicit-def: $vgpr37
                                        ; implicit-def: $vgpr36
                                        ; implicit-def: $vgpr35
                                        ; implicit-def: $vgpr34
                                        ; implicit-def: $vgpr33
                                        ; implicit-def: $vgpr32
                                        ; implicit-def: $vgpr31
                                        ; implicit-def: $vgpr30
                                        ; implicit-def: $vgpr29
                                        ; implicit-def: $vgpr28
                                        ; implicit-def: $vgpr27
                                        ; implicit-def: $vgpr26
                                        ; implicit-def: $vgpr25
                                        ; implicit-def: $vgpr24
                                        ; implicit-def: $vgpr5
                                        ; implicit-def: $vgpr39
	v_mov_b32_e32 v40, s7
	s_and_saveexec_b64 s[22:23], s[20:21]
	s_cbranch_execnz .LBB914_55
	s_branch .LBB914_56
.LBB914_19:                             ;   in Loop: Header=BB914_16 Depth=2
	s_mov_b64 s[20:21], 0
                                        ; implicit-def: $sgpr9
                                        ; implicit-def: $vgpr41
                                        ; implicit-def: $vgpr42
                                        ; implicit-def: $vgpr43
                                        ; implicit-def: $vgpr44
                                        ; implicit-def: $vgpr45
                                        ; implicit-def: $vgpr46
                                        ; implicit-def: $vgpr47
                                        ; implicit-def: $vgpr48
                                        ; implicit-def: $vgpr49
                                        ; implicit-def: $vgpr50
                                        ; implicit-def: $vgpr51
                                        ; implicit-def: $vgpr52
                                        ; implicit-def: $vgpr53
                                        ; implicit-def: $vgpr54
                                        ; implicit-def: $vgpr55
                                        ; implicit-def: $vgpr56
                                        ; implicit-def: $vgpr0_vgpr1
.LBB914_20:                             ;   in Loop: Header=BB914_16 Depth=2
	s_lshl_b64 s[22:23], s[94:95], 1
	s_add_u32 s22, s80, s22
	s_addc_u32 s23, s81, s23
	v_cmp_gt_u32_e32 vcc, s7, v2
	s_and_saveexec_b64 s[24:25], vcc
	s_cbranch_execz .LBB914_36
; %bb.21:                               ;   in Loop: Header=BB914_16 Depth=2
	global_load_ushort v38, v92, s[22:23]
	s_or_b64 exec, exec, s[24:25]
	v_cmp_gt_u32_e32 vcc, s7, v7
	s_and_saveexec_b64 s[24:25], vcc
	s_cbranch_execnz .LBB914_37
.LBB914_22:                             ;   in Loop: Header=BB914_16 Depth=2
	s_or_b64 exec, exec, s[24:25]
	v_cmp_gt_u32_e32 vcc, s7, v13
	s_and_saveexec_b64 s[24:25], vcc
	s_cbranch_execz .LBB914_38
.LBB914_23:                             ;   in Loop: Header=BB914_16 Depth=2
	global_load_ushort v36, v92, s[22:23] offset:1024
	s_or_b64 exec, exec, s[24:25]
	v_cmp_gt_u32_e32 vcc, s7, v15
	s_and_saveexec_b64 s[24:25], vcc
	s_cbranch_execnz .LBB914_39
.LBB914_24:                             ;   in Loop: Header=BB914_16 Depth=2
	s_or_b64 exec, exec, s[24:25]
	v_cmp_gt_u32_e32 vcc, s7, v17
	s_and_saveexec_b64 s[24:25], vcc
	s_cbranch_execz .LBB914_40
.LBB914_25:                             ;   in Loop: Header=BB914_16 Depth=2
	global_load_ushort v34, v92, s[22:23] offset:2048
	s_or_b64 exec, exec, s[24:25]
	v_cmp_gt_u32_e32 vcc, s7, v19
	s_and_saveexec_b64 s[24:25], vcc
	s_cbranch_execnz .LBB914_41
.LBB914_26:                             ;   in Loop: Header=BB914_16 Depth=2
	s_or_b64 exec, exec, s[24:25]
	v_cmp_gt_u32_e32 vcc, s7, v21
	s_and_saveexec_b64 s[24:25], vcc
	s_cbranch_execz .LBB914_42
.LBB914_27:                             ;   in Loop: Header=BB914_16 Depth=2
	global_load_ushort v32, v92, s[22:23] offset:3072
	s_or_b64 exec, exec, s[24:25]
	v_cmp_gt_u32_e32 vcc, s7, v23
	s_and_saveexec_b64 s[24:25], vcc
	s_cbranch_execnz .LBB914_43
.LBB914_28:                             ;   in Loop: Header=BB914_16 Depth=2
	s_or_b64 exec, exec, s[24:25]
	v_cmp_gt_u32_e32 vcc, s7, v6
	s_and_saveexec_b64 s[24:25], vcc
	s_cbranch_execz .LBB914_44
.LBB914_29:                             ;   in Loop: Header=BB914_16 Depth=2
	global_load_ushort v30, v93, s[22:23]
	s_or_b64 exec, exec, s[24:25]
	v_cmp_gt_u32_e32 vcc, s7, v8
	s_and_saveexec_b64 s[24:25], vcc
	s_cbranch_execnz .LBB914_45
.LBB914_30:                             ;   in Loop: Header=BB914_16 Depth=2
	s_or_b64 exec, exec, s[24:25]
	v_cmp_gt_u32_e32 vcc, s7, v10
	s_and_saveexec_b64 s[24:25], vcc
	s_cbranch_execz .LBB914_46
.LBB914_31:                             ;   in Loop: Header=BB914_16 Depth=2
	global_load_ushort v28, v95, s[22:23]
	s_or_b64 exec, exec, s[24:25]
	v_cmp_gt_u32_e32 vcc, s7, v12
	s_and_saveexec_b64 s[24:25], vcc
	s_cbranch_execnz .LBB914_47
.LBB914_32:                             ;   in Loop: Header=BB914_16 Depth=2
	s_or_b64 exec, exec, s[24:25]
	v_cmp_gt_u32_e32 vcc, s7, v14
	s_and_saveexec_b64 s[24:25], vcc
	s_cbranch_execz .LBB914_48
.LBB914_33:                             ;   in Loop: Header=BB914_16 Depth=2
	global_load_ushort v26, v97, s[22:23]
	s_or_b64 exec, exec, s[24:25]
	v_cmp_gt_u32_e32 vcc, s7, v16
	s_and_saveexec_b64 s[24:25], vcc
	s_cbranch_execnz .LBB914_49
.LBB914_34:                             ;   in Loop: Header=BB914_16 Depth=2
	s_or_b64 exec, exec, s[24:25]
	v_cmp_gt_u32_e32 vcc, s7, v18
	s_and_saveexec_b64 s[24:25], vcc
	s_cbranch_execz .LBB914_50
.LBB914_35:                             ;   in Loop: Header=BB914_16 Depth=2
	global_load_ushort v24, v99, s[22:23]
	s_or_b64 exec, exec, s[24:25]
	v_cmp_gt_u32_e32 vcc, s7, v20
	s_and_saveexec_b64 s[24:25], vcc
	s_cbranch_execz .LBB914_52
	s_branch .LBB914_51
.LBB914_36:                             ;   in Loop: Header=BB914_16 Depth=2
	s_or_b64 exec, exec, s[24:25]
	v_cmp_gt_u32_e32 vcc, s7, v7
	s_and_saveexec_b64 s[24:25], vcc
	s_cbranch_execz .LBB914_22
.LBB914_37:                             ;   in Loop: Header=BB914_16 Depth=2
	global_load_ushort v37, v92, s[22:23] offset:512
	s_or_b64 exec, exec, s[24:25]
	v_cmp_gt_u32_e32 vcc, s7, v13
	s_and_saveexec_b64 s[24:25], vcc
	s_cbranch_execnz .LBB914_23
.LBB914_38:                             ;   in Loop: Header=BB914_16 Depth=2
	s_or_b64 exec, exec, s[24:25]
	v_cmp_gt_u32_e32 vcc, s7, v15
	s_and_saveexec_b64 s[24:25], vcc
	s_cbranch_execz .LBB914_24
.LBB914_39:                             ;   in Loop: Header=BB914_16 Depth=2
	global_load_ushort v35, v92, s[22:23] offset:1536
	s_or_b64 exec, exec, s[24:25]
	v_cmp_gt_u32_e32 vcc, s7, v17
	s_and_saveexec_b64 s[24:25], vcc
	s_cbranch_execnz .LBB914_25
.LBB914_40:                             ;   in Loop: Header=BB914_16 Depth=2
	s_or_b64 exec, exec, s[24:25]
	v_cmp_gt_u32_e32 vcc, s7, v19
	s_and_saveexec_b64 s[24:25], vcc
	s_cbranch_execz .LBB914_26
.LBB914_41:                             ;   in Loop: Header=BB914_16 Depth=2
	global_load_ushort v33, v92, s[22:23] offset:2560
	s_or_b64 exec, exec, s[24:25]
	v_cmp_gt_u32_e32 vcc, s7, v21
	s_and_saveexec_b64 s[24:25], vcc
	s_cbranch_execnz .LBB914_27
.LBB914_42:                             ;   in Loop: Header=BB914_16 Depth=2
	s_or_b64 exec, exec, s[24:25]
	v_cmp_gt_u32_e32 vcc, s7, v23
	s_and_saveexec_b64 s[24:25], vcc
	s_cbranch_execz .LBB914_28
.LBB914_43:                             ;   in Loop: Header=BB914_16 Depth=2
	global_load_ushort v31, v92, s[22:23] offset:3584
	s_or_b64 exec, exec, s[24:25]
	v_cmp_gt_u32_e32 vcc, s7, v6
	s_and_saveexec_b64 s[24:25], vcc
	s_cbranch_execnz .LBB914_29
.LBB914_44:                             ;   in Loop: Header=BB914_16 Depth=2
	s_or_b64 exec, exec, s[24:25]
	v_cmp_gt_u32_e32 vcc, s7, v8
	s_and_saveexec_b64 s[24:25], vcc
	s_cbranch_execz .LBB914_30
.LBB914_45:                             ;   in Loop: Header=BB914_16 Depth=2
	global_load_ushort v29, v94, s[22:23]
	s_or_b64 exec, exec, s[24:25]
	v_cmp_gt_u32_e32 vcc, s7, v10
	s_and_saveexec_b64 s[24:25], vcc
	s_cbranch_execnz .LBB914_31
.LBB914_46:                             ;   in Loop: Header=BB914_16 Depth=2
	s_or_b64 exec, exec, s[24:25]
	v_cmp_gt_u32_e32 vcc, s7, v12
	s_and_saveexec_b64 s[24:25], vcc
	s_cbranch_execz .LBB914_32
.LBB914_47:                             ;   in Loop: Header=BB914_16 Depth=2
	global_load_ushort v27, v96, s[22:23]
	s_or_b64 exec, exec, s[24:25]
	v_cmp_gt_u32_e32 vcc, s7, v14
	s_and_saveexec_b64 s[24:25], vcc
	s_cbranch_execnz .LBB914_33
.LBB914_48:                             ;   in Loop: Header=BB914_16 Depth=2
	s_or_b64 exec, exec, s[24:25]
	v_cmp_gt_u32_e32 vcc, s7, v16
	s_and_saveexec_b64 s[24:25], vcc
	s_cbranch_execz .LBB914_34
.LBB914_49:                             ;   in Loop: Header=BB914_16 Depth=2
	global_load_ushort v25, v98, s[22:23]
	s_or_b64 exec, exec, s[24:25]
	v_cmp_gt_u32_e32 vcc, s7, v18
	s_and_saveexec_b64 s[24:25], vcc
	s_cbranch_execnz .LBB914_35
.LBB914_50:                             ;   in Loop: Header=BB914_16 Depth=2
	s_or_b64 exec, exec, s[24:25]
	v_cmp_gt_u32_e32 vcc, s7, v20
	s_and_saveexec_b64 s[24:25], vcc
	s_cbranch_execz .LBB914_52
.LBB914_51:                             ;   in Loop: Header=BB914_16 Depth=2
	global_load_ushort v5, v100, s[22:23]
.LBB914_52:                             ;   in Loop: Header=BB914_16 Depth=2
	s_or_b64 exec, exec, s[24:25]
	v_cmp_gt_u32_e32 vcc, s7, v22
                                        ; implicit-def: $sgpr9
                                        ; implicit-def: $vgpr0_vgpr1
	s_and_saveexec_b64 s[24:25], vcc
; %bb.53:                               ;   in Loop: Header=BB914_16 Depth=2
	v_mov_b32_e32 v1, s23
	v_add_co_u32_e32 v0, vcc, s22, v101
	s_sub_i32 s9, s98, s94
	v_addc_co_u32_e32 v1, vcc, 0, v1, vcc
	s_or_b64 s[20:21], s[20:21], exec
                                        ; implicit-def: $vgpr39
; %bb.54:                               ;   in Loop: Header=BB914_16 Depth=2
	s_or_b64 exec, exec, s[24:25]
	s_waitcnt vmcnt(0)
	v_mov_b32_e32 v41, v38
	v_mov_b32_e32 v42, v37
	;; [unrolled: 1-line block ×17, first 2 shown]
	s_and_saveexec_b64 s[22:23], s[20:21]
	s_cbranch_execz .LBB914_56
.LBB914_55:                             ;   in Loop: Header=BB914_16 Depth=2
	global_load_ushort v39, v[0:1], off
	v_mov_b32_e32 v40, s9
	s_waitcnt vmcnt(1)
	v_mov_b32_e32 v5, v56
	v_mov_b32_e32 v24, v55
	;; [unrolled: 1-line block ×16, first 2 shown]
.LBB914_56:                             ;   in Loop: Header=BB914_16 Depth=2
	s_or_b64 exec, exec, s[22:23]
	v_cmp_lt_u32_e32 vcc, v2, v40
	s_and_saveexec_b64 s[20:21], vcc
	s_cbranch_execz .LBB914_73
; %bb.57:                               ;   in Loop: Header=BB914_16 Depth=2
	v_xor_b32_e32 v0, 0x7fff, v38
	v_lshrrev_b32_sdwa v0, s99, v0 dst_sel:DWORD dst_unused:UNUSED_PAD src0_sel:DWORD src1_sel:WORD_0
	v_and_b32_e32 v0, s6, v0
	v_lshl_or_b32 v0, v0, 4, v90
	ds_add_u32 v0, v91
	s_or_b64 exec, exec, s[20:21]
	v_cmp_lt_u32_e32 vcc, v7, v40
	s_and_saveexec_b64 s[20:21], vcc
	s_cbranch_execnz .LBB914_74
.LBB914_58:                             ;   in Loop: Header=BB914_16 Depth=2
	s_or_b64 exec, exec, s[20:21]
	v_cmp_lt_u32_e32 vcc, v13, v40
	s_and_saveexec_b64 s[20:21], vcc
	s_cbranch_execz .LBB914_75
.LBB914_59:                             ;   in Loop: Header=BB914_16 Depth=2
	v_xor_b32_e32 v0, 0x7fff, v36
	v_lshrrev_b32_sdwa v0, s99, v0 dst_sel:DWORD dst_unused:UNUSED_PAD src0_sel:DWORD src1_sel:WORD_0
	v_and_b32_e32 v0, s6, v0
	v_lshl_or_b32 v0, v0, 4, v90
	ds_add_u32 v0, v91
	s_or_b64 exec, exec, s[20:21]
	v_cmp_lt_u32_e32 vcc, v15, v40
	s_and_saveexec_b64 s[20:21], vcc
	s_cbranch_execnz .LBB914_76
.LBB914_60:                             ;   in Loop: Header=BB914_16 Depth=2
	s_or_b64 exec, exec, s[20:21]
	v_cmp_lt_u32_e32 vcc, v17, v40
	s_and_saveexec_b64 s[20:21], vcc
	s_cbranch_execz .LBB914_77
.LBB914_61:                             ;   in Loop: Header=BB914_16 Depth=2
	v_xor_b32_e32 v0, 0x7fff, v34
	v_lshrrev_b32_sdwa v0, s99, v0 dst_sel:DWORD dst_unused:UNUSED_PAD src0_sel:DWORD src1_sel:WORD_0
	v_and_b32_e32 v0, s6, v0
	v_lshl_or_b32 v0, v0, 4, v90
	ds_add_u32 v0, v91
	s_or_b64 exec, exec, s[20:21]
	v_cmp_lt_u32_e32 vcc, v19, v40
	s_and_saveexec_b64 s[20:21], vcc
	s_cbranch_execnz .LBB914_78
.LBB914_62:                             ;   in Loop: Header=BB914_16 Depth=2
	s_or_b64 exec, exec, s[20:21]
	v_cmp_lt_u32_e32 vcc, v21, v40
	s_and_saveexec_b64 s[20:21], vcc
	s_cbranch_execz .LBB914_79
.LBB914_63:                             ;   in Loop: Header=BB914_16 Depth=2
	v_xor_b32_e32 v0, 0x7fff, v32
	v_lshrrev_b32_sdwa v0, s99, v0 dst_sel:DWORD dst_unused:UNUSED_PAD src0_sel:DWORD src1_sel:WORD_0
	v_and_b32_e32 v0, s6, v0
	v_lshl_or_b32 v0, v0, 4, v90
	ds_add_u32 v0, v91
	s_or_b64 exec, exec, s[20:21]
	v_cmp_lt_u32_e32 vcc, v23, v40
	s_and_saveexec_b64 s[20:21], vcc
	s_cbranch_execnz .LBB914_80
.LBB914_64:                             ;   in Loop: Header=BB914_16 Depth=2
	s_or_b64 exec, exec, s[20:21]
	v_cmp_lt_u32_e32 vcc, v6, v40
	s_and_saveexec_b64 s[20:21], vcc
	s_cbranch_execz .LBB914_81
.LBB914_65:                             ;   in Loop: Header=BB914_16 Depth=2
	v_xor_b32_e32 v0, 0x7fff, v30
	v_lshrrev_b32_sdwa v0, s99, v0 dst_sel:DWORD dst_unused:UNUSED_PAD src0_sel:DWORD src1_sel:WORD_0
	v_and_b32_e32 v0, s6, v0
	v_lshl_or_b32 v0, v0, 4, v90
	ds_add_u32 v0, v91
	s_or_b64 exec, exec, s[20:21]
	v_cmp_lt_u32_e32 vcc, v8, v40
	s_and_saveexec_b64 s[20:21], vcc
	s_cbranch_execnz .LBB914_82
.LBB914_66:                             ;   in Loop: Header=BB914_16 Depth=2
	s_or_b64 exec, exec, s[20:21]
	v_cmp_lt_u32_e32 vcc, v10, v40
	s_and_saveexec_b64 s[20:21], vcc
	s_cbranch_execz .LBB914_83
.LBB914_67:                             ;   in Loop: Header=BB914_16 Depth=2
	v_xor_b32_e32 v0, 0x7fff, v28
	v_lshrrev_b32_sdwa v0, s99, v0 dst_sel:DWORD dst_unused:UNUSED_PAD src0_sel:DWORD src1_sel:WORD_0
	v_and_b32_e32 v0, s6, v0
	v_lshl_or_b32 v0, v0, 4, v90
	ds_add_u32 v0, v91
	s_or_b64 exec, exec, s[20:21]
	v_cmp_lt_u32_e32 vcc, v12, v40
	s_and_saveexec_b64 s[20:21], vcc
	s_cbranch_execnz .LBB914_84
.LBB914_68:                             ;   in Loop: Header=BB914_16 Depth=2
	s_or_b64 exec, exec, s[20:21]
	v_cmp_lt_u32_e32 vcc, v14, v40
	s_and_saveexec_b64 s[20:21], vcc
	s_cbranch_execz .LBB914_85
.LBB914_69:                             ;   in Loop: Header=BB914_16 Depth=2
	v_xor_b32_e32 v0, 0x7fff, v26
	v_lshrrev_b32_sdwa v0, s99, v0 dst_sel:DWORD dst_unused:UNUSED_PAD src0_sel:DWORD src1_sel:WORD_0
	v_and_b32_e32 v0, s6, v0
	v_lshl_or_b32 v0, v0, 4, v90
	ds_add_u32 v0, v91
	s_or_b64 exec, exec, s[20:21]
	v_cmp_lt_u32_e32 vcc, v16, v40
	s_and_saveexec_b64 s[20:21], vcc
	s_cbranch_execnz .LBB914_86
.LBB914_70:                             ;   in Loop: Header=BB914_16 Depth=2
	s_or_b64 exec, exec, s[20:21]
	v_cmp_lt_u32_e32 vcc, v18, v40
	s_and_saveexec_b64 s[20:21], vcc
	s_cbranch_execz .LBB914_87
.LBB914_71:                             ;   in Loop: Header=BB914_16 Depth=2
	v_xor_b32_e32 v0, 0x7fff, v24
	v_lshrrev_b32_sdwa v0, s99, v0 dst_sel:DWORD dst_unused:UNUSED_PAD src0_sel:DWORD src1_sel:WORD_0
	v_and_b32_e32 v0, s6, v0
	v_lshl_or_b32 v0, v0, 4, v90
	ds_add_u32 v0, v91
	s_or_b64 exec, exec, s[20:21]
	v_cmp_lt_u32_e32 vcc, v20, v40
	s_and_saveexec_b64 s[20:21], vcc
	s_cbranch_execnz .LBB914_88
.LBB914_72:                             ;   in Loop: Header=BB914_16 Depth=2
	s_or_b64 exec, exec, s[20:21]
	v_cmp_lt_u32_e32 vcc, v22, v40
	s_and_saveexec_b64 s[20:21], vcc
	s_cbranch_execz .LBB914_15
	s_branch .LBB914_89
.LBB914_73:                             ;   in Loop: Header=BB914_16 Depth=2
	s_or_b64 exec, exec, s[20:21]
	v_cmp_lt_u32_e32 vcc, v7, v40
	s_and_saveexec_b64 s[20:21], vcc
	s_cbranch_execz .LBB914_58
.LBB914_74:                             ;   in Loop: Header=BB914_16 Depth=2
	v_xor_b32_e32 v0, 0x7fff, v37
	v_lshrrev_b32_sdwa v0, s99, v0 dst_sel:DWORD dst_unused:UNUSED_PAD src0_sel:DWORD src1_sel:WORD_0
	v_and_b32_e32 v0, s6, v0
	v_lshl_or_b32 v0, v0, 4, v90
	ds_add_u32 v0, v91
	s_or_b64 exec, exec, s[20:21]
	v_cmp_lt_u32_e32 vcc, v13, v40
	s_and_saveexec_b64 s[20:21], vcc
	s_cbranch_execnz .LBB914_59
.LBB914_75:                             ;   in Loop: Header=BB914_16 Depth=2
	s_or_b64 exec, exec, s[20:21]
	v_cmp_lt_u32_e32 vcc, v15, v40
	s_and_saveexec_b64 s[20:21], vcc
	s_cbranch_execz .LBB914_60
.LBB914_76:                             ;   in Loop: Header=BB914_16 Depth=2
	v_xor_b32_e32 v0, 0x7fff, v35
	v_lshrrev_b32_sdwa v0, s99, v0 dst_sel:DWORD dst_unused:UNUSED_PAD src0_sel:DWORD src1_sel:WORD_0
	v_and_b32_e32 v0, s6, v0
	v_lshl_or_b32 v0, v0, 4, v90
	ds_add_u32 v0, v91
	s_or_b64 exec, exec, s[20:21]
	v_cmp_lt_u32_e32 vcc, v17, v40
	s_and_saveexec_b64 s[20:21], vcc
	s_cbranch_execnz .LBB914_61
.LBB914_77:                             ;   in Loop: Header=BB914_16 Depth=2
	s_or_b64 exec, exec, s[20:21]
	v_cmp_lt_u32_e32 vcc, v19, v40
	s_and_saveexec_b64 s[20:21], vcc
	s_cbranch_execz .LBB914_62
.LBB914_78:                             ;   in Loop: Header=BB914_16 Depth=2
	v_xor_b32_e32 v0, 0x7fff, v33
	v_lshrrev_b32_sdwa v0, s99, v0 dst_sel:DWORD dst_unused:UNUSED_PAD src0_sel:DWORD src1_sel:WORD_0
	v_and_b32_e32 v0, s6, v0
	v_lshl_or_b32 v0, v0, 4, v90
	ds_add_u32 v0, v91
	s_or_b64 exec, exec, s[20:21]
	v_cmp_lt_u32_e32 vcc, v21, v40
	s_and_saveexec_b64 s[20:21], vcc
	s_cbranch_execnz .LBB914_63
.LBB914_79:                             ;   in Loop: Header=BB914_16 Depth=2
	s_or_b64 exec, exec, s[20:21]
	v_cmp_lt_u32_e32 vcc, v23, v40
	s_and_saveexec_b64 s[20:21], vcc
	s_cbranch_execz .LBB914_64
.LBB914_80:                             ;   in Loop: Header=BB914_16 Depth=2
	v_xor_b32_e32 v0, 0x7fff, v31
	v_lshrrev_b32_sdwa v0, s99, v0 dst_sel:DWORD dst_unused:UNUSED_PAD src0_sel:DWORD src1_sel:WORD_0
	v_and_b32_e32 v0, s6, v0
	v_lshl_or_b32 v0, v0, 4, v90
	ds_add_u32 v0, v91
	s_or_b64 exec, exec, s[20:21]
	v_cmp_lt_u32_e32 vcc, v6, v40
	s_and_saveexec_b64 s[20:21], vcc
	s_cbranch_execnz .LBB914_65
.LBB914_81:                             ;   in Loop: Header=BB914_16 Depth=2
	s_or_b64 exec, exec, s[20:21]
	v_cmp_lt_u32_e32 vcc, v8, v40
	s_and_saveexec_b64 s[20:21], vcc
	s_cbranch_execz .LBB914_66
.LBB914_82:                             ;   in Loop: Header=BB914_16 Depth=2
	v_xor_b32_e32 v0, 0x7fff, v29
	v_lshrrev_b32_sdwa v0, s99, v0 dst_sel:DWORD dst_unused:UNUSED_PAD src0_sel:DWORD src1_sel:WORD_0
	v_and_b32_e32 v0, s6, v0
	v_lshl_or_b32 v0, v0, 4, v90
	ds_add_u32 v0, v91
	s_or_b64 exec, exec, s[20:21]
	v_cmp_lt_u32_e32 vcc, v10, v40
	s_and_saveexec_b64 s[20:21], vcc
	s_cbranch_execnz .LBB914_67
.LBB914_83:                             ;   in Loop: Header=BB914_16 Depth=2
	s_or_b64 exec, exec, s[20:21]
	v_cmp_lt_u32_e32 vcc, v12, v40
	s_and_saveexec_b64 s[20:21], vcc
	s_cbranch_execz .LBB914_68
.LBB914_84:                             ;   in Loop: Header=BB914_16 Depth=2
	v_xor_b32_e32 v0, 0x7fff, v27
	v_lshrrev_b32_sdwa v0, s99, v0 dst_sel:DWORD dst_unused:UNUSED_PAD src0_sel:DWORD src1_sel:WORD_0
	v_and_b32_e32 v0, s6, v0
	v_lshl_or_b32 v0, v0, 4, v90
	ds_add_u32 v0, v91
	s_or_b64 exec, exec, s[20:21]
	v_cmp_lt_u32_e32 vcc, v14, v40
	s_and_saveexec_b64 s[20:21], vcc
	s_cbranch_execnz .LBB914_69
.LBB914_85:                             ;   in Loop: Header=BB914_16 Depth=2
	s_or_b64 exec, exec, s[20:21]
	v_cmp_lt_u32_e32 vcc, v16, v40
	s_and_saveexec_b64 s[20:21], vcc
	s_cbranch_execz .LBB914_70
.LBB914_86:                             ;   in Loop: Header=BB914_16 Depth=2
	v_xor_b32_e32 v0, 0x7fff, v25
	v_lshrrev_b32_sdwa v0, s99, v0 dst_sel:DWORD dst_unused:UNUSED_PAD src0_sel:DWORD src1_sel:WORD_0
	v_and_b32_e32 v0, s6, v0
	v_lshl_or_b32 v0, v0, 4, v90
	ds_add_u32 v0, v91
	s_or_b64 exec, exec, s[20:21]
	v_cmp_lt_u32_e32 vcc, v18, v40
	s_and_saveexec_b64 s[20:21], vcc
	s_cbranch_execnz .LBB914_71
.LBB914_87:                             ;   in Loop: Header=BB914_16 Depth=2
	s_or_b64 exec, exec, s[20:21]
	v_cmp_lt_u32_e32 vcc, v20, v40
	s_and_saveexec_b64 s[20:21], vcc
	s_cbranch_execz .LBB914_72
.LBB914_88:                             ;   in Loop: Header=BB914_16 Depth=2
	v_xor_b32_e32 v0, 0x7fff, v5
	v_lshrrev_b32_sdwa v0, s99, v0 dst_sel:DWORD dst_unused:UNUSED_PAD src0_sel:DWORD src1_sel:WORD_0
	v_and_b32_e32 v0, s6, v0
	v_lshl_or_b32 v0, v0, 4, v90
	ds_add_u32 v0, v91
	s_or_b64 exec, exec, s[20:21]
	v_cmp_lt_u32_e32 vcc, v22, v40
	s_and_saveexec_b64 s[20:21], vcc
	s_cbranch_execz .LBB914_15
.LBB914_89:                             ;   in Loop: Header=BB914_16 Depth=2
	s_waitcnt vmcnt(0)
	v_xor_b32_e32 v0, 0x7fff, v39
	v_lshrrev_b32_sdwa v0, s99, v0 dst_sel:DWORD dst_unused:UNUSED_PAD src0_sel:DWORD src1_sel:WORD_0
	v_and_b32_e32 v0, s6, v0
	v_lshl_or_b32 v0, v0, 4, v90
	ds_add_u32 v0, v91
	s_branch .LBB914_15
.LBB914_90:                             ;   in Loop: Header=BB914_12 Depth=1
	v_mov_b32_e32 v0, 0
	s_waitcnt lgkmcnt(0)
	s_barrier
	s_and_saveexec_b64 s[20:21], s[4:5]
	s_cbranch_execz .LBB914_92
; %bb.91:                               ;   in Loop: Header=BB914_12 Depth=1
	ds_read2_b64 v[24:27], v59 offset1:1
	s_waitcnt lgkmcnt(0)
	v_add_u32_e32 v0, v25, v24
	v_add3_u32 v0, v0, v26, v27
.LBB914_92:                             ;   in Loop: Header=BB914_12 Depth=1
	s_or_b64 exec, exec, s[20:21]
	s_nop 0
	v_mov_b32_dpp v1, v0 row_shr:1 row_mask:0xf bank_mask:0xf
	v_cmp_eq_u32_e64 s[20:21], 0, v103
	v_cndmask_b32_e64 v1, v1, 0, s[20:21]
	v_add_u32_e32 v0, v1, v0
	v_cmp_lt_u32_e64 s[22:23], 1, v103
	v_cmp_lt_u32_e64 s[24:25], 3, v103
	v_mov_b32_dpp v1, v0 row_shr:2 row_mask:0xf bank_mask:0xf
	v_cndmask_b32_e64 v1, 0, v1, s[22:23]
	v_add_u32_e32 v0, v0, v1
	v_cmp_lt_u32_e64 s[26:27], 7, v103
	v_cmp_lt_u32_e64 s[30:31], 31, v102
	v_mov_b32_dpp v1, v0 row_shr:4 row_mask:0xf bank_mask:0xf
	v_cndmask_b32_e64 v1, 0, v1, s[24:25]
	v_add_u32_e32 v0, v0, v1
	v_cmp_eq_u32_e64 s[28:29], 0, v105
	s_nop 0
	v_mov_b32_dpp v1, v0 row_shr:8 row_mask:0xf bank_mask:0xf
	v_cndmask_b32_e64 v1, 0, v1, s[26:27]
	v_add_u32_e32 v0, v0, v1
	s_nop 1
	v_mov_b32_dpp v1, v0 row_bcast:15 row_mask:0xf bank_mask:0xf
	v_and_b32_e32 v1, v104, v1
	v_add_u32_e32 v0, v0, v1
	s_nop 1
	v_mov_b32_dpp v1, v0 row_bcast:31 row_mask:0xf bank_mask:0xf
	v_cndmask_b32_e64 v1, 0, v1, s[30:31]
	v_add_u32_e32 v0, v0, v1
	s_mov_b64 s[34:35], exec
	v_readlane_b32 s8, v232, 0
	v_readlane_b32 s9, v232, 1
	s_and_b64 s[8:9], s[34:35], s[8:9]
	s_mov_b64 exec, s[8:9]
	s_cbranch_execz .LBB914_94
; %bb.93:                               ;   in Loop: Header=BB914_12 Depth=1
	ds_write_b32 v61, v0
.LBB914_94:                             ;   in Loop: Header=BB914_12 Depth=1
	s_or_b64 exec, exec, s[34:35]
	s_waitcnt lgkmcnt(0)
	s_barrier
	s_mov_b64 s[34:35], exec
	v_readlane_b32 s8, v232, 2
	v_readlane_b32 s9, v232, 3
	s_and_b64 s[8:9], s[34:35], s[8:9]
	s_mov_b64 exec, s[8:9]
	s_cbranch_execz .LBB914_96
; %bb.95:                               ;   in Loop: Header=BB914_12 Depth=1
	ds_read_b32 v1, v62
	s_waitcnt lgkmcnt(0)
	s_nop 0
	v_mov_b32_dpp v5, v1 row_shr:1 row_mask:0xf bank_mask:0xf
	v_and_b32_e32 v5, v106, v5
	v_add_u32_e32 v1, v5, v1
	ds_write_b32 v62, v1
.LBB914_96:                             ;   in Loop: Header=BB914_12 Depth=1
	s_or_b64 exec, exec, s[34:35]
	v_mov_b32_e32 v1, 0
	s_waitcnt lgkmcnt(0)
	s_barrier
	s_and_saveexec_b64 s[34:35], s[10:11]
	s_cbranch_execz .LBB914_98
; %bb.97:                               ;   in Loop: Header=BB914_12 Depth=1
	ds_read_b32 v1, v63
.LBB914_98:                             ;   in Loop: Header=BB914_12 Depth=1
	s_or_b64 exec, exec, s[34:35]
	v_cmp_lt_i32_e32 vcc, v107, v108
	v_cndmask_b32_e32 v5, v107, v102, vcc
	s_waitcnt lgkmcnt(0)
	v_add_u32_e32 v0, v1, v0
	v_lshlrev_b32_e32 v129, 2, v5
	ds_bpermute_b32 v0, v129, v0
	v_cmp_eq_u32_e64 s[34:35], 0, v102
	s_waitcnt lgkmcnt(0)
	s_barrier
	s_and_saveexec_b64 s[36:37], s[4:5]
	s_cbranch_execz .LBB914_100
; %bb.99:                               ;   in Loop: Header=BB914_12 Depth=1
	v_cndmask_b32_e64 v0, v0, v1, s[34:35]
	v_add_u32_e32 v0, s75, v0
	ds_write_b32 v3, v0
.LBB914_100:                            ;   in Loop: Header=BB914_12 Depth=1
	s_or_b64 exec, exec, s[36:37]
	s_load_dword s7, s[96:97], 0x4
	s_load_dword s40, s[96:97], 0xc
	v_add_co_u32_e32 v130, vcc, v71, v110
	v_addc_co_u32_e32 v131, vcc, 0, v72, vcc
	s_waitcnt lgkmcnt(0)
	s_cmp_lt_u32 s33, s7
	s_cselect_b32 s7, 14, 20
	s_add_u32 s8, s96, s7
	s_addc_u32 s9, s97, 0
	global_load_ushort v5, v4, s[8:9]
	v_add_co_u32_e32 v132, vcc, v73, v128
	v_addc_co_u32_e32 v133, vcc, 0, v74, vcc
	s_and_b32 s8, s40, 0xffff
	v_add_co_u32_e32 v148, vcc, 0x800, v132
	v_cmp_eq_u32_e64 s[36:37], 0, v109
	v_cmp_lt_u32_e64 s[38:39], 1, v109
	s_mov_b32 s7, s91
	v_addc_co_u32_e32 v151, vcc, 0, v133, vcc
	s_mov_b32 s94, s75
                                        ; implicit-def: $vgpr0_vgpr1
                                        ; implicit-def: $vgpr24_vgpr25
                                        ; implicit-def: $vgpr26_vgpr27
                                        ; implicit-def: $vgpr28_vgpr29
                                        ; implicit-def: $vgpr32_vgpr33
                                        ; implicit-def: $vgpr36_vgpr37
                                        ; implicit-def: $vgpr40_vgpr41
                                        ; implicit-def: $vgpr44_vgpr45
                                        ; implicit-def: $vgpr48_vgpr49
                                        ; implicit-def: $vgpr30_vgpr31
                                        ; implicit-def: $vgpr34_vgpr35
                                        ; implicit-def: $vgpr38_vgpr39
                                        ; implicit-def: $vgpr42_vgpr43
                                        ; implicit-def: $vgpr46_vgpr47
                                        ; implicit-def: $vgpr50_vgpr51
                                        ; implicit-def: $vgpr52_vgpr53
                                        ; implicit-def: $vgpr54_vgpr55
                                        ; implicit-def: $vgpr134
                                        ; implicit-def: $vgpr135
                                        ; implicit-def: $vgpr136
                                        ; implicit-def: $vgpr137
                                        ; implicit-def: $vgpr138
                                        ; implicit-def: $vgpr139
                                        ; implicit-def: $vgpr140
                                        ; implicit-def: $vgpr141
                                        ; implicit-def: $vgpr142
                                        ; implicit-def: $vgpr143
                                        ; implicit-def: $vgpr144
                                        ; implicit-def: $vgpr145
                                        ; implicit-def: $vgpr146
                                        ; implicit-def: $vgpr147
                                        ; implicit-def: $vgpr149
                                        ; implicit-def: $vgpr150
                                        ; implicit-def: $vgpr152
                                        ; implicit-def: $vgpr154
                                        ; implicit-def: $vgpr155
	s_waitcnt vmcnt(0)
	v_mad_u32_u24 v5, v64, v5, v65
	v_mad_u64_u32 v[56:57], s[8:9], v5, s8, v[2:3]
	v_lshrrev_b32_e32 v153, 6, v56
	s_branch .LBB914_102
.LBB914_101:                            ;   in Loop: Header=BB914_102 Depth=2
	s_or_b64 exec, exec, s[40:41]
	s_addk_i32 s7, 0xef00
	s_cmp_lt_u32 s8, s98
	s_mov_b32 s94, s8
	s_cbranch_scc0 .LBB914_324
.LBB914_102:                            ;   Parent Loop BB914_12 Depth=1
                                        ; =>  This Inner Loop Header: Depth=2
	s_add_i32 s8, s94, 0x1100
	s_cmp_gt_u32 s8, s98
	s_cbranch_scc1 .LBB914_105
; %bb.103:                              ;   in Loop: Header=BB914_102 Depth=2
	s_lshl_b64 s[40:41], s[94:95], 1
	v_mov_b32_e32 v5, s41
	v_add_co_u32_e32 v56, vcc, s40, v132
	v_addc_co_u32_e32 v57, vcc, v133, v5, vcc
	global_load_ushort v5, v[56:57], off
	global_load_ushort v160, v[56:57], off offset:128
	global_load_ushort v165, v[56:57], off offset:256
	;; [unrolled: 1-line block ×15, first 2 shown]
	s_mov_b64 s[40:41], -1
	s_movk_i32 s9, 0x1100
	s_cbranch_execz .LBB914_106
; %bb.104:                              ;   in Loop: Header=BB914_102 Depth=2
                                        ; implicit-def: $sgpr42
	v_mov_b32_e32 v166, s42
	v_mov_b32_e32 v156, s7
	s_and_saveexec_b64 s[42:43], s[40:41]
	s_cbranch_execnz .LBB914_139
	s_branch .LBB914_140
.LBB914_105:                            ;   in Loop: Header=BB914_102 Depth=2
	s_mov_b64 s[40:41], 0
                                        ; implicit-def: $sgpr9
                                        ; implicit-def: $vgpr5
                                        ; implicit-def: $vgpr160
                                        ; implicit-def: $vgpr165
                                        ; implicit-def: $vgpr171
                                        ; implicit-def: $vgpr176
                                        ; implicit-def: $vgpr181
                                        ; implicit-def: $vgpr186
                                        ; implicit-def: $vgpr191
                                        ; implicit-def: $vgpr193
                                        ; implicit-def: $vgpr188
                                        ; implicit-def: $vgpr184
                                        ; implicit-def: $vgpr179
                                        ; implicit-def: $vgpr174
                                        ; implicit-def: $vgpr169
                                        ; implicit-def: $vgpr164
                                        ; implicit-def: $vgpr159
.LBB914_106:                            ;   in Loop: Header=BB914_102 Depth=2
	s_lshl_b64 s[40:41], s[94:95], 1
	s_waitcnt vmcnt(15)
	v_mov_b32_e32 v5, s41
	v_add_co_u32_e32 v56, vcc, s40, v132
	v_addc_co_u32_e32 v57, vcc, v133, v5, vcc
	v_cmp_gt_u32_e32 vcc, s7, v111
	s_waitcnt vmcnt(14)
	v_mov_b32_e32 v160, 0xffff8000
	v_mov_b32_e32 v5, 0xffff8000
	s_and_saveexec_b64 s[40:41], vcc
	s_cbranch_execz .LBB914_108
; %bb.107:                              ;   in Loop: Header=BB914_102 Depth=2
	global_load_ushort v5, v[56:57], off
.LBB914_108:                            ;   in Loop: Header=BB914_102 Depth=2
	s_or_b64 exec, exec, s[40:41]
	v_cmp_gt_u32_e32 vcc, s7, v112
	s_and_saveexec_b64 s[40:41], vcc
	s_cbranch_execz .LBB914_110
; %bb.109:                              ;   in Loop: Header=BB914_102 Depth=2
	global_load_ushort v160, v[56:57], off offset:128
.LBB914_110:                            ;   in Loop: Header=BB914_102 Depth=2
	s_or_b64 exec, exec, s[40:41]
	v_cmp_gt_u32_e32 vcc, s7, v113
	s_waitcnt vmcnt(12)
	v_mov_b32_e32 v171, 0xffff8000
	v_mov_b32_e32 v165, 0xffff8000
	s_and_saveexec_b64 s[40:41], vcc
	s_cbranch_execz .LBB914_112
; %bb.111:                              ;   in Loop: Header=BB914_102 Depth=2
	global_load_ushort v165, v[56:57], off offset:256
.LBB914_112:                            ;   in Loop: Header=BB914_102 Depth=2
	s_or_b64 exec, exec, s[40:41]
	v_cmp_gt_u32_e32 vcc, s7, v114
	s_and_saveexec_b64 s[40:41], vcc
	s_cbranch_execz .LBB914_114
; %bb.113:                              ;   in Loop: Header=BB914_102 Depth=2
	global_load_ushort v171, v[56:57], off offset:384
.LBB914_114:                            ;   in Loop: Header=BB914_102 Depth=2
	s_or_b64 exec, exec, s[40:41]
	v_cmp_gt_u32_e32 vcc, s7, v115
	s_waitcnt vmcnt(10)
	v_mov_b32_e32 v181, 0xffff8000
	v_mov_b32_e32 v176, 0xffff8000
	s_and_saveexec_b64 s[40:41], vcc
	s_cbranch_execz .LBB914_116
; %bb.115:                              ;   in Loop: Header=BB914_102 Depth=2
	global_load_ushort v176, v[56:57], off offset:512
.LBB914_116:                            ;   in Loop: Header=BB914_102 Depth=2
	;; [unrolled: 17-line block ×7, first 2 shown]
	s_or_b64 exec, exec, s[40:41]
	v_cmp_gt_u32_e32 vcc, s7, v126
	s_and_saveexec_b64 s[40:41], vcc
	s_cbranch_execz .LBB914_138
; %bb.137:                              ;   in Loop: Header=BB914_102 Depth=2
	global_load_ushort v159, v[56:57], off offset:1920
.LBB914_138:                            ;   in Loop: Header=BB914_102 Depth=2
	s_or_b64 exec, exec, s[40:41]
	s_sub_i32 s9, s98, s94
	v_cmp_gt_u32_e64 s[40:41], s7, v127
	s_movk_i32 s42, 0x8000
	v_mov_b32_e32 v166, s42
	v_mov_b32_e32 v156, s7
	s_and_saveexec_b64 s[42:43], s[40:41]
	s_cbranch_execz .LBB914_140
.LBB914_139:                            ;   in Loop: Header=BB914_102 Depth=2
	s_lshl_b64 s[40:41], s[94:95], 1
	v_mov_b32_e32 v57, s41
	v_add_co_u32_e32 v56, vcc, s40, v148
	v_addc_co_u32_e32 v57, vcc, v151, v57, vcc
	global_load_ushort v166, v[56:57], off
	v_mov_b32_e32 v156, s9
.LBB914_140:                            ;   in Loop: Header=BB914_102 Depth=2
	s_or_b64 exec, exec, s[42:43]
	s_waitcnt vmcnt(15)
	v_xor_b32_e32 v157, 0x7fff, v5
	v_lshrrev_b32_sdwa v5, s99, v157 dst_sel:DWORD dst_unused:UNUSED_PAD src0_sel:DWORD src1_sel:WORD_0
	v_and_b32_e32 v56, s6, v5
	v_mad_u32_u24 v5, v56, 5, v153
	v_lshl_add_u32 v158, v5, 2, v66
	v_and_b32_e32 v5, 1, v56
	v_add_co_u32_e32 v57, vcc, -1, v5
	v_addc_co_u32_e64 v161, s[40:41], 0, -1, vcc
	v_cmp_ne_u32_e32 vcc, 0, v5
	v_xor_b32_e32 v5, vcc_hi, v161
	v_and_b32_e32 v161, exec_hi, v5
	v_lshlrev_b32_e32 v5, 30, v56
	v_xor_b32_e32 v57, vcc_lo, v57
	v_cmp_gt_i64_e32 vcc, 0, v[4:5]
	v_not_b32_e32 v5, v5
	v_ashrrev_i32_e32 v5, 31, v5
	v_and_b32_e32 v57, exec_lo, v57
	v_xor_b32_e32 v162, vcc_hi, v5
	v_xor_b32_e32 v5, vcc_lo, v5
	v_and_b32_e32 v57, v57, v5
	v_lshlrev_b32_e32 v5, 29, v56
	v_cmp_gt_i64_e32 vcc, 0, v[4:5]
	v_not_b32_e32 v5, v5
	v_ashrrev_i32_e32 v5, 31, v5
	v_and_b32_e32 v161, v161, v162
	v_xor_b32_e32 v162, vcc_hi, v5
	v_xor_b32_e32 v5, vcc_lo, v5
	v_and_b32_e32 v57, v57, v5
	v_lshlrev_b32_e32 v5, 28, v56
	v_cmp_gt_i64_e32 vcc, 0, v[4:5]
	v_not_b32_e32 v5, v5
	v_ashrrev_i32_e32 v5, 31, v5
	v_and_b32_e32 v161, v161, v162
	v_xor_b32_e32 v162, vcc_hi, v5
	v_xor_b32_e32 v5, vcc_lo, v5
	v_and_b32_e32 v57, v57, v5
	v_lshlrev_b32_e32 v5, 27, v56
	v_cmp_gt_i64_e32 vcc, 0, v[4:5]
	v_not_b32_e32 v5, v5
	v_ashrrev_i32_e32 v5, 31, v5
	v_and_b32_e32 v161, v161, v162
	v_xor_b32_e32 v162, vcc_hi, v5
	v_xor_b32_e32 v5, vcc_lo, v5
	v_and_b32_e32 v57, v57, v5
	v_lshlrev_b32_e32 v5, 26, v56
	v_cmp_gt_i64_e32 vcc, 0, v[4:5]
	v_not_b32_e32 v5, v5
	v_ashrrev_i32_e32 v5, 31, v5
	v_and_b32_e32 v161, v161, v162
	v_xor_b32_e32 v162, vcc_hi, v5
	v_xor_b32_e32 v5, vcc_lo, v5
	v_and_b32_e32 v161, v161, v162
	v_and_b32_e32 v162, v57, v5
	v_lshlrev_b32_e32 v5, 25, v56
	v_cmp_gt_i64_e32 vcc, 0, v[4:5]
	v_not_b32_e32 v5, v5
	v_ashrrev_i32_e32 v5, 31, v5
	v_xor_b32_e32 v56, vcc_hi, v5
	v_xor_b32_e32 v5, vcc_lo, v5
	v_and_b32_e32 v57, v161, v56
	v_and_b32_e32 v56, v162, v5
	v_mbcnt_lo_u32_b32 v5, v56, 0
	v_mbcnt_hi_u32_b32 v161, v57, v5
	v_cmp_eq_u32_e32 vcc, 0, v161
	v_cmp_ne_u64_e64 s[40:41], 0, v[56:57]
	s_and_b64 s[42:43], s[40:41], vcc
	ds_write2_b32 v58, v4, v4 offset0:132 offset1:133
	ds_write_b32 v67, v4 offset:8
	s_waitcnt lgkmcnt(0)
	s_barrier
	s_waitcnt lgkmcnt(0)
	; wave barrier
	s_and_saveexec_b64 s[40:41], s[42:43]
	s_cbranch_execz .LBB914_142
; %bb.141:                              ;   in Loop: Header=BB914_102 Depth=2
	v_bcnt_u32_b32 v5, v56, 0
	v_bcnt_u32_b32 v5, v57, v5
	ds_write_b32 v158, v5
.LBB914_142:                            ;   in Loop: Header=BB914_102 Depth=2
	s_or_b64 exec, exec, s[40:41]
	s_waitcnt vmcnt(14)
	v_xor_b32_e32 v160, 0x7fff, v160
	v_lshrrev_b32_sdwa v5, s99, v160 dst_sel:DWORD dst_unused:UNUSED_PAD src0_sel:DWORD src1_sel:WORD_0
	v_and_b32_e32 v56, s6, v5
	v_mul_u32_u24_e32 v5, 5, v56
	v_add_lshl_u32 v5, v5, v153, 2
	; wave barrier
	v_add_u32_e32 v163, 0x210, v5
	ds_read_b32 v162, v5 offset:528
	v_and_b32_e32 v5, 1, v56
	v_add_co_u32_e32 v57, vcc, -1, v5
	v_addc_co_u32_e64 v167, s[40:41], 0, -1, vcc
	v_cmp_ne_u32_e32 vcc, 0, v5
	v_xor_b32_e32 v5, vcc_hi, v167
	v_and_b32_e32 v167, exec_hi, v5
	v_lshlrev_b32_e32 v5, 30, v56
	v_xor_b32_e32 v57, vcc_lo, v57
	v_cmp_gt_i64_e32 vcc, 0, v[4:5]
	v_not_b32_e32 v5, v5
	v_ashrrev_i32_e32 v5, 31, v5
	v_and_b32_e32 v57, exec_lo, v57
	v_xor_b32_e32 v168, vcc_hi, v5
	v_xor_b32_e32 v5, vcc_lo, v5
	v_and_b32_e32 v57, v57, v5
	v_lshlrev_b32_e32 v5, 29, v56
	v_cmp_gt_i64_e32 vcc, 0, v[4:5]
	v_not_b32_e32 v5, v5
	v_ashrrev_i32_e32 v5, 31, v5
	v_and_b32_e32 v167, v167, v168
	v_xor_b32_e32 v168, vcc_hi, v5
	v_xor_b32_e32 v5, vcc_lo, v5
	v_and_b32_e32 v57, v57, v5
	v_lshlrev_b32_e32 v5, 28, v56
	v_cmp_gt_i64_e32 vcc, 0, v[4:5]
	v_not_b32_e32 v5, v5
	v_ashrrev_i32_e32 v5, 31, v5
	v_and_b32_e32 v167, v167, v168
	v_xor_b32_e32 v168, vcc_hi, v5
	v_xor_b32_e32 v5, vcc_lo, v5
	v_and_b32_e32 v57, v57, v5
	v_lshlrev_b32_e32 v5, 27, v56
	v_cmp_gt_i64_e32 vcc, 0, v[4:5]
	v_not_b32_e32 v5, v5
	v_ashrrev_i32_e32 v5, 31, v5
	v_and_b32_e32 v167, v167, v168
	v_xor_b32_e32 v168, vcc_hi, v5
	v_xor_b32_e32 v5, vcc_lo, v5
	v_and_b32_e32 v57, v57, v5
	v_lshlrev_b32_e32 v5, 26, v56
	v_cmp_gt_i64_e32 vcc, 0, v[4:5]
	v_not_b32_e32 v5, v5
	v_ashrrev_i32_e32 v5, 31, v5
	v_and_b32_e32 v167, v167, v168
	v_xor_b32_e32 v168, vcc_hi, v5
	v_xor_b32_e32 v5, vcc_lo, v5
	v_and_b32_e32 v167, v167, v168
	v_and_b32_e32 v168, v57, v5
	v_lshlrev_b32_e32 v5, 25, v56
	v_cmp_gt_i64_e32 vcc, 0, v[4:5]
	v_not_b32_e32 v5, v5
	v_ashrrev_i32_e32 v5, 31, v5
	v_xor_b32_e32 v56, vcc_hi, v5
	v_xor_b32_e32 v5, vcc_lo, v5
	v_and_b32_e32 v57, v167, v56
	v_and_b32_e32 v56, v168, v5
	v_mbcnt_lo_u32_b32 v5, v56, 0
	v_mbcnt_hi_u32_b32 v167, v57, v5
	v_cmp_eq_u32_e32 vcc, 0, v167
	v_cmp_ne_u64_e64 s[40:41], 0, v[56:57]
	s_and_b64 s[42:43], s[40:41], vcc
	; wave barrier
	s_and_saveexec_b64 s[40:41], s[42:43]
	s_cbranch_execz .LBB914_144
; %bb.143:                              ;   in Loop: Header=BB914_102 Depth=2
	v_bcnt_u32_b32 v5, v56, 0
	v_bcnt_u32_b32 v5, v57, v5
	s_waitcnt lgkmcnt(0)
	v_add_u32_e32 v5, v162, v5
	ds_write_b32 v163, v5
.LBB914_144:                            ;   in Loop: Header=BB914_102 Depth=2
	s_or_b64 exec, exec, s[40:41]
	s_waitcnt vmcnt(13)
	v_xor_b32_e32 v165, 0x7fff, v165
	v_lshrrev_b32_sdwa v5, s99, v165 dst_sel:DWORD dst_unused:UNUSED_PAD src0_sel:DWORD src1_sel:WORD_0
	v_and_b32_e32 v56, s6, v5
	v_mul_u32_u24_e32 v5, 5, v56
	v_add_lshl_u32 v5, v5, v153, 2
	; wave barrier
	v_add_u32_e32 v170, 0x210, v5
	ds_read_b32 v168, v5 offset:528
	v_and_b32_e32 v5, 1, v56
	v_add_co_u32_e32 v57, vcc, -1, v5
	v_addc_co_u32_e64 v172, s[40:41], 0, -1, vcc
	v_cmp_ne_u32_e32 vcc, 0, v5
	v_xor_b32_e32 v5, vcc_hi, v172
	v_and_b32_e32 v172, exec_hi, v5
	v_lshlrev_b32_e32 v5, 30, v56
	v_xor_b32_e32 v57, vcc_lo, v57
	v_cmp_gt_i64_e32 vcc, 0, v[4:5]
	v_not_b32_e32 v5, v5
	v_ashrrev_i32_e32 v5, 31, v5
	v_and_b32_e32 v57, exec_lo, v57
	v_xor_b32_e32 v173, vcc_hi, v5
	v_xor_b32_e32 v5, vcc_lo, v5
	v_and_b32_e32 v57, v57, v5
	v_lshlrev_b32_e32 v5, 29, v56
	v_cmp_gt_i64_e32 vcc, 0, v[4:5]
	v_not_b32_e32 v5, v5
	v_ashrrev_i32_e32 v5, 31, v5
	v_and_b32_e32 v172, v172, v173
	v_xor_b32_e32 v173, vcc_hi, v5
	v_xor_b32_e32 v5, vcc_lo, v5
	v_and_b32_e32 v57, v57, v5
	v_lshlrev_b32_e32 v5, 28, v56
	v_cmp_gt_i64_e32 vcc, 0, v[4:5]
	v_not_b32_e32 v5, v5
	v_ashrrev_i32_e32 v5, 31, v5
	v_and_b32_e32 v172, v172, v173
	;; [unrolled: 8-line block ×4, first 2 shown]
	v_xor_b32_e32 v173, vcc_hi, v5
	v_xor_b32_e32 v5, vcc_lo, v5
	v_and_b32_e32 v172, v172, v173
	v_and_b32_e32 v173, v57, v5
	v_lshlrev_b32_e32 v5, 25, v56
	v_cmp_gt_i64_e32 vcc, 0, v[4:5]
	v_not_b32_e32 v5, v5
	v_ashrrev_i32_e32 v5, 31, v5
	v_xor_b32_e32 v56, vcc_hi, v5
	v_xor_b32_e32 v5, vcc_lo, v5
	v_and_b32_e32 v57, v172, v56
	v_and_b32_e32 v56, v173, v5
	v_mbcnt_lo_u32_b32 v5, v56, 0
	v_mbcnt_hi_u32_b32 v172, v57, v5
	v_cmp_eq_u32_e32 vcc, 0, v172
	v_cmp_ne_u64_e64 s[40:41], 0, v[56:57]
	s_and_b64 s[42:43], s[40:41], vcc
	; wave barrier
	s_and_saveexec_b64 s[40:41], s[42:43]
	s_cbranch_execz .LBB914_146
; %bb.145:                              ;   in Loop: Header=BB914_102 Depth=2
	v_bcnt_u32_b32 v5, v56, 0
	v_bcnt_u32_b32 v5, v57, v5
	s_waitcnt lgkmcnt(0)
	v_add_u32_e32 v5, v168, v5
	ds_write_b32 v170, v5
.LBB914_146:                            ;   in Loop: Header=BB914_102 Depth=2
	s_or_b64 exec, exec, s[40:41]
	s_waitcnt vmcnt(12)
	v_xor_b32_e32 v171, 0x7fff, v171
	v_lshrrev_b32_sdwa v5, s99, v171 dst_sel:DWORD dst_unused:UNUSED_PAD src0_sel:DWORD src1_sel:WORD_0
	v_and_b32_e32 v56, s6, v5
	v_mul_u32_u24_e32 v5, 5, v56
	v_add_lshl_u32 v5, v5, v153, 2
	; wave barrier
	v_add_u32_e32 v175, 0x210, v5
	ds_read_b32 v173, v5 offset:528
	v_and_b32_e32 v5, 1, v56
	v_add_co_u32_e32 v57, vcc, -1, v5
	v_addc_co_u32_e64 v177, s[40:41], 0, -1, vcc
	v_cmp_ne_u32_e32 vcc, 0, v5
	v_xor_b32_e32 v5, vcc_hi, v177
	v_and_b32_e32 v177, exec_hi, v5
	v_lshlrev_b32_e32 v5, 30, v56
	v_xor_b32_e32 v57, vcc_lo, v57
	v_cmp_gt_i64_e32 vcc, 0, v[4:5]
	v_not_b32_e32 v5, v5
	v_ashrrev_i32_e32 v5, 31, v5
	v_and_b32_e32 v57, exec_lo, v57
	v_xor_b32_e32 v178, vcc_hi, v5
	v_xor_b32_e32 v5, vcc_lo, v5
	v_and_b32_e32 v57, v57, v5
	v_lshlrev_b32_e32 v5, 29, v56
	v_cmp_gt_i64_e32 vcc, 0, v[4:5]
	v_not_b32_e32 v5, v5
	v_ashrrev_i32_e32 v5, 31, v5
	v_and_b32_e32 v177, v177, v178
	v_xor_b32_e32 v178, vcc_hi, v5
	v_xor_b32_e32 v5, vcc_lo, v5
	v_and_b32_e32 v57, v57, v5
	v_lshlrev_b32_e32 v5, 28, v56
	v_cmp_gt_i64_e32 vcc, 0, v[4:5]
	v_not_b32_e32 v5, v5
	v_ashrrev_i32_e32 v5, 31, v5
	v_and_b32_e32 v177, v177, v178
	;; [unrolled: 8-line block ×4, first 2 shown]
	v_xor_b32_e32 v178, vcc_hi, v5
	v_xor_b32_e32 v5, vcc_lo, v5
	v_and_b32_e32 v177, v177, v178
	v_and_b32_e32 v178, v57, v5
	v_lshlrev_b32_e32 v5, 25, v56
	v_cmp_gt_i64_e32 vcc, 0, v[4:5]
	v_not_b32_e32 v5, v5
	v_ashrrev_i32_e32 v5, 31, v5
	v_xor_b32_e32 v56, vcc_hi, v5
	v_xor_b32_e32 v5, vcc_lo, v5
	v_and_b32_e32 v57, v177, v56
	v_and_b32_e32 v56, v178, v5
	v_mbcnt_lo_u32_b32 v5, v56, 0
	v_mbcnt_hi_u32_b32 v177, v57, v5
	v_cmp_eq_u32_e32 vcc, 0, v177
	v_cmp_ne_u64_e64 s[40:41], 0, v[56:57]
	s_and_b64 s[42:43], s[40:41], vcc
	; wave barrier
	s_and_saveexec_b64 s[40:41], s[42:43]
	s_cbranch_execz .LBB914_148
; %bb.147:                              ;   in Loop: Header=BB914_102 Depth=2
	v_bcnt_u32_b32 v5, v56, 0
	v_bcnt_u32_b32 v5, v57, v5
	s_waitcnt lgkmcnt(0)
	v_add_u32_e32 v5, v173, v5
	ds_write_b32 v175, v5
.LBB914_148:                            ;   in Loop: Header=BB914_102 Depth=2
	s_or_b64 exec, exec, s[40:41]
	s_waitcnt vmcnt(11)
	v_xor_b32_e32 v176, 0x7fff, v176
	v_lshrrev_b32_sdwa v5, s99, v176 dst_sel:DWORD dst_unused:UNUSED_PAD src0_sel:DWORD src1_sel:WORD_0
	v_and_b32_e32 v56, s6, v5
	v_mul_u32_u24_e32 v5, 5, v56
	v_add_lshl_u32 v5, v5, v153, 2
	; wave barrier
	v_add_u32_e32 v180, 0x210, v5
	ds_read_b32 v178, v5 offset:528
	v_and_b32_e32 v5, 1, v56
	v_add_co_u32_e32 v57, vcc, -1, v5
	v_addc_co_u32_e64 v182, s[40:41], 0, -1, vcc
	v_cmp_ne_u32_e32 vcc, 0, v5
	v_xor_b32_e32 v5, vcc_hi, v182
	v_and_b32_e32 v182, exec_hi, v5
	v_lshlrev_b32_e32 v5, 30, v56
	v_xor_b32_e32 v57, vcc_lo, v57
	v_cmp_gt_i64_e32 vcc, 0, v[4:5]
	v_not_b32_e32 v5, v5
	v_ashrrev_i32_e32 v5, 31, v5
	v_and_b32_e32 v57, exec_lo, v57
	v_xor_b32_e32 v183, vcc_hi, v5
	v_xor_b32_e32 v5, vcc_lo, v5
	v_and_b32_e32 v57, v57, v5
	v_lshlrev_b32_e32 v5, 29, v56
	v_cmp_gt_i64_e32 vcc, 0, v[4:5]
	v_not_b32_e32 v5, v5
	v_ashrrev_i32_e32 v5, 31, v5
	v_and_b32_e32 v182, v182, v183
	v_xor_b32_e32 v183, vcc_hi, v5
	v_xor_b32_e32 v5, vcc_lo, v5
	v_and_b32_e32 v57, v57, v5
	v_lshlrev_b32_e32 v5, 28, v56
	v_cmp_gt_i64_e32 vcc, 0, v[4:5]
	v_not_b32_e32 v5, v5
	v_ashrrev_i32_e32 v5, 31, v5
	v_and_b32_e32 v182, v182, v183
	;; [unrolled: 8-line block ×4, first 2 shown]
	v_xor_b32_e32 v183, vcc_hi, v5
	v_xor_b32_e32 v5, vcc_lo, v5
	v_and_b32_e32 v182, v182, v183
	v_and_b32_e32 v183, v57, v5
	v_lshlrev_b32_e32 v5, 25, v56
	v_cmp_gt_i64_e32 vcc, 0, v[4:5]
	v_not_b32_e32 v5, v5
	v_ashrrev_i32_e32 v5, 31, v5
	v_xor_b32_e32 v56, vcc_hi, v5
	v_xor_b32_e32 v5, vcc_lo, v5
	v_and_b32_e32 v57, v182, v56
	v_and_b32_e32 v56, v183, v5
	v_mbcnt_lo_u32_b32 v5, v56, 0
	v_mbcnt_hi_u32_b32 v182, v57, v5
	v_cmp_eq_u32_e32 vcc, 0, v182
	v_cmp_ne_u64_e64 s[40:41], 0, v[56:57]
	s_and_b64 s[42:43], s[40:41], vcc
	; wave barrier
	s_and_saveexec_b64 s[40:41], s[42:43]
	s_cbranch_execz .LBB914_150
; %bb.149:                              ;   in Loop: Header=BB914_102 Depth=2
	v_bcnt_u32_b32 v5, v56, 0
	v_bcnt_u32_b32 v5, v57, v5
	s_waitcnt lgkmcnt(0)
	v_add_u32_e32 v5, v178, v5
	ds_write_b32 v180, v5
.LBB914_150:                            ;   in Loop: Header=BB914_102 Depth=2
	s_or_b64 exec, exec, s[40:41]
	s_waitcnt vmcnt(10)
	v_xor_b32_e32 v181, 0x7fff, v181
	v_lshrrev_b32_sdwa v5, s99, v181 dst_sel:DWORD dst_unused:UNUSED_PAD src0_sel:DWORD src1_sel:WORD_0
	v_and_b32_e32 v56, s6, v5
	v_mul_u32_u24_e32 v5, 5, v56
	v_add_lshl_u32 v5, v5, v153, 2
	; wave barrier
	v_add_u32_e32 v185, 0x210, v5
	ds_read_b32 v183, v5 offset:528
	v_and_b32_e32 v5, 1, v56
	v_add_co_u32_e32 v57, vcc, -1, v5
	v_addc_co_u32_e64 v187, s[40:41], 0, -1, vcc
	v_cmp_ne_u32_e32 vcc, 0, v5
	v_xor_b32_e32 v5, vcc_hi, v187
	v_and_b32_e32 v187, exec_hi, v5
	v_lshlrev_b32_e32 v5, 30, v56
	v_xor_b32_e32 v57, vcc_lo, v57
	v_cmp_gt_i64_e32 vcc, 0, v[4:5]
	v_not_b32_e32 v5, v5
	v_ashrrev_i32_e32 v5, 31, v5
	v_and_b32_e32 v57, exec_lo, v57
	v_xor_b32_e32 v189, vcc_hi, v5
	v_xor_b32_e32 v5, vcc_lo, v5
	v_and_b32_e32 v57, v57, v5
	v_lshlrev_b32_e32 v5, 29, v56
	v_cmp_gt_i64_e32 vcc, 0, v[4:5]
	v_not_b32_e32 v5, v5
	v_ashrrev_i32_e32 v5, 31, v5
	v_and_b32_e32 v187, v187, v189
	v_xor_b32_e32 v189, vcc_hi, v5
	v_xor_b32_e32 v5, vcc_lo, v5
	v_and_b32_e32 v57, v57, v5
	v_lshlrev_b32_e32 v5, 28, v56
	v_cmp_gt_i64_e32 vcc, 0, v[4:5]
	v_not_b32_e32 v5, v5
	v_ashrrev_i32_e32 v5, 31, v5
	v_and_b32_e32 v187, v187, v189
	;; [unrolled: 8-line block ×4, first 2 shown]
	v_xor_b32_e32 v189, vcc_hi, v5
	v_xor_b32_e32 v5, vcc_lo, v5
	v_and_b32_e32 v187, v187, v189
	v_and_b32_e32 v189, v57, v5
	v_lshlrev_b32_e32 v5, 25, v56
	v_cmp_gt_i64_e32 vcc, 0, v[4:5]
	v_not_b32_e32 v5, v5
	v_ashrrev_i32_e32 v5, 31, v5
	v_xor_b32_e32 v56, vcc_hi, v5
	v_xor_b32_e32 v5, vcc_lo, v5
	v_and_b32_e32 v57, v187, v56
	v_and_b32_e32 v56, v189, v5
	v_mbcnt_lo_u32_b32 v5, v56, 0
	v_mbcnt_hi_u32_b32 v187, v57, v5
	v_cmp_eq_u32_e32 vcc, 0, v187
	v_cmp_ne_u64_e64 s[40:41], 0, v[56:57]
	s_and_b64 s[42:43], s[40:41], vcc
	; wave barrier
	s_and_saveexec_b64 s[40:41], s[42:43]
	s_cbranch_execz .LBB914_152
; %bb.151:                              ;   in Loop: Header=BB914_102 Depth=2
	v_bcnt_u32_b32 v5, v56, 0
	v_bcnt_u32_b32 v5, v57, v5
	s_waitcnt lgkmcnt(0)
	v_add_u32_e32 v5, v183, v5
	ds_write_b32 v185, v5
.LBB914_152:                            ;   in Loop: Header=BB914_102 Depth=2
	s_or_b64 exec, exec, s[40:41]
	s_waitcnt vmcnt(9)
	v_xor_b32_e32 v186, 0x7fff, v186
	v_lshrrev_b32_sdwa v5, s99, v186 dst_sel:DWORD dst_unused:UNUSED_PAD src0_sel:DWORD src1_sel:WORD_0
	v_and_b32_e32 v56, s6, v5
	v_mul_u32_u24_e32 v5, 5, v56
	v_add_lshl_u32 v5, v5, v153, 2
	; wave barrier
	v_add_u32_e32 v190, 0x210, v5
	ds_read_b32 v189, v5 offset:528
	v_and_b32_e32 v5, 1, v56
	v_add_co_u32_e32 v57, vcc, -1, v5
	v_addc_co_u32_e64 v192, s[40:41], 0, -1, vcc
	v_cmp_ne_u32_e32 vcc, 0, v5
	v_xor_b32_e32 v5, vcc_hi, v192
	v_and_b32_e32 v192, exec_hi, v5
	v_lshlrev_b32_e32 v5, 30, v56
	v_xor_b32_e32 v57, vcc_lo, v57
	v_cmp_gt_i64_e32 vcc, 0, v[4:5]
	v_not_b32_e32 v5, v5
	v_ashrrev_i32_e32 v5, 31, v5
	v_and_b32_e32 v57, exec_lo, v57
	v_xor_b32_e32 v194, vcc_hi, v5
	v_xor_b32_e32 v5, vcc_lo, v5
	v_and_b32_e32 v57, v57, v5
	v_lshlrev_b32_e32 v5, 29, v56
	v_cmp_gt_i64_e32 vcc, 0, v[4:5]
	v_not_b32_e32 v5, v5
	v_ashrrev_i32_e32 v5, 31, v5
	v_and_b32_e32 v192, v192, v194
	v_xor_b32_e32 v194, vcc_hi, v5
	v_xor_b32_e32 v5, vcc_lo, v5
	v_and_b32_e32 v57, v57, v5
	v_lshlrev_b32_e32 v5, 28, v56
	v_cmp_gt_i64_e32 vcc, 0, v[4:5]
	v_not_b32_e32 v5, v5
	v_ashrrev_i32_e32 v5, 31, v5
	v_and_b32_e32 v192, v192, v194
	;; [unrolled: 8-line block ×4, first 2 shown]
	v_xor_b32_e32 v194, vcc_hi, v5
	v_xor_b32_e32 v5, vcc_lo, v5
	v_and_b32_e32 v192, v192, v194
	v_and_b32_e32 v194, v57, v5
	v_lshlrev_b32_e32 v5, 25, v56
	v_cmp_gt_i64_e32 vcc, 0, v[4:5]
	v_not_b32_e32 v5, v5
	v_ashrrev_i32_e32 v5, 31, v5
	v_xor_b32_e32 v56, vcc_hi, v5
	v_xor_b32_e32 v5, vcc_lo, v5
	v_and_b32_e32 v57, v192, v56
	v_and_b32_e32 v56, v194, v5
	v_mbcnt_lo_u32_b32 v5, v56, 0
	v_mbcnt_hi_u32_b32 v192, v57, v5
	v_cmp_eq_u32_e32 vcc, 0, v192
	v_cmp_ne_u64_e64 s[40:41], 0, v[56:57]
	s_and_b64 s[42:43], s[40:41], vcc
	; wave barrier
	s_and_saveexec_b64 s[40:41], s[42:43]
	s_cbranch_execz .LBB914_154
; %bb.153:                              ;   in Loop: Header=BB914_102 Depth=2
	v_bcnt_u32_b32 v5, v56, 0
	v_bcnt_u32_b32 v5, v57, v5
	s_waitcnt lgkmcnt(0)
	v_add_u32_e32 v5, v189, v5
	ds_write_b32 v190, v5
.LBB914_154:                            ;   in Loop: Header=BB914_102 Depth=2
	s_or_b64 exec, exec, s[40:41]
	s_waitcnt vmcnt(8)
	v_xor_b32_e32 v191, 0x7fff, v191
	v_lshrrev_b32_sdwa v5, s99, v191 dst_sel:DWORD dst_unused:UNUSED_PAD src0_sel:DWORD src1_sel:WORD_0
	v_and_b32_e32 v56, s6, v5
	v_mul_u32_u24_e32 v5, 5, v56
	v_add_lshl_u32 v5, v5, v153, 2
	; wave barrier
	v_add_u32_e32 v195, 0x210, v5
	ds_read_b32 v194, v5 offset:528
	v_and_b32_e32 v5, 1, v56
	v_add_co_u32_e32 v57, vcc, -1, v5
	v_addc_co_u32_e64 v196, s[40:41], 0, -1, vcc
	v_cmp_ne_u32_e32 vcc, 0, v5
	v_xor_b32_e32 v5, vcc_hi, v196
	v_and_b32_e32 v196, exec_hi, v5
	v_lshlrev_b32_e32 v5, 30, v56
	v_xor_b32_e32 v57, vcc_lo, v57
	v_cmp_gt_i64_e32 vcc, 0, v[4:5]
	v_not_b32_e32 v5, v5
	v_ashrrev_i32_e32 v5, 31, v5
	v_and_b32_e32 v57, exec_lo, v57
	v_xor_b32_e32 v197, vcc_hi, v5
	v_xor_b32_e32 v5, vcc_lo, v5
	v_and_b32_e32 v57, v57, v5
	v_lshlrev_b32_e32 v5, 29, v56
	v_cmp_gt_i64_e32 vcc, 0, v[4:5]
	v_not_b32_e32 v5, v5
	v_ashrrev_i32_e32 v5, 31, v5
	v_and_b32_e32 v196, v196, v197
	v_xor_b32_e32 v197, vcc_hi, v5
	v_xor_b32_e32 v5, vcc_lo, v5
	v_and_b32_e32 v57, v57, v5
	v_lshlrev_b32_e32 v5, 28, v56
	v_cmp_gt_i64_e32 vcc, 0, v[4:5]
	v_not_b32_e32 v5, v5
	v_ashrrev_i32_e32 v5, 31, v5
	v_and_b32_e32 v196, v196, v197
	;; [unrolled: 8-line block ×4, first 2 shown]
	v_xor_b32_e32 v197, vcc_hi, v5
	v_xor_b32_e32 v5, vcc_lo, v5
	v_and_b32_e32 v196, v196, v197
	v_and_b32_e32 v197, v57, v5
	v_lshlrev_b32_e32 v5, 25, v56
	v_cmp_gt_i64_e32 vcc, 0, v[4:5]
	v_not_b32_e32 v5, v5
	v_ashrrev_i32_e32 v5, 31, v5
	v_xor_b32_e32 v56, vcc_hi, v5
	v_xor_b32_e32 v5, vcc_lo, v5
	v_and_b32_e32 v57, v196, v56
	v_and_b32_e32 v56, v197, v5
	v_mbcnt_lo_u32_b32 v5, v56, 0
	v_mbcnt_hi_u32_b32 v196, v57, v5
	v_cmp_eq_u32_e32 vcc, 0, v196
	v_cmp_ne_u64_e64 s[40:41], 0, v[56:57]
	s_and_b64 s[42:43], s[40:41], vcc
	; wave barrier
	s_and_saveexec_b64 s[40:41], s[42:43]
	s_cbranch_execz .LBB914_156
; %bb.155:                              ;   in Loop: Header=BB914_102 Depth=2
	v_bcnt_u32_b32 v5, v56, 0
	v_bcnt_u32_b32 v5, v57, v5
	s_waitcnt lgkmcnt(0)
	v_add_u32_e32 v5, v194, v5
	ds_write_b32 v195, v5
.LBB914_156:                            ;   in Loop: Header=BB914_102 Depth=2
	s_or_b64 exec, exec, s[40:41]
	s_waitcnt vmcnt(7)
	v_xor_b32_e32 v193, 0x7fff, v193
	v_lshrrev_b32_sdwa v5, s99, v193 dst_sel:DWORD dst_unused:UNUSED_PAD src0_sel:DWORD src1_sel:WORD_0
	v_and_b32_e32 v56, s6, v5
	v_mul_u32_u24_e32 v5, 5, v56
	v_add_lshl_u32 v5, v5, v153, 2
	; wave barrier
	v_add_u32_e32 v198, 0x210, v5
	ds_read_b32 v197, v5 offset:528
	v_and_b32_e32 v5, 1, v56
	v_add_co_u32_e32 v57, vcc, -1, v5
	v_addc_co_u32_e64 v199, s[40:41], 0, -1, vcc
	v_cmp_ne_u32_e32 vcc, 0, v5
	v_xor_b32_e32 v5, vcc_hi, v199
	v_and_b32_e32 v199, exec_hi, v5
	v_lshlrev_b32_e32 v5, 30, v56
	v_xor_b32_e32 v57, vcc_lo, v57
	v_cmp_gt_i64_e32 vcc, 0, v[4:5]
	v_not_b32_e32 v5, v5
	v_ashrrev_i32_e32 v5, 31, v5
	v_and_b32_e32 v57, exec_lo, v57
	v_xor_b32_e32 v200, vcc_hi, v5
	v_xor_b32_e32 v5, vcc_lo, v5
	v_and_b32_e32 v57, v57, v5
	v_lshlrev_b32_e32 v5, 29, v56
	v_cmp_gt_i64_e32 vcc, 0, v[4:5]
	v_not_b32_e32 v5, v5
	v_ashrrev_i32_e32 v5, 31, v5
	v_and_b32_e32 v199, v199, v200
	v_xor_b32_e32 v200, vcc_hi, v5
	v_xor_b32_e32 v5, vcc_lo, v5
	v_and_b32_e32 v57, v57, v5
	v_lshlrev_b32_e32 v5, 28, v56
	v_cmp_gt_i64_e32 vcc, 0, v[4:5]
	v_not_b32_e32 v5, v5
	v_ashrrev_i32_e32 v5, 31, v5
	v_and_b32_e32 v199, v199, v200
	;; [unrolled: 8-line block ×4, first 2 shown]
	v_xor_b32_e32 v200, vcc_hi, v5
	v_xor_b32_e32 v5, vcc_lo, v5
	v_and_b32_e32 v199, v199, v200
	v_and_b32_e32 v200, v57, v5
	v_lshlrev_b32_e32 v5, 25, v56
	v_cmp_gt_i64_e32 vcc, 0, v[4:5]
	v_not_b32_e32 v5, v5
	v_ashrrev_i32_e32 v5, 31, v5
	v_xor_b32_e32 v56, vcc_hi, v5
	v_xor_b32_e32 v5, vcc_lo, v5
	v_and_b32_e32 v57, v199, v56
	v_and_b32_e32 v56, v200, v5
	v_mbcnt_lo_u32_b32 v5, v56, 0
	v_mbcnt_hi_u32_b32 v199, v57, v5
	v_cmp_eq_u32_e32 vcc, 0, v199
	v_cmp_ne_u64_e64 s[40:41], 0, v[56:57]
	s_and_b64 s[42:43], s[40:41], vcc
	; wave barrier
	s_and_saveexec_b64 s[40:41], s[42:43]
	s_cbranch_execz .LBB914_158
; %bb.157:                              ;   in Loop: Header=BB914_102 Depth=2
	v_bcnt_u32_b32 v5, v56, 0
	v_bcnt_u32_b32 v5, v57, v5
	s_waitcnt lgkmcnt(0)
	v_add_u32_e32 v5, v197, v5
	ds_write_b32 v198, v5
.LBB914_158:                            ;   in Loop: Header=BB914_102 Depth=2
	s_or_b64 exec, exec, s[40:41]
	s_waitcnt vmcnt(6)
	v_xor_b32_e32 v188, 0x7fff, v188
	v_lshrrev_b32_sdwa v5, s99, v188 dst_sel:DWORD dst_unused:UNUSED_PAD src0_sel:DWORD src1_sel:WORD_0
	v_and_b32_e32 v56, s6, v5
	v_mul_u32_u24_e32 v5, 5, v56
	v_add_lshl_u32 v5, v5, v153, 2
	; wave barrier
	v_add_u32_e32 v201, 0x210, v5
	ds_read_b32 v200, v5 offset:528
	v_and_b32_e32 v5, 1, v56
	v_add_co_u32_e32 v57, vcc, -1, v5
	v_addc_co_u32_e64 v202, s[40:41], 0, -1, vcc
	v_cmp_ne_u32_e32 vcc, 0, v5
	v_xor_b32_e32 v5, vcc_hi, v202
	v_and_b32_e32 v202, exec_hi, v5
	v_lshlrev_b32_e32 v5, 30, v56
	v_xor_b32_e32 v57, vcc_lo, v57
	v_cmp_gt_i64_e32 vcc, 0, v[4:5]
	v_not_b32_e32 v5, v5
	v_ashrrev_i32_e32 v5, 31, v5
	v_and_b32_e32 v57, exec_lo, v57
	v_xor_b32_e32 v203, vcc_hi, v5
	v_xor_b32_e32 v5, vcc_lo, v5
	v_and_b32_e32 v57, v57, v5
	v_lshlrev_b32_e32 v5, 29, v56
	v_cmp_gt_i64_e32 vcc, 0, v[4:5]
	v_not_b32_e32 v5, v5
	v_ashrrev_i32_e32 v5, 31, v5
	v_and_b32_e32 v202, v202, v203
	v_xor_b32_e32 v203, vcc_hi, v5
	v_xor_b32_e32 v5, vcc_lo, v5
	v_and_b32_e32 v57, v57, v5
	v_lshlrev_b32_e32 v5, 28, v56
	v_cmp_gt_i64_e32 vcc, 0, v[4:5]
	v_not_b32_e32 v5, v5
	v_ashrrev_i32_e32 v5, 31, v5
	v_and_b32_e32 v202, v202, v203
	;; [unrolled: 8-line block ×4, first 2 shown]
	v_xor_b32_e32 v203, vcc_hi, v5
	v_xor_b32_e32 v5, vcc_lo, v5
	v_and_b32_e32 v202, v202, v203
	v_and_b32_e32 v203, v57, v5
	v_lshlrev_b32_e32 v5, 25, v56
	v_cmp_gt_i64_e32 vcc, 0, v[4:5]
	v_not_b32_e32 v5, v5
	v_ashrrev_i32_e32 v5, 31, v5
	v_xor_b32_e32 v56, vcc_hi, v5
	v_xor_b32_e32 v5, vcc_lo, v5
	v_and_b32_e32 v57, v202, v56
	v_and_b32_e32 v56, v203, v5
	v_mbcnt_lo_u32_b32 v5, v56, 0
	v_mbcnt_hi_u32_b32 v202, v57, v5
	v_cmp_eq_u32_e32 vcc, 0, v202
	v_cmp_ne_u64_e64 s[40:41], 0, v[56:57]
	s_and_b64 s[42:43], s[40:41], vcc
	; wave barrier
	s_and_saveexec_b64 s[40:41], s[42:43]
	s_cbranch_execz .LBB914_160
; %bb.159:                              ;   in Loop: Header=BB914_102 Depth=2
	v_bcnt_u32_b32 v5, v56, 0
	v_bcnt_u32_b32 v5, v57, v5
	s_waitcnt lgkmcnt(0)
	v_add_u32_e32 v5, v200, v5
	ds_write_b32 v201, v5
.LBB914_160:                            ;   in Loop: Header=BB914_102 Depth=2
	s_or_b64 exec, exec, s[40:41]
	s_waitcnt vmcnt(5)
	v_xor_b32_e32 v184, 0x7fff, v184
	v_lshrrev_b32_sdwa v5, s99, v184 dst_sel:DWORD dst_unused:UNUSED_PAD src0_sel:DWORD src1_sel:WORD_0
	v_and_b32_e32 v56, s6, v5
	v_mul_u32_u24_e32 v5, 5, v56
	v_add_lshl_u32 v5, v5, v153, 2
	; wave barrier
	v_add_u32_e32 v205, 0x210, v5
	ds_read_b32 v203, v5 offset:528
	v_and_b32_e32 v5, 1, v56
	v_add_co_u32_e32 v57, vcc, -1, v5
	v_addc_co_u32_e64 v204, s[40:41], 0, -1, vcc
	v_cmp_ne_u32_e32 vcc, 0, v5
	v_xor_b32_e32 v5, vcc_hi, v204
	v_and_b32_e32 v204, exec_hi, v5
	v_lshlrev_b32_e32 v5, 30, v56
	v_xor_b32_e32 v57, vcc_lo, v57
	v_cmp_gt_i64_e32 vcc, 0, v[4:5]
	v_not_b32_e32 v5, v5
	v_ashrrev_i32_e32 v5, 31, v5
	v_and_b32_e32 v57, exec_lo, v57
	v_xor_b32_e32 v206, vcc_hi, v5
	v_xor_b32_e32 v5, vcc_lo, v5
	v_and_b32_e32 v57, v57, v5
	v_lshlrev_b32_e32 v5, 29, v56
	v_cmp_gt_i64_e32 vcc, 0, v[4:5]
	v_not_b32_e32 v5, v5
	v_ashrrev_i32_e32 v5, 31, v5
	v_and_b32_e32 v204, v204, v206
	v_xor_b32_e32 v206, vcc_hi, v5
	v_xor_b32_e32 v5, vcc_lo, v5
	v_and_b32_e32 v57, v57, v5
	v_lshlrev_b32_e32 v5, 28, v56
	v_cmp_gt_i64_e32 vcc, 0, v[4:5]
	v_not_b32_e32 v5, v5
	v_ashrrev_i32_e32 v5, 31, v5
	v_and_b32_e32 v204, v204, v206
	;; [unrolled: 8-line block ×4, first 2 shown]
	v_xor_b32_e32 v206, vcc_hi, v5
	v_xor_b32_e32 v5, vcc_lo, v5
	v_and_b32_e32 v204, v204, v206
	v_and_b32_e32 v206, v57, v5
	v_lshlrev_b32_e32 v5, 25, v56
	v_cmp_gt_i64_e32 vcc, 0, v[4:5]
	v_not_b32_e32 v5, v5
	v_ashrrev_i32_e32 v5, 31, v5
	v_xor_b32_e32 v56, vcc_hi, v5
	v_xor_b32_e32 v5, vcc_lo, v5
	v_and_b32_e32 v57, v204, v56
	v_and_b32_e32 v56, v206, v5
	v_mbcnt_lo_u32_b32 v5, v56, 0
	v_mbcnt_hi_u32_b32 v206, v57, v5
	v_cmp_eq_u32_e32 vcc, 0, v206
	v_cmp_ne_u64_e64 s[40:41], 0, v[56:57]
	s_and_b64 s[42:43], s[40:41], vcc
	; wave barrier
	s_and_saveexec_b64 s[40:41], s[42:43]
	s_cbranch_execz .LBB914_162
; %bb.161:                              ;   in Loop: Header=BB914_102 Depth=2
	v_bcnt_u32_b32 v5, v56, 0
	v_bcnt_u32_b32 v5, v57, v5
	s_waitcnt lgkmcnt(0)
	v_add_u32_e32 v5, v203, v5
	ds_write_b32 v205, v5
.LBB914_162:                            ;   in Loop: Header=BB914_102 Depth=2
	s_or_b64 exec, exec, s[40:41]
	s_waitcnt vmcnt(4)
	v_xor_b32_e32 v204, 0x7fff, v179
	v_lshrrev_b32_sdwa v5, s99, v204 dst_sel:DWORD dst_unused:UNUSED_PAD src0_sel:DWORD src1_sel:WORD_0
	v_and_b32_e32 v56, s6, v5
	v_mul_u32_u24_e32 v5, 5, v56
	v_add_lshl_u32 v5, v5, v153, 2
	; wave barrier
	v_add_u32_e32 v179, 0x210, v5
	ds_read_b32 v207, v5 offset:528
	v_and_b32_e32 v5, 1, v56
	v_add_co_u32_e32 v57, vcc, -1, v5
	v_addc_co_u32_e64 v208, s[40:41], 0, -1, vcc
	v_cmp_ne_u32_e32 vcc, 0, v5
	v_xor_b32_e32 v5, vcc_hi, v208
	v_and_b32_e32 v208, exec_hi, v5
	v_lshlrev_b32_e32 v5, 30, v56
	v_xor_b32_e32 v57, vcc_lo, v57
	v_cmp_gt_i64_e32 vcc, 0, v[4:5]
	v_not_b32_e32 v5, v5
	v_ashrrev_i32_e32 v5, 31, v5
	v_and_b32_e32 v57, exec_lo, v57
	v_xor_b32_e32 v209, vcc_hi, v5
	v_xor_b32_e32 v5, vcc_lo, v5
	v_and_b32_e32 v57, v57, v5
	v_lshlrev_b32_e32 v5, 29, v56
	v_cmp_gt_i64_e32 vcc, 0, v[4:5]
	v_not_b32_e32 v5, v5
	v_ashrrev_i32_e32 v5, 31, v5
	v_and_b32_e32 v208, v208, v209
	v_xor_b32_e32 v209, vcc_hi, v5
	v_xor_b32_e32 v5, vcc_lo, v5
	v_and_b32_e32 v57, v57, v5
	v_lshlrev_b32_e32 v5, 28, v56
	v_cmp_gt_i64_e32 vcc, 0, v[4:5]
	v_not_b32_e32 v5, v5
	v_ashrrev_i32_e32 v5, 31, v5
	v_and_b32_e32 v208, v208, v209
	;; [unrolled: 8-line block ×4, first 2 shown]
	v_xor_b32_e32 v209, vcc_hi, v5
	v_xor_b32_e32 v5, vcc_lo, v5
	v_and_b32_e32 v208, v208, v209
	v_and_b32_e32 v209, v57, v5
	v_lshlrev_b32_e32 v5, 25, v56
	v_cmp_gt_i64_e32 vcc, 0, v[4:5]
	v_not_b32_e32 v5, v5
	v_ashrrev_i32_e32 v5, 31, v5
	v_xor_b32_e32 v56, vcc_hi, v5
	v_xor_b32_e32 v5, vcc_lo, v5
	v_and_b32_e32 v57, v208, v56
	v_and_b32_e32 v56, v209, v5
	v_mbcnt_lo_u32_b32 v5, v56, 0
	v_mbcnt_hi_u32_b32 v209, v57, v5
	v_cmp_eq_u32_e32 vcc, 0, v209
	v_cmp_ne_u64_e64 s[40:41], 0, v[56:57]
	s_and_b64 s[42:43], s[40:41], vcc
	; wave barrier
	s_and_saveexec_b64 s[40:41], s[42:43]
	s_cbranch_execz .LBB914_164
; %bb.163:                              ;   in Loop: Header=BB914_102 Depth=2
	v_bcnt_u32_b32 v5, v56, 0
	v_bcnt_u32_b32 v5, v57, v5
	s_waitcnt lgkmcnt(0)
	v_add_u32_e32 v5, v207, v5
	ds_write_b32 v179, v5
.LBB914_164:                            ;   in Loop: Header=BB914_102 Depth=2
	s_or_b64 exec, exec, s[40:41]
	s_waitcnt vmcnt(3)
	v_xor_b32_e32 v208, 0x7fff, v174
	v_lshrrev_b32_sdwa v5, s99, v208 dst_sel:DWORD dst_unused:UNUSED_PAD src0_sel:DWORD src1_sel:WORD_0
	v_and_b32_e32 v56, s6, v5
	v_mul_u32_u24_e32 v5, 5, v56
	v_add_lshl_u32 v5, v5, v153, 2
	; wave barrier
	v_add_u32_e32 v174, 0x210, v5
	ds_read_b32 v210, v5 offset:528
	v_and_b32_e32 v5, 1, v56
	v_add_co_u32_e32 v57, vcc, -1, v5
	v_addc_co_u32_e64 v211, s[40:41], 0, -1, vcc
	v_cmp_ne_u32_e32 vcc, 0, v5
	v_xor_b32_e32 v5, vcc_hi, v211
	v_and_b32_e32 v211, exec_hi, v5
	v_lshlrev_b32_e32 v5, 30, v56
	v_xor_b32_e32 v57, vcc_lo, v57
	v_cmp_gt_i64_e32 vcc, 0, v[4:5]
	v_not_b32_e32 v5, v5
	v_ashrrev_i32_e32 v5, 31, v5
	v_and_b32_e32 v57, exec_lo, v57
	v_xor_b32_e32 v212, vcc_hi, v5
	v_xor_b32_e32 v5, vcc_lo, v5
	v_and_b32_e32 v57, v57, v5
	v_lshlrev_b32_e32 v5, 29, v56
	v_cmp_gt_i64_e32 vcc, 0, v[4:5]
	v_not_b32_e32 v5, v5
	v_ashrrev_i32_e32 v5, 31, v5
	v_and_b32_e32 v211, v211, v212
	v_xor_b32_e32 v212, vcc_hi, v5
	v_xor_b32_e32 v5, vcc_lo, v5
	v_and_b32_e32 v57, v57, v5
	v_lshlrev_b32_e32 v5, 28, v56
	v_cmp_gt_i64_e32 vcc, 0, v[4:5]
	v_not_b32_e32 v5, v5
	v_ashrrev_i32_e32 v5, 31, v5
	v_and_b32_e32 v211, v211, v212
	;; [unrolled: 8-line block ×4, first 2 shown]
	v_xor_b32_e32 v212, vcc_hi, v5
	v_xor_b32_e32 v5, vcc_lo, v5
	v_and_b32_e32 v211, v211, v212
	v_and_b32_e32 v212, v57, v5
	v_lshlrev_b32_e32 v5, 25, v56
	v_cmp_gt_i64_e32 vcc, 0, v[4:5]
	v_not_b32_e32 v5, v5
	v_ashrrev_i32_e32 v5, 31, v5
	v_xor_b32_e32 v56, vcc_hi, v5
	v_xor_b32_e32 v5, vcc_lo, v5
	v_and_b32_e32 v57, v211, v56
	v_and_b32_e32 v56, v212, v5
	v_mbcnt_lo_u32_b32 v5, v56, 0
	v_mbcnt_hi_u32_b32 v212, v57, v5
	v_cmp_eq_u32_e32 vcc, 0, v212
	v_cmp_ne_u64_e64 s[40:41], 0, v[56:57]
	s_and_b64 s[42:43], s[40:41], vcc
	; wave barrier
	s_and_saveexec_b64 s[40:41], s[42:43]
	s_cbranch_execz .LBB914_166
; %bb.165:                              ;   in Loop: Header=BB914_102 Depth=2
	v_bcnt_u32_b32 v5, v56, 0
	v_bcnt_u32_b32 v5, v57, v5
	s_waitcnt lgkmcnt(0)
	v_add_u32_e32 v5, v210, v5
	ds_write_b32 v174, v5
.LBB914_166:                            ;   in Loop: Header=BB914_102 Depth=2
	s_or_b64 exec, exec, s[40:41]
	s_waitcnt vmcnt(2)
	v_xor_b32_e32 v211, 0x7fff, v169
	v_lshrrev_b32_sdwa v5, s99, v211 dst_sel:DWORD dst_unused:UNUSED_PAD src0_sel:DWORD src1_sel:WORD_0
	v_and_b32_e32 v56, s6, v5
	v_mul_u32_u24_e32 v5, 5, v56
	v_add_lshl_u32 v5, v5, v153, 2
	; wave barrier
	v_add_u32_e32 v169, 0x210, v5
	ds_read_b32 v213, v5 offset:528
	v_and_b32_e32 v5, 1, v56
	v_add_co_u32_e32 v57, vcc, -1, v5
	v_addc_co_u32_e64 v214, s[40:41], 0, -1, vcc
	v_cmp_ne_u32_e32 vcc, 0, v5
	v_xor_b32_e32 v5, vcc_hi, v214
	v_and_b32_e32 v214, exec_hi, v5
	v_lshlrev_b32_e32 v5, 30, v56
	v_xor_b32_e32 v57, vcc_lo, v57
	v_cmp_gt_i64_e32 vcc, 0, v[4:5]
	v_not_b32_e32 v5, v5
	v_ashrrev_i32_e32 v5, 31, v5
	v_and_b32_e32 v57, exec_lo, v57
	v_xor_b32_e32 v215, vcc_hi, v5
	v_xor_b32_e32 v5, vcc_lo, v5
	v_and_b32_e32 v57, v57, v5
	v_lshlrev_b32_e32 v5, 29, v56
	v_cmp_gt_i64_e32 vcc, 0, v[4:5]
	v_not_b32_e32 v5, v5
	v_ashrrev_i32_e32 v5, 31, v5
	v_and_b32_e32 v214, v214, v215
	v_xor_b32_e32 v215, vcc_hi, v5
	v_xor_b32_e32 v5, vcc_lo, v5
	v_and_b32_e32 v57, v57, v5
	v_lshlrev_b32_e32 v5, 28, v56
	v_cmp_gt_i64_e32 vcc, 0, v[4:5]
	v_not_b32_e32 v5, v5
	v_ashrrev_i32_e32 v5, 31, v5
	v_and_b32_e32 v214, v214, v215
	;; [unrolled: 8-line block ×4, first 2 shown]
	v_xor_b32_e32 v215, vcc_hi, v5
	v_xor_b32_e32 v5, vcc_lo, v5
	v_and_b32_e32 v214, v214, v215
	v_and_b32_e32 v215, v57, v5
	v_lshlrev_b32_e32 v5, 25, v56
	v_cmp_gt_i64_e32 vcc, 0, v[4:5]
	v_not_b32_e32 v5, v5
	v_ashrrev_i32_e32 v5, 31, v5
	v_xor_b32_e32 v56, vcc_hi, v5
	v_xor_b32_e32 v5, vcc_lo, v5
	v_and_b32_e32 v57, v214, v56
	v_and_b32_e32 v56, v215, v5
	v_mbcnt_lo_u32_b32 v5, v56, 0
	v_mbcnt_hi_u32_b32 v215, v57, v5
	v_cmp_eq_u32_e32 vcc, 0, v215
	v_cmp_ne_u64_e64 s[40:41], 0, v[56:57]
	s_and_b64 s[42:43], s[40:41], vcc
	; wave barrier
	s_and_saveexec_b64 s[40:41], s[42:43]
	s_cbranch_execz .LBB914_168
; %bb.167:                              ;   in Loop: Header=BB914_102 Depth=2
	v_bcnt_u32_b32 v5, v56, 0
	v_bcnt_u32_b32 v5, v57, v5
	s_waitcnt lgkmcnt(0)
	v_add_u32_e32 v5, v213, v5
	ds_write_b32 v169, v5
.LBB914_168:                            ;   in Loop: Header=BB914_102 Depth=2
	s_or_b64 exec, exec, s[40:41]
	s_waitcnt vmcnt(0)
	v_xor_b32_e32 v214, 0x7fff, v164
	v_lshrrev_b32_sdwa v5, s99, v214 dst_sel:DWORD dst_unused:UNUSED_PAD src0_sel:DWORD src1_sel:WORD_0
	v_and_b32_e32 v56, s6, v5
	v_mul_u32_u24_e32 v5, 5, v56
	v_add_lshl_u32 v5, v5, v153, 2
	; wave barrier
	v_add_u32_e32 v164, 0x210, v5
	ds_read_b32 v216, v5 offset:528
	v_and_b32_e32 v5, 1, v56
	v_add_co_u32_e32 v57, vcc, -1, v5
	v_addc_co_u32_e64 v217, s[40:41], 0, -1, vcc
	v_cmp_ne_u32_e32 vcc, 0, v5
	v_xor_b32_e32 v5, vcc_hi, v217
	v_and_b32_e32 v217, exec_hi, v5
	v_lshlrev_b32_e32 v5, 30, v56
	v_xor_b32_e32 v57, vcc_lo, v57
	v_cmp_gt_i64_e32 vcc, 0, v[4:5]
	v_not_b32_e32 v5, v5
	v_ashrrev_i32_e32 v5, 31, v5
	v_and_b32_e32 v57, exec_lo, v57
	v_xor_b32_e32 v218, vcc_hi, v5
	v_xor_b32_e32 v5, vcc_lo, v5
	v_and_b32_e32 v57, v57, v5
	v_lshlrev_b32_e32 v5, 29, v56
	v_cmp_gt_i64_e32 vcc, 0, v[4:5]
	v_not_b32_e32 v5, v5
	v_ashrrev_i32_e32 v5, 31, v5
	v_and_b32_e32 v217, v217, v218
	v_xor_b32_e32 v218, vcc_hi, v5
	v_xor_b32_e32 v5, vcc_lo, v5
	v_and_b32_e32 v57, v57, v5
	v_lshlrev_b32_e32 v5, 28, v56
	v_cmp_gt_i64_e32 vcc, 0, v[4:5]
	v_not_b32_e32 v5, v5
	v_ashrrev_i32_e32 v5, 31, v5
	v_and_b32_e32 v217, v217, v218
	;; [unrolled: 8-line block ×4, first 2 shown]
	v_xor_b32_e32 v218, vcc_hi, v5
	v_xor_b32_e32 v5, vcc_lo, v5
	v_and_b32_e32 v217, v217, v218
	v_and_b32_e32 v218, v57, v5
	v_lshlrev_b32_e32 v5, 25, v56
	v_cmp_gt_i64_e32 vcc, 0, v[4:5]
	v_not_b32_e32 v5, v5
	v_ashrrev_i32_e32 v5, 31, v5
	v_xor_b32_e32 v56, vcc_hi, v5
	v_xor_b32_e32 v5, vcc_lo, v5
	v_and_b32_e32 v57, v217, v56
	v_and_b32_e32 v56, v218, v5
	v_mbcnt_lo_u32_b32 v5, v56, 0
	v_mbcnt_hi_u32_b32 v218, v57, v5
	v_cmp_eq_u32_e32 vcc, 0, v218
	v_cmp_ne_u64_e64 s[40:41], 0, v[56:57]
	s_and_b64 s[42:43], s[40:41], vcc
	; wave barrier
	s_and_saveexec_b64 s[40:41], s[42:43]
	s_cbranch_execz .LBB914_170
; %bb.169:                              ;   in Loop: Header=BB914_102 Depth=2
	v_bcnt_u32_b32 v5, v56, 0
	v_bcnt_u32_b32 v5, v57, v5
	s_waitcnt lgkmcnt(0)
	v_add_u32_e32 v5, v216, v5
	ds_write_b32 v164, v5
.LBB914_170:                            ;   in Loop: Header=BB914_102 Depth=2
	s_or_b64 exec, exec, s[40:41]
	v_xor_b32_e32 v217, 0x7fff, v159
	v_lshrrev_b32_sdwa v5, s99, v217 dst_sel:DWORD dst_unused:UNUSED_PAD src0_sel:DWORD src1_sel:WORD_0
	v_and_b32_e32 v56, s6, v5
	v_mul_u32_u24_e32 v5, 5, v56
	v_add_lshl_u32 v5, v5, v153, 2
	; wave barrier
	v_add_u32_e32 v159, 0x210, v5
	ds_read_b32 v219, v5 offset:528
	v_and_b32_e32 v5, 1, v56
	v_add_co_u32_e32 v57, vcc, -1, v5
	v_addc_co_u32_e64 v220, s[40:41], 0, -1, vcc
	v_cmp_ne_u32_e32 vcc, 0, v5
	v_xor_b32_e32 v5, vcc_hi, v220
	v_and_b32_e32 v220, exec_hi, v5
	v_lshlrev_b32_e32 v5, 30, v56
	v_xor_b32_e32 v57, vcc_lo, v57
	v_cmp_gt_i64_e32 vcc, 0, v[4:5]
	v_not_b32_e32 v5, v5
	v_ashrrev_i32_e32 v5, 31, v5
	v_and_b32_e32 v57, exec_lo, v57
	v_xor_b32_e32 v221, vcc_hi, v5
	v_xor_b32_e32 v5, vcc_lo, v5
	v_and_b32_e32 v57, v57, v5
	v_lshlrev_b32_e32 v5, 29, v56
	v_cmp_gt_i64_e32 vcc, 0, v[4:5]
	v_not_b32_e32 v5, v5
	v_ashrrev_i32_e32 v5, 31, v5
	v_and_b32_e32 v220, v220, v221
	v_xor_b32_e32 v221, vcc_hi, v5
	v_xor_b32_e32 v5, vcc_lo, v5
	v_and_b32_e32 v57, v57, v5
	v_lshlrev_b32_e32 v5, 28, v56
	v_cmp_gt_i64_e32 vcc, 0, v[4:5]
	v_not_b32_e32 v5, v5
	v_ashrrev_i32_e32 v5, 31, v5
	v_and_b32_e32 v220, v220, v221
	;; [unrolled: 8-line block ×4, first 2 shown]
	v_xor_b32_e32 v221, vcc_hi, v5
	v_xor_b32_e32 v5, vcc_lo, v5
	v_and_b32_e32 v220, v220, v221
	v_and_b32_e32 v221, v57, v5
	v_lshlrev_b32_e32 v5, 25, v56
	v_cmp_gt_i64_e32 vcc, 0, v[4:5]
	v_not_b32_e32 v5, v5
	v_ashrrev_i32_e32 v5, 31, v5
	v_xor_b32_e32 v56, vcc_hi, v5
	v_xor_b32_e32 v5, vcc_lo, v5
	v_and_b32_e32 v57, v220, v56
	v_and_b32_e32 v56, v221, v5
	v_mbcnt_lo_u32_b32 v5, v56, 0
	v_mbcnt_hi_u32_b32 v221, v57, v5
	v_cmp_eq_u32_e32 vcc, 0, v221
	v_cmp_ne_u64_e64 s[40:41], 0, v[56:57]
	s_and_b64 s[42:43], s[40:41], vcc
	; wave barrier
	s_and_saveexec_b64 s[40:41], s[42:43]
	s_cbranch_execz .LBB914_172
; %bb.171:                              ;   in Loop: Header=BB914_102 Depth=2
	v_bcnt_u32_b32 v5, v56, 0
	v_bcnt_u32_b32 v5, v57, v5
	s_waitcnt lgkmcnt(0)
	v_add_u32_e32 v5, v219, v5
	ds_write_b32 v159, v5
.LBB914_172:                            ;   in Loop: Header=BB914_102 Depth=2
	s_or_b64 exec, exec, s[40:41]
	v_xor_b32_e32 v220, 0x7fff, v166
	v_lshrrev_b32_sdwa v5, s99, v220 dst_sel:DWORD dst_unused:UNUSED_PAD src0_sel:DWORD src1_sel:WORD_0
	v_and_b32_e32 v56, s6, v5
	v_mul_u32_u24_e32 v5, 5, v56
	v_add_lshl_u32 v5, v5, v153, 2
	; wave barrier
	v_add_u32_e32 v166, 0x210, v5
	ds_read_b32 v222, v5 offset:528
	v_and_b32_e32 v5, 1, v56
	v_add_co_u32_e32 v57, vcc, -1, v5
	v_addc_co_u32_e64 v223, s[40:41], 0, -1, vcc
	v_cmp_ne_u32_e32 vcc, 0, v5
	v_xor_b32_e32 v5, vcc_hi, v223
	v_and_b32_e32 v223, exec_hi, v5
	v_lshlrev_b32_e32 v5, 30, v56
	v_xor_b32_e32 v57, vcc_lo, v57
	v_cmp_gt_i64_e32 vcc, 0, v[4:5]
	v_not_b32_e32 v5, v5
	v_ashrrev_i32_e32 v5, 31, v5
	v_and_b32_e32 v57, exec_lo, v57
	v_xor_b32_e32 v224, vcc_hi, v5
	v_xor_b32_e32 v5, vcc_lo, v5
	v_and_b32_e32 v57, v57, v5
	v_lshlrev_b32_e32 v5, 29, v56
	v_cmp_gt_i64_e32 vcc, 0, v[4:5]
	v_not_b32_e32 v5, v5
	v_ashrrev_i32_e32 v5, 31, v5
	v_and_b32_e32 v223, v223, v224
	v_xor_b32_e32 v224, vcc_hi, v5
	v_xor_b32_e32 v5, vcc_lo, v5
	v_and_b32_e32 v57, v57, v5
	v_lshlrev_b32_e32 v5, 28, v56
	v_cmp_gt_i64_e32 vcc, 0, v[4:5]
	v_not_b32_e32 v5, v5
	v_ashrrev_i32_e32 v5, 31, v5
	v_and_b32_e32 v223, v223, v224
	;; [unrolled: 8-line block ×4, first 2 shown]
	v_xor_b32_e32 v224, vcc_hi, v5
	v_xor_b32_e32 v5, vcc_lo, v5
	v_and_b32_e32 v223, v223, v224
	v_and_b32_e32 v224, v57, v5
	v_lshlrev_b32_e32 v5, 25, v56
	v_cmp_gt_i64_e32 vcc, 0, v[4:5]
	v_not_b32_e32 v5, v5
	v_ashrrev_i32_e32 v5, 31, v5
	v_xor_b32_e32 v56, vcc_hi, v5
	v_xor_b32_e32 v5, vcc_lo, v5
	v_and_b32_e32 v57, v223, v56
	v_and_b32_e32 v56, v224, v5
	v_mbcnt_lo_u32_b32 v5, v56, 0
	v_mbcnt_hi_u32_b32 v5, v57, v5
	v_cmp_eq_u32_e32 vcc, 0, v5
	v_cmp_ne_u64_e64 s[40:41], 0, v[56:57]
	s_and_b64 s[42:43], s[40:41], vcc
	; wave barrier
	s_and_saveexec_b64 s[40:41], s[42:43]
	s_cbranch_execz .LBB914_174
; %bb.173:                              ;   in Loop: Header=BB914_102 Depth=2
	v_bcnt_u32_b32 v56, v56, 0
	v_bcnt_u32_b32 v56, v57, v56
	s_waitcnt lgkmcnt(0)
	v_add_u32_e32 v56, v222, v56
	ds_write_b32 v166, v56
.LBB914_174:                            ;   in Loop: Header=BB914_102 Depth=2
	s_or_b64 exec, exec, s[40:41]
	; wave barrier
	s_waitcnt lgkmcnt(0)
	s_barrier
	ds_read_b32 v223, v58 offset:528
	ds_read2_b32 v[56:57], v67 offset0:1 offset1:2
	s_waitcnt lgkmcnt(0)
	v_add3_u32 v57, v56, v223, v57
	s_nop 1
	v_mov_b32_dpp v224, v57 row_shr:1 row_mask:0xf bank_mask:0xf
	v_cndmask_b32_e64 v224, v224, 0, s[20:21]
	v_add_u32_e32 v57, v224, v57
	s_nop 1
	v_mov_b32_dpp v224, v57 row_shr:2 row_mask:0xf bank_mask:0xf
	v_cndmask_b32_e64 v224, 0, v224, s[22:23]
	v_add_u32_e32 v57, v57, v224
	;; [unrolled: 4-line block ×4, first 2 shown]
	s_nop 1
	v_mov_b32_dpp v224, v57 row_bcast:15 row_mask:0xf bank_mask:0xf
	v_cndmask_b32_e64 v224, v224, 0, s[28:29]
	v_add_u32_e32 v57, v57, v224
	s_nop 1
	v_mov_b32_dpp v224, v57 row_bcast:31 row_mask:0xf bank_mask:0xf
	v_cndmask_b32_e64 v224, 0, v224, s[30:31]
	v_add_u32_e32 v57, v57, v224
	s_and_saveexec_b64 s[40:41], s[12:13]
	s_cbranch_execz .LBB914_176
; %bb.175:                              ;   in Loop: Header=BB914_102 Depth=2
	ds_write_b32 v60, v57 offset:512
.LBB914_176:                            ;   in Loop: Header=BB914_102 Depth=2
	s_or_b64 exec, exec, s[40:41]
	s_waitcnt lgkmcnt(0)
	s_barrier
	s_and_saveexec_b64 s[40:41], s[14:15]
	s_cbranch_execz .LBB914_178
; %bb.177:                              ;   in Loop: Header=BB914_102 Depth=2
	ds_read_b32 v224, v69 offset:512
	s_waitcnt lgkmcnt(0)
	s_nop 0
	v_mov_b32_dpp v225, v224 row_shr:1 row_mask:0xf bank_mask:0xf
	v_cndmask_b32_e64 v225, v225, 0, s[36:37]
	v_add_u32_e32 v224, v225, v224
	s_nop 1
	v_mov_b32_dpp v225, v224 row_shr:2 row_mask:0xf bank_mask:0xf
	v_cndmask_b32_e64 v225, 0, v225, s[38:39]
	v_add_u32_e32 v224, v224, v225
	ds_write_b32 v69, v224 offset:512
.LBB914_178:                            ;   in Loop: Header=BB914_102 Depth=2
	s_or_b64 exec, exec, s[40:41]
	v_mov_b32_e32 v224, 0
	s_waitcnt lgkmcnt(0)
	s_barrier
	s_and_saveexec_b64 s[40:41], s[10:11]
	s_cbranch_execz .LBB914_180
; %bb.179:                              ;   in Loop: Header=BB914_102 Depth=2
	ds_read_b32 v224, v60 offset:508
.LBB914_180:                            ;   in Loop: Header=BB914_102 Depth=2
	s_or_b64 exec, exec, s[40:41]
	s_waitcnt lgkmcnt(0)
	v_add_u32_e32 v57, v224, v57
	ds_bpermute_b32 v57, v129, v57
	s_waitcnt lgkmcnt(0)
	v_cndmask_b32_e64 v57, v57, v224, s[34:35]
	v_cndmask_b32_e64 v57, v57, 0, s[16:17]
	v_add_u32_e32 v223, v57, v223
	v_add_u32_e32 v56, v223, v56
	ds_write_b32 v58, v57 offset:528
	ds_write2_b32 v67, v223, v56 offset0:1 offset1:2
	s_waitcnt lgkmcnt(0)
	s_barrier
	ds_read_b32 v56, v158
	ds_read_b32 v57, v163
	;; [unrolled: 1-line block ×17, first 2 shown]
	s_and_saveexec_b64 s[40:41], s[4:5]
	s_cbranch_execz .LBB914_184
; %bb.181:                              ;   in Loop: Header=BB914_102 Depth=2
	ds_read_b32 v154, v70 offset:528
	v_mov_b32_e32 v155, 0x1100
	s_and_saveexec_b64 s[42:43], s[18:19]
	s_cbranch_execz .LBB914_183
; %bb.182:                              ;   in Loop: Header=BB914_102 Depth=2
	ds_read_b32 v155, v70 offset:548
.LBB914_183:                            ;   in Loop: Header=BB914_102 Depth=2
	s_or_b64 exec, exec, s[42:43]
	s_waitcnt lgkmcnt(0)
	v_sub_u32_e32 v155, v155, v154
.LBB914_184:                            ;   in Loop: Header=BB914_102 Depth=2
	s_or_b64 exec, exec, s[40:41]
	s_waitcnt lgkmcnt(0)
	s_barrier
	s_and_saveexec_b64 s[40:41], s[4:5]
	s_cbranch_execz .LBB914_186
; %bb.185:                              ;   in Loop: Header=BB914_102 Depth=2
	ds_read_b32 v159, v3
	s_waitcnt lgkmcnt(0)
	v_sub_u32_e32 v159, v159, v154
	ds_write_b32 v3, v159
.LBB914_186:                            ;   in Loop: Header=BB914_102 Depth=2
	s_or_b64 exec, exec, s[40:41]
	v_add_u32_e32 v179, v56, v161
	v_add3_u32 v175, v167, v162, v57
	v_lshlrev_b32_e32 v56, 1, v179
	v_add3_u32 v174, v172, v168, v158
	ds_write_b16 v56, v157 offset:512
	v_lshlrev_b32_e32 v56, 1, v175
	v_add3_u32 v173, v177, v173, v163
	ds_write_b16 v56, v160 offset:512
	;; [unrolled: 3-line block ×15, first 2 shown]
	v_lshlrev_b32_e32 v56, 1, v158
	ds_write_b16 v56, v217 offset:512
	v_lshlrev_b32_e32 v56, 1, v5
	v_cmp_lt_u32_e64 s[40:41], v2, v156
	ds_write_b16 v56, v220 offset:512
	s_waitcnt lgkmcnt(0)
	s_barrier
	s_and_saveexec_b64 s[42:43], s[40:41]
	s_cbranch_execz .LBB914_238
; %bb.187:                              ;   in Loop: Header=BB914_102 Depth=2
	v_add_u32_e32 v56, v70, v75
	ds_read_u16 v56, v56 offset:512
	v_mov_b32_e32 v160, s79
	s_waitcnt lgkmcnt(0)
	v_lshrrev_b32_sdwa v57, s99, v56 dst_sel:DWORD dst_unused:UNUSED_PAD src0_sel:DWORD src1_sel:WORD_0
	v_and_b32_e32 v57, s6, v57
	v_lshlrev_b32_e32 v57, 2, v57
	ds_read_b32 v157, v57
	v_mov_b32_e32 v57, v4
	v_xor_b32_e32 v165, 0x7fff, v56
	s_waitcnt lgkmcnt(0)
	v_add_u32_e32 v56, v157, v2
	v_lshlrev_b64 v[56:57], 1, v[56:57]
	v_add_co_u32_e32 v56, vcc, s78, v56
	v_addc_co_u32_e32 v57, vcc, v160, v57, vcc
	global_store_short v[56:57], v165, off
	s_or_b64 exec, exec, s[42:43]
	v_cmp_lt_u32_e64 s[42:43], v7, v156
	s_and_saveexec_b64 s[44:45], s[42:43]
	s_cbranch_execnz .LBB914_239
.LBB914_188:                            ;   in Loop: Header=BB914_102 Depth=2
	s_or_b64 exec, exec, s[44:45]
	v_cmp_lt_u32_e64 s[44:45], v13, v156
	s_and_saveexec_b64 s[46:47], s[44:45]
	s_cbranch_execz .LBB914_240
.LBB914_189:                            ;   in Loop: Header=BB914_102 Depth=2
	ds_read_u16 v56, v76 offset:1024
	v_mov_b32_e32 v160, s79
	s_waitcnt lgkmcnt(0)
	v_lshrrev_b32_sdwa v57, s99, v56 dst_sel:DWORD dst_unused:UNUSED_PAD src0_sel:DWORD src1_sel:WORD_0
	v_and_b32_e32 v57, s6, v57
	v_lshlrev_b32_e32 v57, 2, v57
	ds_read_b32 v157, v57
	v_mov_b32_e32 v57, v4
	v_xor_b32_e32 v165, 0x7fff, v56
	s_waitcnt lgkmcnt(0)
	v_add_u32_e32 v56, v157, v13
	v_lshlrev_b64 v[56:57], 1, v[56:57]
	v_add_co_u32_e32 v56, vcc, s78, v56
	v_addc_co_u32_e32 v57, vcc, v160, v57, vcc
	global_store_short v[56:57], v165, off
	s_or_b64 exec, exec, s[46:47]
	v_cmp_lt_u32_e64 s[46:47], v15, v156
	s_and_saveexec_b64 s[48:49], s[46:47]
	s_cbranch_execnz .LBB914_241
.LBB914_190:                            ;   in Loop: Header=BB914_102 Depth=2
	s_or_b64 exec, exec, s[48:49]
	v_cmp_lt_u32_e64 s[48:49], v17, v156
	s_and_saveexec_b64 s[50:51], s[48:49]
	s_cbranch_execz .LBB914_242
.LBB914_191:                            ;   in Loop: Header=BB914_102 Depth=2
	ds_read_u16 v56, v76 offset:2048
	v_mov_b32_e32 v160, s79
	s_waitcnt lgkmcnt(0)
	v_lshrrev_b32_sdwa v57, s99, v56 dst_sel:DWORD dst_unused:UNUSED_PAD src0_sel:DWORD src1_sel:WORD_0
	v_and_b32_e32 v57, s6, v57
	v_lshlrev_b32_e32 v57, 2, v57
	ds_read_b32 v157, v57
	v_mov_b32_e32 v57, v4
	v_xor_b32_e32 v165, 0x7fff, v56
	s_waitcnt lgkmcnt(0)
	v_add_u32_e32 v56, v157, v17
	v_lshlrev_b64 v[56:57], 1, v[56:57]
	v_add_co_u32_e32 v56, vcc, s78, v56
	v_addc_co_u32_e32 v57, vcc, v160, v57, vcc
	global_store_short v[56:57], v165, off
	s_or_b64 exec, exec, s[50:51]
	v_cmp_lt_u32_e64 s[50:51], v19, v156
	s_and_saveexec_b64 s[52:53], s[50:51]
	s_cbranch_execnz .LBB914_243
.LBB914_192:                            ;   in Loop: Header=BB914_102 Depth=2
	s_or_b64 exec, exec, s[52:53]
	v_cmp_lt_u32_e64 s[52:53], v21, v156
	s_and_saveexec_b64 s[54:55], s[52:53]
	s_cbranch_execz .LBB914_244
.LBB914_193:                            ;   in Loop: Header=BB914_102 Depth=2
	ds_read_u16 v56, v76 offset:3072
	v_mov_b32_e32 v160, s79
	s_waitcnt lgkmcnt(0)
	v_lshrrev_b32_sdwa v57, s99, v56 dst_sel:DWORD dst_unused:UNUSED_PAD src0_sel:DWORD src1_sel:WORD_0
	v_and_b32_e32 v57, s6, v57
	v_lshlrev_b32_e32 v57, 2, v57
	ds_read_b32 v157, v57
	v_mov_b32_e32 v57, v4
	v_xor_b32_e32 v165, 0x7fff, v56
	s_waitcnt lgkmcnt(0)
	v_add_u32_e32 v56, v157, v21
	v_lshlrev_b64 v[56:57], 1, v[56:57]
	v_add_co_u32_e32 v56, vcc, s78, v56
	v_addc_co_u32_e32 v57, vcc, v160, v57, vcc
	global_store_short v[56:57], v165, off
	s_or_b64 exec, exec, s[54:55]
	v_cmp_lt_u32_e64 s[54:55], v23, v156
	s_and_saveexec_b64 s[56:57], s[54:55]
	s_cbranch_execnz .LBB914_245
.LBB914_194:                            ;   in Loop: Header=BB914_102 Depth=2
	s_or_b64 exec, exec, s[56:57]
	v_cmp_lt_u32_e64 s[56:57], v6, v156
	s_and_saveexec_b64 s[58:59], s[56:57]
	s_cbranch_execz .LBB914_246
.LBB914_195:                            ;   in Loop: Header=BB914_102 Depth=2
	ds_read_u16 v56, v76 offset:4096
	v_mov_b32_e32 v160, s79
	s_waitcnt lgkmcnt(0)
	v_lshrrev_b32_sdwa v57, s99, v56 dst_sel:DWORD dst_unused:UNUSED_PAD src0_sel:DWORD src1_sel:WORD_0
	v_and_b32_e32 v57, s6, v57
	v_lshlrev_b32_e32 v57, 2, v57
	ds_read_b32 v157, v57
	v_mov_b32_e32 v57, v4
	v_xor_b32_e32 v165, 0x7fff, v56
	s_waitcnt lgkmcnt(0)
	v_add_u32_e32 v56, v157, v6
	v_lshlrev_b64 v[56:57], 1, v[56:57]
	v_add_co_u32_e32 v56, vcc, s78, v56
	v_addc_co_u32_e32 v57, vcc, v160, v57, vcc
	global_store_short v[56:57], v165, off
	s_or_b64 exec, exec, s[58:59]
	v_cmp_lt_u32_e64 s[58:59], v8, v156
	s_and_saveexec_b64 s[60:61], s[58:59]
	s_cbranch_execnz .LBB914_247
.LBB914_196:                            ;   in Loop: Header=BB914_102 Depth=2
	s_or_b64 exec, exec, s[60:61]
	v_cmp_lt_u32_e64 s[60:61], v10, v156
	s_and_saveexec_b64 s[62:63], s[60:61]
	s_cbranch_execz .LBB914_248
.LBB914_197:                            ;   in Loop: Header=BB914_102 Depth=2
	ds_read_u16 v56, v76 offset:5120
	v_mov_b32_e32 v160, s79
	s_waitcnt lgkmcnt(0)
	v_lshrrev_b32_sdwa v57, s99, v56 dst_sel:DWORD dst_unused:UNUSED_PAD src0_sel:DWORD src1_sel:WORD_0
	v_and_b32_e32 v57, s6, v57
	v_lshlrev_b32_e32 v57, 2, v57
	ds_read_b32 v157, v57
	v_mov_b32_e32 v57, v4
	v_xor_b32_e32 v165, 0x7fff, v56
	s_waitcnt lgkmcnt(0)
	v_add_u32_e32 v56, v157, v10
	v_lshlrev_b64 v[56:57], 1, v[56:57]
	v_add_co_u32_e32 v56, vcc, s78, v56
	v_addc_co_u32_e32 v57, vcc, v160, v57, vcc
	global_store_short v[56:57], v165, off
	s_or_b64 exec, exec, s[62:63]
	v_cmp_lt_u32_e64 s[62:63], v12, v156
	s_and_saveexec_b64 s[64:65], s[62:63]
	s_cbranch_execnz .LBB914_249
.LBB914_198:                            ;   in Loop: Header=BB914_102 Depth=2
	s_or_b64 exec, exec, s[64:65]
	v_cmp_lt_u32_e64 s[64:65], v14, v156
	s_and_saveexec_b64 s[66:67], s[64:65]
	s_cbranch_execz .LBB914_250
.LBB914_199:                            ;   in Loop: Header=BB914_102 Depth=2
	ds_read_u16 v56, v76 offset:6144
	v_mov_b32_e32 v160, s79
	s_waitcnt lgkmcnt(0)
	v_lshrrev_b32_sdwa v57, s99, v56 dst_sel:DWORD dst_unused:UNUSED_PAD src0_sel:DWORD src1_sel:WORD_0
	v_and_b32_e32 v57, s6, v57
	v_lshlrev_b32_e32 v57, 2, v57
	ds_read_b32 v157, v57
	v_mov_b32_e32 v57, v4
	v_xor_b32_e32 v165, 0x7fff, v56
	s_waitcnt lgkmcnt(0)
	v_add_u32_e32 v56, v157, v14
	v_lshlrev_b64 v[56:57], 1, v[56:57]
	v_add_co_u32_e32 v56, vcc, s78, v56
	v_addc_co_u32_e32 v57, vcc, v160, v57, vcc
	global_store_short v[56:57], v165, off
	s_or_b64 exec, exec, s[66:67]
	v_cmp_lt_u32_e64 s[66:67], v16, v156
	s_and_saveexec_b64 s[68:69], s[66:67]
	s_cbranch_execnz .LBB914_251
.LBB914_200:                            ;   in Loop: Header=BB914_102 Depth=2
	s_or_b64 exec, exec, s[68:69]
	v_cmp_lt_u32_e64 s[68:69], v18, v156
	s_and_saveexec_b64 s[70:71], s[68:69]
	s_cbranch_execz .LBB914_252
.LBB914_201:                            ;   in Loop: Header=BB914_102 Depth=2
	ds_read_u16 v56, v76 offset:7168
	v_mov_b32_e32 v160, s79
	s_waitcnt lgkmcnt(0)
	v_lshrrev_b32_sdwa v57, s99, v56 dst_sel:DWORD dst_unused:UNUSED_PAD src0_sel:DWORD src1_sel:WORD_0
	v_and_b32_e32 v57, s6, v57
	v_lshlrev_b32_e32 v57, 2, v57
	ds_read_b32 v157, v57
	v_mov_b32_e32 v57, v4
	v_xor_b32_e32 v165, 0x7fff, v56
	s_waitcnt lgkmcnt(0)
	v_add_u32_e32 v56, v157, v18
	v_lshlrev_b64 v[56:57], 1, v[56:57]
	v_add_co_u32_e32 v56, vcc, s78, v56
	v_addc_co_u32_e32 v57, vcc, v160, v57, vcc
	global_store_short v[56:57], v165, off
	s_or_b64 exec, exec, s[70:71]
	v_cmp_lt_u32_e64 s[70:71], v20, v156
	s_and_saveexec_b64 s[72:73], s[70:71]
	s_cbranch_execnz .LBB914_253
.LBB914_202:                            ;   in Loop: Header=BB914_102 Depth=2
	s_or_b64 exec, exec, s[72:73]
	v_cmp_lt_u32_e64 s[72:73], v22, v156
	s_and_saveexec_b64 s[82:83], s[72:73]
	s_cbranch_execz .LBB914_204
.LBB914_203:                            ;   in Loop: Header=BB914_102 Depth=2
	ds_read_u16 v56, v76 offset:8192
	v_mov_b32_e32 v160, s79
	s_waitcnt lgkmcnt(0)
	v_lshrrev_b32_sdwa v57, s99, v56 dst_sel:DWORD dst_unused:UNUSED_PAD src0_sel:DWORD src1_sel:WORD_0
	v_and_b32_e32 v57, s6, v57
	v_lshlrev_b32_e32 v57, 2, v57
	ds_read_b32 v157, v57
	v_mov_b32_e32 v57, v4
	v_xor_b32_e32 v165, 0x7fff, v56
	s_waitcnt lgkmcnt(0)
	v_add_u32_e32 v56, v157, v22
	v_lshlrev_b64 v[56:57], 1, v[56:57]
	v_add_co_u32_e32 v56, vcc, s78, v56
	v_addc_co_u32_e32 v57, vcc, v160, v57, vcc
	global_store_short v[56:57], v165, off
.LBB914_204:                            ;   in Loop: Header=BB914_102 Depth=2
	s_or_b64 exec, exec, s[82:83]
	s_lshl_b64 s[82:83], s[94:95], 3
	v_mov_b32_e32 v57, s83
	v_add_co_u32_e32 v56, vcc, s82, v130
	v_addc_co_u32_e32 v57, vcc, v131, v57, vcc
	v_cmp_lt_u32_e32 vcc, v111, v156
	s_and_saveexec_b64 s[82:83], vcc
	s_xor_b64 s[82:83], exec, s[82:83]
	s_cbranch_execz .LBB914_254
; %bb.205:                              ;   in Loop: Header=BB914_102 Depth=2
	global_load_dwordx2 v[54:55], v[56:57], off
	s_or_b64 exec, exec, s[82:83]
	v_cmp_lt_u32_e32 vcc, v112, v156
	s_and_saveexec_b64 s[82:83], vcc
	s_cbranch_execnz .LBB914_255
.LBB914_206:                            ;   in Loop: Header=BB914_102 Depth=2
	s_or_b64 exec, exec, s[82:83]
	v_cmp_lt_u32_e32 vcc, v113, v156
	s_and_saveexec_b64 s[82:83], vcc
	s_cbranch_execz .LBB914_256
.LBB914_207:                            ;   in Loop: Header=BB914_102 Depth=2
	global_load_dwordx2 v[50:51], v[56:57], off offset:1024
	s_or_b64 exec, exec, s[82:83]
	v_cmp_lt_u32_e32 vcc, v114, v156
	s_and_saveexec_b64 s[82:83], vcc
	s_cbranch_execnz .LBB914_257
.LBB914_208:                            ;   in Loop: Header=BB914_102 Depth=2
	s_or_b64 exec, exec, s[82:83]
	v_cmp_lt_u32_e32 vcc, v115, v156
	s_and_saveexec_b64 s[82:83], vcc
	s_cbranch_execz .LBB914_258
.LBB914_209:                            ;   in Loop: Header=BB914_102 Depth=2
	global_load_dwordx2 v[42:43], v[56:57], off offset:2048
	s_or_b64 exec, exec, s[82:83]
	v_cmp_lt_u32_e32 vcc, v116, v156
	s_and_saveexec_b64 s[82:83], vcc
	s_cbranch_execnz .LBB914_259
.LBB914_210:                            ;   in Loop: Header=BB914_102 Depth=2
	s_or_b64 exec, exec, s[82:83]
	v_cmp_lt_u32_e32 vcc, v117, v156
	s_and_saveexec_b64 s[82:83], vcc
	s_cbranch_execz .LBB914_260
.LBB914_211:                            ;   in Loop: Header=BB914_102 Depth=2
	global_load_dwordx2 v[34:35], v[56:57], off offset:3072
	s_or_b64 exec, exec, s[82:83]
	v_cmp_lt_u32_e32 vcc, v118, v156
	s_and_saveexec_b64 s[82:83], vcc
	s_cbranch_execnz .LBB914_261
.LBB914_212:                            ;   in Loop: Header=BB914_102 Depth=2
	s_or_b64 exec, exec, s[82:83]
	v_cmp_lt_u32_e32 vcc, v119, v156
	s_and_saveexec_b64 s[82:83], vcc
	s_cbranch_execz .LBB914_262
.LBB914_213:                            ;   in Loop: Header=BB914_102 Depth=2
	v_add_co_u32_e32 v48, vcc, 0x1000, v56
	v_addc_co_u32_e32 v49, vcc, 0, v57, vcc
	global_load_dwordx2 v[48:49], v[48:49], off
	s_or_b64 exec, exec, s[82:83]
	v_cmp_lt_u32_e32 vcc, v120, v156
	s_and_saveexec_b64 s[82:83], vcc
	s_cbranch_execnz .LBB914_263
.LBB914_214:                            ;   in Loop: Header=BB914_102 Depth=2
	s_or_b64 exec, exec, s[82:83]
	v_cmp_lt_u32_e32 vcc, v121, v156
	s_and_saveexec_b64 s[82:83], vcc
	s_cbranch_execz .LBB914_264
.LBB914_215:                            ;   in Loop: Header=BB914_102 Depth=2
	v_add_co_u32_e32 v40, vcc, 0x1000, v56
	v_addc_co_u32_e32 v41, vcc, 0, v57, vcc
	global_load_dwordx2 v[40:41], v[40:41], off offset:1024
	s_or_b64 exec, exec, s[82:83]
	v_cmp_lt_u32_e32 vcc, v122, v156
	s_and_saveexec_b64 s[82:83], vcc
	s_cbranch_execnz .LBB914_265
.LBB914_216:                            ;   in Loop: Header=BB914_102 Depth=2
	s_or_b64 exec, exec, s[82:83]
	v_cmp_lt_u32_e32 vcc, v123, v156
	s_and_saveexec_b64 s[82:83], vcc
	s_cbranch_execz .LBB914_266
.LBB914_217:                            ;   in Loop: Header=BB914_102 Depth=2
	v_add_co_u32_e32 v32, vcc, 0x1000, v56
	v_addc_co_u32_e32 v33, vcc, 0, v57, vcc
	global_load_dwordx2 v[32:33], v[32:33], off offset:2048
	s_or_b64 exec, exec, s[82:83]
	v_cmp_lt_u32_e32 vcc, v124, v156
	s_and_saveexec_b64 s[82:83], vcc
	s_cbranch_execnz .LBB914_267
.LBB914_218:                            ;   in Loop: Header=BB914_102 Depth=2
	s_or_b64 exec, exec, s[82:83]
	v_cmp_lt_u32_e32 vcc, v125, v156
	s_and_saveexec_b64 s[82:83], vcc
	s_cbranch_execz .LBB914_268
.LBB914_219:                            ;   in Loop: Header=BB914_102 Depth=2
	v_add_co_u32_e32 v26, vcc, 0x1000, v56
	v_addc_co_u32_e32 v27, vcc, 0, v57, vcc
	global_load_dwordx2 v[26:27], v[26:27], off offset:3072
	s_or_b64 exec, exec, s[82:83]
	v_cmp_lt_u32_e32 vcc, v126, v156
	s_and_saveexec_b64 s[82:83], vcc
	s_cbranch_execnz .LBB914_269
.LBB914_220:                            ;   in Loop: Header=BB914_102 Depth=2
	s_or_b64 exec, exec, s[82:83]
	v_cmp_lt_u32_e32 vcc, v127, v156
	s_and_saveexec_b64 s[82:83], vcc
	s_cbranch_execz .LBB914_270
.LBB914_221:                            ;   in Loop: Header=BB914_102 Depth=2
	v_add_co_u32_e32 v0, vcc, 0x2000, v56
	v_addc_co_u32_e32 v1, vcc, 0, v57, vcc
	global_load_dwordx2 v[0:1], v[0:1], off
	s_or_b64 exec, exec, s[82:83]
	s_and_saveexec_b64 s[82:83], s[40:41]
	s_cbranch_execnz .LBB914_271
.LBB914_222:                            ;   in Loop: Header=BB914_102 Depth=2
	s_or_b64 exec, exec, s[82:83]
	s_and_saveexec_b64 s[82:83], s[42:43]
	s_cbranch_execz .LBB914_272
.LBB914_223:                            ;   in Loop: Header=BB914_102 Depth=2
	ds_read_u16 v56, v76 offset:512
	s_waitcnt lgkmcnt(0)
	v_lshrrev_b32_e32 v56, s99, v56
	v_and_b32_e32 v150, s6, v56
	s_or_b64 exec, exec, s[82:83]
	s_and_saveexec_b64 s[82:83], s[44:45]
	s_cbranch_execnz .LBB914_273
.LBB914_224:                            ;   in Loop: Header=BB914_102 Depth=2
	s_or_b64 exec, exec, s[82:83]
	s_and_saveexec_b64 s[82:83], s[46:47]
	s_cbranch_execz .LBB914_274
.LBB914_225:                            ;   in Loop: Header=BB914_102 Depth=2
	ds_read_u16 v56, v76 offset:1536
	s_waitcnt lgkmcnt(0)
	v_lshrrev_b32_e32 v56, s99, v56
	v_and_b32_e32 v147, s6, v56
	s_or_b64 exec, exec, s[82:83]
	s_and_saveexec_b64 s[82:83], s[48:49]
	s_cbranch_execnz .LBB914_275
.LBB914_226:                            ;   in Loop: Header=BB914_102 Depth=2
	s_or_b64 exec, exec, s[82:83]
	s_and_saveexec_b64 s[82:83], s[50:51]
	s_cbranch_execz .LBB914_276
.LBB914_227:                            ;   in Loop: Header=BB914_102 Depth=2
	ds_read_u16 v56, v76 offset:2560
	s_waitcnt lgkmcnt(0)
	v_lshrrev_b32_e32 v56, s99, v56
	v_and_b32_e32 v145, s6, v56
	s_or_b64 exec, exec, s[82:83]
	s_and_saveexec_b64 s[82:83], s[52:53]
	s_cbranch_execnz .LBB914_277
.LBB914_228:                            ;   in Loop: Header=BB914_102 Depth=2
	s_or_b64 exec, exec, s[82:83]
	s_and_saveexec_b64 s[82:83], s[54:55]
	s_cbranch_execz .LBB914_278
.LBB914_229:                            ;   in Loop: Header=BB914_102 Depth=2
	ds_read_u16 v56, v76 offset:3584
	s_waitcnt lgkmcnt(0)
	v_lshrrev_b32_e32 v56, s99, v56
	v_and_b32_e32 v143, s6, v56
	s_or_b64 exec, exec, s[82:83]
	s_and_saveexec_b64 s[82:83], s[56:57]
	s_cbranch_execnz .LBB914_279
.LBB914_230:                            ;   in Loop: Header=BB914_102 Depth=2
	s_or_b64 exec, exec, s[82:83]
	s_and_saveexec_b64 s[82:83], s[58:59]
	s_cbranch_execz .LBB914_280
.LBB914_231:                            ;   in Loop: Header=BB914_102 Depth=2
	ds_read_u16 v56, v76 offset:4608
	s_waitcnt lgkmcnt(0)
	v_lshrrev_b32_e32 v56, s99, v56
	v_and_b32_e32 v141, s6, v56
	s_or_b64 exec, exec, s[82:83]
	s_and_saveexec_b64 s[82:83], s[60:61]
	s_cbranch_execnz .LBB914_281
.LBB914_232:                            ;   in Loop: Header=BB914_102 Depth=2
	s_or_b64 exec, exec, s[82:83]
	s_and_saveexec_b64 s[82:83], s[62:63]
	s_cbranch_execz .LBB914_282
.LBB914_233:                            ;   in Loop: Header=BB914_102 Depth=2
	ds_read_u16 v56, v76 offset:5632
	s_waitcnt lgkmcnt(0)
	v_lshrrev_b32_e32 v56, s99, v56
	v_and_b32_e32 v139, s6, v56
	s_or_b64 exec, exec, s[82:83]
	s_and_saveexec_b64 s[82:83], s[64:65]
	s_cbranch_execnz .LBB914_283
.LBB914_234:                            ;   in Loop: Header=BB914_102 Depth=2
	s_or_b64 exec, exec, s[82:83]
	s_and_saveexec_b64 s[82:83], s[66:67]
	s_cbranch_execz .LBB914_284
.LBB914_235:                            ;   in Loop: Header=BB914_102 Depth=2
	ds_read_u16 v56, v76 offset:6656
	s_waitcnt lgkmcnt(0)
	v_lshrrev_b32_e32 v56, s99, v56
	v_and_b32_e32 v137, s6, v56
	s_or_b64 exec, exec, s[82:83]
	s_and_saveexec_b64 s[82:83], s[68:69]
	s_cbranch_execnz .LBB914_285
.LBB914_236:                            ;   in Loop: Header=BB914_102 Depth=2
	s_or_b64 exec, exec, s[82:83]
	s_and_saveexec_b64 s[82:83], s[70:71]
	s_cbranch_execz .LBB914_286
.LBB914_237:                            ;   in Loop: Header=BB914_102 Depth=2
	ds_read_u16 v56, v76 offset:7680
	s_waitcnt lgkmcnt(0)
	v_lshrrev_b32_e32 v56, s99, v56
	v_and_b32_e32 v135, s6, v56
	s_or_b64 exec, exec, s[82:83]
	s_and_saveexec_b64 s[82:83], s[72:73]
	s_cbranch_execnz .LBB914_287
	s_branch .LBB914_288
.LBB914_238:                            ;   in Loop: Header=BB914_102 Depth=2
	s_or_b64 exec, exec, s[42:43]
	v_cmp_lt_u32_e64 s[42:43], v7, v156
	s_and_saveexec_b64 s[44:45], s[42:43]
	s_cbranch_execz .LBB914_188
.LBB914_239:                            ;   in Loop: Header=BB914_102 Depth=2
	ds_read_u16 v56, v76 offset:512
	v_mov_b32_e32 v160, s79
	s_waitcnt lgkmcnt(0)
	v_lshrrev_b32_sdwa v57, s99, v56 dst_sel:DWORD dst_unused:UNUSED_PAD src0_sel:DWORD src1_sel:WORD_0
	v_and_b32_e32 v57, s6, v57
	v_lshlrev_b32_e32 v57, 2, v57
	ds_read_b32 v157, v57
	v_mov_b32_e32 v57, v4
	v_xor_b32_e32 v165, 0x7fff, v56
	s_waitcnt lgkmcnt(0)
	v_add_u32_e32 v56, v157, v7
	v_lshlrev_b64 v[56:57], 1, v[56:57]
	v_add_co_u32_e32 v56, vcc, s78, v56
	v_addc_co_u32_e32 v57, vcc, v160, v57, vcc
	global_store_short v[56:57], v165, off
	s_or_b64 exec, exec, s[44:45]
	v_cmp_lt_u32_e64 s[44:45], v13, v156
	s_and_saveexec_b64 s[46:47], s[44:45]
	s_cbranch_execnz .LBB914_189
.LBB914_240:                            ;   in Loop: Header=BB914_102 Depth=2
	s_or_b64 exec, exec, s[46:47]
	v_cmp_lt_u32_e64 s[46:47], v15, v156
	s_and_saveexec_b64 s[48:49], s[46:47]
	s_cbranch_execz .LBB914_190
.LBB914_241:                            ;   in Loop: Header=BB914_102 Depth=2
	ds_read_u16 v56, v76 offset:1536
	v_mov_b32_e32 v160, s79
	s_waitcnt lgkmcnt(0)
	v_lshrrev_b32_sdwa v57, s99, v56 dst_sel:DWORD dst_unused:UNUSED_PAD src0_sel:DWORD src1_sel:WORD_0
	v_and_b32_e32 v57, s6, v57
	v_lshlrev_b32_e32 v57, 2, v57
	ds_read_b32 v157, v57
	v_mov_b32_e32 v57, v4
	v_xor_b32_e32 v165, 0x7fff, v56
	s_waitcnt lgkmcnt(0)
	v_add_u32_e32 v56, v157, v15
	v_lshlrev_b64 v[56:57], 1, v[56:57]
	v_add_co_u32_e32 v56, vcc, s78, v56
	v_addc_co_u32_e32 v57, vcc, v160, v57, vcc
	global_store_short v[56:57], v165, off
	s_or_b64 exec, exec, s[48:49]
	v_cmp_lt_u32_e64 s[48:49], v17, v156
	s_and_saveexec_b64 s[50:51], s[48:49]
	s_cbranch_execnz .LBB914_191
.LBB914_242:                            ;   in Loop: Header=BB914_102 Depth=2
	s_or_b64 exec, exec, s[50:51]
	v_cmp_lt_u32_e64 s[50:51], v19, v156
	s_and_saveexec_b64 s[52:53], s[50:51]
	s_cbranch_execz .LBB914_192
.LBB914_243:                            ;   in Loop: Header=BB914_102 Depth=2
	ds_read_u16 v56, v76 offset:2560
	v_mov_b32_e32 v160, s79
	s_waitcnt lgkmcnt(0)
	v_lshrrev_b32_sdwa v57, s99, v56 dst_sel:DWORD dst_unused:UNUSED_PAD src0_sel:DWORD src1_sel:WORD_0
	v_and_b32_e32 v57, s6, v57
	v_lshlrev_b32_e32 v57, 2, v57
	ds_read_b32 v157, v57
	v_mov_b32_e32 v57, v4
	v_xor_b32_e32 v165, 0x7fff, v56
	s_waitcnt lgkmcnt(0)
	v_add_u32_e32 v56, v157, v19
	v_lshlrev_b64 v[56:57], 1, v[56:57]
	v_add_co_u32_e32 v56, vcc, s78, v56
	v_addc_co_u32_e32 v57, vcc, v160, v57, vcc
	global_store_short v[56:57], v165, off
	s_or_b64 exec, exec, s[52:53]
	v_cmp_lt_u32_e64 s[52:53], v21, v156
	s_and_saveexec_b64 s[54:55], s[52:53]
	s_cbranch_execnz .LBB914_193
.LBB914_244:                            ;   in Loop: Header=BB914_102 Depth=2
	s_or_b64 exec, exec, s[54:55]
	v_cmp_lt_u32_e64 s[54:55], v23, v156
	s_and_saveexec_b64 s[56:57], s[54:55]
	s_cbranch_execz .LBB914_194
.LBB914_245:                            ;   in Loop: Header=BB914_102 Depth=2
	ds_read_u16 v56, v76 offset:3584
	v_mov_b32_e32 v160, s79
	s_waitcnt lgkmcnt(0)
	v_lshrrev_b32_sdwa v57, s99, v56 dst_sel:DWORD dst_unused:UNUSED_PAD src0_sel:DWORD src1_sel:WORD_0
	v_and_b32_e32 v57, s6, v57
	v_lshlrev_b32_e32 v57, 2, v57
	ds_read_b32 v157, v57
	v_mov_b32_e32 v57, v4
	v_xor_b32_e32 v165, 0x7fff, v56
	s_waitcnt lgkmcnt(0)
	v_add_u32_e32 v56, v157, v23
	v_lshlrev_b64 v[56:57], 1, v[56:57]
	v_add_co_u32_e32 v56, vcc, s78, v56
	v_addc_co_u32_e32 v57, vcc, v160, v57, vcc
	global_store_short v[56:57], v165, off
	s_or_b64 exec, exec, s[56:57]
	v_cmp_lt_u32_e64 s[56:57], v6, v156
	s_and_saveexec_b64 s[58:59], s[56:57]
	s_cbranch_execnz .LBB914_195
.LBB914_246:                            ;   in Loop: Header=BB914_102 Depth=2
	s_or_b64 exec, exec, s[58:59]
	v_cmp_lt_u32_e64 s[58:59], v8, v156
	s_and_saveexec_b64 s[60:61], s[58:59]
	s_cbranch_execz .LBB914_196
.LBB914_247:                            ;   in Loop: Header=BB914_102 Depth=2
	ds_read_u16 v56, v76 offset:4608
	v_mov_b32_e32 v160, s79
	s_waitcnt lgkmcnt(0)
	v_lshrrev_b32_sdwa v57, s99, v56 dst_sel:DWORD dst_unused:UNUSED_PAD src0_sel:DWORD src1_sel:WORD_0
	v_and_b32_e32 v57, s6, v57
	v_lshlrev_b32_e32 v57, 2, v57
	ds_read_b32 v157, v57
	v_mov_b32_e32 v57, v4
	v_xor_b32_e32 v165, 0x7fff, v56
	s_waitcnt lgkmcnt(0)
	v_add_u32_e32 v56, v157, v8
	v_lshlrev_b64 v[56:57], 1, v[56:57]
	v_add_co_u32_e32 v56, vcc, s78, v56
	v_addc_co_u32_e32 v57, vcc, v160, v57, vcc
	global_store_short v[56:57], v165, off
	s_or_b64 exec, exec, s[60:61]
	v_cmp_lt_u32_e64 s[60:61], v10, v156
	s_and_saveexec_b64 s[62:63], s[60:61]
	s_cbranch_execnz .LBB914_197
.LBB914_248:                            ;   in Loop: Header=BB914_102 Depth=2
	s_or_b64 exec, exec, s[62:63]
	v_cmp_lt_u32_e64 s[62:63], v12, v156
	s_and_saveexec_b64 s[64:65], s[62:63]
	s_cbranch_execz .LBB914_198
.LBB914_249:                            ;   in Loop: Header=BB914_102 Depth=2
	ds_read_u16 v56, v76 offset:5632
	v_mov_b32_e32 v160, s79
	s_waitcnt lgkmcnt(0)
	v_lshrrev_b32_sdwa v57, s99, v56 dst_sel:DWORD dst_unused:UNUSED_PAD src0_sel:DWORD src1_sel:WORD_0
	v_and_b32_e32 v57, s6, v57
	v_lshlrev_b32_e32 v57, 2, v57
	ds_read_b32 v157, v57
	v_mov_b32_e32 v57, v4
	v_xor_b32_e32 v165, 0x7fff, v56
	s_waitcnt lgkmcnt(0)
	v_add_u32_e32 v56, v157, v12
	v_lshlrev_b64 v[56:57], 1, v[56:57]
	v_add_co_u32_e32 v56, vcc, s78, v56
	v_addc_co_u32_e32 v57, vcc, v160, v57, vcc
	global_store_short v[56:57], v165, off
	s_or_b64 exec, exec, s[64:65]
	v_cmp_lt_u32_e64 s[64:65], v14, v156
	s_and_saveexec_b64 s[66:67], s[64:65]
	s_cbranch_execnz .LBB914_199
.LBB914_250:                            ;   in Loop: Header=BB914_102 Depth=2
	s_or_b64 exec, exec, s[66:67]
	v_cmp_lt_u32_e64 s[66:67], v16, v156
	s_and_saveexec_b64 s[68:69], s[66:67]
	s_cbranch_execz .LBB914_200
.LBB914_251:                            ;   in Loop: Header=BB914_102 Depth=2
	ds_read_u16 v56, v76 offset:6656
	v_mov_b32_e32 v160, s79
	s_waitcnt lgkmcnt(0)
	v_lshrrev_b32_sdwa v57, s99, v56 dst_sel:DWORD dst_unused:UNUSED_PAD src0_sel:DWORD src1_sel:WORD_0
	v_and_b32_e32 v57, s6, v57
	v_lshlrev_b32_e32 v57, 2, v57
	ds_read_b32 v157, v57
	v_mov_b32_e32 v57, v4
	v_xor_b32_e32 v165, 0x7fff, v56
	s_waitcnt lgkmcnt(0)
	v_add_u32_e32 v56, v157, v16
	v_lshlrev_b64 v[56:57], 1, v[56:57]
	v_add_co_u32_e32 v56, vcc, s78, v56
	v_addc_co_u32_e32 v57, vcc, v160, v57, vcc
	global_store_short v[56:57], v165, off
	s_or_b64 exec, exec, s[68:69]
	v_cmp_lt_u32_e64 s[68:69], v18, v156
	s_and_saveexec_b64 s[70:71], s[68:69]
	s_cbranch_execnz .LBB914_201
.LBB914_252:                            ;   in Loop: Header=BB914_102 Depth=2
	s_or_b64 exec, exec, s[70:71]
	v_cmp_lt_u32_e64 s[70:71], v20, v156
	s_and_saveexec_b64 s[72:73], s[70:71]
	s_cbranch_execz .LBB914_202
.LBB914_253:                            ;   in Loop: Header=BB914_102 Depth=2
	ds_read_u16 v56, v76 offset:7680
	v_mov_b32_e32 v160, s79
	s_waitcnt lgkmcnt(0)
	v_lshrrev_b32_sdwa v57, s99, v56 dst_sel:DWORD dst_unused:UNUSED_PAD src0_sel:DWORD src1_sel:WORD_0
	v_and_b32_e32 v57, s6, v57
	v_lshlrev_b32_e32 v57, 2, v57
	ds_read_b32 v157, v57
	v_mov_b32_e32 v57, v4
	v_xor_b32_e32 v165, 0x7fff, v56
	s_waitcnt lgkmcnt(0)
	v_add_u32_e32 v56, v157, v20
	v_lshlrev_b64 v[56:57], 1, v[56:57]
	v_add_co_u32_e32 v56, vcc, s78, v56
	v_addc_co_u32_e32 v57, vcc, v160, v57, vcc
	global_store_short v[56:57], v165, off
	s_or_b64 exec, exec, s[72:73]
	v_cmp_lt_u32_e64 s[72:73], v22, v156
	s_and_saveexec_b64 s[82:83], s[72:73]
	s_cbranch_execnz .LBB914_203
	s_branch .LBB914_204
.LBB914_254:                            ;   in Loop: Header=BB914_102 Depth=2
	s_or_b64 exec, exec, s[82:83]
	v_cmp_lt_u32_e32 vcc, v112, v156
	s_and_saveexec_b64 s[82:83], vcc
	s_cbranch_execz .LBB914_206
.LBB914_255:                            ;   in Loop: Header=BB914_102 Depth=2
	global_load_dwordx2 v[52:53], v[56:57], off offset:512
	s_or_b64 exec, exec, s[82:83]
	v_cmp_lt_u32_e32 vcc, v113, v156
	s_and_saveexec_b64 s[82:83], vcc
	s_cbranch_execnz .LBB914_207
.LBB914_256:                            ;   in Loop: Header=BB914_102 Depth=2
	s_or_b64 exec, exec, s[82:83]
	v_cmp_lt_u32_e32 vcc, v114, v156
	s_and_saveexec_b64 s[82:83], vcc
	s_cbranch_execz .LBB914_208
.LBB914_257:                            ;   in Loop: Header=BB914_102 Depth=2
	global_load_dwordx2 v[46:47], v[56:57], off offset:1536
	s_or_b64 exec, exec, s[82:83]
	v_cmp_lt_u32_e32 vcc, v115, v156
	s_and_saveexec_b64 s[82:83], vcc
	s_cbranch_execnz .LBB914_209
.LBB914_258:                            ;   in Loop: Header=BB914_102 Depth=2
	s_or_b64 exec, exec, s[82:83]
	v_cmp_lt_u32_e32 vcc, v116, v156
	s_and_saveexec_b64 s[82:83], vcc
	s_cbranch_execz .LBB914_210
.LBB914_259:                            ;   in Loop: Header=BB914_102 Depth=2
	global_load_dwordx2 v[38:39], v[56:57], off offset:2560
	s_or_b64 exec, exec, s[82:83]
	v_cmp_lt_u32_e32 vcc, v117, v156
	s_and_saveexec_b64 s[82:83], vcc
	s_cbranch_execnz .LBB914_211
.LBB914_260:                            ;   in Loop: Header=BB914_102 Depth=2
	s_or_b64 exec, exec, s[82:83]
	v_cmp_lt_u32_e32 vcc, v118, v156
	s_and_saveexec_b64 s[82:83], vcc
	s_cbranch_execz .LBB914_212
.LBB914_261:                            ;   in Loop: Header=BB914_102 Depth=2
	global_load_dwordx2 v[30:31], v[56:57], off offset:3584
	s_or_b64 exec, exec, s[82:83]
	v_cmp_lt_u32_e32 vcc, v119, v156
	s_and_saveexec_b64 s[82:83], vcc
	s_cbranch_execnz .LBB914_213
.LBB914_262:                            ;   in Loop: Header=BB914_102 Depth=2
	s_or_b64 exec, exec, s[82:83]
	v_cmp_lt_u32_e32 vcc, v120, v156
	s_and_saveexec_b64 s[82:83], vcc
	s_cbranch_execz .LBB914_214
.LBB914_263:                            ;   in Loop: Header=BB914_102 Depth=2
	v_add_co_u32_e32 v44, vcc, 0x1000, v56
	v_addc_co_u32_e32 v45, vcc, 0, v57, vcc
	global_load_dwordx2 v[44:45], v[44:45], off offset:512
	s_or_b64 exec, exec, s[82:83]
	v_cmp_lt_u32_e32 vcc, v121, v156
	s_and_saveexec_b64 s[82:83], vcc
	s_cbranch_execnz .LBB914_215
.LBB914_264:                            ;   in Loop: Header=BB914_102 Depth=2
	s_or_b64 exec, exec, s[82:83]
	v_cmp_lt_u32_e32 vcc, v122, v156
	s_and_saveexec_b64 s[82:83], vcc
	s_cbranch_execz .LBB914_216
.LBB914_265:                            ;   in Loop: Header=BB914_102 Depth=2
	v_add_co_u32_e32 v36, vcc, 0x1000, v56
	v_addc_co_u32_e32 v37, vcc, 0, v57, vcc
	global_load_dwordx2 v[36:37], v[36:37], off offset:1536
	s_or_b64 exec, exec, s[82:83]
	v_cmp_lt_u32_e32 vcc, v123, v156
	s_and_saveexec_b64 s[82:83], vcc
	s_cbranch_execnz .LBB914_217
.LBB914_266:                            ;   in Loop: Header=BB914_102 Depth=2
	s_or_b64 exec, exec, s[82:83]
	v_cmp_lt_u32_e32 vcc, v124, v156
	s_and_saveexec_b64 s[82:83], vcc
	s_cbranch_execz .LBB914_218
.LBB914_267:                            ;   in Loop: Header=BB914_102 Depth=2
	v_add_co_u32_e32 v28, vcc, 0x1000, v56
	v_addc_co_u32_e32 v29, vcc, 0, v57, vcc
	global_load_dwordx2 v[28:29], v[28:29], off offset:2560
	s_or_b64 exec, exec, s[82:83]
	v_cmp_lt_u32_e32 vcc, v125, v156
	s_and_saveexec_b64 s[82:83], vcc
	s_cbranch_execnz .LBB914_219
.LBB914_268:                            ;   in Loop: Header=BB914_102 Depth=2
	s_or_b64 exec, exec, s[82:83]
	v_cmp_lt_u32_e32 vcc, v126, v156
	s_and_saveexec_b64 s[82:83], vcc
	s_cbranch_execz .LBB914_220
.LBB914_269:                            ;   in Loop: Header=BB914_102 Depth=2
	v_add_co_u32_e32 v24, vcc, 0x1000, v56
	v_addc_co_u32_e32 v25, vcc, 0, v57, vcc
	global_load_dwordx2 v[24:25], v[24:25], off offset:3584
	s_or_b64 exec, exec, s[82:83]
	v_cmp_lt_u32_e32 vcc, v127, v156
	s_and_saveexec_b64 s[82:83], vcc
	s_cbranch_execnz .LBB914_221
.LBB914_270:                            ;   in Loop: Header=BB914_102 Depth=2
	s_or_b64 exec, exec, s[82:83]
	s_and_saveexec_b64 s[82:83], s[40:41]
	s_cbranch_execz .LBB914_222
.LBB914_271:                            ;   in Loop: Header=BB914_102 Depth=2
	v_add_u32_e32 v56, v70, v75
	ds_read_u16 v56, v56 offset:512
	s_waitcnt lgkmcnt(0)
	v_lshrrev_b32_e32 v56, s99, v56
	v_and_b32_e32 v152, s6, v56
	s_or_b64 exec, exec, s[82:83]
	s_and_saveexec_b64 s[82:83], s[42:43]
	s_cbranch_execnz .LBB914_223
.LBB914_272:                            ;   in Loop: Header=BB914_102 Depth=2
	s_or_b64 exec, exec, s[82:83]
	s_and_saveexec_b64 s[82:83], s[44:45]
	s_cbranch_execz .LBB914_224
.LBB914_273:                            ;   in Loop: Header=BB914_102 Depth=2
	ds_read_u16 v56, v76 offset:1024
	s_waitcnt lgkmcnt(0)
	v_lshrrev_b32_e32 v56, s99, v56
	v_and_b32_e32 v149, s6, v56
	s_or_b64 exec, exec, s[82:83]
	s_and_saveexec_b64 s[82:83], s[46:47]
	s_cbranch_execnz .LBB914_225
.LBB914_274:                            ;   in Loop: Header=BB914_102 Depth=2
	s_or_b64 exec, exec, s[82:83]
	s_and_saveexec_b64 s[82:83], s[48:49]
	s_cbranch_execz .LBB914_226
.LBB914_275:                            ;   in Loop: Header=BB914_102 Depth=2
	ds_read_u16 v56, v76 offset:2048
	s_waitcnt lgkmcnt(0)
	v_lshrrev_b32_e32 v56, s99, v56
	v_and_b32_e32 v146, s6, v56
	s_or_b64 exec, exec, s[82:83]
	s_and_saveexec_b64 s[82:83], s[50:51]
	s_cbranch_execnz .LBB914_227
.LBB914_276:                            ;   in Loop: Header=BB914_102 Depth=2
	s_or_b64 exec, exec, s[82:83]
	s_and_saveexec_b64 s[82:83], s[52:53]
	s_cbranch_execz .LBB914_228
.LBB914_277:                            ;   in Loop: Header=BB914_102 Depth=2
	ds_read_u16 v56, v76 offset:3072
	s_waitcnt lgkmcnt(0)
	v_lshrrev_b32_e32 v56, s99, v56
	v_and_b32_e32 v144, s6, v56
	s_or_b64 exec, exec, s[82:83]
	s_and_saveexec_b64 s[82:83], s[54:55]
	s_cbranch_execnz .LBB914_229
.LBB914_278:                            ;   in Loop: Header=BB914_102 Depth=2
	s_or_b64 exec, exec, s[82:83]
	s_and_saveexec_b64 s[82:83], s[56:57]
	s_cbranch_execz .LBB914_230
.LBB914_279:                            ;   in Loop: Header=BB914_102 Depth=2
	ds_read_u16 v56, v76 offset:4096
	s_waitcnt lgkmcnt(0)
	v_lshrrev_b32_e32 v56, s99, v56
	v_and_b32_e32 v142, s6, v56
	s_or_b64 exec, exec, s[82:83]
	s_and_saveexec_b64 s[82:83], s[58:59]
	s_cbranch_execnz .LBB914_231
.LBB914_280:                            ;   in Loop: Header=BB914_102 Depth=2
	s_or_b64 exec, exec, s[82:83]
	s_and_saveexec_b64 s[82:83], s[60:61]
	s_cbranch_execz .LBB914_232
.LBB914_281:                            ;   in Loop: Header=BB914_102 Depth=2
	ds_read_u16 v56, v76 offset:5120
	s_waitcnt lgkmcnt(0)
	v_lshrrev_b32_e32 v56, s99, v56
	v_and_b32_e32 v140, s6, v56
	s_or_b64 exec, exec, s[82:83]
	s_and_saveexec_b64 s[82:83], s[62:63]
	s_cbranch_execnz .LBB914_233
.LBB914_282:                            ;   in Loop: Header=BB914_102 Depth=2
	s_or_b64 exec, exec, s[82:83]
	s_and_saveexec_b64 s[82:83], s[64:65]
	s_cbranch_execz .LBB914_234
.LBB914_283:                            ;   in Loop: Header=BB914_102 Depth=2
	ds_read_u16 v56, v76 offset:6144
	s_waitcnt lgkmcnt(0)
	v_lshrrev_b32_e32 v56, s99, v56
	v_and_b32_e32 v138, s6, v56
	s_or_b64 exec, exec, s[82:83]
	s_and_saveexec_b64 s[82:83], s[66:67]
	s_cbranch_execnz .LBB914_235
.LBB914_284:                            ;   in Loop: Header=BB914_102 Depth=2
	s_or_b64 exec, exec, s[82:83]
	s_and_saveexec_b64 s[82:83], s[68:69]
	s_cbranch_execz .LBB914_236
.LBB914_285:                            ;   in Loop: Header=BB914_102 Depth=2
	ds_read_u16 v56, v76 offset:7168
	s_waitcnt lgkmcnt(0)
	v_lshrrev_b32_e32 v56, s99, v56
	v_and_b32_e32 v136, s6, v56
	s_or_b64 exec, exec, s[82:83]
	s_and_saveexec_b64 s[82:83], s[70:71]
	s_cbranch_execnz .LBB914_237
.LBB914_286:                            ;   in Loop: Header=BB914_102 Depth=2
	s_or_b64 exec, exec, s[82:83]
	s_and_saveexec_b64 s[82:83], s[72:73]
	s_cbranch_execz .LBB914_288
.LBB914_287:                            ;   in Loop: Header=BB914_102 Depth=2
	ds_read_u16 v56, v76 offset:8192
	s_waitcnt lgkmcnt(0)
	v_lshrrev_b32_e32 v56, s99, v56
	v_and_b32_e32 v134, s6, v56
.LBB914_288:                            ;   in Loop: Header=BB914_102 Depth=2
	s_or_b64 exec, exec, s[82:83]
	v_lshlrev_b32_e32 v56, 3, v179
	s_barrier
	s_waitcnt vmcnt(0)
	ds_write_b64 v56, v[54:55] offset:512
	v_lshlrev_b32_e32 v56, 3, v175
	ds_write_b64 v56, v[52:53] offset:512
	v_lshlrev_b32_e32 v56, 3, v174
	;; [unrolled: 2-line block ×15, first 2 shown]
	v_lshlrev_b32_e32 v5, 3, v5
	ds_write_b64 v56, v[24:25] offset:512
	ds_write_b64 v5, v[0:1] offset:512
	s_waitcnt lgkmcnt(0)
	s_barrier
	s_and_saveexec_b64 s[82:83], s[40:41]
	s_cbranch_execz .LBB914_308
; %bb.289:                              ;   in Loop: Header=BB914_102 Depth=2
	v_lshlrev_b32_e32 v5, 2, v152
	ds_read_b32 v5, v5
	ds_read_b64 v[56:57], v68 offset:512
	v_mov_b32_e32 v157, v4
	v_mov_b32_e32 v158, s85
	s_waitcnt lgkmcnt(1)
	v_add_u32_e32 v156, v5, v2
	v_lshlrev_b64 v[156:157], 3, v[156:157]
	v_add_co_u32_e32 v156, vcc, s84, v156
	v_addc_co_u32_e32 v157, vcc, v158, v157, vcc
	s_waitcnt lgkmcnt(0)
	global_store_dwordx2 v[156:157], v[56:57], off
	s_or_b64 exec, exec, s[82:83]
	s_and_saveexec_b64 s[40:41], s[42:43]
	s_cbranch_execnz .LBB914_309
.LBB914_290:                            ;   in Loop: Header=BB914_102 Depth=2
	s_or_b64 exec, exec, s[40:41]
	s_and_saveexec_b64 s[40:41], s[44:45]
	s_cbranch_execz .LBB914_310
.LBB914_291:                            ;   in Loop: Header=BB914_102 Depth=2
	v_lshlrev_b32_e32 v5, 2, v149
	ds_read_b32 v5, v5
	v_add_u32_e32 v56, v76, v77
	ds_read_b64 v[56:57], v56 offset:4096
	v_mov_b32_e32 v157, v4
	v_mov_b32_e32 v158, s85
	s_waitcnt lgkmcnt(1)
	v_add_u32_e32 v156, v5, v13
	v_lshlrev_b64 v[156:157], 3, v[156:157]
	v_add_co_u32_e32 v156, vcc, s84, v156
	v_addc_co_u32_e32 v157, vcc, v158, v157, vcc
	s_waitcnt lgkmcnt(0)
	global_store_dwordx2 v[156:157], v[56:57], off
	s_or_b64 exec, exec, s[40:41]
	s_and_saveexec_b64 s[40:41], s[46:47]
	s_cbranch_execnz .LBB914_311
.LBB914_292:                            ;   in Loop: Header=BB914_102 Depth=2
	s_or_b64 exec, exec, s[40:41]
	s_and_saveexec_b64 s[40:41], s[48:49]
	s_cbranch_execz .LBB914_312
.LBB914_293:                            ;   in Loop: Header=BB914_102 Depth=2
	v_lshlrev_b32_e32 v5, 2, v146
	ds_read_b32 v5, v5
	v_add_u32_e32 v56, v76, v77
	ds_read_b64 v[56:57], v56 offset:8192
	v_mov_b32_e32 v157, v4
	v_mov_b32_e32 v158, s85
	s_waitcnt lgkmcnt(1)
	v_add_u32_e32 v156, v5, v17
	v_lshlrev_b64 v[156:157], 3, v[156:157]
	v_add_co_u32_e32 v156, vcc, s84, v156
	v_addc_co_u32_e32 v157, vcc, v158, v157, vcc
	s_waitcnt lgkmcnt(0)
	global_store_dwordx2 v[156:157], v[56:57], off
	s_or_b64 exec, exec, s[40:41]
	s_and_saveexec_b64 s[40:41], s[50:51]
	s_cbranch_execnz .LBB914_313
.LBB914_294:                            ;   in Loop: Header=BB914_102 Depth=2
	s_or_b64 exec, exec, s[40:41]
	s_and_saveexec_b64 s[40:41], s[52:53]
	s_cbranch_execz .LBB914_314
.LBB914_295:                            ;   in Loop: Header=BB914_102 Depth=2
	v_lshlrev_b32_e32 v5, 2, v144
	ds_read_b32 v5, v5
	v_add_u32_e32 v56, v76, v77
	ds_read_b64 v[56:57], v56 offset:12288
	v_mov_b32_e32 v157, v4
	v_mov_b32_e32 v158, s85
	s_waitcnt lgkmcnt(1)
	v_add_u32_e32 v156, v5, v21
	v_lshlrev_b64 v[156:157], 3, v[156:157]
	v_add_co_u32_e32 v156, vcc, s84, v156
	v_addc_co_u32_e32 v157, vcc, v158, v157, vcc
	s_waitcnt lgkmcnt(0)
	global_store_dwordx2 v[156:157], v[56:57], off
	s_or_b64 exec, exec, s[40:41]
	s_and_saveexec_b64 s[40:41], s[54:55]
	s_cbranch_execnz .LBB914_315
.LBB914_296:                            ;   in Loop: Header=BB914_102 Depth=2
	s_or_b64 exec, exec, s[40:41]
	s_and_saveexec_b64 s[40:41], s[56:57]
	s_cbranch_execz .LBB914_316
.LBB914_297:                            ;   in Loop: Header=BB914_102 Depth=2
	v_lshlrev_b32_e32 v5, 2, v142
	ds_read_b32 v5, v5
	v_add_u32_e32 v56, v76, v77
	ds_read_b64 v[56:57], v56 offset:16384
	v_mov_b32_e32 v157, v4
	v_mov_b32_e32 v158, s85
	s_waitcnt lgkmcnt(1)
	v_add_u32_e32 v156, v5, v6
	v_lshlrev_b64 v[156:157], 3, v[156:157]
	v_add_co_u32_e32 v156, vcc, s84, v156
	v_addc_co_u32_e32 v157, vcc, v158, v157, vcc
	s_waitcnt lgkmcnt(0)
	global_store_dwordx2 v[156:157], v[56:57], off
	s_or_b64 exec, exec, s[40:41]
	s_and_saveexec_b64 s[40:41], s[58:59]
	s_cbranch_execnz .LBB914_317
.LBB914_298:                            ;   in Loop: Header=BB914_102 Depth=2
	s_or_b64 exec, exec, s[40:41]
	s_and_saveexec_b64 s[40:41], s[60:61]
	s_cbranch_execz .LBB914_318
.LBB914_299:                            ;   in Loop: Header=BB914_102 Depth=2
	v_lshlrev_b32_e32 v5, 2, v140
	ds_read_b32 v5, v5
	v_add_u32_e32 v56, v76, v77
	ds_read_b64 v[56:57], v56 offset:20480
	v_mov_b32_e32 v157, v4
	v_mov_b32_e32 v158, s85
	s_waitcnt lgkmcnt(1)
	v_add_u32_e32 v156, v5, v10
	v_lshlrev_b64 v[156:157], 3, v[156:157]
	v_add_co_u32_e32 v156, vcc, s84, v156
	v_addc_co_u32_e32 v157, vcc, v158, v157, vcc
	s_waitcnt lgkmcnt(0)
	global_store_dwordx2 v[156:157], v[56:57], off
	s_or_b64 exec, exec, s[40:41]
	s_and_saveexec_b64 s[40:41], s[62:63]
	s_cbranch_execnz .LBB914_319
.LBB914_300:                            ;   in Loop: Header=BB914_102 Depth=2
	s_or_b64 exec, exec, s[40:41]
	s_and_saveexec_b64 s[40:41], s[64:65]
	s_cbranch_execz .LBB914_320
.LBB914_301:                            ;   in Loop: Header=BB914_102 Depth=2
	v_lshlrev_b32_e32 v5, 2, v138
	ds_read_b32 v5, v5
	v_add_u32_e32 v56, v76, v77
	ds_read_b64 v[56:57], v56 offset:24576
	v_mov_b32_e32 v157, v4
	v_mov_b32_e32 v158, s85
	s_waitcnt lgkmcnt(1)
	v_add_u32_e32 v156, v5, v14
	v_lshlrev_b64 v[156:157], 3, v[156:157]
	v_add_co_u32_e32 v156, vcc, s84, v156
	v_addc_co_u32_e32 v157, vcc, v158, v157, vcc
	s_waitcnt lgkmcnt(0)
	global_store_dwordx2 v[156:157], v[56:57], off
	s_or_b64 exec, exec, s[40:41]
	s_and_saveexec_b64 s[40:41], s[66:67]
	s_cbranch_execnz .LBB914_321
.LBB914_302:                            ;   in Loop: Header=BB914_102 Depth=2
	s_or_b64 exec, exec, s[40:41]
	s_and_saveexec_b64 s[40:41], s[68:69]
	s_cbranch_execz .LBB914_322
.LBB914_303:                            ;   in Loop: Header=BB914_102 Depth=2
	v_lshlrev_b32_e32 v5, 2, v136
	ds_read_b32 v5, v5
	v_add_u32_e32 v56, v76, v77
	ds_read_b64 v[56:57], v56 offset:28672
	v_mov_b32_e32 v157, v4
	v_mov_b32_e32 v158, s85
	s_waitcnt lgkmcnt(1)
	v_add_u32_e32 v156, v5, v18
	v_lshlrev_b64 v[156:157], 3, v[156:157]
	v_add_co_u32_e32 v156, vcc, s84, v156
	v_addc_co_u32_e32 v157, vcc, v158, v157, vcc
	s_waitcnt lgkmcnt(0)
	global_store_dwordx2 v[156:157], v[56:57], off
	s_or_b64 exec, exec, s[40:41]
	s_and_saveexec_b64 s[40:41], s[70:71]
	s_cbranch_execnz .LBB914_323
.LBB914_304:                            ;   in Loop: Header=BB914_102 Depth=2
	s_or_b64 exec, exec, s[40:41]
	s_and_saveexec_b64 s[40:41], s[72:73]
	s_cbranch_execz .LBB914_306
.LBB914_305:                            ;   in Loop: Header=BB914_102 Depth=2
	v_lshlrev_b32_e32 v5, 2, v134
	ds_read_b32 v5, v5
	v_add_u32_e32 v56, v76, v77
	ds_read_b64 v[56:57], v56 offset:32768
	v_mov_b32_e32 v157, v4
	v_mov_b32_e32 v158, s85
	s_waitcnt lgkmcnt(1)
	v_add_u32_e32 v156, v5, v22
	v_lshlrev_b64 v[156:157], 3, v[156:157]
	v_add_co_u32_e32 v156, vcc, s84, v156
	v_addc_co_u32_e32 v157, vcc, v158, v157, vcc
	s_waitcnt lgkmcnt(0)
	global_store_dwordx2 v[156:157], v[56:57], off
.LBB914_306:                            ;   in Loop: Header=BB914_102 Depth=2
	s_or_b64 exec, exec, s[40:41]
	s_barrier
	s_and_saveexec_b64 s[40:41], s[4:5]
	s_cbranch_execz .LBB914_101
; %bb.307:                              ;   in Loop: Header=BB914_102 Depth=2
	ds_read_b32 v5, v3
	s_waitcnt lgkmcnt(0)
	v_add3_u32 v5, v154, v155, v5
	ds_write_b32 v3, v5
	s_branch .LBB914_101
.LBB914_308:                            ;   in Loop: Header=BB914_102 Depth=2
	s_or_b64 exec, exec, s[82:83]
	s_and_saveexec_b64 s[40:41], s[42:43]
	s_cbranch_execz .LBB914_290
.LBB914_309:                            ;   in Loop: Header=BB914_102 Depth=2
	v_lshlrev_b32_e32 v5, 2, v150
	ds_read_b32 v5, v5
	v_add_u32_e32 v56, v76, v77
	ds_read_b64 v[56:57], v56 offset:2048
	v_mov_b32_e32 v157, v4
	v_mov_b32_e32 v158, s85
	s_waitcnt lgkmcnt(1)
	v_add_u32_e32 v156, v5, v7
	v_lshlrev_b64 v[156:157], 3, v[156:157]
	v_add_co_u32_e32 v156, vcc, s84, v156
	v_addc_co_u32_e32 v157, vcc, v158, v157, vcc
	s_waitcnt lgkmcnt(0)
	global_store_dwordx2 v[156:157], v[56:57], off
	s_or_b64 exec, exec, s[40:41]
	s_and_saveexec_b64 s[40:41], s[44:45]
	s_cbranch_execnz .LBB914_291
.LBB914_310:                            ;   in Loop: Header=BB914_102 Depth=2
	s_or_b64 exec, exec, s[40:41]
	s_and_saveexec_b64 s[40:41], s[46:47]
	s_cbranch_execz .LBB914_292
.LBB914_311:                            ;   in Loop: Header=BB914_102 Depth=2
	v_lshlrev_b32_e32 v5, 2, v147
	ds_read_b32 v5, v5
	v_add_u32_e32 v56, v76, v77
	ds_read_b64 v[56:57], v56 offset:6144
	v_mov_b32_e32 v157, v4
	v_mov_b32_e32 v158, s85
	s_waitcnt lgkmcnt(1)
	v_add_u32_e32 v156, v5, v15
	v_lshlrev_b64 v[156:157], 3, v[156:157]
	v_add_co_u32_e32 v156, vcc, s84, v156
	v_addc_co_u32_e32 v157, vcc, v158, v157, vcc
	s_waitcnt lgkmcnt(0)
	global_store_dwordx2 v[156:157], v[56:57], off
	s_or_b64 exec, exec, s[40:41]
	s_and_saveexec_b64 s[40:41], s[48:49]
	s_cbranch_execnz .LBB914_293
.LBB914_312:                            ;   in Loop: Header=BB914_102 Depth=2
	s_or_b64 exec, exec, s[40:41]
	s_and_saveexec_b64 s[40:41], s[50:51]
	s_cbranch_execz .LBB914_294
.LBB914_313:                            ;   in Loop: Header=BB914_102 Depth=2
	v_lshlrev_b32_e32 v5, 2, v145
	ds_read_b32 v5, v5
	v_add_u32_e32 v56, v76, v77
	ds_read_b64 v[56:57], v56 offset:10240
	v_mov_b32_e32 v157, v4
	v_mov_b32_e32 v158, s85
	s_waitcnt lgkmcnt(1)
	v_add_u32_e32 v156, v5, v19
	v_lshlrev_b64 v[156:157], 3, v[156:157]
	v_add_co_u32_e32 v156, vcc, s84, v156
	v_addc_co_u32_e32 v157, vcc, v158, v157, vcc
	s_waitcnt lgkmcnt(0)
	global_store_dwordx2 v[156:157], v[56:57], off
	s_or_b64 exec, exec, s[40:41]
	s_and_saveexec_b64 s[40:41], s[52:53]
	s_cbranch_execnz .LBB914_295
.LBB914_314:                            ;   in Loop: Header=BB914_102 Depth=2
	s_or_b64 exec, exec, s[40:41]
	s_and_saveexec_b64 s[40:41], s[54:55]
	s_cbranch_execz .LBB914_296
.LBB914_315:                            ;   in Loop: Header=BB914_102 Depth=2
	v_lshlrev_b32_e32 v5, 2, v143
	ds_read_b32 v5, v5
	v_add_u32_e32 v56, v76, v77
	ds_read_b64 v[56:57], v56 offset:14336
	v_mov_b32_e32 v157, v4
	v_mov_b32_e32 v158, s85
	s_waitcnt lgkmcnt(1)
	v_add_u32_e32 v156, v5, v23
	v_lshlrev_b64 v[156:157], 3, v[156:157]
	v_add_co_u32_e32 v156, vcc, s84, v156
	v_addc_co_u32_e32 v157, vcc, v158, v157, vcc
	s_waitcnt lgkmcnt(0)
	global_store_dwordx2 v[156:157], v[56:57], off
	s_or_b64 exec, exec, s[40:41]
	s_and_saveexec_b64 s[40:41], s[56:57]
	s_cbranch_execnz .LBB914_297
.LBB914_316:                            ;   in Loop: Header=BB914_102 Depth=2
	s_or_b64 exec, exec, s[40:41]
	s_and_saveexec_b64 s[40:41], s[58:59]
	s_cbranch_execz .LBB914_298
.LBB914_317:                            ;   in Loop: Header=BB914_102 Depth=2
	v_lshlrev_b32_e32 v5, 2, v141
	ds_read_b32 v5, v5
	v_add_u32_e32 v56, v76, v77
	ds_read_b64 v[56:57], v56 offset:18432
	v_mov_b32_e32 v157, v4
	v_mov_b32_e32 v158, s85
	s_waitcnt lgkmcnt(1)
	v_add_u32_e32 v156, v5, v8
	v_lshlrev_b64 v[156:157], 3, v[156:157]
	v_add_co_u32_e32 v156, vcc, s84, v156
	v_addc_co_u32_e32 v157, vcc, v158, v157, vcc
	s_waitcnt lgkmcnt(0)
	global_store_dwordx2 v[156:157], v[56:57], off
	s_or_b64 exec, exec, s[40:41]
	s_and_saveexec_b64 s[40:41], s[60:61]
	s_cbranch_execnz .LBB914_299
.LBB914_318:                            ;   in Loop: Header=BB914_102 Depth=2
	s_or_b64 exec, exec, s[40:41]
	s_and_saveexec_b64 s[40:41], s[62:63]
	s_cbranch_execz .LBB914_300
.LBB914_319:                            ;   in Loop: Header=BB914_102 Depth=2
	v_lshlrev_b32_e32 v5, 2, v139
	ds_read_b32 v5, v5
	v_add_u32_e32 v56, v76, v77
	ds_read_b64 v[56:57], v56 offset:22528
	v_mov_b32_e32 v157, v4
	v_mov_b32_e32 v158, s85
	s_waitcnt lgkmcnt(1)
	v_add_u32_e32 v156, v5, v12
	v_lshlrev_b64 v[156:157], 3, v[156:157]
	v_add_co_u32_e32 v156, vcc, s84, v156
	v_addc_co_u32_e32 v157, vcc, v158, v157, vcc
	s_waitcnt lgkmcnt(0)
	global_store_dwordx2 v[156:157], v[56:57], off
	s_or_b64 exec, exec, s[40:41]
	s_and_saveexec_b64 s[40:41], s[64:65]
	s_cbranch_execnz .LBB914_301
.LBB914_320:                            ;   in Loop: Header=BB914_102 Depth=2
	s_or_b64 exec, exec, s[40:41]
	s_and_saveexec_b64 s[40:41], s[66:67]
	s_cbranch_execz .LBB914_302
.LBB914_321:                            ;   in Loop: Header=BB914_102 Depth=2
	v_lshlrev_b32_e32 v5, 2, v137
	ds_read_b32 v5, v5
	v_add_u32_e32 v56, v76, v77
	ds_read_b64 v[56:57], v56 offset:26624
	v_mov_b32_e32 v157, v4
	v_mov_b32_e32 v158, s85
	s_waitcnt lgkmcnt(1)
	v_add_u32_e32 v156, v5, v16
	v_lshlrev_b64 v[156:157], 3, v[156:157]
	v_add_co_u32_e32 v156, vcc, s84, v156
	v_addc_co_u32_e32 v157, vcc, v158, v157, vcc
	s_waitcnt lgkmcnt(0)
	global_store_dwordx2 v[156:157], v[56:57], off
	s_or_b64 exec, exec, s[40:41]
	s_and_saveexec_b64 s[40:41], s[68:69]
	s_cbranch_execnz .LBB914_303
.LBB914_322:                            ;   in Loop: Header=BB914_102 Depth=2
	s_or_b64 exec, exec, s[40:41]
	s_and_saveexec_b64 s[40:41], s[70:71]
	s_cbranch_execz .LBB914_304
.LBB914_323:                            ;   in Loop: Header=BB914_102 Depth=2
	v_lshlrev_b32_e32 v5, 2, v135
	ds_read_b32 v5, v5
	v_add_u32_e32 v56, v76, v77
	ds_read_b64 v[56:57], v56 offset:30720
	v_mov_b32_e32 v157, v4
	v_mov_b32_e32 v158, s85
	s_waitcnt lgkmcnt(1)
	v_add_u32_e32 v156, v5, v20
	v_lshlrev_b64 v[156:157], 3, v[156:157]
	v_add_co_u32_e32 v156, vcc, s84, v156
	v_addc_co_u32_e32 v157, vcc, v158, v157, vcc
	s_waitcnt lgkmcnt(0)
	global_store_dwordx2 v[156:157], v[56:57], off
	s_or_b64 exec, exec, s[40:41]
	s_and_saveexec_b64 s[40:41], s[72:73]
	s_cbranch_execnz .LBB914_305
	s_branch .LBB914_306
.LBB914_324:                            ;   in Loop: Header=BB914_12 Depth=1
	s_waitcnt lgkmcnt(0)
	s_barrier
	s_mov_b64 s[20:21], 0
.LBB914_325:                            ;   in Loop: Header=BB914_12 Depth=1
	s_and_b64 vcc, exec, s[20:21]
	s_cbranch_vccz .LBB914_637
; %bb.326:                              ;   in Loop: Header=BB914_12 Depth=1
	s_mov_b32 s7, s91
	s_mov_b32 s94, s75
	s_barrier
	s_waitcnt lgkmcnt(0)
                                        ; implicit-def: $vgpr39
                                        ; implicit-def: $vgpr5
                                        ; implicit-def: $vgpr24
                                        ; implicit-def: $vgpr25
                                        ; implicit-def: $vgpr26
                                        ; implicit-def: $vgpr27
                                        ; implicit-def: $vgpr28
                                        ; implicit-def: $vgpr29
                                        ; implicit-def: $vgpr30
                                        ; implicit-def: $vgpr31
                                        ; implicit-def: $vgpr32
                                        ; implicit-def: $vgpr33
                                        ; implicit-def: $vgpr34
                                        ; implicit-def: $vgpr35
                                        ; implicit-def: $vgpr36
                                        ; implicit-def: $vgpr37
                                        ; implicit-def: $vgpr38
	s_branch .LBB914_328
.LBB914_327:                            ;   in Loop: Header=BB914_328 Depth=2
	s_or_b64 exec, exec, s[20:21]
	s_addk_i32 s7, 0xef00
	s_cmp_ge_u32 s8, s98
	s_mov_b32 s94, s8
	s_cbranch_scc1 .LBB914_402
.LBB914_328:                            ;   Parent Loop BB914_12 Depth=1
                                        ; =>  This Inner Loop Header: Depth=2
	s_add_i32 s8, s94, 0x1100
	s_cmp_gt_u32 s8, s98
	s_cbranch_scc1 .LBB914_331
; %bb.329:                              ;   in Loop: Header=BB914_328 Depth=2
	s_lshl_b64 s[20:21], s[94:95], 1
	v_mov_b32_e32 v1, s21
	v_add_co_u32_e32 v0, vcc, s20, v78
	v_addc_co_u32_e32 v1, vcc, v79, v1, vcc
	s_waitcnt vmcnt(0)
	v_add_co_u32_e32 v56, vcc, s88, v0
	v_addc_co_u32_e32 v57, vcc, 0, v1, vcc
	global_load_ushort v41, v[0:1], off
	global_load_ushort v42, v[0:1], off offset:512
	global_load_ushort v43, v[0:1], off offset:1024
	;; [unrolled: 1-line block ×7, first 2 shown]
	global_load_ushort v49, v[56:57], off
	global_load_ushort v50, v[56:57], off offset:512
	global_load_ushort v51, v[56:57], off offset:1024
	;; [unrolled: 1-line block ×6, first 2 shown]
	s_nop 0
	global_load_ushort v56, v[56:57], off offset:3584
	v_add_co_u32_e32 v0, vcc, 0x2000, v0
	v_addc_co_u32_e32 v1, vcc, 0, v1, vcc
	s_mov_b64 s[20:21], -1
	s_movk_i32 s9, 0x1100
	s_cbranch_execz .LBB914_332
; %bb.330:                              ;   in Loop: Header=BB914_328 Depth=2
                                        ; implicit-def: $vgpr38
                                        ; implicit-def: $vgpr37
                                        ; implicit-def: $vgpr36
                                        ; implicit-def: $vgpr35
                                        ; implicit-def: $vgpr34
                                        ; implicit-def: $vgpr33
                                        ; implicit-def: $vgpr32
                                        ; implicit-def: $vgpr31
                                        ; implicit-def: $vgpr30
                                        ; implicit-def: $vgpr29
                                        ; implicit-def: $vgpr28
                                        ; implicit-def: $vgpr27
                                        ; implicit-def: $vgpr26
                                        ; implicit-def: $vgpr25
                                        ; implicit-def: $vgpr24
                                        ; implicit-def: $vgpr5
                                        ; implicit-def: $vgpr39
	v_mov_b32_e32 v40, s7
	s_and_saveexec_b64 s[22:23], s[20:21]
	s_cbranch_execnz .LBB914_367
	s_branch .LBB914_368
.LBB914_331:                            ;   in Loop: Header=BB914_328 Depth=2
	s_mov_b64 s[20:21], 0
                                        ; implicit-def: $sgpr9
                                        ; implicit-def: $vgpr41
                                        ; implicit-def: $vgpr42
                                        ; implicit-def: $vgpr43
                                        ; implicit-def: $vgpr44
                                        ; implicit-def: $vgpr45
                                        ; implicit-def: $vgpr46
                                        ; implicit-def: $vgpr47
                                        ; implicit-def: $vgpr48
                                        ; implicit-def: $vgpr49
                                        ; implicit-def: $vgpr50
                                        ; implicit-def: $vgpr51
                                        ; implicit-def: $vgpr52
                                        ; implicit-def: $vgpr53
                                        ; implicit-def: $vgpr54
                                        ; implicit-def: $vgpr55
                                        ; implicit-def: $vgpr56
                                        ; implicit-def: $vgpr0_vgpr1
.LBB914_332:                            ;   in Loop: Header=BB914_328 Depth=2
	s_lshl_b64 s[22:23], s[94:95], 1
	s_add_u32 s22, s78, s22
	s_addc_u32 s23, s79, s23
	v_cmp_gt_u32_e32 vcc, s7, v2
	s_and_saveexec_b64 s[24:25], vcc
	s_cbranch_execz .LBB914_348
; %bb.333:                              ;   in Loop: Header=BB914_328 Depth=2
	global_load_ushort v38, v92, s[22:23]
	s_or_b64 exec, exec, s[24:25]
	v_cmp_gt_u32_e32 vcc, s7, v7
	s_and_saveexec_b64 s[24:25], vcc
	s_cbranch_execnz .LBB914_349
.LBB914_334:                            ;   in Loop: Header=BB914_328 Depth=2
	s_or_b64 exec, exec, s[24:25]
	v_cmp_gt_u32_e32 vcc, s7, v13
	s_and_saveexec_b64 s[24:25], vcc
	s_cbranch_execz .LBB914_350
.LBB914_335:                            ;   in Loop: Header=BB914_328 Depth=2
	global_load_ushort v36, v92, s[22:23] offset:1024
	s_or_b64 exec, exec, s[24:25]
	v_cmp_gt_u32_e32 vcc, s7, v15
	s_and_saveexec_b64 s[24:25], vcc
	s_cbranch_execnz .LBB914_351
.LBB914_336:                            ;   in Loop: Header=BB914_328 Depth=2
	s_or_b64 exec, exec, s[24:25]
	v_cmp_gt_u32_e32 vcc, s7, v17
	s_and_saveexec_b64 s[24:25], vcc
	s_cbranch_execz .LBB914_352
.LBB914_337:                            ;   in Loop: Header=BB914_328 Depth=2
	global_load_ushort v34, v92, s[22:23] offset:2048
	s_or_b64 exec, exec, s[24:25]
	v_cmp_gt_u32_e32 vcc, s7, v19
	s_and_saveexec_b64 s[24:25], vcc
	s_cbranch_execnz .LBB914_353
.LBB914_338:                            ;   in Loop: Header=BB914_328 Depth=2
	s_or_b64 exec, exec, s[24:25]
	v_cmp_gt_u32_e32 vcc, s7, v21
	s_and_saveexec_b64 s[24:25], vcc
	s_cbranch_execz .LBB914_354
.LBB914_339:                            ;   in Loop: Header=BB914_328 Depth=2
	global_load_ushort v32, v92, s[22:23] offset:3072
	s_or_b64 exec, exec, s[24:25]
	v_cmp_gt_u32_e32 vcc, s7, v23
	s_and_saveexec_b64 s[24:25], vcc
	s_cbranch_execnz .LBB914_355
.LBB914_340:                            ;   in Loop: Header=BB914_328 Depth=2
	s_or_b64 exec, exec, s[24:25]
	v_cmp_gt_u32_e32 vcc, s7, v6
	s_and_saveexec_b64 s[24:25], vcc
	s_cbranch_execz .LBB914_356
.LBB914_341:                            ;   in Loop: Header=BB914_328 Depth=2
	global_load_ushort v30, v93, s[22:23]
	s_or_b64 exec, exec, s[24:25]
	v_cmp_gt_u32_e32 vcc, s7, v8
	s_and_saveexec_b64 s[24:25], vcc
	s_cbranch_execnz .LBB914_357
.LBB914_342:                            ;   in Loop: Header=BB914_328 Depth=2
	s_or_b64 exec, exec, s[24:25]
	v_cmp_gt_u32_e32 vcc, s7, v10
	s_and_saveexec_b64 s[24:25], vcc
	s_cbranch_execz .LBB914_358
.LBB914_343:                            ;   in Loop: Header=BB914_328 Depth=2
	global_load_ushort v28, v95, s[22:23]
	s_or_b64 exec, exec, s[24:25]
	v_cmp_gt_u32_e32 vcc, s7, v12
	s_and_saveexec_b64 s[24:25], vcc
	s_cbranch_execnz .LBB914_359
.LBB914_344:                            ;   in Loop: Header=BB914_328 Depth=2
	s_or_b64 exec, exec, s[24:25]
	v_cmp_gt_u32_e32 vcc, s7, v14
	s_and_saveexec_b64 s[24:25], vcc
	s_cbranch_execz .LBB914_360
.LBB914_345:                            ;   in Loop: Header=BB914_328 Depth=2
	global_load_ushort v26, v97, s[22:23]
	s_or_b64 exec, exec, s[24:25]
	v_cmp_gt_u32_e32 vcc, s7, v16
	s_and_saveexec_b64 s[24:25], vcc
	s_cbranch_execnz .LBB914_361
.LBB914_346:                            ;   in Loop: Header=BB914_328 Depth=2
	s_or_b64 exec, exec, s[24:25]
	v_cmp_gt_u32_e32 vcc, s7, v18
	s_and_saveexec_b64 s[24:25], vcc
	s_cbranch_execz .LBB914_362
.LBB914_347:                            ;   in Loop: Header=BB914_328 Depth=2
	global_load_ushort v24, v99, s[22:23]
	s_or_b64 exec, exec, s[24:25]
	v_cmp_gt_u32_e32 vcc, s7, v20
	s_and_saveexec_b64 s[24:25], vcc
	s_cbranch_execz .LBB914_364
	s_branch .LBB914_363
.LBB914_348:                            ;   in Loop: Header=BB914_328 Depth=2
	s_or_b64 exec, exec, s[24:25]
	v_cmp_gt_u32_e32 vcc, s7, v7
	s_and_saveexec_b64 s[24:25], vcc
	s_cbranch_execz .LBB914_334
.LBB914_349:                            ;   in Loop: Header=BB914_328 Depth=2
	global_load_ushort v37, v92, s[22:23] offset:512
	s_or_b64 exec, exec, s[24:25]
	v_cmp_gt_u32_e32 vcc, s7, v13
	s_and_saveexec_b64 s[24:25], vcc
	s_cbranch_execnz .LBB914_335
.LBB914_350:                            ;   in Loop: Header=BB914_328 Depth=2
	s_or_b64 exec, exec, s[24:25]
	v_cmp_gt_u32_e32 vcc, s7, v15
	s_and_saveexec_b64 s[24:25], vcc
	s_cbranch_execz .LBB914_336
.LBB914_351:                            ;   in Loop: Header=BB914_328 Depth=2
	global_load_ushort v35, v92, s[22:23] offset:1536
	s_or_b64 exec, exec, s[24:25]
	v_cmp_gt_u32_e32 vcc, s7, v17
	s_and_saveexec_b64 s[24:25], vcc
	s_cbranch_execnz .LBB914_337
.LBB914_352:                            ;   in Loop: Header=BB914_328 Depth=2
	s_or_b64 exec, exec, s[24:25]
	v_cmp_gt_u32_e32 vcc, s7, v19
	s_and_saveexec_b64 s[24:25], vcc
	s_cbranch_execz .LBB914_338
.LBB914_353:                            ;   in Loop: Header=BB914_328 Depth=2
	global_load_ushort v33, v92, s[22:23] offset:2560
	s_or_b64 exec, exec, s[24:25]
	v_cmp_gt_u32_e32 vcc, s7, v21
	s_and_saveexec_b64 s[24:25], vcc
	s_cbranch_execnz .LBB914_339
.LBB914_354:                            ;   in Loop: Header=BB914_328 Depth=2
	s_or_b64 exec, exec, s[24:25]
	v_cmp_gt_u32_e32 vcc, s7, v23
	s_and_saveexec_b64 s[24:25], vcc
	s_cbranch_execz .LBB914_340
.LBB914_355:                            ;   in Loop: Header=BB914_328 Depth=2
	global_load_ushort v31, v92, s[22:23] offset:3584
	s_or_b64 exec, exec, s[24:25]
	v_cmp_gt_u32_e32 vcc, s7, v6
	s_and_saveexec_b64 s[24:25], vcc
	s_cbranch_execnz .LBB914_341
.LBB914_356:                            ;   in Loop: Header=BB914_328 Depth=2
	s_or_b64 exec, exec, s[24:25]
	v_cmp_gt_u32_e32 vcc, s7, v8
	s_and_saveexec_b64 s[24:25], vcc
	s_cbranch_execz .LBB914_342
.LBB914_357:                            ;   in Loop: Header=BB914_328 Depth=2
	global_load_ushort v29, v94, s[22:23]
	s_or_b64 exec, exec, s[24:25]
	v_cmp_gt_u32_e32 vcc, s7, v10
	s_and_saveexec_b64 s[24:25], vcc
	s_cbranch_execnz .LBB914_343
.LBB914_358:                            ;   in Loop: Header=BB914_328 Depth=2
	s_or_b64 exec, exec, s[24:25]
	v_cmp_gt_u32_e32 vcc, s7, v12
	s_and_saveexec_b64 s[24:25], vcc
	s_cbranch_execz .LBB914_344
.LBB914_359:                            ;   in Loop: Header=BB914_328 Depth=2
	global_load_ushort v27, v96, s[22:23]
	s_or_b64 exec, exec, s[24:25]
	v_cmp_gt_u32_e32 vcc, s7, v14
	s_and_saveexec_b64 s[24:25], vcc
	s_cbranch_execnz .LBB914_345
.LBB914_360:                            ;   in Loop: Header=BB914_328 Depth=2
	s_or_b64 exec, exec, s[24:25]
	v_cmp_gt_u32_e32 vcc, s7, v16
	s_and_saveexec_b64 s[24:25], vcc
	s_cbranch_execz .LBB914_346
.LBB914_361:                            ;   in Loop: Header=BB914_328 Depth=2
	global_load_ushort v25, v98, s[22:23]
	s_or_b64 exec, exec, s[24:25]
	v_cmp_gt_u32_e32 vcc, s7, v18
	s_and_saveexec_b64 s[24:25], vcc
	s_cbranch_execnz .LBB914_347
.LBB914_362:                            ;   in Loop: Header=BB914_328 Depth=2
	s_or_b64 exec, exec, s[24:25]
	v_cmp_gt_u32_e32 vcc, s7, v20
	s_and_saveexec_b64 s[24:25], vcc
	s_cbranch_execz .LBB914_364
.LBB914_363:                            ;   in Loop: Header=BB914_328 Depth=2
	global_load_ushort v5, v100, s[22:23]
.LBB914_364:                            ;   in Loop: Header=BB914_328 Depth=2
	s_or_b64 exec, exec, s[24:25]
	v_cmp_gt_u32_e32 vcc, s7, v22
                                        ; implicit-def: $sgpr9
                                        ; implicit-def: $vgpr0_vgpr1
	s_and_saveexec_b64 s[24:25], vcc
; %bb.365:                              ;   in Loop: Header=BB914_328 Depth=2
	v_mov_b32_e32 v1, s23
	v_add_co_u32_e32 v0, vcc, s22, v101
	s_sub_i32 s9, s98, s94
	v_addc_co_u32_e32 v1, vcc, 0, v1, vcc
	s_or_b64 s[20:21], s[20:21], exec
                                        ; implicit-def: $vgpr39
; %bb.366:                              ;   in Loop: Header=BB914_328 Depth=2
	s_or_b64 exec, exec, s[24:25]
	s_waitcnt vmcnt(0)
	v_mov_b32_e32 v41, v38
	v_mov_b32_e32 v42, v37
	;; [unrolled: 1-line block ×17, first 2 shown]
	s_and_saveexec_b64 s[22:23], s[20:21]
	s_cbranch_execz .LBB914_368
.LBB914_367:                            ;   in Loop: Header=BB914_328 Depth=2
	global_load_ushort v39, v[0:1], off
	v_mov_b32_e32 v40, s9
	s_waitcnt vmcnt(1)
	v_mov_b32_e32 v5, v56
	v_mov_b32_e32 v24, v55
	v_mov_b32_e32 v25, v54
	v_mov_b32_e32 v26, v53
	v_mov_b32_e32 v27, v52
	v_mov_b32_e32 v28, v51
	v_mov_b32_e32 v29, v50
	v_mov_b32_e32 v30, v49
	v_mov_b32_e32 v31, v48
	v_mov_b32_e32 v32, v47
	v_mov_b32_e32 v33, v46
	v_mov_b32_e32 v34, v45
	v_mov_b32_e32 v35, v44
	v_mov_b32_e32 v36, v43
	v_mov_b32_e32 v37, v42
	v_mov_b32_e32 v38, v41
.LBB914_368:                            ;   in Loop: Header=BB914_328 Depth=2
	s_or_b64 exec, exec, s[22:23]
	v_cmp_lt_u32_e32 vcc, v2, v40
	s_and_saveexec_b64 s[20:21], vcc
	s_cbranch_execz .LBB914_385
; %bb.369:                              ;   in Loop: Header=BB914_328 Depth=2
	v_xor_b32_e32 v0, 0x7fff, v38
	v_lshrrev_b32_sdwa v0, s99, v0 dst_sel:DWORD dst_unused:UNUSED_PAD src0_sel:DWORD src1_sel:WORD_0
	v_and_b32_e32 v0, s6, v0
	v_lshl_or_b32 v0, v0, 4, v90
	ds_add_u32 v0, v91
	s_or_b64 exec, exec, s[20:21]
	v_cmp_lt_u32_e32 vcc, v7, v40
	s_and_saveexec_b64 s[20:21], vcc
	s_cbranch_execnz .LBB914_386
.LBB914_370:                            ;   in Loop: Header=BB914_328 Depth=2
	s_or_b64 exec, exec, s[20:21]
	v_cmp_lt_u32_e32 vcc, v13, v40
	s_and_saveexec_b64 s[20:21], vcc
	s_cbranch_execz .LBB914_387
.LBB914_371:                            ;   in Loop: Header=BB914_328 Depth=2
	v_xor_b32_e32 v0, 0x7fff, v36
	v_lshrrev_b32_sdwa v0, s99, v0 dst_sel:DWORD dst_unused:UNUSED_PAD src0_sel:DWORD src1_sel:WORD_0
	v_and_b32_e32 v0, s6, v0
	v_lshl_or_b32 v0, v0, 4, v90
	ds_add_u32 v0, v91
	s_or_b64 exec, exec, s[20:21]
	v_cmp_lt_u32_e32 vcc, v15, v40
	s_and_saveexec_b64 s[20:21], vcc
	s_cbranch_execnz .LBB914_388
.LBB914_372:                            ;   in Loop: Header=BB914_328 Depth=2
	s_or_b64 exec, exec, s[20:21]
	v_cmp_lt_u32_e32 vcc, v17, v40
	s_and_saveexec_b64 s[20:21], vcc
	s_cbranch_execz .LBB914_389
.LBB914_373:                            ;   in Loop: Header=BB914_328 Depth=2
	v_xor_b32_e32 v0, 0x7fff, v34
	v_lshrrev_b32_sdwa v0, s99, v0 dst_sel:DWORD dst_unused:UNUSED_PAD src0_sel:DWORD src1_sel:WORD_0
	v_and_b32_e32 v0, s6, v0
	v_lshl_or_b32 v0, v0, 4, v90
	ds_add_u32 v0, v91
	s_or_b64 exec, exec, s[20:21]
	v_cmp_lt_u32_e32 vcc, v19, v40
	s_and_saveexec_b64 s[20:21], vcc
	s_cbranch_execnz .LBB914_390
.LBB914_374:                            ;   in Loop: Header=BB914_328 Depth=2
	s_or_b64 exec, exec, s[20:21]
	v_cmp_lt_u32_e32 vcc, v21, v40
	s_and_saveexec_b64 s[20:21], vcc
	s_cbranch_execz .LBB914_391
.LBB914_375:                            ;   in Loop: Header=BB914_328 Depth=2
	v_xor_b32_e32 v0, 0x7fff, v32
	v_lshrrev_b32_sdwa v0, s99, v0 dst_sel:DWORD dst_unused:UNUSED_PAD src0_sel:DWORD src1_sel:WORD_0
	v_and_b32_e32 v0, s6, v0
	v_lshl_or_b32 v0, v0, 4, v90
	ds_add_u32 v0, v91
	s_or_b64 exec, exec, s[20:21]
	v_cmp_lt_u32_e32 vcc, v23, v40
	s_and_saveexec_b64 s[20:21], vcc
	s_cbranch_execnz .LBB914_392
.LBB914_376:                            ;   in Loop: Header=BB914_328 Depth=2
	s_or_b64 exec, exec, s[20:21]
	v_cmp_lt_u32_e32 vcc, v6, v40
	s_and_saveexec_b64 s[20:21], vcc
	s_cbranch_execz .LBB914_393
.LBB914_377:                            ;   in Loop: Header=BB914_328 Depth=2
	v_xor_b32_e32 v0, 0x7fff, v30
	v_lshrrev_b32_sdwa v0, s99, v0 dst_sel:DWORD dst_unused:UNUSED_PAD src0_sel:DWORD src1_sel:WORD_0
	v_and_b32_e32 v0, s6, v0
	v_lshl_or_b32 v0, v0, 4, v90
	ds_add_u32 v0, v91
	s_or_b64 exec, exec, s[20:21]
	v_cmp_lt_u32_e32 vcc, v8, v40
	s_and_saveexec_b64 s[20:21], vcc
	s_cbranch_execnz .LBB914_394
.LBB914_378:                            ;   in Loop: Header=BB914_328 Depth=2
	s_or_b64 exec, exec, s[20:21]
	v_cmp_lt_u32_e32 vcc, v10, v40
	s_and_saveexec_b64 s[20:21], vcc
	s_cbranch_execz .LBB914_395
.LBB914_379:                            ;   in Loop: Header=BB914_328 Depth=2
	v_xor_b32_e32 v0, 0x7fff, v28
	v_lshrrev_b32_sdwa v0, s99, v0 dst_sel:DWORD dst_unused:UNUSED_PAD src0_sel:DWORD src1_sel:WORD_0
	v_and_b32_e32 v0, s6, v0
	v_lshl_or_b32 v0, v0, 4, v90
	ds_add_u32 v0, v91
	s_or_b64 exec, exec, s[20:21]
	v_cmp_lt_u32_e32 vcc, v12, v40
	s_and_saveexec_b64 s[20:21], vcc
	s_cbranch_execnz .LBB914_396
.LBB914_380:                            ;   in Loop: Header=BB914_328 Depth=2
	s_or_b64 exec, exec, s[20:21]
	v_cmp_lt_u32_e32 vcc, v14, v40
	s_and_saveexec_b64 s[20:21], vcc
	s_cbranch_execz .LBB914_397
.LBB914_381:                            ;   in Loop: Header=BB914_328 Depth=2
	v_xor_b32_e32 v0, 0x7fff, v26
	v_lshrrev_b32_sdwa v0, s99, v0 dst_sel:DWORD dst_unused:UNUSED_PAD src0_sel:DWORD src1_sel:WORD_0
	v_and_b32_e32 v0, s6, v0
	v_lshl_or_b32 v0, v0, 4, v90
	ds_add_u32 v0, v91
	s_or_b64 exec, exec, s[20:21]
	v_cmp_lt_u32_e32 vcc, v16, v40
	s_and_saveexec_b64 s[20:21], vcc
	s_cbranch_execnz .LBB914_398
.LBB914_382:                            ;   in Loop: Header=BB914_328 Depth=2
	s_or_b64 exec, exec, s[20:21]
	v_cmp_lt_u32_e32 vcc, v18, v40
	s_and_saveexec_b64 s[20:21], vcc
	s_cbranch_execz .LBB914_399
.LBB914_383:                            ;   in Loop: Header=BB914_328 Depth=2
	v_xor_b32_e32 v0, 0x7fff, v24
	v_lshrrev_b32_sdwa v0, s99, v0 dst_sel:DWORD dst_unused:UNUSED_PAD src0_sel:DWORD src1_sel:WORD_0
	v_and_b32_e32 v0, s6, v0
	v_lshl_or_b32 v0, v0, 4, v90
	ds_add_u32 v0, v91
	s_or_b64 exec, exec, s[20:21]
	v_cmp_lt_u32_e32 vcc, v20, v40
	s_and_saveexec_b64 s[20:21], vcc
	s_cbranch_execnz .LBB914_400
.LBB914_384:                            ;   in Loop: Header=BB914_328 Depth=2
	s_or_b64 exec, exec, s[20:21]
	v_cmp_lt_u32_e32 vcc, v22, v40
	s_and_saveexec_b64 s[20:21], vcc
	s_cbranch_execz .LBB914_327
	s_branch .LBB914_401
.LBB914_385:                            ;   in Loop: Header=BB914_328 Depth=2
	s_or_b64 exec, exec, s[20:21]
	v_cmp_lt_u32_e32 vcc, v7, v40
	s_and_saveexec_b64 s[20:21], vcc
	s_cbranch_execz .LBB914_370
.LBB914_386:                            ;   in Loop: Header=BB914_328 Depth=2
	v_xor_b32_e32 v0, 0x7fff, v37
	v_lshrrev_b32_sdwa v0, s99, v0 dst_sel:DWORD dst_unused:UNUSED_PAD src0_sel:DWORD src1_sel:WORD_0
	v_and_b32_e32 v0, s6, v0
	v_lshl_or_b32 v0, v0, 4, v90
	ds_add_u32 v0, v91
	s_or_b64 exec, exec, s[20:21]
	v_cmp_lt_u32_e32 vcc, v13, v40
	s_and_saveexec_b64 s[20:21], vcc
	s_cbranch_execnz .LBB914_371
.LBB914_387:                            ;   in Loop: Header=BB914_328 Depth=2
	s_or_b64 exec, exec, s[20:21]
	v_cmp_lt_u32_e32 vcc, v15, v40
	s_and_saveexec_b64 s[20:21], vcc
	s_cbranch_execz .LBB914_372
.LBB914_388:                            ;   in Loop: Header=BB914_328 Depth=2
	v_xor_b32_e32 v0, 0x7fff, v35
	v_lshrrev_b32_sdwa v0, s99, v0 dst_sel:DWORD dst_unused:UNUSED_PAD src0_sel:DWORD src1_sel:WORD_0
	v_and_b32_e32 v0, s6, v0
	v_lshl_or_b32 v0, v0, 4, v90
	ds_add_u32 v0, v91
	s_or_b64 exec, exec, s[20:21]
	v_cmp_lt_u32_e32 vcc, v17, v40
	s_and_saveexec_b64 s[20:21], vcc
	s_cbranch_execnz .LBB914_373
.LBB914_389:                            ;   in Loop: Header=BB914_328 Depth=2
	s_or_b64 exec, exec, s[20:21]
	v_cmp_lt_u32_e32 vcc, v19, v40
	s_and_saveexec_b64 s[20:21], vcc
	s_cbranch_execz .LBB914_374
.LBB914_390:                            ;   in Loop: Header=BB914_328 Depth=2
	v_xor_b32_e32 v0, 0x7fff, v33
	v_lshrrev_b32_sdwa v0, s99, v0 dst_sel:DWORD dst_unused:UNUSED_PAD src0_sel:DWORD src1_sel:WORD_0
	v_and_b32_e32 v0, s6, v0
	v_lshl_or_b32 v0, v0, 4, v90
	ds_add_u32 v0, v91
	s_or_b64 exec, exec, s[20:21]
	v_cmp_lt_u32_e32 vcc, v21, v40
	s_and_saveexec_b64 s[20:21], vcc
	s_cbranch_execnz .LBB914_375
.LBB914_391:                            ;   in Loop: Header=BB914_328 Depth=2
	s_or_b64 exec, exec, s[20:21]
	v_cmp_lt_u32_e32 vcc, v23, v40
	s_and_saveexec_b64 s[20:21], vcc
	s_cbranch_execz .LBB914_376
.LBB914_392:                            ;   in Loop: Header=BB914_328 Depth=2
	v_xor_b32_e32 v0, 0x7fff, v31
	v_lshrrev_b32_sdwa v0, s99, v0 dst_sel:DWORD dst_unused:UNUSED_PAD src0_sel:DWORD src1_sel:WORD_0
	v_and_b32_e32 v0, s6, v0
	v_lshl_or_b32 v0, v0, 4, v90
	ds_add_u32 v0, v91
	s_or_b64 exec, exec, s[20:21]
	v_cmp_lt_u32_e32 vcc, v6, v40
	s_and_saveexec_b64 s[20:21], vcc
	s_cbranch_execnz .LBB914_377
.LBB914_393:                            ;   in Loop: Header=BB914_328 Depth=2
	s_or_b64 exec, exec, s[20:21]
	v_cmp_lt_u32_e32 vcc, v8, v40
	s_and_saveexec_b64 s[20:21], vcc
	s_cbranch_execz .LBB914_378
.LBB914_394:                            ;   in Loop: Header=BB914_328 Depth=2
	v_xor_b32_e32 v0, 0x7fff, v29
	v_lshrrev_b32_sdwa v0, s99, v0 dst_sel:DWORD dst_unused:UNUSED_PAD src0_sel:DWORD src1_sel:WORD_0
	v_and_b32_e32 v0, s6, v0
	v_lshl_or_b32 v0, v0, 4, v90
	ds_add_u32 v0, v91
	s_or_b64 exec, exec, s[20:21]
	v_cmp_lt_u32_e32 vcc, v10, v40
	s_and_saveexec_b64 s[20:21], vcc
	s_cbranch_execnz .LBB914_379
.LBB914_395:                            ;   in Loop: Header=BB914_328 Depth=2
	s_or_b64 exec, exec, s[20:21]
	v_cmp_lt_u32_e32 vcc, v12, v40
	s_and_saveexec_b64 s[20:21], vcc
	s_cbranch_execz .LBB914_380
.LBB914_396:                            ;   in Loop: Header=BB914_328 Depth=2
	v_xor_b32_e32 v0, 0x7fff, v27
	v_lshrrev_b32_sdwa v0, s99, v0 dst_sel:DWORD dst_unused:UNUSED_PAD src0_sel:DWORD src1_sel:WORD_0
	v_and_b32_e32 v0, s6, v0
	v_lshl_or_b32 v0, v0, 4, v90
	ds_add_u32 v0, v91
	s_or_b64 exec, exec, s[20:21]
	v_cmp_lt_u32_e32 vcc, v14, v40
	s_and_saveexec_b64 s[20:21], vcc
	s_cbranch_execnz .LBB914_381
.LBB914_397:                            ;   in Loop: Header=BB914_328 Depth=2
	s_or_b64 exec, exec, s[20:21]
	v_cmp_lt_u32_e32 vcc, v16, v40
	s_and_saveexec_b64 s[20:21], vcc
	s_cbranch_execz .LBB914_382
.LBB914_398:                            ;   in Loop: Header=BB914_328 Depth=2
	v_xor_b32_e32 v0, 0x7fff, v25
	v_lshrrev_b32_sdwa v0, s99, v0 dst_sel:DWORD dst_unused:UNUSED_PAD src0_sel:DWORD src1_sel:WORD_0
	v_and_b32_e32 v0, s6, v0
	v_lshl_or_b32 v0, v0, 4, v90
	ds_add_u32 v0, v91
	s_or_b64 exec, exec, s[20:21]
	v_cmp_lt_u32_e32 vcc, v18, v40
	s_and_saveexec_b64 s[20:21], vcc
	s_cbranch_execnz .LBB914_383
.LBB914_399:                            ;   in Loop: Header=BB914_328 Depth=2
	s_or_b64 exec, exec, s[20:21]
	v_cmp_lt_u32_e32 vcc, v20, v40
	s_and_saveexec_b64 s[20:21], vcc
	s_cbranch_execz .LBB914_384
.LBB914_400:                            ;   in Loop: Header=BB914_328 Depth=2
	v_xor_b32_e32 v0, 0x7fff, v5
	v_lshrrev_b32_sdwa v0, s99, v0 dst_sel:DWORD dst_unused:UNUSED_PAD src0_sel:DWORD src1_sel:WORD_0
	v_and_b32_e32 v0, s6, v0
	v_lshl_or_b32 v0, v0, 4, v90
	ds_add_u32 v0, v91
	s_or_b64 exec, exec, s[20:21]
	v_cmp_lt_u32_e32 vcc, v22, v40
	s_and_saveexec_b64 s[20:21], vcc
	s_cbranch_execz .LBB914_327
.LBB914_401:                            ;   in Loop: Header=BB914_328 Depth=2
	s_waitcnt vmcnt(0)
	v_xor_b32_e32 v0, 0x7fff, v39
	v_lshrrev_b32_sdwa v0, s99, v0 dst_sel:DWORD dst_unused:UNUSED_PAD src0_sel:DWORD src1_sel:WORD_0
	v_and_b32_e32 v0, s6, v0
	v_lshl_or_b32 v0, v0, 4, v90
	ds_add_u32 v0, v91
	s_branch .LBB914_327
.LBB914_402:                            ;   in Loop: Header=BB914_12 Depth=1
	v_mov_b32_e32 v0, 0
	s_waitcnt lgkmcnt(0)
	s_barrier
	s_and_saveexec_b64 s[20:21], s[4:5]
	s_cbranch_execz .LBB914_404
; %bb.403:                              ;   in Loop: Header=BB914_12 Depth=1
	ds_read2_b64 v[24:27], v59 offset1:1
	s_waitcnt lgkmcnt(0)
	v_add_u32_e32 v0, v25, v24
	v_add3_u32 v0, v0, v26, v27
.LBB914_404:                            ;   in Loop: Header=BB914_12 Depth=1
	s_or_b64 exec, exec, s[20:21]
	s_nop 0
	v_mov_b32_dpp v1, v0 row_shr:1 row_mask:0xf bank_mask:0xf
	v_cmp_eq_u32_e64 s[20:21], 0, v103
	v_cndmask_b32_e64 v1, v1, 0, s[20:21]
	v_add_u32_e32 v0, v1, v0
	v_cmp_lt_u32_e64 s[22:23], 1, v103
	v_cmp_lt_u32_e64 s[24:25], 3, v103
	v_mov_b32_dpp v1, v0 row_shr:2 row_mask:0xf bank_mask:0xf
	v_cndmask_b32_e64 v1, 0, v1, s[22:23]
	v_add_u32_e32 v0, v0, v1
	v_cmp_lt_u32_e64 s[26:27], 7, v103
	v_cmp_lt_u32_e64 s[30:31], 31, v102
	v_mov_b32_dpp v1, v0 row_shr:4 row_mask:0xf bank_mask:0xf
	v_cndmask_b32_e64 v1, 0, v1, s[24:25]
	v_add_u32_e32 v0, v0, v1
	v_cmp_eq_u32_e64 s[28:29], 0, v105
	s_nop 0
	v_mov_b32_dpp v1, v0 row_shr:8 row_mask:0xf bank_mask:0xf
	v_cndmask_b32_e64 v1, 0, v1, s[26:27]
	v_add_u32_e32 v0, v0, v1
	s_nop 1
	v_mov_b32_dpp v1, v0 row_bcast:15 row_mask:0xf bank_mask:0xf
	v_and_b32_e32 v1, v104, v1
	v_add_u32_e32 v0, v0, v1
	s_nop 1
	v_mov_b32_dpp v1, v0 row_bcast:31 row_mask:0xf bank_mask:0xf
	v_cndmask_b32_e64 v1, 0, v1, s[30:31]
	v_add_u32_e32 v0, v0, v1
	s_mov_b64 s[34:35], exec
	v_readlane_b32 s8, v232, 0
	v_readlane_b32 s9, v232, 1
	s_and_b64 s[8:9], s[34:35], s[8:9]
	s_mov_b64 exec, s[8:9]
	s_cbranch_execz .LBB914_406
; %bb.405:                              ;   in Loop: Header=BB914_12 Depth=1
	ds_write_b32 v61, v0
.LBB914_406:                            ;   in Loop: Header=BB914_12 Depth=1
	s_or_b64 exec, exec, s[34:35]
	s_waitcnt lgkmcnt(0)
	s_barrier
	s_mov_b64 s[34:35], exec
	v_readlane_b32 s8, v232, 2
	v_readlane_b32 s9, v232, 3
	s_and_b64 s[8:9], s[34:35], s[8:9]
	s_mov_b64 exec, s[8:9]
	s_cbranch_execz .LBB914_408
; %bb.407:                              ;   in Loop: Header=BB914_12 Depth=1
	ds_read_b32 v1, v62
	s_waitcnt lgkmcnt(0)
	s_nop 0
	v_mov_b32_dpp v5, v1 row_shr:1 row_mask:0xf bank_mask:0xf
	v_and_b32_e32 v5, v106, v5
	v_add_u32_e32 v1, v5, v1
	ds_write_b32 v62, v1
.LBB914_408:                            ;   in Loop: Header=BB914_12 Depth=1
	s_or_b64 exec, exec, s[34:35]
	v_mov_b32_e32 v1, 0
	s_waitcnt lgkmcnt(0)
	s_barrier
	s_and_saveexec_b64 s[34:35], s[10:11]
	s_cbranch_execz .LBB914_410
; %bb.409:                              ;   in Loop: Header=BB914_12 Depth=1
	ds_read_b32 v1, v63
.LBB914_410:                            ;   in Loop: Header=BB914_12 Depth=1
	s_or_b64 exec, exec, s[34:35]
	v_cmp_lt_i32_e32 vcc, v107, v108
	v_cndmask_b32_e32 v5, v107, v102, vcc
	s_waitcnt lgkmcnt(0)
	v_add_u32_e32 v0, v1, v0
	v_lshlrev_b32_e32 v129, 2, v5
	ds_bpermute_b32 v0, v129, v0
	v_cmp_eq_u32_e64 s[34:35], 0, v102
	s_waitcnt lgkmcnt(0)
	s_barrier
	s_and_saveexec_b64 s[36:37], s[4:5]
	s_cbranch_execz .LBB914_412
; %bb.411:                              ;   in Loop: Header=BB914_12 Depth=1
	v_cndmask_b32_e64 v0, v0, v1, s[34:35]
	v_add_u32_e32 v0, s75, v0
	ds_write_b32 v3, v0
.LBB914_412:                            ;   in Loop: Header=BB914_12 Depth=1
	s_or_b64 exec, exec, s[36:37]
	s_load_dwordx2 s[8:9], s[96:97], 0x0
	v_add_co_u32_e32 v130, vcc, v80, v110
	v_addc_co_u32_e32 v131, vcc, 0, v81, vcc
	s_waitcnt lgkmcnt(0)
	s_cmp_lt_u32 s74, s8
	s_cselect_b32 s7, 12, 18
	s_cmp_lt_u32 s33, s9
	s_cselect_b32 s8, 14, 20
	s_add_u32 s8, s96, s8
	s_addc_u32 s9, s97, 0
	s_add_u32 s36, s96, s7
	global_load_ushort v5, v4, s[8:9]
	s_addc_u32 s37, s97, 0
	global_load_ushort v56, v4, s[36:37]
	v_add_co_u32_e32 v132, vcc, v82, v128
	v_addc_co_u32_e32 v133, vcc, 0, v83, vcc
	v_add_co_u32_e32 v148, vcc, 0x800, v132
	v_cmp_eq_u32_e64 s[36:37], 0, v109
	v_cmp_lt_u32_e64 s[38:39], 1, v109
	s_mov_b32 s7, s91
	v_addc_co_u32_e32 v151, vcc, 0, v133, vcc
	s_mov_b32 s94, s75
                                        ; implicit-def: $vgpr0_vgpr1
                                        ; implicit-def: $vgpr24_vgpr25
                                        ; implicit-def: $vgpr26_vgpr27
                                        ; implicit-def: $vgpr28_vgpr29
                                        ; implicit-def: $vgpr32_vgpr33
                                        ; implicit-def: $vgpr36_vgpr37
                                        ; implicit-def: $vgpr40_vgpr41
                                        ; implicit-def: $vgpr44_vgpr45
                                        ; implicit-def: $vgpr48_vgpr49
                                        ; implicit-def: $vgpr30_vgpr31
                                        ; implicit-def: $vgpr34_vgpr35
                                        ; implicit-def: $vgpr38_vgpr39
                                        ; implicit-def: $vgpr42_vgpr43
                                        ; implicit-def: $vgpr46_vgpr47
                                        ; implicit-def: $vgpr50_vgpr51
                                        ; implicit-def: $vgpr52_vgpr53
                                        ; implicit-def: $vgpr54_vgpr55
                                        ; implicit-def: $vgpr134
                                        ; implicit-def: $vgpr135
                                        ; implicit-def: $vgpr136
                                        ; implicit-def: $vgpr137
                                        ; implicit-def: $vgpr138
                                        ; implicit-def: $vgpr139
                                        ; implicit-def: $vgpr140
                                        ; implicit-def: $vgpr141
                                        ; implicit-def: $vgpr142
                                        ; implicit-def: $vgpr143
                                        ; implicit-def: $vgpr144
                                        ; implicit-def: $vgpr145
                                        ; implicit-def: $vgpr146
                                        ; implicit-def: $vgpr147
                                        ; implicit-def: $vgpr149
                                        ; implicit-def: $vgpr150
                                        ; implicit-def: $vgpr152
                                        ; implicit-def: $vgpr154
                                        ; implicit-def: $vgpr155
	s_waitcnt vmcnt(1)
	v_mad_u32_u24 v5, v64, v5, v65
	s_waitcnt vmcnt(0)
	v_mad_u64_u32 v[56:57], s[8:9], v5, v56, v[2:3]
	v_lshrrev_b32_e32 v153, 6, v56
	s_branch .LBB914_414
.LBB914_413:                            ;   in Loop: Header=BB914_414 Depth=2
	s_or_b64 exec, exec, s[40:41]
	s_addk_i32 s7, 0xef00
	s_cmp_lt_u32 s8, s98
	s_mov_b32 s94, s8
	s_cbranch_scc0 .LBB914_636
.LBB914_414:                            ;   Parent Loop BB914_12 Depth=1
                                        ; =>  This Inner Loop Header: Depth=2
	s_add_i32 s8, s94, 0x1100
	s_cmp_gt_u32 s8, s98
	s_cbranch_scc1 .LBB914_417
; %bb.415:                              ;   in Loop: Header=BB914_414 Depth=2
	s_lshl_b64 s[40:41], s[94:95], 1
	v_mov_b32_e32 v5, s41
	v_add_co_u32_e32 v56, vcc, s40, v132
	v_addc_co_u32_e32 v57, vcc, v133, v5, vcc
	global_load_ushort v5, v[56:57], off
	global_load_ushort v160, v[56:57], off offset:128
	global_load_ushort v165, v[56:57], off offset:256
	;; [unrolled: 1-line block ×15, first 2 shown]
	s_mov_b64 s[40:41], -1
	s_movk_i32 s9, 0x1100
	s_cbranch_execz .LBB914_418
; %bb.416:                              ;   in Loop: Header=BB914_414 Depth=2
                                        ; implicit-def: $sgpr42
	v_mov_b32_e32 v166, s42
	v_mov_b32_e32 v156, s7
	s_and_saveexec_b64 s[42:43], s[40:41]
	s_cbranch_execnz .LBB914_451
	s_branch .LBB914_452
.LBB914_417:                            ;   in Loop: Header=BB914_414 Depth=2
	s_mov_b64 s[40:41], 0
                                        ; implicit-def: $sgpr9
                                        ; implicit-def: $vgpr5
                                        ; implicit-def: $vgpr160
                                        ; implicit-def: $vgpr165
                                        ; implicit-def: $vgpr171
                                        ; implicit-def: $vgpr176
                                        ; implicit-def: $vgpr181
                                        ; implicit-def: $vgpr186
                                        ; implicit-def: $vgpr191
                                        ; implicit-def: $vgpr193
                                        ; implicit-def: $vgpr188
                                        ; implicit-def: $vgpr184
                                        ; implicit-def: $vgpr179
                                        ; implicit-def: $vgpr174
                                        ; implicit-def: $vgpr169
                                        ; implicit-def: $vgpr164
                                        ; implicit-def: $vgpr159
.LBB914_418:                            ;   in Loop: Header=BB914_414 Depth=2
	s_lshl_b64 s[40:41], s[94:95], 1
	s_waitcnt vmcnt(15)
	v_mov_b32_e32 v5, s41
	v_add_co_u32_e32 v56, vcc, s40, v132
	v_addc_co_u32_e32 v57, vcc, v133, v5, vcc
	v_cmp_gt_u32_e32 vcc, s7, v111
	s_waitcnt vmcnt(14)
	v_mov_b32_e32 v160, 0xffff8000
	v_mov_b32_e32 v5, 0xffff8000
	s_and_saveexec_b64 s[40:41], vcc
	s_cbranch_execz .LBB914_420
; %bb.419:                              ;   in Loop: Header=BB914_414 Depth=2
	global_load_ushort v5, v[56:57], off
.LBB914_420:                            ;   in Loop: Header=BB914_414 Depth=2
	s_or_b64 exec, exec, s[40:41]
	v_cmp_gt_u32_e32 vcc, s7, v112
	s_and_saveexec_b64 s[40:41], vcc
	s_cbranch_execz .LBB914_422
; %bb.421:                              ;   in Loop: Header=BB914_414 Depth=2
	global_load_ushort v160, v[56:57], off offset:128
.LBB914_422:                            ;   in Loop: Header=BB914_414 Depth=2
	s_or_b64 exec, exec, s[40:41]
	v_cmp_gt_u32_e32 vcc, s7, v113
	s_waitcnt vmcnt(12)
	v_mov_b32_e32 v171, 0xffff8000
	v_mov_b32_e32 v165, 0xffff8000
	s_and_saveexec_b64 s[40:41], vcc
	s_cbranch_execz .LBB914_424
; %bb.423:                              ;   in Loop: Header=BB914_414 Depth=2
	global_load_ushort v165, v[56:57], off offset:256
.LBB914_424:                            ;   in Loop: Header=BB914_414 Depth=2
	s_or_b64 exec, exec, s[40:41]
	v_cmp_gt_u32_e32 vcc, s7, v114
	s_and_saveexec_b64 s[40:41], vcc
	s_cbranch_execz .LBB914_426
; %bb.425:                              ;   in Loop: Header=BB914_414 Depth=2
	global_load_ushort v171, v[56:57], off offset:384
.LBB914_426:                            ;   in Loop: Header=BB914_414 Depth=2
	s_or_b64 exec, exec, s[40:41]
	v_cmp_gt_u32_e32 vcc, s7, v115
	s_waitcnt vmcnt(10)
	v_mov_b32_e32 v181, 0xffff8000
	v_mov_b32_e32 v176, 0xffff8000
	s_and_saveexec_b64 s[40:41], vcc
	s_cbranch_execz .LBB914_428
; %bb.427:                              ;   in Loop: Header=BB914_414 Depth=2
	global_load_ushort v176, v[56:57], off offset:512
.LBB914_428:                            ;   in Loop: Header=BB914_414 Depth=2
	;; [unrolled: 17-line block ×7, first 2 shown]
	s_or_b64 exec, exec, s[40:41]
	v_cmp_gt_u32_e32 vcc, s7, v126
	s_and_saveexec_b64 s[40:41], vcc
	s_cbranch_execz .LBB914_450
; %bb.449:                              ;   in Loop: Header=BB914_414 Depth=2
	global_load_ushort v159, v[56:57], off offset:1920
.LBB914_450:                            ;   in Loop: Header=BB914_414 Depth=2
	s_or_b64 exec, exec, s[40:41]
	s_sub_i32 s9, s98, s94
	v_cmp_gt_u32_e64 s[40:41], s7, v127
	s_movk_i32 s42, 0x8000
	v_mov_b32_e32 v166, s42
	v_mov_b32_e32 v156, s7
	s_and_saveexec_b64 s[42:43], s[40:41]
	s_cbranch_execz .LBB914_452
.LBB914_451:                            ;   in Loop: Header=BB914_414 Depth=2
	s_lshl_b64 s[40:41], s[94:95], 1
	v_mov_b32_e32 v57, s41
	v_add_co_u32_e32 v56, vcc, s40, v148
	v_addc_co_u32_e32 v57, vcc, v151, v57, vcc
	global_load_ushort v166, v[56:57], off
	v_mov_b32_e32 v156, s9
.LBB914_452:                            ;   in Loop: Header=BB914_414 Depth=2
	s_or_b64 exec, exec, s[42:43]
	s_waitcnt vmcnt(15)
	v_xor_b32_e32 v157, 0x7fff, v5
	v_lshrrev_b32_sdwa v5, s99, v157 dst_sel:DWORD dst_unused:UNUSED_PAD src0_sel:DWORD src1_sel:WORD_0
	v_and_b32_e32 v56, s6, v5
	v_mad_u32_u24 v5, v56, 5, v153
	v_lshl_add_u32 v158, v5, 2, v66
	v_and_b32_e32 v5, 1, v56
	v_add_co_u32_e32 v57, vcc, -1, v5
	v_addc_co_u32_e64 v161, s[40:41], 0, -1, vcc
	v_cmp_ne_u32_e32 vcc, 0, v5
	v_xor_b32_e32 v5, vcc_hi, v161
	v_and_b32_e32 v161, exec_hi, v5
	v_lshlrev_b32_e32 v5, 30, v56
	v_xor_b32_e32 v57, vcc_lo, v57
	v_cmp_gt_i64_e32 vcc, 0, v[4:5]
	v_not_b32_e32 v5, v5
	v_ashrrev_i32_e32 v5, 31, v5
	v_and_b32_e32 v57, exec_lo, v57
	v_xor_b32_e32 v162, vcc_hi, v5
	v_xor_b32_e32 v5, vcc_lo, v5
	v_and_b32_e32 v57, v57, v5
	v_lshlrev_b32_e32 v5, 29, v56
	v_cmp_gt_i64_e32 vcc, 0, v[4:5]
	v_not_b32_e32 v5, v5
	v_ashrrev_i32_e32 v5, 31, v5
	v_and_b32_e32 v161, v161, v162
	v_xor_b32_e32 v162, vcc_hi, v5
	v_xor_b32_e32 v5, vcc_lo, v5
	v_and_b32_e32 v57, v57, v5
	v_lshlrev_b32_e32 v5, 28, v56
	v_cmp_gt_i64_e32 vcc, 0, v[4:5]
	v_not_b32_e32 v5, v5
	v_ashrrev_i32_e32 v5, 31, v5
	v_and_b32_e32 v161, v161, v162
	;; [unrolled: 8-line block ×4, first 2 shown]
	v_xor_b32_e32 v162, vcc_hi, v5
	v_xor_b32_e32 v5, vcc_lo, v5
	v_and_b32_e32 v161, v161, v162
	v_and_b32_e32 v162, v57, v5
	v_lshlrev_b32_e32 v5, 25, v56
	v_cmp_gt_i64_e32 vcc, 0, v[4:5]
	v_not_b32_e32 v5, v5
	v_ashrrev_i32_e32 v5, 31, v5
	v_xor_b32_e32 v56, vcc_hi, v5
	v_xor_b32_e32 v5, vcc_lo, v5
	v_and_b32_e32 v57, v161, v56
	v_and_b32_e32 v56, v162, v5
	v_mbcnt_lo_u32_b32 v5, v56, 0
	v_mbcnt_hi_u32_b32 v161, v57, v5
	v_cmp_eq_u32_e32 vcc, 0, v161
	v_cmp_ne_u64_e64 s[40:41], 0, v[56:57]
	s_and_b64 s[42:43], s[40:41], vcc
	ds_write2_b32 v58, v4, v4 offset0:132 offset1:133
	ds_write_b32 v67, v4 offset:8
	s_waitcnt lgkmcnt(0)
	s_barrier
	s_waitcnt lgkmcnt(0)
	; wave barrier
	s_and_saveexec_b64 s[40:41], s[42:43]
	s_cbranch_execz .LBB914_454
; %bb.453:                              ;   in Loop: Header=BB914_414 Depth=2
	v_bcnt_u32_b32 v5, v56, 0
	v_bcnt_u32_b32 v5, v57, v5
	ds_write_b32 v158, v5
.LBB914_454:                            ;   in Loop: Header=BB914_414 Depth=2
	s_or_b64 exec, exec, s[40:41]
	s_waitcnt vmcnt(14)
	v_xor_b32_e32 v160, 0x7fff, v160
	v_lshrrev_b32_sdwa v5, s99, v160 dst_sel:DWORD dst_unused:UNUSED_PAD src0_sel:DWORD src1_sel:WORD_0
	v_and_b32_e32 v56, s6, v5
	v_mul_u32_u24_e32 v5, 5, v56
	v_add_lshl_u32 v5, v5, v153, 2
	; wave barrier
	v_add_u32_e32 v163, 0x210, v5
	ds_read_b32 v162, v5 offset:528
	v_and_b32_e32 v5, 1, v56
	v_add_co_u32_e32 v57, vcc, -1, v5
	v_addc_co_u32_e64 v167, s[40:41], 0, -1, vcc
	v_cmp_ne_u32_e32 vcc, 0, v5
	v_xor_b32_e32 v5, vcc_hi, v167
	v_and_b32_e32 v167, exec_hi, v5
	v_lshlrev_b32_e32 v5, 30, v56
	v_xor_b32_e32 v57, vcc_lo, v57
	v_cmp_gt_i64_e32 vcc, 0, v[4:5]
	v_not_b32_e32 v5, v5
	v_ashrrev_i32_e32 v5, 31, v5
	v_and_b32_e32 v57, exec_lo, v57
	v_xor_b32_e32 v168, vcc_hi, v5
	v_xor_b32_e32 v5, vcc_lo, v5
	v_and_b32_e32 v57, v57, v5
	v_lshlrev_b32_e32 v5, 29, v56
	v_cmp_gt_i64_e32 vcc, 0, v[4:5]
	v_not_b32_e32 v5, v5
	v_ashrrev_i32_e32 v5, 31, v5
	v_and_b32_e32 v167, v167, v168
	v_xor_b32_e32 v168, vcc_hi, v5
	v_xor_b32_e32 v5, vcc_lo, v5
	v_and_b32_e32 v57, v57, v5
	v_lshlrev_b32_e32 v5, 28, v56
	v_cmp_gt_i64_e32 vcc, 0, v[4:5]
	v_not_b32_e32 v5, v5
	v_ashrrev_i32_e32 v5, 31, v5
	v_and_b32_e32 v167, v167, v168
	v_xor_b32_e32 v168, vcc_hi, v5
	v_xor_b32_e32 v5, vcc_lo, v5
	v_and_b32_e32 v57, v57, v5
	v_lshlrev_b32_e32 v5, 27, v56
	v_cmp_gt_i64_e32 vcc, 0, v[4:5]
	v_not_b32_e32 v5, v5
	v_ashrrev_i32_e32 v5, 31, v5
	v_and_b32_e32 v167, v167, v168
	v_xor_b32_e32 v168, vcc_hi, v5
	v_xor_b32_e32 v5, vcc_lo, v5
	v_and_b32_e32 v57, v57, v5
	v_lshlrev_b32_e32 v5, 26, v56
	v_cmp_gt_i64_e32 vcc, 0, v[4:5]
	v_not_b32_e32 v5, v5
	v_ashrrev_i32_e32 v5, 31, v5
	v_and_b32_e32 v167, v167, v168
	v_xor_b32_e32 v168, vcc_hi, v5
	v_xor_b32_e32 v5, vcc_lo, v5
	v_and_b32_e32 v167, v167, v168
	v_and_b32_e32 v168, v57, v5
	v_lshlrev_b32_e32 v5, 25, v56
	v_cmp_gt_i64_e32 vcc, 0, v[4:5]
	v_not_b32_e32 v5, v5
	v_ashrrev_i32_e32 v5, 31, v5
	v_xor_b32_e32 v56, vcc_hi, v5
	v_xor_b32_e32 v5, vcc_lo, v5
	v_and_b32_e32 v57, v167, v56
	v_and_b32_e32 v56, v168, v5
	v_mbcnt_lo_u32_b32 v5, v56, 0
	v_mbcnt_hi_u32_b32 v167, v57, v5
	v_cmp_eq_u32_e32 vcc, 0, v167
	v_cmp_ne_u64_e64 s[40:41], 0, v[56:57]
	s_and_b64 s[42:43], s[40:41], vcc
	; wave barrier
	s_and_saveexec_b64 s[40:41], s[42:43]
	s_cbranch_execz .LBB914_456
; %bb.455:                              ;   in Loop: Header=BB914_414 Depth=2
	v_bcnt_u32_b32 v5, v56, 0
	v_bcnt_u32_b32 v5, v57, v5
	s_waitcnt lgkmcnt(0)
	v_add_u32_e32 v5, v162, v5
	ds_write_b32 v163, v5
.LBB914_456:                            ;   in Loop: Header=BB914_414 Depth=2
	s_or_b64 exec, exec, s[40:41]
	s_waitcnt vmcnt(13)
	v_xor_b32_e32 v165, 0x7fff, v165
	v_lshrrev_b32_sdwa v5, s99, v165 dst_sel:DWORD dst_unused:UNUSED_PAD src0_sel:DWORD src1_sel:WORD_0
	v_and_b32_e32 v56, s6, v5
	v_mul_u32_u24_e32 v5, 5, v56
	v_add_lshl_u32 v5, v5, v153, 2
	; wave barrier
	v_add_u32_e32 v170, 0x210, v5
	ds_read_b32 v168, v5 offset:528
	v_and_b32_e32 v5, 1, v56
	v_add_co_u32_e32 v57, vcc, -1, v5
	v_addc_co_u32_e64 v172, s[40:41], 0, -1, vcc
	v_cmp_ne_u32_e32 vcc, 0, v5
	v_xor_b32_e32 v5, vcc_hi, v172
	v_and_b32_e32 v172, exec_hi, v5
	v_lshlrev_b32_e32 v5, 30, v56
	v_xor_b32_e32 v57, vcc_lo, v57
	v_cmp_gt_i64_e32 vcc, 0, v[4:5]
	v_not_b32_e32 v5, v5
	v_ashrrev_i32_e32 v5, 31, v5
	v_and_b32_e32 v57, exec_lo, v57
	v_xor_b32_e32 v173, vcc_hi, v5
	v_xor_b32_e32 v5, vcc_lo, v5
	v_and_b32_e32 v57, v57, v5
	v_lshlrev_b32_e32 v5, 29, v56
	v_cmp_gt_i64_e32 vcc, 0, v[4:5]
	v_not_b32_e32 v5, v5
	v_ashrrev_i32_e32 v5, 31, v5
	v_and_b32_e32 v172, v172, v173
	v_xor_b32_e32 v173, vcc_hi, v5
	v_xor_b32_e32 v5, vcc_lo, v5
	v_and_b32_e32 v57, v57, v5
	v_lshlrev_b32_e32 v5, 28, v56
	v_cmp_gt_i64_e32 vcc, 0, v[4:5]
	v_not_b32_e32 v5, v5
	v_ashrrev_i32_e32 v5, 31, v5
	v_and_b32_e32 v172, v172, v173
	;; [unrolled: 8-line block ×4, first 2 shown]
	v_xor_b32_e32 v173, vcc_hi, v5
	v_xor_b32_e32 v5, vcc_lo, v5
	v_and_b32_e32 v172, v172, v173
	v_and_b32_e32 v173, v57, v5
	v_lshlrev_b32_e32 v5, 25, v56
	v_cmp_gt_i64_e32 vcc, 0, v[4:5]
	v_not_b32_e32 v5, v5
	v_ashrrev_i32_e32 v5, 31, v5
	v_xor_b32_e32 v56, vcc_hi, v5
	v_xor_b32_e32 v5, vcc_lo, v5
	v_and_b32_e32 v57, v172, v56
	v_and_b32_e32 v56, v173, v5
	v_mbcnt_lo_u32_b32 v5, v56, 0
	v_mbcnt_hi_u32_b32 v172, v57, v5
	v_cmp_eq_u32_e32 vcc, 0, v172
	v_cmp_ne_u64_e64 s[40:41], 0, v[56:57]
	s_and_b64 s[42:43], s[40:41], vcc
	; wave barrier
	s_and_saveexec_b64 s[40:41], s[42:43]
	s_cbranch_execz .LBB914_458
; %bb.457:                              ;   in Loop: Header=BB914_414 Depth=2
	v_bcnt_u32_b32 v5, v56, 0
	v_bcnt_u32_b32 v5, v57, v5
	s_waitcnt lgkmcnt(0)
	v_add_u32_e32 v5, v168, v5
	ds_write_b32 v170, v5
.LBB914_458:                            ;   in Loop: Header=BB914_414 Depth=2
	s_or_b64 exec, exec, s[40:41]
	s_waitcnt vmcnt(12)
	v_xor_b32_e32 v171, 0x7fff, v171
	v_lshrrev_b32_sdwa v5, s99, v171 dst_sel:DWORD dst_unused:UNUSED_PAD src0_sel:DWORD src1_sel:WORD_0
	v_and_b32_e32 v56, s6, v5
	v_mul_u32_u24_e32 v5, 5, v56
	v_add_lshl_u32 v5, v5, v153, 2
	; wave barrier
	v_add_u32_e32 v175, 0x210, v5
	ds_read_b32 v173, v5 offset:528
	v_and_b32_e32 v5, 1, v56
	v_add_co_u32_e32 v57, vcc, -1, v5
	v_addc_co_u32_e64 v177, s[40:41], 0, -1, vcc
	v_cmp_ne_u32_e32 vcc, 0, v5
	v_xor_b32_e32 v5, vcc_hi, v177
	v_and_b32_e32 v177, exec_hi, v5
	v_lshlrev_b32_e32 v5, 30, v56
	v_xor_b32_e32 v57, vcc_lo, v57
	v_cmp_gt_i64_e32 vcc, 0, v[4:5]
	v_not_b32_e32 v5, v5
	v_ashrrev_i32_e32 v5, 31, v5
	v_and_b32_e32 v57, exec_lo, v57
	v_xor_b32_e32 v178, vcc_hi, v5
	v_xor_b32_e32 v5, vcc_lo, v5
	v_and_b32_e32 v57, v57, v5
	v_lshlrev_b32_e32 v5, 29, v56
	v_cmp_gt_i64_e32 vcc, 0, v[4:5]
	v_not_b32_e32 v5, v5
	v_ashrrev_i32_e32 v5, 31, v5
	v_and_b32_e32 v177, v177, v178
	v_xor_b32_e32 v178, vcc_hi, v5
	v_xor_b32_e32 v5, vcc_lo, v5
	v_and_b32_e32 v57, v57, v5
	v_lshlrev_b32_e32 v5, 28, v56
	v_cmp_gt_i64_e32 vcc, 0, v[4:5]
	v_not_b32_e32 v5, v5
	v_ashrrev_i32_e32 v5, 31, v5
	v_and_b32_e32 v177, v177, v178
	;; [unrolled: 8-line block ×4, first 2 shown]
	v_xor_b32_e32 v178, vcc_hi, v5
	v_xor_b32_e32 v5, vcc_lo, v5
	v_and_b32_e32 v177, v177, v178
	v_and_b32_e32 v178, v57, v5
	v_lshlrev_b32_e32 v5, 25, v56
	v_cmp_gt_i64_e32 vcc, 0, v[4:5]
	v_not_b32_e32 v5, v5
	v_ashrrev_i32_e32 v5, 31, v5
	v_xor_b32_e32 v56, vcc_hi, v5
	v_xor_b32_e32 v5, vcc_lo, v5
	v_and_b32_e32 v57, v177, v56
	v_and_b32_e32 v56, v178, v5
	v_mbcnt_lo_u32_b32 v5, v56, 0
	v_mbcnt_hi_u32_b32 v177, v57, v5
	v_cmp_eq_u32_e32 vcc, 0, v177
	v_cmp_ne_u64_e64 s[40:41], 0, v[56:57]
	s_and_b64 s[42:43], s[40:41], vcc
	; wave barrier
	s_and_saveexec_b64 s[40:41], s[42:43]
	s_cbranch_execz .LBB914_460
; %bb.459:                              ;   in Loop: Header=BB914_414 Depth=2
	v_bcnt_u32_b32 v5, v56, 0
	v_bcnt_u32_b32 v5, v57, v5
	s_waitcnt lgkmcnt(0)
	v_add_u32_e32 v5, v173, v5
	ds_write_b32 v175, v5
.LBB914_460:                            ;   in Loop: Header=BB914_414 Depth=2
	s_or_b64 exec, exec, s[40:41]
	s_waitcnt vmcnt(11)
	v_xor_b32_e32 v176, 0x7fff, v176
	v_lshrrev_b32_sdwa v5, s99, v176 dst_sel:DWORD dst_unused:UNUSED_PAD src0_sel:DWORD src1_sel:WORD_0
	v_and_b32_e32 v56, s6, v5
	v_mul_u32_u24_e32 v5, 5, v56
	v_add_lshl_u32 v5, v5, v153, 2
	; wave barrier
	v_add_u32_e32 v180, 0x210, v5
	ds_read_b32 v178, v5 offset:528
	v_and_b32_e32 v5, 1, v56
	v_add_co_u32_e32 v57, vcc, -1, v5
	v_addc_co_u32_e64 v182, s[40:41], 0, -1, vcc
	v_cmp_ne_u32_e32 vcc, 0, v5
	v_xor_b32_e32 v5, vcc_hi, v182
	v_and_b32_e32 v182, exec_hi, v5
	v_lshlrev_b32_e32 v5, 30, v56
	v_xor_b32_e32 v57, vcc_lo, v57
	v_cmp_gt_i64_e32 vcc, 0, v[4:5]
	v_not_b32_e32 v5, v5
	v_ashrrev_i32_e32 v5, 31, v5
	v_and_b32_e32 v57, exec_lo, v57
	v_xor_b32_e32 v183, vcc_hi, v5
	v_xor_b32_e32 v5, vcc_lo, v5
	v_and_b32_e32 v57, v57, v5
	v_lshlrev_b32_e32 v5, 29, v56
	v_cmp_gt_i64_e32 vcc, 0, v[4:5]
	v_not_b32_e32 v5, v5
	v_ashrrev_i32_e32 v5, 31, v5
	v_and_b32_e32 v182, v182, v183
	v_xor_b32_e32 v183, vcc_hi, v5
	v_xor_b32_e32 v5, vcc_lo, v5
	v_and_b32_e32 v57, v57, v5
	v_lshlrev_b32_e32 v5, 28, v56
	v_cmp_gt_i64_e32 vcc, 0, v[4:5]
	v_not_b32_e32 v5, v5
	v_ashrrev_i32_e32 v5, 31, v5
	v_and_b32_e32 v182, v182, v183
	;; [unrolled: 8-line block ×4, first 2 shown]
	v_xor_b32_e32 v183, vcc_hi, v5
	v_xor_b32_e32 v5, vcc_lo, v5
	v_and_b32_e32 v182, v182, v183
	v_and_b32_e32 v183, v57, v5
	v_lshlrev_b32_e32 v5, 25, v56
	v_cmp_gt_i64_e32 vcc, 0, v[4:5]
	v_not_b32_e32 v5, v5
	v_ashrrev_i32_e32 v5, 31, v5
	v_xor_b32_e32 v56, vcc_hi, v5
	v_xor_b32_e32 v5, vcc_lo, v5
	v_and_b32_e32 v57, v182, v56
	v_and_b32_e32 v56, v183, v5
	v_mbcnt_lo_u32_b32 v5, v56, 0
	v_mbcnt_hi_u32_b32 v182, v57, v5
	v_cmp_eq_u32_e32 vcc, 0, v182
	v_cmp_ne_u64_e64 s[40:41], 0, v[56:57]
	s_and_b64 s[42:43], s[40:41], vcc
	; wave barrier
	s_and_saveexec_b64 s[40:41], s[42:43]
	s_cbranch_execz .LBB914_462
; %bb.461:                              ;   in Loop: Header=BB914_414 Depth=2
	v_bcnt_u32_b32 v5, v56, 0
	v_bcnt_u32_b32 v5, v57, v5
	s_waitcnt lgkmcnt(0)
	v_add_u32_e32 v5, v178, v5
	ds_write_b32 v180, v5
.LBB914_462:                            ;   in Loop: Header=BB914_414 Depth=2
	s_or_b64 exec, exec, s[40:41]
	s_waitcnt vmcnt(10)
	v_xor_b32_e32 v181, 0x7fff, v181
	v_lshrrev_b32_sdwa v5, s99, v181 dst_sel:DWORD dst_unused:UNUSED_PAD src0_sel:DWORD src1_sel:WORD_0
	v_and_b32_e32 v56, s6, v5
	v_mul_u32_u24_e32 v5, 5, v56
	v_add_lshl_u32 v5, v5, v153, 2
	; wave barrier
	v_add_u32_e32 v185, 0x210, v5
	ds_read_b32 v183, v5 offset:528
	v_and_b32_e32 v5, 1, v56
	v_add_co_u32_e32 v57, vcc, -1, v5
	v_addc_co_u32_e64 v187, s[40:41], 0, -1, vcc
	v_cmp_ne_u32_e32 vcc, 0, v5
	v_xor_b32_e32 v5, vcc_hi, v187
	v_and_b32_e32 v187, exec_hi, v5
	v_lshlrev_b32_e32 v5, 30, v56
	v_xor_b32_e32 v57, vcc_lo, v57
	v_cmp_gt_i64_e32 vcc, 0, v[4:5]
	v_not_b32_e32 v5, v5
	v_ashrrev_i32_e32 v5, 31, v5
	v_and_b32_e32 v57, exec_lo, v57
	v_xor_b32_e32 v189, vcc_hi, v5
	v_xor_b32_e32 v5, vcc_lo, v5
	v_and_b32_e32 v57, v57, v5
	v_lshlrev_b32_e32 v5, 29, v56
	v_cmp_gt_i64_e32 vcc, 0, v[4:5]
	v_not_b32_e32 v5, v5
	v_ashrrev_i32_e32 v5, 31, v5
	v_and_b32_e32 v187, v187, v189
	v_xor_b32_e32 v189, vcc_hi, v5
	v_xor_b32_e32 v5, vcc_lo, v5
	v_and_b32_e32 v57, v57, v5
	v_lshlrev_b32_e32 v5, 28, v56
	v_cmp_gt_i64_e32 vcc, 0, v[4:5]
	v_not_b32_e32 v5, v5
	v_ashrrev_i32_e32 v5, 31, v5
	v_and_b32_e32 v187, v187, v189
	;; [unrolled: 8-line block ×4, first 2 shown]
	v_xor_b32_e32 v189, vcc_hi, v5
	v_xor_b32_e32 v5, vcc_lo, v5
	v_and_b32_e32 v187, v187, v189
	v_and_b32_e32 v189, v57, v5
	v_lshlrev_b32_e32 v5, 25, v56
	v_cmp_gt_i64_e32 vcc, 0, v[4:5]
	v_not_b32_e32 v5, v5
	v_ashrrev_i32_e32 v5, 31, v5
	v_xor_b32_e32 v56, vcc_hi, v5
	v_xor_b32_e32 v5, vcc_lo, v5
	v_and_b32_e32 v57, v187, v56
	v_and_b32_e32 v56, v189, v5
	v_mbcnt_lo_u32_b32 v5, v56, 0
	v_mbcnt_hi_u32_b32 v187, v57, v5
	v_cmp_eq_u32_e32 vcc, 0, v187
	v_cmp_ne_u64_e64 s[40:41], 0, v[56:57]
	s_and_b64 s[42:43], s[40:41], vcc
	; wave barrier
	s_and_saveexec_b64 s[40:41], s[42:43]
	s_cbranch_execz .LBB914_464
; %bb.463:                              ;   in Loop: Header=BB914_414 Depth=2
	v_bcnt_u32_b32 v5, v56, 0
	v_bcnt_u32_b32 v5, v57, v5
	s_waitcnt lgkmcnt(0)
	v_add_u32_e32 v5, v183, v5
	ds_write_b32 v185, v5
.LBB914_464:                            ;   in Loop: Header=BB914_414 Depth=2
	s_or_b64 exec, exec, s[40:41]
	s_waitcnt vmcnt(9)
	v_xor_b32_e32 v186, 0x7fff, v186
	v_lshrrev_b32_sdwa v5, s99, v186 dst_sel:DWORD dst_unused:UNUSED_PAD src0_sel:DWORD src1_sel:WORD_0
	v_and_b32_e32 v56, s6, v5
	v_mul_u32_u24_e32 v5, 5, v56
	v_add_lshl_u32 v5, v5, v153, 2
	; wave barrier
	v_add_u32_e32 v190, 0x210, v5
	ds_read_b32 v189, v5 offset:528
	v_and_b32_e32 v5, 1, v56
	v_add_co_u32_e32 v57, vcc, -1, v5
	v_addc_co_u32_e64 v192, s[40:41], 0, -1, vcc
	v_cmp_ne_u32_e32 vcc, 0, v5
	v_xor_b32_e32 v5, vcc_hi, v192
	v_and_b32_e32 v192, exec_hi, v5
	v_lshlrev_b32_e32 v5, 30, v56
	v_xor_b32_e32 v57, vcc_lo, v57
	v_cmp_gt_i64_e32 vcc, 0, v[4:5]
	v_not_b32_e32 v5, v5
	v_ashrrev_i32_e32 v5, 31, v5
	v_and_b32_e32 v57, exec_lo, v57
	v_xor_b32_e32 v194, vcc_hi, v5
	v_xor_b32_e32 v5, vcc_lo, v5
	v_and_b32_e32 v57, v57, v5
	v_lshlrev_b32_e32 v5, 29, v56
	v_cmp_gt_i64_e32 vcc, 0, v[4:5]
	v_not_b32_e32 v5, v5
	v_ashrrev_i32_e32 v5, 31, v5
	v_and_b32_e32 v192, v192, v194
	v_xor_b32_e32 v194, vcc_hi, v5
	v_xor_b32_e32 v5, vcc_lo, v5
	v_and_b32_e32 v57, v57, v5
	v_lshlrev_b32_e32 v5, 28, v56
	v_cmp_gt_i64_e32 vcc, 0, v[4:5]
	v_not_b32_e32 v5, v5
	v_ashrrev_i32_e32 v5, 31, v5
	v_and_b32_e32 v192, v192, v194
	;; [unrolled: 8-line block ×4, first 2 shown]
	v_xor_b32_e32 v194, vcc_hi, v5
	v_xor_b32_e32 v5, vcc_lo, v5
	v_and_b32_e32 v192, v192, v194
	v_and_b32_e32 v194, v57, v5
	v_lshlrev_b32_e32 v5, 25, v56
	v_cmp_gt_i64_e32 vcc, 0, v[4:5]
	v_not_b32_e32 v5, v5
	v_ashrrev_i32_e32 v5, 31, v5
	v_xor_b32_e32 v56, vcc_hi, v5
	v_xor_b32_e32 v5, vcc_lo, v5
	v_and_b32_e32 v57, v192, v56
	v_and_b32_e32 v56, v194, v5
	v_mbcnt_lo_u32_b32 v5, v56, 0
	v_mbcnt_hi_u32_b32 v192, v57, v5
	v_cmp_eq_u32_e32 vcc, 0, v192
	v_cmp_ne_u64_e64 s[40:41], 0, v[56:57]
	s_and_b64 s[42:43], s[40:41], vcc
	; wave barrier
	s_and_saveexec_b64 s[40:41], s[42:43]
	s_cbranch_execz .LBB914_466
; %bb.465:                              ;   in Loop: Header=BB914_414 Depth=2
	v_bcnt_u32_b32 v5, v56, 0
	v_bcnt_u32_b32 v5, v57, v5
	s_waitcnt lgkmcnt(0)
	v_add_u32_e32 v5, v189, v5
	ds_write_b32 v190, v5
.LBB914_466:                            ;   in Loop: Header=BB914_414 Depth=2
	s_or_b64 exec, exec, s[40:41]
	s_waitcnt vmcnt(8)
	v_xor_b32_e32 v191, 0x7fff, v191
	v_lshrrev_b32_sdwa v5, s99, v191 dst_sel:DWORD dst_unused:UNUSED_PAD src0_sel:DWORD src1_sel:WORD_0
	v_and_b32_e32 v56, s6, v5
	v_mul_u32_u24_e32 v5, 5, v56
	v_add_lshl_u32 v5, v5, v153, 2
	; wave barrier
	v_add_u32_e32 v195, 0x210, v5
	ds_read_b32 v194, v5 offset:528
	v_and_b32_e32 v5, 1, v56
	v_add_co_u32_e32 v57, vcc, -1, v5
	v_addc_co_u32_e64 v196, s[40:41], 0, -1, vcc
	v_cmp_ne_u32_e32 vcc, 0, v5
	v_xor_b32_e32 v5, vcc_hi, v196
	v_and_b32_e32 v196, exec_hi, v5
	v_lshlrev_b32_e32 v5, 30, v56
	v_xor_b32_e32 v57, vcc_lo, v57
	v_cmp_gt_i64_e32 vcc, 0, v[4:5]
	v_not_b32_e32 v5, v5
	v_ashrrev_i32_e32 v5, 31, v5
	v_and_b32_e32 v57, exec_lo, v57
	v_xor_b32_e32 v197, vcc_hi, v5
	v_xor_b32_e32 v5, vcc_lo, v5
	v_and_b32_e32 v57, v57, v5
	v_lshlrev_b32_e32 v5, 29, v56
	v_cmp_gt_i64_e32 vcc, 0, v[4:5]
	v_not_b32_e32 v5, v5
	v_ashrrev_i32_e32 v5, 31, v5
	v_and_b32_e32 v196, v196, v197
	v_xor_b32_e32 v197, vcc_hi, v5
	v_xor_b32_e32 v5, vcc_lo, v5
	v_and_b32_e32 v57, v57, v5
	v_lshlrev_b32_e32 v5, 28, v56
	v_cmp_gt_i64_e32 vcc, 0, v[4:5]
	v_not_b32_e32 v5, v5
	v_ashrrev_i32_e32 v5, 31, v5
	v_and_b32_e32 v196, v196, v197
	;; [unrolled: 8-line block ×4, first 2 shown]
	v_xor_b32_e32 v197, vcc_hi, v5
	v_xor_b32_e32 v5, vcc_lo, v5
	v_and_b32_e32 v196, v196, v197
	v_and_b32_e32 v197, v57, v5
	v_lshlrev_b32_e32 v5, 25, v56
	v_cmp_gt_i64_e32 vcc, 0, v[4:5]
	v_not_b32_e32 v5, v5
	v_ashrrev_i32_e32 v5, 31, v5
	v_xor_b32_e32 v56, vcc_hi, v5
	v_xor_b32_e32 v5, vcc_lo, v5
	v_and_b32_e32 v57, v196, v56
	v_and_b32_e32 v56, v197, v5
	v_mbcnt_lo_u32_b32 v5, v56, 0
	v_mbcnt_hi_u32_b32 v196, v57, v5
	v_cmp_eq_u32_e32 vcc, 0, v196
	v_cmp_ne_u64_e64 s[40:41], 0, v[56:57]
	s_and_b64 s[42:43], s[40:41], vcc
	; wave barrier
	s_and_saveexec_b64 s[40:41], s[42:43]
	s_cbranch_execz .LBB914_468
; %bb.467:                              ;   in Loop: Header=BB914_414 Depth=2
	v_bcnt_u32_b32 v5, v56, 0
	v_bcnt_u32_b32 v5, v57, v5
	s_waitcnt lgkmcnt(0)
	v_add_u32_e32 v5, v194, v5
	ds_write_b32 v195, v5
.LBB914_468:                            ;   in Loop: Header=BB914_414 Depth=2
	s_or_b64 exec, exec, s[40:41]
	s_waitcnt vmcnt(7)
	v_xor_b32_e32 v193, 0x7fff, v193
	v_lshrrev_b32_sdwa v5, s99, v193 dst_sel:DWORD dst_unused:UNUSED_PAD src0_sel:DWORD src1_sel:WORD_0
	v_and_b32_e32 v56, s6, v5
	v_mul_u32_u24_e32 v5, 5, v56
	v_add_lshl_u32 v5, v5, v153, 2
	; wave barrier
	v_add_u32_e32 v198, 0x210, v5
	ds_read_b32 v197, v5 offset:528
	v_and_b32_e32 v5, 1, v56
	v_add_co_u32_e32 v57, vcc, -1, v5
	v_addc_co_u32_e64 v199, s[40:41], 0, -1, vcc
	v_cmp_ne_u32_e32 vcc, 0, v5
	v_xor_b32_e32 v5, vcc_hi, v199
	v_and_b32_e32 v199, exec_hi, v5
	v_lshlrev_b32_e32 v5, 30, v56
	v_xor_b32_e32 v57, vcc_lo, v57
	v_cmp_gt_i64_e32 vcc, 0, v[4:5]
	v_not_b32_e32 v5, v5
	v_ashrrev_i32_e32 v5, 31, v5
	v_and_b32_e32 v57, exec_lo, v57
	v_xor_b32_e32 v200, vcc_hi, v5
	v_xor_b32_e32 v5, vcc_lo, v5
	v_and_b32_e32 v57, v57, v5
	v_lshlrev_b32_e32 v5, 29, v56
	v_cmp_gt_i64_e32 vcc, 0, v[4:5]
	v_not_b32_e32 v5, v5
	v_ashrrev_i32_e32 v5, 31, v5
	v_and_b32_e32 v199, v199, v200
	v_xor_b32_e32 v200, vcc_hi, v5
	v_xor_b32_e32 v5, vcc_lo, v5
	v_and_b32_e32 v57, v57, v5
	v_lshlrev_b32_e32 v5, 28, v56
	v_cmp_gt_i64_e32 vcc, 0, v[4:5]
	v_not_b32_e32 v5, v5
	v_ashrrev_i32_e32 v5, 31, v5
	v_and_b32_e32 v199, v199, v200
	v_xor_b32_e32 v200, vcc_hi, v5
	v_xor_b32_e32 v5, vcc_lo, v5
	v_and_b32_e32 v57, v57, v5
	v_lshlrev_b32_e32 v5, 27, v56
	v_cmp_gt_i64_e32 vcc, 0, v[4:5]
	v_not_b32_e32 v5, v5
	v_ashrrev_i32_e32 v5, 31, v5
	v_and_b32_e32 v199, v199, v200
	v_xor_b32_e32 v200, vcc_hi, v5
	v_xor_b32_e32 v5, vcc_lo, v5
	v_and_b32_e32 v57, v57, v5
	v_lshlrev_b32_e32 v5, 26, v56
	v_cmp_gt_i64_e32 vcc, 0, v[4:5]
	v_not_b32_e32 v5, v5
	v_ashrrev_i32_e32 v5, 31, v5
	v_and_b32_e32 v199, v199, v200
	v_xor_b32_e32 v200, vcc_hi, v5
	v_xor_b32_e32 v5, vcc_lo, v5
	v_and_b32_e32 v199, v199, v200
	v_and_b32_e32 v200, v57, v5
	v_lshlrev_b32_e32 v5, 25, v56
	v_cmp_gt_i64_e32 vcc, 0, v[4:5]
	v_not_b32_e32 v5, v5
	v_ashrrev_i32_e32 v5, 31, v5
	v_xor_b32_e32 v56, vcc_hi, v5
	v_xor_b32_e32 v5, vcc_lo, v5
	v_and_b32_e32 v57, v199, v56
	v_and_b32_e32 v56, v200, v5
	v_mbcnt_lo_u32_b32 v5, v56, 0
	v_mbcnt_hi_u32_b32 v199, v57, v5
	v_cmp_eq_u32_e32 vcc, 0, v199
	v_cmp_ne_u64_e64 s[40:41], 0, v[56:57]
	s_and_b64 s[42:43], s[40:41], vcc
	; wave barrier
	s_and_saveexec_b64 s[40:41], s[42:43]
	s_cbranch_execz .LBB914_470
; %bb.469:                              ;   in Loop: Header=BB914_414 Depth=2
	v_bcnt_u32_b32 v5, v56, 0
	v_bcnt_u32_b32 v5, v57, v5
	s_waitcnt lgkmcnt(0)
	v_add_u32_e32 v5, v197, v5
	ds_write_b32 v198, v5
.LBB914_470:                            ;   in Loop: Header=BB914_414 Depth=2
	s_or_b64 exec, exec, s[40:41]
	s_waitcnt vmcnt(6)
	v_xor_b32_e32 v188, 0x7fff, v188
	v_lshrrev_b32_sdwa v5, s99, v188 dst_sel:DWORD dst_unused:UNUSED_PAD src0_sel:DWORD src1_sel:WORD_0
	v_and_b32_e32 v56, s6, v5
	v_mul_u32_u24_e32 v5, 5, v56
	v_add_lshl_u32 v5, v5, v153, 2
	; wave barrier
	v_add_u32_e32 v201, 0x210, v5
	ds_read_b32 v200, v5 offset:528
	v_and_b32_e32 v5, 1, v56
	v_add_co_u32_e32 v57, vcc, -1, v5
	v_addc_co_u32_e64 v202, s[40:41], 0, -1, vcc
	v_cmp_ne_u32_e32 vcc, 0, v5
	v_xor_b32_e32 v5, vcc_hi, v202
	v_and_b32_e32 v202, exec_hi, v5
	v_lshlrev_b32_e32 v5, 30, v56
	v_xor_b32_e32 v57, vcc_lo, v57
	v_cmp_gt_i64_e32 vcc, 0, v[4:5]
	v_not_b32_e32 v5, v5
	v_ashrrev_i32_e32 v5, 31, v5
	v_and_b32_e32 v57, exec_lo, v57
	v_xor_b32_e32 v203, vcc_hi, v5
	v_xor_b32_e32 v5, vcc_lo, v5
	v_and_b32_e32 v57, v57, v5
	v_lshlrev_b32_e32 v5, 29, v56
	v_cmp_gt_i64_e32 vcc, 0, v[4:5]
	v_not_b32_e32 v5, v5
	v_ashrrev_i32_e32 v5, 31, v5
	v_and_b32_e32 v202, v202, v203
	v_xor_b32_e32 v203, vcc_hi, v5
	v_xor_b32_e32 v5, vcc_lo, v5
	v_and_b32_e32 v57, v57, v5
	v_lshlrev_b32_e32 v5, 28, v56
	v_cmp_gt_i64_e32 vcc, 0, v[4:5]
	v_not_b32_e32 v5, v5
	v_ashrrev_i32_e32 v5, 31, v5
	v_and_b32_e32 v202, v202, v203
	;; [unrolled: 8-line block ×4, first 2 shown]
	v_xor_b32_e32 v203, vcc_hi, v5
	v_xor_b32_e32 v5, vcc_lo, v5
	v_and_b32_e32 v202, v202, v203
	v_and_b32_e32 v203, v57, v5
	v_lshlrev_b32_e32 v5, 25, v56
	v_cmp_gt_i64_e32 vcc, 0, v[4:5]
	v_not_b32_e32 v5, v5
	v_ashrrev_i32_e32 v5, 31, v5
	v_xor_b32_e32 v56, vcc_hi, v5
	v_xor_b32_e32 v5, vcc_lo, v5
	v_and_b32_e32 v57, v202, v56
	v_and_b32_e32 v56, v203, v5
	v_mbcnt_lo_u32_b32 v5, v56, 0
	v_mbcnt_hi_u32_b32 v202, v57, v5
	v_cmp_eq_u32_e32 vcc, 0, v202
	v_cmp_ne_u64_e64 s[40:41], 0, v[56:57]
	s_and_b64 s[42:43], s[40:41], vcc
	; wave barrier
	s_and_saveexec_b64 s[40:41], s[42:43]
	s_cbranch_execz .LBB914_472
; %bb.471:                              ;   in Loop: Header=BB914_414 Depth=2
	v_bcnt_u32_b32 v5, v56, 0
	v_bcnt_u32_b32 v5, v57, v5
	s_waitcnt lgkmcnt(0)
	v_add_u32_e32 v5, v200, v5
	ds_write_b32 v201, v5
.LBB914_472:                            ;   in Loop: Header=BB914_414 Depth=2
	s_or_b64 exec, exec, s[40:41]
	s_waitcnt vmcnt(5)
	v_xor_b32_e32 v184, 0x7fff, v184
	v_lshrrev_b32_sdwa v5, s99, v184 dst_sel:DWORD dst_unused:UNUSED_PAD src0_sel:DWORD src1_sel:WORD_0
	v_and_b32_e32 v56, s6, v5
	v_mul_u32_u24_e32 v5, 5, v56
	v_add_lshl_u32 v5, v5, v153, 2
	; wave barrier
	v_add_u32_e32 v205, 0x210, v5
	ds_read_b32 v203, v5 offset:528
	v_and_b32_e32 v5, 1, v56
	v_add_co_u32_e32 v57, vcc, -1, v5
	v_addc_co_u32_e64 v204, s[40:41], 0, -1, vcc
	v_cmp_ne_u32_e32 vcc, 0, v5
	v_xor_b32_e32 v5, vcc_hi, v204
	v_and_b32_e32 v204, exec_hi, v5
	v_lshlrev_b32_e32 v5, 30, v56
	v_xor_b32_e32 v57, vcc_lo, v57
	v_cmp_gt_i64_e32 vcc, 0, v[4:5]
	v_not_b32_e32 v5, v5
	v_ashrrev_i32_e32 v5, 31, v5
	v_and_b32_e32 v57, exec_lo, v57
	v_xor_b32_e32 v206, vcc_hi, v5
	v_xor_b32_e32 v5, vcc_lo, v5
	v_and_b32_e32 v57, v57, v5
	v_lshlrev_b32_e32 v5, 29, v56
	v_cmp_gt_i64_e32 vcc, 0, v[4:5]
	v_not_b32_e32 v5, v5
	v_ashrrev_i32_e32 v5, 31, v5
	v_and_b32_e32 v204, v204, v206
	v_xor_b32_e32 v206, vcc_hi, v5
	v_xor_b32_e32 v5, vcc_lo, v5
	v_and_b32_e32 v57, v57, v5
	v_lshlrev_b32_e32 v5, 28, v56
	v_cmp_gt_i64_e32 vcc, 0, v[4:5]
	v_not_b32_e32 v5, v5
	v_ashrrev_i32_e32 v5, 31, v5
	v_and_b32_e32 v204, v204, v206
	;; [unrolled: 8-line block ×4, first 2 shown]
	v_xor_b32_e32 v206, vcc_hi, v5
	v_xor_b32_e32 v5, vcc_lo, v5
	v_and_b32_e32 v204, v204, v206
	v_and_b32_e32 v206, v57, v5
	v_lshlrev_b32_e32 v5, 25, v56
	v_cmp_gt_i64_e32 vcc, 0, v[4:5]
	v_not_b32_e32 v5, v5
	v_ashrrev_i32_e32 v5, 31, v5
	v_xor_b32_e32 v56, vcc_hi, v5
	v_xor_b32_e32 v5, vcc_lo, v5
	v_and_b32_e32 v57, v204, v56
	v_and_b32_e32 v56, v206, v5
	v_mbcnt_lo_u32_b32 v5, v56, 0
	v_mbcnt_hi_u32_b32 v206, v57, v5
	v_cmp_eq_u32_e32 vcc, 0, v206
	v_cmp_ne_u64_e64 s[40:41], 0, v[56:57]
	s_and_b64 s[42:43], s[40:41], vcc
	; wave barrier
	s_and_saveexec_b64 s[40:41], s[42:43]
	s_cbranch_execz .LBB914_474
; %bb.473:                              ;   in Loop: Header=BB914_414 Depth=2
	v_bcnt_u32_b32 v5, v56, 0
	v_bcnt_u32_b32 v5, v57, v5
	s_waitcnt lgkmcnt(0)
	v_add_u32_e32 v5, v203, v5
	ds_write_b32 v205, v5
.LBB914_474:                            ;   in Loop: Header=BB914_414 Depth=2
	s_or_b64 exec, exec, s[40:41]
	s_waitcnt vmcnt(4)
	v_xor_b32_e32 v204, 0x7fff, v179
	v_lshrrev_b32_sdwa v5, s99, v204 dst_sel:DWORD dst_unused:UNUSED_PAD src0_sel:DWORD src1_sel:WORD_0
	v_and_b32_e32 v56, s6, v5
	v_mul_u32_u24_e32 v5, 5, v56
	v_add_lshl_u32 v5, v5, v153, 2
	; wave barrier
	v_add_u32_e32 v179, 0x210, v5
	ds_read_b32 v207, v5 offset:528
	v_and_b32_e32 v5, 1, v56
	v_add_co_u32_e32 v57, vcc, -1, v5
	v_addc_co_u32_e64 v208, s[40:41], 0, -1, vcc
	v_cmp_ne_u32_e32 vcc, 0, v5
	v_xor_b32_e32 v5, vcc_hi, v208
	v_and_b32_e32 v208, exec_hi, v5
	v_lshlrev_b32_e32 v5, 30, v56
	v_xor_b32_e32 v57, vcc_lo, v57
	v_cmp_gt_i64_e32 vcc, 0, v[4:5]
	v_not_b32_e32 v5, v5
	v_ashrrev_i32_e32 v5, 31, v5
	v_and_b32_e32 v57, exec_lo, v57
	v_xor_b32_e32 v209, vcc_hi, v5
	v_xor_b32_e32 v5, vcc_lo, v5
	v_and_b32_e32 v57, v57, v5
	v_lshlrev_b32_e32 v5, 29, v56
	v_cmp_gt_i64_e32 vcc, 0, v[4:5]
	v_not_b32_e32 v5, v5
	v_ashrrev_i32_e32 v5, 31, v5
	v_and_b32_e32 v208, v208, v209
	v_xor_b32_e32 v209, vcc_hi, v5
	v_xor_b32_e32 v5, vcc_lo, v5
	v_and_b32_e32 v57, v57, v5
	v_lshlrev_b32_e32 v5, 28, v56
	v_cmp_gt_i64_e32 vcc, 0, v[4:5]
	v_not_b32_e32 v5, v5
	v_ashrrev_i32_e32 v5, 31, v5
	v_and_b32_e32 v208, v208, v209
	v_xor_b32_e32 v209, vcc_hi, v5
	v_xor_b32_e32 v5, vcc_lo, v5
	v_and_b32_e32 v57, v57, v5
	v_lshlrev_b32_e32 v5, 27, v56
	v_cmp_gt_i64_e32 vcc, 0, v[4:5]
	v_not_b32_e32 v5, v5
	v_ashrrev_i32_e32 v5, 31, v5
	v_and_b32_e32 v208, v208, v209
	v_xor_b32_e32 v209, vcc_hi, v5
	v_xor_b32_e32 v5, vcc_lo, v5
	v_and_b32_e32 v57, v57, v5
	v_lshlrev_b32_e32 v5, 26, v56
	v_cmp_gt_i64_e32 vcc, 0, v[4:5]
	v_not_b32_e32 v5, v5
	v_ashrrev_i32_e32 v5, 31, v5
	v_and_b32_e32 v208, v208, v209
	v_xor_b32_e32 v209, vcc_hi, v5
	v_xor_b32_e32 v5, vcc_lo, v5
	v_and_b32_e32 v208, v208, v209
	v_and_b32_e32 v209, v57, v5
	v_lshlrev_b32_e32 v5, 25, v56
	v_cmp_gt_i64_e32 vcc, 0, v[4:5]
	v_not_b32_e32 v5, v5
	v_ashrrev_i32_e32 v5, 31, v5
	v_xor_b32_e32 v56, vcc_hi, v5
	v_xor_b32_e32 v5, vcc_lo, v5
	v_and_b32_e32 v57, v208, v56
	v_and_b32_e32 v56, v209, v5
	v_mbcnt_lo_u32_b32 v5, v56, 0
	v_mbcnt_hi_u32_b32 v209, v57, v5
	v_cmp_eq_u32_e32 vcc, 0, v209
	v_cmp_ne_u64_e64 s[40:41], 0, v[56:57]
	s_and_b64 s[42:43], s[40:41], vcc
	; wave barrier
	s_and_saveexec_b64 s[40:41], s[42:43]
	s_cbranch_execz .LBB914_476
; %bb.475:                              ;   in Loop: Header=BB914_414 Depth=2
	v_bcnt_u32_b32 v5, v56, 0
	v_bcnt_u32_b32 v5, v57, v5
	s_waitcnt lgkmcnt(0)
	v_add_u32_e32 v5, v207, v5
	ds_write_b32 v179, v5
.LBB914_476:                            ;   in Loop: Header=BB914_414 Depth=2
	s_or_b64 exec, exec, s[40:41]
	s_waitcnt vmcnt(3)
	v_xor_b32_e32 v208, 0x7fff, v174
	v_lshrrev_b32_sdwa v5, s99, v208 dst_sel:DWORD dst_unused:UNUSED_PAD src0_sel:DWORD src1_sel:WORD_0
	v_and_b32_e32 v56, s6, v5
	v_mul_u32_u24_e32 v5, 5, v56
	v_add_lshl_u32 v5, v5, v153, 2
	; wave barrier
	v_add_u32_e32 v174, 0x210, v5
	ds_read_b32 v210, v5 offset:528
	v_and_b32_e32 v5, 1, v56
	v_add_co_u32_e32 v57, vcc, -1, v5
	v_addc_co_u32_e64 v211, s[40:41], 0, -1, vcc
	v_cmp_ne_u32_e32 vcc, 0, v5
	v_xor_b32_e32 v5, vcc_hi, v211
	v_and_b32_e32 v211, exec_hi, v5
	v_lshlrev_b32_e32 v5, 30, v56
	v_xor_b32_e32 v57, vcc_lo, v57
	v_cmp_gt_i64_e32 vcc, 0, v[4:5]
	v_not_b32_e32 v5, v5
	v_ashrrev_i32_e32 v5, 31, v5
	v_and_b32_e32 v57, exec_lo, v57
	v_xor_b32_e32 v212, vcc_hi, v5
	v_xor_b32_e32 v5, vcc_lo, v5
	v_and_b32_e32 v57, v57, v5
	v_lshlrev_b32_e32 v5, 29, v56
	v_cmp_gt_i64_e32 vcc, 0, v[4:5]
	v_not_b32_e32 v5, v5
	v_ashrrev_i32_e32 v5, 31, v5
	v_and_b32_e32 v211, v211, v212
	v_xor_b32_e32 v212, vcc_hi, v5
	v_xor_b32_e32 v5, vcc_lo, v5
	v_and_b32_e32 v57, v57, v5
	v_lshlrev_b32_e32 v5, 28, v56
	v_cmp_gt_i64_e32 vcc, 0, v[4:5]
	v_not_b32_e32 v5, v5
	v_ashrrev_i32_e32 v5, 31, v5
	v_and_b32_e32 v211, v211, v212
	;; [unrolled: 8-line block ×4, first 2 shown]
	v_xor_b32_e32 v212, vcc_hi, v5
	v_xor_b32_e32 v5, vcc_lo, v5
	v_and_b32_e32 v211, v211, v212
	v_and_b32_e32 v212, v57, v5
	v_lshlrev_b32_e32 v5, 25, v56
	v_cmp_gt_i64_e32 vcc, 0, v[4:5]
	v_not_b32_e32 v5, v5
	v_ashrrev_i32_e32 v5, 31, v5
	v_xor_b32_e32 v56, vcc_hi, v5
	v_xor_b32_e32 v5, vcc_lo, v5
	v_and_b32_e32 v57, v211, v56
	v_and_b32_e32 v56, v212, v5
	v_mbcnt_lo_u32_b32 v5, v56, 0
	v_mbcnt_hi_u32_b32 v212, v57, v5
	v_cmp_eq_u32_e32 vcc, 0, v212
	v_cmp_ne_u64_e64 s[40:41], 0, v[56:57]
	s_and_b64 s[42:43], s[40:41], vcc
	; wave barrier
	s_and_saveexec_b64 s[40:41], s[42:43]
	s_cbranch_execz .LBB914_478
; %bb.477:                              ;   in Loop: Header=BB914_414 Depth=2
	v_bcnt_u32_b32 v5, v56, 0
	v_bcnt_u32_b32 v5, v57, v5
	s_waitcnt lgkmcnt(0)
	v_add_u32_e32 v5, v210, v5
	ds_write_b32 v174, v5
.LBB914_478:                            ;   in Loop: Header=BB914_414 Depth=2
	s_or_b64 exec, exec, s[40:41]
	s_waitcnt vmcnt(2)
	v_xor_b32_e32 v211, 0x7fff, v169
	v_lshrrev_b32_sdwa v5, s99, v211 dst_sel:DWORD dst_unused:UNUSED_PAD src0_sel:DWORD src1_sel:WORD_0
	v_and_b32_e32 v56, s6, v5
	v_mul_u32_u24_e32 v5, 5, v56
	v_add_lshl_u32 v5, v5, v153, 2
	; wave barrier
	v_add_u32_e32 v169, 0x210, v5
	ds_read_b32 v213, v5 offset:528
	v_and_b32_e32 v5, 1, v56
	v_add_co_u32_e32 v57, vcc, -1, v5
	v_addc_co_u32_e64 v214, s[40:41], 0, -1, vcc
	v_cmp_ne_u32_e32 vcc, 0, v5
	v_xor_b32_e32 v5, vcc_hi, v214
	v_and_b32_e32 v214, exec_hi, v5
	v_lshlrev_b32_e32 v5, 30, v56
	v_xor_b32_e32 v57, vcc_lo, v57
	v_cmp_gt_i64_e32 vcc, 0, v[4:5]
	v_not_b32_e32 v5, v5
	v_ashrrev_i32_e32 v5, 31, v5
	v_and_b32_e32 v57, exec_lo, v57
	v_xor_b32_e32 v215, vcc_hi, v5
	v_xor_b32_e32 v5, vcc_lo, v5
	v_and_b32_e32 v57, v57, v5
	v_lshlrev_b32_e32 v5, 29, v56
	v_cmp_gt_i64_e32 vcc, 0, v[4:5]
	v_not_b32_e32 v5, v5
	v_ashrrev_i32_e32 v5, 31, v5
	v_and_b32_e32 v214, v214, v215
	v_xor_b32_e32 v215, vcc_hi, v5
	v_xor_b32_e32 v5, vcc_lo, v5
	v_and_b32_e32 v57, v57, v5
	v_lshlrev_b32_e32 v5, 28, v56
	v_cmp_gt_i64_e32 vcc, 0, v[4:5]
	v_not_b32_e32 v5, v5
	v_ashrrev_i32_e32 v5, 31, v5
	v_and_b32_e32 v214, v214, v215
	;; [unrolled: 8-line block ×4, first 2 shown]
	v_xor_b32_e32 v215, vcc_hi, v5
	v_xor_b32_e32 v5, vcc_lo, v5
	v_and_b32_e32 v214, v214, v215
	v_and_b32_e32 v215, v57, v5
	v_lshlrev_b32_e32 v5, 25, v56
	v_cmp_gt_i64_e32 vcc, 0, v[4:5]
	v_not_b32_e32 v5, v5
	v_ashrrev_i32_e32 v5, 31, v5
	v_xor_b32_e32 v56, vcc_hi, v5
	v_xor_b32_e32 v5, vcc_lo, v5
	v_and_b32_e32 v57, v214, v56
	v_and_b32_e32 v56, v215, v5
	v_mbcnt_lo_u32_b32 v5, v56, 0
	v_mbcnt_hi_u32_b32 v215, v57, v5
	v_cmp_eq_u32_e32 vcc, 0, v215
	v_cmp_ne_u64_e64 s[40:41], 0, v[56:57]
	s_and_b64 s[42:43], s[40:41], vcc
	; wave barrier
	s_and_saveexec_b64 s[40:41], s[42:43]
	s_cbranch_execz .LBB914_480
; %bb.479:                              ;   in Loop: Header=BB914_414 Depth=2
	v_bcnt_u32_b32 v5, v56, 0
	v_bcnt_u32_b32 v5, v57, v5
	s_waitcnt lgkmcnt(0)
	v_add_u32_e32 v5, v213, v5
	ds_write_b32 v169, v5
.LBB914_480:                            ;   in Loop: Header=BB914_414 Depth=2
	s_or_b64 exec, exec, s[40:41]
	s_waitcnt vmcnt(0)
	v_xor_b32_e32 v214, 0x7fff, v164
	v_lshrrev_b32_sdwa v5, s99, v214 dst_sel:DWORD dst_unused:UNUSED_PAD src0_sel:DWORD src1_sel:WORD_0
	v_and_b32_e32 v56, s6, v5
	v_mul_u32_u24_e32 v5, 5, v56
	v_add_lshl_u32 v5, v5, v153, 2
	; wave barrier
	v_add_u32_e32 v164, 0x210, v5
	ds_read_b32 v216, v5 offset:528
	v_and_b32_e32 v5, 1, v56
	v_add_co_u32_e32 v57, vcc, -1, v5
	v_addc_co_u32_e64 v217, s[40:41], 0, -1, vcc
	v_cmp_ne_u32_e32 vcc, 0, v5
	v_xor_b32_e32 v5, vcc_hi, v217
	v_and_b32_e32 v217, exec_hi, v5
	v_lshlrev_b32_e32 v5, 30, v56
	v_xor_b32_e32 v57, vcc_lo, v57
	v_cmp_gt_i64_e32 vcc, 0, v[4:5]
	v_not_b32_e32 v5, v5
	v_ashrrev_i32_e32 v5, 31, v5
	v_and_b32_e32 v57, exec_lo, v57
	v_xor_b32_e32 v218, vcc_hi, v5
	v_xor_b32_e32 v5, vcc_lo, v5
	v_and_b32_e32 v57, v57, v5
	v_lshlrev_b32_e32 v5, 29, v56
	v_cmp_gt_i64_e32 vcc, 0, v[4:5]
	v_not_b32_e32 v5, v5
	v_ashrrev_i32_e32 v5, 31, v5
	v_and_b32_e32 v217, v217, v218
	v_xor_b32_e32 v218, vcc_hi, v5
	v_xor_b32_e32 v5, vcc_lo, v5
	v_and_b32_e32 v57, v57, v5
	v_lshlrev_b32_e32 v5, 28, v56
	v_cmp_gt_i64_e32 vcc, 0, v[4:5]
	v_not_b32_e32 v5, v5
	v_ashrrev_i32_e32 v5, 31, v5
	v_and_b32_e32 v217, v217, v218
	;; [unrolled: 8-line block ×4, first 2 shown]
	v_xor_b32_e32 v218, vcc_hi, v5
	v_xor_b32_e32 v5, vcc_lo, v5
	v_and_b32_e32 v217, v217, v218
	v_and_b32_e32 v218, v57, v5
	v_lshlrev_b32_e32 v5, 25, v56
	v_cmp_gt_i64_e32 vcc, 0, v[4:5]
	v_not_b32_e32 v5, v5
	v_ashrrev_i32_e32 v5, 31, v5
	v_xor_b32_e32 v56, vcc_hi, v5
	v_xor_b32_e32 v5, vcc_lo, v5
	v_and_b32_e32 v57, v217, v56
	v_and_b32_e32 v56, v218, v5
	v_mbcnt_lo_u32_b32 v5, v56, 0
	v_mbcnt_hi_u32_b32 v218, v57, v5
	v_cmp_eq_u32_e32 vcc, 0, v218
	v_cmp_ne_u64_e64 s[40:41], 0, v[56:57]
	s_and_b64 s[42:43], s[40:41], vcc
	; wave barrier
	s_and_saveexec_b64 s[40:41], s[42:43]
	s_cbranch_execz .LBB914_482
; %bb.481:                              ;   in Loop: Header=BB914_414 Depth=2
	v_bcnt_u32_b32 v5, v56, 0
	v_bcnt_u32_b32 v5, v57, v5
	s_waitcnt lgkmcnt(0)
	v_add_u32_e32 v5, v216, v5
	ds_write_b32 v164, v5
.LBB914_482:                            ;   in Loop: Header=BB914_414 Depth=2
	s_or_b64 exec, exec, s[40:41]
	v_xor_b32_e32 v217, 0x7fff, v159
	v_lshrrev_b32_sdwa v5, s99, v217 dst_sel:DWORD dst_unused:UNUSED_PAD src0_sel:DWORD src1_sel:WORD_0
	v_and_b32_e32 v56, s6, v5
	v_mul_u32_u24_e32 v5, 5, v56
	v_add_lshl_u32 v5, v5, v153, 2
	; wave barrier
	v_add_u32_e32 v159, 0x210, v5
	ds_read_b32 v219, v5 offset:528
	v_and_b32_e32 v5, 1, v56
	v_add_co_u32_e32 v57, vcc, -1, v5
	v_addc_co_u32_e64 v220, s[40:41], 0, -1, vcc
	v_cmp_ne_u32_e32 vcc, 0, v5
	v_xor_b32_e32 v5, vcc_hi, v220
	v_and_b32_e32 v220, exec_hi, v5
	v_lshlrev_b32_e32 v5, 30, v56
	v_xor_b32_e32 v57, vcc_lo, v57
	v_cmp_gt_i64_e32 vcc, 0, v[4:5]
	v_not_b32_e32 v5, v5
	v_ashrrev_i32_e32 v5, 31, v5
	v_and_b32_e32 v57, exec_lo, v57
	v_xor_b32_e32 v221, vcc_hi, v5
	v_xor_b32_e32 v5, vcc_lo, v5
	v_and_b32_e32 v57, v57, v5
	v_lshlrev_b32_e32 v5, 29, v56
	v_cmp_gt_i64_e32 vcc, 0, v[4:5]
	v_not_b32_e32 v5, v5
	v_ashrrev_i32_e32 v5, 31, v5
	v_and_b32_e32 v220, v220, v221
	v_xor_b32_e32 v221, vcc_hi, v5
	v_xor_b32_e32 v5, vcc_lo, v5
	v_and_b32_e32 v57, v57, v5
	v_lshlrev_b32_e32 v5, 28, v56
	v_cmp_gt_i64_e32 vcc, 0, v[4:5]
	v_not_b32_e32 v5, v5
	v_ashrrev_i32_e32 v5, 31, v5
	v_and_b32_e32 v220, v220, v221
	;; [unrolled: 8-line block ×4, first 2 shown]
	v_xor_b32_e32 v221, vcc_hi, v5
	v_xor_b32_e32 v5, vcc_lo, v5
	v_and_b32_e32 v220, v220, v221
	v_and_b32_e32 v221, v57, v5
	v_lshlrev_b32_e32 v5, 25, v56
	v_cmp_gt_i64_e32 vcc, 0, v[4:5]
	v_not_b32_e32 v5, v5
	v_ashrrev_i32_e32 v5, 31, v5
	v_xor_b32_e32 v56, vcc_hi, v5
	v_xor_b32_e32 v5, vcc_lo, v5
	v_and_b32_e32 v57, v220, v56
	v_and_b32_e32 v56, v221, v5
	v_mbcnt_lo_u32_b32 v5, v56, 0
	v_mbcnt_hi_u32_b32 v221, v57, v5
	v_cmp_eq_u32_e32 vcc, 0, v221
	v_cmp_ne_u64_e64 s[40:41], 0, v[56:57]
	s_and_b64 s[42:43], s[40:41], vcc
	; wave barrier
	s_and_saveexec_b64 s[40:41], s[42:43]
	s_cbranch_execz .LBB914_484
; %bb.483:                              ;   in Loop: Header=BB914_414 Depth=2
	v_bcnt_u32_b32 v5, v56, 0
	v_bcnt_u32_b32 v5, v57, v5
	s_waitcnt lgkmcnt(0)
	v_add_u32_e32 v5, v219, v5
	ds_write_b32 v159, v5
.LBB914_484:                            ;   in Loop: Header=BB914_414 Depth=2
	s_or_b64 exec, exec, s[40:41]
	v_xor_b32_e32 v220, 0x7fff, v166
	v_lshrrev_b32_sdwa v5, s99, v220 dst_sel:DWORD dst_unused:UNUSED_PAD src0_sel:DWORD src1_sel:WORD_0
	v_and_b32_e32 v56, s6, v5
	v_mul_u32_u24_e32 v5, 5, v56
	v_add_lshl_u32 v5, v5, v153, 2
	; wave barrier
	v_add_u32_e32 v166, 0x210, v5
	ds_read_b32 v222, v5 offset:528
	v_and_b32_e32 v5, 1, v56
	v_add_co_u32_e32 v57, vcc, -1, v5
	v_addc_co_u32_e64 v223, s[40:41], 0, -1, vcc
	v_cmp_ne_u32_e32 vcc, 0, v5
	v_xor_b32_e32 v5, vcc_hi, v223
	v_and_b32_e32 v223, exec_hi, v5
	v_lshlrev_b32_e32 v5, 30, v56
	v_xor_b32_e32 v57, vcc_lo, v57
	v_cmp_gt_i64_e32 vcc, 0, v[4:5]
	v_not_b32_e32 v5, v5
	v_ashrrev_i32_e32 v5, 31, v5
	v_and_b32_e32 v57, exec_lo, v57
	v_xor_b32_e32 v224, vcc_hi, v5
	v_xor_b32_e32 v5, vcc_lo, v5
	v_and_b32_e32 v57, v57, v5
	v_lshlrev_b32_e32 v5, 29, v56
	v_cmp_gt_i64_e32 vcc, 0, v[4:5]
	v_not_b32_e32 v5, v5
	v_ashrrev_i32_e32 v5, 31, v5
	v_and_b32_e32 v223, v223, v224
	v_xor_b32_e32 v224, vcc_hi, v5
	v_xor_b32_e32 v5, vcc_lo, v5
	v_and_b32_e32 v57, v57, v5
	v_lshlrev_b32_e32 v5, 28, v56
	v_cmp_gt_i64_e32 vcc, 0, v[4:5]
	v_not_b32_e32 v5, v5
	v_ashrrev_i32_e32 v5, 31, v5
	v_and_b32_e32 v223, v223, v224
	;; [unrolled: 8-line block ×4, first 2 shown]
	v_xor_b32_e32 v224, vcc_hi, v5
	v_xor_b32_e32 v5, vcc_lo, v5
	v_and_b32_e32 v223, v223, v224
	v_and_b32_e32 v224, v57, v5
	v_lshlrev_b32_e32 v5, 25, v56
	v_cmp_gt_i64_e32 vcc, 0, v[4:5]
	v_not_b32_e32 v5, v5
	v_ashrrev_i32_e32 v5, 31, v5
	v_xor_b32_e32 v56, vcc_hi, v5
	v_xor_b32_e32 v5, vcc_lo, v5
	v_and_b32_e32 v57, v223, v56
	v_and_b32_e32 v56, v224, v5
	v_mbcnt_lo_u32_b32 v5, v56, 0
	v_mbcnt_hi_u32_b32 v5, v57, v5
	v_cmp_eq_u32_e32 vcc, 0, v5
	v_cmp_ne_u64_e64 s[40:41], 0, v[56:57]
	s_and_b64 s[42:43], s[40:41], vcc
	; wave barrier
	s_and_saveexec_b64 s[40:41], s[42:43]
	s_cbranch_execz .LBB914_486
; %bb.485:                              ;   in Loop: Header=BB914_414 Depth=2
	v_bcnt_u32_b32 v56, v56, 0
	v_bcnt_u32_b32 v56, v57, v56
	s_waitcnt lgkmcnt(0)
	v_add_u32_e32 v56, v222, v56
	ds_write_b32 v166, v56
.LBB914_486:                            ;   in Loop: Header=BB914_414 Depth=2
	s_or_b64 exec, exec, s[40:41]
	; wave barrier
	s_waitcnt lgkmcnt(0)
	s_barrier
	ds_read_b32 v223, v58 offset:528
	ds_read2_b32 v[56:57], v67 offset0:1 offset1:2
	s_waitcnt lgkmcnt(0)
	v_add3_u32 v57, v56, v223, v57
	s_nop 1
	v_mov_b32_dpp v224, v57 row_shr:1 row_mask:0xf bank_mask:0xf
	v_cndmask_b32_e64 v224, v224, 0, s[20:21]
	v_add_u32_e32 v57, v224, v57
	s_nop 1
	v_mov_b32_dpp v224, v57 row_shr:2 row_mask:0xf bank_mask:0xf
	v_cndmask_b32_e64 v224, 0, v224, s[22:23]
	v_add_u32_e32 v57, v57, v224
	;; [unrolled: 4-line block ×4, first 2 shown]
	s_nop 1
	v_mov_b32_dpp v224, v57 row_bcast:15 row_mask:0xf bank_mask:0xf
	v_cndmask_b32_e64 v224, v224, 0, s[28:29]
	v_add_u32_e32 v57, v57, v224
	s_nop 1
	v_mov_b32_dpp v224, v57 row_bcast:31 row_mask:0xf bank_mask:0xf
	v_cndmask_b32_e64 v224, 0, v224, s[30:31]
	v_add_u32_e32 v57, v57, v224
	s_and_saveexec_b64 s[40:41], s[12:13]
	s_cbranch_execz .LBB914_488
; %bb.487:                              ;   in Loop: Header=BB914_414 Depth=2
	ds_write_b32 v60, v57 offset:512
.LBB914_488:                            ;   in Loop: Header=BB914_414 Depth=2
	s_or_b64 exec, exec, s[40:41]
	s_waitcnt lgkmcnt(0)
	s_barrier
	s_and_saveexec_b64 s[40:41], s[14:15]
	s_cbranch_execz .LBB914_490
; %bb.489:                              ;   in Loop: Header=BB914_414 Depth=2
	ds_read_b32 v224, v69 offset:512
	s_waitcnt lgkmcnt(0)
	s_nop 0
	v_mov_b32_dpp v225, v224 row_shr:1 row_mask:0xf bank_mask:0xf
	v_cndmask_b32_e64 v225, v225, 0, s[36:37]
	v_add_u32_e32 v224, v225, v224
	s_nop 1
	v_mov_b32_dpp v225, v224 row_shr:2 row_mask:0xf bank_mask:0xf
	v_cndmask_b32_e64 v225, 0, v225, s[38:39]
	v_add_u32_e32 v224, v224, v225
	ds_write_b32 v69, v224 offset:512
.LBB914_490:                            ;   in Loop: Header=BB914_414 Depth=2
	s_or_b64 exec, exec, s[40:41]
	v_mov_b32_e32 v224, 0
	s_waitcnt lgkmcnt(0)
	s_barrier
	s_and_saveexec_b64 s[40:41], s[10:11]
	s_cbranch_execz .LBB914_492
; %bb.491:                              ;   in Loop: Header=BB914_414 Depth=2
	ds_read_b32 v224, v60 offset:508
.LBB914_492:                            ;   in Loop: Header=BB914_414 Depth=2
	s_or_b64 exec, exec, s[40:41]
	s_waitcnt lgkmcnt(0)
	v_add_u32_e32 v57, v224, v57
	ds_bpermute_b32 v57, v129, v57
	s_waitcnt lgkmcnt(0)
	v_cndmask_b32_e64 v57, v57, v224, s[34:35]
	v_cndmask_b32_e64 v57, v57, 0, s[16:17]
	v_add_u32_e32 v223, v57, v223
	v_add_u32_e32 v56, v223, v56
	ds_write_b32 v58, v57 offset:528
	ds_write2_b32 v67, v223, v56 offset0:1 offset1:2
	s_waitcnt lgkmcnt(0)
	s_barrier
	ds_read_b32 v56, v158
	ds_read_b32 v57, v163
	;; [unrolled: 1-line block ×17, first 2 shown]
	s_and_saveexec_b64 s[40:41], s[4:5]
	s_cbranch_execz .LBB914_496
; %bb.493:                              ;   in Loop: Header=BB914_414 Depth=2
	ds_read_b32 v154, v70 offset:528
	v_mov_b32_e32 v155, 0x1100
	s_and_saveexec_b64 s[42:43], s[18:19]
	s_cbranch_execz .LBB914_495
; %bb.494:                              ;   in Loop: Header=BB914_414 Depth=2
	ds_read_b32 v155, v70 offset:548
.LBB914_495:                            ;   in Loop: Header=BB914_414 Depth=2
	s_or_b64 exec, exec, s[42:43]
	s_waitcnt lgkmcnt(0)
	v_sub_u32_e32 v155, v155, v154
.LBB914_496:                            ;   in Loop: Header=BB914_414 Depth=2
	s_or_b64 exec, exec, s[40:41]
	s_waitcnt lgkmcnt(0)
	s_barrier
	s_and_saveexec_b64 s[40:41], s[4:5]
	s_cbranch_execz .LBB914_498
; %bb.497:                              ;   in Loop: Header=BB914_414 Depth=2
	ds_read_b32 v159, v3
	s_waitcnt lgkmcnt(0)
	v_sub_u32_e32 v159, v159, v154
	ds_write_b32 v3, v159
.LBB914_498:                            ;   in Loop: Header=BB914_414 Depth=2
	s_or_b64 exec, exec, s[40:41]
	v_add_u32_e32 v179, v56, v161
	v_add3_u32 v175, v167, v162, v57
	v_lshlrev_b32_e32 v56, 1, v179
	v_add3_u32 v174, v172, v168, v158
	ds_write_b16 v56, v157 offset:512
	v_lshlrev_b32_e32 v56, 1, v175
	v_add3_u32 v173, v177, v173, v163
	ds_write_b16 v56, v160 offset:512
	;; [unrolled: 3-line block ×15, first 2 shown]
	v_lshlrev_b32_e32 v56, 1, v158
	ds_write_b16 v56, v217 offset:512
	v_lshlrev_b32_e32 v56, 1, v5
	v_cmp_lt_u32_e64 s[40:41], v2, v156
	ds_write_b16 v56, v220 offset:512
	s_waitcnt lgkmcnt(0)
	s_barrier
	s_and_saveexec_b64 s[42:43], s[40:41]
	s_cbranch_execz .LBB914_550
; %bb.499:                              ;   in Loop: Header=BB914_414 Depth=2
	v_add_u32_e32 v56, v70, v75
	ds_read_u16 v56, v56 offset:512
	v_mov_b32_e32 v160, s81
	s_waitcnt lgkmcnt(0)
	v_lshrrev_b32_sdwa v57, s99, v56 dst_sel:DWORD dst_unused:UNUSED_PAD src0_sel:DWORD src1_sel:WORD_0
	v_and_b32_e32 v57, s6, v57
	v_lshlrev_b32_e32 v57, 2, v57
	ds_read_b32 v157, v57
	v_mov_b32_e32 v57, v4
	v_xor_b32_e32 v165, 0x7fff, v56
	s_waitcnt lgkmcnt(0)
	v_add_u32_e32 v56, v157, v2
	v_lshlrev_b64 v[56:57], 1, v[56:57]
	v_add_co_u32_e32 v56, vcc, s80, v56
	v_addc_co_u32_e32 v57, vcc, v160, v57, vcc
	global_store_short v[56:57], v165, off
	s_or_b64 exec, exec, s[42:43]
	v_cmp_lt_u32_e64 s[42:43], v7, v156
	s_and_saveexec_b64 s[44:45], s[42:43]
	s_cbranch_execnz .LBB914_551
.LBB914_500:                            ;   in Loop: Header=BB914_414 Depth=2
	s_or_b64 exec, exec, s[44:45]
	v_cmp_lt_u32_e64 s[44:45], v13, v156
	s_and_saveexec_b64 s[46:47], s[44:45]
	s_cbranch_execz .LBB914_552
.LBB914_501:                            ;   in Loop: Header=BB914_414 Depth=2
	ds_read_u16 v56, v76 offset:1024
	v_mov_b32_e32 v160, s81
	s_waitcnt lgkmcnt(0)
	v_lshrrev_b32_sdwa v57, s99, v56 dst_sel:DWORD dst_unused:UNUSED_PAD src0_sel:DWORD src1_sel:WORD_0
	v_and_b32_e32 v57, s6, v57
	v_lshlrev_b32_e32 v57, 2, v57
	ds_read_b32 v157, v57
	v_mov_b32_e32 v57, v4
	v_xor_b32_e32 v165, 0x7fff, v56
	s_waitcnt lgkmcnt(0)
	v_add_u32_e32 v56, v157, v13
	v_lshlrev_b64 v[56:57], 1, v[56:57]
	v_add_co_u32_e32 v56, vcc, s80, v56
	v_addc_co_u32_e32 v57, vcc, v160, v57, vcc
	global_store_short v[56:57], v165, off
	s_or_b64 exec, exec, s[46:47]
	v_cmp_lt_u32_e64 s[46:47], v15, v156
	s_and_saveexec_b64 s[48:49], s[46:47]
	s_cbranch_execnz .LBB914_553
.LBB914_502:                            ;   in Loop: Header=BB914_414 Depth=2
	s_or_b64 exec, exec, s[48:49]
	v_cmp_lt_u32_e64 s[48:49], v17, v156
	s_and_saveexec_b64 s[50:51], s[48:49]
	s_cbranch_execz .LBB914_554
.LBB914_503:                            ;   in Loop: Header=BB914_414 Depth=2
	ds_read_u16 v56, v76 offset:2048
	v_mov_b32_e32 v160, s81
	s_waitcnt lgkmcnt(0)
	v_lshrrev_b32_sdwa v57, s99, v56 dst_sel:DWORD dst_unused:UNUSED_PAD src0_sel:DWORD src1_sel:WORD_0
	v_and_b32_e32 v57, s6, v57
	v_lshlrev_b32_e32 v57, 2, v57
	ds_read_b32 v157, v57
	v_mov_b32_e32 v57, v4
	v_xor_b32_e32 v165, 0x7fff, v56
	s_waitcnt lgkmcnt(0)
	v_add_u32_e32 v56, v157, v17
	v_lshlrev_b64 v[56:57], 1, v[56:57]
	v_add_co_u32_e32 v56, vcc, s80, v56
	v_addc_co_u32_e32 v57, vcc, v160, v57, vcc
	global_store_short v[56:57], v165, off
	s_or_b64 exec, exec, s[50:51]
	v_cmp_lt_u32_e64 s[50:51], v19, v156
	s_and_saveexec_b64 s[52:53], s[50:51]
	s_cbranch_execnz .LBB914_555
.LBB914_504:                            ;   in Loop: Header=BB914_414 Depth=2
	s_or_b64 exec, exec, s[52:53]
	v_cmp_lt_u32_e64 s[52:53], v21, v156
	s_and_saveexec_b64 s[54:55], s[52:53]
	s_cbranch_execz .LBB914_556
.LBB914_505:                            ;   in Loop: Header=BB914_414 Depth=2
	ds_read_u16 v56, v76 offset:3072
	v_mov_b32_e32 v160, s81
	s_waitcnt lgkmcnt(0)
	v_lshrrev_b32_sdwa v57, s99, v56 dst_sel:DWORD dst_unused:UNUSED_PAD src0_sel:DWORD src1_sel:WORD_0
	v_and_b32_e32 v57, s6, v57
	v_lshlrev_b32_e32 v57, 2, v57
	ds_read_b32 v157, v57
	v_mov_b32_e32 v57, v4
	v_xor_b32_e32 v165, 0x7fff, v56
	s_waitcnt lgkmcnt(0)
	v_add_u32_e32 v56, v157, v21
	v_lshlrev_b64 v[56:57], 1, v[56:57]
	v_add_co_u32_e32 v56, vcc, s80, v56
	v_addc_co_u32_e32 v57, vcc, v160, v57, vcc
	global_store_short v[56:57], v165, off
	s_or_b64 exec, exec, s[54:55]
	v_cmp_lt_u32_e64 s[54:55], v23, v156
	s_and_saveexec_b64 s[56:57], s[54:55]
	s_cbranch_execnz .LBB914_557
.LBB914_506:                            ;   in Loop: Header=BB914_414 Depth=2
	s_or_b64 exec, exec, s[56:57]
	v_cmp_lt_u32_e64 s[56:57], v6, v156
	s_and_saveexec_b64 s[58:59], s[56:57]
	s_cbranch_execz .LBB914_558
.LBB914_507:                            ;   in Loop: Header=BB914_414 Depth=2
	ds_read_u16 v56, v76 offset:4096
	v_mov_b32_e32 v160, s81
	s_waitcnt lgkmcnt(0)
	v_lshrrev_b32_sdwa v57, s99, v56 dst_sel:DWORD dst_unused:UNUSED_PAD src0_sel:DWORD src1_sel:WORD_0
	v_and_b32_e32 v57, s6, v57
	v_lshlrev_b32_e32 v57, 2, v57
	ds_read_b32 v157, v57
	v_mov_b32_e32 v57, v4
	v_xor_b32_e32 v165, 0x7fff, v56
	s_waitcnt lgkmcnt(0)
	v_add_u32_e32 v56, v157, v6
	v_lshlrev_b64 v[56:57], 1, v[56:57]
	v_add_co_u32_e32 v56, vcc, s80, v56
	v_addc_co_u32_e32 v57, vcc, v160, v57, vcc
	global_store_short v[56:57], v165, off
	s_or_b64 exec, exec, s[58:59]
	v_cmp_lt_u32_e64 s[58:59], v8, v156
	s_and_saveexec_b64 s[60:61], s[58:59]
	s_cbranch_execnz .LBB914_559
.LBB914_508:                            ;   in Loop: Header=BB914_414 Depth=2
	s_or_b64 exec, exec, s[60:61]
	v_cmp_lt_u32_e64 s[60:61], v10, v156
	s_and_saveexec_b64 s[62:63], s[60:61]
	s_cbranch_execz .LBB914_560
.LBB914_509:                            ;   in Loop: Header=BB914_414 Depth=2
	ds_read_u16 v56, v76 offset:5120
	v_mov_b32_e32 v160, s81
	s_waitcnt lgkmcnt(0)
	v_lshrrev_b32_sdwa v57, s99, v56 dst_sel:DWORD dst_unused:UNUSED_PAD src0_sel:DWORD src1_sel:WORD_0
	v_and_b32_e32 v57, s6, v57
	v_lshlrev_b32_e32 v57, 2, v57
	ds_read_b32 v157, v57
	v_mov_b32_e32 v57, v4
	v_xor_b32_e32 v165, 0x7fff, v56
	s_waitcnt lgkmcnt(0)
	v_add_u32_e32 v56, v157, v10
	v_lshlrev_b64 v[56:57], 1, v[56:57]
	v_add_co_u32_e32 v56, vcc, s80, v56
	v_addc_co_u32_e32 v57, vcc, v160, v57, vcc
	global_store_short v[56:57], v165, off
	s_or_b64 exec, exec, s[62:63]
	v_cmp_lt_u32_e64 s[62:63], v12, v156
	s_and_saveexec_b64 s[64:65], s[62:63]
	s_cbranch_execnz .LBB914_561
.LBB914_510:                            ;   in Loop: Header=BB914_414 Depth=2
	s_or_b64 exec, exec, s[64:65]
	v_cmp_lt_u32_e64 s[64:65], v14, v156
	s_and_saveexec_b64 s[66:67], s[64:65]
	s_cbranch_execz .LBB914_562
.LBB914_511:                            ;   in Loop: Header=BB914_414 Depth=2
	ds_read_u16 v56, v76 offset:6144
	v_mov_b32_e32 v160, s81
	s_waitcnt lgkmcnt(0)
	v_lshrrev_b32_sdwa v57, s99, v56 dst_sel:DWORD dst_unused:UNUSED_PAD src0_sel:DWORD src1_sel:WORD_0
	v_and_b32_e32 v57, s6, v57
	v_lshlrev_b32_e32 v57, 2, v57
	ds_read_b32 v157, v57
	v_mov_b32_e32 v57, v4
	v_xor_b32_e32 v165, 0x7fff, v56
	s_waitcnt lgkmcnt(0)
	v_add_u32_e32 v56, v157, v14
	v_lshlrev_b64 v[56:57], 1, v[56:57]
	v_add_co_u32_e32 v56, vcc, s80, v56
	v_addc_co_u32_e32 v57, vcc, v160, v57, vcc
	global_store_short v[56:57], v165, off
	s_or_b64 exec, exec, s[66:67]
	v_cmp_lt_u32_e64 s[66:67], v16, v156
	s_and_saveexec_b64 s[68:69], s[66:67]
	s_cbranch_execnz .LBB914_563
.LBB914_512:                            ;   in Loop: Header=BB914_414 Depth=2
	s_or_b64 exec, exec, s[68:69]
	v_cmp_lt_u32_e64 s[68:69], v18, v156
	s_and_saveexec_b64 s[70:71], s[68:69]
	s_cbranch_execz .LBB914_564
.LBB914_513:                            ;   in Loop: Header=BB914_414 Depth=2
	ds_read_u16 v56, v76 offset:7168
	v_mov_b32_e32 v160, s81
	s_waitcnt lgkmcnt(0)
	v_lshrrev_b32_sdwa v57, s99, v56 dst_sel:DWORD dst_unused:UNUSED_PAD src0_sel:DWORD src1_sel:WORD_0
	v_and_b32_e32 v57, s6, v57
	v_lshlrev_b32_e32 v57, 2, v57
	ds_read_b32 v157, v57
	v_mov_b32_e32 v57, v4
	v_xor_b32_e32 v165, 0x7fff, v56
	s_waitcnt lgkmcnt(0)
	v_add_u32_e32 v56, v157, v18
	v_lshlrev_b64 v[56:57], 1, v[56:57]
	v_add_co_u32_e32 v56, vcc, s80, v56
	v_addc_co_u32_e32 v57, vcc, v160, v57, vcc
	global_store_short v[56:57], v165, off
	s_or_b64 exec, exec, s[70:71]
	v_cmp_lt_u32_e64 s[70:71], v20, v156
	s_and_saveexec_b64 s[72:73], s[70:71]
	s_cbranch_execnz .LBB914_565
.LBB914_514:                            ;   in Loop: Header=BB914_414 Depth=2
	s_or_b64 exec, exec, s[72:73]
	v_cmp_lt_u32_e64 s[72:73], v22, v156
	s_and_saveexec_b64 s[82:83], s[72:73]
	s_cbranch_execz .LBB914_516
.LBB914_515:                            ;   in Loop: Header=BB914_414 Depth=2
	ds_read_u16 v56, v76 offset:8192
	v_mov_b32_e32 v160, s81
	s_waitcnt lgkmcnt(0)
	v_lshrrev_b32_sdwa v57, s99, v56 dst_sel:DWORD dst_unused:UNUSED_PAD src0_sel:DWORD src1_sel:WORD_0
	v_and_b32_e32 v57, s6, v57
	v_lshlrev_b32_e32 v57, 2, v57
	ds_read_b32 v157, v57
	v_mov_b32_e32 v57, v4
	v_xor_b32_e32 v165, 0x7fff, v56
	s_waitcnt lgkmcnt(0)
	v_add_u32_e32 v56, v157, v22
	v_lshlrev_b64 v[56:57], 1, v[56:57]
	v_add_co_u32_e32 v56, vcc, s80, v56
	v_addc_co_u32_e32 v57, vcc, v160, v57, vcc
	global_store_short v[56:57], v165, off
.LBB914_516:                            ;   in Loop: Header=BB914_414 Depth=2
	s_or_b64 exec, exec, s[82:83]
	s_lshl_b64 s[82:83], s[94:95], 3
	v_mov_b32_e32 v57, s83
	v_add_co_u32_e32 v56, vcc, s82, v130
	v_addc_co_u32_e32 v57, vcc, v131, v57, vcc
	v_cmp_lt_u32_e32 vcc, v111, v156
	s_and_saveexec_b64 s[82:83], vcc
	s_xor_b64 s[82:83], exec, s[82:83]
	s_cbranch_execz .LBB914_566
; %bb.517:                              ;   in Loop: Header=BB914_414 Depth=2
	global_load_dwordx2 v[54:55], v[56:57], off
	s_or_b64 exec, exec, s[82:83]
	v_cmp_lt_u32_e32 vcc, v112, v156
	s_and_saveexec_b64 s[82:83], vcc
	s_cbranch_execnz .LBB914_567
.LBB914_518:                            ;   in Loop: Header=BB914_414 Depth=2
	s_or_b64 exec, exec, s[82:83]
	v_cmp_lt_u32_e32 vcc, v113, v156
	s_and_saveexec_b64 s[82:83], vcc
	s_cbranch_execz .LBB914_568
.LBB914_519:                            ;   in Loop: Header=BB914_414 Depth=2
	global_load_dwordx2 v[50:51], v[56:57], off offset:1024
	s_or_b64 exec, exec, s[82:83]
	v_cmp_lt_u32_e32 vcc, v114, v156
	s_and_saveexec_b64 s[82:83], vcc
	s_cbranch_execnz .LBB914_569
.LBB914_520:                            ;   in Loop: Header=BB914_414 Depth=2
	s_or_b64 exec, exec, s[82:83]
	v_cmp_lt_u32_e32 vcc, v115, v156
	s_and_saveexec_b64 s[82:83], vcc
	s_cbranch_execz .LBB914_570
.LBB914_521:                            ;   in Loop: Header=BB914_414 Depth=2
	global_load_dwordx2 v[42:43], v[56:57], off offset:2048
	s_or_b64 exec, exec, s[82:83]
	v_cmp_lt_u32_e32 vcc, v116, v156
	s_and_saveexec_b64 s[82:83], vcc
	s_cbranch_execnz .LBB914_571
.LBB914_522:                            ;   in Loop: Header=BB914_414 Depth=2
	s_or_b64 exec, exec, s[82:83]
	v_cmp_lt_u32_e32 vcc, v117, v156
	s_and_saveexec_b64 s[82:83], vcc
	s_cbranch_execz .LBB914_572
.LBB914_523:                            ;   in Loop: Header=BB914_414 Depth=2
	global_load_dwordx2 v[34:35], v[56:57], off offset:3072
	s_or_b64 exec, exec, s[82:83]
	v_cmp_lt_u32_e32 vcc, v118, v156
	s_and_saveexec_b64 s[82:83], vcc
	s_cbranch_execnz .LBB914_573
.LBB914_524:                            ;   in Loop: Header=BB914_414 Depth=2
	s_or_b64 exec, exec, s[82:83]
	v_cmp_lt_u32_e32 vcc, v119, v156
	s_and_saveexec_b64 s[82:83], vcc
	s_cbranch_execz .LBB914_574
.LBB914_525:                            ;   in Loop: Header=BB914_414 Depth=2
	v_add_co_u32_e32 v48, vcc, 0x1000, v56
	v_addc_co_u32_e32 v49, vcc, 0, v57, vcc
	global_load_dwordx2 v[48:49], v[48:49], off
	s_or_b64 exec, exec, s[82:83]
	v_cmp_lt_u32_e32 vcc, v120, v156
	s_and_saveexec_b64 s[82:83], vcc
	s_cbranch_execnz .LBB914_575
.LBB914_526:                            ;   in Loop: Header=BB914_414 Depth=2
	s_or_b64 exec, exec, s[82:83]
	v_cmp_lt_u32_e32 vcc, v121, v156
	s_and_saveexec_b64 s[82:83], vcc
	s_cbranch_execz .LBB914_576
.LBB914_527:                            ;   in Loop: Header=BB914_414 Depth=2
	v_add_co_u32_e32 v40, vcc, 0x1000, v56
	v_addc_co_u32_e32 v41, vcc, 0, v57, vcc
	global_load_dwordx2 v[40:41], v[40:41], off offset:1024
	s_or_b64 exec, exec, s[82:83]
	v_cmp_lt_u32_e32 vcc, v122, v156
	s_and_saveexec_b64 s[82:83], vcc
	s_cbranch_execnz .LBB914_577
.LBB914_528:                            ;   in Loop: Header=BB914_414 Depth=2
	s_or_b64 exec, exec, s[82:83]
	v_cmp_lt_u32_e32 vcc, v123, v156
	s_and_saveexec_b64 s[82:83], vcc
	s_cbranch_execz .LBB914_578
.LBB914_529:                            ;   in Loop: Header=BB914_414 Depth=2
	v_add_co_u32_e32 v32, vcc, 0x1000, v56
	v_addc_co_u32_e32 v33, vcc, 0, v57, vcc
	global_load_dwordx2 v[32:33], v[32:33], off offset:2048
	s_or_b64 exec, exec, s[82:83]
	v_cmp_lt_u32_e32 vcc, v124, v156
	s_and_saveexec_b64 s[82:83], vcc
	s_cbranch_execnz .LBB914_579
.LBB914_530:                            ;   in Loop: Header=BB914_414 Depth=2
	s_or_b64 exec, exec, s[82:83]
	v_cmp_lt_u32_e32 vcc, v125, v156
	s_and_saveexec_b64 s[82:83], vcc
	s_cbranch_execz .LBB914_580
.LBB914_531:                            ;   in Loop: Header=BB914_414 Depth=2
	v_add_co_u32_e32 v26, vcc, 0x1000, v56
	v_addc_co_u32_e32 v27, vcc, 0, v57, vcc
	global_load_dwordx2 v[26:27], v[26:27], off offset:3072
	s_or_b64 exec, exec, s[82:83]
	v_cmp_lt_u32_e32 vcc, v126, v156
	s_and_saveexec_b64 s[82:83], vcc
	s_cbranch_execnz .LBB914_581
.LBB914_532:                            ;   in Loop: Header=BB914_414 Depth=2
	s_or_b64 exec, exec, s[82:83]
	v_cmp_lt_u32_e32 vcc, v127, v156
	s_and_saveexec_b64 s[82:83], vcc
	s_cbranch_execz .LBB914_582
.LBB914_533:                            ;   in Loop: Header=BB914_414 Depth=2
	v_add_co_u32_e32 v0, vcc, 0x2000, v56
	v_addc_co_u32_e32 v1, vcc, 0, v57, vcc
	global_load_dwordx2 v[0:1], v[0:1], off
	s_or_b64 exec, exec, s[82:83]
	s_and_saveexec_b64 s[82:83], s[40:41]
	s_cbranch_execnz .LBB914_583
.LBB914_534:                            ;   in Loop: Header=BB914_414 Depth=2
	s_or_b64 exec, exec, s[82:83]
	s_and_saveexec_b64 s[82:83], s[42:43]
	s_cbranch_execz .LBB914_584
.LBB914_535:                            ;   in Loop: Header=BB914_414 Depth=2
	ds_read_u16 v56, v76 offset:512
	s_waitcnt lgkmcnt(0)
	v_lshrrev_b32_e32 v56, s99, v56
	v_and_b32_e32 v150, s6, v56
	s_or_b64 exec, exec, s[82:83]
	s_and_saveexec_b64 s[82:83], s[44:45]
	s_cbranch_execnz .LBB914_585
.LBB914_536:                            ;   in Loop: Header=BB914_414 Depth=2
	s_or_b64 exec, exec, s[82:83]
	s_and_saveexec_b64 s[82:83], s[46:47]
	s_cbranch_execz .LBB914_586
.LBB914_537:                            ;   in Loop: Header=BB914_414 Depth=2
	ds_read_u16 v56, v76 offset:1536
	s_waitcnt lgkmcnt(0)
	v_lshrrev_b32_e32 v56, s99, v56
	v_and_b32_e32 v147, s6, v56
	s_or_b64 exec, exec, s[82:83]
	s_and_saveexec_b64 s[82:83], s[48:49]
	s_cbranch_execnz .LBB914_587
.LBB914_538:                            ;   in Loop: Header=BB914_414 Depth=2
	s_or_b64 exec, exec, s[82:83]
	s_and_saveexec_b64 s[82:83], s[50:51]
	s_cbranch_execz .LBB914_588
.LBB914_539:                            ;   in Loop: Header=BB914_414 Depth=2
	ds_read_u16 v56, v76 offset:2560
	s_waitcnt lgkmcnt(0)
	v_lshrrev_b32_e32 v56, s99, v56
	v_and_b32_e32 v145, s6, v56
	s_or_b64 exec, exec, s[82:83]
	s_and_saveexec_b64 s[82:83], s[52:53]
	s_cbranch_execnz .LBB914_589
.LBB914_540:                            ;   in Loop: Header=BB914_414 Depth=2
	s_or_b64 exec, exec, s[82:83]
	s_and_saveexec_b64 s[82:83], s[54:55]
	s_cbranch_execz .LBB914_590
.LBB914_541:                            ;   in Loop: Header=BB914_414 Depth=2
	ds_read_u16 v56, v76 offset:3584
	s_waitcnt lgkmcnt(0)
	v_lshrrev_b32_e32 v56, s99, v56
	v_and_b32_e32 v143, s6, v56
	s_or_b64 exec, exec, s[82:83]
	s_and_saveexec_b64 s[82:83], s[56:57]
	s_cbranch_execnz .LBB914_591
.LBB914_542:                            ;   in Loop: Header=BB914_414 Depth=2
	s_or_b64 exec, exec, s[82:83]
	s_and_saveexec_b64 s[82:83], s[58:59]
	s_cbranch_execz .LBB914_592
.LBB914_543:                            ;   in Loop: Header=BB914_414 Depth=2
	ds_read_u16 v56, v76 offset:4608
	s_waitcnt lgkmcnt(0)
	v_lshrrev_b32_e32 v56, s99, v56
	v_and_b32_e32 v141, s6, v56
	s_or_b64 exec, exec, s[82:83]
	s_and_saveexec_b64 s[82:83], s[60:61]
	s_cbranch_execnz .LBB914_593
.LBB914_544:                            ;   in Loop: Header=BB914_414 Depth=2
	s_or_b64 exec, exec, s[82:83]
	s_and_saveexec_b64 s[82:83], s[62:63]
	s_cbranch_execz .LBB914_594
.LBB914_545:                            ;   in Loop: Header=BB914_414 Depth=2
	ds_read_u16 v56, v76 offset:5632
	s_waitcnt lgkmcnt(0)
	v_lshrrev_b32_e32 v56, s99, v56
	v_and_b32_e32 v139, s6, v56
	s_or_b64 exec, exec, s[82:83]
	s_and_saveexec_b64 s[82:83], s[64:65]
	s_cbranch_execnz .LBB914_595
.LBB914_546:                            ;   in Loop: Header=BB914_414 Depth=2
	s_or_b64 exec, exec, s[82:83]
	s_and_saveexec_b64 s[82:83], s[66:67]
	s_cbranch_execz .LBB914_596
.LBB914_547:                            ;   in Loop: Header=BB914_414 Depth=2
	ds_read_u16 v56, v76 offset:6656
	s_waitcnt lgkmcnt(0)
	v_lshrrev_b32_e32 v56, s99, v56
	v_and_b32_e32 v137, s6, v56
	s_or_b64 exec, exec, s[82:83]
	s_and_saveexec_b64 s[82:83], s[68:69]
	s_cbranch_execnz .LBB914_597
.LBB914_548:                            ;   in Loop: Header=BB914_414 Depth=2
	s_or_b64 exec, exec, s[82:83]
	s_and_saveexec_b64 s[82:83], s[70:71]
	s_cbranch_execz .LBB914_598
.LBB914_549:                            ;   in Loop: Header=BB914_414 Depth=2
	ds_read_u16 v56, v76 offset:7680
	s_waitcnt lgkmcnt(0)
	v_lshrrev_b32_e32 v56, s99, v56
	v_and_b32_e32 v135, s6, v56
	s_or_b64 exec, exec, s[82:83]
	s_and_saveexec_b64 s[82:83], s[72:73]
	s_cbranch_execnz .LBB914_599
	s_branch .LBB914_600
.LBB914_550:                            ;   in Loop: Header=BB914_414 Depth=2
	s_or_b64 exec, exec, s[42:43]
	v_cmp_lt_u32_e64 s[42:43], v7, v156
	s_and_saveexec_b64 s[44:45], s[42:43]
	s_cbranch_execz .LBB914_500
.LBB914_551:                            ;   in Loop: Header=BB914_414 Depth=2
	ds_read_u16 v56, v76 offset:512
	v_mov_b32_e32 v160, s81
	s_waitcnt lgkmcnt(0)
	v_lshrrev_b32_sdwa v57, s99, v56 dst_sel:DWORD dst_unused:UNUSED_PAD src0_sel:DWORD src1_sel:WORD_0
	v_and_b32_e32 v57, s6, v57
	v_lshlrev_b32_e32 v57, 2, v57
	ds_read_b32 v157, v57
	v_mov_b32_e32 v57, v4
	v_xor_b32_e32 v165, 0x7fff, v56
	s_waitcnt lgkmcnt(0)
	v_add_u32_e32 v56, v157, v7
	v_lshlrev_b64 v[56:57], 1, v[56:57]
	v_add_co_u32_e32 v56, vcc, s80, v56
	v_addc_co_u32_e32 v57, vcc, v160, v57, vcc
	global_store_short v[56:57], v165, off
	s_or_b64 exec, exec, s[44:45]
	v_cmp_lt_u32_e64 s[44:45], v13, v156
	s_and_saveexec_b64 s[46:47], s[44:45]
	s_cbranch_execnz .LBB914_501
.LBB914_552:                            ;   in Loop: Header=BB914_414 Depth=2
	s_or_b64 exec, exec, s[46:47]
	v_cmp_lt_u32_e64 s[46:47], v15, v156
	s_and_saveexec_b64 s[48:49], s[46:47]
	s_cbranch_execz .LBB914_502
.LBB914_553:                            ;   in Loop: Header=BB914_414 Depth=2
	ds_read_u16 v56, v76 offset:1536
	v_mov_b32_e32 v160, s81
	s_waitcnt lgkmcnt(0)
	v_lshrrev_b32_sdwa v57, s99, v56 dst_sel:DWORD dst_unused:UNUSED_PAD src0_sel:DWORD src1_sel:WORD_0
	v_and_b32_e32 v57, s6, v57
	v_lshlrev_b32_e32 v57, 2, v57
	ds_read_b32 v157, v57
	v_mov_b32_e32 v57, v4
	v_xor_b32_e32 v165, 0x7fff, v56
	s_waitcnt lgkmcnt(0)
	v_add_u32_e32 v56, v157, v15
	v_lshlrev_b64 v[56:57], 1, v[56:57]
	v_add_co_u32_e32 v56, vcc, s80, v56
	v_addc_co_u32_e32 v57, vcc, v160, v57, vcc
	global_store_short v[56:57], v165, off
	s_or_b64 exec, exec, s[48:49]
	v_cmp_lt_u32_e64 s[48:49], v17, v156
	s_and_saveexec_b64 s[50:51], s[48:49]
	s_cbranch_execnz .LBB914_503
.LBB914_554:                            ;   in Loop: Header=BB914_414 Depth=2
	s_or_b64 exec, exec, s[50:51]
	v_cmp_lt_u32_e64 s[50:51], v19, v156
	s_and_saveexec_b64 s[52:53], s[50:51]
	s_cbranch_execz .LBB914_504
.LBB914_555:                            ;   in Loop: Header=BB914_414 Depth=2
	ds_read_u16 v56, v76 offset:2560
	v_mov_b32_e32 v160, s81
	s_waitcnt lgkmcnt(0)
	v_lshrrev_b32_sdwa v57, s99, v56 dst_sel:DWORD dst_unused:UNUSED_PAD src0_sel:DWORD src1_sel:WORD_0
	v_and_b32_e32 v57, s6, v57
	v_lshlrev_b32_e32 v57, 2, v57
	ds_read_b32 v157, v57
	v_mov_b32_e32 v57, v4
	v_xor_b32_e32 v165, 0x7fff, v56
	s_waitcnt lgkmcnt(0)
	v_add_u32_e32 v56, v157, v19
	v_lshlrev_b64 v[56:57], 1, v[56:57]
	v_add_co_u32_e32 v56, vcc, s80, v56
	v_addc_co_u32_e32 v57, vcc, v160, v57, vcc
	global_store_short v[56:57], v165, off
	s_or_b64 exec, exec, s[52:53]
	v_cmp_lt_u32_e64 s[52:53], v21, v156
	s_and_saveexec_b64 s[54:55], s[52:53]
	s_cbranch_execnz .LBB914_505
.LBB914_556:                            ;   in Loop: Header=BB914_414 Depth=2
	s_or_b64 exec, exec, s[54:55]
	v_cmp_lt_u32_e64 s[54:55], v23, v156
	s_and_saveexec_b64 s[56:57], s[54:55]
	s_cbranch_execz .LBB914_506
.LBB914_557:                            ;   in Loop: Header=BB914_414 Depth=2
	ds_read_u16 v56, v76 offset:3584
	v_mov_b32_e32 v160, s81
	s_waitcnt lgkmcnt(0)
	v_lshrrev_b32_sdwa v57, s99, v56 dst_sel:DWORD dst_unused:UNUSED_PAD src0_sel:DWORD src1_sel:WORD_0
	v_and_b32_e32 v57, s6, v57
	v_lshlrev_b32_e32 v57, 2, v57
	ds_read_b32 v157, v57
	v_mov_b32_e32 v57, v4
	v_xor_b32_e32 v165, 0x7fff, v56
	s_waitcnt lgkmcnt(0)
	v_add_u32_e32 v56, v157, v23
	v_lshlrev_b64 v[56:57], 1, v[56:57]
	v_add_co_u32_e32 v56, vcc, s80, v56
	v_addc_co_u32_e32 v57, vcc, v160, v57, vcc
	global_store_short v[56:57], v165, off
	s_or_b64 exec, exec, s[56:57]
	v_cmp_lt_u32_e64 s[56:57], v6, v156
	s_and_saveexec_b64 s[58:59], s[56:57]
	s_cbranch_execnz .LBB914_507
.LBB914_558:                            ;   in Loop: Header=BB914_414 Depth=2
	s_or_b64 exec, exec, s[58:59]
	v_cmp_lt_u32_e64 s[58:59], v8, v156
	s_and_saveexec_b64 s[60:61], s[58:59]
	s_cbranch_execz .LBB914_508
.LBB914_559:                            ;   in Loop: Header=BB914_414 Depth=2
	ds_read_u16 v56, v76 offset:4608
	v_mov_b32_e32 v160, s81
	s_waitcnt lgkmcnt(0)
	v_lshrrev_b32_sdwa v57, s99, v56 dst_sel:DWORD dst_unused:UNUSED_PAD src0_sel:DWORD src1_sel:WORD_0
	v_and_b32_e32 v57, s6, v57
	v_lshlrev_b32_e32 v57, 2, v57
	ds_read_b32 v157, v57
	v_mov_b32_e32 v57, v4
	v_xor_b32_e32 v165, 0x7fff, v56
	s_waitcnt lgkmcnt(0)
	v_add_u32_e32 v56, v157, v8
	v_lshlrev_b64 v[56:57], 1, v[56:57]
	v_add_co_u32_e32 v56, vcc, s80, v56
	v_addc_co_u32_e32 v57, vcc, v160, v57, vcc
	global_store_short v[56:57], v165, off
	s_or_b64 exec, exec, s[60:61]
	v_cmp_lt_u32_e64 s[60:61], v10, v156
	s_and_saveexec_b64 s[62:63], s[60:61]
	s_cbranch_execnz .LBB914_509
.LBB914_560:                            ;   in Loop: Header=BB914_414 Depth=2
	s_or_b64 exec, exec, s[62:63]
	v_cmp_lt_u32_e64 s[62:63], v12, v156
	s_and_saveexec_b64 s[64:65], s[62:63]
	s_cbranch_execz .LBB914_510
.LBB914_561:                            ;   in Loop: Header=BB914_414 Depth=2
	ds_read_u16 v56, v76 offset:5632
	v_mov_b32_e32 v160, s81
	s_waitcnt lgkmcnt(0)
	v_lshrrev_b32_sdwa v57, s99, v56 dst_sel:DWORD dst_unused:UNUSED_PAD src0_sel:DWORD src1_sel:WORD_0
	v_and_b32_e32 v57, s6, v57
	v_lshlrev_b32_e32 v57, 2, v57
	ds_read_b32 v157, v57
	v_mov_b32_e32 v57, v4
	v_xor_b32_e32 v165, 0x7fff, v56
	s_waitcnt lgkmcnt(0)
	v_add_u32_e32 v56, v157, v12
	v_lshlrev_b64 v[56:57], 1, v[56:57]
	v_add_co_u32_e32 v56, vcc, s80, v56
	v_addc_co_u32_e32 v57, vcc, v160, v57, vcc
	global_store_short v[56:57], v165, off
	s_or_b64 exec, exec, s[64:65]
	v_cmp_lt_u32_e64 s[64:65], v14, v156
	s_and_saveexec_b64 s[66:67], s[64:65]
	s_cbranch_execnz .LBB914_511
.LBB914_562:                            ;   in Loop: Header=BB914_414 Depth=2
	s_or_b64 exec, exec, s[66:67]
	v_cmp_lt_u32_e64 s[66:67], v16, v156
	s_and_saveexec_b64 s[68:69], s[66:67]
	s_cbranch_execz .LBB914_512
.LBB914_563:                            ;   in Loop: Header=BB914_414 Depth=2
	ds_read_u16 v56, v76 offset:6656
	v_mov_b32_e32 v160, s81
	s_waitcnt lgkmcnt(0)
	v_lshrrev_b32_sdwa v57, s99, v56 dst_sel:DWORD dst_unused:UNUSED_PAD src0_sel:DWORD src1_sel:WORD_0
	v_and_b32_e32 v57, s6, v57
	v_lshlrev_b32_e32 v57, 2, v57
	ds_read_b32 v157, v57
	v_mov_b32_e32 v57, v4
	v_xor_b32_e32 v165, 0x7fff, v56
	s_waitcnt lgkmcnt(0)
	v_add_u32_e32 v56, v157, v16
	v_lshlrev_b64 v[56:57], 1, v[56:57]
	v_add_co_u32_e32 v56, vcc, s80, v56
	v_addc_co_u32_e32 v57, vcc, v160, v57, vcc
	global_store_short v[56:57], v165, off
	s_or_b64 exec, exec, s[68:69]
	v_cmp_lt_u32_e64 s[68:69], v18, v156
	s_and_saveexec_b64 s[70:71], s[68:69]
	s_cbranch_execnz .LBB914_513
.LBB914_564:                            ;   in Loop: Header=BB914_414 Depth=2
	s_or_b64 exec, exec, s[70:71]
	v_cmp_lt_u32_e64 s[70:71], v20, v156
	s_and_saveexec_b64 s[72:73], s[70:71]
	s_cbranch_execz .LBB914_514
.LBB914_565:                            ;   in Loop: Header=BB914_414 Depth=2
	ds_read_u16 v56, v76 offset:7680
	v_mov_b32_e32 v160, s81
	s_waitcnt lgkmcnt(0)
	v_lshrrev_b32_sdwa v57, s99, v56 dst_sel:DWORD dst_unused:UNUSED_PAD src0_sel:DWORD src1_sel:WORD_0
	v_and_b32_e32 v57, s6, v57
	v_lshlrev_b32_e32 v57, 2, v57
	ds_read_b32 v157, v57
	v_mov_b32_e32 v57, v4
	v_xor_b32_e32 v165, 0x7fff, v56
	s_waitcnt lgkmcnt(0)
	v_add_u32_e32 v56, v157, v20
	v_lshlrev_b64 v[56:57], 1, v[56:57]
	v_add_co_u32_e32 v56, vcc, s80, v56
	v_addc_co_u32_e32 v57, vcc, v160, v57, vcc
	global_store_short v[56:57], v165, off
	s_or_b64 exec, exec, s[72:73]
	v_cmp_lt_u32_e64 s[72:73], v22, v156
	s_and_saveexec_b64 s[82:83], s[72:73]
	s_cbranch_execnz .LBB914_515
	s_branch .LBB914_516
.LBB914_566:                            ;   in Loop: Header=BB914_414 Depth=2
	s_or_b64 exec, exec, s[82:83]
	v_cmp_lt_u32_e32 vcc, v112, v156
	s_and_saveexec_b64 s[82:83], vcc
	s_cbranch_execz .LBB914_518
.LBB914_567:                            ;   in Loop: Header=BB914_414 Depth=2
	global_load_dwordx2 v[52:53], v[56:57], off offset:512
	s_or_b64 exec, exec, s[82:83]
	v_cmp_lt_u32_e32 vcc, v113, v156
	s_and_saveexec_b64 s[82:83], vcc
	s_cbranch_execnz .LBB914_519
.LBB914_568:                            ;   in Loop: Header=BB914_414 Depth=2
	s_or_b64 exec, exec, s[82:83]
	v_cmp_lt_u32_e32 vcc, v114, v156
	s_and_saveexec_b64 s[82:83], vcc
	s_cbranch_execz .LBB914_520
.LBB914_569:                            ;   in Loop: Header=BB914_414 Depth=2
	global_load_dwordx2 v[46:47], v[56:57], off offset:1536
	s_or_b64 exec, exec, s[82:83]
	v_cmp_lt_u32_e32 vcc, v115, v156
	s_and_saveexec_b64 s[82:83], vcc
	s_cbranch_execnz .LBB914_521
.LBB914_570:                            ;   in Loop: Header=BB914_414 Depth=2
	s_or_b64 exec, exec, s[82:83]
	v_cmp_lt_u32_e32 vcc, v116, v156
	s_and_saveexec_b64 s[82:83], vcc
	s_cbranch_execz .LBB914_522
.LBB914_571:                            ;   in Loop: Header=BB914_414 Depth=2
	global_load_dwordx2 v[38:39], v[56:57], off offset:2560
	s_or_b64 exec, exec, s[82:83]
	v_cmp_lt_u32_e32 vcc, v117, v156
	s_and_saveexec_b64 s[82:83], vcc
	s_cbranch_execnz .LBB914_523
.LBB914_572:                            ;   in Loop: Header=BB914_414 Depth=2
	s_or_b64 exec, exec, s[82:83]
	v_cmp_lt_u32_e32 vcc, v118, v156
	s_and_saveexec_b64 s[82:83], vcc
	s_cbranch_execz .LBB914_524
.LBB914_573:                            ;   in Loop: Header=BB914_414 Depth=2
	global_load_dwordx2 v[30:31], v[56:57], off offset:3584
	s_or_b64 exec, exec, s[82:83]
	v_cmp_lt_u32_e32 vcc, v119, v156
	s_and_saveexec_b64 s[82:83], vcc
	s_cbranch_execnz .LBB914_525
.LBB914_574:                            ;   in Loop: Header=BB914_414 Depth=2
	s_or_b64 exec, exec, s[82:83]
	v_cmp_lt_u32_e32 vcc, v120, v156
	s_and_saveexec_b64 s[82:83], vcc
	s_cbranch_execz .LBB914_526
.LBB914_575:                            ;   in Loop: Header=BB914_414 Depth=2
	v_add_co_u32_e32 v44, vcc, 0x1000, v56
	v_addc_co_u32_e32 v45, vcc, 0, v57, vcc
	global_load_dwordx2 v[44:45], v[44:45], off offset:512
	s_or_b64 exec, exec, s[82:83]
	v_cmp_lt_u32_e32 vcc, v121, v156
	s_and_saveexec_b64 s[82:83], vcc
	s_cbranch_execnz .LBB914_527
.LBB914_576:                            ;   in Loop: Header=BB914_414 Depth=2
	s_or_b64 exec, exec, s[82:83]
	v_cmp_lt_u32_e32 vcc, v122, v156
	s_and_saveexec_b64 s[82:83], vcc
	s_cbranch_execz .LBB914_528
.LBB914_577:                            ;   in Loop: Header=BB914_414 Depth=2
	v_add_co_u32_e32 v36, vcc, 0x1000, v56
	v_addc_co_u32_e32 v37, vcc, 0, v57, vcc
	global_load_dwordx2 v[36:37], v[36:37], off offset:1536
	s_or_b64 exec, exec, s[82:83]
	v_cmp_lt_u32_e32 vcc, v123, v156
	s_and_saveexec_b64 s[82:83], vcc
	s_cbranch_execnz .LBB914_529
.LBB914_578:                            ;   in Loop: Header=BB914_414 Depth=2
	s_or_b64 exec, exec, s[82:83]
	v_cmp_lt_u32_e32 vcc, v124, v156
	s_and_saveexec_b64 s[82:83], vcc
	s_cbranch_execz .LBB914_530
.LBB914_579:                            ;   in Loop: Header=BB914_414 Depth=2
	v_add_co_u32_e32 v28, vcc, 0x1000, v56
	v_addc_co_u32_e32 v29, vcc, 0, v57, vcc
	global_load_dwordx2 v[28:29], v[28:29], off offset:2560
	s_or_b64 exec, exec, s[82:83]
	v_cmp_lt_u32_e32 vcc, v125, v156
	s_and_saveexec_b64 s[82:83], vcc
	s_cbranch_execnz .LBB914_531
.LBB914_580:                            ;   in Loop: Header=BB914_414 Depth=2
	s_or_b64 exec, exec, s[82:83]
	v_cmp_lt_u32_e32 vcc, v126, v156
	s_and_saveexec_b64 s[82:83], vcc
	s_cbranch_execz .LBB914_532
.LBB914_581:                            ;   in Loop: Header=BB914_414 Depth=2
	v_add_co_u32_e32 v24, vcc, 0x1000, v56
	v_addc_co_u32_e32 v25, vcc, 0, v57, vcc
	global_load_dwordx2 v[24:25], v[24:25], off offset:3584
	s_or_b64 exec, exec, s[82:83]
	v_cmp_lt_u32_e32 vcc, v127, v156
	s_and_saveexec_b64 s[82:83], vcc
	s_cbranch_execnz .LBB914_533
.LBB914_582:                            ;   in Loop: Header=BB914_414 Depth=2
	s_or_b64 exec, exec, s[82:83]
	s_and_saveexec_b64 s[82:83], s[40:41]
	s_cbranch_execz .LBB914_534
.LBB914_583:                            ;   in Loop: Header=BB914_414 Depth=2
	v_add_u32_e32 v56, v70, v75
	ds_read_u16 v56, v56 offset:512
	s_waitcnt lgkmcnt(0)
	v_lshrrev_b32_e32 v56, s99, v56
	v_and_b32_e32 v152, s6, v56
	s_or_b64 exec, exec, s[82:83]
	s_and_saveexec_b64 s[82:83], s[42:43]
	s_cbranch_execnz .LBB914_535
.LBB914_584:                            ;   in Loop: Header=BB914_414 Depth=2
	s_or_b64 exec, exec, s[82:83]
	s_and_saveexec_b64 s[82:83], s[44:45]
	s_cbranch_execz .LBB914_536
.LBB914_585:                            ;   in Loop: Header=BB914_414 Depth=2
	ds_read_u16 v56, v76 offset:1024
	s_waitcnt lgkmcnt(0)
	v_lshrrev_b32_e32 v56, s99, v56
	v_and_b32_e32 v149, s6, v56
	s_or_b64 exec, exec, s[82:83]
	s_and_saveexec_b64 s[82:83], s[46:47]
	s_cbranch_execnz .LBB914_537
.LBB914_586:                            ;   in Loop: Header=BB914_414 Depth=2
	s_or_b64 exec, exec, s[82:83]
	s_and_saveexec_b64 s[82:83], s[48:49]
	s_cbranch_execz .LBB914_538
.LBB914_587:                            ;   in Loop: Header=BB914_414 Depth=2
	ds_read_u16 v56, v76 offset:2048
	s_waitcnt lgkmcnt(0)
	v_lshrrev_b32_e32 v56, s99, v56
	v_and_b32_e32 v146, s6, v56
	s_or_b64 exec, exec, s[82:83]
	s_and_saveexec_b64 s[82:83], s[50:51]
	s_cbranch_execnz .LBB914_539
.LBB914_588:                            ;   in Loop: Header=BB914_414 Depth=2
	s_or_b64 exec, exec, s[82:83]
	s_and_saveexec_b64 s[82:83], s[52:53]
	s_cbranch_execz .LBB914_540
.LBB914_589:                            ;   in Loop: Header=BB914_414 Depth=2
	ds_read_u16 v56, v76 offset:3072
	s_waitcnt lgkmcnt(0)
	v_lshrrev_b32_e32 v56, s99, v56
	v_and_b32_e32 v144, s6, v56
	s_or_b64 exec, exec, s[82:83]
	s_and_saveexec_b64 s[82:83], s[54:55]
	s_cbranch_execnz .LBB914_541
.LBB914_590:                            ;   in Loop: Header=BB914_414 Depth=2
	s_or_b64 exec, exec, s[82:83]
	s_and_saveexec_b64 s[82:83], s[56:57]
	s_cbranch_execz .LBB914_542
.LBB914_591:                            ;   in Loop: Header=BB914_414 Depth=2
	ds_read_u16 v56, v76 offset:4096
	s_waitcnt lgkmcnt(0)
	v_lshrrev_b32_e32 v56, s99, v56
	v_and_b32_e32 v142, s6, v56
	s_or_b64 exec, exec, s[82:83]
	s_and_saveexec_b64 s[82:83], s[58:59]
	s_cbranch_execnz .LBB914_543
.LBB914_592:                            ;   in Loop: Header=BB914_414 Depth=2
	s_or_b64 exec, exec, s[82:83]
	s_and_saveexec_b64 s[82:83], s[60:61]
	s_cbranch_execz .LBB914_544
.LBB914_593:                            ;   in Loop: Header=BB914_414 Depth=2
	ds_read_u16 v56, v76 offset:5120
	s_waitcnt lgkmcnt(0)
	v_lshrrev_b32_e32 v56, s99, v56
	v_and_b32_e32 v140, s6, v56
	s_or_b64 exec, exec, s[82:83]
	s_and_saveexec_b64 s[82:83], s[62:63]
	s_cbranch_execnz .LBB914_545
.LBB914_594:                            ;   in Loop: Header=BB914_414 Depth=2
	s_or_b64 exec, exec, s[82:83]
	s_and_saveexec_b64 s[82:83], s[64:65]
	s_cbranch_execz .LBB914_546
.LBB914_595:                            ;   in Loop: Header=BB914_414 Depth=2
	ds_read_u16 v56, v76 offset:6144
	s_waitcnt lgkmcnt(0)
	v_lshrrev_b32_e32 v56, s99, v56
	v_and_b32_e32 v138, s6, v56
	s_or_b64 exec, exec, s[82:83]
	s_and_saveexec_b64 s[82:83], s[66:67]
	s_cbranch_execnz .LBB914_547
.LBB914_596:                            ;   in Loop: Header=BB914_414 Depth=2
	s_or_b64 exec, exec, s[82:83]
	s_and_saveexec_b64 s[82:83], s[68:69]
	s_cbranch_execz .LBB914_548
.LBB914_597:                            ;   in Loop: Header=BB914_414 Depth=2
	ds_read_u16 v56, v76 offset:7168
	s_waitcnt lgkmcnt(0)
	v_lshrrev_b32_e32 v56, s99, v56
	v_and_b32_e32 v136, s6, v56
	s_or_b64 exec, exec, s[82:83]
	s_and_saveexec_b64 s[82:83], s[70:71]
	s_cbranch_execnz .LBB914_549
.LBB914_598:                            ;   in Loop: Header=BB914_414 Depth=2
	s_or_b64 exec, exec, s[82:83]
	s_and_saveexec_b64 s[82:83], s[72:73]
	s_cbranch_execz .LBB914_600
.LBB914_599:                            ;   in Loop: Header=BB914_414 Depth=2
	ds_read_u16 v56, v76 offset:8192
	s_waitcnt lgkmcnt(0)
	v_lshrrev_b32_e32 v56, s99, v56
	v_and_b32_e32 v134, s6, v56
.LBB914_600:                            ;   in Loop: Header=BB914_414 Depth=2
	s_or_b64 exec, exec, s[82:83]
	v_lshlrev_b32_e32 v56, 3, v179
	s_barrier
	s_waitcnt vmcnt(0)
	ds_write_b64 v56, v[54:55] offset:512
	v_lshlrev_b32_e32 v56, 3, v175
	ds_write_b64 v56, v[52:53] offset:512
	v_lshlrev_b32_e32 v56, 3, v174
	;; [unrolled: 2-line block ×15, first 2 shown]
	v_lshlrev_b32_e32 v5, 3, v5
	ds_write_b64 v56, v[24:25] offset:512
	ds_write_b64 v5, v[0:1] offset:512
	s_waitcnt lgkmcnt(0)
	s_barrier
	s_and_saveexec_b64 s[82:83], s[40:41]
	s_cbranch_execz .LBB914_620
; %bb.601:                              ;   in Loop: Header=BB914_414 Depth=2
	v_lshlrev_b32_e32 v5, 2, v152
	ds_read_b32 v5, v5
	ds_read_b64 v[56:57], v68 offset:512
	v_mov_b32_e32 v157, v4
	v_mov_b32_e32 v158, s87
	s_waitcnt lgkmcnt(1)
	v_add_u32_e32 v156, v5, v2
	v_lshlrev_b64 v[156:157], 3, v[156:157]
	v_add_co_u32_e32 v156, vcc, s86, v156
	v_addc_co_u32_e32 v157, vcc, v158, v157, vcc
	s_waitcnt lgkmcnt(0)
	global_store_dwordx2 v[156:157], v[56:57], off
	s_or_b64 exec, exec, s[82:83]
	s_and_saveexec_b64 s[40:41], s[42:43]
	s_cbranch_execnz .LBB914_621
.LBB914_602:                            ;   in Loop: Header=BB914_414 Depth=2
	s_or_b64 exec, exec, s[40:41]
	s_and_saveexec_b64 s[40:41], s[44:45]
	s_cbranch_execz .LBB914_622
.LBB914_603:                            ;   in Loop: Header=BB914_414 Depth=2
	v_lshlrev_b32_e32 v5, 2, v149
	ds_read_b32 v5, v5
	v_add_u32_e32 v56, v76, v77
	ds_read_b64 v[56:57], v56 offset:4096
	v_mov_b32_e32 v157, v4
	v_mov_b32_e32 v158, s87
	s_waitcnt lgkmcnt(1)
	v_add_u32_e32 v156, v5, v13
	v_lshlrev_b64 v[156:157], 3, v[156:157]
	v_add_co_u32_e32 v156, vcc, s86, v156
	v_addc_co_u32_e32 v157, vcc, v158, v157, vcc
	s_waitcnt lgkmcnt(0)
	global_store_dwordx2 v[156:157], v[56:57], off
	s_or_b64 exec, exec, s[40:41]
	s_and_saveexec_b64 s[40:41], s[46:47]
	s_cbranch_execnz .LBB914_623
.LBB914_604:                            ;   in Loop: Header=BB914_414 Depth=2
	s_or_b64 exec, exec, s[40:41]
	s_and_saveexec_b64 s[40:41], s[48:49]
	s_cbranch_execz .LBB914_624
.LBB914_605:                            ;   in Loop: Header=BB914_414 Depth=2
	v_lshlrev_b32_e32 v5, 2, v146
	ds_read_b32 v5, v5
	v_add_u32_e32 v56, v76, v77
	ds_read_b64 v[56:57], v56 offset:8192
	v_mov_b32_e32 v157, v4
	v_mov_b32_e32 v158, s87
	s_waitcnt lgkmcnt(1)
	v_add_u32_e32 v156, v5, v17
	v_lshlrev_b64 v[156:157], 3, v[156:157]
	v_add_co_u32_e32 v156, vcc, s86, v156
	v_addc_co_u32_e32 v157, vcc, v158, v157, vcc
	s_waitcnt lgkmcnt(0)
	global_store_dwordx2 v[156:157], v[56:57], off
	s_or_b64 exec, exec, s[40:41]
	s_and_saveexec_b64 s[40:41], s[50:51]
	s_cbranch_execnz .LBB914_625
.LBB914_606:                            ;   in Loop: Header=BB914_414 Depth=2
	s_or_b64 exec, exec, s[40:41]
	s_and_saveexec_b64 s[40:41], s[52:53]
	s_cbranch_execz .LBB914_626
.LBB914_607:                            ;   in Loop: Header=BB914_414 Depth=2
	v_lshlrev_b32_e32 v5, 2, v144
	ds_read_b32 v5, v5
	v_add_u32_e32 v56, v76, v77
	ds_read_b64 v[56:57], v56 offset:12288
	v_mov_b32_e32 v157, v4
	v_mov_b32_e32 v158, s87
	s_waitcnt lgkmcnt(1)
	v_add_u32_e32 v156, v5, v21
	v_lshlrev_b64 v[156:157], 3, v[156:157]
	v_add_co_u32_e32 v156, vcc, s86, v156
	v_addc_co_u32_e32 v157, vcc, v158, v157, vcc
	s_waitcnt lgkmcnt(0)
	global_store_dwordx2 v[156:157], v[56:57], off
	s_or_b64 exec, exec, s[40:41]
	s_and_saveexec_b64 s[40:41], s[54:55]
	s_cbranch_execnz .LBB914_627
.LBB914_608:                            ;   in Loop: Header=BB914_414 Depth=2
	s_or_b64 exec, exec, s[40:41]
	s_and_saveexec_b64 s[40:41], s[56:57]
	s_cbranch_execz .LBB914_628
.LBB914_609:                            ;   in Loop: Header=BB914_414 Depth=2
	v_lshlrev_b32_e32 v5, 2, v142
	ds_read_b32 v5, v5
	v_add_u32_e32 v56, v76, v77
	ds_read_b64 v[56:57], v56 offset:16384
	v_mov_b32_e32 v157, v4
	v_mov_b32_e32 v158, s87
	s_waitcnt lgkmcnt(1)
	v_add_u32_e32 v156, v5, v6
	v_lshlrev_b64 v[156:157], 3, v[156:157]
	v_add_co_u32_e32 v156, vcc, s86, v156
	v_addc_co_u32_e32 v157, vcc, v158, v157, vcc
	s_waitcnt lgkmcnt(0)
	global_store_dwordx2 v[156:157], v[56:57], off
	s_or_b64 exec, exec, s[40:41]
	s_and_saveexec_b64 s[40:41], s[58:59]
	s_cbranch_execnz .LBB914_629
.LBB914_610:                            ;   in Loop: Header=BB914_414 Depth=2
	s_or_b64 exec, exec, s[40:41]
	s_and_saveexec_b64 s[40:41], s[60:61]
	s_cbranch_execz .LBB914_630
.LBB914_611:                            ;   in Loop: Header=BB914_414 Depth=2
	v_lshlrev_b32_e32 v5, 2, v140
	ds_read_b32 v5, v5
	v_add_u32_e32 v56, v76, v77
	ds_read_b64 v[56:57], v56 offset:20480
	v_mov_b32_e32 v157, v4
	v_mov_b32_e32 v158, s87
	s_waitcnt lgkmcnt(1)
	v_add_u32_e32 v156, v5, v10
	v_lshlrev_b64 v[156:157], 3, v[156:157]
	v_add_co_u32_e32 v156, vcc, s86, v156
	v_addc_co_u32_e32 v157, vcc, v158, v157, vcc
	s_waitcnt lgkmcnt(0)
	global_store_dwordx2 v[156:157], v[56:57], off
	s_or_b64 exec, exec, s[40:41]
	s_and_saveexec_b64 s[40:41], s[62:63]
	s_cbranch_execnz .LBB914_631
.LBB914_612:                            ;   in Loop: Header=BB914_414 Depth=2
	s_or_b64 exec, exec, s[40:41]
	s_and_saveexec_b64 s[40:41], s[64:65]
	s_cbranch_execz .LBB914_632
.LBB914_613:                            ;   in Loop: Header=BB914_414 Depth=2
	v_lshlrev_b32_e32 v5, 2, v138
	ds_read_b32 v5, v5
	v_add_u32_e32 v56, v76, v77
	ds_read_b64 v[56:57], v56 offset:24576
	v_mov_b32_e32 v157, v4
	v_mov_b32_e32 v158, s87
	s_waitcnt lgkmcnt(1)
	v_add_u32_e32 v156, v5, v14
	v_lshlrev_b64 v[156:157], 3, v[156:157]
	v_add_co_u32_e32 v156, vcc, s86, v156
	v_addc_co_u32_e32 v157, vcc, v158, v157, vcc
	s_waitcnt lgkmcnt(0)
	global_store_dwordx2 v[156:157], v[56:57], off
	s_or_b64 exec, exec, s[40:41]
	s_and_saveexec_b64 s[40:41], s[66:67]
	s_cbranch_execnz .LBB914_633
.LBB914_614:                            ;   in Loop: Header=BB914_414 Depth=2
	s_or_b64 exec, exec, s[40:41]
	s_and_saveexec_b64 s[40:41], s[68:69]
	s_cbranch_execz .LBB914_634
.LBB914_615:                            ;   in Loop: Header=BB914_414 Depth=2
	v_lshlrev_b32_e32 v5, 2, v136
	ds_read_b32 v5, v5
	v_add_u32_e32 v56, v76, v77
	ds_read_b64 v[56:57], v56 offset:28672
	v_mov_b32_e32 v157, v4
	v_mov_b32_e32 v158, s87
	s_waitcnt lgkmcnt(1)
	v_add_u32_e32 v156, v5, v18
	v_lshlrev_b64 v[156:157], 3, v[156:157]
	v_add_co_u32_e32 v156, vcc, s86, v156
	v_addc_co_u32_e32 v157, vcc, v158, v157, vcc
	s_waitcnt lgkmcnt(0)
	global_store_dwordx2 v[156:157], v[56:57], off
	s_or_b64 exec, exec, s[40:41]
	s_and_saveexec_b64 s[40:41], s[70:71]
	s_cbranch_execnz .LBB914_635
.LBB914_616:                            ;   in Loop: Header=BB914_414 Depth=2
	s_or_b64 exec, exec, s[40:41]
	s_and_saveexec_b64 s[40:41], s[72:73]
	s_cbranch_execz .LBB914_618
.LBB914_617:                            ;   in Loop: Header=BB914_414 Depth=2
	v_lshlrev_b32_e32 v5, 2, v134
	ds_read_b32 v5, v5
	v_add_u32_e32 v56, v76, v77
	ds_read_b64 v[56:57], v56 offset:32768
	v_mov_b32_e32 v157, v4
	v_mov_b32_e32 v158, s87
	s_waitcnt lgkmcnt(1)
	v_add_u32_e32 v156, v5, v22
	v_lshlrev_b64 v[156:157], 3, v[156:157]
	v_add_co_u32_e32 v156, vcc, s86, v156
	v_addc_co_u32_e32 v157, vcc, v158, v157, vcc
	s_waitcnt lgkmcnt(0)
	global_store_dwordx2 v[156:157], v[56:57], off
.LBB914_618:                            ;   in Loop: Header=BB914_414 Depth=2
	s_or_b64 exec, exec, s[40:41]
	s_barrier
	s_and_saveexec_b64 s[40:41], s[4:5]
	s_cbranch_execz .LBB914_413
; %bb.619:                              ;   in Loop: Header=BB914_414 Depth=2
	ds_read_b32 v5, v3
	s_waitcnt lgkmcnt(0)
	v_add3_u32 v5, v154, v155, v5
	ds_write_b32 v3, v5
	s_branch .LBB914_413
.LBB914_620:                            ;   in Loop: Header=BB914_414 Depth=2
	s_or_b64 exec, exec, s[82:83]
	s_and_saveexec_b64 s[40:41], s[42:43]
	s_cbranch_execz .LBB914_602
.LBB914_621:                            ;   in Loop: Header=BB914_414 Depth=2
	v_lshlrev_b32_e32 v5, 2, v150
	ds_read_b32 v5, v5
	v_add_u32_e32 v56, v76, v77
	ds_read_b64 v[56:57], v56 offset:2048
	v_mov_b32_e32 v157, v4
	v_mov_b32_e32 v158, s87
	s_waitcnt lgkmcnt(1)
	v_add_u32_e32 v156, v5, v7
	v_lshlrev_b64 v[156:157], 3, v[156:157]
	v_add_co_u32_e32 v156, vcc, s86, v156
	v_addc_co_u32_e32 v157, vcc, v158, v157, vcc
	s_waitcnt lgkmcnt(0)
	global_store_dwordx2 v[156:157], v[56:57], off
	s_or_b64 exec, exec, s[40:41]
	s_and_saveexec_b64 s[40:41], s[44:45]
	s_cbranch_execnz .LBB914_603
.LBB914_622:                            ;   in Loop: Header=BB914_414 Depth=2
	s_or_b64 exec, exec, s[40:41]
	s_and_saveexec_b64 s[40:41], s[46:47]
	s_cbranch_execz .LBB914_604
.LBB914_623:                            ;   in Loop: Header=BB914_414 Depth=2
	v_lshlrev_b32_e32 v5, 2, v147
	ds_read_b32 v5, v5
	v_add_u32_e32 v56, v76, v77
	ds_read_b64 v[56:57], v56 offset:6144
	v_mov_b32_e32 v157, v4
	v_mov_b32_e32 v158, s87
	s_waitcnt lgkmcnt(1)
	v_add_u32_e32 v156, v5, v15
	v_lshlrev_b64 v[156:157], 3, v[156:157]
	v_add_co_u32_e32 v156, vcc, s86, v156
	v_addc_co_u32_e32 v157, vcc, v158, v157, vcc
	s_waitcnt lgkmcnt(0)
	global_store_dwordx2 v[156:157], v[56:57], off
	s_or_b64 exec, exec, s[40:41]
	s_and_saveexec_b64 s[40:41], s[48:49]
	s_cbranch_execnz .LBB914_605
.LBB914_624:                            ;   in Loop: Header=BB914_414 Depth=2
	s_or_b64 exec, exec, s[40:41]
	s_and_saveexec_b64 s[40:41], s[50:51]
	s_cbranch_execz .LBB914_606
.LBB914_625:                            ;   in Loop: Header=BB914_414 Depth=2
	v_lshlrev_b32_e32 v5, 2, v145
	ds_read_b32 v5, v5
	v_add_u32_e32 v56, v76, v77
	ds_read_b64 v[56:57], v56 offset:10240
	v_mov_b32_e32 v157, v4
	v_mov_b32_e32 v158, s87
	s_waitcnt lgkmcnt(1)
	v_add_u32_e32 v156, v5, v19
	v_lshlrev_b64 v[156:157], 3, v[156:157]
	v_add_co_u32_e32 v156, vcc, s86, v156
	v_addc_co_u32_e32 v157, vcc, v158, v157, vcc
	s_waitcnt lgkmcnt(0)
	global_store_dwordx2 v[156:157], v[56:57], off
	s_or_b64 exec, exec, s[40:41]
	s_and_saveexec_b64 s[40:41], s[52:53]
	s_cbranch_execnz .LBB914_607
.LBB914_626:                            ;   in Loop: Header=BB914_414 Depth=2
	s_or_b64 exec, exec, s[40:41]
	s_and_saveexec_b64 s[40:41], s[54:55]
	s_cbranch_execz .LBB914_608
.LBB914_627:                            ;   in Loop: Header=BB914_414 Depth=2
	v_lshlrev_b32_e32 v5, 2, v143
	ds_read_b32 v5, v5
	v_add_u32_e32 v56, v76, v77
	ds_read_b64 v[56:57], v56 offset:14336
	v_mov_b32_e32 v157, v4
	v_mov_b32_e32 v158, s87
	s_waitcnt lgkmcnt(1)
	v_add_u32_e32 v156, v5, v23
	v_lshlrev_b64 v[156:157], 3, v[156:157]
	v_add_co_u32_e32 v156, vcc, s86, v156
	v_addc_co_u32_e32 v157, vcc, v158, v157, vcc
	s_waitcnt lgkmcnt(0)
	global_store_dwordx2 v[156:157], v[56:57], off
	s_or_b64 exec, exec, s[40:41]
	s_and_saveexec_b64 s[40:41], s[56:57]
	s_cbranch_execnz .LBB914_609
.LBB914_628:                            ;   in Loop: Header=BB914_414 Depth=2
	s_or_b64 exec, exec, s[40:41]
	s_and_saveexec_b64 s[40:41], s[58:59]
	s_cbranch_execz .LBB914_610
.LBB914_629:                            ;   in Loop: Header=BB914_414 Depth=2
	v_lshlrev_b32_e32 v5, 2, v141
	ds_read_b32 v5, v5
	v_add_u32_e32 v56, v76, v77
	ds_read_b64 v[56:57], v56 offset:18432
	v_mov_b32_e32 v157, v4
	v_mov_b32_e32 v158, s87
	s_waitcnt lgkmcnt(1)
	v_add_u32_e32 v156, v5, v8
	v_lshlrev_b64 v[156:157], 3, v[156:157]
	v_add_co_u32_e32 v156, vcc, s86, v156
	v_addc_co_u32_e32 v157, vcc, v158, v157, vcc
	s_waitcnt lgkmcnt(0)
	global_store_dwordx2 v[156:157], v[56:57], off
	s_or_b64 exec, exec, s[40:41]
	s_and_saveexec_b64 s[40:41], s[60:61]
	s_cbranch_execnz .LBB914_611
.LBB914_630:                            ;   in Loop: Header=BB914_414 Depth=2
	s_or_b64 exec, exec, s[40:41]
	s_and_saveexec_b64 s[40:41], s[62:63]
	s_cbranch_execz .LBB914_612
.LBB914_631:                            ;   in Loop: Header=BB914_414 Depth=2
	v_lshlrev_b32_e32 v5, 2, v139
	ds_read_b32 v5, v5
	v_add_u32_e32 v56, v76, v77
	ds_read_b64 v[56:57], v56 offset:22528
	v_mov_b32_e32 v157, v4
	v_mov_b32_e32 v158, s87
	s_waitcnt lgkmcnt(1)
	v_add_u32_e32 v156, v5, v12
	v_lshlrev_b64 v[156:157], 3, v[156:157]
	v_add_co_u32_e32 v156, vcc, s86, v156
	v_addc_co_u32_e32 v157, vcc, v158, v157, vcc
	s_waitcnt lgkmcnt(0)
	global_store_dwordx2 v[156:157], v[56:57], off
	s_or_b64 exec, exec, s[40:41]
	s_and_saveexec_b64 s[40:41], s[64:65]
	s_cbranch_execnz .LBB914_613
.LBB914_632:                            ;   in Loop: Header=BB914_414 Depth=2
	s_or_b64 exec, exec, s[40:41]
	s_and_saveexec_b64 s[40:41], s[66:67]
	s_cbranch_execz .LBB914_614
.LBB914_633:                            ;   in Loop: Header=BB914_414 Depth=2
	v_lshlrev_b32_e32 v5, 2, v137
	ds_read_b32 v5, v5
	v_add_u32_e32 v56, v76, v77
	ds_read_b64 v[56:57], v56 offset:26624
	v_mov_b32_e32 v157, v4
	v_mov_b32_e32 v158, s87
	s_waitcnt lgkmcnt(1)
	v_add_u32_e32 v156, v5, v16
	v_lshlrev_b64 v[156:157], 3, v[156:157]
	v_add_co_u32_e32 v156, vcc, s86, v156
	v_addc_co_u32_e32 v157, vcc, v158, v157, vcc
	s_waitcnt lgkmcnt(0)
	global_store_dwordx2 v[156:157], v[56:57], off
	s_or_b64 exec, exec, s[40:41]
	s_and_saveexec_b64 s[40:41], s[68:69]
	s_cbranch_execnz .LBB914_615
.LBB914_634:                            ;   in Loop: Header=BB914_414 Depth=2
	s_or_b64 exec, exec, s[40:41]
	s_and_saveexec_b64 s[40:41], s[70:71]
	s_cbranch_execz .LBB914_616
.LBB914_635:                            ;   in Loop: Header=BB914_414 Depth=2
	v_lshlrev_b32_e32 v5, 2, v135
	ds_read_b32 v5, v5
	v_add_u32_e32 v56, v76, v77
	ds_read_b64 v[56:57], v56 offset:30720
	v_mov_b32_e32 v157, v4
	v_mov_b32_e32 v158, s87
	s_waitcnt lgkmcnt(1)
	v_add_u32_e32 v156, v5, v20
	v_lshlrev_b64 v[156:157], 3, v[156:157]
	v_add_co_u32_e32 v156, vcc, s86, v156
	v_addc_co_u32_e32 v157, vcc, v158, v157, vcc
	s_waitcnt lgkmcnt(0)
	global_store_dwordx2 v[156:157], v[56:57], off
	s_or_b64 exec, exec, s[40:41]
	s_and_saveexec_b64 s[40:41], s[72:73]
	s_cbranch_execnz .LBB914_617
	s_branch .LBB914_618
.LBB914_636:                            ;   in Loop: Header=BB914_12 Depth=1
	s_waitcnt lgkmcnt(0)
	s_barrier
.LBB914_637:                            ;   in Loop: Header=BB914_12 Depth=1
	s_mov_b64 s[20:21], 0
.LBB914_638:                            ;   in Loop: Header=BB914_12 Depth=1
	s_andn2_b64 vcc, exec, s[20:21]
	s_cbranch_vccnz .LBB914_11
; %bb.639:                              ;   in Loop: Header=BB914_12 Depth=1
	s_mov_b64 s[20:21], -1
	s_and_b64 vcc, exec, s[92:93]
	s_cbranch_vccz .LBB914_951
; %bb.640:                              ;   in Loop: Header=BB914_12 Depth=1
	s_mov_b32 s7, s91
	s_mov_b32 s94, s75
	s_barrier
	s_waitcnt lgkmcnt(0)
                                        ; implicit-def: $vgpr39
                                        ; implicit-def: $vgpr5
                                        ; implicit-def: $vgpr24
                                        ; implicit-def: $vgpr25
                                        ; implicit-def: $vgpr26
                                        ; implicit-def: $vgpr27
                                        ; implicit-def: $vgpr28
                                        ; implicit-def: $vgpr29
                                        ; implicit-def: $vgpr30
                                        ; implicit-def: $vgpr31
                                        ; implicit-def: $vgpr32
                                        ; implicit-def: $vgpr33
                                        ; implicit-def: $vgpr34
                                        ; implicit-def: $vgpr35
                                        ; implicit-def: $vgpr36
                                        ; implicit-def: $vgpr37
                                        ; implicit-def: $vgpr38
	s_branch .LBB914_642
.LBB914_641:                            ;   in Loop: Header=BB914_642 Depth=2
	s_or_b64 exec, exec, s[20:21]
	s_addk_i32 s7, 0xef00
	s_cmp_ge_u32 s8, s98
	s_mov_b32 s94, s8
	s_cbranch_scc1 .LBB914_716
.LBB914_642:                            ;   Parent Loop BB914_12 Depth=1
                                        ; =>  This Inner Loop Header: Depth=2
	s_add_i32 s8, s94, 0x1100
	s_cmp_gt_u32 s8, s98
	s_cbranch_scc1 .LBB914_645
; %bb.643:                              ;   in Loop: Header=BB914_642 Depth=2
	s_lshl_b64 s[20:21], s[94:95], 1
	v_mov_b32_e32 v1, s21
	v_add_co_u32_e32 v0, vcc, s20, v84
	v_addc_co_u32_e32 v1, vcc, v85, v1, vcc
	s_waitcnt vmcnt(0)
	v_add_co_u32_e32 v56, vcc, s88, v0
	v_addc_co_u32_e32 v57, vcc, 0, v1, vcc
	global_load_ushort v41, v[0:1], off
	global_load_ushort v42, v[0:1], off offset:512
	global_load_ushort v43, v[0:1], off offset:1024
	;; [unrolled: 1-line block ×7, first 2 shown]
	global_load_ushort v49, v[56:57], off
	global_load_ushort v50, v[56:57], off offset:512
	global_load_ushort v51, v[56:57], off offset:1024
	;; [unrolled: 1-line block ×6, first 2 shown]
	s_nop 0
	global_load_ushort v56, v[56:57], off offset:3584
	v_add_co_u32_e32 v0, vcc, 0x2000, v0
	v_addc_co_u32_e32 v1, vcc, 0, v1, vcc
	s_mov_b64 s[20:21], -1
	s_movk_i32 s9, 0x1100
	s_cbranch_execz .LBB914_646
; %bb.644:                              ;   in Loop: Header=BB914_642 Depth=2
                                        ; implicit-def: $vgpr38
                                        ; implicit-def: $vgpr37
                                        ; implicit-def: $vgpr36
                                        ; implicit-def: $vgpr35
                                        ; implicit-def: $vgpr34
                                        ; implicit-def: $vgpr33
                                        ; implicit-def: $vgpr32
                                        ; implicit-def: $vgpr31
                                        ; implicit-def: $vgpr30
                                        ; implicit-def: $vgpr29
                                        ; implicit-def: $vgpr28
                                        ; implicit-def: $vgpr27
                                        ; implicit-def: $vgpr26
                                        ; implicit-def: $vgpr25
                                        ; implicit-def: $vgpr24
                                        ; implicit-def: $vgpr5
                                        ; implicit-def: $vgpr39
	v_mov_b32_e32 v40, s7
	s_and_saveexec_b64 s[22:23], s[20:21]
	s_cbranch_execnz .LBB914_681
	s_branch .LBB914_682
.LBB914_645:                            ;   in Loop: Header=BB914_642 Depth=2
	s_mov_b64 s[20:21], 0
                                        ; implicit-def: $sgpr9
                                        ; implicit-def: $vgpr41
                                        ; implicit-def: $vgpr42
                                        ; implicit-def: $vgpr43
                                        ; implicit-def: $vgpr44
                                        ; implicit-def: $vgpr45
                                        ; implicit-def: $vgpr46
                                        ; implicit-def: $vgpr47
                                        ; implicit-def: $vgpr48
                                        ; implicit-def: $vgpr49
                                        ; implicit-def: $vgpr50
                                        ; implicit-def: $vgpr51
                                        ; implicit-def: $vgpr52
                                        ; implicit-def: $vgpr53
                                        ; implicit-def: $vgpr54
                                        ; implicit-def: $vgpr55
                                        ; implicit-def: $vgpr56
                                        ; implicit-def: $vgpr0_vgpr1
.LBB914_646:                            ;   in Loop: Header=BB914_642 Depth=2
	s_lshl_b64 s[22:23], s[94:95], 1
	s_add_u32 s22, s76, s22
	s_addc_u32 s23, s77, s23
	v_cmp_gt_u32_e32 vcc, s7, v2
	s_and_saveexec_b64 s[24:25], vcc
	s_cbranch_execz .LBB914_662
; %bb.647:                              ;   in Loop: Header=BB914_642 Depth=2
	global_load_ushort v38, v92, s[22:23]
	s_or_b64 exec, exec, s[24:25]
	v_cmp_gt_u32_e32 vcc, s7, v7
	s_and_saveexec_b64 s[24:25], vcc
	s_cbranch_execnz .LBB914_663
.LBB914_648:                            ;   in Loop: Header=BB914_642 Depth=2
	s_or_b64 exec, exec, s[24:25]
	v_cmp_gt_u32_e32 vcc, s7, v13
	s_and_saveexec_b64 s[24:25], vcc
	s_cbranch_execz .LBB914_664
.LBB914_649:                            ;   in Loop: Header=BB914_642 Depth=2
	global_load_ushort v36, v92, s[22:23] offset:1024
	s_or_b64 exec, exec, s[24:25]
	v_cmp_gt_u32_e32 vcc, s7, v15
	s_and_saveexec_b64 s[24:25], vcc
	s_cbranch_execnz .LBB914_665
.LBB914_650:                            ;   in Loop: Header=BB914_642 Depth=2
	s_or_b64 exec, exec, s[24:25]
	v_cmp_gt_u32_e32 vcc, s7, v17
	s_and_saveexec_b64 s[24:25], vcc
	s_cbranch_execz .LBB914_666
.LBB914_651:                            ;   in Loop: Header=BB914_642 Depth=2
	global_load_ushort v34, v92, s[22:23] offset:2048
	s_or_b64 exec, exec, s[24:25]
	v_cmp_gt_u32_e32 vcc, s7, v19
	s_and_saveexec_b64 s[24:25], vcc
	s_cbranch_execnz .LBB914_667
.LBB914_652:                            ;   in Loop: Header=BB914_642 Depth=2
	s_or_b64 exec, exec, s[24:25]
	v_cmp_gt_u32_e32 vcc, s7, v21
	s_and_saveexec_b64 s[24:25], vcc
	s_cbranch_execz .LBB914_668
.LBB914_653:                            ;   in Loop: Header=BB914_642 Depth=2
	global_load_ushort v32, v92, s[22:23] offset:3072
	s_or_b64 exec, exec, s[24:25]
	v_cmp_gt_u32_e32 vcc, s7, v23
	s_and_saveexec_b64 s[24:25], vcc
	s_cbranch_execnz .LBB914_669
.LBB914_654:                            ;   in Loop: Header=BB914_642 Depth=2
	s_or_b64 exec, exec, s[24:25]
	v_cmp_gt_u32_e32 vcc, s7, v6
	s_and_saveexec_b64 s[24:25], vcc
	s_cbranch_execz .LBB914_670
.LBB914_655:                            ;   in Loop: Header=BB914_642 Depth=2
	global_load_ushort v30, v93, s[22:23]
	s_or_b64 exec, exec, s[24:25]
	v_cmp_gt_u32_e32 vcc, s7, v8
	s_and_saveexec_b64 s[24:25], vcc
	s_cbranch_execnz .LBB914_671
.LBB914_656:                            ;   in Loop: Header=BB914_642 Depth=2
	s_or_b64 exec, exec, s[24:25]
	v_cmp_gt_u32_e32 vcc, s7, v10
	s_and_saveexec_b64 s[24:25], vcc
	s_cbranch_execz .LBB914_672
.LBB914_657:                            ;   in Loop: Header=BB914_642 Depth=2
	global_load_ushort v28, v95, s[22:23]
	s_or_b64 exec, exec, s[24:25]
	v_cmp_gt_u32_e32 vcc, s7, v12
	s_and_saveexec_b64 s[24:25], vcc
	s_cbranch_execnz .LBB914_673
.LBB914_658:                            ;   in Loop: Header=BB914_642 Depth=2
	s_or_b64 exec, exec, s[24:25]
	v_cmp_gt_u32_e32 vcc, s7, v14
	s_and_saveexec_b64 s[24:25], vcc
	s_cbranch_execz .LBB914_674
.LBB914_659:                            ;   in Loop: Header=BB914_642 Depth=2
	global_load_ushort v26, v97, s[22:23]
	s_or_b64 exec, exec, s[24:25]
	v_cmp_gt_u32_e32 vcc, s7, v16
	s_and_saveexec_b64 s[24:25], vcc
	s_cbranch_execnz .LBB914_675
.LBB914_660:                            ;   in Loop: Header=BB914_642 Depth=2
	s_or_b64 exec, exec, s[24:25]
	v_cmp_gt_u32_e32 vcc, s7, v18
	s_and_saveexec_b64 s[24:25], vcc
	s_cbranch_execz .LBB914_676
.LBB914_661:                            ;   in Loop: Header=BB914_642 Depth=2
	global_load_ushort v24, v99, s[22:23]
	s_or_b64 exec, exec, s[24:25]
	v_cmp_gt_u32_e32 vcc, s7, v20
	s_and_saveexec_b64 s[24:25], vcc
	s_cbranch_execz .LBB914_678
	s_branch .LBB914_677
.LBB914_662:                            ;   in Loop: Header=BB914_642 Depth=2
	s_or_b64 exec, exec, s[24:25]
	v_cmp_gt_u32_e32 vcc, s7, v7
	s_and_saveexec_b64 s[24:25], vcc
	s_cbranch_execz .LBB914_648
.LBB914_663:                            ;   in Loop: Header=BB914_642 Depth=2
	global_load_ushort v37, v92, s[22:23] offset:512
	s_or_b64 exec, exec, s[24:25]
	v_cmp_gt_u32_e32 vcc, s7, v13
	s_and_saveexec_b64 s[24:25], vcc
	s_cbranch_execnz .LBB914_649
.LBB914_664:                            ;   in Loop: Header=BB914_642 Depth=2
	s_or_b64 exec, exec, s[24:25]
	v_cmp_gt_u32_e32 vcc, s7, v15
	s_and_saveexec_b64 s[24:25], vcc
	s_cbranch_execz .LBB914_650
.LBB914_665:                            ;   in Loop: Header=BB914_642 Depth=2
	global_load_ushort v35, v92, s[22:23] offset:1536
	s_or_b64 exec, exec, s[24:25]
	v_cmp_gt_u32_e32 vcc, s7, v17
	s_and_saveexec_b64 s[24:25], vcc
	s_cbranch_execnz .LBB914_651
.LBB914_666:                            ;   in Loop: Header=BB914_642 Depth=2
	s_or_b64 exec, exec, s[24:25]
	v_cmp_gt_u32_e32 vcc, s7, v19
	s_and_saveexec_b64 s[24:25], vcc
	s_cbranch_execz .LBB914_652
.LBB914_667:                            ;   in Loop: Header=BB914_642 Depth=2
	global_load_ushort v33, v92, s[22:23] offset:2560
	s_or_b64 exec, exec, s[24:25]
	v_cmp_gt_u32_e32 vcc, s7, v21
	s_and_saveexec_b64 s[24:25], vcc
	s_cbranch_execnz .LBB914_653
.LBB914_668:                            ;   in Loop: Header=BB914_642 Depth=2
	s_or_b64 exec, exec, s[24:25]
	v_cmp_gt_u32_e32 vcc, s7, v23
	s_and_saveexec_b64 s[24:25], vcc
	s_cbranch_execz .LBB914_654
.LBB914_669:                            ;   in Loop: Header=BB914_642 Depth=2
	global_load_ushort v31, v92, s[22:23] offset:3584
	s_or_b64 exec, exec, s[24:25]
	v_cmp_gt_u32_e32 vcc, s7, v6
	s_and_saveexec_b64 s[24:25], vcc
	s_cbranch_execnz .LBB914_655
.LBB914_670:                            ;   in Loop: Header=BB914_642 Depth=2
	s_or_b64 exec, exec, s[24:25]
	v_cmp_gt_u32_e32 vcc, s7, v8
	s_and_saveexec_b64 s[24:25], vcc
	s_cbranch_execz .LBB914_656
.LBB914_671:                            ;   in Loop: Header=BB914_642 Depth=2
	global_load_ushort v29, v94, s[22:23]
	s_or_b64 exec, exec, s[24:25]
	v_cmp_gt_u32_e32 vcc, s7, v10
	s_and_saveexec_b64 s[24:25], vcc
	s_cbranch_execnz .LBB914_657
.LBB914_672:                            ;   in Loop: Header=BB914_642 Depth=2
	s_or_b64 exec, exec, s[24:25]
	v_cmp_gt_u32_e32 vcc, s7, v12
	s_and_saveexec_b64 s[24:25], vcc
	s_cbranch_execz .LBB914_658
.LBB914_673:                            ;   in Loop: Header=BB914_642 Depth=2
	global_load_ushort v27, v96, s[22:23]
	s_or_b64 exec, exec, s[24:25]
	v_cmp_gt_u32_e32 vcc, s7, v14
	s_and_saveexec_b64 s[24:25], vcc
	s_cbranch_execnz .LBB914_659
.LBB914_674:                            ;   in Loop: Header=BB914_642 Depth=2
	s_or_b64 exec, exec, s[24:25]
	v_cmp_gt_u32_e32 vcc, s7, v16
	s_and_saveexec_b64 s[24:25], vcc
	s_cbranch_execz .LBB914_660
.LBB914_675:                            ;   in Loop: Header=BB914_642 Depth=2
	global_load_ushort v25, v98, s[22:23]
	s_or_b64 exec, exec, s[24:25]
	v_cmp_gt_u32_e32 vcc, s7, v18
	s_and_saveexec_b64 s[24:25], vcc
	s_cbranch_execnz .LBB914_661
.LBB914_676:                            ;   in Loop: Header=BB914_642 Depth=2
	s_or_b64 exec, exec, s[24:25]
	v_cmp_gt_u32_e32 vcc, s7, v20
	s_and_saveexec_b64 s[24:25], vcc
	s_cbranch_execz .LBB914_678
.LBB914_677:                            ;   in Loop: Header=BB914_642 Depth=2
	global_load_ushort v5, v100, s[22:23]
.LBB914_678:                            ;   in Loop: Header=BB914_642 Depth=2
	s_or_b64 exec, exec, s[24:25]
	v_cmp_gt_u32_e32 vcc, s7, v22
                                        ; implicit-def: $sgpr9
                                        ; implicit-def: $vgpr0_vgpr1
	s_and_saveexec_b64 s[24:25], vcc
; %bb.679:                              ;   in Loop: Header=BB914_642 Depth=2
	v_mov_b32_e32 v1, s23
	v_add_co_u32_e32 v0, vcc, s22, v101
	s_sub_i32 s9, s98, s94
	v_addc_co_u32_e32 v1, vcc, 0, v1, vcc
	s_or_b64 s[20:21], s[20:21], exec
                                        ; implicit-def: $vgpr39
; %bb.680:                              ;   in Loop: Header=BB914_642 Depth=2
	s_or_b64 exec, exec, s[24:25]
	s_waitcnt vmcnt(0)
	v_mov_b32_e32 v41, v38
	v_mov_b32_e32 v42, v37
	;; [unrolled: 1-line block ×17, first 2 shown]
	s_and_saveexec_b64 s[22:23], s[20:21]
	s_cbranch_execz .LBB914_682
.LBB914_681:                            ;   in Loop: Header=BB914_642 Depth=2
	global_load_ushort v39, v[0:1], off
	v_mov_b32_e32 v40, s9
	s_waitcnt vmcnt(1)
	v_mov_b32_e32 v5, v56
	v_mov_b32_e32 v24, v55
	;; [unrolled: 1-line block ×16, first 2 shown]
.LBB914_682:                            ;   in Loop: Header=BB914_642 Depth=2
	s_or_b64 exec, exec, s[22:23]
	v_cmp_lt_u32_e32 vcc, v2, v40
	s_and_saveexec_b64 s[20:21], vcc
	s_cbranch_execz .LBB914_699
; %bb.683:                              ;   in Loop: Header=BB914_642 Depth=2
	v_xor_b32_e32 v0, 0x7fff, v38
	v_lshrrev_b32_sdwa v0, s89, v0 dst_sel:DWORD dst_unused:UNUSED_PAD src0_sel:DWORD src1_sel:WORD_0
	v_and_b32_e32 v0, s6, v0
	v_lshl_or_b32 v0, v0, 4, v90
	ds_add_u32 v0, v91
	s_or_b64 exec, exec, s[20:21]
	v_cmp_lt_u32_e32 vcc, v7, v40
	s_and_saveexec_b64 s[20:21], vcc
	s_cbranch_execnz .LBB914_700
.LBB914_684:                            ;   in Loop: Header=BB914_642 Depth=2
	s_or_b64 exec, exec, s[20:21]
	v_cmp_lt_u32_e32 vcc, v13, v40
	s_and_saveexec_b64 s[20:21], vcc
	s_cbranch_execz .LBB914_701
.LBB914_685:                            ;   in Loop: Header=BB914_642 Depth=2
	v_xor_b32_e32 v0, 0x7fff, v36
	v_lshrrev_b32_sdwa v0, s89, v0 dst_sel:DWORD dst_unused:UNUSED_PAD src0_sel:DWORD src1_sel:WORD_0
	v_and_b32_e32 v0, s6, v0
	v_lshl_or_b32 v0, v0, 4, v90
	ds_add_u32 v0, v91
	s_or_b64 exec, exec, s[20:21]
	v_cmp_lt_u32_e32 vcc, v15, v40
	s_and_saveexec_b64 s[20:21], vcc
	s_cbranch_execnz .LBB914_702
.LBB914_686:                            ;   in Loop: Header=BB914_642 Depth=2
	s_or_b64 exec, exec, s[20:21]
	v_cmp_lt_u32_e32 vcc, v17, v40
	s_and_saveexec_b64 s[20:21], vcc
	s_cbranch_execz .LBB914_703
.LBB914_687:                            ;   in Loop: Header=BB914_642 Depth=2
	v_xor_b32_e32 v0, 0x7fff, v34
	v_lshrrev_b32_sdwa v0, s89, v0 dst_sel:DWORD dst_unused:UNUSED_PAD src0_sel:DWORD src1_sel:WORD_0
	v_and_b32_e32 v0, s6, v0
	v_lshl_or_b32 v0, v0, 4, v90
	ds_add_u32 v0, v91
	s_or_b64 exec, exec, s[20:21]
	v_cmp_lt_u32_e32 vcc, v19, v40
	s_and_saveexec_b64 s[20:21], vcc
	s_cbranch_execnz .LBB914_704
.LBB914_688:                            ;   in Loop: Header=BB914_642 Depth=2
	s_or_b64 exec, exec, s[20:21]
	v_cmp_lt_u32_e32 vcc, v21, v40
	s_and_saveexec_b64 s[20:21], vcc
	s_cbranch_execz .LBB914_705
.LBB914_689:                            ;   in Loop: Header=BB914_642 Depth=2
	v_xor_b32_e32 v0, 0x7fff, v32
	v_lshrrev_b32_sdwa v0, s89, v0 dst_sel:DWORD dst_unused:UNUSED_PAD src0_sel:DWORD src1_sel:WORD_0
	v_and_b32_e32 v0, s6, v0
	v_lshl_or_b32 v0, v0, 4, v90
	ds_add_u32 v0, v91
	s_or_b64 exec, exec, s[20:21]
	v_cmp_lt_u32_e32 vcc, v23, v40
	s_and_saveexec_b64 s[20:21], vcc
	s_cbranch_execnz .LBB914_706
.LBB914_690:                            ;   in Loop: Header=BB914_642 Depth=2
	s_or_b64 exec, exec, s[20:21]
	v_cmp_lt_u32_e32 vcc, v6, v40
	s_and_saveexec_b64 s[20:21], vcc
	s_cbranch_execz .LBB914_707
.LBB914_691:                            ;   in Loop: Header=BB914_642 Depth=2
	v_xor_b32_e32 v0, 0x7fff, v30
	v_lshrrev_b32_sdwa v0, s89, v0 dst_sel:DWORD dst_unused:UNUSED_PAD src0_sel:DWORD src1_sel:WORD_0
	v_and_b32_e32 v0, s6, v0
	v_lshl_or_b32 v0, v0, 4, v90
	ds_add_u32 v0, v91
	s_or_b64 exec, exec, s[20:21]
	v_cmp_lt_u32_e32 vcc, v8, v40
	s_and_saveexec_b64 s[20:21], vcc
	s_cbranch_execnz .LBB914_708
.LBB914_692:                            ;   in Loop: Header=BB914_642 Depth=2
	s_or_b64 exec, exec, s[20:21]
	v_cmp_lt_u32_e32 vcc, v10, v40
	s_and_saveexec_b64 s[20:21], vcc
	s_cbranch_execz .LBB914_709
.LBB914_693:                            ;   in Loop: Header=BB914_642 Depth=2
	v_xor_b32_e32 v0, 0x7fff, v28
	v_lshrrev_b32_sdwa v0, s89, v0 dst_sel:DWORD dst_unused:UNUSED_PAD src0_sel:DWORD src1_sel:WORD_0
	v_and_b32_e32 v0, s6, v0
	v_lshl_or_b32 v0, v0, 4, v90
	ds_add_u32 v0, v91
	s_or_b64 exec, exec, s[20:21]
	v_cmp_lt_u32_e32 vcc, v12, v40
	s_and_saveexec_b64 s[20:21], vcc
	s_cbranch_execnz .LBB914_710
.LBB914_694:                            ;   in Loop: Header=BB914_642 Depth=2
	s_or_b64 exec, exec, s[20:21]
	v_cmp_lt_u32_e32 vcc, v14, v40
	s_and_saveexec_b64 s[20:21], vcc
	s_cbranch_execz .LBB914_711
.LBB914_695:                            ;   in Loop: Header=BB914_642 Depth=2
	v_xor_b32_e32 v0, 0x7fff, v26
	v_lshrrev_b32_sdwa v0, s89, v0 dst_sel:DWORD dst_unused:UNUSED_PAD src0_sel:DWORD src1_sel:WORD_0
	v_and_b32_e32 v0, s6, v0
	v_lshl_or_b32 v0, v0, 4, v90
	ds_add_u32 v0, v91
	s_or_b64 exec, exec, s[20:21]
	v_cmp_lt_u32_e32 vcc, v16, v40
	s_and_saveexec_b64 s[20:21], vcc
	s_cbranch_execnz .LBB914_712
.LBB914_696:                            ;   in Loop: Header=BB914_642 Depth=2
	s_or_b64 exec, exec, s[20:21]
	v_cmp_lt_u32_e32 vcc, v18, v40
	s_and_saveexec_b64 s[20:21], vcc
	s_cbranch_execz .LBB914_713
.LBB914_697:                            ;   in Loop: Header=BB914_642 Depth=2
	v_xor_b32_e32 v0, 0x7fff, v24
	v_lshrrev_b32_sdwa v0, s89, v0 dst_sel:DWORD dst_unused:UNUSED_PAD src0_sel:DWORD src1_sel:WORD_0
	v_and_b32_e32 v0, s6, v0
	v_lshl_or_b32 v0, v0, 4, v90
	ds_add_u32 v0, v91
	s_or_b64 exec, exec, s[20:21]
	v_cmp_lt_u32_e32 vcc, v20, v40
	s_and_saveexec_b64 s[20:21], vcc
	s_cbranch_execnz .LBB914_714
.LBB914_698:                            ;   in Loop: Header=BB914_642 Depth=2
	s_or_b64 exec, exec, s[20:21]
	v_cmp_lt_u32_e32 vcc, v22, v40
	s_and_saveexec_b64 s[20:21], vcc
	s_cbranch_execz .LBB914_641
	s_branch .LBB914_715
.LBB914_699:                            ;   in Loop: Header=BB914_642 Depth=2
	s_or_b64 exec, exec, s[20:21]
	v_cmp_lt_u32_e32 vcc, v7, v40
	s_and_saveexec_b64 s[20:21], vcc
	s_cbranch_execz .LBB914_684
.LBB914_700:                            ;   in Loop: Header=BB914_642 Depth=2
	v_xor_b32_e32 v0, 0x7fff, v37
	v_lshrrev_b32_sdwa v0, s89, v0 dst_sel:DWORD dst_unused:UNUSED_PAD src0_sel:DWORD src1_sel:WORD_0
	v_and_b32_e32 v0, s6, v0
	v_lshl_or_b32 v0, v0, 4, v90
	ds_add_u32 v0, v91
	s_or_b64 exec, exec, s[20:21]
	v_cmp_lt_u32_e32 vcc, v13, v40
	s_and_saveexec_b64 s[20:21], vcc
	s_cbranch_execnz .LBB914_685
.LBB914_701:                            ;   in Loop: Header=BB914_642 Depth=2
	s_or_b64 exec, exec, s[20:21]
	v_cmp_lt_u32_e32 vcc, v15, v40
	s_and_saveexec_b64 s[20:21], vcc
	s_cbranch_execz .LBB914_686
.LBB914_702:                            ;   in Loop: Header=BB914_642 Depth=2
	v_xor_b32_e32 v0, 0x7fff, v35
	v_lshrrev_b32_sdwa v0, s89, v0 dst_sel:DWORD dst_unused:UNUSED_PAD src0_sel:DWORD src1_sel:WORD_0
	v_and_b32_e32 v0, s6, v0
	v_lshl_or_b32 v0, v0, 4, v90
	ds_add_u32 v0, v91
	s_or_b64 exec, exec, s[20:21]
	v_cmp_lt_u32_e32 vcc, v17, v40
	s_and_saveexec_b64 s[20:21], vcc
	s_cbranch_execnz .LBB914_687
.LBB914_703:                            ;   in Loop: Header=BB914_642 Depth=2
	s_or_b64 exec, exec, s[20:21]
	v_cmp_lt_u32_e32 vcc, v19, v40
	s_and_saveexec_b64 s[20:21], vcc
	s_cbranch_execz .LBB914_688
.LBB914_704:                            ;   in Loop: Header=BB914_642 Depth=2
	v_xor_b32_e32 v0, 0x7fff, v33
	v_lshrrev_b32_sdwa v0, s89, v0 dst_sel:DWORD dst_unused:UNUSED_PAD src0_sel:DWORD src1_sel:WORD_0
	v_and_b32_e32 v0, s6, v0
	v_lshl_or_b32 v0, v0, 4, v90
	ds_add_u32 v0, v91
	s_or_b64 exec, exec, s[20:21]
	v_cmp_lt_u32_e32 vcc, v21, v40
	s_and_saveexec_b64 s[20:21], vcc
	s_cbranch_execnz .LBB914_689
.LBB914_705:                            ;   in Loop: Header=BB914_642 Depth=2
	s_or_b64 exec, exec, s[20:21]
	v_cmp_lt_u32_e32 vcc, v23, v40
	s_and_saveexec_b64 s[20:21], vcc
	s_cbranch_execz .LBB914_690
.LBB914_706:                            ;   in Loop: Header=BB914_642 Depth=2
	v_xor_b32_e32 v0, 0x7fff, v31
	v_lshrrev_b32_sdwa v0, s89, v0 dst_sel:DWORD dst_unused:UNUSED_PAD src0_sel:DWORD src1_sel:WORD_0
	v_and_b32_e32 v0, s6, v0
	v_lshl_or_b32 v0, v0, 4, v90
	ds_add_u32 v0, v91
	s_or_b64 exec, exec, s[20:21]
	v_cmp_lt_u32_e32 vcc, v6, v40
	s_and_saveexec_b64 s[20:21], vcc
	s_cbranch_execnz .LBB914_691
.LBB914_707:                            ;   in Loop: Header=BB914_642 Depth=2
	s_or_b64 exec, exec, s[20:21]
	v_cmp_lt_u32_e32 vcc, v8, v40
	s_and_saveexec_b64 s[20:21], vcc
	s_cbranch_execz .LBB914_692
.LBB914_708:                            ;   in Loop: Header=BB914_642 Depth=2
	v_xor_b32_e32 v0, 0x7fff, v29
	v_lshrrev_b32_sdwa v0, s89, v0 dst_sel:DWORD dst_unused:UNUSED_PAD src0_sel:DWORD src1_sel:WORD_0
	v_and_b32_e32 v0, s6, v0
	v_lshl_or_b32 v0, v0, 4, v90
	ds_add_u32 v0, v91
	s_or_b64 exec, exec, s[20:21]
	v_cmp_lt_u32_e32 vcc, v10, v40
	s_and_saveexec_b64 s[20:21], vcc
	s_cbranch_execnz .LBB914_693
.LBB914_709:                            ;   in Loop: Header=BB914_642 Depth=2
	s_or_b64 exec, exec, s[20:21]
	v_cmp_lt_u32_e32 vcc, v12, v40
	s_and_saveexec_b64 s[20:21], vcc
	s_cbranch_execz .LBB914_694
.LBB914_710:                            ;   in Loop: Header=BB914_642 Depth=2
	v_xor_b32_e32 v0, 0x7fff, v27
	v_lshrrev_b32_sdwa v0, s89, v0 dst_sel:DWORD dst_unused:UNUSED_PAD src0_sel:DWORD src1_sel:WORD_0
	v_and_b32_e32 v0, s6, v0
	v_lshl_or_b32 v0, v0, 4, v90
	ds_add_u32 v0, v91
	s_or_b64 exec, exec, s[20:21]
	v_cmp_lt_u32_e32 vcc, v14, v40
	s_and_saveexec_b64 s[20:21], vcc
	s_cbranch_execnz .LBB914_695
.LBB914_711:                            ;   in Loop: Header=BB914_642 Depth=2
	s_or_b64 exec, exec, s[20:21]
	v_cmp_lt_u32_e32 vcc, v16, v40
	s_and_saveexec_b64 s[20:21], vcc
	s_cbranch_execz .LBB914_696
.LBB914_712:                            ;   in Loop: Header=BB914_642 Depth=2
	v_xor_b32_e32 v0, 0x7fff, v25
	v_lshrrev_b32_sdwa v0, s89, v0 dst_sel:DWORD dst_unused:UNUSED_PAD src0_sel:DWORD src1_sel:WORD_0
	v_and_b32_e32 v0, s6, v0
	v_lshl_or_b32 v0, v0, 4, v90
	ds_add_u32 v0, v91
	s_or_b64 exec, exec, s[20:21]
	v_cmp_lt_u32_e32 vcc, v18, v40
	s_and_saveexec_b64 s[20:21], vcc
	s_cbranch_execnz .LBB914_697
.LBB914_713:                            ;   in Loop: Header=BB914_642 Depth=2
	s_or_b64 exec, exec, s[20:21]
	v_cmp_lt_u32_e32 vcc, v20, v40
	s_and_saveexec_b64 s[20:21], vcc
	s_cbranch_execz .LBB914_698
.LBB914_714:                            ;   in Loop: Header=BB914_642 Depth=2
	v_xor_b32_e32 v0, 0x7fff, v5
	v_lshrrev_b32_sdwa v0, s89, v0 dst_sel:DWORD dst_unused:UNUSED_PAD src0_sel:DWORD src1_sel:WORD_0
	v_and_b32_e32 v0, s6, v0
	v_lshl_or_b32 v0, v0, 4, v90
	ds_add_u32 v0, v91
	s_or_b64 exec, exec, s[20:21]
	v_cmp_lt_u32_e32 vcc, v22, v40
	s_and_saveexec_b64 s[20:21], vcc
	s_cbranch_execz .LBB914_641
.LBB914_715:                            ;   in Loop: Header=BB914_642 Depth=2
	s_waitcnt vmcnt(0)
	v_xor_b32_e32 v0, 0x7fff, v39
	v_lshrrev_b32_sdwa v0, s89, v0 dst_sel:DWORD dst_unused:UNUSED_PAD src0_sel:DWORD src1_sel:WORD_0
	v_and_b32_e32 v0, s6, v0
	v_lshl_or_b32 v0, v0, 4, v90
	ds_add_u32 v0, v91
	s_branch .LBB914_641
.LBB914_716:                            ;   in Loop: Header=BB914_12 Depth=1
	v_mov_b32_e32 v0, 0
	s_waitcnt lgkmcnt(0)
	s_barrier
	s_and_saveexec_b64 s[20:21], s[4:5]
	s_cbranch_execz .LBB914_718
; %bb.717:                              ;   in Loop: Header=BB914_12 Depth=1
	ds_read2_b64 v[24:27], v59 offset1:1
	s_waitcnt lgkmcnt(0)
	v_add_u32_e32 v0, v25, v24
	v_add3_u32 v0, v0, v26, v27
.LBB914_718:                            ;   in Loop: Header=BB914_12 Depth=1
	s_or_b64 exec, exec, s[20:21]
	s_nop 0
	v_mov_b32_dpp v1, v0 row_shr:1 row_mask:0xf bank_mask:0xf
	v_cmp_eq_u32_e64 s[20:21], 0, v103
	v_cndmask_b32_e64 v1, v1, 0, s[20:21]
	v_add_u32_e32 v0, v1, v0
	v_cmp_lt_u32_e64 s[22:23], 1, v103
	v_cmp_lt_u32_e64 s[24:25], 3, v103
	v_mov_b32_dpp v1, v0 row_shr:2 row_mask:0xf bank_mask:0xf
	v_cndmask_b32_e64 v1, 0, v1, s[22:23]
	v_add_u32_e32 v0, v0, v1
	v_cmp_lt_u32_e64 s[26:27], 7, v103
	v_cmp_lt_u32_e64 s[30:31], 31, v102
	v_mov_b32_dpp v1, v0 row_shr:4 row_mask:0xf bank_mask:0xf
	v_cndmask_b32_e64 v1, 0, v1, s[24:25]
	v_add_u32_e32 v0, v0, v1
	v_cmp_eq_u32_e64 s[28:29], 0, v105
	s_nop 0
	v_mov_b32_dpp v1, v0 row_shr:8 row_mask:0xf bank_mask:0xf
	v_cndmask_b32_e64 v1, 0, v1, s[26:27]
	v_add_u32_e32 v0, v0, v1
	s_nop 1
	v_mov_b32_dpp v1, v0 row_bcast:15 row_mask:0xf bank_mask:0xf
	v_and_b32_e32 v1, v104, v1
	v_add_u32_e32 v0, v0, v1
	s_nop 1
	v_mov_b32_dpp v1, v0 row_bcast:31 row_mask:0xf bank_mask:0xf
	v_cndmask_b32_e64 v1, 0, v1, s[30:31]
	v_add_u32_e32 v0, v0, v1
	s_mov_b64 s[34:35], exec
	v_readlane_b32 s8, v232, 0
	v_readlane_b32 s9, v232, 1
	s_and_b64 s[8:9], s[34:35], s[8:9]
	s_mov_b64 exec, s[8:9]
	s_cbranch_execz .LBB914_720
; %bb.719:                              ;   in Loop: Header=BB914_12 Depth=1
	ds_write_b32 v61, v0
.LBB914_720:                            ;   in Loop: Header=BB914_12 Depth=1
	s_or_b64 exec, exec, s[34:35]
	s_waitcnt lgkmcnt(0)
	s_barrier
	s_mov_b64 s[34:35], exec
	v_readlane_b32 s8, v232, 2
	v_readlane_b32 s9, v232, 3
	s_and_b64 s[8:9], s[34:35], s[8:9]
	s_mov_b64 exec, s[8:9]
	s_cbranch_execz .LBB914_722
; %bb.721:                              ;   in Loop: Header=BB914_12 Depth=1
	ds_read_b32 v1, v62
	s_waitcnt lgkmcnt(0)
	s_nop 0
	v_mov_b32_dpp v5, v1 row_shr:1 row_mask:0xf bank_mask:0xf
	v_and_b32_e32 v5, v106, v5
	v_add_u32_e32 v1, v5, v1
	ds_write_b32 v62, v1
.LBB914_722:                            ;   in Loop: Header=BB914_12 Depth=1
	s_or_b64 exec, exec, s[34:35]
	v_mov_b32_e32 v1, 0
	s_waitcnt lgkmcnt(0)
	s_barrier
	s_and_saveexec_b64 s[34:35], s[10:11]
	s_cbranch_execz .LBB914_724
; %bb.723:                              ;   in Loop: Header=BB914_12 Depth=1
	ds_read_b32 v1, v63
.LBB914_724:                            ;   in Loop: Header=BB914_12 Depth=1
	s_or_b64 exec, exec, s[34:35]
	v_cmp_lt_i32_e32 vcc, v107, v108
	v_cndmask_b32_e32 v5, v107, v102, vcc
	s_waitcnt lgkmcnt(0)
	v_add_u32_e32 v0, v1, v0
	v_lshlrev_b32_e32 v129, 2, v5
	ds_bpermute_b32 v0, v129, v0
	v_cmp_eq_u32_e64 s[34:35], 0, v102
	s_waitcnt lgkmcnt(0)
	s_barrier
	s_and_saveexec_b64 s[36:37], s[4:5]
	s_cbranch_execz .LBB914_726
; %bb.725:                              ;   in Loop: Header=BB914_12 Depth=1
	v_cndmask_b32_e64 v0, v0, v1, s[34:35]
	v_add_u32_e32 v0, s75, v0
	ds_write_b32 v3, v0
.LBB914_726:                            ;   in Loop: Header=BB914_12 Depth=1
	s_or_b64 exec, exec, s[36:37]
	s_load_dwordx2 s[8:9], s[96:97], 0x0
	v_add_co_u32_e32 v130, vcc, v86, v110
	v_addc_co_u32_e32 v131, vcc, 0, v87, vcc
	s_waitcnt lgkmcnt(0)
	s_cmp_lt_u32 s74, s8
	s_cselect_b32 s7, 12, 18
	s_cmp_lt_u32 s33, s9
	s_cselect_b32 s8, 14, 20
	s_add_u32 s8, s96, s8
	s_addc_u32 s9, s97, 0
	s_add_u32 s36, s96, s7
	global_load_ushort v5, v4, s[8:9]
	s_addc_u32 s37, s97, 0
	global_load_ushort v56, v4, s[36:37]
	v_add_co_u32_e32 v132, vcc, v88, v128
	v_addc_co_u32_e32 v133, vcc, 0, v89, vcc
	v_add_co_u32_e32 v148, vcc, 0x800, v132
	v_cmp_eq_u32_e64 s[36:37], 0, v109
	v_cmp_lt_u32_e64 s[38:39], 1, v109
	s_mov_b32 s7, s91
	v_addc_co_u32_e32 v151, vcc, 0, v133, vcc
	s_mov_b32 s94, s75
                                        ; implicit-def: $vgpr0_vgpr1
                                        ; implicit-def: $vgpr24_vgpr25
                                        ; implicit-def: $vgpr26_vgpr27
                                        ; implicit-def: $vgpr28_vgpr29
                                        ; implicit-def: $vgpr32_vgpr33
                                        ; implicit-def: $vgpr36_vgpr37
                                        ; implicit-def: $vgpr40_vgpr41
                                        ; implicit-def: $vgpr44_vgpr45
                                        ; implicit-def: $vgpr48_vgpr49
                                        ; implicit-def: $vgpr30_vgpr31
                                        ; implicit-def: $vgpr34_vgpr35
                                        ; implicit-def: $vgpr38_vgpr39
                                        ; implicit-def: $vgpr42_vgpr43
                                        ; implicit-def: $vgpr46_vgpr47
                                        ; implicit-def: $vgpr50_vgpr51
                                        ; implicit-def: $vgpr52_vgpr53
                                        ; implicit-def: $vgpr54_vgpr55
                                        ; implicit-def: $vgpr134
                                        ; implicit-def: $vgpr135
                                        ; implicit-def: $vgpr136
                                        ; implicit-def: $vgpr137
                                        ; implicit-def: $vgpr138
                                        ; implicit-def: $vgpr139
                                        ; implicit-def: $vgpr140
                                        ; implicit-def: $vgpr141
                                        ; implicit-def: $vgpr142
                                        ; implicit-def: $vgpr143
                                        ; implicit-def: $vgpr144
                                        ; implicit-def: $vgpr145
                                        ; implicit-def: $vgpr146
                                        ; implicit-def: $vgpr147
                                        ; implicit-def: $vgpr149
                                        ; implicit-def: $vgpr150
                                        ; implicit-def: $vgpr152
                                        ; implicit-def: $vgpr154
                                        ; implicit-def: $vgpr155
	s_waitcnt vmcnt(1)
	v_mad_u32_u24 v5, v64, v5, v65
	s_waitcnt vmcnt(0)
	v_mad_u64_u32 v[56:57], s[8:9], v5, v56, v[2:3]
	v_lshrrev_b32_e32 v153, 6, v56
	s_branch .LBB914_728
.LBB914_727:                            ;   in Loop: Header=BB914_728 Depth=2
	s_or_b64 exec, exec, s[40:41]
	s_addk_i32 s7, 0xef00
	s_cmp_lt_u32 s8, s98
	s_mov_b32 s94, s8
	s_cbranch_scc0 .LBB914_950
.LBB914_728:                            ;   Parent Loop BB914_12 Depth=1
                                        ; =>  This Inner Loop Header: Depth=2
	s_add_i32 s8, s94, 0x1100
	s_cmp_gt_u32 s8, s98
	s_cbranch_scc1 .LBB914_731
; %bb.729:                              ;   in Loop: Header=BB914_728 Depth=2
	s_lshl_b64 s[40:41], s[94:95], 1
	v_mov_b32_e32 v5, s41
	v_add_co_u32_e32 v56, vcc, s40, v132
	v_addc_co_u32_e32 v57, vcc, v133, v5, vcc
	global_load_ushort v5, v[56:57], off
	global_load_ushort v160, v[56:57], off offset:128
	global_load_ushort v165, v[56:57], off offset:256
	global_load_ushort v171, v[56:57], off offset:384
	global_load_ushort v176, v[56:57], off offset:512
	global_load_ushort v181, v[56:57], off offset:640
	global_load_ushort v186, v[56:57], off offset:768
	global_load_ushort v191, v[56:57], off offset:896
	global_load_ushort v193, v[56:57], off offset:1024
	global_load_ushort v188, v[56:57], off offset:1152
	global_load_ushort v184, v[56:57], off offset:1280
	global_load_ushort v179, v[56:57], off offset:1408
	global_load_ushort v174, v[56:57], off offset:1536
	global_load_ushort v169, v[56:57], off offset:1664
	global_load_ushort v164, v[56:57], off offset:1792
	global_load_ushort v159, v[56:57], off offset:1920
	s_mov_b64 s[40:41], -1
	s_movk_i32 s9, 0x1100
	s_cbranch_execz .LBB914_732
; %bb.730:                              ;   in Loop: Header=BB914_728 Depth=2
                                        ; implicit-def: $sgpr42
	v_mov_b32_e32 v166, s42
	v_mov_b32_e32 v156, s7
	s_and_saveexec_b64 s[42:43], s[40:41]
	s_cbranch_execnz .LBB914_765
	s_branch .LBB914_766
.LBB914_731:                            ;   in Loop: Header=BB914_728 Depth=2
	s_mov_b64 s[40:41], 0
                                        ; implicit-def: $sgpr9
                                        ; implicit-def: $vgpr5
                                        ; implicit-def: $vgpr160
                                        ; implicit-def: $vgpr165
                                        ; implicit-def: $vgpr171
                                        ; implicit-def: $vgpr176
                                        ; implicit-def: $vgpr181
                                        ; implicit-def: $vgpr186
                                        ; implicit-def: $vgpr191
                                        ; implicit-def: $vgpr193
                                        ; implicit-def: $vgpr188
                                        ; implicit-def: $vgpr184
                                        ; implicit-def: $vgpr179
                                        ; implicit-def: $vgpr174
                                        ; implicit-def: $vgpr169
                                        ; implicit-def: $vgpr164
                                        ; implicit-def: $vgpr159
.LBB914_732:                            ;   in Loop: Header=BB914_728 Depth=2
	s_lshl_b64 s[40:41], s[94:95], 1
	s_waitcnt vmcnt(15)
	v_mov_b32_e32 v5, s41
	v_add_co_u32_e32 v56, vcc, s40, v132
	v_addc_co_u32_e32 v57, vcc, v133, v5, vcc
	v_cmp_gt_u32_e32 vcc, s7, v111
	s_waitcnt vmcnt(14)
	v_mov_b32_e32 v160, 0xffff8000
	v_mov_b32_e32 v5, 0xffff8000
	s_and_saveexec_b64 s[40:41], vcc
	s_cbranch_execz .LBB914_734
; %bb.733:                              ;   in Loop: Header=BB914_728 Depth=2
	global_load_ushort v5, v[56:57], off
.LBB914_734:                            ;   in Loop: Header=BB914_728 Depth=2
	s_or_b64 exec, exec, s[40:41]
	v_cmp_gt_u32_e32 vcc, s7, v112
	s_and_saveexec_b64 s[40:41], vcc
	s_cbranch_execz .LBB914_736
; %bb.735:                              ;   in Loop: Header=BB914_728 Depth=2
	global_load_ushort v160, v[56:57], off offset:128
.LBB914_736:                            ;   in Loop: Header=BB914_728 Depth=2
	s_or_b64 exec, exec, s[40:41]
	v_cmp_gt_u32_e32 vcc, s7, v113
	s_waitcnt vmcnt(12)
	v_mov_b32_e32 v171, 0xffff8000
	v_mov_b32_e32 v165, 0xffff8000
	s_and_saveexec_b64 s[40:41], vcc
	s_cbranch_execz .LBB914_738
; %bb.737:                              ;   in Loop: Header=BB914_728 Depth=2
	global_load_ushort v165, v[56:57], off offset:256
.LBB914_738:                            ;   in Loop: Header=BB914_728 Depth=2
	s_or_b64 exec, exec, s[40:41]
	v_cmp_gt_u32_e32 vcc, s7, v114
	s_and_saveexec_b64 s[40:41], vcc
	s_cbranch_execz .LBB914_740
; %bb.739:                              ;   in Loop: Header=BB914_728 Depth=2
	global_load_ushort v171, v[56:57], off offset:384
.LBB914_740:                            ;   in Loop: Header=BB914_728 Depth=2
	s_or_b64 exec, exec, s[40:41]
	v_cmp_gt_u32_e32 vcc, s7, v115
	s_waitcnt vmcnt(10)
	v_mov_b32_e32 v181, 0xffff8000
	v_mov_b32_e32 v176, 0xffff8000
	s_and_saveexec_b64 s[40:41], vcc
	s_cbranch_execz .LBB914_742
; %bb.741:                              ;   in Loop: Header=BB914_728 Depth=2
	global_load_ushort v176, v[56:57], off offset:512
.LBB914_742:                            ;   in Loop: Header=BB914_728 Depth=2
	;; [unrolled: 17-line block ×7, first 2 shown]
	s_or_b64 exec, exec, s[40:41]
	v_cmp_gt_u32_e32 vcc, s7, v126
	s_and_saveexec_b64 s[40:41], vcc
	s_cbranch_execz .LBB914_764
; %bb.763:                              ;   in Loop: Header=BB914_728 Depth=2
	global_load_ushort v159, v[56:57], off offset:1920
.LBB914_764:                            ;   in Loop: Header=BB914_728 Depth=2
	s_or_b64 exec, exec, s[40:41]
	s_sub_i32 s9, s98, s94
	v_cmp_gt_u32_e64 s[40:41], s7, v127
	s_movk_i32 s42, 0x8000
	v_mov_b32_e32 v166, s42
	v_mov_b32_e32 v156, s7
	s_and_saveexec_b64 s[42:43], s[40:41]
	s_cbranch_execz .LBB914_766
.LBB914_765:                            ;   in Loop: Header=BB914_728 Depth=2
	s_lshl_b64 s[40:41], s[94:95], 1
	v_mov_b32_e32 v57, s41
	v_add_co_u32_e32 v56, vcc, s40, v148
	v_addc_co_u32_e32 v57, vcc, v151, v57, vcc
	global_load_ushort v166, v[56:57], off
	v_mov_b32_e32 v156, s9
.LBB914_766:                            ;   in Loop: Header=BB914_728 Depth=2
	s_or_b64 exec, exec, s[42:43]
	s_waitcnt vmcnt(15)
	v_xor_b32_e32 v157, 0x7fff, v5
	v_lshrrev_b32_sdwa v5, s89, v157 dst_sel:DWORD dst_unused:UNUSED_PAD src0_sel:DWORD src1_sel:WORD_0
	v_and_b32_e32 v56, s6, v5
	v_mad_u32_u24 v5, v56, 5, v153
	v_lshl_add_u32 v158, v5, 2, v66
	v_and_b32_e32 v5, 1, v56
	v_add_co_u32_e32 v57, vcc, -1, v5
	v_addc_co_u32_e64 v161, s[40:41], 0, -1, vcc
	v_cmp_ne_u32_e32 vcc, 0, v5
	v_xor_b32_e32 v5, vcc_hi, v161
	v_and_b32_e32 v161, exec_hi, v5
	v_lshlrev_b32_e32 v5, 30, v56
	v_xor_b32_e32 v57, vcc_lo, v57
	v_cmp_gt_i64_e32 vcc, 0, v[4:5]
	v_not_b32_e32 v5, v5
	v_ashrrev_i32_e32 v5, 31, v5
	v_and_b32_e32 v57, exec_lo, v57
	v_xor_b32_e32 v162, vcc_hi, v5
	v_xor_b32_e32 v5, vcc_lo, v5
	v_and_b32_e32 v57, v57, v5
	v_lshlrev_b32_e32 v5, 29, v56
	v_cmp_gt_i64_e32 vcc, 0, v[4:5]
	v_not_b32_e32 v5, v5
	v_ashrrev_i32_e32 v5, 31, v5
	v_and_b32_e32 v161, v161, v162
	v_xor_b32_e32 v162, vcc_hi, v5
	v_xor_b32_e32 v5, vcc_lo, v5
	v_and_b32_e32 v57, v57, v5
	v_lshlrev_b32_e32 v5, 28, v56
	v_cmp_gt_i64_e32 vcc, 0, v[4:5]
	v_not_b32_e32 v5, v5
	v_ashrrev_i32_e32 v5, 31, v5
	v_and_b32_e32 v161, v161, v162
	;; [unrolled: 8-line block ×4, first 2 shown]
	v_xor_b32_e32 v162, vcc_hi, v5
	v_xor_b32_e32 v5, vcc_lo, v5
	v_and_b32_e32 v161, v161, v162
	v_and_b32_e32 v162, v57, v5
	v_lshlrev_b32_e32 v5, 25, v56
	v_cmp_gt_i64_e32 vcc, 0, v[4:5]
	v_not_b32_e32 v5, v5
	v_ashrrev_i32_e32 v5, 31, v5
	v_xor_b32_e32 v56, vcc_hi, v5
	v_xor_b32_e32 v5, vcc_lo, v5
	v_and_b32_e32 v57, v161, v56
	v_and_b32_e32 v56, v162, v5
	v_mbcnt_lo_u32_b32 v5, v56, 0
	v_mbcnt_hi_u32_b32 v161, v57, v5
	v_cmp_eq_u32_e32 vcc, 0, v161
	v_cmp_ne_u64_e64 s[40:41], 0, v[56:57]
	s_and_b64 s[42:43], s[40:41], vcc
	ds_write2_b32 v58, v4, v4 offset0:132 offset1:133
	ds_write_b32 v67, v4 offset:8
	s_waitcnt lgkmcnt(0)
	s_barrier
	s_waitcnt lgkmcnt(0)
	; wave barrier
	s_and_saveexec_b64 s[40:41], s[42:43]
	s_cbranch_execz .LBB914_768
; %bb.767:                              ;   in Loop: Header=BB914_728 Depth=2
	v_bcnt_u32_b32 v5, v56, 0
	v_bcnt_u32_b32 v5, v57, v5
	ds_write_b32 v158, v5
.LBB914_768:                            ;   in Loop: Header=BB914_728 Depth=2
	s_or_b64 exec, exec, s[40:41]
	s_waitcnt vmcnt(14)
	v_xor_b32_e32 v160, 0x7fff, v160
	v_lshrrev_b32_sdwa v5, s89, v160 dst_sel:DWORD dst_unused:UNUSED_PAD src0_sel:DWORD src1_sel:WORD_0
	v_and_b32_e32 v56, s6, v5
	v_mul_u32_u24_e32 v5, 5, v56
	v_add_lshl_u32 v5, v5, v153, 2
	; wave barrier
	v_add_u32_e32 v163, 0x210, v5
	ds_read_b32 v162, v5 offset:528
	v_and_b32_e32 v5, 1, v56
	v_add_co_u32_e32 v57, vcc, -1, v5
	v_addc_co_u32_e64 v167, s[40:41], 0, -1, vcc
	v_cmp_ne_u32_e32 vcc, 0, v5
	v_xor_b32_e32 v5, vcc_hi, v167
	v_and_b32_e32 v167, exec_hi, v5
	v_lshlrev_b32_e32 v5, 30, v56
	v_xor_b32_e32 v57, vcc_lo, v57
	v_cmp_gt_i64_e32 vcc, 0, v[4:5]
	v_not_b32_e32 v5, v5
	v_ashrrev_i32_e32 v5, 31, v5
	v_and_b32_e32 v57, exec_lo, v57
	v_xor_b32_e32 v168, vcc_hi, v5
	v_xor_b32_e32 v5, vcc_lo, v5
	v_and_b32_e32 v57, v57, v5
	v_lshlrev_b32_e32 v5, 29, v56
	v_cmp_gt_i64_e32 vcc, 0, v[4:5]
	v_not_b32_e32 v5, v5
	v_ashrrev_i32_e32 v5, 31, v5
	v_and_b32_e32 v167, v167, v168
	v_xor_b32_e32 v168, vcc_hi, v5
	v_xor_b32_e32 v5, vcc_lo, v5
	v_and_b32_e32 v57, v57, v5
	v_lshlrev_b32_e32 v5, 28, v56
	v_cmp_gt_i64_e32 vcc, 0, v[4:5]
	v_not_b32_e32 v5, v5
	v_ashrrev_i32_e32 v5, 31, v5
	v_and_b32_e32 v167, v167, v168
	v_xor_b32_e32 v168, vcc_hi, v5
	v_xor_b32_e32 v5, vcc_lo, v5
	v_and_b32_e32 v57, v57, v5
	v_lshlrev_b32_e32 v5, 27, v56
	v_cmp_gt_i64_e32 vcc, 0, v[4:5]
	v_not_b32_e32 v5, v5
	v_ashrrev_i32_e32 v5, 31, v5
	v_and_b32_e32 v167, v167, v168
	v_xor_b32_e32 v168, vcc_hi, v5
	v_xor_b32_e32 v5, vcc_lo, v5
	v_and_b32_e32 v57, v57, v5
	v_lshlrev_b32_e32 v5, 26, v56
	v_cmp_gt_i64_e32 vcc, 0, v[4:5]
	v_not_b32_e32 v5, v5
	v_ashrrev_i32_e32 v5, 31, v5
	v_and_b32_e32 v167, v167, v168
	v_xor_b32_e32 v168, vcc_hi, v5
	v_xor_b32_e32 v5, vcc_lo, v5
	v_and_b32_e32 v167, v167, v168
	v_and_b32_e32 v168, v57, v5
	v_lshlrev_b32_e32 v5, 25, v56
	v_cmp_gt_i64_e32 vcc, 0, v[4:5]
	v_not_b32_e32 v5, v5
	v_ashrrev_i32_e32 v5, 31, v5
	v_xor_b32_e32 v56, vcc_hi, v5
	v_xor_b32_e32 v5, vcc_lo, v5
	v_and_b32_e32 v57, v167, v56
	v_and_b32_e32 v56, v168, v5
	v_mbcnt_lo_u32_b32 v5, v56, 0
	v_mbcnt_hi_u32_b32 v167, v57, v5
	v_cmp_eq_u32_e32 vcc, 0, v167
	v_cmp_ne_u64_e64 s[40:41], 0, v[56:57]
	s_and_b64 s[42:43], s[40:41], vcc
	; wave barrier
	s_and_saveexec_b64 s[40:41], s[42:43]
	s_cbranch_execz .LBB914_770
; %bb.769:                              ;   in Loop: Header=BB914_728 Depth=2
	v_bcnt_u32_b32 v5, v56, 0
	v_bcnt_u32_b32 v5, v57, v5
	s_waitcnt lgkmcnt(0)
	v_add_u32_e32 v5, v162, v5
	ds_write_b32 v163, v5
.LBB914_770:                            ;   in Loop: Header=BB914_728 Depth=2
	s_or_b64 exec, exec, s[40:41]
	s_waitcnt vmcnt(13)
	v_xor_b32_e32 v165, 0x7fff, v165
	v_lshrrev_b32_sdwa v5, s89, v165 dst_sel:DWORD dst_unused:UNUSED_PAD src0_sel:DWORD src1_sel:WORD_0
	v_and_b32_e32 v56, s6, v5
	v_mul_u32_u24_e32 v5, 5, v56
	v_add_lshl_u32 v5, v5, v153, 2
	; wave barrier
	v_add_u32_e32 v170, 0x210, v5
	ds_read_b32 v168, v5 offset:528
	v_and_b32_e32 v5, 1, v56
	v_add_co_u32_e32 v57, vcc, -1, v5
	v_addc_co_u32_e64 v172, s[40:41], 0, -1, vcc
	v_cmp_ne_u32_e32 vcc, 0, v5
	v_xor_b32_e32 v5, vcc_hi, v172
	v_and_b32_e32 v172, exec_hi, v5
	v_lshlrev_b32_e32 v5, 30, v56
	v_xor_b32_e32 v57, vcc_lo, v57
	v_cmp_gt_i64_e32 vcc, 0, v[4:5]
	v_not_b32_e32 v5, v5
	v_ashrrev_i32_e32 v5, 31, v5
	v_and_b32_e32 v57, exec_lo, v57
	v_xor_b32_e32 v173, vcc_hi, v5
	v_xor_b32_e32 v5, vcc_lo, v5
	v_and_b32_e32 v57, v57, v5
	v_lshlrev_b32_e32 v5, 29, v56
	v_cmp_gt_i64_e32 vcc, 0, v[4:5]
	v_not_b32_e32 v5, v5
	v_ashrrev_i32_e32 v5, 31, v5
	v_and_b32_e32 v172, v172, v173
	v_xor_b32_e32 v173, vcc_hi, v5
	v_xor_b32_e32 v5, vcc_lo, v5
	v_and_b32_e32 v57, v57, v5
	v_lshlrev_b32_e32 v5, 28, v56
	v_cmp_gt_i64_e32 vcc, 0, v[4:5]
	v_not_b32_e32 v5, v5
	v_ashrrev_i32_e32 v5, 31, v5
	v_and_b32_e32 v172, v172, v173
	;; [unrolled: 8-line block ×4, first 2 shown]
	v_xor_b32_e32 v173, vcc_hi, v5
	v_xor_b32_e32 v5, vcc_lo, v5
	v_and_b32_e32 v172, v172, v173
	v_and_b32_e32 v173, v57, v5
	v_lshlrev_b32_e32 v5, 25, v56
	v_cmp_gt_i64_e32 vcc, 0, v[4:5]
	v_not_b32_e32 v5, v5
	v_ashrrev_i32_e32 v5, 31, v5
	v_xor_b32_e32 v56, vcc_hi, v5
	v_xor_b32_e32 v5, vcc_lo, v5
	v_and_b32_e32 v57, v172, v56
	v_and_b32_e32 v56, v173, v5
	v_mbcnt_lo_u32_b32 v5, v56, 0
	v_mbcnt_hi_u32_b32 v172, v57, v5
	v_cmp_eq_u32_e32 vcc, 0, v172
	v_cmp_ne_u64_e64 s[40:41], 0, v[56:57]
	s_and_b64 s[42:43], s[40:41], vcc
	; wave barrier
	s_and_saveexec_b64 s[40:41], s[42:43]
	s_cbranch_execz .LBB914_772
; %bb.771:                              ;   in Loop: Header=BB914_728 Depth=2
	v_bcnt_u32_b32 v5, v56, 0
	v_bcnt_u32_b32 v5, v57, v5
	s_waitcnt lgkmcnt(0)
	v_add_u32_e32 v5, v168, v5
	ds_write_b32 v170, v5
.LBB914_772:                            ;   in Loop: Header=BB914_728 Depth=2
	s_or_b64 exec, exec, s[40:41]
	s_waitcnt vmcnt(12)
	v_xor_b32_e32 v171, 0x7fff, v171
	v_lshrrev_b32_sdwa v5, s89, v171 dst_sel:DWORD dst_unused:UNUSED_PAD src0_sel:DWORD src1_sel:WORD_0
	v_and_b32_e32 v56, s6, v5
	v_mul_u32_u24_e32 v5, 5, v56
	v_add_lshl_u32 v5, v5, v153, 2
	; wave barrier
	v_add_u32_e32 v175, 0x210, v5
	ds_read_b32 v173, v5 offset:528
	v_and_b32_e32 v5, 1, v56
	v_add_co_u32_e32 v57, vcc, -1, v5
	v_addc_co_u32_e64 v177, s[40:41], 0, -1, vcc
	v_cmp_ne_u32_e32 vcc, 0, v5
	v_xor_b32_e32 v5, vcc_hi, v177
	v_and_b32_e32 v177, exec_hi, v5
	v_lshlrev_b32_e32 v5, 30, v56
	v_xor_b32_e32 v57, vcc_lo, v57
	v_cmp_gt_i64_e32 vcc, 0, v[4:5]
	v_not_b32_e32 v5, v5
	v_ashrrev_i32_e32 v5, 31, v5
	v_and_b32_e32 v57, exec_lo, v57
	v_xor_b32_e32 v178, vcc_hi, v5
	v_xor_b32_e32 v5, vcc_lo, v5
	v_and_b32_e32 v57, v57, v5
	v_lshlrev_b32_e32 v5, 29, v56
	v_cmp_gt_i64_e32 vcc, 0, v[4:5]
	v_not_b32_e32 v5, v5
	v_ashrrev_i32_e32 v5, 31, v5
	v_and_b32_e32 v177, v177, v178
	v_xor_b32_e32 v178, vcc_hi, v5
	v_xor_b32_e32 v5, vcc_lo, v5
	v_and_b32_e32 v57, v57, v5
	v_lshlrev_b32_e32 v5, 28, v56
	v_cmp_gt_i64_e32 vcc, 0, v[4:5]
	v_not_b32_e32 v5, v5
	v_ashrrev_i32_e32 v5, 31, v5
	v_and_b32_e32 v177, v177, v178
	;; [unrolled: 8-line block ×4, first 2 shown]
	v_xor_b32_e32 v178, vcc_hi, v5
	v_xor_b32_e32 v5, vcc_lo, v5
	v_and_b32_e32 v177, v177, v178
	v_and_b32_e32 v178, v57, v5
	v_lshlrev_b32_e32 v5, 25, v56
	v_cmp_gt_i64_e32 vcc, 0, v[4:5]
	v_not_b32_e32 v5, v5
	v_ashrrev_i32_e32 v5, 31, v5
	v_xor_b32_e32 v56, vcc_hi, v5
	v_xor_b32_e32 v5, vcc_lo, v5
	v_and_b32_e32 v57, v177, v56
	v_and_b32_e32 v56, v178, v5
	v_mbcnt_lo_u32_b32 v5, v56, 0
	v_mbcnt_hi_u32_b32 v177, v57, v5
	v_cmp_eq_u32_e32 vcc, 0, v177
	v_cmp_ne_u64_e64 s[40:41], 0, v[56:57]
	s_and_b64 s[42:43], s[40:41], vcc
	; wave barrier
	s_and_saveexec_b64 s[40:41], s[42:43]
	s_cbranch_execz .LBB914_774
; %bb.773:                              ;   in Loop: Header=BB914_728 Depth=2
	v_bcnt_u32_b32 v5, v56, 0
	v_bcnt_u32_b32 v5, v57, v5
	s_waitcnt lgkmcnt(0)
	v_add_u32_e32 v5, v173, v5
	ds_write_b32 v175, v5
.LBB914_774:                            ;   in Loop: Header=BB914_728 Depth=2
	s_or_b64 exec, exec, s[40:41]
	s_waitcnt vmcnt(11)
	v_xor_b32_e32 v176, 0x7fff, v176
	v_lshrrev_b32_sdwa v5, s89, v176 dst_sel:DWORD dst_unused:UNUSED_PAD src0_sel:DWORD src1_sel:WORD_0
	v_and_b32_e32 v56, s6, v5
	v_mul_u32_u24_e32 v5, 5, v56
	v_add_lshl_u32 v5, v5, v153, 2
	; wave barrier
	v_add_u32_e32 v180, 0x210, v5
	ds_read_b32 v178, v5 offset:528
	v_and_b32_e32 v5, 1, v56
	v_add_co_u32_e32 v57, vcc, -1, v5
	v_addc_co_u32_e64 v182, s[40:41], 0, -1, vcc
	v_cmp_ne_u32_e32 vcc, 0, v5
	v_xor_b32_e32 v5, vcc_hi, v182
	v_and_b32_e32 v182, exec_hi, v5
	v_lshlrev_b32_e32 v5, 30, v56
	v_xor_b32_e32 v57, vcc_lo, v57
	v_cmp_gt_i64_e32 vcc, 0, v[4:5]
	v_not_b32_e32 v5, v5
	v_ashrrev_i32_e32 v5, 31, v5
	v_and_b32_e32 v57, exec_lo, v57
	v_xor_b32_e32 v183, vcc_hi, v5
	v_xor_b32_e32 v5, vcc_lo, v5
	v_and_b32_e32 v57, v57, v5
	v_lshlrev_b32_e32 v5, 29, v56
	v_cmp_gt_i64_e32 vcc, 0, v[4:5]
	v_not_b32_e32 v5, v5
	v_ashrrev_i32_e32 v5, 31, v5
	v_and_b32_e32 v182, v182, v183
	v_xor_b32_e32 v183, vcc_hi, v5
	v_xor_b32_e32 v5, vcc_lo, v5
	v_and_b32_e32 v57, v57, v5
	v_lshlrev_b32_e32 v5, 28, v56
	v_cmp_gt_i64_e32 vcc, 0, v[4:5]
	v_not_b32_e32 v5, v5
	v_ashrrev_i32_e32 v5, 31, v5
	v_and_b32_e32 v182, v182, v183
	;; [unrolled: 8-line block ×4, first 2 shown]
	v_xor_b32_e32 v183, vcc_hi, v5
	v_xor_b32_e32 v5, vcc_lo, v5
	v_and_b32_e32 v182, v182, v183
	v_and_b32_e32 v183, v57, v5
	v_lshlrev_b32_e32 v5, 25, v56
	v_cmp_gt_i64_e32 vcc, 0, v[4:5]
	v_not_b32_e32 v5, v5
	v_ashrrev_i32_e32 v5, 31, v5
	v_xor_b32_e32 v56, vcc_hi, v5
	v_xor_b32_e32 v5, vcc_lo, v5
	v_and_b32_e32 v57, v182, v56
	v_and_b32_e32 v56, v183, v5
	v_mbcnt_lo_u32_b32 v5, v56, 0
	v_mbcnt_hi_u32_b32 v182, v57, v5
	v_cmp_eq_u32_e32 vcc, 0, v182
	v_cmp_ne_u64_e64 s[40:41], 0, v[56:57]
	s_and_b64 s[42:43], s[40:41], vcc
	; wave barrier
	s_and_saveexec_b64 s[40:41], s[42:43]
	s_cbranch_execz .LBB914_776
; %bb.775:                              ;   in Loop: Header=BB914_728 Depth=2
	v_bcnt_u32_b32 v5, v56, 0
	v_bcnt_u32_b32 v5, v57, v5
	s_waitcnt lgkmcnt(0)
	v_add_u32_e32 v5, v178, v5
	ds_write_b32 v180, v5
.LBB914_776:                            ;   in Loop: Header=BB914_728 Depth=2
	s_or_b64 exec, exec, s[40:41]
	s_waitcnt vmcnt(10)
	v_xor_b32_e32 v181, 0x7fff, v181
	v_lshrrev_b32_sdwa v5, s89, v181 dst_sel:DWORD dst_unused:UNUSED_PAD src0_sel:DWORD src1_sel:WORD_0
	v_and_b32_e32 v56, s6, v5
	v_mul_u32_u24_e32 v5, 5, v56
	v_add_lshl_u32 v5, v5, v153, 2
	; wave barrier
	v_add_u32_e32 v185, 0x210, v5
	ds_read_b32 v183, v5 offset:528
	v_and_b32_e32 v5, 1, v56
	v_add_co_u32_e32 v57, vcc, -1, v5
	v_addc_co_u32_e64 v187, s[40:41], 0, -1, vcc
	v_cmp_ne_u32_e32 vcc, 0, v5
	v_xor_b32_e32 v5, vcc_hi, v187
	v_and_b32_e32 v187, exec_hi, v5
	v_lshlrev_b32_e32 v5, 30, v56
	v_xor_b32_e32 v57, vcc_lo, v57
	v_cmp_gt_i64_e32 vcc, 0, v[4:5]
	v_not_b32_e32 v5, v5
	v_ashrrev_i32_e32 v5, 31, v5
	v_and_b32_e32 v57, exec_lo, v57
	v_xor_b32_e32 v189, vcc_hi, v5
	v_xor_b32_e32 v5, vcc_lo, v5
	v_and_b32_e32 v57, v57, v5
	v_lshlrev_b32_e32 v5, 29, v56
	v_cmp_gt_i64_e32 vcc, 0, v[4:5]
	v_not_b32_e32 v5, v5
	v_ashrrev_i32_e32 v5, 31, v5
	v_and_b32_e32 v187, v187, v189
	v_xor_b32_e32 v189, vcc_hi, v5
	v_xor_b32_e32 v5, vcc_lo, v5
	v_and_b32_e32 v57, v57, v5
	v_lshlrev_b32_e32 v5, 28, v56
	v_cmp_gt_i64_e32 vcc, 0, v[4:5]
	v_not_b32_e32 v5, v5
	v_ashrrev_i32_e32 v5, 31, v5
	v_and_b32_e32 v187, v187, v189
	;; [unrolled: 8-line block ×4, first 2 shown]
	v_xor_b32_e32 v189, vcc_hi, v5
	v_xor_b32_e32 v5, vcc_lo, v5
	v_and_b32_e32 v187, v187, v189
	v_and_b32_e32 v189, v57, v5
	v_lshlrev_b32_e32 v5, 25, v56
	v_cmp_gt_i64_e32 vcc, 0, v[4:5]
	v_not_b32_e32 v5, v5
	v_ashrrev_i32_e32 v5, 31, v5
	v_xor_b32_e32 v56, vcc_hi, v5
	v_xor_b32_e32 v5, vcc_lo, v5
	v_and_b32_e32 v57, v187, v56
	v_and_b32_e32 v56, v189, v5
	v_mbcnt_lo_u32_b32 v5, v56, 0
	v_mbcnt_hi_u32_b32 v187, v57, v5
	v_cmp_eq_u32_e32 vcc, 0, v187
	v_cmp_ne_u64_e64 s[40:41], 0, v[56:57]
	s_and_b64 s[42:43], s[40:41], vcc
	; wave barrier
	s_and_saveexec_b64 s[40:41], s[42:43]
	s_cbranch_execz .LBB914_778
; %bb.777:                              ;   in Loop: Header=BB914_728 Depth=2
	v_bcnt_u32_b32 v5, v56, 0
	v_bcnt_u32_b32 v5, v57, v5
	s_waitcnt lgkmcnt(0)
	v_add_u32_e32 v5, v183, v5
	ds_write_b32 v185, v5
.LBB914_778:                            ;   in Loop: Header=BB914_728 Depth=2
	s_or_b64 exec, exec, s[40:41]
	s_waitcnt vmcnt(9)
	v_xor_b32_e32 v186, 0x7fff, v186
	v_lshrrev_b32_sdwa v5, s89, v186 dst_sel:DWORD dst_unused:UNUSED_PAD src0_sel:DWORD src1_sel:WORD_0
	v_and_b32_e32 v56, s6, v5
	v_mul_u32_u24_e32 v5, 5, v56
	v_add_lshl_u32 v5, v5, v153, 2
	; wave barrier
	v_add_u32_e32 v190, 0x210, v5
	ds_read_b32 v189, v5 offset:528
	v_and_b32_e32 v5, 1, v56
	v_add_co_u32_e32 v57, vcc, -1, v5
	v_addc_co_u32_e64 v192, s[40:41], 0, -1, vcc
	v_cmp_ne_u32_e32 vcc, 0, v5
	v_xor_b32_e32 v5, vcc_hi, v192
	v_and_b32_e32 v192, exec_hi, v5
	v_lshlrev_b32_e32 v5, 30, v56
	v_xor_b32_e32 v57, vcc_lo, v57
	v_cmp_gt_i64_e32 vcc, 0, v[4:5]
	v_not_b32_e32 v5, v5
	v_ashrrev_i32_e32 v5, 31, v5
	v_and_b32_e32 v57, exec_lo, v57
	v_xor_b32_e32 v194, vcc_hi, v5
	v_xor_b32_e32 v5, vcc_lo, v5
	v_and_b32_e32 v57, v57, v5
	v_lshlrev_b32_e32 v5, 29, v56
	v_cmp_gt_i64_e32 vcc, 0, v[4:5]
	v_not_b32_e32 v5, v5
	v_ashrrev_i32_e32 v5, 31, v5
	v_and_b32_e32 v192, v192, v194
	v_xor_b32_e32 v194, vcc_hi, v5
	v_xor_b32_e32 v5, vcc_lo, v5
	v_and_b32_e32 v57, v57, v5
	v_lshlrev_b32_e32 v5, 28, v56
	v_cmp_gt_i64_e32 vcc, 0, v[4:5]
	v_not_b32_e32 v5, v5
	v_ashrrev_i32_e32 v5, 31, v5
	v_and_b32_e32 v192, v192, v194
	;; [unrolled: 8-line block ×4, first 2 shown]
	v_xor_b32_e32 v194, vcc_hi, v5
	v_xor_b32_e32 v5, vcc_lo, v5
	v_and_b32_e32 v192, v192, v194
	v_and_b32_e32 v194, v57, v5
	v_lshlrev_b32_e32 v5, 25, v56
	v_cmp_gt_i64_e32 vcc, 0, v[4:5]
	v_not_b32_e32 v5, v5
	v_ashrrev_i32_e32 v5, 31, v5
	v_xor_b32_e32 v56, vcc_hi, v5
	v_xor_b32_e32 v5, vcc_lo, v5
	v_and_b32_e32 v57, v192, v56
	v_and_b32_e32 v56, v194, v5
	v_mbcnt_lo_u32_b32 v5, v56, 0
	v_mbcnt_hi_u32_b32 v192, v57, v5
	v_cmp_eq_u32_e32 vcc, 0, v192
	v_cmp_ne_u64_e64 s[40:41], 0, v[56:57]
	s_and_b64 s[42:43], s[40:41], vcc
	; wave barrier
	s_and_saveexec_b64 s[40:41], s[42:43]
	s_cbranch_execz .LBB914_780
; %bb.779:                              ;   in Loop: Header=BB914_728 Depth=2
	v_bcnt_u32_b32 v5, v56, 0
	v_bcnt_u32_b32 v5, v57, v5
	s_waitcnt lgkmcnt(0)
	v_add_u32_e32 v5, v189, v5
	ds_write_b32 v190, v5
.LBB914_780:                            ;   in Loop: Header=BB914_728 Depth=2
	s_or_b64 exec, exec, s[40:41]
	s_waitcnt vmcnt(8)
	v_xor_b32_e32 v191, 0x7fff, v191
	v_lshrrev_b32_sdwa v5, s89, v191 dst_sel:DWORD dst_unused:UNUSED_PAD src0_sel:DWORD src1_sel:WORD_0
	v_and_b32_e32 v56, s6, v5
	v_mul_u32_u24_e32 v5, 5, v56
	v_add_lshl_u32 v5, v5, v153, 2
	; wave barrier
	v_add_u32_e32 v195, 0x210, v5
	ds_read_b32 v194, v5 offset:528
	v_and_b32_e32 v5, 1, v56
	v_add_co_u32_e32 v57, vcc, -1, v5
	v_addc_co_u32_e64 v196, s[40:41], 0, -1, vcc
	v_cmp_ne_u32_e32 vcc, 0, v5
	v_xor_b32_e32 v5, vcc_hi, v196
	v_and_b32_e32 v196, exec_hi, v5
	v_lshlrev_b32_e32 v5, 30, v56
	v_xor_b32_e32 v57, vcc_lo, v57
	v_cmp_gt_i64_e32 vcc, 0, v[4:5]
	v_not_b32_e32 v5, v5
	v_ashrrev_i32_e32 v5, 31, v5
	v_and_b32_e32 v57, exec_lo, v57
	v_xor_b32_e32 v197, vcc_hi, v5
	v_xor_b32_e32 v5, vcc_lo, v5
	v_and_b32_e32 v57, v57, v5
	v_lshlrev_b32_e32 v5, 29, v56
	v_cmp_gt_i64_e32 vcc, 0, v[4:5]
	v_not_b32_e32 v5, v5
	v_ashrrev_i32_e32 v5, 31, v5
	v_and_b32_e32 v196, v196, v197
	v_xor_b32_e32 v197, vcc_hi, v5
	v_xor_b32_e32 v5, vcc_lo, v5
	v_and_b32_e32 v57, v57, v5
	v_lshlrev_b32_e32 v5, 28, v56
	v_cmp_gt_i64_e32 vcc, 0, v[4:5]
	v_not_b32_e32 v5, v5
	v_ashrrev_i32_e32 v5, 31, v5
	v_and_b32_e32 v196, v196, v197
	;; [unrolled: 8-line block ×4, first 2 shown]
	v_xor_b32_e32 v197, vcc_hi, v5
	v_xor_b32_e32 v5, vcc_lo, v5
	v_and_b32_e32 v196, v196, v197
	v_and_b32_e32 v197, v57, v5
	v_lshlrev_b32_e32 v5, 25, v56
	v_cmp_gt_i64_e32 vcc, 0, v[4:5]
	v_not_b32_e32 v5, v5
	v_ashrrev_i32_e32 v5, 31, v5
	v_xor_b32_e32 v56, vcc_hi, v5
	v_xor_b32_e32 v5, vcc_lo, v5
	v_and_b32_e32 v57, v196, v56
	v_and_b32_e32 v56, v197, v5
	v_mbcnt_lo_u32_b32 v5, v56, 0
	v_mbcnt_hi_u32_b32 v196, v57, v5
	v_cmp_eq_u32_e32 vcc, 0, v196
	v_cmp_ne_u64_e64 s[40:41], 0, v[56:57]
	s_and_b64 s[42:43], s[40:41], vcc
	; wave barrier
	s_and_saveexec_b64 s[40:41], s[42:43]
	s_cbranch_execz .LBB914_782
; %bb.781:                              ;   in Loop: Header=BB914_728 Depth=2
	v_bcnt_u32_b32 v5, v56, 0
	v_bcnt_u32_b32 v5, v57, v5
	s_waitcnt lgkmcnt(0)
	v_add_u32_e32 v5, v194, v5
	ds_write_b32 v195, v5
.LBB914_782:                            ;   in Loop: Header=BB914_728 Depth=2
	s_or_b64 exec, exec, s[40:41]
	s_waitcnt vmcnt(7)
	v_xor_b32_e32 v193, 0x7fff, v193
	v_lshrrev_b32_sdwa v5, s89, v193 dst_sel:DWORD dst_unused:UNUSED_PAD src0_sel:DWORD src1_sel:WORD_0
	v_and_b32_e32 v56, s6, v5
	v_mul_u32_u24_e32 v5, 5, v56
	v_add_lshl_u32 v5, v5, v153, 2
	; wave barrier
	v_add_u32_e32 v198, 0x210, v5
	ds_read_b32 v197, v5 offset:528
	v_and_b32_e32 v5, 1, v56
	v_add_co_u32_e32 v57, vcc, -1, v5
	v_addc_co_u32_e64 v199, s[40:41], 0, -1, vcc
	v_cmp_ne_u32_e32 vcc, 0, v5
	v_xor_b32_e32 v5, vcc_hi, v199
	v_and_b32_e32 v199, exec_hi, v5
	v_lshlrev_b32_e32 v5, 30, v56
	v_xor_b32_e32 v57, vcc_lo, v57
	v_cmp_gt_i64_e32 vcc, 0, v[4:5]
	v_not_b32_e32 v5, v5
	v_ashrrev_i32_e32 v5, 31, v5
	v_and_b32_e32 v57, exec_lo, v57
	v_xor_b32_e32 v200, vcc_hi, v5
	v_xor_b32_e32 v5, vcc_lo, v5
	v_and_b32_e32 v57, v57, v5
	v_lshlrev_b32_e32 v5, 29, v56
	v_cmp_gt_i64_e32 vcc, 0, v[4:5]
	v_not_b32_e32 v5, v5
	v_ashrrev_i32_e32 v5, 31, v5
	v_and_b32_e32 v199, v199, v200
	v_xor_b32_e32 v200, vcc_hi, v5
	v_xor_b32_e32 v5, vcc_lo, v5
	v_and_b32_e32 v57, v57, v5
	v_lshlrev_b32_e32 v5, 28, v56
	v_cmp_gt_i64_e32 vcc, 0, v[4:5]
	v_not_b32_e32 v5, v5
	v_ashrrev_i32_e32 v5, 31, v5
	v_and_b32_e32 v199, v199, v200
	;; [unrolled: 8-line block ×4, first 2 shown]
	v_xor_b32_e32 v200, vcc_hi, v5
	v_xor_b32_e32 v5, vcc_lo, v5
	v_and_b32_e32 v199, v199, v200
	v_and_b32_e32 v200, v57, v5
	v_lshlrev_b32_e32 v5, 25, v56
	v_cmp_gt_i64_e32 vcc, 0, v[4:5]
	v_not_b32_e32 v5, v5
	v_ashrrev_i32_e32 v5, 31, v5
	v_xor_b32_e32 v56, vcc_hi, v5
	v_xor_b32_e32 v5, vcc_lo, v5
	v_and_b32_e32 v57, v199, v56
	v_and_b32_e32 v56, v200, v5
	v_mbcnt_lo_u32_b32 v5, v56, 0
	v_mbcnt_hi_u32_b32 v199, v57, v5
	v_cmp_eq_u32_e32 vcc, 0, v199
	v_cmp_ne_u64_e64 s[40:41], 0, v[56:57]
	s_and_b64 s[42:43], s[40:41], vcc
	; wave barrier
	s_and_saveexec_b64 s[40:41], s[42:43]
	s_cbranch_execz .LBB914_784
; %bb.783:                              ;   in Loop: Header=BB914_728 Depth=2
	v_bcnt_u32_b32 v5, v56, 0
	v_bcnt_u32_b32 v5, v57, v5
	s_waitcnt lgkmcnt(0)
	v_add_u32_e32 v5, v197, v5
	ds_write_b32 v198, v5
.LBB914_784:                            ;   in Loop: Header=BB914_728 Depth=2
	s_or_b64 exec, exec, s[40:41]
	s_waitcnt vmcnt(6)
	v_xor_b32_e32 v188, 0x7fff, v188
	v_lshrrev_b32_sdwa v5, s89, v188 dst_sel:DWORD dst_unused:UNUSED_PAD src0_sel:DWORD src1_sel:WORD_0
	v_and_b32_e32 v56, s6, v5
	v_mul_u32_u24_e32 v5, 5, v56
	v_add_lshl_u32 v5, v5, v153, 2
	; wave barrier
	v_add_u32_e32 v201, 0x210, v5
	ds_read_b32 v200, v5 offset:528
	v_and_b32_e32 v5, 1, v56
	v_add_co_u32_e32 v57, vcc, -1, v5
	v_addc_co_u32_e64 v202, s[40:41], 0, -1, vcc
	v_cmp_ne_u32_e32 vcc, 0, v5
	v_xor_b32_e32 v5, vcc_hi, v202
	v_and_b32_e32 v202, exec_hi, v5
	v_lshlrev_b32_e32 v5, 30, v56
	v_xor_b32_e32 v57, vcc_lo, v57
	v_cmp_gt_i64_e32 vcc, 0, v[4:5]
	v_not_b32_e32 v5, v5
	v_ashrrev_i32_e32 v5, 31, v5
	v_and_b32_e32 v57, exec_lo, v57
	v_xor_b32_e32 v203, vcc_hi, v5
	v_xor_b32_e32 v5, vcc_lo, v5
	v_and_b32_e32 v57, v57, v5
	v_lshlrev_b32_e32 v5, 29, v56
	v_cmp_gt_i64_e32 vcc, 0, v[4:5]
	v_not_b32_e32 v5, v5
	v_ashrrev_i32_e32 v5, 31, v5
	v_and_b32_e32 v202, v202, v203
	v_xor_b32_e32 v203, vcc_hi, v5
	v_xor_b32_e32 v5, vcc_lo, v5
	v_and_b32_e32 v57, v57, v5
	v_lshlrev_b32_e32 v5, 28, v56
	v_cmp_gt_i64_e32 vcc, 0, v[4:5]
	v_not_b32_e32 v5, v5
	v_ashrrev_i32_e32 v5, 31, v5
	v_and_b32_e32 v202, v202, v203
	;; [unrolled: 8-line block ×4, first 2 shown]
	v_xor_b32_e32 v203, vcc_hi, v5
	v_xor_b32_e32 v5, vcc_lo, v5
	v_and_b32_e32 v202, v202, v203
	v_and_b32_e32 v203, v57, v5
	v_lshlrev_b32_e32 v5, 25, v56
	v_cmp_gt_i64_e32 vcc, 0, v[4:5]
	v_not_b32_e32 v5, v5
	v_ashrrev_i32_e32 v5, 31, v5
	v_xor_b32_e32 v56, vcc_hi, v5
	v_xor_b32_e32 v5, vcc_lo, v5
	v_and_b32_e32 v57, v202, v56
	v_and_b32_e32 v56, v203, v5
	v_mbcnt_lo_u32_b32 v5, v56, 0
	v_mbcnt_hi_u32_b32 v202, v57, v5
	v_cmp_eq_u32_e32 vcc, 0, v202
	v_cmp_ne_u64_e64 s[40:41], 0, v[56:57]
	s_and_b64 s[42:43], s[40:41], vcc
	; wave barrier
	s_and_saveexec_b64 s[40:41], s[42:43]
	s_cbranch_execz .LBB914_786
; %bb.785:                              ;   in Loop: Header=BB914_728 Depth=2
	v_bcnt_u32_b32 v5, v56, 0
	v_bcnt_u32_b32 v5, v57, v5
	s_waitcnt lgkmcnt(0)
	v_add_u32_e32 v5, v200, v5
	ds_write_b32 v201, v5
.LBB914_786:                            ;   in Loop: Header=BB914_728 Depth=2
	s_or_b64 exec, exec, s[40:41]
	s_waitcnt vmcnt(5)
	v_xor_b32_e32 v184, 0x7fff, v184
	v_lshrrev_b32_sdwa v5, s89, v184 dst_sel:DWORD dst_unused:UNUSED_PAD src0_sel:DWORD src1_sel:WORD_0
	v_and_b32_e32 v56, s6, v5
	v_mul_u32_u24_e32 v5, 5, v56
	v_add_lshl_u32 v5, v5, v153, 2
	; wave barrier
	v_add_u32_e32 v205, 0x210, v5
	ds_read_b32 v203, v5 offset:528
	v_and_b32_e32 v5, 1, v56
	v_add_co_u32_e32 v57, vcc, -1, v5
	v_addc_co_u32_e64 v204, s[40:41], 0, -1, vcc
	v_cmp_ne_u32_e32 vcc, 0, v5
	v_xor_b32_e32 v5, vcc_hi, v204
	v_and_b32_e32 v204, exec_hi, v5
	v_lshlrev_b32_e32 v5, 30, v56
	v_xor_b32_e32 v57, vcc_lo, v57
	v_cmp_gt_i64_e32 vcc, 0, v[4:5]
	v_not_b32_e32 v5, v5
	v_ashrrev_i32_e32 v5, 31, v5
	v_and_b32_e32 v57, exec_lo, v57
	v_xor_b32_e32 v206, vcc_hi, v5
	v_xor_b32_e32 v5, vcc_lo, v5
	v_and_b32_e32 v57, v57, v5
	v_lshlrev_b32_e32 v5, 29, v56
	v_cmp_gt_i64_e32 vcc, 0, v[4:5]
	v_not_b32_e32 v5, v5
	v_ashrrev_i32_e32 v5, 31, v5
	v_and_b32_e32 v204, v204, v206
	v_xor_b32_e32 v206, vcc_hi, v5
	v_xor_b32_e32 v5, vcc_lo, v5
	v_and_b32_e32 v57, v57, v5
	v_lshlrev_b32_e32 v5, 28, v56
	v_cmp_gt_i64_e32 vcc, 0, v[4:5]
	v_not_b32_e32 v5, v5
	v_ashrrev_i32_e32 v5, 31, v5
	v_and_b32_e32 v204, v204, v206
	;; [unrolled: 8-line block ×4, first 2 shown]
	v_xor_b32_e32 v206, vcc_hi, v5
	v_xor_b32_e32 v5, vcc_lo, v5
	v_and_b32_e32 v204, v204, v206
	v_and_b32_e32 v206, v57, v5
	v_lshlrev_b32_e32 v5, 25, v56
	v_cmp_gt_i64_e32 vcc, 0, v[4:5]
	v_not_b32_e32 v5, v5
	v_ashrrev_i32_e32 v5, 31, v5
	v_xor_b32_e32 v56, vcc_hi, v5
	v_xor_b32_e32 v5, vcc_lo, v5
	v_and_b32_e32 v57, v204, v56
	v_and_b32_e32 v56, v206, v5
	v_mbcnt_lo_u32_b32 v5, v56, 0
	v_mbcnt_hi_u32_b32 v206, v57, v5
	v_cmp_eq_u32_e32 vcc, 0, v206
	v_cmp_ne_u64_e64 s[40:41], 0, v[56:57]
	s_and_b64 s[42:43], s[40:41], vcc
	; wave barrier
	s_and_saveexec_b64 s[40:41], s[42:43]
	s_cbranch_execz .LBB914_788
; %bb.787:                              ;   in Loop: Header=BB914_728 Depth=2
	v_bcnt_u32_b32 v5, v56, 0
	v_bcnt_u32_b32 v5, v57, v5
	s_waitcnt lgkmcnt(0)
	v_add_u32_e32 v5, v203, v5
	ds_write_b32 v205, v5
.LBB914_788:                            ;   in Loop: Header=BB914_728 Depth=2
	s_or_b64 exec, exec, s[40:41]
	s_waitcnt vmcnt(4)
	v_xor_b32_e32 v204, 0x7fff, v179
	v_lshrrev_b32_sdwa v5, s89, v204 dst_sel:DWORD dst_unused:UNUSED_PAD src0_sel:DWORD src1_sel:WORD_0
	v_and_b32_e32 v56, s6, v5
	v_mul_u32_u24_e32 v5, 5, v56
	v_add_lshl_u32 v5, v5, v153, 2
	; wave barrier
	v_add_u32_e32 v179, 0x210, v5
	ds_read_b32 v207, v5 offset:528
	v_and_b32_e32 v5, 1, v56
	v_add_co_u32_e32 v57, vcc, -1, v5
	v_addc_co_u32_e64 v208, s[40:41], 0, -1, vcc
	v_cmp_ne_u32_e32 vcc, 0, v5
	v_xor_b32_e32 v5, vcc_hi, v208
	v_and_b32_e32 v208, exec_hi, v5
	v_lshlrev_b32_e32 v5, 30, v56
	v_xor_b32_e32 v57, vcc_lo, v57
	v_cmp_gt_i64_e32 vcc, 0, v[4:5]
	v_not_b32_e32 v5, v5
	v_ashrrev_i32_e32 v5, 31, v5
	v_and_b32_e32 v57, exec_lo, v57
	v_xor_b32_e32 v209, vcc_hi, v5
	v_xor_b32_e32 v5, vcc_lo, v5
	v_and_b32_e32 v57, v57, v5
	v_lshlrev_b32_e32 v5, 29, v56
	v_cmp_gt_i64_e32 vcc, 0, v[4:5]
	v_not_b32_e32 v5, v5
	v_ashrrev_i32_e32 v5, 31, v5
	v_and_b32_e32 v208, v208, v209
	v_xor_b32_e32 v209, vcc_hi, v5
	v_xor_b32_e32 v5, vcc_lo, v5
	v_and_b32_e32 v57, v57, v5
	v_lshlrev_b32_e32 v5, 28, v56
	v_cmp_gt_i64_e32 vcc, 0, v[4:5]
	v_not_b32_e32 v5, v5
	v_ashrrev_i32_e32 v5, 31, v5
	v_and_b32_e32 v208, v208, v209
	;; [unrolled: 8-line block ×4, first 2 shown]
	v_xor_b32_e32 v209, vcc_hi, v5
	v_xor_b32_e32 v5, vcc_lo, v5
	v_and_b32_e32 v208, v208, v209
	v_and_b32_e32 v209, v57, v5
	v_lshlrev_b32_e32 v5, 25, v56
	v_cmp_gt_i64_e32 vcc, 0, v[4:5]
	v_not_b32_e32 v5, v5
	v_ashrrev_i32_e32 v5, 31, v5
	v_xor_b32_e32 v56, vcc_hi, v5
	v_xor_b32_e32 v5, vcc_lo, v5
	v_and_b32_e32 v57, v208, v56
	v_and_b32_e32 v56, v209, v5
	v_mbcnt_lo_u32_b32 v5, v56, 0
	v_mbcnt_hi_u32_b32 v209, v57, v5
	v_cmp_eq_u32_e32 vcc, 0, v209
	v_cmp_ne_u64_e64 s[40:41], 0, v[56:57]
	s_and_b64 s[42:43], s[40:41], vcc
	; wave barrier
	s_and_saveexec_b64 s[40:41], s[42:43]
	s_cbranch_execz .LBB914_790
; %bb.789:                              ;   in Loop: Header=BB914_728 Depth=2
	v_bcnt_u32_b32 v5, v56, 0
	v_bcnt_u32_b32 v5, v57, v5
	s_waitcnt lgkmcnt(0)
	v_add_u32_e32 v5, v207, v5
	ds_write_b32 v179, v5
.LBB914_790:                            ;   in Loop: Header=BB914_728 Depth=2
	s_or_b64 exec, exec, s[40:41]
	s_waitcnt vmcnt(3)
	v_xor_b32_e32 v208, 0x7fff, v174
	v_lshrrev_b32_sdwa v5, s89, v208 dst_sel:DWORD dst_unused:UNUSED_PAD src0_sel:DWORD src1_sel:WORD_0
	v_and_b32_e32 v56, s6, v5
	v_mul_u32_u24_e32 v5, 5, v56
	v_add_lshl_u32 v5, v5, v153, 2
	; wave barrier
	v_add_u32_e32 v174, 0x210, v5
	ds_read_b32 v210, v5 offset:528
	v_and_b32_e32 v5, 1, v56
	v_add_co_u32_e32 v57, vcc, -1, v5
	v_addc_co_u32_e64 v211, s[40:41], 0, -1, vcc
	v_cmp_ne_u32_e32 vcc, 0, v5
	v_xor_b32_e32 v5, vcc_hi, v211
	v_and_b32_e32 v211, exec_hi, v5
	v_lshlrev_b32_e32 v5, 30, v56
	v_xor_b32_e32 v57, vcc_lo, v57
	v_cmp_gt_i64_e32 vcc, 0, v[4:5]
	v_not_b32_e32 v5, v5
	v_ashrrev_i32_e32 v5, 31, v5
	v_and_b32_e32 v57, exec_lo, v57
	v_xor_b32_e32 v212, vcc_hi, v5
	v_xor_b32_e32 v5, vcc_lo, v5
	v_and_b32_e32 v57, v57, v5
	v_lshlrev_b32_e32 v5, 29, v56
	v_cmp_gt_i64_e32 vcc, 0, v[4:5]
	v_not_b32_e32 v5, v5
	v_ashrrev_i32_e32 v5, 31, v5
	v_and_b32_e32 v211, v211, v212
	v_xor_b32_e32 v212, vcc_hi, v5
	v_xor_b32_e32 v5, vcc_lo, v5
	v_and_b32_e32 v57, v57, v5
	v_lshlrev_b32_e32 v5, 28, v56
	v_cmp_gt_i64_e32 vcc, 0, v[4:5]
	v_not_b32_e32 v5, v5
	v_ashrrev_i32_e32 v5, 31, v5
	v_and_b32_e32 v211, v211, v212
	v_xor_b32_e32 v212, vcc_hi, v5
	v_xor_b32_e32 v5, vcc_lo, v5
	v_and_b32_e32 v57, v57, v5
	v_lshlrev_b32_e32 v5, 27, v56
	v_cmp_gt_i64_e32 vcc, 0, v[4:5]
	v_not_b32_e32 v5, v5
	v_ashrrev_i32_e32 v5, 31, v5
	v_and_b32_e32 v211, v211, v212
	v_xor_b32_e32 v212, vcc_hi, v5
	v_xor_b32_e32 v5, vcc_lo, v5
	v_and_b32_e32 v57, v57, v5
	v_lshlrev_b32_e32 v5, 26, v56
	v_cmp_gt_i64_e32 vcc, 0, v[4:5]
	v_not_b32_e32 v5, v5
	v_ashrrev_i32_e32 v5, 31, v5
	v_and_b32_e32 v211, v211, v212
	v_xor_b32_e32 v212, vcc_hi, v5
	v_xor_b32_e32 v5, vcc_lo, v5
	v_and_b32_e32 v211, v211, v212
	v_and_b32_e32 v212, v57, v5
	v_lshlrev_b32_e32 v5, 25, v56
	v_cmp_gt_i64_e32 vcc, 0, v[4:5]
	v_not_b32_e32 v5, v5
	v_ashrrev_i32_e32 v5, 31, v5
	v_xor_b32_e32 v56, vcc_hi, v5
	v_xor_b32_e32 v5, vcc_lo, v5
	v_and_b32_e32 v57, v211, v56
	v_and_b32_e32 v56, v212, v5
	v_mbcnt_lo_u32_b32 v5, v56, 0
	v_mbcnt_hi_u32_b32 v212, v57, v5
	v_cmp_eq_u32_e32 vcc, 0, v212
	v_cmp_ne_u64_e64 s[40:41], 0, v[56:57]
	s_and_b64 s[42:43], s[40:41], vcc
	; wave barrier
	s_and_saveexec_b64 s[40:41], s[42:43]
	s_cbranch_execz .LBB914_792
; %bb.791:                              ;   in Loop: Header=BB914_728 Depth=2
	v_bcnt_u32_b32 v5, v56, 0
	v_bcnt_u32_b32 v5, v57, v5
	s_waitcnt lgkmcnt(0)
	v_add_u32_e32 v5, v210, v5
	ds_write_b32 v174, v5
.LBB914_792:                            ;   in Loop: Header=BB914_728 Depth=2
	s_or_b64 exec, exec, s[40:41]
	s_waitcnt vmcnt(2)
	v_xor_b32_e32 v211, 0x7fff, v169
	v_lshrrev_b32_sdwa v5, s89, v211 dst_sel:DWORD dst_unused:UNUSED_PAD src0_sel:DWORD src1_sel:WORD_0
	v_and_b32_e32 v56, s6, v5
	v_mul_u32_u24_e32 v5, 5, v56
	v_add_lshl_u32 v5, v5, v153, 2
	; wave barrier
	v_add_u32_e32 v169, 0x210, v5
	ds_read_b32 v213, v5 offset:528
	v_and_b32_e32 v5, 1, v56
	v_add_co_u32_e32 v57, vcc, -1, v5
	v_addc_co_u32_e64 v214, s[40:41], 0, -1, vcc
	v_cmp_ne_u32_e32 vcc, 0, v5
	v_xor_b32_e32 v5, vcc_hi, v214
	v_and_b32_e32 v214, exec_hi, v5
	v_lshlrev_b32_e32 v5, 30, v56
	v_xor_b32_e32 v57, vcc_lo, v57
	v_cmp_gt_i64_e32 vcc, 0, v[4:5]
	v_not_b32_e32 v5, v5
	v_ashrrev_i32_e32 v5, 31, v5
	v_and_b32_e32 v57, exec_lo, v57
	v_xor_b32_e32 v215, vcc_hi, v5
	v_xor_b32_e32 v5, vcc_lo, v5
	v_and_b32_e32 v57, v57, v5
	v_lshlrev_b32_e32 v5, 29, v56
	v_cmp_gt_i64_e32 vcc, 0, v[4:5]
	v_not_b32_e32 v5, v5
	v_ashrrev_i32_e32 v5, 31, v5
	v_and_b32_e32 v214, v214, v215
	v_xor_b32_e32 v215, vcc_hi, v5
	v_xor_b32_e32 v5, vcc_lo, v5
	v_and_b32_e32 v57, v57, v5
	v_lshlrev_b32_e32 v5, 28, v56
	v_cmp_gt_i64_e32 vcc, 0, v[4:5]
	v_not_b32_e32 v5, v5
	v_ashrrev_i32_e32 v5, 31, v5
	v_and_b32_e32 v214, v214, v215
	;; [unrolled: 8-line block ×4, first 2 shown]
	v_xor_b32_e32 v215, vcc_hi, v5
	v_xor_b32_e32 v5, vcc_lo, v5
	v_and_b32_e32 v214, v214, v215
	v_and_b32_e32 v215, v57, v5
	v_lshlrev_b32_e32 v5, 25, v56
	v_cmp_gt_i64_e32 vcc, 0, v[4:5]
	v_not_b32_e32 v5, v5
	v_ashrrev_i32_e32 v5, 31, v5
	v_xor_b32_e32 v56, vcc_hi, v5
	v_xor_b32_e32 v5, vcc_lo, v5
	v_and_b32_e32 v57, v214, v56
	v_and_b32_e32 v56, v215, v5
	v_mbcnt_lo_u32_b32 v5, v56, 0
	v_mbcnt_hi_u32_b32 v215, v57, v5
	v_cmp_eq_u32_e32 vcc, 0, v215
	v_cmp_ne_u64_e64 s[40:41], 0, v[56:57]
	s_and_b64 s[42:43], s[40:41], vcc
	; wave barrier
	s_and_saveexec_b64 s[40:41], s[42:43]
	s_cbranch_execz .LBB914_794
; %bb.793:                              ;   in Loop: Header=BB914_728 Depth=2
	v_bcnt_u32_b32 v5, v56, 0
	v_bcnt_u32_b32 v5, v57, v5
	s_waitcnt lgkmcnt(0)
	v_add_u32_e32 v5, v213, v5
	ds_write_b32 v169, v5
.LBB914_794:                            ;   in Loop: Header=BB914_728 Depth=2
	s_or_b64 exec, exec, s[40:41]
	s_waitcnt vmcnt(0)
	v_xor_b32_e32 v214, 0x7fff, v164
	v_lshrrev_b32_sdwa v5, s89, v214 dst_sel:DWORD dst_unused:UNUSED_PAD src0_sel:DWORD src1_sel:WORD_0
	v_and_b32_e32 v56, s6, v5
	v_mul_u32_u24_e32 v5, 5, v56
	v_add_lshl_u32 v5, v5, v153, 2
	; wave barrier
	v_add_u32_e32 v164, 0x210, v5
	ds_read_b32 v216, v5 offset:528
	v_and_b32_e32 v5, 1, v56
	v_add_co_u32_e32 v57, vcc, -1, v5
	v_addc_co_u32_e64 v217, s[40:41], 0, -1, vcc
	v_cmp_ne_u32_e32 vcc, 0, v5
	v_xor_b32_e32 v5, vcc_hi, v217
	v_and_b32_e32 v217, exec_hi, v5
	v_lshlrev_b32_e32 v5, 30, v56
	v_xor_b32_e32 v57, vcc_lo, v57
	v_cmp_gt_i64_e32 vcc, 0, v[4:5]
	v_not_b32_e32 v5, v5
	v_ashrrev_i32_e32 v5, 31, v5
	v_and_b32_e32 v57, exec_lo, v57
	v_xor_b32_e32 v218, vcc_hi, v5
	v_xor_b32_e32 v5, vcc_lo, v5
	v_and_b32_e32 v57, v57, v5
	v_lshlrev_b32_e32 v5, 29, v56
	v_cmp_gt_i64_e32 vcc, 0, v[4:5]
	v_not_b32_e32 v5, v5
	v_ashrrev_i32_e32 v5, 31, v5
	v_and_b32_e32 v217, v217, v218
	v_xor_b32_e32 v218, vcc_hi, v5
	v_xor_b32_e32 v5, vcc_lo, v5
	v_and_b32_e32 v57, v57, v5
	v_lshlrev_b32_e32 v5, 28, v56
	v_cmp_gt_i64_e32 vcc, 0, v[4:5]
	v_not_b32_e32 v5, v5
	v_ashrrev_i32_e32 v5, 31, v5
	v_and_b32_e32 v217, v217, v218
	;; [unrolled: 8-line block ×4, first 2 shown]
	v_xor_b32_e32 v218, vcc_hi, v5
	v_xor_b32_e32 v5, vcc_lo, v5
	v_and_b32_e32 v217, v217, v218
	v_and_b32_e32 v218, v57, v5
	v_lshlrev_b32_e32 v5, 25, v56
	v_cmp_gt_i64_e32 vcc, 0, v[4:5]
	v_not_b32_e32 v5, v5
	v_ashrrev_i32_e32 v5, 31, v5
	v_xor_b32_e32 v56, vcc_hi, v5
	v_xor_b32_e32 v5, vcc_lo, v5
	v_and_b32_e32 v57, v217, v56
	v_and_b32_e32 v56, v218, v5
	v_mbcnt_lo_u32_b32 v5, v56, 0
	v_mbcnt_hi_u32_b32 v218, v57, v5
	v_cmp_eq_u32_e32 vcc, 0, v218
	v_cmp_ne_u64_e64 s[40:41], 0, v[56:57]
	s_and_b64 s[42:43], s[40:41], vcc
	; wave barrier
	s_and_saveexec_b64 s[40:41], s[42:43]
	s_cbranch_execz .LBB914_796
; %bb.795:                              ;   in Loop: Header=BB914_728 Depth=2
	v_bcnt_u32_b32 v5, v56, 0
	v_bcnt_u32_b32 v5, v57, v5
	s_waitcnt lgkmcnt(0)
	v_add_u32_e32 v5, v216, v5
	ds_write_b32 v164, v5
.LBB914_796:                            ;   in Loop: Header=BB914_728 Depth=2
	s_or_b64 exec, exec, s[40:41]
	v_xor_b32_e32 v217, 0x7fff, v159
	v_lshrrev_b32_sdwa v5, s89, v217 dst_sel:DWORD dst_unused:UNUSED_PAD src0_sel:DWORD src1_sel:WORD_0
	v_and_b32_e32 v56, s6, v5
	v_mul_u32_u24_e32 v5, 5, v56
	v_add_lshl_u32 v5, v5, v153, 2
	; wave barrier
	v_add_u32_e32 v159, 0x210, v5
	ds_read_b32 v219, v5 offset:528
	v_and_b32_e32 v5, 1, v56
	v_add_co_u32_e32 v57, vcc, -1, v5
	v_addc_co_u32_e64 v220, s[40:41], 0, -1, vcc
	v_cmp_ne_u32_e32 vcc, 0, v5
	v_xor_b32_e32 v5, vcc_hi, v220
	v_and_b32_e32 v220, exec_hi, v5
	v_lshlrev_b32_e32 v5, 30, v56
	v_xor_b32_e32 v57, vcc_lo, v57
	v_cmp_gt_i64_e32 vcc, 0, v[4:5]
	v_not_b32_e32 v5, v5
	v_ashrrev_i32_e32 v5, 31, v5
	v_and_b32_e32 v57, exec_lo, v57
	v_xor_b32_e32 v221, vcc_hi, v5
	v_xor_b32_e32 v5, vcc_lo, v5
	v_and_b32_e32 v57, v57, v5
	v_lshlrev_b32_e32 v5, 29, v56
	v_cmp_gt_i64_e32 vcc, 0, v[4:5]
	v_not_b32_e32 v5, v5
	v_ashrrev_i32_e32 v5, 31, v5
	v_and_b32_e32 v220, v220, v221
	v_xor_b32_e32 v221, vcc_hi, v5
	v_xor_b32_e32 v5, vcc_lo, v5
	v_and_b32_e32 v57, v57, v5
	v_lshlrev_b32_e32 v5, 28, v56
	v_cmp_gt_i64_e32 vcc, 0, v[4:5]
	v_not_b32_e32 v5, v5
	v_ashrrev_i32_e32 v5, 31, v5
	v_and_b32_e32 v220, v220, v221
	;; [unrolled: 8-line block ×4, first 2 shown]
	v_xor_b32_e32 v221, vcc_hi, v5
	v_xor_b32_e32 v5, vcc_lo, v5
	v_and_b32_e32 v220, v220, v221
	v_and_b32_e32 v221, v57, v5
	v_lshlrev_b32_e32 v5, 25, v56
	v_cmp_gt_i64_e32 vcc, 0, v[4:5]
	v_not_b32_e32 v5, v5
	v_ashrrev_i32_e32 v5, 31, v5
	v_xor_b32_e32 v56, vcc_hi, v5
	v_xor_b32_e32 v5, vcc_lo, v5
	v_and_b32_e32 v57, v220, v56
	v_and_b32_e32 v56, v221, v5
	v_mbcnt_lo_u32_b32 v5, v56, 0
	v_mbcnt_hi_u32_b32 v221, v57, v5
	v_cmp_eq_u32_e32 vcc, 0, v221
	v_cmp_ne_u64_e64 s[40:41], 0, v[56:57]
	s_and_b64 s[42:43], s[40:41], vcc
	; wave barrier
	s_and_saveexec_b64 s[40:41], s[42:43]
	s_cbranch_execz .LBB914_798
; %bb.797:                              ;   in Loop: Header=BB914_728 Depth=2
	v_bcnt_u32_b32 v5, v56, 0
	v_bcnt_u32_b32 v5, v57, v5
	s_waitcnt lgkmcnt(0)
	v_add_u32_e32 v5, v219, v5
	ds_write_b32 v159, v5
.LBB914_798:                            ;   in Loop: Header=BB914_728 Depth=2
	s_or_b64 exec, exec, s[40:41]
	v_xor_b32_e32 v220, 0x7fff, v166
	v_lshrrev_b32_sdwa v5, s89, v220 dst_sel:DWORD dst_unused:UNUSED_PAD src0_sel:DWORD src1_sel:WORD_0
	v_and_b32_e32 v56, s6, v5
	v_mul_u32_u24_e32 v5, 5, v56
	v_add_lshl_u32 v5, v5, v153, 2
	; wave barrier
	v_add_u32_e32 v166, 0x210, v5
	ds_read_b32 v222, v5 offset:528
	v_and_b32_e32 v5, 1, v56
	v_add_co_u32_e32 v57, vcc, -1, v5
	v_addc_co_u32_e64 v223, s[40:41], 0, -1, vcc
	v_cmp_ne_u32_e32 vcc, 0, v5
	v_xor_b32_e32 v5, vcc_hi, v223
	v_and_b32_e32 v223, exec_hi, v5
	v_lshlrev_b32_e32 v5, 30, v56
	v_xor_b32_e32 v57, vcc_lo, v57
	v_cmp_gt_i64_e32 vcc, 0, v[4:5]
	v_not_b32_e32 v5, v5
	v_ashrrev_i32_e32 v5, 31, v5
	v_and_b32_e32 v57, exec_lo, v57
	v_xor_b32_e32 v224, vcc_hi, v5
	v_xor_b32_e32 v5, vcc_lo, v5
	v_and_b32_e32 v57, v57, v5
	v_lshlrev_b32_e32 v5, 29, v56
	v_cmp_gt_i64_e32 vcc, 0, v[4:5]
	v_not_b32_e32 v5, v5
	v_ashrrev_i32_e32 v5, 31, v5
	v_and_b32_e32 v223, v223, v224
	v_xor_b32_e32 v224, vcc_hi, v5
	v_xor_b32_e32 v5, vcc_lo, v5
	v_and_b32_e32 v57, v57, v5
	v_lshlrev_b32_e32 v5, 28, v56
	v_cmp_gt_i64_e32 vcc, 0, v[4:5]
	v_not_b32_e32 v5, v5
	v_ashrrev_i32_e32 v5, 31, v5
	v_and_b32_e32 v223, v223, v224
	;; [unrolled: 8-line block ×4, first 2 shown]
	v_xor_b32_e32 v224, vcc_hi, v5
	v_xor_b32_e32 v5, vcc_lo, v5
	v_and_b32_e32 v223, v223, v224
	v_and_b32_e32 v224, v57, v5
	v_lshlrev_b32_e32 v5, 25, v56
	v_cmp_gt_i64_e32 vcc, 0, v[4:5]
	v_not_b32_e32 v5, v5
	v_ashrrev_i32_e32 v5, 31, v5
	v_xor_b32_e32 v56, vcc_hi, v5
	v_xor_b32_e32 v5, vcc_lo, v5
	v_and_b32_e32 v57, v223, v56
	v_and_b32_e32 v56, v224, v5
	v_mbcnt_lo_u32_b32 v5, v56, 0
	v_mbcnt_hi_u32_b32 v5, v57, v5
	v_cmp_eq_u32_e32 vcc, 0, v5
	v_cmp_ne_u64_e64 s[40:41], 0, v[56:57]
	s_and_b64 s[42:43], s[40:41], vcc
	; wave barrier
	s_and_saveexec_b64 s[40:41], s[42:43]
	s_cbranch_execz .LBB914_800
; %bb.799:                              ;   in Loop: Header=BB914_728 Depth=2
	v_bcnt_u32_b32 v56, v56, 0
	v_bcnt_u32_b32 v56, v57, v56
	s_waitcnt lgkmcnt(0)
	v_add_u32_e32 v56, v222, v56
	ds_write_b32 v166, v56
.LBB914_800:                            ;   in Loop: Header=BB914_728 Depth=2
	s_or_b64 exec, exec, s[40:41]
	; wave barrier
	s_waitcnt lgkmcnt(0)
	s_barrier
	ds_read_b32 v223, v58 offset:528
	ds_read2_b32 v[56:57], v67 offset0:1 offset1:2
	s_waitcnt lgkmcnt(0)
	v_add3_u32 v57, v56, v223, v57
	s_nop 1
	v_mov_b32_dpp v224, v57 row_shr:1 row_mask:0xf bank_mask:0xf
	v_cndmask_b32_e64 v224, v224, 0, s[20:21]
	v_add_u32_e32 v57, v224, v57
	s_nop 1
	v_mov_b32_dpp v224, v57 row_shr:2 row_mask:0xf bank_mask:0xf
	v_cndmask_b32_e64 v224, 0, v224, s[22:23]
	v_add_u32_e32 v57, v57, v224
	;; [unrolled: 4-line block ×4, first 2 shown]
	s_nop 1
	v_mov_b32_dpp v224, v57 row_bcast:15 row_mask:0xf bank_mask:0xf
	v_cndmask_b32_e64 v224, v224, 0, s[28:29]
	v_add_u32_e32 v57, v57, v224
	s_nop 1
	v_mov_b32_dpp v224, v57 row_bcast:31 row_mask:0xf bank_mask:0xf
	v_cndmask_b32_e64 v224, 0, v224, s[30:31]
	v_add_u32_e32 v57, v57, v224
	s_and_saveexec_b64 s[40:41], s[12:13]
	s_cbranch_execz .LBB914_802
; %bb.801:                              ;   in Loop: Header=BB914_728 Depth=2
	ds_write_b32 v60, v57 offset:512
.LBB914_802:                            ;   in Loop: Header=BB914_728 Depth=2
	s_or_b64 exec, exec, s[40:41]
	s_waitcnt lgkmcnt(0)
	s_barrier
	s_and_saveexec_b64 s[40:41], s[14:15]
	s_cbranch_execz .LBB914_804
; %bb.803:                              ;   in Loop: Header=BB914_728 Depth=2
	ds_read_b32 v224, v69 offset:512
	s_waitcnt lgkmcnt(0)
	s_nop 0
	v_mov_b32_dpp v225, v224 row_shr:1 row_mask:0xf bank_mask:0xf
	v_cndmask_b32_e64 v225, v225, 0, s[36:37]
	v_add_u32_e32 v224, v225, v224
	s_nop 1
	v_mov_b32_dpp v225, v224 row_shr:2 row_mask:0xf bank_mask:0xf
	v_cndmask_b32_e64 v225, 0, v225, s[38:39]
	v_add_u32_e32 v224, v224, v225
	ds_write_b32 v69, v224 offset:512
.LBB914_804:                            ;   in Loop: Header=BB914_728 Depth=2
	s_or_b64 exec, exec, s[40:41]
	v_mov_b32_e32 v224, 0
	s_waitcnt lgkmcnt(0)
	s_barrier
	s_and_saveexec_b64 s[40:41], s[10:11]
	s_cbranch_execz .LBB914_806
; %bb.805:                              ;   in Loop: Header=BB914_728 Depth=2
	ds_read_b32 v224, v60 offset:508
.LBB914_806:                            ;   in Loop: Header=BB914_728 Depth=2
	s_or_b64 exec, exec, s[40:41]
	s_waitcnt lgkmcnt(0)
	v_add_u32_e32 v57, v224, v57
	ds_bpermute_b32 v57, v129, v57
	s_waitcnt lgkmcnt(0)
	v_cndmask_b32_e64 v57, v57, v224, s[34:35]
	v_cndmask_b32_e64 v57, v57, 0, s[16:17]
	v_add_u32_e32 v223, v57, v223
	v_add_u32_e32 v56, v223, v56
	ds_write_b32 v58, v57 offset:528
	ds_write2_b32 v67, v223, v56 offset0:1 offset1:2
	s_waitcnt lgkmcnt(0)
	s_barrier
	ds_read_b32 v56, v158
	ds_read_b32 v57, v163
	;; [unrolled: 1-line block ×17, first 2 shown]
	s_and_saveexec_b64 s[40:41], s[4:5]
	s_cbranch_execz .LBB914_810
; %bb.807:                              ;   in Loop: Header=BB914_728 Depth=2
	ds_read_b32 v154, v70 offset:528
	v_mov_b32_e32 v155, 0x1100
	s_and_saveexec_b64 s[42:43], s[18:19]
	s_cbranch_execz .LBB914_809
; %bb.808:                              ;   in Loop: Header=BB914_728 Depth=2
	ds_read_b32 v155, v70 offset:548
.LBB914_809:                            ;   in Loop: Header=BB914_728 Depth=2
	s_or_b64 exec, exec, s[42:43]
	s_waitcnt lgkmcnt(0)
	v_sub_u32_e32 v155, v155, v154
.LBB914_810:                            ;   in Loop: Header=BB914_728 Depth=2
	s_or_b64 exec, exec, s[40:41]
	s_waitcnt lgkmcnt(0)
	s_barrier
	s_and_saveexec_b64 s[40:41], s[4:5]
	s_cbranch_execz .LBB914_812
; %bb.811:                              ;   in Loop: Header=BB914_728 Depth=2
	ds_read_b32 v159, v3
	s_waitcnt lgkmcnt(0)
	v_sub_u32_e32 v159, v159, v154
	ds_write_b32 v3, v159
.LBB914_812:                            ;   in Loop: Header=BB914_728 Depth=2
	s_or_b64 exec, exec, s[40:41]
	v_add_u32_e32 v179, v56, v161
	v_add3_u32 v175, v167, v162, v57
	v_lshlrev_b32_e32 v56, 1, v179
	v_add3_u32 v174, v172, v168, v158
	ds_write_b16 v56, v157 offset:512
	v_lshlrev_b32_e32 v56, 1, v175
	v_add3_u32 v173, v177, v173, v163
	ds_write_b16 v56, v160 offset:512
	;; [unrolled: 3-line block ×15, first 2 shown]
	v_lshlrev_b32_e32 v56, 1, v158
	ds_write_b16 v56, v217 offset:512
	v_lshlrev_b32_e32 v56, 1, v5
	v_cmp_lt_u32_e64 s[40:41], v2, v156
	ds_write_b16 v56, v220 offset:512
	s_waitcnt lgkmcnt(0)
	s_barrier
	s_and_saveexec_b64 s[42:43], s[40:41]
	s_cbranch_execz .LBB914_864
; %bb.813:                              ;   in Loop: Header=BB914_728 Depth=2
	v_add_u32_e32 v56, v70, v75
	ds_read_u16 v56, v56 offset:512
	v_mov_b32_e32 v160, s79
	s_waitcnt lgkmcnt(0)
	v_lshrrev_b32_sdwa v57, s89, v56 dst_sel:DWORD dst_unused:UNUSED_PAD src0_sel:DWORD src1_sel:WORD_0
	v_and_b32_e32 v57, s6, v57
	v_lshlrev_b32_e32 v57, 2, v57
	ds_read_b32 v157, v57
	v_mov_b32_e32 v57, v4
	v_xor_b32_e32 v165, 0x7fff, v56
	s_waitcnt lgkmcnt(0)
	v_add_u32_e32 v56, v157, v2
	v_lshlrev_b64 v[56:57], 1, v[56:57]
	v_add_co_u32_e32 v56, vcc, s78, v56
	v_addc_co_u32_e32 v57, vcc, v160, v57, vcc
	global_store_short v[56:57], v165, off
	s_or_b64 exec, exec, s[42:43]
	v_cmp_lt_u32_e64 s[42:43], v7, v156
	s_and_saveexec_b64 s[44:45], s[42:43]
	s_cbranch_execnz .LBB914_865
.LBB914_814:                            ;   in Loop: Header=BB914_728 Depth=2
	s_or_b64 exec, exec, s[44:45]
	v_cmp_lt_u32_e64 s[44:45], v13, v156
	s_and_saveexec_b64 s[46:47], s[44:45]
	s_cbranch_execz .LBB914_866
.LBB914_815:                            ;   in Loop: Header=BB914_728 Depth=2
	ds_read_u16 v56, v76 offset:1024
	v_mov_b32_e32 v160, s79
	s_waitcnt lgkmcnt(0)
	v_lshrrev_b32_sdwa v57, s89, v56 dst_sel:DWORD dst_unused:UNUSED_PAD src0_sel:DWORD src1_sel:WORD_0
	v_and_b32_e32 v57, s6, v57
	v_lshlrev_b32_e32 v57, 2, v57
	ds_read_b32 v157, v57
	v_mov_b32_e32 v57, v4
	v_xor_b32_e32 v165, 0x7fff, v56
	s_waitcnt lgkmcnt(0)
	v_add_u32_e32 v56, v157, v13
	v_lshlrev_b64 v[56:57], 1, v[56:57]
	v_add_co_u32_e32 v56, vcc, s78, v56
	v_addc_co_u32_e32 v57, vcc, v160, v57, vcc
	global_store_short v[56:57], v165, off
	s_or_b64 exec, exec, s[46:47]
	v_cmp_lt_u32_e64 s[46:47], v15, v156
	s_and_saveexec_b64 s[48:49], s[46:47]
	s_cbranch_execnz .LBB914_867
.LBB914_816:                            ;   in Loop: Header=BB914_728 Depth=2
	s_or_b64 exec, exec, s[48:49]
	v_cmp_lt_u32_e64 s[48:49], v17, v156
	s_and_saveexec_b64 s[50:51], s[48:49]
	s_cbranch_execz .LBB914_868
.LBB914_817:                            ;   in Loop: Header=BB914_728 Depth=2
	ds_read_u16 v56, v76 offset:2048
	v_mov_b32_e32 v160, s79
	s_waitcnt lgkmcnt(0)
	v_lshrrev_b32_sdwa v57, s89, v56 dst_sel:DWORD dst_unused:UNUSED_PAD src0_sel:DWORD src1_sel:WORD_0
	v_and_b32_e32 v57, s6, v57
	v_lshlrev_b32_e32 v57, 2, v57
	ds_read_b32 v157, v57
	v_mov_b32_e32 v57, v4
	v_xor_b32_e32 v165, 0x7fff, v56
	s_waitcnt lgkmcnt(0)
	v_add_u32_e32 v56, v157, v17
	v_lshlrev_b64 v[56:57], 1, v[56:57]
	v_add_co_u32_e32 v56, vcc, s78, v56
	v_addc_co_u32_e32 v57, vcc, v160, v57, vcc
	global_store_short v[56:57], v165, off
	s_or_b64 exec, exec, s[50:51]
	v_cmp_lt_u32_e64 s[50:51], v19, v156
	s_and_saveexec_b64 s[52:53], s[50:51]
	s_cbranch_execnz .LBB914_869
.LBB914_818:                            ;   in Loop: Header=BB914_728 Depth=2
	s_or_b64 exec, exec, s[52:53]
	v_cmp_lt_u32_e64 s[52:53], v21, v156
	s_and_saveexec_b64 s[54:55], s[52:53]
	s_cbranch_execz .LBB914_870
.LBB914_819:                            ;   in Loop: Header=BB914_728 Depth=2
	ds_read_u16 v56, v76 offset:3072
	v_mov_b32_e32 v160, s79
	s_waitcnt lgkmcnt(0)
	v_lshrrev_b32_sdwa v57, s89, v56 dst_sel:DWORD dst_unused:UNUSED_PAD src0_sel:DWORD src1_sel:WORD_0
	v_and_b32_e32 v57, s6, v57
	v_lshlrev_b32_e32 v57, 2, v57
	ds_read_b32 v157, v57
	v_mov_b32_e32 v57, v4
	v_xor_b32_e32 v165, 0x7fff, v56
	s_waitcnt lgkmcnt(0)
	v_add_u32_e32 v56, v157, v21
	v_lshlrev_b64 v[56:57], 1, v[56:57]
	v_add_co_u32_e32 v56, vcc, s78, v56
	v_addc_co_u32_e32 v57, vcc, v160, v57, vcc
	global_store_short v[56:57], v165, off
	s_or_b64 exec, exec, s[54:55]
	v_cmp_lt_u32_e64 s[54:55], v23, v156
	s_and_saveexec_b64 s[56:57], s[54:55]
	s_cbranch_execnz .LBB914_871
.LBB914_820:                            ;   in Loop: Header=BB914_728 Depth=2
	s_or_b64 exec, exec, s[56:57]
	v_cmp_lt_u32_e64 s[56:57], v6, v156
	s_and_saveexec_b64 s[58:59], s[56:57]
	s_cbranch_execz .LBB914_872
.LBB914_821:                            ;   in Loop: Header=BB914_728 Depth=2
	ds_read_u16 v56, v76 offset:4096
	v_mov_b32_e32 v160, s79
	s_waitcnt lgkmcnt(0)
	v_lshrrev_b32_sdwa v57, s89, v56 dst_sel:DWORD dst_unused:UNUSED_PAD src0_sel:DWORD src1_sel:WORD_0
	v_and_b32_e32 v57, s6, v57
	v_lshlrev_b32_e32 v57, 2, v57
	ds_read_b32 v157, v57
	v_mov_b32_e32 v57, v4
	v_xor_b32_e32 v165, 0x7fff, v56
	s_waitcnt lgkmcnt(0)
	v_add_u32_e32 v56, v157, v6
	v_lshlrev_b64 v[56:57], 1, v[56:57]
	v_add_co_u32_e32 v56, vcc, s78, v56
	v_addc_co_u32_e32 v57, vcc, v160, v57, vcc
	global_store_short v[56:57], v165, off
	s_or_b64 exec, exec, s[58:59]
	v_cmp_lt_u32_e64 s[58:59], v8, v156
	s_and_saveexec_b64 s[60:61], s[58:59]
	s_cbranch_execnz .LBB914_873
.LBB914_822:                            ;   in Loop: Header=BB914_728 Depth=2
	s_or_b64 exec, exec, s[60:61]
	v_cmp_lt_u32_e64 s[60:61], v10, v156
	s_and_saveexec_b64 s[62:63], s[60:61]
	s_cbranch_execz .LBB914_874
.LBB914_823:                            ;   in Loop: Header=BB914_728 Depth=2
	ds_read_u16 v56, v76 offset:5120
	v_mov_b32_e32 v160, s79
	s_waitcnt lgkmcnt(0)
	v_lshrrev_b32_sdwa v57, s89, v56 dst_sel:DWORD dst_unused:UNUSED_PAD src0_sel:DWORD src1_sel:WORD_0
	v_and_b32_e32 v57, s6, v57
	v_lshlrev_b32_e32 v57, 2, v57
	ds_read_b32 v157, v57
	v_mov_b32_e32 v57, v4
	v_xor_b32_e32 v165, 0x7fff, v56
	s_waitcnt lgkmcnt(0)
	v_add_u32_e32 v56, v157, v10
	v_lshlrev_b64 v[56:57], 1, v[56:57]
	v_add_co_u32_e32 v56, vcc, s78, v56
	v_addc_co_u32_e32 v57, vcc, v160, v57, vcc
	global_store_short v[56:57], v165, off
	s_or_b64 exec, exec, s[62:63]
	v_cmp_lt_u32_e64 s[62:63], v12, v156
	s_and_saveexec_b64 s[64:65], s[62:63]
	s_cbranch_execnz .LBB914_875
.LBB914_824:                            ;   in Loop: Header=BB914_728 Depth=2
	s_or_b64 exec, exec, s[64:65]
	v_cmp_lt_u32_e64 s[64:65], v14, v156
	s_and_saveexec_b64 s[66:67], s[64:65]
	s_cbranch_execz .LBB914_876
.LBB914_825:                            ;   in Loop: Header=BB914_728 Depth=2
	ds_read_u16 v56, v76 offset:6144
	v_mov_b32_e32 v160, s79
	s_waitcnt lgkmcnt(0)
	v_lshrrev_b32_sdwa v57, s89, v56 dst_sel:DWORD dst_unused:UNUSED_PAD src0_sel:DWORD src1_sel:WORD_0
	v_and_b32_e32 v57, s6, v57
	v_lshlrev_b32_e32 v57, 2, v57
	ds_read_b32 v157, v57
	v_mov_b32_e32 v57, v4
	v_xor_b32_e32 v165, 0x7fff, v56
	s_waitcnt lgkmcnt(0)
	v_add_u32_e32 v56, v157, v14
	v_lshlrev_b64 v[56:57], 1, v[56:57]
	v_add_co_u32_e32 v56, vcc, s78, v56
	v_addc_co_u32_e32 v57, vcc, v160, v57, vcc
	global_store_short v[56:57], v165, off
	s_or_b64 exec, exec, s[66:67]
	v_cmp_lt_u32_e64 s[66:67], v16, v156
	s_and_saveexec_b64 s[68:69], s[66:67]
	s_cbranch_execnz .LBB914_877
.LBB914_826:                            ;   in Loop: Header=BB914_728 Depth=2
	s_or_b64 exec, exec, s[68:69]
	v_cmp_lt_u32_e64 s[68:69], v18, v156
	s_and_saveexec_b64 s[70:71], s[68:69]
	s_cbranch_execz .LBB914_878
.LBB914_827:                            ;   in Loop: Header=BB914_728 Depth=2
	ds_read_u16 v56, v76 offset:7168
	v_mov_b32_e32 v160, s79
	s_waitcnt lgkmcnt(0)
	v_lshrrev_b32_sdwa v57, s89, v56 dst_sel:DWORD dst_unused:UNUSED_PAD src0_sel:DWORD src1_sel:WORD_0
	v_and_b32_e32 v57, s6, v57
	v_lshlrev_b32_e32 v57, 2, v57
	ds_read_b32 v157, v57
	v_mov_b32_e32 v57, v4
	v_xor_b32_e32 v165, 0x7fff, v56
	s_waitcnt lgkmcnt(0)
	v_add_u32_e32 v56, v157, v18
	v_lshlrev_b64 v[56:57], 1, v[56:57]
	v_add_co_u32_e32 v56, vcc, s78, v56
	v_addc_co_u32_e32 v57, vcc, v160, v57, vcc
	global_store_short v[56:57], v165, off
	s_or_b64 exec, exec, s[70:71]
	v_cmp_lt_u32_e64 s[70:71], v20, v156
	s_and_saveexec_b64 s[72:73], s[70:71]
	s_cbranch_execnz .LBB914_879
.LBB914_828:                            ;   in Loop: Header=BB914_728 Depth=2
	s_or_b64 exec, exec, s[72:73]
	v_cmp_lt_u32_e64 s[72:73], v22, v156
	s_and_saveexec_b64 s[82:83], s[72:73]
	s_cbranch_execz .LBB914_830
.LBB914_829:                            ;   in Loop: Header=BB914_728 Depth=2
	ds_read_u16 v56, v76 offset:8192
	v_mov_b32_e32 v160, s79
	s_waitcnt lgkmcnt(0)
	v_lshrrev_b32_sdwa v57, s89, v56 dst_sel:DWORD dst_unused:UNUSED_PAD src0_sel:DWORD src1_sel:WORD_0
	v_and_b32_e32 v57, s6, v57
	v_lshlrev_b32_e32 v57, 2, v57
	ds_read_b32 v157, v57
	v_mov_b32_e32 v57, v4
	v_xor_b32_e32 v165, 0x7fff, v56
	s_waitcnt lgkmcnt(0)
	v_add_u32_e32 v56, v157, v22
	v_lshlrev_b64 v[56:57], 1, v[56:57]
	v_add_co_u32_e32 v56, vcc, s78, v56
	v_addc_co_u32_e32 v57, vcc, v160, v57, vcc
	global_store_short v[56:57], v165, off
.LBB914_830:                            ;   in Loop: Header=BB914_728 Depth=2
	s_or_b64 exec, exec, s[82:83]
	s_lshl_b64 s[82:83], s[94:95], 3
	v_mov_b32_e32 v57, s83
	v_add_co_u32_e32 v56, vcc, s82, v130
	v_addc_co_u32_e32 v57, vcc, v131, v57, vcc
	v_cmp_lt_u32_e32 vcc, v111, v156
	s_and_saveexec_b64 s[82:83], vcc
	s_xor_b64 s[82:83], exec, s[82:83]
	s_cbranch_execz .LBB914_880
; %bb.831:                              ;   in Loop: Header=BB914_728 Depth=2
	global_load_dwordx2 v[54:55], v[56:57], off
	s_or_b64 exec, exec, s[82:83]
	v_cmp_lt_u32_e32 vcc, v112, v156
	s_and_saveexec_b64 s[82:83], vcc
	s_cbranch_execnz .LBB914_881
.LBB914_832:                            ;   in Loop: Header=BB914_728 Depth=2
	s_or_b64 exec, exec, s[82:83]
	v_cmp_lt_u32_e32 vcc, v113, v156
	s_and_saveexec_b64 s[82:83], vcc
	s_cbranch_execz .LBB914_882
.LBB914_833:                            ;   in Loop: Header=BB914_728 Depth=2
	global_load_dwordx2 v[50:51], v[56:57], off offset:1024
	s_or_b64 exec, exec, s[82:83]
	v_cmp_lt_u32_e32 vcc, v114, v156
	s_and_saveexec_b64 s[82:83], vcc
	s_cbranch_execnz .LBB914_883
.LBB914_834:                            ;   in Loop: Header=BB914_728 Depth=2
	s_or_b64 exec, exec, s[82:83]
	v_cmp_lt_u32_e32 vcc, v115, v156
	s_and_saveexec_b64 s[82:83], vcc
	s_cbranch_execz .LBB914_884
.LBB914_835:                            ;   in Loop: Header=BB914_728 Depth=2
	global_load_dwordx2 v[42:43], v[56:57], off offset:2048
	s_or_b64 exec, exec, s[82:83]
	v_cmp_lt_u32_e32 vcc, v116, v156
	s_and_saveexec_b64 s[82:83], vcc
	s_cbranch_execnz .LBB914_885
.LBB914_836:                            ;   in Loop: Header=BB914_728 Depth=2
	s_or_b64 exec, exec, s[82:83]
	v_cmp_lt_u32_e32 vcc, v117, v156
	s_and_saveexec_b64 s[82:83], vcc
	s_cbranch_execz .LBB914_886
.LBB914_837:                            ;   in Loop: Header=BB914_728 Depth=2
	global_load_dwordx2 v[34:35], v[56:57], off offset:3072
	s_or_b64 exec, exec, s[82:83]
	v_cmp_lt_u32_e32 vcc, v118, v156
	s_and_saveexec_b64 s[82:83], vcc
	s_cbranch_execnz .LBB914_887
.LBB914_838:                            ;   in Loop: Header=BB914_728 Depth=2
	s_or_b64 exec, exec, s[82:83]
	v_cmp_lt_u32_e32 vcc, v119, v156
	s_and_saveexec_b64 s[82:83], vcc
	s_cbranch_execz .LBB914_888
.LBB914_839:                            ;   in Loop: Header=BB914_728 Depth=2
	v_add_co_u32_e32 v48, vcc, 0x1000, v56
	v_addc_co_u32_e32 v49, vcc, 0, v57, vcc
	global_load_dwordx2 v[48:49], v[48:49], off
	s_or_b64 exec, exec, s[82:83]
	v_cmp_lt_u32_e32 vcc, v120, v156
	s_and_saveexec_b64 s[82:83], vcc
	s_cbranch_execnz .LBB914_889
.LBB914_840:                            ;   in Loop: Header=BB914_728 Depth=2
	s_or_b64 exec, exec, s[82:83]
	v_cmp_lt_u32_e32 vcc, v121, v156
	s_and_saveexec_b64 s[82:83], vcc
	s_cbranch_execz .LBB914_890
.LBB914_841:                            ;   in Loop: Header=BB914_728 Depth=2
	v_add_co_u32_e32 v40, vcc, 0x1000, v56
	v_addc_co_u32_e32 v41, vcc, 0, v57, vcc
	global_load_dwordx2 v[40:41], v[40:41], off offset:1024
	s_or_b64 exec, exec, s[82:83]
	v_cmp_lt_u32_e32 vcc, v122, v156
	s_and_saveexec_b64 s[82:83], vcc
	s_cbranch_execnz .LBB914_891
.LBB914_842:                            ;   in Loop: Header=BB914_728 Depth=2
	s_or_b64 exec, exec, s[82:83]
	v_cmp_lt_u32_e32 vcc, v123, v156
	s_and_saveexec_b64 s[82:83], vcc
	s_cbranch_execz .LBB914_892
.LBB914_843:                            ;   in Loop: Header=BB914_728 Depth=2
	v_add_co_u32_e32 v32, vcc, 0x1000, v56
	v_addc_co_u32_e32 v33, vcc, 0, v57, vcc
	global_load_dwordx2 v[32:33], v[32:33], off offset:2048
	s_or_b64 exec, exec, s[82:83]
	v_cmp_lt_u32_e32 vcc, v124, v156
	s_and_saveexec_b64 s[82:83], vcc
	s_cbranch_execnz .LBB914_893
.LBB914_844:                            ;   in Loop: Header=BB914_728 Depth=2
	s_or_b64 exec, exec, s[82:83]
	v_cmp_lt_u32_e32 vcc, v125, v156
	s_and_saveexec_b64 s[82:83], vcc
	s_cbranch_execz .LBB914_894
.LBB914_845:                            ;   in Loop: Header=BB914_728 Depth=2
	v_add_co_u32_e32 v26, vcc, 0x1000, v56
	v_addc_co_u32_e32 v27, vcc, 0, v57, vcc
	global_load_dwordx2 v[26:27], v[26:27], off offset:3072
	s_or_b64 exec, exec, s[82:83]
	v_cmp_lt_u32_e32 vcc, v126, v156
	s_and_saveexec_b64 s[82:83], vcc
	s_cbranch_execnz .LBB914_895
.LBB914_846:                            ;   in Loop: Header=BB914_728 Depth=2
	s_or_b64 exec, exec, s[82:83]
	v_cmp_lt_u32_e32 vcc, v127, v156
	s_and_saveexec_b64 s[82:83], vcc
	s_cbranch_execz .LBB914_896
.LBB914_847:                            ;   in Loop: Header=BB914_728 Depth=2
	v_add_co_u32_e32 v0, vcc, 0x2000, v56
	v_addc_co_u32_e32 v1, vcc, 0, v57, vcc
	global_load_dwordx2 v[0:1], v[0:1], off
	s_or_b64 exec, exec, s[82:83]
	s_and_saveexec_b64 s[82:83], s[40:41]
	s_cbranch_execnz .LBB914_897
.LBB914_848:                            ;   in Loop: Header=BB914_728 Depth=2
	s_or_b64 exec, exec, s[82:83]
	s_and_saveexec_b64 s[82:83], s[42:43]
	s_cbranch_execz .LBB914_898
.LBB914_849:                            ;   in Loop: Header=BB914_728 Depth=2
	ds_read_u16 v56, v76 offset:512
	s_waitcnt lgkmcnt(0)
	v_lshrrev_b32_e32 v56, s89, v56
	v_and_b32_e32 v150, s6, v56
	s_or_b64 exec, exec, s[82:83]
	s_and_saveexec_b64 s[82:83], s[44:45]
	s_cbranch_execnz .LBB914_899
.LBB914_850:                            ;   in Loop: Header=BB914_728 Depth=2
	s_or_b64 exec, exec, s[82:83]
	s_and_saveexec_b64 s[82:83], s[46:47]
	s_cbranch_execz .LBB914_900
.LBB914_851:                            ;   in Loop: Header=BB914_728 Depth=2
	ds_read_u16 v56, v76 offset:1536
	s_waitcnt lgkmcnt(0)
	v_lshrrev_b32_e32 v56, s89, v56
	v_and_b32_e32 v147, s6, v56
	s_or_b64 exec, exec, s[82:83]
	s_and_saveexec_b64 s[82:83], s[48:49]
	s_cbranch_execnz .LBB914_901
.LBB914_852:                            ;   in Loop: Header=BB914_728 Depth=2
	s_or_b64 exec, exec, s[82:83]
	s_and_saveexec_b64 s[82:83], s[50:51]
	s_cbranch_execz .LBB914_902
.LBB914_853:                            ;   in Loop: Header=BB914_728 Depth=2
	ds_read_u16 v56, v76 offset:2560
	s_waitcnt lgkmcnt(0)
	v_lshrrev_b32_e32 v56, s89, v56
	v_and_b32_e32 v145, s6, v56
	s_or_b64 exec, exec, s[82:83]
	s_and_saveexec_b64 s[82:83], s[52:53]
	s_cbranch_execnz .LBB914_903
.LBB914_854:                            ;   in Loop: Header=BB914_728 Depth=2
	s_or_b64 exec, exec, s[82:83]
	s_and_saveexec_b64 s[82:83], s[54:55]
	s_cbranch_execz .LBB914_904
.LBB914_855:                            ;   in Loop: Header=BB914_728 Depth=2
	ds_read_u16 v56, v76 offset:3584
	s_waitcnt lgkmcnt(0)
	v_lshrrev_b32_e32 v56, s89, v56
	v_and_b32_e32 v143, s6, v56
	s_or_b64 exec, exec, s[82:83]
	s_and_saveexec_b64 s[82:83], s[56:57]
	s_cbranch_execnz .LBB914_905
.LBB914_856:                            ;   in Loop: Header=BB914_728 Depth=2
	s_or_b64 exec, exec, s[82:83]
	s_and_saveexec_b64 s[82:83], s[58:59]
	s_cbranch_execz .LBB914_906
.LBB914_857:                            ;   in Loop: Header=BB914_728 Depth=2
	ds_read_u16 v56, v76 offset:4608
	s_waitcnt lgkmcnt(0)
	v_lshrrev_b32_e32 v56, s89, v56
	v_and_b32_e32 v141, s6, v56
	s_or_b64 exec, exec, s[82:83]
	s_and_saveexec_b64 s[82:83], s[60:61]
	s_cbranch_execnz .LBB914_907
.LBB914_858:                            ;   in Loop: Header=BB914_728 Depth=2
	s_or_b64 exec, exec, s[82:83]
	s_and_saveexec_b64 s[82:83], s[62:63]
	s_cbranch_execz .LBB914_908
.LBB914_859:                            ;   in Loop: Header=BB914_728 Depth=2
	ds_read_u16 v56, v76 offset:5632
	s_waitcnt lgkmcnt(0)
	v_lshrrev_b32_e32 v56, s89, v56
	v_and_b32_e32 v139, s6, v56
	s_or_b64 exec, exec, s[82:83]
	s_and_saveexec_b64 s[82:83], s[64:65]
	s_cbranch_execnz .LBB914_909
.LBB914_860:                            ;   in Loop: Header=BB914_728 Depth=2
	s_or_b64 exec, exec, s[82:83]
	s_and_saveexec_b64 s[82:83], s[66:67]
	s_cbranch_execz .LBB914_910
.LBB914_861:                            ;   in Loop: Header=BB914_728 Depth=2
	ds_read_u16 v56, v76 offset:6656
	s_waitcnt lgkmcnt(0)
	v_lshrrev_b32_e32 v56, s89, v56
	v_and_b32_e32 v137, s6, v56
	s_or_b64 exec, exec, s[82:83]
	s_and_saveexec_b64 s[82:83], s[68:69]
	s_cbranch_execnz .LBB914_911
.LBB914_862:                            ;   in Loop: Header=BB914_728 Depth=2
	s_or_b64 exec, exec, s[82:83]
	s_and_saveexec_b64 s[82:83], s[70:71]
	s_cbranch_execz .LBB914_912
.LBB914_863:                            ;   in Loop: Header=BB914_728 Depth=2
	ds_read_u16 v56, v76 offset:7680
	s_waitcnt lgkmcnt(0)
	v_lshrrev_b32_e32 v56, s89, v56
	v_and_b32_e32 v135, s6, v56
	s_or_b64 exec, exec, s[82:83]
	s_and_saveexec_b64 s[82:83], s[72:73]
	s_cbranch_execnz .LBB914_913
	s_branch .LBB914_914
.LBB914_864:                            ;   in Loop: Header=BB914_728 Depth=2
	s_or_b64 exec, exec, s[42:43]
	v_cmp_lt_u32_e64 s[42:43], v7, v156
	s_and_saveexec_b64 s[44:45], s[42:43]
	s_cbranch_execz .LBB914_814
.LBB914_865:                            ;   in Loop: Header=BB914_728 Depth=2
	ds_read_u16 v56, v76 offset:512
	v_mov_b32_e32 v160, s79
	s_waitcnt lgkmcnt(0)
	v_lshrrev_b32_sdwa v57, s89, v56 dst_sel:DWORD dst_unused:UNUSED_PAD src0_sel:DWORD src1_sel:WORD_0
	v_and_b32_e32 v57, s6, v57
	v_lshlrev_b32_e32 v57, 2, v57
	ds_read_b32 v157, v57
	v_mov_b32_e32 v57, v4
	v_xor_b32_e32 v165, 0x7fff, v56
	s_waitcnt lgkmcnt(0)
	v_add_u32_e32 v56, v157, v7
	v_lshlrev_b64 v[56:57], 1, v[56:57]
	v_add_co_u32_e32 v56, vcc, s78, v56
	v_addc_co_u32_e32 v57, vcc, v160, v57, vcc
	global_store_short v[56:57], v165, off
	s_or_b64 exec, exec, s[44:45]
	v_cmp_lt_u32_e64 s[44:45], v13, v156
	s_and_saveexec_b64 s[46:47], s[44:45]
	s_cbranch_execnz .LBB914_815
.LBB914_866:                            ;   in Loop: Header=BB914_728 Depth=2
	s_or_b64 exec, exec, s[46:47]
	v_cmp_lt_u32_e64 s[46:47], v15, v156
	s_and_saveexec_b64 s[48:49], s[46:47]
	s_cbranch_execz .LBB914_816
.LBB914_867:                            ;   in Loop: Header=BB914_728 Depth=2
	ds_read_u16 v56, v76 offset:1536
	v_mov_b32_e32 v160, s79
	s_waitcnt lgkmcnt(0)
	v_lshrrev_b32_sdwa v57, s89, v56 dst_sel:DWORD dst_unused:UNUSED_PAD src0_sel:DWORD src1_sel:WORD_0
	v_and_b32_e32 v57, s6, v57
	v_lshlrev_b32_e32 v57, 2, v57
	ds_read_b32 v157, v57
	v_mov_b32_e32 v57, v4
	v_xor_b32_e32 v165, 0x7fff, v56
	s_waitcnt lgkmcnt(0)
	v_add_u32_e32 v56, v157, v15
	v_lshlrev_b64 v[56:57], 1, v[56:57]
	v_add_co_u32_e32 v56, vcc, s78, v56
	v_addc_co_u32_e32 v57, vcc, v160, v57, vcc
	global_store_short v[56:57], v165, off
	s_or_b64 exec, exec, s[48:49]
	v_cmp_lt_u32_e64 s[48:49], v17, v156
	s_and_saveexec_b64 s[50:51], s[48:49]
	s_cbranch_execnz .LBB914_817
.LBB914_868:                            ;   in Loop: Header=BB914_728 Depth=2
	s_or_b64 exec, exec, s[50:51]
	v_cmp_lt_u32_e64 s[50:51], v19, v156
	s_and_saveexec_b64 s[52:53], s[50:51]
	s_cbranch_execz .LBB914_818
.LBB914_869:                            ;   in Loop: Header=BB914_728 Depth=2
	ds_read_u16 v56, v76 offset:2560
	v_mov_b32_e32 v160, s79
	s_waitcnt lgkmcnt(0)
	v_lshrrev_b32_sdwa v57, s89, v56 dst_sel:DWORD dst_unused:UNUSED_PAD src0_sel:DWORD src1_sel:WORD_0
	v_and_b32_e32 v57, s6, v57
	v_lshlrev_b32_e32 v57, 2, v57
	ds_read_b32 v157, v57
	v_mov_b32_e32 v57, v4
	v_xor_b32_e32 v165, 0x7fff, v56
	s_waitcnt lgkmcnt(0)
	v_add_u32_e32 v56, v157, v19
	v_lshlrev_b64 v[56:57], 1, v[56:57]
	v_add_co_u32_e32 v56, vcc, s78, v56
	v_addc_co_u32_e32 v57, vcc, v160, v57, vcc
	global_store_short v[56:57], v165, off
	s_or_b64 exec, exec, s[52:53]
	v_cmp_lt_u32_e64 s[52:53], v21, v156
	s_and_saveexec_b64 s[54:55], s[52:53]
	s_cbranch_execnz .LBB914_819
.LBB914_870:                            ;   in Loop: Header=BB914_728 Depth=2
	s_or_b64 exec, exec, s[54:55]
	v_cmp_lt_u32_e64 s[54:55], v23, v156
	s_and_saveexec_b64 s[56:57], s[54:55]
	s_cbranch_execz .LBB914_820
.LBB914_871:                            ;   in Loop: Header=BB914_728 Depth=2
	ds_read_u16 v56, v76 offset:3584
	v_mov_b32_e32 v160, s79
	s_waitcnt lgkmcnt(0)
	v_lshrrev_b32_sdwa v57, s89, v56 dst_sel:DWORD dst_unused:UNUSED_PAD src0_sel:DWORD src1_sel:WORD_0
	v_and_b32_e32 v57, s6, v57
	v_lshlrev_b32_e32 v57, 2, v57
	ds_read_b32 v157, v57
	v_mov_b32_e32 v57, v4
	v_xor_b32_e32 v165, 0x7fff, v56
	s_waitcnt lgkmcnt(0)
	v_add_u32_e32 v56, v157, v23
	v_lshlrev_b64 v[56:57], 1, v[56:57]
	v_add_co_u32_e32 v56, vcc, s78, v56
	v_addc_co_u32_e32 v57, vcc, v160, v57, vcc
	global_store_short v[56:57], v165, off
	s_or_b64 exec, exec, s[56:57]
	v_cmp_lt_u32_e64 s[56:57], v6, v156
	s_and_saveexec_b64 s[58:59], s[56:57]
	s_cbranch_execnz .LBB914_821
.LBB914_872:                            ;   in Loop: Header=BB914_728 Depth=2
	s_or_b64 exec, exec, s[58:59]
	v_cmp_lt_u32_e64 s[58:59], v8, v156
	s_and_saveexec_b64 s[60:61], s[58:59]
	s_cbranch_execz .LBB914_822
.LBB914_873:                            ;   in Loop: Header=BB914_728 Depth=2
	ds_read_u16 v56, v76 offset:4608
	v_mov_b32_e32 v160, s79
	s_waitcnt lgkmcnt(0)
	v_lshrrev_b32_sdwa v57, s89, v56 dst_sel:DWORD dst_unused:UNUSED_PAD src0_sel:DWORD src1_sel:WORD_0
	v_and_b32_e32 v57, s6, v57
	v_lshlrev_b32_e32 v57, 2, v57
	ds_read_b32 v157, v57
	v_mov_b32_e32 v57, v4
	v_xor_b32_e32 v165, 0x7fff, v56
	s_waitcnt lgkmcnt(0)
	v_add_u32_e32 v56, v157, v8
	v_lshlrev_b64 v[56:57], 1, v[56:57]
	v_add_co_u32_e32 v56, vcc, s78, v56
	v_addc_co_u32_e32 v57, vcc, v160, v57, vcc
	global_store_short v[56:57], v165, off
	s_or_b64 exec, exec, s[60:61]
	v_cmp_lt_u32_e64 s[60:61], v10, v156
	s_and_saveexec_b64 s[62:63], s[60:61]
	s_cbranch_execnz .LBB914_823
.LBB914_874:                            ;   in Loop: Header=BB914_728 Depth=2
	s_or_b64 exec, exec, s[62:63]
	v_cmp_lt_u32_e64 s[62:63], v12, v156
	s_and_saveexec_b64 s[64:65], s[62:63]
	s_cbranch_execz .LBB914_824
.LBB914_875:                            ;   in Loop: Header=BB914_728 Depth=2
	ds_read_u16 v56, v76 offset:5632
	v_mov_b32_e32 v160, s79
	s_waitcnt lgkmcnt(0)
	v_lshrrev_b32_sdwa v57, s89, v56 dst_sel:DWORD dst_unused:UNUSED_PAD src0_sel:DWORD src1_sel:WORD_0
	v_and_b32_e32 v57, s6, v57
	v_lshlrev_b32_e32 v57, 2, v57
	ds_read_b32 v157, v57
	v_mov_b32_e32 v57, v4
	v_xor_b32_e32 v165, 0x7fff, v56
	s_waitcnt lgkmcnt(0)
	v_add_u32_e32 v56, v157, v12
	v_lshlrev_b64 v[56:57], 1, v[56:57]
	v_add_co_u32_e32 v56, vcc, s78, v56
	v_addc_co_u32_e32 v57, vcc, v160, v57, vcc
	global_store_short v[56:57], v165, off
	s_or_b64 exec, exec, s[64:65]
	v_cmp_lt_u32_e64 s[64:65], v14, v156
	s_and_saveexec_b64 s[66:67], s[64:65]
	s_cbranch_execnz .LBB914_825
.LBB914_876:                            ;   in Loop: Header=BB914_728 Depth=2
	s_or_b64 exec, exec, s[66:67]
	v_cmp_lt_u32_e64 s[66:67], v16, v156
	s_and_saveexec_b64 s[68:69], s[66:67]
	s_cbranch_execz .LBB914_826
.LBB914_877:                            ;   in Loop: Header=BB914_728 Depth=2
	ds_read_u16 v56, v76 offset:6656
	v_mov_b32_e32 v160, s79
	s_waitcnt lgkmcnt(0)
	v_lshrrev_b32_sdwa v57, s89, v56 dst_sel:DWORD dst_unused:UNUSED_PAD src0_sel:DWORD src1_sel:WORD_0
	v_and_b32_e32 v57, s6, v57
	v_lshlrev_b32_e32 v57, 2, v57
	ds_read_b32 v157, v57
	v_mov_b32_e32 v57, v4
	v_xor_b32_e32 v165, 0x7fff, v56
	s_waitcnt lgkmcnt(0)
	v_add_u32_e32 v56, v157, v16
	v_lshlrev_b64 v[56:57], 1, v[56:57]
	v_add_co_u32_e32 v56, vcc, s78, v56
	v_addc_co_u32_e32 v57, vcc, v160, v57, vcc
	global_store_short v[56:57], v165, off
	s_or_b64 exec, exec, s[68:69]
	v_cmp_lt_u32_e64 s[68:69], v18, v156
	s_and_saveexec_b64 s[70:71], s[68:69]
	s_cbranch_execnz .LBB914_827
.LBB914_878:                            ;   in Loop: Header=BB914_728 Depth=2
	s_or_b64 exec, exec, s[70:71]
	v_cmp_lt_u32_e64 s[70:71], v20, v156
	s_and_saveexec_b64 s[72:73], s[70:71]
	s_cbranch_execz .LBB914_828
.LBB914_879:                            ;   in Loop: Header=BB914_728 Depth=2
	ds_read_u16 v56, v76 offset:7680
	v_mov_b32_e32 v160, s79
	s_waitcnt lgkmcnt(0)
	v_lshrrev_b32_sdwa v57, s89, v56 dst_sel:DWORD dst_unused:UNUSED_PAD src0_sel:DWORD src1_sel:WORD_0
	v_and_b32_e32 v57, s6, v57
	v_lshlrev_b32_e32 v57, 2, v57
	ds_read_b32 v157, v57
	v_mov_b32_e32 v57, v4
	v_xor_b32_e32 v165, 0x7fff, v56
	s_waitcnt lgkmcnt(0)
	v_add_u32_e32 v56, v157, v20
	v_lshlrev_b64 v[56:57], 1, v[56:57]
	v_add_co_u32_e32 v56, vcc, s78, v56
	v_addc_co_u32_e32 v57, vcc, v160, v57, vcc
	global_store_short v[56:57], v165, off
	s_or_b64 exec, exec, s[72:73]
	v_cmp_lt_u32_e64 s[72:73], v22, v156
	s_and_saveexec_b64 s[82:83], s[72:73]
	s_cbranch_execnz .LBB914_829
	s_branch .LBB914_830
.LBB914_880:                            ;   in Loop: Header=BB914_728 Depth=2
	s_or_b64 exec, exec, s[82:83]
	v_cmp_lt_u32_e32 vcc, v112, v156
	s_and_saveexec_b64 s[82:83], vcc
	s_cbranch_execz .LBB914_832
.LBB914_881:                            ;   in Loop: Header=BB914_728 Depth=2
	global_load_dwordx2 v[52:53], v[56:57], off offset:512
	s_or_b64 exec, exec, s[82:83]
	v_cmp_lt_u32_e32 vcc, v113, v156
	s_and_saveexec_b64 s[82:83], vcc
	s_cbranch_execnz .LBB914_833
.LBB914_882:                            ;   in Loop: Header=BB914_728 Depth=2
	s_or_b64 exec, exec, s[82:83]
	v_cmp_lt_u32_e32 vcc, v114, v156
	s_and_saveexec_b64 s[82:83], vcc
	s_cbranch_execz .LBB914_834
.LBB914_883:                            ;   in Loop: Header=BB914_728 Depth=2
	global_load_dwordx2 v[46:47], v[56:57], off offset:1536
	s_or_b64 exec, exec, s[82:83]
	v_cmp_lt_u32_e32 vcc, v115, v156
	s_and_saveexec_b64 s[82:83], vcc
	s_cbranch_execnz .LBB914_835
.LBB914_884:                            ;   in Loop: Header=BB914_728 Depth=2
	s_or_b64 exec, exec, s[82:83]
	v_cmp_lt_u32_e32 vcc, v116, v156
	s_and_saveexec_b64 s[82:83], vcc
	s_cbranch_execz .LBB914_836
.LBB914_885:                            ;   in Loop: Header=BB914_728 Depth=2
	global_load_dwordx2 v[38:39], v[56:57], off offset:2560
	s_or_b64 exec, exec, s[82:83]
	v_cmp_lt_u32_e32 vcc, v117, v156
	s_and_saveexec_b64 s[82:83], vcc
	s_cbranch_execnz .LBB914_837
.LBB914_886:                            ;   in Loop: Header=BB914_728 Depth=2
	s_or_b64 exec, exec, s[82:83]
	v_cmp_lt_u32_e32 vcc, v118, v156
	s_and_saveexec_b64 s[82:83], vcc
	s_cbranch_execz .LBB914_838
.LBB914_887:                            ;   in Loop: Header=BB914_728 Depth=2
	global_load_dwordx2 v[30:31], v[56:57], off offset:3584
	s_or_b64 exec, exec, s[82:83]
	v_cmp_lt_u32_e32 vcc, v119, v156
	s_and_saveexec_b64 s[82:83], vcc
	s_cbranch_execnz .LBB914_839
.LBB914_888:                            ;   in Loop: Header=BB914_728 Depth=2
	s_or_b64 exec, exec, s[82:83]
	v_cmp_lt_u32_e32 vcc, v120, v156
	s_and_saveexec_b64 s[82:83], vcc
	s_cbranch_execz .LBB914_840
.LBB914_889:                            ;   in Loop: Header=BB914_728 Depth=2
	v_add_co_u32_e32 v44, vcc, 0x1000, v56
	v_addc_co_u32_e32 v45, vcc, 0, v57, vcc
	global_load_dwordx2 v[44:45], v[44:45], off offset:512
	s_or_b64 exec, exec, s[82:83]
	v_cmp_lt_u32_e32 vcc, v121, v156
	s_and_saveexec_b64 s[82:83], vcc
	s_cbranch_execnz .LBB914_841
.LBB914_890:                            ;   in Loop: Header=BB914_728 Depth=2
	s_or_b64 exec, exec, s[82:83]
	v_cmp_lt_u32_e32 vcc, v122, v156
	s_and_saveexec_b64 s[82:83], vcc
	s_cbranch_execz .LBB914_842
.LBB914_891:                            ;   in Loop: Header=BB914_728 Depth=2
	v_add_co_u32_e32 v36, vcc, 0x1000, v56
	v_addc_co_u32_e32 v37, vcc, 0, v57, vcc
	global_load_dwordx2 v[36:37], v[36:37], off offset:1536
	s_or_b64 exec, exec, s[82:83]
	v_cmp_lt_u32_e32 vcc, v123, v156
	s_and_saveexec_b64 s[82:83], vcc
	s_cbranch_execnz .LBB914_843
.LBB914_892:                            ;   in Loop: Header=BB914_728 Depth=2
	s_or_b64 exec, exec, s[82:83]
	v_cmp_lt_u32_e32 vcc, v124, v156
	s_and_saveexec_b64 s[82:83], vcc
	s_cbranch_execz .LBB914_844
.LBB914_893:                            ;   in Loop: Header=BB914_728 Depth=2
	v_add_co_u32_e32 v28, vcc, 0x1000, v56
	v_addc_co_u32_e32 v29, vcc, 0, v57, vcc
	global_load_dwordx2 v[28:29], v[28:29], off offset:2560
	s_or_b64 exec, exec, s[82:83]
	v_cmp_lt_u32_e32 vcc, v125, v156
	s_and_saveexec_b64 s[82:83], vcc
	s_cbranch_execnz .LBB914_845
.LBB914_894:                            ;   in Loop: Header=BB914_728 Depth=2
	s_or_b64 exec, exec, s[82:83]
	v_cmp_lt_u32_e32 vcc, v126, v156
	s_and_saveexec_b64 s[82:83], vcc
	s_cbranch_execz .LBB914_846
.LBB914_895:                            ;   in Loop: Header=BB914_728 Depth=2
	v_add_co_u32_e32 v24, vcc, 0x1000, v56
	v_addc_co_u32_e32 v25, vcc, 0, v57, vcc
	global_load_dwordx2 v[24:25], v[24:25], off offset:3584
	s_or_b64 exec, exec, s[82:83]
	v_cmp_lt_u32_e32 vcc, v127, v156
	s_and_saveexec_b64 s[82:83], vcc
	s_cbranch_execnz .LBB914_847
.LBB914_896:                            ;   in Loop: Header=BB914_728 Depth=2
	s_or_b64 exec, exec, s[82:83]
	s_and_saveexec_b64 s[82:83], s[40:41]
	s_cbranch_execz .LBB914_848
.LBB914_897:                            ;   in Loop: Header=BB914_728 Depth=2
	v_add_u32_e32 v56, v70, v75
	ds_read_u16 v56, v56 offset:512
	s_waitcnt lgkmcnt(0)
	v_lshrrev_b32_e32 v56, s89, v56
	v_and_b32_e32 v152, s6, v56
	s_or_b64 exec, exec, s[82:83]
	s_and_saveexec_b64 s[82:83], s[42:43]
	s_cbranch_execnz .LBB914_849
.LBB914_898:                            ;   in Loop: Header=BB914_728 Depth=2
	s_or_b64 exec, exec, s[82:83]
	s_and_saveexec_b64 s[82:83], s[44:45]
	s_cbranch_execz .LBB914_850
.LBB914_899:                            ;   in Loop: Header=BB914_728 Depth=2
	ds_read_u16 v56, v76 offset:1024
	s_waitcnt lgkmcnt(0)
	v_lshrrev_b32_e32 v56, s89, v56
	v_and_b32_e32 v149, s6, v56
	s_or_b64 exec, exec, s[82:83]
	s_and_saveexec_b64 s[82:83], s[46:47]
	s_cbranch_execnz .LBB914_851
.LBB914_900:                            ;   in Loop: Header=BB914_728 Depth=2
	s_or_b64 exec, exec, s[82:83]
	s_and_saveexec_b64 s[82:83], s[48:49]
	s_cbranch_execz .LBB914_852
.LBB914_901:                            ;   in Loop: Header=BB914_728 Depth=2
	ds_read_u16 v56, v76 offset:2048
	s_waitcnt lgkmcnt(0)
	v_lshrrev_b32_e32 v56, s89, v56
	v_and_b32_e32 v146, s6, v56
	s_or_b64 exec, exec, s[82:83]
	s_and_saveexec_b64 s[82:83], s[50:51]
	s_cbranch_execnz .LBB914_853
.LBB914_902:                            ;   in Loop: Header=BB914_728 Depth=2
	s_or_b64 exec, exec, s[82:83]
	s_and_saveexec_b64 s[82:83], s[52:53]
	s_cbranch_execz .LBB914_854
.LBB914_903:                            ;   in Loop: Header=BB914_728 Depth=2
	ds_read_u16 v56, v76 offset:3072
	s_waitcnt lgkmcnt(0)
	v_lshrrev_b32_e32 v56, s89, v56
	v_and_b32_e32 v144, s6, v56
	s_or_b64 exec, exec, s[82:83]
	s_and_saveexec_b64 s[82:83], s[54:55]
	s_cbranch_execnz .LBB914_855
.LBB914_904:                            ;   in Loop: Header=BB914_728 Depth=2
	s_or_b64 exec, exec, s[82:83]
	s_and_saveexec_b64 s[82:83], s[56:57]
	s_cbranch_execz .LBB914_856
.LBB914_905:                            ;   in Loop: Header=BB914_728 Depth=2
	ds_read_u16 v56, v76 offset:4096
	s_waitcnt lgkmcnt(0)
	v_lshrrev_b32_e32 v56, s89, v56
	v_and_b32_e32 v142, s6, v56
	s_or_b64 exec, exec, s[82:83]
	s_and_saveexec_b64 s[82:83], s[58:59]
	s_cbranch_execnz .LBB914_857
.LBB914_906:                            ;   in Loop: Header=BB914_728 Depth=2
	s_or_b64 exec, exec, s[82:83]
	s_and_saveexec_b64 s[82:83], s[60:61]
	s_cbranch_execz .LBB914_858
.LBB914_907:                            ;   in Loop: Header=BB914_728 Depth=2
	ds_read_u16 v56, v76 offset:5120
	s_waitcnt lgkmcnt(0)
	v_lshrrev_b32_e32 v56, s89, v56
	v_and_b32_e32 v140, s6, v56
	s_or_b64 exec, exec, s[82:83]
	s_and_saveexec_b64 s[82:83], s[62:63]
	s_cbranch_execnz .LBB914_859
.LBB914_908:                            ;   in Loop: Header=BB914_728 Depth=2
	s_or_b64 exec, exec, s[82:83]
	s_and_saveexec_b64 s[82:83], s[64:65]
	s_cbranch_execz .LBB914_860
.LBB914_909:                            ;   in Loop: Header=BB914_728 Depth=2
	ds_read_u16 v56, v76 offset:6144
	s_waitcnt lgkmcnt(0)
	v_lshrrev_b32_e32 v56, s89, v56
	v_and_b32_e32 v138, s6, v56
	s_or_b64 exec, exec, s[82:83]
	s_and_saveexec_b64 s[82:83], s[66:67]
	s_cbranch_execnz .LBB914_861
.LBB914_910:                            ;   in Loop: Header=BB914_728 Depth=2
	s_or_b64 exec, exec, s[82:83]
	s_and_saveexec_b64 s[82:83], s[68:69]
	s_cbranch_execz .LBB914_862
.LBB914_911:                            ;   in Loop: Header=BB914_728 Depth=2
	ds_read_u16 v56, v76 offset:7168
	s_waitcnt lgkmcnt(0)
	v_lshrrev_b32_e32 v56, s89, v56
	v_and_b32_e32 v136, s6, v56
	s_or_b64 exec, exec, s[82:83]
	s_and_saveexec_b64 s[82:83], s[70:71]
	s_cbranch_execnz .LBB914_863
.LBB914_912:                            ;   in Loop: Header=BB914_728 Depth=2
	s_or_b64 exec, exec, s[82:83]
	s_and_saveexec_b64 s[82:83], s[72:73]
	s_cbranch_execz .LBB914_914
.LBB914_913:                            ;   in Loop: Header=BB914_728 Depth=2
	ds_read_u16 v56, v76 offset:8192
	s_waitcnt lgkmcnt(0)
	v_lshrrev_b32_e32 v56, s89, v56
	v_and_b32_e32 v134, s6, v56
.LBB914_914:                            ;   in Loop: Header=BB914_728 Depth=2
	s_or_b64 exec, exec, s[82:83]
	v_lshlrev_b32_e32 v56, 3, v179
	s_barrier
	s_waitcnt vmcnt(0)
	ds_write_b64 v56, v[54:55] offset:512
	v_lshlrev_b32_e32 v56, 3, v175
	ds_write_b64 v56, v[52:53] offset:512
	v_lshlrev_b32_e32 v56, 3, v174
	;; [unrolled: 2-line block ×15, first 2 shown]
	v_lshlrev_b32_e32 v5, 3, v5
	ds_write_b64 v56, v[24:25] offset:512
	ds_write_b64 v5, v[0:1] offset:512
	s_waitcnt lgkmcnt(0)
	s_barrier
	s_and_saveexec_b64 s[82:83], s[40:41]
	s_cbranch_execz .LBB914_934
; %bb.915:                              ;   in Loop: Header=BB914_728 Depth=2
	v_lshlrev_b32_e32 v5, 2, v152
	ds_read_b32 v5, v5
	ds_read_b64 v[56:57], v68 offset:512
	v_mov_b32_e32 v157, v4
	v_mov_b32_e32 v158, s85
	s_waitcnt lgkmcnt(1)
	v_add_u32_e32 v156, v5, v2
	v_lshlrev_b64 v[156:157], 3, v[156:157]
	v_add_co_u32_e32 v156, vcc, s84, v156
	v_addc_co_u32_e32 v157, vcc, v158, v157, vcc
	s_waitcnt lgkmcnt(0)
	global_store_dwordx2 v[156:157], v[56:57], off
	s_or_b64 exec, exec, s[82:83]
	s_and_saveexec_b64 s[40:41], s[42:43]
	s_cbranch_execnz .LBB914_935
.LBB914_916:                            ;   in Loop: Header=BB914_728 Depth=2
	s_or_b64 exec, exec, s[40:41]
	s_and_saveexec_b64 s[40:41], s[44:45]
	s_cbranch_execz .LBB914_936
.LBB914_917:                            ;   in Loop: Header=BB914_728 Depth=2
	v_lshlrev_b32_e32 v5, 2, v149
	ds_read_b32 v5, v5
	v_add_u32_e32 v56, v76, v77
	ds_read_b64 v[56:57], v56 offset:4096
	v_mov_b32_e32 v157, v4
	v_mov_b32_e32 v158, s85
	s_waitcnt lgkmcnt(1)
	v_add_u32_e32 v156, v5, v13
	v_lshlrev_b64 v[156:157], 3, v[156:157]
	v_add_co_u32_e32 v156, vcc, s84, v156
	v_addc_co_u32_e32 v157, vcc, v158, v157, vcc
	s_waitcnt lgkmcnt(0)
	global_store_dwordx2 v[156:157], v[56:57], off
	s_or_b64 exec, exec, s[40:41]
	s_and_saveexec_b64 s[40:41], s[46:47]
	s_cbranch_execnz .LBB914_937
.LBB914_918:                            ;   in Loop: Header=BB914_728 Depth=2
	s_or_b64 exec, exec, s[40:41]
	s_and_saveexec_b64 s[40:41], s[48:49]
	s_cbranch_execz .LBB914_938
.LBB914_919:                            ;   in Loop: Header=BB914_728 Depth=2
	v_lshlrev_b32_e32 v5, 2, v146
	ds_read_b32 v5, v5
	v_add_u32_e32 v56, v76, v77
	ds_read_b64 v[56:57], v56 offset:8192
	v_mov_b32_e32 v157, v4
	v_mov_b32_e32 v158, s85
	s_waitcnt lgkmcnt(1)
	v_add_u32_e32 v156, v5, v17
	v_lshlrev_b64 v[156:157], 3, v[156:157]
	v_add_co_u32_e32 v156, vcc, s84, v156
	v_addc_co_u32_e32 v157, vcc, v158, v157, vcc
	s_waitcnt lgkmcnt(0)
	global_store_dwordx2 v[156:157], v[56:57], off
	s_or_b64 exec, exec, s[40:41]
	s_and_saveexec_b64 s[40:41], s[50:51]
	s_cbranch_execnz .LBB914_939
.LBB914_920:                            ;   in Loop: Header=BB914_728 Depth=2
	s_or_b64 exec, exec, s[40:41]
	s_and_saveexec_b64 s[40:41], s[52:53]
	s_cbranch_execz .LBB914_940
.LBB914_921:                            ;   in Loop: Header=BB914_728 Depth=2
	v_lshlrev_b32_e32 v5, 2, v144
	ds_read_b32 v5, v5
	v_add_u32_e32 v56, v76, v77
	ds_read_b64 v[56:57], v56 offset:12288
	v_mov_b32_e32 v157, v4
	v_mov_b32_e32 v158, s85
	s_waitcnt lgkmcnt(1)
	v_add_u32_e32 v156, v5, v21
	v_lshlrev_b64 v[156:157], 3, v[156:157]
	v_add_co_u32_e32 v156, vcc, s84, v156
	v_addc_co_u32_e32 v157, vcc, v158, v157, vcc
	s_waitcnt lgkmcnt(0)
	global_store_dwordx2 v[156:157], v[56:57], off
	s_or_b64 exec, exec, s[40:41]
	s_and_saveexec_b64 s[40:41], s[54:55]
	s_cbranch_execnz .LBB914_941
.LBB914_922:                            ;   in Loop: Header=BB914_728 Depth=2
	s_or_b64 exec, exec, s[40:41]
	s_and_saveexec_b64 s[40:41], s[56:57]
	s_cbranch_execz .LBB914_942
.LBB914_923:                            ;   in Loop: Header=BB914_728 Depth=2
	v_lshlrev_b32_e32 v5, 2, v142
	ds_read_b32 v5, v5
	v_add_u32_e32 v56, v76, v77
	ds_read_b64 v[56:57], v56 offset:16384
	v_mov_b32_e32 v157, v4
	v_mov_b32_e32 v158, s85
	s_waitcnt lgkmcnt(1)
	v_add_u32_e32 v156, v5, v6
	v_lshlrev_b64 v[156:157], 3, v[156:157]
	v_add_co_u32_e32 v156, vcc, s84, v156
	v_addc_co_u32_e32 v157, vcc, v158, v157, vcc
	s_waitcnt lgkmcnt(0)
	global_store_dwordx2 v[156:157], v[56:57], off
	s_or_b64 exec, exec, s[40:41]
	s_and_saveexec_b64 s[40:41], s[58:59]
	s_cbranch_execnz .LBB914_943
.LBB914_924:                            ;   in Loop: Header=BB914_728 Depth=2
	s_or_b64 exec, exec, s[40:41]
	s_and_saveexec_b64 s[40:41], s[60:61]
	s_cbranch_execz .LBB914_944
.LBB914_925:                            ;   in Loop: Header=BB914_728 Depth=2
	v_lshlrev_b32_e32 v5, 2, v140
	ds_read_b32 v5, v5
	v_add_u32_e32 v56, v76, v77
	ds_read_b64 v[56:57], v56 offset:20480
	v_mov_b32_e32 v157, v4
	v_mov_b32_e32 v158, s85
	s_waitcnt lgkmcnt(1)
	v_add_u32_e32 v156, v5, v10
	v_lshlrev_b64 v[156:157], 3, v[156:157]
	v_add_co_u32_e32 v156, vcc, s84, v156
	v_addc_co_u32_e32 v157, vcc, v158, v157, vcc
	s_waitcnt lgkmcnt(0)
	global_store_dwordx2 v[156:157], v[56:57], off
	s_or_b64 exec, exec, s[40:41]
	s_and_saveexec_b64 s[40:41], s[62:63]
	s_cbranch_execnz .LBB914_945
.LBB914_926:                            ;   in Loop: Header=BB914_728 Depth=2
	s_or_b64 exec, exec, s[40:41]
	s_and_saveexec_b64 s[40:41], s[64:65]
	s_cbranch_execz .LBB914_946
.LBB914_927:                            ;   in Loop: Header=BB914_728 Depth=2
	v_lshlrev_b32_e32 v5, 2, v138
	ds_read_b32 v5, v5
	v_add_u32_e32 v56, v76, v77
	ds_read_b64 v[56:57], v56 offset:24576
	v_mov_b32_e32 v157, v4
	v_mov_b32_e32 v158, s85
	s_waitcnt lgkmcnt(1)
	v_add_u32_e32 v156, v5, v14
	v_lshlrev_b64 v[156:157], 3, v[156:157]
	v_add_co_u32_e32 v156, vcc, s84, v156
	v_addc_co_u32_e32 v157, vcc, v158, v157, vcc
	s_waitcnt lgkmcnt(0)
	global_store_dwordx2 v[156:157], v[56:57], off
	s_or_b64 exec, exec, s[40:41]
	s_and_saveexec_b64 s[40:41], s[66:67]
	s_cbranch_execnz .LBB914_947
.LBB914_928:                            ;   in Loop: Header=BB914_728 Depth=2
	s_or_b64 exec, exec, s[40:41]
	s_and_saveexec_b64 s[40:41], s[68:69]
	s_cbranch_execz .LBB914_948
.LBB914_929:                            ;   in Loop: Header=BB914_728 Depth=2
	v_lshlrev_b32_e32 v5, 2, v136
	ds_read_b32 v5, v5
	v_add_u32_e32 v56, v76, v77
	ds_read_b64 v[56:57], v56 offset:28672
	v_mov_b32_e32 v157, v4
	v_mov_b32_e32 v158, s85
	s_waitcnt lgkmcnt(1)
	v_add_u32_e32 v156, v5, v18
	v_lshlrev_b64 v[156:157], 3, v[156:157]
	v_add_co_u32_e32 v156, vcc, s84, v156
	v_addc_co_u32_e32 v157, vcc, v158, v157, vcc
	s_waitcnt lgkmcnt(0)
	global_store_dwordx2 v[156:157], v[56:57], off
	s_or_b64 exec, exec, s[40:41]
	s_and_saveexec_b64 s[40:41], s[70:71]
	s_cbranch_execnz .LBB914_949
.LBB914_930:                            ;   in Loop: Header=BB914_728 Depth=2
	s_or_b64 exec, exec, s[40:41]
	s_and_saveexec_b64 s[40:41], s[72:73]
	s_cbranch_execz .LBB914_932
.LBB914_931:                            ;   in Loop: Header=BB914_728 Depth=2
	v_lshlrev_b32_e32 v5, 2, v134
	ds_read_b32 v5, v5
	v_add_u32_e32 v56, v76, v77
	ds_read_b64 v[56:57], v56 offset:32768
	v_mov_b32_e32 v157, v4
	v_mov_b32_e32 v158, s85
	s_waitcnt lgkmcnt(1)
	v_add_u32_e32 v156, v5, v22
	v_lshlrev_b64 v[156:157], 3, v[156:157]
	v_add_co_u32_e32 v156, vcc, s84, v156
	v_addc_co_u32_e32 v157, vcc, v158, v157, vcc
	s_waitcnt lgkmcnt(0)
	global_store_dwordx2 v[156:157], v[56:57], off
.LBB914_932:                            ;   in Loop: Header=BB914_728 Depth=2
	s_or_b64 exec, exec, s[40:41]
	s_barrier
	s_and_saveexec_b64 s[40:41], s[4:5]
	s_cbranch_execz .LBB914_727
; %bb.933:                              ;   in Loop: Header=BB914_728 Depth=2
	ds_read_b32 v5, v3
	s_waitcnt lgkmcnt(0)
	v_add3_u32 v5, v154, v155, v5
	ds_write_b32 v3, v5
	s_branch .LBB914_727
.LBB914_934:                            ;   in Loop: Header=BB914_728 Depth=2
	s_or_b64 exec, exec, s[82:83]
	s_and_saveexec_b64 s[40:41], s[42:43]
	s_cbranch_execz .LBB914_916
.LBB914_935:                            ;   in Loop: Header=BB914_728 Depth=2
	v_lshlrev_b32_e32 v5, 2, v150
	ds_read_b32 v5, v5
	v_add_u32_e32 v56, v76, v77
	ds_read_b64 v[56:57], v56 offset:2048
	v_mov_b32_e32 v157, v4
	v_mov_b32_e32 v158, s85
	s_waitcnt lgkmcnt(1)
	v_add_u32_e32 v156, v5, v7
	v_lshlrev_b64 v[156:157], 3, v[156:157]
	v_add_co_u32_e32 v156, vcc, s84, v156
	v_addc_co_u32_e32 v157, vcc, v158, v157, vcc
	s_waitcnt lgkmcnt(0)
	global_store_dwordx2 v[156:157], v[56:57], off
	s_or_b64 exec, exec, s[40:41]
	s_and_saveexec_b64 s[40:41], s[44:45]
	s_cbranch_execnz .LBB914_917
.LBB914_936:                            ;   in Loop: Header=BB914_728 Depth=2
	s_or_b64 exec, exec, s[40:41]
	s_and_saveexec_b64 s[40:41], s[46:47]
	s_cbranch_execz .LBB914_918
.LBB914_937:                            ;   in Loop: Header=BB914_728 Depth=2
	v_lshlrev_b32_e32 v5, 2, v147
	ds_read_b32 v5, v5
	v_add_u32_e32 v56, v76, v77
	ds_read_b64 v[56:57], v56 offset:6144
	v_mov_b32_e32 v157, v4
	v_mov_b32_e32 v158, s85
	s_waitcnt lgkmcnt(1)
	v_add_u32_e32 v156, v5, v15
	v_lshlrev_b64 v[156:157], 3, v[156:157]
	v_add_co_u32_e32 v156, vcc, s84, v156
	v_addc_co_u32_e32 v157, vcc, v158, v157, vcc
	s_waitcnt lgkmcnt(0)
	global_store_dwordx2 v[156:157], v[56:57], off
	s_or_b64 exec, exec, s[40:41]
	s_and_saveexec_b64 s[40:41], s[48:49]
	s_cbranch_execnz .LBB914_919
.LBB914_938:                            ;   in Loop: Header=BB914_728 Depth=2
	s_or_b64 exec, exec, s[40:41]
	s_and_saveexec_b64 s[40:41], s[50:51]
	s_cbranch_execz .LBB914_920
.LBB914_939:                            ;   in Loop: Header=BB914_728 Depth=2
	v_lshlrev_b32_e32 v5, 2, v145
	ds_read_b32 v5, v5
	v_add_u32_e32 v56, v76, v77
	ds_read_b64 v[56:57], v56 offset:10240
	v_mov_b32_e32 v157, v4
	v_mov_b32_e32 v158, s85
	s_waitcnt lgkmcnt(1)
	v_add_u32_e32 v156, v5, v19
	v_lshlrev_b64 v[156:157], 3, v[156:157]
	v_add_co_u32_e32 v156, vcc, s84, v156
	v_addc_co_u32_e32 v157, vcc, v158, v157, vcc
	s_waitcnt lgkmcnt(0)
	global_store_dwordx2 v[156:157], v[56:57], off
	s_or_b64 exec, exec, s[40:41]
	s_and_saveexec_b64 s[40:41], s[52:53]
	s_cbranch_execnz .LBB914_921
.LBB914_940:                            ;   in Loop: Header=BB914_728 Depth=2
	s_or_b64 exec, exec, s[40:41]
	s_and_saveexec_b64 s[40:41], s[54:55]
	s_cbranch_execz .LBB914_922
.LBB914_941:                            ;   in Loop: Header=BB914_728 Depth=2
	v_lshlrev_b32_e32 v5, 2, v143
	ds_read_b32 v5, v5
	v_add_u32_e32 v56, v76, v77
	ds_read_b64 v[56:57], v56 offset:14336
	v_mov_b32_e32 v157, v4
	v_mov_b32_e32 v158, s85
	s_waitcnt lgkmcnt(1)
	v_add_u32_e32 v156, v5, v23
	v_lshlrev_b64 v[156:157], 3, v[156:157]
	v_add_co_u32_e32 v156, vcc, s84, v156
	v_addc_co_u32_e32 v157, vcc, v158, v157, vcc
	s_waitcnt lgkmcnt(0)
	global_store_dwordx2 v[156:157], v[56:57], off
	s_or_b64 exec, exec, s[40:41]
	s_and_saveexec_b64 s[40:41], s[56:57]
	s_cbranch_execnz .LBB914_923
.LBB914_942:                            ;   in Loop: Header=BB914_728 Depth=2
	s_or_b64 exec, exec, s[40:41]
	s_and_saveexec_b64 s[40:41], s[58:59]
	s_cbranch_execz .LBB914_924
.LBB914_943:                            ;   in Loop: Header=BB914_728 Depth=2
	v_lshlrev_b32_e32 v5, 2, v141
	ds_read_b32 v5, v5
	v_add_u32_e32 v56, v76, v77
	ds_read_b64 v[56:57], v56 offset:18432
	v_mov_b32_e32 v157, v4
	v_mov_b32_e32 v158, s85
	s_waitcnt lgkmcnt(1)
	v_add_u32_e32 v156, v5, v8
	v_lshlrev_b64 v[156:157], 3, v[156:157]
	v_add_co_u32_e32 v156, vcc, s84, v156
	v_addc_co_u32_e32 v157, vcc, v158, v157, vcc
	s_waitcnt lgkmcnt(0)
	global_store_dwordx2 v[156:157], v[56:57], off
	s_or_b64 exec, exec, s[40:41]
	s_and_saveexec_b64 s[40:41], s[60:61]
	s_cbranch_execnz .LBB914_925
.LBB914_944:                            ;   in Loop: Header=BB914_728 Depth=2
	s_or_b64 exec, exec, s[40:41]
	s_and_saveexec_b64 s[40:41], s[62:63]
	s_cbranch_execz .LBB914_926
.LBB914_945:                            ;   in Loop: Header=BB914_728 Depth=2
	v_lshlrev_b32_e32 v5, 2, v139
	ds_read_b32 v5, v5
	v_add_u32_e32 v56, v76, v77
	ds_read_b64 v[56:57], v56 offset:22528
	v_mov_b32_e32 v157, v4
	v_mov_b32_e32 v158, s85
	s_waitcnt lgkmcnt(1)
	v_add_u32_e32 v156, v5, v12
	v_lshlrev_b64 v[156:157], 3, v[156:157]
	v_add_co_u32_e32 v156, vcc, s84, v156
	v_addc_co_u32_e32 v157, vcc, v158, v157, vcc
	s_waitcnt lgkmcnt(0)
	global_store_dwordx2 v[156:157], v[56:57], off
	s_or_b64 exec, exec, s[40:41]
	s_and_saveexec_b64 s[40:41], s[64:65]
	s_cbranch_execnz .LBB914_927
.LBB914_946:                            ;   in Loop: Header=BB914_728 Depth=2
	s_or_b64 exec, exec, s[40:41]
	s_and_saveexec_b64 s[40:41], s[66:67]
	s_cbranch_execz .LBB914_928
.LBB914_947:                            ;   in Loop: Header=BB914_728 Depth=2
	v_lshlrev_b32_e32 v5, 2, v137
	ds_read_b32 v5, v5
	v_add_u32_e32 v56, v76, v77
	ds_read_b64 v[56:57], v56 offset:26624
	v_mov_b32_e32 v157, v4
	v_mov_b32_e32 v158, s85
	s_waitcnt lgkmcnt(1)
	v_add_u32_e32 v156, v5, v16
	v_lshlrev_b64 v[156:157], 3, v[156:157]
	v_add_co_u32_e32 v156, vcc, s84, v156
	v_addc_co_u32_e32 v157, vcc, v158, v157, vcc
	s_waitcnt lgkmcnt(0)
	global_store_dwordx2 v[156:157], v[56:57], off
	s_or_b64 exec, exec, s[40:41]
	s_and_saveexec_b64 s[40:41], s[68:69]
	s_cbranch_execnz .LBB914_929
.LBB914_948:                            ;   in Loop: Header=BB914_728 Depth=2
	s_or_b64 exec, exec, s[40:41]
	s_and_saveexec_b64 s[40:41], s[70:71]
	s_cbranch_execz .LBB914_930
.LBB914_949:                            ;   in Loop: Header=BB914_728 Depth=2
	v_lshlrev_b32_e32 v5, 2, v135
	ds_read_b32 v5, v5
	v_add_u32_e32 v56, v76, v77
	ds_read_b64 v[56:57], v56 offset:30720
	v_mov_b32_e32 v157, v4
	v_mov_b32_e32 v158, s85
	s_waitcnt lgkmcnt(1)
	v_add_u32_e32 v156, v5, v20
	v_lshlrev_b64 v[156:157], 3, v[156:157]
	v_add_co_u32_e32 v156, vcc, s84, v156
	v_addc_co_u32_e32 v157, vcc, v158, v157, vcc
	s_waitcnt lgkmcnt(0)
	global_store_dwordx2 v[156:157], v[56:57], off
	s_or_b64 exec, exec, s[40:41]
	s_and_saveexec_b64 s[40:41], s[72:73]
	s_cbranch_execnz .LBB914_931
	s_branch .LBB914_932
.LBB914_950:                            ;   in Loop: Header=BB914_12 Depth=1
	s_waitcnt lgkmcnt(0)
	s_barrier
	s_mov_b64 s[20:21], 0
.LBB914_951:                            ;   in Loop: Header=BB914_12 Depth=1
	s_and_b64 vcc, exec, s[20:21]
	s_cbranch_vccz .LBB914_11
; %bb.952:                              ;   in Loop: Header=BB914_12 Depth=1
	s_mov_b32 s7, s91
	s_mov_b32 s94, s75
	s_barrier
	s_waitcnt lgkmcnt(0)
                                        ; implicit-def: $vgpr39
                                        ; implicit-def: $vgpr5
                                        ; implicit-def: $vgpr24
                                        ; implicit-def: $vgpr25
                                        ; implicit-def: $vgpr26
                                        ; implicit-def: $vgpr27
                                        ; implicit-def: $vgpr28
                                        ; implicit-def: $vgpr29
                                        ; implicit-def: $vgpr30
                                        ; implicit-def: $vgpr31
                                        ; implicit-def: $vgpr32
                                        ; implicit-def: $vgpr33
                                        ; implicit-def: $vgpr34
                                        ; implicit-def: $vgpr35
                                        ; implicit-def: $vgpr36
                                        ; implicit-def: $vgpr37
                                        ; implicit-def: $vgpr38
	s_branch .LBB914_954
.LBB914_953:                            ;   in Loop: Header=BB914_954 Depth=2
	s_or_b64 exec, exec, s[20:21]
	s_addk_i32 s7, 0xef00
	s_cmp_ge_u32 s8, s98
	s_mov_b32 s94, s8
	s_cbranch_scc1 .LBB914_1028
.LBB914_954:                            ;   Parent Loop BB914_12 Depth=1
                                        ; =>  This Inner Loop Header: Depth=2
	s_add_i32 s8, s94, 0x1100
	s_cmp_gt_u32 s8, s98
	s_cbranch_scc1 .LBB914_957
; %bb.955:                              ;   in Loop: Header=BB914_954 Depth=2
	s_lshl_b64 s[20:21], s[94:95], 1
	v_mov_b32_e32 v1, s21
	v_add_co_u32_e32 v0, vcc, s20, v84
	v_addc_co_u32_e32 v1, vcc, v85, v1, vcc
	s_waitcnt vmcnt(0)
	v_add_co_u32_e32 v56, vcc, s88, v0
	v_addc_co_u32_e32 v57, vcc, 0, v1, vcc
	global_load_ushort v41, v[0:1], off
	global_load_ushort v42, v[0:1], off offset:512
	global_load_ushort v43, v[0:1], off offset:1024
	;; [unrolled: 1-line block ×7, first 2 shown]
	global_load_ushort v49, v[56:57], off
	global_load_ushort v50, v[56:57], off offset:512
	global_load_ushort v51, v[56:57], off offset:1024
	global_load_ushort v52, v[56:57], off offset:1536
	global_load_ushort v53, v[56:57], off offset:2048
	global_load_ushort v54, v[56:57], off offset:2560
	global_load_ushort v55, v[56:57], off offset:3072
	s_nop 0
	global_load_ushort v56, v[56:57], off offset:3584
	v_add_co_u32_e32 v0, vcc, 0x2000, v0
	v_addc_co_u32_e32 v1, vcc, 0, v1, vcc
	s_mov_b64 s[20:21], -1
	s_movk_i32 s9, 0x1100
	s_cbranch_execz .LBB914_958
; %bb.956:                              ;   in Loop: Header=BB914_954 Depth=2
                                        ; implicit-def: $vgpr38
                                        ; implicit-def: $vgpr37
                                        ; implicit-def: $vgpr36
                                        ; implicit-def: $vgpr35
                                        ; implicit-def: $vgpr34
                                        ; implicit-def: $vgpr33
                                        ; implicit-def: $vgpr32
                                        ; implicit-def: $vgpr31
                                        ; implicit-def: $vgpr30
                                        ; implicit-def: $vgpr29
                                        ; implicit-def: $vgpr28
                                        ; implicit-def: $vgpr27
                                        ; implicit-def: $vgpr26
                                        ; implicit-def: $vgpr25
                                        ; implicit-def: $vgpr24
                                        ; implicit-def: $vgpr5
                                        ; implicit-def: $vgpr39
	v_mov_b32_e32 v40, s7
	s_and_saveexec_b64 s[22:23], s[20:21]
	s_cbranch_execnz .LBB914_993
	s_branch .LBB914_994
.LBB914_957:                            ;   in Loop: Header=BB914_954 Depth=2
	s_mov_b64 s[20:21], 0
                                        ; implicit-def: $sgpr9
                                        ; implicit-def: $vgpr41
                                        ; implicit-def: $vgpr42
                                        ; implicit-def: $vgpr43
                                        ; implicit-def: $vgpr44
                                        ; implicit-def: $vgpr45
                                        ; implicit-def: $vgpr46
                                        ; implicit-def: $vgpr47
                                        ; implicit-def: $vgpr48
                                        ; implicit-def: $vgpr49
                                        ; implicit-def: $vgpr50
                                        ; implicit-def: $vgpr51
                                        ; implicit-def: $vgpr52
                                        ; implicit-def: $vgpr53
                                        ; implicit-def: $vgpr54
                                        ; implicit-def: $vgpr55
                                        ; implicit-def: $vgpr56
                                        ; implicit-def: $vgpr0_vgpr1
.LBB914_958:                            ;   in Loop: Header=BB914_954 Depth=2
	s_lshl_b64 s[22:23], s[94:95], 1
	s_add_u32 s22, s76, s22
	s_addc_u32 s23, s77, s23
	v_cmp_gt_u32_e32 vcc, s7, v2
	s_and_saveexec_b64 s[24:25], vcc
	s_cbranch_execz .LBB914_974
; %bb.959:                              ;   in Loop: Header=BB914_954 Depth=2
	global_load_ushort v38, v92, s[22:23]
	s_or_b64 exec, exec, s[24:25]
	v_cmp_gt_u32_e32 vcc, s7, v7
	s_and_saveexec_b64 s[24:25], vcc
	s_cbranch_execnz .LBB914_975
.LBB914_960:                            ;   in Loop: Header=BB914_954 Depth=2
	s_or_b64 exec, exec, s[24:25]
	v_cmp_gt_u32_e32 vcc, s7, v13
	s_and_saveexec_b64 s[24:25], vcc
	s_cbranch_execz .LBB914_976
.LBB914_961:                            ;   in Loop: Header=BB914_954 Depth=2
	global_load_ushort v36, v92, s[22:23] offset:1024
	s_or_b64 exec, exec, s[24:25]
	v_cmp_gt_u32_e32 vcc, s7, v15
	s_and_saveexec_b64 s[24:25], vcc
	s_cbranch_execnz .LBB914_977
.LBB914_962:                            ;   in Loop: Header=BB914_954 Depth=2
	s_or_b64 exec, exec, s[24:25]
	v_cmp_gt_u32_e32 vcc, s7, v17
	s_and_saveexec_b64 s[24:25], vcc
	s_cbranch_execz .LBB914_978
.LBB914_963:                            ;   in Loop: Header=BB914_954 Depth=2
	global_load_ushort v34, v92, s[22:23] offset:2048
	s_or_b64 exec, exec, s[24:25]
	v_cmp_gt_u32_e32 vcc, s7, v19
	s_and_saveexec_b64 s[24:25], vcc
	s_cbranch_execnz .LBB914_979
.LBB914_964:                            ;   in Loop: Header=BB914_954 Depth=2
	s_or_b64 exec, exec, s[24:25]
	v_cmp_gt_u32_e32 vcc, s7, v21
	s_and_saveexec_b64 s[24:25], vcc
	s_cbranch_execz .LBB914_980
.LBB914_965:                            ;   in Loop: Header=BB914_954 Depth=2
	global_load_ushort v32, v92, s[22:23] offset:3072
	s_or_b64 exec, exec, s[24:25]
	v_cmp_gt_u32_e32 vcc, s7, v23
	s_and_saveexec_b64 s[24:25], vcc
	s_cbranch_execnz .LBB914_981
.LBB914_966:                            ;   in Loop: Header=BB914_954 Depth=2
	s_or_b64 exec, exec, s[24:25]
	v_cmp_gt_u32_e32 vcc, s7, v6
	s_and_saveexec_b64 s[24:25], vcc
	s_cbranch_execz .LBB914_982
.LBB914_967:                            ;   in Loop: Header=BB914_954 Depth=2
	global_load_ushort v30, v93, s[22:23]
	s_or_b64 exec, exec, s[24:25]
	v_cmp_gt_u32_e32 vcc, s7, v8
	s_and_saveexec_b64 s[24:25], vcc
	s_cbranch_execnz .LBB914_983
.LBB914_968:                            ;   in Loop: Header=BB914_954 Depth=2
	s_or_b64 exec, exec, s[24:25]
	v_cmp_gt_u32_e32 vcc, s7, v10
	s_and_saveexec_b64 s[24:25], vcc
	s_cbranch_execz .LBB914_984
.LBB914_969:                            ;   in Loop: Header=BB914_954 Depth=2
	global_load_ushort v28, v95, s[22:23]
	s_or_b64 exec, exec, s[24:25]
	v_cmp_gt_u32_e32 vcc, s7, v12
	s_and_saveexec_b64 s[24:25], vcc
	s_cbranch_execnz .LBB914_985
.LBB914_970:                            ;   in Loop: Header=BB914_954 Depth=2
	s_or_b64 exec, exec, s[24:25]
	v_cmp_gt_u32_e32 vcc, s7, v14
	s_and_saveexec_b64 s[24:25], vcc
	s_cbranch_execz .LBB914_986
.LBB914_971:                            ;   in Loop: Header=BB914_954 Depth=2
	global_load_ushort v26, v97, s[22:23]
	s_or_b64 exec, exec, s[24:25]
	v_cmp_gt_u32_e32 vcc, s7, v16
	s_and_saveexec_b64 s[24:25], vcc
	s_cbranch_execnz .LBB914_987
.LBB914_972:                            ;   in Loop: Header=BB914_954 Depth=2
	s_or_b64 exec, exec, s[24:25]
	v_cmp_gt_u32_e32 vcc, s7, v18
	s_and_saveexec_b64 s[24:25], vcc
	s_cbranch_execz .LBB914_988
.LBB914_973:                            ;   in Loop: Header=BB914_954 Depth=2
	global_load_ushort v24, v99, s[22:23]
	s_or_b64 exec, exec, s[24:25]
	v_cmp_gt_u32_e32 vcc, s7, v20
	s_and_saveexec_b64 s[24:25], vcc
	s_cbranch_execz .LBB914_990
	s_branch .LBB914_989
.LBB914_974:                            ;   in Loop: Header=BB914_954 Depth=2
	s_or_b64 exec, exec, s[24:25]
	v_cmp_gt_u32_e32 vcc, s7, v7
	s_and_saveexec_b64 s[24:25], vcc
	s_cbranch_execz .LBB914_960
.LBB914_975:                            ;   in Loop: Header=BB914_954 Depth=2
	global_load_ushort v37, v92, s[22:23] offset:512
	s_or_b64 exec, exec, s[24:25]
	v_cmp_gt_u32_e32 vcc, s7, v13
	s_and_saveexec_b64 s[24:25], vcc
	s_cbranch_execnz .LBB914_961
.LBB914_976:                            ;   in Loop: Header=BB914_954 Depth=2
	s_or_b64 exec, exec, s[24:25]
	v_cmp_gt_u32_e32 vcc, s7, v15
	s_and_saveexec_b64 s[24:25], vcc
	s_cbranch_execz .LBB914_962
.LBB914_977:                            ;   in Loop: Header=BB914_954 Depth=2
	global_load_ushort v35, v92, s[22:23] offset:1536
	s_or_b64 exec, exec, s[24:25]
	v_cmp_gt_u32_e32 vcc, s7, v17
	s_and_saveexec_b64 s[24:25], vcc
	s_cbranch_execnz .LBB914_963
.LBB914_978:                            ;   in Loop: Header=BB914_954 Depth=2
	s_or_b64 exec, exec, s[24:25]
	v_cmp_gt_u32_e32 vcc, s7, v19
	s_and_saveexec_b64 s[24:25], vcc
	s_cbranch_execz .LBB914_964
.LBB914_979:                            ;   in Loop: Header=BB914_954 Depth=2
	global_load_ushort v33, v92, s[22:23] offset:2560
	s_or_b64 exec, exec, s[24:25]
	v_cmp_gt_u32_e32 vcc, s7, v21
	s_and_saveexec_b64 s[24:25], vcc
	s_cbranch_execnz .LBB914_965
.LBB914_980:                            ;   in Loop: Header=BB914_954 Depth=2
	s_or_b64 exec, exec, s[24:25]
	v_cmp_gt_u32_e32 vcc, s7, v23
	s_and_saveexec_b64 s[24:25], vcc
	s_cbranch_execz .LBB914_966
.LBB914_981:                            ;   in Loop: Header=BB914_954 Depth=2
	global_load_ushort v31, v92, s[22:23] offset:3584
	s_or_b64 exec, exec, s[24:25]
	v_cmp_gt_u32_e32 vcc, s7, v6
	s_and_saveexec_b64 s[24:25], vcc
	s_cbranch_execnz .LBB914_967
.LBB914_982:                            ;   in Loop: Header=BB914_954 Depth=2
	s_or_b64 exec, exec, s[24:25]
	v_cmp_gt_u32_e32 vcc, s7, v8
	s_and_saveexec_b64 s[24:25], vcc
	s_cbranch_execz .LBB914_968
.LBB914_983:                            ;   in Loop: Header=BB914_954 Depth=2
	global_load_ushort v29, v94, s[22:23]
	s_or_b64 exec, exec, s[24:25]
	v_cmp_gt_u32_e32 vcc, s7, v10
	s_and_saveexec_b64 s[24:25], vcc
	s_cbranch_execnz .LBB914_969
.LBB914_984:                            ;   in Loop: Header=BB914_954 Depth=2
	s_or_b64 exec, exec, s[24:25]
	v_cmp_gt_u32_e32 vcc, s7, v12
	s_and_saveexec_b64 s[24:25], vcc
	s_cbranch_execz .LBB914_970
.LBB914_985:                            ;   in Loop: Header=BB914_954 Depth=2
	global_load_ushort v27, v96, s[22:23]
	s_or_b64 exec, exec, s[24:25]
	v_cmp_gt_u32_e32 vcc, s7, v14
	s_and_saveexec_b64 s[24:25], vcc
	s_cbranch_execnz .LBB914_971
.LBB914_986:                            ;   in Loop: Header=BB914_954 Depth=2
	s_or_b64 exec, exec, s[24:25]
	v_cmp_gt_u32_e32 vcc, s7, v16
	s_and_saveexec_b64 s[24:25], vcc
	s_cbranch_execz .LBB914_972
.LBB914_987:                            ;   in Loop: Header=BB914_954 Depth=2
	global_load_ushort v25, v98, s[22:23]
	s_or_b64 exec, exec, s[24:25]
	v_cmp_gt_u32_e32 vcc, s7, v18
	s_and_saveexec_b64 s[24:25], vcc
	s_cbranch_execnz .LBB914_973
.LBB914_988:                            ;   in Loop: Header=BB914_954 Depth=2
	s_or_b64 exec, exec, s[24:25]
	v_cmp_gt_u32_e32 vcc, s7, v20
	s_and_saveexec_b64 s[24:25], vcc
	s_cbranch_execz .LBB914_990
.LBB914_989:                            ;   in Loop: Header=BB914_954 Depth=2
	global_load_ushort v5, v100, s[22:23]
.LBB914_990:                            ;   in Loop: Header=BB914_954 Depth=2
	s_or_b64 exec, exec, s[24:25]
	v_cmp_gt_u32_e32 vcc, s7, v22
                                        ; implicit-def: $sgpr9
                                        ; implicit-def: $vgpr0_vgpr1
	s_and_saveexec_b64 s[24:25], vcc
; %bb.991:                              ;   in Loop: Header=BB914_954 Depth=2
	v_mov_b32_e32 v1, s23
	v_add_co_u32_e32 v0, vcc, s22, v101
	s_sub_i32 s9, s98, s94
	v_addc_co_u32_e32 v1, vcc, 0, v1, vcc
	s_or_b64 s[20:21], s[20:21], exec
                                        ; implicit-def: $vgpr39
; %bb.992:                              ;   in Loop: Header=BB914_954 Depth=2
	s_or_b64 exec, exec, s[24:25]
	s_waitcnt vmcnt(0)
	v_mov_b32_e32 v41, v38
	v_mov_b32_e32 v42, v37
	;; [unrolled: 1-line block ×17, first 2 shown]
	s_and_saveexec_b64 s[22:23], s[20:21]
	s_cbranch_execz .LBB914_994
.LBB914_993:                            ;   in Loop: Header=BB914_954 Depth=2
	global_load_ushort v39, v[0:1], off
	v_mov_b32_e32 v40, s9
	s_waitcnt vmcnt(1)
	v_mov_b32_e32 v5, v56
	v_mov_b32_e32 v24, v55
	;; [unrolled: 1-line block ×16, first 2 shown]
.LBB914_994:                            ;   in Loop: Header=BB914_954 Depth=2
	s_or_b64 exec, exec, s[22:23]
	v_cmp_lt_u32_e32 vcc, v2, v40
	s_and_saveexec_b64 s[20:21], vcc
	s_cbranch_execz .LBB914_1011
; %bb.995:                              ;   in Loop: Header=BB914_954 Depth=2
	v_xor_b32_e32 v0, 0x7fff, v38
	v_lshrrev_b32_sdwa v0, s89, v0 dst_sel:DWORD dst_unused:UNUSED_PAD src0_sel:DWORD src1_sel:WORD_0
	v_and_b32_e32 v0, s6, v0
	v_lshl_or_b32 v0, v0, 4, v90
	ds_add_u32 v0, v91
	s_or_b64 exec, exec, s[20:21]
	v_cmp_lt_u32_e32 vcc, v7, v40
	s_and_saveexec_b64 s[20:21], vcc
	s_cbranch_execnz .LBB914_1012
.LBB914_996:                            ;   in Loop: Header=BB914_954 Depth=2
	s_or_b64 exec, exec, s[20:21]
	v_cmp_lt_u32_e32 vcc, v13, v40
	s_and_saveexec_b64 s[20:21], vcc
	s_cbranch_execz .LBB914_1013
.LBB914_997:                            ;   in Loop: Header=BB914_954 Depth=2
	v_xor_b32_e32 v0, 0x7fff, v36
	v_lshrrev_b32_sdwa v0, s89, v0 dst_sel:DWORD dst_unused:UNUSED_PAD src0_sel:DWORD src1_sel:WORD_0
	v_and_b32_e32 v0, s6, v0
	v_lshl_or_b32 v0, v0, 4, v90
	ds_add_u32 v0, v91
	s_or_b64 exec, exec, s[20:21]
	v_cmp_lt_u32_e32 vcc, v15, v40
	s_and_saveexec_b64 s[20:21], vcc
	s_cbranch_execnz .LBB914_1014
.LBB914_998:                            ;   in Loop: Header=BB914_954 Depth=2
	s_or_b64 exec, exec, s[20:21]
	v_cmp_lt_u32_e32 vcc, v17, v40
	s_and_saveexec_b64 s[20:21], vcc
	s_cbranch_execz .LBB914_1015
.LBB914_999:                            ;   in Loop: Header=BB914_954 Depth=2
	v_xor_b32_e32 v0, 0x7fff, v34
	v_lshrrev_b32_sdwa v0, s89, v0 dst_sel:DWORD dst_unused:UNUSED_PAD src0_sel:DWORD src1_sel:WORD_0
	v_and_b32_e32 v0, s6, v0
	v_lshl_or_b32 v0, v0, 4, v90
	ds_add_u32 v0, v91
	s_or_b64 exec, exec, s[20:21]
	v_cmp_lt_u32_e32 vcc, v19, v40
	s_and_saveexec_b64 s[20:21], vcc
	s_cbranch_execnz .LBB914_1016
.LBB914_1000:                           ;   in Loop: Header=BB914_954 Depth=2
	s_or_b64 exec, exec, s[20:21]
	v_cmp_lt_u32_e32 vcc, v21, v40
	s_and_saveexec_b64 s[20:21], vcc
	s_cbranch_execz .LBB914_1017
.LBB914_1001:                           ;   in Loop: Header=BB914_954 Depth=2
	v_xor_b32_e32 v0, 0x7fff, v32
	v_lshrrev_b32_sdwa v0, s89, v0 dst_sel:DWORD dst_unused:UNUSED_PAD src0_sel:DWORD src1_sel:WORD_0
	v_and_b32_e32 v0, s6, v0
	v_lshl_or_b32 v0, v0, 4, v90
	ds_add_u32 v0, v91
	s_or_b64 exec, exec, s[20:21]
	v_cmp_lt_u32_e32 vcc, v23, v40
	s_and_saveexec_b64 s[20:21], vcc
	s_cbranch_execnz .LBB914_1018
.LBB914_1002:                           ;   in Loop: Header=BB914_954 Depth=2
	s_or_b64 exec, exec, s[20:21]
	v_cmp_lt_u32_e32 vcc, v6, v40
	s_and_saveexec_b64 s[20:21], vcc
	s_cbranch_execz .LBB914_1019
.LBB914_1003:                           ;   in Loop: Header=BB914_954 Depth=2
	v_xor_b32_e32 v0, 0x7fff, v30
	v_lshrrev_b32_sdwa v0, s89, v0 dst_sel:DWORD dst_unused:UNUSED_PAD src0_sel:DWORD src1_sel:WORD_0
	v_and_b32_e32 v0, s6, v0
	v_lshl_or_b32 v0, v0, 4, v90
	ds_add_u32 v0, v91
	s_or_b64 exec, exec, s[20:21]
	v_cmp_lt_u32_e32 vcc, v8, v40
	s_and_saveexec_b64 s[20:21], vcc
	s_cbranch_execnz .LBB914_1020
.LBB914_1004:                           ;   in Loop: Header=BB914_954 Depth=2
	s_or_b64 exec, exec, s[20:21]
	v_cmp_lt_u32_e32 vcc, v10, v40
	s_and_saveexec_b64 s[20:21], vcc
	s_cbranch_execz .LBB914_1021
.LBB914_1005:                           ;   in Loop: Header=BB914_954 Depth=2
	v_xor_b32_e32 v0, 0x7fff, v28
	v_lshrrev_b32_sdwa v0, s89, v0 dst_sel:DWORD dst_unused:UNUSED_PAD src0_sel:DWORD src1_sel:WORD_0
	v_and_b32_e32 v0, s6, v0
	v_lshl_or_b32 v0, v0, 4, v90
	ds_add_u32 v0, v91
	s_or_b64 exec, exec, s[20:21]
	v_cmp_lt_u32_e32 vcc, v12, v40
	s_and_saveexec_b64 s[20:21], vcc
	s_cbranch_execnz .LBB914_1022
.LBB914_1006:                           ;   in Loop: Header=BB914_954 Depth=2
	s_or_b64 exec, exec, s[20:21]
	v_cmp_lt_u32_e32 vcc, v14, v40
	s_and_saveexec_b64 s[20:21], vcc
	s_cbranch_execz .LBB914_1023
.LBB914_1007:                           ;   in Loop: Header=BB914_954 Depth=2
	v_xor_b32_e32 v0, 0x7fff, v26
	v_lshrrev_b32_sdwa v0, s89, v0 dst_sel:DWORD dst_unused:UNUSED_PAD src0_sel:DWORD src1_sel:WORD_0
	v_and_b32_e32 v0, s6, v0
	v_lshl_or_b32 v0, v0, 4, v90
	ds_add_u32 v0, v91
	s_or_b64 exec, exec, s[20:21]
	v_cmp_lt_u32_e32 vcc, v16, v40
	s_and_saveexec_b64 s[20:21], vcc
	s_cbranch_execnz .LBB914_1024
.LBB914_1008:                           ;   in Loop: Header=BB914_954 Depth=2
	s_or_b64 exec, exec, s[20:21]
	v_cmp_lt_u32_e32 vcc, v18, v40
	s_and_saveexec_b64 s[20:21], vcc
	s_cbranch_execz .LBB914_1025
.LBB914_1009:                           ;   in Loop: Header=BB914_954 Depth=2
	v_xor_b32_e32 v0, 0x7fff, v24
	v_lshrrev_b32_sdwa v0, s89, v0 dst_sel:DWORD dst_unused:UNUSED_PAD src0_sel:DWORD src1_sel:WORD_0
	v_and_b32_e32 v0, s6, v0
	v_lshl_or_b32 v0, v0, 4, v90
	ds_add_u32 v0, v91
	s_or_b64 exec, exec, s[20:21]
	v_cmp_lt_u32_e32 vcc, v20, v40
	s_and_saveexec_b64 s[20:21], vcc
	s_cbranch_execnz .LBB914_1026
.LBB914_1010:                           ;   in Loop: Header=BB914_954 Depth=2
	s_or_b64 exec, exec, s[20:21]
	v_cmp_lt_u32_e32 vcc, v22, v40
	s_and_saveexec_b64 s[20:21], vcc
	s_cbranch_execz .LBB914_953
	s_branch .LBB914_1027
.LBB914_1011:                           ;   in Loop: Header=BB914_954 Depth=2
	s_or_b64 exec, exec, s[20:21]
	v_cmp_lt_u32_e32 vcc, v7, v40
	s_and_saveexec_b64 s[20:21], vcc
	s_cbranch_execz .LBB914_996
.LBB914_1012:                           ;   in Loop: Header=BB914_954 Depth=2
	v_xor_b32_e32 v0, 0x7fff, v37
	v_lshrrev_b32_sdwa v0, s89, v0 dst_sel:DWORD dst_unused:UNUSED_PAD src0_sel:DWORD src1_sel:WORD_0
	v_and_b32_e32 v0, s6, v0
	v_lshl_or_b32 v0, v0, 4, v90
	ds_add_u32 v0, v91
	s_or_b64 exec, exec, s[20:21]
	v_cmp_lt_u32_e32 vcc, v13, v40
	s_and_saveexec_b64 s[20:21], vcc
	s_cbranch_execnz .LBB914_997
.LBB914_1013:                           ;   in Loop: Header=BB914_954 Depth=2
	s_or_b64 exec, exec, s[20:21]
	v_cmp_lt_u32_e32 vcc, v15, v40
	s_and_saveexec_b64 s[20:21], vcc
	s_cbranch_execz .LBB914_998
.LBB914_1014:                           ;   in Loop: Header=BB914_954 Depth=2
	v_xor_b32_e32 v0, 0x7fff, v35
	v_lshrrev_b32_sdwa v0, s89, v0 dst_sel:DWORD dst_unused:UNUSED_PAD src0_sel:DWORD src1_sel:WORD_0
	v_and_b32_e32 v0, s6, v0
	v_lshl_or_b32 v0, v0, 4, v90
	ds_add_u32 v0, v91
	s_or_b64 exec, exec, s[20:21]
	v_cmp_lt_u32_e32 vcc, v17, v40
	s_and_saveexec_b64 s[20:21], vcc
	s_cbranch_execnz .LBB914_999
.LBB914_1015:                           ;   in Loop: Header=BB914_954 Depth=2
	s_or_b64 exec, exec, s[20:21]
	v_cmp_lt_u32_e32 vcc, v19, v40
	s_and_saveexec_b64 s[20:21], vcc
	s_cbranch_execz .LBB914_1000
.LBB914_1016:                           ;   in Loop: Header=BB914_954 Depth=2
	v_xor_b32_e32 v0, 0x7fff, v33
	v_lshrrev_b32_sdwa v0, s89, v0 dst_sel:DWORD dst_unused:UNUSED_PAD src0_sel:DWORD src1_sel:WORD_0
	v_and_b32_e32 v0, s6, v0
	v_lshl_or_b32 v0, v0, 4, v90
	ds_add_u32 v0, v91
	s_or_b64 exec, exec, s[20:21]
	v_cmp_lt_u32_e32 vcc, v21, v40
	s_and_saveexec_b64 s[20:21], vcc
	s_cbranch_execnz .LBB914_1001
.LBB914_1017:                           ;   in Loop: Header=BB914_954 Depth=2
	s_or_b64 exec, exec, s[20:21]
	v_cmp_lt_u32_e32 vcc, v23, v40
	s_and_saveexec_b64 s[20:21], vcc
	s_cbranch_execz .LBB914_1002
.LBB914_1018:                           ;   in Loop: Header=BB914_954 Depth=2
	v_xor_b32_e32 v0, 0x7fff, v31
	v_lshrrev_b32_sdwa v0, s89, v0 dst_sel:DWORD dst_unused:UNUSED_PAD src0_sel:DWORD src1_sel:WORD_0
	v_and_b32_e32 v0, s6, v0
	v_lshl_or_b32 v0, v0, 4, v90
	ds_add_u32 v0, v91
	s_or_b64 exec, exec, s[20:21]
	v_cmp_lt_u32_e32 vcc, v6, v40
	s_and_saveexec_b64 s[20:21], vcc
	s_cbranch_execnz .LBB914_1003
.LBB914_1019:                           ;   in Loop: Header=BB914_954 Depth=2
	s_or_b64 exec, exec, s[20:21]
	v_cmp_lt_u32_e32 vcc, v8, v40
	s_and_saveexec_b64 s[20:21], vcc
	s_cbranch_execz .LBB914_1004
.LBB914_1020:                           ;   in Loop: Header=BB914_954 Depth=2
	v_xor_b32_e32 v0, 0x7fff, v29
	v_lshrrev_b32_sdwa v0, s89, v0 dst_sel:DWORD dst_unused:UNUSED_PAD src0_sel:DWORD src1_sel:WORD_0
	v_and_b32_e32 v0, s6, v0
	v_lshl_or_b32 v0, v0, 4, v90
	ds_add_u32 v0, v91
	s_or_b64 exec, exec, s[20:21]
	v_cmp_lt_u32_e32 vcc, v10, v40
	s_and_saveexec_b64 s[20:21], vcc
	s_cbranch_execnz .LBB914_1005
.LBB914_1021:                           ;   in Loop: Header=BB914_954 Depth=2
	s_or_b64 exec, exec, s[20:21]
	v_cmp_lt_u32_e32 vcc, v12, v40
	s_and_saveexec_b64 s[20:21], vcc
	s_cbranch_execz .LBB914_1006
.LBB914_1022:                           ;   in Loop: Header=BB914_954 Depth=2
	v_xor_b32_e32 v0, 0x7fff, v27
	v_lshrrev_b32_sdwa v0, s89, v0 dst_sel:DWORD dst_unused:UNUSED_PAD src0_sel:DWORD src1_sel:WORD_0
	v_and_b32_e32 v0, s6, v0
	v_lshl_or_b32 v0, v0, 4, v90
	ds_add_u32 v0, v91
	s_or_b64 exec, exec, s[20:21]
	v_cmp_lt_u32_e32 vcc, v14, v40
	s_and_saveexec_b64 s[20:21], vcc
	s_cbranch_execnz .LBB914_1007
.LBB914_1023:                           ;   in Loop: Header=BB914_954 Depth=2
	s_or_b64 exec, exec, s[20:21]
	v_cmp_lt_u32_e32 vcc, v16, v40
	s_and_saveexec_b64 s[20:21], vcc
	s_cbranch_execz .LBB914_1008
.LBB914_1024:                           ;   in Loop: Header=BB914_954 Depth=2
	v_xor_b32_e32 v0, 0x7fff, v25
	v_lshrrev_b32_sdwa v0, s89, v0 dst_sel:DWORD dst_unused:UNUSED_PAD src0_sel:DWORD src1_sel:WORD_0
	v_and_b32_e32 v0, s6, v0
	v_lshl_or_b32 v0, v0, 4, v90
	ds_add_u32 v0, v91
	s_or_b64 exec, exec, s[20:21]
	v_cmp_lt_u32_e32 vcc, v18, v40
	s_and_saveexec_b64 s[20:21], vcc
	s_cbranch_execnz .LBB914_1009
.LBB914_1025:                           ;   in Loop: Header=BB914_954 Depth=2
	s_or_b64 exec, exec, s[20:21]
	v_cmp_lt_u32_e32 vcc, v20, v40
	s_and_saveexec_b64 s[20:21], vcc
	s_cbranch_execz .LBB914_1010
.LBB914_1026:                           ;   in Loop: Header=BB914_954 Depth=2
	v_xor_b32_e32 v0, 0x7fff, v5
	v_lshrrev_b32_sdwa v0, s89, v0 dst_sel:DWORD dst_unused:UNUSED_PAD src0_sel:DWORD src1_sel:WORD_0
	v_and_b32_e32 v0, s6, v0
	v_lshl_or_b32 v0, v0, 4, v90
	ds_add_u32 v0, v91
	s_or_b64 exec, exec, s[20:21]
	v_cmp_lt_u32_e32 vcc, v22, v40
	s_and_saveexec_b64 s[20:21], vcc
	s_cbranch_execz .LBB914_953
.LBB914_1027:                           ;   in Loop: Header=BB914_954 Depth=2
	s_waitcnt vmcnt(0)
	v_xor_b32_e32 v0, 0x7fff, v39
	v_lshrrev_b32_sdwa v0, s89, v0 dst_sel:DWORD dst_unused:UNUSED_PAD src0_sel:DWORD src1_sel:WORD_0
	v_and_b32_e32 v0, s6, v0
	v_lshl_or_b32 v0, v0, 4, v90
	ds_add_u32 v0, v91
	s_branch .LBB914_953
.LBB914_1028:                           ;   in Loop: Header=BB914_12 Depth=1
	v_mov_b32_e32 v0, 0
	s_waitcnt lgkmcnt(0)
	s_barrier
	s_and_saveexec_b64 s[20:21], s[4:5]
	s_cbranch_execz .LBB914_1030
; %bb.1029:                             ;   in Loop: Header=BB914_12 Depth=1
	ds_read2_b64 v[24:27], v59 offset1:1
	s_waitcnt lgkmcnt(0)
	v_add_u32_e32 v0, v25, v24
	v_add3_u32 v0, v0, v26, v27
.LBB914_1030:                           ;   in Loop: Header=BB914_12 Depth=1
	s_or_b64 exec, exec, s[20:21]
	s_nop 0
	v_mov_b32_dpp v1, v0 row_shr:1 row_mask:0xf bank_mask:0xf
	v_cmp_eq_u32_e64 s[20:21], 0, v103
	v_cndmask_b32_e64 v1, v1, 0, s[20:21]
	v_add_u32_e32 v0, v1, v0
	v_cmp_lt_u32_e64 s[22:23], 1, v103
	v_cmp_lt_u32_e64 s[24:25], 3, v103
	v_mov_b32_dpp v1, v0 row_shr:2 row_mask:0xf bank_mask:0xf
	v_cndmask_b32_e64 v1, 0, v1, s[22:23]
	v_add_u32_e32 v0, v0, v1
	v_cmp_lt_u32_e64 s[26:27], 7, v103
	v_cmp_lt_u32_e64 s[30:31], 31, v102
	v_mov_b32_dpp v1, v0 row_shr:4 row_mask:0xf bank_mask:0xf
	v_cndmask_b32_e64 v1, 0, v1, s[24:25]
	v_add_u32_e32 v0, v0, v1
	v_cmp_eq_u32_e64 s[28:29], 0, v105
	s_nop 0
	v_mov_b32_dpp v1, v0 row_shr:8 row_mask:0xf bank_mask:0xf
	v_cndmask_b32_e64 v1, 0, v1, s[26:27]
	v_add_u32_e32 v0, v0, v1
	s_nop 1
	v_mov_b32_dpp v1, v0 row_bcast:15 row_mask:0xf bank_mask:0xf
	v_and_b32_e32 v1, v104, v1
	v_add_u32_e32 v0, v0, v1
	s_nop 1
	v_mov_b32_dpp v1, v0 row_bcast:31 row_mask:0xf bank_mask:0xf
	v_cndmask_b32_e64 v1, 0, v1, s[30:31]
	v_add_u32_e32 v0, v0, v1
	s_mov_b64 s[34:35], exec
	v_readlane_b32 s8, v232, 0
	v_readlane_b32 s9, v232, 1
	s_and_b64 s[8:9], s[34:35], s[8:9]
	s_mov_b64 exec, s[8:9]
	s_cbranch_execz .LBB914_1032
; %bb.1031:                             ;   in Loop: Header=BB914_12 Depth=1
	ds_write_b32 v61, v0
.LBB914_1032:                           ;   in Loop: Header=BB914_12 Depth=1
	s_or_b64 exec, exec, s[34:35]
	s_waitcnt lgkmcnt(0)
	s_barrier
	s_mov_b64 s[34:35], exec
	v_readlane_b32 s8, v232, 2
	v_readlane_b32 s9, v232, 3
	s_and_b64 s[8:9], s[34:35], s[8:9]
	s_mov_b64 exec, s[8:9]
	s_cbranch_execz .LBB914_1034
; %bb.1033:                             ;   in Loop: Header=BB914_12 Depth=1
	ds_read_b32 v1, v62
	s_waitcnt lgkmcnt(0)
	s_nop 0
	v_mov_b32_dpp v5, v1 row_shr:1 row_mask:0xf bank_mask:0xf
	v_and_b32_e32 v5, v106, v5
	v_add_u32_e32 v1, v5, v1
	ds_write_b32 v62, v1
.LBB914_1034:                           ;   in Loop: Header=BB914_12 Depth=1
	s_or_b64 exec, exec, s[34:35]
	v_mov_b32_e32 v1, 0
	s_waitcnt lgkmcnt(0)
	s_barrier
	s_and_saveexec_b64 s[34:35], s[10:11]
	s_cbranch_execz .LBB914_1036
; %bb.1035:                             ;   in Loop: Header=BB914_12 Depth=1
	ds_read_b32 v1, v63
.LBB914_1036:                           ;   in Loop: Header=BB914_12 Depth=1
	s_or_b64 exec, exec, s[34:35]
	v_cmp_lt_i32_e32 vcc, v107, v108
	v_cndmask_b32_e32 v5, v107, v102, vcc
	s_waitcnt lgkmcnt(0)
	v_add_u32_e32 v0, v1, v0
	v_lshlrev_b32_e32 v129, 2, v5
	ds_bpermute_b32 v0, v129, v0
	v_cmp_eq_u32_e64 s[34:35], 0, v102
	s_waitcnt lgkmcnt(0)
	s_barrier
	s_and_saveexec_b64 s[36:37], s[4:5]
	s_cbranch_execz .LBB914_1038
; %bb.1037:                             ;   in Loop: Header=BB914_12 Depth=1
	v_cndmask_b32_e64 v0, v0, v1, s[34:35]
	v_add_u32_e32 v0, s75, v0
	ds_write_b32 v3, v0
.LBB914_1038:                           ;   in Loop: Header=BB914_12 Depth=1
	s_or_b64 exec, exec, s[36:37]
	s_load_dwordx2 s[8:9], s[96:97], 0x0
	v_add_co_u32_e32 v130, vcc, v86, v110
	v_addc_co_u32_e32 v131, vcc, 0, v87, vcc
	s_waitcnt lgkmcnt(0)
	s_cmp_lt_u32 s74, s8
	s_cselect_b32 s7, 12, 18
	s_cmp_lt_u32 s33, s9
	s_cselect_b32 s8, 14, 20
	s_add_u32 s8, s96, s8
	s_addc_u32 s9, s97, 0
	s_add_u32 s36, s96, s7
	global_load_ushort v5, v4, s[8:9]
	s_addc_u32 s37, s97, 0
	global_load_ushort v56, v4, s[36:37]
	v_add_co_u32_e32 v132, vcc, v88, v128
	v_addc_co_u32_e32 v133, vcc, 0, v89, vcc
	v_add_co_u32_e32 v148, vcc, 0x800, v132
	v_cmp_eq_u32_e64 s[36:37], 0, v109
	v_cmp_lt_u32_e64 s[38:39], 1, v109
	s_mov_b32 s7, s91
	v_addc_co_u32_e32 v151, vcc, 0, v133, vcc
	s_mov_b32 s94, s75
                                        ; implicit-def: $vgpr0_vgpr1
                                        ; implicit-def: $vgpr24_vgpr25
                                        ; implicit-def: $vgpr26_vgpr27
                                        ; implicit-def: $vgpr28_vgpr29
                                        ; implicit-def: $vgpr32_vgpr33
                                        ; implicit-def: $vgpr36_vgpr37
                                        ; implicit-def: $vgpr40_vgpr41
                                        ; implicit-def: $vgpr44_vgpr45
                                        ; implicit-def: $vgpr48_vgpr49
                                        ; implicit-def: $vgpr30_vgpr31
                                        ; implicit-def: $vgpr34_vgpr35
                                        ; implicit-def: $vgpr38_vgpr39
                                        ; implicit-def: $vgpr42_vgpr43
                                        ; implicit-def: $vgpr46_vgpr47
                                        ; implicit-def: $vgpr50_vgpr51
                                        ; implicit-def: $vgpr52_vgpr53
                                        ; implicit-def: $vgpr54_vgpr55
                                        ; implicit-def: $vgpr134
                                        ; implicit-def: $vgpr135
                                        ; implicit-def: $vgpr136
                                        ; implicit-def: $vgpr137
                                        ; implicit-def: $vgpr138
                                        ; implicit-def: $vgpr139
                                        ; implicit-def: $vgpr140
                                        ; implicit-def: $vgpr141
                                        ; implicit-def: $vgpr142
                                        ; implicit-def: $vgpr143
                                        ; implicit-def: $vgpr144
                                        ; implicit-def: $vgpr145
                                        ; implicit-def: $vgpr146
                                        ; implicit-def: $vgpr147
                                        ; implicit-def: $vgpr149
                                        ; implicit-def: $vgpr150
                                        ; implicit-def: $vgpr152
                                        ; implicit-def: $vgpr154
                                        ; implicit-def: $vgpr155
	s_waitcnt vmcnt(1)
	v_mad_u32_u24 v5, v64, v5, v65
	s_waitcnt vmcnt(0)
	v_mad_u64_u32 v[56:57], s[8:9], v5, v56, v[2:3]
	v_lshrrev_b32_e32 v153, 6, v56
	s_branch .LBB914_1040
.LBB914_1039:                           ;   in Loop: Header=BB914_1040 Depth=2
	s_or_b64 exec, exec, s[40:41]
	s_addk_i32 s7, 0xef00
	s_cmp_lt_u32 s8, s98
	s_mov_b32 s94, s8
	s_cbranch_scc0 .LBB914_10
.LBB914_1040:                           ;   Parent Loop BB914_12 Depth=1
                                        ; =>  This Inner Loop Header: Depth=2
	s_add_i32 s8, s94, 0x1100
	s_cmp_gt_u32 s8, s98
	s_cbranch_scc1 .LBB914_1043
; %bb.1041:                             ;   in Loop: Header=BB914_1040 Depth=2
	s_lshl_b64 s[40:41], s[94:95], 1
	v_mov_b32_e32 v5, s41
	v_add_co_u32_e32 v56, vcc, s40, v132
	v_addc_co_u32_e32 v57, vcc, v133, v5, vcc
	global_load_ushort v5, v[56:57], off
	global_load_ushort v160, v[56:57], off offset:128
	global_load_ushort v165, v[56:57], off offset:256
	;; [unrolled: 1-line block ×15, first 2 shown]
	s_mov_b64 s[40:41], -1
	s_movk_i32 s9, 0x1100
	s_cbranch_execz .LBB914_1044
; %bb.1042:                             ;   in Loop: Header=BB914_1040 Depth=2
                                        ; implicit-def: $sgpr42
	v_mov_b32_e32 v166, s42
	v_mov_b32_e32 v156, s7
	s_and_saveexec_b64 s[42:43], s[40:41]
	s_cbranch_execnz .LBB914_1077
	s_branch .LBB914_1078
.LBB914_1043:                           ;   in Loop: Header=BB914_1040 Depth=2
	s_mov_b64 s[40:41], 0
                                        ; implicit-def: $sgpr9
                                        ; implicit-def: $vgpr5
                                        ; implicit-def: $vgpr160
                                        ; implicit-def: $vgpr165
                                        ; implicit-def: $vgpr171
                                        ; implicit-def: $vgpr176
                                        ; implicit-def: $vgpr181
                                        ; implicit-def: $vgpr186
                                        ; implicit-def: $vgpr191
                                        ; implicit-def: $vgpr193
                                        ; implicit-def: $vgpr188
                                        ; implicit-def: $vgpr184
                                        ; implicit-def: $vgpr179
                                        ; implicit-def: $vgpr174
                                        ; implicit-def: $vgpr169
                                        ; implicit-def: $vgpr164
                                        ; implicit-def: $vgpr159
.LBB914_1044:                           ;   in Loop: Header=BB914_1040 Depth=2
	s_lshl_b64 s[40:41], s[94:95], 1
	s_waitcnt vmcnt(15)
	v_mov_b32_e32 v5, s41
	v_add_co_u32_e32 v56, vcc, s40, v132
	v_addc_co_u32_e32 v57, vcc, v133, v5, vcc
	v_cmp_gt_u32_e32 vcc, s7, v111
	s_waitcnt vmcnt(14)
	v_mov_b32_e32 v160, 0xffff8000
	v_mov_b32_e32 v5, 0xffff8000
	s_and_saveexec_b64 s[40:41], vcc
	s_cbranch_execz .LBB914_1046
; %bb.1045:                             ;   in Loop: Header=BB914_1040 Depth=2
	global_load_ushort v5, v[56:57], off
.LBB914_1046:                           ;   in Loop: Header=BB914_1040 Depth=2
	s_or_b64 exec, exec, s[40:41]
	v_cmp_gt_u32_e32 vcc, s7, v112
	s_and_saveexec_b64 s[40:41], vcc
	s_cbranch_execz .LBB914_1048
; %bb.1047:                             ;   in Loop: Header=BB914_1040 Depth=2
	global_load_ushort v160, v[56:57], off offset:128
.LBB914_1048:                           ;   in Loop: Header=BB914_1040 Depth=2
	s_or_b64 exec, exec, s[40:41]
	v_cmp_gt_u32_e32 vcc, s7, v113
	s_waitcnt vmcnt(12)
	v_mov_b32_e32 v171, 0xffff8000
	v_mov_b32_e32 v165, 0xffff8000
	s_and_saveexec_b64 s[40:41], vcc
	s_cbranch_execz .LBB914_1050
; %bb.1049:                             ;   in Loop: Header=BB914_1040 Depth=2
	global_load_ushort v165, v[56:57], off offset:256
.LBB914_1050:                           ;   in Loop: Header=BB914_1040 Depth=2
	s_or_b64 exec, exec, s[40:41]
	v_cmp_gt_u32_e32 vcc, s7, v114
	s_and_saveexec_b64 s[40:41], vcc
	s_cbranch_execz .LBB914_1052
; %bb.1051:                             ;   in Loop: Header=BB914_1040 Depth=2
	global_load_ushort v171, v[56:57], off offset:384
.LBB914_1052:                           ;   in Loop: Header=BB914_1040 Depth=2
	s_or_b64 exec, exec, s[40:41]
	v_cmp_gt_u32_e32 vcc, s7, v115
	s_waitcnt vmcnt(10)
	v_mov_b32_e32 v181, 0xffff8000
	v_mov_b32_e32 v176, 0xffff8000
	s_and_saveexec_b64 s[40:41], vcc
	s_cbranch_execz .LBB914_1054
; %bb.1053:                             ;   in Loop: Header=BB914_1040 Depth=2
	global_load_ushort v176, v[56:57], off offset:512
.LBB914_1054:                           ;   in Loop: Header=BB914_1040 Depth=2
	;; [unrolled: 17-line block ×7, first 2 shown]
	s_or_b64 exec, exec, s[40:41]
	v_cmp_gt_u32_e32 vcc, s7, v126
	s_and_saveexec_b64 s[40:41], vcc
	s_cbranch_execz .LBB914_1076
; %bb.1075:                             ;   in Loop: Header=BB914_1040 Depth=2
	global_load_ushort v159, v[56:57], off offset:1920
.LBB914_1076:                           ;   in Loop: Header=BB914_1040 Depth=2
	s_or_b64 exec, exec, s[40:41]
	s_sub_i32 s9, s98, s94
	v_cmp_gt_u32_e64 s[40:41], s7, v127
	s_movk_i32 s42, 0x8000
	v_mov_b32_e32 v166, s42
	v_mov_b32_e32 v156, s7
	s_and_saveexec_b64 s[42:43], s[40:41]
	s_cbranch_execz .LBB914_1078
.LBB914_1077:                           ;   in Loop: Header=BB914_1040 Depth=2
	s_lshl_b64 s[40:41], s[94:95], 1
	v_mov_b32_e32 v57, s41
	v_add_co_u32_e32 v56, vcc, s40, v148
	v_addc_co_u32_e32 v57, vcc, v151, v57, vcc
	global_load_ushort v166, v[56:57], off
	v_mov_b32_e32 v156, s9
.LBB914_1078:                           ;   in Loop: Header=BB914_1040 Depth=2
	s_or_b64 exec, exec, s[42:43]
	s_waitcnt vmcnt(15)
	v_xor_b32_e32 v157, 0x7fff, v5
	v_lshrrev_b32_sdwa v5, s89, v157 dst_sel:DWORD dst_unused:UNUSED_PAD src0_sel:DWORD src1_sel:WORD_0
	v_and_b32_e32 v56, s6, v5
	v_mad_u32_u24 v5, v56, 5, v153
	v_lshl_add_u32 v158, v5, 2, v66
	v_and_b32_e32 v5, 1, v56
	v_add_co_u32_e32 v57, vcc, -1, v5
	v_addc_co_u32_e64 v161, s[40:41], 0, -1, vcc
	v_cmp_ne_u32_e32 vcc, 0, v5
	v_xor_b32_e32 v5, vcc_hi, v161
	v_and_b32_e32 v161, exec_hi, v5
	v_lshlrev_b32_e32 v5, 30, v56
	v_xor_b32_e32 v57, vcc_lo, v57
	v_cmp_gt_i64_e32 vcc, 0, v[4:5]
	v_not_b32_e32 v5, v5
	v_ashrrev_i32_e32 v5, 31, v5
	v_and_b32_e32 v57, exec_lo, v57
	v_xor_b32_e32 v162, vcc_hi, v5
	v_xor_b32_e32 v5, vcc_lo, v5
	v_and_b32_e32 v57, v57, v5
	v_lshlrev_b32_e32 v5, 29, v56
	v_cmp_gt_i64_e32 vcc, 0, v[4:5]
	v_not_b32_e32 v5, v5
	v_ashrrev_i32_e32 v5, 31, v5
	v_and_b32_e32 v161, v161, v162
	v_xor_b32_e32 v162, vcc_hi, v5
	v_xor_b32_e32 v5, vcc_lo, v5
	v_and_b32_e32 v57, v57, v5
	v_lshlrev_b32_e32 v5, 28, v56
	v_cmp_gt_i64_e32 vcc, 0, v[4:5]
	v_not_b32_e32 v5, v5
	v_ashrrev_i32_e32 v5, 31, v5
	v_and_b32_e32 v161, v161, v162
	;; [unrolled: 8-line block ×4, first 2 shown]
	v_xor_b32_e32 v162, vcc_hi, v5
	v_xor_b32_e32 v5, vcc_lo, v5
	v_and_b32_e32 v161, v161, v162
	v_and_b32_e32 v162, v57, v5
	v_lshlrev_b32_e32 v5, 25, v56
	v_cmp_gt_i64_e32 vcc, 0, v[4:5]
	v_not_b32_e32 v5, v5
	v_ashrrev_i32_e32 v5, 31, v5
	v_xor_b32_e32 v56, vcc_hi, v5
	v_xor_b32_e32 v5, vcc_lo, v5
	v_and_b32_e32 v57, v161, v56
	v_and_b32_e32 v56, v162, v5
	v_mbcnt_lo_u32_b32 v5, v56, 0
	v_mbcnt_hi_u32_b32 v161, v57, v5
	v_cmp_eq_u32_e32 vcc, 0, v161
	v_cmp_ne_u64_e64 s[40:41], 0, v[56:57]
	s_and_b64 s[42:43], s[40:41], vcc
	ds_write2_b32 v58, v4, v4 offset0:132 offset1:133
	ds_write_b32 v67, v4 offset:8
	s_waitcnt lgkmcnt(0)
	s_barrier
	s_waitcnt lgkmcnt(0)
	; wave barrier
	s_and_saveexec_b64 s[40:41], s[42:43]
	s_cbranch_execz .LBB914_1080
; %bb.1079:                             ;   in Loop: Header=BB914_1040 Depth=2
	v_bcnt_u32_b32 v5, v56, 0
	v_bcnt_u32_b32 v5, v57, v5
	ds_write_b32 v158, v5
.LBB914_1080:                           ;   in Loop: Header=BB914_1040 Depth=2
	s_or_b64 exec, exec, s[40:41]
	s_waitcnt vmcnt(14)
	v_xor_b32_e32 v160, 0x7fff, v160
	v_lshrrev_b32_sdwa v5, s89, v160 dst_sel:DWORD dst_unused:UNUSED_PAD src0_sel:DWORD src1_sel:WORD_0
	v_and_b32_e32 v56, s6, v5
	v_mul_u32_u24_e32 v5, 5, v56
	v_add_lshl_u32 v5, v5, v153, 2
	; wave barrier
	v_add_u32_e32 v163, 0x210, v5
	ds_read_b32 v162, v5 offset:528
	v_and_b32_e32 v5, 1, v56
	v_add_co_u32_e32 v57, vcc, -1, v5
	v_addc_co_u32_e64 v167, s[40:41], 0, -1, vcc
	v_cmp_ne_u32_e32 vcc, 0, v5
	v_xor_b32_e32 v5, vcc_hi, v167
	v_and_b32_e32 v167, exec_hi, v5
	v_lshlrev_b32_e32 v5, 30, v56
	v_xor_b32_e32 v57, vcc_lo, v57
	v_cmp_gt_i64_e32 vcc, 0, v[4:5]
	v_not_b32_e32 v5, v5
	v_ashrrev_i32_e32 v5, 31, v5
	v_and_b32_e32 v57, exec_lo, v57
	v_xor_b32_e32 v168, vcc_hi, v5
	v_xor_b32_e32 v5, vcc_lo, v5
	v_and_b32_e32 v57, v57, v5
	v_lshlrev_b32_e32 v5, 29, v56
	v_cmp_gt_i64_e32 vcc, 0, v[4:5]
	v_not_b32_e32 v5, v5
	v_ashrrev_i32_e32 v5, 31, v5
	v_and_b32_e32 v167, v167, v168
	v_xor_b32_e32 v168, vcc_hi, v5
	v_xor_b32_e32 v5, vcc_lo, v5
	v_and_b32_e32 v57, v57, v5
	v_lshlrev_b32_e32 v5, 28, v56
	v_cmp_gt_i64_e32 vcc, 0, v[4:5]
	v_not_b32_e32 v5, v5
	v_ashrrev_i32_e32 v5, 31, v5
	v_and_b32_e32 v167, v167, v168
	;; [unrolled: 8-line block ×4, first 2 shown]
	v_xor_b32_e32 v168, vcc_hi, v5
	v_xor_b32_e32 v5, vcc_lo, v5
	v_and_b32_e32 v167, v167, v168
	v_and_b32_e32 v168, v57, v5
	v_lshlrev_b32_e32 v5, 25, v56
	v_cmp_gt_i64_e32 vcc, 0, v[4:5]
	v_not_b32_e32 v5, v5
	v_ashrrev_i32_e32 v5, 31, v5
	v_xor_b32_e32 v56, vcc_hi, v5
	v_xor_b32_e32 v5, vcc_lo, v5
	v_and_b32_e32 v57, v167, v56
	v_and_b32_e32 v56, v168, v5
	v_mbcnt_lo_u32_b32 v5, v56, 0
	v_mbcnt_hi_u32_b32 v167, v57, v5
	v_cmp_eq_u32_e32 vcc, 0, v167
	v_cmp_ne_u64_e64 s[40:41], 0, v[56:57]
	s_and_b64 s[42:43], s[40:41], vcc
	; wave barrier
	s_and_saveexec_b64 s[40:41], s[42:43]
	s_cbranch_execz .LBB914_1082
; %bb.1081:                             ;   in Loop: Header=BB914_1040 Depth=2
	v_bcnt_u32_b32 v5, v56, 0
	v_bcnt_u32_b32 v5, v57, v5
	s_waitcnt lgkmcnt(0)
	v_add_u32_e32 v5, v162, v5
	ds_write_b32 v163, v5
.LBB914_1082:                           ;   in Loop: Header=BB914_1040 Depth=2
	s_or_b64 exec, exec, s[40:41]
	s_waitcnt vmcnt(13)
	v_xor_b32_e32 v165, 0x7fff, v165
	v_lshrrev_b32_sdwa v5, s89, v165 dst_sel:DWORD dst_unused:UNUSED_PAD src0_sel:DWORD src1_sel:WORD_0
	v_and_b32_e32 v56, s6, v5
	v_mul_u32_u24_e32 v5, 5, v56
	v_add_lshl_u32 v5, v5, v153, 2
	; wave barrier
	v_add_u32_e32 v170, 0x210, v5
	ds_read_b32 v168, v5 offset:528
	v_and_b32_e32 v5, 1, v56
	v_add_co_u32_e32 v57, vcc, -1, v5
	v_addc_co_u32_e64 v172, s[40:41], 0, -1, vcc
	v_cmp_ne_u32_e32 vcc, 0, v5
	v_xor_b32_e32 v5, vcc_hi, v172
	v_and_b32_e32 v172, exec_hi, v5
	v_lshlrev_b32_e32 v5, 30, v56
	v_xor_b32_e32 v57, vcc_lo, v57
	v_cmp_gt_i64_e32 vcc, 0, v[4:5]
	v_not_b32_e32 v5, v5
	v_ashrrev_i32_e32 v5, 31, v5
	v_and_b32_e32 v57, exec_lo, v57
	v_xor_b32_e32 v173, vcc_hi, v5
	v_xor_b32_e32 v5, vcc_lo, v5
	v_and_b32_e32 v57, v57, v5
	v_lshlrev_b32_e32 v5, 29, v56
	v_cmp_gt_i64_e32 vcc, 0, v[4:5]
	v_not_b32_e32 v5, v5
	v_ashrrev_i32_e32 v5, 31, v5
	v_and_b32_e32 v172, v172, v173
	v_xor_b32_e32 v173, vcc_hi, v5
	v_xor_b32_e32 v5, vcc_lo, v5
	v_and_b32_e32 v57, v57, v5
	v_lshlrev_b32_e32 v5, 28, v56
	v_cmp_gt_i64_e32 vcc, 0, v[4:5]
	v_not_b32_e32 v5, v5
	v_ashrrev_i32_e32 v5, 31, v5
	v_and_b32_e32 v172, v172, v173
	v_xor_b32_e32 v173, vcc_hi, v5
	v_xor_b32_e32 v5, vcc_lo, v5
	v_and_b32_e32 v57, v57, v5
	v_lshlrev_b32_e32 v5, 27, v56
	v_cmp_gt_i64_e32 vcc, 0, v[4:5]
	v_not_b32_e32 v5, v5
	v_ashrrev_i32_e32 v5, 31, v5
	v_and_b32_e32 v172, v172, v173
	v_xor_b32_e32 v173, vcc_hi, v5
	v_xor_b32_e32 v5, vcc_lo, v5
	v_and_b32_e32 v57, v57, v5
	v_lshlrev_b32_e32 v5, 26, v56
	v_cmp_gt_i64_e32 vcc, 0, v[4:5]
	v_not_b32_e32 v5, v5
	v_ashrrev_i32_e32 v5, 31, v5
	v_and_b32_e32 v172, v172, v173
	v_xor_b32_e32 v173, vcc_hi, v5
	v_xor_b32_e32 v5, vcc_lo, v5
	v_and_b32_e32 v172, v172, v173
	v_and_b32_e32 v173, v57, v5
	v_lshlrev_b32_e32 v5, 25, v56
	v_cmp_gt_i64_e32 vcc, 0, v[4:5]
	v_not_b32_e32 v5, v5
	v_ashrrev_i32_e32 v5, 31, v5
	v_xor_b32_e32 v56, vcc_hi, v5
	v_xor_b32_e32 v5, vcc_lo, v5
	v_and_b32_e32 v57, v172, v56
	v_and_b32_e32 v56, v173, v5
	v_mbcnt_lo_u32_b32 v5, v56, 0
	v_mbcnt_hi_u32_b32 v172, v57, v5
	v_cmp_eq_u32_e32 vcc, 0, v172
	v_cmp_ne_u64_e64 s[40:41], 0, v[56:57]
	s_and_b64 s[42:43], s[40:41], vcc
	; wave barrier
	s_and_saveexec_b64 s[40:41], s[42:43]
	s_cbranch_execz .LBB914_1084
; %bb.1083:                             ;   in Loop: Header=BB914_1040 Depth=2
	v_bcnt_u32_b32 v5, v56, 0
	v_bcnt_u32_b32 v5, v57, v5
	s_waitcnt lgkmcnt(0)
	v_add_u32_e32 v5, v168, v5
	ds_write_b32 v170, v5
.LBB914_1084:                           ;   in Loop: Header=BB914_1040 Depth=2
	s_or_b64 exec, exec, s[40:41]
	s_waitcnt vmcnt(12)
	v_xor_b32_e32 v171, 0x7fff, v171
	v_lshrrev_b32_sdwa v5, s89, v171 dst_sel:DWORD dst_unused:UNUSED_PAD src0_sel:DWORD src1_sel:WORD_0
	v_and_b32_e32 v56, s6, v5
	v_mul_u32_u24_e32 v5, 5, v56
	v_add_lshl_u32 v5, v5, v153, 2
	; wave barrier
	v_add_u32_e32 v175, 0x210, v5
	ds_read_b32 v173, v5 offset:528
	v_and_b32_e32 v5, 1, v56
	v_add_co_u32_e32 v57, vcc, -1, v5
	v_addc_co_u32_e64 v177, s[40:41], 0, -1, vcc
	v_cmp_ne_u32_e32 vcc, 0, v5
	v_xor_b32_e32 v5, vcc_hi, v177
	v_and_b32_e32 v177, exec_hi, v5
	v_lshlrev_b32_e32 v5, 30, v56
	v_xor_b32_e32 v57, vcc_lo, v57
	v_cmp_gt_i64_e32 vcc, 0, v[4:5]
	v_not_b32_e32 v5, v5
	v_ashrrev_i32_e32 v5, 31, v5
	v_and_b32_e32 v57, exec_lo, v57
	v_xor_b32_e32 v178, vcc_hi, v5
	v_xor_b32_e32 v5, vcc_lo, v5
	v_and_b32_e32 v57, v57, v5
	v_lshlrev_b32_e32 v5, 29, v56
	v_cmp_gt_i64_e32 vcc, 0, v[4:5]
	v_not_b32_e32 v5, v5
	v_ashrrev_i32_e32 v5, 31, v5
	v_and_b32_e32 v177, v177, v178
	v_xor_b32_e32 v178, vcc_hi, v5
	v_xor_b32_e32 v5, vcc_lo, v5
	v_and_b32_e32 v57, v57, v5
	v_lshlrev_b32_e32 v5, 28, v56
	v_cmp_gt_i64_e32 vcc, 0, v[4:5]
	v_not_b32_e32 v5, v5
	v_ashrrev_i32_e32 v5, 31, v5
	v_and_b32_e32 v177, v177, v178
	;; [unrolled: 8-line block ×4, first 2 shown]
	v_xor_b32_e32 v178, vcc_hi, v5
	v_xor_b32_e32 v5, vcc_lo, v5
	v_and_b32_e32 v177, v177, v178
	v_and_b32_e32 v178, v57, v5
	v_lshlrev_b32_e32 v5, 25, v56
	v_cmp_gt_i64_e32 vcc, 0, v[4:5]
	v_not_b32_e32 v5, v5
	v_ashrrev_i32_e32 v5, 31, v5
	v_xor_b32_e32 v56, vcc_hi, v5
	v_xor_b32_e32 v5, vcc_lo, v5
	v_and_b32_e32 v57, v177, v56
	v_and_b32_e32 v56, v178, v5
	v_mbcnt_lo_u32_b32 v5, v56, 0
	v_mbcnt_hi_u32_b32 v177, v57, v5
	v_cmp_eq_u32_e32 vcc, 0, v177
	v_cmp_ne_u64_e64 s[40:41], 0, v[56:57]
	s_and_b64 s[42:43], s[40:41], vcc
	; wave barrier
	s_and_saveexec_b64 s[40:41], s[42:43]
	s_cbranch_execz .LBB914_1086
; %bb.1085:                             ;   in Loop: Header=BB914_1040 Depth=2
	v_bcnt_u32_b32 v5, v56, 0
	v_bcnt_u32_b32 v5, v57, v5
	s_waitcnt lgkmcnt(0)
	v_add_u32_e32 v5, v173, v5
	ds_write_b32 v175, v5
.LBB914_1086:                           ;   in Loop: Header=BB914_1040 Depth=2
	s_or_b64 exec, exec, s[40:41]
	s_waitcnt vmcnt(11)
	v_xor_b32_e32 v176, 0x7fff, v176
	v_lshrrev_b32_sdwa v5, s89, v176 dst_sel:DWORD dst_unused:UNUSED_PAD src0_sel:DWORD src1_sel:WORD_0
	v_and_b32_e32 v56, s6, v5
	v_mul_u32_u24_e32 v5, 5, v56
	v_add_lshl_u32 v5, v5, v153, 2
	; wave barrier
	v_add_u32_e32 v180, 0x210, v5
	ds_read_b32 v178, v5 offset:528
	v_and_b32_e32 v5, 1, v56
	v_add_co_u32_e32 v57, vcc, -1, v5
	v_addc_co_u32_e64 v182, s[40:41], 0, -1, vcc
	v_cmp_ne_u32_e32 vcc, 0, v5
	v_xor_b32_e32 v5, vcc_hi, v182
	v_and_b32_e32 v182, exec_hi, v5
	v_lshlrev_b32_e32 v5, 30, v56
	v_xor_b32_e32 v57, vcc_lo, v57
	v_cmp_gt_i64_e32 vcc, 0, v[4:5]
	v_not_b32_e32 v5, v5
	v_ashrrev_i32_e32 v5, 31, v5
	v_and_b32_e32 v57, exec_lo, v57
	v_xor_b32_e32 v183, vcc_hi, v5
	v_xor_b32_e32 v5, vcc_lo, v5
	v_and_b32_e32 v57, v57, v5
	v_lshlrev_b32_e32 v5, 29, v56
	v_cmp_gt_i64_e32 vcc, 0, v[4:5]
	v_not_b32_e32 v5, v5
	v_ashrrev_i32_e32 v5, 31, v5
	v_and_b32_e32 v182, v182, v183
	v_xor_b32_e32 v183, vcc_hi, v5
	v_xor_b32_e32 v5, vcc_lo, v5
	v_and_b32_e32 v57, v57, v5
	v_lshlrev_b32_e32 v5, 28, v56
	v_cmp_gt_i64_e32 vcc, 0, v[4:5]
	v_not_b32_e32 v5, v5
	v_ashrrev_i32_e32 v5, 31, v5
	v_and_b32_e32 v182, v182, v183
	;; [unrolled: 8-line block ×4, first 2 shown]
	v_xor_b32_e32 v183, vcc_hi, v5
	v_xor_b32_e32 v5, vcc_lo, v5
	v_and_b32_e32 v182, v182, v183
	v_and_b32_e32 v183, v57, v5
	v_lshlrev_b32_e32 v5, 25, v56
	v_cmp_gt_i64_e32 vcc, 0, v[4:5]
	v_not_b32_e32 v5, v5
	v_ashrrev_i32_e32 v5, 31, v5
	v_xor_b32_e32 v56, vcc_hi, v5
	v_xor_b32_e32 v5, vcc_lo, v5
	v_and_b32_e32 v57, v182, v56
	v_and_b32_e32 v56, v183, v5
	v_mbcnt_lo_u32_b32 v5, v56, 0
	v_mbcnt_hi_u32_b32 v182, v57, v5
	v_cmp_eq_u32_e32 vcc, 0, v182
	v_cmp_ne_u64_e64 s[40:41], 0, v[56:57]
	s_and_b64 s[42:43], s[40:41], vcc
	; wave barrier
	s_and_saveexec_b64 s[40:41], s[42:43]
	s_cbranch_execz .LBB914_1088
; %bb.1087:                             ;   in Loop: Header=BB914_1040 Depth=2
	v_bcnt_u32_b32 v5, v56, 0
	v_bcnt_u32_b32 v5, v57, v5
	s_waitcnt lgkmcnt(0)
	v_add_u32_e32 v5, v178, v5
	ds_write_b32 v180, v5
.LBB914_1088:                           ;   in Loop: Header=BB914_1040 Depth=2
	s_or_b64 exec, exec, s[40:41]
	s_waitcnt vmcnt(10)
	v_xor_b32_e32 v181, 0x7fff, v181
	v_lshrrev_b32_sdwa v5, s89, v181 dst_sel:DWORD dst_unused:UNUSED_PAD src0_sel:DWORD src1_sel:WORD_0
	v_and_b32_e32 v56, s6, v5
	v_mul_u32_u24_e32 v5, 5, v56
	v_add_lshl_u32 v5, v5, v153, 2
	; wave barrier
	v_add_u32_e32 v185, 0x210, v5
	ds_read_b32 v183, v5 offset:528
	v_and_b32_e32 v5, 1, v56
	v_add_co_u32_e32 v57, vcc, -1, v5
	v_addc_co_u32_e64 v187, s[40:41], 0, -1, vcc
	v_cmp_ne_u32_e32 vcc, 0, v5
	v_xor_b32_e32 v5, vcc_hi, v187
	v_and_b32_e32 v187, exec_hi, v5
	v_lshlrev_b32_e32 v5, 30, v56
	v_xor_b32_e32 v57, vcc_lo, v57
	v_cmp_gt_i64_e32 vcc, 0, v[4:5]
	v_not_b32_e32 v5, v5
	v_ashrrev_i32_e32 v5, 31, v5
	v_and_b32_e32 v57, exec_lo, v57
	v_xor_b32_e32 v189, vcc_hi, v5
	v_xor_b32_e32 v5, vcc_lo, v5
	v_and_b32_e32 v57, v57, v5
	v_lshlrev_b32_e32 v5, 29, v56
	v_cmp_gt_i64_e32 vcc, 0, v[4:5]
	v_not_b32_e32 v5, v5
	v_ashrrev_i32_e32 v5, 31, v5
	v_and_b32_e32 v187, v187, v189
	v_xor_b32_e32 v189, vcc_hi, v5
	v_xor_b32_e32 v5, vcc_lo, v5
	v_and_b32_e32 v57, v57, v5
	v_lshlrev_b32_e32 v5, 28, v56
	v_cmp_gt_i64_e32 vcc, 0, v[4:5]
	v_not_b32_e32 v5, v5
	v_ashrrev_i32_e32 v5, 31, v5
	v_and_b32_e32 v187, v187, v189
	;; [unrolled: 8-line block ×4, first 2 shown]
	v_xor_b32_e32 v189, vcc_hi, v5
	v_xor_b32_e32 v5, vcc_lo, v5
	v_and_b32_e32 v187, v187, v189
	v_and_b32_e32 v189, v57, v5
	v_lshlrev_b32_e32 v5, 25, v56
	v_cmp_gt_i64_e32 vcc, 0, v[4:5]
	v_not_b32_e32 v5, v5
	v_ashrrev_i32_e32 v5, 31, v5
	v_xor_b32_e32 v56, vcc_hi, v5
	v_xor_b32_e32 v5, vcc_lo, v5
	v_and_b32_e32 v57, v187, v56
	v_and_b32_e32 v56, v189, v5
	v_mbcnt_lo_u32_b32 v5, v56, 0
	v_mbcnt_hi_u32_b32 v187, v57, v5
	v_cmp_eq_u32_e32 vcc, 0, v187
	v_cmp_ne_u64_e64 s[40:41], 0, v[56:57]
	s_and_b64 s[42:43], s[40:41], vcc
	; wave barrier
	s_and_saveexec_b64 s[40:41], s[42:43]
	s_cbranch_execz .LBB914_1090
; %bb.1089:                             ;   in Loop: Header=BB914_1040 Depth=2
	v_bcnt_u32_b32 v5, v56, 0
	v_bcnt_u32_b32 v5, v57, v5
	s_waitcnt lgkmcnt(0)
	v_add_u32_e32 v5, v183, v5
	ds_write_b32 v185, v5
.LBB914_1090:                           ;   in Loop: Header=BB914_1040 Depth=2
	s_or_b64 exec, exec, s[40:41]
	s_waitcnt vmcnt(9)
	v_xor_b32_e32 v186, 0x7fff, v186
	v_lshrrev_b32_sdwa v5, s89, v186 dst_sel:DWORD dst_unused:UNUSED_PAD src0_sel:DWORD src1_sel:WORD_0
	v_and_b32_e32 v56, s6, v5
	v_mul_u32_u24_e32 v5, 5, v56
	v_add_lshl_u32 v5, v5, v153, 2
	; wave barrier
	v_add_u32_e32 v190, 0x210, v5
	ds_read_b32 v189, v5 offset:528
	v_and_b32_e32 v5, 1, v56
	v_add_co_u32_e32 v57, vcc, -1, v5
	v_addc_co_u32_e64 v192, s[40:41], 0, -1, vcc
	v_cmp_ne_u32_e32 vcc, 0, v5
	v_xor_b32_e32 v5, vcc_hi, v192
	v_and_b32_e32 v192, exec_hi, v5
	v_lshlrev_b32_e32 v5, 30, v56
	v_xor_b32_e32 v57, vcc_lo, v57
	v_cmp_gt_i64_e32 vcc, 0, v[4:5]
	v_not_b32_e32 v5, v5
	v_ashrrev_i32_e32 v5, 31, v5
	v_and_b32_e32 v57, exec_lo, v57
	v_xor_b32_e32 v194, vcc_hi, v5
	v_xor_b32_e32 v5, vcc_lo, v5
	v_and_b32_e32 v57, v57, v5
	v_lshlrev_b32_e32 v5, 29, v56
	v_cmp_gt_i64_e32 vcc, 0, v[4:5]
	v_not_b32_e32 v5, v5
	v_ashrrev_i32_e32 v5, 31, v5
	v_and_b32_e32 v192, v192, v194
	v_xor_b32_e32 v194, vcc_hi, v5
	v_xor_b32_e32 v5, vcc_lo, v5
	v_and_b32_e32 v57, v57, v5
	v_lshlrev_b32_e32 v5, 28, v56
	v_cmp_gt_i64_e32 vcc, 0, v[4:5]
	v_not_b32_e32 v5, v5
	v_ashrrev_i32_e32 v5, 31, v5
	v_and_b32_e32 v192, v192, v194
	;; [unrolled: 8-line block ×4, first 2 shown]
	v_xor_b32_e32 v194, vcc_hi, v5
	v_xor_b32_e32 v5, vcc_lo, v5
	v_and_b32_e32 v192, v192, v194
	v_and_b32_e32 v194, v57, v5
	v_lshlrev_b32_e32 v5, 25, v56
	v_cmp_gt_i64_e32 vcc, 0, v[4:5]
	v_not_b32_e32 v5, v5
	v_ashrrev_i32_e32 v5, 31, v5
	v_xor_b32_e32 v56, vcc_hi, v5
	v_xor_b32_e32 v5, vcc_lo, v5
	v_and_b32_e32 v57, v192, v56
	v_and_b32_e32 v56, v194, v5
	v_mbcnt_lo_u32_b32 v5, v56, 0
	v_mbcnt_hi_u32_b32 v192, v57, v5
	v_cmp_eq_u32_e32 vcc, 0, v192
	v_cmp_ne_u64_e64 s[40:41], 0, v[56:57]
	s_and_b64 s[42:43], s[40:41], vcc
	; wave barrier
	s_and_saveexec_b64 s[40:41], s[42:43]
	s_cbranch_execz .LBB914_1092
; %bb.1091:                             ;   in Loop: Header=BB914_1040 Depth=2
	v_bcnt_u32_b32 v5, v56, 0
	v_bcnt_u32_b32 v5, v57, v5
	s_waitcnt lgkmcnt(0)
	v_add_u32_e32 v5, v189, v5
	ds_write_b32 v190, v5
.LBB914_1092:                           ;   in Loop: Header=BB914_1040 Depth=2
	s_or_b64 exec, exec, s[40:41]
	s_waitcnt vmcnt(8)
	v_xor_b32_e32 v191, 0x7fff, v191
	v_lshrrev_b32_sdwa v5, s89, v191 dst_sel:DWORD dst_unused:UNUSED_PAD src0_sel:DWORD src1_sel:WORD_0
	v_and_b32_e32 v56, s6, v5
	v_mul_u32_u24_e32 v5, 5, v56
	v_add_lshl_u32 v5, v5, v153, 2
	; wave barrier
	v_add_u32_e32 v195, 0x210, v5
	ds_read_b32 v194, v5 offset:528
	v_and_b32_e32 v5, 1, v56
	v_add_co_u32_e32 v57, vcc, -1, v5
	v_addc_co_u32_e64 v196, s[40:41], 0, -1, vcc
	v_cmp_ne_u32_e32 vcc, 0, v5
	v_xor_b32_e32 v5, vcc_hi, v196
	v_and_b32_e32 v196, exec_hi, v5
	v_lshlrev_b32_e32 v5, 30, v56
	v_xor_b32_e32 v57, vcc_lo, v57
	v_cmp_gt_i64_e32 vcc, 0, v[4:5]
	v_not_b32_e32 v5, v5
	v_ashrrev_i32_e32 v5, 31, v5
	v_and_b32_e32 v57, exec_lo, v57
	v_xor_b32_e32 v197, vcc_hi, v5
	v_xor_b32_e32 v5, vcc_lo, v5
	v_and_b32_e32 v57, v57, v5
	v_lshlrev_b32_e32 v5, 29, v56
	v_cmp_gt_i64_e32 vcc, 0, v[4:5]
	v_not_b32_e32 v5, v5
	v_ashrrev_i32_e32 v5, 31, v5
	v_and_b32_e32 v196, v196, v197
	v_xor_b32_e32 v197, vcc_hi, v5
	v_xor_b32_e32 v5, vcc_lo, v5
	v_and_b32_e32 v57, v57, v5
	v_lshlrev_b32_e32 v5, 28, v56
	v_cmp_gt_i64_e32 vcc, 0, v[4:5]
	v_not_b32_e32 v5, v5
	v_ashrrev_i32_e32 v5, 31, v5
	v_and_b32_e32 v196, v196, v197
	v_xor_b32_e32 v197, vcc_hi, v5
	v_xor_b32_e32 v5, vcc_lo, v5
	v_and_b32_e32 v57, v57, v5
	v_lshlrev_b32_e32 v5, 27, v56
	v_cmp_gt_i64_e32 vcc, 0, v[4:5]
	v_not_b32_e32 v5, v5
	v_ashrrev_i32_e32 v5, 31, v5
	v_and_b32_e32 v196, v196, v197
	v_xor_b32_e32 v197, vcc_hi, v5
	v_xor_b32_e32 v5, vcc_lo, v5
	v_and_b32_e32 v57, v57, v5
	v_lshlrev_b32_e32 v5, 26, v56
	v_cmp_gt_i64_e32 vcc, 0, v[4:5]
	v_not_b32_e32 v5, v5
	v_ashrrev_i32_e32 v5, 31, v5
	v_and_b32_e32 v196, v196, v197
	v_xor_b32_e32 v197, vcc_hi, v5
	v_xor_b32_e32 v5, vcc_lo, v5
	v_and_b32_e32 v196, v196, v197
	v_and_b32_e32 v197, v57, v5
	v_lshlrev_b32_e32 v5, 25, v56
	v_cmp_gt_i64_e32 vcc, 0, v[4:5]
	v_not_b32_e32 v5, v5
	v_ashrrev_i32_e32 v5, 31, v5
	v_xor_b32_e32 v56, vcc_hi, v5
	v_xor_b32_e32 v5, vcc_lo, v5
	v_and_b32_e32 v57, v196, v56
	v_and_b32_e32 v56, v197, v5
	v_mbcnt_lo_u32_b32 v5, v56, 0
	v_mbcnt_hi_u32_b32 v196, v57, v5
	v_cmp_eq_u32_e32 vcc, 0, v196
	v_cmp_ne_u64_e64 s[40:41], 0, v[56:57]
	s_and_b64 s[42:43], s[40:41], vcc
	; wave barrier
	s_and_saveexec_b64 s[40:41], s[42:43]
	s_cbranch_execz .LBB914_1094
; %bb.1093:                             ;   in Loop: Header=BB914_1040 Depth=2
	v_bcnt_u32_b32 v5, v56, 0
	v_bcnt_u32_b32 v5, v57, v5
	s_waitcnt lgkmcnt(0)
	v_add_u32_e32 v5, v194, v5
	ds_write_b32 v195, v5
.LBB914_1094:                           ;   in Loop: Header=BB914_1040 Depth=2
	s_or_b64 exec, exec, s[40:41]
	s_waitcnt vmcnt(7)
	v_xor_b32_e32 v193, 0x7fff, v193
	v_lshrrev_b32_sdwa v5, s89, v193 dst_sel:DWORD dst_unused:UNUSED_PAD src0_sel:DWORD src1_sel:WORD_0
	v_and_b32_e32 v56, s6, v5
	v_mul_u32_u24_e32 v5, 5, v56
	v_add_lshl_u32 v5, v5, v153, 2
	; wave barrier
	v_add_u32_e32 v198, 0x210, v5
	ds_read_b32 v197, v5 offset:528
	v_and_b32_e32 v5, 1, v56
	v_add_co_u32_e32 v57, vcc, -1, v5
	v_addc_co_u32_e64 v199, s[40:41], 0, -1, vcc
	v_cmp_ne_u32_e32 vcc, 0, v5
	v_xor_b32_e32 v5, vcc_hi, v199
	v_and_b32_e32 v199, exec_hi, v5
	v_lshlrev_b32_e32 v5, 30, v56
	v_xor_b32_e32 v57, vcc_lo, v57
	v_cmp_gt_i64_e32 vcc, 0, v[4:5]
	v_not_b32_e32 v5, v5
	v_ashrrev_i32_e32 v5, 31, v5
	v_and_b32_e32 v57, exec_lo, v57
	v_xor_b32_e32 v200, vcc_hi, v5
	v_xor_b32_e32 v5, vcc_lo, v5
	v_and_b32_e32 v57, v57, v5
	v_lshlrev_b32_e32 v5, 29, v56
	v_cmp_gt_i64_e32 vcc, 0, v[4:5]
	v_not_b32_e32 v5, v5
	v_ashrrev_i32_e32 v5, 31, v5
	v_and_b32_e32 v199, v199, v200
	v_xor_b32_e32 v200, vcc_hi, v5
	v_xor_b32_e32 v5, vcc_lo, v5
	v_and_b32_e32 v57, v57, v5
	v_lshlrev_b32_e32 v5, 28, v56
	v_cmp_gt_i64_e32 vcc, 0, v[4:5]
	v_not_b32_e32 v5, v5
	v_ashrrev_i32_e32 v5, 31, v5
	v_and_b32_e32 v199, v199, v200
	;; [unrolled: 8-line block ×4, first 2 shown]
	v_xor_b32_e32 v200, vcc_hi, v5
	v_xor_b32_e32 v5, vcc_lo, v5
	v_and_b32_e32 v199, v199, v200
	v_and_b32_e32 v200, v57, v5
	v_lshlrev_b32_e32 v5, 25, v56
	v_cmp_gt_i64_e32 vcc, 0, v[4:5]
	v_not_b32_e32 v5, v5
	v_ashrrev_i32_e32 v5, 31, v5
	v_xor_b32_e32 v56, vcc_hi, v5
	v_xor_b32_e32 v5, vcc_lo, v5
	v_and_b32_e32 v57, v199, v56
	v_and_b32_e32 v56, v200, v5
	v_mbcnt_lo_u32_b32 v5, v56, 0
	v_mbcnt_hi_u32_b32 v199, v57, v5
	v_cmp_eq_u32_e32 vcc, 0, v199
	v_cmp_ne_u64_e64 s[40:41], 0, v[56:57]
	s_and_b64 s[42:43], s[40:41], vcc
	; wave barrier
	s_and_saveexec_b64 s[40:41], s[42:43]
	s_cbranch_execz .LBB914_1096
; %bb.1095:                             ;   in Loop: Header=BB914_1040 Depth=2
	v_bcnt_u32_b32 v5, v56, 0
	v_bcnt_u32_b32 v5, v57, v5
	s_waitcnt lgkmcnt(0)
	v_add_u32_e32 v5, v197, v5
	ds_write_b32 v198, v5
.LBB914_1096:                           ;   in Loop: Header=BB914_1040 Depth=2
	s_or_b64 exec, exec, s[40:41]
	s_waitcnt vmcnt(6)
	v_xor_b32_e32 v188, 0x7fff, v188
	v_lshrrev_b32_sdwa v5, s89, v188 dst_sel:DWORD dst_unused:UNUSED_PAD src0_sel:DWORD src1_sel:WORD_0
	v_and_b32_e32 v56, s6, v5
	v_mul_u32_u24_e32 v5, 5, v56
	v_add_lshl_u32 v5, v5, v153, 2
	; wave barrier
	v_add_u32_e32 v201, 0x210, v5
	ds_read_b32 v200, v5 offset:528
	v_and_b32_e32 v5, 1, v56
	v_add_co_u32_e32 v57, vcc, -1, v5
	v_addc_co_u32_e64 v202, s[40:41], 0, -1, vcc
	v_cmp_ne_u32_e32 vcc, 0, v5
	v_xor_b32_e32 v5, vcc_hi, v202
	v_and_b32_e32 v202, exec_hi, v5
	v_lshlrev_b32_e32 v5, 30, v56
	v_xor_b32_e32 v57, vcc_lo, v57
	v_cmp_gt_i64_e32 vcc, 0, v[4:5]
	v_not_b32_e32 v5, v5
	v_ashrrev_i32_e32 v5, 31, v5
	v_and_b32_e32 v57, exec_lo, v57
	v_xor_b32_e32 v203, vcc_hi, v5
	v_xor_b32_e32 v5, vcc_lo, v5
	v_and_b32_e32 v57, v57, v5
	v_lshlrev_b32_e32 v5, 29, v56
	v_cmp_gt_i64_e32 vcc, 0, v[4:5]
	v_not_b32_e32 v5, v5
	v_ashrrev_i32_e32 v5, 31, v5
	v_and_b32_e32 v202, v202, v203
	v_xor_b32_e32 v203, vcc_hi, v5
	v_xor_b32_e32 v5, vcc_lo, v5
	v_and_b32_e32 v57, v57, v5
	v_lshlrev_b32_e32 v5, 28, v56
	v_cmp_gt_i64_e32 vcc, 0, v[4:5]
	v_not_b32_e32 v5, v5
	v_ashrrev_i32_e32 v5, 31, v5
	v_and_b32_e32 v202, v202, v203
	;; [unrolled: 8-line block ×4, first 2 shown]
	v_xor_b32_e32 v203, vcc_hi, v5
	v_xor_b32_e32 v5, vcc_lo, v5
	v_and_b32_e32 v202, v202, v203
	v_and_b32_e32 v203, v57, v5
	v_lshlrev_b32_e32 v5, 25, v56
	v_cmp_gt_i64_e32 vcc, 0, v[4:5]
	v_not_b32_e32 v5, v5
	v_ashrrev_i32_e32 v5, 31, v5
	v_xor_b32_e32 v56, vcc_hi, v5
	v_xor_b32_e32 v5, vcc_lo, v5
	v_and_b32_e32 v57, v202, v56
	v_and_b32_e32 v56, v203, v5
	v_mbcnt_lo_u32_b32 v5, v56, 0
	v_mbcnt_hi_u32_b32 v202, v57, v5
	v_cmp_eq_u32_e32 vcc, 0, v202
	v_cmp_ne_u64_e64 s[40:41], 0, v[56:57]
	s_and_b64 s[42:43], s[40:41], vcc
	; wave barrier
	s_and_saveexec_b64 s[40:41], s[42:43]
	s_cbranch_execz .LBB914_1098
; %bb.1097:                             ;   in Loop: Header=BB914_1040 Depth=2
	v_bcnt_u32_b32 v5, v56, 0
	v_bcnt_u32_b32 v5, v57, v5
	s_waitcnt lgkmcnt(0)
	v_add_u32_e32 v5, v200, v5
	ds_write_b32 v201, v5
.LBB914_1098:                           ;   in Loop: Header=BB914_1040 Depth=2
	s_or_b64 exec, exec, s[40:41]
	s_waitcnt vmcnt(5)
	v_xor_b32_e32 v184, 0x7fff, v184
	v_lshrrev_b32_sdwa v5, s89, v184 dst_sel:DWORD dst_unused:UNUSED_PAD src0_sel:DWORD src1_sel:WORD_0
	v_and_b32_e32 v56, s6, v5
	v_mul_u32_u24_e32 v5, 5, v56
	v_add_lshl_u32 v5, v5, v153, 2
	; wave barrier
	v_add_u32_e32 v205, 0x210, v5
	ds_read_b32 v203, v5 offset:528
	v_and_b32_e32 v5, 1, v56
	v_add_co_u32_e32 v57, vcc, -1, v5
	v_addc_co_u32_e64 v204, s[40:41], 0, -1, vcc
	v_cmp_ne_u32_e32 vcc, 0, v5
	v_xor_b32_e32 v5, vcc_hi, v204
	v_and_b32_e32 v204, exec_hi, v5
	v_lshlrev_b32_e32 v5, 30, v56
	v_xor_b32_e32 v57, vcc_lo, v57
	v_cmp_gt_i64_e32 vcc, 0, v[4:5]
	v_not_b32_e32 v5, v5
	v_ashrrev_i32_e32 v5, 31, v5
	v_and_b32_e32 v57, exec_lo, v57
	v_xor_b32_e32 v206, vcc_hi, v5
	v_xor_b32_e32 v5, vcc_lo, v5
	v_and_b32_e32 v57, v57, v5
	v_lshlrev_b32_e32 v5, 29, v56
	v_cmp_gt_i64_e32 vcc, 0, v[4:5]
	v_not_b32_e32 v5, v5
	v_ashrrev_i32_e32 v5, 31, v5
	v_and_b32_e32 v204, v204, v206
	v_xor_b32_e32 v206, vcc_hi, v5
	v_xor_b32_e32 v5, vcc_lo, v5
	v_and_b32_e32 v57, v57, v5
	v_lshlrev_b32_e32 v5, 28, v56
	v_cmp_gt_i64_e32 vcc, 0, v[4:5]
	v_not_b32_e32 v5, v5
	v_ashrrev_i32_e32 v5, 31, v5
	v_and_b32_e32 v204, v204, v206
	;; [unrolled: 8-line block ×4, first 2 shown]
	v_xor_b32_e32 v206, vcc_hi, v5
	v_xor_b32_e32 v5, vcc_lo, v5
	v_and_b32_e32 v204, v204, v206
	v_and_b32_e32 v206, v57, v5
	v_lshlrev_b32_e32 v5, 25, v56
	v_cmp_gt_i64_e32 vcc, 0, v[4:5]
	v_not_b32_e32 v5, v5
	v_ashrrev_i32_e32 v5, 31, v5
	v_xor_b32_e32 v56, vcc_hi, v5
	v_xor_b32_e32 v5, vcc_lo, v5
	v_and_b32_e32 v57, v204, v56
	v_and_b32_e32 v56, v206, v5
	v_mbcnt_lo_u32_b32 v5, v56, 0
	v_mbcnt_hi_u32_b32 v206, v57, v5
	v_cmp_eq_u32_e32 vcc, 0, v206
	v_cmp_ne_u64_e64 s[40:41], 0, v[56:57]
	s_and_b64 s[42:43], s[40:41], vcc
	; wave barrier
	s_and_saveexec_b64 s[40:41], s[42:43]
	s_cbranch_execz .LBB914_1100
; %bb.1099:                             ;   in Loop: Header=BB914_1040 Depth=2
	v_bcnt_u32_b32 v5, v56, 0
	v_bcnt_u32_b32 v5, v57, v5
	s_waitcnt lgkmcnt(0)
	v_add_u32_e32 v5, v203, v5
	ds_write_b32 v205, v5
.LBB914_1100:                           ;   in Loop: Header=BB914_1040 Depth=2
	s_or_b64 exec, exec, s[40:41]
	s_waitcnt vmcnt(4)
	v_xor_b32_e32 v204, 0x7fff, v179
	v_lshrrev_b32_sdwa v5, s89, v204 dst_sel:DWORD dst_unused:UNUSED_PAD src0_sel:DWORD src1_sel:WORD_0
	v_and_b32_e32 v56, s6, v5
	v_mul_u32_u24_e32 v5, 5, v56
	v_add_lshl_u32 v5, v5, v153, 2
	; wave barrier
	v_add_u32_e32 v179, 0x210, v5
	ds_read_b32 v207, v5 offset:528
	v_and_b32_e32 v5, 1, v56
	v_add_co_u32_e32 v57, vcc, -1, v5
	v_addc_co_u32_e64 v208, s[40:41], 0, -1, vcc
	v_cmp_ne_u32_e32 vcc, 0, v5
	v_xor_b32_e32 v5, vcc_hi, v208
	v_and_b32_e32 v208, exec_hi, v5
	v_lshlrev_b32_e32 v5, 30, v56
	v_xor_b32_e32 v57, vcc_lo, v57
	v_cmp_gt_i64_e32 vcc, 0, v[4:5]
	v_not_b32_e32 v5, v5
	v_ashrrev_i32_e32 v5, 31, v5
	v_and_b32_e32 v57, exec_lo, v57
	v_xor_b32_e32 v209, vcc_hi, v5
	v_xor_b32_e32 v5, vcc_lo, v5
	v_and_b32_e32 v57, v57, v5
	v_lshlrev_b32_e32 v5, 29, v56
	v_cmp_gt_i64_e32 vcc, 0, v[4:5]
	v_not_b32_e32 v5, v5
	v_ashrrev_i32_e32 v5, 31, v5
	v_and_b32_e32 v208, v208, v209
	v_xor_b32_e32 v209, vcc_hi, v5
	v_xor_b32_e32 v5, vcc_lo, v5
	v_and_b32_e32 v57, v57, v5
	v_lshlrev_b32_e32 v5, 28, v56
	v_cmp_gt_i64_e32 vcc, 0, v[4:5]
	v_not_b32_e32 v5, v5
	v_ashrrev_i32_e32 v5, 31, v5
	v_and_b32_e32 v208, v208, v209
	;; [unrolled: 8-line block ×4, first 2 shown]
	v_xor_b32_e32 v209, vcc_hi, v5
	v_xor_b32_e32 v5, vcc_lo, v5
	v_and_b32_e32 v208, v208, v209
	v_and_b32_e32 v209, v57, v5
	v_lshlrev_b32_e32 v5, 25, v56
	v_cmp_gt_i64_e32 vcc, 0, v[4:5]
	v_not_b32_e32 v5, v5
	v_ashrrev_i32_e32 v5, 31, v5
	v_xor_b32_e32 v56, vcc_hi, v5
	v_xor_b32_e32 v5, vcc_lo, v5
	v_and_b32_e32 v57, v208, v56
	v_and_b32_e32 v56, v209, v5
	v_mbcnt_lo_u32_b32 v5, v56, 0
	v_mbcnt_hi_u32_b32 v209, v57, v5
	v_cmp_eq_u32_e32 vcc, 0, v209
	v_cmp_ne_u64_e64 s[40:41], 0, v[56:57]
	s_and_b64 s[42:43], s[40:41], vcc
	; wave barrier
	s_and_saveexec_b64 s[40:41], s[42:43]
	s_cbranch_execz .LBB914_1102
; %bb.1101:                             ;   in Loop: Header=BB914_1040 Depth=2
	v_bcnt_u32_b32 v5, v56, 0
	v_bcnt_u32_b32 v5, v57, v5
	s_waitcnt lgkmcnt(0)
	v_add_u32_e32 v5, v207, v5
	ds_write_b32 v179, v5
.LBB914_1102:                           ;   in Loop: Header=BB914_1040 Depth=2
	s_or_b64 exec, exec, s[40:41]
	s_waitcnt vmcnt(3)
	v_xor_b32_e32 v208, 0x7fff, v174
	v_lshrrev_b32_sdwa v5, s89, v208 dst_sel:DWORD dst_unused:UNUSED_PAD src0_sel:DWORD src1_sel:WORD_0
	v_and_b32_e32 v56, s6, v5
	v_mul_u32_u24_e32 v5, 5, v56
	v_add_lshl_u32 v5, v5, v153, 2
	; wave barrier
	v_add_u32_e32 v174, 0x210, v5
	ds_read_b32 v210, v5 offset:528
	v_and_b32_e32 v5, 1, v56
	v_add_co_u32_e32 v57, vcc, -1, v5
	v_addc_co_u32_e64 v211, s[40:41], 0, -1, vcc
	v_cmp_ne_u32_e32 vcc, 0, v5
	v_xor_b32_e32 v5, vcc_hi, v211
	v_and_b32_e32 v211, exec_hi, v5
	v_lshlrev_b32_e32 v5, 30, v56
	v_xor_b32_e32 v57, vcc_lo, v57
	v_cmp_gt_i64_e32 vcc, 0, v[4:5]
	v_not_b32_e32 v5, v5
	v_ashrrev_i32_e32 v5, 31, v5
	v_and_b32_e32 v57, exec_lo, v57
	v_xor_b32_e32 v212, vcc_hi, v5
	v_xor_b32_e32 v5, vcc_lo, v5
	v_and_b32_e32 v57, v57, v5
	v_lshlrev_b32_e32 v5, 29, v56
	v_cmp_gt_i64_e32 vcc, 0, v[4:5]
	v_not_b32_e32 v5, v5
	v_ashrrev_i32_e32 v5, 31, v5
	v_and_b32_e32 v211, v211, v212
	v_xor_b32_e32 v212, vcc_hi, v5
	v_xor_b32_e32 v5, vcc_lo, v5
	v_and_b32_e32 v57, v57, v5
	v_lshlrev_b32_e32 v5, 28, v56
	v_cmp_gt_i64_e32 vcc, 0, v[4:5]
	v_not_b32_e32 v5, v5
	v_ashrrev_i32_e32 v5, 31, v5
	v_and_b32_e32 v211, v211, v212
	;; [unrolled: 8-line block ×4, first 2 shown]
	v_xor_b32_e32 v212, vcc_hi, v5
	v_xor_b32_e32 v5, vcc_lo, v5
	v_and_b32_e32 v211, v211, v212
	v_and_b32_e32 v212, v57, v5
	v_lshlrev_b32_e32 v5, 25, v56
	v_cmp_gt_i64_e32 vcc, 0, v[4:5]
	v_not_b32_e32 v5, v5
	v_ashrrev_i32_e32 v5, 31, v5
	v_xor_b32_e32 v56, vcc_hi, v5
	v_xor_b32_e32 v5, vcc_lo, v5
	v_and_b32_e32 v57, v211, v56
	v_and_b32_e32 v56, v212, v5
	v_mbcnt_lo_u32_b32 v5, v56, 0
	v_mbcnt_hi_u32_b32 v212, v57, v5
	v_cmp_eq_u32_e32 vcc, 0, v212
	v_cmp_ne_u64_e64 s[40:41], 0, v[56:57]
	s_and_b64 s[42:43], s[40:41], vcc
	; wave barrier
	s_and_saveexec_b64 s[40:41], s[42:43]
	s_cbranch_execz .LBB914_1104
; %bb.1103:                             ;   in Loop: Header=BB914_1040 Depth=2
	v_bcnt_u32_b32 v5, v56, 0
	v_bcnt_u32_b32 v5, v57, v5
	s_waitcnt lgkmcnt(0)
	v_add_u32_e32 v5, v210, v5
	ds_write_b32 v174, v5
.LBB914_1104:                           ;   in Loop: Header=BB914_1040 Depth=2
	s_or_b64 exec, exec, s[40:41]
	s_waitcnt vmcnt(2)
	v_xor_b32_e32 v211, 0x7fff, v169
	v_lshrrev_b32_sdwa v5, s89, v211 dst_sel:DWORD dst_unused:UNUSED_PAD src0_sel:DWORD src1_sel:WORD_0
	v_and_b32_e32 v56, s6, v5
	v_mul_u32_u24_e32 v5, 5, v56
	v_add_lshl_u32 v5, v5, v153, 2
	; wave barrier
	v_add_u32_e32 v169, 0x210, v5
	ds_read_b32 v213, v5 offset:528
	v_and_b32_e32 v5, 1, v56
	v_add_co_u32_e32 v57, vcc, -1, v5
	v_addc_co_u32_e64 v214, s[40:41], 0, -1, vcc
	v_cmp_ne_u32_e32 vcc, 0, v5
	v_xor_b32_e32 v5, vcc_hi, v214
	v_and_b32_e32 v214, exec_hi, v5
	v_lshlrev_b32_e32 v5, 30, v56
	v_xor_b32_e32 v57, vcc_lo, v57
	v_cmp_gt_i64_e32 vcc, 0, v[4:5]
	v_not_b32_e32 v5, v5
	v_ashrrev_i32_e32 v5, 31, v5
	v_and_b32_e32 v57, exec_lo, v57
	v_xor_b32_e32 v215, vcc_hi, v5
	v_xor_b32_e32 v5, vcc_lo, v5
	v_and_b32_e32 v57, v57, v5
	v_lshlrev_b32_e32 v5, 29, v56
	v_cmp_gt_i64_e32 vcc, 0, v[4:5]
	v_not_b32_e32 v5, v5
	v_ashrrev_i32_e32 v5, 31, v5
	v_and_b32_e32 v214, v214, v215
	v_xor_b32_e32 v215, vcc_hi, v5
	v_xor_b32_e32 v5, vcc_lo, v5
	v_and_b32_e32 v57, v57, v5
	v_lshlrev_b32_e32 v5, 28, v56
	v_cmp_gt_i64_e32 vcc, 0, v[4:5]
	v_not_b32_e32 v5, v5
	v_ashrrev_i32_e32 v5, 31, v5
	v_and_b32_e32 v214, v214, v215
	;; [unrolled: 8-line block ×4, first 2 shown]
	v_xor_b32_e32 v215, vcc_hi, v5
	v_xor_b32_e32 v5, vcc_lo, v5
	v_and_b32_e32 v214, v214, v215
	v_and_b32_e32 v215, v57, v5
	v_lshlrev_b32_e32 v5, 25, v56
	v_cmp_gt_i64_e32 vcc, 0, v[4:5]
	v_not_b32_e32 v5, v5
	v_ashrrev_i32_e32 v5, 31, v5
	v_xor_b32_e32 v56, vcc_hi, v5
	v_xor_b32_e32 v5, vcc_lo, v5
	v_and_b32_e32 v57, v214, v56
	v_and_b32_e32 v56, v215, v5
	v_mbcnt_lo_u32_b32 v5, v56, 0
	v_mbcnt_hi_u32_b32 v215, v57, v5
	v_cmp_eq_u32_e32 vcc, 0, v215
	v_cmp_ne_u64_e64 s[40:41], 0, v[56:57]
	s_and_b64 s[42:43], s[40:41], vcc
	; wave barrier
	s_and_saveexec_b64 s[40:41], s[42:43]
	s_cbranch_execz .LBB914_1106
; %bb.1105:                             ;   in Loop: Header=BB914_1040 Depth=2
	v_bcnt_u32_b32 v5, v56, 0
	v_bcnt_u32_b32 v5, v57, v5
	s_waitcnt lgkmcnt(0)
	v_add_u32_e32 v5, v213, v5
	ds_write_b32 v169, v5
.LBB914_1106:                           ;   in Loop: Header=BB914_1040 Depth=2
	s_or_b64 exec, exec, s[40:41]
	s_waitcnt vmcnt(0)
	v_xor_b32_e32 v214, 0x7fff, v164
	v_lshrrev_b32_sdwa v5, s89, v214 dst_sel:DWORD dst_unused:UNUSED_PAD src0_sel:DWORD src1_sel:WORD_0
	v_and_b32_e32 v56, s6, v5
	v_mul_u32_u24_e32 v5, 5, v56
	v_add_lshl_u32 v5, v5, v153, 2
	; wave barrier
	v_add_u32_e32 v164, 0x210, v5
	ds_read_b32 v216, v5 offset:528
	v_and_b32_e32 v5, 1, v56
	v_add_co_u32_e32 v57, vcc, -1, v5
	v_addc_co_u32_e64 v217, s[40:41], 0, -1, vcc
	v_cmp_ne_u32_e32 vcc, 0, v5
	v_xor_b32_e32 v5, vcc_hi, v217
	v_and_b32_e32 v217, exec_hi, v5
	v_lshlrev_b32_e32 v5, 30, v56
	v_xor_b32_e32 v57, vcc_lo, v57
	v_cmp_gt_i64_e32 vcc, 0, v[4:5]
	v_not_b32_e32 v5, v5
	v_ashrrev_i32_e32 v5, 31, v5
	v_and_b32_e32 v57, exec_lo, v57
	v_xor_b32_e32 v218, vcc_hi, v5
	v_xor_b32_e32 v5, vcc_lo, v5
	v_and_b32_e32 v57, v57, v5
	v_lshlrev_b32_e32 v5, 29, v56
	v_cmp_gt_i64_e32 vcc, 0, v[4:5]
	v_not_b32_e32 v5, v5
	v_ashrrev_i32_e32 v5, 31, v5
	v_and_b32_e32 v217, v217, v218
	v_xor_b32_e32 v218, vcc_hi, v5
	v_xor_b32_e32 v5, vcc_lo, v5
	v_and_b32_e32 v57, v57, v5
	v_lshlrev_b32_e32 v5, 28, v56
	v_cmp_gt_i64_e32 vcc, 0, v[4:5]
	v_not_b32_e32 v5, v5
	v_ashrrev_i32_e32 v5, 31, v5
	v_and_b32_e32 v217, v217, v218
	;; [unrolled: 8-line block ×4, first 2 shown]
	v_xor_b32_e32 v218, vcc_hi, v5
	v_xor_b32_e32 v5, vcc_lo, v5
	v_and_b32_e32 v217, v217, v218
	v_and_b32_e32 v218, v57, v5
	v_lshlrev_b32_e32 v5, 25, v56
	v_cmp_gt_i64_e32 vcc, 0, v[4:5]
	v_not_b32_e32 v5, v5
	v_ashrrev_i32_e32 v5, 31, v5
	v_xor_b32_e32 v56, vcc_hi, v5
	v_xor_b32_e32 v5, vcc_lo, v5
	v_and_b32_e32 v57, v217, v56
	v_and_b32_e32 v56, v218, v5
	v_mbcnt_lo_u32_b32 v5, v56, 0
	v_mbcnt_hi_u32_b32 v218, v57, v5
	v_cmp_eq_u32_e32 vcc, 0, v218
	v_cmp_ne_u64_e64 s[40:41], 0, v[56:57]
	s_and_b64 s[42:43], s[40:41], vcc
	; wave barrier
	s_and_saveexec_b64 s[40:41], s[42:43]
	s_cbranch_execz .LBB914_1108
; %bb.1107:                             ;   in Loop: Header=BB914_1040 Depth=2
	v_bcnt_u32_b32 v5, v56, 0
	v_bcnt_u32_b32 v5, v57, v5
	s_waitcnt lgkmcnt(0)
	v_add_u32_e32 v5, v216, v5
	ds_write_b32 v164, v5
.LBB914_1108:                           ;   in Loop: Header=BB914_1040 Depth=2
	s_or_b64 exec, exec, s[40:41]
	v_xor_b32_e32 v217, 0x7fff, v159
	v_lshrrev_b32_sdwa v5, s89, v217 dst_sel:DWORD dst_unused:UNUSED_PAD src0_sel:DWORD src1_sel:WORD_0
	v_and_b32_e32 v56, s6, v5
	v_mul_u32_u24_e32 v5, 5, v56
	v_add_lshl_u32 v5, v5, v153, 2
	; wave barrier
	v_add_u32_e32 v159, 0x210, v5
	ds_read_b32 v219, v5 offset:528
	v_and_b32_e32 v5, 1, v56
	v_add_co_u32_e32 v57, vcc, -1, v5
	v_addc_co_u32_e64 v220, s[40:41], 0, -1, vcc
	v_cmp_ne_u32_e32 vcc, 0, v5
	v_xor_b32_e32 v5, vcc_hi, v220
	v_and_b32_e32 v220, exec_hi, v5
	v_lshlrev_b32_e32 v5, 30, v56
	v_xor_b32_e32 v57, vcc_lo, v57
	v_cmp_gt_i64_e32 vcc, 0, v[4:5]
	v_not_b32_e32 v5, v5
	v_ashrrev_i32_e32 v5, 31, v5
	v_and_b32_e32 v57, exec_lo, v57
	v_xor_b32_e32 v221, vcc_hi, v5
	v_xor_b32_e32 v5, vcc_lo, v5
	v_and_b32_e32 v57, v57, v5
	v_lshlrev_b32_e32 v5, 29, v56
	v_cmp_gt_i64_e32 vcc, 0, v[4:5]
	v_not_b32_e32 v5, v5
	v_ashrrev_i32_e32 v5, 31, v5
	v_and_b32_e32 v220, v220, v221
	v_xor_b32_e32 v221, vcc_hi, v5
	v_xor_b32_e32 v5, vcc_lo, v5
	v_and_b32_e32 v57, v57, v5
	v_lshlrev_b32_e32 v5, 28, v56
	v_cmp_gt_i64_e32 vcc, 0, v[4:5]
	v_not_b32_e32 v5, v5
	v_ashrrev_i32_e32 v5, 31, v5
	v_and_b32_e32 v220, v220, v221
	;; [unrolled: 8-line block ×4, first 2 shown]
	v_xor_b32_e32 v221, vcc_hi, v5
	v_xor_b32_e32 v5, vcc_lo, v5
	v_and_b32_e32 v220, v220, v221
	v_and_b32_e32 v221, v57, v5
	v_lshlrev_b32_e32 v5, 25, v56
	v_cmp_gt_i64_e32 vcc, 0, v[4:5]
	v_not_b32_e32 v5, v5
	v_ashrrev_i32_e32 v5, 31, v5
	v_xor_b32_e32 v56, vcc_hi, v5
	v_xor_b32_e32 v5, vcc_lo, v5
	v_and_b32_e32 v57, v220, v56
	v_and_b32_e32 v56, v221, v5
	v_mbcnt_lo_u32_b32 v5, v56, 0
	v_mbcnt_hi_u32_b32 v221, v57, v5
	v_cmp_eq_u32_e32 vcc, 0, v221
	v_cmp_ne_u64_e64 s[40:41], 0, v[56:57]
	s_and_b64 s[42:43], s[40:41], vcc
	; wave barrier
	s_and_saveexec_b64 s[40:41], s[42:43]
	s_cbranch_execz .LBB914_1110
; %bb.1109:                             ;   in Loop: Header=BB914_1040 Depth=2
	v_bcnt_u32_b32 v5, v56, 0
	v_bcnt_u32_b32 v5, v57, v5
	s_waitcnt lgkmcnt(0)
	v_add_u32_e32 v5, v219, v5
	ds_write_b32 v159, v5
.LBB914_1110:                           ;   in Loop: Header=BB914_1040 Depth=2
	s_or_b64 exec, exec, s[40:41]
	v_xor_b32_e32 v220, 0x7fff, v166
	v_lshrrev_b32_sdwa v5, s89, v220 dst_sel:DWORD dst_unused:UNUSED_PAD src0_sel:DWORD src1_sel:WORD_0
	v_and_b32_e32 v56, s6, v5
	v_mul_u32_u24_e32 v5, 5, v56
	v_add_lshl_u32 v5, v5, v153, 2
	; wave barrier
	v_add_u32_e32 v166, 0x210, v5
	ds_read_b32 v222, v5 offset:528
	v_and_b32_e32 v5, 1, v56
	v_add_co_u32_e32 v57, vcc, -1, v5
	v_addc_co_u32_e64 v223, s[40:41], 0, -1, vcc
	v_cmp_ne_u32_e32 vcc, 0, v5
	v_xor_b32_e32 v5, vcc_hi, v223
	v_and_b32_e32 v223, exec_hi, v5
	v_lshlrev_b32_e32 v5, 30, v56
	v_xor_b32_e32 v57, vcc_lo, v57
	v_cmp_gt_i64_e32 vcc, 0, v[4:5]
	v_not_b32_e32 v5, v5
	v_ashrrev_i32_e32 v5, 31, v5
	v_and_b32_e32 v57, exec_lo, v57
	v_xor_b32_e32 v224, vcc_hi, v5
	v_xor_b32_e32 v5, vcc_lo, v5
	v_and_b32_e32 v57, v57, v5
	v_lshlrev_b32_e32 v5, 29, v56
	v_cmp_gt_i64_e32 vcc, 0, v[4:5]
	v_not_b32_e32 v5, v5
	v_ashrrev_i32_e32 v5, 31, v5
	v_and_b32_e32 v223, v223, v224
	v_xor_b32_e32 v224, vcc_hi, v5
	v_xor_b32_e32 v5, vcc_lo, v5
	v_and_b32_e32 v57, v57, v5
	v_lshlrev_b32_e32 v5, 28, v56
	v_cmp_gt_i64_e32 vcc, 0, v[4:5]
	v_not_b32_e32 v5, v5
	v_ashrrev_i32_e32 v5, 31, v5
	v_and_b32_e32 v223, v223, v224
	;; [unrolled: 8-line block ×4, first 2 shown]
	v_xor_b32_e32 v224, vcc_hi, v5
	v_xor_b32_e32 v5, vcc_lo, v5
	v_and_b32_e32 v223, v223, v224
	v_and_b32_e32 v224, v57, v5
	v_lshlrev_b32_e32 v5, 25, v56
	v_cmp_gt_i64_e32 vcc, 0, v[4:5]
	v_not_b32_e32 v5, v5
	v_ashrrev_i32_e32 v5, 31, v5
	v_xor_b32_e32 v56, vcc_hi, v5
	v_xor_b32_e32 v5, vcc_lo, v5
	v_and_b32_e32 v57, v223, v56
	v_and_b32_e32 v56, v224, v5
	v_mbcnt_lo_u32_b32 v5, v56, 0
	v_mbcnt_hi_u32_b32 v5, v57, v5
	v_cmp_eq_u32_e32 vcc, 0, v5
	v_cmp_ne_u64_e64 s[40:41], 0, v[56:57]
	s_and_b64 s[42:43], s[40:41], vcc
	; wave barrier
	s_and_saveexec_b64 s[40:41], s[42:43]
	s_cbranch_execz .LBB914_1112
; %bb.1111:                             ;   in Loop: Header=BB914_1040 Depth=2
	v_bcnt_u32_b32 v56, v56, 0
	v_bcnt_u32_b32 v56, v57, v56
	s_waitcnt lgkmcnt(0)
	v_add_u32_e32 v56, v222, v56
	ds_write_b32 v166, v56
.LBB914_1112:                           ;   in Loop: Header=BB914_1040 Depth=2
	s_or_b64 exec, exec, s[40:41]
	; wave barrier
	s_waitcnt lgkmcnt(0)
	s_barrier
	ds_read_b32 v223, v58 offset:528
	ds_read2_b32 v[56:57], v67 offset0:1 offset1:2
	s_waitcnt lgkmcnt(0)
	v_add3_u32 v57, v56, v223, v57
	s_nop 1
	v_mov_b32_dpp v224, v57 row_shr:1 row_mask:0xf bank_mask:0xf
	v_cndmask_b32_e64 v224, v224, 0, s[20:21]
	v_add_u32_e32 v57, v224, v57
	s_nop 1
	v_mov_b32_dpp v224, v57 row_shr:2 row_mask:0xf bank_mask:0xf
	v_cndmask_b32_e64 v224, 0, v224, s[22:23]
	v_add_u32_e32 v57, v57, v224
	;; [unrolled: 4-line block ×4, first 2 shown]
	s_nop 1
	v_mov_b32_dpp v224, v57 row_bcast:15 row_mask:0xf bank_mask:0xf
	v_cndmask_b32_e64 v224, v224, 0, s[28:29]
	v_add_u32_e32 v57, v57, v224
	s_nop 1
	v_mov_b32_dpp v224, v57 row_bcast:31 row_mask:0xf bank_mask:0xf
	v_cndmask_b32_e64 v224, 0, v224, s[30:31]
	v_add_u32_e32 v57, v57, v224
	s_and_saveexec_b64 s[40:41], s[12:13]
	s_cbranch_execz .LBB914_1114
; %bb.1113:                             ;   in Loop: Header=BB914_1040 Depth=2
	ds_write_b32 v60, v57 offset:512
.LBB914_1114:                           ;   in Loop: Header=BB914_1040 Depth=2
	s_or_b64 exec, exec, s[40:41]
	s_waitcnt lgkmcnt(0)
	s_barrier
	s_and_saveexec_b64 s[40:41], s[14:15]
	s_cbranch_execz .LBB914_1116
; %bb.1115:                             ;   in Loop: Header=BB914_1040 Depth=2
	ds_read_b32 v224, v69 offset:512
	s_waitcnt lgkmcnt(0)
	s_nop 0
	v_mov_b32_dpp v225, v224 row_shr:1 row_mask:0xf bank_mask:0xf
	v_cndmask_b32_e64 v225, v225, 0, s[36:37]
	v_add_u32_e32 v224, v225, v224
	s_nop 1
	v_mov_b32_dpp v225, v224 row_shr:2 row_mask:0xf bank_mask:0xf
	v_cndmask_b32_e64 v225, 0, v225, s[38:39]
	v_add_u32_e32 v224, v224, v225
	ds_write_b32 v69, v224 offset:512
.LBB914_1116:                           ;   in Loop: Header=BB914_1040 Depth=2
	s_or_b64 exec, exec, s[40:41]
	v_mov_b32_e32 v224, 0
	s_waitcnt lgkmcnt(0)
	s_barrier
	s_and_saveexec_b64 s[40:41], s[10:11]
	s_cbranch_execz .LBB914_1118
; %bb.1117:                             ;   in Loop: Header=BB914_1040 Depth=2
	ds_read_b32 v224, v60 offset:508
.LBB914_1118:                           ;   in Loop: Header=BB914_1040 Depth=2
	s_or_b64 exec, exec, s[40:41]
	s_waitcnt lgkmcnt(0)
	v_add_u32_e32 v57, v224, v57
	ds_bpermute_b32 v57, v129, v57
	s_waitcnt lgkmcnt(0)
	v_cndmask_b32_e64 v57, v57, v224, s[34:35]
	v_cndmask_b32_e64 v57, v57, 0, s[16:17]
	v_add_u32_e32 v223, v57, v223
	v_add_u32_e32 v56, v223, v56
	ds_write_b32 v58, v57 offset:528
	ds_write2_b32 v67, v223, v56 offset0:1 offset1:2
	s_waitcnt lgkmcnt(0)
	s_barrier
	ds_read_b32 v56, v158
	ds_read_b32 v57, v163
	;; [unrolled: 1-line block ×17, first 2 shown]
	s_and_saveexec_b64 s[40:41], s[4:5]
	s_cbranch_execz .LBB914_1122
; %bb.1119:                             ;   in Loop: Header=BB914_1040 Depth=2
	ds_read_b32 v154, v70 offset:528
	v_mov_b32_e32 v155, 0x1100
	s_and_saveexec_b64 s[42:43], s[18:19]
	s_cbranch_execz .LBB914_1121
; %bb.1120:                             ;   in Loop: Header=BB914_1040 Depth=2
	ds_read_b32 v155, v70 offset:548
.LBB914_1121:                           ;   in Loop: Header=BB914_1040 Depth=2
	s_or_b64 exec, exec, s[42:43]
	s_waitcnt lgkmcnt(0)
	v_sub_u32_e32 v155, v155, v154
.LBB914_1122:                           ;   in Loop: Header=BB914_1040 Depth=2
	s_or_b64 exec, exec, s[40:41]
	s_waitcnt lgkmcnt(0)
	s_barrier
	s_and_saveexec_b64 s[40:41], s[4:5]
	s_cbranch_execz .LBB914_1124
; %bb.1123:                             ;   in Loop: Header=BB914_1040 Depth=2
	ds_read_b32 v159, v3
	s_waitcnt lgkmcnt(0)
	v_sub_u32_e32 v159, v159, v154
	ds_write_b32 v3, v159
.LBB914_1124:                           ;   in Loop: Header=BB914_1040 Depth=2
	s_or_b64 exec, exec, s[40:41]
	v_add_u32_e32 v179, v56, v161
	v_add3_u32 v175, v167, v162, v57
	v_lshlrev_b32_e32 v56, 1, v179
	v_add3_u32 v174, v172, v168, v158
	ds_write_b16 v56, v157 offset:512
	v_lshlrev_b32_e32 v56, 1, v175
	v_add3_u32 v173, v177, v173, v163
	ds_write_b16 v56, v160 offset:512
	v_lshlrev_b32_e32 v56, 1, v174
	v_add3_u32 v172, v182, v178, v170
	ds_write_b16 v56, v165 offset:512
	v_lshlrev_b32_e32 v56, 1, v173
	v_add3_u32 v170, v187, v183, v180
	ds_write_b16 v56, v171 offset:512
	v_lshlrev_b32_e32 v56, 1, v172
	v_add3_u32 v169, v192, v189, v185
	ds_write_b16 v56, v176 offset:512
	v_lshlrev_b32_e32 v56, 1, v170
	v_add3_u32 v168, v196, v194, v190
	ds_write_b16 v56, v181 offset:512
	v_lshlrev_b32_e32 v56, 1, v169
	v_add3_u32 v167, v199, v197, v195
	ds_write_b16 v56, v186 offset:512
	v_lshlrev_b32_e32 v56, 1, v168
	v_add3_u32 v166, v202, v200, v198
	ds_write_b16 v56, v191 offset:512
	v_lshlrev_b32_e32 v56, 1, v167
	v_add3_u32 v164, v206, v203, v201
	ds_write_b16 v56, v193 offset:512
	v_lshlrev_b32_e32 v56, 1, v166
	v_add3_u32 v163, v209, v207, v205
	ds_write_b16 v56, v188 offset:512
	v_lshlrev_b32_e32 v56, 1, v164
	v_add3_u32 v162, v212, v210, v223
	ds_write_b16 v56, v184 offset:512
	v_lshlrev_b32_e32 v56, 1, v163
	v_add3_u32 v161, v215, v213, v224
	ds_write_b16 v56, v204 offset:512
	v_lshlrev_b32_e32 v56, 1, v162
	v_add3_u32 v159, v218, v216, v225
	ds_write_b16 v56, v208 offset:512
	v_lshlrev_b32_e32 v56, 1, v161
	v_add3_u32 v158, v221, v219, v226
	ds_write_b16 v56, v211 offset:512
	v_lshlrev_b32_e32 v56, 1, v159
	v_add3_u32 v5, v5, v222, v227
	ds_write_b16 v56, v214 offset:512
	v_lshlrev_b32_e32 v56, 1, v158
	ds_write_b16 v56, v217 offset:512
	v_lshlrev_b32_e32 v56, 1, v5
	v_cmp_lt_u32_e64 s[40:41], v2, v156
	v_add_u32_e32 v157, v70, v75
	ds_write_b16 v56, v220 offset:512
	s_waitcnt lgkmcnt(0)
	s_barrier
	s_and_saveexec_b64 s[42:43], s[40:41]
	s_cbranch_execz .LBB914_1176
; %bb.1125:                             ;   in Loop: Header=BB914_1040 Depth=2
	ds_read_u16 v56, v157 offset:512
	v_mov_b32_e32 v165, s81
	s_waitcnt lgkmcnt(0)
	v_lshrrev_b32_sdwa v57, s89, v56 dst_sel:DWORD dst_unused:UNUSED_PAD src0_sel:DWORD src1_sel:WORD_0
	v_and_b32_e32 v57, s6, v57
	v_lshlrev_b32_e32 v57, 2, v57
	ds_read_b32 v160, v57
	v_mov_b32_e32 v57, v4
	v_xor_b32_e32 v171, 0x7fff, v56
	s_waitcnt lgkmcnt(0)
	v_add_u32_e32 v56, v160, v2
	v_lshlrev_b64 v[56:57], 1, v[56:57]
	v_add_co_u32_e32 v56, vcc, s80, v56
	v_addc_co_u32_e32 v57, vcc, v165, v57, vcc
	global_store_short v[56:57], v171, off
	s_or_b64 exec, exec, s[42:43]
	v_cmp_lt_u32_e64 s[42:43], v7, v156
	s_and_saveexec_b64 s[44:45], s[42:43]
	s_cbranch_execnz .LBB914_1177
.LBB914_1126:                           ;   in Loop: Header=BB914_1040 Depth=2
	s_or_b64 exec, exec, s[44:45]
	v_cmp_lt_u32_e64 s[44:45], v13, v156
	s_and_saveexec_b64 s[46:47], s[44:45]
	s_cbranch_execz .LBB914_1178
.LBB914_1127:                           ;   in Loop: Header=BB914_1040 Depth=2
	ds_read_u16 v56, v76 offset:1024
	v_mov_b32_e32 v165, s81
	s_waitcnt lgkmcnt(0)
	v_lshrrev_b32_sdwa v57, s89, v56 dst_sel:DWORD dst_unused:UNUSED_PAD src0_sel:DWORD src1_sel:WORD_0
	v_and_b32_e32 v57, s6, v57
	v_lshlrev_b32_e32 v57, 2, v57
	ds_read_b32 v160, v57
	v_mov_b32_e32 v57, v4
	v_xor_b32_e32 v171, 0x7fff, v56
	s_waitcnt lgkmcnt(0)
	v_add_u32_e32 v56, v160, v13
	v_lshlrev_b64 v[56:57], 1, v[56:57]
	v_add_co_u32_e32 v56, vcc, s80, v56
	v_addc_co_u32_e32 v57, vcc, v165, v57, vcc
	global_store_short v[56:57], v171, off
	s_or_b64 exec, exec, s[46:47]
	v_cmp_lt_u32_e64 s[46:47], v15, v156
	s_and_saveexec_b64 s[48:49], s[46:47]
	s_cbranch_execnz .LBB914_1179
.LBB914_1128:                           ;   in Loop: Header=BB914_1040 Depth=2
	s_or_b64 exec, exec, s[48:49]
	v_cmp_lt_u32_e64 s[48:49], v17, v156
	s_and_saveexec_b64 s[50:51], s[48:49]
	s_cbranch_execz .LBB914_1180
.LBB914_1129:                           ;   in Loop: Header=BB914_1040 Depth=2
	ds_read_u16 v56, v76 offset:2048
	v_mov_b32_e32 v165, s81
	s_waitcnt lgkmcnt(0)
	v_lshrrev_b32_sdwa v57, s89, v56 dst_sel:DWORD dst_unused:UNUSED_PAD src0_sel:DWORD src1_sel:WORD_0
	v_and_b32_e32 v57, s6, v57
	v_lshlrev_b32_e32 v57, 2, v57
	ds_read_b32 v160, v57
	v_mov_b32_e32 v57, v4
	v_xor_b32_e32 v171, 0x7fff, v56
	s_waitcnt lgkmcnt(0)
	v_add_u32_e32 v56, v160, v17
	v_lshlrev_b64 v[56:57], 1, v[56:57]
	v_add_co_u32_e32 v56, vcc, s80, v56
	v_addc_co_u32_e32 v57, vcc, v165, v57, vcc
	global_store_short v[56:57], v171, off
	s_or_b64 exec, exec, s[50:51]
	v_cmp_lt_u32_e64 s[50:51], v19, v156
	s_and_saveexec_b64 s[52:53], s[50:51]
	s_cbranch_execnz .LBB914_1181
.LBB914_1130:                           ;   in Loop: Header=BB914_1040 Depth=2
	s_or_b64 exec, exec, s[52:53]
	v_cmp_lt_u32_e64 s[52:53], v21, v156
	s_and_saveexec_b64 s[54:55], s[52:53]
	s_cbranch_execz .LBB914_1182
.LBB914_1131:                           ;   in Loop: Header=BB914_1040 Depth=2
	ds_read_u16 v56, v76 offset:3072
	v_mov_b32_e32 v165, s81
	s_waitcnt lgkmcnt(0)
	v_lshrrev_b32_sdwa v57, s89, v56 dst_sel:DWORD dst_unused:UNUSED_PAD src0_sel:DWORD src1_sel:WORD_0
	v_and_b32_e32 v57, s6, v57
	v_lshlrev_b32_e32 v57, 2, v57
	ds_read_b32 v160, v57
	v_mov_b32_e32 v57, v4
	v_xor_b32_e32 v171, 0x7fff, v56
	s_waitcnt lgkmcnt(0)
	v_add_u32_e32 v56, v160, v21
	v_lshlrev_b64 v[56:57], 1, v[56:57]
	v_add_co_u32_e32 v56, vcc, s80, v56
	v_addc_co_u32_e32 v57, vcc, v165, v57, vcc
	global_store_short v[56:57], v171, off
	s_or_b64 exec, exec, s[54:55]
	v_cmp_lt_u32_e64 s[54:55], v23, v156
	s_and_saveexec_b64 s[56:57], s[54:55]
	s_cbranch_execnz .LBB914_1183
.LBB914_1132:                           ;   in Loop: Header=BB914_1040 Depth=2
	s_or_b64 exec, exec, s[56:57]
	v_cmp_lt_u32_e64 s[56:57], v6, v156
	s_and_saveexec_b64 s[58:59], s[56:57]
	s_cbranch_execz .LBB914_1184
.LBB914_1133:                           ;   in Loop: Header=BB914_1040 Depth=2
	ds_read_u16 v56, v76 offset:4096
	v_mov_b32_e32 v165, s81
	s_waitcnt lgkmcnt(0)
	v_lshrrev_b32_sdwa v57, s89, v56 dst_sel:DWORD dst_unused:UNUSED_PAD src0_sel:DWORD src1_sel:WORD_0
	v_and_b32_e32 v57, s6, v57
	v_lshlrev_b32_e32 v57, 2, v57
	ds_read_b32 v160, v57
	v_mov_b32_e32 v57, v4
	v_xor_b32_e32 v171, 0x7fff, v56
	s_waitcnt lgkmcnt(0)
	v_add_u32_e32 v56, v160, v6
	v_lshlrev_b64 v[56:57], 1, v[56:57]
	v_add_co_u32_e32 v56, vcc, s80, v56
	v_addc_co_u32_e32 v57, vcc, v165, v57, vcc
	global_store_short v[56:57], v171, off
	s_or_b64 exec, exec, s[58:59]
	v_cmp_lt_u32_e64 s[58:59], v8, v156
	s_and_saveexec_b64 s[60:61], s[58:59]
	s_cbranch_execnz .LBB914_1185
.LBB914_1134:                           ;   in Loop: Header=BB914_1040 Depth=2
	s_or_b64 exec, exec, s[60:61]
	v_cmp_lt_u32_e64 s[60:61], v10, v156
	s_and_saveexec_b64 s[62:63], s[60:61]
	s_cbranch_execz .LBB914_1186
.LBB914_1135:                           ;   in Loop: Header=BB914_1040 Depth=2
	ds_read_u16 v56, v76 offset:5120
	v_mov_b32_e32 v165, s81
	s_waitcnt lgkmcnt(0)
	v_lshrrev_b32_sdwa v57, s89, v56 dst_sel:DWORD dst_unused:UNUSED_PAD src0_sel:DWORD src1_sel:WORD_0
	v_and_b32_e32 v57, s6, v57
	v_lshlrev_b32_e32 v57, 2, v57
	ds_read_b32 v160, v57
	v_mov_b32_e32 v57, v4
	v_xor_b32_e32 v171, 0x7fff, v56
	s_waitcnt lgkmcnt(0)
	v_add_u32_e32 v56, v160, v10
	v_lshlrev_b64 v[56:57], 1, v[56:57]
	v_add_co_u32_e32 v56, vcc, s80, v56
	v_addc_co_u32_e32 v57, vcc, v165, v57, vcc
	global_store_short v[56:57], v171, off
	s_or_b64 exec, exec, s[62:63]
	v_cmp_lt_u32_e64 s[62:63], v12, v156
	s_and_saveexec_b64 s[64:65], s[62:63]
	s_cbranch_execnz .LBB914_1187
.LBB914_1136:                           ;   in Loop: Header=BB914_1040 Depth=2
	s_or_b64 exec, exec, s[64:65]
	v_cmp_lt_u32_e64 s[64:65], v14, v156
	s_and_saveexec_b64 s[66:67], s[64:65]
	s_cbranch_execz .LBB914_1188
.LBB914_1137:                           ;   in Loop: Header=BB914_1040 Depth=2
	ds_read_u16 v56, v76 offset:6144
	v_mov_b32_e32 v165, s81
	s_waitcnt lgkmcnt(0)
	v_lshrrev_b32_sdwa v57, s89, v56 dst_sel:DWORD dst_unused:UNUSED_PAD src0_sel:DWORD src1_sel:WORD_0
	v_and_b32_e32 v57, s6, v57
	v_lshlrev_b32_e32 v57, 2, v57
	ds_read_b32 v160, v57
	v_mov_b32_e32 v57, v4
	v_xor_b32_e32 v171, 0x7fff, v56
	s_waitcnt lgkmcnt(0)
	v_add_u32_e32 v56, v160, v14
	v_lshlrev_b64 v[56:57], 1, v[56:57]
	v_add_co_u32_e32 v56, vcc, s80, v56
	v_addc_co_u32_e32 v57, vcc, v165, v57, vcc
	global_store_short v[56:57], v171, off
	s_or_b64 exec, exec, s[66:67]
	v_cmp_lt_u32_e64 s[66:67], v16, v156
	s_and_saveexec_b64 s[68:69], s[66:67]
	s_cbranch_execnz .LBB914_1189
.LBB914_1138:                           ;   in Loop: Header=BB914_1040 Depth=2
	s_or_b64 exec, exec, s[68:69]
	v_cmp_lt_u32_e64 s[68:69], v18, v156
	s_and_saveexec_b64 s[70:71], s[68:69]
	s_cbranch_execz .LBB914_1190
.LBB914_1139:                           ;   in Loop: Header=BB914_1040 Depth=2
	ds_read_u16 v56, v76 offset:7168
	v_mov_b32_e32 v165, s81
	s_waitcnt lgkmcnt(0)
	v_lshrrev_b32_sdwa v57, s89, v56 dst_sel:DWORD dst_unused:UNUSED_PAD src0_sel:DWORD src1_sel:WORD_0
	v_and_b32_e32 v57, s6, v57
	v_lshlrev_b32_e32 v57, 2, v57
	ds_read_b32 v160, v57
	v_mov_b32_e32 v57, v4
	v_xor_b32_e32 v171, 0x7fff, v56
	s_waitcnt lgkmcnt(0)
	v_add_u32_e32 v56, v160, v18
	v_lshlrev_b64 v[56:57], 1, v[56:57]
	v_add_co_u32_e32 v56, vcc, s80, v56
	v_addc_co_u32_e32 v57, vcc, v165, v57, vcc
	global_store_short v[56:57], v171, off
	s_or_b64 exec, exec, s[70:71]
	v_cmp_lt_u32_e64 s[70:71], v20, v156
	s_and_saveexec_b64 s[72:73], s[70:71]
	s_cbranch_execnz .LBB914_1191
.LBB914_1140:                           ;   in Loop: Header=BB914_1040 Depth=2
	s_or_b64 exec, exec, s[72:73]
	v_cmp_lt_u32_e64 s[72:73], v22, v156
	s_and_saveexec_b64 s[82:83], s[72:73]
	s_cbranch_execz .LBB914_1142
.LBB914_1141:                           ;   in Loop: Header=BB914_1040 Depth=2
	ds_read_u16 v56, v76 offset:8192
	v_mov_b32_e32 v165, s81
	s_waitcnt lgkmcnt(0)
	v_lshrrev_b32_sdwa v57, s89, v56 dst_sel:DWORD dst_unused:UNUSED_PAD src0_sel:DWORD src1_sel:WORD_0
	v_and_b32_e32 v57, s6, v57
	v_lshlrev_b32_e32 v57, 2, v57
	ds_read_b32 v160, v57
	v_mov_b32_e32 v57, v4
	v_xor_b32_e32 v171, 0x7fff, v56
	s_waitcnt lgkmcnt(0)
	v_add_u32_e32 v56, v160, v22
	v_lshlrev_b64 v[56:57], 1, v[56:57]
	v_add_co_u32_e32 v56, vcc, s80, v56
	v_addc_co_u32_e32 v57, vcc, v165, v57, vcc
	global_store_short v[56:57], v171, off
.LBB914_1142:                           ;   in Loop: Header=BB914_1040 Depth=2
	s_or_b64 exec, exec, s[82:83]
	s_lshl_b64 s[82:83], s[94:95], 3
	v_mov_b32_e32 v57, s83
	v_add_co_u32_e32 v56, vcc, s82, v130
	v_addc_co_u32_e32 v57, vcc, v131, v57, vcc
	v_cmp_lt_u32_e32 vcc, v111, v156
	s_and_saveexec_b64 s[82:83], vcc
	s_xor_b64 s[82:83], exec, s[82:83]
	s_cbranch_execz .LBB914_1192
; %bb.1143:                             ;   in Loop: Header=BB914_1040 Depth=2
	global_load_dwordx2 v[54:55], v[56:57], off
	s_or_b64 exec, exec, s[82:83]
	v_cmp_lt_u32_e32 vcc, v112, v156
	s_and_saveexec_b64 s[82:83], vcc
	s_cbranch_execnz .LBB914_1193
.LBB914_1144:                           ;   in Loop: Header=BB914_1040 Depth=2
	s_or_b64 exec, exec, s[82:83]
	v_cmp_lt_u32_e32 vcc, v113, v156
	s_and_saveexec_b64 s[82:83], vcc
	s_cbranch_execz .LBB914_1194
.LBB914_1145:                           ;   in Loop: Header=BB914_1040 Depth=2
	global_load_dwordx2 v[50:51], v[56:57], off offset:1024
	s_or_b64 exec, exec, s[82:83]
	v_cmp_lt_u32_e32 vcc, v114, v156
	s_and_saveexec_b64 s[82:83], vcc
	s_cbranch_execnz .LBB914_1195
.LBB914_1146:                           ;   in Loop: Header=BB914_1040 Depth=2
	s_or_b64 exec, exec, s[82:83]
	v_cmp_lt_u32_e32 vcc, v115, v156
	s_and_saveexec_b64 s[82:83], vcc
	s_cbranch_execz .LBB914_1196
.LBB914_1147:                           ;   in Loop: Header=BB914_1040 Depth=2
	global_load_dwordx2 v[42:43], v[56:57], off offset:2048
	s_or_b64 exec, exec, s[82:83]
	v_cmp_lt_u32_e32 vcc, v116, v156
	s_and_saveexec_b64 s[82:83], vcc
	s_cbranch_execnz .LBB914_1197
.LBB914_1148:                           ;   in Loop: Header=BB914_1040 Depth=2
	s_or_b64 exec, exec, s[82:83]
	v_cmp_lt_u32_e32 vcc, v117, v156
	s_and_saveexec_b64 s[82:83], vcc
	s_cbranch_execz .LBB914_1198
.LBB914_1149:                           ;   in Loop: Header=BB914_1040 Depth=2
	global_load_dwordx2 v[34:35], v[56:57], off offset:3072
	s_or_b64 exec, exec, s[82:83]
	v_cmp_lt_u32_e32 vcc, v118, v156
	s_and_saveexec_b64 s[82:83], vcc
	s_cbranch_execnz .LBB914_1199
.LBB914_1150:                           ;   in Loop: Header=BB914_1040 Depth=2
	s_or_b64 exec, exec, s[82:83]
	v_cmp_lt_u32_e32 vcc, v119, v156
	s_and_saveexec_b64 s[82:83], vcc
	s_cbranch_execz .LBB914_1200
.LBB914_1151:                           ;   in Loop: Header=BB914_1040 Depth=2
	v_add_co_u32_e32 v48, vcc, 0x1000, v56
	v_addc_co_u32_e32 v49, vcc, 0, v57, vcc
	global_load_dwordx2 v[48:49], v[48:49], off
	s_or_b64 exec, exec, s[82:83]
	v_cmp_lt_u32_e32 vcc, v120, v156
	s_and_saveexec_b64 s[82:83], vcc
	s_cbranch_execnz .LBB914_1201
.LBB914_1152:                           ;   in Loop: Header=BB914_1040 Depth=2
	s_or_b64 exec, exec, s[82:83]
	v_cmp_lt_u32_e32 vcc, v121, v156
	s_and_saveexec_b64 s[82:83], vcc
	s_cbranch_execz .LBB914_1202
.LBB914_1153:                           ;   in Loop: Header=BB914_1040 Depth=2
	v_add_co_u32_e32 v40, vcc, 0x1000, v56
	v_addc_co_u32_e32 v41, vcc, 0, v57, vcc
	global_load_dwordx2 v[40:41], v[40:41], off offset:1024
	s_or_b64 exec, exec, s[82:83]
	v_cmp_lt_u32_e32 vcc, v122, v156
	s_and_saveexec_b64 s[82:83], vcc
	s_cbranch_execnz .LBB914_1203
.LBB914_1154:                           ;   in Loop: Header=BB914_1040 Depth=2
	s_or_b64 exec, exec, s[82:83]
	v_cmp_lt_u32_e32 vcc, v123, v156
	s_and_saveexec_b64 s[82:83], vcc
	s_cbranch_execz .LBB914_1204
.LBB914_1155:                           ;   in Loop: Header=BB914_1040 Depth=2
	v_add_co_u32_e32 v32, vcc, 0x1000, v56
	v_addc_co_u32_e32 v33, vcc, 0, v57, vcc
	global_load_dwordx2 v[32:33], v[32:33], off offset:2048
	s_or_b64 exec, exec, s[82:83]
	v_cmp_lt_u32_e32 vcc, v124, v156
	s_and_saveexec_b64 s[82:83], vcc
	s_cbranch_execnz .LBB914_1205
.LBB914_1156:                           ;   in Loop: Header=BB914_1040 Depth=2
	s_or_b64 exec, exec, s[82:83]
	v_cmp_lt_u32_e32 vcc, v125, v156
	s_and_saveexec_b64 s[82:83], vcc
	s_cbranch_execz .LBB914_1206
.LBB914_1157:                           ;   in Loop: Header=BB914_1040 Depth=2
	v_add_co_u32_e32 v26, vcc, 0x1000, v56
	v_addc_co_u32_e32 v27, vcc, 0, v57, vcc
	global_load_dwordx2 v[26:27], v[26:27], off offset:3072
	s_or_b64 exec, exec, s[82:83]
	v_cmp_lt_u32_e32 vcc, v126, v156
	s_and_saveexec_b64 s[82:83], vcc
	s_cbranch_execnz .LBB914_1207
.LBB914_1158:                           ;   in Loop: Header=BB914_1040 Depth=2
	s_or_b64 exec, exec, s[82:83]
	v_cmp_lt_u32_e32 vcc, v127, v156
	s_and_saveexec_b64 s[82:83], vcc
	s_cbranch_execz .LBB914_1208
.LBB914_1159:                           ;   in Loop: Header=BB914_1040 Depth=2
	v_add_co_u32_e32 v0, vcc, 0x2000, v56
	v_addc_co_u32_e32 v1, vcc, 0, v57, vcc
	global_load_dwordx2 v[0:1], v[0:1], off
	s_or_b64 exec, exec, s[82:83]
	s_and_saveexec_b64 s[82:83], s[40:41]
	s_cbranch_execnz .LBB914_1209
.LBB914_1160:                           ;   in Loop: Header=BB914_1040 Depth=2
	s_or_b64 exec, exec, s[82:83]
	s_and_saveexec_b64 s[82:83], s[42:43]
	s_cbranch_execz .LBB914_1210
.LBB914_1161:                           ;   in Loop: Header=BB914_1040 Depth=2
	ds_read_u16 v56, v76 offset:512
	s_waitcnt lgkmcnt(0)
	v_lshrrev_b32_e32 v56, s89, v56
	v_and_b32_e32 v150, s6, v56
	s_or_b64 exec, exec, s[82:83]
	s_and_saveexec_b64 s[82:83], s[44:45]
	s_cbranch_execnz .LBB914_1211
.LBB914_1162:                           ;   in Loop: Header=BB914_1040 Depth=2
	s_or_b64 exec, exec, s[82:83]
	s_and_saveexec_b64 s[82:83], s[46:47]
	s_cbranch_execz .LBB914_1212
.LBB914_1163:                           ;   in Loop: Header=BB914_1040 Depth=2
	ds_read_u16 v56, v76 offset:1536
	s_waitcnt lgkmcnt(0)
	v_lshrrev_b32_e32 v56, s89, v56
	v_and_b32_e32 v147, s6, v56
	s_or_b64 exec, exec, s[82:83]
	s_and_saveexec_b64 s[82:83], s[48:49]
	s_cbranch_execnz .LBB914_1213
.LBB914_1164:                           ;   in Loop: Header=BB914_1040 Depth=2
	s_or_b64 exec, exec, s[82:83]
	s_and_saveexec_b64 s[82:83], s[50:51]
	s_cbranch_execz .LBB914_1214
.LBB914_1165:                           ;   in Loop: Header=BB914_1040 Depth=2
	ds_read_u16 v56, v76 offset:2560
	s_waitcnt lgkmcnt(0)
	v_lshrrev_b32_e32 v56, s89, v56
	v_and_b32_e32 v145, s6, v56
	s_or_b64 exec, exec, s[82:83]
	s_and_saveexec_b64 s[82:83], s[52:53]
	s_cbranch_execnz .LBB914_1215
.LBB914_1166:                           ;   in Loop: Header=BB914_1040 Depth=2
	s_or_b64 exec, exec, s[82:83]
	s_and_saveexec_b64 s[82:83], s[54:55]
	s_cbranch_execz .LBB914_1216
.LBB914_1167:                           ;   in Loop: Header=BB914_1040 Depth=2
	ds_read_u16 v56, v76 offset:3584
	s_waitcnt lgkmcnt(0)
	v_lshrrev_b32_e32 v56, s89, v56
	v_and_b32_e32 v143, s6, v56
	s_or_b64 exec, exec, s[82:83]
	s_and_saveexec_b64 s[82:83], s[56:57]
	s_cbranch_execnz .LBB914_1217
.LBB914_1168:                           ;   in Loop: Header=BB914_1040 Depth=2
	s_or_b64 exec, exec, s[82:83]
	s_and_saveexec_b64 s[82:83], s[58:59]
	s_cbranch_execz .LBB914_1218
.LBB914_1169:                           ;   in Loop: Header=BB914_1040 Depth=2
	ds_read_u16 v56, v76 offset:4608
	s_waitcnt lgkmcnt(0)
	v_lshrrev_b32_e32 v56, s89, v56
	v_and_b32_e32 v141, s6, v56
	s_or_b64 exec, exec, s[82:83]
	s_and_saveexec_b64 s[82:83], s[60:61]
	s_cbranch_execnz .LBB914_1219
.LBB914_1170:                           ;   in Loop: Header=BB914_1040 Depth=2
	s_or_b64 exec, exec, s[82:83]
	s_and_saveexec_b64 s[82:83], s[62:63]
	s_cbranch_execz .LBB914_1220
.LBB914_1171:                           ;   in Loop: Header=BB914_1040 Depth=2
	ds_read_u16 v56, v76 offset:5632
	s_waitcnt lgkmcnt(0)
	v_lshrrev_b32_e32 v56, s89, v56
	v_and_b32_e32 v139, s6, v56
	s_or_b64 exec, exec, s[82:83]
	s_and_saveexec_b64 s[82:83], s[64:65]
	s_cbranch_execnz .LBB914_1221
.LBB914_1172:                           ;   in Loop: Header=BB914_1040 Depth=2
	s_or_b64 exec, exec, s[82:83]
	s_and_saveexec_b64 s[82:83], s[66:67]
	s_cbranch_execz .LBB914_1222
.LBB914_1173:                           ;   in Loop: Header=BB914_1040 Depth=2
	ds_read_u16 v56, v76 offset:6656
	s_waitcnt lgkmcnt(0)
	v_lshrrev_b32_e32 v56, s89, v56
	v_and_b32_e32 v137, s6, v56
	s_or_b64 exec, exec, s[82:83]
	s_and_saveexec_b64 s[82:83], s[68:69]
	s_cbranch_execnz .LBB914_1223
.LBB914_1174:                           ;   in Loop: Header=BB914_1040 Depth=2
	s_or_b64 exec, exec, s[82:83]
	s_and_saveexec_b64 s[82:83], s[70:71]
	s_cbranch_execz .LBB914_1224
.LBB914_1175:                           ;   in Loop: Header=BB914_1040 Depth=2
	ds_read_u16 v56, v76 offset:7680
	s_waitcnt lgkmcnt(0)
	v_lshrrev_b32_e32 v56, s89, v56
	v_and_b32_e32 v135, s6, v56
	s_or_b64 exec, exec, s[82:83]
	s_and_saveexec_b64 s[82:83], s[72:73]
	s_cbranch_execnz .LBB914_1225
	s_branch .LBB914_1226
.LBB914_1176:                           ;   in Loop: Header=BB914_1040 Depth=2
	s_or_b64 exec, exec, s[42:43]
	v_cmp_lt_u32_e64 s[42:43], v7, v156
	s_and_saveexec_b64 s[44:45], s[42:43]
	s_cbranch_execz .LBB914_1126
.LBB914_1177:                           ;   in Loop: Header=BB914_1040 Depth=2
	ds_read_u16 v56, v76 offset:512
	v_mov_b32_e32 v165, s81
	s_waitcnt lgkmcnt(0)
	v_lshrrev_b32_sdwa v57, s89, v56 dst_sel:DWORD dst_unused:UNUSED_PAD src0_sel:DWORD src1_sel:WORD_0
	v_and_b32_e32 v57, s6, v57
	v_lshlrev_b32_e32 v57, 2, v57
	ds_read_b32 v160, v57
	v_mov_b32_e32 v57, v4
	v_xor_b32_e32 v171, 0x7fff, v56
	s_waitcnt lgkmcnt(0)
	v_add_u32_e32 v56, v160, v7
	v_lshlrev_b64 v[56:57], 1, v[56:57]
	v_add_co_u32_e32 v56, vcc, s80, v56
	v_addc_co_u32_e32 v57, vcc, v165, v57, vcc
	global_store_short v[56:57], v171, off
	s_or_b64 exec, exec, s[44:45]
	v_cmp_lt_u32_e64 s[44:45], v13, v156
	s_and_saveexec_b64 s[46:47], s[44:45]
	s_cbranch_execnz .LBB914_1127
.LBB914_1178:                           ;   in Loop: Header=BB914_1040 Depth=2
	s_or_b64 exec, exec, s[46:47]
	v_cmp_lt_u32_e64 s[46:47], v15, v156
	s_and_saveexec_b64 s[48:49], s[46:47]
	s_cbranch_execz .LBB914_1128
.LBB914_1179:                           ;   in Loop: Header=BB914_1040 Depth=2
	ds_read_u16 v56, v76 offset:1536
	v_mov_b32_e32 v165, s81
	s_waitcnt lgkmcnt(0)
	v_lshrrev_b32_sdwa v57, s89, v56 dst_sel:DWORD dst_unused:UNUSED_PAD src0_sel:DWORD src1_sel:WORD_0
	v_and_b32_e32 v57, s6, v57
	v_lshlrev_b32_e32 v57, 2, v57
	ds_read_b32 v160, v57
	v_mov_b32_e32 v57, v4
	v_xor_b32_e32 v171, 0x7fff, v56
	s_waitcnt lgkmcnt(0)
	v_add_u32_e32 v56, v160, v15
	v_lshlrev_b64 v[56:57], 1, v[56:57]
	v_add_co_u32_e32 v56, vcc, s80, v56
	v_addc_co_u32_e32 v57, vcc, v165, v57, vcc
	global_store_short v[56:57], v171, off
	s_or_b64 exec, exec, s[48:49]
	v_cmp_lt_u32_e64 s[48:49], v17, v156
	s_and_saveexec_b64 s[50:51], s[48:49]
	s_cbranch_execnz .LBB914_1129
.LBB914_1180:                           ;   in Loop: Header=BB914_1040 Depth=2
	s_or_b64 exec, exec, s[50:51]
	v_cmp_lt_u32_e64 s[50:51], v19, v156
	s_and_saveexec_b64 s[52:53], s[50:51]
	s_cbranch_execz .LBB914_1130
.LBB914_1181:                           ;   in Loop: Header=BB914_1040 Depth=2
	ds_read_u16 v56, v76 offset:2560
	v_mov_b32_e32 v165, s81
	s_waitcnt lgkmcnt(0)
	v_lshrrev_b32_sdwa v57, s89, v56 dst_sel:DWORD dst_unused:UNUSED_PAD src0_sel:DWORD src1_sel:WORD_0
	v_and_b32_e32 v57, s6, v57
	v_lshlrev_b32_e32 v57, 2, v57
	ds_read_b32 v160, v57
	v_mov_b32_e32 v57, v4
	v_xor_b32_e32 v171, 0x7fff, v56
	s_waitcnt lgkmcnt(0)
	v_add_u32_e32 v56, v160, v19
	v_lshlrev_b64 v[56:57], 1, v[56:57]
	v_add_co_u32_e32 v56, vcc, s80, v56
	v_addc_co_u32_e32 v57, vcc, v165, v57, vcc
	global_store_short v[56:57], v171, off
	s_or_b64 exec, exec, s[52:53]
	v_cmp_lt_u32_e64 s[52:53], v21, v156
	s_and_saveexec_b64 s[54:55], s[52:53]
	s_cbranch_execnz .LBB914_1131
.LBB914_1182:                           ;   in Loop: Header=BB914_1040 Depth=2
	s_or_b64 exec, exec, s[54:55]
	v_cmp_lt_u32_e64 s[54:55], v23, v156
	s_and_saveexec_b64 s[56:57], s[54:55]
	s_cbranch_execz .LBB914_1132
.LBB914_1183:                           ;   in Loop: Header=BB914_1040 Depth=2
	ds_read_u16 v56, v76 offset:3584
	v_mov_b32_e32 v165, s81
	s_waitcnt lgkmcnt(0)
	v_lshrrev_b32_sdwa v57, s89, v56 dst_sel:DWORD dst_unused:UNUSED_PAD src0_sel:DWORD src1_sel:WORD_0
	v_and_b32_e32 v57, s6, v57
	v_lshlrev_b32_e32 v57, 2, v57
	ds_read_b32 v160, v57
	v_mov_b32_e32 v57, v4
	v_xor_b32_e32 v171, 0x7fff, v56
	s_waitcnt lgkmcnt(0)
	v_add_u32_e32 v56, v160, v23
	v_lshlrev_b64 v[56:57], 1, v[56:57]
	v_add_co_u32_e32 v56, vcc, s80, v56
	v_addc_co_u32_e32 v57, vcc, v165, v57, vcc
	global_store_short v[56:57], v171, off
	s_or_b64 exec, exec, s[56:57]
	v_cmp_lt_u32_e64 s[56:57], v6, v156
	s_and_saveexec_b64 s[58:59], s[56:57]
	s_cbranch_execnz .LBB914_1133
.LBB914_1184:                           ;   in Loop: Header=BB914_1040 Depth=2
	s_or_b64 exec, exec, s[58:59]
	v_cmp_lt_u32_e64 s[58:59], v8, v156
	s_and_saveexec_b64 s[60:61], s[58:59]
	s_cbranch_execz .LBB914_1134
.LBB914_1185:                           ;   in Loop: Header=BB914_1040 Depth=2
	ds_read_u16 v56, v76 offset:4608
	v_mov_b32_e32 v165, s81
	s_waitcnt lgkmcnt(0)
	v_lshrrev_b32_sdwa v57, s89, v56 dst_sel:DWORD dst_unused:UNUSED_PAD src0_sel:DWORD src1_sel:WORD_0
	v_and_b32_e32 v57, s6, v57
	v_lshlrev_b32_e32 v57, 2, v57
	ds_read_b32 v160, v57
	v_mov_b32_e32 v57, v4
	v_xor_b32_e32 v171, 0x7fff, v56
	s_waitcnt lgkmcnt(0)
	v_add_u32_e32 v56, v160, v8
	v_lshlrev_b64 v[56:57], 1, v[56:57]
	v_add_co_u32_e32 v56, vcc, s80, v56
	v_addc_co_u32_e32 v57, vcc, v165, v57, vcc
	global_store_short v[56:57], v171, off
	s_or_b64 exec, exec, s[60:61]
	v_cmp_lt_u32_e64 s[60:61], v10, v156
	s_and_saveexec_b64 s[62:63], s[60:61]
	s_cbranch_execnz .LBB914_1135
.LBB914_1186:                           ;   in Loop: Header=BB914_1040 Depth=2
	s_or_b64 exec, exec, s[62:63]
	v_cmp_lt_u32_e64 s[62:63], v12, v156
	s_and_saveexec_b64 s[64:65], s[62:63]
	s_cbranch_execz .LBB914_1136
.LBB914_1187:                           ;   in Loop: Header=BB914_1040 Depth=2
	ds_read_u16 v56, v76 offset:5632
	v_mov_b32_e32 v165, s81
	s_waitcnt lgkmcnt(0)
	v_lshrrev_b32_sdwa v57, s89, v56 dst_sel:DWORD dst_unused:UNUSED_PAD src0_sel:DWORD src1_sel:WORD_0
	v_and_b32_e32 v57, s6, v57
	v_lshlrev_b32_e32 v57, 2, v57
	ds_read_b32 v160, v57
	v_mov_b32_e32 v57, v4
	v_xor_b32_e32 v171, 0x7fff, v56
	s_waitcnt lgkmcnt(0)
	v_add_u32_e32 v56, v160, v12
	v_lshlrev_b64 v[56:57], 1, v[56:57]
	v_add_co_u32_e32 v56, vcc, s80, v56
	v_addc_co_u32_e32 v57, vcc, v165, v57, vcc
	global_store_short v[56:57], v171, off
	s_or_b64 exec, exec, s[64:65]
	v_cmp_lt_u32_e64 s[64:65], v14, v156
	s_and_saveexec_b64 s[66:67], s[64:65]
	s_cbranch_execnz .LBB914_1137
.LBB914_1188:                           ;   in Loop: Header=BB914_1040 Depth=2
	s_or_b64 exec, exec, s[66:67]
	v_cmp_lt_u32_e64 s[66:67], v16, v156
	s_and_saveexec_b64 s[68:69], s[66:67]
	s_cbranch_execz .LBB914_1138
.LBB914_1189:                           ;   in Loop: Header=BB914_1040 Depth=2
	ds_read_u16 v56, v76 offset:6656
	v_mov_b32_e32 v165, s81
	s_waitcnt lgkmcnt(0)
	v_lshrrev_b32_sdwa v57, s89, v56 dst_sel:DWORD dst_unused:UNUSED_PAD src0_sel:DWORD src1_sel:WORD_0
	v_and_b32_e32 v57, s6, v57
	v_lshlrev_b32_e32 v57, 2, v57
	ds_read_b32 v160, v57
	v_mov_b32_e32 v57, v4
	v_xor_b32_e32 v171, 0x7fff, v56
	s_waitcnt lgkmcnt(0)
	v_add_u32_e32 v56, v160, v16
	v_lshlrev_b64 v[56:57], 1, v[56:57]
	v_add_co_u32_e32 v56, vcc, s80, v56
	v_addc_co_u32_e32 v57, vcc, v165, v57, vcc
	global_store_short v[56:57], v171, off
	s_or_b64 exec, exec, s[68:69]
	v_cmp_lt_u32_e64 s[68:69], v18, v156
	s_and_saveexec_b64 s[70:71], s[68:69]
	s_cbranch_execnz .LBB914_1139
.LBB914_1190:                           ;   in Loop: Header=BB914_1040 Depth=2
	s_or_b64 exec, exec, s[70:71]
	v_cmp_lt_u32_e64 s[70:71], v20, v156
	s_and_saveexec_b64 s[72:73], s[70:71]
	s_cbranch_execz .LBB914_1140
.LBB914_1191:                           ;   in Loop: Header=BB914_1040 Depth=2
	ds_read_u16 v56, v76 offset:7680
	v_mov_b32_e32 v165, s81
	s_waitcnt lgkmcnt(0)
	v_lshrrev_b32_sdwa v57, s89, v56 dst_sel:DWORD dst_unused:UNUSED_PAD src0_sel:DWORD src1_sel:WORD_0
	v_and_b32_e32 v57, s6, v57
	v_lshlrev_b32_e32 v57, 2, v57
	ds_read_b32 v160, v57
	v_mov_b32_e32 v57, v4
	v_xor_b32_e32 v171, 0x7fff, v56
	s_waitcnt lgkmcnt(0)
	v_add_u32_e32 v56, v160, v20
	v_lshlrev_b64 v[56:57], 1, v[56:57]
	v_add_co_u32_e32 v56, vcc, s80, v56
	v_addc_co_u32_e32 v57, vcc, v165, v57, vcc
	global_store_short v[56:57], v171, off
	s_or_b64 exec, exec, s[72:73]
	v_cmp_lt_u32_e64 s[72:73], v22, v156
	s_and_saveexec_b64 s[82:83], s[72:73]
	s_cbranch_execnz .LBB914_1141
	s_branch .LBB914_1142
.LBB914_1192:                           ;   in Loop: Header=BB914_1040 Depth=2
	s_or_b64 exec, exec, s[82:83]
	v_cmp_lt_u32_e32 vcc, v112, v156
	s_and_saveexec_b64 s[82:83], vcc
	s_cbranch_execz .LBB914_1144
.LBB914_1193:                           ;   in Loop: Header=BB914_1040 Depth=2
	global_load_dwordx2 v[52:53], v[56:57], off offset:512
	s_or_b64 exec, exec, s[82:83]
	v_cmp_lt_u32_e32 vcc, v113, v156
	s_and_saveexec_b64 s[82:83], vcc
	s_cbranch_execnz .LBB914_1145
.LBB914_1194:                           ;   in Loop: Header=BB914_1040 Depth=2
	s_or_b64 exec, exec, s[82:83]
	v_cmp_lt_u32_e32 vcc, v114, v156
	s_and_saveexec_b64 s[82:83], vcc
	s_cbranch_execz .LBB914_1146
.LBB914_1195:                           ;   in Loop: Header=BB914_1040 Depth=2
	global_load_dwordx2 v[46:47], v[56:57], off offset:1536
	s_or_b64 exec, exec, s[82:83]
	v_cmp_lt_u32_e32 vcc, v115, v156
	s_and_saveexec_b64 s[82:83], vcc
	s_cbranch_execnz .LBB914_1147
.LBB914_1196:                           ;   in Loop: Header=BB914_1040 Depth=2
	s_or_b64 exec, exec, s[82:83]
	v_cmp_lt_u32_e32 vcc, v116, v156
	s_and_saveexec_b64 s[82:83], vcc
	s_cbranch_execz .LBB914_1148
.LBB914_1197:                           ;   in Loop: Header=BB914_1040 Depth=2
	global_load_dwordx2 v[38:39], v[56:57], off offset:2560
	s_or_b64 exec, exec, s[82:83]
	v_cmp_lt_u32_e32 vcc, v117, v156
	s_and_saveexec_b64 s[82:83], vcc
	s_cbranch_execnz .LBB914_1149
.LBB914_1198:                           ;   in Loop: Header=BB914_1040 Depth=2
	s_or_b64 exec, exec, s[82:83]
	v_cmp_lt_u32_e32 vcc, v118, v156
	s_and_saveexec_b64 s[82:83], vcc
	s_cbranch_execz .LBB914_1150
.LBB914_1199:                           ;   in Loop: Header=BB914_1040 Depth=2
	global_load_dwordx2 v[30:31], v[56:57], off offset:3584
	s_or_b64 exec, exec, s[82:83]
	v_cmp_lt_u32_e32 vcc, v119, v156
	s_and_saveexec_b64 s[82:83], vcc
	s_cbranch_execnz .LBB914_1151
.LBB914_1200:                           ;   in Loop: Header=BB914_1040 Depth=2
	s_or_b64 exec, exec, s[82:83]
	v_cmp_lt_u32_e32 vcc, v120, v156
	s_and_saveexec_b64 s[82:83], vcc
	s_cbranch_execz .LBB914_1152
.LBB914_1201:                           ;   in Loop: Header=BB914_1040 Depth=2
	v_add_co_u32_e32 v44, vcc, 0x1000, v56
	v_addc_co_u32_e32 v45, vcc, 0, v57, vcc
	global_load_dwordx2 v[44:45], v[44:45], off offset:512
	s_or_b64 exec, exec, s[82:83]
	v_cmp_lt_u32_e32 vcc, v121, v156
	s_and_saveexec_b64 s[82:83], vcc
	s_cbranch_execnz .LBB914_1153
.LBB914_1202:                           ;   in Loop: Header=BB914_1040 Depth=2
	s_or_b64 exec, exec, s[82:83]
	v_cmp_lt_u32_e32 vcc, v122, v156
	s_and_saveexec_b64 s[82:83], vcc
	s_cbranch_execz .LBB914_1154
.LBB914_1203:                           ;   in Loop: Header=BB914_1040 Depth=2
	v_add_co_u32_e32 v36, vcc, 0x1000, v56
	v_addc_co_u32_e32 v37, vcc, 0, v57, vcc
	global_load_dwordx2 v[36:37], v[36:37], off offset:1536
	s_or_b64 exec, exec, s[82:83]
	v_cmp_lt_u32_e32 vcc, v123, v156
	s_and_saveexec_b64 s[82:83], vcc
	s_cbranch_execnz .LBB914_1155
.LBB914_1204:                           ;   in Loop: Header=BB914_1040 Depth=2
	s_or_b64 exec, exec, s[82:83]
	v_cmp_lt_u32_e32 vcc, v124, v156
	s_and_saveexec_b64 s[82:83], vcc
	s_cbranch_execz .LBB914_1156
.LBB914_1205:                           ;   in Loop: Header=BB914_1040 Depth=2
	v_add_co_u32_e32 v28, vcc, 0x1000, v56
	v_addc_co_u32_e32 v29, vcc, 0, v57, vcc
	global_load_dwordx2 v[28:29], v[28:29], off offset:2560
	s_or_b64 exec, exec, s[82:83]
	v_cmp_lt_u32_e32 vcc, v125, v156
	s_and_saveexec_b64 s[82:83], vcc
	s_cbranch_execnz .LBB914_1157
.LBB914_1206:                           ;   in Loop: Header=BB914_1040 Depth=2
	s_or_b64 exec, exec, s[82:83]
	v_cmp_lt_u32_e32 vcc, v126, v156
	s_and_saveexec_b64 s[82:83], vcc
	s_cbranch_execz .LBB914_1158
.LBB914_1207:                           ;   in Loop: Header=BB914_1040 Depth=2
	v_add_co_u32_e32 v24, vcc, 0x1000, v56
	v_addc_co_u32_e32 v25, vcc, 0, v57, vcc
	global_load_dwordx2 v[24:25], v[24:25], off offset:3584
	s_or_b64 exec, exec, s[82:83]
	v_cmp_lt_u32_e32 vcc, v127, v156
	s_and_saveexec_b64 s[82:83], vcc
	s_cbranch_execnz .LBB914_1159
.LBB914_1208:                           ;   in Loop: Header=BB914_1040 Depth=2
	s_or_b64 exec, exec, s[82:83]
	s_and_saveexec_b64 s[82:83], s[40:41]
	s_cbranch_execz .LBB914_1160
.LBB914_1209:                           ;   in Loop: Header=BB914_1040 Depth=2
	ds_read_u16 v56, v157 offset:512
	s_waitcnt lgkmcnt(0)
	v_lshrrev_b32_e32 v56, s89, v56
	v_and_b32_e32 v152, s6, v56
	s_or_b64 exec, exec, s[82:83]
	s_and_saveexec_b64 s[82:83], s[42:43]
	s_cbranch_execnz .LBB914_1161
.LBB914_1210:                           ;   in Loop: Header=BB914_1040 Depth=2
	s_or_b64 exec, exec, s[82:83]
	s_and_saveexec_b64 s[82:83], s[44:45]
	s_cbranch_execz .LBB914_1162
.LBB914_1211:                           ;   in Loop: Header=BB914_1040 Depth=2
	ds_read_u16 v56, v76 offset:1024
	s_waitcnt lgkmcnt(0)
	v_lshrrev_b32_e32 v56, s89, v56
	v_and_b32_e32 v149, s6, v56
	s_or_b64 exec, exec, s[82:83]
	s_and_saveexec_b64 s[82:83], s[46:47]
	s_cbranch_execnz .LBB914_1163
.LBB914_1212:                           ;   in Loop: Header=BB914_1040 Depth=2
	s_or_b64 exec, exec, s[82:83]
	s_and_saveexec_b64 s[82:83], s[48:49]
	s_cbranch_execz .LBB914_1164
.LBB914_1213:                           ;   in Loop: Header=BB914_1040 Depth=2
	ds_read_u16 v56, v76 offset:2048
	s_waitcnt lgkmcnt(0)
	v_lshrrev_b32_e32 v56, s89, v56
	v_and_b32_e32 v146, s6, v56
	s_or_b64 exec, exec, s[82:83]
	s_and_saveexec_b64 s[82:83], s[50:51]
	s_cbranch_execnz .LBB914_1165
.LBB914_1214:                           ;   in Loop: Header=BB914_1040 Depth=2
	s_or_b64 exec, exec, s[82:83]
	s_and_saveexec_b64 s[82:83], s[52:53]
	s_cbranch_execz .LBB914_1166
.LBB914_1215:                           ;   in Loop: Header=BB914_1040 Depth=2
	ds_read_u16 v56, v76 offset:3072
	s_waitcnt lgkmcnt(0)
	v_lshrrev_b32_e32 v56, s89, v56
	v_and_b32_e32 v144, s6, v56
	s_or_b64 exec, exec, s[82:83]
	s_and_saveexec_b64 s[82:83], s[54:55]
	s_cbranch_execnz .LBB914_1167
.LBB914_1216:                           ;   in Loop: Header=BB914_1040 Depth=2
	s_or_b64 exec, exec, s[82:83]
	s_and_saveexec_b64 s[82:83], s[56:57]
	s_cbranch_execz .LBB914_1168
.LBB914_1217:                           ;   in Loop: Header=BB914_1040 Depth=2
	ds_read_u16 v56, v76 offset:4096
	s_waitcnt lgkmcnt(0)
	v_lshrrev_b32_e32 v56, s89, v56
	v_and_b32_e32 v142, s6, v56
	s_or_b64 exec, exec, s[82:83]
	s_and_saveexec_b64 s[82:83], s[58:59]
	s_cbranch_execnz .LBB914_1169
.LBB914_1218:                           ;   in Loop: Header=BB914_1040 Depth=2
	s_or_b64 exec, exec, s[82:83]
	s_and_saveexec_b64 s[82:83], s[60:61]
	s_cbranch_execz .LBB914_1170
.LBB914_1219:                           ;   in Loop: Header=BB914_1040 Depth=2
	ds_read_u16 v56, v76 offset:5120
	s_waitcnt lgkmcnt(0)
	v_lshrrev_b32_e32 v56, s89, v56
	v_and_b32_e32 v140, s6, v56
	s_or_b64 exec, exec, s[82:83]
	s_and_saveexec_b64 s[82:83], s[62:63]
	s_cbranch_execnz .LBB914_1171
.LBB914_1220:                           ;   in Loop: Header=BB914_1040 Depth=2
	s_or_b64 exec, exec, s[82:83]
	s_and_saveexec_b64 s[82:83], s[64:65]
	s_cbranch_execz .LBB914_1172
.LBB914_1221:                           ;   in Loop: Header=BB914_1040 Depth=2
	ds_read_u16 v56, v76 offset:6144
	s_waitcnt lgkmcnt(0)
	v_lshrrev_b32_e32 v56, s89, v56
	v_and_b32_e32 v138, s6, v56
	s_or_b64 exec, exec, s[82:83]
	s_and_saveexec_b64 s[82:83], s[66:67]
	s_cbranch_execnz .LBB914_1173
.LBB914_1222:                           ;   in Loop: Header=BB914_1040 Depth=2
	s_or_b64 exec, exec, s[82:83]
	s_and_saveexec_b64 s[82:83], s[68:69]
	s_cbranch_execz .LBB914_1174
.LBB914_1223:                           ;   in Loop: Header=BB914_1040 Depth=2
	ds_read_u16 v56, v76 offset:7168
	s_waitcnt lgkmcnt(0)
	v_lshrrev_b32_e32 v56, s89, v56
	v_and_b32_e32 v136, s6, v56
	s_or_b64 exec, exec, s[82:83]
	s_and_saveexec_b64 s[82:83], s[70:71]
	s_cbranch_execnz .LBB914_1175
.LBB914_1224:                           ;   in Loop: Header=BB914_1040 Depth=2
	s_or_b64 exec, exec, s[82:83]
	s_and_saveexec_b64 s[82:83], s[72:73]
	s_cbranch_execz .LBB914_1226
.LBB914_1225:                           ;   in Loop: Header=BB914_1040 Depth=2
	ds_read_u16 v56, v76 offset:8192
	s_waitcnt lgkmcnt(0)
	v_lshrrev_b32_e32 v56, s89, v56
	v_and_b32_e32 v134, s6, v56
.LBB914_1226:                           ;   in Loop: Header=BB914_1040 Depth=2
	s_or_b64 exec, exec, s[82:83]
	v_lshlrev_b32_e32 v56, 3, v179
	s_barrier
	s_waitcnt vmcnt(0)
	ds_write_b64 v56, v[54:55] offset:512
	v_lshlrev_b32_e32 v56, 3, v175
	ds_write_b64 v56, v[52:53] offset:512
	v_lshlrev_b32_e32 v56, 3, v174
	;; [unrolled: 2-line block ×15, first 2 shown]
	v_lshlrev_b32_e32 v5, 3, v5
	ds_write_b64 v56, v[24:25] offset:512
	ds_write_b64 v5, v[0:1] offset:512
	s_waitcnt lgkmcnt(0)
	s_barrier
	s_and_saveexec_b64 s[82:83], s[40:41]
	s_cbranch_execz .LBB914_1246
; %bb.1227:                             ;   in Loop: Header=BB914_1040 Depth=2
	v_lshlrev_b32_e32 v5, 2, v152
	ds_read_b32 v5, v5
	ds_read_b64 v[56:57], v68 offset:512
	v_mov_b32_e32 v157, v4
	v_mov_b32_e32 v158, s87
	s_waitcnt lgkmcnt(1)
	v_add_u32_e32 v156, v5, v2
	v_lshlrev_b64 v[156:157], 3, v[156:157]
	v_add_co_u32_e32 v156, vcc, s86, v156
	v_addc_co_u32_e32 v157, vcc, v158, v157, vcc
	s_waitcnt lgkmcnt(0)
	global_store_dwordx2 v[156:157], v[56:57], off
	s_or_b64 exec, exec, s[82:83]
	v_add_u32_e32 v5, v76, v77
	s_and_saveexec_b64 s[40:41], s[42:43]
	s_cbranch_execnz .LBB914_1247
.LBB914_1228:                           ;   in Loop: Header=BB914_1040 Depth=2
	s_or_b64 exec, exec, s[40:41]
	s_and_saveexec_b64 s[40:41], s[44:45]
	s_cbranch_execz .LBB914_1248
.LBB914_1229:                           ;   in Loop: Header=BB914_1040 Depth=2
	v_lshlrev_b32_e32 v56, 2, v149
	ds_read_b32 v156, v56
	ds_read_b64 v[56:57], v5 offset:4096
	v_mov_b32_e32 v157, v4
	v_mov_b32_e32 v158, s87
	s_waitcnt lgkmcnt(1)
	v_add_u32_e32 v156, v156, v13
	v_lshlrev_b64 v[156:157], 3, v[156:157]
	v_add_co_u32_e32 v156, vcc, s86, v156
	v_addc_co_u32_e32 v157, vcc, v158, v157, vcc
	s_waitcnt lgkmcnt(0)
	global_store_dwordx2 v[156:157], v[56:57], off
	s_or_b64 exec, exec, s[40:41]
	s_and_saveexec_b64 s[40:41], s[46:47]
	s_cbranch_execnz .LBB914_1249
.LBB914_1230:                           ;   in Loop: Header=BB914_1040 Depth=2
	s_or_b64 exec, exec, s[40:41]
	s_and_saveexec_b64 s[40:41], s[48:49]
	s_cbranch_execz .LBB914_1250
.LBB914_1231:                           ;   in Loop: Header=BB914_1040 Depth=2
	v_lshlrev_b32_e32 v56, 2, v146
	ds_read_b32 v156, v56
	ds_read_b64 v[56:57], v5 offset:8192
	v_mov_b32_e32 v157, v4
	v_mov_b32_e32 v158, s87
	s_waitcnt lgkmcnt(1)
	v_add_u32_e32 v156, v156, v17
	v_lshlrev_b64 v[156:157], 3, v[156:157]
	v_add_co_u32_e32 v156, vcc, s86, v156
	v_addc_co_u32_e32 v157, vcc, v158, v157, vcc
	s_waitcnt lgkmcnt(0)
	global_store_dwordx2 v[156:157], v[56:57], off
	s_or_b64 exec, exec, s[40:41]
	s_and_saveexec_b64 s[40:41], s[50:51]
	s_cbranch_execnz .LBB914_1251
.LBB914_1232:                           ;   in Loop: Header=BB914_1040 Depth=2
	s_or_b64 exec, exec, s[40:41]
	s_and_saveexec_b64 s[40:41], s[52:53]
	s_cbranch_execz .LBB914_1252
.LBB914_1233:                           ;   in Loop: Header=BB914_1040 Depth=2
	v_lshlrev_b32_e32 v56, 2, v144
	ds_read_b32 v156, v56
	ds_read_b64 v[56:57], v5 offset:12288
	v_mov_b32_e32 v157, v4
	v_mov_b32_e32 v158, s87
	s_waitcnt lgkmcnt(1)
	v_add_u32_e32 v156, v156, v21
	v_lshlrev_b64 v[156:157], 3, v[156:157]
	v_add_co_u32_e32 v156, vcc, s86, v156
	v_addc_co_u32_e32 v157, vcc, v158, v157, vcc
	s_waitcnt lgkmcnt(0)
	global_store_dwordx2 v[156:157], v[56:57], off
	s_or_b64 exec, exec, s[40:41]
	s_and_saveexec_b64 s[40:41], s[54:55]
	s_cbranch_execnz .LBB914_1253
.LBB914_1234:                           ;   in Loop: Header=BB914_1040 Depth=2
	s_or_b64 exec, exec, s[40:41]
	s_and_saveexec_b64 s[40:41], s[56:57]
	s_cbranch_execz .LBB914_1254
.LBB914_1235:                           ;   in Loop: Header=BB914_1040 Depth=2
	v_lshlrev_b32_e32 v56, 2, v142
	ds_read_b32 v156, v56
	ds_read_b64 v[56:57], v5 offset:16384
	v_mov_b32_e32 v157, v4
	v_mov_b32_e32 v158, s87
	s_waitcnt lgkmcnt(1)
	v_add_u32_e32 v156, v156, v6
	v_lshlrev_b64 v[156:157], 3, v[156:157]
	v_add_co_u32_e32 v156, vcc, s86, v156
	v_addc_co_u32_e32 v157, vcc, v158, v157, vcc
	s_waitcnt lgkmcnt(0)
	global_store_dwordx2 v[156:157], v[56:57], off
	s_or_b64 exec, exec, s[40:41]
	s_and_saveexec_b64 s[40:41], s[58:59]
	s_cbranch_execnz .LBB914_1255
.LBB914_1236:                           ;   in Loop: Header=BB914_1040 Depth=2
	s_or_b64 exec, exec, s[40:41]
	s_and_saveexec_b64 s[40:41], s[60:61]
	s_cbranch_execz .LBB914_1256
.LBB914_1237:                           ;   in Loop: Header=BB914_1040 Depth=2
	v_lshlrev_b32_e32 v56, 2, v140
	ds_read_b32 v156, v56
	ds_read_b64 v[56:57], v5 offset:20480
	v_mov_b32_e32 v157, v4
	v_mov_b32_e32 v158, s87
	s_waitcnt lgkmcnt(1)
	v_add_u32_e32 v156, v156, v10
	v_lshlrev_b64 v[156:157], 3, v[156:157]
	v_add_co_u32_e32 v156, vcc, s86, v156
	v_addc_co_u32_e32 v157, vcc, v158, v157, vcc
	s_waitcnt lgkmcnt(0)
	global_store_dwordx2 v[156:157], v[56:57], off
	s_or_b64 exec, exec, s[40:41]
	s_and_saveexec_b64 s[40:41], s[62:63]
	s_cbranch_execnz .LBB914_1257
.LBB914_1238:                           ;   in Loop: Header=BB914_1040 Depth=2
	s_or_b64 exec, exec, s[40:41]
	s_and_saveexec_b64 s[40:41], s[64:65]
	s_cbranch_execz .LBB914_1258
.LBB914_1239:                           ;   in Loop: Header=BB914_1040 Depth=2
	v_lshlrev_b32_e32 v56, 2, v138
	ds_read_b32 v156, v56
	ds_read_b64 v[56:57], v5 offset:24576
	v_mov_b32_e32 v157, v4
	v_mov_b32_e32 v158, s87
	s_waitcnt lgkmcnt(1)
	v_add_u32_e32 v156, v156, v14
	v_lshlrev_b64 v[156:157], 3, v[156:157]
	v_add_co_u32_e32 v156, vcc, s86, v156
	v_addc_co_u32_e32 v157, vcc, v158, v157, vcc
	s_waitcnt lgkmcnt(0)
	global_store_dwordx2 v[156:157], v[56:57], off
	s_or_b64 exec, exec, s[40:41]
	s_and_saveexec_b64 s[40:41], s[66:67]
	s_cbranch_execnz .LBB914_1259
.LBB914_1240:                           ;   in Loop: Header=BB914_1040 Depth=2
	s_or_b64 exec, exec, s[40:41]
	s_and_saveexec_b64 s[40:41], s[68:69]
	s_cbranch_execz .LBB914_1260
.LBB914_1241:                           ;   in Loop: Header=BB914_1040 Depth=2
	v_lshlrev_b32_e32 v56, 2, v136
	ds_read_b32 v156, v56
	ds_read_b64 v[56:57], v5 offset:28672
	v_mov_b32_e32 v157, v4
	v_mov_b32_e32 v158, s87
	s_waitcnt lgkmcnt(1)
	v_add_u32_e32 v156, v156, v18
	v_lshlrev_b64 v[156:157], 3, v[156:157]
	v_add_co_u32_e32 v156, vcc, s86, v156
	v_addc_co_u32_e32 v157, vcc, v158, v157, vcc
	s_waitcnt lgkmcnt(0)
	global_store_dwordx2 v[156:157], v[56:57], off
	s_or_b64 exec, exec, s[40:41]
	s_and_saveexec_b64 s[40:41], s[70:71]
	s_cbranch_execnz .LBB914_1261
.LBB914_1242:                           ;   in Loop: Header=BB914_1040 Depth=2
	s_or_b64 exec, exec, s[40:41]
	s_and_saveexec_b64 s[40:41], s[72:73]
	s_cbranch_execz .LBB914_1244
.LBB914_1243:                           ;   in Loop: Header=BB914_1040 Depth=2
	v_lshlrev_b32_e32 v56, 2, v134
	ds_read_b32 v156, v56
	ds_read_b64 v[56:57], v5 offset:32768
	v_mov_b32_e32 v157, v4
	v_mov_b32_e32 v5, s87
	s_waitcnt lgkmcnt(1)
	v_add_u32_e32 v156, v156, v22
	v_lshlrev_b64 v[156:157], 3, v[156:157]
	v_add_co_u32_e32 v156, vcc, s86, v156
	v_addc_co_u32_e32 v157, vcc, v5, v157, vcc
	s_waitcnt lgkmcnt(0)
	global_store_dwordx2 v[156:157], v[56:57], off
.LBB914_1244:                           ;   in Loop: Header=BB914_1040 Depth=2
	s_or_b64 exec, exec, s[40:41]
	s_barrier
	s_and_saveexec_b64 s[40:41], s[4:5]
	s_cbranch_execz .LBB914_1039
; %bb.1245:                             ;   in Loop: Header=BB914_1040 Depth=2
	ds_read_b32 v5, v3
	s_waitcnt lgkmcnt(0)
	v_add3_u32 v5, v154, v155, v5
	ds_write_b32 v3, v5
	s_branch .LBB914_1039
.LBB914_1246:                           ;   in Loop: Header=BB914_1040 Depth=2
	s_or_b64 exec, exec, s[82:83]
	v_add_u32_e32 v5, v76, v77
	s_and_saveexec_b64 s[40:41], s[42:43]
	s_cbranch_execz .LBB914_1228
.LBB914_1247:                           ;   in Loop: Header=BB914_1040 Depth=2
	v_lshlrev_b32_e32 v56, 2, v150
	ds_read_b32 v156, v56
	ds_read_b64 v[56:57], v5 offset:2048
	v_mov_b32_e32 v157, v4
	v_mov_b32_e32 v158, s87
	s_waitcnt lgkmcnt(1)
	v_add_u32_e32 v156, v156, v7
	v_lshlrev_b64 v[156:157], 3, v[156:157]
	v_add_co_u32_e32 v156, vcc, s86, v156
	v_addc_co_u32_e32 v157, vcc, v158, v157, vcc
	s_waitcnt lgkmcnt(0)
	global_store_dwordx2 v[156:157], v[56:57], off
	s_or_b64 exec, exec, s[40:41]
	s_and_saveexec_b64 s[40:41], s[44:45]
	s_cbranch_execnz .LBB914_1229
.LBB914_1248:                           ;   in Loop: Header=BB914_1040 Depth=2
	s_or_b64 exec, exec, s[40:41]
	s_and_saveexec_b64 s[40:41], s[46:47]
	s_cbranch_execz .LBB914_1230
.LBB914_1249:                           ;   in Loop: Header=BB914_1040 Depth=2
	v_lshlrev_b32_e32 v56, 2, v147
	ds_read_b32 v156, v56
	ds_read_b64 v[56:57], v5 offset:6144
	v_mov_b32_e32 v157, v4
	v_mov_b32_e32 v158, s87
	s_waitcnt lgkmcnt(1)
	v_add_u32_e32 v156, v156, v15
	v_lshlrev_b64 v[156:157], 3, v[156:157]
	v_add_co_u32_e32 v156, vcc, s86, v156
	v_addc_co_u32_e32 v157, vcc, v158, v157, vcc
	s_waitcnt lgkmcnt(0)
	global_store_dwordx2 v[156:157], v[56:57], off
	s_or_b64 exec, exec, s[40:41]
	s_and_saveexec_b64 s[40:41], s[48:49]
	s_cbranch_execnz .LBB914_1231
.LBB914_1250:                           ;   in Loop: Header=BB914_1040 Depth=2
	s_or_b64 exec, exec, s[40:41]
	s_and_saveexec_b64 s[40:41], s[50:51]
	s_cbranch_execz .LBB914_1232
.LBB914_1251:                           ;   in Loop: Header=BB914_1040 Depth=2
	v_lshlrev_b32_e32 v56, 2, v145
	ds_read_b32 v156, v56
	ds_read_b64 v[56:57], v5 offset:10240
	v_mov_b32_e32 v157, v4
	v_mov_b32_e32 v158, s87
	s_waitcnt lgkmcnt(1)
	v_add_u32_e32 v156, v156, v19
	v_lshlrev_b64 v[156:157], 3, v[156:157]
	v_add_co_u32_e32 v156, vcc, s86, v156
	v_addc_co_u32_e32 v157, vcc, v158, v157, vcc
	s_waitcnt lgkmcnt(0)
	global_store_dwordx2 v[156:157], v[56:57], off
	s_or_b64 exec, exec, s[40:41]
	s_and_saveexec_b64 s[40:41], s[52:53]
	s_cbranch_execnz .LBB914_1233
.LBB914_1252:                           ;   in Loop: Header=BB914_1040 Depth=2
	s_or_b64 exec, exec, s[40:41]
	s_and_saveexec_b64 s[40:41], s[54:55]
	s_cbranch_execz .LBB914_1234
.LBB914_1253:                           ;   in Loop: Header=BB914_1040 Depth=2
	v_lshlrev_b32_e32 v56, 2, v143
	ds_read_b32 v156, v56
	ds_read_b64 v[56:57], v5 offset:14336
	v_mov_b32_e32 v157, v4
	v_mov_b32_e32 v158, s87
	s_waitcnt lgkmcnt(1)
	v_add_u32_e32 v156, v156, v23
	v_lshlrev_b64 v[156:157], 3, v[156:157]
	v_add_co_u32_e32 v156, vcc, s86, v156
	v_addc_co_u32_e32 v157, vcc, v158, v157, vcc
	s_waitcnt lgkmcnt(0)
	global_store_dwordx2 v[156:157], v[56:57], off
	s_or_b64 exec, exec, s[40:41]
	s_and_saveexec_b64 s[40:41], s[56:57]
	s_cbranch_execnz .LBB914_1235
.LBB914_1254:                           ;   in Loop: Header=BB914_1040 Depth=2
	s_or_b64 exec, exec, s[40:41]
	s_and_saveexec_b64 s[40:41], s[58:59]
	s_cbranch_execz .LBB914_1236
.LBB914_1255:                           ;   in Loop: Header=BB914_1040 Depth=2
	v_lshlrev_b32_e32 v56, 2, v141
	ds_read_b32 v156, v56
	ds_read_b64 v[56:57], v5 offset:18432
	v_mov_b32_e32 v157, v4
	v_mov_b32_e32 v158, s87
	s_waitcnt lgkmcnt(1)
	v_add_u32_e32 v156, v156, v8
	v_lshlrev_b64 v[156:157], 3, v[156:157]
	v_add_co_u32_e32 v156, vcc, s86, v156
	v_addc_co_u32_e32 v157, vcc, v158, v157, vcc
	s_waitcnt lgkmcnt(0)
	global_store_dwordx2 v[156:157], v[56:57], off
	s_or_b64 exec, exec, s[40:41]
	s_and_saveexec_b64 s[40:41], s[60:61]
	s_cbranch_execnz .LBB914_1237
.LBB914_1256:                           ;   in Loop: Header=BB914_1040 Depth=2
	s_or_b64 exec, exec, s[40:41]
	s_and_saveexec_b64 s[40:41], s[62:63]
	s_cbranch_execz .LBB914_1238
.LBB914_1257:                           ;   in Loop: Header=BB914_1040 Depth=2
	v_lshlrev_b32_e32 v56, 2, v139
	ds_read_b32 v156, v56
	ds_read_b64 v[56:57], v5 offset:22528
	v_mov_b32_e32 v157, v4
	v_mov_b32_e32 v158, s87
	s_waitcnt lgkmcnt(1)
	v_add_u32_e32 v156, v156, v12
	v_lshlrev_b64 v[156:157], 3, v[156:157]
	v_add_co_u32_e32 v156, vcc, s86, v156
	v_addc_co_u32_e32 v157, vcc, v158, v157, vcc
	s_waitcnt lgkmcnt(0)
	global_store_dwordx2 v[156:157], v[56:57], off
	s_or_b64 exec, exec, s[40:41]
	s_and_saveexec_b64 s[40:41], s[64:65]
	s_cbranch_execnz .LBB914_1239
.LBB914_1258:                           ;   in Loop: Header=BB914_1040 Depth=2
	s_or_b64 exec, exec, s[40:41]
	s_and_saveexec_b64 s[40:41], s[66:67]
	s_cbranch_execz .LBB914_1240
.LBB914_1259:                           ;   in Loop: Header=BB914_1040 Depth=2
	v_lshlrev_b32_e32 v56, 2, v137
	ds_read_b32 v156, v56
	ds_read_b64 v[56:57], v5 offset:26624
	v_mov_b32_e32 v157, v4
	v_mov_b32_e32 v158, s87
	s_waitcnt lgkmcnt(1)
	v_add_u32_e32 v156, v156, v16
	v_lshlrev_b64 v[156:157], 3, v[156:157]
	v_add_co_u32_e32 v156, vcc, s86, v156
	v_addc_co_u32_e32 v157, vcc, v158, v157, vcc
	s_waitcnt lgkmcnt(0)
	global_store_dwordx2 v[156:157], v[56:57], off
	s_or_b64 exec, exec, s[40:41]
	s_and_saveexec_b64 s[40:41], s[68:69]
	s_cbranch_execnz .LBB914_1241
.LBB914_1260:                           ;   in Loop: Header=BB914_1040 Depth=2
	s_or_b64 exec, exec, s[40:41]
	s_and_saveexec_b64 s[40:41], s[70:71]
	s_cbranch_execz .LBB914_1242
.LBB914_1261:                           ;   in Loop: Header=BB914_1040 Depth=2
	v_lshlrev_b32_e32 v56, 2, v135
	ds_read_b32 v156, v56
	ds_read_b64 v[56:57], v5 offset:30720
	v_mov_b32_e32 v157, v4
	v_mov_b32_e32 v158, s87
	s_waitcnt lgkmcnt(1)
	v_add_u32_e32 v156, v156, v20
	v_lshlrev_b64 v[156:157], 3, v[156:157]
	v_add_co_u32_e32 v156, vcc, s86, v156
	v_addc_co_u32_e32 v157, vcc, v158, v157, vcc
	s_waitcnt lgkmcnt(0)
	global_store_dwordx2 v[156:157], v[56:57], off
	s_or_b64 exec, exec, s[40:41]
	s_and_saveexec_b64 s[40:41], s[72:73]
	s_cbranch_execnz .LBB914_1243
	s_branch .LBB914_1244
.LBB914_1262:
	s_endpgm
	.section	.rodata,"a",@progbits
	.p2align	6, 0x0
	.amdhsa_kernel _ZN7rocprim17ROCPRIM_400000_NS6detail17trampoline_kernelINS0_14default_configENS1_36segmented_radix_sort_config_selectorIslEEZNS1_25segmented_radix_sort_implIS3_Lb1EPKsPsPKlPlN2at6native12_GLOBAL__N_18offset_tEEE10hipError_tPvRmT1_PNSt15iterator_traitsISK_E10value_typeET2_T3_PNSL_ISQ_E10value_typeET4_jRbjT5_SW_jjP12ihipStream_tbEUlT_E_NS1_11comp_targetILNS1_3genE4ELNS1_11target_archE910ELNS1_3gpuE8ELNS1_3repE0EEENS1_30default_config_static_selectorELNS0_4arch9wavefront6targetE1EEEvSK_
		.amdhsa_group_segment_fixed_size 35336
		.amdhsa_private_segment_fixed_size 184
		.amdhsa_kernarg_size 352
		.amdhsa_user_sgpr_count 8
		.amdhsa_user_sgpr_private_segment_buffer 1
		.amdhsa_user_sgpr_dispatch_ptr 0
		.amdhsa_user_sgpr_queue_ptr 0
		.amdhsa_user_sgpr_kernarg_segment_ptr 1
		.amdhsa_user_sgpr_dispatch_id 0
		.amdhsa_user_sgpr_flat_scratch_init 1
		.amdhsa_user_sgpr_kernarg_preload_length 0
		.amdhsa_user_sgpr_kernarg_preload_offset 0
		.amdhsa_user_sgpr_private_segment_size 0
		.amdhsa_uses_dynamic_stack 0
		.amdhsa_system_sgpr_private_segment_wavefront_offset 1
		.amdhsa_system_sgpr_workgroup_id_x 1
		.amdhsa_system_sgpr_workgroup_id_y 1
		.amdhsa_system_sgpr_workgroup_id_z 0
		.amdhsa_system_sgpr_workgroup_info 0
		.amdhsa_system_vgpr_workitem_id 2
		.amdhsa_next_free_vgpr 280
		.amdhsa_next_free_sgpr 100
		.amdhsa_accum_offset 248
		.amdhsa_reserve_vcc 1
		.amdhsa_reserve_flat_scratch 1
		.amdhsa_float_round_mode_32 0
		.amdhsa_float_round_mode_16_64 0
		.amdhsa_float_denorm_mode_32 3
		.amdhsa_float_denorm_mode_16_64 3
		.amdhsa_dx10_clamp 1
		.amdhsa_ieee_mode 1
		.amdhsa_fp16_overflow 0
		.amdhsa_tg_split 0
		.amdhsa_exception_fp_ieee_invalid_op 0
		.amdhsa_exception_fp_denorm_src 0
		.amdhsa_exception_fp_ieee_div_zero 0
		.amdhsa_exception_fp_ieee_overflow 0
		.amdhsa_exception_fp_ieee_underflow 0
		.amdhsa_exception_fp_ieee_inexact 0
		.amdhsa_exception_int_div_zero 0
	.end_amdhsa_kernel
	.section	.text._ZN7rocprim17ROCPRIM_400000_NS6detail17trampoline_kernelINS0_14default_configENS1_36segmented_radix_sort_config_selectorIslEEZNS1_25segmented_radix_sort_implIS3_Lb1EPKsPsPKlPlN2at6native12_GLOBAL__N_18offset_tEEE10hipError_tPvRmT1_PNSt15iterator_traitsISK_E10value_typeET2_T3_PNSL_ISQ_E10value_typeET4_jRbjT5_SW_jjP12ihipStream_tbEUlT_E_NS1_11comp_targetILNS1_3genE4ELNS1_11target_archE910ELNS1_3gpuE8ELNS1_3repE0EEENS1_30default_config_static_selectorELNS0_4arch9wavefront6targetE1EEEvSK_,"axG",@progbits,_ZN7rocprim17ROCPRIM_400000_NS6detail17trampoline_kernelINS0_14default_configENS1_36segmented_radix_sort_config_selectorIslEEZNS1_25segmented_radix_sort_implIS3_Lb1EPKsPsPKlPlN2at6native12_GLOBAL__N_18offset_tEEE10hipError_tPvRmT1_PNSt15iterator_traitsISK_E10value_typeET2_T3_PNSL_ISQ_E10value_typeET4_jRbjT5_SW_jjP12ihipStream_tbEUlT_E_NS1_11comp_targetILNS1_3genE4ELNS1_11target_archE910ELNS1_3gpuE8ELNS1_3repE0EEENS1_30default_config_static_selectorELNS0_4arch9wavefront6targetE1EEEvSK_,comdat
.Lfunc_end914:
	.size	_ZN7rocprim17ROCPRIM_400000_NS6detail17trampoline_kernelINS0_14default_configENS1_36segmented_radix_sort_config_selectorIslEEZNS1_25segmented_radix_sort_implIS3_Lb1EPKsPsPKlPlN2at6native12_GLOBAL__N_18offset_tEEE10hipError_tPvRmT1_PNSt15iterator_traitsISK_E10value_typeET2_T3_PNSL_ISQ_E10value_typeET4_jRbjT5_SW_jjP12ihipStream_tbEUlT_E_NS1_11comp_targetILNS1_3genE4ELNS1_11target_archE910ELNS1_3gpuE8ELNS1_3repE0EEENS1_30default_config_static_selectorELNS0_4arch9wavefront6targetE1EEEvSK_, .Lfunc_end914-_ZN7rocprim17ROCPRIM_400000_NS6detail17trampoline_kernelINS0_14default_configENS1_36segmented_radix_sort_config_selectorIslEEZNS1_25segmented_radix_sort_implIS3_Lb1EPKsPsPKlPlN2at6native12_GLOBAL__N_18offset_tEEE10hipError_tPvRmT1_PNSt15iterator_traitsISK_E10value_typeET2_T3_PNSL_ISQ_E10value_typeET4_jRbjT5_SW_jjP12ihipStream_tbEUlT_E_NS1_11comp_targetILNS1_3genE4ELNS1_11target_archE910ELNS1_3gpuE8ELNS1_3repE0EEENS1_30default_config_static_selectorELNS0_4arch9wavefront6targetE1EEEvSK_
                                        ; -- End function
	.section	.AMDGPU.csdata,"",@progbits
; Kernel info:
; codeLenInByte = 66020
; NumSgprs: 106
; NumVgprs: 248
; NumAgprs: 32
; TotalNumVgprs: 280
; ScratchSize: 184
; MemoryBound: 0
; FloatMode: 240
; IeeeMode: 1
; LDSByteSize: 35336 bytes/workgroup (compile time only)
; SGPRBlocks: 13
; VGPRBlocks: 34
; NumSGPRsForWavesPerEU: 106
; NumVGPRsForWavesPerEU: 280
; AccumOffset: 248
; Occupancy: 1
; WaveLimiterHint : 1
; COMPUTE_PGM_RSRC2:SCRATCH_EN: 1
; COMPUTE_PGM_RSRC2:USER_SGPR: 8
; COMPUTE_PGM_RSRC2:TRAP_HANDLER: 0
; COMPUTE_PGM_RSRC2:TGID_X_EN: 1
; COMPUTE_PGM_RSRC2:TGID_Y_EN: 1
; COMPUTE_PGM_RSRC2:TGID_Z_EN: 0
; COMPUTE_PGM_RSRC2:TIDIG_COMP_CNT: 2
; COMPUTE_PGM_RSRC3_GFX90A:ACCUM_OFFSET: 61
; COMPUTE_PGM_RSRC3_GFX90A:TG_SPLIT: 0
	.section	.text._ZN7rocprim17ROCPRIM_400000_NS6detail17trampoline_kernelINS0_14default_configENS1_36segmented_radix_sort_config_selectorIslEEZNS1_25segmented_radix_sort_implIS3_Lb1EPKsPsPKlPlN2at6native12_GLOBAL__N_18offset_tEEE10hipError_tPvRmT1_PNSt15iterator_traitsISK_E10value_typeET2_T3_PNSL_ISQ_E10value_typeET4_jRbjT5_SW_jjP12ihipStream_tbEUlT_E_NS1_11comp_targetILNS1_3genE3ELNS1_11target_archE908ELNS1_3gpuE7ELNS1_3repE0EEENS1_30default_config_static_selectorELNS0_4arch9wavefront6targetE1EEEvSK_,"axG",@progbits,_ZN7rocprim17ROCPRIM_400000_NS6detail17trampoline_kernelINS0_14default_configENS1_36segmented_radix_sort_config_selectorIslEEZNS1_25segmented_radix_sort_implIS3_Lb1EPKsPsPKlPlN2at6native12_GLOBAL__N_18offset_tEEE10hipError_tPvRmT1_PNSt15iterator_traitsISK_E10value_typeET2_T3_PNSL_ISQ_E10value_typeET4_jRbjT5_SW_jjP12ihipStream_tbEUlT_E_NS1_11comp_targetILNS1_3genE3ELNS1_11target_archE908ELNS1_3gpuE7ELNS1_3repE0EEENS1_30default_config_static_selectorELNS0_4arch9wavefront6targetE1EEEvSK_,comdat
	.globl	_ZN7rocprim17ROCPRIM_400000_NS6detail17trampoline_kernelINS0_14default_configENS1_36segmented_radix_sort_config_selectorIslEEZNS1_25segmented_radix_sort_implIS3_Lb1EPKsPsPKlPlN2at6native12_GLOBAL__N_18offset_tEEE10hipError_tPvRmT1_PNSt15iterator_traitsISK_E10value_typeET2_T3_PNSL_ISQ_E10value_typeET4_jRbjT5_SW_jjP12ihipStream_tbEUlT_E_NS1_11comp_targetILNS1_3genE3ELNS1_11target_archE908ELNS1_3gpuE7ELNS1_3repE0EEENS1_30default_config_static_selectorELNS0_4arch9wavefront6targetE1EEEvSK_ ; -- Begin function _ZN7rocprim17ROCPRIM_400000_NS6detail17trampoline_kernelINS0_14default_configENS1_36segmented_radix_sort_config_selectorIslEEZNS1_25segmented_radix_sort_implIS3_Lb1EPKsPsPKlPlN2at6native12_GLOBAL__N_18offset_tEEE10hipError_tPvRmT1_PNSt15iterator_traitsISK_E10value_typeET2_T3_PNSL_ISQ_E10value_typeET4_jRbjT5_SW_jjP12ihipStream_tbEUlT_E_NS1_11comp_targetILNS1_3genE3ELNS1_11target_archE908ELNS1_3gpuE7ELNS1_3repE0EEENS1_30default_config_static_selectorELNS0_4arch9wavefront6targetE1EEEvSK_
	.p2align	8
	.type	_ZN7rocprim17ROCPRIM_400000_NS6detail17trampoline_kernelINS0_14default_configENS1_36segmented_radix_sort_config_selectorIslEEZNS1_25segmented_radix_sort_implIS3_Lb1EPKsPsPKlPlN2at6native12_GLOBAL__N_18offset_tEEE10hipError_tPvRmT1_PNSt15iterator_traitsISK_E10value_typeET2_T3_PNSL_ISQ_E10value_typeET4_jRbjT5_SW_jjP12ihipStream_tbEUlT_E_NS1_11comp_targetILNS1_3genE3ELNS1_11target_archE908ELNS1_3gpuE7ELNS1_3repE0EEENS1_30default_config_static_selectorELNS0_4arch9wavefront6targetE1EEEvSK_,@function
_ZN7rocprim17ROCPRIM_400000_NS6detail17trampoline_kernelINS0_14default_configENS1_36segmented_radix_sort_config_selectorIslEEZNS1_25segmented_radix_sort_implIS3_Lb1EPKsPsPKlPlN2at6native12_GLOBAL__N_18offset_tEEE10hipError_tPvRmT1_PNSt15iterator_traitsISK_E10value_typeET2_T3_PNSL_ISQ_E10value_typeET4_jRbjT5_SW_jjP12ihipStream_tbEUlT_E_NS1_11comp_targetILNS1_3genE3ELNS1_11target_archE908ELNS1_3gpuE7ELNS1_3repE0EEENS1_30default_config_static_selectorELNS0_4arch9wavefront6targetE1EEEvSK_: ; @_ZN7rocprim17ROCPRIM_400000_NS6detail17trampoline_kernelINS0_14default_configENS1_36segmented_radix_sort_config_selectorIslEEZNS1_25segmented_radix_sort_implIS3_Lb1EPKsPsPKlPlN2at6native12_GLOBAL__N_18offset_tEEE10hipError_tPvRmT1_PNSt15iterator_traitsISK_E10value_typeET2_T3_PNSL_ISQ_E10value_typeET4_jRbjT5_SW_jjP12ihipStream_tbEUlT_E_NS1_11comp_targetILNS1_3genE3ELNS1_11target_archE908ELNS1_3gpuE7ELNS1_3repE0EEENS1_30default_config_static_selectorELNS0_4arch9wavefront6targetE1EEEvSK_
; %bb.0:
	.section	.rodata,"a",@progbits
	.p2align	6, 0x0
	.amdhsa_kernel _ZN7rocprim17ROCPRIM_400000_NS6detail17trampoline_kernelINS0_14default_configENS1_36segmented_radix_sort_config_selectorIslEEZNS1_25segmented_radix_sort_implIS3_Lb1EPKsPsPKlPlN2at6native12_GLOBAL__N_18offset_tEEE10hipError_tPvRmT1_PNSt15iterator_traitsISK_E10value_typeET2_T3_PNSL_ISQ_E10value_typeET4_jRbjT5_SW_jjP12ihipStream_tbEUlT_E_NS1_11comp_targetILNS1_3genE3ELNS1_11target_archE908ELNS1_3gpuE7ELNS1_3repE0EEENS1_30default_config_static_selectorELNS0_4arch9wavefront6targetE1EEEvSK_
		.amdhsa_group_segment_fixed_size 0
		.amdhsa_private_segment_fixed_size 0
		.amdhsa_kernarg_size 96
		.amdhsa_user_sgpr_count 6
		.amdhsa_user_sgpr_private_segment_buffer 1
		.amdhsa_user_sgpr_dispatch_ptr 0
		.amdhsa_user_sgpr_queue_ptr 0
		.amdhsa_user_sgpr_kernarg_segment_ptr 1
		.amdhsa_user_sgpr_dispatch_id 0
		.amdhsa_user_sgpr_flat_scratch_init 0
		.amdhsa_user_sgpr_kernarg_preload_length 0
		.amdhsa_user_sgpr_kernarg_preload_offset 0
		.amdhsa_user_sgpr_private_segment_size 0
		.amdhsa_uses_dynamic_stack 0
		.amdhsa_system_sgpr_private_segment_wavefront_offset 0
		.amdhsa_system_sgpr_workgroup_id_x 1
		.amdhsa_system_sgpr_workgroup_id_y 0
		.amdhsa_system_sgpr_workgroup_id_z 0
		.amdhsa_system_sgpr_workgroup_info 0
		.amdhsa_system_vgpr_workitem_id 0
		.amdhsa_next_free_vgpr 1
		.amdhsa_next_free_sgpr 0
		.amdhsa_accum_offset 4
		.amdhsa_reserve_vcc 0
		.amdhsa_reserve_flat_scratch 0
		.amdhsa_float_round_mode_32 0
		.amdhsa_float_round_mode_16_64 0
		.amdhsa_float_denorm_mode_32 3
		.amdhsa_float_denorm_mode_16_64 3
		.amdhsa_dx10_clamp 1
		.amdhsa_ieee_mode 1
		.amdhsa_fp16_overflow 0
		.amdhsa_tg_split 0
		.amdhsa_exception_fp_ieee_invalid_op 0
		.amdhsa_exception_fp_denorm_src 0
		.amdhsa_exception_fp_ieee_div_zero 0
		.amdhsa_exception_fp_ieee_overflow 0
		.amdhsa_exception_fp_ieee_underflow 0
		.amdhsa_exception_fp_ieee_inexact 0
		.amdhsa_exception_int_div_zero 0
	.end_amdhsa_kernel
	.section	.text._ZN7rocprim17ROCPRIM_400000_NS6detail17trampoline_kernelINS0_14default_configENS1_36segmented_radix_sort_config_selectorIslEEZNS1_25segmented_radix_sort_implIS3_Lb1EPKsPsPKlPlN2at6native12_GLOBAL__N_18offset_tEEE10hipError_tPvRmT1_PNSt15iterator_traitsISK_E10value_typeET2_T3_PNSL_ISQ_E10value_typeET4_jRbjT5_SW_jjP12ihipStream_tbEUlT_E_NS1_11comp_targetILNS1_3genE3ELNS1_11target_archE908ELNS1_3gpuE7ELNS1_3repE0EEENS1_30default_config_static_selectorELNS0_4arch9wavefront6targetE1EEEvSK_,"axG",@progbits,_ZN7rocprim17ROCPRIM_400000_NS6detail17trampoline_kernelINS0_14default_configENS1_36segmented_radix_sort_config_selectorIslEEZNS1_25segmented_radix_sort_implIS3_Lb1EPKsPsPKlPlN2at6native12_GLOBAL__N_18offset_tEEE10hipError_tPvRmT1_PNSt15iterator_traitsISK_E10value_typeET2_T3_PNSL_ISQ_E10value_typeET4_jRbjT5_SW_jjP12ihipStream_tbEUlT_E_NS1_11comp_targetILNS1_3genE3ELNS1_11target_archE908ELNS1_3gpuE7ELNS1_3repE0EEENS1_30default_config_static_selectorELNS0_4arch9wavefront6targetE1EEEvSK_,comdat
.Lfunc_end915:
	.size	_ZN7rocprim17ROCPRIM_400000_NS6detail17trampoline_kernelINS0_14default_configENS1_36segmented_radix_sort_config_selectorIslEEZNS1_25segmented_radix_sort_implIS3_Lb1EPKsPsPKlPlN2at6native12_GLOBAL__N_18offset_tEEE10hipError_tPvRmT1_PNSt15iterator_traitsISK_E10value_typeET2_T3_PNSL_ISQ_E10value_typeET4_jRbjT5_SW_jjP12ihipStream_tbEUlT_E_NS1_11comp_targetILNS1_3genE3ELNS1_11target_archE908ELNS1_3gpuE7ELNS1_3repE0EEENS1_30default_config_static_selectorELNS0_4arch9wavefront6targetE1EEEvSK_, .Lfunc_end915-_ZN7rocprim17ROCPRIM_400000_NS6detail17trampoline_kernelINS0_14default_configENS1_36segmented_radix_sort_config_selectorIslEEZNS1_25segmented_radix_sort_implIS3_Lb1EPKsPsPKlPlN2at6native12_GLOBAL__N_18offset_tEEE10hipError_tPvRmT1_PNSt15iterator_traitsISK_E10value_typeET2_T3_PNSL_ISQ_E10value_typeET4_jRbjT5_SW_jjP12ihipStream_tbEUlT_E_NS1_11comp_targetILNS1_3genE3ELNS1_11target_archE908ELNS1_3gpuE7ELNS1_3repE0EEENS1_30default_config_static_selectorELNS0_4arch9wavefront6targetE1EEEvSK_
                                        ; -- End function
	.section	.AMDGPU.csdata,"",@progbits
; Kernel info:
; codeLenInByte = 0
; NumSgprs: 4
; NumVgprs: 0
; NumAgprs: 0
; TotalNumVgprs: 0
; ScratchSize: 0
; MemoryBound: 0
; FloatMode: 240
; IeeeMode: 1
; LDSByteSize: 0 bytes/workgroup (compile time only)
; SGPRBlocks: 0
; VGPRBlocks: 0
; NumSGPRsForWavesPerEU: 4
; NumVGPRsForWavesPerEU: 1
; AccumOffset: 4
; Occupancy: 8
; WaveLimiterHint : 0
; COMPUTE_PGM_RSRC2:SCRATCH_EN: 0
; COMPUTE_PGM_RSRC2:USER_SGPR: 6
; COMPUTE_PGM_RSRC2:TRAP_HANDLER: 0
; COMPUTE_PGM_RSRC2:TGID_X_EN: 1
; COMPUTE_PGM_RSRC2:TGID_Y_EN: 0
; COMPUTE_PGM_RSRC2:TGID_Z_EN: 0
; COMPUTE_PGM_RSRC2:TIDIG_COMP_CNT: 0
; COMPUTE_PGM_RSRC3_GFX90A:ACCUM_OFFSET: 0
; COMPUTE_PGM_RSRC3_GFX90A:TG_SPLIT: 0
	.section	.text._ZN7rocprim17ROCPRIM_400000_NS6detail17trampoline_kernelINS0_14default_configENS1_36segmented_radix_sort_config_selectorIslEEZNS1_25segmented_radix_sort_implIS3_Lb1EPKsPsPKlPlN2at6native12_GLOBAL__N_18offset_tEEE10hipError_tPvRmT1_PNSt15iterator_traitsISK_E10value_typeET2_T3_PNSL_ISQ_E10value_typeET4_jRbjT5_SW_jjP12ihipStream_tbEUlT_E_NS1_11comp_targetILNS1_3genE2ELNS1_11target_archE906ELNS1_3gpuE6ELNS1_3repE0EEENS1_30default_config_static_selectorELNS0_4arch9wavefront6targetE1EEEvSK_,"axG",@progbits,_ZN7rocprim17ROCPRIM_400000_NS6detail17trampoline_kernelINS0_14default_configENS1_36segmented_radix_sort_config_selectorIslEEZNS1_25segmented_radix_sort_implIS3_Lb1EPKsPsPKlPlN2at6native12_GLOBAL__N_18offset_tEEE10hipError_tPvRmT1_PNSt15iterator_traitsISK_E10value_typeET2_T3_PNSL_ISQ_E10value_typeET4_jRbjT5_SW_jjP12ihipStream_tbEUlT_E_NS1_11comp_targetILNS1_3genE2ELNS1_11target_archE906ELNS1_3gpuE6ELNS1_3repE0EEENS1_30default_config_static_selectorELNS0_4arch9wavefront6targetE1EEEvSK_,comdat
	.globl	_ZN7rocprim17ROCPRIM_400000_NS6detail17trampoline_kernelINS0_14default_configENS1_36segmented_radix_sort_config_selectorIslEEZNS1_25segmented_radix_sort_implIS3_Lb1EPKsPsPKlPlN2at6native12_GLOBAL__N_18offset_tEEE10hipError_tPvRmT1_PNSt15iterator_traitsISK_E10value_typeET2_T3_PNSL_ISQ_E10value_typeET4_jRbjT5_SW_jjP12ihipStream_tbEUlT_E_NS1_11comp_targetILNS1_3genE2ELNS1_11target_archE906ELNS1_3gpuE6ELNS1_3repE0EEENS1_30default_config_static_selectorELNS0_4arch9wavefront6targetE1EEEvSK_ ; -- Begin function _ZN7rocprim17ROCPRIM_400000_NS6detail17trampoline_kernelINS0_14default_configENS1_36segmented_radix_sort_config_selectorIslEEZNS1_25segmented_radix_sort_implIS3_Lb1EPKsPsPKlPlN2at6native12_GLOBAL__N_18offset_tEEE10hipError_tPvRmT1_PNSt15iterator_traitsISK_E10value_typeET2_T3_PNSL_ISQ_E10value_typeET4_jRbjT5_SW_jjP12ihipStream_tbEUlT_E_NS1_11comp_targetILNS1_3genE2ELNS1_11target_archE906ELNS1_3gpuE6ELNS1_3repE0EEENS1_30default_config_static_selectorELNS0_4arch9wavefront6targetE1EEEvSK_
	.p2align	8
	.type	_ZN7rocprim17ROCPRIM_400000_NS6detail17trampoline_kernelINS0_14default_configENS1_36segmented_radix_sort_config_selectorIslEEZNS1_25segmented_radix_sort_implIS3_Lb1EPKsPsPKlPlN2at6native12_GLOBAL__N_18offset_tEEE10hipError_tPvRmT1_PNSt15iterator_traitsISK_E10value_typeET2_T3_PNSL_ISQ_E10value_typeET4_jRbjT5_SW_jjP12ihipStream_tbEUlT_E_NS1_11comp_targetILNS1_3genE2ELNS1_11target_archE906ELNS1_3gpuE6ELNS1_3repE0EEENS1_30default_config_static_selectorELNS0_4arch9wavefront6targetE1EEEvSK_,@function
_ZN7rocprim17ROCPRIM_400000_NS6detail17trampoline_kernelINS0_14default_configENS1_36segmented_radix_sort_config_selectorIslEEZNS1_25segmented_radix_sort_implIS3_Lb1EPKsPsPKlPlN2at6native12_GLOBAL__N_18offset_tEEE10hipError_tPvRmT1_PNSt15iterator_traitsISK_E10value_typeET2_T3_PNSL_ISQ_E10value_typeET4_jRbjT5_SW_jjP12ihipStream_tbEUlT_E_NS1_11comp_targetILNS1_3genE2ELNS1_11target_archE906ELNS1_3gpuE6ELNS1_3repE0EEENS1_30default_config_static_selectorELNS0_4arch9wavefront6targetE1EEEvSK_: ; @_ZN7rocprim17ROCPRIM_400000_NS6detail17trampoline_kernelINS0_14default_configENS1_36segmented_radix_sort_config_selectorIslEEZNS1_25segmented_radix_sort_implIS3_Lb1EPKsPsPKlPlN2at6native12_GLOBAL__N_18offset_tEEE10hipError_tPvRmT1_PNSt15iterator_traitsISK_E10value_typeET2_T3_PNSL_ISQ_E10value_typeET4_jRbjT5_SW_jjP12ihipStream_tbEUlT_E_NS1_11comp_targetILNS1_3genE2ELNS1_11target_archE906ELNS1_3gpuE6ELNS1_3repE0EEENS1_30default_config_static_selectorELNS0_4arch9wavefront6targetE1EEEvSK_
; %bb.0:
	.section	.rodata,"a",@progbits
	.p2align	6, 0x0
	.amdhsa_kernel _ZN7rocprim17ROCPRIM_400000_NS6detail17trampoline_kernelINS0_14default_configENS1_36segmented_radix_sort_config_selectorIslEEZNS1_25segmented_radix_sort_implIS3_Lb1EPKsPsPKlPlN2at6native12_GLOBAL__N_18offset_tEEE10hipError_tPvRmT1_PNSt15iterator_traitsISK_E10value_typeET2_T3_PNSL_ISQ_E10value_typeET4_jRbjT5_SW_jjP12ihipStream_tbEUlT_E_NS1_11comp_targetILNS1_3genE2ELNS1_11target_archE906ELNS1_3gpuE6ELNS1_3repE0EEENS1_30default_config_static_selectorELNS0_4arch9wavefront6targetE1EEEvSK_
		.amdhsa_group_segment_fixed_size 0
		.amdhsa_private_segment_fixed_size 0
		.amdhsa_kernarg_size 96
		.amdhsa_user_sgpr_count 6
		.amdhsa_user_sgpr_private_segment_buffer 1
		.amdhsa_user_sgpr_dispatch_ptr 0
		.amdhsa_user_sgpr_queue_ptr 0
		.amdhsa_user_sgpr_kernarg_segment_ptr 1
		.amdhsa_user_sgpr_dispatch_id 0
		.amdhsa_user_sgpr_flat_scratch_init 0
		.amdhsa_user_sgpr_kernarg_preload_length 0
		.amdhsa_user_sgpr_kernarg_preload_offset 0
		.amdhsa_user_sgpr_private_segment_size 0
		.amdhsa_uses_dynamic_stack 0
		.amdhsa_system_sgpr_private_segment_wavefront_offset 0
		.amdhsa_system_sgpr_workgroup_id_x 1
		.amdhsa_system_sgpr_workgroup_id_y 0
		.amdhsa_system_sgpr_workgroup_id_z 0
		.amdhsa_system_sgpr_workgroup_info 0
		.amdhsa_system_vgpr_workitem_id 0
		.amdhsa_next_free_vgpr 1
		.amdhsa_next_free_sgpr 0
		.amdhsa_accum_offset 4
		.amdhsa_reserve_vcc 0
		.amdhsa_reserve_flat_scratch 0
		.amdhsa_float_round_mode_32 0
		.amdhsa_float_round_mode_16_64 0
		.amdhsa_float_denorm_mode_32 3
		.amdhsa_float_denorm_mode_16_64 3
		.amdhsa_dx10_clamp 1
		.amdhsa_ieee_mode 1
		.amdhsa_fp16_overflow 0
		.amdhsa_tg_split 0
		.amdhsa_exception_fp_ieee_invalid_op 0
		.amdhsa_exception_fp_denorm_src 0
		.amdhsa_exception_fp_ieee_div_zero 0
		.amdhsa_exception_fp_ieee_overflow 0
		.amdhsa_exception_fp_ieee_underflow 0
		.amdhsa_exception_fp_ieee_inexact 0
		.amdhsa_exception_int_div_zero 0
	.end_amdhsa_kernel
	.section	.text._ZN7rocprim17ROCPRIM_400000_NS6detail17trampoline_kernelINS0_14default_configENS1_36segmented_radix_sort_config_selectorIslEEZNS1_25segmented_radix_sort_implIS3_Lb1EPKsPsPKlPlN2at6native12_GLOBAL__N_18offset_tEEE10hipError_tPvRmT1_PNSt15iterator_traitsISK_E10value_typeET2_T3_PNSL_ISQ_E10value_typeET4_jRbjT5_SW_jjP12ihipStream_tbEUlT_E_NS1_11comp_targetILNS1_3genE2ELNS1_11target_archE906ELNS1_3gpuE6ELNS1_3repE0EEENS1_30default_config_static_selectorELNS0_4arch9wavefront6targetE1EEEvSK_,"axG",@progbits,_ZN7rocprim17ROCPRIM_400000_NS6detail17trampoline_kernelINS0_14default_configENS1_36segmented_radix_sort_config_selectorIslEEZNS1_25segmented_radix_sort_implIS3_Lb1EPKsPsPKlPlN2at6native12_GLOBAL__N_18offset_tEEE10hipError_tPvRmT1_PNSt15iterator_traitsISK_E10value_typeET2_T3_PNSL_ISQ_E10value_typeET4_jRbjT5_SW_jjP12ihipStream_tbEUlT_E_NS1_11comp_targetILNS1_3genE2ELNS1_11target_archE906ELNS1_3gpuE6ELNS1_3repE0EEENS1_30default_config_static_selectorELNS0_4arch9wavefront6targetE1EEEvSK_,comdat
.Lfunc_end916:
	.size	_ZN7rocprim17ROCPRIM_400000_NS6detail17trampoline_kernelINS0_14default_configENS1_36segmented_radix_sort_config_selectorIslEEZNS1_25segmented_radix_sort_implIS3_Lb1EPKsPsPKlPlN2at6native12_GLOBAL__N_18offset_tEEE10hipError_tPvRmT1_PNSt15iterator_traitsISK_E10value_typeET2_T3_PNSL_ISQ_E10value_typeET4_jRbjT5_SW_jjP12ihipStream_tbEUlT_E_NS1_11comp_targetILNS1_3genE2ELNS1_11target_archE906ELNS1_3gpuE6ELNS1_3repE0EEENS1_30default_config_static_selectorELNS0_4arch9wavefront6targetE1EEEvSK_, .Lfunc_end916-_ZN7rocprim17ROCPRIM_400000_NS6detail17trampoline_kernelINS0_14default_configENS1_36segmented_radix_sort_config_selectorIslEEZNS1_25segmented_radix_sort_implIS3_Lb1EPKsPsPKlPlN2at6native12_GLOBAL__N_18offset_tEEE10hipError_tPvRmT1_PNSt15iterator_traitsISK_E10value_typeET2_T3_PNSL_ISQ_E10value_typeET4_jRbjT5_SW_jjP12ihipStream_tbEUlT_E_NS1_11comp_targetILNS1_3genE2ELNS1_11target_archE906ELNS1_3gpuE6ELNS1_3repE0EEENS1_30default_config_static_selectorELNS0_4arch9wavefront6targetE1EEEvSK_
                                        ; -- End function
	.section	.AMDGPU.csdata,"",@progbits
; Kernel info:
; codeLenInByte = 0
; NumSgprs: 4
; NumVgprs: 0
; NumAgprs: 0
; TotalNumVgprs: 0
; ScratchSize: 0
; MemoryBound: 0
; FloatMode: 240
; IeeeMode: 1
; LDSByteSize: 0 bytes/workgroup (compile time only)
; SGPRBlocks: 0
; VGPRBlocks: 0
; NumSGPRsForWavesPerEU: 4
; NumVGPRsForWavesPerEU: 1
; AccumOffset: 4
; Occupancy: 8
; WaveLimiterHint : 0
; COMPUTE_PGM_RSRC2:SCRATCH_EN: 0
; COMPUTE_PGM_RSRC2:USER_SGPR: 6
; COMPUTE_PGM_RSRC2:TRAP_HANDLER: 0
; COMPUTE_PGM_RSRC2:TGID_X_EN: 1
; COMPUTE_PGM_RSRC2:TGID_Y_EN: 0
; COMPUTE_PGM_RSRC2:TGID_Z_EN: 0
; COMPUTE_PGM_RSRC2:TIDIG_COMP_CNT: 0
; COMPUTE_PGM_RSRC3_GFX90A:ACCUM_OFFSET: 0
; COMPUTE_PGM_RSRC3_GFX90A:TG_SPLIT: 0
	.section	.text._ZN7rocprim17ROCPRIM_400000_NS6detail17trampoline_kernelINS0_14default_configENS1_36segmented_radix_sort_config_selectorIslEEZNS1_25segmented_radix_sort_implIS3_Lb1EPKsPsPKlPlN2at6native12_GLOBAL__N_18offset_tEEE10hipError_tPvRmT1_PNSt15iterator_traitsISK_E10value_typeET2_T3_PNSL_ISQ_E10value_typeET4_jRbjT5_SW_jjP12ihipStream_tbEUlT_E_NS1_11comp_targetILNS1_3genE10ELNS1_11target_archE1201ELNS1_3gpuE5ELNS1_3repE0EEENS1_30default_config_static_selectorELNS0_4arch9wavefront6targetE1EEEvSK_,"axG",@progbits,_ZN7rocprim17ROCPRIM_400000_NS6detail17trampoline_kernelINS0_14default_configENS1_36segmented_radix_sort_config_selectorIslEEZNS1_25segmented_radix_sort_implIS3_Lb1EPKsPsPKlPlN2at6native12_GLOBAL__N_18offset_tEEE10hipError_tPvRmT1_PNSt15iterator_traitsISK_E10value_typeET2_T3_PNSL_ISQ_E10value_typeET4_jRbjT5_SW_jjP12ihipStream_tbEUlT_E_NS1_11comp_targetILNS1_3genE10ELNS1_11target_archE1201ELNS1_3gpuE5ELNS1_3repE0EEENS1_30default_config_static_selectorELNS0_4arch9wavefront6targetE1EEEvSK_,comdat
	.globl	_ZN7rocprim17ROCPRIM_400000_NS6detail17trampoline_kernelINS0_14default_configENS1_36segmented_radix_sort_config_selectorIslEEZNS1_25segmented_radix_sort_implIS3_Lb1EPKsPsPKlPlN2at6native12_GLOBAL__N_18offset_tEEE10hipError_tPvRmT1_PNSt15iterator_traitsISK_E10value_typeET2_T3_PNSL_ISQ_E10value_typeET4_jRbjT5_SW_jjP12ihipStream_tbEUlT_E_NS1_11comp_targetILNS1_3genE10ELNS1_11target_archE1201ELNS1_3gpuE5ELNS1_3repE0EEENS1_30default_config_static_selectorELNS0_4arch9wavefront6targetE1EEEvSK_ ; -- Begin function _ZN7rocprim17ROCPRIM_400000_NS6detail17trampoline_kernelINS0_14default_configENS1_36segmented_radix_sort_config_selectorIslEEZNS1_25segmented_radix_sort_implIS3_Lb1EPKsPsPKlPlN2at6native12_GLOBAL__N_18offset_tEEE10hipError_tPvRmT1_PNSt15iterator_traitsISK_E10value_typeET2_T3_PNSL_ISQ_E10value_typeET4_jRbjT5_SW_jjP12ihipStream_tbEUlT_E_NS1_11comp_targetILNS1_3genE10ELNS1_11target_archE1201ELNS1_3gpuE5ELNS1_3repE0EEENS1_30default_config_static_selectorELNS0_4arch9wavefront6targetE1EEEvSK_
	.p2align	8
	.type	_ZN7rocprim17ROCPRIM_400000_NS6detail17trampoline_kernelINS0_14default_configENS1_36segmented_radix_sort_config_selectorIslEEZNS1_25segmented_radix_sort_implIS3_Lb1EPKsPsPKlPlN2at6native12_GLOBAL__N_18offset_tEEE10hipError_tPvRmT1_PNSt15iterator_traitsISK_E10value_typeET2_T3_PNSL_ISQ_E10value_typeET4_jRbjT5_SW_jjP12ihipStream_tbEUlT_E_NS1_11comp_targetILNS1_3genE10ELNS1_11target_archE1201ELNS1_3gpuE5ELNS1_3repE0EEENS1_30default_config_static_selectorELNS0_4arch9wavefront6targetE1EEEvSK_,@function
_ZN7rocprim17ROCPRIM_400000_NS6detail17trampoline_kernelINS0_14default_configENS1_36segmented_radix_sort_config_selectorIslEEZNS1_25segmented_radix_sort_implIS3_Lb1EPKsPsPKlPlN2at6native12_GLOBAL__N_18offset_tEEE10hipError_tPvRmT1_PNSt15iterator_traitsISK_E10value_typeET2_T3_PNSL_ISQ_E10value_typeET4_jRbjT5_SW_jjP12ihipStream_tbEUlT_E_NS1_11comp_targetILNS1_3genE10ELNS1_11target_archE1201ELNS1_3gpuE5ELNS1_3repE0EEENS1_30default_config_static_selectorELNS0_4arch9wavefront6targetE1EEEvSK_: ; @_ZN7rocprim17ROCPRIM_400000_NS6detail17trampoline_kernelINS0_14default_configENS1_36segmented_radix_sort_config_selectorIslEEZNS1_25segmented_radix_sort_implIS3_Lb1EPKsPsPKlPlN2at6native12_GLOBAL__N_18offset_tEEE10hipError_tPvRmT1_PNSt15iterator_traitsISK_E10value_typeET2_T3_PNSL_ISQ_E10value_typeET4_jRbjT5_SW_jjP12ihipStream_tbEUlT_E_NS1_11comp_targetILNS1_3genE10ELNS1_11target_archE1201ELNS1_3gpuE5ELNS1_3repE0EEENS1_30default_config_static_selectorELNS0_4arch9wavefront6targetE1EEEvSK_
; %bb.0:
	.section	.rodata,"a",@progbits
	.p2align	6, 0x0
	.amdhsa_kernel _ZN7rocprim17ROCPRIM_400000_NS6detail17trampoline_kernelINS0_14default_configENS1_36segmented_radix_sort_config_selectorIslEEZNS1_25segmented_radix_sort_implIS3_Lb1EPKsPsPKlPlN2at6native12_GLOBAL__N_18offset_tEEE10hipError_tPvRmT1_PNSt15iterator_traitsISK_E10value_typeET2_T3_PNSL_ISQ_E10value_typeET4_jRbjT5_SW_jjP12ihipStream_tbEUlT_E_NS1_11comp_targetILNS1_3genE10ELNS1_11target_archE1201ELNS1_3gpuE5ELNS1_3repE0EEENS1_30default_config_static_selectorELNS0_4arch9wavefront6targetE1EEEvSK_
		.amdhsa_group_segment_fixed_size 0
		.amdhsa_private_segment_fixed_size 0
		.amdhsa_kernarg_size 96
		.amdhsa_user_sgpr_count 6
		.amdhsa_user_sgpr_private_segment_buffer 1
		.amdhsa_user_sgpr_dispatch_ptr 0
		.amdhsa_user_sgpr_queue_ptr 0
		.amdhsa_user_sgpr_kernarg_segment_ptr 1
		.amdhsa_user_sgpr_dispatch_id 0
		.amdhsa_user_sgpr_flat_scratch_init 0
		.amdhsa_user_sgpr_kernarg_preload_length 0
		.amdhsa_user_sgpr_kernarg_preload_offset 0
		.amdhsa_user_sgpr_private_segment_size 0
		.amdhsa_uses_dynamic_stack 0
		.amdhsa_system_sgpr_private_segment_wavefront_offset 0
		.amdhsa_system_sgpr_workgroup_id_x 1
		.amdhsa_system_sgpr_workgroup_id_y 0
		.amdhsa_system_sgpr_workgroup_id_z 0
		.amdhsa_system_sgpr_workgroup_info 0
		.amdhsa_system_vgpr_workitem_id 0
		.amdhsa_next_free_vgpr 1
		.amdhsa_next_free_sgpr 0
		.amdhsa_accum_offset 4
		.amdhsa_reserve_vcc 0
		.amdhsa_reserve_flat_scratch 0
		.amdhsa_float_round_mode_32 0
		.amdhsa_float_round_mode_16_64 0
		.amdhsa_float_denorm_mode_32 3
		.amdhsa_float_denorm_mode_16_64 3
		.amdhsa_dx10_clamp 1
		.amdhsa_ieee_mode 1
		.amdhsa_fp16_overflow 0
		.amdhsa_tg_split 0
		.amdhsa_exception_fp_ieee_invalid_op 0
		.amdhsa_exception_fp_denorm_src 0
		.amdhsa_exception_fp_ieee_div_zero 0
		.amdhsa_exception_fp_ieee_overflow 0
		.amdhsa_exception_fp_ieee_underflow 0
		.amdhsa_exception_fp_ieee_inexact 0
		.amdhsa_exception_int_div_zero 0
	.end_amdhsa_kernel
	.section	.text._ZN7rocprim17ROCPRIM_400000_NS6detail17trampoline_kernelINS0_14default_configENS1_36segmented_radix_sort_config_selectorIslEEZNS1_25segmented_radix_sort_implIS3_Lb1EPKsPsPKlPlN2at6native12_GLOBAL__N_18offset_tEEE10hipError_tPvRmT1_PNSt15iterator_traitsISK_E10value_typeET2_T3_PNSL_ISQ_E10value_typeET4_jRbjT5_SW_jjP12ihipStream_tbEUlT_E_NS1_11comp_targetILNS1_3genE10ELNS1_11target_archE1201ELNS1_3gpuE5ELNS1_3repE0EEENS1_30default_config_static_selectorELNS0_4arch9wavefront6targetE1EEEvSK_,"axG",@progbits,_ZN7rocprim17ROCPRIM_400000_NS6detail17trampoline_kernelINS0_14default_configENS1_36segmented_radix_sort_config_selectorIslEEZNS1_25segmented_radix_sort_implIS3_Lb1EPKsPsPKlPlN2at6native12_GLOBAL__N_18offset_tEEE10hipError_tPvRmT1_PNSt15iterator_traitsISK_E10value_typeET2_T3_PNSL_ISQ_E10value_typeET4_jRbjT5_SW_jjP12ihipStream_tbEUlT_E_NS1_11comp_targetILNS1_3genE10ELNS1_11target_archE1201ELNS1_3gpuE5ELNS1_3repE0EEENS1_30default_config_static_selectorELNS0_4arch9wavefront6targetE1EEEvSK_,comdat
.Lfunc_end917:
	.size	_ZN7rocprim17ROCPRIM_400000_NS6detail17trampoline_kernelINS0_14default_configENS1_36segmented_radix_sort_config_selectorIslEEZNS1_25segmented_radix_sort_implIS3_Lb1EPKsPsPKlPlN2at6native12_GLOBAL__N_18offset_tEEE10hipError_tPvRmT1_PNSt15iterator_traitsISK_E10value_typeET2_T3_PNSL_ISQ_E10value_typeET4_jRbjT5_SW_jjP12ihipStream_tbEUlT_E_NS1_11comp_targetILNS1_3genE10ELNS1_11target_archE1201ELNS1_3gpuE5ELNS1_3repE0EEENS1_30default_config_static_selectorELNS0_4arch9wavefront6targetE1EEEvSK_, .Lfunc_end917-_ZN7rocprim17ROCPRIM_400000_NS6detail17trampoline_kernelINS0_14default_configENS1_36segmented_radix_sort_config_selectorIslEEZNS1_25segmented_radix_sort_implIS3_Lb1EPKsPsPKlPlN2at6native12_GLOBAL__N_18offset_tEEE10hipError_tPvRmT1_PNSt15iterator_traitsISK_E10value_typeET2_T3_PNSL_ISQ_E10value_typeET4_jRbjT5_SW_jjP12ihipStream_tbEUlT_E_NS1_11comp_targetILNS1_3genE10ELNS1_11target_archE1201ELNS1_3gpuE5ELNS1_3repE0EEENS1_30default_config_static_selectorELNS0_4arch9wavefront6targetE1EEEvSK_
                                        ; -- End function
	.section	.AMDGPU.csdata,"",@progbits
; Kernel info:
; codeLenInByte = 0
; NumSgprs: 4
; NumVgprs: 0
; NumAgprs: 0
; TotalNumVgprs: 0
; ScratchSize: 0
; MemoryBound: 0
; FloatMode: 240
; IeeeMode: 1
; LDSByteSize: 0 bytes/workgroup (compile time only)
; SGPRBlocks: 0
; VGPRBlocks: 0
; NumSGPRsForWavesPerEU: 4
; NumVGPRsForWavesPerEU: 1
; AccumOffset: 4
; Occupancy: 8
; WaveLimiterHint : 0
; COMPUTE_PGM_RSRC2:SCRATCH_EN: 0
; COMPUTE_PGM_RSRC2:USER_SGPR: 6
; COMPUTE_PGM_RSRC2:TRAP_HANDLER: 0
; COMPUTE_PGM_RSRC2:TGID_X_EN: 1
; COMPUTE_PGM_RSRC2:TGID_Y_EN: 0
; COMPUTE_PGM_RSRC2:TGID_Z_EN: 0
; COMPUTE_PGM_RSRC2:TIDIG_COMP_CNT: 0
; COMPUTE_PGM_RSRC3_GFX90A:ACCUM_OFFSET: 0
; COMPUTE_PGM_RSRC3_GFX90A:TG_SPLIT: 0
	.section	.text._ZN7rocprim17ROCPRIM_400000_NS6detail17trampoline_kernelINS0_14default_configENS1_36segmented_radix_sort_config_selectorIslEEZNS1_25segmented_radix_sort_implIS3_Lb1EPKsPsPKlPlN2at6native12_GLOBAL__N_18offset_tEEE10hipError_tPvRmT1_PNSt15iterator_traitsISK_E10value_typeET2_T3_PNSL_ISQ_E10value_typeET4_jRbjT5_SW_jjP12ihipStream_tbEUlT_E_NS1_11comp_targetILNS1_3genE10ELNS1_11target_archE1200ELNS1_3gpuE4ELNS1_3repE0EEENS1_30default_config_static_selectorELNS0_4arch9wavefront6targetE1EEEvSK_,"axG",@progbits,_ZN7rocprim17ROCPRIM_400000_NS6detail17trampoline_kernelINS0_14default_configENS1_36segmented_radix_sort_config_selectorIslEEZNS1_25segmented_radix_sort_implIS3_Lb1EPKsPsPKlPlN2at6native12_GLOBAL__N_18offset_tEEE10hipError_tPvRmT1_PNSt15iterator_traitsISK_E10value_typeET2_T3_PNSL_ISQ_E10value_typeET4_jRbjT5_SW_jjP12ihipStream_tbEUlT_E_NS1_11comp_targetILNS1_3genE10ELNS1_11target_archE1200ELNS1_3gpuE4ELNS1_3repE0EEENS1_30default_config_static_selectorELNS0_4arch9wavefront6targetE1EEEvSK_,comdat
	.globl	_ZN7rocprim17ROCPRIM_400000_NS6detail17trampoline_kernelINS0_14default_configENS1_36segmented_radix_sort_config_selectorIslEEZNS1_25segmented_radix_sort_implIS3_Lb1EPKsPsPKlPlN2at6native12_GLOBAL__N_18offset_tEEE10hipError_tPvRmT1_PNSt15iterator_traitsISK_E10value_typeET2_T3_PNSL_ISQ_E10value_typeET4_jRbjT5_SW_jjP12ihipStream_tbEUlT_E_NS1_11comp_targetILNS1_3genE10ELNS1_11target_archE1200ELNS1_3gpuE4ELNS1_3repE0EEENS1_30default_config_static_selectorELNS0_4arch9wavefront6targetE1EEEvSK_ ; -- Begin function _ZN7rocprim17ROCPRIM_400000_NS6detail17trampoline_kernelINS0_14default_configENS1_36segmented_radix_sort_config_selectorIslEEZNS1_25segmented_radix_sort_implIS3_Lb1EPKsPsPKlPlN2at6native12_GLOBAL__N_18offset_tEEE10hipError_tPvRmT1_PNSt15iterator_traitsISK_E10value_typeET2_T3_PNSL_ISQ_E10value_typeET4_jRbjT5_SW_jjP12ihipStream_tbEUlT_E_NS1_11comp_targetILNS1_3genE10ELNS1_11target_archE1200ELNS1_3gpuE4ELNS1_3repE0EEENS1_30default_config_static_selectorELNS0_4arch9wavefront6targetE1EEEvSK_
	.p2align	8
	.type	_ZN7rocprim17ROCPRIM_400000_NS6detail17trampoline_kernelINS0_14default_configENS1_36segmented_radix_sort_config_selectorIslEEZNS1_25segmented_radix_sort_implIS3_Lb1EPKsPsPKlPlN2at6native12_GLOBAL__N_18offset_tEEE10hipError_tPvRmT1_PNSt15iterator_traitsISK_E10value_typeET2_T3_PNSL_ISQ_E10value_typeET4_jRbjT5_SW_jjP12ihipStream_tbEUlT_E_NS1_11comp_targetILNS1_3genE10ELNS1_11target_archE1200ELNS1_3gpuE4ELNS1_3repE0EEENS1_30default_config_static_selectorELNS0_4arch9wavefront6targetE1EEEvSK_,@function
_ZN7rocprim17ROCPRIM_400000_NS6detail17trampoline_kernelINS0_14default_configENS1_36segmented_radix_sort_config_selectorIslEEZNS1_25segmented_radix_sort_implIS3_Lb1EPKsPsPKlPlN2at6native12_GLOBAL__N_18offset_tEEE10hipError_tPvRmT1_PNSt15iterator_traitsISK_E10value_typeET2_T3_PNSL_ISQ_E10value_typeET4_jRbjT5_SW_jjP12ihipStream_tbEUlT_E_NS1_11comp_targetILNS1_3genE10ELNS1_11target_archE1200ELNS1_3gpuE4ELNS1_3repE0EEENS1_30default_config_static_selectorELNS0_4arch9wavefront6targetE1EEEvSK_: ; @_ZN7rocprim17ROCPRIM_400000_NS6detail17trampoline_kernelINS0_14default_configENS1_36segmented_radix_sort_config_selectorIslEEZNS1_25segmented_radix_sort_implIS3_Lb1EPKsPsPKlPlN2at6native12_GLOBAL__N_18offset_tEEE10hipError_tPvRmT1_PNSt15iterator_traitsISK_E10value_typeET2_T3_PNSL_ISQ_E10value_typeET4_jRbjT5_SW_jjP12ihipStream_tbEUlT_E_NS1_11comp_targetILNS1_3genE10ELNS1_11target_archE1200ELNS1_3gpuE4ELNS1_3repE0EEENS1_30default_config_static_selectorELNS0_4arch9wavefront6targetE1EEEvSK_
; %bb.0:
	.section	.rodata,"a",@progbits
	.p2align	6, 0x0
	.amdhsa_kernel _ZN7rocprim17ROCPRIM_400000_NS6detail17trampoline_kernelINS0_14default_configENS1_36segmented_radix_sort_config_selectorIslEEZNS1_25segmented_radix_sort_implIS3_Lb1EPKsPsPKlPlN2at6native12_GLOBAL__N_18offset_tEEE10hipError_tPvRmT1_PNSt15iterator_traitsISK_E10value_typeET2_T3_PNSL_ISQ_E10value_typeET4_jRbjT5_SW_jjP12ihipStream_tbEUlT_E_NS1_11comp_targetILNS1_3genE10ELNS1_11target_archE1200ELNS1_3gpuE4ELNS1_3repE0EEENS1_30default_config_static_selectorELNS0_4arch9wavefront6targetE1EEEvSK_
		.amdhsa_group_segment_fixed_size 0
		.amdhsa_private_segment_fixed_size 0
		.amdhsa_kernarg_size 96
		.amdhsa_user_sgpr_count 6
		.amdhsa_user_sgpr_private_segment_buffer 1
		.amdhsa_user_sgpr_dispatch_ptr 0
		.amdhsa_user_sgpr_queue_ptr 0
		.amdhsa_user_sgpr_kernarg_segment_ptr 1
		.amdhsa_user_sgpr_dispatch_id 0
		.amdhsa_user_sgpr_flat_scratch_init 0
		.amdhsa_user_sgpr_kernarg_preload_length 0
		.amdhsa_user_sgpr_kernarg_preload_offset 0
		.amdhsa_user_sgpr_private_segment_size 0
		.amdhsa_uses_dynamic_stack 0
		.amdhsa_system_sgpr_private_segment_wavefront_offset 0
		.amdhsa_system_sgpr_workgroup_id_x 1
		.amdhsa_system_sgpr_workgroup_id_y 0
		.amdhsa_system_sgpr_workgroup_id_z 0
		.amdhsa_system_sgpr_workgroup_info 0
		.amdhsa_system_vgpr_workitem_id 0
		.amdhsa_next_free_vgpr 1
		.amdhsa_next_free_sgpr 0
		.amdhsa_accum_offset 4
		.amdhsa_reserve_vcc 0
		.amdhsa_reserve_flat_scratch 0
		.amdhsa_float_round_mode_32 0
		.amdhsa_float_round_mode_16_64 0
		.amdhsa_float_denorm_mode_32 3
		.amdhsa_float_denorm_mode_16_64 3
		.amdhsa_dx10_clamp 1
		.amdhsa_ieee_mode 1
		.amdhsa_fp16_overflow 0
		.amdhsa_tg_split 0
		.amdhsa_exception_fp_ieee_invalid_op 0
		.amdhsa_exception_fp_denorm_src 0
		.amdhsa_exception_fp_ieee_div_zero 0
		.amdhsa_exception_fp_ieee_overflow 0
		.amdhsa_exception_fp_ieee_underflow 0
		.amdhsa_exception_fp_ieee_inexact 0
		.amdhsa_exception_int_div_zero 0
	.end_amdhsa_kernel
	.section	.text._ZN7rocprim17ROCPRIM_400000_NS6detail17trampoline_kernelINS0_14default_configENS1_36segmented_radix_sort_config_selectorIslEEZNS1_25segmented_radix_sort_implIS3_Lb1EPKsPsPKlPlN2at6native12_GLOBAL__N_18offset_tEEE10hipError_tPvRmT1_PNSt15iterator_traitsISK_E10value_typeET2_T3_PNSL_ISQ_E10value_typeET4_jRbjT5_SW_jjP12ihipStream_tbEUlT_E_NS1_11comp_targetILNS1_3genE10ELNS1_11target_archE1200ELNS1_3gpuE4ELNS1_3repE0EEENS1_30default_config_static_selectorELNS0_4arch9wavefront6targetE1EEEvSK_,"axG",@progbits,_ZN7rocprim17ROCPRIM_400000_NS6detail17trampoline_kernelINS0_14default_configENS1_36segmented_radix_sort_config_selectorIslEEZNS1_25segmented_radix_sort_implIS3_Lb1EPKsPsPKlPlN2at6native12_GLOBAL__N_18offset_tEEE10hipError_tPvRmT1_PNSt15iterator_traitsISK_E10value_typeET2_T3_PNSL_ISQ_E10value_typeET4_jRbjT5_SW_jjP12ihipStream_tbEUlT_E_NS1_11comp_targetILNS1_3genE10ELNS1_11target_archE1200ELNS1_3gpuE4ELNS1_3repE0EEENS1_30default_config_static_selectorELNS0_4arch9wavefront6targetE1EEEvSK_,comdat
.Lfunc_end918:
	.size	_ZN7rocprim17ROCPRIM_400000_NS6detail17trampoline_kernelINS0_14default_configENS1_36segmented_radix_sort_config_selectorIslEEZNS1_25segmented_radix_sort_implIS3_Lb1EPKsPsPKlPlN2at6native12_GLOBAL__N_18offset_tEEE10hipError_tPvRmT1_PNSt15iterator_traitsISK_E10value_typeET2_T3_PNSL_ISQ_E10value_typeET4_jRbjT5_SW_jjP12ihipStream_tbEUlT_E_NS1_11comp_targetILNS1_3genE10ELNS1_11target_archE1200ELNS1_3gpuE4ELNS1_3repE0EEENS1_30default_config_static_selectorELNS0_4arch9wavefront6targetE1EEEvSK_, .Lfunc_end918-_ZN7rocprim17ROCPRIM_400000_NS6detail17trampoline_kernelINS0_14default_configENS1_36segmented_radix_sort_config_selectorIslEEZNS1_25segmented_radix_sort_implIS3_Lb1EPKsPsPKlPlN2at6native12_GLOBAL__N_18offset_tEEE10hipError_tPvRmT1_PNSt15iterator_traitsISK_E10value_typeET2_T3_PNSL_ISQ_E10value_typeET4_jRbjT5_SW_jjP12ihipStream_tbEUlT_E_NS1_11comp_targetILNS1_3genE10ELNS1_11target_archE1200ELNS1_3gpuE4ELNS1_3repE0EEENS1_30default_config_static_selectorELNS0_4arch9wavefront6targetE1EEEvSK_
                                        ; -- End function
	.section	.AMDGPU.csdata,"",@progbits
; Kernel info:
; codeLenInByte = 0
; NumSgprs: 4
; NumVgprs: 0
; NumAgprs: 0
; TotalNumVgprs: 0
; ScratchSize: 0
; MemoryBound: 0
; FloatMode: 240
; IeeeMode: 1
; LDSByteSize: 0 bytes/workgroup (compile time only)
; SGPRBlocks: 0
; VGPRBlocks: 0
; NumSGPRsForWavesPerEU: 4
; NumVGPRsForWavesPerEU: 1
; AccumOffset: 4
; Occupancy: 8
; WaveLimiterHint : 0
; COMPUTE_PGM_RSRC2:SCRATCH_EN: 0
; COMPUTE_PGM_RSRC2:USER_SGPR: 6
; COMPUTE_PGM_RSRC2:TRAP_HANDLER: 0
; COMPUTE_PGM_RSRC2:TGID_X_EN: 1
; COMPUTE_PGM_RSRC2:TGID_Y_EN: 0
; COMPUTE_PGM_RSRC2:TGID_Z_EN: 0
; COMPUTE_PGM_RSRC2:TIDIG_COMP_CNT: 0
; COMPUTE_PGM_RSRC3_GFX90A:ACCUM_OFFSET: 0
; COMPUTE_PGM_RSRC3_GFX90A:TG_SPLIT: 0
	.section	.text._ZN7rocprim17ROCPRIM_400000_NS6detail17trampoline_kernelINS0_14default_configENS1_36segmented_radix_sort_config_selectorIslEEZNS1_25segmented_radix_sort_implIS3_Lb1EPKsPsPKlPlN2at6native12_GLOBAL__N_18offset_tEEE10hipError_tPvRmT1_PNSt15iterator_traitsISK_E10value_typeET2_T3_PNSL_ISQ_E10value_typeET4_jRbjT5_SW_jjP12ihipStream_tbEUlT_E_NS1_11comp_targetILNS1_3genE9ELNS1_11target_archE1100ELNS1_3gpuE3ELNS1_3repE0EEENS1_30default_config_static_selectorELNS0_4arch9wavefront6targetE1EEEvSK_,"axG",@progbits,_ZN7rocprim17ROCPRIM_400000_NS6detail17trampoline_kernelINS0_14default_configENS1_36segmented_radix_sort_config_selectorIslEEZNS1_25segmented_radix_sort_implIS3_Lb1EPKsPsPKlPlN2at6native12_GLOBAL__N_18offset_tEEE10hipError_tPvRmT1_PNSt15iterator_traitsISK_E10value_typeET2_T3_PNSL_ISQ_E10value_typeET4_jRbjT5_SW_jjP12ihipStream_tbEUlT_E_NS1_11comp_targetILNS1_3genE9ELNS1_11target_archE1100ELNS1_3gpuE3ELNS1_3repE0EEENS1_30default_config_static_selectorELNS0_4arch9wavefront6targetE1EEEvSK_,comdat
	.globl	_ZN7rocprim17ROCPRIM_400000_NS6detail17trampoline_kernelINS0_14default_configENS1_36segmented_radix_sort_config_selectorIslEEZNS1_25segmented_radix_sort_implIS3_Lb1EPKsPsPKlPlN2at6native12_GLOBAL__N_18offset_tEEE10hipError_tPvRmT1_PNSt15iterator_traitsISK_E10value_typeET2_T3_PNSL_ISQ_E10value_typeET4_jRbjT5_SW_jjP12ihipStream_tbEUlT_E_NS1_11comp_targetILNS1_3genE9ELNS1_11target_archE1100ELNS1_3gpuE3ELNS1_3repE0EEENS1_30default_config_static_selectorELNS0_4arch9wavefront6targetE1EEEvSK_ ; -- Begin function _ZN7rocprim17ROCPRIM_400000_NS6detail17trampoline_kernelINS0_14default_configENS1_36segmented_radix_sort_config_selectorIslEEZNS1_25segmented_radix_sort_implIS3_Lb1EPKsPsPKlPlN2at6native12_GLOBAL__N_18offset_tEEE10hipError_tPvRmT1_PNSt15iterator_traitsISK_E10value_typeET2_T3_PNSL_ISQ_E10value_typeET4_jRbjT5_SW_jjP12ihipStream_tbEUlT_E_NS1_11comp_targetILNS1_3genE9ELNS1_11target_archE1100ELNS1_3gpuE3ELNS1_3repE0EEENS1_30default_config_static_selectorELNS0_4arch9wavefront6targetE1EEEvSK_
	.p2align	8
	.type	_ZN7rocprim17ROCPRIM_400000_NS6detail17trampoline_kernelINS0_14default_configENS1_36segmented_radix_sort_config_selectorIslEEZNS1_25segmented_radix_sort_implIS3_Lb1EPKsPsPKlPlN2at6native12_GLOBAL__N_18offset_tEEE10hipError_tPvRmT1_PNSt15iterator_traitsISK_E10value_typeET2_T3_PNSL_ISQ_E10value_typeET4_jRbjT5_SW_jjP12ihipStream_tbEUlT_E_NS1_11comp_targetILNS1_3genE9ELNS1_11target_archE1100ELNS1_3gpuE3ELNS1_3repE0EEENS1_30default_config_static_selectorELNS0_4arch9wavefront6targetE1EEEvSK_,@function
_ZN7rocprim17ROCPRIM_400000_NS6detail17trampoline_kernelINS0_14default_configENS1_36segmented_radix_sort_config_selectorIslEEZNS1_25segmented_radix_sort_implIS3_Lb1EPKsPsPKlPlN2at6native12_GLOBAL__N_18offset_tEEE10hipError_tPvRmT1_PNSt15iterator_traitsISK_E10value_typeET2_T3_PNSL_ISQ_E10value_typeET4_jRbjT5_SW_jjP12ihipStream_tbEUlT_E_NS1_11comp_targetILNS1_3genE9ELNS1_11target_archE1100ELNS1_3gpuE3ELNS1_3repE0EEENS1_30default_config_static_selectorELNS0_4arch9wavefront6targetE1EEEvSK_: ; @_ZN7rocprim17ROCPRIM_400000_NS6detail17trampoline_kernelINS0_14default_configENS1_36segmented_radix_sort_config_selectorIslEEZNS1_25segmented_radix_sort_implIS3_Lb1EPKsPsPKlPlN2at6native12_GLOBAL__N_18offset_tEEE10hipError_tPvRmT1_PNSt15iterator_traitsISK_E10value_typeET2_T3_PNSL_ISQ_E10value_typeET4_jRbjT5_SW_jjP12ihipStream_tbEUlT_E_NS1_11comp_targetILNS1_3genE9ELNS1_11target_archE1100ELNS1_3gpuE3ELNS1_3repE0EEENS1_30default_config_static_selectorELNS0_4arch9wavefront6targetE1EEEvSK_
; %bb.0:
	.section	.rodata,"a",@progbits
	.p2align	6, 0x0
	.amdhsa_kernel _ZN7rocprim17ROCPRIM_400000_NS6detail17trampoline_kernelINS0_14default_configENS1_36segmented_radix_sort_config_selectorIslEEZNS1_25segmented_radix_sort_implIS3_Lb1EPKsPsPKlPlN2at6native12_GLOBAL__N_18offset_tEEE10hipError_tPvRmT1_PNSt15iterator_traitsISK_E10value_typeET2_T3_PNSL_ISQ_E10value_typeET4_jRbjT5_SW_jjP12ihipStream_tbEUlT_E_NS1_11comp_targetILNS1_3genE9ELNS1_11target_archE1100ELNS1_3gpuE3ELNS1_3repE0EEENS1_30default_config_static_selectorELNS0_4arch9wavefront6targetE1EEEvSK_
		.amdhsa_group_segment_fixed_size 0
		.amdhsa_private_segment_fixed_size 0
		.amdhsa_kernarg_size 96
		.amdhsa_user_sgpr_count 6
		.amdhsa_user_sgpr_private_segment_buffer 1
		.amdhsa_user_sgpr_dispatch_ptr 0
		.amdhsa_user_sgpr_queue_ptr 0
		.amdhsa_user_sgpr_kernarg_segment_ptr 1
		.amdhsa_user_sgpr_dispatch_id 0
		.amdhsa_user_sgpr_flat_scratch_init 0
		.amdhsa_user_sgpr_kernarg_preload_length 0
		.amdhsa_user_sgpr_kernarg_preload_offset 0
		.amdhsa_user_sgpr_private_segment_size 0
		.amdhsa_uses_dynamic_stack 0
		.amdhsa_system_sgpr_private_segment_wavefront_offset 0
		.amdhsa_system_sgpr_workgroup_id_x 1
		.amdhsa_system_sgpr_workgroup_id_y 0
		.amdhsa_system_sgpr_workgroup_id_z 0
		.amdhsa_system_sgpr_workgroup_info 0
		.amdhsa_system_vgpr_workitem_id 0
		.amdhsa_next_free_vgpr 1
		.amdhsa_next_free_sgpr 0
		.amdhsa_accum_offset 4
		.amdhsa_reserve_vcc 0
		.amdhsa_reserve_flat_scratch 0
		.amdhsa_float_round_mode_32 0
		.amdhsa_float_round_mode_16_64 0
		.amdhsa_float_denorm_mode_32 3
		.amdhsa_float_denorm_mode_16_64 3
		.amdhsa_dx10_clamp 1
		.amdhsa_ieee_mode 1
		.amdhsa_fp16_overflow 0
		.amdhsa_tg_split 0
		.amdhsa_exception_fp_ieee_invalid_op 0
		.amdhsa_exception_fp_denorm_src 0
		.amdhsa_exception_fp_ieee_div_zero 0
		.amdhsa_exception_fp_ieee_overflow 0
		.amdhsa_exception_fp_ieee_underflow 0
		.amdhsa_exception_fp_ieee_inexact 0
		.amdhsa_exception_int_div_zero 0
	.end_amdhsa_kernel
	.section	.text._ZN7rocprim17ROCPRIM_400000_NS6detail17trampoline_kernelINS0_14default_configENS1_36segmented_radix_sort_config_selectorIslEEZNS1_25segmented_radix_sort_implIS3_Lb1EPKsPsPKlPlN2at6native12_GLOBAL__N_18offset_tEEE10hipError_tPvRmT1_PNSt15iterator_traitsISK_E10value_typeET2_T3_PNSL_ISQ_E10value_typeET4_jRbjT5_SW_jjP12ihipStream_tbEUlT_E_NS1_11comp_targetILNS1_3genE9ELNS1_11target_archE1100ELNS1_3gpuE3ELNS1_3repE0EEENS1_30default_config_static_selectorELNS0_4arch9wavefront6targetE1EEEvSK_,"axG",@progbits,_ZN7rocprim17ROCPRIM_400000_NS6detail17trampoline_kernelINS0_14default_configENS1_36segmented_radix_sort_config_selectorIslEEZNS1_25segmented_radix_sort_implIS3_Lb1EPKsPsPKlPlN2at6native12_GLOBAL__N_18offset_tEEE10hipError_tPvRmT1_PNSt15iterator_traitsISK_E10value_typeET2_T3_PNSL_ISQ_E10value_typeET4_jRbjT5_SW_jjP12ihipStream_tbEUlT_E_NS1_11comp_targetILNS1_3genE9ELNS1_11target_archE1100ELNS1_3gpuE3ELNS1_3repE0EEENS1_30default_config_static_selectorELNS0_4arch9wavefront6targetE1EEEvSK_,comdat
.Lfunc_end919:
	.size	_ZN7rocprim17ROCPRIM_400000_NS6detail17trampoline_kernelINS0_14default_configENS1_36segmented_radix_sort_config_selectorIslEEZNS1_25segmented_radix_sort_implIS3_Lb1EPKsPsPKlPlN2at6native12_GLOBAL__N_18offset_tEEE10hipError_tPvRmT1_PNSt15iterator_traitsISK_E10value_typeET2_T3_PNSL_ISQ_E10value_typeET4_jRbjT5_SW_jjP12ihipStream_tbEUlT_E_NS1_11comp_targetILNS1_3genE9ELNS1_11target_archE1100ELNS1_3gpuE3ELNS1_3repE0EEENS1_30default_config_static_selectorELNS0_4arch9wavefront6targetE1EEEvSK_, .Lfunc_end919-_ZN7rocprim17ROCPRIM_400000_NS6detail17trampoline_kernelINS0_14default_configENS1_36segmented_radix_sort_config_selectorIslEEZNS1_25segmented_radix_sort_implIS3_Lb1EPKsPsPKlPlN2at6native12_GLOBAL__N_18offset_tEEE10hipError_tPvRmT1_PNSt15iterator_traitsISK_E10value_typeET2_T3_PNSL_ISQ_E10value_typeET4_jRbjT5_SW_jjP12ihipStream_tbEUlT_E_NS1_11comp_targetILNS1_3genE9ELNS1_11target_archE1100ELNS1_3gpuE3ELNS1_3repE0EEENS1_30default_config_static_selectorELNS0_4arch9wavefront6targetE1EEEvSK_
                                        ; -- End function
	.section	.AMDGPU.csdata,"",@progbits
; Kernel info:
; codeLenInByte = 0
; NumSgprs: 4
; NumVgprs: 0
; NumAgprs: 0
; TotalNumVgprs: 0
; ScratchSize: 0
; MemoryBound: 0
; FloatMode: 240
; IeeeMode: 1
; LDSByteSize: 0 bytes/workgroup (compile time only)
; SGPRBlocks: 0
; VGPRBlocks: 0
; NumSGPRsForWavesPerEU: 4
; NumVGPRsForWavesPerEU: 1
; AccumOffset: 4
; Occupancy: 8
; WaveLimiterHint : 0
; COMPUTE_PGM_RSRC2:SCRATCH_EN: 0
; COMPUTE_PGM_RSRC2:USER_SGPR: 6
; COMPUTE_PGM_RSRC2:TRAP_HANDLER: 0
; COMPUTE_PGM_RSRC2:TGID_X_EN: 1
; COMPUTE_PGM_RSRC2:TGID_Y_EN: 0
; COMPUTE_PGM_RSRC2:TGID_Z_EN: 0
; COMPUTE_PGM_RSRC2:TIDIG_COMP_CNT: 0
; COMPUTE_PGM_RSRC3_GFX90A:ACCUM_OFFSET: 0
; COMPUTE_PGM_RSRC3_GFX90A:TG_SPLIT: 0
	.section	.text._ZN7rocprim17ROCPRIM_400000_NS6detail17trampoline_kernelINS0_14default_configENS1_36segmented_radix_sort_config_selectorIslEEZNS1_25segmented_radix_sort_implIS3_Lb1EPKsPsPKlPlN2at6native12_GLOBAL__N_18offset_tEEE10hipError_tPvRmT1_PNSt15iterator_traitsISK_E10value_typeET2_T3_PNSL_ISQ_E10value_typeET4_jRbjT5_SW_jjP12ihipStream_tbEUlT_E_NS1_11comp_targetILNS1_3genE8ELNS1_11target_archE1030ELNS1_3gpuE2ELNS1_3repE0EEENS1_30default_config_static_selectorELNS0_4arch9wavefront6targetE1EEEvSK_,"axG",@progbits,_ZN7rocprim17ROCPRIM_400000_NS6detail17trampoline_kernelINS0_14default_configENS1_36segmented_radix_sort_config_selectorIslEEZNS1_25segmented_radix_sort_implIS3_Lb1EPKsPsPKlPlN2at6native12_GLOBAL__N_18offset_tEEE10hipError_tPvRmT1_PNSt15iterator_traitsISK_E10value_typeET2_T3_PNSL_ISQ_E10value_typeET4_jRbjT5_SW_jjP12ihipStream_tbEUlT_E_NS1_11comp_targetILNS1_3genE8ELNS1_11target_archE1030ELNS1_3gpuE2ELNS1_3repE0EEENS1_30default_config_static_selectorELNS0_4arch9wavefront6targetE1EEEvSK_,comdat
	.globl	_ZN7rocprim17ROCPRIM_400000_NS6detail17trampoline_kernelINS0_14default_configENS1_36segmented_radix_sort_config_selectorIslEEZNS1_25segmented_radix_sort_implIS3_Lb1EPKsPsPKlPlN2at6native12_GLOBAL__N_18offset_tEEE10hipError_tPvRmT1_PNSt15iterator_traitsISK_E10value_typeET2_T3_PNSL_ISQ_E10value_typeET4_jRbjT5_SW_jjP12ihipStream_tbEUlT_E_NS1_11comp_targetILNS1_3genE8ELNS1_11target_archE1030ELNS1_3gpuE2ELNS1_3repE0EEENS1_30default_config_static_selectorELNS0_4arch9wavefront6targetE1EEEvSK_ ; -- Begin function _ZN7rocprim17ROCPRIM_400000_NS6detail17trampoline_kernelINS0_14default_configENS1_36segmented_radix_sort_config_selectorIslEEZNS1_25segmented_radix_sort_implIS3_Lb1EPKsPsPKlPlN2at6native12_GLOBAL__N_18offset_tEEE10hipError_tPvRmT1_PNSt15iterator_traitsISK_E10value_typeET2_T3_PNSL_ISQ_E10value_typeET4_jRbjT5_SW_jjP12ihipStream_tbEUlT_E_NS1_11comp_targetILNS1_3genE8ELNS1_11target_archE1030ELNS1_3gpuE2ELNS1_3repE0EEENS1_30default_config_static_selectorELNS0_4arch9wavefront6targetE1EEEvSK_
	.p2align	8
	.type	_ZN7rocprim17ROCPRIM_400000_NS6detail17trampoline_kernelINS0_14default_configENS1_36segmented_radix_sort_config_selectorIslEEZNS1_25segmented_radix_sort_implIS3_Lb1EPKsPsPKlPlN2at6native12_GLOBAL__N_18offset_tEEE10hipError_tPvRmT1_PNSt15iterator_traitsISK_E10value_typeET2_T3_PNSL_ISQ_E10value_typeET4_jRbjT5_SW_jjP12ihipStream_tbEUlT_E_NS1_11comp_targetILNS1_3genE8ELNS1_11target_archE1030ELNS1_3gpuE2ELNS1_3repE0EEENS1_30default_config_static_selectorELNS0_4arch9wavefront6targetE1EEEvSK_,@function
_ZN7rocprim17ROCPRIM_400000_NS6detail17trampoline_kernelINS0_14default_configENS1_36segmented_radix_sort_config_selectorIslEEZNS1_25segmented_radix_sort_implIS3_Lb1EPKsPsPKlPlN2at6native12_GLOBAL__N_18offset_tEEE10hipError_tPvRmT1_PNSt15iterator_traitsISK_E10value_typeET2_T3_PNSL_ISQ_E10value_typeET4_jRbjT5_SW_jjP12ihipStream_tbEUlT_E_NS1_11comp_targetILNS1_3genE8ELNS1_11target_archE1030ELNS1_3gpuE2ELNS1_3repE0EEENS1_30default_config_static_selectorELNS0_4arch9wavefront6targetE1EEEvSK_: ; @_ZN7rocprim17ROCPRIM_400000_NS6detail17trampoline_kernelINS0_14default_configENS1_36segmented_radix_sort_config_selectorIslEEZNS1_25segmented_radix_sort_implIS3_Lb1EPKsPsPKlPlN2at6native12_GLOBAL__N_18offset_tEEE10hipError_tPvRmT1_PNSt15iterator_traitsISK_E10value_typeET2_T3_PNSL_ISQ_E10value_typeET4_jRbjT5_SW_jjP12ihipStream_tbEUlT_E_NS1_11comp_targetILNS1_3genE8ELNS1_11target_archE1030ELNS1_3gpuE2ELNS1_3repE0EEENS1_30default_config_static_selectorELNS0_4arch9wavefront6targetE1EEEvSK_
; %bb.0:
	.section	.rodata,"a",@progbits
	.p2align	6, 0x0
	.amdhsa_kernel _ZN7rocprim17ROCPRIM_400000_NS6detail17trampoline_kernelINS0_14default_configENS1_36segmented_radix_sort_config_selectorIslEEZNS1_25segmented_radix_sort_implIS3_Lb1EPKsPsPKlPlN2at6native12_GLOBAL__N_18offset_tEEE10hipError_tPvRmT1_PNSt15iterator_traitsISK_E10value_typeET2_T3_PNSL_ISQ_E10value_typeET4_jRbjT5_SW_jjP12ihipStream_tbEUlT_E_NS1_11comp_targetILNS1_3genE8ELNS1_11target_archE1030ELNS1_3gpuE2ELNS1_3repE0EEENS1_30default_config_static_selectorELNS0_4arch9wavefront6targetE1EEEvSK_
		.amdhsa_group_segment_fixed_size 0
		.amdhsa_private_segment_fixed_size 0
		.amdhsa_kernarg_size 96
		.amdhsa_user_sgpr_count 6
		.amdhsa_user_sgpr_private_segment_buffer 1
		.amdhsa_user_sgpr_dispatch_ptr 0
		.amdhsa_user_sgpr_queue_ptr 0
		.amdhsa_user_sgpr_kernarg_segment_ptr 1
		.amdhsa_user_sgpr_dispatch_id 0
		.amdhsa_user_sgpr_flat_scratch_init 0
		.amdhsa_user_sgpr_kernarg_preload_length 0
		.amdhsa_user_sgpr_kernarg_preload_offset 0
		.amdhsa_user_sgpr_private_segment_size 0
		.amdhsa_uses_dynamic_stack 0
		.amdhsa_system_sgpr_private_segment_wavefront_offset 0
		.amdhsa_system_sgpr_workgroup_id_x 1
		.amdhsa_system_sgpr_workgroup_id_y 0
		.amdhsa_system_sgpr_workgroup_id_z 0
		.amdhsa_system_sgpr_workgroup_info 0
		.amdhsa_system_vgpr_workitem_id 0
		.amdhsa_next_free_vgpr 1
		.amdhsa_next_free_sgpr 0
		.amdhsa_accum_offset 4
		.amdhsa_reserve_vcc 0
		.amdhsa_reserve_flat_scratch 0
		.amdhsa_float_round_mode_32 0
		.amdhsa_float_round_mode_16_64 0
		.amdhsa_float_denorm_mode_32 3
		.amdhsa_float_denorm_mode_16_64 3
		.amdhsa_dx10_clamp 1
		.amdhsa_ieee_mode 1
		.amdhsa_fp16_overflow 0
		.amdhsa_tg_split 0
		.amdhsa_exception_fp_ieee_invalid_op 0
		.amdhsa_exception_fp_denorm_src 0
		.amdhsa_exception_fp_ieee_div_zero 0
		.amdhsa_exception_fp_ieee_overflow 0
		.amdhsa_exception_fp_ieee_underflow 0
		.amdhsa_exception_fp_ieee_inexact 0
		.amdhsa_exception_int_div_zero 0
	.end_amdhsa_kernel
	.section	.text._ZN7rocprim17ROCPRIM_400000_NS6detail17trampoline_kernelINS0_14default_configENS1_36segmented_radix_sort_config_selectorIslEEZNS1_25segmented_radix_sort_implIS3_Lb1EPKsPsPKlPlN2at6native12_GLOBAL__N_18offset_tEEE10hipError_tPvRmT1_PNSt15iterator_traitsISK_E10value_typeET2_T3_PNSL_ISQ_E10value_typeET4_jRbjT5_SW_jjP12ihipStream_tbEUlT_E_NS1_11comp_targetILNS1_3genE8ELNS1_11target_archE1030ELNS1_3gpuE2ELNS1_3repE0EEENS1_30default_config_static_selectorELNS0_4arch9wavefront6targetE1EEEvSK_,"axG",@progbits,_ZN7rocprim17ROCPRIM_400000_NS6detail17trampoline_kernelINS0_14default_configENS1_36segmented_radix_sort_config_selectorIslEEZNS1_25segmented_radix_sort_implIS3_Lb1EPKsPsPKlPlN2at6native12_GLOBAL__N_18offset_tEEE10hipError_tPvRmT1_PNSt15iterator_traitsISK_E10value_typeET2_T3_PNSL_ISQ_E10value_typeET4_jRbjT5_SW_jjP12ihipStream_tbEUlT_E_NS1_11comp_targetILNS1_3genE8ELNS1_11target_archE1030ELNS1_3gpuE2ELNS1_3repE0EEENS1_30default_config_static_selectorELNS0_4arch9wavefront6targetE1EEEvSK_,comdat
.Lfunc_end920:
	.size	_ZN7rocprim17ROCPRIM_400000_NS6detail17trampoline_kernelINS0_14default_configENS1_36segmented_radix_sort_config_selectorIslEEZNS1_25segmented_radix_sort_implIS3_Lb1EPKsPsPKlPlN2at6native12_GLOBAL__N_18offset_tEEE10hipError_tPvRmT1_PNSt15iterator_traitsISK_E10value_typeET2_T3_PNSL_ISQ_E10value_typeET4_jRbjT5_SW_jjP12ihipStream_tbEUlT_E_NS1_11comp_targetILNS1_3genE8ELNS1_11target_archE1030ELNS1_3gpuE2ELNS1_3repE0EEENS1_30default_config_static_selectorELNS0_4arch9wavefront6targetE1EEEvSK_, .Lfunc_end920-_ZN7rocprim17ROCPRIM_400000_NS6detail17trampoline_kernelINS0_14default_configENS1_36segmented_radix_sort_config_selectorIslEEZNS1_25segmented_radix_sort_implIS3_Lb1EPKsPsPKlPlN2at6native12_GLOBAL__N_18offset_tEEE10hipError_tPvRmT1_PNSt15iterator_traitsISK_E10value_typeET2_T3_PNSL_ISQ_E10value_typeET4_jRbjT5_SW_jjP12ihipStream_tbEUlT_E_NS1_11comp_targetILNS1_3genE8ELNS1_11target_archE1030ELNS1_3gpuE2ELNS1_3repE0EEENS1_30default_config_static_selectorELNS0_4arch9wavefront6targetE1EEEvSK_
                                        ; -- End function
	.section	.AMDGPU.csdata,"",@progbits
; Kernel info:
; codeLenInByte = 0
; NumSgprs: 4
; NumVgprs: 0
; NumAgprs: 0
; TotalNumVgprs: 0
; ScratchSize: 0
; MemoryBound: 0
; FloatMode: 240
; IeeeMode: 1
; LDSByteSize: 0 bytes/workgroup (compile time only)
; SGPRBlocks: 0
; VGPRBlocks: 0
; NumSGPRsForWavesPerEU: 4
; NumVGPRsForWavesPerEU: 1
; AccumOffset: 4
; Occupancy: 8
; WaveLimiterHint : 0
; COMPUTE_PGM_RSRC2:SCRATCH_EN: 0
; COMPUTE_PGM_RSRC2:USER_SGPR: 6
; COMPUTE_PGM_RSRC2:TRAP_HANDLER: 0
; COMPUTE_PGM_RSRC2:TGID_X_EN: 1
; COMPUTE_PGM_RSRC2:TGID_Y_EN: 0
; COMPUTE_PGM_RSRC2:TGID_Z_EN: 0
; COMPUTE_PGM_RSRC2:TIDIG_COMP_CNT: 0
; COMPUTE_PGM_RSRC3_GFX90A:ACCUM_OFFSET: 0
; COMPUTE_PGM_RSRC3_GFX90A:TG_SPLIT: 0
	.section	.text._ZN7rocprim17ROCPRIM_400000_NS6detail17trampoline_kernelINS0_14default_configENS1_36segmented_radix_sort_config_selectorIslEEZNS1_25segmented_radix_sort_implIS3_Lb1EPKsPsPKlPlN2at6native12_GLOBAL__N_18offset_tEEE10hipError_tPvRmT1_PNSt15iterator_traitsISK_E10value_typeET2_T3_PNSL_ISQ_E10value_typeET4_jRbjT5_SW_jjP12ihipStream_tbEUlT_E0_NS1_11comp_targetILNS1_3genE0ELNS1_11target_archE4294967295ELNS1_3gpuE0ELNS1_3repE0EEENS1_60segmented_radix_sort_warp_sort_medium_config_static_selectorELNS0_4arch9wavefront6targetE1EEEvSK_,"axG",@progbits,_ZN7rocprim17ROCPRIM_400000_NS6detail17trampoline_kernelINS0_14default_configENS1_36segmented_radix_sort_config_selectorIslEEZNS1_25segmented_radix_sort_implIS3_Lb1EPKsPsPKlPlN2at6native12_GLOBAL__N_18offset_tEEE10hipError_tPvRmT1_PNSt15iterator_traitsISK_E10value_typeET2_T3_PNSL_ISQ_E10value_typeET4_jRbjT5_SW_jjP12ihipStream_tbEUlT_E0_NS1_11comp_targetILNS1_3genE0ELNS1_11target_archE4294967295ELNS1_3gpuE0ELNS1_3repE0EEENS1_60segmented_radix_sort_warp_sort_medium_config_static_selectorELNS0_4arch9wavefront6targetE1EEEvSK_,comdat
	.globl	_ZN7rocprim17ROCPRIM_400000_NS6detail17trampoline_kernelINS0_14default_configENS1_36segmented_radix_sort_config_selectorIslEEZNS1_25segmented_radix_sort_implIS3_Lb1EPKsPsPKlPlN2at6native12_GLOBAL__N_18offset_tEEE10hipError_tPvRmT1_PNSt15iterator_traitsISK_E10value_typeET2_T3_PNSL_ISQ_E10value_typeET4_jRbjT5_SW_jjP12ihipStream_tbEUlT_E0_NS1_11comp_targetILNS1_3genE0ELNS1_11target_archE4294967295ELNS1_3gpuE0ELNS1_3repE0EEENS1_60segmented_radix_sort_warp_sort_medium_config_static_selectorELNS0_4arch9wavefront6targetE1EEEvSK_ ; -- Begin function _ZN7rocprim17ROCPRIM_400000_NS6detail17trampoline_kernelINS0_14default_configENS1_36segmented_radix_sort_config_selectorIslEEZNS1_25segmented_radix_sort_implIS3_Lb1EPKsPsPKlPlN2at6native12_GLOBAL__N_18offset_tEEE10hipError_tPvRmT1_PNSt15iterator_traitsISK_E10value_typeET2_T3_PNSL_ISQ_E10value_typeET4_jRbjT5_SW_jjP12ihipStream_tbEUlT_E0_NS1_11comp_targetILNS1_3genE0ELNS1_11target_archE4294967295ELNS1_3gpuE0ELNS1_3repE0EEENS1_60segmented_radix_sort_warp_sort_medium_config_static_selectorELNS0_4arch9wavefront6targetE1EEEvSK_
	.p2align	8
	.type	_ZN7rocprim17ROCPRIM_400000_NS6detail17trampoline_kernelINS0_14default_configENS1_36segmented_radix_sort_config_selectorIslEEZNS1_25segmented_radix_sort_implIS3_Lb1EPKsPsPKlPlN2at6native12_GLOBAL__N_18offset_tEEE10hipError_tPvRmT1_PNSt15iterator_traitsISK_E10value_typeET2_T3_PNSL_ISQ_E10value_typeET4_jRbjT5_SW_jjP12ihipStream_tbEUlT_E0_NS1_11comp_targetILNS1_3genE0ELNS1_11target_archE4294967295ELNS1_3gpuE0ELNS1_3repE0EEENS1_60segmented_radix_sort_warp_sort_medium_config_static_selectorELNS0_4arch9wavefront6targetE1EEEvSK_,@function
_ZN7rocprim17ROCPRIM_400000_NS6detail17trampoline_kernelINS0_14default_configENS1_36segmented_radix_sort_config_selectorIslEEZNS1_25segmented_radix_sort_implIS3_Lb1EPKsPsPKlPlN2at6native12_GLOBAL__N_18offset_tEEE10hipError_tPvRmT1_PNSt15iterator_traitsISK_E10value_typeET2_T3_PNSL_ISQ_E10value_typeET4_jRbjT5_SW_jjP12ihipStream_tbEUlT_E0_NS1_11comp_targetILNS1_3genE0ELNS1_11target_archE4294967295ELNS1_3gpuE0ELNS1_3repE0EEENS1_60segmented_radix_sort_warp_sort_medium_config_static_selectorELNS0_4arch9wavefront6targetE1EEEvSK_: ; @_ZN7rocprim17ROCPRIM_400000_NS6detail17trampoline_kernelINS0_14default_configENS1_36segmented_radix_sort_config_selectorIslEEZNS1_25segmented_radix_sort_implIS3_Lb1EPKsPsPKlPlN2at6native12_GLOBAL__N_18offset_tEEE10hipError_tPvRmT1_PNSt15iterator_traitsISK_E10value_typeET2_T3_PNSL_ISQ_E10value_typeET4_jRbjT5_SW_jjP12ihipStream_tbEUlT_E0_NS1_11comp_targetILNS1_3genE0ELNS1_11target_archE4294967295ELNS1_3gpuE0ELNS1_3repE0EEENS1_60segmented_radix_sort_warp_sort_medium_config_static_selectorELNS0_4arch9wavefront6targetE1EEEvSK_
; %bb.0:
	.section	.rodata,"a",@progbits
	.p2align	6, 0x0
	.amdhsa_kernel _ZN7rocprim17ROCPRIM_400000_NS6detail17trampoline_kernelINS0_14default_configENS1_36segmented_radix_sort_config_selectorIslEEZNS1_25segmented_radix_sort_implIS3_Lb1EPKsPsPKlPlN2at6native12_GLOBAL__N_18offset_tEEE10hipError_tPvRmT1_PNSt15iterator_traitsISK_E10value_typeET2_T3_PNSL_ISQ_E10value_typeET4_jRbjT5_SW_jjP12ihipStream_tbEUlT_E0_NS1_11comp_targetILNS1_3genE0ELNS1_11target_archE4294967295ELNS1_3gpuE0ELNS1_3repE0EEENS1_60segmented_radix_sort_warp_sort_medium_config_static_selectorELNS0_4arch9wavefront6targetE1EEEvSK_
		.amdhsa_group_segment_fixed_size 0
		.amdhsa_private_segment_fixed_size 0
		.amdhsa_kernarg_size 88
		.amdhsa_user_sgpr_count 6
		.amdhsa_user_sgpr_private_segment_buffer 1
		.amdhsa_user_sgpr_dispatch_ptr 0
		.amdhsa_user_sgpr_queue_ptr 0
		.amdhsa_user_sgpr_kernarg_segment_ptr 1
		.amdhsa_user_sgpr_dispatch_id 0
		.amdhsa_user_sgpr_flat_scratch_init 0
		.amdhsa_user_sgpr_kernarg_preload_length 0
		.amdhsa_user_sgpr_kernarg_preload_offset 0
		.amdhsa_user_sgpr_private_segment_size 0
		.amdhsa_uses_dynamic_stack 0
		.amdhsa_system_sgpr_private_segment_wavefront_offset 0
		.amdhsa_system_sgpr_workgroup_id_x 1
		.amdhsa_system_sgpr_workgroup_id_y 0
		.amdhsa_system_sgpr_workgroup_id_z 0
		.amdhsa_system_sgpr_workgroup_info 0
		.amdhsa_system_vgpr_workitem_id 0
		.amdhsa_next_free_vgpr 1
		.amdhsa_next_free_sgpr 0
		.amdhsa_accum_offset 4
		.amdhsa_reserve_vcc 0
		.amdhsa_reserve_flat_scratch 0
		.amdhsa_float_round_mode_32 0
		.amdhsa_float_round_mode_16_64 0
		.amdhsa_float_denorm_mode_32 3
		.amdhsa_float_denorm_mode_16_64 3
		.amdhsa_dx10_clamp 1
		.amdhsa_ieee_mode 1
		.amdhsa_fp16_overflow 0
		.amdhsa_tg_split 0
		.amdhsa_exception_fp_ieee_invalid_op 0
		.amdhsa_exception_fp_denorm_src 0
		.amdhsa_exception_fp_ieee_div_zero 0
		.amdhsa_exception_fp_ieee_overflow 0
		.amdhsa_exception_fp_ieee_underflow 0
		.amdhsa_exception_fp_ieee_inexact 0
		.amdhsa_exception_int_div_zero 0
	.end_amdhsa_kernel
	.section	.text._ZN7rocprim17ROCPRIM_400000_NS6detail17trampoline_kernelINS0_14default_configENS1_36segmented_radix_sort_config_selectorIslEEZNS1_25segmented_radix_sort_implIS3_Lb1EPKsPsPKlPlN2at6native12_GLOBAL__N_18offset_tEEE10hipError_tPvRmT1_PNSt15iterator_traitsISK_E10value_typeET2_T3_PNSL_ISQ_E10value_typeET4_jRbjT5_SW_jjP12ihipStream_tbEUlT_E0_NS1_11comp_targetILNS1_3genE0ELNS1_11target_archE4294967295ELNS1_3gpuE0ELNS1_3repE0EEENS1_60segmented_radix_sort_warp_sort_medium_config_static_selectorELNS0_4arch9wavefront6targetE1EEEvSK_,"axG",@progbits,_ZN7rocprim17ROCPRIM_400000_NS6detail17trampoline_kernelINS0_14default_configENS1_36segmented_radix_sort_config_selectorIslEEZNS1_25segmented_radix_sort_implIS3_Lb1EPKsPsPKlPlN2at6native12_GLOBAL__N_18offset_tEEE10hipError_tPvRmT1_PNSt15iterator_traitsISK_E10value_typeET2_T3_PNSL_ISQ_E10value_typeET4_jRbjT5_SW_jjP12ihipStream_tbEUlT_E0_NS1_11comp_targetILNS1_3genE0ELNS1_11target_archE4294967295ELNS1_3gpuE0ELNS1_3repE0EEENS1_60segmented_radix_sort_warp_sort_medium_config_static_selectorELNS0_4arch9wavefront6targetE1EEEvSK_,comdat
.Lfunc_end921:
	.size	_ZN7rocprim17ROCPRIM_400000_NS6detail17trampoline_kernelINS0_14default_configENS1_36segmented_radix_sort_config_selectorIslEEZNS1_25segmented_radix_sort_implIS3_Lb1EPKsPsPKlPlN2at6native12_GLOBAL__N_18offset_tEEE10hipError_tPvRmT1_PNSt15iterator_traitsISK_E10value_typeET2_T3_PNSL_ISQ_E10value_typeET4_jRbjT5_SW_jjP12ihipStream_tbEUlT_E0_NS1_11comp_targetILNS1_3genE0ELNS1_11target_archE4294967295ELNS1_3gpuE0ELNS1_3repE0EEENS1_60segmented_radix_sort_warp_sort_medium_config_static_selectorELNS0_4arch9wavefront6targetE1EEEvSK_, .Lfunc_end921-_ZN7rocprim17ROCPRIM_400000_NS6detail17trampoline_kernelINS0_14default_configENS1_36segmented_radix_sort_config_selectorIslEEZNS1_25segmented_radix_sort_implIS3_Lb1EPKsPsPKlPlN2at6native12_GLOBAL__N_18offset_tEEE10hipError_tPvRmT1_PNSt15iterator_traitsISK_E10value_typeET2_T3_PNSL_ISQ_E10value_typeET4_jRbjT5_SW_jjP12ihipStream_tbEUlT_E0_NS1_11comp_targetILNS1_3genE0ELNS1_11target_archE4294967295ELNS1_3gpuE0ELNS1_3repE0EEENS1_60segmented_radix_sort_warp_sort_medium_config_static_selectorELNS0_4arch9wavefront6targetE1EEEvSK_
                                        ; -- End function
	.section	.AMDGPU.csdata,"",@progbits
; Kernel info:
; codeLenInByte = 0
; NumSgprs: 4
; NumVgprs: 0
; NumAgprs: 0
; TotalNumVgprs: 0
; ScratchSize: 0
; MemoryBound: 0
; FloatMode: 240
; IeeeMode: 1
; LDSByteSize: 0 bytes/workgroup (compile time only)
; SGPRBlocks: 0
; VGPRBlocks: 0
; NumSGPRsForWavesPerEU: 4
; NumVGPRsForWavesPerEU: 1
; AccumOffset: 4
; Occupancy: 8
; WaveLimiterHint : 0
; COMPUTE_PGM_RSRC2:SCRATCH_EN: 0
; COMPUTE_PGM_RSRC2:USER_SGPR: 6
; COMPUTE_PGM_RSRC2:TRAP_HANDLER: 0
; COMPUTE_PGM_RSRC2:TGID_X_EN: 1
; COMPUTE_PGM_RSRC2:TGID_Y_EN: 0
; COMPUTE_PGM_RSRC2:TGID_Z_EN: 0
; COMPUTE_PGM_RSRC2:TIDIG_COMP_CNT: 0
; COMPUTE_PGM_RSRC3_GFX90A:ACCUM_OFFSET: 0
; COMPUTE_PGM_RSRC3_GFX90A:TG_SPLIT: 0
	.section	.text._ZN7rocprim17ROCPRIM_400000_NS6detail17trampoline_kernelINS0_14default_configENS1_36segmented_radix_sort_config_selectorIslEEZNS1_25segmented_radix_sort_implIS3_Lb1EPKsPsPKlPlN2at6native12_GLOBAL__N_18offset_tEEE10hipError_tPvRmT1_PNSt15iterator_traitsISK_E10value_typeET2_T3_PNSL_ISQ_E10value_typeET4_jRbjT5_SW_jjP12ihipStream_tbEUlT_E0_NS1_11comp_targetILNS1_3genE5ELNS1_11target_archE942ELNS1_3gpuE9ELNS1_3repE0EEENS1_60segmented_radix_sort_warp_sort_medium_config_static_selectorELNS0_4arch9wavefront6targetE1EEEvSK_,"axG",@progbits,_ZN7rocprim17ROCPRIM_400000_NS6detail17trampoline_kernelINS0_14default_configENS1_36segmented_radix_sort_config_selectorIslEEZNS1_25segmented_radix_sort_implIS3_Lb1EPKsPsPKlPlN2at6native12_GLOBAL__N_18offset_tEEE10hipError_tPvRmT1_PNSt15iterator_traitsISK_E10value_typeET2_T3_PNSL_ISQ_E10value_typeET4_jRbjT5_SW_jjP12ihipStream_tbEUlT_E0_NS1_11comp_targetILNS1_3genE5ELNS1_11target_archE942ELNS1_3gpuE9ELNS1_3repE0EEENS1_60segmented_radix_sort_warp_sort_medium_config_static_selectorELNS0_4arch9wavefront6targetE1EEEvSK_,comdat
	.globl	_ZN7rocprim17ROCPRIM_400000_NS6detail17trampoline_kernelINS0_14default_configENS1_36segmented_radix_sort_config_selectorIslEEZNS1_25segmented_radix_sort_implIS3_Lb1EPKsPsPKlPlN2at6native12_GLOBAL__N_18offset_tEEE10hipError_tPvRmT1_PNSt15iterator_traitsISK_E10value_typeET2_T3_PNSL_ISQ_E10value_typeET4_jRbjT5_SW_jjP12ihipStream_tbEUlT_E0_NS1_11comp_targetILNS1_3genE5ELNS1_11target_archE942ELNS1_3gpuE9ELNS1_3repE0EEENS1_60segmented_radix_sort_warp_sort_medium_config_static_selectorELNS0_4arch9wavefront6targetE1EEEvSK_ ; -- Begin function _ZN7rocprim17ROCPRIM_400000_NS6detail17trampoline_kernelINS0_14default_configENS1_36segmented_radix_sort_config_selectorIslEEZNS1_25segmented_radix_sort_implIS3_Lb1EPKsPsPKlPlN2at6native12_GLOBAL__N_18offset_tEEE10hipError_tPvRmT1_PNSt15iterator_traitsISK_E10value_typeET2_T3_PNSL_ISQ_E10value_typeET4_jRbjT5_SW_jjP12ihipStream_tbEUlT_E0_NS1_11comp_targetILNS1_3genE5ELNS1_11target_archE942ELNS1_3gpuE9ELNS1_3repE0EEENS1_60segmented_radix_sort_warp_sort_medium_config_static_selectorELNS0_4arch9wavefront6targetE1EEEvSK_
	.p2align	8
	.type	_ZN7rocprim17ROCPRIM_400000_NS6detail17trampoline_kernelINS0_14default_configENS1_36segmented_radix_sort_config_selectorIslEEZNS1_25segmented_radix_sort_implIS3_Lb1EPKsPsPKlPlN2at6native12_GLOBAL__N_18offset_tEEE10hipError_tPvRmT1_PNSt15iterator_traitsISK_E10value_typeET2_T3_PNSL_ISQ_E10value_typeET4_jRbjT5_SW_jjP12ihipStream_tbEUlT_E0_NS1_11comp_targetILNS1_3genE5ELNS1_11target_archE942ELNS1_3gpuE9ELNS1_3repE0EEENS1_60segmented_radix_sort_warp_sort_medium_config_static_selectorELNS0_4arch9wavefront6targetE1EEEvSK_,@function
_ZN7rocprim17ROCPRIM_400000_NS6detail17trampoline_kernelINS0_14default_configENS1_36segmented_radix_sort_config_selectorIslEEZNS1_25segmented_radix_sort_implIS3_Lb1EPKsPsPKlPlN2at6native12_GLOBAL__N_18offset_tEEE10hipError_tPvRmT1_PNSt15iterator_traitsISK_E10value_typeET2_T3_PNSL_ISQ_E10value_typeET4_jRbjT5_SW_jjP12ihipStream_tbEUlT_E0_NS1_11comp_targetILNS1_3genE5ELNS1_11target_archE942ELNS1_3gpuE9ELNS1_3repE0EEENS1_60segmented_radix_sort_warp_sort_medium_config_static_selectorELNS0_4arch9wavefront6targetE1EEEvSK_: ; @_ZN7rocprim17ROCPRIM_400000_NS6detail17trampoline_kernelINS0_14default_configENS1_36segmented_radix_sort_config_selectorIslEEZNS1_25segmented_radix_sort_implIS3_Lb1EPKsPsPKlPlN2at6native12_GLOBAL__N_18offset_tEEE10hipError_tPvRmT1_PNSt15iterator_traitsISK_E10value_typeET2_T3_PNSL_ISQ_E10value_typeET4_jRbjT5_SW_jjP12ihipStream_tbEUlT_E0_NS1_11comp_targetILNS1_3genE5ELNS1_11target_archE942ELNS1_3gpuE9ELNS1_3repE0EEENS1_60segmented_radix_sort_warp_sort_medium_config_static_selectorELNS0_4arch9wavefront6targetE1EEEvSK_
; %bb.0:
	.section	.rodata,"a",@progbits
	.p2align	6, 0x0
	.amdhsa_kernel _ZN7rocprim17ROCPRIM_400000_NS6detail17trampoline_kernelINS0_14default_configENS1_36segmented_radix_sort_config_selectorIslEEZNS1_25segmented_radix_sort_implIS3_Lb1EPKsPsPKlPlN2at6native12_GLOBAL__N_18offset_tEEE10hipError_tPvRmT1_PNSt15iterator_traitsISK_E10value_typeET2_T3_PNSL_ISQ_E10value_typeET4_jRbjT5_SW_jjP12ihipStream_tbEUlT_E0_NS1_11comp_targetILNS1_3genE5ELNS1_11target_archE942ELNS1_3gpuE9ELNS1_3repE0EEENS1_60segmented_radix_sort_warp_sort_medium_config_static_selectorELNS0_4arch9wavefront6targetE1EEEvSK_
		.amdhsa_group_segment_fixed_size 0
		.amdhsa_private_segment_fixed_size 0
		.amdhsa_kernarg_size 88
		.amdhsa_user_sgpr_count 6
		.amdhsa_user_sgpr_private_segment_buffer 1
		.amdhsa_user_sgpr_dispatch_ptr 0
		.amdhsa_user_sgpr_queue_ptr 0
		.amdhsa_user_sgpr_kernarg_segment_ptr 1
		.amdhsa_user_sgpr_dispatch_id 0
		.amdhsa_user_sgpr_flat_scratch_init 0
		.amdhsa_user_sgpr_kernarg_preload_length 0
		.amdhsa_user_sgpr_kernarg_preload_offset 0
		.amdhsa_user_sgpr_private_segment_size 0
		.amdhsa_uses_dynamic_stack 0
		.amdhsa_system_sgpr_private_segment_wavefront_offset 0
		.amdhsa_system_sgpr_workgroup_id_x 1
		.amdhsa_system_sgpr_workgroup_id_y 0
		.amdhsa_system_sgpr_workgroup_id_z 0
		.amdhsa_system_sgpr_workgroup_info 0
		.amdhsa_system_vgpr_workitem_id 0
		.amdhsa_next_free_vgpr 1
		.amdhsa_next_free_sgpr 0
		.amdhsa_accum_offset 4
		.amdhsa_reserve_vcc 0
		.amdhsa_reserve_flat_scratch 0
		.amdhsa_float_round_mode_32 0
		.amdhsa_float_round_mode_16_64 0
		.amdhsa_float_denorm_mode_32 3
		.amdhsa_float_denorm_mode_16_64 3
		.amdhsa_dx10_clamp 1
		.amdhsa_ieee_mode 1
		.amdhsa_fp16_overflow 0
		.amdhsa_tg_split 0
		.amdhsa_exception_fp_ieee_invalid_op 0
		.amdhsa_exception_fp_denorm_src 0
		.amdhsa_exception_fp_ieee_div_zero 0
		.amdhsa_exception_fp_ieee_overflow 0
		.amdhsa_exception_fp_ieee_underflow 0
		.amdhsa_exception_fp_ieee_inexact 0
		.amdhsa_exception_int_div_zero 0
	.end_amdhsa_kernel
	.section	.text._ZN7rocprim17ROCPRIM_400000_NS6detail17trampoline_kernelINS0_14default_configENS1_36segmented_radix_sort_config_selectorIslEEZNS1_25segmented_radix_sort_implIS3_Lb1EPKsPsPKlPlN2at6native12_GLOBAL__N_18offset_tEEE10hipError_tPvRmT1_PNSt15iterator_traitsISK_E10value_typeET2_T3_PNSL_ISQ_E10value_typeET4_jRbjT5_SW_jjP12ihipStream_tbEUlT_E0_NS1_11comp_targetILNS1_3genE5ELNS1_11target_archE942ELNS1_3gpuE9ELNS1_3repE0EEENS1_60segmented_radix_sort_warp_sort_medium_config_static_selectorELNS0_4arch9wavefront6targetE1EEEvSK_,"axG",@progbits,_ZN7rocprim17ROCPRIM_400000_NS6detail17trampoline_kernelINS0_14default_configENS1_36segmented_radix_sort_config_selectorIslEEZNS1_25segmented_radix_sort_implIS3_Lb1EPKsPsPKlPlN2at6native12_GLOBAL__N_18offset_tEEE10hipError_tPvRmT1_PNSt15iterator_traitsISK_E10value_typeET2_T3_PNSL_ISQ_E10value_typeET4_jRbjT5_SW_jjP12ihipStream_tbEUlT_E0_NS1_11comp_targetILNS1_3genE5ELNS1_11target_archE942ELNS1_3gpuE9ELNS1_3repE0EEENS1_60segmented_radix_sort_warp_sort_medium_config_static_selectorELNS0_4arch9wavefront6targetE1EEEvSK_,comdat
.Lfunc_end922:
	.size	_ZN7rocprim17ROCPRIM_400000_NS6detail17trampoline_kernelINS0_14default_configENS1_36segmented_radix_sort_config_selectorIslEEZNS1_25segmented_radix_sort_implIS3_Lb1EPKsPsPKlPlN2at6native12_GLOBAL__N_18offset_tEEE10hipError_tPvRmT1_PNSt15iterator_traitsISK_E10value_typeET2_T3_PNSL_ISQ_E10value_typeET4_jRbjT5_SW_jjP12ihipStream_tbEUlT_E0_NS1_11comp_targetILNS1_3genE5ELNS1_11target_archE942ELNS1_3gpuE9ELNS1_3repE0EEENS1_60segmented_radix_sort_warp_sort_medium_config_static_selectorELNS0_4arch9wavefront6targetE1EEEvSK_, .Lfunc_end922-_ZN7rocprim17ROCPRIM_400000_NS6detail17trampoline_kernelINS0_14default_configENS1_36segmented_radix_sort_config_selectorIslEEZNS1_25segmented_radix_sort_implIS3_Lb1EPKsPsPKlPlN2at6native12_GLOBAL__N_18offset_tEEE10hipError_tPvRmT1_PNSt15iterator_traitsISK_E10value_typeET2_T3_PNSL_ISQ_E10value_typeET4_jRbjT5_SW_jjP12ihipStream_tbEUlT_E0_NS1_11comp_targetILNS1_3genE5ELNS1_11target_archE942ELNS1_3gpuE9ELNS1_3repE0EEENS1_60segmented_radix_sort_warp_sort_medium_config_static_selectorELNS0_4arch9wavefront6targetE1EEEvSK_
                                        ; -- End function
	.section	.AMDGPU.csdata,"",@progbits
; Kernel info:
; codeLenInByte = 0
; NumSgprs: 4
; NumVgprs: 0
; NumAgprs: 0
; TotalNumVgprs: 0
; ScratchSize: 0
; MemoryBound: 0
; FloatMode: 240
; IeeeMode: 1
; LDSByteSize: 0 bytes/workgroup (compile time only)
; SGPRBlocks: 0
; VGPRBlocks: 0
; NumSGPRsForWavesPerEU: 4
; NumVGPRsForWavesPerEU: 1
; AccumOffset: 4
; Occupancy: 8
; WaveLimiterHint : 0
; COMPUTE_PGM_RSRC2:SCRATCH_EN: 0
; COMPUTE_PGM_RSRC2:USER_SGPR: 6
; COMPUTE_PGM_RSRC2:TRAP_HANDLER: 0
; COMPUTE_PGM_RSRC2:TGID_X_EN: 1
; COMPUTE_PGM_RSRC2:TGID_Y_EN: 0
; COMPUTE_PGM_RSRC2:TGID_Z_EN: 0
; COMPUTE_PGM_RSRC2:TIDIG_COMP_CNT: 0
; COMPUTE_PGM_RSRC3_GFX90A:ACCUM_OFFSET: 0
; COMPUTE_PGM_RSRC3_GFX90A:TG_SPLIT: 0
	.text
	.p2align	2                               ; -- Begin function _ZN7rocprim17ROCPRIM_400000_NS6detail26segmented_warp_sort_helperINS1_20WarpSortHelperConfigILj32ELj4ELj256EEEslLi256ELb1EvE4sortIPKsPsPKlPlEEvT_T0_T1_T2_jjjjRNS5_12storage_typeE
	.type	_ZN7rocprim17ROCPRIM_400000_NS6detail26segmented_warp_sort_helperINS1_20WarpSortHelperConfigILj32ELj4ELj256EEEslLi256ELb1EvE4sortIPKsPsPKlPlEEvT_T0_T1_T2_jjjjRNS5_12storage_typeE,@function
_ZN7rocprim17ROCPRIM_400000_NS6detail26segmented_warp_sort_helperINS1_20WarpSortHelperConfigILj32ELj4ELj256EEEslLi256ELb1EvE4sortIPKsPsPKlPlEEvT_T0_T1_T2_jjjjRNS5_12storage_typeE: ; @_ZN7rocprim17ROCPRIM_400000_NS6detail26segmented_warp_sort_helperINS1_20WarpSortHelperConfigILj32ELj4ELj256EEEslLi256ELb1EvE4sortIPKsPsPKlPlEEvT_T0_T1_T2_jjjjRNS5_12storage_typeE
; %bb.0:
	s_waitcnt vmcnt(0) expcnt(0) lgkmcnt(0)
	v_mbcnt_lo_u32_b32 v15, -1, 0
	v_sub_u32_e32 v14, v9, v8
	v_mov_b32_e32 v9, 0
	v_mbcnt_hi_u32_b32 v15, -1, v15
	v_lshlrev_b64 v[80:81], 1, v[8:9]
	v_lshlrev_b32_e32 v83, 2, v15
	v_add_co_u32_e32 v0, vcc, v0, v80
	v_and_b32_e32 v84, 0x7c, v83
	v_addc_co_u32_e32 v1, vcc, v1, v81, vcc
	v_lshlrev_b32_e32 v30, 1, v84
	v_add_co_u32_e32 v0, vcc, v0, v30
	v_addc_co_u32_e32 v1, vcc, 0, v1, vcc
	s_mov_b32 s16, s13
	s_mov_b32 s17, s12
	v_cmp_lt_u32_e32 vcc, v84, v14
	v_mov_b32_e32 v85, 0xffff8000
	v_mov_b32_e32 v87, 0xffff8000
	s_and_saveexec_b64 s[4:5], vcc
	s_cbranch_execz .LBB923_2
; %bb.1:
	flat_load_ushort v87, v[0:1]
.LBB923_2:
	s_or_b64 exec, exec, s[4:5]
	v_or_b32_e32 v15, 1, v84
	v_cmp_lt_u32_e64 s[4:5], v15, v14
	s_and_saveexec_b64 s[6:7], s[4:5]
	s_cbranch_execz .LBB923_4
; %bb.3:
	flat_load_ushort v85, v[0:1] offset:2
.LBB923_4:
	s_or_b64 exec, exec, s[6:7]
	v_or_b32_e32 v15, 2, v84
	v_cmp_lt_u32_e64 s[6:7], v15, v14
	v_mov_b32_e32 v86, 0xffff8000
	v_mov_b32_e32 v48, 0xffff8000
	s_and_saveexec_b64 s[10:11], s[6:7]
	s_cbranch_execz .LBB923_6
; %bb.5:
	flat_load_ushort v48, v[0:1] offset:4
.LBB923_6:
	s_or_b64 exec, exec, s[10:11]
	v_or_b32_e32 v15, 3, v84
	v_cmp_lt_u32_e64 s[10:11], v15, v14
	s_and_saveexec_b64 s[12:13], s[10:11]
	s_cbranch_execz .LBB923_8
; %bb.7:
	flat_load_ushort v86, v[0:1] offset:6
.LBB923_8:
	s_or_b64 exec, exec, s[12:13]
	v_lshlrev_b64 v[8:9], 3, v[8:9]
	v_add_co_u32_e64 v0, s[12:13], v4, v8
	v_addc_co_u32_e64 v1, s[12:13], v5, v9, s[12:13]
	v_lshlrev_b32_e32 v82, 3, v84
	v_add_co_u32_e64 v0, s[12:13], v0, v82
	v_addc_co_u32_e64 v1, s[12:13], 0, v1, s[12:13]
	; wave barrier
                                        ; implicit-def: $vgpr14_vgpr15
	s_and_saveexec_b64 s[12:13], vcc
	s_cbranch_execz .LBB923_10
; %bb.9:
	flat_load_dwordx2 v[14:15], v[0:1]
.LBB923_10:
	s_or_b64 exec, exec, s[12:13]
	s_and_saveexec_b64 s[12:13], s[4:5]
                                        ; implicit-def: $vgpr32_vgpr33_vgpr34_vgpr35_vgpr36_vgpr37_vgpr38_vgpr39
                                        ; implicit-def: $vgpr22_vgpr23_vgpr24_vgpr25_vgpr26_vgpr27_vgpr28_vgpr29
	s_cbranch_execz .LBB923_138
; %bb.11:
	flat_load_dwordx2 v[16:17], v[0:1] offset:8
                                        ; implicit-def: $vgpr32_vgpr33_vgpr34_vgpr35_vgpr36_vgpr37_vgpr38_vgpr39
                                        ; implicit-def: $vgpr22_vgpr23_vgpr24_vgpr25_vgpr26_vgpr27_vgpr28_vgpr29
	s_or_b64 exec, exec, s[12:13]
                                        ; implicit-def: $vgpr18_vgpr19
	s_and_saveexec_b64 s[12:13], s[6:7]
	s_cbranch_execnz .LBB923_139
.LBB923_12:
	s_or_b64 exec, exec, s[12:13]
	s_and_saveexec_b64 s[12:13], s[10:11]
	s_cbranch_execz .LBB923_14
.LBB923_13:
	flat_load_dwordx2 v[28:29], v[0:1] offset:24
	s_waitcnt vmcnt(0) lgkmcnt(0)
	v_pk_mov_b32 v[20:21], v[28:29], v[28:29] op_sel:[0,1]
.LBB923_14:
	s_or_b64 exec, exec, s[12:13]
	v_cmp_ne_u32_e64 s[12:13], 0, v10
	v_cmp_ne_u32_e64 s[14:15], 16, v11
	s_or_b64 s[12:13], s[12:13], s[14:15]
	v_bfe_u32 v0, v31, 10, 10
	v_bfe_u32 v4, v31, 20, 10
	; wave barrier
	s_and_saveexec_b64 s[14:15], s[12:13]
	s_xor_b64 s[26:27], exec, s[14:15]
	s_cbranch_execz .LBB923_78
; %bb.15:
	s_load_dwordx2 s[12:13], s[8:9], 0x0
	v_mov_b32_e32 v1, 0
	v_lshlrev_b32_e64 v10, v10, -1
	s_waitcnt lgkmcnt(0)
	s_cmp_lt_u32 s17, s12
	s_cselect_b32 s14, 12, 18
	s_cmp_lt_u32 s16, s13
	s_cselect_b32 s12, 14, 20
	s_add_u32 s12, s8, s12
	s_addc_u32 s13, s9, 0
	s_add_u32 s14, s8, s14
	s_addc_u32 s15, s9, 0
	global_load_ushort v5, v1, s[12:13]
	global_load_ushort v22, v1, s[14:15]
	v_lshlrev_b32_e64 v1, v11, -1
	v_and_b32_e32 v11, 0x3ff, v31
	v_xor_b32_e32 v31, v1, v10
	s_movk_i32 s12, 0x400
	s_waitcnt vmcnt(0)
	v_mad_u32_u24 v0, v4, v5, v0
	v_mul_lo_u32 v0, v0, v22
	v_add_lshl_u32 v10, v0, v11, 2
	v_cmp_gt_u32_e64 s[12:13], s12, v10
	s_and_saveexec_b64 s[18:19], s[12:13]
	s_cbranch_execz .LBB923_27
; %bb.16:
	v_and_b32_e32 v0, v85, v31
	v_and_b32_e32 v1, v87, v31
	v_cmp_gt_i16_e64 s[12:13], v0, v1
	v_cndmask_b32_e64 v4, v16, v14, s[12:13]
	v_cndmask_b32_e64 v0, v14, v16, s[12:13]
	v_and_b32_e32 v14, v86, v31
	v_and_b32_e32 v34, v48, v31
	v_cndmask_b32_e64 v5, v17, v15, s[12:13]
	v_cndmask_b32_e64 v1, v15, v17, s[12:13]
	v_cmp_gt_i16_e64 s[14:15], v14, v34
	v_mov_b32_e32 v11, v48
	s_and_saveexec_b64 s[20:21], s[14:15]
; %bb.17:
	v_pk_mov_b32 v[16:17], v[36:37], v[36:37] op_sel:[0,1]
	v_mov_b32_e32 v11, v86
	v_mov_b32_e32 v86, v48
	v_mov_b32_e32 v34, v14
	v_pk_mov_b32 v[36:37], v[28:29], v[28:29] op_sel:[0,1]
	v_pk_mov_b32 v[28:29], v[16:17], v[16:17] op_sel:[0,1]
; %bb.18:
	s_or_b64 exec, exec, s[20:21]
	v_cndmask_b32_e64 v35, v85, v87, s[12:13]
	v_and_b32_e32 v33, v35, v31
	v_cmp_le_i16_e64 s[14:15], v34, v33
                                        ; implicit-def: $vgpr32
	s_and_saveexec_b64 s[20:21], s[14:15]
	s_xor_b64 s[14:15], exec, s[20:21]
                                        ; implicit-def: $vgpr48_vgpr49_vgpr50_vgpr51_vgpr52_vgpr53_vgpr54_vgpr55
                                        ; implicit-def: $vgpr64_vgpr65_vgpr66_vgpr67_vgpr68_vgpr69_vgpr70_vgpr71
                                        ; implicit-def: $vgpr14_vgpr15_vgpr16_vgpr17_vgpr18_vgpr19_vgpr20_vgpr21
; %bb.19:
	v_mov_b32_e32 v50, v4
	v_mov_b32_e32 v67, v5
	;; [unrolled: 1-line block ×6, first 2 shown]
	v_and_b32_e32 v32, v11, v31
                                        ; implicit-def: $vgpr36_vgpr37
                                        ; implicit-def: $vgpr34
                                        ; implicit-def: $vgpr22_vgpr23_vgpr24_vgpr25_vgpr26_vgpr27_vgpr28_vgpr29
; %bb.20:
	s_or_saveexec_b64 s[14:15], s[14:15]
	v_mov_b32_e32 v18, v35
	s_xor_b64 exec, exec, s[14:15]
; %bb.21:
	v_mov_b32_e32 v50, v36
	v_mov_b32_e32 v67, v37
	;; [unrolled: 1-line block ×8, first 2 shown]
; %bb.22:
	s_or_b64 exec, exec, s[14:15]
	v_cndmask_b32_e64 v19, v87, v85, s[12:13]
	v_and_b32_e32 v14, v19, v31
	v_cmp_gt_i16_e64 s[12:13], v33, v14
	v_cndmask_b32_e64 v16, v50, v0, s[12:13]
	v_cndmask_b32_e64 v14, v0, v50, s[12:13]
	v_and_b32_e32 v0, v86, v31
	v_cndmask_b32_e64 v17, v67, v1, s[12:13]
	v_cndmask_b32_e64 v15, v1, v67, s[12:13]
	v_cmp_gt_i16_e64 s[14:15], v0, v32
	v_mov_b32_e32 v22, v11
	s_and_saveexec_b64 s[20:21], s[14:15]
; %bb.23:
	v_pk_mov_b32 v[24:25], v[4:5], v[4:5] op_sel:[0,1]
	v_mov_b32_e32 v22, v86
	v_mov_b32_e32 v86, v11
	v_mov_b32_e32 v32, v0
	v_pk_mov_b32 v[4:5], v[20:21], v[20:21] op_sel:[0,1]
	v_pk_mov_b32 v[20:21], v[24:25], v[24:25] op_sel:[0,1]
; %bb.24:
	s_or_b64 exec, exec, s[20:21]
	v_cndmask_b32_e64 v85, v18, v19, s[12:13]
	v_and_b32_e32 v0, v85, v31
	v_cmp_gt_i16_e64 s[14:15], v32, v0
	v_pk_mov_b32 v[0:1], v[4:5], v[4:5] op_sel:[0,1]
	v_mov_b32_e32 v48, v22
	s_and_saveexec_b64 s[20:21], s[14:15]
; %bb.25:
	v_pk_mov_b32 v[0:1], v[16:17], v[16:17] op_sel:[0,1]
	v_pk_mov_b32 v[16:17], v[4:5], v[4:5] op_sel:[0,1]
	v_mov_b32_e32 v48, v85
	v_mov_b32_e32 v85, v22
; %bb.26:
	s_or_b64 exec, exec, s[20:21]
	v_cndmask_b32_e64 v87, v19, v18, s[12:13]
	v_pk_mov_b32 v[18:19], v[0:1], v[0:1] op_sel:[0,1]
.LBB923_27:
	s_or_b64 exec, exec, s[18:19]
	v_and_b32_e32 v24, 0xffffff00, v10
	v_mov_b32_e32 v25, 0
	s_movk_i32 s12, 0x400
	v_lshlrev_b64 v[0:1], 1, v[24:25]
	v_sub_u32_e64 v28, s12, v24 clamp
	v_add_co_u32_e64 v4, s[12:13], v12, v0
	v_addc_co_u32_e64 v5, s[12:13], v13, v1, s[12:13]
	v_mad_u64_u32 v[0:1], s[12:13], v24, 6, v[4:5]
	v_lshlrev_b32_e32 v10, 1, v83
	v_add_co_u32_e64 v10, s[12:13], v4, v10
	v_addc_co_u32_e64 v11, s[12:13], 0, v5, s[12:13]
	v_lshlrev_b32_e32 v12, 3, v83
	v_add_co_u32_e64 v22, s[12:13], v0, v12
	v_addc_co_u32_e64 v23, s[12:13], 0, v1, s[12:13]
	s_movk_i32 s12, 0x800
	v_add_co_u32_e64 v12, s[12:13], s12, v22
	v_addc_co_u32_e64 v13, s[12:13], 0, v23, s[12:13]
	v_or_b32_e32 v24, 4, v83
	s_mov_b32 s12, 0x5040100
	v_min_u32_e32 v29, v28, v24
	v_perm_b32 v27, v86, v48, s12
	v_perm_b32 v26, v85, v87, s12
	v_add_u32_e32 v24, 4, v29
	flat_store_dwordx4 v[22:23], v[14:17] offset:2048
	flat_store_dwordx2 v[10:11], v[26:27]
	flat_store_dwordx4 v[22:23], v[18:21] offset:2064
	v_and_b32_e32 v26, 0x1f8, v83
	v_min_u32_e32 v32, v28, v24
	v_and_b32_e32 v24, 4, v83
	v_min_u32_e32 v27, v28, v24
	v_sub_u32_e32 v24, v29, v26
	v_sub_u32_e32 v33, v32, v29
	v_sub_u32_e64 v33, v27, v33 clamp
	v_min_u32_e32 v34, v27, v24
	v_cmp_lt_u32_e64 s[12:13], v33, v34
	; wave barrier
	s_and_saveexec_b64 s[14:15], s[12:13]
	s_cbranch_execz .LBB923_31
; %bb.28:
	v_lshlrev_b32_e32 v24, 1, v26
	v_add_co_u32_e64 v35, s[12:13], v4, v24
	v_addc_co_u32_e64 v36, s[12:13], 0, v5, s[12:13]
	v_lshlrev_b32_e32 v24, 1, v29
	v_add_co_u32_e64 v37, s[12:13], v4, v24
	v_addc_co_u32_e64 v38, s[12:13], 0, v5, s[12:13]
	s_mov_b64 s[18:19], 0
.LBB923_29:                             ; =>This Inner Loop Header: Depth=1
	v_add_u32_e32 v24, v34, v33
	v_and_b32_e32 v49, -2, v24
	v_lshrrev_b32_e32 v39, 1, v24
	v_add_co_u32_e64 v50, s[12:13], v35, v49
	v_xad_u32 v24, v39, -1, v27
	v_addc_co_u32_e64 v51, s[12:13], 0, v36, s[12:13]
	flat_load_ushort v49, v[50:51]
	v_lshlrev_b64 v[50:51], 1, v[24:25]
	v_add_co_u32_e64 v50, s[12:13], v37, v50
	v_addc_co_u32_e64 v51, s[12:13], v38, v51, s[12:13]
	flat_load_ushort v24, v[50:51]
	v_add_u32_e32 v50, 1, v39
	s_waitcnt vmcnt(0) lgkmcnt(0)
	v_and_b32_e32 v49, v49, v31
	v_and_b32_e32 v24, v24, v31
	v_cmp_gt_i16_e64 s[12:13], v24, v49
	v_cndmask_b32_e64 v34, v34, v39, s[12:13]
	v_cndmask_b32_e64 v33, v50, v33, s[12:13]
	v_cmp_ge_u32_e64 s[12:13], v33, v34
	s_or_b64 s[18:19], s[12:13], s[18:19]
	s_andn2_b64 exec, exec, s[18:19]
	s_cbranch_execnz .LBB923_29
; %bb.30:
	s_or_b64 exec, exec, s[18:19]
.LBB923_31:
	s_or_b64 exec, exec, s[14:15]
	v_add_u32_e32 v25, v29, v27
	v_add_u32_e32 v24, v33, v26
	v_sub_u32_e32 v26, v25, v33
	v_cmp_le_u32_e64 s[12:13], v24, v29
	v_cmp_le_u32_e64 s[14:15], v26, v32
	s_or_b64 s[12:13], s[12:13], s[14:15]
	s_and_saveexec_b64 s[28:29], s[12:13]
	s_cbranch_execz .LBB923_37
; %bb.32:
	v_cmp_lt_u32_e64 s[12:13], v24, v29
                                        ; implicit-def: $vgpr25
	s_and_saveexec_b64 s[18:19], s[12:13]
	s_cbranch_execz .LBB923_34
; %bb.33:
	v_mov_b32_e32 v25, 0
	v_lshlrev_b64 v[14:15], 1, v[24:25]
	v_add_co_u32_e64 v14, s[14:15], v4, v14
	v_addc_co_u32_e64 v15, s[14:15], v5, v15, s[14:15]
	flat_load_ushort v25, v[14:15]
.LBB923_34:
	s_or_b64 exec, exec, s[18:19]
	v_cmp_ge_u32_e64 s[14:15], v26, v32
	v_cmp_lt_u32_e64 s[18:19], v26, v32
                                        ; implicit-def: $vgpr27
	s_and_saveexec_b64 s[20:21], s[18:19]
	s_cbranch_execz .LBB923_36
; %bb.35:
	v_mov_b32_e32 v27, 0
	v_lshlrev_b64 v[14:15], 1, v[26:27]
	v_add_co_u32_e64 v14, s[18:19], v4, v14
	v_addc_co_u32_e64 v15, s[18:19], v5, v15, s[18:19]
	flat_load_ushort v27, v[14:15]
.LBB923_36:
	s_or_b64 exec, exec, s[20:21]
	s_waitcnt vmcnt(0) lgkmcnt(0)
	v_and_b32_e32 v14, v27, v31
	v_and_b32_e32 v15, v25, v31
	v_cmp_le_i16_e64 s[18:19], v14, v15
	s_and_b64 s[12:13], s[12:13], s[18:19]
	s_or_b64 s[12:13], s[14:15], s[12:13]
	v_cndmask_b32_e64 v20, v26, v24, s[12:13]
	v_cndmask_b32_e64 v16, v32, v29, s[12:13]
	v_mov_b32_e32 v21, 0
	v_add_u32_e32 v18, 1, v20
	v_add_u32_e32 v16, -1, v16
	v_lshlrev_b64 v[14:15], 3, v[20:21]
	v_min_u32_e32 v20, v18, v16
	v_lshlrev_b64 v[16:17], 1, v[20:21]
	v_add_co_u32_e64 v16, s[14:15], v4, v16
	v_addc_co_u32_e64 v17, s[14:15], v5, v17, s[14:15]
	flat_load_ushort v16, v[16:17]
	v_cndmask_b32_e64 v24, v24, v18, s[12:13]
	v_cndmask_b32_e64 v26, v18, v26, s[12:13]
	v_cmp_lt_u32_e64 s[18:19], v24, v29
	v_cmp_ge_u32_e64 s[14:15], v26, v32
	v_cndmask_b32_e64 v87, v27, v25, s[12:13]
	s_waitcnt vmcnt(0) lgkmcnt(0)
	v_cndmask_b32_e64 v33, v16, v27, s[12:13]
	v_cndmask_b32_e64 v36, v25, v16, s[12:13]
	v_and_b32_e32 v16, v33, v31
	v_and_b32_e32 v17, v36, v31
	v_cmp_le_i16_e64 s[20:21], v16, v17
	s_and_b64 s[18:19], s[18:19], s[20:21]
	s_or_b64 s[14:15], s[14:15], s[18:19]
	v_cndmask_b32_e64 v20, v26, v24, s[14:15]
	v_cndmask_b32_e64 v18, v32, v29, s[14:15]
	v_add_u32_e32 v34, 1, v20
	v_add_u32_e32 v18, -1, v18
	v_lshlrev_b64 v[16:17], 3, v[20:21]
	v_min_u32_e32 v20, v34, v18
	v_lshlrev_b64 v[18:19], 1, v[20:21]
	v_add_co_u32_e64 v18, s[18:19], v4, v18
	v_addc_co_u32_e64 v19, s[18:19], v5, v19, s[18:19]
	flat_load_ushort v18, v[18:19]
	v_cndmask_b32_e64 v24, v24, v34, s[14:15]
	v_cndmask_b32_e64 v26, v34, v26, s[14:15]
	v_cmp_lt_u32_e64 s[20:21], v24, v29
	v_cmp_ge_u32_e64 s[18:19], v26, v32
	v_cndmask_b32_e64 v85, v33, v36, s[14:15]
	s_waitcnt vmcnt(0) lgkmcnt(0)
	v_cndmask_b32_e64 v37, v18, v33, s[14:15]
	v_cndmask_b32_e64 v38, v36, v18, s[14:15]
	v_and_b32_e32 v18, v37, v31
	v_and_b32_e32 v19, v38, v31
	v_cmp_le_i16_e64 s[22:23], v18, v19
	s_and_b64 s[20:21], s[20:21], s[22:23]
	s_or_b64 s[18:19], s[18:19], s[20:21]
	v_cndmask_b32_e64 v20, v26, v24, s[18:19]
	v_cndmask_b32_e64 v34, v32, v29, s[18:19]
	v_lshlrev_b64 v[18:19], 3, v[20:21]
	v_add_u32_e32 v39, 1, v20
	v_add_u32_e32 v20, -1, v34
	v_min_u32_e32 v20, v39, v20
	v_lshlrev_b64 v[34:35], 1, v[20:21]
	v_add_co_u32_e64 v34, s[20:21], v4, v34
	v_addc_co_u32_e64 v35, s[20:21], v5, v35, s[20:21]
	flat_load_ushort v20, v[34:35]
	v_add_co_u32_e64 v14, s[20:21], v0, v14
	v_addc_co_u32_e64 v15, s[20:21], v1, v15, s[20:21]
	v_add_co_u32_e64 v16, s[20:21], v0, v16
	v_addc_co_u32_e64 v17, s[20:21], v1, v17, s[20:21]
	;; [unrolled: 2-line block ×3, first 2 shown]
	v_cndmask_b32_e64 v26, v39, v26, s[18:19]
	v_cndmask_b32_e64 v24, v24, v39, s[18:19]
	v_cmp_ge_u32_e64 s[20:21], v26, v32
	v_cmp_lt_u32_e64 s[22:23], v24, v29
	flat_load_dwordx2 v[14:15], v[14:15] offset:2048
	v_cndmask_b32_e64 v48, v37, v38, s[18:19]
	flat_load_dwordx2 v[16:17], v[16:17] offset:2048
	s_waitcnt vmcnt(0) lgkmcnt(0)
	v_cndmask_b32_e64 v29, v20, v37, s[18:19]
	flat_load_dwordx2 v[18:19], v[18:19] offset:2048
	v_cndmask_b32_e64 v32, v38, v20, s[18:19]
	v_and_b32_e32 v20, v29, v31
	v_and_b32_e32 v34, v32, v31
	v_cmp_le_i16_e64 s[24:25], v20, v34
	s_and_b64 s[22:23], s[22:23], s[24:25]
	s_or_b64 s[20:21], s[20:21], s[22:23]
	v_cndmask_b32_e64 v20, v26, v24, s[20:21]
	v_lshlrev_b64 v[20:21], 3, v[20:21]
	v_add_co_u32_e64 v20, s[22:23], v0, v20
	v_addc_co_u32_e64 v21, s[22:23], v1, v21, s[22:23]
	flat_load_dwordx2 v[20:21], v[20:21] offset:2048
	v_cndmask_b32_e64 v86, v29, v32, s[20:21]
.LBB923_37:
	s_or_b64 exec, exec, s[28:29]
	s_mov_b32 s12, 0x5040100
	v_perm_b32 v25, v86, v48, s12
	v_perm_b32 v24, v85, v87, s12
	v_and_b32_e32 v26, 0x1f0, v83
	; wave barrier
	flat_store_dwordx4 v[22:23], v[14:17] offset:2048
	flat_store_dwordx2 v[10:11], v[24:25]
	s_waitcnt vmcnt(0) lgkmcnt(0)
	flat_store_dwordx4 v[12:13], v[18:21] offset:16
	v_or_b32_e32 v24, 8, v26
	v_min_u32_e32 v29, v28, v24
	v_add_u32_e32 v24, 8, v29
	v_min_u32_e32 v32, v28, v24
	v_and_b32_e32 v24, 12, v83
	v_min_u32_e32 v27, v28, v24
	v_sub_u32_e32 v24, v29, v26
	v_sub_u32_e32 v25, v32, v29
	v_sub_u32_e64 v33, v27, v25 clamp
	v_min_u32_e32 v34, v27, v24
	v_cmp_lt_u32_e64 s[12:13], v33, v34
	; wave barrier
	s_and_saveexec_b64 s[14:15], s[12:13]
	s_cbranch_execz .LBB923_41
; %bb.38:
	v_lshlrev_b32_e32 v24, 1, v26
	v_add_co_u32_e64 v35, s[12:13], v4, v24
	v_addc_co_u32_e64 v36, s[12:13], 0, v5, s[12:13]
	v_lshlrev_b32_e32 v24, 1, v29
	v_add_co_u32_e64 v37, s[12:13], v4, v24
	v_addc_co_u32_e64 v38, s[12:13], 0, v5, s[12:13]
	s_mov_b64 s[18:19], 0
	v_mov_b32_e32 v25, 0
.LBB923_39:                             ; =>This Inner Loop Header: Depth=1
	v_add_u32_e32 v24, v34, v33
	v_and_b32_e32 v49, -2, v24
	v_lshrrev_b32_e32 v39, 1, v24
	v_add_co_u32_e64 v50, s[12:13], v35, v49
	v_xad_u32 v24, v39, -1, v27
	v_addc_co_u32_e64 v51, s[12:13], 0, v36, s[12:13]
	flat_load_ushort v49, v[50:51]
	v_lshlrev_b64 v[50:51], 1, v[24:25]
	v_add_co_u32_e64 v50, s[12:13], v37, v50
	v_addc_co_u32_e64 v51, s[12:13], v38, v51, s[12:13]
	flat_load_ushort v24, v[50:51]
	v_add_u32_e32 v50, 1, v39
	s_waitcnt vmcnt(0) lgkmcnt(0)
	v_and_b32_e32 v49, v49, v31
	v_and_b32_e32 v24, v24, v31
	v_cmp_gt_i16_e64 s[12:13], v24, v49
	v_cndmask_b32_e64 v34, v34, v39, s[12:13]
	v_cndmask_b32_e64 v33, v50, v33, s[12:13]
	v_cmp_ge_u32_e64 s[12:13], v33, v34
	s_or_b64 s[18:19], s[12:13], s[18:19]
	s_andn2_b64 exec, exec, s[18:19]
	s_cbranch_execnz .LBB923_39
; %bb.40:
	s_or_b64 exec, exec, s[18:19]
.LBB923_41:
	s_or_b64 exec, exec, s[14:15]
	v_add_u32_e32 v25, v29, v27
	v_add_u32_e32 v24, v33, v26
	v_sub_u32_e32 v26, v25, v33
	v_cmp_le_u32_e64 s[12:13], v24, v29
	v_cmp_le_u32_e64 s[14:15], v26, v32
	s_or_b64 s[12:13], s[12:13], s[14:15]
	s_and_saveexec_b64 s[28:29], s[12:13]
	s_cbranch_execz .LBB923_47
; %bb.42:
	v_cmp_lt_u32_e64 s[12:13], v24, v29
                                        ; implicit-def: $vgpr25
	s_and_saveexec_b64 s[18:19], s[12:13]
	s_cbranch_execz .LBB923_44
; %bb.43:
	v_mov_b32_e32 v25, 0
	v_lshlrev_b64 v[14:15], 1, v[24:25]
	v_add_co_u32_e64 v14, s[14:15], v4, v14
	v_addc_co_u32_e64 v15, s[14:15], v5, v15, s[14:15]
	flat_load_ushort v25, v[14:15]
.LBB923_44:
	s_or_b64 exec, exec, s[18:19]
	v_cmp_ge_u32_e64 s[14:15], v26, v32
	v_cmp_lt_u32_e64 s[18:19], v26, v32
                                        ; implicit-def: $vgpr27
	s_and_saveexec_b64 s[20:21], s[18:19]
	s_cbranch_execz .LBB923_46
; %bb.45:
	v_mov_b32_e32 v27, 0
	v_lshlrev_b64 v[14:15], 1, v[26:27]
	v_add_co_u32_e64 v14, s[18:19], v4, v14
	v_addc_co_u32_e64 v15, s[18:19], v5, v15, s[18:19]
	flat_load_ushort v27, v[14:15]
.LBB923_46:
	s_or_b64 exec, exec, s[20:21]
	s_waitcnt vmcnt(0) lgkmcnt(0)
	v_and_b32_e32 v14, v27, v31
	v_and_b32_e32 v15, v25, v31
	v_cmp_le_i16_e64 s[18:19], v14, v15
	s_and_b64 s[12:13], s[12:13], s[18:19]
	s_or_b64 s[12:13], s[14:15], s[12:13]
	v_cndmask_b32_e64 v20, v26, v24, s[12:13]
	v_cndmask_b32_e64 v16, v32, v29, s[12:13]
	v_mov_b32_e32 v21, 0
	v_add_u32_e32 v18, 1, v20
	v_add_u32_e32 v16, -1, v16
	v_lshlrev_b64 v[14:15], 3, v[20:21]
	v_min_u32_e32 v20, v18, v16
	v_lshlrev_b64 v[16:17], 1, v[20:21]
	v_add_co_u32_e64 v16, s[14:15], v4, v16
	v_addc_co_u32_e64 v17, s[14:15], v5, v17, s[14:15]
	flat_load_ushort v16, v[16:17]
	v_cndmask_b32_e64 v24, v24, v18, s[12:13]
	v_cndmask_b32_e64 v26, v18, v26, s[12:13]
	v_cmp_lt_u32_e64 s[18:19], v24, v29
	v_cmp_ge_u32_e64 s[14:15], v26, v32
	v_cndmask_b32_e64 v87, v27, v25, s[12:13]
	s_waitcnt vmcnt(0) lgkmcnt(0)
	v_cndmask_b32_e64 v33, v16, v27, s[12:13]
	v_cndmask_b32_e64 v36, v25, v16, s[12:13]
	v_and_b32_e32 v16, v33, v31
	v_and_b32_e32 v17, v36, v31
	v_cmp_le_i16_e64 s[20:21], v16, v17
	s_and_b64 s[18:19], s[18:19], s[20:21]
	s_or_b64 s[14:15], s[14:15], s[18:19]
	v_cndmask_b32_e64 v20, v26, v24, s[14:15]
	v_cndmask_b32_e64 v18, v32, v29, s[14:15]
	v_add_u32_e32 v34, 1, v20
	v_add_u32_e32 v18, -1, v18
	v_lshlrev_b64 v[16:17], 3, v[20:21]
	v_min_u32_e32 v20, v34, v18
	v_lshlrev_b64 v[18:19], 1, v[20:21]
	v_add_co_u32_e64 v18, s[18:19], v4, v18
	v_addc_co_u32_e64 v19, s[18:19], v5, v19, s[18:19]
	flat_load_ushort v18, v[18:19]
	v_cndmask_b32_e64 v24, v24, v34, s[14:15]
	v_cndmask_b32_e64 v26, v34, v26, s[14:15]
	v_cmp_lt_u32_e64 s[20:21], v24, v29
	v_cmp_ge_u32_e64 s[18:19], v26, v32
	v_cndmask_b32_e64 v85, v33, v36, s[14:15]
	s_waitcnt vmcnt(0) lgkmcnt(0)
	v_cndmask_b32_e64 v37, v18, v33, s[14:15]
	v_cndmask_b32_e64 v38, v36, v18, s[14:15]
	v_and_b32_e32 v18, v37, v31
	v_and_b32_e32 v19, v38, v31
	v_cmp_le_i16_e64 s[22:23], v18, v19
	s_and_b64 s[20:21], s[20:21], s[22:23]
	s_or_b64 s[18:19], s[18:19], s[20:21]
	v_cndmask_b32_e64 v20, v26, v24, s[18:19]
	v_cndmask_b32_e64 v34, v32, v29, s[18:19]
	v_lshlrev_b64 v[18:19], 3, v[20:21]
	v_add_u32_e32 v39, 1, v20
	v_add_u32_e32 v20, -1, v34
	v_min_u32_e32 v20, v39, v20
	v_lshlrev_b64 v[34:35], 1, v[20:21]
	v_add_co_u32_e64 v34, s[20:21], v4, v34
	v_addc_co_u32_e64 v35, s[20:21], v5, v35, s[20:21]
	flat_load_ushort v20, v[34:35]
	v_add_co_u32_e64 v14, s[20:21], v0, v14
	v_addc_co_u32_e64 v15, s[20:21], v1, v15, s[20:21]
	v_add_co_u32_e64 v16, s[20:21], v0, v16
	v_addc_co_u32_e64 v17, s[20:21], v1, v17, s[20:21]
	v_add_co_u32_e64 v18, s[20:21], v0, v18
	v_addc_co_u32_e64 v19, s[20:21], v1, v19, s[20:21]
	v_cndmask_b32_e64 v26, v39, v26, s[18:19]
	v_cndmask_b32_e64 v24, v24, v39, s[18:19]
	v_cmp_ge_u32_e64 s[20:21], v26, v32
	v_cmp_lt_u32_e64 s[22:23], v24, v29
	flat_load_dwordx2 v[14:15], v[14:15] offset:2048
	v_cndmask_b32_e64 v48, v37, v38, s[18:19]
	flat_load_dwordx2 v[16:17], v[16:17] offset:2048
	s_waitcnt vmcnt(0) lgkmcnt(0)
	v_cndmask_b32_e64 v29, v20, v37, s[18:19]
	flat_load_dwordx2 v[18:19], v[18:19] offset:2048
	v_cndmask_b32_e64 v32, v38, v20, s[18:19]
	v_and_b32_e32 v20, v29, v31
	v_and_b32_e32 v34, v32, v31
	v_cmp_le_i16_e64 s[24:25], v20, v34
	s_and_b64 s[22:23], s[22:23], s[24:25]
	s_or_b64 s[20:21], s[20:21], s[22:23]
	v_cndmask_b32_e64 v20, v26, v24, s[20:21]
	v_lshlrev_b64 v[20:21], 3, v[20:21]
	v_add_co_u32_e64 v20, s[22:23], v0, v20
	v_addc_co_u32_e64 v21, s[22:23], v1, v21, s[22:23]
	flat_load_dwordx2 v[20:21], v[20:21] offset:2048
	v_cndmask_b32_e64 v86, v29, v32, s[20:21]
.LBB923_47:
	s_or_b64 exec, exec, s[28:29]
	s_mov_b32 s12, 0x5040100
	v_perm_b32 v25, v86, v48, s12
	v_perm_b32 v24, v85, v87, s12
	v_and_b32_e32 v26, 0x1e0, v83
	; wave barrier
	flat_store_dwordx4 v[22:23], v[14:17] offset:2048
	flat_store_dwordx2 v[10:11], v[24:25]
	s_waitcnt vmcnt(0) lgkmcnt(0)
	flat_store_dwordx4 v[12:13], v[18:21] offset:16
	v_or_b32_e32 v24, 16, v26
	v_min_u32_e32 v29, v28, v24
	v_add_u32_e32 v24, 16, v29
	v_min_u32_e32 v32, v28, v24
	v_and_b32_e32 v24, 28, v83
	v_min_u32_e32 v27, v28, v24
	v_sub_u32_e32 v24, v29, v26
	v_sub_u32_e32 v25, v32, v29
	v_sub_u32_e64 v33, v27, v25 clamp
	v_min_u32_e32 v34, v27, v24
	v_cmp_lt_u32_e64 s[12:13], v33, v34
	; wave barrier
	s_and_saveexec_b64 s[14:15], s[12:13]
	s_cbranch_execz .LBB923_51
; %bb.48:
	v_lshlrev_b32_e32 v24, 1, v26
	v_add_co_u32_e64 v35, s[12:13], v4, v24
	v_addc_co_u32_e64 v36, s[12:13], 0, v5, s[12:13]
	v_lshlrev_b32_e32 v24, 1, v29
	v_add_co_u32_e64 v37, s[12:13], v4, v24
	v_addc_co_u32_e64 v38, s[12:13], 0, v5, s[12:13]
	s_mov_b64 s[18:19], 0
	v_mov_b32_e32 v25, 0
.LBB923_49:                             ; =>This Inner Loop Header: Depth=1
	v_add_u32_e32 v24, v34, v33
	v_and_b32_e32 v49, -2, v24
	v_lshrrev_b32_e32 v39, 1, v24
	v_add_co_u32_e64 v50, s[12:13], v35, v49
	v_xad_u32 v24, v39, -1, v27
	v_addc_co_u32_e64 v51, s[12:13], 0, v36, s[12:13]
	flat_load_ushort v49, v[50:51]
	v_lshlrev_b64 v[50:51], 1, v[24:25]
	v_add_co_u32_e64 v50, s[12:13], v37, v50
	v_addc_co_u32_e64 v51, s[12:13], v38, v51, s[12:13]
	flat_load_ushort v24, v[50:51]
	v_add_u32_e32 v50, 1, v39
	s_waitcnt vmcnt(0) lgkmcnt(0)
	v_and_b32_e32 v49, v49, v31
	v_and_b32_e32 v24, v24, v31
	v_cmp_gt_i16_e64 s[12:13], v24, v49
	v_cndmask_b32_e64 v34, v34, v39, s[12:13]
	v_cndmask_b32_e64 v33, v50, v33, s[12:13]
	v_cmp_ge_u32_e64 s[12:13], v33, v34
	s_or_b64 s[18:19], s[12:13], s[18:19]
	s_andn2_b64 exec, exec, s[18:19]
	s_cbranch_execnz .LBB923_49
; %bb.50:
	s_or_b64 exec, exec, s[18:19]
.LBB923_51:
	s_or_b64 exec, exec, s[14:15]
	v_add_u32_e32 v25, v29, v27
	v_add_u32_e32 v24, v33, v26
	v_sub_u32_e32 v26, v25, v33
	v_cmp_le_u32_e64 s[12:13], v24, v29
	v_cmp_le_u32_e64 s[14:15], v26, v32
	s_or_b64 s[12:13], s[12:13], s[14:15]
	s_and_saveexec_b64 s[28:29], s[12:13]
	s_cbranch_execz .LBB923_57
; %bb.52:
	v_cmp_lt_u32_e64 s[12:13], v24, v29
                                        ; implicit-def: $vgpr25
	s_and_saveexec_b64 s[18:19], s[12:13]
	s_cbranch_execz .LBB923_54
; %bb.53:
	v_mov_b32_e32 v25, 0
	v_lshlrev_b64 v[14:15], 1, v[24:25]
	v_add_co_u32_e64 v14, s[14:15], v4, v14
	v_addc_co_u32_e64 v15, s[14:15], v5, v15, s[14:15]
	flat_load_ushort v25, v[14:15]
.LBB923_54:
	s_or_b64 exec, exec, s[18:19]
	v_cmp_ge_u32_e64 s[14:15], v26, v32
	v_cmp_lt_u32_e64 s[18:19], v26, v32
                                        ; implicit-def: $vgpr27
	s_and_saveexec_b64 s[20:21], s[18:19]
	s_cbranch_execz .LBB923_56
; %bb.55:
	v_mov_b32_e32 v27, 0
	v_lshlrev_b64 v[14:15], 1, v[26:27]
	v_add_co_u32_e64 v14, s[18:19], v4, v14
	v_addc_co_u32_e64 v15, s[18:19], v5, v15, s[18:19]
	flat_load_ushort v27, v[14:15]
.LBB923_56:
	s_or_b64 exec, exec, s[20:21]
	s_waitcnt vmcnt(0) lgkmcnt(0)
	v_and_b32_e32 v14, v27, v31
	v_and_b32_e32 v15, v25, v31
	v_cmp_le_i16_e64 s[18:19], v14, v15
	s_and_b64 s[12:13], s[12:13], s[18:19]
	s_or_b64 s[12:13], s[14:15], s[12:13]
	v_cndmask_b32_e64 v20, v26, v24, s[12:13]
	v_cndmask_b32_e64 v16, v32, v29, s[12:13]
	v_mov_b32_e32 v21, 0
	v_add_u32_e32 v18, 1, v20
	v_add_u32_e32 v16, -1, v16
	v_lshlrev_b64 v[14:15], 3, v[20:21]
	v_min_u32_e32 v20, v18, v16
	v_lshlrev_b64 v[16:17], 1, v[20:21]
	v_add_co_u32_e64 v16, s[14:15], v4, v16
	v_addc_co_u32_e64 v17, s[14:15], v5, v17, s[14:15]
	flat_load_ushort v16, v[16:17]
	v_cndmask_b32_e64 v24, v24, v18, s[12:13]
	v_cndmask_b32_e64 v26, v18, v26, s[12:13]
	v_cmp_lt_u32_e64 s[18:19], v24, v29
	v_cmp_ge_u32_e64 s[14:15], v26, v32
	v_cndmask_b32_e64 v87, v27, v25, s[12:13]
	s_waitcnt vmcnt(0) lgkmcnt(0)
	v_cndmask_b32_e64 v33, v16, v27, s[12:13]
	v_cndmask_b32_e64 v36, v25, v16, s[12:13]
	v_and_b32_e32 v16, v33, v31
	v_and_b32_e32 v17, v36, v31
	v_cmp_le_i16_e64 s[20:21], v16, v17
	s_and_b64 s[18:19], s[18:19], s[20:21]
	s_or_b64 s[14:15], s[14:15], s[18:19]
	v_cndmask_b32_e64 v20, v26, v24, s[14:15]
	v_cndmask_b32_e64 v18, v32, v29, s[14:15]
	v_add_u32_e32 v34, 1, v20
	v_add_u32_e32 v18, -1, v18
	v_lshlrev_b64 v[16:17], 3, v[20:21]
	v_min_u32_e32 v20, v34, v18
	v_lshlrev_b64 v[18:19], 1, v[20:21]
	v_add_co_u32_e64 v18, s[18:19], v4, v18
	v_addc_co_u32_e64 v19, s[18:19], v5, v19, s[18:19]
	flat_load_ushort v18, v[18:19]
	v_cndmask_b32_e64 v24, v24, v34, s[14:15]
	v_cndmask_b32_e64 v26, v34, v26, s[14:15]
	v_cmp_lt_u32_e64 s[20:21], v24, v29
	v_cmp_ge_u32_e64 s[18:19], v26, v32
	v_cndmask_b32_e64 v85, v33, v36, s[14:15]
	s_waitcnt vmcnt(0) lgkmcnt(0)
	v_cndmask_b32_e64 v37, v18, v33, s[14:15]
	v_cndmask_b32_e64 v38, v36, v18, s[14:15]
	v_and_b32_e32 v18, v37, v31
	v_and_b32_e32 v19, v38, v31
	v_cmp_le_i16_e64 s[22:23], v18, v19
	s_and_b64 s[20:21], s[20:21], s[22:23]
	s_or_b64 s[18:19], s[18:19], s[20:21]
	v_cndmask_b32_e64 v20, v26, v24, s[18:19]
	v_cndmask_b32_e64 v34, v32, v29, s[18:19]
	v_lshlrev_b64 v[18:19], 3, v[20:21]
	v_add_u32_e32 v39, 1, v20
	v_add_u32_e32 v20, -1, v34
	v_min_u32_e32 v20, v39, v20
	v_lshlrev_b64 v[34:35], 1, v[20:21]
	v_add_co_u32_e64 v34, s[20:21], v4, v34
	v_addc_co_u32_e64 v35, s[20:21], v5, v35, s[20:21]
	flat_load_ushort v20, v[34:35]
	v_add_co_u32_e64 v14, s[20:21], v0, v14
	v_addc_co_u32_e64 v15, s[20:21], v1, v15, s[20:21]
	v_add_co_u32_e64 v16, s[20:21], v0, v16
	v_addc_co_u32_e64 v17, s[20:21], v1, v17, s[20:21]
	;; [unrolled: 2-line block ×3, first 2 shown]
	v_cndmask_b32_e64 v26, v39, v26, s[18:19]
	v_cndmask_b32_e64 v24, v24, v39, s[18:19]
	v_cmp_ge_u32_e64 s[20:21], v26, v32
	v_cmp_lt_u32_e64 s[22:23], v24, v29
	flat_load_dwordx2 v[14:15], v[14:15] offset:2048
	v_cndmask_b32_e64 v48, v37, v38, s[18:19]
	flat_load_dwordx2 v[16:17], v[16:17] offset:2048
	s_waitcnt vmcnt(0) lgkmcnt(0)
	v_cndmask_b32_e64 v29, v20, v37, s[18:19]
	flat_load_dwordx2 v[18:19], v[18:19] offset:2048
	v_cndmask_b32_e64 v32, v38, v20, s[18:19]
	v_and_b32_e32 v20, v29, v31
	v_and_b32_e32 v34, v32, v31
	v_cmp_le_i16_e64 s[24:25], v20, v34
	s_and_b64 s[22:23], s[22:23], s[24:25]
	s_or_b64 s[20:21], s[20:21], s[22:23]
	v_cndmask_b32_e64 v20, v26, v24, s[20:21]
	v_lshlrev_b64 v[20:21], 3, v[20:21]
	v_add_co_u32_e64 v20, s[22:23], v0, v20
	v_addc_co_u32_e64 v21, s[22:23], v1, v21, s[22:23]
	flat_load_dwordx2 v[20:21], v[20:21] offset:2048
	v_cndmask_b32_e64 v86, v29, v32, s[20:21]
.LBB923_57:
	s_or_b64 exec, exec, s[28:29]
	s_mov_b32 s12, 0x5040100
	v_perm_b32 v25, v86, v48, s12
	v_perm_b32 v24, v85, v87, s12
	v_and_b32_e32 v26, 0x1c0, v83
	; wave barrier
	flat_store_dwordx4 v[22:23], v[14:17] offset:2048
	flat_store_dwordx2 v[10:11], v[24:25]
	s_waitcnt vmcnt(0) lgkmcnt(0)
	flat_store_dwordx4 v[12:13], v[18:21] offset:16
	v_or_b32_e32 v24, 32, v26
	v_min_u32_e32 v29, v28, v24
	v_add_u32_e32 v24, 32, v29
	v_min_u32_e32 v32, v28, v24
	v_and_b32_e32 v24, 60, v83
	v_min_u32_e32 v27, v28, v24
	v_sub_u32_e32 v24, v29, v26
	v_sub_u32_e32 v25, v32, v29
	v_sub_u32_e64 v33, v27, v25 clamp
	v_min_u32_e32 v34, v27, v24
	v_cmp_lt_u32_e64 s[12:13], v33, v34
	; wave barrier
	s_and_saveexec_b64 s[14:15], s[12:13]
	s_cbranch_execz .LBB923_61
; %bb.58:
	v_lshlrev_b32_e32 v24, 1, v26
	v_add_co_u32_e64 v35, s[12:13], v4, v24
	v_addc_co_u32_e64 v36, s[12:13], 0, v5, s[12:13]
	v_lshlrev_b32_e32 v24, 1, v29
	v_add_co_u32_e64 v37, s[12:13], v4, v24
	v_addc_co_u32_e64 v38, s[12:13], 0, v5, s[12:13]
	s_mov_b64 s[18:19], 0
	v_mov_b32_e32 v25, 0
.LBB923_59:                             ; =>This Inner Loop Header: Depth=1
	v_add_u32_e32 v24, v34, v33
	v_and_b32_e32 v49, -2, v24
	v_lshrrev_b32_e32 v39, 1, v24
	v_add_co_u32_e64 v50, s[12:13], v35, v49
	v_xad_u32 v24, v39, -1, v27
	v_addc_co_u32_e64 v51, s[12:13], 0, v36, s[12:13]
	flat_load_ushort v49, v[50:51]
	v_lshlrev_b64 v[50:51], 1, v[24:25]
	v_add_co_u32_e64 v50, s[12:13], v37, v50
	v_addc_co_u32_e64 v51, s[12:13], v38, v51, s[12:13]
	flat_load_ushort v24, v[50:51]
	v_add_u32_e32 v50, 1, v39
	s_waitcnt vmcnt(0) lgkmcnt(0)
	v_and_b32_e32 v49, v49, v31
	v_and_b32_e32 v24, v24, v31
	v_cmp_gt_i16_e64 s[12:13], v24, v49
	v_cndmask_b32_e64 v34, v34, v39, s[12:13]
	v_cndmask_b32_e64 v33, v50, v33, s[12:13]
	v_cmp_ge_u32_e64 s[12:13], v33, v34
	s_or_b64 s[18:19], s[12:13], s[18:19]
	s_andn2_b64 exec, exec, s[18:19]
	s_cbranch_execnz .LBB923_59
; %bb.60:
	s_or_b64 exec, exec, s[18:19]
.LBB923_61:
	s_or_b64 exec, exec, s[14:15]
	v_add_u32_e32 v25, v29, v27
	v_add_u32_e32 v24, v33, v26
	v_sub_u32_e32 v26, v25, v33
	v_cmp_le_u32_e64 s[12:13], v24, v29
	v_cmp_le_u32_e64 s[14:15], v26, v32
	s_or_b64 s[12:13], s[12:13], s[14:15]
	s_and_saveexec_b64 s[28:29], s[12:13]
	s_cbranch_execz .LBB923_67
; %bb.62:
	v_cmp_lt_u32_e64 s[12:13], v24, v29
                                        ; implicit-def: $vgpr25
	s_and_saveexec_b64 s[18:19], s[12:13]
	s_cbranch_execz .LBB923_64
; %bb.63:
	v_mov_b32_e32 v25, 0
	v_lshlrev_b64 v[14:15], 1, v[24:25]
	v_add_co_u32_e64 v14, s[14:15], v4, v14
	v_addc_co_u32_e64 v15, s[14:15], v5, v15, s[14:15]
	flat_load_ushort v25, v[14:15]
.LBB923_64:
	s_or_b64 exec, exec, s[18:19]
	v_cmp_ge_u32_e64 s[14:15], v26, v32
	v_cmp_lt_u32_e64 s[18:19], v26, v32
                                        ; implicit-def: $vgpr27
	s_and_saveexec_b64 s[20:21], s[18:19]
	s_cbranch_execz .LBB923_66
; %bb.65:
	v_mov_b32_e32 v27, 0
	v_lshlrev_b64 v[14:15], 1, v[26:27]
	v_add_co_u32_e64 v14, s[18:19], v4, v14
	v_addc_co_u32_e64 v15, s[18:19], v5, v15, s[18:19]
	flat_load_ushort v27, v[14:15]
.LBB923_66:
	s_or_b64 exec, exec, s[20:21]
	s_waitcnt vmcnt(0) lgkmcnt(0)
	v_and_b32_e32 v14, v27, v31
	v_and_b32_e32 v15, v25, v31
	v_cmp_le_i16_e64 s[18:19], v14, v15
	s_and_b64 s[12:13], s[12:13], s[18:19]
	s_or_b64 s[12:13], s[14:15], s[12:13]
	v_cndmask_b32_e64 v20, v26, v24, s[12:13]
	v_cndmask_b32_e64 v16, v32, v29, s[12:13]
	v_mov_b32_e32 v21, 0
	v_add_u32_e32 v18, 1, v20
	v_add_u32_e32 v16, -1, v16
	v_lshlrev_b64 v[14:15], 3, v[20:21]
	v_min_u32_e32 v20, v18, v16
	v_lshlrev_b64 v[16:17], 1, v[20:21]
	v_add_co_u32_e64 v16, s[14:15], v4, v16
	v_addc_co_u32_e64 v17, s[14:15], v5, v17, s[14:15]
	flat_load_ushort v16, v[16:17]
	v_cndmask_b32_e64 v24, v24, v18, s[12:13]
	v_cndmask_b32_e64 v26, v18, v26, s[12:13]
	v_cmp_lt_u32_e64 s[18:19], v24, v29
	v_cmp_ge_u32_e64 s[14:15], v26, v32
	v_cndmask_b32_e64 v87, v27, v25, s[12:13]
	s_waitcnt vmcnt(0) lgkmcnt(0)
	v_cndmask_b32_e64 v33, v16, v27, s[12:13]
	v_cndmask_b32_e64 v36, v25, v16, s[12:13]
	v_and_b32_e32 v16, v33, v31
	v_and_b32_e32 v17, v36, v31
	v_cmp_le_i16_e64 s[20:21], v16, v17
	s_and_b64 s[18:19], s[18:19], s[20:21]
	s_or_b64 s[14:15], s[14:15], s[18:19]
	v_cndmask_b32_e64 v20, v26, v24, s[14:15]
	v_cndmask_b32_e64 v18, v32, v29, s[14:15]
	v_add_u32_e32 v34, 1, v20
	v_add_u32_e32 v18, -1, v18
	v_lshlrev_b64 v[16:17], 3, v[20:21]
	v_min_u32_e32 v20, v34, v18
	v_lshlrev_b64 v[18:19], 1, v[20:21]
	v_add_co_u32_e64 v18, s[18:19], v4, v18
	v_addc_co_u32_e64 v19, s[18:19], v5, v19, s[18:19]
	flat_load_ushort v18, v[18:19]
	v_cndmask_b32_e64 v24, v24, v34, s[14:15]
	v_cndmask_b32_e64 v26, v34, v26, s[14:15]
	v_cmp_lt_u32_e64 s[20:21], v24, v29
	v_cmp_ge_u32_e64 s[18:19], v26, v32
	v_cndmask_b32_e64 v85, v33, v36, s[14:15]
	s_waitcnt vmcnt(0) lgkmcnt(0)
	v_cndmask_b32_e64 v37, v18, v33, s[14:15]
	v_cndmask_b32_e64 v38, v36, v18, s[14:15]
	v_and_b32_e32 v18, v37, v31
	v_and_b32_e32 v19, v38, v31
	v_cmp_le_i16_e64 s[22:23], v18, v19
	s_and_b64 s[20:21], s[20:21], s[22:23]
	s_or_b64 s[18:19], s[18:19], s[20:21]
	v_cndmask_b32_e64 v20, v26, v24, s[18:19]
	v_cndmask_b32_e64 v34, v32, v29, s[18:19]
	v_lshlrev_b64 v[18:19], 3, v[20:21]
	v_add_u32_e32 v39, 1, v20
	v_add_u32_e32 v20, -1, v34
	v_min_u32_e32 v20, v39, v20
	v_lshlrev_b64 v[34:35], 1, v[20:21]
	v_add_co_u32_e64 v34, s[20:21], v4, v34
	v_addc_co_u32_e64 v35, s[20:21], v5, v35, s[20:21]
	flat_load_ushort v20, v[34:35]
	v_add_co_u32_e64 v14, s[20:21], v0, v14
	v_addc_co_u32_e64 v15, s[20:21], v1, v15, s[20:21]
	v_add_co_u32_e64 v16, s[20:21], v0, v16
	v_addc_co_u32_e64 v17, s[20:21], v1, v17, s[20:21]
	;; [unrolled: 2-line block ×3, first 2 shown]
	v_cndmask_b32_e64 v26, v39, v26, s[18:19]
	v_cndmask_b32_e64 v24, v24, v39, s[18:19]
	v_cmp_ge_u32_e64 s[20:21], v26, v32
	v_cmp_lt_u32_e64 s[22:23], v24, v29
	flat_load_dwordx2 v[14:15], v[14:15] offset:2048
	v_cndmask_b32_e64 v48, v37, v38, s[18:19]
	flat_load_dwordx2 v[16:17], v[16:17] offset:2048
	s_waitcnt vmcnt(0) lgkmcnt(0)
	v_cndmask_b32_e64 v29, v20, v37, s[18:19]
	flat_load_dwordx2 v[18:19], v[18:19] offset:2048
	v_cndmask_b32_e64 v32, v38, v20, s[18:19]
	v_and_b32_e32 v20, v29, v31
	v_and_b32_e32 v34, v32, v31
	v_cmp_le_i16_e64 s[24:25], v20, v34
	s_and_b64 s[22:23], s[22:23], s[24:25]
	s_or_b64 s[20:21], s[20:21], s[22:23]
	v_cndmask_b32_e64 v20, v26, v24, s[20:21]
	v_lshlrev_b64 v[20:21], 3, v[20:21]
	v_add_co_u32_e64 v20, s[22:23], v0, v20
	v_addc_co_u32_e64 v21, s[22:23], v1, v21, s[22:23]
	flat_load_dwordx2 v[20:21], v[20:21] offset:2048
	v_cndmask_b32_e64 v86, v29, v32, s[20:21]
.LBB923_67:
	s_or_b64 exec, exec, s[28:29]
	s_mov_b32 s12, 0x5040100
	; wave barrier
	flat_store_dwordx4 v[22:23], v[14:17] offset:2048
	v_perm_b32 v23, v86, v48, s12
	v_perm_b32 v22, v85, v87, s12
	flat_store_dwordx2 v[10:11], v[22:23]
	s_waitcnt vmcnt(0) lgkmcnt(0)
	flat_store_dwordx4 v[12:13], v[18:21] offset:16
	v_and_b32_e32 v12, 0x180, v83
	v_or_b32_e32 v10, 64, v12
	v_min_u32_e32 v22, v28, v10
	v_add_u32_e32 v10, 64, v22
	v_min_u32_e32 v23, v28, v10
	v_min_u32_e32 v13, v28, v84
	v_sub_u32_e32 v10, v22, v12
	v_sub_u32_e32 v11, v23, v22
	v_sub_u32_e64 v24, v13, v11 clamp
	v_min_u32_e32 v25, v13, v10
	v_cmp_lt_u32_e64 s[12:13], v24, v25
	; wave barrier
	s_and_saveexec_b64 s[14:15], s[12:13]
	s_cbranch_execz .LBB923_71
; %bb.68:
	v_lshlrev_b32_e32 v10, 1, v12
	v_add_co_u32_e64 v26, s[12:13], v4, v10
	v_addc_co_u32_e64 v27, s[12:13], 0, v5, s[12:13]
	v_lshlrev_b32_e32 v10, 1, v22
	v_add_co_u32_e64 v28, s[12:13], v4, v10
	v_addc_co_u32_e64 v29, s[12:13], 0, v5, s[12:13]
	s_mov_b64 s[18:19], 0
	v_mov_b32_e32 v11, 0
.LBB923_69:                             ; =>This Inner Loop Header: Depth=1
	v_add_u32_e32 v10, v25, v24
	v_and_b32_e32 v32, -2, v10
	v_lshrrev_b32_e32 v34, 1, v10
	v_add_co_u32_e64 v32, s[12:13], v26, v32
	v_xad_u32 v10, v34, -1, v13
	v_addc_co_u32_e64 v33, s[12:13], 0, v27, s[12:13]
	flat_load_ushort v35, v[32:33]
	v_lshlrev_b64 v[32:33], 1, v[10:11]
	v_add_co_u32_e64 v32, s[12:13], v28, v32
	v_addc_co_u32_e64 v33, s[12:13], v29, v33, s[12:13]
	flat_load_ushort v10, v[32:33]
	v_add_u32_e32 v32, 1, v34
	s_waitcnt vmcnt(0) lgkmcnt(0)
	v_and_b32_e32 v33, v35, v31
	v_and_b32_e32 v10, v10, v31
	v_cmp_gt_i16_e64 s[12:13], v10, v33
	v_cndmask_b32_e64 v25, v25, v34, s[12:13]
	v_cndmask_b32_e64 v24, v32, v24, s[12:13]
	v_cmp_ge_u32_e64 s[12:13], v24, v25
	s_or_b64 s[18:19], s[12:13], s[18:19]
	s_andn2_b64 exec, exec, s[18:19]
	s_cbranch_execnz .LBB923_69
; %bb.70:
	s_or_b64 exec, exec, s[18:19]
.LBB923_71:
	s_or_b64 exec, exec, s[14:15]
	v_add_u32_e32 v11, v22, v13
	v_add_u32_e32 v10, v24, v12
	v_sub_u32_e32 v12, v11, v24
	v_cmp_le_u32_e64 s[12:13], v10, v22
	v_cmp_le_u32_e64 s[14:15], v12, v23
	s_or_b64 s[12:13], s[12:13], s[14:15]
	s_and_saveexec_b64 s[28:29], s[12:13]
	s_cbranch_execz .LBB923_77
; %bb.72:
	v_cmp_lt_u32_e64 s[12:13], v10, v22
                                        ; implicit-def: $vgpr11
	s_and_saveexec_b64 s[18:19], s[12:13]
	s_cbranch_execz .LBB923_74
; %bb.73:
	v_mov_b32_e32 v11, 0
	v_lshlrev_b64 v[14:15], 1, v[10:11]
	v_add_co_u32_e64 v14, s[14:15], v4, v14
	v_addc_co_u32_e64 v15, s[14:15], v5, v15, s[14:15]
	flat_load_ushort v11, v[14:15]
.LBB923_74:
	s_or_b64 exec, exec, s[18:19]
	v_cmp_ge_u32_e64 s[14:15], v12, v23
	v_cmp_lt_u32_e64 s[18:19], v12, v23
                                        ; implicit-def: $vgpr13
	s_and_saveexec_b64 s[20:21], s[18:19]
	s_cbranch_execz .LBB923_76
; %bb.75:
	v_mov_b32_e32 v13, 0
	v_lshlrev_b64 v[14:15], 1, v[12:13]
	v_add_co_u32_e64 v14, s[18:19], v4, v14
	v_addc_co_u32_e64 v15, s[18:19], v5, v15, s[18:19]
	flat_load_ushort v13, v[14:15]
.LBB923_76:
	s_or_b64 exec, exec, s[20:21]
	s_waitcnt vmcnt(0) lgkmcnt(0)
	v_and_b32_e32 v14, v13, v31
	v_and_b32_e32 v15, v11, v31
	v_cmp_le_i16_e64 s[18:19], v14, v15
	s_and_b64 s[12:13], s[12:13], s[18:19]
	s_or_b64 s[12:13], s[14:15], s[12:13]
	v_cndmask_b32_e64 v20, v12, v10, s[12:13]
	v_cndmask_b32_e64 v16, v23, v22, s[12:13]
	v_mov_b32_e32 v21, 0
	v_add_u32_e32 v18, 1, v20
	v_add_u32_e32 v16, -1, v16
	v_lshlrev_b64 v[14:15], 3, v[20:21]
	v_min_u32_e32 v20, v18, v16
	v_lshlrev_b64 v[16:17], 1, v[20:21]
	v_add_co_u32_e64 v16, s[14:15], v4, v16
	v_addc_co_u32_e64 v17, s[14:15], v5, v17, s[14:15]
	flat_load_ushort v16, v[16:17]
	v_cndmask_b32_e64 v10, v10, v18, s[12:13]
	v_cndmask_b32_e64 v12, v18, v12, s[12:13]
	v_cmp_lt_u32_e64 s[18:19], v10, v22
	v_cmp_ge_u32_e64 s[14:15], v12, v23
	v_cndmask_b32_e64 v87, v13, v11, s[12:13]
	s_waitcnt vmcnt(0) lgkmcnt(0)
	v_cndmask_b32_e64 v26, v16, v13, s[12:13]
	v_cndmask_b32_e64 v27, v11, v16, s[12:13]
	v_and_b32_e32 v16, v26, v31
	v_and_b32_e32 v17, v27, v31
	v_cmp_le_i16_e64 s[20:21], v16, v17
	s_and_b64 s[18:19], s[18:19], s[20:21]
	s_or_b64 s[14:15], s[14:15], s[18:19]
	v_cndmask_b32_e64 v20, v12, v10, s[14:15]
	v_cndmask_b32_e64 v18, v23, v22, s[14:15]
	v_add_u32_e32 v24, 1, v20
	v_add_u32_e32 v18, -1, v18
	v_lshlrev_b64 v[16:17], 3, v[20:21]
	v_min_u32_e32 v20, v24, v18
	v_lshlrev_b64 v[18:19], 1, v[20:21]
	v_add_co_u32_e64 v18, s[18:19], v4, v18
	v_addc_co_u32_e64 v19, s[18:19], v5, v19, s[18:19]
	flat_load_ushort v18, v[18:19]
	v_cndmask_b32_e64 v10, v10, v24, s[14:15]
	v_cndmask_b32_e64 v12, v24, v12, s[14:15]
	v_cmp_lt_u32_e64 s[20:21], v10, v22
	v_cmp_ge_u32_e64 s[18:19], v12, v23
	v_cndmask_b32_e64 v85, v26, v27, s[14:15]
	s_waitcnt vmcnt(0) lgkmcnt(0)
	v_cndmask_b32_e64 v28, v18, v26, s[14:15]
	v_cndmask_b32_e64 v29, v27, v18, s[14:15]
	v_and_b32_e32 v18, v28, v31
	v_and_b32_e32 v19, v29, v31
	v_cmp_le_i16_e64 s[22:23], v18, v19
	s_and_b64 s[20:21], s[20:21], s[22:23]
	s_or_b64 s[18:19], s[18:19], s[20:21]
	v_cndmask_b32_e64 v20, v12, v10, s[18:19]
	v_cndmask_b32_e64 v24, v23, v22, s[18:19]
	v_lshlrev_b64 v[18:19], 3, v[20:21]
	v_add_u32_e32 v32, 1, v20
	v_add_u32_e32 v20, -1, v24
	v_min_u32_e32 v20, v32, v20
	v_lshlrev_b64 v[24:25], 1, v[20:21]
	v_add_co_u32_e64 v4, s[20:21], v4, v24
	v_addc_co_u32_e64 v5, s[20:21], v5, v25, s[20:21]
	flat_load_ushort v20, v[4:5]
	v_add_co_u32_e64 v4, s[20:21], v0, v14
	v_addc_co_u32_e64 v5, s[20:21], v1, v15, s[20:21]
	flat_load_dwordx2 v[14:15], v[4:5] offset:2048
	v_add_co_u32_e64 v4, s[20:21], v0, v16
	v_addc_co_u32_e64 v5, s[20:21], v1, v17, s[20:21]
	flat_load_dwordx2 v[16:17], v[4:5] offset:2048
	;; [unrolled: 3-line block ×3, first 2 shown]
	v_cndmask_b32_e64 v4, v32, v12, s[18:19]
	v_cndmask_b32_e64 v5, v10, v32, s[18:19]
	v_cmp_lt_u32_e64 s[22:23], v5, v22
	v_cmp_ge_u32_e64 s[20:21], v4, v23
	v_cndmask_b32_e64 v48, v28, v29, s[18:19]
	s_waitcnt vmcnt(0) lgkmcnt(0)
	v_cndmask_b32_e64 v10, v20, v28, s[18:19]
	v_cndmask_b32_e64 v12, v29, v20, s[18:19]
	v_and_b32_e32 v20, v10, v31
	v_and_b32_e32 v22, v12, v31
	v_cmp_le_i16_e64 s[24:25], v20, v22
	s_and_b64 s[22:23], s[22:23], s[24:25]
	s_or_b64 s[20:21], s[20:21], s[22:23]
	v_cndmask_b32_e64 v20, v4, v5, s[20:21]
	v_lshlrev_b64 v[4:5], 3, v[20:21]
	v_add_co_u32_e64 v0, s[22:23], v0, v4
	v_addc_co_u32_e64 v1, s[22:23], v1, v5, s[22:23]
	flat_load_dwordx2 v[20:21], v[0:1] offset:2048
	v_cndmask_b32_e64 v86, v10, v12, s[20:21]
.LBB923_77:
	s_or_b64 exec, exec, s[28:29]
	; wave barrier
	s_waitcnt lgkmcnt(0)
	s_barrier
                                        ; implicit-def: $vgpr83
                                        ; implicit-def: $vgpr12
                                        ; implicit-def: $vgpr13
                                        ; implicit-def: $vgpr84
                                        ; implicit-def: $vgpr31
                                        ; implicit-def: $vgpr0
                                        ; implicit-def: $vgpr4
                                        ; implicit-def: $vgpr32_vgpr33_vgpr34_vgpr35_vgpr36_vgpr37_vgpr38_vgpr39
                                        ; implicit-def: $vgpr22_vgpr23_vgpr24_vgpr25_vgpr26_vgpr27_vgpr28_vgpr29
.LBB923_78:
	s_andn2_saveexec_b64 s[22:23], s[26:27]
	s_cbranch_execz .LBB923_134
; %bb.79:
	s_load_dwordx2 s[12:13], s[8:9], 0x0
	v_mov_b32_e32 v1, 0
	v_and_b32_e32 v11, 0x3ff, v31
	s_movk_i32 s20, 0x400
	s_waitcnt lgkmcnt(0)
	s_cmp_lt_u32 s17, s12
	s_cselect_b32 s14, 12, 18
	s_cmp_lt_u32 s16, s13
	s_cselect_b32 s12, 14, 20
	s_add_u32 s12, s8, s12
	s_addc_u32 s13, s9, 0
	s_add_u32 s8, s8, s14
	s_addc_u32 s9, s9, 0
	global_load_ushort v5, v1, s[12:13]
	global_load_ushort v10, v1, s[8:9]
	s_waitcnt vmcnt(0)
	v_mad_u32_u24 v0, v4, v5, v0
	v_mul_lo_u32 v0, v0, v10
	v_add_lshl_u32 v0, v0, v11, 2
	v_cmp_gt_u32_e64 s[8:9], s20, v0
	s_and_saveexec_b64 s[16:17], s[8:9]
	s_cbranch_execz .LBB923_83
; %bb.80:
	v_cmp_gt_i16_e64 s[8:9], v85, v87
	v_min_i16_e32 v18, v85, v87
	v_cndmask_b32_e64 v19, v14, v16, s[8:9]
	v_cndmask_b32_e64 v20, v15, v17, s[8:9]
	;; [unrolled: 1-line block ×4, first 2 shown]
	v_max_i16_e32 v16, v86, v48
	v_cmp_gt_i16_e64 s[8:9], v86, v48
	v_max_i16_e32 v4, v85, v87
	v_min_i16_e32 v5, v86, v48
	v_cndmask_b32_e64 v23, v28, v36, s[8:9]
	v_cndmask_b32_e64 v24, v29, v37, s[8:9]
	;; [unrolled: 1-line block ×4, first 2 shown]
	v_cmp_gt_i16_e64 s[8:9], v16, v18
	v_max_i16_e32 v10, v16, v18
	v_min_i16_e32 v11, v16, v18
	v_cndmask_b32_e64 v25, v21, v14, s[8:9]
	v_cndmask_b32_e64 v26, v17, v15, s[8:9]
	;; [unrolled: 1-line block ×4, first 2 shown]
	v_cmp_gt_i16_e64 s[8:9], v16, v4
	v_cmp_lt_i16_e64 s[12:13], v18, v5
	v_cndmask_b32_e64 v85, v10, v4, s[8:9]
	v_cndmask_b32_e64 v22, v11, v5, s[12:13]
	;; [unrolled: 1-line block ×10, first 2 shown]
	v_cmp_gt_i16_e64 s[14:15], v22, v85
	v_mov_b32_e32 v48, v22
	s_and_saveexec_b64 s[18:19], s[14:15]
; %bb.81:
	v_pk_mov_b32 v[24:25], v[18:19], v[18:19] op_sel:[0,1]
	v_pk_mov_b32 v[18:19], v[16:17], v[16:17] op_sel:[0,1]
	;; [unrolled: 1-line block ×3, first 2 shown]
	v_mov_b32_e32 v48, v85
	v_mov_b32_e32 v85, v22
; %bb.82:
	s_or_b64 exec, exec, s[18:19]
	v_cndmask_b32_e64 v87, v4, v10, s[8:9]
	v_cndmask_b32_e64 v86, v5, v11, s[12:13]
.LBB923_83:
	s_or_b64 exec, exec, s[16:17]
	v_and_b32_e32 v0, 0xffffff00, v0
	v_lshlrev_b64 v[4:5], 1, v[0:1]
	v_add_co_u32_e64 v4, s[8:9], v12, v4
	v_addc_co_u32_e64 v5, s[8:9], v13, v5, s[8:9]
	v_sub_u32_e64 v28, s20, v0 clamp
	v_mad_u64_u32 v[0:1], s[8:9], v0, 6, v[4:5]
	v_lshlrev_b32_e32 v10, 1, v83
	v_add_co_u32_e64 v10, s[8:9], v4, v10
	v_addc_co_u32_e64 v11, s[8:9], 0, v5, s[8:9]
	v_lshlrev_b32_e32 v12, 3, v83
	v_add_co_u32_e64 v22, s[8:9], v0, v12
	v_addc_co_u32_e64 v23, s[8:9], 0, v1, s[8:9]
	s_movk_i32 s8, 0x800
	v_add_co_u32_e64 v12, s[8:9], s8, v22
	v_addc_co_u32_e64 v13, s[8:9], 0, v23, s[8:9]
	s_mov_b32 s8, 0x5040100
	v_perm_b32 v25, v86, v48, s8
	v_perm_b32 v24, v85, v87, s8
	flat_store_dwordx4 v[22:23], v[14:17] offset:2048
	flat_store_dwordx2 v[10:11], v[24:25]
	flat_store_dwordx4 v[22:23], v[18:21] offset:2064
	v_or_b32_e32 v24, 4, v83
	v_min_u32_e32 v29, v28, v24
	v_add_u32_e32 v24, 4, v29
	v_and_b32_e32 v26, 0x1f8, v83
	v_min_u32_e32 v31, v28, v24
	v_and_b32_e32 v24, 4, v83
	v_min_u32_e32 v27, v28, v24
	v_sub_u32_e32 v24, v29, v26
	v_sub_u32_e32 v25, v31, v29
	v_sub_u32_e64 v32, v27, v25 clamp
	v_min_u32_e32 v33, v27, v24
	v_cmp_lt_u32_e64 s[8:9], v32, v33
	; wave barrier
	s_and_saveexec_b64 s[12:13], s[8:9]
	s_cbranch_execz .LBB923_87
; %bb.84:
	v_lshlrev_b32_e32 v24, 1, v26
	v_add_co_u32_e64 v34, s[8:9], v4, v24
	v_addc_co_u32_e64 v35, s[8:9], 0, v5, s[8:9]
	v_lshlrev_b32_e32 v24, 1, v29
	v_add_co_u32_e64 v36, s[8:9], v4, v24
	v_addc_co_u32_e64 v37, s[8:9], 0, v5, s[8:9]
	s_mov_b64 s[14:15], 0
	v_mov_b32_e32 v25, 0
.LBB923_85:                             ; =>This Inner Loop Header: Depth=1
	v_add_u32_e32 v24, v33, v32
	v_and_b32_e32 v38, -2, v24
	v_lshrrev_b32_e32 v49, 1, v24
	v_add_co_u32_e64 v38, s[8:9], v34, v38
	v_xad_u32 v24, v49, -1, v27
	v_addc_co_u32_e64 v39, s[8:9], 0, v35, s[8:9]
	flat_load_ushort v50, v[38:39]
	v_lshlrev_b64 v[38:39], 1, v[24:25]
	v_add_co_u32_e64 v38, s[8:9], v36, v38
	v_addc_co_u32_e64 v39, s[8:9], v37, v39, s[8:9]
	flat_load_ushort v24, v[38:39]
	v_add_u32_e32 v38, 1, v49
	s_waitcnt vmcnt(0) lgkmcnt(0)
	v_cmp_gt_i16_e64 s[8:9], v24, v50
	v_cndmask_b32_e64 v33, v33, v49, s[8:9]
	v_cndmask_b32_e64 v32, v38, v32, s[8:9]
	v_cmp_ge_u32_e64 s[8:9], v32, v33
	s_or_b64 s[14:15], s[8:9], s[14:15]
	s_andn2_b64 exec, exec, s[14:15]
	s_cbranch_execnz .LBB923_85
; %bb.86:
	s_or_b64 exec, exec, s[14:15]
.LBB923_87:
	s_or_b64 exec, exec, s[12:13]
	v_add_u32_e32 v25, v29, v27
	v_add_u32_e32 v24, v32, v26
	v_sub_u32_e32 v26, v25, v32
	v_cmp_le_u32_e64 s[8:9], v24, v29
	v_cmp_le_u32_e64 s[12:13], v26, v31
	s_or_b64 s[8:9], s[8:9], s[12:13]
	s_and_saveexec_b64 s[24:25], s[8:9]
	s_cbranch_execz .LBB923_93
; %bb.88:
	v_cmp_lt_u32_e64 s[8:9], v24, v29
                                        ; implicit-def: $vgpr25
	s_and_saveexec_b64 s[14:15], s[8:9]
	s_cbranch_execz .LBB923_90
; %bb.89:
	v_mov_b32_e32 v25, 0
	v_lshlrev_b64 v[14:15], 1, v[24:25]
	v_add_co_u32_e64 v14, s[12:13], v4, v14
	v_addc_co_u32_e64 v15, s[12:13], v5, v15, s[12:13]
	flat_load_ushort v25, v[14:15]
.LBB923_90:
	s_or_b64 exec, exec, s[14:15]
	v_cmp_ge_u32_e64 s[12:13], v26, v31
	v_cmp_lt_u32_e64 s[14:15], v26, v31
                                        ; implicit-def: $vgpr27
	s_and_saveexec_b64 s[16:17], s[14:15]
	s_cbranch_execz .LBB923_92
; %bb.91:
	v_mov_b32_e32 v27, 0
	v_lshlrev_b64 v[14:15], 1, v[26:27]
	v_add_co_u32_e64 v14, s[14:15], v4, v14
	v_addc_co_u32_e64 v15, s[14:15], v5, v15, s[14:15]
	flat_load_ushort v27, v[14:15]
.LBB923_92:
	s_or_b64 exec, exec, s[16:17]
	s_waitcnt vmcnt(0) lgkmcnt(0)
	v_cmp_le_i16_e64 s[14:15], v27, v25
	s_and_b64 s[8:9], s[8:9], s[14:15]
	s_or_b64 s[8:9], s[12:13], s[8:9]
	v_cndmask_b32_e64 v20, v26, v24, s[8:9]
	v_cndmask_b32_e64 v16, v31, v29, s[8:9]
	v_mov_b32_e32 v21, 0
	v_add_u32_e32 v18, 1, v20
	v_add_u32_e32 v16, -1, v16
	v_lshlrev_b64 v[14:15], 3, v[20:21]
	v_min_u32_e32 v20, v18, v16
	v_lshlrev_b64 v[16:17], 1, v[20:21]
	v_add_co_u32_e64 v16, s[12:13], v4, v16
	v_addc_co_u32_e64 v17, s[12:13], v5, v17, s[12:13]
	flat_load_ushort v16, v[16:17]
	v_cndmask_b32_e64 v24, v24, v18, s[8:9]
	v_cndmask_b32_e64 v26, v18, v26, s[8:9]
	v_cmp_lt_u32_e64 s[14:15], v24, v29
	v_cmp_ge_u32_e64 s[12:13], v26, v31
	v_cndmask_b32_e64 v87, v27, v25, s[8:9]
	s_waitcnt vmcnt(0) lgkmcnt(0)
	v_cndmask_b32_e64 v34, v16, v27, s[8:9]
	v_cndmask_b32_e64 v35, v25, v16, s[8:9]
	v_cmp_le_i16_e64 s[16:17], v34, v35
	s_and_b64 s[14:15], s[14:15], s[16:17]
	s_or_b64 s[12:13], s[12:13], s[14:15]
	v_cndmask_b32_e64 v20, v26, v24, s[12:13]
	v_cndmask_b32_e64 v18, v31, v29, s[12:13]
	v_add_u32_e32 v32, 1, v20
	v_add_u32_e32 v18, -1, v18
	v_lshlrev_b64 v[16:17], 3, v[20:21]
	v_min_u32_e32 v20, v32, v18
	v_lshlrev_b64 v[18:19], 1, v[20:21]
	v_add_co_u32_e64 v18, s[14:15], v4, v18
	v_addc_co_u32_e64 v19, s[14:15], v5, v19, s[14:15]
	flat_load_ushort v18, v[18:19]
	v_cndmask_b32_e64 v24, v24, v32, s[12:13]
	v_cndmask_b32_e64 v26, v32, v26, s[12:13]
	v_cmp_lt_u32_e64 s[16:17], v24, v29
	v_cmp_ge_u32_e64 s[14:15], v26, v31
	v_cndmask_b32_e64 v85, v34, v35, s[12:13]
	s_waitcnt vmcnt(0) lgkmcnt(0)
	v_cndmask_b32_e64 v36, v18, v34, s[12:13]
	v_cndmask_b32_e64 v37, v35, v18, s[12:13]
	v_cmp_le_i16_e64 s[18:19], v36, v37
	s_and_b64 s[16:17], s[16:17], s[18:19]
	s_or_b64 s[14:15], s[14:15], s[16:17]
	v_cndmask_b32_e64 v20, v26, v24, s[14:15]
	v_cndmask_b32_e64 v32, v31, v29, s[14:15]
	v_lshlrev_b64 v[18:19], 3, v[20:21]
	v_add_u32_e32 v38, 1, v20
	v_add_u32_e32 v20, -1, v32
	v_min_u32_e32 v20, v38, v20
	v_lshlrev_b64 v[32:33], 1, v[20:21]
	v_add_co_u32_e64 v32, s[16:17], v4, v32
	v_addc_co_u32_e64 v33, s[16:17], v5, v33, s[16:17]
	flat_load_ushort v20, v[32:33]
	v_add_co_u32_e64 v14, s[16:17], v0, v14
	v_addc_co_u32_e64 v15, s[16:17], v1, v15, s[16:17]
	v_add_co_u32_e64 v16, s[16:17], v0, v16
	v_addc_co_u32_e64 v17, s[16:17], v1, v17, s[16:17]
	;; [unrolled: 2-line block ×3, first 2 shown]
	v_cndmask_b32_e64 v26, v38, v26, s[14:15]
	v_cndmask_b32_e64 v24, v24, v38, s[14:15]
	v_cmp_ge_u32_e64 s[16:17], v26, v31
	v_cmp_lt_u32_e64 s[18:19], v24, v29
	flat_load_dwordx2 v[14:15], v[14:15] offset:2048
	v_cndmask_b32_e64 v48, v36, v37, s[14:15]
	flat_load_dwordx2 v[16:17], v[16:17] offset:2048
	s_waitcnt vmcnt(0) lgkmcnt(0)
	v_cndmask_b32_e64 v29, v20, v36, s[14:15]
	flat_load_dwordx2 v[18:19], v[18:19] offset:2048
	v_cndmask_b32_e64 v31, v37, v20, s[14:15]
	v_cmp_le_i16_e64 s[20:21], v29, v31
	s_and_b64 s[18:19], s[18:19], s[20:21]
	s_or_b64 s[16:17], s[16:17], s[18:19]
	v_cndmask_b32_e64 v20, v26, v24, s[16:17]
	v_lshlrev_b64 v[20:21], 3, v[20:21]
	v_add_co_u32_e64 v20, s[18:19], v0, v20
	v_addc_co_u32_e64 v21, s[18:19], v1, v21, s[18:19]
	flat_load_dwordx2 v[20:21], v[20:21] offset:2048
	v_cndmask_b32_e64 v86, v29, v31, s[16:17]
.LBB923_93:
	s_or_b64 exec, exec, s[24:25]
	s_mov_b32 s8, 0x5040100
	v_perm_b32 v25, v86, v48, s8
	v_perm_b32 v24, v85, v87, s8
	v_and_b32_e32 v26, 0x1f0, v83
	; wave barrier
	flat_store_dwordx4 v[22:23], v[14:17] offset:2048
	flat_store_dwordx2 v[10:11], v[24:25]
	s_waitcnt vmcnt(0) lgkmcnt(0)
	flat_store_dwordx4 v[12:13], v[18:21] offset:16
	v_or_b32_e32 v24, 8, v26
	v_min_u32_e32 v29, v28, v24
	v_add_u32_e32 v24, 8, v29
	v_min_u32_e32 v31, v28, v24
	v_and_b32_e32 v24, 12, v83
	v_min_u32_e32 v27, v28, v24
	v_sub_u32_e32 v24, v29, v26
	v_sub_u32_e32 v25, v31, v29
	v_sub_u32_e64 v32, v27, v25 clamp
	v_min_u32_e32 v33, v27, v24
	v_cmp_lt_u32_e64 s[8:9], v32, v33
	; wave barrier
	s_and_saveexec_b64 s[12:13], s[8:9]
	s_cbranch_execz .LBB923_97
; %bb.94:
	v_lshlrev_b32_e32 v24, 1, v26
	v_add_co_u32_e64 v34, s[8:9], v4, v24
	v_addc_co_u32_e64 v35, s[8:9], 0, v5, s[8:9]
	v_lshlrev_b32_e32 v24, 1, v29
	v_add_co_u32_e64 v36, s[8:9], v4, v24
	v_addc_co_u32_e64 v37, s[8:9], 0, v5, s[8:9]
	s_mov_b64 s[14:15], 0
	v_mov_b32_e32 v25, 0
.LBB923_95:                             ; =>This Inner Loop Header: Depth=1
	v_add_u32_e32 v24, v33, v32
	v_and_b32_e32 v38, -2, v24
	v_lshrrev_b32_e32 v49, 1, v24
	v_add_co_u32_e64 v38, s[8:9], v34, v38
	v_xad_u32 v24, v49, -1, v27
	v_addc_co_u32_e64 v39, s[8:9], 0, v35, s[8:9]
	flat_load_ushort v50, v[38:39]
	v_lshlrev_b64 v[38:39], 1, v[24:25]
	v_add_co_u32_e64 v38, s[8:9], v36, v38
	v_addc_co_u32_e64 v39, s[8:9], v37, v39, s[8:9]
	flat_load_ushort v24, v[38:39]
	v_add_u32_e32 v38, 1, v49
	s_waitcnt vmcnt(0) lgkmcnt(0)
	v_cmp_gt_i16_e64 s[8:9], v24, v50
	v_cndmask_b32_e64 v33, v33, v49, s[8:9]
	v_cndmask_b32_e64 v32, v38, v32, s[8:9]
	v_cmp_ge_u32_e64 s[8:9], v32, v33
	s_or_b64 s[14:15], s[8:9], s[14:15]
	s_andn2_b64 exec, exec, s[14:15]
	s_cbranch_execnz .LBB923_95
; %bb.96:
	s_or_b64 exec, exec, s[14:15]
.LBB923_97:
	s_or_b64 exec, exec, s[12:13]
	v_add_u32_e32 v25, v29, v27
	v_add_u32_e32 v24, v32, v26
	v_sub_u32_e32 v26, v25, v32
	v_cmp_le_u32_e64 s[8:9], v24, v29
	v_cmp_le_u32_e64 s[12:13], v26, v31
	s_or_b64 s[8:9], s[8:9], s[12:13]
	s_and_saveexec_b64 s[24:25], s[8:9]
	s_cbranch_execz .LBB923_103
; %bb.98:
	v_cmp_lt_u32_e64 s[8:9], v24, v29
                                        ; implicit-def: $vgpr25
	s_and_saveexec_b64 s[14:15], s[8:9]
	s_cbranch_execz .LBB923_100
; %bb.99:
	v_mov_b32_e32 v25, 0
	v_lshlrev_b64 v[14:15], 1, v[24:25]
	v_add_co_u32_e64 v14, s[12:13], v4, v14
	v_addc_co_u32_e64 v15, s[12:13], v5, v15, s[12:13]
	flat_load_ushort v25, v[14:15]
.LBB923_100:
	s_or_b64 exec, exec, s[14:15]
	v_cmp_ge_u32_e64 s[12:13], v26, v31
	v_cmp_lt_u32_e64 s[14:15], v26, v31
                                        ; implicit-def: $vgpr27
	s_and_saveexec_b64 s[16:17], s[14:15]
	s_cbranch_execz .LBB923_102
; %bb.101:
	v_mov_b32_e32 v27, 0
	v_lshlrev_b64 v[14:15], 1, v[26:27]
	v_add_co_u32_e64 v14, s[14:15], v4, v14
	v_addc_co_u32_e64 v15, s[14:15], v5, v15, s[14:15]
	flat_load_ushort v27, v[14:15]
.LBB923_102:
	s_or_b64 exec, exec, s[16:17]
	s_waitcnt vmcnt(0) lgkmcnt(0)
	v_cmp_le_i16_e64 s[14:15], v27, v25
	s_and_b64 s[8:9], s[8:9], s[14:15]
	s_or_b64 s[8:9], s[12:13], s[8:9]
	v_cndmask_b32_e64 v20, v26, v24, s[8:9]
	v_cndmask_b32_e64 v16, v31, v29, s[8:9]
	v_mov_b32_e32 v21, 0
	v_add_u32_e32 v18, 1, v20
	v_add_u32_e32 v16, -1, v16
	v_lshlrev_b64 v[14:15], 3, v[20:21]
	v_min_u32_e32 v20, v18, v16
	v_lshlrev_b64 v[16:17], 1, v[20:21]
	v_add_co_u32_e64 v16, s[12:13], v4, v16
	v_addc_co_u32_e64 v17, s[12:13], v5, v17, s[12:13]
	flat_load_ushort v16, v[16:17]
	v_cndmask_b32_e64 v24, v24, v18, s[8:9]
	v_cndmask_b32_e64 v26, v18, v26, s[8:9]
	v_cmp_lt_u32_e64 s[14:15], v24, v29
	v_cmp_ge_u32_e64 s[12:13], v26, v31
	v_cndmask_b32_e64 v87, v27, v25, s[8:9]
	s_waitcnt vmcnt(0) lgkmcnt(0)
	v_cndmask_b32_e64 v34, v16, v27, s[8:9]
	v_cndmask_b32_e64 v35, v25, v16, s[8:9]
	v_cmp_le_i16_e64 s[16:17], v34, v35
	s_and_b64 s[14:15], s[14:15], s[16:17]
	s_or_b64 s[12:13], s[12:13], s[14:15]
	v_cndmask_b32_e64 v20, v26, v24, s[12:13]
	v_cndmask_b32_e64 v18, v31, v29, s[12:13]
	v_add_u32_e32 v32, 1, v20
	v_add_u32_e32 v18, -1, v18
	v_lshlrev_b64 v[16:17], 3, v[20:21]
	v_min_u32_e32 v20, v32, v18
	v_lshlrev_b64 v[18:19], 1, v[20:21]
	v_add_co_u32_e64 v18, s[14:15], v4, v18
	v_addc_co_u32_e64 v19, s[14:15], v5, v19, s[14:15]
	flat_load_ushort v18, v[18:19]
	v_cndmask_b32_e64 v24, v24, v32, s[12:13]
	v_cndmask_b32_e64 v26, v32, v26, s[12:13]
	v_cmp_lt_u32_e64 s[16:17], v24, v29
	v_cmp_ge_u32_e64 s[14:15], v26, v31
	v_cndmask_b32_e64 v85, v34, v35, s[12:13]
	s_waitcnt vmcnt(0) lgkmcnt(0)
	v_cndmask_b32_e64 v36, v18, v34, s[12:13]
	v_cndmask_b32_e64 v37, v35, v18, s[12:13]
	v_cmp_le_i16_e64 s[18:19], v36, v37
	s_and_b64 s[16:17], s[16:17], s[18:19]
	s_or_b64 s[14:15], s[14:15], s[16:17]
	v_cndmask_b32_e64 v20, v26, v24, s[14:15]
	v_cndmask_b32_e64 v32, v31, v29, s[14:15]
	v_lshlrev_b64 v[18:19], 3, v[20:21]
	v_add_u32_e32 v38, 1, v20
	v_add_u32_e32 v20, -1, v32
	v_min_u32_e32 v20, v38, v20
	v_lshlrev_b64 v[32:33], 1, v[20:21]
	v_add_co_u32_e64 v32, s[16:17], v4, v32
	v_addc_co_u32_e64 v33, s[16:17], v5, v33, s[16:17]
	flat_load_ushort v20, v[32:33]
	v_add_co_u32_e64 v14, s[16:17], v0, v14
	v_addc_co_u32_e64 v15, s[16:17], v1, v15, s[16:17]
	v_add_co_u32_e64 v16, s[16:17], v0, v16
	v_addc_co_u32_e64 v17, s[16:17], v1, v17, s[16:17]
	;; [unrolled: 2-line block ×3, first 2 shown]
	v_cndmask_b32_e64 v26, v38, v26, s[14:15]
	v_cndmask_b32_e64 v24, v24, v38, s[14:15]
	v_cmp_ge_u32_e64 s[16:17], v26, v31
	v_cmp_lt_u32_e64 s[18:19], v24, v29
	flat_load_dwordx2 v[14:15], v[14:15] offset:2048
	v_cndmask_b32_e64 v48, v36, v37, s[14:15]
	flat_load_dwordx2 v[16:17], v[16:17] offset:2048
	s_waitcnt vmcnt(0) lgkmcnt(0)
	v_cndmask_b32_e64 v29, v20, v36, s[14:15]
	flat_load_dwordx2 v[18:19], v[18:19] offset:2048
	v_cndmask_b32_e64 v31, v37, v20, s[14:15]
	v_cmp_le_i16_e64 s[20:21], v29, v31
	s_and_b64 s[18:19], s[18:19], s[20:21]
	s_or_b64 s[16:17], s[16:17], s[18:19]
	v_cndmask_b32_e64 v20, v26, v24, s[16:17]
	v_lshlrev_b64 v[20:21], 3, v[20:21]
	v_add_co_u32_e64 v20, s[18:19], v0, v20
	v_addc_co_u32_e64 v21, s[18:19], v1, v21, s[18:19]
	flat_load_dwordx2 v[20:21], v[20:21] offset:2048
	v_cndmask_b32_e64 v86, v29, v31, s[16:17]
.LBB923_103:
	s_or_b64 exec, exec, s[24:25]
	s_mov_b32 s8, 0x5040100
	v_perm_b32 v25, v86, v48, s8
	v_perm_b32 v24, v85, v87, s8
	v_and_b32_e32 v26, 0x1e0, v83
	; wave barrier
	flat_store_dwordx4 v[22:23], v[14:17] offset:2048
	flat_store_dwordx2 v[10:11], v[24:25]
	s_waitcnt vmcnt(0) lgkmcnt(0)
	flat_store_dwordx4 v[12:13], v[18:21] offset:16
	v_or_b32_e32 v24, 16, v26
	v_min_u32_e32 v29, v28, v24
	v_add_u32_e32 v24, 16, v29
	v_min_u32_e32 v31, v28, v24
	v_and_b32_e32 v24, 28, v83
	v_min_u32_e32 v27, v28, v24
	v_sub_u32_e32 v24, v29, v26
	v_sub_u32_e32 v25, v31, v29
	v_sub_u32_e64 v32, v27, v25 clamp
	v_min_u32_e32 v33, v27, v24
	v_cmp_lt_u32_e64 s[8:9], v32, v33
	; wave barrier
	s_and_saveexec_b64 s[12:13], s[8:9]
	s_cbranch_execz .LBB923_107
; %bb.104:
	v_lshlrev_b32_e32 v24, 1, v26
	v_add_co_u32_e64 v34, s[8:9], v4, v24
	v_addc_co_u32_e64 v35, s[8:9], 0, v5, s[8:9]
	v_lshlrev_b32_e32 v24, 1, v29
	v_add_co_u32_e64 v36, s[8:9], v4, v24
	v_addc_co_u32_e64 v37, s[8:9], 0, v5, s[8:9]
	s_mov_b64 s[14:15], 0
	v_mov_b32_e32 v25, 0
.LBB923_105:                            ; =>This Inner Loop Header: Depth=1
	v_add_u32_e32 v24, v33, v32
	v_and_b32_e32 v38, -2, v24
	v_lshrrev_b32_e32 v49, 1, v24
	v_add_co_u32_e64 v38, s[8:9], v34, v38
	v_xad_u32 v24, v49, -1, v27
	v_addc_co_u32_e64 v39, s[8:9], 0, v35, s[8:9]
	flat_load_ushort v50, v[38:39]
	v_lshlrev_b64 v[38:39], 1, v[24:25]
	v_add_co_u32_e64 v38, s[8:9], v36, v38
	v_addc_co_u32_e64 v39, s[8:9], v37, v39, s[8:9]
	flat_load_ushort v24, v[38:39]
	v_add_u32_e32 v38, 1, v49
	s_waitcnt vmcnt(0) lgkmcnt(0)
	v_cmp_gt_i16_e64 s[8:9], v24, v50
	v_cndmask_b32_e64 v33, v33, v49, s[8:9]
	v_cndmask_b32_e64 v32, v38, v32, s[8:9]
	v_cmp_ge_u32_e64 s[8:9], v32, v33
	s_or_b64 s[14:15], s[8:9], s[14:15]
	s_andn2_b64 exec, exec, s[14:15]
	s_cbranch_execnz .LBB923_105
; %bb.106:
	s_or_b64 exec, exec, s[14:15]
.LBB923_107:
	s_or_b64 exec, exec, s[12:13]
	v_add_u32_e32 v25, v29, v27
	v_add_u32_e32 v24, v32, v26
	v_sub_u32_e32 v26, v25, v32
	v_cmp_le_u32_e64 s[8:9], v24, v29
	v_cmp_le_u32_e64 s[12:13], v26, v31
	s_or_b64 s[8:9], s[8:9], s[12:13]
	s_and_saveexec_b64 s[24:25], s[8:9]
	s_cbranch_execz .LBB923_113
; %bb.108:
	v_cmp_lt_u32_e64 s[8:9], v24, v29
                                        ; implicit-def: $vgpr25
	s_and_saveexec_b64 s[14:15], s[8:9]
	s_cbranch_execz .LBB923_110
; %bb.109:
	v_mov_b32_e32 v25, 0
	v_lshlrev_b64 v[14:15], 1, v[24:25]
	v_add_co_u32_e64 v14, s[12:13], v4, v14
	v_addc_co_u32_e64 v15, s[12:13], v5, v15, s[12:13]
	flat_load_ushort v25, v[14:15]
.LBB923_110:
	s_or_b64 exec, exec, s[14:15]
	v_cmp_ge_u32_e64 s[12:13], v26, v31
	v_cmp_lt_u32_e64 s[14:15], v26, v31
                                        ; implicit-def: $vgpr27
	s_and_saveexec_b64 s[16:17], s[14:15]
	s_cbranch_execz .LBB923_112
; %bb.111:
	v_mov_b32_e32 v27, 0
	v_lshlrev_b64 v[14:15], 1, v[26:27]
	v_add_co_u32_e64 v14, s[14:15], v4, v14
	v_addc_co_u32_e64 v15, s[14:15], v5, v15, s[14:15]
	flat_load_ushort v27, v[14:15]
.LBB923_112:
	s_or_b64 exec, exec, s[16:17]
	s_waitcnt vmcnt(0) lgkmcnt(0)
	v_cmp_le_i16_e64 s[14:15], v27, v25
	s_and_b64 s[8:9], s[8:9], s[14:15]
	s_or_b64 s[8:9], s[12:13], s[8:9]
	v_cndmask_b32_e64 v20, v26, v24, s[8:9]
	v_cndmask_b32_e64 v16, v31, v29, s[8:9]
	v_mov_b32_e32 v21, 0
	v_add_u32_e32 v18, 1, v20
	v_add_u32_e32 v16, -1, v16
	v_lshlrev_b64 v[14:15], 3, v[20:21]
	v_min_u32_e32 v20, v18, v16
	v_lshlrev_b64 v[16:17], 1, v[20:21]
	v_add_co_u32_e64 v16, s[12:13], v4, v16
	v_addc_co_u32_e64 v17, s[12:13], v5, v17, s[12:13]
	flat_load_ushort v16, v[16:17]
	v_cndmask_b32_e64 v24, v24, v18, s[8:9]
	v_cndmask_b32_e64 v26, v18, v26, s[8:9]
	v_cmp_lt_u32_e64 s[14:15], v24, v29
	v_cmp_ge_u32_e64 s[12:13], v26, v31
	v_cndmask_b32_e64 v87, v27, v25, s[8:9]
	s_waitcnt vmcnt(0) lgkmcnt(0)
	v_cndmask_b32_e64 v34, v16, v27, s[8:9]
	v_cndmask_b32_e64 v35, v25, v16, s[8:9]
	v_cmp_le_i16_e64 s[16:17], v34, v35
	s_and_b64 s[14:15], s[14:15], s[16:17]
	s_or_b64 s[12:13], s[12:13], s[14:15]
	v_cndmask_b32_e64 v20, v26, v24, s[12:13]
	v_cndmask_b32_e64 v18, v31, v29, s[12:13]
	v_add_u32_e32 v32, 1, v20
	v_add_u32_e32 v18, -1, v18
	v_lshlrev_b64 v[16:17], 3, v[20:21]
	v_min_u32_e32 v20, v32, v18
	v_lshlrev_b64 v[18:19], 1, v[20:21]
	v_add_co_u32_e64 v18, s[14:15], v4, v18
	v_addc_co_u32_e64 v19, s[14:15], v5, v19, s[14:15]
	flat_load_ushort v18, v[18:19]
	v_cndmask_b32_e64 v24, v24, v32, s[12:13]
	v_cndmask_b32_e64 v26, v32, v26, s[12:13]
	v_cmp_lt_u32_e64 s[16:17], v24, v29
	v_cmp_ge_u32_e64 s[14:15], v26, v31
	v_cndmask_b32_e64 v85, v34, v35, s[12:13]
	s_waitcnt vmcnt(0) lgkmcnt(0)
	v_cndmask_b32_e64 v36, v18, v34, s[12:13]
	v_cndmask_b32_e64 v37, v35, v18, s[12:13]
	v_cmp_le_i16_e64 s[18:19], v36, v37
	s_and_b64 s[16:17], s[16:17], s[18:19]
	s_or_b64 s[14:15], s[14:15], s[16:17]
	v_cndmask_b32_e64 v20, v26, v24, s[14:15]
	v_cndmask_b32_e64 v32, v31, v29, s[14:15]
	v_lshlrev_b64 v[18:19], 3, v[20:21]
	v_add_u32_e32 v38, 1, v20
	v_add_u32_e32 v20, -1, v32
	v_min_u32_e32 v20, v38, v20
	v_lshlrev_b64 v[32:33], 1, v[20:21]
	v_add_co_u32_e64 v32, s[16:17], v4, v32
	v_addc_co_u32_e64 v33, s[16:17], v5, v33, s[16:17]
	flat_load_ushort v20, v[32:33]
	v_add_co_u32_e64 v14, s[16:17], v0, v14
	v_addc_co_u32_e64 v15, s[16:17], v1, v15, s[16:17]
	v_add_co_u32_e64 v16, s[16:17], v0, v16
	v_addc_co_u32_e64 v17, s[16:17], v1, v17, s[16:17]
	;; [unrolled: 2-line block ×3, first 2 shown]
	v_cndmask_b32_e64 v26, v38, v26, s[14:15]
	v_cndmask_b32_e64 v24, v24, v38, s[14:15]
	v_cmp_ge_u32_e64 s[16:17], v26, v31
	v_cmp_lt_u32_e64 s[18:19], v24, v29
	flat_load_dwordx2 v[14:15], v[14:15] offset:2048
	v_cndmask_b32_e64 v48, v36, v37, s[14:15]
	flat_load_dwordx2 v[16:17], v[16:17] offset:2048
	s_waitcnt vmcnt(0) lgkmcnt(0)
	v_cndmask_b32_e64 v29, v20, v36, s[14:15]
	flat_load_dwordx2 v[18:19], v[18:19] offset:2048
	v_cndmask_b32_e64 v31, v37, v20, s[14:15]
	v_cmp_le_i16_e64 s[20:21], v29, v31
	s_and_b64 s[18:19], s[18:19], s[20:21]
	s_or_b64 s[16:17], s[16:17], s[18:19]
	v_cndmask_b32_e64 v20, v26, v24, s[16:17]
	v_lshlrev_b64 v[20:21], 3, v[20:21]
	v_add_co_u32_e64 v20, s[18:19], v0, v20
	v_addc_co_u32_e64 v21, s[18:19], v1, v21, s[18:19]
	flat_load_dwordx2 v[20:21], v[20:21] offset:2048
	v_cndmask_b32_e64 v86, v29, v31, s[16:17]
.LBB923_113:
	s_or_b64 exec, exec, s[24:25]
	s_mov_b32 s8, 0x5040100
	v_perm_b32 v25, v86, v48, s8
	v_perm_b32 v24, v85, v87, s8
	v_and_b32_e32 v26, 0x1c0, v83
	; wave barrier
	flat_store_dwordx4 v[22:23], v[14:17] offset:2048
	flat_store_dwordx2 v[10:11], v[24:25]
	s_waitcnt vmcnt(0) lgkmcnt(0)
	flat_store_dwordx4 v[12:13], v[18:21] offset:16
	v_or_b32_e32 v24, 32, v26
	v_min_u32_e32 v29, v28, v24
	v_add_u32_e32 v24, 32, v29
	v_min_u32_e32 v31, v28, v24
	v_and_b32_e32 v24, 60, v83
	v_min_u32_e32 v27, v28, v24
	v_sub_u32_e32 v24, v29, v26
	v_sub_u32_e32 v25, v31, v29
	v_sub_u32_e64 v32, v27, v25 clamp
	v_min_u32_e32 v33, v27, v24
	v_cmp_lt_u32_e64 s[8:9], v32, v33
	; wave barrier
	s_and_saveexec_b64 s[12:13], s[8:9]
	s_cbranch_execz .LBB923_117
; %bb.114:
	v_lshlrev_b32_e32 v24, 1, v26
	v_add_co_u32_e64 v34, s[8:9], v4, v24
	v_addc_co_u32_e64 v35, s[8:9], 0, v5, s[8:9]
	v_lshlrev_b32_e32 v24, 1, v29
	v_add_co_u32_e64 v36, s[8:9], v4, v24
	v_addc_co_u32_e64 v37, s[8:9], 0, v5, s[8:9]
	s_mov_b64 s[14:15], 0
	v_mov_b32_e32 v25, 0
.LBB923_115:                            ; =>This Inner Loop Header: Depth=1
	v_add_u32_e32 v24, v33, v32
	v_and_b32_e32 v38, -2, v24
	v_lshrrev_b32_e32 v49, 1, v24
	v_add_co_u32_e64 v38, s[8:9], v34, v38
	v_xad_u32 v24, v49, -1, v27
	v_addc_co_u32_e64 v39, s[8:9], 0, v35, s[8:9]
	flat_load_ushort v50, v[38:39]
	v_lshlrev_b64 v[38:39], 1, v[24:25]
	v_add_co_u32_e64 v38, s[8:9], v36, v38
	v_addc_co_u32_e64 v39, s[8:9], v37, v39, s[8:9]
	flat_load_ushort v24, v[38:39]
	v_add_u32_e32 v38, 1, v49
	s_waitcnt vmcnt(0) lgkmcnt(0)
	v_cmp_gt_i16_e64 s[8:9], v24, v50
	v_cndmask_b32_e64 v33, v33, v49, s[8:9]
	v_cndmask_b32_e64 v32, v38, v32, s[8:9]
	v_cmp_ge_u32_e64 s[8:9], v32, v33
	s_or_b64 s[14:15], s[8:9], s[14:15]
	s_andn2_b64 exec, exec, s[14:15]
	s_cbranch_execnz .LBB923_115
; %bb.116:
	s_or_b64 exec, exec, s[14:15]
.LBB923_117:
	s_or_b64 exec, exec, s[12:13]
	v_add_u32_e32 v25, v29, v27
	v_add_u32_e32 v24, v32, v26
	v_sub_u32_e32 v26, v25, v32
	v_cmp_le_u32_e64 s[8:9], v24, v29
	v_cmp_le_u32_e64 s[12:13], v26, v31
	s_or_b64 s[8:9], s[8:9], s[12:13]
	s_and_saveexec_b64 s[24:25], s[8:9]
	s_cbranch_execz .LBB923_123
; %bb.118:
	v_cmp_lt_u32_e64 s[8:9], v24, v29
                                        ; implicit-def: $vgpr25
	s_and_saveexec_b64 s[14:15], s[8:9]
	s_cbranch_execz .LBB923_120
; %bb.119:
	v_mov_b32_e32 v25, 0
	v_lshlrev_b64 v[14:15], 1, v[24:25]
	v_add_co_u32_e64 v14, s[12:13], v4, v14
	v_addc_co_u32_e64 v15, s[12:13], v5, v15, s[12:13]
	flat_load_ushort v25, v[14:15]
.LBB923_120:
	s_or_b64 exec, exec, s[14:15]
	v_cmp_ge_u32_e64 s[12:13], v26, v31
	v_cmp_lt_u32_e64 s[14:15], v26, v31
                                        ; implicit-def: $vgpr27
	s_and_saveexec_b64 s[16:17], s[14:15]
	s_cbranch_execz .LBB923_122
; %bb.121:
	v_mov_b32_e32 v27, 0
	v_lshlrev_b64 v[14:15], 1, v[26:27]
	v_add_co_u32_e64 v14, s[14:15], v4, v14
	v_addc_co_u32_e64 v15, s[14:15], v5, v15, s[14:15]
	flat_load_ushort v27, v[14:15]
.LBB923_122:
	s_or_b64 exec, exec, s[16:17]
	s_waitcnt vmcnt(0) lgkmcnt(0)
	v_cmp_le_i16_e64 s[14:15], v27, v25
	s_and_b64 s[8:9], s[8:9], s[14:15]
	s_or_b64 s[8:9], s[12:13], s[8:9]
	v_cndmask_b32_e64 v20, v26, v24, s[8:9]
	v_cndmask_b32_e64 v16, v31, v29, s[8:9]
	v_mov_b32_e32 v21, 0
	v_add_u32_e32 v18, 1, v20
	v_add_u32_e32 v16, -1, v16
	v_lshlrev_b64 v[14:15], 3, v[20:21]
	v_min_u32_e32 v20, v18, v16
	v_lshlrev_b64 v[16:17], 1, v[20:21]
	v_add_co_u32_e64 v16, s[12:13], v4, v16
	v_addc_co_u32_e64 v17, s[12:13], v5, v17, s[12:13]
	flat_load_ushort v16, v[16:17]
	v_cndmask_b32_e64 v24, v24, v18, s[8:9]
	v_cndmask_b32_e64 v26, v18, v26, s[8:9]
	v_cmp_lt_u32_e64 s[14:15], v24, v29
	v_cmp_ge_u32_e64 s[12:13], v26, v31
	v_cndmask_b32_e64 v87, v27, v25, s[8:9]
	s_waitcnt vmcnt(0) lgkmcnt(0)
	v_cndmask_b32_e64 v34, v16, v27, s[8:9]
	v_cndmask_b32_e64 v35, v25, v16, s[8:9]
	v_cmp_le_i16_e64 s[16:17], v34, v35
	s_and_b64 s[14:15], s[14:15], s[16:17]
	s_or_b64 s[12:13], s[12:13], s[14:15]
	v_cndmask_b32_e64 v20, v26, v24, s[12:13]
	v_cndmask_b32_e64 v18, v31, v29, s[12:13]
	v_add_u32_e32 v32, 1, v20
	v_add_u32_e32 v18, -1, v18
	v_lshlrev_b64 v[16:17], 3, v[20:21]
	v_min_u32_e32 v20, v32, v18
	v_lshlrev_b64 v[18:19], 1, v[20:21]
	v_add_co_u32_e64 v18, s[14:15], v4, v18
	v_addc_co_u32_e64 v19, s[14:15], v5, v19, s[14:15]
	flat_load_ushort v18, v[18:19]
	v_cndmask_b32_e64 v24, v24, v32, s[12:13]
	v_cndmask_b32_e64 v26, v32, v26, s[12:13]
	v_cmp_lt_u32_e64 s[16:17], v24, v29
	v_cmp_ge_u32_e64 s[14:15], v26, v31
	v_cndmask_b32_e64 v85, v34, v35, s[12:13]
	s_waitcnt vmcnt(0) lgkmcnt(0)
	v_cndmask_b32_e64 v36, v18, v34, s[12:13]
	v_cndmask_b32_e64 v37, v35, v18, s[12:13]
	v_cmp_le_i16_e64 s[18:19], v36, v37
	s_and_b64 s[16:17], s[16:17], s[18:19]
	s_or_b64 s[14:15], s[14:15], s[16:17]
	v_cndmask_b32_e64 v20, v26, v24, s[14:15]
	v_cndmask_b32_e64 v32, v31, v29, s[14:15]
	v_lshlrev_b64 v[18:19], 3, v[20:21]
	v_add_u32_e32 v38, 1, v20
	v_add_u32_e32 v20, -1, v32
	v_min_u32_e32 v20, v38, v20
	v_lshlrev_b64 v[32:33], 1, v[20:21]
	v_add_co_u32_e64 v32, s[16:17], v4, v32
	v_addc_co_u32_e64 v33, s[16:17], v5, v33, s[16:17]
	flat_load_ushort v20, v[32:33]
	v_add_co_u32_e64 v14, s[16:17], v0, v14
	v_addc_co_u32_e64 v15, s[16:17], v1, v15, s[16:17]
	v_add_co_u32_e64 v16, s[16:17], v0, v16
	v_addc_co_u32_e64 v17, s[16:17], v1, v17, s[16:17]
	;; [unrolled: 2-line block ×3, first 2 shown]
	v_cndmask_b32_e64 v26, v38, v26, s[14:15]
	v_cndmask_b32_e64 v24, v24, v38, s[14:15]
	v_cmp_ge_u32_e64 s[16:17], v26, v31
	v_cmp_lt_u32_e64 s[18:19], v24, v29
	flat_load_dwordx2 v[14:15], v[14:15] offset:2048
	v_cndmask_b32_e64 v48, v36, v37, s[14:15]
	flat_load_dwordx2 v[16:17], v[16:17] offset:2048
	s_waitcnt vmcnt(0) lgkmcnt(0)
	v_cndmask_b32_e64 v29, v20, v36, s[14:15]
	flat_load_dwordx2 v[18:19], v[18:19] offset:2048
	v_cndmask_b32_e64 v31, v37, v20, s[14:15]
	v_cmp_le_i16_e64 s[20:21], v29, v31
	s_and_b64 s[18:19], s[18:19], s[20:21]
	s_or_b64 s[16:17], s[16:17], s[18:19]
	v_cndmask_b32_e64 v20, v26, v24, s[16:17]
	v_lshlrev_b64 v[20:21], 3, v[20:21]
	v_add_co_u32_e64 v20, s[18:19], v0, v20
	v_addc_co_u32_e64 v21, s[18:19], v1, v21, s[18:19]
	flat_load_dwordx2 v[20:21], v[20:21] offset:2048
	v_cndmask_b32_e64 v86, v29, v31, s[16:17]
.LBB923_123:
	s_or_b64 exec, exec, s[24:25]
	s_mov_b32 s8, 0x5040100
	; wave barrier
	flat_store_dwordx4 v[22:23], v[14:17] offset:2048
	v_perm_b32 v23, v86, v48, s8
	v_perm_b32 v22, v85, v87, s8
	flat_store_dwordx2 v[10:11], v[22:23]
	s_waitcnt vmcnt(0) lgkmcnt(0)
	flat_store_dwordx4 v[12:13], v[18:21] offset:16
	v_and_b32_e32 v12, 0x180, v83
	v_or_b32_e32 v10, 64, v12
	v_min_u32_e32 v22, v28, v10
	v_add_u32_e32 v10, 64, v22
	v_min_u32_e32 v23, v28, v10
	v_min_u32_e32 v13, v28, v84
	v_sub_u32_e32 v10, v22, v12
	v_sub_u32_e32 v11, v23, v22
	v_sub_u32_e64 v24, v13, v11 clamp
	v_min_u32_e32 v25, v13, v10
	v_cmp_lt_u32_e64 s[8:9], v24, v25
	; wave barrier
	s_and_saveexec_b64 s[12:13], s[8:9]
	s_cbranch_execz .LBB923_127
; %bb.124:
	v_lshlrev_b32_e32 v10, 1, v12
	v_add_co_u32_e64 v26, s[8:9], v4, v10
	v_addc_co_u32_e64 v27, s[8:9], 0, v5, s[8:9]
	v_lshlrev_b32_e32 v10, 1, v22
	v_add_co_u32_e64 v28, s[8:9], v4, v10
	v_addc_co_u32_e64 v29, s[8:9], 0, v5, s[8:9]
	s_mov_b64 s[14:15], 0
	v_mov_b32_e32 v11, 0
.LBB923_125:                            ; =>This Inner Loop Header: Depth=1
	v_add_u32_e32 v10, v25, v24
	v_and_b32_e32 v32, -2, v10
	v_lshrrev_b32_e32 v31, 1, v10
	v_add_co_u32_e64 v32, s[8:9], v26, v32
	v_xad_u32 v10, v31, -1, v13
	v_addc_co_u32_e64 v33, s[8:9], 0, v27, s[8:9]
	flat_load_ushort v34, v[32:33]
	v_lshlrev_b64 v[32:33], 1, v[10:11]
	v_add_co_u32_e64 v32, s[8:9], v28, v32
	v_addc_co_u32_e64 v33, s[8:9], v29, v33, s[8:9]
	flat_load_ushort v10, v[32:33]
	v_add_u32_e32 v32, 1, v31
	s_waitcnt vmcnt(0) lgkmcnt(0)
	v_cmp_gt_i16_e64 s[8:9], v10, v34
	v_cndmask_b32_e64 v25, v25, v31, s[8:9]
	v_cndmask_b32_e64 v24, v32, v24, s[8:9]
	v_cmp_ge_u32_e64 s[8:9], v24, v25
	s_or_b64 s[14:15], s[8:9], s[14:15]
	s_andn2_b64 exec, exec, s[14:15]
	s_cbranch_execnz .LBB923_125
; %bb.126:
	s_or_b64 exec, exec, s[14:15]
.LBB923_127:
	s_or_b64 exec, exec, s[12:13]
	v_add_u32_e32 v11, v22, v13
	v_add_u32_e32 v10, v24, v12
	v_sub_u32_e32 v12, v11, v24
	v_cmp_le_u32_e64 s[8:9], v10, v22
	v_cmp_le_u32_e64 s[12:13], v12, v23
	s_or_b64 s[8:9], s[8:9], s[12:13]
	s_and_saveexec_b64 s[24:25], s[8:9]
	s_cbranch_execz .LBB923_133
; %bb.128:
	v_cmp_lt_u32_e64 s[8:9], v10, v22
                                        ; implicit-def: $vgpr11
	s_and_saveexec_b64 s[14:15], s[8:9]
	s_cbranch_execz .LBB923_130
; %bb.129:
	v_mov_b32_e32 v11, 0
	v_lshlrev_b64 v[14:15], 1, v[10:11]
	v_add_co_u32_e64 v14, s[12:13], v4, v14
	v_addc_co_u32_e64 v15, s[12:13], v5, v15, s[12:13]
	flat_load_ushort v11, v[14:15]
.LBB923_130:
	s_or_b64 exec, exec, s[14:15]
	v_cmp_ge_u32_e64 s[12:13], v12, v23
	v_cmp_lt_u32_e64 s[14:15], v12, v23
                                        ; implicit-def: $vgpr13
	s_and_saveexec_b64 s[16:17], s[14:15]
	s_cbranch_execz .LBB923_132
; %bb.131:
	v_mov_b32_e32 v13, 0
	v_lshlrev_b64 v[14:15], 1, v[12:13]
	v_add_co_u32_e64 v14, s[14:15], v4, v14
	v_addc_co_u32_e64 v15, s[14:15], v5, v15, s[14:15]
	flat_load_ushort v13, v[14:15]
.LBB923_132:
	s_or_b64 exec, exec, s[16:17]
	s_waitcnt vmcnt(0) lgkmcnt(0)
	v_cmp_le_i16_e64 s[14:15], v13, v11
	s_and_b64 s[8:9], s[8:9], s[14:15]
	s_or_b64 s[8:9], s[12:13], s[8:9]
	v_cndmask_b32_e64 v20, v12, v10, s[8:9]
	v_cndmask_b32_e64 v16, v23, v22, s[8:9]
	v_mov_b32_e32 v21, 0
	v_add_u32_e32 v18, 1, v20
	v_add_u32_e32 v16, -1, v16
	v_lshlrev_b64 v[14:15], 3, v[20:21]
	v_min_u32_e32 v20, v18, v16
	v_lshlrev_b64 v[16:17], 1, v[20:21]
	v_add_co_u32_e64 v16, s[12:13], v4, v16
	v_addc_co_u32_e64 v17, s[12:13], v5, v17, s[12:13]
	flat_load_ushort v16, v[16:17]
	v_cndmask_b32_e64 v10, v10, v18, s[8:9]
	v_cndmask_b32_e64 v12, v18, v12, s[8:9]
	v_cmp_lt_u32_e64 s[14:15], v10, v22
	v_cmp_ge_u32_e64 s[12:13], v12, v23
	v_cndmask_b32_e64 v87, v13, v11, s[8:9]
	s_waitcnt vmcnt(0) lgkmcnt(0)
	v_cndmask_b32_e64 v26, v16, v13, s[8:9]
	v_cndmask_b32_e64 v27, v11, v16, s[8:9]
	v_cmp_le_i16_e64 s[16:17], v26, v27
	s_and_b64 s[14:15], s[14:15], s[16:17]
	s_or_b64 s[12:13], s[12:13], s[14:15]
	v_cndmask_b32_e64 v20, v12, v10, s[12:13]
	v_cndmask_b32_e64 v18, v23, v22, s[12:13]
	v_add_u32_e32 v24, 1, v20
	v_add_u32_e32 v18, -1, v18
	v_lshlrev_b64 v[16:17], 3, v[20:21]
	v_min_u32_e32 v20, v24, v18
	v_lshlrev_b64 v[18:19], 1, v[20:21]
	v_add_co_u32_e64 v18, s[14:15], v4, v18
	v_addc_co_u32_e64 v19, s[14:15], v5, v19, s[14:15]
	flat_load_ushort v18, v[18:19]
	v_cndmask_b32_e64 v10, v10, v24, s[12:13]
	v_cndmask_b32_e64 v12, v24, v12, s[12:13]
	v_cmp_lt_u32_e64 s[16:17], v10, v22
	v_cmp_ge_u32_e64 s[14:15], v12, v23
	v_cndmask_b32_e64 v85, v26, v27, s[12:13]
	s_waitcnt vmcnt(0) lgkmcnt(0)
	v_cndmask_b32_e64 v28, v18, v26, s[12:13]
	v_cndmask_b32_e64 v29, v27, v18, s[12:13]
	v_cmp_le_i16_e64 s[18:19], v28, v29
	s_and_b64 s[16:17], s[16:17], s[18:19]
	s_or_b64 s[14:15], s[14:15], s[16:17]
	v_cndmask_b32_e64 v20, v12, v10, s[14:15]
	v_cndmask_b32_e64 v24, v23, v22, s[14:15]
	v_lshlrev_b64 v[18:19], 3, v[20:21]
	v_add_u32_e32 v31, 1, v20
	v_add_u32_e32 v20, -1, v24
	v_min_u32_e32 v20, v31, v20
	v_lshlrev_b64 v[24:25], 1, v[20:21]
	v_add_co_u32_e64 v4, s[16:17], v4, v24
	v_addc_co_u32_e64 v5, s[16:17], v5, v25, s[16:17]
	flat_load_ushort v20, v[4:5]
	v_add_co_u32_e64 v4, s[16:17], v0, v14
	v_addc_co_u32_e64 v5, s[16:17], v1, v15, s[16:17]
	flat_load_dwordx2 v[14:15], v[4:5] offset:2048
	v_add_co_u32_e64 v4, s[16:17], v0, v16
	v_addc_co_u32_e64 v5, s[16:17], v1, v17, s[16:17]
	flat_load_dwordx2 v[16:17], v[4:5] offset:2048
	;; [unrolled: 3-line block ×3, first 2 shown]
	v_cndmask_b32_e64 v4, v31, v12, s[14:15]
	v_cndmask_b32_e64 v5, v10, v31, s[14:15]
	v_cmp_lt_u32_e64 s[18:19], v5, v22
	v_cmp_ge_u32_e64 s[16:17], v4, v23
	v_cndmask_b32_e64 v48, v28, v29, s[14:15]
	s_waitcnt vmcnt(0) lgkmcnt(0)
	v_cndmask_b32_e64 v10, v20, v28, s[14:15]
	v_cndmask_b32_e64 v12, v29, v20, s[14:15]
	v_cmp_le_i16_e64 s[20:21], v10, v12
	s_and_b64 s[18:19], s[18:19], s[20:21]
	s_or_b64 s[16:17], s[16:17], s[18:19]
	v_cndmask_b32_e64 v20, v4, v5, s[16:17]
	v_lshlrev_b64 v[4:5], 3, v[20:21]
	v_add_co_u32_e64 v0, s[18:19], v0, v4
	v_addc_co_u32_e64 v1, s[18:19], v1, v5, s[18:19]
	flat_load_dwordx2 v[20:21], v[0:1] offset:2048
	v_cndmask_b32_e64 v86, v10, v12, s[16:17]
.LBB923_133:
	s_or_b64 exec, exec, s[24:25]
	; wave barrier
	s_waitcnt lgkmcnt(0)
	s_barrier
.LBB923_134:
	s_or_b64 exec, exec, s[22:23]
	v_add_co_u32_e64 v0, s[8:9], v2, v80
	v_addc_co_u32_e64 v1, s[8:9], v3, v81, s[8:9]
	v_add_co_u32_e64 v0, s[8:9], v0, v30
	v_addc_co_u32_e64 v1, s[8:9], 0, v1, s[8:9]
	s_waitcnt lgkmcnt(0)
	; wave barrier
	s_and_saveexec_b64 s[8:9], vcc
	s_cbranch_execz .LBB923_140
; %bb.135:
	s_waitcnt vmcnt(0) lgkmcnt(0)
	flat_store_short v[0:1], v87
	s_or_b64 exec, exec, s[8:9]
	s_and_saveexec_b64 s[8:9], s[4:5]
	s_cbranch_execnz .LBB923_141
.LBB923_136:
	s_or_b64 exec, exec, s[8:9]
	s_and_saveexec_b64 s[8:9], s[6:7]
	s_cbranch_execz .LBB923_142
.LBB923_137:
	s_waitcnt vmcnt(0) lgkmcnt(0)
	flat_store_short v[0:1], v48 offset:4
	s_or_b64 exec, exec, s[8:9]
	s_and_saveexec_b64 s[8:9], s[10:11]
	s_cbranch_execnz .LBB923_143
	s_branch .LBB923_144
.LBB923_138:
	s_or_b64 exec, exec, s[12:13]
                                        ; implicit-def: $vgpr18_vgpr19
	s_and_saveexec_b64 s[12:13], s[6:7]
	s_cbranch_execz .LBB923_12
.LBB923_139:
	flat_load_dwordx2 v[36:37], v[0:1] offset:16
	s_waitcnt vmcnt(0) lgkmcnt(0)
	v_pk_mov_b32 v[18:19], v[36:37], v[36:37] op_sel:[0,1]
	s_or_b64 exec, exec, s[12:13]
	s_and_saveexec_b64 s[12:13], s[10:11]
	s_cbranch_execnz .LBB923_13
	s_branch .LBB923_14
.LBB923_140:
	s_or_b64 exec, exec, s[8:9]
	s_and_saveexec_b64 s[8:9], s[4:5]
	s_cbranch_execz .LBB923_136
.LBB923_141:
	s_waitcnt vmcnt(0) lgkmcnt(0)
	flat_store_short v[0:1], v85 offset:2
	s_or_b64 exec, exec, s[8:9]
	s_and_saveexec_b64 s[8:9], s[6:7]
	s_cbranch_execnz .LBB923_137
.LBB923_142:
	s_or_b64 exec, exec, s[8:9]
	s_and_saveexec_b64 s[8:9], s[10:11]
	s_cbranch_execz .LBB923_144
.LBB923_143:
	s_waitcnt vmcnt(0) lgkmcnt(0)
	flat_store_short v[0:1], v86 offset:6
.LBB923_144:
	s_or_b64 exec, exec, s[8:9]
	v_add_co_u32_e64 v0, s[8:9], v6, v8
	v_addc_co_u32_e64 v1, s[8:9], v7, v9, s[8:9]
	v_add_co_u32_e64 v0, s[8:9], v0, v82
	v_addc_co_u32_e64 v1, s[8:9], 0, v1, s[8:9]
	; wave barrier
	s_and_saveexec_b64 s[8:9], vcc
	s_cbranch_execz .LBB923_149
; %bb.145:
	s_waitcnt vmcnt(0) lgkmcnt(0)
	flat_store_dwordx2 v[0:1], v[14:15]
	s_or_b64 exec, exec, s[8:9]
	s_and_saveexec_b64 s[8:9], s[4:5]
	s_cbranch_execnz .LBB923_150
.LBB923_146:
	s_or_b64 exec, exec, s[8:9]
	s_and_saveexec_b64 s[4:5], s[6:7]
	s_cbranch_execz .LBB923_151
.LBB923_147:
	flat_store_dwordx2 v[0:1], v[18:19] offset:16
	s_or_b64 exec, exec, s[4:5]
	s_and_saveexec_b64 s[4:5], s[10:11]
	s_cbranch_execnz .LBB923_152
.LBB923_148:
	s_or_b64 exec, exec, s[4:5]
	s_waitcnt vmcnt(0) lgkmcnt(0)
	s_setpc_b64 s[30:31]
.LBB923_149:
	s_or_b64 exec, exec, s[8:9]
	s_and_saveexec_b64 s[8:9], s[4:5]
	s_cbranch_execz .LBB923_146
.LBB923_150:
	s_waitcnt vmcnt(0) lgkmcnt(0)
	flat_store_dwordx2 v[0:1], v[16:17] offset:8
	s_or_b64 exec, exec, s[8:9]
	s_and_saveexec_b64 s[4:5], s[6:7]
	s_cbranch_execnz .LBB923_147
.LBB923_151:
	s_or_b64 exec, exec, s[4:5]
	s_and_saveexec_b64 s[4:5], s[10:11]
	s_cbranch_execz .LBB923_148
.LBB923_152:
	s_waitcnt vmcnt(0)
	flat_store_dwordx2 v[0:1], v[20:21] offset:24
	s_or_b64 exec, exec, s[4:5]
	s_waitcnt vmcnt(0) lgkmcnt(0)
	s_setpc_b64 s[30:31]
.Lfunc_end923:
	.size	_ZN7rocprim17ROCPRIM_400000_NS6detail26segmented_warp_sort_helperINS1_20WarpSortHelperConfigILj32ELj4ELj256EEEslLi256ELb1EvE4sortIPKsPsPKlPlEEvT_T0_T1_T2_jjjjRNS5_12storage_typeE, .Lfunc_end923-_ZN7rocprim17ROCPRIM_400000_NS6detail26segmented_warp_sort_helperINS1_20WarpSortHelperConfigILj32ELj4ELj256EEEslLi256ELb1EvE4sortIPKsPsPKlPlEEvT_T0_T1_T2_jjjjRNS5_12storage_typeE
                                        ; -- End function
	.section	.AMDGPU.csdata,"",@progbits
; Function info:
; codeLenInByte = 12660
; NumSgprs: 36
; NumVgprs: 88
; NumAgprs: 0
; TotalNumVgprs: 88
; ScratchSize: 0
; MemoryBound: 1
	.section	.text._ZN7rocprim17ROCPRIM_400000_NS6detail17trampoline_kernelINS0_14default_configENS1_36segmented_radix_sort_config_selectorIslEEZNS1_25segmented_radix_sort_implIS3_Lb1EPKsPsPKlPlN2at6native12_GLOBAL__N_18offset_tEEE10hipError_tPvRmT1_PNSt15iterator_traitsISK_E10value_typeET2_T3_PNSL_ISQ_E10value_typeET4_jRbjT5_SW_jjP12ihipStream_tbEUlT_E0_NS1_11comp_targetILNS1_3genE4ELNS1_11target_archE910ELNS1_3gpuE8ELNS1_3repE0EEENS1_60segmented_radix_sort_warp_sort_medium_config_static_selectorELNS0_4arch9wavefront6targetE1EEEvSK_,"axG",@progbits,_ZN7rocprim17ROCPRIM_400000_NS6detail17trampoline_kernelINS0_14default_configENS1_36segmented_radix_sort_config_selectorIslEEZNS1_25segmented_radix_sort_implIS3_Lb1EPKsPsPKlPlN2at6native12_GLOBAL__N_18offset_tEEE10hipError_tPvRmT1_PNSt15iterator_traitsISK_E10value_typeET2_T3_PNSL_ISQ_E10value_typeET4_jRbjT5_SW_jjP12ihipStream_tbEUlT_E0_NS1_11comp_targetILNS1_3genE4ELNS1_11target_archE910ELNS1_3gpuE8ELNS1_3repE0EEENS1_60segmented_radix_sort_warp_sort_medium_config_static_selectorELNS0_4arch9wavefront6targetE1EEEvSK_,comdat
	.globl	_ZN7rocprim17ROCPRIM_400000_NS6detail17trampoline_kernelINS0_14default_configENS1_36segmented_radix_sort_config_selectorIslEEZNS1_25segmented_radix_sort_implIS3_Lb1EPKsPsPKlPlN2at6native12_GLOBAL__N_18offset_tEEE10hipError_tPvRmT1_PNSt15iterator_traitsISK_E10value_typeET2_T3_PNSL_ISQ_E10value_typeET4_jRbjT5_SW_jjP12ihipStream_tbEUlT_E0_NS1_11comp_targetILNS1_3genE4ELNS1_11target_archE910ELNS1_3gpuE8ELNS1_3repE0EEENS1_60segmented_radix_sort_warp_sort_medium_config_static_selectorELNS0_4arch9wavefront6targetE1EEEvSK_ ; -- Begin function _ZN7rocprim17ROCPRIM_400000_NS6detail17trampoline_kernelINS0_14default_configENS1_36segmented_radix_sort_config_selectorIslEEZNS1_25segmented_radix_sort_implIS3_Lb1EPKsPsPKlPlN2at6native12_GLOBAL__N_18offset_tEEE10hipError_tPvRmT1_PNSt15iterator_traitsISK_E10value_typeET2_T3_PNSL_ISQ_E10value_typeET4_jRbjT5_SW_jjP12ihipStream_tbEUlT_E0_NS1_11comp_targetILNS1_3genE4ELNS1_11target_archE910ELNS1_3gpuE8ELNS1_3repE0EEENS1_60segmented_radix_sort_warp_sort_medium_config_static_selectorELNS0_4arch9wavefront6targetE1EEEvSK_
	.p2align	8
	.type	_ZN7rocprim17ROCPRIM_400000_NS6detail17trampoline_kernelINS0_14default_configENS1_36segmented_radix_sort_config_selectorIslEEZNS1_25segmented_radix_sort_implIS3_Lb1EPKsPsPKlPlN2at6native12_GLOBAL__N_18offset_tEEE10hipError_tPvRmT1_PNSt15iterator_traitsISK_E10value_typeET2_T3_PNSL_ISQ_E10value_typeET4_jRbjT5_SW_jjP12ihipStream_tbEUlT_E0_NS1_11comp_targetILNS1_3genE4ELNS1_11target_archE910ELNS1_3gpuE8ELNS1_3repE0EEENS1_60segmented_radix_sort_warp_sort_medium_config_static_selectorELNS0_4arch9wavefront6targetE1EEEvSK_,@function
_ZN7rocprim17ROCPRIM_400000_NS6detail17trampoline_kernelINS0_14default_configENS1_36segmented_radix_sort_config_selectorIslEEZNS1_25segmented_radix_sort_implIS3_Lb1EPKsPsPKlPlN2at6native12_GLOBAL__N_18offset_tEEE10hipError_tPvRmT1_PNSt15iterator_traitsISK_E10value_typeET2_T3_PNSL_ISQ_E10value_typeET4_jRbjT5_SW_jjP12ihipStream_tbEUlT_E0_NS1_11comp_targetILNS1_3genE4ELNS1_11target_archE910ELNS1_3gpuE8ELNS1_3repE0EEENS1_60segmented_radix_sort_warp_sort_medium_config_static_selectorELNS0_4arch9wavefront6targetE1EEEvSK_: ; @_ZN7rocprim17ROCPRIM_400000_NS6detail17trampoline_kernelINS0_14default_configENS1_36segmented_radix_sort_config_selectorIslEEZNS1_25segmented_radix_sort_implIS3_Lb1EPKsPsPKlPlN2at6native12_GLOBAL__N_18offset_tEEE10hipError_tPvRmT1_PNSt15iterator_traitsISK_E10value_typeET2_T3_PNSL_ISQ_E10value_typeET4_jRbjT5_SW_jjP12ihipStream_tbEUlT_E0_NS1_11comp_targetILNS1_3genE4ELNS1_11target_archE910ELNS1_3gpuE8ELNS1_3repE0EEENS1_60segmented_radix_sort_warp_sort_medium_config_static_selectorELNS0_4arch9wavefront6targetE1EEEvSK_
; %bb.0:
	s_add_u32 flat_scratch_lo, s6, s10
	s_addc_u32 flat_scratch_hi, s7, 0
	s_add_u32 s0, s0, s10
	s_load_dword s6, s[4:5], 0x64
	s_load_dword s10, s[4:5], 0x34
	s_addc_u32 s1, s1, 0
	v_bfe_u32 v1, v0, 10, 10
	v_bfe_u32 v2, v0, 20, 10
	s_waitcnt lgkmcnt(0)
	s_lshr_b32 s7, s6, 16
	s_and_b32 s6, s6, 0xffff
	v_mad_u32_u24 v1, v2, s7, v1
	v_and_b32_e32 v2, 0x3ff, v0
	v_mad_u64_u32 v[2:3], s[6:7], v1, s6, v[2:3]
	v_lshrrev_b32_e32 v1, 5, v2
	v_lshl_add_u32 v2, s8, 3, v1
	v_cmp_gt_u32_e32 vcc, s10, v2
	s_mov_b32 s32, 0
	s_and_saveexec_b64 s[6:7], vcc
	s_cbranch_execz .LBB924_6
; %bb.1:
	s_load_dwordx2 s[6:7], s[4:5], 0x38
	s_load_dwordx4 s[12:15], s[4:5], 0x40
	v_mov_b32_e32 v3, 0
	v_lshlrev_b64 v[2:3], 2, v[2:3]
	s_waitcnt lgkmcnt(0)
	v_mov_b32_e32 v1, s7
	v_add_co_u32_e32 v2, vcc, s6, v2
	v_addc_co_u32_e32 v3, vcc, v1, v3, vcc
	global_load_dword v1, v[2:3], off
	s_waitcnt vmcnt(0)
	v_add_u32_e32 v2, s13, v1
	v_add_u32_e32 v1, s15, v1
	v_mul_lo_u32 v40, v2, s12
	v_mul_lo_u32 v41, v1, s14
	v_cmp_gt_u32_e32 vcc, v41, v40
	s_and_b64 exec, exec, vcc
	s_cbranch_execz .LBB924_6
; %bb.2:
	s_load_dwordx4 s[44:47], s[4:5], 0x20
	s_load_dword s6, s[4:5], 0x30
	s_load_dwordx8 s[36:43], s[4:5], 0x0
	s_load_dwordx2 s[48:49], s[4:5], 0x50
	s_mov_b32 s34, s8
	s_mov_b32 s33, s9
	s_waitcnt lgkmcnt(0)
	s_bitcmp0_b32 s6, 0
	s_mov_b64 s[6:7], -1
	s_cbranch_scc0 .LBB924_4
; %bb.3:
	s_add_u32 s8, s4, 0x58
	s_mov_b64 s[6:7], src_shared_base
	s_addc_u32 s9, s5, 0
	s_mov_b32 s12, s34
	s_mov_b32 s13, s33
	v_mov_b32_e32 v31, v0
	v_mov_b32_e32 v42, v0
	;; [unrolled: 1-line block ×16, first 2 shown]
	s_getpc_b64 s[10:11]
	s_add_u32 s10, s10, _ZN7rocprim17ROCPRIM_400000_NS6detail26segmented_warp_sort_helperINS1_20WarpSortHelperConfigILj32ELj4ELj256EEEslLi256ELb1EvE4sortIPKsPsPKlPlEEvT_T0_T1_T2_jjjjRNS5_12storage_typeE@rel32@lo+4
	s_addc_u32 s11, s11, _ZN7rocprim17ROCPRIM_400000_NS6detail26segmented_warp_sort_helperINS1_20WarpSortHelperConfigILj32ELj4ELj256EEEslLi256ELb1EvE4sortIPKsPsPKlPlEEvT_T0_T1_T2_jjjjRNS5_12storage_typeE@rel32@hi+12
	s_mov_b64 s[38:39], s[4:5]
	s_swappc_b64 s[30:31], s[10:11]
	v_mov_b32_e32 v0, v42
	s_mov_b64 s[4:5], s[38:39]
	s_mov_b64 s[6:7], 0
.LBB924_4:
	s_andn2_b64 vcc, exec, s[6:7]
	s_cbranch_vccnz .LBB924_6
; %bb.5:
	s_add_u32 s8, s4, 0x58
	s_addc_u32 s9, s5, 0
	s_mov_b64 s[4:5], src_shared_base
	s_mov_b32 s12, s34
	s_mov_b32 s13, s33
	v_mov_b32_e32 v31, v0
	v_mov_b32_e32 v0, s36
	;; [unrolled: 1-line block ×15, first 2 shown]
	s_getpc_b64 s[6:7]
	s_add_u32 s6, s6, _ZN7rocprim17ROCPRIM_400000_NS6detail26segmented_warp_sort_helperINS1_20WarpSortHelperConfigILj32ELj4ELj256EEEslLi256ELb1EvE4sortIPKsPsPKlPlEEvT_T0_T1_T2_jjjjRNS5_12storage_typeE@rel32@lo+4
	s_addc_u32 s7, s7, _ZN7rocprim17ROCPRIM_400000_NS6detail26segmented_warp_sort_helperINS1_20WarpSortHelperConfigILj32ELj4ELj256EEEslLi256ELb1EvE4sortIPKsPsPKlPlEEvT_T0_T1_T2_jjjjRNS5_12storage_typeE@rel32@hi+12
	s_swappc_b64 s[30:31], s[6:7]
.LBB924_6:
	s_endpgm
	.section	.rodata,"a",@progbits
	.p2align	6, 0x0
	.amdhsa_kernel _ZN7rocprim17ROCPRIM_400000_NS6detail17trampoline_kernelINS0_14default_configENS1_36segmented_radix_sort_config_selectorIslEEZNS1_25segmented_radix_sort_implIS3_Lb1EPKsPsPKlPlN2at6native12_GLOBAL__N_18offset_tEEE10hipError_tPvRmT1_PNSt15iterator_traitsISK_E10value_typeET2_T3_PNSL_ISQ_E10value_typeET4_jRbjT5_SW_jjP12ihipStream_tbEUlT_E0_NS1_11comp_targetILNS1_3genE4ELNS1_11target_archE910ELNS1_3gpuE8ELNS1_3repE0EEENS1_60segmented_radix_sort_warp_sort_medium_config_static_selectorELNS0_4arch9wavefront6targetE1EEEvSK_
		.amdhsa_group_segment_fixed_size 10240
		.amdhsa_private_segment_fixed_size 0
		.amdhsa_kernarg_size 344
		.amdhsa_user_sgpr_count 8
		.amdhsa_user_sgpr_private_segment_buffer 1
		.amdhsa_user_sgpr_dispatch_ptr 0
		.amdhsa_user_sgpr_queue_ptr 0
		.amdhsa_user_sgpr_kernarg_segment_ptr 1
		.amdhsa_user_sgpr_dispatch_id 0
		.amdhsa_user_sgpr_flat_scratch_init 1
		.amdhsa_user_sgpr_kernarg_preload_length 0
		.amdhsa_user_sgpr_kernarg_preload_offset 0
		.amdhsa_user_sgpr_private_segment_size 0
		.amdhsa_uses_dynamic_stack 0
		.amdhsa_system_sgpr_private_segment_wavefront_offset 0
		.amdhsa_system_sgpr_workgroup_id_x 1
		.amdhsa_system_sgpr_workgroup_id_y 1
		.amdhsa_system_sgpr_workgroup_id_z 0
		.amdhsa_system_sgpr_workgroup_info 0
		.amdhsa_system_vgpr_workitem_id 2
		.amdhsa_next_free_vgpr 88
		.amdhsa_next_free_sgpr 50
		.amdhsa_accum_offset 88
		.amdhsa_reserve_vcc 1
		.amdhsa_reserve_flat_scratch 1
		.amdhsa_float_round_mode_32 0
		.amdhsa_float_round_mode_16_64 0
		.amdhsa_float_denorm_mode_32 3
		.amdhsa_float_denorm_mode_16_64 3
		.amdhsa_dx10_clamp 1
		.amdhsa_ieee_mode 1
		.amdhsa_fp16_overflow 0
		.amdhsa_tg_split 0
		.amdhsa_exception_fp_ieee_invalid_op 0
		.amdhsa_exception_fp_denorm_src 0
		.amdhsa_exception_fp_ieee_div_zero 0
		.amdhsa_exception_fp_ieee_overflow 0
		.amdhsa_exception_fp_ieee_underflow 0
		.amdhsa_exception_fp_ieee_inexact 0
		.amdhsa_exception_int_div_zero 0
	.end_amdhsa_kernel
	.section	.text._ZN7rocprim17ROCPRIM_400000_NS6detail17trampoline_kernelINS0_14default_configENS1_36segmented_radix_sort_config_selectorIslEEZNS1_25segmented_radix_sort_implIS3_Lb1EPKsPsPKlPlN2at6native12_GLOBAL__N_18offset_tEEE10hipError_tPvRmT1_PNSt15iterator_traitsISK_E10value_typeET2_T3_PNSL_ISQ_E10value_typeET4_jRbjT5_SW_jjP12ihipStream_tbEUlT_E0_NS1_11comp_targetILNS1_3genE4ELNS1_11target_archE910ELNS1_3gpuE8ELNS1_3repE0EEENS1_60segmented_radix_sort_warp_sort_medium_config_static_selectorELNS0_4arch9wavefront6targetE1EEEvSK_,"axG",@progbits,_ZN7rocprim17ROCPRIM_400000_NS6detail17trampoline_kernelINS0_14default_configENS1_36segmented_radix_sort_config_selectorIslEEZNS1_25segmented_radix_sort_implIS3_Lb1EPKsPsPKlPlN2at6native12_GLOBAL__N_18offset_tEEE10hipError_tPvRmT1_PNSt15iterator_traitsISK_E10value_typeET2_T3_PNSL_ISQ_E10value_typeET4_jRbjT5_SW_jjP12ihipStream_tbEUlT_E0_NS1_11comp_targetILNS1_3genE4ELNS1_11target_archE910ELNS1_3gpuE8ELNS1_3repE0EEENS1_60segmented_radix_sort_warp_sort_medium_config_static_selectorELNS0_4arch9wavefront6targetE1EEEvSK_,comdat
.Lfunc_end924:
	.size	_ZN7rocprim17ROCPRIM_400000_NS6detail17trampoline_kernelINS0_14default_configENS1_36segmented_radix_sort_config_selectorIslEEZNS1_25segmented_radix_sort_implIS3_Lb1EPKsPsPKlPlN2at6native12_GLOBAL__N_18offset_tEEE10hipError_tPvRmT1_PNSt15iterator_traitsISK_E10value_typeET2_T3_PNSL_ISQ_E10value_typeET4_jRbjT5_SW_jjP12ihipStream_tbEUlT_E0_NS1_11comp_targetILNS1_3genE4ELNS1_11target_archE910ELNS1_3gpuE8ELNS1_3repE0EEENS1_60segmented_radix_sort_warp_sort_medium_config_static_selectorELNS0_4arch9wavefront6targetE1EEEvSK_, .Lfunc_end924-_ZN7rocprim17ROCPRIM_400000_NS6detail17trampoline_kernelINS0_14default_configENS1_36segmented_radix_sort_config_selectorIslEEZNS1_25segmented_radix_sort_implIS3_Lb1EPKsPsPKlPlN2at6native12_GLOBAL__N_18offset_tEEE10hipError_tPvRmT1_PNSt15iterator_traitsISK_E10value_typeET2_T3_PNSL_ISQ_E10value_typeET4_jRbjT5_SW_jjP12ihipStream_tbEUlT_E0_NS1_11comp_targetILNS1_3genE4ELNS1_11target_archE910ELNS1_3gpuE8ELNS1_3repE0EEENS1_60segmented_radix_sort_warp_sort_medium_config_static_selectorELNS0_4arch9wavefront6targetE1EEEvSK_
                                        ; -- End function
	.section	.AMDGPU.csdata,"",@progbits
; Kernel info:
; codeLenInByte = 512
; NumSgprs: 56
; NumVgprs: 88
; NumAgprs: 0
; TotalNumVgprs: 88
; ScratchSize: 0
; MemoryBound: 0
; FloatMode: 240
; IeeeMode: 1
; LDSByteSize: 10240 bytes/workgroup (compile time only)
; SGPRBlocks: 6
; VGPRBlocks: 10
; NumSGPRsForWavesPerEU: 56
; NumVGPRsForWavesPerEU: 88
; AccumOffset: 88
; Occupancy: 5
; WaveLimiterHint : 0
; COMPUTE_PGM_RSRC2:SCRATCH_EN: 0
; COMPUTE_PGM_RSRC2:USER_SGPR: 8
; COMPUTE_PGM_RSRC2:TRAP_HANDLER: 0
; COMPUTE_PGM_RSRC2:TGID_X_EN: 1
; COMPUTE_PGM_RSRC2:TGID_Y_EN: 1
; COMPUTE_PGM_RSRC2:TGID_Z_EN: 0
; COMPUTE_PGM_RSRC2:TIDIG_COMP_CNT: 2
; COMPUTE_PGM_RSRC3_GFX90A:ACCUM_OFFSET: 21
; COMPUTE_PGM_RSRC3_GFX90A:TG_SPLIT: 0
	.section	.text._ZN7rocprim17ROCPRIM_400000_NS6detail17trampoline_kernelINS0_14default_configENS1_36segmented_radix_sort_config_selectorIslEEZNS1_25segmented_radix_sort_implIS3_Lb1EPKsPsPKlPlN2at6native12_GLOBAL__N_18offset_tEEE10hipError_tPvRmT1_PNSt15iterator_traitsISK_E10value_typeET2_T3_PNSL_ISQ_E10value_typeET4_jRbjT5_SW_jjP12ihipStream_tbEUlT_E0_NS1_11comp_targetILNS1_3genE3ELNS1_11target_archE908ELNS1_3gpuE7ELNS1_3repE0EEENS1_60segmented_radix_sort_warp_sort_medium_config_static_selectorELNS0_4arch9wavefront6targetE1EEEvSK_,"axG",@progbits,_ZN7rocprim17ROCPRIM_400000_NS6detail17trampoline_kernelINS0_14default_configENS1_36segmented_radix_sort_config_selectorIslEEZNS1_25segmented_radix_sort_implIS3_Lb1EPKsPsPKlPlN2at6native12_GLOBAL__N_18offset_tEEE10hipError_tPvRmT1_PNSt15iterator_traitsISK_E10value_typeET2_T3_PNSL_ISQ_E10value_typeET4_jRbjT5_SW_jjP12ihipStream_tbEUlT_E0_NS1_11comp_targetILNS1_3genE3ELNS1_11target_archE908ELNS1_3gpuE7ELNS1_3repE0EEENS1_60segmented_radix_sort_warp_sort_medium_config_static_selectorELNS0_4arch9wavefront6targetE1EEEvSK_,comdat
	.globl	_ZN7rocprim17ROCPRIM_400000_NS6detail17trampoline_kernelINS0_14default_configENS1_36segmented_radix_sort_config_selectorIslEEZNS1_25segmented_radix_sort_implIS3_Lb1EPKsPsPKlPlN2at6native12_GLOBAL__N_18offset_tEEE10hipError_tPvRmT1_PNSt15iterator_traitsISK_E10value_typeET2_T3_PNSL_ISQ_E10value_typeET4_jRbjT5_SW_jjP12ihipStream_tbEUlT_E0_NS1_11comp_targetILNS1_3genE3ELNS1_11target_archE908ELNS1_3gpuE7ELNS1_3repE0EEENS1_60segmented_radix_sort_warp_sort_medium_config_static_selectorELNS0_4arch9wavefront6targetE1EEEvSK_ ; -- Begin function _ZN7rocprim17ROCPRIM_400000_NS6detail17trampoline_kernelINS0_14default_configENS1_36segmented_radix_sort_config_selectorIslEEZNS1_25segmented_radix_sort_implIS3_Lb1EPKsPsPKlPlN2at6native12_GLOBAL__N_18offset_tEEE10hipError_tPvRmT1_PNSt15iterator_traitsISK_E10value_typeET2_T3_PNSL_ISQ_E10value_typeET4_jRbjT5_SW_jjP12ihipStream_tbEUlT_E0_NS1_11comp_targetILNS1_3genE3ELNS1_11target_archE908ELNS1_3gpuE7ELNS1_3repE0EEENS1_60segmented_radix_sort_warp_sort_medium_config_static_selectorELNS0_4arch9wavefront6targetE1EEEvSK_
	.p2align	8
	.type	_ZN7rocprim17ROCPRIM_400000_NS6detail17trampoline_kernelINS0_14default_configENS1_36segmented_radix_sort_config_selectorIslEEZNS1_25segmented_radix_sort_implIS3_Lb1EPKsPsPKlPlN2at6native12_GLOBAL__N_18offset_tEEE10hipError_tPvRmT1_PNSt15iterator_traitsISK_E10value_typeET2_T3_PNSL_ISQ_E10value_typeET4_jRbjT5_SW_jjP12ihipStream_tbEUlT_E0_NS1_11comp_targetILNS1_3genE3ELNS1_11target_archE908ELNS1_3gpuE7ELNS1_3repE0EEENS1_60segmented_radix_sort_warp_sort_medium_config_static_selectorELNS0_4arch9wavefront6targetE1EEEvSK_,@function
_ZN7rocprim17ROCPRIM_400000_NS6detail17trampoline_kernelINS0_14default_configENS1_36segmented_radix_sort_config_selectorIslEEZNS1_25segmented_radix_sort_implIS3_Lb1EPKsPsPKlPlN2at6native12_GLOBAL__N_18offset_tEEE10hipError_tPvRmT1_PNSt15iterator_traitsISK_E10value_typeET2_T3_PNSL_ISQ_E10value_typeET4_jRbjT5_SW_jjP12ihipStream_tbEUlT_E0_NS1_11comp_targetILNS1_3genE3ELNS1_11target_archE908ELNS1_3gpuE7ELNS1_3repE0EEENS1_60segmented_radix_sort_warp_sort_medium_config_static_selectorELNS0_4arch9wavefront6targetE1EEEvSK_: ; @_ZN7rocprim17ROCPRIM_400000_NS6detail17trampoline_kernelINS0_14default_configENS1_36segmented_radix_sort_config_selectorIslEEZNS1_25segmented_radix_sort_implIS3_Lb1EPKsPsPKlPlN2at6native12_GLOBAL__N_18offset_tEEE10hipError_tPvRmT1_PNSt15iterator_traitsISK_E10value_typeET2_T3_PNSL_ISQ_E10value_typeET4_jRbjT5_SW_jjP12ihipStream_tbEUlT_E0_NS1_11comp_targetILNS1_3genE3ELNS1_11target_archE908ELNS1_3gpuE7ELNS1_3repE0EEENS1_60segmented_radix_sort_warp_sort_medium_config_static_selectorELNS0_4arch9wavefront6targetE1EEEvSK_
; %bb.0:
	.section	.rodata,"a",@progbits
	.p2align	6, 0x0
	.amdhsa_kernel _ZN7rocprim17ROCPRIM_400000_NS6detail17trampoline_kernelINS0_14default_configENS1_36segmented_radix_sort_config_selectorIslEEZNS1_25segmented_radix_sort_implIS3_Lb1EPKsPsPKlPlN2at6native12_GLOBAL__N_18offset_tEEE10hipError_tPvRmT1_PNSt15iterator_traitsISK_E10value_typeET2_T3_PNSL_ISQ_E10value_typeET4_jRbjT5_SW_jjP12ihipStream_tbEUlT_E0_NS1_11comp_targetILNS1_3genE3ELNS1_11target_archE908ELNS1_3gpuE7ELNS1_3repE0EEENS1_60segmented_radix_sort_warp_sort_medium_config_static_selectorELNS0_4arch9wavefront6targetE1EEEvSK_
		.amdhsa_group_segment_fixed_size 0
		.amdhsa_private_segment_fixed_size 0
		.amdhsa_kernarg_size 88
		.amdhsa_user_sgpr_count 6
		.amdhsa_user_sgpr_private_segment_buffer 1
		.amdhsa_user_sgpr_dispatch_ptr 0
		.amdhsa_user_sgpr_queue_ptr 0
		.amdhsa_user_sgpr_kernarg_segment_ptr 1
		.amdhsa_user_sgpr_dispatch_id 0
		.amdhsa_user_sgpr_flat_scratch_init 0
		.amdhsa_user_sgpr_kernarg_preload_length 0
		.amdhsa_user_sgpr_kernarg_preload_offset 0
		.amdhsa_user_sgpr_private_segment_size 0
		.amdhsa_uses_dynamic_stack 0
		.amdhsa_system_sgpr_private_segment_wavefront_offset 0
		.amdhsa_system_sgpr_workgroup_id_x 1
		.amdhsa_system_sgpr_workgroup_id_y 0
		.amdhsa_system_sgpr_workgroup_id_z 0
		.amdhsa_system_sgpr_workgroup_info 0
		.amdhsa_system_vgpr_workitem_id 0
		.amdhsa_next_free_vgpr 1
		.amdhsa_next_free_sgpr 0
		.amdhsa_accum_offset 4
		.amdhsa_reserve_vcc 0
		.amdhsa_reserve_flat_scratch 0
		.amdhsa_float_round_mode_32 0
		.amdhsa_float_round_mode_16_64 0
		.amdhsa_float_denorm_mode_32 3
		.amdhsa_float_denorm_mode_16_64 3
		.amdhsa_dx10_clamp 1
		.amdhsa_ieee_mode 1
		.amdhsa_fp16_overflow 0
		.amdhsa_tg_split 0
		.amdhsa_exception_fp_ieee_invalid_op 0
		.amdhsa_exception_fp_denorm_src 0
		.amdhsa_exception_fp_ieee_div_zero 0
		.amdhsa_exception_fp_ieee_overflow 0
		.amdhsa_exception_fp_ieee_underflow 0
		.amdhsa_exception_fp_ieee_inexact 0
		.amdhsa_exception_int_div_zero 0
	.end_amdhsa_kernel
	.section	.text._ZN7rocprim17ROCPRIM_400000_NS6detail17trampoline_kernelINS0_14default_configENS1_36segmented_radix_sort_config_selectorIslEEZNS1_25segmented_radix_sort_implIS3_Lb1EPKsPsPKlPlN2at6native12_GLOBAL__N_18offset_tEEE10hipError_tPvRmT1_PNSt15iterator_traitsISK_E10value_typeET2_T3_PNSL_ISQ_E10value_typeET4_jRbjT5_SW_jjP12ihipStream_tbEUlT_E0_NS1_11comp_targetILNS1_3genE3ELNS1_11target_archE908ELNS1_3gpuE7ELNS1_3repE0EEENS1_60segmented_radix_sort_warp_sort_medium_config_static_selectorELNS0_4arch9wavefront6targetE1EEEvSK_,"axG",@progbits,_ZN7rocprim17ROCPRIM_400000_NS6detail17trampoline_kernelINS0_14default_configENS1_36segmented_radix_sort_config_selectorIslEEZNS1_25segmented_radix_sort_implIS3_Lb1EPKsPsPKlPlN2at6native12_GLOBAL__N_18offset_tEEE10hipError_tPvRmT1_PNSt15iterator_traitsISK_E10value_typeET2_T3_PNSL_ISQ_E10value_typeET4_jRbjT5_SW_jjP12ihipStream_tbEUlT_E0_NS1_11comp_targetILNS1_3genE3ELNS1_11target_archE908ELNS1_3gpuE7ELNS1_3repE0EEENS1_60segmented_radix_sort_warp_sort_medium_config_static_selectorELNS0_4arch9wavefront6targetE1EEEvSK_,comdat
.Lfunc_end925:
	.size	_ZN7rocprim17ROCPRIM_400000_NS6detail17trampoline_kernelINS0_14default_configENS1_36segmented_radix_sort_config_selectorIslEEZNS1_25segmented_radix_sort_implIS3_Lb1EPKsPsPKlPlN2at6native12_GLOBAL__N_18offset_tEEE10hipError_tPvRmT1_PNSt15iterator_traitsISK_E10value_typeET2_T3_PNSL_ISQ_E10value_typeET4_jRbjT5_SW_jjP12ihipStream_tbEUlT_E0_NS1_11comp_targetILNS1_3genE3ELNS1_11target_archE908ELNS1_3gpuE7ELNS1_3repE0EEENS1_60segmented_radix_sort_warp_sort_medium_config_static_selectorELNS0_4arch9wavefront6targetE1EEEvSK_, .Lfunc_end925-_ZN7rocprim17ROCPRIM_400000_NS6detail17trampoline_kernelINS0_14default_configENS1_36segmented_radix_sort_config_selectorIslEEZNS1_25segmented_radix_sort_implIS3_Lb1EPKsPsPKlPlN2at6native12_GLOBAL__N_18offset_tEEE10hipError_tPvRmT1_PNSt15iterator_traitsISK_E10value_typeET2_T3_PNSL_ISQ_E10value_typeET4_jRbjT5_SW_jjP12ihipStream_tbEUlT_E0_NS1_11comp_targetILNS1_3genE3ELNS1_11target_archE908ELNS1_3gpuE7ELNS1_3repE0EEENS1_60segmented_radix_sort_warp_sort_medium_config_static_selectorELNS0_4arch9wavefront6targetE1EEEvSK_
                                        ; -- End function
	.section	.AMDGPU.csdata,"",@progbits
; Kernel info:
; codeLenInByte = 0
; NumSgprs: 4
; NumVgprs: 0
; NumAgprs: 0
; TotalNumVgprs: 0
; ScratchSize: 0
; MemoryBound: 0
; FloatMode: 240
; IeeeMode: 1
; LDSByteSize: 0 bytes/workgroup (compile time only)
; SGPRBlocks: 0
; VGPRBlocks: 0
; NumSGPRsForWavesPerEU: 4
; NumVGPRsForWavesPerEU: 1
; AccumOffset: 4
; Occupancy: 8
; WaveLimiterHint : 0
; COMPUTE_PGM_RSRC2:SCRATCH_EN: 0
; COMPUTE_PGM_RSRC2:USER_SGPR: 6
; COMPUTE_PGM_RSRC2:TRAP_HANDLER: 0
; COMPUTE_PGM_RSRC2:TGID_X_EN: 1
; COMPUTE_PGM_RSRC2:TGID_Y_EN: 0
; COMPUTE_PGM_RSRC2:TGID_Z_EN: 0
; COMPUTE_PGM_RSRC2:TIDIG_COMP_CNT: 0
; COMPUTE_PGM_RSRC3_GFX90A:ACCUM_OFFSET: 0
; COMPUTE_PGM_RSRC3_GFX90A:TG_SPLIT: 0
	.section	.text._ZN7rocprim17ROCPRIM_400000_NS6detail17trampoline_kernelINS0_14default_configENS1_36segmented_radix_sort_config_selectorIslEEZNS1_25segmented_radix_sort_implIS3_Lb1EPKsPsPKlPlN2at6native12_GLOBAL__N_18offset_tEEE10hipError_tPvRmT1_PNSt15iterator_traitsISK_E10value_typeET2_T3_PNSL_ISQ_E10value_typeET4_jRbjT5_SW_jjP12ihipStream_tbEUlT_E0_NS1_11comp_targetILNS1_3genE2ELNS1_11target_archE906ELNS1_3gpuE6ELNS1_3repE0EEENS1_60segmented_radix_sort_warp_sort_medium_config_static_selectorELNS0_4arch9wavefront6targetE1EEEvSK_,"axG",@progbits,_ZN7rocprim17ROCPRIM_400000_NS6detail17trampoline_kernelINS0_14default_configENS1_36segmented_radix_sort_config_selectorIslEEZNS1_25segmented_radix_sort_implIS3_Lb1EPKsPsPKlPlN2at6native12_GLOBAL__N_18offset_tEEE10hipError_tPvRmT1_PNSt15iterator_traitsISK_E10value_typeET2_T3_PNSL_ISQ_E10value_typeET4_jRbjT5_SW_jjP12ihipStream_tbEUlT_E0_NS1_11comp_targetILNS1_3genE2ELNS1_11target_archE906ELNS1_3gpuE6ELNS1_3repE0EEENS1_60segmented_radix_sort_warp_sort_medium_config_static_selectorELNS0_4arch9wavefront6targetE1EEEvSK_,comdat
	.globl	_ZN7rocprim17ROCPRIM_400000_NS6detail17trampoline_kernelINS0_14default_configENS1_36segmented_radix_sort_config_selectorIslEEZNS1_25segmented_radix_sort_implIS3_Lb1EPKsPsPKlPlN2at6native12_GLOBAL__N_18offset_tEEE10hipError_tPvRmT1_PNSt15iterator_traitsISK_E10value_typeET2_T3_PNSL_ISQ_E10value_typeET4_jRbjT5_SW_jjP12ihipStream_tbEUlT_E0_NS1_11comp_targetILNS1_3genE2ELNS1_11target_archE906ELNS1_3gpuE6ELNS1_3repE0EEENS1_60segmented_radix_sort_warp_sort_medium_config_static_selectorELNS0_4arch9wavefront6targetE1EEEvSK_ ; -- Begin function _ZN7rocprim17ROCPRIM_400000_NS6detail17trampoline_kernelINS0_14default_configENS1_36segmented_radix_sort_config_selectorIslEEZNS1_25segmented_radix_sort_implIS3_Lb1EPKsPsPKlPlN2at6native12_GLOBAL__N_18offset_tEEE10hipError_tPvRmT1_PNSt15iterator_traitsISK_E10value_typeET2_T3_PNSL_ISQ_E10value_typeET4_jRbjT5_SW_jjP12ihipStream_tbEUlT_E0_NS1_11comp_targetILNS1_3genE2ELNS1_11target_archE906ELNS1_3gpuE6ELNS1_3repE0EEENS1_60segmented_radix_sort_warp_sort_medium_config_static_selectorELNS0_4arch9wavefront6targetE1EEEvSK_
	.p2align	8
	.type	_ZN7rocprim17ROCPRIM_400000_NS6detail17trampoline_kernelINS0_14default_configENS1_36segmented_radix_sort_config_selectorIslEEZNS1_25segmented_radix_sort_implIS3_Lb1EPKsPsPKlPlN2at6native12_GLOBAL__N_18offset_tEEE10hipError_tPvRmT1_PNSt15iterator_traitsISK_E10value_typeET2_T3_PNSL_ISQ_E10value_typeET4_jRbjT5_SW_jjP12ihipStream_tbEUlT_E0_NS1_11comp_targetILNS1_3genE2ELNS1_11target_archE906ELNS1_3gpuE6ELNS1_3repE0EEENS1_60segmented_radix_sort_warp_sort_medium_config_static_selectorELNS0_4arch9wavefront6targetE1EEEvSK_,@function
_ZN7rocprim17ROCPRIM_400000_NS6detail17trampoline_kernelINS0_14default_configENS1_36segmented_radix_sort_config_selectorIslEEZNS1_25segmented_radix_sort_implIS3_Lb1EPKsPsPKlPlN2at6native12_GLOBAL__N_18offset_tEEE10hipError_tPvRmT1_PNSt15iterator_traitsISK_E10value_typeET2_T3_PNSL_ISQ_E10value_typeET4_jRbjT5_SW_jjP12ihipStream_tbEUlT_E0_NS1_11comp_targetILNS1_3genE2ELNS1_11target_archE906ELNS1_3gpuE6ELNS1_3repE0EEENS1_60segmented_radix_sort_warp_sort_medium_config_static_selectorELNS0_4arch9wavefront6targetE1EEEvSK_: ; @_ZN7rocprim17ROCPRIM_400000_NS6detail17trampoline_kernelINS0_14default_configENS1_36segmented_radix_sort_config_selectorIslEEZNS1_25segmented_radix_sort_implIS3_Lb1EPKsPsPKlPlN2at6native12_GLOBAL__N_18offset_tEEE10hipError_tPvRmT1_PNSt15iterator_traitsISK_E10value_typeET2_T3_PNSL_ISQ_E10value_typeET4_jRbjT5_SW_jjP12ihipStream_tbEUlT_E0_NS1_11comp_targetILNS1_3genE2ELNS1_11target_archE906ELNS1_3gpuE6ELNS1_3repE0EEENS1_60segmented_radix_sort_warp_sort_medium_config_static_selectorELNS0_4arch9wavefront6targetE1EEEvSK_
; %bb.0:
	.section	.rodata,"a",@progbits
	.p2align	6, 0x0
	.amdhsa_kernel _ZN7rocprim17ROCPRIM_400000_NS6detail17trampoline_kernelINS0_14default_configENS1_36segmented_radix_sort_config_selectorIslEEZNS1_25segmented_radix_sort_implIS3_Lb1EPKsPsPKlPlN2at6native12_GLOBAL__N_18offset_tEEE10hipError_tPvRmT1_PNSt15iterator_traitsISK_E10value_typeET2_T3_PNSL_ISQ_E10value_typeET4_jRbjT5_SW_jjP12ihipStream_tbEUlT_E0_NS1_11comp_targetILNS1_3genE2ELNS1_11target_archE906ELNS1_3gpuE6ELNS1_3repE0EEENS1_60segmented_radix_sort_warp_sort_medium_config_static_selectorELNS0_4arch9wavefront6targetE1EEEvSK_
		.amdhsa_group_segment_fixed_size 0
		.amdhsa_private_segment_fixed_size 0
		.amdhsa_kernarg_size 88
		.amdhsa_user_sgpr_count 6
		.amdhsa_user_sgpr_private_segment_buffer 1
		.amdhsa_user_sgpr_dispatch_ptr 0
		.amdhsa_user_sgpr_queue_ptr 0
		.amdhsa_user_sgpr_kernarg_segment_ptr 1
		.amdhsa_user_sgpr_dispatch_id 0
		.amdhsa_user_sgpr_flat_scratch_init 0
		.amdhsa_user_sgpr_kernarg_preload_length 0
		.amdhsa_user_sgpr_kernarg_preload_offset 0
		.amdhsa_user_sgpr_private_segment_size 0
		.amdhsa_uses_dynamic_stack 0
		.amdhsa_system_sgpr_private_segment_wavefront_offset 0
		.amdhsa_system_sgpr_workgroup_id_x 1
		.amdhsa_system_sgpr_workgroup_id_y 0
		.amdhsa_system_sgpr_workgroup_id_z 0
		.amdhsa_system_sgpr_workgroup_info 0
		.amdhsa_system_vgpr_workitem_id 0
		.amdhsa_next_free_vgpr 1
		.amdhsa_next_free_sgpr 0
		.amdhsa_accum_offset 4
		.amdhsa_reserve_vcc 0
		.amdhsa_reserve_flat_scratch 0
		.amdhsa_float_round_mode_32 0
		.amdhsa_float_round_mode_16_64 0
		.amdhsa_float_denorm_mode_32 3
		.amdhsa_float_denorm_mode_16_64 3
		.amdhsa_dx10_clamp 1
		.amdhsa_ieee_mode 1
		.amdhsa_fp16_overflow 0
		.amdhsa_tg_split 0
		.amdhsa_exception_fp_ieee_invalid_op 0
		.amdhsa_exception_fp_denorm_src 0
		.amdhsa_exception_fp_ieee_div_zero 0
		.amdhsa_exception_fp_ieee_overflow 0
		.amdhsa_exception_fp_ieee_underflow 0
		.amdhsa_exception_fp_ieee_inexact 0
		.amdhsa_exception_int_div_zero 0
	.end_amdhsa_kernel
	.section	.text._ZN7rocprim17ROCPRIM_400000_NS6detail17trampoline_kernelINS0_14default_configENS1_36segmented_radix_sort_config_selectorIslEEZNS1_25segmented_radix_sort_implIS3_Lb1EPKsPsPKlPlN2at6native12_GLOBAL__N_18offset_tEEE10hipError_tPvRmT1_PNSt15iterator_traitsISK_E10value_typeET2_T3_PNSL_ISQ_E10value_typeET4_jRbjT5_SW_jjP12ihipStream_tbEUlT_E0_NS1_11comp_targetILNS1_3genE2ELNS1_11target_archE906ELNS1_3gpuE6ELNS1_3repE0EEENS1_60segmented_radix_sort_warp_sort_medium_config_static_selectorELNS0_4arch9wavefront6targetE1EEEvSK_,"axG",@progbits,_ZN7rocprim17ROCPRIM_400000_NS6detail17trampoline_kernelINS0_14default_configENS1_36segmented_radix_sort_config_selectorIslEEZNS1_25segmented_radix_sort_implIS3_Lb1EPKsPsPKlPlN2at6native12_GLOBAL__N_18offset_tEEE10hipError_tPvRmT1_PNSt15iterator_traitsISK_E10value_typeET2_T3_PNSL_ISQ_E10value_typeET4_jRbjT5_SW_jjP12ihipStream_tbEUlT_E0_NS1_11comp_targetILNS1_3genE2ELNS1_11target_archE906ELNS1_3gpuE6ELNS1_3repE0EEENS1_60segmented_radix_sort_warp_sort_medium_config_static_selectorELNS0_4arch9wavefront6targetE1EEEvSK_,comdat
.Lfunc_end926:
	.size	_ZN7rocprim17ROCPRIM_400000_NS6detail17trampoline_kernelINS0_14default_configENS1_36segmented_radix_sort_config_selectorIslEEZNS1_25segmented_radix_sort_implIS3_Lb1EPKsPsPKlPlN2at6native12_GLOBAL__N_18offset_tEEE10hipError_tPvRmT1_PNSt15iterator_traitsISK_E10value_typeET2_T3_PNSL_ISQ_E10value_typeET4_jRbjT5_SW_jjP12ihipStream_tbEUlT_E0_NS1_11comp_targetILNS1_3genE2ELNS1_11target_archE906ELNS1_3gpuE6ELNS1_3repE0EEENS1_60segmented_radix_sort_warp_sort_medium_config_static_selectorELNS0_4arch9wavefront6targetE1EEEvSK_, .Lfunc_end926-_ZN7rocprim17ROCPRIM_400000_NS6detail17trampoline_kernelINS0_14default_configENS1_36segmented_radix_sort_config_selectorIslEEZNS1_25segmented_radix_sort_implIS3_Lb1EPKsPsPKlPlN2at6native12_GLOBAL__N_18offset_tEEE10hipError_tPvRmT1_PNSt15iterator_traitsISK_E10value_typeET2_T3_PNSL_ISQ_E10value_typeET4_jRbjT5_SW_jjP12ihipStream_tbEUlT_E0_NS1_11comp_targetILNS1_3genE2ELNS1_11target_archE906ELNS1_3gpuE6ELNS1_3repE0EEENS1_60segmented_radix_sort_warp_sort_medium_config_static_selectorELNS0_4arch9wavefront6targetE1EEEvSK_
                                        ; -- End function
	.section	.AMDGPU.csdata,"",@progbits
; Kernel info:
; codeLenInByte = 0
; NumSgprs: 4
; NumVgprs: 0
; NumAgprs: 0
; TotalNumVgprs: 0
; ScratchSize: 0
; MemoryBound: 0
; FloatMode: 240
; IeeeMode: 1
; LDSByteSize: 0 bytes/workgroup (compile time only)
; SGPRBlocks: 0
; VGPRBlocks: 0
; NumSGPRsForWavesPerEU: 4
; NumVGPRsForWavesPerEU: 1
; AccumOffset: 4
; Occupancy: 8
; WaveLimiterHint : 0
; COMPUTE_PGM_RSRC2:SCRATCH_EN: 0
; COMPUTE_PGM_RSRC2:USER_SGPR: 6
; COMPUTE_PGM_RSRC2:TRAP_HANDLER: 0
; COMPUTE_PGM_RSRC2:TGID_X_EN: 1
; COMPUTE_PGM_RSRC2:TGID_Y_EN: 0
; COMPUTE_PGM_RSRC2:TGID_Z_EN: 0
; COMPUTE_PGM_RSRC2:TIDIG_COMP_CNT: 0
; COMPUTE_PGM_RSRC3_GFX90A:ACCUM_OFFSET: 0
; COMPUTE_PGM_RSRC3_GFX90A:TG_SPLIT: 0
	.section	.text._ZN7rocprim17ROCPRIM_400000_NS6detail17trampoline_kernelINS0_14default_configENS1_36segmented_radix_sort_config_selectorIslEEZNS1_25segmented_radix_sort_implIS3_Lb1EPKsPsPKlPlN2at6native12_GLOBAL__N_18offset_tEEE10hipError_tPvRmT1_PNSt15iterator_traitsISK_E10value_typeET2_T3_PNSL_ISQ_E10value_typeET4_jRbjT5_SW_jjP12ihipStream_tbEUlT_E0_NS1_11comp_targetILNS1_3genE10ELNS1_11target_archE1201ELNS1_3gpuE5ELNS1_3repE0EEENS1_60segmented_radix_sort_warp_sort_medium_config_static_selectorELNS0_4arch9wavefront6targetE1EEEvSK_,"axG",@progbits,_ZN7rocprim17ROCPRIM_400000_NS6detail17trampoline_kernelINS0_14default_configENS1_36segmented_radix_sort_config_selectorIslEEZNS1_25segmented_radix_sort_implIS3_Lb1EPKsPsPKlPlN2at6native12_GLOBAL__N_18offset_tEEE10hipError_tPvRmT1_PNSt15iterator_traitsISK_E10value_typeET2_T3_PNSL_ISQ_E10value_typeET4_jRbjT5_SW_jjP12ihipStream_tbEUlT_E0_NS1_11comp_targetILNS1_3genE10ELNS1_11target_archE1201ELNS1_3gpuE5ELNS1_3repE0EEENS1_60segmented_radix_sort_warp_sort_medium_config_static_selectorELNS0_4arch9wavefront6targetE1EEEvSK_,comdat
	.globl	_ZN7rocprim17ROCPRIM_400000_NS6detail17trampoline_kernelINS0_14default_configENS1_36segmented_radix_sort_config_selectorIslEEZNS1_25segmented_radix_sort_implIS3_Lb1EPKsPsPKlPlN2at6native12_GLOBAL__N_18offset_tEEE10hipError_tPvRmT1_PNSt15iterator_traitsISK_E10value_typeET2_T3_PNSL_ISQ_E10value_typeET4_jRbjT5_SW_jjP12ihipStream_tbEUlT_E0_NS1_11comp_targetILNS1_3genE10ELNS1_11target_archE1201ELNS1_3gpuE5ELNS1_3repE0EEENS1_60segmented_radix_sort_warp_sort_medium_config_static_selectorELNS0_4arch9wavefront6targetE1EEEvSK_ ; -- Begin function _ZN7rocprim17ROCPRIM_400000_NS6detail17trampoline_kernelINS0_14default_configENS1_36segmented_radix_sort_config_selectorIslEEZNS1_25segmented_radix_sort_implIS3_Lb1EPKsPsPKlPlN2at6native12_GLOBAL__N_18offset_tEEE10hipError_tPvRmT1_PNSt15iterator_traitsISK_E10value_typeET2_T3_PNSL_ISQ_E10value_typeET4_jRbjT5_SW_jjP12ihipStream_tbEUlT_E0_NS1_11comp_targetILNS1_3genE10ELNS1_11target_archE1201ELNS1_3gpuE5ELNS1_3repE0EEENS1_60segmented_radix_sort_warp_sort_medium_config_static_selectorELNS0_4arch9wavefront6targetE1EEEvSK_
	.p2align	8
	.type	_ZN7rocprim17ROCPRIM_400000_NS6detail17trampoline_kernelINS0_14default_configENS1_36segmented_radix_sort_config_selectorIslEEZNS1_25segmented_radix_sort_implIS3_Lb1EPKsPsPKlPlN2at6native12_GLOBAL__N_18offset_tEEE10hipError_tPvRmT1_PNSt15iterator_traitsISK_E10value_typeET2_T3_PNSL_ISQ_E10value_typeET4_jRbjT5_SW_jjP12ihipStream_tbEUlT_E0_NS1_11comp_targetILNS1_3genE10ELNS1_11target_archE1201ELNS1_3gpuE5ELNS1_3repE0EEENS1_60segmented_radix_sort_warp_sort_medium_config_static_selectorELNS0_4arch9wavefront6targetE1EEEvSK_,@function
_ZN7rocprim17ROCPRIM_400000_NS6detail17trampoline_kernelINS0_14default_configENS1_36segmented_radix_sort_config_selectorIslEEZNS1_25segmented_radix_sort_implIS3_Lb1EPKsPsPKlPlN2at6native12_GLOBAL__N_18offset_tEEE10hipError_tPvRmT1_PNSt15iterator_traitsISK_E10value_typeET2_T3_PNSL_ISQ_E10value_typeET4_jRbjT5_SW_jjP12ihipStream_tbEUlT_E0_NS1_11comp_targetILNS1_3genE10ELNS1_11target_archE1201ELNS1_3gpuE5ELNS1_3repE0EEENS1_60segmented_radix_sort_warp_sort_medium_config_static_selectorELNS0_4arch9wavefront6targetE1EEEvSK_: ; @_ZN7rocprim17ROCPRIM_400000_NS6detail17trampoline_kernelINS0_14default_configENS1_36segmented_radix_sort_config_selectorIslEEZNS1_25segmented_radix_sort_implIS3_Lb1EPKsPsPKlPlN2at6native12_GLOBAL__N_18offset_tEEE10hipError_tPvRmT1_PNSt15iterator_traitsISK_E10value_typeET2_T3_PNSL_ISQ_E10value_typeET4_jRbjT5_SW_jjP12ihipStream_tbEUlT_E0_NS1_11comp_targetILNS1_3genE10ELNS1_11target_archE1201ELNS1_3gpuE5ELNS1_3repE0EEENS1_60segmented_radix_sort_warp_sort_medium_config_static_selectorELNS0_4arch9wavefront6targetE1EEEvSK_
; %bb.0:
	.section	.rodata,"a",@progbits
	.p2align	6, 0x0
	.amdhsa_kernel _ZN7rocprim17ROCPRIM_400000_NS6detail17trampoline_kernelINS0_14default_configENS1_36segmented_radix_sort_config_selectorIslEEZNS1_25segmented_radix_sort_implIS3_Lb1EPKsPsPKlPlN2at6native12_GLOBAL__N_18offset_tEEE10hipError_tPvRmT1_PNSt15iterator_traitsISK_E10value_typeET2_T3_PNSL_ISQ_E10value_typeET4_jRbjT5_SW_jjP12ihipStream_tbEUlT_E0_NS1_11comp_targetILNS1_3genE10ELNS1_11target_archE1201ELNS1_3gpuE5ELNS1_3repE0EEENS1_60segmented_radix_sort_warp_sort_medium_config_static_selectorELNS0_4arch9wavefront6targetE1EEEvSK_
		.amdhsa_group_segment_fixed_size 0
		.amdhsa_private_segment_fixed_size 0
		.amdhsa_kernarg_size 88
		.amdhsa_user_sgpr_count 6
		.amdhsa_user_sgpr_private_segment_buffer 1
		.amdhsa_user_sgpr_dispatch_ptr 0
		.amdhsa_user_sgpr_queue_ptr 0
		.amdhsa_user_sgpr_kernarg_segment_ptr 1
		.amdhsa_user_sgpr_dispatch_id 0
		.amdhsa_user_sgpr_flat_scratch_init 0
		.amdhsa_user_sgpr_kernarg_preload_length 0
		.amdhsa_user_sgpr_kernarg_preload_offset 0
		.amdhsa_user_sgpr_private_segment_size 0
		.amdhsa_uses_dynamic_stack 0
		.amdhsa_system_sgpr_private_segment_wavefront_offset 0
		.amdhsa_system_sgpr_workgroup_id_x 1
		.amdhsa_system_sgpr_workgroup_id_y 0
		.amdhsa_system_sgpr_workgroup_id_z 0
		.amdhsa_system_sgpr_workgroup_info 0
		.amdhsa_system_vgpr_workitem_id 0
		.amdhsa_next_free_vgpr 1
		.amdhsa_next_free_sgpr 0
		.amdhsa_accum_offset 4
		.amdhsa_reserve_vcc 0
		.amdhsa_reserve_flat_scratch 0
		.amdhsa_float_round_mode_32 0
		.amdhsa_float_round_mode_16_64 0
		.amdhsa_float_denorm_mode_32 3
		.amdhsa_float_denorm_mode_16_64 3
		.amdhsa_dx10_clamp 1
		.amdhsa_ieee_mode 1
		.amdhsa_fp16_overflow 0
		.amdhsa_tg_split 0
		.amdhsa_exception_fp_ieee_invalid_op 0
		.amdhsa_exception_fp_denorm_src 0
		.amdhsa_exception_fp_ieee_div_zero 0
		.amdhsa_exception_fp_ieee_overflow 0
		.amdhsa_exception_fp_ieee_underflow 0
		.amdhsa_exception_fp_ieee_inexact 0
		.amdhsa_exception_int_div_zero 0
	.end_amdhsa_kernel
	.section	.text._ZN7rocprim17ROCPRIM_400000_NS6detail17trampoline_kernelINS0_14default_configENS1_36segmented_radix_sort_config_selectorIslEEZNS1_25segmented_radix_sort_implIS3_Lb1EPKsPsPKlPlN2at6native12_GLOBAL__N_18offset_tEEE10hipError_tPvRmT1_PNSt15iterator_traitsISK_E10value_typeET2_T3_PNSL_ISQ_E10value_typeET4_jRbjT5_SW_jjP12ihipStream_tbEUlT_E0_NS1_11comp_targetILNS1_3genE10ELNS1_11target_archE1201ELNS1_3gpuE5ELNS1_3repE0EEENS1_60segmented_radix_sort_warp_sort_medium_config_static_selectorELNS0_4arch9wavefront6targetE1EEEvSK_,"axG",@progbits,_ZN7rocprim17ROCPRIM_400000_NS6detail17trampoline_kernelINS0_14default_configENS1_36segmented_radix_sort_config_selectorIslEEZNS1_25segmented_radix_sort_implIS3_Lb1EPKsPsPKlPlN2at6native12_GLOBAL__N_18offset_tEEE10hipError_tPvRmT1_PNSt15iterator_traitsISK_E10value_typeET2_T3_PNSL_ISQ_E10value_typeET4_jRbjT5_SW_jjP12ihipStream_tbEUlT_E0_NS1_11comp_targetILNS1_3genE10ELNS1_11target_archE1201ELNS1_3gpuE5ELNS1_3repE0EEENS1_60segmented_radix_sort_warp_sort_medium_config_static_selectorELNS0_4arch9wavefront6targetE1EEEvSK_,comdat
.Lfunc_end927:
	.size	_ZN7rocprim17ROCPRIM_400000_NS6detail17trampoline_kernelINS0_14default_configENS1_36segmented_radix_sort_config_selectorIslEEZNS1_25segmented_radix_sort_implIS3_Lb1EPKsPsPKlPlN2at6native12_GLOBAL__N_18offset_tEEE10hipError_tPvRmT1_PNSt15iterator_traitsISK_E10value_typeET2_T3_PNSL_ISQ_E10value_typeET4_jRbjT5_SW_jjP12ihipStream_tbEUlT_E0_NS1_11comp_targetILNS1_3genE10ELNS1_11target_archE1201ELNS1_3gpuE5ELNS1_3repE0EEENS1_60segmented_radix_sort_warp_sort_medium_config_static_selectorELNS0_4arch9wavefront6targetE1EEEvSK_, .Lfunc_end927-_ZN7rocprim17ROCPRIM_400000_NS6detail17trampoline_kernelINS0_14default_configENS1_36segmented_radix_sort_config_selectorIslEEZNS1_25segmented_radix_sort_implIS3_Lb1EPKsPsPKlPlN2at6native12_GLOBAL__N_18offset_tEEE10hipError_tPvRmT1_PNSt15iterator_traitsISK_E10value_typeET2_T3_PNSL_ISQ_E10value_typeET4_jRbjT5_SW_jjP12ihipStream_tbEUlT_E0_NS1_11comp_targetILNS1_3genE10ELNS1_11target_archE1201ELNS1_3gpuE5ELNS1_3repE0EEENS1_60segmented_radix_sort_warp_sort_medium_config_static_selectorELNS0_4arch9wavefront6targetE1EEEvSK_
                                        ; -- End function
	.section	.AMDGPU.csdata,"",@progbits
; Kernel info:
; codeLenInByte = 0
; NumSgprs: 4
; NumVgprs: 0
; NumAgprs: 0
; TotalNumVgprs: 0
; ScratchSize: 0
; MemoryBound: 0
; FloatMode: 240
; IeeeMode: 1
; LDSByteSize: 0 bytes/workgroup (compile time only)
; SGPRBlocks: 0
; VGPRBlocks: 0
; NumSGPRsForWavesPerEU: 4
; NumVGPRsForWavesPerEU: 1
; AccumOffset: 4
; Occupancy: 8
; WaveLimiterHint : 0
; COMPUTE_PGM_RSRC2:SCRATCH_EN: 0
; COMPUTE_PGM_RSRC2:USER_SGPR: 6
; COMPUTE_PGM_RSRC2:TRAP_HANDLER: 0
; COMPUTE_PGM_RSRC2:TGID_X_EN: 1
; COMPUTE_PGM_RSRC2:TGID_Y_EN: 0
; COMPUTE_PGM_RSRC2:TGID_Z_EN: 0
; COMPUTE_PGM_RSRC2:TIDIG_COMP_CNT: 0
; COMPUTE_PGM_RSRC3_GFX90A:ACCUM_OFFSET: 0
; COMPUTE_PGM_RSRC3_GFX90A:TG_SPLIT: 0
	.section	.text._ZN7rocprim17ROCPRIM_400000_NS6detail17trampoline_kernelINS0_14default_configENS1_36segmented_radix_sort_config_selectorIslEEZNS1_25segmented_radix_sort_implIS3_Lb1EPKsPsPKlPlN2at6native12_GLOBAL__N_18offset_tEEE10hipError_tPvRmT1_PNSt15iterator_traitsISK_E10value_typeET2_T3_PNSL_ISQ_E10value_typeET4_jRbjT5_SW_jjP12ihipStream_tbEUlT_E0_NS1_11comp_targetILNS1_3genE10ELNS1_11target_archE1200ELNS1_3gpuE4ELNS1_3repE0EEENS1_60segmented_radix_sort_warp_sort_medium_config_static_selectorELNS0_4arch9wavefront6targetE1EEEvSK_,"axG",@progbits,_ZN7rocprim17ROCPRIM_400000_NS6detail17trampoline_kernelINS0_14default_configENS1_36segmented_radix_sort_config_selectorIslEEZNS1_25segmented_radix_sort_implIS3_Lb1EPKsPsPKlPlN2at6native12_GLOBAL__N_18offset_tEEE10hipError_tPvRmT1_PNSt15iterator_traitsISK_E10value_typeET2_T3_PNSL_ISQ_E10value_typeET4_jRbjT5_SW_jjP12ihipStream_tbEUlT_E0_NS1_11comp_targetILNS1_3genE10ELNS1_11target_archE1200ELNS1_3gpuE4ELNS1_3repE0EEENS1_60segmented_radix_sort_warp_sort_medium_config_static_selectorELNS0_4arch9wavefront6targetE1EEEvSK_,comdat
	.globl	_ZN7rocprim17ROCPRIM_400000_NS6detail17trampoline_kernelINS0_14default_configENS1_36segmented_radix_sort_config_selectorIslEEZNS1_25segmented_radix_sort_implIS3_Lb1EPKsPsPKlPlN2at6native12_GLOBAL__N_18offset_tEEE10hipError_tPvRmT1_PNSt15iterator_traitsISK_E10value_typeET2_T3_PNSL_ISQ_E10value_typeET4_jRbjT5_SW_jjP12ihipStream_tbEUlT_E0_NS1_11comp_targetILNS1_3genE10ELNS1_11target_archE1200ELNS1_3gpuE4ELNS1_3repE0EEENS1_60segmented_radix_sort_warp_sort_medium_config_static_selectorELNS0_4arch9wavefront6targetE1EEEvSK_ ; -- Begin function _ZN7rocprim17ROCPRIM_400000_NS6detail17trampoline_kernelINS0_14default_configENS1_36segmented_radix_sort_config_selectorIslEEZNS1_25segmented_radix_sort_implIS3_Lb1EPKsPsPKlPlN2at6native12_GLOBAL__N_18offset_tEEE10hipError_tPvRmT1_PNSt15iterator_traitsISK_E10value_typeET2_T3_PNSL_ISQ_E10value_typeET4_jRbjT5_SW_jjP12ihipStream_tbEUlT_E0_NS1_11comp_targetILNS1_3genE10ELNS1_11target_archE1200ELNS1_3gpuE4ELNS1_3repE0EEENS1_60segmented_radix_sort_warp_sort_medium_config_static_selectorELNS0_4arch9wavefront6targetE1EEEvSK_
	.p2align	8
	.type	_ZN7rocprim17ROCPRIM_400000_NS6detail17trampoline_kernelINS0_14default_configENS1_36segmented_radix_sort_config_selectorIslEEZNS1_25segmented_radix_sort_implIS3_Lb1EPKsPsPKlPlN2at6native12_GLOBAL__N_18offset_tEEE10hipError_tPvRmT1_PNSt15iterator_traitsISK_E10value_typeET2_T3_PNSL_ISQ_E10value_typeET4_jRbjT5_SW_jjP12ihipStream_tbEUlT_E0_NS1_11comp_targetILNS1_3genE10ELNS1_11target_archE1200ELNS1_3gpuE4ELNS1_3repE0EEENS1_60segmented_radix_sort_warp_sort_medium_config_static_selectorELNS0_4arch9wavefront6targetE1EEEvSK_,@function
_ZN7rocprim17ROCPRIM_400000_NS6detail17trampoline_kernelINS0_14default_configENS1_36segmented_radix_sort_config_selectorIslEEZNS1_25segmented_radix_sort_implIS3_Lb1EPKsPsPKlPlN2at6native12_GLOBAL__N_18offset_tEEE10hipError_tPvRmT1_PNSt15iterator_traitsISK_E10value_typeET2_T3_PNSL_ISQ_E10value_typeET4_jRbjT5_SW_jjP12ihipStream_tbEUlT_E0_NS1_11comp_targetILNS1_3genE10ELNS1_11target_archE1200ELNS1_3gpuE4ELNS1_3repE0EEENS1_60segmented_radix_sort_warp_sort_medium_config_static_selectorELNS0_4arch9wavefront6targetE1EEEvSK_: ; @_ZN7rocprim17ROCPRIM_400000_NS6detail17trampoline_kernelINS0_14default_configENS1_36segmented_radix_sort_config_selectorIslEEZNS1_25segmented_radix_sort_implIS3_Lb1EPKsPsPKlPlN2at6native12_GLOBAL__N_18offset_tEEE10hipError_tPvRmT1_PNSt15iterator_traitsISK_E10value_typeET2_T3_PNSL_ISQ_E10value_typeET4_jRbjT5_SW_jjP12ihipStream_tbEUlT_E0_NS1_11comp_targetILNS1_3genE10ELNS1_11target_archE1200ELNS1_3gpuE4ELNS1_3repE0EEENS1_60segmented_radix_sort_warp_sort_medium_config_static_selectorELNS0_4arch9wavefront6targetE1EEEvSK_
; %bb.0:
	.section	.rodata,"a",@progbits
	.p2align	6, 0x0
	.amdhsa_kernel _ZN7rocprim17ROCPRIM_400000_NS6detail17trampoline_kernelINS0_14default_configENS1_36segmented_radix_sort_config_selectorIslEEZNS1_25segmented_radix_sort_implIS3_Lb1EPKsPsPKlPlN2at6native12_GLOBAL__N_18offset_tEEE10hipError_tPvRmT1_PNSt15iterator_traitsISK_E10value_typeET2_T3_PNSL_ISQ_E10value_typeET4_jRbjT5_SW_jjP12ihipStream_tbEUlT_E0_NS1_11comp_targetILNS1_3genE10ELNS1_11target_archE1200ELNS1_3gpuE4ELNS1_3repE0EEENS1_60segmented_radix_sort_warp_sort_medium_config_static_selectorELNS0_4arch9wavefront6targetE1EEEvSK_
		.amdhsa_group_segment_fixed_size 0
		.amdhsa_private_segment_fixed_size 0
		.amdhsa_kernarg_size 88
		.amdhsa_user_sgpr_count 6
		.amdhsa_user_sgpr_private_segment_buffer 1
		.amdhsa_user_sgpr_dispatch_ptr 0
		.amdhsa_user_sgpr_queue_ptr 0
		.amdhsa_user_sgpr_kernarg_segment_ptr 1
		.amdhsa_user_sgpr_dispatch_id 0
		.amdhsa_user_sgpr_flat_scratch_init 0
		.amdhsa_user_sgpr_kernarg_preload_length 0
		.amdhsa_user_sgpr_kernarg_preload_offset 0
		.amdhsa_user_sgpr_private_segment_size 0
		.amdhsa_uses_dynamic_stack 0
		.amdhsa_system_sgpr_private_segment_wavefront_offset 0
		.amdhsa_system_sgpr_workgroup_id_x 1
		.amdhsa_system_sgpr_workgroup_id_y 0
		.amdhsa_system_sgpr_workgroup_id_z 0
		.amdhsa_system_sgpr_workgroup_info 0
		.amdhsa_system_vgpr_workitem_id 0
		.amdhsa_next_free_vgpr 1
		.amdhsa_next_free_sgpr 0
		.amdhsa_accum_offset 4
		.amdhsa_reserve_vcc 0
		.amdhsa_reserve_flat_scratch 0
		.amdhsa_float_round_mode_32 0
		.amdhsa_float_round_mode_16_64 0
		.amdhsa_float_denorm_mode_32 3
		.amdhsa_float_denorm_mode_16_64 3
		.amdhsa_dx10_clamp 1
		.amdhsa_ieee_mode 1
		.amdhsa_fp16_overflow 0
		.amdhsa_tg_split 0
		.amdhsa_exception_fp_ieee_invalid_op 0
		.amdhsa_exception_fp_denorm_src 0
		.amdhsa_exception_fp_ieee_div_zero 0
		.amdhsa_exception_fp_ieee_overflow 0
		.amdhsa_exception_fp_ieee_underflow 0
		.amdhsa_exception_fp_ieee_inexact 0
		.amdhsa_exception_int_div_zero 0
	.end_amdhsa_kernel
	.section	.text._ZN7rocprim17ROCPRIM_400000_NS6detail17trampoline_kernelINS0_14default_configENS1_36segmented_radix_sort_config_selectorIslEEZNS1_25segmented_radix_sort_implIS3_Lb1EPKsPsPKlPlN2at6native12_GLOBAL__N_18offset_tEEE10hipError_tPvRmT1_PNSt15iterator_traitsISK_E10value_typeET2_T3_PNSL_ISQ_E10value_typeET4_jRbjT5_SW_jjP12ihipStream_tbEUlT_E0_NS1_11comp_targetILNS1_3genE10ELNS1_11target_archE1200ELNS1_3gpuE4ELNS1_3repE0EEENS1_60segmented_radix_sort_warp_sort_medium_config_static_selectorELNS0_4arch9wavefront6targetE1EEEvSK_,"axG",@progbits,_ZN7rocprim17ROCPRIM_400000_NS6detail17trampoline_kernelINS0_14default_configENS1_36segmented_radix_sort_config_selectorIslEEZNS1_25segmented_radix_sort_implIS3_Lb1EPKsPsPKlPlN2at6native12_GLOBAL__N_18offset_tEEE10hipError_tPvRmT1_PNSt15iterator_traitsISK_E10value_typeET2_T3_PNSL_ISQ_E10value_typeET4_jRbjT5_SW_jjP12ihipStream_tbEUlT_E0_NS1_11comp_targetILNS1_3genE10ELNS1_11target_archE1200ELNS1_3gpuE4ELNS1_3repE0EEENS1_60segmented_radix_sort_warp_sort_medium_config_static_selectorELNS0_4arch9wavefront6targetE1EEEvSK_,comdat
.Lfunc_end928:
	.size	_ZN7rocprim17ROCPRIM_400000_NS6detail17trampoline_kernelINS0_14default_configENS1_36segmented_radix_sort_config_selectorIslEEZNS1_25segmented_radix_sort_implIS3_Lb1EPKsPsPKlPlN2at6native12_GLOBAL__N_18offset_tEEE10hipError_tPvRmT1_PNSt15iterator_traitsISK_E10value_typeET2_T3_PNSL_ISQ_E10value_typeET4_jRbjT5_SW_jjP12ihipStream_tbEUlT_E0_NS1_11comp_targetILNS1_3genE10ELNS1_11target_archE1200ELNS1_3gpuE4ELNS1_3repE0EEENS1_60segmented_radix_sort_warp_sort_medium_config_static_selectorELNS0_4arch9wavefront6targetE1EEEvSK_, .Lfunc_end928-_ZN7rocprim17ROCPRIM_400000_NS6detail17trampoline_kernelINS0_14default_configENS1_36segmented_radix_sort_config_selectorIslEEZNS1_25segmented_radix_sort_implIS3_Lb1EPKsPsPKlPlN2at6native12_GLOBAL__N_18offset_tEEE10hipError_tPvRmT1_PNSt15iterator_traitsISK_E10value_typeET2_T3_PNSL_ISQ_E10value_typeET4_jRbjT5_SW_jjP12ihipStream_tbEUlT_E0_NS1_11comp_targetILNS1_3genE10ELNS1_11target_archE1200ELNS1_3gpuE4ELNS1_3repE0EEENS1_60segmented_radix_sort_warp_sort_medium_config_static_selectorELNS0_4arch9wavefront6targetE1EEEvSK_
                                        ; -- End function
	.section	.AMDGPU.csdata,"",@progbits
; Kernel info:
; codeLenInByte = 0
; NumSgprs: 4
; NumVgprs: 0
; NumAgprs: 0
; TotalNumVgprs: 0
; ScratchSize: 0
; MemoryBound: 0
; FloatMode: 240
; IeeeMode: 1
; LDSByteSize: 0 bytes/workgroup (compile time only)
; SGPRBlocks: 0
; VGPRBlocks: 0
; NumSGPRsForWavesPerEU: 4
; NumVGPRsForWavesPerEU: 1
; AccumOffset: 4
; Occupancy: 8
; WaveLimiterHint : 0
; COMPUTE_PGM_RSRC2:SCRATCH_EN: 0
; COMPUTE_PGM_RSRC2:USER_SGPR: 6
; COMPUTE_PGM_RSRC2:TRAP_HANDLER: 0
; COMPUTE_PGM_RSRC2:TGID_X_EN: 1
; COMPUTE_PGM_RSRC2:TGID_Y_EN: 0
; COMPUTE_PGM_RSRC2:TGID_Z_EN: 0
; COMPUTE_PGM_RSRC2:TIDIG_COMP_CNT: 0
; COMPUTE_PGM_RSRC3_GFX90A:ACCUM_OFFSET: 0
; COMPUTE_PGM_RSRC3_GFX90A:TG_SPLIT: 0
	.section	.text._ZN7rocprim17ROCPRIM_400000_NS6detail17trampoline_kernelINS0_14default_configENS1_36segmented_radix_sort_config_selectorIslEEZNS1_25segmented_radix_sort_implIS3_Lb1EPKsPsPKlPlN2at6native12_GLOBAL__N_18offset_tEEE10hipError_tPvRmT1_PNSt15iterator_traitsISK_E10value_typeET2_T3_PNSL_ISQ_E10value_typeET4_jRbjT5_SW_jjP12ihipStream_tbEUlT_E0_NS1_11comp_targetILNS1_3genE9ELNS1_11target_archE1100ELNS1_3gpuE3ELNS1_3repE0EEENS1_60segmented_radix_sort_warp_sort_medium_config_static_selectorELNS0_4arch9wavefront6targetE1EEEvSK_,"axG",@progbits,_ZN7rocprim17ROCPRIM_400000_NS6detail17trampoline_kernelINS0_14default_configENS1_36segmented_radix_sort_config_selectorIslEEZNS1_25segmented_radix_sort_implIS3_Lb1EPKsPsPKlPlN2at6native12_GLOBAL__N_18offset_tEEE10hipError_tPvRmT1_PNSt15iterator_traitsISK_E10value_typeET2_T3_PNSL_ISQ_E10value_typeET4_jRbjT5_SW_jjP12ihipStream_tbEUlT_E0_NS1_11comp_targetILNS1_3genE9ELNS1_11target_archE1100ELNS1_3gpuE3ELNS1_3repE0EEENS1_60segmented_radix_sort_warp_sort_medium_config_static_selectorELNS0_4arch9wavefront6targetE1EEEvSK_,comdat
	.globl	_ZN7rocprim17ROCPRIM_400000_NS6detail17trampoline_kernelINS0_14default_configENS1_36segmented_radix_sort_config_selectorIslEEZNS1_25segmented_radix_sort_implIS3_Lb1EPKsPsPKlPlN2at6native12_GLOBAL__N_18offset_tEEE10hipError_tPvRmT1_PNSt15iterator_traitsISK_E10value_typeET2_T3_PNSL_ISQ_E10value_typeET4_jRbjT5_SW_jjP12ihipStream_tbEUlT_E0_NS1_11comp_targetILNS1_3genE9ELNS1_11target_archE1100ELNS1_3gpuE3ELNS1_3repE0EEENS1_60segmented_radix_sort_warp_sort_medium_config_static_selectorELNS0_4arch9wavefront6targetE1EEEvSK_ ; -- Begin function _ZN7rocprim17ROCPRIM_400000_NS6detail17trampoline_kernelINS0_14default_configENS1_36segmented_radix_sort_config_selectorIslEEZNS1_25segmented_radix_sort_implIS3_Lb1EPKsPsPKlPlN2at6native12_GLOBAL__N_18offset_tEEE10hipError_tPvRmT1_PNSt15iterator_traitsISK_E10value_typeET2_T3_PNSL_ISQ_E10value_typeET4_jRbjT5_SW_jjP12ihipStream_tbEUlT_E0_NS1_11comp_targetILNS1_3genE9ELNS1_11target_archE1100ELNS1_3gpuE3ELNS1_3repE0EEENS1_60segmented_radix_sort_warp_sort_medium_config_static_selectorELNS0_4arch9wavefront6targetE1EEEvSK_
	.p2align	8
	.type	_ZN7rocprim17ROCPRIM_400000_NS6detail17trampoline_kernelINS0_14default_configENS1_36segmented_radix_sort_config_selectorIslEEZNS1_25segmented_radix_sort_implIS3_Lb1EPKsPsPKlPlN2at6native12_GLOBAL__N_18offset_tEEE10hipError_tPvRmT1_PNSt15iterator_traitsISK_E10value_typeET2_T3_PNSL_ISQ_E10value_typeET4_jRbjT5_SW_jjP12ihipStream_tbEUlT_E0_NS1_11comp_targetILNS1_3genE9ELNS1_11target_archE1100ELNS1_3gpuE3ELNS1_3repE0EEENS1_60segmented_radix_sort_warp_sort_medium_config_static_selectorELNS0_4arch9wavefront6targetE1EEEvSK_,@function
_ZN7rocprim17ROCPRIM_400000_NS6detail17trampoline_kernelINS0_14default_configENS1_36segmented_radix_sort_config_selectorIslEEZNS1_25segmented_radix_sort_implIS3_Lb1EPKsPsPKlPlN2at6native12_GLOBAL__N_18offset_tEEE10hipError_tPvRmT1_PNSt15iterator_traitsISK_E10value_typeET2_T3_PNSL_ISQ_E10value_typeET4_jRbjT5_SW_jjP12ihipStream_tbEUlT_E0_NS1_11comp_targetILNS1_3genE9ELNS1_11target_archE1100ELNS1_3gpuE3ELNS1_3repE0EEENS1_60segmented_radix_sort_warp_sort_medium_config_static_selectorELNS0_4arch9wavefront6targetE1EEEvSK_: ; @_ZN7rocprim17ROCPRIM_400000_NS6detail17trampoline_kernelINS0_14default_configENS1_36segmented_radix_sort_config_selectorIslEEZNS1_25segmented_radix_sort_implIS3_Lb1EPKsPsPKlPlN2at6native12_GLOBAL__N_18offset_tEEE10hipError_tPvRmT1_PNSt15iterator_traitsISK_E10value_typeET2_T3_PNSL_ISQ_E10value_typeET4_jRbjT5_SW_jjP12ihipStream_tbEUlT_E0_NS1_11comp_targetILNS1_3genE9ELNS1_11target_archE1100ELNS1_3gpuE3ELNS1_3repE0EEENS1_60segmented_radix_sort_warp_sort_medium_config_static_selectorELNS0_4arch9wavefront6targetE1EEEvSK_
; %bb.0:
	.section	.rodata,"a",@progbits
	.p2align	6, 0x0
	.amdhsa_kernel _ZN7rocprim17ROCPRIM_400000_NS6detail17trampoline_kernelINS0_14default_configENS1_36segmented_radix_sort_config_selectorIslEEZNS1_25segmented_radix_sort_implIS3_Lb1EPKsPsPKlPlN2at6native12_GLOBAL__N_18offset_tEEE10hipError_tPvRmT1_PNSt15iterator_traitsISK_E10value_typeET2_T3_PNSL_ISQ_E10value_typeET4_jRbjT5_SW_jjP12ihipStream_tbEUlT_E0_NS1_11comp_targetILNS1_3genE9ELNS1_11target_archE1100ELNS1_3gpuE3ELNS1_3repE0EEENS1_60segmented_radix_sort_warp_sort_medium_config_static_selectorELNS0_4arch9wavefront6targetE1EEEvSK_
		.amdhsa_group_segment_fixed_size 0
		.amdhsa_private_segment_fixed_size 0
		.amdhsa_kernarg_size 88
		.amdhsa_user_sgpr_count 6
		.amdhsa_user_sgpr_private_segment_buffer 1
		.amdhsa_user_sgpr_dispatch_ptr 0
		.amdhsa_user_sgpr_queue_ptr 0
		.amdhsa_user_sgpr_kernarg_segment_ptr 1
		.amdhsa_user_sgpr_dispatch_id 0
		.amdhsa_user_sgpr_flat_scratch_init 0
		.amdhsa_user_sgpr_kernarg_preload_length 0
		.amdhsa_user_sgpr_kernarg_preload_offset 0
		.amdhsa_user_sgpr_private_segment_size 0
		.amdhsa_uses_dynamic_stack 0
		.amdhsa_system_sgpr_private_segment_wavefront_offset 0
		.amdhsa_system_sgpr_workgroup_id_x 1
		.amdhsa_system_sgpr_workgroup_id_y 0
		.amdhsa_system_sgpr_workgroup_id_z 0
		.amdhsa_system_sgpr_workgroup_info 0
		.amdhsa_system_vgpr_workitem_id 0
		.amdhsa_next_free_vgpr 1
		.amdhsa_next_free_sgpr 0
		.amdhsa_accum_offset 4
		.amdhsa_reserve_vcc 0
		.amdhsa_reserve_flat_scratch 0
		.amdhsa_float_round_mode_32 0
		.amdhsa_float_round_mode_16_64 0
		.amdhsa_float_denorm_mode_32 3
		.amdhsa_float_denorm_mode_16_64 3
		.amdhsa_dx10_clamp 1
		.amdhsa_ieee_mode 1
		.amdhsa_fp16_overflow 0
		.amdhsa_tg_split 0
		.amdhsa_exception_fp_ieee_invalid_op 0
		.amdhsa_exception_fp_denorm_src 0
		.amdhsa_exception_fp_ieee_div_zero 0
		.amdhsa_exception_fp_ieee_overflow 0
		.amdhsa_exception_fp_ieee_underflow 0
		.amdhsa_exception_fp_ieee_inexact 0
		.amdhsa_exception_int_div_zero 0
	.end_amdhsa_kernel
	.section	.text._ZN7rocprim17ROCPRIM_400000_NS6detail17trampoline_kernelINS0_14default_configENS1_36segmented_radix_sort_config_selectorIslEEZNS1_25segmented_radix_sort_implIS3_Lb1EPKsPsPKlPlN2at6native12_GLOBAL__N_18offset_tEEE10hipError_tPvRmT1_PNSt15iterator_traitsISK_E10value_typeET2_T3_PNSL_ISQ_E10value_typeET4_jRbjT5_SW_jjP12ihipStream_tbEUlT_E0_NS1_11comp_targetILNS1_3genE9ELNS1_11target_archE1100ELNS1_3gpuE3ELNS1_3repE0EEENS1_60segmented_radix_sort_warp_sort_medium_config_static_selectorELNS0_4arch9wavefront6targetE1EEEvSK_,"axG",@progbits,_ZN7rocprim17ROCPRIM_400000_NS6detail17trampoline_kernelINS0_14default_configENS1_36segmented_radix_sort_config_selectorIslEEZNS1_25segmented_radix_sort_implIS3_Lb1EPKsPsPKlPlN2at6native12_GLOBAL__N_18offset_tEEE10hipError_tPvRmT1_PNSt15iterator_traitsISK_E10value_typeET2_T3_PNSL_ISQ_E10value_typeET4_jRbjT5_SW_jjP12ihipStream_tbEUlT_E0_NS1_11comp_targetILNS1_3genE9ELNS1_11target_archE1100ELNS1_3gpuE3ELNS1_3repE0EEENS1_60segmented_radix_sort_warp_sort_medium_config_static_selectorELNS0_4arch9wavefront6targetE1EEEvSK_,comdat
.Lfunc_end929:
	.size	_ZN7rocprim17ROCPRIM_400000_NS6detail17trampoline_kernelINS0_14default_configENS1_36segmented_radix_sort_config_selectorIslEEZNS1_25segmented_radix_sort_implIS3_Lb1EPKsPsPKlPlN2at6native12_GLOBAL__N_18offset_tEEE10hipError_tPvRmT1_PNSt15iterator_traitsISK_E10value_typeET2_T3_PNSL_ISQ_E10value_typeET4_jRbjT5_SW_jjP12ihipStream_tbEUlT_E0_NS1_11comp_targetILNS1_3genE9ELNS1_11target_archE1100ELNS1_3gpuE3ELNS1_3repE0EEENS1_60segmented_radix_sort_warp_sort_medium_config_static_selectorELNS0_4arch9wavefront6targetE1EEEvSK_, .Lfunc_end929-_ZN7rocprim17ROCPRIM_400000_NS6detail17trampoline_kernelINS0_14default_configENS1_36segmented_radix_sort_config_selectorIslEEZNS1_25segmented_radix_sort_implIS3_Lb1EPKsPsPKlPlN2at6native12_GLOBAL__N_18offset_tEEE10hipError_tPvRmT1_PNSt15iterator_traitsISK_E10value_typeET2_T3_PNSL_ISQ_E10value_typeET4_jRbjT5_SW_jjP12ihipStream_tbEUlT_E0_NS1_11comp_targetILNS1_3genE9ELNS1_11target_archE1100ELNS1_3gpuE3ELNS1_3repE0EEENS1_60segmented_radix_sort_warp_sort_medium_config_static_selectorELNS0_4arch9wavefront6targetE1EEEvSK_
                                        ; -- End function
	.section	.AMDGPU.csdata,"",@progbits
; Kernel info:
; codeLenInByte = 0
; NumSgprs: 4
; NumVgprs: 0
; NumAgprs: 0
; TotalNumVgprs: 0
; ScratchSize: 0
; MemoryBound: 0
; FloatMode: 240
; IeeeMode: 1
; LDSByteSize: 0 bytes/workgroup (compile time only)
; SGPRBlocks: 0
; VGPRBlocks: 0
; NumSGPRsForWavesPerEU: 4
; NumVGPRsForWavesPerEU: 1
; AccumOffset: 4
; Occupancy: 8
; WaveLimiterHint : 0
; COMPUTE_PGM_RSRC2:SCRATCH_EN: 0
; COMPUTE_PGM_RSRC2:USER_SGPR: 6
; COMPUTE_PGM_RSRC2:TRAP_HANDLER: 0
; COMPUTE_PGM_RSRC2:TGID_X_EN: 1
; COMPUTE_PGM_RSRC2:TGID_Y_EN: 0
; COMPUTE_PGM_RSRC2:TGID_Z_EN: 0
; COMPUTE_PGM_RSRC2:TIDIG_COMP_CNT: 0
; COMPUTE_PGM_RSRC3_GFX90A:ACCUM_OFFSET: 0
; COMPUTE_PGM_RSRC3_GFX90A:TG_SPLIT: 0
	.section	.text._ZN7rocprim17ROCPRIM_400000_NS6detail17trampoline_kernelINS0_14default_configENS1_36segmented_radix_sort_config_selectorIslEEZNS1_25segmented_radix_sort_implIS3_Lb1EPKsPsPKlPlN2at6native12_GLOBAL__N_18offset_tEEE10hipError_tPvRmT1_PNSt15iterator_traitsISK_E10value_typeET2_T3_PNSL_ISQ_E10value_typeET4_jRbjT5_SW_jjP12ihipStream_tbEUlT_E0_NS1_11comp_targetILNS1_3genE8ELNS1_11target_archE1030ELNS1_3gpuE2ELNS1_3repE0EEENS1_60segmented_radix_sort_warp_sort_medium_config_static_selectorELNS0_4arch9wavefront6targetE1EEEvSK_,"axG",@progbits,_ZN7rocprim17ROCPRIM_400000_NS6detail17trampoline_kernelINS0_14default_configENS1_36segmented_radix_sort_config_selectorIslEEZNS1_25segmented_radix_sort_implIS3_Lb1EPKsPsPKlPlN2at6native12_GLOBAL__N_18offset_tEEE10hipError_tPvRmT1_PNSt15iterator_traitsISK_E10value_typeET2_T3_PNSL_ISQ_E10value_typeET4_jRbjT5_SW_jjP12ihipStream_tbEUlT_E0_NS1_11comp_targetILNS1_3genE8ELNS1_11target_archE1030ELNS1_3gpuE2ELNS1_3repE0EEENS1_60segmented_radix_sort_warp_sort_medium_config_static_selectorELNS0_4arch9wavefront6targetE1EEEvSK_,comdat
	.globl	_ZN7rocprim17ROCPRIM_400000_NS6detail17trampoline_kernelINS0_14default_configENS1_36segmented_radix_sort_config_selectorIslEEZNS1_25segmented_radix_sort_implIS3_Lb1EPKsPsPKlPlN2at6native12_GLOBAL__N_18offset_tEEE10hipError_tPvRmT1_PNSt15iterator_traitsISK_E10value_typeET2_T3_PNSL_ISQ_E10value_typeET4_jRbjT5_SW_jjP12ihipStream_tbEUlT_E0_NS1_11comp_targetILNS1_3genE8ELNS1_11target_archE1030ELNS1_3gpuE2ELNS1_3repE0EEENS1_60segmented_radix_sort_warp_sort_medium_config_static_selectorELNS0_4arch9wavefront6targetE1EEEvSK_ ; -- Begin function _ZN7rocprim17ROCPRIM_400000_NS6detail17trampoline_kernelINS0_14default_configENS1_36segmented_radix_sort_config_selectorIslEEZNS1_25segmented_radix_sort_implIS3_Lb1EPKsPsPKlPlN2at6native12_GLOBAL__N_18offset_tEEE10hipError_tPvRmT1_PNSt15iterator_traitsISK_E10value_typeET2_T3_PNSL_ISQ_E10value_typeET4_jRbjT5_SW_jjP12ihipStream_tbEUlT_E0_NS1_11comp_targetILNS1_3genE8ELNS1_11target_archE1030ELNS1_3gpuE2ELNS1_3repE0EEENS1_60segmented_radix_sort_warp_sort_medium_config_static_selectorELNS0_4arch9wavefront6targetE1EEEvSK_
	.p2align	8
	.type	_ZN7rocprim17ROCPRIM_400000_NS6detail17trampoline_kernelINS0_14default_configENS1_36segmented_radix_sort_config_selectorIslEEZNS1_25segmented_radix_sort_implIS3_Lb1EPKsPsPKlPlN2at6native12_GLOBAL__N_18offset_tEEE10hipError_tPvRmT1_PNSt15iterator_traitsISK_E10value_typeET2_T3_PNSL_ISQ_E10value_typeET4_jRbjT5_SW_jjP12ihipStream_tbEUlT_E0_NS1_11comp_targetILNS1_3genE8ELNS1_11target_archE1030ELNS1_3gpuE2ELNS1_3repE0EEENS1_60segmented_radix_sort_warp_sort_medium_config_static_selectorELNS0_4arch9wavefront6targetE1EEEvSK_,@function
_ZN7rocprim17ROCPRIM_400000_NS6detail17trampoline_kernelINS0_14default_configENS1_36segmented_radix_sort_config_selectorIslEEZNS1_25segmented_radix_sort_implIS3_Lb1EPKsPsPKlPlN2at6native12_GLOBAL__N_18offset_tEEE10hipError_tPvRmT1_PNSt15iterator_traitsISK_E10value_typeET2_T3_PNSL_ISQ_E10value_typeET4_jRbjT5_SW_jjP12ihipStream_tbEUlT_E0_NS1_11comp_targetILNS1_3genE8ELNS1_11target_archE1030ELNS1_3gpuE2ELNS1_3repE0EEENS1_60segmented_radix_sort_warp_sort_medium_config_static_selectorELNS0_4arch9wavefront6targetE1EEEvSK_: ; @_ZN7rocprim17ROCPRIM_400000_NS6detail17trampoline_kernelINS0_14default_configENS1_36segmented_radix_sort_config_selectorIslEEZNS1_25segmented_radix_sort_implIS3_Lb1EPKsPsPKlPlN2at6native12_GLOBAL__N_18offset_tEEE10hipError_tPvRmT1_PNSt15iterator_traitsISK_E10value_typeET2_T3_PNSL_ISQ_E10value_typeET4_jRbjT5_SW_jjP12ihipStream_tbEUlT_E0_NS1_11comp_targetILNS1_3genE8ELNS1_11target_archE1030ELNS1_3gpuE2ELNS1_3repE0EEENS1_60segmented_radix_sort_warp_sort_medium_config_static_selectorELNS0_4arch9wavefront6targetE1EEEvSK_
; %bb.0:
	.section	.rodata,"a",@progbits
	.p2align	6, 0x0
	.amdhsa_kernel _ZN7rocprim17ROCPRIM_400000_NS6detail17trampoline_kernelINS0_14default_configENS1_36segmented_radix_sort_config_selectorIslEEZNS1_25segmented_radix_sort_implIS3_Lb1EPKsPsPKlPlN2at6native12_GLOBAL__N_18offset_tEEE10hipError_tPvRmT1_PNSt15iterator_traitsISK_E10value_typeET2_T3_PNSL_ISQ_E10value_typeET4_jRbjT5_SW_jjP12ihipStream_tbEUlT_E0_NS1_11comp_targetILNS1_3genE8ELNS1_11target_archE1030ELNS1_3gpuE2ELNS1_3repE0EEENS1_60segmented_radix_sort_warp_sort_medium_config_static_selectorELNS0_4arch9wavefront6targetE1EEEvSK_
		.amdhsa_group_segment_fixed_size 0
		.amdhsa_private_segment_fixed_size 0
		.amdhsa_kernarg_size 88
		.amdhsa_user_sgpr_count 6
		.amdhsa_user_sgpr_private_segment_buffer 1
		.amdhsa_user_sgpr_dispatch_ptr 0
		.amdhsa_user_sgpr_queue_ptr 0
		.amdhsa_user_sgpr_kernarg_segment_ptr 1
		.amdhsa_user_sgpr_dispatch_id 0
		.amdhsa_user_sgpr_flat_scratch_init 0
		.amdhsa_user_sgpr_kernarg_preload_length 0
		.amdhsa_user_sgpr_kernarg_preload_offset 0
		.amdhsa_user_sgpr_private_segment_size 0
		.amdhsa_uses_dynamic_stack 0
		.amdhsa_system_sgpr_private_segment_wavefront_offset 0
		.amdhsa_system_sgpr_workgroup_id_x 1
		.amdhsa_system_sgpr_workgroup_id_y 0
		.amdhsa_system_sgpr_workgroup_id_z 0
		.amdhsa_system_sgpr_workgroup_info 0
		.amdhsa_system_vgpr_workitem_id 0
		.amdhsa_next_free_vgpr 1
		.amdhsa_next_free_sgpr 0
		.amdhsa_accum_offset 4
		.amdhsa_reserve_vcc 0
		.amdhsa_reserve_flat_scratch 0
		.amdhsa_float_round_mode_32 0
		.amdhsa_float_round_mode_16_64 0
		.amdhsa_float_denorm_mode_32 3
		.amdhsa_float_denorm_mode_16_64 3
		.amdhsa_dx10_clamp 1
		.amdhsa_ieee_mode 1
		.amdhsa_fp16_overflow 0
		.amdhsa_tg_split 0
		.amdhsa_exception_fp_ieee_invalid_op 0
		.amdhsa_exception_fp_denorm_src 0
		.amdhsa_exception_fp_ieee_div_zero 0
		.amdhsa_exception_fp_ieee_overflow 0
		.amdhsa_exception_fp_ieee_underflow 0
		.amdhsa_exception_fp_ieee_inexact 0
		.amdhsa_exception_int_div_zero 0
	.end_amdhsa_kernel
	.section	.text._ZN7rocprim17ROCPRIM_400000_NS6detail17trampoline_kernelINS0_14default_configENS1_36segmented_radix_sort_config_selectorIslEEZNS1_25segmented_radix_sort_implIS3_Lb1EPKsPsPKlPlN2at6native12_GLOBAL__N_18offset_tEEE10hipError_tPvRmT1_PNSt15iterator_traitsISK_E10value_typeET2_T3_PNSL_ISQ_E10value_typeET4_jRbjT5_SW_jjP12ihipStream_tbEUlT_E0_NS1_11comp_targetILNS1_3genE8ELNS1_11target_archE1030ELNS1_3gpuE2ELNS1_3repE0EEENS1_60segmented_radix_sort_warp_sort_medium_config_static_selectorELNS0_4arch9wavefront6targetE1EEEvSK_,"axG",@progbits,_ZN7rocprim17ROCPRIM_400000_NS6detail17trampoline_kernelINS0_14default_configENS1_36segmented_radix_sort_config_selectorIslEEZNS1_25segmented_radix_sort_implIS3_Lb1EPKsPsPKlPlN2at6native12_GLOBAL__N_18offset_tEEE10hipError_tPvRmT1_PNSt15iterator_traitsISK_E10value_typeET2_T3_PNSL_ISQ_E10value_typeET4_jRbjT5_SW_jjP12ihipStream_tbEUlT_E0_NS1_11comp_targetILNS1_3genE8ELNS1_11target_archE1030ELNS1_3gpuE2ELNS1_3repE0EEENS1_60segmented_radix_sort_warp_sort_medium_config_static_selectorELNS0_4arch9wavefront6targetE1EEEvSK_,comdat
.Lfunc_end930:
	.size	_ZN7rocprim17ROCPRIM_400000_NS6detail17trampoline_kernelINS0_14default_configENS1_36segmented_radix_sort_config_selectorIslEEZNS1_25segmented_radix_sort_implIS3_Lb1EPKsPsPKlPlN2at6native12_GLOBAL__N_18offset_tEEE10hipError_tPvRmT1_PNSt15iterator_traitsISK_E10value_typeET2_T3_PNSL_ISQ_E10value_typeET4_jRbjT5_SW_jjP12ihipStream_tbEUlT_E0_NS1_11comp_targetILNS1_3genE8ELNS1_11target_archE1030ELNS1_3gpuE2ELNS1_3repE0EEENS1_60segmented_radix_sort_warp_sort_medium_config_static_selectorELNS0_4arch9wavefront6targetE1EEEvSK_, .Lfunc_end930-_ZN7rocprim17ROCPRIM_400000_NS6detail17trampoline_kernelINS0_14default_configENS1_36segmented_radix_sort_config_selectorIslEEZNS1_25segmented_radix_sort_implIS3_Lb1EPKsPsPKlPlN2at6native12_GLOBAL__N_18offset_tEEE10hipError_tPvRmT1_PNSt15iterator_traitsISK_E10value_typeET2_T3_PNSL_ISQ_E10value_typeET4_jRbjT5_SW_jjP12ihipStream_tbEUlT_E0_NS1_11comp_targetILNS1_3genE8ELNS1_11target_archE1030ELNS1_3gpuE2ELNS1_3repE0EEENS1_60segmented_radix_sort_warp_sort_medium_config_static_selectorELNS0_4arch9wavefront6targetE1EEEvSK_
                                        ; -- End function
	.section	.AMDGPU.csdata,"",@progbits
; Kernel info:
; codeLenInByte = 0
; NumSgprs: 4
; NumVgprs: 0
; NumAgprs: 0
; TotalNumVgprs: 0
; ScratchSize: 0
; MemoryBound: 0
; FloatMode: 240
; IeeeMode: 1
; LDSByteSize: 0 bytes/workgroup (compile time only)
; SGPRBlocks: 0
; VGPRBlocks: 0
; NumSGPRsForWavesPerEU: 4
; NumVGPRsForWavesPerEU: 1
; AccumOffset: 4
; Occupancy: 8
; WaveLimiterHint : 0
; COMPUTE_PGM_RSRC2:SCRATCH_EN: 0
; COMPUTE_PGM_RSRC2:USER_SGPR: 6
; COMPUTE_PGM_RSRC2:TRAP_HANDLER: 0
; COMPUTE_PGM_RSRC2:TGID_X_EN: 1
; COMPUTE_PGM_RSRC2:TGID_Y_EN: 0
; COMPUTE_PGM_RSRC2:TGID_Z_EN: 0
; COMPUTE_PGM_RSRC2:TIDIG_COMP_CNT: 0
; COMPUTE_PGM_RSRC3_GFX90A:ACCUM_OFFSET: 0
; COMPUTE_PGM_RSRC3_GFX90A:TG_SPLIT: 0
	.section	.text._ZN7rocprim17ROCPRIM_400000_NS6detail17trampoline_kernelINS0_14default_configENS1_36segmented_radix_sort_config_selectorIslEEZNS1_25segmented_radix_sort_implIS3_Lb1EPKsPsPKlPlN2at6native12_GLOBAL__N_18offset_tEEE10hipError_tPvRmT1_PNSt15iterator_traitsISK_E10value_typeET2_T3_PNSL_ISQ_E10value_typeET4_jRbjT5_SW_jjP12ihipStream_tbEUlT_E1_NS1_11comp_targetILNS1_3genE0ELNS1_11target_archE4294967295ELNS1_3gpuE0ELNS1_3repE0EEENS1_59segmented_radix_sort_warp_sort_small_config_static_selectorELNS0_4arch9wavefront6targetE1EEEvSK_,"axG",@progbits,_ZN7rocprim17ROCPRIM_400000_NS6detail17trampoline_kernelINS0_14default_configENS1_36segmented_radix_sort_config_selectorIslEEZNS1_25segmented_radix_sort_implIS3_Lb1EPKsPsPKlPlN2at6native12_GLOBAL__N_18offset_tEEE10hipError_tPvRmT1_PNSt15iterator_traitsISK_E10value_typeET2_T3_PNSL_ISQ_E10value_typeET4_jRbjT5_SW_jjP12ihipStream_tbEUlT_E1_NS1_11comp_targetILNS1_3genE0ELNS1_11target_archE4294967295ELNS1_3gpuE0ELNS1_3repE0EEENS1_59segmented_radix_sort_warp_sort_small_config_static_selectorELNS0_4arch9wavefront6targetE1EEEvSK_,comdat
	.globl	_ZN7rocprim17ROCPRIM_400000_NS6detail17trampoline_kernelINS0_14default_configENS1_36segmented_radix_sort_config_selectorIslEEZNS1_25segmented_radix_sort_implIS3_Lb1EPKsPsPKlPlN2at6native12_GLOBAL__N_18offset_tEEE10hipError_tPvRmT1_PNSt15iterator_traitsISK_E10value_typeET2_T3_PNSL_ISQ_E10value_typeET4_jRbjT5_SW_jjP12ihipStream_tbEUlT_E1_NS1_11comp_targetILNS1_3genE0ELNS1_11target_archE4294967295ELNS1_3gpuE0ELNS1_3repE0EEENS1_59segmented_radix_sort_warp_sort_small_config_static_selectorELNS0_4arch9wavefront6targetE1EEEvSK_ ; -- Begin function _ZN7rocprim17ROCPRIM_400000_NS6detail17trampoline_kernelINS0_14default_configENS1_36segmented_radix_sort_config_selectorIslEEZNS1_25segmented_radix_sort_implIS3_Lb1EPKsPsPKlPlN2at6native12_GLOBAL__N_18offset_tEEE10hipError_tPvRmT1_PNSt15iterator_traitsISK_E10value_typeET2_T3_PNSL_ISQ_E10value_typeET4_jRbjT5_SW_jjP12ihipStream_tbEUlT_E1_NS1_11comp_targetILNS1_3genE0ELNS1_11target_archE4294967295ELNS1_3gpuE0ELNS1_3repE0EEENS1_59segmented_radix_sort_warp_sort_small_config_static_selectorELNS0_4arch9wavefront6targetE1EEEvSK_
	.p2align	8
	.type	_ZN7rocprim17ROCPRIM_400000_NS6detail17trampoline_kernelINS0_14default_configENS1_36segmented_radix_sort_config_selectorIslEEZNS1_25segmented_radix_sort_implIS3_Lb1EPKsPsPKlPlN2at6native12_GLOBAL__N_18offset_tEEE10hipError_tPvRmT1_PNSt15iterator_traitsISK_E10value_typeET2_T3_PNSL_ISQ_E10value_typeET4_jRbjT5_SW_jjP12ihipStream_tbEUlT_E1_NS1_11comp_targetILNS1_3genE0ELNS1_11target_archE4294967295ELNS1_3gpuE0ELNS1_3repE0EEENS1_59segmented_radix_sort_warp_sort_small_config_static_selectorELNS0_4arch9wavefront6targetE1EEEvSK_,@function
_ZN7rocprim17ROCPRIM_400000_NS6detail17trampoline_kernelINS0_14default_configENS1_36segmented_radix_sort_config_selectorIslEEZNS1_25segmented_radix_sort_implIS3_Lb1EPKsPsPKlPlN2at6native12_GLOBAL__N_18offset_tEEE10hipError_tPvRmT1_PNSt15iterator_traitsISK_E10value_typeET2_T3_PNSL_ISQ_E10value_typeET4_jRbjT5_SW_jjP12ihipStream_tbEUlT_E1_NS1_11comp_targetILNS1_3genE0ELNS1_11target_archE4294967295ELNS1_3gpuE0ELNS1_3repE0EEENS1_59segmented_radix_sort_warp_sort_small_config_static_selectorELNS0_4arch9wavefront6targetE1EEEvSK_: ; @_ZN7rocprim17ROCPRIM_400000_NS6detail17trampoline_kernelINS0_14default_configENS1_36segmented_radix_sort_config_selectorIslEEZNS1_25segmented_radix_sort_implIS3_Lb1EPKsPsPKlPlN2at6native12_GLOBAL__N_18offset_tEEE10hipError_tPvRmT1_PNSt15iterator_traitsISK_E10value_typeET2_T3_PNSL_ISQ_E10value_typeET4_jRbjT5_SW_jjP12ihipStream_tbEUlT_E1_NS1_11comp_targetILNS1_3genE0ELNS1_11target_archE4294967295ELNS1_3gpuE0ELNS1_3repE0EEENS1_59segmented_radix_sort_warp_sort_small_config_static_selectorELNS0_4arch9wavefront6targetE1EEEvSK_
; %bb.0:
	.section	.rodata,"a",@progbits
	.p2align	6, 0x0
	.amdhsa_kernel _ZN7rocprim17ROCPRIM_400000_NS6detail17trampoline_kernelINS0_14default_configENS1_36segmented_radix_sort_config_selectorIslEEZNS1_25segmented_radix_sort_implIS3_Lb1EPKsPsPKlPlN2at6native12_GLOBAL__N_18offset_tEEE10hipError_tPvRmT1_PNSt15iterator_traitsISK_E10value_typeET2_T3_PNSL_ISQ_E10value_typeET4_jRbjT5_SW_jjP12ihipStream_tbEUlT_E1_NS1_11comp_targetILNS1_3genE0ELNS1_11target_archE4294967295ELNS1_3gpuE0ELNS1_3repE0EEENS1_59segmented_radix_sort_warp_sort_small_config_static_selectorELNS0_4arch9wavefront6targetE1EEEvSK_
		.amdhsa_group_segment_fixed_size 0
		.amdhsa_private_segment_fixed_size 0
		.amdhsa_kernarg_size 88
		.amdhsa_user_sgpr_count 6
		.amdhsa_user_sgpr_private_segment_buffer 1
		.amdhsa_user_sgpr_dispatch_ptr 0
		.amdhsa_user_sgpr_queue_ptr 0
		.amdhsa_user_sgpr_kernarg_segment_ptr 1
		.amdhsa_user_sgpr_dispatch_id 0
		.amdhsa_user_sgpr_flat_scratch_init 0
		.amdhsa_user_sgpr_kernarg_preload_length 0
		.amdhsa_user_sgpr_kernarg_preload_offset 0
		.amdhsa_user_sgpr_private_segment_size 0
		.amdhsa_uses_dynamic_stack 0
		.amdhsa_system_sgpr_private_segment_wavefront_offset 0
		.amdhsa_system_sgpr_workgroup_id_x 1
		.amdhsa_system_sgpr_workgroup_id_y 0
		.amdhsa_system_sgpr_workgroup_id_z 0
		.amdhsa_system_sgpr_workgroup_info 0
		.amdhsa_system_vgpr_workitem_id 0
		.amdhsa_next_free_vgpr 1
		.amdhsa_next_free_sgpr 0
		.amdhsa_accum_offset 4
		.amdhsa_reserve_vcc 0
		.amdhsa_reserve_flat_scratch 0
		.amdhsa_float_round_mode_32 0
		.amdhsa_float_round_mode_16_64 0
		.amdhsa_float_denorm_mode_32 3
		.amdhsa_float_denorm_mode_16_64 3
		.amdhsa_dx10_clamp 1
		.amdhsa_ieee_mode 1
		.amdhsa_fp16_overflow 0
		.amdhsa_tg_split 0
		.amdhsa_exception_fp_ieee_invalid_op 0
		.amdhsa_exception_fp_denorm_src 0
		.amdhsa_exception_fp_ieee_div_zero 0
		.amdhsa_exception_fp_ieee_overflow 0
		.amdhsa_exception_fp_ieee_underflow 0
		.amdhsa_exception_fp_ieee_inexact 0
		.amdhsa_exception_int_div_zero 0
	.end_amdhsa_kernel
	.section	.text._ZN7rocprim17ROCPRIM_400000_NS6detail17trampoline_kernelINS0_14default_configENS1_36segmented_radix_sort_config_selectorIslEEZNS1_25segmented_radix_sort_implIS3_Lb1EPKsPsPKlPlN2at6native12_GLOBAL__N_18offset_tEEE10hipError_tPvRmT1_PNSt15iterator_traitsISK_E10value_typeET2_T3_PNSL_ISQ_E10value_typeET4_jRbjT5_SW_jjP12ihipStream_tbEUlT_E1_NS1_11comp_targetILNS1_3genE0ELNS1_11target_archE4294967295ELNS1_3gpuE0ELNS1_3repE0EEENS1_59segmented_radix_sort_warp_sort_small_config_static_selectorELNS0_4arch9wavefront6targetE1EEEvSK_,"axG",@progbits,_ZN7rocprim17ROCPRIM_400000_NS6detail17trampoline_kernelINS0_14default_configENS1_36segmented_radix_sort_config_selectorIslEEZNS1_25segmented_radix_sort_implIS3_Lb1EPKsPsPKlPlN2at6native12_GLOBAL__N_18offset_tEEE10hipError_tPvRmT1_PNSt15iterator_traitsISK_E10value_typeET2_T3_PNSL_ISQ_E10value_typeET4_jRbjT5_SW_jjP12ihipStream_tbEUlT_E1_NS1_11comp_targetILNS1_3genE0ELNS1_11target_archE4294967295ELNS1_3gpuE0ELNS1_3repE0EEENS1_59segmented_radix_sort_warp_sort_small_config_static_selectorELNS0_4arch9wavefront6targetE1EEEvSK_,comdat
.Lfunc_end931:
	.size	_ZN7rocprim17ROCPRIM_400000_NS6detail17trampoline_kernelINS0_14default_configENS1_36segmented_radix_sort_config_selectorIslEEZNS1_25segmented_radix_sort_implIS3_Lb1EPKsPsPKlPlN2at6native12_GLOBAL__N_18offset_tEEE10hipError_tPvRmT1_PNSt15iterator_traitsISK_E10value_typeET2_T3_PNSL_ISQ_E10value_typeET4_jRbjT5_SW_jjP12ihipStream_tbEUlT_E1_NS1_11comp_targetILNS1_3genE0ELNS1_11target_archE4294967295ELNS1_3gpuE0ELNS1_3repE0EEENS1_59segmented_radix_sort_warp_sort_small_config_static_selectorELNS0_4arch9wavefront6targetE1EEEvSK_, .Lfunc_end931-_ZN7rocprim17ROCPRIM_400000_NS6detail17trampoline_kernelINS0_14default_configENS1_36segmented_radix_sort_config_selectorIslEEZNS1_25segmented_radix_sort_implIS3_Lb1EPKsPsPKlPlN2at6native12_GLOBAL__N_18offset_tEEE10hipError_tPvRmT1_PNSt15iterator_traitsISK_E10value_typeET2_T3_PNSL_ISQ_E10value_typeET4_jRbjT5_SW_jjP12ihipStream_tbEUlT_E1_NS1_11comp_targetILNS1_3genE0ELNS1_11target_archE4294967295ELNS1_3gpuE0ELNS1_3repE0EEENS1_59segmented_radix_sort_warp_sort_small_config_static_selectorELNS0_4arch9wavefront6targetE1EEEvSK_
                                        ; -- End function
	.section	.AMDGPU.csdata,"",@progbits
; Kernel info:
; codeLenInByte = 0
; NumSgprs: 4
; NumVgprs: 0
; NumAgprs: 0
; TotalNumVgprs: 0
; ScratchSize: 0
; MemoryBound: 0
; FloatMode: 240
; IeeeMode: 1
; LDSByteSize: 0 bytes/workgroup (compile time only)
; SGPRBlocks: 0
; VGPRBlocks: 0
; NumSGPRsForWavesPerEU: 4
; NumVGPRsForWavesPerEU: 1
; AccumOffset: 4
; Occupancy: 8
; WaveLimiterHint : 0
; COMPUTE_PGM_RSRC2:SCRATCH_EN: 0
; COMPUTE_PGM_RSRC2:USER_SGPR: 6
; COMPUTE_PGM_RSRC2:TRAP_HANDLER: 0
; COMPUTE_PGM_RSRC2:TGID_X_EN: 1
; COMPUTE_PGM_RSRC2:TGID_Y_EN: 0
; COMPUTE_PGM_RSRC2:TGID_Z_EN: 0
; COMPUTE_PGM_RSRC2:TIDIG_COMP_CNT: 0
; COMPUTE_PGM_RSRC3_GFX90A:ACCUM_OFFSET: 0
; COMPUTE_PGM_RSRC3_GFX90A:TG_SPLIT: 0
	.section	.text._ZN7rocprim17ROCPRIM_400000_NS6detail17trampoline_kernelINS0_14default_configENS1_36segmented_radix_sort_config_selectorIslEEZNS1_25segmented_radix_sort_implIS3_Lb1EPKsPsPKlPlN2at6native12_GLOBAL__N_18offset_tEEE10hipError_tPvRmT1_PNSt15iterator_traitsISK_E10value_typeET2_T3_PNSL_ISQ_E10value_typeET4_jRbjT5_SW_jjP12ihipStream_tbEUlT_E1_NS1_11comp_targetILNS1_3genE5ELNS1_11target_archE942ELNS1_3gpuE9ELNS1_3repE0EEENS1_59segmented_radix_sort_warp_sort_small_config_static_selectorELNS0_4arch9wavefront6targetE1EEEvSK_,"axG",@progbits,_ZN7rocprim17ROCPRIM_400000_NS6detail17trampoline_kernelINS0_14default_configENS1_36segmented_radix_sort_config_selectorIslEEZNS1_25segmented_radix_sort_implIS3_Lb1EPKsPsPKlPlN2at6native12_GLOBAL__N_18offset_tEEE10hipError_tPvRmT1_PNSt15iterator_traitsISK_E10value_typeET2_T3_PNSL_ISQ_E10value_typeET4_jRbjT5_SW_jjP12ihipStream_tbEUlT_E1_NS1_11comp_targetILNS1_3genE5ELNS1_11target_archE942ELNS1_3gpuE9ELNS1_3repE0EEENS1_59segmented_radix_sort_warp_sort_small_config_static_selectorELNS0_4arch9wavefront6targetE1EEEvSK_,comdat
	.globl	_ZN7rocprim17ROCPRIM_400000_NS6detail17trampoline_kernelINS0_14default_configENS1_36segmented_radix_sort_config_selectorIslEEZNS1_25segmented_radix_sort_implIS3_Lb1EPKsPsPKlPlN2at6native12_GLOBAL__N_18offset_tEEE10hipError_tPvRmT1_PNSt15iterator_traitsISK_E10value_typeET2_T3_PNSL_ISQ_E10value_typeET4_jRbjT5_SW_jjP12ihipStream_tbEUlT_E1_NS1_11comp_targetILNS1_3genE5ELNS1_11target_archE942ELNS1_3gpuE9ELNS1_3repE0EEENS1_59segmented_radix_sort_warp_sort_small_config_static_selectorELNS0_4arch9wavefront6targetE1EEEvSK_ ; -- Begin function _ZN7rocprim17ROCPRIM_400000_NS6detail17trampoline_kernelINS0_14default_configENS1_36segmented_radix_sort_config_selectorIslEEZNS1_25segmented_radix_sort_implIS3_Lb1EPKsPsPKlPlN2at6native12_GLOBAL__N_18offset_tEEE10hipError_tPvRmT1_PNSt15iterator_traitsISK_E10value_typeET2_T3_PNSL_ISQ_E10value_typeET4_jRbjT5_SW_jjP12ihipStream_tbEUlT_E1_NS1_11comp_targetILNS1_3genE5ELNS1_11target_archE942ELNS1_3gpuE9ELNS1_3repE0EEENS1_59segmented_radix_sort_warp_sort_small_config_static_selectorELNS0_4arch9wavefront6targetE1EEEvSK_
	.p2align	8
	.type	_ZN7rocprim17ROCPRIM_400000_NS6detail17trampoline_kernelINS0_14default_configENS1_36segmented_radix_sort_config_selectorIslEEZNS1_25segmented_radix_sort_implIS3_Lb1EPKsPsPKlPlN2at6native12_GLOBAL__N_18offset_tEEE10hipError_tPvRmT1_PNSt15iterator_traitsISK_E10value_typeET2_T3_PNSL_ISQ_E10value_typeET4_jRbjT5_SW_jjP12ihipStream_tbEUlT_E1_NS1_11comp_targetILNS1_3genE5ELNS1_11target_archE942ELNS1_3gpuE9ELNS1_3repE0EEENS1_59segmented_radix_sort_warp_sort_small_config_static_selectorELNS0_4arch9wavefront6targetE1EEEvSK_,@function
_ZN7rocprim17ROCPRIM_400000_NS6detail17trampoline_kernelINS0_14default_configENS1_36segmented_radix_sort_config_selectorIslEEZNS1_25segmented_radix_sort_implIS3_Lb1EPKsPsPKlPlN2at6native12_GLOBAL__N_18offset_tEEE10hipError_tPvRmT1_PNSt15iterator_traitsISK_E10value_typeET2_T3_PNSL_ISQ_E10value_typeET4_jRbjT5_SW_jjP12ihipStream_tbEUlT_E1_NS1_11comp_targetILNS1_3genE5ELNS1_11target_archE942ELNS1_3gpuE9ELNS1_3repE0EEENS1_59segmented_radix_sort_warp_sort_small_config_static_selectorELNS0_4arch9wavefront6targetE1EEEvSK_: ; @_ZN7rocprim17ROCPRIM_400000_NS6detail17trampoline_kernelINS0_14default_configENS1_36segmented_radix_sort_config_selectorIslEEZNS1_25segmented_radix_sort_implIS3_Lb1EPKsPsPKlPlN2at6native12_GLOBAL__N_18offset_tEEE10hipError_tPvRmT1_PNSt15iterator_traitsISK_E10value_typeET2_T3_PNSL_ISQ_E10value_typeET4_jRbjT5_SW_jjP12ihipStream_tbEUlT_E1_NS1_11comp_targetILNS1_3genE5ELNS1_11target_archE942ELNS1_3gpuE9ELNS1_3repE0EEENS1_59segmented_radix_sort_warp_sort_small_config_static_selectorELNS0_4arch9wavefront6targetE1EEEvSK_
; %bb.0:
	.section	.rodata,"a",@progbits
	.p2align	6, 0x0
	.amdhsa_kernel _ZN7rocprim17ROCPRIM_400000_NS6detail17trampoline_kernelINS0_14default_configENS1_36segmented_radix_sort_config_selectorIslEEZNS1_25segmented_radix_sort_implIS3_Lb1EPKsPsPKlPlN2at6native12_GLOBAL__N_18offset_tEEE10hipError_tPvRmT1_PNSt15iterator_traitsISK_E10value_typeET2_T3_PNSL_ISQ_E10value_typeET4_jRbjT5_SW_jjP12ihipStream_tbEUlT_E1_NS1_11comp_targetILNS1_3genE5ELNS1_11target_archE942ELNS1_3gpuE9ELNS1_3repE0EEENS1_59segmented_radix_sort_warp_sort_small_config_static_selectorELNS0_4arch9wavefront6targetE1EEEvSK_
		.amdhsa_group_segment_fixed_size 0
		.amdhsa_private_segment_fixed_size 0
		.amdhsa_kernarg_size 88
		.amdhsa_user_sgpr_count 6
		.amdhsa_user_sgpr_private_segment_buffer 1
		.amdhsa_user_sgpr_dispatch_ptr 0
		.amdhsa_user_sgpr_queue_ptr 0
		.amdhsa_user_sgpr_kernarg_segment_ptr 1
		.amdhsa_user_sgpr_dispatch_id 0
		.amdhsa_user_sgpr_flat_scratch_init 0
		.amdhsa_user_sgpr_kernarg_preload_length 0
		.amdhsa_user_sgpr_kernarg_preload_offset 0
		.amdhsa_user_sgpr_private_segment_size 0
		.amdhsa_uses_dynamic_stack 0
		.amdhsa_system_sgpr_private_segment_wavefront_offset 0
		.amdhsa_system_sgpr_workgroup_id_x 1
		.amdhsa_system_sgpr_workgroup_id_y 0
		.amdhsa_system_sgpr_workgroup_id_z 0
		.amdhsa_system_sgpr_workgroup_info 0
		.amdhsa_system_vgpr_workitem_id 0
		.amdhsa_next_free_vgpr 1
		.amdhsa_next_free_sgpr 0
		.amdhsa_accum_offset 4
		.amdhsa_reserve_vcc 0
		.amdhsa_reserve_flat_scratch 0
		.amdhsa_float_round_mode_32 0
		.amdhsa_float_round_mode_16_64 0
		.amdhsa_float_denorm_mode_32 3
		.amdhsa_float_denorm_mode_16_64 3
		.amdhsa_dx10_clamp 1
		.amdhsa_ieee_mode 1
		.amdhsa_fp16_overflow 0
		.amdhsa_tg_split 0
		.amdhsa_exception_fp_ieee_invalid_op 0
		.amdhsa_exception_fp_denorm_src 0
		.amdhsa_exception_fp_ieee_div_zero 0
		.amdhsa_exception_fp_ieee_overflow 0
		.amdhsa_exception_fp_ieee_underflow 0
		.amdhsa_exception_fp_ieee_inexact 0
		.amdhsa_exception_int_div_zero 0
	.end_amdhsa_kernel
	.section	.text._ZN7rocprim17ROCPRIM_400000_NS6detail17trampoline_kernelINS0_14default_configENS1_36segmented_radix_sort_config_selectorIslEEZNS1_25segmented_radix_sort_implIS3_Lb1EPKsPsPKlPlN2at6native12_GLOBAL__N_18offset_tEEE10hipError_tPvRmT1_PNSt15iterator_traitsISK_E10value_typeET2_T3_PNSL_ISQ_E10value_typeET4_jRbjT5_SW_jjP12ihipStream_tbEUlT_E1_NS1_11comp_targetILNS1_3genE5ELNS1_11target_archE942ELNS1_3gpuE9ELNS1_3repE0EEENS1_59segmented_radix_sort_warp_sort_small_config_static_selectorELNS0_4arch9wavefront6targetE1EEEvSK_,"axG",@progbits,_ZN7rocprim17ROCPRIM_400000_NS6detail17trampoline_kernelINS0_14default_configENS1_36segmented_radix_sort_config_selectorIslEEZNS1_25segmented_radix_sort_implIS3_Lb1EPKsPsPKlPlN2at6native12_GLOBAL__N_18offset_tEEE10hipError_tPvRmT1_PNSt15iterator_traitsISK_E10value_typeET2_T3_PNSL_ISQ_E10value_typeET4_jRbjT5_SW_jjP12ihipStream_tbEUlT_E1_NS1_11comp_targetILNS1_3genE5ELNS1_11target_archE942ELNS1_3gpuE9ELNS1_3repE0EEENS1_59segmented_radix_sort_warp_sort_small_config_static_selectorELNS0_4arch9wavefront6targetE1EEEvSK_,comdat
.Lfunc_end932:
	.size	_ZN7rocprim17ROCPRIM_400000_NS6detail17trampoline_kernelINS0_14default_configENS1_36segmented_radix_sort_config_selectorIslEEZNS1_25segmented_radix_sort_implIS3_Lb1EPKsPsPKlPlN2at6native12_GLOBAL__N_18offset_tEEE10hipError_tPvRmT1_PNSt15iterator_traitsISK_E10value_typeET2_T3_PNSL_ISQ_E10value_typeET4_jRbjT5_SW_jjP12ihipStream_tbEUlT_E1_NS1_11comp_targetILNS1_3genE5ELNS1_11target_archE942ELNS1_3gpuE9ELNS1_3repE0EEENS1_59segmented_radix_sort_warp_sort_small_config_static_selectorELNS0_4arch9wavefront6targetE1EEEvSK_, .Lfunc_end932-_ZN7rocprim17ROCPRIM_400000_NS6detail17trampoline_kernelINS0_14default_configENS1_36segmented_radix_sort_config_selectorIslEEZNS1_25segmented_radix_sort_implIS3_Lb1EPKsPsPKlPlN2at6native12_GLOBAL__N_18offset_tEEE10hipError_tPvRmT1_PNSt15iterator_traitsISK_E10value_typeET2_T3_PNSL_ISQ_E10value_typeET4_jRbjT5_SW_jjP12ihipStream_tbEUlT_E1_NS1_11comp_targetILNS1_3genE5ELNS1_11target_archE942ELNS1_3gpuE9ELNS1_3repE0EEENS1_59segmented_radix_sort_warp_sort_small_config_static_selectorELNS0_4arch9wavefront6targetE1EEEvSK_
                                        ; -- End function
	.section	.AMDGPU.csdata,"",@progbits
; Kernel info:
; codeLenInByte = 0
; NumSgprs: 4
; NumVgprs: 0
; NumAgprs: 0
; TotalNumVgprs: 0
; ScratchSize: 0
; MemoryBound: 0
; FloatMode: 240
; IeeeMode: 1
; LDSByteSize: 0 bytes/workgroup (compile time only)
; SGPRBlocks: 0
; VGPRBlocks: 0
; NumSGPRsForWavesPerEU: 4
; NumVGPRsForWavesPerEU: 1
; AccumOffset: 4
; Occupancy: 8
; WaveLimiterHint : 0
; COMPUTE_PGM_RSRC2:SCRATCH_EN: 0
; COMPUTE_PGM_RSRC2:USER_SGPR: 6
; COMPUTE_PGM_RSRC2:TRAP_HANDLER: 0
; COMPUTE_PGM_RSRC2:TGID_X_EN: 1
; COMPUTE_PGM_RSRC2:TGID_Y_EN: 0
; COMPUTE_PGM_RSRC2:TGID_Z_EN: 0
; COMPUTE_PGM_RSRC2:TIDIG_COMP_CNT: 0
; COMPUTE_PGM_RSRC3_GFX90A:ACCUM_OFFSET: 0
; COMPUTE_PGM_RSRC3_GFX90A:TG_SPLIT: 0
	.section	.text._ZN7rocprim17ROCPRIM_400000_NS6detail17trampoline_kernelINS0_14default_configENS1_36segmented_radix_sort_config_selectorIslEEZNS1_25segmented_radix_sort_implIS3_Lb1EPKsPsPKlPlN2at6native12_GLOBAL__N_18offset_tEEE10hipError_tPvRmT1_PNSt15iterator_traitsISK_E10value_typeET2_T3_PNSL_ISQ_E10value_typeET4_jRbjT5_SW_jjP12ihipStream_tbEUlT_E1_NS1_11comp_targetILNS1_3genE4ELNS1_11target_archE910ELNS1_3gpuE8ELNS1_3repE0EEENS1_59segmented_radix_sort_warp_sort_small_config_static_selectorELNS0_4arch9wavefront6targetE1EEEvSK_,"axG",@progbits,_ZN7rocprim17ROCPRIM_400000_NS6detail17trampoline_kernelINS0_14default_configENS1_36segmented_radix_sort_config_selectorIslEEZNS1_25segmented_radix_sort_implIS3_Lb1EPKsPsPKlPlN2at6native12_GLOBAL__N_18offset_tEEE10hipError_tPvRmT1_PNSt15iterator_traitsISK_E10value_typeET2_T3_PNSL_ISQ_E10value_typeET4_jRbjT5_SW_jjP12ihipStream_tbEUlT_E1_NS1_11comp_targetILNS1_3genE4ELNS1_11target_archE910ELNS1_3gpuE8ELNS1_3repE0EEENS1_59segmented_radix_sort_warp_sort_small_config_static_selectorELNS0_4arch9wavefront6targetE1EEEvSK_,comdat
	.globl	_ZN7rocprim17ROCPRIM_400000_NS6detail17trampoline_kernelINS0_14default_configENS1_36segmented_radix_sort_config_selectorIslEEZNS1_25segmented_radix_sort_implIS3_Lb1EPKsPsPKlPlN2at6native12_GLOBAL__N_18offset_tEEE10hipError_tPvRmT1_PNSt15iterator_traitsISK_E10value_typeET2_T3_PNSL_ISQ_E10value_typeET4_jRbjT5_SW_jjP12ihipStream_tbEUlT_E1_NS1_11comp_targetILNS1_3genE4ELNS1_11target_archE910ELNS1_3gpuE8ELNS1_3repE0EEENS1_59segmented_radix_sort_warp_sort_small_config_static_selectorELNS0_4arch9wavefront6targetE1EEEvSK_ ; -- Begin function _ZN7rocprim17ROCPRIM_400000_NS6detail17trampoline_kernelINS0_14default_configENS1_36segmented_radix_sort_config_selectorIslEEZNS1_25segmented_radix_sort_implIS3_Lb1EPKsPsPKlPlN2at6native12_GLOBAL__N_18offset_tEEE10hipError_tPvRmT1_PNSt15iterator_traitsISK_E10value_typeET2_T3_PNSL_ISQ_E10value_typeET4_jRbjT5_SW_jjP12ihipStream_tbEUlT_E1_NS1_11comp_targetILNS1_3genE4ELNS1_11target_archE910ELNS1_3gpuE8ELNS1_3repE0EEENS1_59segmented_radix_sort_warp_sort_small_config_static_selectorELNS0_4arch9wavefront6targetE1EEEvSK_
	.p2align	8
	.type	_ZN7rocprim17ROCPRIM_400000_NS6detail17trampoline_kernelINS0_14default_configENS1_36segmented_radix_sort_config_selectorIslEEZNS1_25segmented_radix_sort_implIS3_Lb1EPKsPsPKlPlN2at6native12_GLOBAL__N_18offset_tEEE10hipError_tPvRmT1_PNSt15iterator_traitsISK_E10value_typeET2_T3_PNSL_ISQ_E10value_typeET4_jRbjT5_SW_jjP12ihipStream_tbEUlT_E1_NS1_11comp_targetILNS1_3genE4ELNS1_11target_archE910ELNS1_3gpuE8ELNS1_3repE0EEENS1_59segmented_radix_sort_warp_sort_small_config_static_selectorELNS0_4arch9wavefront6targetE1EEEvSK_,@function
_ZN7rocprim17ROCPRIM_400000_NS6detail17trampoline_kernelINS0_14default_configENS1_36segmented_radix_sort_config_selectorIslEEZNS1_25segmented_radix_sort_implIS3_Lb1EPKsPsPKlPlN2at6native12_GLOBAL__N_18offset_tEEE10hipError_tPvRmT1_PNSt15iterator_traitsISK_E10value_typeET2_T3_PNSL_ISQ_E10value_typeET4_jRbjT5_SW_jjP12ihipStream_tbEUlT_E1_NS1_11comp_targetILNS1_3genE4ELNS1_11target_archE910ELNS1_3gpuE8ELNS1_3repE0EEENS1_59segmented_radix_sort_warp_sort_small_config_static_selectorELNS0_4arch9wavefront6targetE1EEEvSK_: ; @_ZN7rocprim17ROCPRIM_400000_NS6detail17trampoline_kernelINS0_14default_configENS1_36segmented_radix_sort_config_selectorIslEEZNS1_25segmented_radix_sort_implIS3_Lb1EPKsPsPKlPlN2at6native12_GLOBAL__N_18offset_tEEE10hipError_tPvRmT1_PNSt15iterator_traitsISK_E10value_typeET2_T3_PNSL_ISQ_E10value_typeET4_jRbjT5_SW_jjP12ihipStream_tbEUlT_E1_NS1_11comp_targetILNS1_3genE4ELNS1_11target_archE910ELNS1_3gpuE8ELNS1_3repE0EEENS1_59segmented_radix_sort_warp_sort_small_config_static_selectorELNS0_4arch9wavefront6targetE1EEEvSK_
; %bb.0:
	s_add_u32 flat_scratch_lo, s6, s10
	s_addc_u32 flat_scratch_hi, s7, 0
	s_add_u32 s0, s0, s10
	s_load_dword s6, s[4:5], 0x64
	s_load_dword s10, s[4:5], 0x34
	s_addc_u32 s1, s1, 0
	v_bfe_u32 v1, v0, 10, 10
	v_bfe_u32 v2, v0, 20, 10
	s_waitcnt lgkmcnt(0)
	s_lshr_b32 s7, s6, 16
	s_and_b32 s6, s6, 0xffff
	v_mad_u32_u24 v1, v2, s7, v1
	v_and_b32_e32 v2, 0x3ff, v0
	v_mad_u64_u32 v[2:3], s[6:7], v1, s6, v[2:3]
	v_lshrrev_b32_e32 v1, 5, v2
	v_lshl_add_u32 v2, s8, 3, v1
	v_cmp_gt_u32_e32 vcc, s10, v2
	s_mov_b32 s32, 0
	s_and_saveexec_b64 s[6:7], vcc
	s_cbranch_execz .LBB933_6
; %bb.1:
	s_load_dwordx2 s[6:7], s[4:5], 0x38
	s_load_dwordx4 s[12:15], s[4:5], 0x40
	v_mov_b32_e32 v3, 0
	v_lshlrev_b64 v[2:3], 2, v[2:3]
	s_waitcnt lgkmcnt(0)
	v_mov_b32_e32 v1, s7
	v_sub_co_u32_e32 v2, vcc, s6, v2
	v_subb_co_u32_e32 v3, vcc, v1, v3, vcc
	global_load_dword v1, v[2:3], off offset:-4
	s_waitcnt vmcnt(0)
	v_add_u32_e32 v2, s13, v1
	v_add_u32_e32 v1, s15, v1
	v_mul_lo_u32 v40, v2, s12
	v_mul_lo_u32 v41, v1, s14
	v_cmp_gt_u32_e32 vcc, v41, v40
	s_and_b64 exec, exec, vcc
	s_cbranch_execz .LBB933_6
; %bb.2:
	s_load_dwordx4 s[44:47], s[4:5], 0x20
	s_load_dword s6, s[4:5], 0x30
	s_load_dwordx8 s[36:43], s[4:5], 0x0
	s_load_dwordx2 s[48:49], s[4:5], 0x50
	s_mov_b32 s34, s8
	s_mov_b32 s33, s9
	s_waitcnt lgkmcnt(0)
	s_bitcmp0_b32 s6, 0
	s_mov_b64 s[6:7], -1
	s_cbranch_scc0 .LBB933_4
; %bb.3:
	s_add_u32 s8, s4, 0x58
	s_mov_b64 s[6:7], src_shared_base
	s_addc_u32 s9, s5, 0
	s_mov_b32 s12, s34
	s_mov_b32 s13, s33
	v_mov_b32_e32 v31, v0
	v_mov_b32_e32 v42, v0
	;; [unrolled: 1-line block ×16, first 2 shown]
	s_getpc_b64 s[10:11]
	s_add_u32 s10, s10, _ZN7rocprim17ROCPRIM_400000_NS6detail26segmented_warp_sort_helperINS1_20WarpSortHelperConfigILj32ELj4ELj256EEEslLi256ELb1EvE4sortIPKsPsPKlPlEEvT_T0_T1_T2_jjjjRNS5_12storage_typeE@rel32@lo+4
	s_addc_u32 s11, s11, _ZN7rocprim17ROCPRIM_400000_NS6detail26segmented_warp_sort_helperINS1_20WarpSortHelperConfigILj32ELj4ELj256EEEslLi256ELb1EvE4sortIPKsPsPKlPlEEvT_T0_T1_T2_jjjjRNS5_12storage_typeE@rel32@hi+12
	s_mov_b64 s[38:39], s[4:5]
	s_swappc_b64 s[30:31], s[10:11]
	v_mov_b32_e32 v0, v42
	s_mov_b64 s[4:5], s[38:39]
	s_mov_b64 s[6:7], 0
.LBB933_4:
	s_andn2_b64 vcc, exec, s[6:7]
	s_cbranch_vccnz .LBB933_6
; %bb.5:
	s_add_u32 s8, s4, 0x58
	s_addc_u32 s9, s5, 0
	s_mov_b64 s[4:5], src_shared_base
	s_mov_b32 s12, s34
	s_mov_b32 s13, s33
	v_mov_b32_e32 v31, v0
	v_mov_b32_e32 v0, s36
	;; [unrolled: 1-line block ×15, first 2 shown]
	s_getpc_b64 s[6:7]
	s_add_u32 s6, s6, _ZN7rocprim17ROCPRIM_400000_NS6detail26segmented_warp_sort_helperINS1_20WarpSortHelperConfigILj32ELj4ELj256EEEslLi256ELb1EvE4sortIPKsPsPKlPlEEvT_T0_T1_T2_jjjjRNS5_12storage_typeE@rel32@lo+4
	s_addc_u32 s7, s7, _ZN7rocprim17ROCPRIM_400000_NS6detail26segmented_warp_sort_helperINS1_20WarpSortHelperConfigILj32ELj4ELj256EEEslLi256ELb1EvE4sortIPKsPsPKlPlEEvT_T0_T1_T2_jjjjRNS5_12storage_typeE@rel32@hi+12
	s_swappc_b64 s[30:31], s[6:7]
.LBB933_6:
	s_endpgm
	.section	.rodata,"a",@progbits
	.p2align	6, 0x0
	.amdhsa_kernel _ZN7rocprim17ROCPRIM_400000_NS6detail17trampoline_kernelINS0_14default_configENS1_36segmented_radix_sort_config_selectorIslEEZNS1_25segmented_radix_sort_implIS3_Lb1EPKsPsPKlPlN2at6native12_GLOBAL__N_18offset_tEEE10hipError_tPvRmT1_PNSt15iterator_traitsISK_E10value_typeET2_T3_PNSL_ISQ_E10value_typeET4_jRbjT5_SW_jjP12ihipStream_tbEUlT_E1_NS1_11comp_targetILNS1_3genE4ELNS1_11target_archE910ELNS1_3gpuE8ELNS1_3repE0EEENS1_59segmented_radix_sort_warp_sort_small_config_static_selectorELNS0_4arch9wavefront6targetE1EEEvSK_
		.amdhsa_group_segment_fixed_size 10240
		.amdhsa_private_segment_fixed_size 0
		.amdhsa_kernarg_size 344
		.amdhsa_user_sgpr_count 8
		.amdhsa_user_sgpr_private_segment_buffer 1
		.amdhsa_user_sgpr_dispatch_ptr 0
		.amdhsa_user_sgpr_queue_ptr 0
		.amdhsa_user_sgpr_kernarg_segment_ptr 1
		.amdhsa_user_sgpr_dispatch_id 0
		.amdhsa_user_sgpr_flat_scratch_init 1
		.amdhsa_user_sgpr_kernarg_preload_length 0
		.amdhsa_user_sgpr_kernarg_preload_offset 0
		.amdhsa_user_sgpr_private_segment_size 0
		.amdhsa_uses_dynamic_stack 0
		.amdhsa_system_sgpr_private_segment_wavefront_offset 0
		.amdhsa_system_sgpr_workgroup_id_x 1
		.amdhsa_system_sgpr_workgroup_id_y 1
		.amdhsa_system_sgpr_workgroup_id_z 0
		.amdhsa_system_sgpr_workgroup_info 0
		.amdhsa_system_vgpr_workitem_id 2
		.amdhsa_next_free_vgpr 88
		.amdhsa_next_free_sgpr 50
		.amdhsa_accum_offset 88
		.amdhsa_reserve_vcc 1
		.amdhsa_reserve_flat_scratch 1
		.amdhsa_float_round_mode_32 0
		.amdhsa_float_round_mode_16_64 0
		.amdhsa_float_denorm_mode_32 3
		.amdhsa_float_denorm_mode_16_64 3
		.amdhsa_dx10_clamp 1
		.amdhsa_ieee_mode 1
		.amdhsa_fp16_overflow 0
		.amdhsa_tg_split 0
		.amdhsa_exception_fp_ieee_invalid_op 0
		.amdhsa_exception_fp_denorm_src 0
		.amdhsa_exception_fp_ieee_div_zero 0
		.amdhsa_exception_fp_ieee_overflow 0
		.amdhsa_exception_fp_ieee_underflow 0
		.amdhsa_exception_fp_ieee_inexact 0
		.amdhsa_exception_int_div_zero 0
	.end_amdhsa_kernel
	.section	.text._ZN7rocprim17ROCPRIM_400000_NS6detail17trampoline_kernelINS0_14default_configENS1_36segmented_radix_sort_config_selectorIslEEZNS1_25segmented_radix_sort_implIS3_Lb1EPKsPsPKlPlN2at6native12_GLOBAL__N_18offset_tEEE10hipError_tPvRmT1_PNSt15iterator_traitsISK_E10value_typeET2_T3_PNSL_ISQ_E10value_typeET4_jRbjT5_SW_jjP12ihipStream_tbEUlT_E1_NS1_11comp_targetILNS1_3genE4ELNS1_11target_archE910ELNS1_3gpuE8ELNS1_3repE0EEENS1_59segmented_radix_sort_warp_sort_small_config_static_selectorELNS0_4arch9wavefront6targetE1EEEvSK_,"axG",@progbits,_ZN7rocprim17ROCPRIM_400000_NS6detail17trampoline_kernelINS0_14default_configENS1_36segmented_radix_sort_config_selectorIslEEZNS1_25segmented_radix_sort_implIS3_Lb1EPKsPsPKlPlN2at6native12_GLOBAL__N_18offset_tEEE10hipError_tPvRmT1_PNSt15iterator_traitsISK_E10value_typeET2_T3_PNSL_ISQ_E10value_typeET4_jRbjT5_SW_jjP12ihipStream_tbEUlT_E1_NS1_11comp_targetILNS1_3genE4ELNS1_11target_archE910ELNS1_3gpuE8ELNS1_3repE0EEENS1_59segmented_radix_sort_warp_sort_small_config_static_selectorELNS0_4arch9wavefront6targetE1EEEvSK_,comdat
.Lfunc_end933:
	.size	_ZN7rocprim17ROCPRIM_400000_NS6detail17trampoline_kernelINS0_14default_configENS1_36segmented_radix_sort_config_selectorIslEEZNS1_25segmented_radix_sort_implIS3_Lb1EPKsPsPKlPlN2at6native12_GLOBAL__N_18offset_tEEE10hipError_tPvRmT1_PNSt15iterator_traitsISK_E10value_typeET2_T3_PNSL_ISQ_E10value_typeET4_jRbjT5_SW_jjP12ihipStream_tbEUlT_E1_NS1_11comp_targetILNS1_3genE4ELNS1_11target_archE910ELNS1_3gpuE8ELNS1_3repE0EEENS1_59segmented_radix_sort_warp_sort_small_config_static_selectorELNS0_4arch9wavefront6targetE1EEEvSK_, .Lfunc_end933-_ZN7rocprim17ROCPRIM_400000_NS6detail17trampoline_kernelINS0_14default_configENS1_36segmented_radix_sort_config_selectorIslEEZNS1_25segmented_radix_sort_implIS3_Lb1EPKsPsPKlPlN2at6native12_GLOBAL__N_18offset_tEEE10hipError_tPvRmT1_PNSt15iterator_traitsISK_E10value_typeET2_T3_PNSL_ISQ_E10value_typeET4_jRbjT5_SW_jjP12ihipStream_tbEUlT_E1_NS1_11comp_targetILNS1_3genE4ELNS1_11target_archE910ELNS1_3gpuE8ELNS1_3repE0EEENS1_59segmented_radix_sort_warp_sort_small_config_static_selectorELNS0_4arch9wavefront6targetE1EEEvSK_
                                        ; -- End function
	.section	.AMDGPU.csdata,"",@progbits
; Kernel info:
; codeLenInByte = 512
; NumSgprs: 56
; NumVgprs: 88
; NumAgprs: 0
; TotalNumVgprs: 88
; ScratchSize: 0
; MemoryBound: 0
; FloatMode: 240
; IeeeMode: 1
; LDSByteSize: 10240 bytes/workgroup (compile time only)
; SGPRBlocks: 6
; VGPRBlocks: 10
; NumSGPRsForWavesPerEU: 56
; NumVGPRsForWavesPerEU: 88
; AccumOffset: 88
; Occupancy: 5
; WaveLimiterHint : 0
; COMPUTE_PGM_RSRC2:SCRATCH_EN: 0
; COMPUTE_PGM_RSRC2:USER_SGPR: 8
; COMPUTE_PGM_RSRC2:TRAP_HANDLER: 0
; COMPUTE_PGM_RSRC2:TGID_X_EN: 1
; COMPUTE_PGM_RSRC2:TGID_Y_EN: 1
; COMPUTE_PGM_RSRC2:TGID_Z_EN: 0
; COMPUTE_PGM_RSRC2:TIDIG_COMP_CNT: 2
; COMPUTE_PGM_RSRC3_GFX90A:ACCUM_OFFSET: 21
; COMPUTE_PGM_RSRC3_GFX90A:TG_SPLIT: 0
	.section	.text._ZN7rocprim17ROCPRIM_400000_NS6detail17trampoline_kernelINS0_14default_configENS1_36segmented_radix_sort_config_selectorIslEEZNS1_25segmented_radix_sort_implIS3_Lb1EPKsPsPKlPlN2at6native12_GLOBAL__N_18offset_tEEE10hipError_tPvRmT1_PNSt15iterator_traitsISK_E10value_typeET2_T3_PNSL_ISQ_E10value_typeET4_jRbjT5_SW_jjP12ihipStream_tbEUlT_E1_NS1_11comp_targetILNS1_3genE3ELNS1_11target_archE908ELNS1_3gpuE7ELNS1_3repE0EEENS1_59segmented_radix_sort_warp_sort_small_config_static_selectorELNS0_4arch9wavefront6targetE1EEEvSK_,"axG",@progbits,_ZN7rocprim17ROCPRIM_400000_NS6detail17trampoline_kernelINS0_14default_configENS1_36segmented_radix_sort_config_selectorIslEEZNS1_25segmented_radix_sort_implIS3_Lb1EPKsPsPKlPlN2at6native12_GLOBAL__N_18offset_tEEE10hipError_tPvRmT1_PNSt15iterator_traitsISK_E10value_typeET2_T3_PNSL_ISQ_E10value_typeET4_jRbjT5_SW_jjP12ihipStream_tbEUlT_E1_NS1_11comp_targetILNS1_3genE3ELNS1_11target_archE908ELNS1_3gpuE7ELNS1_3repE0EEENS1_59segmented_radix_sort_warp_sort_small_config_static_selectorELNS0_4arch9wavefront6targetE1EEEvSK_,comdat
	.globl	_ZN7rocprim17ROCPRIM_400000_NS6detail17trampoline_kernelINS0_14default_configENS1_36segmented_radix_sort_config_selectorIslEEZNS1_25segmented_radix_sort_implIS3_Lb1EPKsPsPKlPlN2at6native12_GLOBAL__N_18offset_tEEE10hipError_tPvRmT1_PNSt15iterator_traitsISK_E10value_typeET2_T3_PNSL_ISQ_E10value_typeET4_jRbjT5_SW_jjP12ihipStream_tbEUlT_E1_NS1_11comp_targetILNS1_3genE3ELNS1_11target_archE908ELNS1_3gpuE7ELNS1_3repE0EEENS1_59segmented_radix_sort_warp_sort_small_config_static_selectorELNS0_4arch9wavefront6targetE1EEEvSK_ ; -- Begin function _ZN7rocprim17ROCPRIM_400000_NS6detail17trampoline_kernelINS0_14default_configENS1_36segmented_radix_sort_config_selectorIslEEZNS1_25segmented_radix_sort_implIS3_Lb1EPKsPsPKlPlN2at6native12_GLOBAL__N_18offset_tEEE10hipError_tPvRmT1_PNSt15iterator_traitsISK_E10value_typeET2_T3_PNSL_ISQ_E10value_typeET4_jRbjT5_SW_jjP12ihipStream_tbEUlT_E1_NS1_11comp_targetILNS1_3genE3ELNS1_11target_archE908ELNS1_3gpuE7ELNS1_3repE0EEENS1_59segmented_radix_sort_warp_sort_small_config_static_selectorELNS0_4arch9wavefront6targetE1EEEvSK_
	.p2align	8
	.type	_ZN7rocprim17ROCPRIM_400000_NS6detail17trampoline_kernelINS0_14default_configENS1_36segmented_radix_sort_config_selectorIslEEZNS1_25segmented_radix_sort_implIS3_Lb1EPKsPsPKlPlN2at6native12_GLOBAL__N_18offset_tEEE10hipError_tPvRmT1_PNSt15iterator_traitsISK_E10value_typeET2_T3_PNSL_ISQ_E10value_typeET4_jRbjT5_SW_jjP12ihipStream_tbEUlT_E1_NS1_11comp_targetILNS1_3genE3ELNS1_11target_archE908ELNS1_3gpuE7ELNS1_3repE0EEENS1_59segmented_radix_sort_warp_sort_small_config_static_selectorELNS0_4arch9wavefront6targetE1EEEvSK_,@function
_ZN7rocprim17ROCPRIM_400000_NS6detail17trampoline_kernelINS0_14default_configENS1_36segmented_radix_sort_config_selectorIslEEZNS1_25segmented_radix_sort_implIS3_Lb1EPKsPsPKlPlN2at6native12_GLOBAL__N_18offset_tEEE10hipError_tPvRmT1_PNSt15iterator_traitsISK_E10value_typeET2_T3_PNSL_ISQ_E10value_typeET4_jRbjT5_SW_jjP12ihipStream_tbEUlT_E1_NS1_11comp_targetILNS1_3genE3ELNS1_11target_archE908ELNS1_3gpuE7ELNS1_3repE0EEENS1_59segmented_radix_sort_warp_sort_small_config_static_selectorELNS0_4arch9wavefront6targetE1EEEvSK_: ; @_ZN7rocprim17ROCPRIM_400000_NS6detail17trampoline_kernelINS0_14default_configENS1_36segmented_radix_sort_config_selectorIslEEZNS1_25segmented_radix_sort_implIS3_Lb1EPKsPsPKlPlN2at6native12_GLOBAL__N_18offset_tEEE10hipError_tPvRmT1_PNSt15iterator_traitsISK_E10value_typeET2_T3_PNSL_ISQ_E10value_typeET4_jRbjT5_SW_jjP12ihipStream_tbEUlT_E1_NS1_11comp_targetILNS1_3genE3ELNS1_11target_archE908ELNS1_3gpuE7ELNS1_3repE0EEENS1_59segmented_radix_sort_warp_sort_small_config_static_selectorELNS0_4arch9wavefront6targetE1EEEvSK_
; %bb.0:
	.section	.rodata,"a",@progbits
	.p2align	6, 0x0
	.amdhsa_kernel _ZN7rocprim17ROCPRIM_400000_NS6detail17trampoline_kernelINS0_14default_configENS1_36segmented_radix_sort_config_selectorIslEEZNS1_25segmented_radix_sort_implIS3_Lb1EPKsPsPKlPlN2at6native12_GLOBAL__N_18offset_tEEE10hipError_tPvRmT1_PNSt15iterator_traitsISK_E10value_typeET2_T3_PNSL_ISQ_E10value_typeET4_jRbjT5_SW_jjP12ihipStream_tbEUlT_E1_NS1_11comp_targetILNS1_3genE3ELNS1_11target_archE908ELNS1_3gpuE7ELNS1_3repE0EEENS1_59segmented_radix_sort_warp_sort_small_config_static_selectorELNS0_4arch9wavefront6targetE1EEEvSK_
		.amdhsa_group_segment_fixed_size 0
		.amdhsa_private_segment_fixed_size 0
		.amdhsa_kernarg_size 88
		.amdhsa_user_sgpr_count 6
		.amdhsa_user_sgpr_private_segment_buffer 1
		.amdhsa_user_sgpr_dispatch_ptr 0
		.amdhsa_user_sgpr_queue_ptr 0
		.amdhsa_user_sgpr_kernarg_segment_ptr 1
		.amdhsa_user_sgpr_dispatch_id 0
		.amdhsa_user_sgpr_flat_scratch_init 0
		.amdhsa_user_sgpr_kernarg_preload_length 0
		.amdhsa_user_sgpr_kernarg_preload_offset 0
		.amdhsa_user_sgpr_private_segment_size 0
		.amdhsa_uses_dynamic_stack 0
		.amdhsa_system_sgpr_private_segment_wavefront_offset 0
		.amdhsa_system_sgpr_workgroup_id_x 1
		.amdhsa_system_sgpr_workgroup_id_y 0
		.amdhsa_system_sgpr_workgroup_id_z 0
		.amdhsa_system_sgpr_workgroup_info 0
		.amdhsa_system_vgpr_workitem_id 0
		.amdhsa_next_free_vgpr 1
		.amdhsa_next_free_sgpr 0
		.amdhsa_accum_offset 4
		.amdhsa_reserve_vcc 0
		.amdhsa_reserve_flat_scratch 0
		.amdhsa_float_round_mode_32 0
		.amdhsa_float_round_mode_16_64 0
		.amdhsa_float_denorm_mode_32 3
		.amdhsa_float_denorm_mode_16_64 3
		.amdhsa_dx10_clamp 1
		.amdhsa_ieee_mode 1
		.amdhsa_fp16_overflow 0
		.amdhsa_tg_split 0
		.amdhsa_exception_fp_ieee_invalid_op 0
		.amdhsa_exception_fp_denorm_src 0
		.amdhsa_exception_fp_ieee_div_zero 0
		.amdhsa_exception_fp_ieee_overflow 0
		.amdhsa_exception_fp_ieee_underflow 0
		.amdhsa_exception_fp_ieee_inexact 0
		.amdhsa_exception_int_div_zero 0
	.end_amdhsa_kernel
	.section	.text._ZN7rocprim17ROCPRIM_400000_NS6detail17trampoline_kernelINS0_14default_configENS1_36segmented_radix_sort_config_selectorIslEEZNS1_25segmented_radix_sort_implIS3_Lb1EPKsPsPKlPlN2at6native12_GLOBAL__N_18offset_tEEE10hipError_tPvRmT1_PNSt15iterator_traitsISK_E10value_typeET2_T3_PNSL_ISQ_E10value_typeET4_jRbjT5_SW_jjP12ihipStream_tbEUlT_E1_NS1_11comp_targetILNS1_3genE3ELNS1_11target_archE908ELNS1_3gpuE7ELNS1_3repE0EEENS1_59segmented_radix_sort_warp_sort_small_config_static_selectorELNS0_4arch9wavefront6targetE1EEEvSK_,"axG",@progbits,_ZN7rocprim17ROCPRIM_400000_NS6detail17trampoline_kernelINS0_14default_configENS1_36segmented_radix_sort_config_selectorIslEEZNS1_25segmented_radix_sort_implIS3_Lb1EPKsPsPKlPlN2at6native12_GLOBAL__N_18offset_tEEE10hipError_tPvRmT1_PNSt15iterator_traitsISK_E10value_typeET2_T3_PNSL_ISQ_E10value_typeET4_jRbjT5_SW_jjP12ihipStream_tbEUlT_E1_NS1_11comp_targetILNS1_3genE3ELNS1_11target_archE908ELNS1_3gpuE7ELNS1_3repE0EEENS1_59segmented_radix_sort_warp_sort_small_config_static_selectorELNS0_4arch9wavefront6targetE1EEEvSK_,comdat
.Lfunc_end934:
	.size	_ZN7rocprim17ROCPRIM_400000_NS6detail17trampoline_kernelINS0_14default_configENS1_36segmented_radix_sort_config_selectorIslEEZNS1_25segmented_radix_sort_implIS3_Lb1EPKsPsPKlPlN2at6native12_GLOBAL__N_18offset_tEEE10hipError_tPvRmT1_PNSt15iterator_traitsISK_E10value_typeET2_T3_PNSL_ISQ_E10value_typeET4_jRbjT5_SW_jjP12ihipStream_tbEUlT_E1_NS1_11comp_targetILNS1_3genE3ELNS1_11target_archE908ELNS1_3gpuE7ELNS1_3repE0EEENS1_59segmented_radix_sort_warp_sort_small_config_static_selectorELNS0_4arch9wavefront6targetE1EEEvSK_, .Lfunc_end934-_ZN7rocprim17ROCPRIM_400000_NS6detail17trampoline_kernelINS0_14default_configENS1_36segmented_radix_sort_config_selectorIslEEZNS1_25segmented_radix_sort_implIS3_Lb1EPKsPsPKlPlN2at6native12_GLOBAL__N_18offset_tEEE10hipError_tPvRmT1_PNSt15iterator_traitsISK_E10value_typeET2_T3_PNSL_ISQ_E10value_typeET4_jRbjT5_SW_jjP12ihipStream_tbEUlT_E1_NS1_11comp_targetILNS1_3genE3ELNS1_11target_archE908ELNS1_3gpuE7ELNS1_3repE0EEENS1_59segmented_radix_sort_warp_sort_small_config_static_selectorELNS0_4arch9wavefront6targetE1EEEvSK_
                                        ; -- End function
	.section	.AMDGPU.csdata,"",@progbits
; Kernel info:
; codeLenInByte = 0
; NumSgprs: 4
; NumVgprs: 0
; NumAgprs: 0
; TotalNumVgprs: 0
; ScratchSize: 0
; MemoryBound: 0
; FloatMode: 240
; IeeeMode: 1
; LDSByteSize: 0 bytes/workgroup (compile time only)
; SGPRBlocks: 0
; VGPRBlocks: 0
; NumSGPRsForWavesPerEU: 4
; NumVGPRsForWavesPerEU: 1
; AccumOffset: 4
; Occupancy: 8
; WaveLimiterHint : 0
; COMPUTE_PGM_RSRC2:SCRATCH_EN: 0
; COMPUTE_PGM_RSRC2:USER_SGPR: 6
; COMPUTE_PGM_RSRC2:TRAP_HANDLER: 0
; COMPUTE_PGM_RSRC2:TGID_X_EN: 1
; COMPUTE_PGM_RSRC2:TGID_Y_EN: 0
; COMPUTE_PGM_RSRC2:TGID_Z_EN: 0
; COMPUTE_PGM_RSRC2:TIDIG_COMP_CNT: 0
; COMPUTE_PGM_RSRC3_GFX90A:ACCUM_OFFSET: 0
; COMPUTE_PGM_RSRC3_GFX90A:TG_SPLIT: 0
	.section	.text._ZN7rocprim17ROCPRIM_400000_NS6detail17trampoline_kernelINS0_14default_configENS1_36segmented_radix_sort_config_selectorIslEEZNS1_25segmented_radix_sort_implIS3_Lb1EPKsPsPKlPlN2at6native12_GLOBAL__N_18offset_tEEE10hipError_tPvRmT1_PNSt15iterator_traitsISK_E10value_typeET2_T3_PNSL_ISQ_E10value_typeET4_jRbjT5_SW_jjP12ihipStream_tbEUlT_E1_NS1_11comp_targetILNS1_3genE2ELNS1_11target_archE906ELNS1_3gpuE6ELNS1_3repE0EEENS1_59segmented_radix_sort_warp_sort_small_config_static_selectorELNS0_4arch9wavefront6targetE1EEEvSK_,"axG",@progbits,_ZN7rocprim17ROCPRIM_400000_NS6detail17trampoline_kernelINS0_14default_configENS1_36segmented_radix_sort_config_selectorIslEEZNS1_25segmented_radix_sort_implIS3_Lb1EPKsPsPKlPlN2at6native12_GLOBAL__N_18offset_tEEE10hipError_tPvRmT1_PNSt15iterator_traitsISK_E10value_typeET2_T3_PNSL_ISQ_E10value_typeET4_jRbjT5_SW_jjP12ihipStream_tbEUlT_E1_NS1_11comp_targetILNS1_3genE2ELNS1_11target_archE906ELNS1_3gpuE6ELNS1_3repE0EEENS1_59segmented_radix_sort_warp_sort_small_config_static_selectorELNS0_4arch9wavefront6targetE1EEEvSK_,comdat
	.globl	_ZN7rocprim17ROCPRIM_400000_NS6detail17trampoline_kernelINS0_14default_configENS1_36segmented_radix_sort_config_selectorIslEEZNS1_25segmented_radix_sort_implIS3_Lb1EPKsPsPKlPlN2at6native12_GLOBAL__N_18offset_tEEE10hipError_tPvRmT1_PNSt15iterator_traitsISK_E10value_typeET2_T3_PNSL_ISQ_E10value_typeET4_jRbjT5_SW_jjP12ihipStream_tbEUlT_E1_NS1_11comp_targetILNS1_3genE2ELNS1_11target_archE906ELNS1_3gpuE6ELNS1_3repE0EEENS1_59segmented_radix_sort_warp_sort_small_config_static_selectorELNS0_4arch9wavefront6targetE1EEEvSK_ ; -- Begin function _ZN7rocprim17ROCPRIM_400000_NS6detail17trampoline_kernelINS0_14default_configENS1_36segmented_radix_sort_config_selectorIslEEZNS1_25segmented_radix_sort_implIS3_Lb1EPKsPsPKlPlN2at6native12_GLOBAL__N_18offset_tEEE10hipError_tPvRmT1_PNSt15iterator_traitsISK_E10value_typeET2_T3_PNSL_ISQ_E10value_typeET4_jRbjT5_SW_jjP12ihipStream_tbEUlT_E1_NS1_11comp_targetILNS1_3genE2ELNS1_11target_archE906ELNS1_3gpuE6ELNS1_3repE0EEENS1_59segmented_radix_sort_warp_sort_small_config_static_selectorELNS0_4arch9wavefront6targetE1EEEvSK_
	.p2align	8
	.type	_ZN7rocprim17ROCPRIM_400000_NS6detail17trampoline_kernelINS0_14default_configENS1_36segmented_radix_sort_config_selectorIslEEZNS1_25segmented_radix_sort_implIS3_Lb1EPKsPsPKlPlN2at6native12_GLOBAL__N_18offset_tEEE10hipError_tPvRmT1_PNSt15iterator_traitsISK_E10value_typeET2_T3_PNSL_ISQ_E10value_typeET4_jRbjT5_SW_jjP12ihipStream_tbEUlT_E1_NS1_11comp_targetILNS1_3genE2ELNS1_11target_archE906ELNS1_3gpuE6ELNS1_3repE0EEENS1_59segmented_radix_sort_warp_sort_small_config_static_selectorELNS0_4arch9wavefront6targetE1EEEvSK_,@function
_ZN7rocprim17ROCPRIM_400000_NS6detail17trampoline_kernelINS0_14default_configENS1_36segmented_radix_sort_config_selectorIslEEZNS1_25segmented_radix_sort_implIS3_Lb1EPKsPsPKlPlN2at6native12_GLOBAL__N_18offset_tEEE10hipError_tPvRmT1_PNSt15iterator_traitsISK_E10value_typeET2_T3_PNSL_ISQ_E10value_typeET4_jRbjT5_SW_jjP12ihipStream_tbEUlT_E1_NS1_11comp_targetILNS1_3genE2ELNS1_11target_archE906ELNS1_3gpuE6ELNS1_3repE0EEENS1_59segmented_radix_sort_warp_sort_small_config_static_selectorELNS0_4arch9wavefront6targetE1EEEvSK_: ; @_ZN7rocprim17ROCPRIM_400000_NS6detail17trampoline_kernelINS0_14default_configENS1_36segmented_radix_sort_config_selectorIslEEZNS1_25segmented_radix_sort_implIS3_Lb1EPKsPsPKlPlN2at6native12_GLOBAL__N_18offset_tEEE10hipError_tPvRmT1_PNSt15iterator_traitsISK_E10value_typeET2_T3_PNSL_ISQ_E10value_typeET4_jRbjT5_SW_jjP12ihipStream_tbEUlT_E1_NS1_11comp_targetILNS1_3genE2ELNS1_11target_archE906ELNS1_3gpuE6ELNS1_3repE0EEENS1_59segmented_radix_sort_warp_sort_small_config_static_selectorELNS0_4arch9wavefront6targetE1EEEvSK_
; %bb.0:
	.section	.rodata,"a",@progbits
	.p2align	6, 0x0
	.amdhsa_kernel _ZN7rocprim17ROCPRIM_400000_NS6detail17trampoline_kernelINS0_14default_configENS1_36segmented_radix_sort_config_selectorIslEEZNS1_25segmented_radix_sort_implIS3_Lb1EPKsPsPKlPlN2at6native12_GLOBAL__N_18offset_tEEE10hipError_tPvRmT1_PNSt15iterator_traitsISK_E10value_typeET2_T3_PNSL_ISQ_E10value_typeET4_jRbjT5_SW_jjP12ihipStream_tbEUlT_E1_NS1_11comp_targetILNS1_3genE2ELNS1_11target_archE906ELNS1_3gpuE6ELNS1_3repE0EEENS1_59segmented_radix_sort_warp_sort_small_config_static_selectorELNS0_4arch9wavefront6targetE1EEEvSK_
		.amdhsa_group_segment_fixed_size 0
		.amdhsa_private_segment_fixed_size 0
		.amdhsa_kernarg_size 88
		.amdhsa_user_sgpr_count 6
		.amdhsa_user_sgpr_private_segment_buffer 1
		.amdhsa_user_sgpr_dispatch_ptr 0
		.amdhsa_user_sgpr_queue_ptr 0
		.amdhsa_user_sgpr_kernarg_segment_ptr 1
		.amdhsa_user_sgpr_dispatch_id 0
		.amdhsa_user_sgpr_flat_scratch_init 0
		.amdhsa_user_sgpr_kernarg_preload_length 0
		.amdhsa_user_sgpr_kernarg_preload_offset 0
		.amdhsa_user_sgpr_private_segment_size 0
		.amdhsa_uses_dynamic_stack 0
		.amdhsa_system_sgpr_private_segment_wavefront_offset 0
		.amdhsa_system_sgpr_workgroup_id_x 1
		.amdhsa_system_sgpr_workgroup_id_y 0
		.amdhsa_system_sgpr_workgroup_id_z 0
		.amdhsa_system_sgpr_workgroup_info 0
		.amdhsa_system_vgpr_workitem_id 0
		.amdhsa_next_free_vgpr 1
		.amdhsa_next_free_sgpr 0
		.amdhsa_accum_offset 4
		.amdhsa_reserve_vcc 0
		.amdhsa_reserve_flat_scratch 0
		.amdhsa_float_round_mode_32 0
		.amdhsa_float_round_mode_16_64 0
		.amdhsa_float_denorm_mode_32 3
		.amdhsa_float_denorm_mode_16_64 3
		.amdhsa_dx10_clamp 1
		.amdhsa_ieee_mode 1
		.amdhsa_fp16_overflow 0
		.amdhsa_tg_split 0
		.amdhsa_exception_fp_ieee_invalid_op 0
		.amdhsa_exception_fp_denorm_src 0
		.amdhsa_exception_fp_ieee_div_zero 0
		.amdhsa_exception_fp_ieee_overflow 0
		.amdhsa_exception_fp_ieee_underflow 0
		.amdhsa_exception_fp_ieee_inexact 0
		.amdhsa_exception_int_div_zero 0
	.end_amdhsa_kernel
	.section	.text._ZN7rocprim17ROCPRIM_400000_NS6detail17trampoline_kernelINS0_14default_configENS1_36segmented_radix_sort_config_selectorIslEEZNS1_25segmented_radix_sort_implIS3_Lb1EPKsPsPKlPlN2at6native12_GLOBAL__N_18offset_tEEE10hipError_tPvRmT1_PNSt15iterator_traitsISK_E10value_typeET2_T3_PNSL_ISQ_E10value_typeET4_jRbjT5_SW_jjP12ihipStream_tbEUlT_E1_NS1_11comp_targetILNS1_3genE2ELNS1_11target_archE906ELNS1_3gpuE6ELNS1_3repE0EEENS1_59segmented_radix_sort_warp_sort_small_config_static_selectorELNS0_4arch9wavefront6targetE1EEEvSK_,"axG",@progbits,_ZN7rocprim17ROCPRIM_400000_NS6detail17trampoline_kernelINS0_14default_configENS1_36segmented_radix_sort_config_selectorIslEEZNS1_25segmented_radix_sort_implIS3_Lb1EPKsPsPKlPlN2at6native12_GLOBAL__N_18offset_tEEE10hipError_tPvRmT1_PNSt15iterator_traitsISK_E10value_typeET2_T3_PNSL_ISQ_E10value_typeET4_jRbjT5_SW_jjP12ihipStream_tbEUlT_E1_NS1_11comp_targetILNS1_3genE2ELNS1_11target_archE906ELNS1_3gpuE6ELNS1_3repE0EEENS1_59segmented_radix_sort_warp_sort_small_config_static_selectorELNS0_4arch9wavefront6targetE1EEEvSK_,comdat
.Lfunc_end935:
	.size	_ZN7rocprim17ROCPRIM_400000_NS6detail17trampoline_kernelINS0_14default_configENS1_36segmented_radix_sort_config_selectorIslEEZNS1_25segmented_radix_sort_implIS3_Lb1EPKsPsPKlPlN2at6native12_GLOBAL__N_18offset_tEEE10hipError_tPvRmT1_PNSt15iterator_traitsISK_E10value_typeET2_T3_PNSL_ISQ_E10value_typeET4_jRbjT5_SW_jjP12ihipStream_tbEUlT_E1_NS1_11comp_targetILNS1_3genE2ELNS1_11target_archE906ELNS1_3gpuE6ELNS1_3repE0EEENS1_59segmented_radix_sort_warp_sort_small_config_static_selectorELNS0_4arch9wavefront6targetE1EEEvSK_, .Lfunc_end935-_ZN7rocprim17ROCPRIM_400000_NS6detail17trampoline_kernelINS0_14default_configENS1_36segmented_radix_sort_config_selectorIslEEZNS1_25segmented_radix_sort_implIS3_Lb1EPKsPsPKlPlN2at6native12_GLOBAL__N_18offset_tEEE10hipError_tPvRmT1_PNSt15iterator_traitsISK_E10value_typeET2_T3_PNSL_ISQ_E10value_typeET4_jRbjT5_SW_jjP12ihipStream_tbEUlT_E1_NS1_11comp_targetILNS1_3genE2ELNS1_11target_archE906ELNS1_3gpuE6ELNS1_3repE0EEENS1_59segmented_radix_sort_warp_sort_small_config_static_selectorELNS0_4arch9wavefront6targetE1EEEvSK_
                                        ; -- End function
	.section	.AMDGPU.csdata,"",@progbits
; Kernel info:
; codeLenInByte = 0
; NumSgprs: 4
; NumVgprs: 0
; NumAgprs: 0
; TotalNumVgprs: 0
; ScratchSize: 0
; MemoryBound: 0
; FloatMode: 240
; IeeeMode: 1
; LDSByteSize: 0 bytes/workgroup (compile time only)
; SGPRBlocks: 0
; VGPRBlocks: 0
; NumSGPRsForWavesPerEU: 4
; NumVGPRsForWavesPerEU: 1
; AccumOffset: 4
; Occupancy: 8
; WaveLimiterHint : 0
; COMPUTE_PGM_RSRC2:SCRATCH_EN: 0
; COMPUTE_PGM_RSRC2:USER_SGPR: 6
; COMPUTE_PGM_RSRC2:TRAP_HANDLER: 0
; COMPUTE_PGM_RSRC2:TGID_X_EN: 1
; COMPUTE_PGM_RSRC2:TGID_Y_EN: 0
; COMPUTE_PGM_RSRC2:TGID_Z_EN: 0
; COMPUTE_PGM_RSRC2:TIDIG_COMP_CNT: 0
; COMPUTE_PGM_RSRC3_GFX90A:ACCUM_OFFSET: 0
; COMPUTE_PGM_RSRC3_GFX90A:TG_SPLIT: 0
	.section	.text._ZN7rocprim17ROCPRIM_400000_NS6detail17trampoline_kernelINS0_14default_configENS1_36segmented_radix_sort_config_selectorIslEEZNS1_25segmented_radix_sort_implIS3_Lb1EPKsPsPKlPlN2at6native12_GLOBAL__N_18offset_tEEE10hipError_tPvRmT1_PNSt15iterator_traitsISK_E10value_typeET2_T3_PNSL_ISQ_E10value_typeET4_jRbjT5_SW_jjP12ihipStream_tbEUlT_E1_NS1_11comp_targetILNS1_3genE10ELNS1_11target_archE1201ELNS1_3gpuE5ELNS1_3repE0EEENS1_59segmented_radix_sort_warp_sort_small_config_static_selectorELNS0_4arch9wavefront6targetE1EEEvSK_,"axG",@progbits,_ZN7rocprim17ROCPRIM_400000_NS6detail17trampoline_kernelINS0_14default_configENS1_36segmented_radix_sort_config_selectorIslEEZNS1_25segmented_radix_sort_implIS3_Lb1EPKsPsPKlPlN2at6native12_GLOBAL__N_18offset_tEEE10hipError_tPvRmT1_PNSt15iterator_traitsISK_E10value_typeET2_T3_PNSL_ISQ_E10value_typeET4_jRbjT5_SW_jjP12ihipStream_tbEUlT_E1_NS1_11comp_targetILNS1_3genE10ELNS1_11target_archE1201ELNS1_3gpuE5ELNS1_3repE0EEENS1_59segmented_radix_sort_warp_sort_small_config_static_selectorELNS0_4arch9wavefront6targetE1EEEvSK_,comdat
	.globl	_ZN7rocprim17ROCPRIM_400000_NS6detail17trampoline_kernelINS0_14default_configENS1_36segmented_radix_sort_config_selectorIslEEZNS1_25segmented_radix_sort_implIS3_Lb1EPKsPsPKlPlN2at6native12_GLOBAL__N_18offset_tEEE10hipError_tPvRmT1_PNSt15iterator_traitsISK_E10value_typeET2_T3_PNSL_ISQ_E10value_typeET4_jRbjT5_SW_jjP12ihipStream_tbEUlT_E1_NS1_11comp_targetILNS1_3genE10ELNS1_11target_archE1201ELNS1_3gpuE5ELNS1_3repE0EEENS1_59segmented_radix_sort_warp_sort_small_config_static_selectorELNS0_4arch9wavefront6targetE1EEEvSK_ ; -- Begin function _ZN7rocprim17ROCPRIM_400000_NS6detail17trampoline_kernelINS0_14default_configENS1_36segmented_radix_sort_config_selectorIslEEZNS1_25segmented_radix_sort_implIS3_Lb1EPKsPsPKlPlN2at6native12_GLOBAL__N_18offset_tEEE10hipError_tPvRmT1_PNSt15iterator_traitsISK_E10value_typeET2_T3_PNSL_ISQ_E10value_typeET4_jRbjT5_SW_jjP12ihipStream_tbEUlT_E1_NS1_11comp_targetILNS1_3genE10ELNS1_11target_archE1201ELNS1_3gpuE5ELNS1_3repE0EEENS1_59segmented_radix_sort_warp_sort_small_config_static_selectorELNS0_4arch9wavefront6targetE1EEEvSK_
	.p2align	8
	.type	_ZN7rocprim17ROCPRIM_400000_NS6detail17trampoline_kernelINS0_14default_configENS1_36segmented_radix_sort_config_selectorIslEEZNS1_25segmented_radix_sort_implIS3_Lb1EPKsPsPKlPlN2at6native12_GLOBAL__N_18offset_tEEE10hipError_tPvRmT1_PNSt15iterator_traitsISK_E10value_typeET2_T3_PNSL_ISQ_E10value_typeET4_jRbjT5_SW_jjP12ihipStream_tbEUlT_E1_NS1_11comp_targetILNS1_3genE10ELNS1_11target_archE1201ELNS1_3gpuE5ELNS1_3repE0EEENS1_59segmented_radix_sort_warp_sort_small_config_static_selectorELNS0_4arch9wavefront6targetE1EEEvSK_,@function
_ZN7rocprim17ROCPRIM_400000_NS6detail17trampoline_kernelINS0_14default_configENS1_36segmented_radix_sort_config_selectorIslEEZNS1_25segmented_radix_sort_implIS3_Lb1EPKsPsPKlPlN2at6native12_GLOBAL__N_18offset_tEEE10hipError_tPvRmT1_PNSt15iterator_traitsISK_E10value_typeET2_T3_PNSL_ISQ_E10value_typeET4_jRbjT5_SW_jjP12ihipStream_tbEUlT_E1_NS1_11comp_targetILNS1_3genE10ELNS1_11target_archE1201ELNS1_3gpuE5ELNS1_3repE0EEENS1_59segmented_radix_sort_warp_sort_small_config_static_selectorELNS0_4arch9wavefront6targetE1EEEvSK_: ; @_ZN7rocprim17ROCPRIM_400000_NS6detail17trampoline_kernelINS0_14default_configENS1_36segmented_radix_sort_config_selectorIslEEZNS1_25segmented_radix_sort_implIS3_Lb1EPKsPsPKlPlN2at6native12_GLOBAL__N_18offset_tEEE10hipError_tPvRmT1_PNSt15iterator_traitsISK_E10value_typeET2_T3_PNSL_ISQ_E10value_typeET4_jRbjT5_SW_jjP12ihipStream_tbEUlT_E1_NS1_11comp_targetILNS1_3genE10ELNS1_11target_archE1201ELNS1_3gpuE5ELNS1_3repE0EEENS1_59segmented_radix_sort_warp_sort_small_config_static_selectorELNS0_4arch9wavefront6targetE1EEEvSK_
; %bb.0:
	.section	.rodata,"a",@progbits
	.p2align	6, 0x0
	.amdhsa_kernel _ZN7rocprim17ROCPRIM_400000_NS6detail17trampoline_kernelINS0_14default_configENS1_36segmented_radix_sort_config_selectorIslEEZNS1_25segmented_radix_sort_implIS3_Lb1EPKsPsPKlPlN2at6native12_GLOBAL__N_18offset_tEEE10hipError_tPvRmT1_PNSt15iterator_traitsISK_E10value_typeET2_T3_PNSL_ISQ_E10value_typeET4_jRbjT5_SW_jjP12ihipStream_tbEUlT_E1_NS1_11comp_targetILNS1_3genE10ELNS1_11target_archE1201ELNS1_3gpuE5ELNS1_3repE0EEENS1_59segmented_radix_sort_warp_sort_small_config_static_selectorELNS0_4arch9wavefront6targetE1EEEvSK_
		.amdhsa_group_segment_fixed_size 0
		.amdhsa_private_segment_fixed_size 0
		.amdhsa_kernarg_size 88
		.amdhsa_user_sgpr_count 6
		.amdhsa_user_sgpr_private_segment_buffer 1
		.amdhsa_user_sgpr_dispatch_ptr 0
		.amdhsa_user_sgpr_queue_ptr 0
		.amdhsa_user_sgpr_kernarg_segment_ptr 1
		.amdhsa_user_sgpr_dispatch_id 0
		.amdhsa_user_sgpr_flat_scratch_init 0
		.amdhsa_user_sgpr_kernarg_preload_length 0
		.amdhsa_user_sgpr_kernarg_preload_offset 0
		.amdhsa_user_sgpr_private_segment_size 0
		.amdhsa_uses_dynamic_stack 0
		.amdhsa_system_sgpr_private_segment_wavefront_offset 0
		.amdhsa_system_sgpr_workgroup_id_x 1
		.amdhsa_system_sgpr_workgroup_id_y 0
		.amdhsa_system_sgpr_workgroup_id_z 0
		.amdhsa_system_sgpr_workgroup_info 0
		.amdhsa_system_vgpr_workitem_id 0
		.amdhsa_next_free_vgpr 1
		.amdhsa_next_free_sgpr 0
		.amdhsa_accum_offset 4
		.amdhsa_reserve_vcc 0
		.amdhsa_reserve_flat_scratch 0
		.amdhsa_float_round_mode_32 0
		.amdhsa_float_round_mode_16_64 0
		.amdhsa_float_denorm_mode_32 3
		.amdhsa_float_denorm_mode_16_64 3
		.amdhsa_dx10_clamp 1
		.amdhsa_ieee_mode 1
		.amdhsa_fp16_overflow 0
		.amdhsa_tg_split 0
		.amdhsa_exception_fp_ieee_invalid_op 0
		.amdhsa_exception_fp_denorm_src 0
		.amdhsa_exception_fp_ieee_div_zero 0
		.amdhsa_exception_fp_ieee_overflow 0
		.amdhsa_exception_fp_ieee_underflow 0
		.amdhsa_exception_fp_ieee_inexact 0
		.amdhsa_exception_int_div_zero 0
	.end_amdhsa_kernel
	.section	.text._ZN7rocprim17ROCPRIM_400000_NS6detail17trampoline_kernelINS0_14default_configENS1_36segmented_radix_sort_config_selectorIslEEZNS1_25segmented_radix_sort_implIS3_Lb1EPKsPsPKlPlN2at6native12_GLOBAL__N_18offset_tEEE10hipError_tPvRmT1_PNSt15iterator_traitsISK_E10value_typeET2_T3_PNSL_ISQ_E10value_typeET4_jRbjT5_SW_jjP12ihipStream_tbEUlT_E1_NS1_11comp_targetILNS1_3genE10ELNS1_11target_archE1201ELNS1_3gpuE5ELNS1_3repE0EEENS1_59segmented_radix_sort_warp_sort_small_config_static_selectorELNS0_4arch9wavefront6targetE1EEEvSK_,"axG",@progbits,_ZN7rocprim17ROCPRIM_400000_NS6detail17trampoline_kernelINS0_14default_configENS1_36segmented_radix_sort_config_selectorIslEEZNS1_25segmented_radix_sort_implIS3_Lb1EPKsPsPKlPlN2at6native12_GLOBAL__N_18offset_tEEE10hipError_tPvRmT1_PNSt15iterator_traitsISK_E10value_typeET2_T3_PNSL_ISQ_E10value_typeET4_jRbjT5_SW_jjP12ihipStream_tbEUlT_E1_NS1_11comp_targetILNS1_3genE10ELNS1_11target_archE1201ELNS1_3gpuE5ELNS1_3repE0EEENS1_59segmented_radix_sort_warp_sort_small_config_static_selectorELNS0_4arch9wavefront6targetE1EEEvSK_,comdat
.Lfunc_end936:
	.size	_ZN7rocprim17ROCPRIM_400000_NS6detail17trampoline_kernelINS0_14default_configENS1_36segmented_radix_sort_config_selectorIslEEZNS1_25segmented_radix_sort_implIS3_Lb1EPKsPsPKlPlN2at6native12_GLOBAL__N_18offset_tEEE10hipError_tPvRmT1_PNSt15iterator_traitsISK_E10value_typeET2_T3_PNSL_ISQ_E10value_typeET4_jRbjT5_SW_jjP12ihipStream_tbEUlT_E1_NS1_11comp_targetILNS1_3genE10ELNS1_11target_archE1201ELNS1_3gpuE5ELNS1_3repE0EEENS1_59segmented_radix_sort_warp_sort_small_config_static_selectorELNS0_4arch9wavefront6targetE1EEEvSK_, .Lfunc_end936-_ZN7rocprim17ROCPRIM_400000_NS6detail17trampoline_kernelINS0_14default_configENS1_36segmented_radix_sort_config_selectorIslEEZNS1_25segmented_radix_sort_implIS3_Lb1EPKsPsPKlPlN2at6native12_GLOBAL__N_18offset_tEEE10hipError_tPvRmT1_PNSt15iterator_traitsISK_E10value_typeET2_T3_PNSL_ISQ_E10value_typeET4_jRbjT5_SW_jjP12ihipStream_tbEUlT_E1_NS1_11comp_targetILNS1_3genE10ELNS1_11target_archE1201ELNS1_3gpuE5ELNS1_3repE0EEENS1_59segmented_radix_sort_warp_sort_small_config_static_selectorELNS0_4arch9wavefront6targetE1EEEvSK_
                                        ; -- End function
	.section	.AMDGPU.csdata,"",@progbits
; Kernel info:
; codeLenInByte = 0
; NumSgprs: 4
; NumVgprs: 0
; NumAgprs: 0
; TotalNumVgprs: 0
; ScratchSize: 0
; MemoryBound: 0
; FloatMode: 240
; IeeeMode: 1
; LDSByteSize: 0 bytes/workgroup (compile time only)
; SGPRBlocks: 0
; VGPRBlocks: 0
; NumSGPRsForWavesPerEU: 4
; NumVGPRsForWavesPerEU: 1
; AccumOffset: 4
; Occupancy: 8
; WaveLimiterHint : 0
; COMPUTE_PGM_RSRC2:SCRATCH_EN: 0
; COMPUTE_PGM_RSRC2:USER_SGPR: 6
; COMPUTE_PGM_RSRC2:TRAP_HANDLER: 0
; COMPUTE_PGM_RSRC2:TGID_X_EN: 1
; COMPUTE_PGM_RSRC2:TGID_Y_EN: 0
; COMPUTE_PGM_RSRC2:TGID_Z_EN: 0
; COMPUTE_PGM_RSRC2:TIDIG_COMP_CNT: 0
; COMPUTE_PGM_RSRC3_GFX90A:ACCUM_OFFSET: 0
; COMPUTE_PGM_RSRC3_GFX90A:TG_SPLIT: 0
	.section	.text._ZN7rocprim17ROCPRIM_400000_NS6detail17trampoline_kernelINS0_14default_configENS1_36segmented_radix_sort_config_selectorIslEEZNS1_25segmented_radix_sort_implIS3_Lb1EPKsPsPKlPlN2at6native12_GLOBAL__N_18offset_tEEE10hipError_tPvRmT1_PNSt15iterator_traitsISK_E10value_typeET2_T3_PNSL_ISQ_E10value_typeET4_jRbjT5_SW_jjP12ihipStream_tbEUlT_E1_NS1_11comp_targetILNS1_3genE10ELNS1_11target_archE1200ELNS1_3gpuE4ELNS1_3repE0EEENS1_59segmented_radix_sort_warp_sort_small_config_static_selectorELNS0_4arch9wavefront6targetE1EEEvSK_,"axG",@progbits,_ZN7rocprim17ROCPRIM_400000_NS6detail17trampoline_kernelINS0_14default_configENS1_36segmented_radix_sort_config_selectorIslEEZNS1_25segmented_radix_sort_implIS3_Lb1EPKsPsPKlPlN2at6native12_GLOBAL__N_18offset_tEEE10hipError_tPvRmT1_PNSt15iterator_traitsISK_E10value_typeET2_T3_PNSL_ISQ_E10value_typeET4_jRbjT5_SW_jjP12ihipStream_tbEUlT_E1_NS1_11comp_targetILNS1_3genE10ELNS1_11target_archE1200ELNS1_3gpuE4ELNS1_3repE0EEENS1_59segmented_radix_sort_warp_sort_small_config_static_selectorELNS0_4arch9wavefront6targetE1EEEvSK_,comdat
	.globl	_ZN7rocprim17ROCPRIM_400000_NS6detail17trampoline_kernelINS0_14default_configENS1_36segmented_radix_sort_config_selectorIslEEZNS1_25segmented_radix_sort_implIS3_Lb1EPKsPsPKlPlN2at6native12_GLOBAL__N_18offset_tEEE10hipError_tPvRmT1_PNSt15iterator_traitsISK_E10value_typeET2_T3_PNSL_ISQ_E10value_typeET4_jRbjT5_SW_jjP12ihipStream_tbEUlT_E1_NS1_11comp_targetILNS1_3genE10ELNS1_11target_archE1200ELNS1_3gpuE4ELNS1_3repE0EEENS1_59segmented_radix_sort_warp_sort_small_config_static_selectorELNS0_4arch9wavefront6targetE1EEEvSK_ ; -- Begin function _ZN7rocprim17ROCPRIM_400000_NS6detail17trampoline_kernelINS0_14default_configENS1_36segmented_radix_sort_config_selectorIslEEZNS1_25segmented_radix_sort_implIS3_Lb1EPKsPsPKlPlN2at6native12_GLOBAL__N_18offset_tEEE10hipError_tPvRmT1_PNSt15iterator_traitsISK_E10value_typeET2_T3_PNSL_ISQ_E10value_typeET4_jRbjT5_SW_jjP12ihipStream_tbEUlT_E1_NS1_11comp_targetILNS1_3genE10ELNS1_11target_archE1200ELNS1_3gpuE4ELNS1_3repE0EEENS1_59segmented_radix_sort_warp_sort_small_config_static_selectorELNS0_4arch9wavefront6targetE1EEEvSK_
	.p2align	8
	.type	_ZN7rocprim17ROCPRIM_400000_NS6detail17trampoline_kernelINS0_14default_configENS1_36segmented_radix_sort_config_selectorIslEEZNS1_25segmented_radix_sort_implIS3_Lb1EPKsPsPKlPlN2at6native12_GLOBAL__N_18offset_tEEE10hipError_tPvRmT1_PNSt15iterator_traitsISK_E10value_typeET2_T3_PNSL_ISQ_E10value_typeET4_jRbjT5_SW_jjP12ihipStream_tbEUlT_E1_NS1_11comp_targetILNS1_3genE10ELNS1_11target_archE1200ELNS1_3gpuE4ELNS1_3repE0EEENS1_59segmented_radix_sort_warp_sort_small_config_static_selectorELNS0_4arch9wavefront6targetE1EEEvSK_,@function
_ZN7rocprim17ROCPRIM_400000_NS6detail17trampoline_kernelINS0_14default_configENS1_36segmented_radix_sort_config_selectorIslEEZNS1_25segmented_radix_sort_implIS3_Lb1EPKsPsPKlPlN2at6native12_GLOBAL__N_18offset_tEEE10hipError_tPvRmT1_PNSt15iterator_traitsISK_E10value_typeET2_T3_PNSL_ISQ_E10value_typeET4_jRbjT5_SW_jjP12ihipStream_tbEUlT_E1_NS1_11comp_targetILNS1_3genE10ELNS1_11target_archE1200ELNS1_3gpuE4ELNS1_3repE0EEENS1_59segmented_radix_sort_warp_sort_small_config_static_selectorELNS0_4arch9wavefront6targetE1EEEvSK_: ; @_ZN7rocprim17ROCPRIM_400000_NS6detail17trampoline_kernelINS0_14default_configENS1_36segmented_radix_sort_config_selectorIslEEZNS1_25segmented_radix_sort_implIS3_Lb1EPKsPsPKlPlN2at6native12_GLOBAL__N_18offset_tEEE10hipError_tPvRmT1_PNSt15iterator_traitsISK_E10value_typeET2_T3_PNSL_ISQ_E10value_typeET4_jRbjT5_SW_jjP12ihipStream_tbEUlT_E1_NS1_11comp_targetILNS1_3genE10ELNS1_11target_archE1200ELNS1_3gpuE4ELNS1_3repE0EEENS1_59segmented_radix_sort_warp_sort_small_config_static_selectorELNS0_4arch9wavefront6targetE1EEEvSK_
; %bb.0:
	.section	.rodata,"a",@progbits
	.p2align	6, 0x0
	.amdhsa_kernel _ZN7rocprim17ROCPRIM_400000_NS6detail17trampoline_kernelINS0_14default_configENS1_36segmented_radix_sort_config_selectorIslEEZNS1_25segmented_radix_sort_implIS3_Lb1EPKsPsPKlPlN2at6native12_GLOBAL__N_18offset_tEEE10hipError_tPvRmT1_PNSt15iterator_traitsISK_E10value_typeET2_T3_PNSL_ISQ_E10value_typeET4_jRbjT5_SW_jjP12ihipStream_tbEUlT_E1_NS1_11comp_targetILNS1_3genE10ELNS1_11target_archE1200ELNS1_3gpuE4ELNS1_3repE0EEENS1_59segmented_radix_sort_warp_sort_small_config_static_selectorELNS0_4arch9wavefront6targetE1EEEvSK_
		.amdhsa_group_segment_fixed_size 0
		.amdhsa_private_segment_fixed_size 0
		.amdhsa_kernarg_size 88
		.amdhsa_user_sgpr_count 6
		.amdhsa_user_sgpr_private_segment_buffer 1
		.amdhsa_user_sgpr_dispatch_ptr 0
		.amdhsa_user_sgpr_queue_ptr 0
		.amdhsa_user_sgpr_kernarg_segment_ptr 1
		.amdhsa_user_sgpr_dispatch_id 0
		.amdhsa_user_sgpr_flat_scratch_init 0
		.amdhsa_user_sgpr_kernarg_preload_length 0
		.amdhsa_user_sgpr_kernarg_preload_offset 0
		.amdhsa_user_sgpr_private_segment_size 0
		.amdhsa_uses_dynamic_stack 0
		.amdhsa_system_sgpr_private_segment_wavefront_offset 0
		.amdhsa_system_sgpr_workgroup_id_x 1
		.amdhsa_system_sgpr_workgroup_id_y 0
		.amdhsa_system_sgpr_workgroup_id_z 0
		.amdhsa_system_sgpr_workgroup_info 0
		.amdhsa_system_vgpr_workitem_id 0
		.amdhsa_next_free_vgpr 1
		.amdhsa_next_free_sgpr 0
		.amdhsa_accum_offset 4
		.amdhsa_reserve_vcc 0
		.amdhsa_reserve_flat_scratch 0
		.amdhsa_float_round_mode_32 0
		.amdhsa_float_round_mode_16_64 0
		.amdhsa_float_denorm_mode_32 3
		.amdhsa_float_denorm_mode_16_64 3
		.amdhsa_dx10_clamp 1
		.amdhsa_ieee_mode 1
		.amdhsa_fp16_overflow 0
		.amdhsa_tg_split 0
		.amdhsa_exception_fp_ieee_invalid_op 0
		.amdhsa_exception_fp_denorm_src 0
		.amdhsa_exception_fp_ieee_div_zero 0
		.amdhsa_exception_fp_ieee_overflow 0
		.amdhsa_exception_fp_ieee_underflow 0
		.amdhsa_exception_fp_ieee_inexact 0
		.amdhsa_exception_int_div_zero 0
	.end_amdhsa_kernel
	.section	.text._ZN7rocprim17ROCPRIM_400000_NS6detail17trampoline_kernelINS0_14default_configENS1_36segmented_radix_sort_config_selectorIslEEZNS1_25segmented_radix_sort_implIS3_Lb1EPKsPsPKlPlN2at6native12_GLOBAL__N_18offset_tEEE10hipError_tPvRmT1_PNSt15iterator_traitsISK_E10value_typeET2_T3_PNSL_ISQ_E10value_typeET4_jRbjT5_SW_jjP12ihipStream_tbEUlT_E1_NS1_11comp_targetILNS1_3genE10ELNS1_11target_archE1200ELNS1_3gpuE4ELNS1_3repE0EEENS1_59segmented_radix_sort_warp_sort_small_config_static_selectorELNS0_4arch9wavefront6targetE1EEEvSK_,"axG",@progbits,_ZN7rocprim17ROCPRIM_400000_NS6detail17trampoline_kernelINS0_14default_configENS1_36segmented_radix_sort_config_selectorIslEEZNS1_25segmented_radix_sort_implIS3_Lb1EPKsPsPKlPlN2at6native12_GLOBAL__N_18offset_tEEE10hipError_tPvRmT1_PNSt15iterator_traitsISK_E10value_typeET2_T3_PNSL_ISQ_E10value_typeET4_jRbjT5_SW_jjP12ihipStream_tbEUlT_E1_NS1_11comp_targetILNS1_3genE10ELNS1_11target_archE1200ELNS1_3gpuE4ELNS1_3repE0EEENS1_59segmented_radix_sort_warp_sort_small_config_static_selectorELNS0_4arch9wavefront6targetE1EEEvSK_,comdat
.Lfunc_end937:
	.size	_ZN7rocprim17ROCPRIM_400000_NS6detail17trampoline_kernelINS0_14default_configENS1_36segmented_radix_sort_config_selectorIslEEZNS1_25segmented_radix_sort_implIS3_Lb1EPKsPsPKlPlN2at6native12_GLOBAL__N_18offset_tEEE10hipError_tPvRmT1_PNSt15iterator_traitsISK_E10value_typeET2_T3_PNSL_ISQ_E10value_typeET4_jRbjT5_SW_jjP12ihipStream_tbEUlT_E1_NS1_11comp_targetILNS1_3genE10ELNS1_11target_archE1200ELNS1_3gpuE4ELNS1_3repE0EEENS1_59segmented_radix_sort_warp_sort_small_config_static_selectorELNS0_4arch9wavefront6targetE1EEEvSK_, .Lfunc_end937-_ZN7rocprim17ROCPRIM_400000_NS6detail17trampoline_kernelINS0_14default_configENS1_36segmented_radix_sort_config_selectorIslEEZNS1_25segmented_radix_sort_implIS3_Lb1EPKsPsPKlPlN2at6native12_GLOBAL__N_18offset_tEEE10hipError_tPvRmT1_PNSt15iterator_traitsISK_E10value_typeET2_T3_PNSL_ISQ_E10value_typeET4_jRbjT5_SW_jjP12ihipStream_tbEUlT_E1_NS1_11comp_targetILNS1_3genE10ELNS1_11target_archE1200ELNS1_3gpuE4ELNS1_3repE0EEENS1_59segmented_radix_sort_warp_sort_small_config_static_selectorELNS0_4arch9wavefront6targetE1EEEvSK_
                                        ; -- End function
	.section	.AMDGPU.csdata,"",@progbits
; Kernel info:
; codeLenInByte = 0
; NumSgprs: 4
; NumVgprs: 0
; NumAgprs: 0
; TotalNumVgprs: 0
; ScratchSize: 0
; MemoryBound: 0
; FloatMode: 240
; IeeeMode: 1
; LDSByteSize: 0 bytes/workgroup (compile time only)
; SGPRBlocks: 0
; VGPRBlocks: 0
; NumSGPRsForWavesPerEU: 4
; NumVGPRsForWavesPerEU: 1
; AccumOffset: 4
; Occupancy: 8
; WaveLimiterHint : 0
; COMPUTE_PGM_RSRC2:SCRATCH_EN: 0
; COMPUTE_PGM_RSRC2:USER_SGPR: 6
; COMPUTE_PGM_RSRC2:TRAP_HANDLER: 0
; COMPUTE_PGM_RSRC2:TGID_X_EN: 1
; COMPUTE_PGM_RSRC2:TGID_Y_EN: 0
; COMPUTE_PGM_RSRC2:TGID_Z_EN: 0
; COMPUTE_PGM_RSRC2:TIDIG_COMP_CNT: 0
; COMPUTE_PGM_RSRC3_GFX90A:ACCUM_OFFSET: 0
; COMPUTE_PGM_RSRC3_GFX90A:TG_SPLIT: 0
	.section	.text._ZN7rocprim17ROCPRIM_400000_NS6detail17trampoline_kernelINS0_14default_configENS1_36segmented_radix_sort_config_selectorIslEEZNS1_25segmented_radix_sort_implIS3_Lb1EPKsPsPKlPlN2at6native12_GLOBAL__N_18offset_tEEE10hipError_tPvRmT1_PNSt15iterator_traitsISK_E10value_typeET2_T3_PNSL_ISQ_E10value_typeET4_jRbjT5_SW_jjP12ihipStream_tbEUlT_E1_NS1_11comp_targetILNS1_3genE9ELNS1_11target_archE1100ELNS1_3gpuE3ELNS1_3repE0EEENS1_59segmented_radix_sort_warp_sort_small_config_static_selectorELNS0_4arch9wavefront6targetE1EEEvSK_,"axG",@progbits,_ZN7rocprim17ROCPRIM_400000_NS6detail17trampoline_kernelINS0_14default_configENS1_36segmented_radix_sort_config_selectorIslEEZNS1_25segmented_radix_sort_implIS3_Lb1EPKsPsPKlPlN2at6native12_GLOBAL__N_18offset_tEEE10hipError_tPvRmT1_PNSt15iterator_traitsISK_E10value_typeET2_T3_PNSL_ISQ_E10value_typeET4_jRbjT5_SW_jjP12ihipStream_tbEUlT_E1_NS1_11comp_targetILNS1_3genE9ELNS1_11target_archE1100ELNS1_3gpuE3ELNS1_3repE0EEENS1_59segmented_radix_sort_warp_sort_small_config_static_selectorELNS0_4arch9wavefront6targetE1EEEvSK_,comdat
	.globl	_ZN7rocprim17ROCPRIM_400000_NS6detail17trampoline_kernelINS0_14default_configENS1_36segmented_radix_sort_config_selectorIslEEZNS1_25segmented_radix_sort_implIS3_Lb1EPKsPsPKlPlN2at6native12_GLOBAL__N_18offset_tEEE10hipError_tPvRmT1_PNSt15iterator_traitsISK_E10value_typeET2_T3_PNSL_ISQ_E10value_typeET4_jRbjT5_SW_jjP12ihipStream_tbEUlT_E1_NS1_11comp_targetILNS1_3genE9ELNS1_11target_archE1100ELNS1_3gpuE3ELNS1_3repE0EEENS1_59segmented_radix_sort_warp_sort_small_config_static_selectorELNS0_4arch9wavefront6targetE1EEEvSK_ ; -- Begin function _ZN7rocprim17ROCPRIM_400000_NS6detail17trampoline_kernelINS0_14default_configENS1_36segmented_radix_sort_config_selectorIslEEZNS1_25segmented_radix_sort_implIS3_Lb1EPKsPsPKlPlN2at6native12_GLOBAL__N_18offset_tEEE10hipError_tPvRmT1_PNSt15iterator_traitsISK_E10value_typeET2_T3_PNSL_ISQ_E10value_typeET4_jRbjT5_SW_jjP12ihipStream_tbEUlT_E1_NS1_11comp_targetILNS1_3genE9ELNS1_11target_archE1100ELNS1_3gpuE3ELNS1_3repE0EEENS1_59segmented_radix_sort_warp_sort_small_config_static_selectorELNS0_4arch9wavefront6targetE1EEEvSK_
	.p2align	8
	.type	_ZN7rocprim17ROCPRIM_400000_NS6detail17trampoline_kernelINS0_14default_configENS1_36segmented_radix_sort_config_selectorIslEEZNS1_25segmented_radix_sort_implIS3_Lb1EPKsPsPKlPlN2at6native12_GLOBAL__N_18offset_tEEE10hipError_tPvRmT1_PNSt15iterator_traitsISK_E10value_typeET2_T3_PNSL_ISQ_E10value_typeET4_jRbjT5_SW_jjP12ihipStream_tbEUlT_E1_NS1_11comp_targetILNS1_3genE9ELNS1_11target_archE1100ELNS1_3gpuE3ELNS1_3repE0EEENS1_59segmented_radix_sort_warp_sort_small_config_static_selectorELNS0_4arch9wavefront6targetE1EEEvSK_,@function
_ZN7rocprim17ROCPRIM_400000_NS6detail17trampoline_kernelINS0_14default_configENS1_36segmented_radix_sort_config_selectorIslEEZNS1_25segmented_radix_sort_implIS3_Lb1EPKsPsPKlPlN2at6native12_GLOBAL__N_18offset_tEEE10hipError_tPvRmT1_PNSt15iterator_traitsISK_E10value_typeET2_T3_PNSL_ISQ_E10value_typeET4_jRbjT5_SW_jjP12ihipStream_tbEUlT_E1_NS1_11comp_targetILNS1_3genE9ELNS1_11target_archE1100ELNS1_3gpuE3ELNS1_3repE0EEENS1_59segmented_radix_sort_warp_sort_small_config_static_selectorELNS0_4arch9wavefront6targetE1EEEvSK_: ; @_ZN7rocprim17ROCPRIM_400000_NS6detail17trampoline_kernelINS0_14default_configENS1_36segmented_radix_sort_config_selectorIslEEZNS1_25segmented_radix_sort_implIS3_Lb1EPKsPsPKlPlN2at6native12_GLOBAL__N_18offset_tEEE10hipError_tPvRmT1_PNSt15iterator_traitsISK_E10value_typeET2_T3_PNSL_ISQ_E10value_typeET4_jRbjT5_SW_jjP12ihipStream_tbEUlT_E1_NS1_11comp_targetILNS1_3genE9ELNS1_11target_archE1100ELNS1_3gpuE3ELNS1_3repE0EEENS1_59segmented_radix_sort_warp_sort_small_config_static_selectorELNS0_4arch9wavefront6targetE1EEEvSK_
; %bb.0:
	.section	.rodata,"a",@progbits
	.p2align	6, 0x0
	.amdhsa_kernel _ZN7rocprim17ROCPRIM_400000_NS6detail17trampoline_kernelINS0_14default_configENS1_36segmented_radix_sort_config_selectorIslEEZNS1_25segmented_radix_sort_implIS3_Lb1EPKsPsPKlPlN2at6native12_GLOBAL__N_18offset_tEEE10hipError_tPvRmT1_PNSt15iterator_traitsISK_E10value_typeET2_T3_PNSL_ISQ_E10value_typeET4_jRbjT5_SW_jjP12ihipStream_tbEUlT_E1_NS1_11comp_targetILNS1_3genE9ELNS1_11target_archE1100ELNS1_3gpuE3ELNS1_3repE0EEENS1_59segmented_radix_sort_warp_sort_small_config_static_selectorELNS0_4arch9wavefront6targetE1EEEvSK_
		.amdhsa_group_segment_fixed_size 0
		.amdhsa_private_segment_fixed_size 0
		.amdhsa_kernarg_size 88
		.amdhsa_user_sgpr_count 6
		.amdhsa_user_sgpr_private_segment_buffer 1
		.amdhsa_user_sgpr_dispatch_ptr 0
		.amdhsa_user_sgpr_queue_ptr 0
		.amdhsa_user_sgpr_kernarg_segment_ptr 1
		.amdhsa_user_sgpr_dispatch_id 0
		.amdhsa_user_sgpr_flat_scratch_init 0
		.amdhsa_user_sgpr_kernarg_preload_length 0
		.amdhsa_user_sgpr_kernarg_preload_offset 0
		.amdhsa_user_sgpr_private_segment_size 0
		.amdhsa_uses_dynamic_stack 0
		.amdhsa_system_sgpr_private_segment_wavefront_offset 0
		.amdhsa_system_sgpr_workgroup_id_x 1
		.amdhsa_system_sgpr_workgroup_id_y 0
		.amdhsa_system_sgpr_workgroup_id_z 0
		.amdhsa_system_sgpr_workgroup_info 0
		.amdhsa_system_vgpr_workitem_id 0
		.amdhsa_next_free_vgpr 1
		.amdhsa_next_free_sgpr 0
		.amdhsa_accum_offset 4
		.amdhsa_reserve_vcc 0
		.amdhsa_reserve_flat_scratch 0
		.amdhsa_float_round_mode_32 0
		.amdhsa_float_round_mode_16_64 0
		.amdhsa_float_denorm_mode_32 3
		.amdhsa_float_denorm_mode_16_64 3
		.amdhsa_dx10_clamp 1
		.amdhsa_ieee_mode 1
		.amdhsa_fp16_overflow 0
		.amdhsa_tg_split 0
		.amdhsa_exception_fp_ieee_invalid_op 0
		.amdhsa_exception_fp_denorm_src 0
		.amdhsa_exception_fp_ieee_div_zero 0
		.amdhsa_exception_fp_ieee_overflow 0
		.amdhsa_exception_fp_ieee_underflow 0
		.amdhsa_exception_fp_ieee_inexact 0
		.amdhsa_exception_int_div_zero 0
	.end_amdhsa_kernel
	.section	.text._ZN7rocprim17ROCPRIM_400000_NS6detail17trampoline_kernelINS0_14default_configENS1_36segmented_radix_sort_config_selectorIslEEZNS1_25segmented_radix_sort_implIS3_Lb1EPKsPsPKlPlN2at6native12_GLOBAL__N_18offset_tEEE10hipError_tPvRmT1_PNSt15iterator_traitsISK_E10value_typeET2_T3_PNSL_ISQ_E10value_typeET4_jRbjT5_SW_jjP12ihipStream_tbEUlT_E1_NS1_11comp_targetILNS1_3genE9ELNS1_11target_archE1100ELNS1_3gpuE3ELNS1_3repE0EEENS1_59segmented_radix_sort_warp_sort_small_config_static_selectorELNS0_4arch9wavefront6targetE1EEEvSK_,"axG",@progbits,_ZN7rocprim17ROCPRIM_400000_NS6detail17trampoline_kernelINS0_14default_configENS1_36segmented_radix_sort_config_selectorIslEEZNS1_25segmented_radix_sort_implIS3_Lb1EPKsPsPKlPlN2at6native12_GLOBAL__N_18offset_tEEE10hipError_tPvRmT1_PNSt15iterator_traitsISK_E10value_typeET2_T3_PNSL_ISQ_E10value_typeET4_jRbjT5_SW_jjP12ihipStream_tbEUlT_E1_NS1_11comp_targetILNS1_3genE9ELNS1_11target_archE1100ELNS1_3gpuE3ELNS1_3repE0EEENS1_59segmented_radix_sort_warp_sort_small_config_static_selectorELNS0_4arch9wavefront6targetE1EEEvSK_,comdat
.Lfunc_end938:
	.size	_ZN7rocprim17ROCPRIM_400000_NS6detail17trampoline_kernelINS0_14default_configENS1_36segmented_radix_sort_config_selectorIslEEZNS1_25segmented_radix_sort_implIS3_Lb1EPKsPsPKlPlN2at6native12_GLOBAL__N_18offset_tEEE10hipError_tPvRmT1_PNSt15iterator_traitsISK_E10value_typeET2_T3_PNSL_ISQ_E10value_typeET4_jRbjT5_SW_jjP12ihipStream_tbEUlT_E1_NS1_11comp_targetILNS1_3genE9ELNS1_11target_archE1100ELNS1_3gpuE3ELNS1_3repE0EEENS1_59segmented_radix_sort_warp_sort_small_config_static_selectorELNS0_4arch9wavefront6targetE1EEEvSK_, .Lfunc_end938-_ZN7rocprim17ROCPRIM_400000_NS6detail17trampoline_kernelINS0_14default_configENS1_36segmented_radix_sort_config_selectorIslEEZNS1_25segmented_radix_sort_implIS3_Lb1EPKsPsPKlPlN2at6native12_GLOBAL__N_18offset_tEEE10hipError_tPvRmT1_PNSt15iterator_traitsISK_E10value_typeET2_T3_PNSL_ISQ_E10value_typeET4_jRbjT5_SW_jjP12ihipStream_tbEUlT_E1_NS1_11comp_targetILNS1_3genE9ELNS1_11target_archE1100ELNS1_3gpuE3ELNS1_3repE0EEENS1_59segmented_radix_sort_warp_sort_small_config_static_selectorELNS0_4arch9wavefront6targetE1EEEvSK_
                                        ; -- End function
	.section	.AMDGPU.csdata,"",@progbits
; Kernel info:
; codeLenInByte = 0
; NumSgprs: 4
; NumVgprs: 0
; NumAgprs: 0
; TotalNumVgprs: 0
; ScratchSize: 0
; MemoryBound: 0
; FloatMode: 240
; IeeeMode: 1
; LDSByteSize: 0 bytes/workgroup (compile time only)
; SGPRBlocks: 0
; VGPRBlocks: 0
; NumSGPRsForWavesPerEU: 4
; NumVGPRsForWavesPerEU: 1
; AccumOffset: 4
; Occupancy: 8
; WaveLimiterHint : 0
; COMPUTE_PGM_RSRC2:SCRATCH_EN: 0
; COMPUTE_PGM_RSRC2:USER_SGPR: 6
; COMPUTE_PGM_RSRC2:TRAP_HANDLER: 0
; COMPUTE_PGM_RSRC2:TGID_X_EN: 1
; COMPUTE_PGM_RSRC2:TGID_Y_EN: 0
; COMPUTE_PGM_RSRC2:TGID_Z_EN: 0
; COMPUTE_PGM_RSRC2:TIDIG_COMP_CNT: 0
; COMPUTE_PGM_RSRC3_GFX90A:ACCUM_OFFSET: 0
; COMPUTE_PGM_RSRC3_GFX90A:TG_SPLIT: 0
	.section	.text._ZN7rocprim17ROCPRIM_400000_NS6detail17trampoline_kernelINS0_14default_configENS1_36segmented_radix_sort_config_selectorIslEEZNS1_25segmented_radix_sort_implIS3_Lb1EPKsPsPKlPlN2at6native12_GLOBAL__N_18offset_tEEE10hipError_tPvRmT1_PNSt15iterator_traitsISK_E10value_typeET2_T3_PNSL_ISQ_E10value_typeET4_jRbjT5_SW_jjP12ihipStream_tbEUlT_E1_NS1_11comp_targetILNS1_3genE8ELNS1_11target_archE1030ELNS1_3gpuE2ELNS1_3repE0EEENS1_59segmented_radix_sort_warp_sort_small_config_static_selectorELNS0_4arch9wavefront6targetE1EEEvSK_,"axG",@progbits,_ZN7rocprim17ROCPRIM_400000_NS6detail17trampoline_kernelINS0_14default_configENS1_36segmented_radix_sort_config_selectorIslEEZNS1_25segmented_radix_sort_implIS3_Lb1EPKsPsPKlPlN2at6native12_GLOBAL__N_18offset_tEEE10hipError_tPvRmT1_PNSt15iterator_traitsISK_E10value_typeET2_T3_PNSL_ISQ_E10value_typeET4_jRbjT5_SW_jjP12ihipStream_tbEUlT_E1_NS1_11comp_targetILNS1_3genE8ELNS1_11target_archE1030ELNS1_3gpuE2ELNS1_3repE0EEENS1_59segmented_radix_sort_warp_sort_small_config_static_selectorELNS0_4arch9wavefront6targetE1EEEvSK_,comdat
	.globl	_ZN7rocprim17ROCPRIM_400000_NS6detail17trampoline_kernelINS0_14default_configENS1_36segmented_radix_sort_config_selectorIslEEZNS1_25segmented_radix_sort_implIS3_Lb1EPKsPsPKlPlN2at6native12_GLOBAL__N_18offset_tEEE10hipError_tPvRmT1_PNSt15iterator_traitsISK_E10value_typeET2_T3_PNSL_ISQ_E10value_typeET4_jRbjT5_SW_jjP12ihipStream_tbEUlT_E1_NS1_11comp_targetILNS1_3genE8ELNS1_11target_archE1030ELNS1_3gpuE2ELNS1_3repE0EEENS1_59segmented_radix_sort_warp_sort_small_config_static_selectorELNS0_4arch9wavefront6targetE1EEEvSK_ ; -- Begin function _ZN7rocprim17ROCPRIM_400000_NS6detail17trampoline_kernelINS0_14default_configENS1_36segmented_radix_sort_config_selectorIslEEZNS1_25segmented_radix_sort_implIS3_Lb1EPKsPsPKlPlN2at6native12_GLOBAL__N_18offset_tEEE10hipError_tPvRmT1_PNSt15iterator_traitsISK_E10value_typeET2_T3_PNSL_ISQ_E10value_typeET4_jRbjT5_SW_jjP12ihipStream_tbEUlT_E1_NS1_11comp_targetILNS1_3genE8ELNS1_11target_archE1030ELNS1_3gpuE2ELNS1_3repE0EEENS1_59segmented_radix_sort_warp_sort_small_config_static_selectorELNS0_4arch9wavefront6targetE1EEEvSK_
	.p2align	8
	.type	_ZN7rocprim17ROCPRIM_400000_NS6detail17trampoline_kernelINS0_14default_configENS1_36segmented_radix_sort_config_selectorIslEEZNS1_25segmented_radix_sort_implIS3_Lb1EPKsPsPKlPlN2at6native12_GLOBAL__N_18offset_tEEE10hipError_tPvRmT1_PNSt15iterator_traitsISK_E10value_typeET2_T3_PNSL_ISQ_E10value_typeET4_jRbjT5_SW_jjP12ihipStream_tbEUlT_E1_NS1_11comp_targetILNS1_3genE8ELNS1_11target_archE1030ELNS1_3gpuE2ELNS1_3repE0EEENS1_59segmented_radix_sort_warp_sort_small_config_static_selectorELNS0_4arch9wavefront6targetE1EEEvSK_,@function
_ZN7rocprim17ROCPRIM_400000_NS6detail17trampoline_kernelINS0_14default_configENS1_36segmented_radix_sort_config_selectorIslEEZNS1_25segmented_radix_sort_implIS3_Lb1EPKsPsPKlPlN2at6native12_GLOBAL__N_18offset_tEEE10hipError_tPvRmT1_PNSt15iterator_traitsISK_E10value_typeET2_T3_PNSL_ISQ_E10value_typeET4_jRbjT5_SW_jjP12ihipStream_tbEUlT_E1_NS1_11comp_targetILNS1_3genE8ELNS1_11target_archE1030ELNS1_3gpuE2ELNS1_3repE0EEENS1_59segmented_radix_sort_warp_sort_small_config_static_selectorELNS0_4arch9wavefront6targetE1EEEvSK_: ; @_ZN7rocprim17ROCPRIM_400000_NS6detail17trampoline_kernelINS0_14default_configENS1_36segmented_radix_sort_config_selectorIslEEZNS1_25segmented_radix_sort_implIS3_Lb1EPKsPsPKlPlN2at6native12_GLOBAL__N_18offset_tEEE10hipError_tPvRmT1_PNSt15iterator_traitsISK_E10value_typeET2_T3_PNSL_ISQ_E10value_typeET4_jRbjT5_SW_jjP12ihipStream_tbEUlT_E1_NS1_11comp_targetILNS1_3genE8ELNS1_11target_archE1030ELNS1_3gpuE2ELNS1_3repE0EEENS1_59segmented_radix_sort_warp_sort_small_config_static_selectorELNS0_4arch9wavefront6targetE1EEEvSK_
; %bb.0:
	.section	.rodata,"a",@progbits
	.p2align	6, 0x0
	.amdhsa_kernel _ZN7rocprim17ROCPRIM_400000_NS6detail17trampoline_kernelINS0_14default_configENS1_36segmented_radix_sort_config_selectorIslEEZNS1_25segmented_radix_sort_implIS3_Lb1EPKsPsPKlPlN2at6native12_GLOBAL__N_18offset_tEEE10hipError_tPvRmT1_PNSt15iterator_traitsISK_E10value_typeET2_T3_PNSL_ISQ_E10value_typeET4_jRbjT5_SW_jjP12ihipStream_tbEUlT_E1_NS1_11comp_targetILNS1_3genE8ELNS1_11target_archE1030ELNS1_3gpuE2ELNS1_3repE0EEENS1_59segmented_radix_sort_warp_sort_small_config_static_selectorELNS0_4arch9wavefront6targetE1EEEvSK_
		.amdhsa_group_segment_fixed_size 0
		.amdhsa_private_segment_fixed_size 0
		.amdhsa_kernarg_size 88
		.amdhsa_user_sgpr_count 6
		.amdhsa_user_sgpr_private_segment_buffer 1
		.amdhsa_user_sgpr_dispatch_ptr 0
		.amdhsa_user_sgpr_queue_ptr 0
		.amdhsa_user_sgpr_kernarg_segment_ptr 1
		.amdhsa_user_sgpr_dispatch_id 0
		.amdhsa_user_sgpr_flat_scratch_init 0
		.amdhsa_user_sgpr_kernarg_preload_length 0
		.amdhsa_user_sgpr_kernarg_preload_offset 0
		.amdhsa_user_sgpr_private_segment_size 0
		.amdhsa_uses_dynamic_stack 0
		.amdhsa_system_sgpr_private_segment_wavefront_offset 0
		.amdhsa_system_sgpr_workgroup_id_x 1
		.amdhsa_system_sgpr_workgroup_id_y 0
		.amdhsa_system_sgpr_workgroup_id_z 0
		.amdhsa_system_sgpr_workgroup_info 0
		.amdhsa_system_vgpr_workitem_id 0
		.amdhsa_next_free_vgpr 1
		.amdhsa_next_free_sgpr 0
		.amdhsa_accum_offset 4
		.amdhsa_reserve_vcc 0
		.amdhsa_reserve_flat_scratch 0
		.amdhsa_float_round_mode_32 0
		.amdhsa_float_round_mode_16_64 0
		.amdhsa_float_denorm_mode_32 3
		.amdhsa_float_denorm_mode_16_64 3
		.amdhsa_dx10_clamp 1
		.amdhsa_ieee_mode 1
		.amdhsa_fp16_overflow 0
		.amdhsa_tg_split 0
		.amdhsa_exception_fp_ieee_invalid_op 0
		.amdhsa_exception_fp_denorm_src 0
		.amdhsa_exception_fp_ieee_div_zero 0
		.amdhsa_exception_fp_ieee_overflow 0
		.amdhsa_exception_fp_ieee_underflow 0
		.amdhsa_exception_fp_ieee_inexact 0
		.amdhsa_exception_int_div_zero 0
	.end_amdhsa_kernel
	.section	.text._ZN7rocprim17ROCPRIM_400000_NS6detail17trampoline_kernelINS0_14default_configENS1_36segmented_radix_sort_config_selectorIslEEZNS1_25segmented_radix_sort_implIS3_Lb1EPKsPsPKlPlN2at6native12_GLOBAL__N_18offset_tEEE10hipError_tPvRmT1_PNSt15iterator_traitsISK_E10value_typeET2_T3_PNSL_ISQ_E10value_typeET4_jRbjT5_SW_jjP12ihipStream_tbEUlT_E1_NS1_11comp_targetILNS1_3genE8ELNS1_11target_archE1030ELNS1_3gpuE2ELNS1_3repE0EEENS1_59segmented_radix_sort_warp_sort_small_config_static_selectorELNS0_4arch9wavefront6targetE1EEEvSK_,"axG",@progbits,_ZN7rocprim17ROCPRIM_400000_NS6detail17trampoline_kernelINS0_14default_configENS1_36segmented_radix_sort_config_selectorIslEEZNS1_25segmented_radix_sort_implIS3_Lb1EPKsPsPKlPlN2at6native12_GLOBAL__N_18offset_tEEE10hipError_tPvRmT1_PNSt15iterator_traitsISK_E10value_typeET2_T3_PNSL_ISQ_E10value_typeET4_jRbjT5_SW_jjP12ihipStream_tbEUlT_E1_NS1_11comp_targetILNS1_3genE8ELNS1_11target_archE1030ELNS1_3gpuE2ELNS1_3repE0EEENS1_59segmented_radix_sort_warp_sort_small_config_static_selectorELNS0_4arch9wavefront6targetE1EEEvSK_,comdat
.Lfunc_end939:
	.size	_ZN7rocprim17ROCPRIM_400000_NS6detail17trampoline_kernelINS0_14default_configENS1_36segmented_radix_sort_config_selectorIslEEZNS1_25segmented_radix_sort_implIS3_Lb1EPKsPsPKlPlN2at6native12_GLOBAL__N_18offset_tEEE10hipError_tPvRmT1_PNSt15iterator_traitsISK_E10value_typeET2_T3_PNSL_ISQ_E10value_typeET4_jRbjT5_SW_jjP12ihipStream_tbEUlT_E1_NS1_11comp_targetILNS1_3genE8ELNS1_11target_archE1030ELNS1_3gpuE2ELNS1_3repE0EEENS1_59segmented_radix_sort_warp_sort_small_config_static_selectorELNS0_4arch9wavefront6targetE1EEEvSK_, .Lfunc_end939-_ZN7rocprim17ROCPRIM_400000_NS6detail17trampoline_kernelINS0_14default_configENS1_36segmented_radix_sort_config_selectorIslEEZNS1_25segmented_radix_sort_implIS3_Lb1EPKsPsPKlPlN2at6native12_GLOBAL__N_18offset_tEEE10hipError_tPvRmT1_PNSt15iterator_traitsISK_E10value_typeET2_T3_PNSL_ISQ_E10value_typeET4_jRbjT5_SW_jjP12ihipStream_tbEUlT_E1_NS1_11comp_targetILNS1_3genE8ELNS1_11target_archE1030ELNS1_3gpuE2ELNS1_3repE0EEENS1_59segmented_radix_sort_warp_sort_small_config_static_selectorELNS0_4arch9wavefront6targetE1EEEvSK_
                                        ; -- End function
	.section	.AMDGPU.csdata,"",@progbits
; Kernel info:
; codeLenInByte = 0
; NumSgprs: 4
; NumVgprs: 0
; NumAgprs: 0
; TotalNumVgprs: 0
; ScratchSize: 0
; MemoryBound: 0
; FloatMode: 240
; IeeeMode: 1
; LDSByteSize: 0 bytes/workgroup (compile time only)
; SGPRBlocks: 0
; VGPRBlocks: 0
; NumSGPRsForWavesPerEU: 4
; NumVGPRsForWavesPerEU: 1
; AccumOffset: 4
; Occupancy: 8
; WaveLimiterHint : 0
; COMPUTE_PGM_RSRC2:SCRATCH_EN: 0
; COMPUTE_PGM_RSRC2:USER_SGPR: 6
; COMPUTE_PGM_RSRC2:TRAP_HANDLER: 0
; COMPUTE_PGM_RSRC2:TGID_X_EN: 1
; COMPUTE_PGM_RSRC2:TGID_Y_EN: 0
; COMPUTE_PGM_RSRC2:TGID_Z_EN: 0
; COMPUTE_PGM_RSRC2:TIDIG_COMP_CNT: 0
; COMPUTE_PGM_RSRC3_GFX90A:ACCUM_OFFSET: 0
; COMPUTE_PGM_RSRC3_GFX90A:TG_SPLIT: 0
	.section	.text._ZN7rocprim17ROCPRIM_400000_NS6detail17trampoline_kernelINS0_14default_configENS1_36segmented_radix_sort_config_selectorIslEEZNS1_25segmented_radix_sort_implIS3_Lb1EPKsPsPKlPlN2at6native12_GLOBAL__N_18offset_tEEE10hipError_tPvRmT1_PNSt15iterator_traitsISK_E10value_typeET2_T3_PNSL_ISQ_E10value_typeET4_jRbjT5_SW_jjP12ihipStream_tbEUlT_E2_NS1_11comp_targetILNS1_3genE0ELNS1_11target_archE4294967295ELNS1_3gpuE0ELNS1_3repE0EEENS1_30default_config_static_selectorELNS0_4arch9wavefront6targetE1EEEvSK_,"axG",@progbits,_ZN7rocprim17ROCPRIM_400000_NS6detail17trampoline_kernelINS0_14default_configENS1_36segmented_radix_sort_config_selectorIslEEZNS1_25segmented_radix_sort_implIS3_Lb1EPKsPsPKlPlN2at6native12_GLOBAL__N_18offset_tEEE10hipError_tPvRmT1_PNSt15iterator_traitsISK_E10value_typeET2_T3_PNSL_ISQ_E10value_typeET4_jRbjT5_SW_jjP12ihipStream_tbEUlT_E2_NS1_11comp_targetILNS1_3genE0ELNS1_11target_archE4294967295ELNS1_3gpuE0ELNS1_3repE0EEENS1_30default_config_static_selectorELNS0_4arch9wavefront6targetE1EEEvSK_,comdat
	.globl	_ZN7rocprim17ROCPRIM_400000_NS6detail17trampoline_kernelINS0_14default_configENS1_36segmented_radix_sort_config_selectorIslEEZNS1_25segmented_radix_sort_implIS3_Lb1EPKsPsPKlPlN2at6native12_GLOBAL__N_18offset_tEEE10hipError_tPvRmT1_PNSt15iterator_traitsISK_E10value_typeET2_T3_PNSL_ISQ_E10value_typeET4_jRbjT5_SW_jjP12ihipStream_tbEUlT_E2_NS1_11comp_targetILNS1_3genE0ELNS1_11target_archE4294967295ELNS1_3gpuE0ELNS1_3repE0EEENS1_30default_config_static_selectorELNS0_4arch9wavefront6targetE1EEEvSK_ ; -- Begin function _ZN7rocprim17ROCPRIM_400000_NS6detail17trampoline_kernelINS0_14default_configENS1_36segmented_radix_sort_config_selectorIslEEZNS1_25segmented_radix_sort_implIS3_Lb1EPKsPsPKlPlN2at6native12_GLOBAL__N_18offset_tEEE10hipError_tPvRmT1_PNSt15iterator_traitsISK_E10value_typeET2_T3_PNSL_ISQ_E10value_typeET4_jRbjT5_SW_jjP12ihipStream_tbEUlT_E2_NS1_11comp_targetILNS1_3genE0ELNS1_11target_archE4294967295ELNS1_3gpuE0ELNS1_3repE0EEENS1_30default_config_static_selectorELNS0_4arch9wavefront6targetE1EEEvSK_
	.p2align	8
	.type	_ZN7rocprim17ROCPRIM_400000_NS6detail17trampoline_kernelINS0_14default_configENS1_36segmented_radix_sort_config_selectorIslEEZNS1_25segmented_radix_sort_implIS3_Lb1EPKsPsPKlPlN2at6native12_GLOBAL__N_18offset_tEEE10hipError_tPvRmT1_PNSt15iterator_traitsISK_E10value_typeET2_T3_PNSL_ISQ_E10value_typeET4_jRbjT5_SW_jjP12ihipStream_tbEUlT_E2_NS1_11comp_targetILNS1_3genE0ELNS1_11target_archE4294967295ELNS1_3gpuE0ELNS1_3repE0EEENS1_30default_config_static_selectorELNS0_4arch9wavefront6targetE1EEEvSK_,@function
_ZN7rocprim17ROCPRIM_400000_NS6detail17trampoline_kernelINS0_14default_configENS1_36segmented_radix_sort_config_selectorIslEEZNS1_25segmented_radix_sort_implIS3_Lb1EPKsPsPKlPlN2at6native12_GLOBAL__N_18offset_tEEE10hipError_tPvRmT1_PNSt15iterator_traitsISK_E10value_typeET2_T3_PNSL_ISQ_E10value_typeET4_jRbjT5_SW_jjP12ihipStream_tbEUlT_E2_NS1_11comp_targetILNS1_3genE0ELNS1_11target_archE4294967295ELNS1_3gpuE0ELNS1_3repE0EEENS1_30default_config_static_selectorELNS0_4arch9wavefront6targetE1EEEvSK_: ; @_ZN7rocprim17ROCPRIM_400000_NS6detail17trampoline_kernelINS0_14default_configENS1_36segmented_radix_sort_config_selectorIslEEZNS1_25segmented_radix_sort_implIS3_Lb1EPKsPsPKlPlN2at6native12_GLOBAL__N_18offset_tEEE10hipError_tPvRmT1_PNSt15iterator_traitsISK_E10value_typeET2_T3_PNSL_ISQ_E10value_typeET4_jRbjT5_SW_jjP12ihipStream_tbEUlT_E2_NS1_11comp_targetILNS1_3genE0ELNS1_11target_archE4294967295ELNS1_3gpuE0ELNS1_3repE0EEENS1_30default_config_static_selectorELNS0_4arch9wavefront6targetE1EEEvSK_
; %bb.0:
	.section	.rodata,"a",@progbits
	.p2align	6, 0x0
	.amdhsa_kernel _ZN7rocprim17ROCPRIM_400000_NS6detail17trampoline_kernelINS0_14default_configENS1_36segmented_radix_sort_config_selectorIslEEZNS1_25segmented_radix_sort_implIS3_Lb1EPKsPsPKlPlN2at6native12_GLOBAL__N_18offset_tEEE10hipError_tPvRmT1_PNSt15iterator_traitsISK_E10value_typeET2_T3_PNSL_ISQ_E10value_typeET4_jRbjT5_SW_jjP12ihipStream_tbEUlT_E2_NS1_11comp_targetILNS1_3genE0ELNS1_11target_archE4294967295ELNS1_3gpuE0ELNS1_3repE0EEENS1_30default_config_static_selectorELNS0_4arch9wavefront6targetE1EEEvSK_
		.amdhsa_group_segment_fixed_size 0
		.amdhsa_private_segment_fixed_size 0
		.amdhsa_kernarg_size 80
		.amdhsa_user_sgpr_count 6
		.amdhsa_user_sgpr_private_segment_buffer 1
		.amdhsa_user_sgpr_dispatch_ptr 0
		.amdhsa_user_sgpr_queue_ptr 0
		.amdhsa_user_sgpr_kernarg_segment_ptr 1
		.amdhsa_user_sgpr_dispatch_id 0
		.amdhsa_user_sgpr_flat_scratch_init 0
		.amdhsa_user_sgpr_kernarg_preload_length 0
		.amdhsa_user_sgpr_kernarg_preload_offset 0
		.amdhsa_user_sgpr_private_segment_size 0
		.amdhsa_uses_dynamic_stack 0
		.amdhsa_system_sgpr_private_segment_wavefront_offset 0
		.amdhsa_system_sgpr_workgroup_id_x 1
		.amdhsa_system_sgpr_workgroup_id_y 0
		.amdhsa_system_sgpr_workgroup_id_z 0
		.amdhsa_system_sgpr_workgroup_info 0
		.amdhsa_system_vgpr_workitem_id 0
		.amdhsa_next_free_vgpr 1
		.amdhsa_next_free_sgpr 0
		.amdhsa_accum_offset 4
		.amdhsa_reserve_vcc 0
		.amdhsa_reserve_flat_scratch 0
		.amdhsa_float_round_mode_32 0
		.amdhsa_float_round_mode_16_64 0
		.amdhsa_float_denorm_mode_32 3
		.amdhsa_float_denorm_mode_16_64 3
		.amdhsa_dx10_clamp 1
		.amdhsa_ieee_mode 1
		.amdhsa_fp16_overflow 0
		.amdhsa_tg_split 0
		.amdhsa_exception_fp_ieee_invalid_op 0
		.amdhsa_exception_fp_denorm_src 0
		.amdhsa_exception_fp_ieee_div_zero 0
		.amdhsa_exception_fp_ieee_overflow 0
		.amdhsa_exception_fp_ieee_underflow 0
		.amdhsa_exception_fp_ieee_inexact 0
		.amdhsa_exception_int_div_zero 0
	.end_amdhsa_kernel
	.section	.text._ZN7rocprim17ROCPRIM_400000_NS6detail17trampoline_kernelINS0_14default_configENS1_36segmented_radix_sort_config_selectorIslEEZNS1_25segmented_radix_sort_implIS3_Lb1EPKsPsPKlPlN2at6native12_GLOBAL__N_18offset_tEEE10hipError_tPvRmT1_PNSt15iterator_traitsISK_E10value_typeET2_T3_PNSL_ISQ_E10value_typeET4_jRbjT5_SW_jjP12ihipStream_tbEUlT_E2_NS1_11comp_targetILNS1_3genE0ELNS1_11target_archE4294967295ELNS1_3gpuE0ELNS1_3repE0EEENS1_30default_config_static_selectorELNS0_4arch9wavefront6targetE1EEEvSK_,"axG",@progbits,_ZN7rocprim17ROCPRIM_400000_NS6detail17trampoline_kernelINS0_14default_configENS1_36segmented_radix_sort_config_selectorIslEEZNS1_25segmented_radix_sort_implIS3_Lb1EPKsPsPKlPlN2at6native12_GLOBAL__N_18offset_tEEE10hipError_tPvRmT1_PNSt15iterator_traitsISK_E10value_typeET2_T3_PNSL_ISQ_E10value_typeET4_jRbjT5_SW_jjP12ihipStream_tbEUlT_E2_NS1_11comp_targetILNS1_3genE0ELNS1_11target_archE4294967295ELNS1_3gpuE0ELNS1_3repE0EEENS1_30default_config_static_selectorELNS0_4arch9wavefront6targetE1EEEvSK_,comdat
.Lfunc_end940:
	.size	_ZN7rocprim17ROCPRIM_400000_NS6detail17trampoline_kernelINS0_14default_configENS1_36segmented_radix_sort_config_selectorIslEEZNS1_25segmented_radix_sort_implIS3_Lb1EPKsPsPKlPlN2at6native12_GLOBAL__N_18offset_tEEE10hipError_tPvRmT1_PNSt15iterator_traitsISK_E10value_typeET2_T3_PNSL_ISQ_E10value_typeET4_jRbjT5_SW_jjP12ihipStream_tbEUlT_E2_NS1_11comp_targetILNS1_3genE0ELNS1_11target_archE4294967295ELNS1_3gpuE0ELNS1_3repE0EEENS1_30default_config_static_selectorELNS0_4arch9wavefront6targetE1EEEvSK_, .Lfunc_end940-_ZN7rocprim17ROCPRIM_400000_NS6detail17trampoline_kernelINS0_14default_configENS1_36segmented_radix_sort_config_selectorIslEEZNS1_25segmented_radix_sort_implIS3_Lb1EPKsPsPKlPlN2at6native12_GLOBAL__N_18offset_tEEE10hipError_tPvRmT1_PNSt15iterator_traitsISK_E10value_typeET2_T3_PNSL_ISQ_E10value_typeET4_jRbjT5_SW_jjP12ihipStream_tbEUlT_E2_NS1_11comp_targetILNS1_3genE0ELNS1_11target_archE4294967295ELNS1_3gpuE0ELNS1_3repE0EEENS1_30default_config_static_selectorELNS0_4arch9wavefront6targetE1EEEvSK_
                                        ; -- End function
	.section	.AMDGPU.csdata,"",@progbits
; Kernel info:
; codeLenInByte = 0
; NumSgprs: 4
; NumVgprs: 0
; NumAgprs: 0
; TotalNumVgprs: 0
; ScratchSize: 0
; MemoryBound: 0
; FloatMode: 240
; IeeeMode: 1
; LDSByteSize: 0 bytes/workgroup (compile time only)
; SGPRBlocks: 0
; VGPRBlocks: 0
; NumSGPRsForWavesPerEU: 4
; NumVGPRsForWavesPerEU: 1
; AccumOffset: 4
; Occupancy: 8
; WaveLimiterHint : 0
; COMPUTE_PGM_RSRC2:SCRATCH_EN: 0
; COMPUTE_PGM_RSRC2:USER_SGPR: 6
; COMPUTE_PGM_RSRC2:TRAP_HANDLER: 0
; COMPUTE_PGM_RSRC2:TGID_X_EN: 1
; COMPUTE_PGM_RSRC2:TGID_Y_EN: 0
; COMPUTE_PGM_RSRC2:TGID_Z_EN: 0
; COMPUTE_PGM_RSRC2:TIDIG_COMP_CNT: 0
; COMPUTE_PGM_RSRC3_GFX90A:ACCUM_OFFSET: 0
; COMPUTE_PGM_RSRC3_GFX90A:TG_SPLIT: 0
	.section	.text._ZN7rocprim17ROCPRIM_400000_NS6detail17trampoline_kernelINS0_14default_configENS1_36segmented_radix_sort_config_selectorIslEEZNS1_25segmented_radix_sort_implIS3_Lb1EPKsPsPKlPlN2at6native12_GLOBAL__N_18offset_tEEE10hipError_tPvRmT1_PNSt15iterator_traitsISK_E10value_typeET2_T3_PNSL_ISQ_E10value_typeET4_jRbjT5_SW_jjP12ihipStream_tbEUlT_E2_NS1_11comp_targetILNS1_3genE5ELNS1_11target_archE942ELNS1_3gpuE9ELNS1_3repE0EEENS1_30default_config_static_selectorELNS0_4arch9wavefront6targetE1EEEvSK_,"axG",@progbits,_ZN7rocprim17ROCPRIM_400000_NS6detail17trampoline_kernelINS0_14default_configENS1_36segmented_radix_sort_config_selectorIslEEZNS1_25segmented_radix_sort_implIS3_Lb1EPKsPsPKlPlN2at6native12_GLOBAL__N_18offset_tEEE10hipError_tPvRmT1_PNSt15iterator_traitsISK_E10value_typeET2_T3_PNSL_ISQ_E10value_typeET4_jRbjT5_SW_jjP12ihipStream_tbEUlT_E2_NS1_11comp_targetILNS1_3genE5ELNS1_11target_archE942ELNS1_3gpuE9ELNS1_3repE0EEENS1_30default_config_static_selectorELNS0_4arch9wavefront6targetE1EEEvSK_,comdat
	.globl	_ZN7rocprim17ROCPRIM_400000_NS6detail17trampoline_kernelINS0_14default_configENS1_36segmented_radix_sort_config_selectorIslEEZNS1_25segmented_radix_sort_implIS3_Lb1EPKsPsPKlPlN2at6native12_GLOBAL__N_18offset_tEEE10hipError_tPvRmT1_PNSt15iterator_traitsISK_E10value_typeET2_T3_PNSL_ISQ_E10value_typeET4_jRbjT5_SW_jjP12ihipStream_tbEUlT_E2_NS1_11comp_targetILNS1_3genE5ELNS1_11target_archE942ELNS1_3gpuE9ELNS1_3repE0EEENS1_30default_config_static_selectorELNS0_4arch9wavefront6targetE1EEEvSK_ ; -- Begin function _ZN7rocprim17ROCPRIM_400000_NS6detail17trampoline_kernelINS0_14default_configENS1_36segmented_radix_sort_config_selectorIslEEZNS1_25segmented_radix_sort_implIS3_Lb1EPKsPsPKlPlN2at6native12_GLOBAL__N_18offset_tEEE10hipError_tPvRmT1_PNSt15iterator_traitsISK_E10value_typeET2_T3_PNSL_ISQ_E10value_typeET4_jRbjT5_SW_jjP12ihipStream_tbEUlT_E2_NS1_11comp_targetILNS1_3genE5ELNS1_11target_archE942ELNS1_3gpuE9ELNS1_3repE0EEENS1_30default_config_static_selectorELNS0_4arch9wavefront6targetE1EEEvSK_
	.p2align	8
	.type	_ZN7rocprim17ROCPRIM_400000_NS6detail17trampoline_kernelINS0_14default_configENS1_36segmented_radix_sort_config_selectorIslEEZNS1_25segmented_radix_sort_implIS3_Lb1EPKsPsPKlPlN2at6native12_GLOBAL__N_18offset_tEEE10hipError_tPvRmT1_PNSt15iterator_traitsISK_E10value_typeET2_T3_PNSL_ISQ_E10value_typeET4_jRbjT5_SW_jjP12ihipStream_tbEUlT_E2_NS1_11comp_targetILNS1_3genE5ELNS1_11target_archE942ELNS1_3gpuE9ELNS1_3repE0EEENS1_30default_config_static_selectorELNS0_4arch9wavefront6targetE1EEEvSK_,@function
_ZN7rocprim17ROCPRIM_400000_NS6detail17trampoline_kernelINS0_14default_configENS1_36segmented_radix_sort_config_selectorIslEEZNS1_25segmented_radix_sort_implIS3_Lb1EPKsPsPKlPlN2at6native12_GLOBAL__N_18offset_tEEE10hipError_tPvRmT1_PNSt15iterator_traitsISK_E10value_typeET2_T3_PNSL_ISQ_E10value_typeET4_jRbjT5_SW_jjP12ihipStream_tbEUlT_E2_NS1_11comp_targetILNS1_3genE5ELNS1_11target_archE942ELNS1_3gpuE9ELNS1_3repE0EEENS1_30default_config_static_selectorELNS0_4arch9wavefront6targetE1EEEvSK_: ; @_ZN7rocprim17ROCPRIM_400000_NS6detail17trampoline_kernelINS0_14default_configENS1_36segmented_radix_sort_config_selectorIslEEZNS1_25segmented_radix_sort_implIS3_Lb1EPKsPsPKlPlN2at6native12_GLOBAL__N_18offset_tEEE10hipError_tPvRmT1_PNSt15iterator_traitsISK_E10value_typeET2_T3_PNSL_ISQ_E10value_typeET4_jRbjT5_SW_jjP12ihipStream_tbEUlT_E2_NS1_11comp_targetILNS1_3genE5ELNS1_11target_archE942ELNS1_3gpuE9ELNS1_3repE0EEENS1_30default_config_static_selectorELNS0_4arch9wavefront6targetE1EEEvSK_
; %bb.0:
	.section	.rodata,"a",@progbits
	.p2align	6, 0x0
	.amdhsa_kernel _ZN7rocprim17ROCPRIM_400000_NS6detail17trampoline_kernelINS0_14default_configENS1_36segmented_radix_sort_config_selectorIslEEZNS1_25segmented_radix_sort_implIS3_Lb1EPKsPsPKlPlN2at6native12_GLOBAL__N_18offset_tEEE10hipError_tPvRmT1_PNSt15iterator_traitsISK_E10value_typeET2_T3_PNSL_ISQ_E10value_typeET4_jRbjT5_SW_jjP12ihipStream_tbEUlT_E2_NS1_11comp_targetILNS1_3genE5ELNS1_11target_archE942ELNS1_3gpuE9ELNS1_3repE0EEENS1_30default_config_static_selectorELNS0_4arch9wavefront6targetE1EEEvSK_
		.amdhsa_group_segment_fixed_size 0
		.amdhsa_private_segment_fixed_size 0
		.amdhsa_kernarg_size 80
		.amdhsa_user_sgpr_count 6
		.amdhsa_user_sgpr_private_segment_buffer 1
		.amdhsa_user_sgpr_dispatch_ptr 0
		.amdhsa_user_sgpr_queue_ptr 0
		.amdhsa_user_sgpr_kernarg_segment_ptr 1
		.amdhsa_user_sgpr_dispatch_id 0
		.amdhsa_user_sgpr_flat_scratch_init 0
		.amdhsa_user_sgpr_kernarg_preload_length 0
		.amdhsa_user_sgpr_kernarg_preload_offset 0
		.amdhsa_user_sgpr_private_segment_size 0
		.amdhsa_uses_dynamic_stack 0
		.amdhsa_system_sgpr_private_segment_wavefront_offset 0
		.amdhsa_system_sgpr_workgroup_id_x 1
		.amdhsa_system_sgpr_workgroup_id_y 0
		.amdhsa_system_sgpr_workgroup_id_z 0
		.amdhsa_system_sgpr_workgroup_info 0
		.amdhsa_system_vgpr_workitem_id 0
		.amdhsa_next_free_vgpr 1
		.amdhsa_next_free_sgpr 0
		.amdhsa_accum_offset 4
		.amdhsa_reserve_vcc 0
		.amdhsa_reserve_flat_scratch 0
		.amdhsa_float_round_mode_32 0
		.amdhsa_float_round_mode_16_64 0
		.amdhsa_float_denorm_mode_32 3
		.amdhsa_float_denorm_mode_16_64 3
		.amdhsa_dx10_clamp 1
		.amdhsa_ieee_mode 1
		.amdhsa_fp16_overflow 0
		.amdhsa_tg_split 0
		.amdhsa_exception_fp_ieee_invalid_op 0
		.amdhsa_exception_fp_denorm_src 0
		.amdhsa_exception_fp_ieee_div_zero 0
		.amdhsa_exception_fp_ieee_overflow 0
		.amdhsa_exception_fp_ieee_underflow 0
		.amdhsa_exception_fp_ieee_inexact 0
		.amdhsa_exception_int_div_zero 0
	.end_amdhsa_kernel
	.section	.text._ZN7rocprim17ROCPRIM_400000_NS6detail17trampoline_kernelINS0_14default_configENS1_36segmented_radix_sort_config_selectorIslEEZNS1_25segmented_radix_sort_implIS3_Lb1EPKsPsPKlPlN2at6native12_GLOBAL__N_18offset_tEEE10hipError_tPvRmT1_PNSt15iterator_traitsISK_E10value_typeET2_T3_PNSL_ISQ_E10value_typeET4_jRbjT5_SW_jjP12ihipStream_tbEUlT_E2_NS1_11comp_targetILNS1_3genE5ELNS1_11target_archE942ELNS1_3gpuE9ELNS1_3repE0EEENS1_30default_config_static_selectorELNS0_4arch9wavefront6targetE1EEEvSK_,"axG",@progbits,_ZN7rocprim17ROCPRIM_400000_NS6detail17trampoline_kernelINS0_14default_configENS1_36segmented_radix_sort_config_selectorIslEEZNS1_25segmented_radix_sort_implIS3_Lb1EPKsPsPKlPlN2at6native12_GLOBAL__N_18offset_tEEE10hipError_tPvRmT1_PNSt15iterator_traitsISK_E10value_typeET2_T3_PNSL_ISQ_E10value_typeET4_jRbjT5_SW_jjP12ihipStream_tbEUlT_E2_NS1_11comp_targetILNS1_3genE5ELNS1_11target_archE942ELNS1_3gpuE9ELNS1_3repE0EEENS1_30default_config_static_selectorELNS0_4arch9wavefront6targetE1EEEvSK_,comdat
.Lfunc_end941:
	.size	_ZN7rocprim17ROCPRIM_400000_NS6detail17trampoline_kernelINS0_14default_configENS1_36segmented_radix_sort_config_selectorIslEEZNS1_25segmented_radix_sort_implIS3_Lb1EPKsPsPKlPlN2at6native12_GLOBAL__N_18offset_tEEE10hipError_tPvRmT1_PNSt15iterator_traitsISK_E10value_typeET2_T3_PNSL_ISQ_E10value_typeET4_jRbjT5_SW_jjP12ihipStream_tbEUlT_E2_NS1_11comp_targetILNS1_3genE5ELNS1_11target_archE942ELNS1_3gpuE9ELNS1_3repE0EEENS1_30default_config_static_selectorELNS0_4arch9wavefront6targetE1EEEvSK_, .Lfunc_end941-_ZN7rocprim17ROCPRIM_400000_NS6detail17trampoline_kernelINS0_14default_configENS1_36segmented_radix_sort_config_selectorIslEEZNS1_25segmented_radix_sort_implIS3_Lb1EPKsPsPKlPlN2at6native12_GLOBAL__N_18offset_tEEE10hipError_tPvRmT1_PNSt15iterator_traitsISK_E10value_typeET2_T3_PNSL_ISQ_E10value_typeET4_jRbjT5_SW_jjP12ihipStream_tbEUlT_E2_NS1_11comp_targetILNS1_3genE5ELNS1_11target_archE942ELNS1_3gpuE9ELNS1_3repE0EEENS1_30default_config_static_selectorELNS0_4arch9wavefront6targetE1EEEvSK_
                                        ; -- End function
	.section	.AMDGPU.csdata,"",@progbits
; Kernel info:
; codeLenInByte = 0
; NumSgprs: 4
; NumVgprs: 0
; NumAgprs: 0
; TotalNumVgprs: 0
; ScratchSize: 0
; MemoryBound: 0
; FloatMode: 240
; IeeeMode: 1
; LDSByteSize: 0 bytes/workgroup (compile time only)
; SGPRBlocks: 0
; VGPRBlocks: 0
; NumSGPRsForWavesPerEU: 4
; NumVGPRsForWavesPerEU: 1
; AccumOffset: 4
; Occupancy: 8
; WaveLimiterHint : 0
; COMPUTE_PGM_RSRC2:SCRATCH_EN: 0
; COMPUTE_PGM_RSRC2:USER_SGPR: 6
; COMPUTE_PGM_RSRC2:TRAP_HANDLER: 0
; COMPUTE_PGM_RSRC2:TGID_X_EN: 1
; COMPUTE_PGM_RSRC2:TGID_Y_EN: 0
; COMPUTE_PGM_RSRC2:TGID_Z_EN: 0
; COMPUTE_PGM_RSRC2:TIDIG_COMP_CNT: 0
; COMPUTE_PGM_RSRC3_GFX90A:ACCUM_OFFSET: 0
; COMPUTE_PGM_RSRC3_GFX90A:TG_SPLIT: 0
	.section	.text._ZN7rocprim17ROCPRIM_400000_NS6detail17trampoline_kernelINS0_14default_configENS1_36segmented_radix_sort_config_selectorIslEEZNS1_25segmented_radix_sort_implIS3_Lb1EPKsPsPKlPlN2at6native12_GLOBAL__N_18offset_tEEE10hipError_tPvRmT1_PNSt15iterator_traitsISK_E10value_typeET2_T3_PNSL_ISQ_E10value_typeET4_jRbjT5_SW_jjP12ihipStream_tbEUlT_E2_NS1_11comp_targetILNS1_3genE4ELNS1_11target_archE910ELNS1_3gpuE8ELNS1_3repE0EEENS1_30default_config_static_selectorELNS0_4arch9wavefront6targetE1EEEvSK_,"axG",@progbits,_ZN7rocprim17ROCPRIM_400000_NS6detail17trampoline_kernelINS0_14default_configENS1_36segmented_radix_sort_config_selectorIslEEZNS1_25segmented_radix_sort_implIS3_Lb1EPKsPsPKlPlN2at6native12_GLOBAL__N_18offset_tEEE10hipError_tPvRmT1_PNSt15iterator_traitsISK_E10value_typeET2_T3_PNSL_ISQ_E10value_typeET4_jRbjT5_SW_jjP12ihipStream_tbEUlT_E2_NS1_11comp_targetILNS1_3genE4ELNS1_11target_archE910ELNS1_3gpuE8ELNS1_3repE0EEENS1_30default_config_static_selectorELNS0_4arch9wavefront6targetE1EEEvSK_,comdat
	.globl	_ZN7rocprim17ROCPRIM_400000_NS6detail17trampoline_kernelINS0_14default_configENS1_36segmented_radix_sort_config_selectorIslEEZNS1_25segmented_radix_sort_implIS3_Lb1EPKsPsPKlPlN2at6native12_GLOBAL__N_18offset_tEEE10hipError_tPvRmT1_PNSt15iterator_traitsISK_E10value_typeET2_T3_PNSL_ISQ_E10value_typeET4_jRbjT5_SW_jjP12ihipStream_tbEUlT_E2_NS1_11comp_targetILNS1_3genE4ELNS1_11target_archE910ELNS1_3gpuE8ELNS1_3repE0EEENS1_30default_config_static_selectorELNS0_4arch9wavefront6targetE1EEEvSK_ ; -- Begin function _ZN7rocprim17ROCPRIM_400000_NS6detail17trampoline_kernelINS0_14default_configENS1_36segmented_radix_sort_config_selectorIslEEZNS1_25segmented_radix_sort_implIS3_Lb1EPKsPsPKlPlN2at6native12_GLOBAL__N_18offset_tEEE10hipError_tPvRmT1_PNSt15iterator_traitsISK_E10value_typeET2_T3_PNSL_ISQ_E10value_typeET4_jRbjT5_SW_jjP12ihipStream_tbEUlT_E2_NS1_11comp_targetILNS1_3genE4ELNS1_11target_archE910ELNS1_3gpuE8ELNS1_3repE0EEENS1_30default_config_static_selectorELNS0_4arch9wavefront6targetE1EEEvSK_
	.p2align	8
	.type	_ZN7rocprim17ROCPRIM_400000_NS6detail17trampoline_kernelINS0_14default_configENS1_36segmented_radix_sort_config_selectorIslEEZNS1_25segmented_radix_sort_implIS3_Lb1EPKsPsPKlPlN2at6native12_GLOBAL__N_18offset_tEEE10hipError_tPvRmT1_PNSt15iterator_traitsISK_E10value_typeET2_T3_PNSL_ISQ_E10value_typeET4_jRbjT5_SW_jjP12ihipStream_tbEUlT_E2_NS1_11comp_targetILNS1_3genE4ELNS1_11target_archE910ELNS1_3gpuE8ELNS1_3repE0EEENS1_30default_config_static_selectorELNS0_4arch9wavefront6targetE1EEEvSK_,@function
_ZN7rocprim17ROCPRIM_400000_NS6detail17trampoline_kernelINS0_14default_configENS1_36segmented_radix_sort_config_selectorIslEEZNS1_25segmented_radix_sort_implIS3_Lb1EPKsPsPKlPlN2at6native12_GLOBAL__N_18offset_tEEE10hipError_tPvRmT1_PNSt15iterator_traitsISK_E10value_typeET2_T3_PNSL_ISQ_E10value_typeET4_jRbjT5_SW_jjP12ihipStream_tbEUlT_E2_NS1_11comp_targetILNS1_3genE4ELNS1_11target_archE910ELNS1_3gpuE8ELNS1_3repE0EEENS1_30default_config_static_selectorELNS0_4arch9wavefront6targetE1EEEvSK_: ; @_ZN7rocprim17ROCPRIM_400000_NS6detail17trampoline_kernelINS0_14default_configENS1_36segmented_radix_sort_config_selectorIslEEZNS1_25segmented_radix_sort_implIS3_Lb1EPKsPsPKlPlN2at6native12_GLOBAL__N_18offset_tEEE10hipError_tPvRmT1_PNSt15iterator_traitsISK_E10value_typeET2_T3_PNSL_ISQ_E10value_typeET4_jRbjT5_SW_jjP12ihipStream_tbEUlT_E2_NS1_11comp_targetILNS1_3genE4ELNS1_11target_archE910ELNS1_3gpuE8ELNS1_3repE0EEENS1_30default_config_static_selectorELNS0_4arch9wavefront6targetE1EEEvSK_
; %bb.0:
	s_add_u32 flat_scratch_lo, s6, s10
	s_addc_u32 flat_scratch_hi, s7, 0
	s_add_u32 s0, s0, s10
	s_mov_b32 s33, s9
	s_mov_b32 s74, s8
	s_load_dwordx4 s[8:11], s[4:5], 0x34
	s_addc_u32 s1, s1, 0
	s_mov_b32 s32, 0
	s_waitcnt lgkmcnt(0)
	s_add_i32 s75, s9, s74
	s_add_i32 s98, s11, s74
	s_mul_i32 s75, s75, s8
	s_mul_i32 s98, s98, s10
	s_cmp_le_u32 s98, s75
	s_cbranch_scc1 .LBB942_1270
; %bb.1:
	s_load_dword s6, s[4:5], 0x30
	s_load_dwordx4 s[84:87], s[4:5], 0x20
	s_load_dwordx4 s[88:91], s[4:5], 0x44
	s_load_dwordx8 s[76:83], s[4:5], 0x0
	s_waitcnt lgkmcnt(0)
	s_bitcmp1_b32 s6, 0
	s_cselect_b64 s[92:93], -1, 0
	s_sub_i32 s91, s98, s75
	s_cmpk_lt_u32 s91, 0x1101
	s_mov_b64 s[6:7], -1
	s_cbranch_scc0 .LBB942_15
; %bb.2:
	s_cmpk_lt_u32 s91, 0x81
	s_cbranch_scc0 .LBB942_9
; %bb.3:
	s_load_dword s6, s[4:5], 0x5c
	v_bfe_u32 v1, v0, 10, 10
	v_bfe_u32 v3, v0, 20, 10
	v_and_b32_e32 v2, 0x3ff, v0
	s_waitcnt lgkmcnt(0)
	s_lshr_b32 s7, s6, 16
	s_and_b32 s6, s6, 0xffff
	v_mad_u32_u24 v1, v3, s7, v1
	v_mad_u64_u32 v[2:3], s[6:7], v1, s6, v[2:3]
	v_cmp_gt_u32_e32 vcc, 32, v2
	s_and_saveexec_b64 s[34:35], vcc
	s_cbranch_execz .LBB942_8
; %bb.4:
	s_and_b32 s6, s88, 1
	v_cndmask_b32_e64 v1, 0, 1, s[92:93]
	v_cmp_ne_u32_e32 vcc, s6, v1
	s_mov_b64 s[6:7], -1
	s_cbranch_vccnz .LBB942_6
; %bb.5:
	s_add_u32 s8, s4, 0x50
	s_mov_b64 s[6:7], src_shared_base
	s_addc_u32 s9, s5, 0
	s_mov_b32 s12, s74
	s_mov_b32 s13, s33
	v_mov_b32_e32 v31, v0
	v_mov_b32_e32 v40, v0
	;; [unrolled: 1-line block ×16, first 2 shown]
	s_getpc_b64 s[10:11]
	s_add_u32 s10, s10, _ZN7rocprim17ROCPRIM_400000_NS6detail26segmented_warp_sort_helperINS1_20WarpSortHelperConfigILj32ELj4ELj256EEEslLi256ELb1EvE4sortIPKsPsPKlPlEEvT_T0_T1_T2_jjjjRNS5_12storage_typeE@rel32@lo+4
	s_addc_u32 s11, s11, _ZN7rocprim17ROCPRIM_400000_NS6detail26segmented_warp_sort_helperINS1_20WarpSortHelperConfigILj32ELj4ELj256EEEslLi256ELb1EvE4sortIPKsPsPKlPlEEvT_T0_T1_T2_jjjjRNS5_12storage_typeE@rel32@hi+12
	s_mov_b64 s[36:37], s[4:5]
	s_swappc_b64 s[30:31], s[10:11]
	v_mov_b32_e32 v0, v40
	s_mov_b64 s[4:5], s[36:37]
	s_mov_b64 s[6:7], 0
.LBB942_6:
	s_andn2_b64 vcc, exec, s[6:7]
	s_cbranch_vccnz .LBB942_8
; %bb.7:
	s_add_u32 s8, s4, 0x50
	s_mov_b64 s[6:7], src_shared_base
	s_addc_u32 s9, s5, 0
	s_mov_b32 s12, s74
	s_mov_b32 s13, s33
	v_mov_b32_e32 v31, v0
	v_mov_b32_e32 v40, v0
	;; [unrolled: 1-line block ×16, first 2 shown]
	s_getpc_b64 s[10:11]
	s_add_u32 s10, s10, _ZN7rocprim17ROCPRIM_400000_NS6detail26segmented_warp_sort_helperINS1_20WarpSortHelperConfigILj32ELj4ELj256EEEslLi256ELb1EvE4sortIPKsPsPKlPlEEvT_T0_T1_T2_jjjjRNS5_12storage_typeE@rel32@lo+4
	s_addc_u32 s11, s11, _ZN7rocprim17ROCPRIM_400000_NS6detail26segmented_warp_sort_helperINS1_20WarpSortHelperConfigILj32ELj4ELj256EEEslLi256ELb1EvE4sortIPKsPsPKlPlEEvT_T0_T1_T2_jjjjRNS5_12storage_typeE@rel32@hi+12
	s_mov_b64 s[36:37], s[4:5]
	s_swappc_b64 s[30:31], s[10:11]
	v_mov_b32_e32 v0, v40
	s_mov_b64 s[4:5], s[36:37]
.LBB942_8:
	s_or_b64 exec, exec, s[34:35]
	s_mov_b64 s[6:7], 0
.LBB942_9:
	s_andn2_b64 vcc, exec, s[6:7]
	s_cbranch_vccnz .LBB942_14
; %bb.10:
	s_and_b32 s6, s88, 1
	v_cndmask_b32_e64 v1, 0, 1, s[92:93]
	v_cmp_ne_u32_e32 vcc, s6, v1
	s_mov_b64 s[6:7], -1
	s_cbranch_vccnz .LBB942_12
; %bb.11:
	s_add_u32 s8, s4, 0x50
	s_mov_b64 s[6:7], src_shared_base
	s_addc_u32 s9, s5, 0
	s_mov_b32 s12, s74
	s_mov_b32 s13, s33
	v_mov_b32_e32 v31, v0
	v_mov_b32_e32 v40, v0
	;; [unrolled: 1-line block ×16, first 2 shown]
	s_getpc_b64 s[10:11]
	s_add_u32 s10, s10, _ZN7rocprim17ROCPRIM_400000_NS6detail40segmented_radix_sort_single_block_helperIslLj256ELj17ELb1EE4sortIPKsPsPKlPlEEbT_T0_T1_T2_jjjjRNS3_12storage_typeE@rel32@lo+4
	s_addc_u32 s11, s11, _ZN7rocprim17ROCPRIM_400000_NS6detail40segmented_radix_sort_single_block_helperIslLj256ELj17ELb1EE4sortIPKsPsPKlPlEEbT_T0_T1_T2_jjjjRNS3_12storage_typeE@rel32@hi+12
	s_mov_b64 s[50:51], s[4:5]
	s_swappc_b64 s[30:31], s[10:11]
	v_mov_b32_e32 v0, v40
	s_mov_b64 s[4:5], s[50:51]
	s_mov_b64 s[6:7], 0
.LBB942_12:
	s_andn2_b64 vcc, exec, s[6:7]
	s_cbranch_vccnz .LBB942_14
; %bb.13:
	s_add_u32 s8, s4, 0x50
	s_mov_b64 s[6:7], src_shared_base
	s_addc_u32 s9, s5, 0
	s_mov_b32 s12, s74
	s_mov_b32 s13, s33
	v_mov_b32_e32 v31, v0
	v_mov_b32_e32 v40, v0
	;; [unrolled: 1-line block ×16, first 2 shown]
	s_getpc_b64 s[10:11]
	s_add_u32 s10, s10, _ZN7rocprim17ROCPRIM_400000_NS6detail40segmented_radix_sort_single_block_helperIslLj256ELj17ELb1EE4sortIPKsPsPKlPlEEbT_T0_T1_T2_jjjjRNS3_12storage_typeE@rel32@lo+4
	s_addc_u32 s11, s11, _ZN7rocprim17ROCPRIM_400000_NS6detail40segmented_radix_sort_single_block_helperIslLj256ELj17ELb1EE4sortIPKsPsPKlPlEEbT_T0_T1_T2_jjjjRNS3_12storage_typeE@rel32@hi+12
	s_mov_b64 s[50:51], s[4:5]
	s_swappc_b64 s[30:31], s[10:11]
	v_mov_b32_e32 v0, v40
	s_mov_b64 s[4:5], s[50:51]
.LBB942_14:
	s_mov_b64 s[6:7], 0
.LBB942_15:
	s_andn2_b64 vcc, exec, s[6:7]
	s_cbranch_vccnz .LBB942_1270
; %bb.16:
	s_cmp_ge_u32 s89, s90
	s_cbranch_scc1 .LBB942_1270
; %bb.17:
	v_and_b32_e32 v2, 0x3ff, v0
	v_and_b32_e32 v24, 0xc0, v2
	v_min_u32_e32 v25, 64, v24
	s_movk_i32 s8, 0x80
	v_or_b32_e32 v25, 63, v25
	v_lshlrev_b32_e32 v5, 1, v2
	s_mov_b64 s[6:7], s[4:5]
	v_cmp_gt_u32_e64 s[4:5], s8, v2
	v_cmp_eq_u32_e64 s[8:9], v25, v2
	v_lshrrev_b32_e32 v25, 4, v2
	v_bfe_u32 v64, v0, 20, 10
	v_bfe_u32 v65, v0, 10, 10
	v_mul_u32_u24_e32 v0, 3, v2
	v_mov_b32_e32 v66, 0x210
	v_mov_b32_e32 v6, s81
	v_add_co_u32_e32 v9, vcc, s80, v5
	v_and_b32_e32 v60, 12, v25
	v_mul_u32_u24_e32 v25, 17, v24
	v_lshl_add_u32 v67, v0, 2, v66
	v_or_b32_e32 v0, 63, v24
	v_addc_co_u32_e32 v11, vcc, 0, v6, vcc
	v_cmp_eq_u32_e64 s[12:13], v0, v2
	v_lshlrev_b32_e32 v0, 3, v25
	v_mov_b32_e32 v24, s87
	v_add_co_u32_e32 v71, vcc, s86, v0
	v_addc_co_u32_e32 v72, vcc, 0, v24, vcc
	v_lshlrev_b32_e32 v24, 1, v25
	v_mov_b32_e32 v26, s81
	v_add_co_u32_e32 v73, vcc, s80, v24
	v_addc_co_u32_e32 v74, vcc, 0, v26, vcc
	v_mov_b32_e32 v26, s79
	v_add_co_u32_e32 v78, vcc, s78, v5
	v_addc_co_u32_e32 v79, vcc, 0, v26, vcc
	;; [unrolled: 3-line block ×5, first 2 shown]
	v_add_u32_e32 v76, 0x200, v5
	v_mov_b32_e32 v5, s83
	v_add_co_u32_e32 v86, vcc, s82, v0
	v_addc_co_u32_e32 v87, vcc, 0, v5, vcc
	v_mov_b32_e32 v0, s77
	v_add_co_u32_e32 v88, vcc, s76, v24
	v_addc_co_u32_e32 v89, vcc, 0, v0, vcc
	v_mbcnt_lo_u32_b32 v0, -1, 0
                                        ; implicit-def: $vgpr232 : SGPR spill to VGPR lane
	v_mbcnt_hi_u32_b32 v102, -1, v0
	v_mul_u32_u24_e32 v58, 12, v2
	v_writelane_b32 v232, s8, 0
	v_lshlrev_b32_e32 v68, 3, v2
	v_and_b32_e32 v0, 63, v102
	v_lshlrev_b32_e32 v3, 2, v2
	v_and_b32_e32 v1, 3, v2
	v_or_b32_e32 v6, 0x800, v2
	v_or_b32_e32 v8, 0x900, v2
	;; [unrolled: 1-line block ×9, first 2 shown]
	v_writelane_b32 v232, s9, 1
	v_cmp_gt_u32_e64 s[8:9], 2, v2
	s_add_u32 s96, s6, 0x50
	v_sub_u32_e32 v69, v58, v68
	s_movk_i32 s6, 0x7f
	v_or_b32_e32 v111, v0, v25
	s_mov_b32 s95, 0
	v_mov_b32_e32 v4, 0
	v_or_b32_e32 v7, 0x100, v2
	v_or_b32_e32 v13, 0x200, v2
	;; [unrolled: 1-line block ×7, first 2 shown]
	s_movk_i32 s88, 0x1000
	v_mad_u32_u24 v59, v2, 12, v3
	v_or_b32_e32 v61, 0x8a00, v60
	v_writelane_b32 v232, s8, 2
	v_add_u32_e32 v62, 0x8a00, v3
	v_cmp_lt_u32_e64 s[10:11], 63, v2
	v_add_u32_e32 v63, 0x89fc, v60
	s_addc_u32 s97, s7, 0
	v_cmp_gt_u32_e64 s[14:15], 4, v2
	v_cmp_eq_u32_e64 s[16:17], 0, v2
	v_lshl_add_u32 v70, v2, 4, v69
	v_cmp_ne_u32_e64 s[18:19], s6, v2
	v_mul_i32_i24_e32 v75, 0xffffffee, v2
	v_mul_u32_u24_e32 v77, 6, v2
	v_lshlrev_b32_e32 v90, 2, v1
	v_mov_b32_e32 v91, 1
	v_lshlrev_b32_e32 v92, 1, v2
	v_lshlrev_b32_e32 v93, 1, v6
	;; [unrolled: 1-line block ×10, first 2 shown]
	v_and_b32_e32 v103, 15, v102
	v_bfe_i32 v104, v102, 4, 1
	v_and_b32_e32 v105, 16, v102
	v_bfe_i32 v106, v102, 0, 1
	v_add_u32_e32 v107, -1, v102
	v_and_b32_e32 v108, 64, v102
	v_and_b32_e32 v109, 3, v102
	v_lshlrev_b32_e32 v110, 3, v0
	v_add_u32_e32 v112, 64, v111
	v_add_u32_e32 v113, 0x80, v111
	;; [unrolled: 1-line block ×16, first 2 shown]
	v_lshlrev_b32_e32 v128, 1, v0
	s_mov_b32 s99, s89
	v_writelane_b32 v232, s9, 3
	s_branch .LBB942_20
.LBB942_18:                             ;   in Loop: Header=BB942_20 Depth=1
	s_waitcnt lgkmcnt(0)
	s_barrier
.LBB942_19:                             ;   in Loop: Header=BB942_20 Depth=1
	s_add_i32 s99, s99, 7
	s_cmp_ge_u32 s99, s90
	s_cbranch_scc1 .LBB942_1270
.LBB942_20:                             ; =>This Loop Header: Depth=1
                                        ;     Child Loop BB942_24 Depth 2
                                        ;     Child Loop BB942_110 Depth 2
	;; [unrolled: 1-line block ×8, first 2 shown]
	s_sub_i32 s6, s90, s99
	s_min_u32 s6, s6, 7
	s_lshl_b32 s6, -1, s6
	s_xor_b64 s[92:93], s[92:93], -1
	s_not_b32 s6, s6
	s_cmp_lg_u32 s99, s89
	s_mov_b64 s[20:21], -1
	ds_write2st64_b32 v3, v4, v4 offset1:4
	s_waitcnt lgkmcnt(0)
	s_cbranch_scc0 .LBB942_646
; %bb.21:                               ;   in Loop: Header=BB942_20 Depth=1
	s_and_b64 vcc, exec, s[92:93]
	s_cbranch_vccz .LBB942_333
; %bb.22:                               ;   in Loop: Header=BB942_20 Depth=1
	s_mov_b32 s7, s91
	s_mov_b32 s94, s75
	s_barrier
	s_waitcnt lgkmcnt(0)
                                        ; implicit-def: $vgpr39
                                        ; implicit-def: $vgpr5
                                        ; implicit-def: $vgpr24
                                        ; implicit-def: $vgpr25
                                        ; implicit-def: $vgpr26
                                        ; implicit-def: $vgpr27
                                        ; implicit-def: $vgpr28
                                        ; implicit-def: $vgpr29
                                        ; implicit-def: $vgpr30
                                        ; implicit-def: $vgpr31
                                        ; implicit-def: $vgpr32
                                        ; implicit-def: $vgpr33
                                        ; implicit-def: $vgpr34
                                        ; implicit-def: $vgpr35
                                        ; implicit-def: $vgpr36
                                        ; implicit-def: $vgpr37
                                        ; implicit-def: $vgpr38
	s_branch .LBB942_24
.LBB942_23:                             ;   in Loop: Header=BB942_24 Depth=2
	s_or_b64 exec, exec, s[20:21]
	s_addk_i32 s7, 0xef00
	s_cmp_ge_u32 s8, s98
	s_mov_b32 s94, s8
	s_cbranch_scc1 .LBB942_98
.LBB942_24:                             ;   Parent Loop BB942_20 Depth=1
                                        ; =>  This Inner Loop Header: Depth=2
	s_add_i32 s8, s94, 0x1100
	s_cmp_gt_u32 s8, s98
	s_cbranch_scc1 .LBB942_27
; %bb.25:                               ;   in Loop: Header=BB942_24 Depth=2
	s_lshl_b64 s[20:21], s[94:95], 1
	v_mov_b32_e32 v1, s21
	v_add_co_u32_e32 v0, vcc, s20, v9
	v_addc_co_u32_e32 v1, vcc, v11, v1, vcc
	s_waitcnt vmcnt(0)
	v_add_co_u32_e32 v56, vcc, s88, v0
	v_addc_co_u32_e32 v57, vcc, 0, v1, vcc
	global_load_ushort v41, v[0:1], off
	global_load_ushort v42, v[0:1], off offset:512
	global_load_ushort v43, v[0:1], off offset:1024
	;; [unrolled: 1-line block ×7, first 2 shown]
	global_load_ushort v49, v[56:57], off
	global_load_ushort v50, v[56:57], off offset:512
	global_load_ushort v51, v[56:57], off offset:1024
	;; [unrolled: 1-line block ×6, first 2 shown]
	s_nop 0
	global_load_ushort v56, v[56:57], off offset:3584
	v_add_co_u32_e32 v0, vcc, 0x2000, v0
	v_addc_co_u32_e32 v1, vcc, 0, v1, vcc
	s_mov_b64 s[20:21], -1
	s_movk_i32 s9, 0x1100
	s_cbranch_execz .LBB942_28
; %bb.26:                               ;   in Loop: Header=BB942_24 Depth=2
                                        ; implicit-def: $vgpr38
                                        ; implicit-def: $vgpr37
                                        ; implicit-def: $vgpr36
                                        ; implicit-def: $vgpr35
                                        ; implicit-def: $vgpr34
                                        ; implicit-def: $vgpr33
                                        ; implicit-def: $vgpr32
                                        ; implicit-def: $vgpr31
                                        ; implicit-def: $vgpr30
                                        ; implicit-def: $vgpr29
                                        ; implicit-def: $vgpr28
                                        ; implicit-def: $vgpr27
                                        ; implicit-def: $vgpr26
                                        ; implicit-def: $vgpr25
                                        ; implicit-def: $vgpr24
                                        ; implicit-def: $vgpr5
                                        ; implicit-def: $vgpr39
	v_mov_b32_e32 v40, s7
	s_and_saveexec_b64 s[22:23], s[20:21]
	s_cbranch_execnz .LBB942_63
	s_branch .LBB942_64
.LBB942_27:                             ;   in Loop: Header=BB942_24 Depth=2
	s_mov_b64 s[20:21], 0
                                        ; implicit-def: $sgpr9
                                        ; implicit-def: $vgpr41
                                        ; implicit-def: $vgpr42
                                        ; implicit-def: $vgpr43
                                        ; implicit-def: $vgpr44
                                        ; implicit-def: $vgpr45
                                        ; implicit-def: $vgpr46
                                        ; implicit-def: $vgpr47
                                        ; implicit-def: $vgpr48
                                        ; implicit-def: $vgpr49
                                        ; implicit-def: $vgpr50
                                        ; implicit-def: $vgpr51
                                        ; implicit-def: $vgpr52
                                        ; implicit-def: $vgpr53
                                        ; implicit-def: $vgpr54
                                        ; implicit-def: $vgpr55
                                        ; implicit-def: $vgpr56
                                        ; implicit-def: $vgpr0_vgpr1
.LBB942_28:                             ;   in Loop: Header=BB942_24 Depth=2
	s_lshl_b64 s[22:23], s[94:95], 1
	s_add_u32 s22, s80, s22
	s_addc_u32 s23, s81, s23
	v_cmp_gt_u32_e32 vcc, s7, v2
	s_and_saveexec_b64 s[24:25], vcc
	s_cbranch_execz .LBB942_44
; %bb.29:                               ;   in Loop: Header=BB942_24 Depth=2
	global_load_ushort v38, v92, s[22:23]
	s_or_b64 exec, exec, s[24:25]
	v_cmp_gt_u32_e32 vcc, s7, v7
	s_and_saveexec_b64 s[24:25], vcc
	s_cbranch_execnz .LBB942_45
.LBB942_30:                             ;   in Loop: Header=BB942_24 Depth=2
	s_or_b64 exec, exec, s[24:25]
	v_cmp_gt_u32_e32 vcc, s7, v13
	s_and_saveexec_b64 s[24:25], vcc
	s_cbranch_execz .LBB942_46
.LBB942_31:                             ;   in Loop: Header=BB942_24 Depth=2
	global_load_ushort v36, v92, s[22:23] offset:1024
	s_or_b64 exec, exec, s[24:25]
	v_cmp_gt_u32_e32 vcc, s7, v15
	s_and_saveexec_b64 s[24:25], vcc
	s_cbranch_execnz .LBB942_47
.LBB942_32:                             ;   in Loop: Header=BB942_24 Depth=2
	s_or_b64 exec, exec, s[24:25]
	v_cmp_gt_u32_e32 vcc, s7, v17
	s_and_saveexec_b64 s[24:25], vcc
	s_cbranch_execz .LBB942_48
.LBB942_33:                             ;   in Loop: Header=BB942_24 Depth=2
	global_load_ushort v34, v92, s[22:23] offset:2048
	s_or_b64 exec, exec, s[24:25]
	v_cmp_gt_u32_e32 vcc, s7, v19
	s_and_saveexec_b64 s[24:25], vcc
	s_cbranch_execnz .LBB942_49
.LBB942_34:                             ;   in Loop: Header=BB942_24 Depth=2
	s_or_b64 exec, exec, s[24:25]
	v_cmp_gt_u32_e32 vcc, s7, v21
	s_and_saveexec_b64 s[24:25], vcc
	s_cbranch_execz .LBB942_50
.LBB942_35:                             ;   in Loop: Header=BB942_24 Depth=2
	global_load_ushort v32, v92, s[22:23] offset:3072
	s_or_b64 exec, exec, s[24:25]
	v_cmp_gt_u32_e32 vcc, s7, v23
	s_and_saveexec_b64 s[24:25], vcc
	s_cbranch_execnz .LBB942_51
.LBB942_36:                             ;   in Loop: Header=BB942_24 Depth=2
	s_or_b64 exec, exec, s[24:25]
	v_cmp_gt_u32_e32 vcc, s7, v6
	s_and_saveexec_b64 s[24:25], vcc
	s_cbranch_execz .LBB942_52
.LBB942_37:                             ;   in Loop: Header=BB942_24 Depth=2
	global_load_ushort v30, v93, s[22:23]
	s_or_b64 exec, exec, s[24:25]
	v_cmp_gt_u32_e32 vcc, s7, v8
	s_and_saveexec_b64 s[24:25], vcc
	s_cbranch_execnz .LBB942_53
.LBB942_38:                             ;   in Loop: Header=BB942_24 Depth=2
	s_or_b64 exec, exec, s[24:25]
	v_cmp_gt_u32_e32 vcc, s7, v10
	s_and_saveexec_b64 s[24:25], vcc
	s_cbranch_execz .LBB942_54
.LBB942_39:                             ;   in Loop: Header=BB942_24 Depth=2
	global_load_ushort v28, v95, s[22:23]
	s_or_b64 exec, exec, s[24:25]
	v_cmp_gt_u32_e32 vcc, s7, v12
	s_and_saveexec_b64 s[24:25], vcc
	s_cbranch_execnz .LBB942_55
.LBB942_40:                             ;   in Loop: Header=BB942_24 Depth=2
	s_or_b64 exec, exec, s[24:25]
	v_cmp_gt_u32_e32 vcc, s7, v14
	s_and_saveexec_b64 s[24:25], vcc
	s_cbranch_execz .LBB942_56
.LBB942_41:                             ;   in Loop: Header=BB942_24 Depth=2
	global_load_ushort v26, v97, s[22:23]
	s_or_b64 exec, exec, s[24:25]
	v_cmp_gt_u32_e32 vcc, s7, v16
	s_and_saveexec_b64 s[24:25], vcc
	s_cbranch_execnz .LBB942_57
.LBB942_42:                             ;   in Loop: Header=BB942_24 Depth=2
	s_or_b64 exec, exec, s[24:25]
	v_cmp_gt_u32_e32 vcc, s7, v18
	s_and_saveexec_b64 s[24:25], vcc
	s_cbranch_execz .LBB942_58
.LBB942_43:                             ;   in Loop: Header=BB942_24 Depth=2
	global_load_ushort v24, v99, s[22:23]
	s_or_b64 exec, exec, s[24:25]
	v_cmp_gt_u32_e32 vcc, s7, v20
	s_and_saveexec_b64 s[24:25], vcc
	s_cbranch_execz .LBB942_60
	s_branch .LBB942_59
.LBB942_44:                             ;   in Loop: Header=BB942_24 Depth=2
	s_or_b64 exec, exec, s[24:25]
	v_cmp_gt_u32_e32 vcc, s7, v7
	s_and_saveexec_b64 s[24:25], vcc
	s_cbranch_execz .LBB942_30
.LBB942_45:                             ;   in Loop: Header=BB942_24 Depth=2
	global_load_ushort v37, v92, s[22:23] offset:512
	s_or_b64 exec, exec, s[24:25]
	v_cmp_gt_u32_e32 vcc, s7, v13
	s_and_saveexec_b64 s[24:25], vcc
	s_cbranch_execnz .LBB942_31
.LBB942_46:                             ;   in Loop: Header=BB942_24 Depth=2
	s_or_b64 exec, exec, s[24:25]
	v_cmp_gt_u32_e32 vcc, s7, v15
	s_and_saveexec_b64 s[24:25], vcc
	s_cbranch_execz .LBB942_32
.LBB942_47:                             ;   in Loop: Header=BB942_24 Depth=2
	global_load_ushort v35, v92, s[22:23] offset:1536
	s_or_b64 exec, exec, s[24:25]
	v_cmp_gt_u32_e32 vcc, s7, v17
	s_and_saveexec_b64 s[24:25], vcc
	s_cbranch_execnz .LBB942_33
.LBB942_48:                             ;   in Loop: Header=BB942_24 Depth=2
	s_or_b64 exec, exec, s[24:25]
	v_cmp_gt_u32_e32 vcc, s7, v19
	s_and_saveexec_b64 s[24:25], vcc
	s_cbranch_execz .LBB942_34
.LBB942_49:                             ;   in Loop: Header=BB942_24 Depth=2
	global_load_ushort v33, v92, s[22:23] offset:2560
	s_or_b64 exec, exec, s[24:25]
	v_cmp_gt_u32_e32 vcc, s7, v21
	s_and_saveexec_b64 s[24:25], vcc
	s_cbranch_execnz .LBB942_35
.LBB942_50:                             ;   in Loop: Header=BB942_24 Depth=2
	s_or_b64 exec, exec, s[24:25]
	v_cmp_gt_u32_e32 vcc, s7, v23
	s_and_saveexec_b64 s[24:25], vcc
	s_cbranch_execz .LBB942_36
.LBB942_51:                             ;   in Loop: Header=BB942_24 Depth=2
	global_load_ushort v31, v92, s[22:23] offset:3584
	s_or_b64 exec, exec, s[24:25]
	v_cmp_gt_u32_e32 vcc, s7, v6
	s_and_saveexec_b64 s[24:25], vcc
	s_cbranch_execnz .LBB942_37
.LBB942_52:                             ;   in Loop: Header=BB942_24 Depth=2
	s_or_b64 exec, exec, s[24:25]
	v_cmp_gt_u32_e32 vcc, s7, v8
	s_and_saveexec_b64 s[24:25], vcc
	s_cbranch_execz .LBB942_38
.LBB942_53:                             ;   in Loop: Header=BB942_24 Depth=2
	global_load_ushort v29, v94, s[22:23]
	s_or_b64 exec, exec, s[24:25]
	v_cmp_gt_u32_e32 vcc, s7, v10
	s_and_saveexec_b64 s[24:25], vcc
	s_cbranch_execnz .LBB942_39
.LBB942_54:                             ;   in Loop: Header=BB942_24 Depth=2
	s_or_b64 exec, exec, s[24:25]
	v_cmp_gt_u32_e32 vcc, s7, v12
	s_and_saveexec_b64 s[24:25], vcc
	s_cbranch_execz .LBB942_40
.LBB942_55:                             ;   in Loop: Header=BB942_24 Depth=2
	global_load_ushort v27, v96, s[22:23]
	s_or_b64 exec, exec, s[24:25]
	v_cmp_gt_u32_e32 vcc, s7, v14
	s_and_saveexec_b64 s[24:25], vcc
	s_cbranch_execnz .LBB942_41
.LBB942_56:                             ;   in Loop: Header=BB942_24 Depth=2
	s_or_b64 exec, exec, s[24:25]
	v_cmp_gt_u32_e32 vcc, s7, v16
	s_and_saveexec_b64 s[24:25], vcc
	s_cbranch_execz .LBB942_42
.LBB942_57:                             ;   in Loop: Header=BB942_24 Depth=2
	global_load_ushort v25, v98, s[22:23]
	s_or_b64 exec, exec, s[24:25]
	v_cmp_gt_u32_e32 vcc, s7, v18
	s_and_saveexec_b64 s[24:25], vcc
	s_cbranch_execnz .LBB942_43
.LBB942_58:                             ;   in Loop: Header=BB942_24 Depth=2
	s_or_b64 exec, exec, s[24:25]
	v_cmp_gt_u32_e32 vcc, s7, v20
	s_and_saveexec_b64 s[24:25], vcc
	s_cbranch_execz .LBB942_60
.LBB942_59:                             ;   in Loop: Header=BB942_24 Depth=2
	global_load_ushort v5, v100, s[22:23]
.LBB942_60:                             ;   in Loop: Header=BB942_24 Depth=2
	s_or_b64 exec, exec, s[24:25]
	v_cmp_gt_u32_e32 vcc, s7, v22
                                        ; implicit-def: $sgpr9
                                        ; implicit-def: $vgpr0_vgpr1
	s_and_saveexec_b64 s[24:25], vcc
; %bb.61:                               ;   in Loop: Header=BB942_24 Depth=2
	v_mov_b32_e32 v1, s23
	v_add_co_u32_e32 v0, vcc, s22, v101
	s_sub_i32 s9, s98, s94
	v_addc_co_u32_e32 v1, vcc, 0, v1, vcc
	s_or_b64 s[20:21], s[20:21], exec
                                        ; implicit-def: $vgpr39
; %bb.62:                               ;   in Loop: Header=BB942_24 Depth=2
	s_or_b64 exec, exec, s[24:25]
	s_waitcnt vmcnt(0)
	v_mov_b32_e32 v41, v38
	v_mov_b32_e32 v42, v37
	;; [unrolled: 1-line block ×17, first 2 shown]
	s_and_saveexec_b64 s[22:23], s[20:21]
	s_cbranch_execz .LBB942_64
.LBB942_63:                             ;   in Loop: Header=BB942_24 Depth=2
	global_load_ushort v39, v[0:1], off
	v_mov_b32_e32 v40, s9
	s_waitcnt vmcnt(1)
	v_mov_b32_e32 v5, v56
	v_mov_b32_e32 v24, v55
	;; [unrolled: 1-line block ×16, first 2 shown]
.LBB942_64:                             ;   in Loop: Header=BB942_24 Depth=2
	s_or_b64 exec, exec, s[22:23]
	v_cmp_lt_u32_e32 vcc, v2, v40
	s_and_saveexec_b64 s[20:21], vcc
	s_cbranch_execz .LBB942_81
; %bb.65:                               ;   in Loop: Header=BB942_24 Depth=2
	v_xor_b32_e32 v0, 0x7fff, v38
	v_lshrrev_b32_sdwa v0, s99, v0 dst_sel:DWORD dst_unused:UNUSED_PAD src0_sel:DWORD src1_sel:WORD_0
	v_and_b32_e32 v0, s6, v0
	v_lshl_or_b32 v0, v0, 4, v90
	ds_add_u32 v0, v91
	s_or_b64 exec, exec, s[20:21]
	v_cmp_lt_u32_e32 vcc, v7, v40
	s_and_saveexec_b64 s[20:21], vcc
	s_cbranch_execnz .LBB942_82
.LBB942_66:                             ;   in Loop: Header=BB942_24 Depth=2
	s_or_b64 exec, exec, s[20:21]
	v_cmp_lt_u32_e32 vcc, v13, v40
	s_and_saveexec_b64 s[20:21], vcc
	s_cbranch_execz .LBB942_83
.LBB942_67:                             ;   in Loop: Header=BB942_24 Depth=2
	v_xor_b32_e32 v0, 0x7fff, v36
	v_lshrrev_b32_sdwa v0, s99, v0 dst_sel:DWORD dst_unused:UNUSED_PAD src0_sel:DWORD src1_sel:WORD_0
	v_and_b32_e32 v0, s6, v0
	v_lshl_or_b32 v0, v0, 4, v90
	ds_add_u32 v0, v91
	s_or_b64 exec, exec, s[20:21]
	v_cmp_lt_u32_e32 vcc, v15, v40
	s_and_saveexec_b64 s[20:21], vcc
	s_cbranch_execnz .LBB942_84
.LBB942_68:                             ;   in Loop: Header=BB942_24 Depth=2
	s_or_b64 exec, exec, s[20:21]
	v_cmp_lt_u32_e32 vcc, v17, v40
	s_and_saveexec_b64 s[20:21], vcc
	s_cbranch_execz .LBB942_85
.LBB942_69:                             ;   in Loop: Header=BB942_24 Depth=2
	v_xor_b32_e32 v0, 0x7fff, v34
	v_lshrrev_b32_sdwa v0, s99, v0 dst_sel:DWORD dst_unused:UNUSED_PAD src0_sel:DWORD src1_sel:WORD_0
	v_and_b32_e32 v0, s6, v0
	v_lshl_or_b32 v0, v0, 4, v90
	ds_add_u32 v0, v91
	s_or_b64 exec, exec, s[20:21]
	v_cmp_lt_u32_e32 vcc, v19, v40
	s_and_saveexec_b64 s[20:21], vcc
	s_cbranch_execnz .LBB942_86
.LBB942_70:                             ;   in Loop: Header=BB942_24 Depth=2
	s_or_b64 exec, exec, s[20:21]
	v_cmp_lt_u32_e32 vcc, v21, v40
	s_and_saveexec_b64 s[20:21], vcc
	s_cbranch_execz .LBB942_87
.LBB942_71:                             ;   in Loop: Header=BB942_24 Depth=2
	v_xor_b32_e32 v0, 0x7fff, v32
	v_lshrrev_b32_sdwa v0, s99, v0 dst_sel:DWORD dst_unused:UNUSED_PAD src0_sel:DWORD src1_sel:WORD_0
	v_and_b32_e32 v0, s6, v0
	v_lshl_or_b32 v0, v0, 4, v90
	ds_add_u32 v0, v91
	s_or_b64 exec, exec, s[20:21]
	v_cmp_lt_u32_e32 vcc, v23, v40
	s_and_saveexec_b64 s[20:21], vcc
	s_cbranch_execnz .LBB942_88
.LBB942_72:                             ;   in Loop: Header=BB942_24 Depth=2
	s_or_b64 exec, exec, s[20:21]
	v_cmp_lt_u32_e32 vcc, v6, v40
	s_and_saveexec_b64 s[20:21], vcc
	s_cbranch_execz .LBB942_89
.LBB942_73:                             ;   in Loop: Header=BB942_24 Depth=2
	v_xor_b32_e32 v0, 0x7fff, v30
	v_lshrrev_b32_sdwa v0, s99, v0 dst_sel:DWORD dst_unused:UNUSED_PAD src0_sel:DWORD src1_sel:WORD_0
	v_and_b32_e32 v0, s6, v0
	v_lshl_or_b32 v0, v0, 4, v90
	ds_add_u32 v0, v91
	s_or_b64 exec, exec, s[20:21]
	v_cmp_lt_u32_e32 vcc, v8, v40
	s_and_saveexec_b64 s[20:21], vcc
	s_cbranch_execnz .LBB942_90
.LBB942_74:                             ;   in Loop: Header=BB942_24 Depth=2
	s_or_b64 exec, exec, s[20:21]
	v_cmp_lt_u32_e32 vcc, v10, v40
	s_and_saveexec_b64 s[20:21], vcc
	s_cbranch_execz .LBB942_91
.LBB942_75:                             ;   in Loop: Header=BB942_24 Depth=2
	v_xor_b32_e32 v0, 0x7fff, v28
	v_lshrrev_b32_sdwa v0, s99, v0 dst_sel:DWORD dst_unused:UNUSED_PAD src0_sel:DWORD src1_sel:WORD_0
	v_and_b32_e32 v0, s6, v0
	v_lshl_or_b32 v0, v0, 4, v90
	ds_add_u32 v0, v91
	s_or_b64 exec, exec, s[20:21]
	v_cmp_lt_u32_e32 vcc, v12, v40
	s_and_saveexec_b64 s[20:21], vcc
	s_cbranch_execnz .LBB942_92
.LBB942_76:                             ;   in Loop: Header=BB942_24 Depth=2
	s_or_b64 exec, exec, s[20:21]
	v_cmp_lt_u32_e32 vcc, v14, v40
	s_and_saveexec_b64 s[20:21], vcc
	s_cbranch_execz .LBB942_93
.LBB942_77:                             ;   in Loop: Header=BB942_24 Depth=2
	v_xor_b32_e32 v0, 0x7fff, v26
	v_lshrrev_b32_sdwa v0, s99, v0 dst_sel:DWORD dst_unused:UNUSED_PAD src0_sel:DWORD src1_sel:WORD_0
	v_and_b32_e32 v0, s6, v0
	v_lshl_or_b32 v0, v0, 4, v90
	ds_add_u32 v0, v91
	s_or_b64 exec, exec, s[20:21]
	v_cmp_lt_u32_e32 vcc, v16, v40
	s_and_saveexec_b64 s[20:21], vcc
	s_cbranch_execnz .LBB942_94
.LBB942_78:                             ;   in Loop: Header=BB942_24 Depth=2
	s_or_b64 exec, exec, s[20:21]
	v_cmp_lt_u32_e32 vcc, v18, v40
	s_and_saveexec_b64 s[20:21], vcc
	s_cbranch_execz .LBB942_95
.LBB942_79:                             ;   in Loop: Header=BB942_24 Depth=2
	v_xor_b32_e32 v0, 0x7fff, v24
	v_lshrrev_b32_sdwa v0, s99, v0 dst_sel:DWORD dst_unused:UNUSED_PAD src0_sel:DWORD src1_sel:WORD_0
	v_and_b32_e32 v0, s6, v0
	v_lshl_or_b32 v0, v0, 4, v90
	ds_add_u32 v0, v91
	s_or_b64 exec, exec, s[20:21]
	v_cmp_lt_u32_e32 vcc, v20, v40
	s_and_saveexec_b64 s[20:21], vcc
	s_cbranch_execnz .LBB942_96
.LBB942_80:                             ;   in Loop: Header=BB942_24 Depth=2
	s_or_b64 exec, exec, s[20:21]
	v_cmp_lt_u32_e32 vcc, v22, v40
	s_and_saveexec_b64 s[20:21], vcc
	s_cbranch_execz .LBB942_23
	s_branch .LBB942_97
.LBB942_81:                             ;   in Loop: Header=BB942_24 Depth=2
	s_or_b64 exec, exec, s[20:21]
	v_cmp_lt_u32_e32 vcc, v7, v40
	s_and_saveexec_b64 s[20:21], vcc
	s_cbranch_execz .LBB942_66
.LBB942_82:                             ;   in Loop: Header=BB942_24 Depth=2
	v_xor_b32_e32 v0, 0x7fff, v37
	v_lshrrev_b32_sdwa v0, s99, v0 dst_sel:DWORD dst_unused:UNUSED_PAD src0_sel:DWORD src1_sel:WORD_0
	v_and_b32_e32 v0, s6, v0
	v_lshl_or_b32 v0, v0, 4, v90
	ds_add_u32 v0, v91
	s_or_b64 exec, exec, s[20:21]
	v_cmp_lt_u32_e32 vcc, v13, v40
	s_and_saveexec_b64 s[20:21], vcc
	s_cbranch_execnz .LBB942_67
.LBB942_83:                             ;   in Loop: Header=BB942_24 Depth=2
	s_or_b64 exec, exec, s[20:21]
	v_cmp_lt_u32_e32 vcc, v15, v40
	s_and_saveexec_b64 s[20:21], vcc
	s_cbranch_execz .LBB942_68
.LBB942_84:                             ;   in Loop: Header=BB942_24 Depth=2
	v_xor_b32_e32 v0, 0x7fff, v35
	v_lshrrev_b32_sdwa v0, s99, v0 dst_sel:DWORD dst_unused:UNUSED_PAD src0_sel:DWORD src1_sel:WORD_0
	v_and_b32_e32 v0, s6, v0
	v_lshl_or_b32 v0, v0, 4, v90
	ds_add_u32 v0, v91
	s_or_b64 exec, exec, s[20:21]
	v_cmp_lt_u32_e32 vcc, v17, v40
	s_and_saveexec_b64 s[20:21], vcc
	s_cbranch_execnz .LBB942_69
.LBB942_85:                             ;   in Loop: Header=BB942_24 Depth=2
	s_or_b64 exec, exec, s[20:21]
	v_cmp_lt_u32_e32 vcc, v19, v40
	s_and_saveexec_b64 s[20:21], vcc
	s_cbranch_execz .LBB942_70
.LBB942_86:                             ;   in Loop: Header=BB942_24 Depth=2
	v_xor_b32_e32 v0, 0x7fff, v33
	v_lshrrev_b32_sdwa v0, s99, v0 dst_sel:DWORD dst_unused:UNUSED_PAD src0_sel:DWORD src1_sel:WORD_0
	v_and_b32_e32 v0, s6, v0
	v_lshl_or_b32 v0, v0, 4, v90
	ds_add_u32 v0, v91
	s_or_b64 exec, exec, s[20:21]
	v_cmp_lt_u32_e32 vcc, v21, v40
	s_and_saveexec_b64 s[20:21], vcc
	s_cbranch_execnz .LBB942_71
.LBB942_87:                             ;   in Loop: Header=BB942_24 Depth=2
	s_or_b64 exec, exec, s[20:21]
	v_cmp_lt_u32_e32 vcc, v23, v40
	s_and_saveexec_b64 s[20:21], vcc
	s_cbranch_execz .LBB942_72
.LBB942_88:                             ;   in Loop: Header=BB942_24 Depth=2
	v_xor_b32_e32 v0, 0x7fff, v31
	v_lshrrev_b32_sdwa v0, s99, v0 dst_sel:DWORD dst_unused:UNUSED_PAD src0_sel:DWORD src1_sel:WORD_0
	v_and_b32_e32 v0, s6, v0
	v_lshl_or_b32 v0, v0, 4, v90
	ds_add_u32 v0, v91
	s_or_b64 exec, exec, s[20:21]
	v_cmp_lt_u32_e32 vcc, v6, v40
	s_and_saveexec_b64 s[20:21], vcc
	s_cbranch_execnz .LBB942_73
.LBB942_89:                             ;   in Loop: Header=BB942_24 Depth=2
	s_or_b64 exec, exec, s[20:21]
	v_cmp_lt_u32_e32 vcc, v8, v40
	s_and_saveexec_b64 s[20:21], vcc
	s_cbranch_execz .LBB942_74
.LBB942_90:                             ;   in Loop: Header=BB942_24 Depth=2
	v_xor_b32_e32 v0, 0x7fff, v29
	v_lshrrev_b32_sdwa v0, s99, v0 dst_sel:DWORD dst_unused:UNUSED_PAD src0_sel:DWORD src1_sel:WORD_0
	v_and_b32_e32 v0, s6, v0
	v_lshl_or_b32 v0, v0, 4, v90
	ds_add_u32 v0, v91
	s_or_b64 exec, exec, s[20:21]
	v_cmp_lt_u32_e32 vcc, v10, v40
	s_and_saveexec_b64 s[20:21], vcc
	s_cbranch_execnz .LBB942_75
.LBB942_91:                             ;   in Loop: Header=BB942_24 Depth=2
	s_or_b64 exec, exec, s[20:21]
	v_cmp_lt_u32_e32 vcc, v12, v40
	s_and_saveexec_b64 s[20:21], vcc
	s_cbranch_execz .LBB942_76
.LBB942_92:                             ;   in Loop: Header=BB942_24 Depth=2
	v_xor_b32_e32 v0, 0x7fff, v27
	v_lshrrev_b32_sdwa v0, s99, v0 dst_sel:DWORD dst_unused:UNUSED_PAD src0_sel:DWORD src1_sel:WORD_0
	v_and_b32_e32 v0, s6, v0
	v_lshl_or_b32 v0, v0, 4, v90
	ds_add_u32 v0, v91
	s_or_b64 exec, exec, s[20:21]
	v_cmp_lt_u32_e32 vcc, v14, v40
	s_and_saveexec_b64 s[20:21], vcc
	s_cbranch_execnz .LBB942_77
.LBB942_93:                             ;   in Loop: Header=BB942_24 Depth=2
	s_or_b64 exec, exec, s[20:21]
	v_cmp_lt_u32_e32 vcc, v16, v40
	s_and_saveexec_b64 s[20:21], vcc
	s_cbranch_execz .LBB942_78
.LBB942_94:                             ;   in Loop: Header=BB942_24 Depth=2
	v_xor_b32_e32 v0, 0x7fff, v25
	v_lshrrev_b32_sdwa v0, s99, v0 dst_sel:DWORD dst_unused:UNUSED_PAD src0_sel:DWORD src1_sel:WORD_0
	v_and_b32_e32 v0, s6, v0
	v_lshl_or_b32 v0, v0, 4, v90
	ds_add_u32 v0, v91
	s_or_b64 exec, exec, s[20:21]
	v_cmp_lt_u32_e32 vcc, v18, v40
	s_and_saveexec_b64 s[20:21], vcc
	s_cbranch_execnz .LBB942_79
.LBB942_95:                             ;   in Loop: Header=BB942_24 Depth=2
	s_or_b64 exec, exec, s[20:21]
	v_cmp_lt_u32_e32 vcc, v20, v40
	s_and_saveexec_b64 s[20:21], vcc
	s_cbranch_execz .LBB942_80
.LBB942_96:                             ;   in Loop: Header=BB942_24 Depth=2
	v_xor_b32_e32 v0, 0x7fff, v5
	v_lshrrev_b32_sdwa v0, s99, v0 dst_sel:DWORD dst_unused:UNUSED_PAD src0_sel:DWORD src1_sel:WORD_0
	v_and_b32_e32 v0, s6, v0
	v_lshl_or_b32 v0, v0, 4, v90
	ds_add_u32 v0, v91
	s_or_b64 exec, exec, s[20:21]
	v_cmp_lt_u32_e32 vcc, v22, v40
	s_and_saveexec_b64 s[20:21], vcc
	s_cbranch_execz .LBB942_23
.LBB942_97:                             ;   in Loop: Header=BB942_24 Depth=2
	s_waitcnt vmcnt(0)
	v_xor_b32_e32 v0, 0x7fff, v39
	v_lshrrev_b32_sdwa v0, s99, v0 dst_sel:DWORD dst_unused:UNUSED_PAD src0_sel:DWORD src1_sel:WORD_0
	v_and_b32_e32 v0, s6, v0
	v_lshl_or_b32 v0, v0, 4, v90
	ds_add_u32 v0, v91
	s_branch .LBB942_23
.LBB942_98:                             ;   in Loop: Header=BB942_20 Depth=1
	v_mov_b32_e32 v0, 0
	s_waitcnt lgkmcnt(0)
	s_barrier
	s_and_saveexec_b64 s[20:21], s[4:5]
	s_cbranch_execz .LBB942_100
; %bb.99:                               ;   in Loop: Header=BB942_20 Depth=1
	ds_read2_b64 v[24:27], v59 offset1:1
	s_waitcnt lgkmcnt(0)
	v_add_u32_e32 v0, v25, v24
	v_add3_u32 v0, v0, v26, v27
.LBB942_100:                            ;   in Loop: Header=BB942_20 Depth=1
	s_or_b64 exec, exec, s[20:21]
	s_nop 0
	v_mov_b32_dpp v1, v0 row_shr:1 row_mask:0xf bank_mask:0xf
	v_cmp_eq_u32_e64 s[20:21], 0, v103
	v_cndmask_b32_e64 v1, v1, 0, s[20:21]
	v_add_u32_e32 v0, v1, v0
	v_cmp_lt_u32_e64 s[22:23], 1, v103
	v_cmp_lt_u32_e64 s[24:25], 3, v103
	v_mov_b32_dpp v1, v0 row_shr:2 row_mask:0xf bank_mask:0xf
	v_cndmask_b32_e64 v1, 0, v1, s[22:23]
	v_add_u32_e32 v0, v0, v1
	v_cmp_lt_u32_e64 s[26:27], 7, v103
	v_cmp_lt_u32_e64 s[30:31], 31, v102
	v_mov_b32_dpp v1, v0 row_shr:4 row_mask:0xf bank_mask:0xf
	v_cndmask_b32_e64 v1, 0, v1, s[24:25]
	v_add_u32_e32 v0, v0, v1
	v_cmp_eq_u32_e64 s[28:29], 0, v105
	s_nop 0
	v_mov_b32_dpp v1, v0 row_shr:8 row_mask:0xf bank_mask:0xf
	v_cndmask_b32_e64 v1, 0, v1, s[26:27]
	v_add_u32_e32 v0, v0, v1
	s_nop 1
	v_mov_b32_dpp v1, v0 row_bcast:15 row_mask:0xf bank_mask:0xf
	v_and_b32_e32 v1, v104, v1
	v_add_u32_e32 v0, v0, v1
	s_nop 1
	v_mov_b32_dpp v1, v0 row_bcast:31 row_mask:0xf bank_mask:0xf
	v_cndmask_b32_e64 v1, 0, v1, s[30:31]
	v_add_u32_e32 v0, v0, v1
	s_mov_b64 s[34:35], exec
	v_readlane_b32 s8, v232, 0
	v_readlane_b32 s9, v232, 1
	s_and_b64 s[8:9], s[34:35], s[8:9]
	s_mov_b64 exec, s[8:9]
	s_cbranch_execz .LBB942_102
; %bb.101:                              ;   in Loop: Header=BB942_20 Depth=1
	ds_write_b32 v61, v0
.LBB942_102:                            ;   in Loop: Header=BB942_20 Depth=1
	s_or_b64 exec, exec, s[34:35]
	s_waitcnt lgkmcnt(0)
	s_barrier
	s_mov_b64 s[34:35], exec
	v_readlane_b32 s8, v232, 2
	v_readlane_b32 s9, v232, 3
	s_and_b64 s[8:9], s[34:35], s[8:9]
	s_mov_b64 exec, s[8:9]
	s_cbranch_execz .LBB942_104
; %bb.103:                              ;   in Loop: Header=BB942_20 Depth=1
	ds_read_b32 v1, v62
	s_waitcnt lgkmcnt(0)
	s_nop 0
	v_mov_b32_dpp v5, v1 row_shr:1 row_mask:0xf bank_mask:0xf
	v_and_b32_e32 v5, v106, v5
	v_add_u32_e32 v1, v5, v1
	ds_write_b32 v62, v1
.LBB942_104:                            ;   in Loop: Header=BB942_20 Depth=1
	s_or_b64 exec, exec, s[34:35]
	v_mov_b32_e32 v1, 0
	s_waitcnt lgkmcnt(0)
	s_barrier
	s_and_saveexec_b64 s[34:35], s[10:11]
	s_cbranch_execz .LBB942_106
; %bb.105:                              ;   in Loop: Header=BB942_20 Depth=1
	ds_read_b32 v1, v63
.LBB942_106:                            ;   in Loop: Header=BB942_20 Depth=1
	s_or_b64 exec, exec, s[34:35]
	v_cmp_lt_i32_e32 vcc, v107, v108
	v_cndmask_b32_e32 v5, v107, v102, vcc
	s_waitcnt lgkmcnt(0)
	v_add_u32_e32 v0, v1, v0
	v_lshlrev_b32_e32 v129, 2, v5
	ds_bpermute_b32 v0, v129, v0
	v_cmp_eq_u32_e64 s[34:35], 0, v102
	s_waitcnt lgkmcnt(0)
	s_barrier
	s_and_saveexec_b64 s[36:37], s[4:5]
	s_cbranch_execz .LBB942_108
; %bb.107:                              ;   in Loop: Header=BB942_20 Depth=1
	v_cndmask_b32_e64 v0, v0, v1, s[34:35]
	v_add_u32_e32 v0, s75, v0
	ds_write_b32 v3, v0
.LBB942_108:                            ;   in Loop: Header=BB942_20 Depth=1
	s_or_b64 exec, exec, s[36:37]
	s_load_dword s7, s[96:97], 0x4
	s_load_dword s40, s[96:97], 0xc
	v_add_co_u32_e32 v130, vcc, v71, v110
	v_addc_co_u32_e32 v131, vcc, 0, v72, vcc
	s_waitcnt lgkmcnt(0)
	s_cmp_lt_u32 s33, s7
	s_cselect_b32 s7, 14, 20
	s_add_u32 s8, s96, s7
	s_addc_u32 s9, s97, 0
	global_load_ushort v5, v4, s[8:9]
	v_add_co_u32_e32 v132, vcc, v73, v128
	v_addc_co_u32_e32 v133, vcc, 0, v74, vcc
	s_and_b32 s8, s40, 0xffff
	v_add_co_u32_e32 v148, vcc, 0x800, v132
	v_cmp_eq_u32_e64 s[36:37], 0, v109
	v_cmp_lt_u32_e64 s[38:39], 1, v109
	s_mov_b32 s7, s91
	v_addc_co_u32_e32 v151, vcc, 0, v133, vcc
	s_mov_b32 s94, s75
                                        ; implicit-def: $vgpr0_vgpr1
                                        ; implicit-def: $vgpr24_vgpr25
                                        ; implicit-def: $vgpr26_vgpr27
                                        ; implicit-def: $vgpr28_vgpr29
                                        ; implicit-def: $vgpr32_vgpr33
                                        ; implicit-def: $vgpr36_vgpr37
                                        ; implicit-def: $vgpr40_vgpr41
                                        ; implicit-def: $vgpr44_vgpr45
                                        ; implicit-def: $vgpr48_vgpr49
                                        ; implicit-def: $vgpr30_vgpr31
                                        ; implicit-def: $vgpr34_vgpr35
                                        ; implicit-def: $vgpr38_vgpr39
                                        ; implicit-def: $vgpr42_vgpr43
                                        ; implicit-def: $vgpr46_vgpr47
                                        ; implicit-def: $vgpr50_vgpr51
                                        ; implicit-def: $vgpr52_vgpr53
                                        ; implicit-def: $vgpr54_vgpr55
                                        ; implicit-def: $vgpr134
                                        ; implicit-def: $vgpr135
                                        ; implicit-def: $vgpr136
                                        ; implicit-def: $vgpr137
                                        ; implicit-def: $vgpr138
                                        ; implicit-def: $vgpr139
                                        ; implicit-def: $vgpr140
                                        ; implicit-def: $vgpr141
                                        ; implicit-def: $vgpr142
                                        ; implicit-def: $vgpr143
                                        ; implicit-def: $vgpr144
                                        ; implicit-def: $vgpr145
                                        ; implicit-def: $vgpr146
                                        ; implicit-def: $vgpr147
                                        ; implicit-def: $vgpr149
                                        ; implicit-def: $vgpr150
                                        ; implicit-def: $vgpr152
                                        ; implicit-def: $vgpr154
                                        ; implicit-def: $vgpr155
	s_waitcnt vmcnt(0)
	v_mad_u32_u24 v5, v64, v5, v65
	v_mad_u64_u32 v[56:57], s[8:9], v5, s8, v[2:3]
	v_lshrrev_b32_e32 v153, 6, v56
	s_branch .LBB942_110
.LBB942_109:                            ;   in Loop: Header=BB942_110 Depth=2
	s_or_b64 exec, exec, s[40:41]
	s_addk_i32 s7, 0xef00
	s_cmp_lt_u32 s8, s98
	s_mov_b32 s94, s8
	s_cbranch_scc0 .LBB942_332
.LBB942_110:                            ;   Parent Loop BB942_20 Depth=1
                                        ; =>  This Inner Loop Header: Depth=2
	s_add_i32 s8, s94, 0x1100
	s_cmp_gt_u32 s8, s98
	s_cbranch_scc1 .LBB942_113
; %bb.111:                              ;   in Loop: Header=BB942_110 Depth=2
	s_lshl_b64 s[40:41], s[94:95], 1
	v_mov_b32_e32 v5, s41
	v_add_co_u32_e32 v56, vcc, s40, v132
	v_addc_co_u32_e32 v57, vcc, v133, v5, vcc
	global_load_ushort v5, v[56:57], off
	global_load_ushort v160, v[56:57], off offset:128
	global_load_ushort v165, v[56:57], off offset:256
	;; [unrolled: 1-line block ×15, first 2 shown]
	s_mov_b64 s[40:41], -1
	s_movk_i32 s9, 0x1100
	s_cbranch_execz .LBB942_114
; %bb.112:                              ;   in Loop: Header=BB942_110 Depth=2
                                        ; implicit-def: $sgpr42
	v_mov_b32_e32 v166, s42
	v_mov_b32_e32 v156, s7
	s_and_saveexec_b64 s[42:43], s[40:41]
	s_cbranch_execnz .LBB942_147
	s_branch .LBB942_148
.LBB942_113:                            ;   in Loop: Header=BB942_110 Depth=2
	s_mov_b64 s[40:41], 0
                                        ; implicit-def: $sgpr9
                                        ; implicit-def: $vgpr5
                                        ; implicit-def: $vgpr160
                                        ; implicit-def: $vgpr165
                                        ; implicit-def: $vgpr171
                                        ; implicit-def: $vgpr176
                                        ; implicit-def: $vgpr181
                                        ; implicit-def: $vgpr186
                                        ; implicit-def: $vgpr191
                                        ; implicit-def: $vgpr193
                                        ; implicit-def: $vgpr188
                                        ; implicit-def: $vgpr184
                                        ; implicit-def: $vgpr179
                                        ; implicit-def: $vgpr174
                                        ; implicit-def: $vgpr169
                                        ; implicit-def: $vgpr164
                                        ; implicit-def: $vgpr159
.LBB942_114:                            ;   in Loop: Header=BB942_110 Depth=2
	s_lshl_b64 s[40:41], s[94:95], 1
	s_waitcnt vmcnt(15)
	v_mov_b32_e32 v5, s41
	v_add_co_u32_e32 v56, vcc, s40, v132
	v_addc_co_u32_e32 v57, vcc, v133, v5, vcc
	v_cmp_gt_u32_e32 vcc, s7, v111
	s_waitcnt vmcnt(14)
	v_mov_b32_e32 v160, 0xffff8000
	v_mov_b32_e32 v5, 0xffff8000
	s_and_saveexec_b64 s[40:41], vcc
	s_cbranch_execz .LBB942_116
; %bb.115:                              ;   in Loop: Header=BB942_110 Depth=2
	global_load_ushort v5, v[56:57], off
.LBB942_116:                            ;   in Loop: Header=BB942_110 Depth=2
	s_or_b64 exec, exec, s[40:41]
	v_cmp_gt_u32_e32 vcc, s7, v112
	s_and_saveexec_b64 s[40:41], vcc
	s_cbranch_execz .LBB942_118
; %bb.117:                              ;   in Loop: Header=BB942_110 Depth=2
	global_load_ushort v160, v[56:57], off offset:128
.LBB942_118:                            ;   in Loop: Header=BB942_110 Depth=2
	s_or_b64 exec, exec, s[40:41]
	v_cmp_gt_u32_e32 vcc, s7, v113
	s_waitcnt vmcnt(12)
	v_mov_b32_e32 v171, 0xffff8000
	v_mov_b32_e32 v165, 0xffff8000
	s_and_saveexec_b64 s[40:41], vcc
	s_cbranch_execz .LBB942_120
; %bb.119:                              ;   in Loop: Header=BB942_110 Depth=2
	global_load_ushort v165, v[56:57], off offset:256
.LBB942_120:                            ;   in Loop: Header=BB942_110 Depth=2
	s_or_b64 exec, exec, s[40:41]
	v_cmp_gt_u32_e32 vcc, s7, v114
	s_and_saveexec_b64 s[40:41], vcc
	s_cbranch_execz .LBB942_122
; %bb.121:                              ;   in Loop: Header=BB942_110 Depth=2
	global_load_ushort v171, v[56:57], off offset:384
.LBB942_122:                            ;   in Loop: Header=BB942_110 Depth=2
	s_or_b64 exec, exec, s[40:41]
	v_cmp_gt_u32_e32 vcc, s7, v115
	s_waitcnt vmcnt(10)
	v_mov_b32_e32 v181, 0xffff8000
	v_mov_b32_e32 v176, 0xffff8000
	s_and_saveexec_b64 s[40:41], vcc
	s_cbranch_execz .LBB942_124
; %bb.123:                              ;   in Loop: Header=BB942_110 Depth=2
	global_load_ushort v176, v[56:57], off offset:512
.LBB942_124:                            ;   in Loop: Header=BB942_110 Depth=2
	;; [unrolled: 17-line block ×7, first 2 shown]
	s_or_b64 exec, exec, s[40:41]
	v_cmp_gt_u32_e32 vcc, s7, v126
	s_and_saveexec_b64 s[40:41], vcc
	s_cbranch_execz .LBB942_146
; %bb.145:                              ;   in Loop: Header=BB942_110 Depth=2
	global_load_ushort v159, v[56:57], off offset:1920
.LBB942_146:                            ;   in Loop: Header=BB942_110 Depth=2
	s_or_b64 exec, exec, s[40:41]
	s_sub_i32 s9, s98, s94
	v_cmp_gt_u32_e64 s[40:41], s7, v127
	s_movk_i32 s42, 0x8000
	v_mov_b32_e32 v166, s42
	v_mov_b32_e32 v156, s7
	s_and_saveexec_b64 s[42:43], s[40:41]
	s_cbranch_execz .LBB942_148
.LBB942_147:                            ;   in Loop: Header=BB942_110 Depth=2
	s_lshl_b64 s[40:41], s[94:95], 1
	v_mov_b32_e32 v57, s41
	v_add_co_u32_e32 v56, vcc, s40, v148
	v_addc_co_u32_e32 v57, vcc, v151, v57, vcc
	global_load_ushort v166, v[56:57], off
	v_mov_b32_e32 v156, s9
.LBB942_148:                            ;   in Loop: Header=BB942_110 Depth=2
	s_or_b64 exec, exec, s[42:43]
	s_waitcnt vmcnt(15)
	v_xor_b32_e32 v157, 0x7fff, v5
	v_lshrrev_b32_sdwa v5, s99, v157 dst_sel:DWORD dst_unused:UNUSED_PAD src0_sel:DWORD src1_sel:WORD_0
	v_and_b32_e32 v56, s6, v5
	v_mad_u32_u24 v5, v56, 5, v153
	v_lshl_add_u32 v158, v5, 2, v66
	v_and_b32_e32 v5, 1, v56
	v_add_co_u32_e32 v57, vcc, -1, v5
	v_addc_co_u32_e64 v161, s[40:41], 0, -1, vcc
	v_cmp_ne_u32_e32 vcc, 0, v5
	v_xor_b32_e32 v5, vcc_hi, v161
	v_and_b32_e32 v161, exec_hi, v5
	v_lshlrev_b32_e32 v5, 30, v56
	v_xor_b32_e32 v57, vcc_lo, v57
	v_cmp_gt_i64_e32 vcc, 0, v[4:5]
	v_not_b32_e32 v5, v5
	v_ashrrev_i32_e32 v5, 31, v5
	v_and_b32_e32 v57, exec_lo, v57
	v_xor_b32_e32 v162, vcc_hi, v5
	v_xor_b32_e32 v5, vcc_lo, v5
	v_and_b32_e32 v57, v57, v5
	v_lshlrev_b32_e32 v5, 29, v56
	v_cmp_gt_i64_e32 vcc, 0, v[4:5]
	v_not_b32_e32 v5, v5
	v_ashrrev_i32_e32 v5, 31, v5
	v_and_b32_e32 v161, v161, v162
	v_xor_b32_e32 v162, vcc_hi, v5
	v_xor_b32_e32 v5, vcc_lo, v5
	v_and_b32_e32 v57, v57, v5
	v_lshlrev_b32_e32 v5, 28, v56
	v_cmp_gt_i64_e32 vcc, 0, v[4:5]
	v_not_b32_e32 v5, v5
	v_ashrrev_i32_e32 v5, 31, v5
	v_and_b32_e32 v161, v161, v162
	;; [unrolled: 8-line block ×4, first 2 shown]
	v_xor_b32_e32 v162, vcc_hi, v5
	v_xor_b32_e32 v5, vcc_lo, v5
	v_and_b32_e32 v161, v161, v162
	v_and_b32_e32 v162, v57, v5
	v_lshlrev_b32_e32 v5, 25, v56
	v_cmp_gt_i64_e32 vcc, 0, v[4:5]
	v_not_b32_e32 v5, v5
	v_ashrrev_i32_e32 v5, 31, v5
	v_xor_b32_e32 v56, vcc_hi, v5
	v_xor_b32_e32 v5, vcc_lo, v5
	v_and_b32_e32 v57, v161, v56
	v_and_b32_e32 v56, v162, v5
	v_mbcnt_lo_u32_b32 v5, v56, 0
	v_mbcnt_hi_u32_b32 v161, v57, v5
	v_cmp_eq_u32_e32 vcc, 0, v161
	v_cmp_ne_u64_e64 s[40:41], 0, v[56:57]
	s_and_b64 s[42:43], s[40:41], vcc
	ds_write2_b32 v58, v4, v4 offset0:132 offset1:133
	ds_write_b32 v67, v4 offset:8
	s_waitcnt lgkmcnt(0)
	s_barrier
	s_waitcnt lgkmcnt(0)
	; wave barrier
	s_and_saveexec_b64 s[40:41], s[42:43]
	s_cbranch_execz .LBB942_150
; %bb.149:                              ;   in Loop: Header=BB942_110 Depth=2
	v_bcnt_u32_b32 v5, v56, 0
	v_bcnt_u32_b32 v5, v57, v5
	ds_write_b32 v158, v5
.LBB942_150:                            ;   in Loop: Header=BB942_110 Depth=2
	s_or_b64 exec, exec, s[40:41]
	s_waitcnt vmcnt(14)
	v_xor_b32_e32 v160, 0x7fff, v160
	v_lshrrev_b32_sdwa v5, s99, v160 dst_sel:DWORD dst_unused:UNUSED_PAD src0_sel:DWORD src1_sel:WORD_0
	v_and_b32_e32 v56, s6, v5
	v_mul_u32_u24_e32 v5, 5, v56
	v_add_lshl_u32 v5, v5, v153, 2
	; wave barrier
	v_add_u32_e32 v163, 0x210, v5
	ds_read_b32 v162, v5 offset:528
	v_and_b32_e32 v5, 1, v56
	v_add_co_u32_e32 v57, vcc, -1, v5
	v_addc_co_u32_e64 v167, s[40:41], 0, -1, vcc
	v_cmp_ne_u32_e32 vcc, 0, v5
	v_xor_b32_e32 v5, vcc_hi, v167
	v_and_b32_e32 v167, exec_hi, v5
	v_lshlrev_b32_e32 v5, 30, v56
	v_xor_b32_e32 v57, vcc_lo, v57
	v_cmp_gt_i64_e32 vcc, 0, v[4:5]
	v_not_b32_e32 v5, v5
	v_ashrrev_i32_e32 v5, 31, v5
	v_and_b32_e32 v57, exec_lo, v57
	v_xor_b32_e32 v168, vcc_hi, v5
	v_xor_b32_e32 v5, vcc_lo, v5
	v_and_b32_e32 v57, v57, v5
	v_lshlrev_b32_e32 v5, 29, v56
	v_cmp_gt_i64_e32 vcc, 0, v[4:5]
	v_not_b32_e32 v5, v5
	v_ashrrev_i32_e32 v5, 31, v5
	v_and_b32_e32 v167, v167, v168
	v_xor_b32_e32 v168, vcc_hi, v5
	v_xor_b32_e32 v5, vcc_lo, v5
	v_and_b32_e32 v57, v57, v5
	v_lshlrev_b32_e32 v5, 28, v56
	v_cmp_gt_i64_e32 vcc, 0, v[4:5]
	v_not_b32_e32 v5, v5
	v_ashrrev_i32_e32 v5, 31, v5
	v_and_b32_e32 v167, v167, v168
	v_xor_b32_e32 v168, vcc_hi, v5
	v_xor_b32_e32 v5, vcc_lo, v5
	v_and_b32_e32 v57, v57, v5
	v_lshlrev_b32_e32 v5, 27, v56
	v_cmp_gt_i64_e32 vcc, 0, v[4:5]
	v_not_b32_e32 v5, v5
	v_ashrrev_i32_e32 v5, 31, v5
	v_and_b32_e32 v167, v167, v168
	v_xor_b32_e32 v168, vcc_hi, v5
	v_xor_b32_e32 v5, vcc_lo, v5
	v_and_b32_e32 v57, v57, v5
	v_lshlrev_b32_e32 v5, 26, v56
	v_cmp_gt_i64_e32 vcc, 0, v[4:5]
	v_not_b32_e32 v5, v5
	v_ashrrev_i32_e32 v5, 31, v5
	v_and_b32_e32 v167, v167, v168
	v_xor_b32_e32 v168, vcc_hi, v5
	v_xor_b32_e32 v5, vcc_lo, v5
	v_and_b32_e32 v167, v167, v168
	v_and_b32_e32 v168, v57, v5
	v_lshlrev_b32_e32 v5, 25, v56
	v_cmp_gt_i64_e32 vcc, 0, v[4:5]
	v_not_b32_e32 v5, v5
	v_ashrrev_i32_e32 v5, 31, v5
	v_xor_b32_e32 v56, vcc_hi, v5
	v_xor_b32_e32 v5, vcc_lo, v5
	v_and_b32_e32 v57, v167, v56
	v_and_b32_e32 v56, v168, v5
	v_mbcnt_lo_u32_b32 v5, v56, 0
	v_mbcnt_hi_u32_b32 v167, v57, v5
	v_cmp_eq_u32_e32 vcc, 0, v167
	v_cmp_ne_u64_e64 s[40:41], 0, v[56:57]
	s_and_b64 s[42:43], s[40:41], vcc
	; wave barrier
	s_and_saveexec_b64 s[40:41], s[42:43]
	s_cbranch_execz .LBB942_152
; %bb.151:                              ;   in Loop: Header=BB942_110 Depth=2
	v_bcnt_u32_b32 v5, v56, 0
	v_bcnt_u32_b32 v5, v57, v5
	s_waitcnt lgkmcnt(0)
	v_add_u32_e32 v5, v162, v5
	ds_write_b32 v163, v5
.LBB942_152:                            ;   in Loop: Header=BB942_110 Depth=2
	s_or_b64 exec, exec, s[40:41]
	s_waitcnt vmcnt(13)
	v_xor_b32_e32 v165, 0x7fff, v165
	v_lshrrev_b32_sdwa v5, s99, v165 dst_sel:DWORD dst_unused:UNUSED_PAD src0_sel:DWORD src1_sel:WORD_0
	v_and_b32_e32 v56, s6, v5
	v_mul_u32_u24_e32 v5, 5, v56
	v_add_lshl_u32 v5, v5, v153, 2
	; wave barrier
	v_add_u32_e32 v170, 0x210, v5
	ds_read_b32 v168, v5 offset:528
	v_and_b32_e32 v5, 1, v56
	v_add_co_u32_e32 v57, vcc, -1, v5
	v_addc_co_u32_e64 v172, s[40:41], 0, -1, vcc
	v_cmp_ne_u32_e32 vcc, 0, v5
	v_xor_b32_e32 v5, vcc_hi, v172
	v_and_b32_e32 v172, exec_hi, v5
	v_lshlrev_b32_e32 v5, 30, v56
	v_xor_b32_e32 v57, vcc_lo, v57
	v_cmp_gt_i64_e32 vcc, 0, v[4:5]
	v_not_b32_e32 v5, v5
	v_ashrrev_i32_e32 v5, 31, v5
	v_and_b32_e32 v57, exec_lo, v57
	v_xor_b32_e32 v173, vcc_hi, v5
	v_xor_b32_e32 v5, vcc_lo, v5
	v_and_b32_e32 v57, v57, v5
	v_lshlrev_b32_e32 v5, 29, v56
	v_cmp_gt_i64_e32 vcc, 0, v[4:5]
	v_not_b32_e32 v5, v5
	v_ashrrev_i32_e32 v5, 31, v5
	v_and_b32_e32 v172, v172, v173
	v_xor_b32_e32 v173, vcc_hi, v5
	v_xor_b32_e32 v5, vcc_lo, v5
	v_and_b32_e32 v57, v57, v5
	v_lshlrev_b32_e32 v5, 28, v56
	v_cmp_gt_i64_e32 vcc, 0, v[4:5]
	v_not_b32_e32 v5, v5
	v_ashrrev_i32_e32 v5, 31, v5
	v_and_b32_e32 v172, v172, v173
	v_xor_b32_e32 v173, vcc_hi, v5
	v_xor_b32_e32 v5, vcc_lo, v5
	v_and_b32_e32 v57, v57, v5
	v_lshlrev_b32_e32 v5, 27, v56
	v_cmp_gt_i64_e32 vcc, 0, v[4:5]
	v_not_b32_e32 v5, v5
	v_ashrrev_i32_e32 v5, 31, v5
	v_and_b32_e32 v172, v172, v173
	v_xor_b32_e32 v173, vcc_hi, v5
	v_xor_b32_e32 v5, vcc_lo, v5
	v_and_b32_e32 v57, v57, v5
	v_lshlrev_b32_e32 v5, 26, v56
	v_cmp_gt_i64_e32 vcc, 0, v[4:5]
	v_not_b32_e32 v5, v5
	v_ashrrev_i32_e32 v5, 31, v5
	v_and_b32_e32 v172, v172, v173
	v_xor_b32_e32 v173, vcc_hi, v5
	v_xor_b32_e32 v5, vcc_lo, v5
	v_and_b32_e32 v172, v172, v173
	v_and_b32_e32 v173, v57, v5
	v_lshlrev_b32_e32 v5, 25, v56
	v_cmp_gt_i64_e32 vcc, 0, v[4:5]
	v_not_b32_e32 v5, v5
	v_ashrrev_i32_e32 v5, 31, v5
	v_xor_b32_e32 v56, vcc_hi, v5
	v_xor_b32_e32 v5, vcc_lo, v5
	v_and_b32_e32 v57, v172, v56
	v_and_b32_e32 v56, v173, v5
	v_mbcnt_lo_u32_b32 v5, v56, 0
	v_mbcnt_hi_u32_b32 v172, v57, v5
	v_cmp_eq_u32_e32 vcc, 0, v172
	v_cmp_ne_u64_e64 s[40:41], 0, v[56:57]
	s_and_b64 s[42:43], s[40:41], vcc
	; wave barrier
	s_and_saveexec_b64 s[40:41], s[42:43]
	s_cbranch_execz .LBB942_154
; %bb.153:                              ;   in Loop: Header=BB942_110 Depth=2
	v_bcnt_u32_b32 v5, v56, 0
	v_bcnt_u32_b32 v5, v57, v5
	s_waitcnt lgkmcnt(0)
	v_add_u32_e32 v5, v168, v5
	ds_write_b32 v170, v5
.LBB942_154:                            ;   in Loop: Header=BB942_110 Depth=2
	s_or_b64 exec, exec, s[40:41]
	s_waitcnt vmcnt(12)
	v_xor_b32_e32 v171, 0x7fff, v171
	v_lshrrev_b32_sdwa v5, s99, v171 dst_sel:DWORD dst_unused:UNUSED_PAD src0_sel:DWORD src1_sel:WORD_0
	v_and_b32_e32 v56, s6, v5
	v_mul_u32_u24_e32 v5, 5, v56
	v_add_lshl_u32 v5, v5, v153, 2
	; wave barrier
	v_add_u32_e32 v175, 0x210, v5
	ds_read_b32 v173, v5 offset:528
	v_and_b32_e32 v5, 1, v56
	v_add_co_u32_e32 v57, vcc, -1, v5
	v_addc_co_u32_e64 v177, s[40:41], 0, -1, vcc
	v_cmp_ne_u32_e32 vcc, 0, v5
	v_xor_b32_e32 v5, vcc_hi, v177
	v_and_b32_e32 v177, exec_hi, v5
	v_lshlrev_b32_e32 v5, 30, v56
	v_xor_b32_e32 v57, vcc_lo, v57
	v_cmp_gt_i64_e32 vcc, 0, v[4:5]
	v_not_b32_e32 v5, v5
	v_ashrrev_i32_e32 v5, 31, v5
	v_and_b32_e32 v57, exec_lo, v57
	v_xor_b32_e32 v178, vcc_hi, v5
	v_xor_b32_e32 v5, vcc_lo, v5
	v_and_b32_e32 v57, v57, v5
	v_lshlrev_b32_e32 v5, 29, v56
	v_cmp_gt_i64_e32 vcc, 0, v[4:5]
	v_not_b32_e32 v5, v5
	v_ashrrev_i32_e32 v5, 31, v5
	v_and_b32_e32 v177, v177, v178
	v_xor_b32_e32 v178, vcc_hi, v5
	v_xor_b32_e32 v5, vcc_lo, v5
	v_and_b32_e32 v57, v57, v5
	v_lshlrev_b32_e32 v5, 28, v56
	v_cmp_gt_i64_e32 vcc, 0, v[4:5]
	v_not_b32_e32 v5, v5
	v_ashrrev_i32_e32 v5, 31, v5
	v_and_b32_e32 v177, v177, v178
	;; [unrolled: 8-line block ×4, first 2 shown]
	v_xor_b32_e32 v178, vcc_hi, v5
	v_xor_b32_e32 v5, vcc_lo, v5
	v_and_b32_e32 v177, v177, v178
	v_and_b32_e32 v178, v57, v5
	v_lshlrev_b32_e32 v5, 25, v56
	v_cmp_gt_i64_e32 vcc, 0, v[4:5]
	v_not_b32_e32 v5, v5
	v_ashrrev_i32_e32 v5, 31, v5
	v_xor_b32_e32 v56, vcc_hi, v5
	v_xor_b32_e32 v5, vcc_lo, v5
	v_and_b32_e32 v57, v177, v56
	v_and_b32_e32 v56, v178, v5
	v_mbcnt_lo_u32_b32 v5, v56, 0
	v_mbcnt_hi_u32_b32 v177, v57, v5
	v_cmp_eq_u32_e32 vcc, 0, v177
	v_cmp_ne_u64_e64 s[40:41], 0, v[56:57]
	s_and_b64 s[42:43], s[40:41], vcc
	; wave barrier
	s_and_saveexec_b64 s[40:41], s[42:43]
	s_cbranch_execz .LBB942_156
; %bb.155:                              ;   in Loop: Header=BB942_110 Depth=2
	v_bcnt_u32_b32 v5, v56, 0
	v_bcnt_u32_b32 v5, v57, v5
	s_waitcnt lgkmcnt(0)
	v_add_u32_e32 v5, v173, v5
	ds_write_b32 v175, v5
.LBB942_156:                            ;   in Loop: Header=BB942_110 Depth=2
	s_or_b64 exec, exec, s[40:41]
	s_waitcnt vmcnt(11)
	v_xor_b32_e32 v176, 0x7fff, v176
	v_lshrrev_b32_sdwa v5, s99, v176 dst_sel:DWORD dst_unused:UNUSED_PAD src0_sel:DWORD src1_sel:WORD_0
	v_and_b32_e32 v56, s6, v5
	v_mul_u32_u24_e32 v5, 5, v56
	v_add_lshl_u32 v5, v5, v153, 2
	; wave barrier
	v_add_u32_e32 v180, 0x210, v5
	ds_read_b32 v178, v5 offset:528
	v_and_b32_e32 v5, 1, v56
	v_add_co_u32_e32 v57, vcc, -1, v5
	v_addc_co_u32_e64 v182, s[40:41], 0, -1, vcc
	v_cmp_ne_u32_e32 vcc, 0, v5
	v_xor_b32_e32 v5, vcc_hi, v182
	v_and_b32_e32 v182, exec_hi, v5
	v_lshlrev_b32_e32 v5, 30, v56
	v_xor_b32_e32 v57, vcc_lo, v57
	v_cmp_gt_i64_e32 vcc, 0, v[4:5]
	v_not_b32_e32 v5, v5
	v_ashrrev_i32_e32 v5, 31, v5
	v_and_b32_e32 v57, exec_lo, v57
	v_xor_b32_e32 v183, vcc_hi, v5
	v_xor_b32_e32 v5, vcc_lo, v5
	v_and_b32_e32 v57, v57, v5
	v_lshlrev_b32_e32 v5, 29, v56
	v_cmp_gt_i64_e32 vcc, 0, v[4:5]
	v_not_b32_e32 v5, v5
	v_ashrrev_i32_e32 v5, 31, v5
	v_and_b32_e32 v182, v182, v183
	v_xor_b32_e32 v183, vcc_hi, v5
	v_xor_b32_e32 v5, vcc_lo, v5
	v_and_b32_e32 v57, v57, v5
	v_lshlrev_b32_e32 v5, 28, v56
	v_cmp_gt_i64_e32 vcc, 0, v[4:5]
	v_not_b32_e32 v5, v5
	v_ashrrev_i32_e32 v5, 31, v5
	v_and_b32_e32 v182, v182, v183
	;; [unrolled: 8-line block ×4, first 2 shown]
	v_xor_b32_e32 v183, vcc_hi, v5
	v_xor_b32_e32 v5, vcc_lo, v5
	v_and_b32_e32 v182, v182, v183
	v_and_b32_e32 v183, v57, v5
	v_lshlrev_b32_e32 v5, 25, v56
	v_cmp_gt_i64_e32 vcc, 0, v[4:5]
	v_not_b32_e32 v5, v5
	v_ashrrev_i32_e32 v5, 31, v5
	v_xor_b32_e32 v56, vcc_hi, v5
	v_xor_b32_e32 v5, vcc_lo, v5
	v_and_b32_e32 v57, v182, v56
	v_and_b32_e32 v56, v183, v5
	v_mbcnt_lo_u32_b32 v5, v56, 0
	v_mbcnt_hi_u32_b32 v182, v57, v5
	v_cmp_eq_u32_e32 vcc, 0, v182
	v_cmp_ne_u64_e64 s[40:41], 0, v[56:57]
	s_and_b64 s[42:43], s[40:41], vcc
	; wave barrier
	s_and_saveexec_b64 s[40:41], s[42:43]
	s_cbranch_execz .LBB942_158
; %bb.157:                              ;   in Loop: Header=BB942_110 Depth=2
	v_bcnt_u32_b32 v5, v56, 0
	v_bcnt_u32_b32 v5, v57, v5
	s_waitcnt lgkmcnt(0)
	v_add_u32_e32 v5, v178, v5
	ds_write_b32 v180, v5
.LBB942_158:                            ;   in Loop: Header=BB942_110 Depth=2
	s_or_b64 exec, exec, s[40:41]
	s_waitcnt vmcnt(10)
	v_xor_b32_e32 v181, 0x7fff, v181
	v_lshrrev_b32_sdwa v5, s99, v181 dst_sel:DWORD dst_unused:UNUSED_PAD src0_sel:DWORD src1_sel:WORD_0
	v_and_b32_e32 v56, s6, v5
	v_mul_u32_u24_e32 v5, 5, v56
	v_add_lshl_u32 v5, v5, v153, 2
	; wave barrier
	v_add_u32_e32 v185, 0x210, v5
	ds_read_b32 v183, v5 offset:528
	v_and_b32_e32 v5, 1, v56
	v_add_co_u32_e32 v57, vcc, -1, v5
	v_addc_co_u32_e64 v187, s[40:41], 0, -1, vcc
	v_cmp_ne_u32_e32 vcc, 0, v5
	v_xor_b32_e32 v5, vcc_hi, v187
	v_and_b32_e32 v187, exec_hi, v5
	v_lshlrev_b32_e32 v5, 30, v56
	v_xor_b32_e32 v57, vcc_lo, v57
	v_cmp_gt_i64_e32 vcc, 0, v[4:5]
	v_not_b32_e32 v5, v5
	v_ashrrev_i32_e32 v5, 31, v5
	v_and_b32_e32 v57, exec_lo, v57
	v_xor_b32_e32 v189, vcc_hi, v5
	v_xor_b32_e32 v5, vcc_lo, v5
	v_and_b32_e32 v57, v57, v5
	v_lshlrev_b32_e32 v5, 29, v56
	v_cmp_gt_i64_e32 vcc, 0, v[4:5]
	v_not_b32_e32 v5, v5
	v_ashrrev_i32_e32 v5, 31, v5
	v_and_b32_e32 v187, v187, v189
	v_xor_b32_e32 v189, vcc_hi, v5
	v_xor_b32_e32 v5, vcc_lo, v5
	v_and_b32_e32 v57, v57, v5
	v_lshlrev_b32_e32 v5, 28, v56
	v_cmp_gt_i64_e32 vcc, 0, v[4:5]
	v_not_b32_e32 v5, v5
	v_ashrrev_i32_e32 v5, 31, v5
	v_and_b32_e32 v187, v187, v189
	;; [unrolled: 8-line block ×4, first 2 shown]
	v_xor_b32_e32 v189, vcc_hi, v5
	v_xor_b32_e32 v5, vcc_lo, v5
	v_and_b32_e32 v187, v187, v189
	v_and_b32_e32 v189, v57, v5
	v_lshlrev_b32_e32 v5, 25, v56
	v_cmp_gt_i64_e32 vcc, 0, v[4:5]
	v_not_b32_e32 v5, v5
	v_ashrrev_i32_e32 v5, 31, v5
	v_xor_b32_e32 v56, vcc_hi, v5
	v_xor_b32_e32 v5, vcc_lo, v5
	v_and_b32_e32 v57, v187, v56
	v_and_b32_e32 v56, v189, v5
	v_mbcnt_lo_u32_b32 v5, v56, 0
	v_mbcnt_hi_u32_b32 v187, v57, v5
	v_cmp_eq_u32_e32 vcc, 0, v187
	v_cmp_ne_u64_e64 s[40:41], 0, v[56:57]
	s_and_b64 s[42:43], s[40:41], vcc
	; wave barrier
	s_and_saveexec_b64 s[40:41], s[42:43]
	s_cbranch_execz .LBB942_160
; %bb.159:                              ;   in Loop: Header=BB942_110 Depth=2
	v_bcnt_u32_b32 v5, v56, 0
	v_bcnt_u32_b32 v5, v57, v5
	s_waitcnt lgkmcnt(0)
	v_add_u32_e32 v5, v183, v5
	ds_write_b32 v185, v5
.LBB942_160:                            ;   in Loop: Header=BB942_110 Depth=2
	s_or_b64 exec, exec, s[40:41]
	s_waitcnt vmcnt(9)
	v_xor_b32_e32 v186, 0x7fff, v186
	v_lshrrev_b32_sdwa v5, s99, v186 dst_sel:DWORD dst_unused:UNUSED_PAD src0_sel:DWORD src1_sel:WORD_0
	v_and_b32_e32 v56, s6, v5
	v_mul_u32_u24_e32 v5, 5, v56
	v_add_lshl_u32 v5, v5, v153, 2
	; wave barrier
	v_add_u32_e32 v190, 0x210, v5
	ds_read_b32 v189, v5 offset:528
	v_and_b32_e32 v5, 1, v56
	v_add_co_u32_e32 v57, vcc, -1, v5
	v_addc_co_u32_e64 v192, s[40:41], 0, -1, vcc
	v_cmp_ne_u32_e32 vcc, 0, v5
	v_xor_b32_e32 v5, vcc_hi, v192
	v_and_b32_e32 v192, exec_hi, v5
	v_lshlrev_b32_e32 v5, 30, v56
	v_xor_b32_e32 v57, vcc_lo, v57
	v_cmp_gt_i64_e32 vcc, 0, v[4:5]
	v_not_b32_e32 v5, v5
	v_ashrrev_i32_e32 v5, 31, v5
	v_and_b32_e32 v57, exec_lo, v57
	v_xor_b32_e32 v194, vcc_hi, v5
	v_xor_b32_e32 v5, vcc_lo, v5
	v_and_b32_e32 v57, v57, v5
	v_lshlrev_b32_e32 v5, 29, v56
	v_cmp_gt_i64_e32 vcc, 0, v[4:5]
	v_not_b32_e32 v5, v5
	v_ashrrev_i32_e32 v5, 31, v5
	v_and_b32_e32 v192, v192, v194
	v_xor_b32_e32 v194, vcc_hi, v5
	v_xor_b32_e32 v5, vcc_lo, v5
	v_and_b32_e32 v57, v57, v5
	v_lshlrev_b32_e32 v5, 28, v56
	v_cmp_gt_i64_e32 vcc, 0, v[4:5]
	v_not_b32_e32 v5, v5
	v_ashrrev_i32_e32 v5, 31, v5
	v_and_b32_e32 v192, v192, v194
	;; [unrolled: 8-line block ×4, first 2 shown]
	v_xor_b32_e32 v194, vcc_hi, v5
	v_xor_b32_e32 v5, vcc_lo, v5
	v_and_b32_e32 v192, v192, v194
	v_and_b32_e32 v194, v57, v5
	v_lshlrev_b32_e32 v5, 25, v56
	v_cmp_gt_i64_e32 vcc, 0, v[4:5]
	v_not_b32_e32 v5, v5
	v_ashrrev_i32_e32 v5, 31, v5
	v_xor_b32_e32 v56, vcc_hi, v5
	v_xor_b32_e32 v5, vcc_lo, v5
	v_and_b32_e32 v57, v192, v56
	v_and_b32_e32 v56, v194, v5
	v_mbcnt_lo_u32_b32 v5, v56, 0
	v_mbcnt_hi_u32_b32 v192, v57, v5
	v_cmp_eq_u32_e32 vcc, 0, v192
	v_cmp_ne_u64_e64 s[40:41], 0, v[56:57]
	s_and_b64 s[42:43], s[40:41], vcc
	; wave barrier
	s_and_saveexec_b64 s[40:41], s[42:43]
	s_cbranch_execz .LBB942_162
; %bb.161:                              ;   in Loop: Header=BB942_110 Depth=2
	v_bcnt_u32_b32 v5, v56, 0
	v_bcnt_u32_b32 v5, v57, v5
	s_waitcnt lgkmcnt(0)
	v_add_u32_e32 v5, v189, v5
	ds_write_b32 v190, v5
.LBB942_162:                            ;   in Loop: Header=BB942_110 Depth=2
	s_or_b64 exec, exec, s[40:41]
	s_waitcnt vmcnt(8)
	v_xor_b32_e32 v191, 0x7fff, v191
	v_lshrrev_b32_sdwa v5, s99, v191 dst_sel:DWORD dst_unused:UNUSED_PAD src0_sel:DWORD src1_sel:WORD_0
	v_and_b32_e32 v56, s6, v5
	v_mul_u32_u24_e32 v5, 5, v56
	v_add_lshl_u32 v5, v5, v153, 2
	; wave barrier
	v_add_u32_e32 v195, 0x210, v5
	ds_read_b32 v194, v5 offset:528
	v_and_b32_e32 v5, 1, v56
	v_add_co_u32_e32 v57, vcc, -1, v5
	v_addc_co_u32_e64 v196, s[40:41], 0, -1, vcc
	v_cmp_ne_u32_e32 vcc, 0, v5
	v_xor_b32_e32 v5, vcc_hi, v196
	v_and_b32_e32 v196, exec_hi, v5
	v_lshlrev_b32_e32 v5, 30, v56
	v_xor_b32_e32 v57, vcc_lo, v57
	v_cmp_gt_i64_e32 vcc, 0, v[4:5]
	v_not_b32_e32 v5, v5
	v_ashrrev_i32_e32 v5, 31, v5
	v_and_b32_e32 v57, exec_lo, v57
	v_xor_b32_e32 v197, vcc_hi, v5
	v_xor_b32_e32 v5, vcc_lo, v5
	v_and_b32_e32 v57, v57, v5
	v_lshlrev_b32_e32 v5, 29, v56
	v_cmp_gt_i64_e32 vcc, 0, v[4:5]
	v_not_b32_e32 v5, v5
	v_ashrrev_i32_e32 v5, 31, v5
	v_and_b32_e32 v196, v196, v197
	v_xor_b32_e32 v197, vcc_hi, v5
	v_xor_b32_e32 v5, vcc_lo, v5
	v_and_b32_e32 v57, v57, v5
	v_lshlrev_b32_e32 v5, 28, v56
	v_cmp_gt_i64_e32 vcc, 0, v[4:5]
	v_not_b32_e32 v5, v5
	v_ashrrev_i32_e32 v5, 31, v5
	v_and_b32_e32 v196, v196, v197
	v_xor_b32_e32 v197, vcc_hi, v5
	v_xor_b32_e32 v5, vcc_lo, v5
	v_and_b32_e32 v57, v57, v5
	v_lshlrev_b32_e32 v5, 27, v56
	v_cmp_gt_i64_e32 vcc, 0, v[4:5]
	v_not_b32_e32 v5, v5
	v_ashrrev_i32_e32 v5, 31, v5
	v_and_b32_e32 v196, v196, v197
	v_xor_b32_e32 v197, vcc_hi, v5
	v_xor_b32_e32 v5, vcc_lo, v5
	v_and_b32_e32 v57, v57, v5
	v_lshlrev_b32_e32 v5, 26, v56
	v_cmp_gt_i64_e32 vcc, 0, v[4:5]
	v_not_b32_e32 v5, v5
	v_ashrrev_i32_e32 v5, 31, v5
	v_and_b32_e32 v196, v196, v197
	v_xor_b32_e32 v197, vcc_hi, v5
	v_xor_b32_e32 v5, vcc_lo, v5
	v_and_b32_e32 v196, v196, v197
	v_and_b32_e32 v197, v57, v5
	v_lshlrev_b32_e32 v5, 25, v56
	v_cmp_gt_i64_e32 vcc, 0, v[4:5]
	v_not_b32_e32 v5, v5
	v_ashrrev_i32_e32 v5, 31, v5
	v_xor_b32_e32 v56, vcc_hi, v5
	v_xor_b32_e32 v5, vcc_lo, v5
	v_and_b32_e32 v57, v196, v56
	v_and_b32_e32 v56, v197, v5
	v_mbcnt_lo_u32_b32 v5, v56, 0
	v_mbcnt_hi_u32_b32 v196, v57, v5
	v_cmp_eq_u32_e32 vcc, 0, v196
	v_cmp_ne_u64_e64 s[40:41], 0, v[56:57]
	s_and_b64 s[42:43], s[40:41], vcc
	; wave barrier
	s_and_saveexec_b64 s[40:41], s[42:43]
	s_cbranch_execz .LBB942_164
; %bb.163:                              ;   in Loop: Header=BB942_110 Depth=2
	v_bcnt_u32_b32 v5, v56, 0
	v_bcnt_u32_b32 v5, v57, v5
	s_waitcnt lgkmcnt(0)
	v_add_u32_e32 v5, v194, v5
	ds_write_b32 v195, v5
.LBB942_164:                            ;   in Loop: Header=BB942_110 Depth=2
	s_or_b64 exec, exec, s[40:41]
	s_waitcnt vmcnt(7)
	v_xor_b32_e32 v193, 0x7fff, v193
	v_lshrrev_b32_sdwa v5, s99, v193 dst_sel:DWORD dst_unused:UNUSED_PAD src0_sel:DWORD src1_sel:WORD_0
	v_and_b32_e32 v56, s6, v5
	v_mul_u32_u24_e32 v5, 5, v56
	v_add_lshl_u32 v5, v5, v153, 2
	; wave barrier
	v_add_u32_e32 v198, 0x210, v5
	ds_read_b32 v197, v5 offset:528
	v_and_b32_e32 v5, 1, v56
	v_add_co_u32_e32 v57, vcc, -1, v5
	v_addc_co_u32_e64 v199, s[40:41], 0, -1, vcc
	v_cmp_ne_u32_e32 vcc, 0, v5
	v_xor_b32_e32 v5, vcc_hi, v199
	v_and_b32_e32 v199, exec_hi, v5
	v_lshlrev_b32_e32 v5, 30, v56
	v_xor_b32_e32 v57, vcc_lo, v57
	v_cmp_gt_i64_e32 vcc, 0, v[4:5]
	v_not_b32_e32 v5, v5
	v_ashrrev_i32_e32 v5, 31, v5
	v_and_b32_e32 v57, exec_lo, v57
	v_xor_b32_e32 v200, vcc_hi, v5
	v_xor_b32_e32 v5, vcc_lo, v5
	v_and_b32_e32 v57, v57, v5
	v_lshlrev_b32_e32 v5, 29, v56
	v_cmp_gt_i64_e32 vcc, 0, v[4:5]
	v_not_b32_e32 v5, v5
	v_ashrrev_i32_e32 v5, 31, v5
	v_and_b32_e32 v199, v199, v200
	v_xor_b32_e32 v200, vcc_hi, v5
	v_xor_b32_e32 v5, vcc_lo, v5
	v_and_b32_e32 v57, v57, v5
	v_lshlrev_b32_e32 v5, 28, v56
	v_cmp_gt_i64_e32 vcc, 0, v[4:5]
	v_not_b32_e32 v5, v5
	v_ashrrev_i32_e32 v5, 31, v5
	v_and_b32_e32 v199, v199, v200
	;; [unrolled: 8-line block ×4, first 2 shown]
	v_xor_b32_e32 v200, vcc_hi, v5
	v_xor_b32_e32 v5, vcc_lo, v5
	v_and_b32_e32 v199, v199, v200
	v_and_b32_e32 v200, v57, v5
	v_lshlrev_b32_e32 v5, 25, v56
	v_cmp_gt_i64_e32 vcc, 0, v[4:5]
	v_not_b32_e32 v5, v5
	v_ashrrev_i32_e32 v5, 31, v5
	v_xor_b32_e32 v56, vcc_hi, v5
	v_xor_b32_e32 v5, vcc_lo, v5
	v_and_b32_e32 v57, v199, v56
	v_and_b32_e32 v56, v200, v5
	v_mbcnt_lo_u32_b32 v5, v56, 0
	v_mbcnt_hi_u32_b32 v199, v57, v5
	v_cmp_eq_u32_e32 vcc, 0, v199
	v_cmp_ne_u64_e64 s[40:41], 0, v[56:57]
	s_and_b64 s[42:43], s[40:41], vcc
	; wave barrier
	s_and_saveexec_b64 s[40:41], s[42:43]
	s_cbranch_execz .LBB942_166
; %bb.165:                              ;   in Loop: Header=BB942_110 Depth=2
	v_bcnt_u32_b32 v5, v56, 0
	v_bcnt_u32_b32 v5, v57, v5
	s_waitcnt lgkmcnt(0)
	v_add_u32_e32 v5, v197, v5
	ds_write_b32 v198, v5
.LBB942_166:                            ;   in Loop: Header=BB942_110 Depth=2
	s_or_b64 exec, exec, s[40:41]
	s_waitcnt vmcnt(6)
	v_xor_b32_e32 v188, 0x7fff, v188
	v_lshrrev_b32_sdwa v5, s99, v188 dst_sel:DWORD dst_unused:UNUSED_PAD src0_sel:DWORD src1_sel:WORD_0
	v_and_b32_e32 v56, s6, v5
	v_mul_u32_u24_e32 v5, 5, v56
	v_add_lshl_u32 v5, v5, v153, 2
	; wave barrier
	v_add_u32_e32 v201, 0x210, v5
	ds_read_b32 v200, v5 offset:528
	v_and_b32_e32 v5, 1, v56
	v_add_co_u32_e32 v57, vcc, -1, v5
	v_addc_co_u32_e64 v202, s[40:41], 0, -1, vcc
	v_cmp_ne_u32_e32 vcc, 0, v5
	v_xor_b32_e32 v5, vcc_hi, v202
	v_and_b32_e32 v202, exec_hi, v5
	v_lshlrev_b32_e32 v5, 30, v56
	v_xor_b32_e32 v57, vcc_lo, v57
	v_cmp_gt_i64_e32 vcc, 0, v[4:5]
	v_not_b32_e32 v5, v5
	v_ashrrev_i32_e32 v5, 31, v5
	v_and_b32_e32 v57, exec_lo, v57
	v_xor_b32_e32 v203, vcc_hi, v5
	v_xor_b32_e32 v5, vcc_lo, v5
	v_and_b32_e32 v57, v57, v5
	v_lshlrev_b32_e32 v5, 29, v56
	v_cmp_gt_i64_e32 vcc, 0, v[4:5]
	v_not_b32_e32 v5, v5
	v_ashrrev_i32_e32 v5, 31, v5
	v_and_b32_e32 v202, v202, v203
	v_xor_b32_e32 v203, vcc_hi, v5
	v_xor_b32_e32 v5, vcc_lo, v5
	v_and_b32_e32 v57, v57, v5
	v_lshlrev_b32_e32 v5, 28, v56
	v_cmp_gt_i64_e32 vcc, 0, v[4:5]
	v_not_b32_e32 v5, v5
	v_ashrrev_i32_e32 v5, 31, v5
	v_and_b32_e32 v202, v202, v203
	;; [unrolled: 8-line block ×4, first 2 shown]
	v_xor_b32_e32 v203, vcc_hi, v5
	v_xor_b32_e32 v5, vcc_lo, v5
	v_and_b32_e32 v202, v202, v203
	v_and_b32_e32 v203, v57, v5
	v_lshlrev_b32_e32 v5, 25, v56
	v_cmp_gt_i64_e32 vcc, 0, v[4:5]
	v_not_b32_e32 v5, v5
	v_ashrrev_i32_e32 v5, 31, v5
	v_xor_b32_e32 v56, vcc_hi, v5
	v_xor_b32_e32 v5, vcc_lo, v5
	v_and_b32_e32 v57, v202, v56
	v_and_b32_e32 v56, v203, v5
	v_mbcnt_lo_u32_b32 v5, v56, 0
	v_mbcnt_hi_u32_b32 v202, v57, v5
	v_cmp_eq_u32_e32 vcc, 0, v202
	v_cmp_ne_u64_e64 s[40:41], 0, v[56:57]
	s_and_b64 s[42:43], s[40:41], vcc
	; wave barrier
	s_and_saveexec_b64 s[40:41], s[42:43]
	s_cbranch_execz .LBB942_168
; %bb.167:                              ;   in Loop: Header=BB942_110 Depth=2
	v_bcnt_u32_b32 v5, v56, 0
	v_bcnt_u32_b32 v5, v57, v5
	s_waitcnt lgkmcnt(0)
	v_add_u32_e32 v5, v200, v5
	ds_write_b32 v201, v5
.LBB942_168:                            ;   in Loop: Header=BB942_110 Depth=2
	s_or_b64 exec, exec, s[40:41]
	s_waitcnt vmcnt(5)
	v_xor_b32_e32 v184, 0x7fff, v184
	v_lshrrev_b32_sdwa v5, s99, v184 dst_sel:DWORD dst_unused:UNUSED_PAD src0_sel:DWORD src1_sel:WORD_0
	v_and_b32_e32 v56, s6, v5
	v_mul_u32_u24_e32 v5, 5, v56
	v_add_lshl_u32 v5, v5, v153, 2
	; wave barrier
	v_add_u32_e32 v205, 0x210, v5
	ds_read_b32 v203, v5 offset:528
	v_and_b32_e32 v5, 1, v56
	v_add_co_u32_e32 v57, vcc, -1, v5
	v_addc_co_u32_e64 v204, s[40:41], 0, -1, vcc
	v_cmp_ne_u32_e32 vcc, 0, v5
	v_xor_b32_e32 v5, vcc_hi, v204
	v_and_b32_e32 v204, exec_hi, v5
	v_lshlrev_b32_e32 v5, 30, v56
	v_xor_b32_e32 v57, vcc_lo, v57
	v_cmp_gt_i64_e32 vcc, 0, v[4:5]
	v_not_b32_e32 v5, v5
	v_ashrrev_i32_e32 v5, 31, v5
	v_and_b32_e32 v57, exec_lo, v57
	v_xor_b32_e32 v206, vcc_hi, v5
	v_xor_b32_e32 v5, vcc_lo, v5
	v_and_b32_e32 v57, v57, v5
	v_lshlrev_b32_e32 v5, 29, v56
	v_cmp_gt_i64_e32 vcc, 0, v[4:5]
	v_not_b32_e32 v5, v5
	v_ashrrev_i32_e32 v5, 31, v5
	v_and_b32_e32 v204, v204, v206
	v_xor_b32_e32 v206, vcc_hi, v5
	v_xor_b32_e32 v5, vcc_lo, v5
	v_and_b32_e32 v57, v57, v5
	v_lshlrev_b32_e32 v5, 28, v56
	v_cmp_gt_i64_e32 vcc, 0, v[4:5]
	v_not_b32_e32 v5, v5
	v_ashrrev_i32_e32 v5, 31, v5
	v_and_b32_e32 v204, v204, v206
	;; [unrolled: 8-line block ×4, first 2 shown]
	v_xor_b32_e32 v206, vcc_hi, v5
	v_xor_b32_e32 v5, vcc_lo, v5
	v_and_b32_e32 v204, v204, v206
	v_and_b32_e32 v206, v57, v5
	v_lshlrev_b32_e32 v5, 25, v56
	v_cmp_gt_i64_e32 vcc, 0, v[4:5]
	v_not_b32_e32 v5, v5
	v_ashrrev_i32_e32 v5, 31, v5
	v_xor_b32_e32 v56, vcc_hi, v5
	v_xor_b32_e32 v5, vcc_lo, v5
	v_and_b32_e32 v57, v204, v56
	v_and_b32_e32 v56, v206, v5
	v_mbcnt_lo_u32_b32 v5, v56, 0
	v_mbcnt_hi_u32_b32 v206, v57, v5
	v_cmp_eq_u32_e32 vcc, 0, v206
	v_cmp_ne_u64_e64 s[40:41], 0, v[56:57]
	s_and_b64 s[42:43], s[40:41], vcc
	; wave barrier
	s_and_saveexec_b64 s[40:41], s[42:43]
	s_cbranch_execz .LBB942_170
; %bb.169:                              ;   in Loop: Header=BB942_110 Depth=2
	v_bcnt_u32_b32 v5, v56, 0
	v_bcnt_u32_b32 v5, v57, v5
	s_waitcnt lgkmcnt(0)
	v_add_u32_e32 v5, v203, v5
	ds_write_b32 v205, v5
.LBB942_170:                            ;   in Loop: Header=BB942_110 Depth=2
	s_or_b64 exec, exec, s[40:41]
	s_waitcnt vmcnt(4)
	v_xor_b32_e32 v204, 0x7fff, v179
	v_lshrrev_b32_sdwa v5, s99, v204 dst_sel:DWORD dst_unused:UNUSED_PAD src0_sel:DWORD src1_sel:WORD_0
	v_and_b32_e32 v56, s6, v5
	v_mul_u32_u24_e32 v5, 5, v56
	v_add_lshl_u32 v5, v5, v153, 2
	; wave barrier
	v_add_u32_e32 v179, 0x210, v5
	ds_read_b32 v207, v5 offset:528
	v_and_b32_e32 v5, 1, v56
	v_add_co_u32_e32 v57, vcc, -1, v5
	v_addc_co_u32_e64 v208, s[40:41], 0, -1, vcc
	v_cmp_ne_u32_e32 vcc, 0, v5
	v_xor_b32_e32 v5, vcc_hi, v208
	v_and_b32_e32 v208, exec_hi, v5
	v_lshlrev_b32_e32 v5, 30, v56
	v_xor_b32_e32 v57, vcc_lo, v57
	v_cmp_gt_i64_e32 vcc, 0, v[4:5]
	v_not_b32_e32 v5, v5
	v_ashrrev_i32_e32 v5, 31, v5
	v_and_b32_e32 v57, exec_lo, v57
	v_xor_b32_e32 v209, vcc_hi, v5
	v_xor_b32_e32 v5, vcc_lo, v5
	v_and_b32_e32 v57, v57, v5
	v_lshlrev_b32_e32 v5, 29, v56
	v_cmp_gt_i64_e32 vcc, 0, v[4:5]
	v_not_b32_e32 v5, v5
	v_ashrrev_i32_e32 v5, 31, v5
	v_and_b32_e32 v208, v208, v209
	v_xor_b32_e32 v209, vcc_hi, v5
	v_xor_b32_e32 v5, vcc_lo, v5
	v_and_b32_e32 v57, v57, v5
	v_lshlrev_b32_e32 v5, 28, v56
	v_cmp_gt_i64_e32 vcc, 0, v[4:5]
	v_not_b32_e32 v5, v5
	v_ashrrev_i32_e32 v5, 31, v5
	v_and_b32_e32 v208, v208, v209
	;; [unrolled: 8-line block ×4, first 2 shown]
	v_xor_b32_e32 v209, vcc_hi, v5
	v_xor_b32_e32 v5, vcc_lo, v5
	v_and_b32_e32 v208, v208, v209
	v_and_b32_e32 v209, v57, v5
	v_lshlrev_b32_e32 v5, 25, v56
	v_cmp_gt_i64_e32 vcc, 0, v[4:5]
	v_not_b32_e32 v5, v5
	v_ashrrev_i32_e32 v5, 31, v5
	v_xor_b32_e32 v56, vcc_hi, v5
	v_xor_b32_e32 v5, vcc_lo, v5
	v_and_b32_e32 v57, v208, v56
	v_and_b32_e32 v56, v209, v5
	v_mbcnt_lo_u32_b32 v5, v56, 0
	v_mbcnt_hi_u32_b32 v209, v57, v5
	v_cmp_eq_u32_e32 vcc, 0, v209
	v_cmp_ne_u64_e64 s[40:41], 0, v[56:57]
	s_and_b64 s[42:43], s[40:41], vcc
	; wave barrier
	s_and_saveexec_b64 s[40:41], s[42:43]
	s_cbranch_execz .LBB942_172
; %bb.171:                              ;   in Loop: Header=BB942_110 Depth=2
	v_bcnt_u32_b32 v5, v56, 0
	v_bcnt_u32_b32 v5, v57, v5
	s_waitcnt lgkmcnt(0)
	v_add_u32_e32 v5, v207, v5
	ds_write_b32 v179, v5
.LBB942_172:                            ;   in Loop: Header=BB942_110 Depth=2
	s_or_b64 exec, exec, s[40:41]
	s_waitcnt vmcnt(3)
	v_xor_b32_e32 v208, 0x7fff, v174
	v_lshrrev_b32_sdwa v5, s99, v208 dst_sel:DWORD dst_unused:UNUSED_PAD src0_sel:DWORD src1_sel:WORD_0
	v_and_b32_e32 v56, s6, v5
	v_mul_u32_u24_e32 v5, 5, v56
	v_add_lshl_u32 v5, v5, v153, 2
	; wave barrier
	v_add_u32_e32 v174, 0x210, v5
	ds_read_b32 v210, v5 offset:528
	v_and_b32_e32 v5, 1, v56
	v_add_co_u32_e32 v57, vcc, -1, v5
	v_addc_co_u32_e64 v211, s[40:41], 0, -1, vcc
	v_cmp_ne_u32_e32 vcc, 0, v5
	v_xor_b32_e32 v5, vcc_hi, v211
	v_and_b32_e32 v211, exec_hi, v5
	v_lshlrev_b32_e32 v5, 30, v56
	v_xor_b32_e32 v57, vcc_lo, v57
	v_cmp_gt_i64_e32 vcc, 0, v[4:5]
	v_not_b32_e32 v5, v5
	v_ashrrev_i32_e32 v5, 31, v5
	v_and_b32_e32 v57, exec_lo, v57
	v_xor_b32_e32 v212, vcc_hi, v5
	v_xor_b32_e32 v5, vcc_lo, v5
	v_and_b32_e32 v57, v57, v5
	v_lshlrev_b32_e32 v5, 29, v56
	v_cmp_gt_i64_e32 vcc, 0, v[4:5]
	v_not_b32_e32 v5, v5
	v_ashrrev_i32_e32 v5, 31, v5
	v_and_b32_e32 v211, v211, v212
	v_xor_b32_e32 v212, vcc_hi, v5
	v_xor_b32_e32 v5, vcc_lo, v5
	v_and_b32_e32 v57, v57, v5
	v_lshlrev_b32_e32 v5, 28, v56
	v_cmp_gt_i64_e32 vcc, 0, v[4:5]
	v_not_b32_e32 v5, v5
	v_ashrrev_i32_e32 v5, 31, v5
	v_and_b32_e32 v211, v211, v212
	;; [unrolled: 8-line block ×4, first 2 shown]
	v_xor_b32_e32 v212, vcc_hi, v5
	v_xor_b32_e32 v5, vcc_lo, v5
	v_and_b32_e32 v211, v211, v212
	v_and_b32_e32 v212, v57, v5
	v_lshlrev_b32_e32 v5, 25, v56
	v_cmp_gt_i64_e32 vcc, 0, v[4:5]
	v_not_b32_e32 v5, v5
	v_ashrrev_i32_e32 v5, 31, v5
	v_xor_b32_e32 v56, vcc_hi, v5
	v_xor_b32_e32 v5, vcc_lo, v5
	v_and_b32_e32 v57, v211, v56
	v_and_b32_e32 v56, v212, v5
	v_mbcnt_lo_u32_b32 v5, v56, 0
	v_mbcnt_hi_u32_b32 v212, v57, v5
	v_cmp_eq_u32_e32 vcc, 0, v212
	v_cmp_ne_u64_e64 s[40:41], 0, v[56:57]
	s_and_b64 s[42:43], s[40:41], vcc
	; wave barrier
	s_and_saveexec_b64 s[40:41], s[42:43]
	s_cbranch_execz .LBB942_174
; %bb.173:                              ;   in Loop: Header=BB942_110 Depth=2
	v_bcnt_u32_b32 v5, v56, 0
	v_bcnt_u32_b32 v5, v57, v5
	s_waitcnt lgkmcnt(0)
	v_add_u32_e32 v5, v210, v5
	ds_write_b32 v174, v5
.LBB942_174:                            ;   in Loop: Header=BB942_110 Depth=2
	s_or_b64 exec, exec, s[40:41]
	s_waitcnt vmcnt(2)
	v_xor_b32_e32 v211, 0x7fff, v169
	v_lshrrev_b32_sdwa v5, s99, v211 dst_sel:DWORD dst_unused:UNUSED_PAD src0_sel:DWORD src1_sel:WORD_0
	v_and_b32_e32 v56, s6, v5
	v_mul_u32_u24_e32 v5, 5, v56
	v_add_lshl_u32 v5, v5, v153, 2
	; wave barrier
	v_add_u32_e32 v169, 0x210, v5
	ds_read_b32 v213, v5 offset:528
	v_and_b32_e32 v5, 1, v56
	v_add_co_u32_e32 v57, vcc, -1, v5
	v_addc_co_u32_e64 v214, s[40:41], 0, -1, vcc
	v_cmp_ne_u32_e32 vcc, 0, v5
	v_xor_b32_e32 v5, vcc_hi, v214
	v_and_b32_e32 v214, exec_hi, v5
	v_lshlrev_b32_e32 v5, 30, v56
	v_xor_b32_e32 v57, vcc_lo, v57
	v_cmp_gt_i64_e32 vcc, 0, v[4:5]
	v_not_b32_e32 v5, v5
	v_ashrrev_i32_e32 v5, 31, v5
	v_and_b32_e32 v57, exec_lo, v57
	v_xor_b32_e32 v215, vcc_hi, v5
	v_xor_b32_e32 v5, vcc_lo, v5
	v_and_b32_e32 v57, v57, v5
	v_lshlrev_b32_e32 v5, 29, v56
	v_cmp_gt_i64_e32 vcc, 0, v[4:5]
	v_not_b32_e32 v5, v5
	v_ashrrev_i32_e32 v5, 31, v5
	v_and_b32_e32 v214, v214, v215
	v_xor_b32_e32 v215, vcc_hi, v5
	v_xor_b32_e32 v5, vcc_lo, v5
	v_and_b32_e32 v57, v57, v5
	v_lshlrev_b32_e32 v5, 28, v56
	v_cmp_gt_i64_e32 vcc, 0, v[4:5]
	v_not_b32_e32 v5, v5
	v_ashrrev_i32_e32 v5, 31, v5
	v_and_b32_e32 v214, v214, v215
	;; [unrolled: 8-line block ×4, first 2 shown]
	v_xor_b32_e32 v215, vcc_hi, v5
	v_xor_b32_e32 v5, vcc_lo, v5
	v_and_b32_e32 v214, v214, v215
	v_and_b32_e32 v215, v57, v5
	v_lshlrev_b32_e32 v5, 25, v56
	v_cmp_gt_i64_e32 vcc, 0, v[4:5]
	v_not_b32_e32 v5, v5
	v_ashrrev_i32_e32 v5, 31, v5
	v_xor_b32_e32 v56, vcc_hi, v5
	v_xor_b32_e32 v5, vcc_lo, v5
	v_and_b32_e32 v57, v214, v56
	v_and_b32_e32 v56, v215, v5
	v_mbcnt_lo_u32_b32 v5, v56, 0
	v_mbcnt_hi_u32_b32 v215, v57, v5
	v_cmp_eq_u32_e32 vcc, 0, v215
	v_cmp_ne_u64_e64 s[40:41], 0, v[56:57]
	s_and_b64 s[42:43], s[40:41], vcc
	; wave barrier
	s_and_saveexec_b64 s[40:41], s[42:43]
	s_cbranch_execz .LBB942_176
; %bb.175:                              ;   in Loop: Header=BB942_110 Depth=2
	v_bcnt_u32_b32 v5, v56, 0
	v_bcnt_u32_b32 v5, v57, v5
	s_waitcnt lgkmcnt(0)
	v_add_u32_e32 v5, v213, v5
	ds_write_b32 v169, v5
.LBB942_176:                            ;   in Loop: Header=BB942_110 Depth=2
	s_or_b64 exec, exec, s[40:41]
	s_waitcnt vmcnt(0)
	v_xor_b32_e32 v214, 0x7fff, v164
	v_lshrrev_b32_sdwa v5, s99, v214 dst_sel:DWORD dst_unused:UNUSED_PAD src0_sel:DWORD src1_sel:WORD_0
	v_and_b32_e32 v56, s6, v5
	v_mul_u32_u24_e32 v5, 5, v56
	v_add_lshl_u32 v5, v5, v153, 2
	; wave barrier
	v_add_u32_e32 v164, 0x210, v5
	ds_read_b32 v216, v5 offset:528
	v_and_b32_e32 v5, 1, v56
	v_add_co_u32_e32 v57, vcc, -1, v5
	v_addc_co_u32_e64 v217, s[40:41], 0, -1, vcc
	v_cmp_ne_u32_e32 vcc, 0, v5
	v_xor_b32_e32 v5, vcc_hi, v217
	v_and_b32_e32 v217, exec_hi, v5
	v_lshlrev_b32_e32 v5, 30, v56
	v_xor_b32_e32 v57, vcc_lo, v57
	v_cmp_gt_i64_e32 vcc, 0, v[4:5]
	v_not_b32_e32 v5, v5
	v_ashrrev_i32_e32 v5, 31, v5
	v_and_b32_e32 v57, exec_lo, v57
	v_xor_b32_e32 v218, vcc_hi, v5
	v_xor_b32_e32 v5, vcc_lo, v5
	v_and_b32_e32 v57, v57, v5
	v_lshlrev_b32_e32 v5, 29, v56
	v_cmp_gt_i64_e32 vcc, 0, v[4:5]
	v_not_b32_e32 v5, v5
	v_ashrrev_i32_e32 v5, 31, v5
	v_and_b32_e32 v217, v217, v218
	v_xor_b32_e32 v218, vcc_hi, v5
	v_xor_b32_e32 v5, vcc_lo, v5
	v_and_b32_e32 v57, v57, v5
	v_lshlrev_b32_e32 v5, 28, v56
	v_cmp_gt_i64_e32 vcc, 0, v[4:5]
	v_not_b32_e32 v5, v5
	v_ashrrev_i32_e32 v5, 31, v5
	v_and_b32_e32 v217, v217, v218
	;; [unrolled: 8-line block ×4, first 2 shown]
	v_xor_b32_e32 v218, vcc_hi, v5
	v_xor_b32_e32 v5, vcc_lo, v5
	v_and_b32_e32 v217, v217, v218
	v_and_b32_e32 v218, v57, v5
	v_lshlrev_b32_e32 v5, 25, v56
	v_cmp_gt_i64_e32 vcc, 0, v[4:5]
	v_not_b32_e32 v5, v5
	v_ashrrev_i32_e32 v5, 31, v5
	v_xor_b32_e32 v56, vcc_hi, v5
	v_xor_b32_e32 v5, vcc_lo, v5
	v_and_b32_e32 v57, v217, v56
	v_and_b32_e32 v56, v218, v5
	v_mbcnt_lo_u32_b32 v5, v56, 0
	v_mbcnt_hi_u32_b32 v218, v57, v5
	v_cmp_eq_u32_e32 vcc, 0, v218
	v_cmp_ne_u64_e64 s[40:41], 0, v[56:57]
	s_and_b64 s[42:43], s[40:41], vcc
	; wave barrier
	s_and_saveexec_b64 s[40:41], s[42:43]
	s_cbranch_execz .LBB942_178
; %bb.177:                              ;   in Loop: Header=BB942_110 Depth=2
	v_bcnt_u32_b32 v5, v56, 0
	v_bcnt_u32_b32 v5, v57, v5
	s_waitcnt lgkmcnt(0)
	v_add_u32_e32 v5, v216, v5
	ds_write_b32 v164, v5
.LBB942_178:                            ;   in Loop: Header=BB942_110 Depth=2
	s_or_b64 exec, exec, s[40:41]
	v_xor_b32_e32 v217, 0x7fff, v159
	v_lshrrev_b32_sdwa v5, s99, v217 dst_sel:DWORD dst_unused:UNUSED_PAD src0_sel:DWORD src1_sel:WORD_0
	v_and_b32_e32 v56, s6, v5
	v_mul_u32_u24_e32 v5, 5, v56
	v_add_lshl_u32 v5, v5, v153, 2
	; wave barrier
	v_add_u32_e32 v159, 0x210, v5
	ds_read_b32 v219, v5 offset:528
	v_and_b32_e32 v5, 1, v56
	v_add_co_u32_e32 v57, vcc, -1, v5
	v_addc_co_u32_e64 v220, s[40:41], 0, -1, vcc
	v_cmp_ne_u32_e32 vcc, 0, v5
	v_xor_b32_e32 v5, vcc_hi, v220
	v_and_b32_e32 v220, exec_hi, v5
	v_lshlrev_b32_e32 v5, 30, v56
	v_xor_b32_e32 v57, vcc_lo, v57
	v_cmp_gt_i64_e32 vcc, 0, v[4:5]
	v_not_b32_e32 v5, v5
	v_ashrrev_i32_e32 v5, 31, v5
	v_and_b32_e32 v57, exec_lo, v57
	v_xor_b32_e32 v221, vcc_hi, v5
	v_xor_b32_e32 v5, vcc_lo, v5
	v_and_b32_e32 v57, v57, v5
	v_lshlrev_b32_e32 v5, 29, v56
	v_cmp_gt_i64_e32 vcc, 0, v[4:5]
	v_not_b32_e32 v5, v5
	v_ashrrev_i32_e32 v5, 31, v5
	v_and_b32_e32 v220, v220, v221
	v_xor_b32_e32 v221, vcc_hi, v5
	v_xor_b32_e32 v5, vcc_lo, v5
	v_and_b32_e32 v57, v57, v5
	v_lshlrev_b32_e32 v5, 28, v56
	v_cmp_gt_i64_e32 vcc, 0, v[4:5]
	v_not_b32_e32 v5, v5
	v_ashrrev_i32_e32 v5, 31, v5
	v_and_b32_e32 v220, v220, v221
	;; [unrolled: 8-line block ×4, first 2 shown]
	v_xor_b32_e32 v221, vcc_hi, v5
	v_xor_b32_e32 v5, vcc_lo, v5
	v_and_b32_e32 v220, v220, v221
	v_and_b32_e32 v221, v57, v5
	v_lshlrev_b32_e32 v5, 25, v56
	v_cmp_gt_i64_e32 vcc, 0, v[4:5]
	v_not_b32_e32 v5, v5
	v_ashrrev_i32_e32 v5, 31, v5
	v_xor_b32_e32 v56, vcc_hi, v5
	v_xor_b32_e32 v5, vcc_lo, v5
	v_and_b32_e32 v57, v220, v56
	v_and_b32_e32 v56, v221, v5
	v_mbcnt_lo_u32_b32 v5, v56, 0
	v_mbcnt_hi_u32_b32 v221, v57, v5
	v_cmp_eq_u32_e32 vcc, 0, v221
	v_cmp_ne_u64_e64 s[40:41], 0, v[56:57]
	s_and_b64 s[42:43], s[40:41], vcc
	; wave barrier
	s_and_saveexec_b64 s[40:41], s[42:43]
	s_cbranch_execz .LBB942_180
; %bb.179:                              ;   in Loop: Header=BB942_110 Depth=2
	v_bcnt_u32_b32 v5, v56, 0
	v_bcnt_u32_b32 v5, v57, v5
	s_waitcnt lgkmcnt(0)
	v_add_u32_e32 v5, v219, v5
	ds_write_b32 v159, v5
.LBB942_180:                            ;   in Loop: Header=BB942_110 Depth=2
	s_or_b64 exec, exec, s[40:41]
	v_xor_b32_e32 v220, 0x7fff, v166
	v_lshrrev_b32_sdwa v5, s99, v220 dst_sel:DWORD dst_unused:UNUSED_PAD src0_sel:DWORD src1_sel:WORD_0
	v_and_b32_e32 v56, s6, v5
	v_mul_u32_u24_e32 v5, 5, v56
	v_add_lshl_u32 v5, v5, v153, 2
	; wave barrier
	v_add_u32_e32 v166, 0x210, v5
	ds_read_b32 v222, v5 offset:528
	v_and_b32_e32 v5, 1, v56
	v_add_co_u32_e32 v57, vcc, -1, v5
	v_addc_co_u32_e64 v223, s[40:41], 0, -1, vcc
	v_cmp_ne_u32_e32 vcc, 0, v5
	v_xor_b32_e32 v5, vcc_hi, v223
	v_and_b32_e32 v223, exec_hi, v5
	v_lshlrev_b32_e32 v5, 30, v56
	v_xor_b32_e32 v57, vcc_lo, v57
	v_cmp_gt_i64_e32 vcc, 0, v[4:5]
	v_not_b32_e32 v5, v5
	v_ashrrev_i32_e32 v5, 31, v5
	v_and_b32_e32 v57, exec_lo, v57
	v_xor_b32_e32 v224, vcc_hi, v5
	v_xor_b32_e32 v5, vcc_lo, v5
	v_and_b32_e32 v57, v57, v5
	v_lshlrev_b32_e32 v5, 29, v56
	v_cmp_gt_i64_e32 vcc, 0, v[4:5]
	v_not_b32_e32 v5, v5
	v_ashrrev_i32_e32 v5, 31, v5
	v_and_b32_e32 v223, v223, v224
	v_xor_b32_e32 v224, vcc_hi, v5
	v_xor_b32_e32 v5, vcc_lo, v5
	v_and_b32_e32 v57, v57, v5
	v_lshlrev_b32_e32 v5, 28, v56
	v_cmp_gt_i64_e32 vcc, 0, v[4:5]
	v_not_b32_e32 v5, v5
	v_ashrrev_i32_e32 v5, 31, v5
	v_and_b32_e32 v223, v223, v224
	;; [unrolled: 8-line block ×4, first 2 shown]
	v_xor_b32_e32 v224, vcc_hi, v5
	v_xor_b32_e32 v5, vcc_lo, v5
	v_and_b32_e32 v223, v223, v224
	v_and_b32_e32 v224, v57, v5
	v_lshlrev_b32_e32 v5, 25, v56
	v_cmp_gt_i64_e32 vcc, 0, v[4:5]
	v_not_b32_e32 v5, v5
	v_ashrrev_i32_e32 v5, 31, v5
	v_xor_b32_e32 v56, vcc_hi, v5
	v_xor_b32_e32 v5, vcc_lo, v5
	v_and_b32_e32 v57, v223, v56
	v_and_b32_e32 v56, v224, v5
	v_mbcnt_lo_u32_b32 v5, v56, 0
	v_mbcnt_hi_u32_b32 v5, v57, v5
	v_cmp_eq_u32_e32 vcc, 0, v5
	v_cmp_ne_u64_e64 s[40:41], 0, v[56:57]
	s_and_b64 s[42:43], s[40:41], vcc
	; wave barrier
	s_and_saveexec_b64 s[40:41], s[42:43]
	s_cbranch_execz .LBB942_182
; %bb.181:                              ;   in Loop: Header=BB942_110 Depth=2
	v_bcnt_u32_b32 v56, v56, 0
	v_bcnt_u32_b32 v56, v57, v56
	s_waitcnt lgkmcnt(0)
	v_add_u32_e32 v56, v222, v56
	ds_write_b32 v166, v56
.LBB942_182:                            ;   in Loop: Header=BB942_110 Depth=2
	s_or_b64 exec, exec, s[40:41]
	; wave barrier
	s_waitcnt lgkmcnt(0)
	s_barrier
	ds_read_b32 v223, v58 offset:528
	ds_read2_b32 v[56:57], v67 offset0:1 offset1:2
	s_waitcnt lgkmcnt(0)
	v_add3_u32 v57, v56, v223, v57
	s_nop 1
	v_mov_b32_dpp v224, v57 row_shr:1 row_mask:0xf bank_mask:0xf
	v_cndmask_b32_e64 v224, v224, 0, s[20:21]
	v_add_u32_e32 v57, v224, v57
	s_nop 1
	v_mov_b32_dpp v224, v57 row_shr:2 row_mask:0xf bank_mask:0xf
	v_cndmask_b32_e64 v224, 0, v224, s[22:23]
	v_add_u32_e32 v57, v57, v224
	;; [unrolled: 4-line block ×4, first 2 shown]
	s_nop 1
	v_mov_b32_dpp v224, v57 row_bcast:15 row_mask:0xf bank_mask:0xf
	v_cndmask_b32_e64 v224, v224, 0, s[28:29]
	v_add_u32_e32 v57, v57, v224
	s_nop 1
	v_mov_b32_dpp v224, v57 row_bcast:31 row_mask:0xf bank_mask:0xf
	v_cndmask_b32_e64 v224, 0, v224, s[30:31]
	v_add_u32_e32 v57, v57, v224
	s_and_saveexec_b64 s[40:41], s[12:13]
	s_cbranch_execz .LBB942_184
; %bb.183:                              ;   in Loop: Header=BB942_110 Depth=2
	ds_write_b32 v60, v57 offset:512
.LBB942_184:                            ;   in Loop: Header=BB942_110 Depth=2
	s_or_b64 exec, exec, s[40:41]
	s_waitcnt lgkmcnt(0)
	s_barrier
	s_and_saveexec_b64 s[40:41], s[14:15]
	s_cbranch_execz .LBB942_186
; %bb.185:                              ;   in Loop: Header=BB942_110 Depth=2
	ds_read_b32 v224, v69 offset:512
	s_waitcnt lgkmcnt(0)
	s_nop 0
	v_mov_b32_dpp v225, v224 row_shr:1 row_mask:0xf bank_mask:0xf
	v_cndmask_b32_e64 v225, v225, 0, s[36:37]
	v_add_u32_e32 v224, v225, v224
	s_nop 1
	v_mov_b32_dpp v225, v224 row_shr:2 row_mask:0xf bank_mask:0xf
	v_cndmask_b32_e64 v225, 0, v225, s[38:39]
	v_add_u32_e32 v224, v224, v225
	ds_write_b32 v69, v224 offset:512
.LBB942_186:                            ;   in Loop: Header=BB942_110 Depth=2
	s_or_b64 exec, exec, s[40:41]
	v_mov_b32_e32 v224, 0
	s_waitcnt lgkmcnt(0)
	s_barrier
	s_and_saveexec_b64 s[40:41], s[10:11]
	s_cbranch_execz .LBB942_188
; %bb.187:                              ;   in Loop: Header=BB942_110 Depth=2
	ds_read_b32 v224, v60 offset:508
.LBB942_188:                            ;   in Loop: Header=BB942_110 Depth=2
	s_or_b64 exec, exec, s[40:41]
	s_waitcnt lgkmcnt(0)
	v_add_u32_e32 v57, v224, v57
	ds_bpermute_b32 v57, v129, v57
	s_waitcnt lgkmcnt(0)
	v_cndmask_b32_e64 v57, v57, v224, s[34:35]
	v_cndmask_b32_e64 v57, v57, 0, s[16:17]
	v_add_u32_e32 v223, v57, v223
	v_add_u32_e32 v56, v223, v56
	ds_write_b32 v58, v57 offset:528
	ds_write2_b32 v67, v223, v56 offset0:1 offset1:2
	s_waitcnt lgkmcnt(0)
	s_barrier
	ds_read_b32 v56, v158
	ds_read_b32 v57, v163
	;; [unrolled: 1-line block ×17, first 2 shown]
	s_and_saveexec_b64 s[40:41], s[4:5]
	s_cbranch_execz .LBB942_192
; %bb.189:                              ;   in Loop: Header=BB942_110 Depth=2
	ds_read_b32 v154, v70 offset:528
	v_mov_b32_e32 v155, 0x1100
	s_and_saveexec_b64 s[42:43], s[18:19]
	s_cbranch_execz .LBB942_191
; %bb.190:                              ;   in Loop: Header=BB942_110 Depth=2
	ds_read_b32 v155, v70 offset:548
.LBB942_191:                            ;   in Loop: Header=BB942_110 Depth=2
	s_or_b64 exec, exec, s[42:43]
	s_waitcnt lgkmcnt(0)
	v_sub_u32_e32 v155, v155, v154
.LBB942_192:                            ;   in Loop: Header=BB942_110 Depth=2
	s_or_b64 exec, exec, s[40:41]
	s_waitcnt lgkmcnt(0)
	s_barrier
	s_and_saveexec_b64 s[40:41], s[4:5]
	s_cbranch_execz .LBB942_194
; %bb.193:                              ;   in Loop: Header=BB942_110 Depth=2
	ds_read_b32 v159, v3
	s_waitcnt lgkmcnt(0)
	v_sub_u32_e32 v159, v159, v154
	ds_write_b32 v3, v159
.LBB942_194:                            ;   in Loop: Header=BB942_110 Depth=2
	s_or_b64 exec, exec, s[40:41]
	v_add_u32_e32 v179, v56, v161
	v_add3_u32 v175, v167, v162, v57
	v_lshlrev_b32_e32 v56, 1, v179
	v_add3_u32 v174, v172, v168, v158
	ds_write_b16 v56, v157 offset:512
	v_lshlrev_b32_e32 v56, 1, v175
	v_add3_u32 v173, v177, v173, v163
	ds_write_b16 v56, v160 offset:512
	;; [unrolled: 3-line block ×15, first 2 shown]
	v_lshlrev_b32_e32 v56, 1, v158
	ds_write_b16 v56, v217 offset:512
	v_lshlrev_b32_e32 v56, 1, v5
	v_cmp_lt_u32_e64 s[40:41], v2, v156
	ds_write_b16 v56, v220 offset:512
	s_waitcnt lgkmcnt(0)
	s_barrier
	s_and_saveexec_b64 s[42:43], s[40:41]
	s_cbranch_execz .LBB942_246
; %bb.195:                              ;   in Loop: Header=BB942_110 Depth=2
	v_add_u32_e32 v56, v70, v75
	ds_read_u16 v56, v56 offset:512
	v_mov_b32_e32 v160, s79
	s_waitcnt lgkmcnt(0)
	v_lshrrev_b32_sdwa v57, s99, v56 dst_sel:DWORD dst_unused:UNUSED_PAD src0_sel:DWORD src1_sel:WORD_0
	v_and_b32_e32 v57, s6, v57
	v_lshlrev_b32_e32 v57, 2, v57
	ds_read_b32 v157, v57
	v_mov_b32_e32 v57, v4
	v_xor_b32_e32 v165, 0x7fff, v56
	s_waitcnt lgkmcnt(0)
	v_add_u32_e32 v56, v157, v2
	v_lshlrev_b64 v[56:57], 1, v[56:57]
	v_add_co_u32_e32 v56, vcc, s78, v56
	v_addc_co_u32_e32 v57, vcc, v160, v57, vcc
	global_store_short v[56:57], v165, off
	s_or_b64 exec, exec, s[42:43]
	v_cmp_lt_u32_e64 s[42:43], v7, v156
	s_and_saveexec_b64 s[44:45], s[42:43]
	s_cbranch_execnz .LBB942_247
.LBB942_196:                            ;   in Loop: Header=BB942_110 Depth=2
	s_or_b64 exec, exec, s[44:45]
	v_cmp_lt_u32_e64 s[44:45], v13, v156
	s_and_saveexec_b64 s[46:47], s[44:45]
	s_cbranch_execz .LBB942_248
.LBB942_197:                            ;   in Loop: Header=BB942_110 Depth=2
	ds_read_u16 v56, v76 offset:1024
	v_mov_b32_e32 v160, s79
	s_waitcnt lgkmcnt(0)
	v_lshrrev_b32_sdwa v57, s99, v56 dst_sel:DWORD dst_unused:UNUSED_PAD src0_sel:DWORD src1_sel:WORD_0
	v_and_b32_e32 v57, s6, v57
	v_lshlrev_b32_e32 v57, 2, v57
	ds_read_b32 v157, v57
	v_mov_b32_e32 v57, v4
	v_xor_b32_e32 v165, 0x7fff, v56
	s_waitcnt lgkmcnt(0)
	v_add_u32_e32 v56, v157, v13
	v_lshlrev_b64 v[56:57], 1, v[56:57]
	v_add_co_u32_e32 v56, vcc, s78, v56
	v_addc_co_u32_e32 v57, vcc, v160, v57, vcc
	global_store_short v[56:57], v165, off
	s_or_b64 exec, exec, s[46:47]
	v_cmp_lt_u32_e64 s[46:47], v15, v156
	s_and_saveexec_b64 s[48:49], s[46:47]
	s_cbranch_execnz .LBB942_249
.LBB942_198:                            ;   in Loop: Header=BB942_110 Depth=2
	s_or_b64 exec, exec, s[48:49]
	v_cmp_lt_u32_e64 s[48:49], v17, v156
	s_and_saveexec_b64 s[50:51], s[48:49]
	s_cbranch_execz .LBB942_250
.LBB942_199:                            ;   in Loop: Header=BB942_110 Depth=2
	ds_read_u16 v56, v76 offset:2048
	v_mov_b32_e32 v160, s79
	s_waitcnt lgkmcnt(0)
	v_lshrrev_b32_sdwa v57, s99, v56 dst_sel:DWORD dst_unused:UNUSED_PAD src0_sel:DWORD src1_sel:WORD_0
	v_and_b32_e32 v57, s6, v57
	v_lshlrev_b32_e32 v57, 2, v57
	ds_read_b32 v157, v57
	v_mov_b32_e32 v57, v4
	v_xor_b32_e32 v165, 0x7fff, v56
	s_waitcnt lgkmcnt(0)
	v_add_u32_e32 v56, v157, v17
	v_lshlrev_b64 v[56:57], 1, v[56:57]
	v_add_co_u32_e32 v56, vcc, s78, v56
	v_addc_co_u32_e32 v57, vcc, v160, v57, vcc
	global_store_short v[56:57], v165, off
	s_or_b64 exec, exec, s[50:51]
	v_cmp_lt_u32_e64 s[50:51], v19, v156
	s_and_saveexec_b64 s[52:53], s[50:51]
	s_cbranch_execnz .LBB942_251
.LBB942_200:                            ;   in Loop: Header=BB942_110 Depth=2
	s_or_b64 exec, exec, s[52:53]
	v_cmp_lt_u32_e64 s[52:53], v21, v156
	s_and_saveexec_b64 s[54:55], s[52:53]
	s_cbranch_execz .LBB942_252
.LBB942_201:                            ;   in Loop: Header=BB942_110 Depth=2
	ds_read_u16 v56, v76 offset:3072
	v_mov_b32_e32 v160, s79
	s_waitcnt lgkmcnt(0)
	v_lshrrev_b32_sdwa v57, s99, v56 dst_sel:DWORD dst_unused:UNUSED_PAD src0_sel:DWORD src1_sel:WORD_0
	v_and_b32_e32 v57, s6, v57
	v_lshlrev_b32_e32 v57, 2, v57
	ds_read_b32 v157, v57
	v_mov_b32_e32 v57, v4
	v_xor_b32_e32 v165, 0x7fff, v56
	s_waitcnt lgkmcnt(0)
	v_add_u32_e32 v56, v157, v21
	v_lshlrev_b64 v[56:57], 1, v[56:57]
	v_add_co_u32_e32 v56, vcc, s78, v56
	v_addc_co_u32_e32 v57, vcc, v160, v57, vcc
	global_store_short v[56:57], v165, off
	s_or_b64 exec, exec, s[54:55]
	v_cmp_lt_u32_e64 s[54:55], v23, v156
	s_and_saveexec_b64 s[56:57], s[54:55]
	s_cbranch_execnz .LBB942_253
.LBB942_202:                            ;   in Loop: Header=BB942_110 Depth=2
	s_or_b64 exec, exec, s[56:57]
	v_cmp_lt_u32_e64 s[56:57], v6, v156
	s_and_saveexec_b64 s[58:59], s[56:57]
	s_cbranch_execz .LBB942_254
.LBB942_203:                            ;   in Loop: Header=BB942_110 Depth=2
	ds_read_u16 v56, v76 offset:4096
	v_mov_b32_e32 v160, s79
	s_waitcnt lgkmcnt(0)
	v_lshrrev_b32_sdwa v57, s99, v56 dst_sel:DWORD dst_unused:UNUSED_PAD src0_sel:DWORD src1_sel:WORD_0
	v_and_b32_e32 v57, s6, v57
	v_lshlrev_b32_e32 v57, 2, v57
	ds_read_b32 v157, v57
	v_mov_b32_e32 v57, v4
	v_xor_b32_e32 v165, 0x7fff, v56
	s_waitcnt lgkmcnt(0)
	v_add_u32_e32 v56, v157, v6
	v_lshlrev_b64 v[56:57], 1, v[56:57]
	v_add_co_u32_e32 v56, vcc, s78, v56
	v_addc_co_u32_e32 v57, vcc, v160, v57, vcc
	global_store_short v[56:57], v165, off
	s_or_b64 exec, exec, s[58:59]
	v_cmp_lt_u32_e64 s[58:59], v8, v156
	s_and_saveexec_b64 s[60:61], s[58:59]
	s_cbranch_execnz .LBB942_255
.LBB942_204:                            ;   in Loop: Header=BB942_110 Depth=2
	s_or_b64 exec, exec, s[60:61]
	v_cmp_lt_u32_e64 s[60:61], v10, v156
	s_and_saveexec_b64 s[62:63], s[60:61]
	s_cbranch_execz .LBB942_256
.LBB942_205:                            ;   in Loop: Header=BB942_110 Depth=2
	ds_read_u16 v56, v76 offset:5120
	v_mov_b32_e32 v160, s79
	s_waitcnt lgkmcnt(0)
	v_lshrrev_b32_sdwa v57, s99, v56 dst_sel:DWORD dst_unused:UNUSED_PAD src0_sel:DWORD src1_sel:WORD_0
	v_and_b32_e32 v57, s6, v57
	v_lshlrev_b32_e32 v57, 2, v57
	ds_read_b32 v157, v57
	v_mov_b32_e32 v57, v4
	v_xor_b32_e32 v165, 0x7fff, v56
	s_waitcnt lgkmcnt(0)
	v_add_u32_e32 v56, v157, v10
	v_lshlrev_b64 v[56:57], 1, v[56:57]
	v_add_co_u32_e32 v56, vcc, s78, v56
	v_addc_co_u32_e32 v57, vcc, v160, v57, vcc
	global_store_short v[56:57], v165, off
	s_or_b64 exec, exec, s[62:63]
	v_cmp_lt_u32_e64 s[62:63], v12, v156
	s_and_saveexec_b64 s[64:65], s[62:63]
	s_cbranch_execnz .LBB942_257
.LBB942_206:                            ;   in Loop: Header=BB942_110 Depth=2
	s_or_b64 exec, exec, s[64:65]
	v_cmp_lt_u32_e64 s[64:65], v14, v156
	s_and_saveexec_b64 s[66:67], s[64:65]
	s_cbranch_execz .LBB942_258
.LBB942_207:                            ;   in Loop: Header=BB942_110 Depth=2
	ds_read_u16 v56, v76 offset:6144
	v_mov_b32_e32 v160, s79
	s_waitcnt lgkmcnt(0)
	v_lshrrev_b32_sdwa v57, s99, v56 dst_sel:DWORD dst_unused:UNUSED_PAD src0_sel:DWORD src1_sel:WORD_0
	v_and_b32_e32 v57, s6, v57
	v_lshlrev_b32_e32 v57, 2, v57
	ds_read_b32 v157, v57
	v_mov_b32_e32 v57, v4
	v_xor_b32_e32 v165, 0x7fff, v56
	s_waitcnt lgkmcnt(0)
	v_add_u32_e32 v56, v157, v14
	v_lshlrev_b64 v[56:57], 1, v[56:57]
	v_add_co_u32_e32 v56, vcc, s78, v56
	v_addc_co_u32_e32 v57, vcc, v160, v57, vcc
	global_store_short v[56:57], v165, off
	s_or_b64 exec, exec, s[66:67]
	v_cmp_lt_u32_e64 s[66:67], v16, v156
	s_and_saveexec_b64 s[68:69], s[66:67]
	s_cbranch_execnz .LBB942_259
.LBB942_208:                            ;   in Loop: Header=BB942_110 Depth=2
	s_or_b64 exec, exec, s[68:69]
	v_cmp_lt_u32_e64 s[68:69], v18, v156
	s_and_saveexec_b64 s[70:71], s[68:69]
	s_cbranch_execz .LBB942_260
.LBB942_209:                            ;   in Loop: Header=BB942_110 Depth=2
	ds_read_u16 v56, v76 offset:7168
	v_mov_b32_e32 v160, s79
	s_waitcnt lgkmcnt(0)
	v_lshrrev_b32_sdwa v57, s99, v56 dst_sel:DWORD dst_unused:UNUSED_PAD src0_sel:DWORD src1_sel:WORD_0
	v_and_b32_e32 v57, s6, v57
	v_lshlrev_b32_e32 v57, 2, v57
	ds_read_b32 v157, v57
	v_mov_b32_e32 v57, v4
	v_xor_b32_e32 v165, 0x7fff, v56
	s_waitcnt lgkmcnt(0)
	v_add_u32_e32 v56, v157, v18
	v_lshlrev_b64 v[56:57], 1, v[56:57]
	v_add_co_u32_e32 v56, vcc, s78, v56
	v_addc_co_u32_e32 v57, vcc, v160, v57, vcc
	global_store_short v[56:57], v165, off
	s_or_b64 exec, exec, s[70:71]
	v_cmp_lt_u32_e64 s[70:71], v20, v156
	s_and_saveexec_b64 s[72:73], s[70:71]
	s_cbranch_execnz .LBB942_261
.LBB942_210:                            ;   in Loop: Header=BB942_110 Depth=2
	s_or_b64 exec, exec, s[72:73]
	v_cmp_lt_u32_e64 s[72:73], v22, v156
	s_and_saveexec_b64 s[82:83], s[72:73]
	s_cbranch_execz .LBB942_212
.LBB942_211:                            ;   in Loop: Header=BB942_110 Depth=2
	ds_read_u16 v56, v76 offset:8192
	v_mov_b32_e32 v160, s79
	s_waitcnt lgkmcnt(0)
	v_lshrrev_b32_sdwa v57, s99, v56 dst_sel:DWORD dst_unused:UNUSED_PAD src0_sel:DWORD src1_sel:WORD_0
	v_and_b32_e32 v57, s6, v57
	v_lshlrev_b32_e32 v57, 2, v57
	ds_read_b32 v157, v57
	v_mov_b32_e32 v57, v4
	v_xor_b32_e32 v165, 0x7fff, v56
	s_waitcnt lgkmcnt(0)
	v_add_u32_e32 v56, v157, v22
	v_lshlrev_b64 v[56:57], 1, v[56:57]
	v_add_co_u32_e32 v56, vcc, s78, v56
	v_addc_co_u32_e32 v57, vcc, v160, v57, vcc
	global_store_short v[56:57], v165, off
.LBB942_212:                            ;   in Loop: Header=BB942_110 Depth=2
	s_or_b64 exec, exec, s[82:83]
	s_lshl_b64 s[82:83], s[94:95], 3
	v_mov_b32_e32 v57, s83
	v_add_co_u32_e32 v56, vcc, s82, v130
	v_addc_co_u32_e32 v57, vcc, v131, v57, vcc
	v_cmp_lt_u32_e32 vcc, v111, v156
	s_and_saveexec_b64 s[82:83], vcc
	s_xor_b64 s[82:83], exec, s[82:83]
	s_cbranch_execz .LBB942_262
; %bb.213:                              ;   in Loop: Header=BB942_110 Depth=2
	global_load_dwordx2 v[54:55], v[56:57], off
	s_or_b64 exec, exec, s[82:83]
	v_cmp_lt_u32_e32 vcc, v112, v156
	s_and_saveexec_b64 s[82:83], vcc
	s_cbranch_execnz .LBB942_263
.LBB942_214:                            ;   in Loop: Header=BB942_110 Depth=2
	s_or_b64 exec, exec, s[82:83]
	v_cmp_lt_u32_e32 vcc, v113, v156
	s_and_saveexec_b64 s[82:83], vcc
	s_cbranch_execz .LBB942_264
.LBB942_215:                            ;   in Loop: Header=BB942_110 Depth=2
	global_load_dwordx2 v[50:51], v[56:57], off offset:1024
	s_or_b64 exec, exec, s[82:83]
	v_cmp_lt_u32_e32 vcc, v114, v156
	s_and_saveexec_b64 s[82:83], vcc
	s_cbranch_execnz .LBB942_265
.LBB942_216:                            ;   in Loop: Header=BB942_110 Depth=2
	s_or_b64 exec, exec, s[82:83]
	v_cmp_lt_u32_e32 vcc, v115, v156
	s_and_saveexec_b64 s[82:83], vcc
	s_cbranch_execz .LBB942_266
.LBB942_217:                            ;   in Loop: Header=BB942_110 Depth=2
	global_load_dwordx2 v[42:43], v[56:57], off offset:2048
	s_or_b64 exec, exec, s[82:83]
	v_cmp_lt_u32_e32 vcc, v116, v156
	s_and_saveexec_b64 s[82:83], vcc
	s_cbranch_execnz .LBB942_267
.LBB942_218:                            ;   in Loop: Header=BB942_110 Depth=2
	s_or_b64 exec, exec, s[82:83]
	v_cmp_lt_u32_e32 vcc, v117, v156
	s_and_saveexec_b64 s[82:83], vcc
	s_cbranch_execz .LBB942_268
.LBB942_219:                            ;   in Loop: Header=BB942_110 Depth=2
	global_load_dwordx2 v[34:35], v[56:57], off offset:3072
	s_or_b64 exec, exec, s[82:83]
	v_cmp_lt_u32_e32 vcc, v118, v156
	s_and_saveexec_b64 s[82:83], vcc
	s_cbranch_execnz .LBB942_269
.LBB942_220:                            ;   in Loop: Header=BB942_110 Depth=2
	s_or_b64 exec, exec, s[82:83]
	v_cmp_lt_u32_e32 vcc, v119, v156
	s_and_saveexec_b64 s[82:83], vcc
	s_cbranch_execz .LBB942_270
.LBB942_221:                            ;   in Loop: Header=BB942_110 Depth=2
	v_add_co_u32_e32 v48, vcc, 0x1000, v56
	v_addc_co_u32_e32 v49, vcc, 0, v57, vcc
	global_load_dwordx2 v[48:49], v[48:49], off
	s_or_b64 exec, exec, s[82:83]
	v_cmp_lt_u32_e32 vcc, v120, v156
	s_and_saveexec_b64 s[82:83], vcc
	s_cbranch_execnz .LBB942_271
.LBB942_222:                            ;   in Loop: Header=BB942_110 Depth=2
	s_or_b64 exec, exec, s[82:83]
	v_cmp_lt_u32_e32 vcc, v121, v156
	s_and_saveexec_b64 s[82:83], vcc
	s_cbranch_execz .LBB942_272
.LBB942_223:                            ;   in Loop: Header=BB942_110 Depth=2
	v_add_co_u32_e32 v40, vcc, 0x1000, v56
	v_addc_co_u32_e32 v41, vcc, 0, v57, vcc
	global_load_dwordx2 v[40:41], v[40:41], off offset:1024
	s_or_b64 exec, exec, s[82:83]
	v_cmp_lt_u32_e32 vcc, v122, v156
	s_and_saveexec_b64 s[82:83], vcc
	s_cbranch_execnz .LBB942_273
.LBB942_224:                            ;   in Loop: Header=BB942_110 Depth=2
	s_or_b64 exec, exec, s[82:83]
	v_cmp_lt_u32_e32 vcc, v123, v156
	s_and_saveexec_b64 s[82:83], vcc
	s_cbranch_execz .LBB942_274
.LBB942_225:                            ;   in Loop: Header=BB942_110 Depth=2
	v_add_co_u32_e32 v32, vcc, 0x1000, v56
	v_addc_co_u32_e32 v33, vcc, 0, v57, vcc
	global_load_dwordx2 v[32:33], v[32:33], off offset:2048
	s_or_b64 exec, exec, s[82:83]
	v_cmp_lt_u32_e32 vcc, v124, v156
	s_and_saveexec_b64 s[82:83], vcc
	s_cbranch_execnz .LBB942_275
.LBB942_226:                            ;   in Loop: Header=BB942_110 Depth=2
	s_or_b64 exec, exec, s[82:83]
	v_cmp_lt_u32_e32 vcc, v125, v156
	s_and_saveexec_b64 s[82:83], vcc
	s_cbranch_execz .LBB942_276
.LBB942_227:                            ;   in Loop: Header=BB942_110 Depth=2
	v_add_co_u32_e32 v26, vcc, 0x1000, v56
	v_addc_co_u32_e32 v27, vcc, 0, v57, vcc
	global_load_dwordx2 v[26:27], v[26:27], off offset:3072
	s_or_b64 exec, exec, s[82:83]
	v_cmp_lt_u32_e32 vcc, v126, v156
	s_and_saveexec_b64 s[82:83], vcc
	s_cbranch_execnz .LBB942_277
.LBB942_228:                            ;   in Loop: Header=BB942_110 Depth=2
	s_or_b64 exec, exec, s[82:83]
	v_cmp_lt_u32_e32 vcc, v127, v156
	s_and_saveexec_b64 s[82:83], vcc
	s_cbranch_execz .LBB942_278
.LBB942_229:                            ;   in Loop: Header=BB942_110 Depth=2
	v_add_co_u32_e32 v0, vcc, 0x2000, v56
	v_addc_co_u32_e32 v1, vcc, 0, v57, vcc
	global_load_dwordx2 v[0:1], v[0:1], off
	s_or_b64 exec, exec, s[82:83]
	s_and_saveexec_b64 s[82:83], s[40:41]
	s_cbranch_execnz .LBB942_279
.LBB942_230:                            ;   in Loop: Header=BB942_110 Depth=2
	s_or_b64 exec, exec, s[82:83]
	s_and_saveexec_b64 s[82:83], s[42:43]
	s_cbranch_execz .LBB942_280
.LBB942_231:                            ;   in Loop: Header=BB942_110 Depth=2
	ds_read_u16 v56, v76 offset:512
	s_waitcnt lgkmcnt(0)
	v_lshrrev_b32_e32 v56, s99, v56
	v_and_b32_e32 v150, s6, v56
	s_or_b64 exec, exec, s[82:83]
	s_and_saveexec_b64 s[82:83], s[44:45]
	s_cbranch_execnz .LBB942_281
.LBB942_232:                            ;   in Loop: Header=BB942_110 Depth=2
	s_or_b64 exec, exec, s[82:83]
	s_and_saveexec_b64 s[82:83], s[46:47]
	s_cbranch_execz .LBB942_282
.LBB942_233:                            ;   in Loop: Header=BB942_110 Depth=2
	ds_read_u16 v56, v76 offset:1536
	s_waitcnt lgkmcnt(0)
	v_lshrrev_b32_e32 v56, s99, v56
	v_and_b32_e32 v147, s6, v56
	s_or_b64 exec, exec, s[82:83]
	s_and_saveexec_b64 s[82:83], s[48:49]
	s_cbranch_execnz .LBB942_283
.LBB942_234:                            ;   in Loop: Header=BB942_110 Depth=2
	s_or_b64 exec, exec, s[82:83]
	s_and_saveexec_b64 s[82:83], s[50:51]
	s_cbranch_execz .LBB942_284
.LBB942_235:                            ;   in Loop: Header=BB942_110 Depth=2
	ds_read_u16 v56, v76 offset:2560
	s_waitcnt lgkmcnt(0)
	v_lshrrev_b32_e32 v56, s99, v56
	v_and_b32_e32 v145, s6, v56
	s_or_b64 exec, exec, s[82:83]
	s_and_saveexec_b64 s[82:83], s[52:53]
	s_cbranch_execnz .LBB942_285
.LBB942_236:                            ;   in Loop: Header=BB942_110 Depth=2
	s_or_b64 exec, exec, s[82:83]
	s_and_saveexec_b64 s[82:83], s[54:55]
	s_cbranch_execz .LBB942_286
.LBB942_237:                            ;   in Loop: Header=BB942_110 Depth=2
	ds_read_u16 v56, v76 offset:3584
	s_waitcnt lgkmcnt(0)
	v_lshrrev_b32_e32 v56, s99, v56
	v_and_b32_e32 v143, s6, v56
	s_or_b64 exec, exec, s[82:83]
	s_and_saveexec_b64 s[82:83], s[56:57]
	s_cbranch_execnz .LBB942_287
.LBB942_238:                            ;   in Loop: Header=BB942_110 Depth=2
	s_or_b64 exec, exec, s[82:83]
	s_and_saveexec_b64 s[82:83], s[58:59]
	s_cbranch_execz .LBB942_288
.LBB942_239:                            ;   in Loop: Header=BB942_110 Depth=2
	ds_read_u16 v56, v76 offset:4608
	s_waitcnt lgkmcnt(0)
	v_lshrrev_b32_e32 v56, s99, v56
	v_and_b32_e32 v141, s6, v56
	s_or_b64 exec, exec, s[82:83]
	s_and_saveexec_b64 s[82:83], s[60:61]
	s_cbranch_execnz .LBB942_289
.LBB942_240:                            ;   in Loop: Header=BB942_110 Depth=2
	s_or_b64 exec, exec, s[82:83]
	s_and_saveexec_b64 s[82:83], s[62:63]
	s_cbranch_execz .LBB942_290
.LBB942_241:                            ;   in Loop: Header=BB942_110 Depth=2
	ds_read_u16 v56, v76 offset:5632
	s_waitcnt lgkmcnt(0)
	v_lshrrev_b32_e32 v56, s99, v56
	v_and_b32_e32 v139, s6, v56
	s_or_b64 exec, exec, s[82:83]
	s_and_saveexec_b64 s[82:83], s[64:65]
	s_cbranch_execnz .LBB942_291
.LBB942_242:                            ;   in Loop: Header=BB942_110 Depth=2
	s_or_b64 exec, exec, s[82:83]
	s_and_saveexec_b64 s[82:83], s[66:67]
	s_cbranch_execz .LBB942_292
.LBB942_243:                            ;   in Loop: Header=BB942_110 Depth=2
	ds_read_u16 v56, v76 offset:6656
	s_waitcnt lgkmcnt(0)
	v_lshrrev_b32_e32 v56, s99, v56
	v_and_b32_e32 v137, s6, v56
	s_or_b64 exec, exec, s[82:83]
	s_and_saveexec_b64 s[82:83], s[68:69]
	s_cbranch_execnz .LBB942_293
.LBB942_244:                            ;   in Loop: Header=BB942_110 Depth=2
	s_or_b64 exec, exec, s[82:83]
	s_and_saveexec_b64 s[82:83], s[70:71]
	s_cbranch_execz .LBB942_294
.LBB942_245:                            ;   in Loop: Header=BB942_110 Depth=2
	ds_read_u16 v56, v76 offset:7680
	s_waitcnt lgkmcnt(0)
	v_lshrrev_b32_e32 v56, s99, v56
	v_and_b32_e32 v135, s6, v56
	s_or_b64 exec, exec, s[82:83]
	s_and_saveexec_b64 s[82:83], s[72:73]
	s_cbranch_execnz .LBB942_295
	s_branch .LBB942_296
.LBB942_246:                            ;   in Loop: Header=BB942_110 Depth=2
	s_or_b64 exec, exec, s[42:43]
	v_cmp_lt_u32_e64 s[42:43], v7, v156
	s_and_saveexec_b64 s[44:45], s[42:43]
	s_cbranch_execz .LBB942_196
.LBB942_247:                            ;   in Loop: Header=BB942_110 Depth=2
	ds_read_u16 v56, v76 offset:512
	v_mov_b32_e32 v160, s79
	s_waitcnt lgkmcnt(0)
	v_lshrrev_b32_sdwa v57, s99, v56 dst_sel:DWORD dst_unused:UNUSED_PAD src0_sel:DWORD src1_sel:WORD_0
	v_and_b32_e32 v57, s6, v57
	v_lshlrev_b32_e32 v57, 2, v57
	ds_read_b32 v157, v57
	v_mov_b32_e32 v57, v4
	v_xor_b32_e32 v165, 0x7fff, v56
	s_waitcnt lgkmcnt(0)
	v_add_u32_e32 v56, v157, v7
	v_lshlrev_b64 v[56:57], 1, v[56:57]
	v_add_co_u32_e32 v56, vcc, s78, v56
	v_addc_co_u32_e32 v57, vcc, v160, v57, vcc
	global_store_short v[56:57], v165, off
	s_or_b64 exec, exec, s[44:45]
	v_cmp_lt_u32_e64 s[44:45], v13, v156
	s_and_saveexec_b64 s[46:47], s[44:45]
	s_cbranch_execnz .LBB942_197
.LBB942_248:                            ;   in Loop: Header=BB942_110 Depth=2
	s_or_b64 exec, exec, s[46:47]
	v_cmp_lt_u32_e64 s[46:47], v15, v156
	s_and_saveexec_b64 s[48:49], s[46:47]
	s_cbranch_execz .LBB942_198
.LBB942_249:                            ;   in Loop: Header=BB942_110 Depth=2
	ds_read_u16 v56, v76 offset:1536
	v_mov_b32_e32 v160, s79
	s_waitcnt lgkmcnt(0)
	v_lshrrev_b32_sdwa v57, s99, v56 dst_sel:DWORD dst_unused:UNUSED_PAD src0_sel:DWORD src1_sel:WORD_0
	v_and_b32_e32 v57, s6, v57
	v_lshlrev_b32_e32 v57, 2, v57
	ds_read_b32 v157, v57
	v_mov_b32_e32 v57, v4
	v_xor_b32_e32 v165, 0x7fff, v56
	s_waitcnt lgkmcnt(0)
	v_add_u32_e32 v56, v157, v15
	v_lshlrev_b64 v[56:57], 1, v[56:57]
	v_add_co_u32_e32 v56, vcc, s78, v56
	v_addc_co_u32_e32 v57, vcc, v160, v57, vcc
	global_store_short v[56:57], v165, off
	s_or_b64 exec, exec, s[48:49]
	v_cmp_lt_u32_e64 s[48:49], v17, v156
	s_and_saveexec_b64 s[50:51], s[48:49]
	s_cbranch_execnz .LBB942_199
.LBB942_250:                            ;   in Loop: Header=BB942_110 Depth=2
	s_or_b64 exec, exec, s[50:51]
	v_cmp_lt_u32_e64 s[50:51], v19, v156
	s_and_saveexec_b64 s[52:53], s[50:51]
	s_cbranch_execz .LBB942_200
.LBB942_251:                            ;   in Loop: Header=BB942_110 Depth=2
	ds_read_u16 v56, v76 offset:2560
	v_mov_b32_e32 v160, s79
	s_waitcnt lgkmcnt(0)
	v_lshrrev_b32_sdwa v57, s99, v56 dst_sel:DWORD dst_unused:UNUSED_PAD src0_sel:DWORD src1_sel:WORD_0
	v_and_b32_e32 v57, s6, v57
	v_lshlrev_b32_e32 v57, 2, v57
	ds_read_b32 v157, v57
	v_mov_b32_e32 v57, v4
	v_xor_b32_e32 v165, 0x7fff, v56
	s_waitcnt lgkmcnt(0)
	v_add_u32_e32 v56, v157, v19
	v_lshlrev_b64 v[56:57], 1, v[56:57]
	v_add_co_u32_e32 v56, vcc, s78, v56
	v_addc_co_u32_e32 v57, vcc, v160, v57, vcc
	global_store_short v[56:57], v165, off
	s_or_b64 exec, exec, s[52:53]
	v_cmp_lt_u32_e64 s[52:53], v21, v156
	s_and_saveexec_b64 s[54:55], s[52:53]
	s_cbranch_execnz .LBB942_201
.LBB942_252:                            ;   in Loop: Header=BB942_110 Depth=2
	s_or_b64 exec, exec, s[54:55]
	v_cmp_lt_u32_e64 s[54:55], v23, v156
	s_and_saveexec_b64 s[56:57], s[54:55]
	s_cbranch_execz .LBB942_202
.LBB942_253:                            ;   in Loop: Header=BB942_110 Depth=2
	ds_read_u16 v56, v76 offset:3584
	v_mov_b32_e32 v160, s79
	s_waitcnt lgkmcnt(0)
	v_lshrrev_b32_sdwa v57, s99, v56 dst_sel:DWORD dst_unused:UNUSED_PAD src0_sel:DWORD src1_sel:WORD_0
	v_and_b32_e32 v57, s6, v57
	v_lshlrev_b32_e32 v57, 2, v57
	ds_read_b32 v157, v57
	v_mov_b32_e32 v57, v4
	v_xor_b32_e32 v165, 0x7fff, v56
	s_waitcnt lgkmcnt(0)
	v_add_u32_e32 v56, v157, v23
	v_lshlrev_b64 v[56:57], 1, v[56:57]
	v_add_co_u32_e32 v56, vcc, s78, v56
	v_addc_co_u32_e32 v57, vcc, v160, v57, vcc
	global_store_short v[56:57], v165, off
	s_or_b64 exec, exec, s[56:57]
	v_cmp_lt_u32_e64 s[56:57], v6, v156
	s_and_saveexec_b64 s[58:59], s[56:57]
	s_cbranch_execnz .LBB942_203
.LBB942_254:                            ;   in Loop: Header=BB942_110 Depth=2
	s_or_b64 exec, exec, s[58:59]
	v_cmp_lt_u32_e64 s[58:59], v8, v156
	s_and_saveexec_b64 s[60:61], s[58:59]
	s_cbranch_execz .LBB942_204
.LBB942_255:                            ;   in Loop: Header=BB942_110 Depth=2
	ds_read_u16 v56, v76 offset:4608
	v_mov_b32_e32 v160, s79
	s_waitcnt lgkmcnt(0)
	v_lshrrev_b32_sdwa v57, s99, v56 dst_sel:DWORD dst_unused:UNUSED_PAD src0_sel:DWORD src1_sel:WORD_0
	v_and_b32_e32 v57, s6, v57
	v_lshlrev_b32_e32 v57, 2, v57
	ds_read_b32 v157, v57
	v_mov_b32_e32 v57, v4
	v_xor_b32_e32 v165, 0x7fff, v56
	s_waitcnt lgkmcnt(0)
	v_add_u32_e32 v56, v157, v8
	v_lshlrev_b64 v[56:57], 1, v[56:57]
	v_add_co_u32_e32 v56, vcc, s78, v56
	v_addc_co_u32_e32 v57, vcc, v160, v57, vcc
	global_store_short v[56:57], v165, off
	s_or_b64 exec, exec, s[60:61]
	v_cmp_lt_u32_e64 s[60:61], v10, v156
	s_and_saveexec_b64 s[62:63], s[60:61]
	s_cbranch_execnz .LBB942_205
.LBB942_256:                            ;   in Loop: Header=BB942_110 Depth=2
	s_or_b64 exec, exec, s[62:63]
	v_cmp_lt_u32_e64 s[62:63], v12, v156
	s_and_saveexec_b64 s[64:65], s[62:63]
	s_cbranch_execz .LBB942_206
.LBB942_257:                            ;   in Loop: Header=BB942_110 Depth=2
	ds_read_u16 v56, v76 offset:5632
	v_mov_b32_e32 v160, s79
	s_waitcnt lgkmcnt(0)
	v_lshrrev_b32_sdwa v57, s99, v56 dst_sel:DWORD dst_unused:UNUSED_PAD src0_sel:DWORD src1_sel:WORD_0
	v_and_b32_e32 v57, s6, v57
	v_lshlrev_b32_e32 v57, 2, v57
	ds_read_b32 v157, v57
	v_mov_b32_e32 v57, v4
	v_xor_b32_e32 v165, 0x7fff, v56
	s_waitcnt lgkmcnt(0)
	v_add_u32_e32 v56, v157, v12
	v_lshlrev_b64 v[56:57], 1, v[56:57]
	v_add_co_u32_e32 v56, vcc, s78, v56
	v_addc_co_u32_e32 v57, vcc, v160, v57, vcc
	global_store_short v[56:57], v165, off
	s_or_b64 exec, exec, s[64:65]
	v_cmp_lt_u32_e64 s[64:65], v14, v156
	s_and_saveexec_b64 s[66:67], s[64:65]
	s_cbranch_execnz .LBB942_207
.LBB942_258:                            ;   in Loop: Header=BB942_110 Depth=2
	s_or_b64 exec, exec, s[66:67]
	v_cmp_lt_u32_e64 s[66:67], v16, v156
	s_and_saveexec_b64 s[68:69], s[66:67]
	s_cbranch_execz .LBB942_208
.LBB942_259:                            ;   in Loop: Header=BB942_110 Depth=2
	ds_read_u16 v56, v76 offset:6656
	v_mov_b32_e32 v160, s79
	s_waitcnt lgkmcnt(0)
	v_lshrrev_b32_sdwa v57, s99, v56 dst_sel:DWORD dst_unused:UNUSED_PAD src0_sel:DWORD src1_sel:WORD_0
	v_and_b32_e32 v57, s6, v57
	v_lshlrev_b32_e32 v57, 2, v57
	ds_read_b32 v157, v57
	v_mov_b32_e32 v57, v4
	v_xor_b32_e32 v165, 0x7fff, v56
	s_waitcnt lgkmcnt(0)
	v_add_u32_e32 v56, v157, v16
	v_lshlrev_b64 v[56:57], 1, v[56:57]
	v_add_co_u32_e32 v56, vcc, s78, v56
	v_addc_co_u32_e32 v57, vcc, v160, v57, vcc
	global_store_short v[56:57], v165, off
	s_or_b64 exec, exec, s[68:69]
	v_cmp_lt_u32_e64 s[68:69], v18, v156
	s_and_saveexec_b64 s[70:71], s[68:69]
	s_cbranch_execnz .LBB942_209
.LBB942_260:                            ;   in Loop: Header=BB942_110 Depth=2
	s_or_b64 exec, exec, s[70:71]
	v_cmp_lt_u32_e64 s[70:71], v20, v156
	s_and_saveexec_b64 s[72:73], s[70:71]
	s_cbranch_execz .LBB942_210
.LBB942_261:                            ;   in Loop: Header=BB942_110 Depth=2
	ds_read_u16 v56, v76 offset:7680
	v_mov_b32_e32 v160, s79
	s_waitcnt lgkmcnt(0)
	v_lshrrev_b32_sdwa v57, s99, v56 dst_sel:DWORD dst_unused:UNUSED_PAD src0_sel:DWORD src1_sel:WORD_0
	v_and_b32_e32 v57, s6, v57
	v_lshlrev_b32_e32 v57, 2, v57
	ds_read_b32 v157, v57
	v_mov_b32_e32 v57, v4
	v_xor_b32_e32 v165, 0x7fff, v56
	s_waitcnt lgkmcnt(0)
	v_add_u32_e32 v56, v157, v20
	v_lshlrev_b64 v[56:57], 1, v[56:57]
	v_add_co_u32_e32 v56, vcc, s78, v56
	v_addc_co_u32_e32 v57, vcc, v160, v57, vcc
	global_store_short v[56:57], v165, off
	s_or_b64 exec, exec, s[72:73]
	v_cmp_lt_u32_e64 s[72:73], v22, v156
	s_and_saveexec_b64 s[82:83], s[72:73]
	s_cbranch_execnz .LBB942_211
	s_branch .LBB942_212
.LBB942_262:                            ;   in Loop: Header=BB942_110 Depth=2
	s_or_b64 exec, exec, s[82:83]
	v_cmp_lt_u32_e32 vcc, v112, v156
	s_and_saveexec_b64 s[82:83], vcc
	s_cbranch_execz .LBB942_214
.LBB942_263:                            ;   in Loop: Header=BB942_110 Depth=2
	global_load_dwordx2 v[52:53], v[56:57], off offset:512
	s_or_b64 exec, exec, s[82:83]
	v_cmp_lt_u32_e32 vcc, v113, v156
	s_and_saveexec_b64 s[82:83], vcc
	s_cbranch_execnz .LBB942_215
.LBB942_264:                            ;   in Loop: Header=BB942_110 Depth=2
	s_or_b64 exec, exec, s[82:83]
	v_cmp_lt_u32_e32 vcc, v114, v156
	s_and_saveexec_b64 s[82:83], vcc
	s_cbranch_execz .LBB942_216
.LBB942_265:                            ;   in Loop: Header=BB942_110 Depth=2
	global_load_dwordx2 v[46:47], v[56:57], off offset:1536
	s_or_b64 exec, exec, s[82:83]
	v_cmp_lt_u32_e32 vcc, v115, v156
	s_and_saveexec_b64 s[82:83], vcc
	s_cbranch_execnz .LBB942_217
.LBB942_266:                            ;   in Loop: Header=BB942_110 Depth=2
	s_or_b64 exec, exec, s[82:83]
	v_cmp_lt_u32_e32 vcc, v116, v156
	s_and_saveexec_b64 s[82:83], vcc
	s_cbranch_execz .LBB942_218
.LBB942_267:                            ;   in Loop: Header=BB942_110 Depth=2
	global_load_dwordx2 v[38:39], v[56:57], off offset:2560
	s_or_b64 exec, exec, s[82:83]
	v_cmp_lt_u32_e32 vcc, v117, v156
	s_and_saveexec_b64 s[82:83], vcc
	s_cbranch_execnz .LBB942_219
.LBB942_268:                            ;   in Loop: Header=BB942_110 Depth=2
	s_or_b64 exec, exec, s[82:83]
	v_cmp_lt_u32_e32 vcc, v118, v156
	s_and_saveexec_b64 s[82:83], vcc
	s_cbranch_execz .LBB942_220
.LBB942_269:                            ;   in Loop: Header=BB942_110 Depth=2
	global_load_dwordx2 v[30:31], v[56:57], off offset:3584
	s_or_b64 exec, exec, s[82:83]
	v_cmp_lt_u32_e32 vcc, v119, v156
	s_and_saveexec_b64 s[82:83], vcc
	s_cbranch_execnz .LBB942_221
.LBB942_270:                            ;   in Loop: Header=BB942_110 Depth=2
	s_or_b64 exec, exec, s[82:83]
	v_cmp_lt_u32_e32 vcc, v120, v156
	s_and_saveexec_b64 s[82:83], vcc
	s_cbranch_execz .LBB942_222
.LBB942_271:                            ;   in Loop: Header=BB942_110 Depth=2
	v_add_co_u32_e32 v44, vcc, 0x1000, v56
	v_addc_co_u32_e32 v45, vcc, 0, v57, vcc
	global_load_dwordx2 v[44:45], v[44:45], off offset:512
	s_or_b64 exec, exec, s[82:83]
	v_cmp_lt_u32_e32 vcc, v121, v156
	s_and_saveexec_b64 s[82:83], vcc
	s_cbranch_execnz .LBB942_223
.LBB942_272:                            ;   in Loop: Header=BB942_110 Depth=2
	s_or_b64 exec, exec, s[82:83]
	v_cmp_lt_u32_e32 vcc, v122, v156
	s_and_saveexec_b64 s[82:83], vcc
	s_cbranch_execz .LBB942_224
.LBB942_273:                            ;   in Loop: Header=BB942_110 Depth=2
	v_add_co_u32_e32 v36, vcc, 0x1000, v56
	v_addc_co_u32_e32 v37, vcc, 0, v57, vcc
	global_load_dwordx2 v[36:37], v[36:37], off offset:1536
	s_or_b64 exec, exec, s[82:83]
	v_cmp_lt_u32_e32 vcc, v123, v156
	s_and_saveexec_b64 s[82:83], vcc
	s_cbranch_execnz .LBB942_225
.LBB942_274:                            ;   in Loop: Header=BB942_110 Depth=2
	s_or_b64 exec, exec, s[82:83]
	v_cmp_lt_u32_e32 vcc, v124, v156
	s_and_saveexec_b64 s[82:83], vcc
	s_cbranch_execz .LBB942_226
.LBB942_275:                            ;   in Loop: Header=BB942_110 Depth=2
	v_add_co_u32_e32 v28, vcc, 0x1000, v56
	v_addc_co_u32_e32 v29, vcc, 0, v57, vcc
	global_load_dwordx2 v[28:29], v[28:29], off offset:2560
	s_or_b64 exec, exec, s[82:83]
	v_cmp_lt_u32_e32 vcc, v125, v156
	s_and_saveexec_b64 s[82:83], vcc
	s_cbranch_execnz .LBB942_227
.LBB942_276:                            ;   in Loop: Header=BB942_110 Depth=2
	s_or_b64 exec, exec, s[82:83]
	v_cmp_lt_u32_e32 vcc, v126, v156
	s_and_saveexec_b64 s[82:83], vcc
	s_cbranch_execz .LBB942_228
.LBB942_277:                            ;   in Loop: Header=BB942_110 Depth=2
	v_add_co_u32_e32 v24, vcc, 0x1000, v56
	v_addc_co_u32_e32 v25, vcc, 0, v57, vcc
	global_load_dwordx2 v[24:25], v[24:25], off offset:3584
	s_or_b64 exec, exec, s[82:83]
	v_cmp_lt_u32_e32 vcc, v127, v156
	s_and_saveexec_b64 s[82:83], vcc
	s_cbranch_execnz .LBB942_229
.LBB942_278:                            ;   in Loop: Header=BB942_110 Depth=2
	s_or_b64 exec, exec, s[82:83]
	s_and_saveexec_b64 s[82:83], s[40:41]
	s_cbranch_execz .LBB942_230
.LBB942_279:                            ;   in Loop: Header=BB942_110 Depth=2
	v_add_u32_e32 v56, v70, v75
	ds_read_u16 v56, v56 offset:512
	s_waitcnt lgkmcnt(0)
	v_lshrrev_b32_e32 v56, s99, v56
	v_and_b32_e32 v152, s6, v56
	s_or_b64 exec, exec, s[82:83]
	s_and_saveexec_b64 s[82:83], s[42:43]
	s_cbranch_execnz .LBB942_231
.LBB942_280:                            ;   in Loop: Header=BB942_110 Depth=2
	s_or_b64 exec, exec, s[82:83]
	s_and_saveexec_b64 s[82:83], s[44:45]
	s_cbranch_execz .LBB942_232
.LBB942_281:                            ;   in Loop: Header=BB942_110 Depth=2
	ds_read_u16 v56, v76 offset:1024
	s_waitcnt lgkmcnt(0)
	v_lshrrev_b32_e32 v56, s99, v56
	v_and_b32_e32 v149, s6, v56
	s_or_b64 exec, exec, s[82:83]
	s_and_saveexec_b64 s[82:83], s[46:47]
	s_cbranch_execnz .LBB942_233
.LBB942_282:                            ;   in Loop: Header=BB942_110 Depth=2
	s_or_b64 exec, exec, s[82:83]
	s_and_saveexec_b64 s[82:83], s[48:49]
	s_cbranch_execz .LBB942_234
.LBB942_283:                            ;   in Loop: Header=BB942_110 Depth=2
	ds_read_u16 v56, v76 offset:2048
	s_waitcnt lgkmcnt(0)
	v_lshrrev_b32_e32 v56, s99, v56
	v_and_b32_e32 v146, s6, v56
	s_or_b64 exec, exec, s[82:83]
	s_and_saveexec_b64 s[82:83], s[50:51]
	s_cbranch_execnz .LBB942_235
.LBB942_284:                            ;   in Loop: Header=BB942_110 Depth=2
	s_or_b64 exec, exec, s[82:83]
	s_and_saveexec_b64 s[82:83], s[52:53]
	s_cbranch_execz .LBB942_236
.LBB942_285:                            ;   in Loop: Header=BB942_110 Depth=2
	ds_read_u16 v56, v76 offset:3072
	s_waitcnt lgkmcnt(0)
	v_lshrrev_b32_e32 v56, s99, v56
	v_and_b32_e32 v144, s6, v56
	s_or_b64 exec, exec, s[82:83]
	s_and_saveexec_b64 s[82:83], s[54:55]
	s_cbranch_execnz .LBB942_237
.LBB942_286:                            ;   in Loop: Header=BB942_110 Depth=2
	s_or_b64 exec, exec, s[82:83]
	s_and_saveexec_b64 s[82:83], s[56:57]
	s_cbranch_execz .LBB942_238
.LBB942_287:                            ;   in Loop: Header=BB942_110 Depth=2
	ds_read_u16 v56, v76 offset:4096
	s_waitcnt lgkmcnt(0)
	v_lshrrev_b32_e32 v56, s99, v56
	v_and_b32_e32 v142, s6, v56
	s_or_b64 exec, exec, s[82:83]
	s_and_saveexec_b64 s[82:83], s[58:59]
	s_cbranch_execnz .LBB942_239
.LBB942_288:                            ;   in Loop: Header=BB942_110 Depth=2
	s_or_b64 exec, exec, s[82:83]
	s_and_saveexec_b64 s[82:83], s[60:61]
	s_cbranch_execz .LBB942_240
.LBB942_289:                            ;   in Loop: Header=BB942_110 Depth=2
	ds_read_u16 v56, v76 offset:5120
	s_waitcnt lgkmcnt(0)
	v_lshrrev_b32_e32 v56, s99, v56
	v_and_b32_e32 v140, s6, v56
	s_or_b64 exec, exec, s[82:83]
	s_and_saveexec_b64 s[82:83], s[62:63]
	s_cbranch_execnz .LBB942_241
.LBB942_290:                            ;   in Loop: Header=BB942_110 Depth=2
	s_or_b64 exec, exec, s[82:83]
	s_and_saveexec_b64 s[82:83], s[64:65]
	s_cbranch_execz .LBB942_242
.LBB942_291:                            ;   in Loop: Header=BB942_110 Depth=2
	ds_read_u16 v56, v76 offset:6144
	s_waitcnt lgkmcnt(0)
	v_lshrrev_b32_e32 v56, s99, v56
	v_and_b32_e32 v138, s6, v56
	s_or_b64 exec, exec, s[82:83]
	s_and_saveexec_b64 s[82:83], s[66:67]
	s_cbranch_execnz .LBB942_243
.LBB942_292:                            ;   in Loop: Header=BB942_110 Depth=2
	s_or_b64 exec, exec, s[82:83]
	s_and_saveexec_b64 s[82:83], s[68:69]
	s_cbranch_execz .LBB942_244
.LBB942_293:                            ;   in Loop: Header=BB942_110 Depth=2
	ds_read_u16 v56, v76 offset:7168
	s_waitcnt lgkmcnt(0)
	v_lshrrev_b32_e32 v56, s99, v56
	v_and_b32_e32 v136, s6, v56
	s_or_b64 exec, exec, s[82:83]
	s_and_saveexec_b64 s[82:83], s[70:71]
	s_cbranch_execnz .LBB942_245
.LBB942_294:                            ;   in Loop: Header=BB942_110 Depth=2
	s_or_b64 exec, exec, s[82:83]
	s_and_saveexec_b64 s[82:83], s[72:73]
	s_cbranch_execz .LBB942_296
.LBB942_295:                            ;   in Loop: Header=BB942_110 Depth=2
	ds_read_u16 v56, v76 offset:8192
	s_waitcnt lgkmcnt(0)
	v_lshrrev_b32_e32 v56, s99, v56
	v_and_b32_e32 v134, s6, v56
.LBB942_296:                            ;   in Loop: Header=BB942_110 Depth=2
	s_or_b64 exec, exec, s[82:83]
	v_lshlrev_b32_e32 v56, 3, v179
	s_barrier
	s_waitcnt vmcnt(0)
	ds_write_b64 v56, v[54:55] offset:512
	v_lshlrev_b32_e32 v56, 3, v175
	ds_write_b64 v56, v[52:53] offset:512
	v_lshlrev_b32_e32 v56, 3, v174
	;; [unrolled: 2-line block ×15, first 2 shown]
	v_lshlrev_b32_e32 v5, 3, v5
	ds_write_b64 v56, v[24:25] offset:512
	ds_write_b64 v5, v[0:1] offset:512
	s_waitcnt lgkmcnt(0)
	s_barrier
	s_and_saveexec_b64 s[82:83], s[40:41]
	s_cbranch_execz .LBB942_316
; %bb.297:                              ;   in Loop: Header=BB942_110 Depth=2
	v_lshlrev_b32_e32 v5, 2, v152
	ds_read_b32 v5, v5
	ds_read_b64 v[56:57], v68 offset:512
	v_mov_b32_e32 v157, v4
	v_mov_b32_e32 v158, s85
	s_waitcnt lgkmcnt(1)
	v_add_u32_e32 v156, v5, v2
	v_lshlrev_b64 v[156:157], 3, v[156:157]
	v_add_co_u32_e32 v156, vcc, s84, v156
	v_addc_co_u32_e32 v157, vcc, v158, v157, vcc
	s_waitcnt lgkmcnt(0)
	global_store_dwordx2 v[156:157], v[56:57], off
	s_or_b64 exec, exec, s[82:83]
	s_and_saveexec_b64 s[40:41], s[42:43]
	s_cbranch_execnz .LBB942_317
.LBB942_298:                            ;   in Loop: Header=BB942_110 Depth=2
	s_or_b64 exec, exec, s[40:41]
	s_and_saveexec_b64 s[40:41], s[44:45]
	s_cbranch_execz .LBB942_318
.LBB942_299:                            ;   in Loop: Header=BB942_110 Depth=2
	v_lshlrev_b32_e32 v5, 2, v149
	ds_read_b32 v5, v5
	v_add_u32_e32 v56, v76, v77
	ds_read_b64 v[56:57], v56 offset:4096
	v_mov_b32_e32 v157, v4
	v_mov_b32_e32 v158, s85
	s_waitcnt lgkmcnt(1)
	v_add_u32_e32 v156, v5, v13
	v_lshlrev_b64 v[156:157], 3, v[156:157]
	v_add_co_u32_e32 v156, vcc, s84, v156
	v_addc_co_u32_e32 v157, vcc, v158, v157, vcc
	s_waitcnt lgkmcnt(0)
	global_store_dwordx2 v[156:157], v[56:57], off
	s_or_b64 exec, exec, s[40:41]
	s_and_saveexec_b64 s[40:41], s[46:47]
	s_cbranch_execnz .LBB942_319
.LBB942_300:                            ;   in Loop: Header=BB942_110 Depth=2
	s_or_b64 exec, exec, s[40:41]
	s_and_saveexec_b64 s[40:41], s[48:49]
	s_cbranch_execz .LBB942_320
.LBB942_301:                            ;   in Loop: Header=BB942_110 Depth=2
	v_lshlrev_b32_e32 v5, 2, v146
	ds_read_b32 v5, v5
	v_add_u32_e32 v56, v76, v77
	ds_read_b64 v[56:57], v56 offset:8192
	v_mov_b32_e32 v157, v4
	v_mov_b32_e32 v158, s85
	s_waitcnt lgkmcnt(1)
	v_add_u32_e32 v156, v5, v17
	v_lshlrev_b64 v[156:157], 3, v[156:157]
	v_add_co_u32_e32 v156, vcc, s84, v156
	v_addc_co_u32_e32 v157, vcc, v158, v157, vcc
	s_waitcnt lgkmcnt(0)
	global_store_dwordx2 v[156:157], v[56:57], off
	s_or_b64 exec, exec, s[40:41]
	s_and_saveexec_b64 s[40:41], s[50:51]
	s_cbranch_execnz .LBB942_321
.LBB942_302:                            ;   in Loop: Header=BB942_110 Depth=2
	s_or_b64 exec, exec, s[40:41]
	s_and_saveexec_b64 s[40:41], s[52:53]
	s_cbranch_execz .LBB942_322
.LBB942_303:                            ;   in Loop: Header=BB942_110 Depth=2
	v_lshlrev_b32_e32 v5, 2, v144
	ds_read_b32 v5, v5
	v_add_u32_e32 v56, v76, v77
	ds_read_b64 v[56:57], v56 offset:12288
	v_mov_b32_e32 v157, v4
	v_mov_b32_e32 v158, s85
	s_waitcnt lgkmcnt(1)
	v_add_u32_e32 v156, v5, v21
	v_lshlrev_b64 v[156:157], 3, v[156:157]
	v_add_co_u32_e32 v156, vcc, s84, v156
	v_addc_co_u32_e32 v157, vcc, v158, v157, vcc
	s_waitcnt lgkmcnt(0)
	global_store_dwordx2 v[156:157], v[56:57], off
	s_or_b64 exec, exec, s[40:41]
	s_and_saveexec_b64 s[40:41], s[54:55]
	s_cbranch_execnz .LBB942_323
.LBB942_304:                            ;   in Loop: Header=BB942_110 Depth=2
	s_or_b64 exec, exec, s[40:41]
	s_and_saveexec_b64 s[40:41], s[56:57]
	s_cbranch_execz .LBB942_324
.LBB942_305:                            ;   in Loop: Header=BB942_110 Depth=2
	v_lshlrev_b32_e32 v5, 2, v142
	ds_read_b32 v5, v5
	v_add_u32_e32 v56, v76, v77
	ds_read_b64 v[56:57], v56 offset:16384
	v_mov_b32_e32 v157, v4
	v_mov_b32_e32 v158, s85
	s_waitcnt lgkmcnt(1)
	v_add_u32_e32 v156, v5, v6
	v_lshlrev_b64 v[156:157], 3, v[156:157]
	v_add_co_u32_e32 v156, vcc, s84, v156
	v_addc_co_u32_e32 v157, vcc, v158, v157, vcc
	s_waitcnt lgkmcnt(0)
	global_store_dwordx2 v[156:157], v[56:57], off
	s_or_b64 exec, exec, s[40:41]
	s_and_saveexec_b64 s[40:41], s[58:59]
	s_cbranch_execnz .LBB942_325
.LBB942_306:                            ;   in Loop: Header=BB942_110 Depth=2
	s_or_b64 exec, exec, s[40:41]
	s_and_saveexec_b64 s[40:41], s[60:61]
	s_cbranch_execz .LBB942_326
.LBB942_307:                            ;   in Loop: Header=BB942_110 Depth=2
	v_lshlrev_b32_e32 v5, 2, v140
	ds_read_b32 v5, v5
	v_add_u32_e32 v56, v76, v77
	ds_read_b64 v[56:57], v56 offset:20480
	v_mov_b32_e32 v157, v4
	v_mov_b32_e32 v158, s85
	s_waitcnt lgkmcnt(1)
	v_add_u32_e32 v156, v5, v10
	v_lshlrev_b64 v[156:157], 3, v[156:157]
	v_add_co_u32_e32 v156, vcc, s84, v156
	v_addc_co_u32_e32 v157, vcc, v158, v157, vcc
	s_waitcnt lgkmcnt(0)
	global_store_dwordx2 v[156:157], v[56:57], off
	s_or_b64 exec, exec, s[40:41]
	s_and_saveexec_b64 s[40:41], s[62:63]
	s_cbranch_execnz .LBB942_327
.LBB942_308:                            ;   in Loop: Header=BB942_110 Depth=2
	s_or_b64 exec, exec, s[40:41]
	s_and_saveexec_b64 s[40:41], s[64:65]
	s_cbranch_execz .LBB942_328
.LBB942_309:                            ;   in Loop: Header=BB942_110 Depth=2
	v_lshlrev_b32_e32 v5, 2, v138
	ds_read_b32 v5, v5
	v_add_u32_e32 v56, v76, v77
	ds_read_b64 v[56:57], v56 offset:24576
	v_mov_b32_e32 v157, v4
	v_mov_b32_e32 v158, s85
	s_waitcnt lgkmcnt(1)
	v_add_u32_e32 v156, v5, v14
	v_lshlrev_b64 v[156:157], 3, v[156:157]
	v_add_co_u32_e32 v156, vcc, s84, v156
	v_addc_co_u32_e32 v157, vcc, v158, v157, vcc
	s_waitcnt lgkmcnt(0)
	global_store_dwordx2 v[156:157], v[56:57], off
	s_or_b64 exec, exec, s[40:41]
	s_and_saveexec_b64 s[40:41], s[66:67]
	s_cbranch_execnz .LBB942_329
.LBB942_310:                            ;   in Loop: Header=BB942_110 Depth=2
	s_or_b64 exec, exec, s[40:41]
	s_and_saveexec_b64 s[40:41], s[68:69]
	s_cbranch_execz .LBB942_330
.LBB942_311:                            ;   in Loop: Header=BB942_110 Depth=2
	v_lshlrev_b32_e32 v5, 2, v136
	ds_read_b32 v5, v5
	v_add_u32_e32 v56, v76, v77
	ds_read_b64 v[56:57], v56 offset:28672
	v_mov_b32_e32 v157, v4
	v_mov_b32_e32 v158, s85
	s_waitcnt lgkmcnt(1)
	v_add_u32_e32 v156, v5, v18
	v_lshlrev_b64 v[156:157], 3, v[156:157]
	v_add_co_u32_e32 v156, vcc, s84, v156
	v_addc_co_u32_e32 v157, vcc, v158, v157, vcc
	s_waitcnt lgkmcnt(0)
	global_store_dwordx2 v[156:157], v[56:57], off
	s_or_b64 exec, exec, s[40:41]
	s_and_saveexec_b64 s[40:41], s[70:71]
	s_cbranch_execnz .LBB942_331
.LBB942_312:                            ;   in Loop: Header=BB942_110 Depth=2
	s_or_b64 exec, exec, s[40:41]
	s_and_saveexec_b64 s[40:41], s[72:73]
	s_cbranch_execz .LBB942_314
.LBB942_313:                            ;   in Loop: Header=BB942_110 Depth=2
	v_lshlrev_b32_e32 v5, 2, v134
	ds_read_b32 v5, v5
	v_add_u32_e32 v56, v76, v77
	ds_read_b64 v[56:57], v56 offset:32768
	v_mov_b32_e32 v157, v4
	v_mov_b32_e32 v158, s85
	s_waitcnt lgkmcnt(1)
	v_add_u32_e32 v156, v5, v22
	v_lshlrev_b64 v[156:157], 3, v[156:157]
	v_add_co_u32_e32 v156, vcc, s84, v156
	v_addc_co_u32_e32 v157, vcc, v158, v157, vcc
	s_waitcnt lgkmcnt(0)
	global_store_dwordx2 v[156:157], v[56:57], off
.LBB942_314:                            ;   in Loop: Header=BB942_110 Depth=2
	s_or_b64 exec, exec, s[40:41]
	s_barrier
	s_and_saveexec_b64 s[40:41], s[4:5]
	s_cbranch_execz .LBB942_109
; %bb.315:                              ;   in Loop: Header=BB942_110 Depth=2
	ds_read_b32 v5, v3
	s_waitcnt lgkmcnt(0)
	v_add3_u32 v5, v154, v155, v5
	ds_write_b32 v3, v5
	s_branch .LBB942_109
.LBB942_316:                            ;   in Loop: Header=BB942_110 Depth=2
	s_or_b64 exec, exec, s[82:83]
	s_and_saveexec_b64 s[40:41], s[42:43]
	s_cbranch_execz .LBB942_298
.LBB942_317:                            ;   in Loop: Header=BB942_110 Depth=2
	v_lshlrev_b32_e32 v5, 2, v150
	ds_read_b32 v5, v5
	v_add_u32_e32 v56, v76, v77
	ds_read_b64 v[56:57], v56 offset:2048
	v_mov_b32_e32 v157, v4
	v_mov_b32_e32 v158, s85
	s_waitcnt lgkmcnt(1)
	v_add_u32_e32 v156, v5, v7
	v_lshlrev_b64 v[156:157], 3, v[156:157]
	v_add_co_u32_e32 v156, vcc, s84, v156
	v_addc_co_u32_e32 v157, vcc, v158, v157, vcc
	s_waitcnt lgkmcnt(0)
	global_store_dwordx2 v[156:157], v[56:57], off
	s_or_b64 exec, exec, s[40:41]
	s_and_saveexec_b64 s[40:41], s[44:45]
	s_cbranch_execnz .LBB942_299
.LBB942_318:                            ;   in Loop: Header=BB942_110 Depth=2
	s_or_b64 exec, exec, s[40:41]
	s_and_saveexec_b64 s[40:41], s[46:47]
	s_cbranch_execz .LBB942_300
.LBB942_319:                            ;   in Loop: Header=BB942_110 Depth=2
	v_lshlrev_b32_e32 v5, 2, v147
	ds_read_b32 v5, v5
	v_add_u32_e32 v56, v76, v77
	ds_read_b64 v[56:57], v56 offset:6144
	v_mov_b32_e32 v157, v4
	v_mov_b32_e32 v158, s85
	s_waitcnt lgkmcnt(1)
	v_add_u32_e32 v156, v5, v15
	v_lshlrev_b64 v[156:157], 3, v[156:157]
	v_add_co_u32_e32 v156, vcc, s84, v156
	v_addc_co_u32_e32 v157, vcc, v158, v157, vcc
	s_waitcnt lgkmcnt(0)
	global_store_dwordx2 v[156:157], v[56:57], off
	s_or_b64 exec, exec, s[40:41]
	s_and_saveexec_b64 s[40:41], s[48:49]
	s_cbranch_execnz .LBB942_301
.LBB942_320:                            ;   in Loop: Header=BB942_110 Depth=2
	s_or_b64 exec, exec, s[40:41]
	s_and_saveexec_b64 s[40:41], s[50:51]
	s_cbranch_execz .LBB942_302
.LBB942_321:                            ;   in Loop: Header=BB942_110 Depth=2
	v_lshlrev_b32_e32 v5, 2, v145
	ds_read_b32 v5, v5
	v_add_u32_e32 v56, v76, v77
	ds_read_b64 v[56:57], v56 offset:10240
	v_mov_b32_e32 v157, v4
	v_mov_b32_e32 v158, s85
	s_waitcnt lgkmcnt(1)
	v_add_u32_e32 v156, v5, v19
	v_lshlrev_b64 v[156:157], 3, v[156:157]
	v_add_co_u32_e32 v156, vcc, s84, v156
	v_addc_co_u32_e32 v157, vcc, v158, v157, vcc
	s_waitcnt lgkmcnt(0)
	global_store_dwordx2 v[156:157], v[56:57], off
	s_or_b64 exec, exec, s[40:41]
	s_and_saveexec_b64 s[40:41], s[52:53]
	s_cbranch_execnz .LBB942_303
.LBB942_322:                            ;   in Loop: Header=BB942_110 Depth=2
	s_or_b64 exec, exec, s[40:41]
	s_and_saveexec_b64 s[40:41], s[54:55]
	s_cbranch_execz .LBB942_304
.LBB942_323:                            ;   in Loop: Header=BB942_110 Depth=2
	v_lshlrev_b32_e32 v5, 2, v143
	ds_read_b32 v5, v5
	v_add_u32_e32 v56, v76, v77
	ds_read_b64 v[56:57], v56 offset:14336
	v_mov_b32_e32 v157, v4
	v_mov_b32_e32 v158, s85
	s_waitcnt lgkmcnt(1)
	v_add_u32_e32 v156, v5, v23
	v_lshlrev_b64 v[156:157], 3, v[156:157]
	v_add_co_u32_e32 v156, vcc, s84, v156
	v_addc_co_u32_e32 v157, vcc, v158, v157, vcc
	s_waitcnt lgkmcnt(0)
	global_store_dwordx2 v[156:157], v[56:57], off
	s_or_b64 exec, exec, s[40:41]
	s_and_saveexec_b64 s[40:41], s[56:57]
	s_cbranch_execnz .LBB942_305
.LBB942_324:                            ;   in Loop: Header=BB942_110 Depth=2
	s_or_b64 exec, exec, s[40:41]
	s_and_saveexec_b64 s[40:41], s[58:59]
	s_cbranch_execz .LBB942_306
.LBB942_325:                            ;   in Loop: Header=BB942_110 Depth=2
	v_lshlrev_b32_e32 v5, 2, v141
	ds_read_b32 v5, v5
	v_add_u32_e32 v56, v76, v77
	ds_read_b64 v[56:57], v56 offset:18432
	v_mov_b32_e32 v157, v4
	v_mov_b32_e32 v158, s85
	s_waitcnt lgkmcnt(1)
	v_add_u32_e32 v156, v5, v8
	v_lshlrev_b64 v[156:157], 3, v[156:157]
	v_add_co_u32_e32 v156, vcc, s84, v156
	v_addc_co_u32_e32 v157, vcc, v158, v157, vcc
	s_waitcnt lgkmcnt(0)
	global_store_dwordx2 v[156:157], v[56:57], off
	s_or_b64 exec, exec, s[40:41]
	s_and_saveexec_b64 s[40:41], s[60:61]
	s_cbranch_execnz .LBB942_307
.LBB942_326:                            ;   in Loop: Header=BB942_110 Depth=2
	s_or_b64 exec, exec, s[40:41]
	s_and_saveexec_b64 s[40:41], s[62:63]
	s_cbranch_execz .LBB942_308
.LBB942_327:                            ;   in Loop: Header=BB942_110 Depth=2
	v_lshlrev_b32_e32 v5, 2, v139
	ds_read_b32 v5, v5
	v_add_u32_e32 v56, v76, v77
	ds_read_b64 v[56:57], v56 offset:22528
	v_mov_b32_e32 v157, v4
	v_mov_b32_e32 v158, s85
	s_waitcnt lgkmcnt(1)
	v_add_u32_e32 v156, v5, v12
	v_lshlrev_b64 v[156:157], 3, v[156:157]
	v_add_co_u32_e32 v156, vcc, s84, v156
	v_addc_co_u32_e32 v157, vcc, v158, v157, vcc
	s_waitcnt lgkmcnt(0)
	global_store_dwordx2 v[156:157], v[56:57], off
	s_or_b64 exec, exec, s[40:41]
	s_and_saveexec_b64 s[40:41], s[64:65]
	s_cbranch_execnz .LBB942_309
.LBB942_328:                            ;   in Loop: Header=BB942_110 Depth=2
	s_or_b64 exec, exec, s[40:41]
	s_and_saveexec_b64 s[40:41], s[66:67]
	s_cbranch_execz .LBB942_310
.LBB942_329:                            ;   in Loop: Header=BB942_110 Depth=2
	v_lshlrev_b32_e32 v5, 2, v137
	ds_read_b32 v5, v5
	v_add_u32_e32 v56, v76, v77
	ds_read_b64 v[56:57], v56 offset:26624
	v_mov_b32_e32 v157, v4
	v_mov_b32_e32 v158, s85
	s_waitcnt lgkmcnt(1)
	v_add_u32_e32 v156, v5, v16
	v_lshlrev_b64 v[156:157], 3, v[156:157]
	v_add_co_u32_e32 v156, vcc, s84, v156
	v_addc_co_u32_e32 v157, vcc, v158, v157, vcc
	s_waitcnt lgkmcnt(0)
	global_store_dwordx2 v[156:157], v[56:57], off
	s_or_b64 exec, exec, s[40:41]
	s_and_saveexec_b64 s[40:41], s[68:69]
	s_cbranch_execnz .LBB942_311
.LBB942_330:                            ;   in Loop: Header=BB942_110 Depth=2
	s_or_b64 exec, exec, s[40:41]
	s_and_saveexec_b64 s[40:41], s[70:71]
	s_cbranch_execz .LBB942_312
.LBB942_331:                            ;   in Loop: Header=BB942_110 Depth=2
	v_lshlrev_b32_e32 v5, 2, v135
	ds_read_b32 v5, v5
	v_add_u32_e32 v56, v76, v77
	ds_read_b64 v[56:57], v56 offset:30720
	v_mov_b32_e32 v157, v4
	v_mov_b32_e32 v158, s85
	s_waitcnt lgkmcnt(1)
	v_add_u32_e32 v156, v5, v20
	v_lshlrev_b64 v[156:157], 3, v[156:157]
	v_add_co_u32_e32 v156, vcc, s84, v156
	v_addc_co_u32_e32 v157, vcc, v158, v157, vcc
	s_waitcnt lgkmcnt(0)
	global_store_dwordx2 v[156:157], v[56:57], off
	s_or_b64 exec, exec, s[40:41]
	s_and_saveexec_b64 s[40:41], s[72:73]
	s_cbranch_execnz .LBB942_313
	s_branch .LBB942_314
.LBB942_332:                            ;   in Loop: Header=BB942_20 Depth=1
	s_waitcnt lgkmcnt(0)
	s_barrier
	s_mov_b64 s[20:21], 0
.LBB942_333:                            ;   in Loop: Header=BB942_20 Depth=1
	s_and_b64 vcc, exec, s[20:21]
	s_cbranch_vccz .LBB942_645
; %bb.334:                              ;   in Loop: Header=BB942_20 Depth=1
	s_mov_b32 s7, s91
	s_mov_b32 s94, s75
	s_barrier
	s_waitcnt lgkmcnt(0)
                                        ; implicit-def: $vgpr39
                                        ; implicit-def: $vgpr5
                                        ; implicit-def: $vgpr24
                                        ; implicit-def: $vgpr25
                                        ; implicit-def: $vgpr26
                                        ; implicit-def: $vgpr27
                                        ; implicit-def: $vgpr28
                                        ; implicit-def: $vgpr29
                                        ; implicit-def: $vgpr30
                                        ; implicit-def: $vgpr31
                                        ; implicit-def: $vgpr32
                                        ; implicit-def: $vgpr33
                                        ; implicit-def: $vgpr34
                                        ; implicit-def: $vgpr35
                                        ; implicit-def: $vgpr36
                                        ; implicit-def: $vgpr37
                                        ; implicit-def: $vgpr38
	s_branch .LBB942_336
.LBB942_335:                            ;   in Loop: Header=BB942_336 Depth=2
	s_or_b64 exec, exec, s[20:21]
	s_addk_i32 s7, 0xef00
	s_cmp_ge_u32 s8, s98
	s_mov_b32 s94, s8
	s_cbranch_scc1 .LBB942_410
.LBB942_336:                            ;   Parent Loop BB942_20 Depth=1
                                        ; =>  This Inner Loop Header: Depth=2
	s_add_i32 s8, s94, 0x1100
	s_cmp_gt_u32 s8, s98
	s_cbranch_scc1 .LBB942_339
; %bb.337:                              ;   in Loop: Header=BB942_336 Depth=2
	s_lshl_b64 s[20:21], s[94:95], 1
	v_mov_b32_e32 v1, s21
	v_add_co_u32_e32 v0, vcc, s20, v78
	v_addc_co_u32_e32 v1, vcc, v79, v1, vcc
	s_waitcnt vmcnt(0)
	v_add_co_u32_e32 v56, vcc, s88, v0
	v_addc_co_u32_e32 v57, vcc, 0, v1, vcc
	global_load_ushort v41, v[0:1], off
	global_load_ushort v42, v[0:1], off offset:512
	global_load_ushort v43, v[0:1], off offset:1024
	;; [unrolled: 1-line block ×7, first 2 shown]
	global_load_ushort v49, v[56:57], off
	global_load_ushort v50, v[56:57], off offset:512
	global_load_ushort v51, v[56:57], off offset:1024
	;; [unrolled: 1-line block ×6, first 2 shown]
	s_nop 0
	global_load_ushort v56, v[56:57], off offset:3584
	v_add_co_u32_e32 v0, vcc, 0x2000, v0
	v_addc_co_u32_e32 v1, vcc, 0, v1, vcc
	s_mov_b64 s[20:21], -1
	s_movk_i32 s9, 0x1100
	s_cbranch_execz .LBB942_340
; %bb.338:                              ;   in Loop: Header=BB942_336 Depth=2
                                        ; implicit-def: $vgpr38
                                        ; implicit-def: $vgpr37
                                        ; implicit-def: $vgpr36
                                        ; implicit-def: $vgpr35
                                        ; implicit-def: $vgpr34
                                        ; implicit-def: $vgpr33
                                        ; implicit-def: $vgpr32
                                        ; implicit-def: $vgpr31
                                        ; implicit-def: $vgpr30
                                        ; implicit-def: $vgpr29
                                        ; implicit-def: $vgpr28
                                        ; implicit-def: $vgpr27
                                        ; implicit-def: $vgpr26
                                        ; implicit-def: $vgpr25
                                        ; implicit-def: $vgpr24
                                        ; implicit-def: $vgpr5
                                        ; implicit-def: $vgpr39
	v_mov_b32_e32 v40, s7
	s_and_saveexec_b64 s[22:23], s[20:21]
	s_cbranch_execnz .LBB942_375
	s_branch .LBB942_376
.LBB942_339:                            ;   in Loop: Header=BB942_336 Depth=2
	s_mov_b64 s[20:21], 0
                                        ; implicit-def: $sgpr9
                                        ; implicit-def: $vgpr41
                                        ; implicit-def: $vgpr42
                                        ; implicit-def: $vgpr43
                                        ; implicit-def: $vgpr44
                                        ; implicit-def: $vgpr45
                                        ; implicit-def: $vgpr46
                                        ; implicit-def: $vgpr47
                                        ; implicit-def: $vgpr48
                                        ; implicit-def: $vgpr49
                                        ; implicit-def: $vgpr50
                                        ; implicit-def: $vgpr51
                                        ; implicit-def: $vgpr52
                                        ; implicit-def: $vgpr53
                                        ; implicit-def: $vgpr54
                                        ; implicit-def: $vgpr55
                                        ; implicit-def: $vgpr56
                                        ; implicit-def: $vgpr0_vgpr1
.LBB942_340:                            ;   in Loop: Header=BB942_336 Depth=2
	s_lshl_b64 s[22:23], s[94:95], 1
	s_add_u32 s22, s78, s22
	s_addc_u32 s23, s79, s23
	v_cmp_gt_u32_e32 vcc, s7, v2
	s_and_saveexec_b64 s[24:25], vcc
	s_cbranch_execz .LBB942_356
; %bb.341:                              ;   in Loop: Header=BB942_336 Depth=2
	global_load_ushort v38, v92, s[22:23]
	s_or_b64 exec, exec, s[24:25]
	v_cmp_gt_u32_e32 vcc, s7, v7
	s_and_saveexec_b64 s[24:25], vcc
	s_cbranch_execnz .LBB942_357
.LBB942_342:                            ;   in Loop: Header=BB942_336 Depth=2
	s_or_b64 exec, exec, s[24:25]
	v_cmp_gt_u32_e32 vcc, s7, v13
	s_and_saveexec_b64 s[24:25], vcc
	s_cbranch_execz .LBB942_358
.LBB942_343:                            ;   in Loop: Header=BB942_336 Depth=2
	global_load_ushort v36, v92, s[22:23] offset:1024
	s_or_b64 exec, exec, s[24:25]
	v_cmp_gt_u32_e32 vcc, s7, v15
	s_and_saveexec_b64 s[24:25], vcc
	s_cbranch_execnz .LBB942_359
.LBB942_344:                            ;   in Loop: Header=BB942_336 Depth=2
	s_or_b64 exec, exec, s[24:25]
	v_cmp_gt_u32_e32 vcc, s7, v17
	s_and_saveexec_b64 s[24:25], vcc
	s_cbranch_execz .LBB942_360
.LBB942_345:                            ;   in Loop: Header=BB942_336 Depth=2
	global_load_ushort v34, v92, s[22:23] offset:2048
	s_or_b64 exec, exec, s[24:25]
	v_cmp_gt_u32_e32 vcc, s7, v19
	s_and_saveexec_b64 s[24:25], vcc
	s_cbranch_execnz .LBB942_361
.LBB942_346:                            ;   in Loop: Header=BB942_336 Depth=2
	s_or_b64 exec, exec, s[24:25]
	v_cmp_gt_u32_e32 vcc, s7, v21
	s_and_saveexec_b64 s[24:25], vcc
	s_cbranch_execz .LBB942_362
.LBB942_347:                            ;   in Loop: Header=BB942_336 Depth=2
	global_load_ushort v32, v92, s[22:23] offset:3072
	s_or_b64 exec, exec, s[24:25]
	v_cmp_gt_u32_e32 vcc, s7, v23
	s_and_saveexec_b64 s[24:25], vcc
	s_cbranch_execnz .LBB942_363
.LBB942_348:                            ;   in Loop: Header=BB942_336 Depth=2
	s_or_b64 exec, exec, s[24:25]
	v_cmp_gt_u32_e32 vcc, s7, v6
	s_and_saveexec_b64 s[24:25], vcc
	s_cbranch_execz .LBB942_364
.LBB942_349:                            ;   in Loop: Header=BB942_336 Depth=2
	global_load_ushort v30, v93, s[22:23]
	s_or_b64 exec, exec, s[24:25]
	v_cmp_gt_u32_e32 vcc, s7, v8
	s_and_saveexec_b64 s[24:25], vcc
	s_cbranch_execnz .LBB942_365
.LBB942_350:                            ;   in Loop: Header=BB942_336 Depth=2
	s_or_b64 exec, exec, s[24:25]
	v_cmp_gt_u32_e32 vcc, s7, v10
	s_and_saveexec_b64 s[24:25], vcc
	s_cbranch_execz .LBB942_366
.LBB942_351:                            ;   in Loop: Header=BB942_336 Depth=2
	global_load_ushort v28, v95, s[22:23]
	s_or_b64 exec, exec, s[24:25]
	v_cmp_gt_u32_e32 vcc, s7, v12
	s_and_saveexec_b64 s[24:25], vcc
	s_cbranch_execnz .LBB942_367
.LBB942_352:                            ;   in Loop: Header=BB942_336 Depth=2
	s_or_b64 exec, exec, s[24:25]
	v_cmp_gt_u32_e32 vcc, s7, v14
	s_and_saveexec_b64 s[24:25], vcc
	s_cbranch_execz .LBB942_368
.LBB942_353:                            ;   in Loop: Header=BB942_336 Depth=2
	global_load_ushort v26, v97, s[22:23]
	s_or_b64 exec, exec, s[24:25]
	v_cmp_gt_u32_e32 vcc, s7, v16
	s_and_saveexec_b64 s[24:25], vcc
	s_cbranch_execnz .LBB942_369
.LBB942_354:                            ;   in Loop: Header=BB942_336 Depth=2
	s_or_b64 exec, exec, s[24:25]
	v_cmp_gt_u32_e32 vcc, s7, v18
	s_and_saveexec_b64 s[24:25], vcc
	s_cbranch_execz .LBB942_370
.LBB942_355:                            ;   in Loop: Header=BB942_336 Depth=2
	global_load_ushort v24, v99, s[22:23]
	s_or_b64 exec, exec, s[24:25]
	v_cmp_gt_u32_e32 vcc, s7, v20
	s_and_saveexec_b64 s[24:25], vcc
	s_cbranch_execz .LBB942_372
	s_branch .LBB942_371
.LBB942_356:                            ;   in Loop: Header=BB942_336 Depth=2
	s_or_b64 exec, exec, s[24:25]
	v_cmp_gt_u32_e32 vcc, s7, v7
	s_and_saveexec_b64 s[24:25], vcc
	s_cbranch_execz .LBB942_342
.LBB942_357:                            ;   in Loop: Header=BB942_336 Depth=2
	global_load_ushort v37, v92, s[22:23] offset:512
	s_or_b64 exec, exec, s[24:25]
	v_cmp_gt_u32_e32 vcc, s7, v13
	s_and_saveexec_b64 s[24:25], vcc
	s_cbranch_execnz .LBB942_343
.LBB942_358:                            ;   in Loop: Header=BB942_336 Depth=2
	s_or_b64 exec, exec, s[24:25]
	v_cmp_gt_u32_e32 vcc, s7, v15
	s_and_saveexec_b64 s[24:25], vcc
	s_cbranch_execz .LBB942_344
.LBB942_359:                            ;   in Loop: Header=BB942_336 Depth=2
	global_load_ushort v35, v92, s[22:23] offset:1536
	s_or_b64 exec, exec, s[24:25]
	v_cmp_gt_u32_e32 vcc, s7, v17
	s_and_saveexec_b64 s[24:25], vcc
	s_cbranch_execnz .LBB942_345
.LBB942_360:                            ;   in Loop: Header=BB942_336 Depth=2
	s_or_b64 exec, exec, s[24:25]
	v_cmp_gt_u32_e32 vcc, s7, v19
	s_and_saveexec_b64 s[24:25], vcc
	s_cbranch_execz .LBB942_346
.LBB942_361:                            ;   in Loop: Header=BB942_336 Depth=2
	global_load_ushort v33, v92, s[22:23] offset:2560
	s_or_b64 exec, exec, s[24:25]
	v_cmp_gt_u32_e32 vcc, s7, v21
	s_and_saveexec_b64 s[24:25], vcc
	s_cbranch_execnz .LBB942_347
.LBB942_362:                            ;   in Loop: Header=BB942_336 Depth=2
	s_or_b64 exec, exec, s[24:25]
	v_cmp_gt_u32_e32 vcc, s7, v23
	s_and_saveexec_b64 s[24:25], vcc
	s_cbranch_execz .LBB942_348
.LBB942_363:                            ;   in Loop: Header=BB942_336 Depth=2
	global_load_ushort v31, v92, s[22:23] offset:3584
	s_or_b64 exec, exec, s[24:25]
	v_cmp_gt_u32_e32 vcc, s7, v6
	s_and_saveexec_b64 s[24:25], vcc
	s_cbranch_execnz .LBB942_349
.LBB942_364:                            ;   in Loop: Header=BB942_336 Depth=2
	s_or_b64 exec, exec, s[24:25]
	v_cmp_gt_u32_e32 vcc, s7, v8
	s_and_saveexec_b64 s[24:25], vcc
	s_cbranch_execz .LBB942_350
.LBB942_365:                            ;   in Loop: Header=BB942_336 Depth=2
	global_load_ushort v29, v94, s[22:23]
	s_or_b64 exec, exec, s[24:25]
	v_cmp_gt_u32_e32 vcc, s7, v10
	s_and_saveexec_b64 s[24:25], vcc
	s_cbranch_execnz .LBB942_351
.LBB942_366:                            ;   in Loop: Header=BB942_336 Depth=2
	s_or_b64 exec, exec, s[24:25]
	v_cmp_gt_u32_e32 vcc, s7, v12
	s_and_saveexec_b64 s[24:25], vcc
	s_cbranch_execz .LBB942_352
.LBB942_367:                            ;   in Loop: Header=BB942_336 Depth=2
	global_load_ushort v27, v96, s[22:23]
	s_or_b64 exec, exec, s[24:25]
	v_cmp_gt_u32_e32 vcc, s7, v14
	s_and_saveexec_b64 s[24:25], vcc
	s_cbranch_execnz .LBB942_353
.LBB942_368:                            ;   in Loop: Header=BB942_336 Depth=2
	s_or_b64 exec, exec, s[24:25]
	v_cmp_gt_u32_e32 vcc, s7, v16
	s_and_saveexec_b64 s[24:25], vcc
	s_cbranch_execz .LBB942_354
.LBB942_369:                            ;   in Loop: Header=BB942_336 Depth=2
	global_load_ushort v25, v98, s[22:23]
	s_or_b64 exec, exec, s[24:25]
	v_cmp_gt_u32_e32 vcc, s7, v18
	s_and_saveexec_b64 s[24:25], vcc
	s_cbranch_execnz .LBB942_355
.LBB942_370:                            ;   in Loop: Header=BB942_336 Depth=2
	s_or_b64 exec, exec, s[24:25]
	v_cmp_gt_u32_e32 vcc, s7, v20
	s_and_saveexec_b64 s[24:25], vcc
	s_cbranch_execz .LBB942_372
.LBB942_371:                            ;   in Loop: Header=BB942_336 Depth=2
	global_load_ushort v5, v100, s[22:23]
.LBB942_372:                            ;   in Loop: Header=BB942_336 Depth=2
	s_or_b64 exec, exec, s[24:25]
	v_cmp_gt_u32_e32 vcc, s7, v22
                                        ; implicit-def: $sgpr9
                                        ; implicit-def: $vgpr0_vgpr1
	s_and_saveexec_b64 s[24:25], vcc
; %bb.373:                              ;   in Loop: Header=BB942_336 Depth=2
	v_mov_b32_e32 v1, s23
	v_add_co_u32_e32 v0, vcc, s22, v101
	s_sub_i32 s9, s98, s94
	v_addc_co_u32_e32 v1, vcc, 0, v1, vcc
	s_or_b64 s[20:21], s[20:21], exec
                                        ; implicit-def: $vgpr39
; %bb.374:                              ;   in Loop: Header=BB942_336 Depth=2
	s_or_b64 exec, exec, s[24:25]
	s_waitcnt vmcnt(0)
	v_mov_b32_e32 v41, v38
	v_mov_b32_e32 v42, v37
	;; [unrolled: 1-line block ×17, first 2 shown]
	s_and_saveexec_b64 s[22:23], s[20:21]
	s_cbranch_execz .LBB942_376
.LBB942_375:                            ;   in Loop: Header=BB942_336 Depth=2
	global_load_ushort v39, v[0:1], off
	v_mov_b32_e32 v40, s9
	s_waitcnt vmcnt(1)
	v_mov_b32_e32 v5, v56
	v_mov_b32_e32 v24, v55
	;; [unrolled: 1-line block ×16, first 2 shown]
.LBB942_376:                            ;   in Loop: Header=BB942_336 Depth=2
	s_or_b64 exec, exec, s[22:23]
	v_cmp_lt_u32_e32 vcc, v2, v40
	s_and_saveexec_b64 s[20:21], vcc
	s_cbranch_execz .LBB942_393
; %bb.377:                              ;   in Loop: Header=BB942_336 Depth=2
	v_xor_b32_e32 v0, 0x7fff, v38
	v_lshrrev_b32_sdwa v0, s99, v0 dst_sel:DWORD dst_unused:UNUSED_PAD src0_sel:DWORD src1_sel:WORD_0
	v_and_b32_e32 v0, s6, v0
	v_lshl_or_b32 v0, v0, 4, v90
	ds_add_u32 v0, v91
	s_or_b64 exec, exec, s[20:21]
	v_cmp_lt_u32_e32 vcc, v7, v40
	s_and_saveexec_b64 s[20:21], vcc
	s_cbranch_execnz .LBB942_394
.LBB942_378:                            ;   in Loop: Header=BB942_336 Depth=2
	s_or_b64 exec, exec, s[20:21]
	v_cmp_lt_u32_e32 vcc, v13, v40
	s_and_saveexec_b64 s[20:21], vcc
	s_cbranch_execz .LBB942_395
.LBB942_379:                            ;   in Loop: Header=BB942_336 Depth=2
	v_xor_b32_e32 v0, 0x7fff, v36
	v_lshrrev_b32_sdwa v0, s99, v0 dst_sel:DWORD dst_unused:UNUSED_PAD src0_sel:DWORD src1_sel:WORD_0
	v_and_b32_e32 v0, s6, v0
	v_lshl_or_b32 v0, v0, 4, v90
	ds_add_u32 v0, v91
	s_or_b64 exec, exec, s[20:21]
	v_cmp_lt_u32_e32 vcc, v15, v40
	s_and_saveexec_b64 s[20:21], vcc
	s_cbranch_execnz .LBB942_396
.LBB942_380:                            ;   in Loop: Header=BB942_336 Depth=2
	s_or_b64 exec, exec, s[20:21]
	v_cmp_lt_u32_e32 vcc, v17, v40
	s_and_saveexec_b64 s[20:21], vcc
	s_cbranch_execz .LBB942_397
.LBB942_381:                            ;   in Loop: Header=BB942_336 Depth=2
	v_xor_b32_e32 v0, 0x7fff, v34
	v_lshrrev_b32_sdwa v0, s99, v0 dst_sel:DWORD dst_unused:UNUSED_PAD src0_sel:DWORD src1_sel:WORD_0
	v_and_b32_e32 v0, s6, v0
	v_lshl_or_b32 v0, v0, 4, v90
	ds_add_u32 v0, v91
	s_or_b64 exec, exec, s[20:21]
	v_cmp_lt_u32_e32 vcc, v19, v40
	s_and_saveexec_b64 s[20:21], vcc
	s_cbranch_execnz .LBB942_398
.LBB942_382:                            ;   in Loop: Header=BB942_336 Depth=2
	s_or_b64 exec, exec, s[20:21]
	v_cmp_lt_u32_e32 vcc, v21, v40
	s_and_saveexec_b64 s[20:21], vcc
	s_cbranch_execz .LBB942_399
.LBB942_383:                            ;   in Loop: Header=BB942_336 Depth=2
	v_xor_b32_e32 v0, 0x7fff, v32
	v_lshrrev_b32_sdwa v0, s99, v0 dst_sel:DWORD dst_unused:UNUSED_PAD src0_sel:DWORD src1_sel:WORD_0
	v_and_b32_e32 v0, s6, v0
	v_lshl_or_b32 v0, v0, 4, v90
	ds_add_u32 v0, v91
	s_or_b64 exec, exec, s[20:21]
	v_cmp_lt_u32_e32 vcc, v23, v40
	s_and_saveexec_b64 s[20:21], vcc
	s_cbranch_execnz .LBB942_400
.LBB942_384:                            ;   in Loop: Header=BB942_336 Depth=2
	s_or_b64 exec, exec, s[20:21]
	v_cmp_lt_u32_e32 vcc, v6, v40
	s_and_saveexec_b64 s[20:21], vcc
	s_cbranch_execz .LBB942_401
.LBB942_385:                            ;   in Loop: Header=BB942_336 Depth=2
	v_xor_b32_e32 v0, 0x7fff, v30
	v_lshrrev_b32_sdwa v0, s99, v0 dst_sel:DWORD dst_unused:UNUSED_PAD src0_sel:DWORD src1_sel:WORD_0
	v_and_b32_e32 v0, s6, v0
	v_lshl_or_b32 v0, v0, 4, v90
	ds_add_u32 v0, v91
	s_or_b64 exec, exec, s[20:21]
	v_cmp_lt_u32_e32 vcc, v8, v40
	s_and_saveexec_b64 s[20:21], vcc
	s_cbranch_execnz .LBB942_402
.LBB942_386:                            ;   in Loop: Header=BB942_336 Depth=2
	s_or_b64 exec, exec, s[20:21]
	v_cmp_lt_u32_e32 vcc, v10, v40
	s_and_saveexec_b64 s[20:21], vcc
	s_cbranch_execz .LBB942_403
.LBB942_387:                            ;   in Loop: Header=BB942_336 Depth=2
	v_xor_b32_e32 v0, 0x7fff, v28
	v_lshrrev_b32_sdwa v0, s99, v0 dst_sel:DWORD dst_unused:UNUSED_PAD src0_sel:DWORD src1_sel:WORD_0
	v_and_b32_e32 v0, s6, v0
	v_lshl_or_b32 v0, v0, 4, v90
	ds_add_u32 v0, v91
	s_or_b64 exec, exec, s[20:21]
	v_cmp_lt_u32_e32 vcc, v12, v40
	s_and_saveexec_b64 s[20:21], vcc
	s_cbranch_execnz .LBB942_404
.LBB942_388:                            ;   in Loop: Header=BB942_336 Depth=2
	s_or_b64 exec, exec, s[20:21]
	v_cmp_lt_u32_e32 vcc, v14, v40
	s_and_saveexec_b64 s[20:21], vcc
	s_cbranch_execz .LBB942_405
.LBB942_389:                            ;   in Loop: Header=BB942_336 Depth=2
	v_xor_b32_e32 v0, 0x7fff, v26
	v_lshrrev_b32_sdwa v0, s99, v0 dst_sel:DWORD dst_unused:UNUSED_PAD src0_sel:DWORD src1_sel:WORD_0
	v_and_b32_e32 v0, s6, v0
	v_lshl_or_b32 v0, v0, 4, v90
	ds_add_u32 v0, v91
	s_or_b64 exec, exec, s[20:21]
	v_cmp_lt_u32_e32 vcc, v16, v40
	s_and_saveexec_b64 s[20:21], vcc
	s_cbranch_execnz .LBB942_406
.LBB942_390:                            ;   in Loop: Header=BB942_336 Depth=2
	s_or_b64 exec, exec, s[20:21]
	v_cmp_lt_u32_e32 vcc, v18, v40
	s_and_saveexec_b64 s[20:21], vcc
	s_cbranch_execz .LBB942_407
.LBB942_391:                            ;   in Loop: Header=BB942_336 Depth=2
	v_xor_b32_e32 v0, 0x7fff, v24
	v_lshrrev_b32_sdwa v0, s99, v0 dst_sel:DWORD dst_unused:UNUSED_PAD src0_sel:DWORD src1_sel:WORD_0
	v_and_b32_e32 v0, s6, v0
	v_lshl_or_b32 v0, v0, 4, v90
	ds_add_u32 v0, v91
	s_or_b64 exec, exec, s[20:21]
	v_cmp_lt_u32_e32 vcc, v20, v40
	s_and_saveexec_b64 s[20:21], vcc
	s_cbranch_execnz .LBB942_408
.LBB942_392:                            ;   in Loop: Header=BB942_336 Depth=2
	s_or_b64 exec, exec, s[20:21]
	v_cmp_lt_u32_e32 vcc, v22, v40
	s_and_saveexec_b64 s[20:21], vcc
	s_cbranch_execz .LBB942_335
	s_branch .LBB942_409
.LBB942_393:                            ;   in Loop: Header=BB942_336 Depth=2
	s_or_b64 exec, exec, s[20:21]
	v_cmp_lt_u32_e32 vcc, v7, v40
	s_and_saveexec_b64 s[20:21], vcc
	s_cbranch_execz .LBB942_378
.LBB942_394:                            ;   in Loop: Header=BB942_336 Depth=2
	v_xor_b32_e32 v0, 0x7fff, v37
	v_lshrrev_b32_sdwa v0, s99, v0 dst_sel:DWORD dst_unused:UNUSED_PAD src0_sel:DWORD src1_sel:WORD_0
	v_and_b32_e32 v0, s6, v0
	v_lshl_or_b32 v0, v0, 4, v90
	ds_add_u32 v0, v91
	s_or_b64 exec, exec, s[20:21]
	v_cmp_lt_u32_e32 vcc, v13, v40
	s_and_saveexec_b64 s[20:21], vcc
	s_cbranch_execnz .LBB942_379
.LBB942_395:                            ;   in Loop: Header=BB942_336 Depth=2
	s_or_b64 exec, exec, s[20:21]
	v_cmp_lt_u32_e32 vcc, v15, v40
	s_and_saveexec_b64 s[20:21], vcc
	s_cbranch_execz .LBB942_380
.LBB942_396:                            ;   in Loop: Header=BB942_336 Depth=2
	v_xor_b32_e32 v0, 0x7fff, v35
	v_lshrrev_b32_sdwa v0, s99, v0 dst_sel:DWORD dst_unused:UNUSED_PAD src0_sel:DWORD src1_sel:WORD_0
	v_and_b32_e32 v0, s6, v0
	v_lshl_or_b32 v0, v0, 4, v90
	ds_add_u32 v0, v91
	s_or_b64 exec, exec, s[20:21]
	v_cmp_lt_u32_e32 vcc, v17, v40
	s_and_saveexec_b64 s[20:21], vcc
	s_cbranch_execnz .LBB942_381
.LBB942_397:                            ;   in Loop: Header=BB942_336 Depth=2
	s_or_b64 exec, exec, s[20:21]
	v_cmp_lt_u32_e32 vcc, v19, v40
	s_and_saveexec_b64 s[20:21], vcc
	s_cbranch_execz .LBB942_382
.LBB942_398:                            ;   in Loop: Header=BB942_336 Depth=2
	v_xor_b32_e32 v0, 0x7fff, v33
	v_lshrrev_b32_sdwa v0, s99, v0 dst_sel:DWORD dst_unused:UNUSED_PAD src0_sel:DWORD src1_sel:WORD_0
	v_and_b32_e32 v0, s6, v0
	v_lshl_or_b32 v0, v0, 4, v90
	ds_add_u32 v0, v91
	s_or_b64 exec, exec, s[20:21]
	v_cmp_lt_u32_e32 vcc, v21, v40
	s_and_saveexec_b64 s[20:21], vcc
	s_cbranch_execnz .LBB942_383
.LBB942_399:                            ;   in Loop: Header=BB942_336 Depth=2
	s_or_b64 exec, exec, s[20:21]
	v_cmp_lt_u32_e32 vcc, v23, v40
	s_and_saveexec_b64 s[20:21], vcc
	s_cbranch_execz .LBB942_384
.LBB942_400:                            ;   in Loop: Header=BB942_336 Depth=2
	v_xor_b32_e32 v0, 0x7fff, v31
	v_lshrrev_b32_sdwa v0, s99, v0 dst_sel:DWORD dst_unused:UNUSED_PAD src0_sel:DWORD src1_sel:WORD_0
	v_and_b32_e32 v0, s6, v0
	v_lshl_or_b32 v0, v0, 4, v90
	ds_add_u32 v0, v91
	s_or_b64 exec, exec, s[20:21]
	v_cmp_lt_u32_e32 vcc, v6, v40
	s_and_saveexec_b64 s[20:21], vcc
	s_cbranch_execnz .LBB942_385
.LBB942_401:                            ;   in Loop: Header=BB942_336 Depth=2
	s_or_b64 exec, exec, s[20:21]
	v_cmp_lt_u32_e32 vcc, v8, v40
	s_and_saveexec_b64 s[20:21], vcc
	s_cbranch_execz .LBB942_386
.LBB942_402:                            ;   in Loop: Header=BB942_336 Depth=2
	v_xor_b32_e32 v0, 0x7fff, v29
	v_lshrrev_b32_sdwa v0, s99, v0 dst_sel:DWORD dst_unused:UNUSED_PAD src0_sel:DWORD src1_sel:WORD_0
	v_and_b32_e32 v0, s6, v0
	v_lshl_or_b32 v0, v0, 4, v90
	ds_add_u32 v0, v91
	s_or_b64 exec, exec, s[20:21]
	v_cmp_lt_u32_e32 vcc, v10, v40
	s_and_saveexec_b64 s[20:21], vcc
	s_cbranch_execnz .LBB942_387
.LBB942_403:                            ;   in Loop: Header=BB942_336 Depth=2
	s_or_b64 exec, exec, s[20:21]
	v_cmp_lt_u32_e32 vcc, v12, v40
	s_and_saveexec_b64 s[20:21], vcc
	s_cbranch_execz .LBB942_388
.LBB942_404:                            ;   in Loop: Header=BB942_336 Depth=2
	v_xor_b32_e32 v0, 0x7fff, v27
	v_lshrrev_b32_sdwa v0, s99, v0 dst_sel:DWORD dst_unused:UNUSED_PAD src0_sel:DWORD src1_sel:WORD_0
	v_and_b32_e32 v0, s6, v0
	v_lshl_or_b32 v0, v0, 4, v90
	ds_add_u32 v0, v91
	s_or_b64 exec, exec, s[20:21]
	v_cmp_lt_u32_e32 vcc, v14, v40
	s_and_saveexec_b64 s[20:21], vcc
	s_cbranch_execnz .LBB942_389
.LBB942_405:                            ;   in Loop: Header=BB942_336 Depth=2
	s_or_b64 exec, exec, s[20:21]
	v_cmp_lt_u32_e32 vcc, v16, v40
	s_and_saveexec_b64 s[20:21], vcc
	s_cbranch_execz .LBB942_390
.LBB942_406:                            ;   in Loop: Header=BB942_336 Depth=2
	v_xor_b32_e32 v0, 0x7fff, v25
	v_lshrrev_b32_sdwa v0, s99, v0 dst_sel:DWORD dst_unused:UNUSED_PAD src0_sel:DWORD src1_sel:WORD_0
	v_and_b32_e32 v0, s6, v0
	v_lshl_or_b32 v0, v0, 4, v90
	ds_add_u32 v0, v91
	s_or_b64 exec, exec, s[20:21]
	v_cmp_lt_u32_e32 vcc, v18, v40
	s_and_saveexec_b64 s[20:21], vcc
	s_cbranch_execnz .LBB942_391
.LBB942_407:                            ;   in Loop: Header=BB942_336 Depth=2
	s_or_b64 exec, exec, s[20:21]
	v_cmp_lt_u32_e32 vcc, v20, v40
	s_and_saveexec_b64 s[20:21], vcc
	s_cbranch_execz .LBB942_392
.LBB942_408:                            ;   in Loop: Header=BB942_336 Depth=2
	v_xor_b32_e32 v0, 0x7fff, v5
	v_lshrrev_b32_sdwa v0, s99, v0 dst_sel:DWORD dst_unused:UNUSED_PAD src0_sel:DWORD src1_sel:WORD_0
	v_and_b32_e32 v0, s6, v0
	v_lshl_or_b32 v0, v0, 4, v90
	ds_add_u32 v0, v91
	s_or_b64 exec, exec, s[20:21]
	v_cmp_lt_u32_e32 vcc, v22, v40
	s_and_saveexec_b64 s[20:21], vcc
	s_cbranch_execz .LBB942_335
.LBB942_409:                            ;   in Loop: Header=BB942_336 Depth=2
	s_waitcnt vmcnt(0)
	v_xor_b32_e32 v0, 0x7fff, v39
	v_lshrrev_b32_sdwa v0, s99, v0 dst_sel:DWORD dst_unused:UNUSED_PAD src0_sel:DWORD src1_sel:WORD_0
	v_and_b32_e32 v0, s6, v0
	v_lshl_or_b32 v0, v0, 4, v90
	ds_add_u32 v0, v91
	s_branch .LBB942_335
.LBB942_410:                            ;   in Loop: Header=BB942_20 Depth=1
	v_mov_b32_e32 v0, 0
	s_waitcnt lgkmcnt(0)
	s_barrier
	s_and_saveexec_b64 s[20:21], s[4:5]
	s_cbranch_execz .LBB942_412
; %bb.411:                              ;   in Loop: Header=BB942_20 Depth=1
	ds_read2_b64 v[24:27], v59 offset1:1
	s_waitcnt lgkmcnt(0)
	v_add_u32_e32 v0, v25, v24
	v_add3_u32 v0, v0, v26, v27
.LBB942_412:                            ;   in Loop: Header=BB942_20 Depth=1
	s_or_b64 exec, exec, s[20:21]
	s_nop 0
	v_mov_b32_dpp v1, v0 row_shr:1 row_mask:0xf bank_mask:0xf
	v_cmp_eq_u32_e64 s[20:21], 0, v103
	v_cndmask_b32_e64 v1, v1, 0, s[20:21]
	v_add_u32_e32 v0, v1, v0
	v_cmp_lt_u32_e64 s[22:23], 1, v103
	v_cmp_lt_u32_e64 s[24:25], 3, v103
	v_mov_b32_dpp v1, v0 row_shr:2 row_mask:0xf bank_mask:0xf
	v_cndmask_b32_e64 v1, 0, v1, s[22:23]
	v_add_u32_e32 v0, v0, v1
	v_cmp_lt_u32_e64 s[26:27], 7, v103
	v_cmp_lt_u32_e64 s[30:31], 31, v102
	v_mov_b32_dpp v1, v0 row_shr:4 row_mask:0xf bank_mask:0xf
	v_cndmask_b32_e64 v1, 0, v1, s[24:25]
	v_add_u32_e32 v0, v0, v1
	v_cmp_eq_u32_e64 s[28:29], 0, v105
	s_nop 0
	v_mov_b32_dpp v1, v0 row_shr:8 row_mask:0xf bank_mask:0xf
	v_cndmask_b32_e64 v1, 0, v1, s[26:27]
	v_add_u32_e32 v0, v0, v1
	s_nop 1
	v_mov_b32_dpp v1, v0 row_bcast:15 row_mask:0xf bank_mask:0xf
	v_and_b32_e32 v1, v104, v1
	v_add_u32_e32 v0, v0, v1
	s_nop 1
	v_mov_b32_dpp v1, v0 row_bcast:31 row_mask:0xf bank_mask:0xf
	v_cndmask_b32_e64 v1, 0, v1, s[30:31]
	v_add_u32_e32 v0, v0, v1
	s_mov_b64 s[34:35], exec
	v_readlane_b32 s8, v232, 0
	v_readlane_b32 s9, v232, 1
	s_and_b64 s[8:9], s[34:35], s[8:9]
	s_mov_b64 exec, s[8:9]
	s_cbranch_execz .LBB942_414
; %bb.413:                              ;   in Loop: Header=BB942_20 Depth=1
	ds_write_b32 v61, v0
.LBB942_414:                            ;   in Loop: Header=BB942_20 Depth=1
	s_or_b64 exec, exec, s[34:35]
	s_waitcnt lgkmcnt(0)
	s_barrier
	s_mov_b64 s[34:35], exec
	v_readlane_b32 s8, v232, 2
	v_readlane_b32 s9, v232, 3
	s_and_b64 s[8:9], s[34:35], s[8:9]
	s_mov_b64 exec, s[8:9]
	s_cbranch_execz .LBB942_416
; %bb.415:                              ;   in Loop: Header=BB942_20 Depth=1
	ds_read_b32 v1, v62
	s_waitcnt lgkmcnt(0)
	s_nop 0
	v_mov_b32_dpp v5, v1 row_shr:1 row_mask:0xf bank_mask:0xf
	v_and_b32_e32 v5, v106, v5
	v_add_u32_e32 v1, v5, v1
	ds_write_b32 v62, v1
.LBB942_416:                            ;   in Loop: Header=BB942_20 Depth=1
	s_or_b64 exec, exec, s[34:35]
	v_mov_b32_e32 v1, 0
	s_waitcnt lgkmcnt(0)
	s_barrier
	s_and_saveexec_b64 s[34:35], s[10:11]
	s_cbranch_execz .LBB942_418
; %bb.417:                              ;   in Loop: Header=BB942_20 Depth=1
	ds_read_b32 v1, v63
.LBB942_418:                            ;   in Loop: Header=BB942_20 Depth=1
	s_or_b64 exec, exec, s[34:35]
	v_cmp_lt_i32_e32 vcc, v107, v108
	v_cndmask_b32_e32 v5, v107, v102, vcc
	s_waitcnt lgkmcnt(0)
	v_add_u32_e32 v0, v1, v0
	v_lshlrev_b32_e32 v129, 2, v5
	ds_bpermute_b32 v0, v129, v0
	v_cmp_eq_u32_e64 s[34:35], 0, v102
	s_waitcnt lgkmcnt(0)
	s_barrier
	s_and_saveexec_b64 s[36:37], s[4:5]
	s_cbranch_execz .LBB942_420
; %bb.419:                              ;   in Loop: Header=BB942_20 Depth=1
	v_cndmask_b32_e64 v0, v0, v1, s[34:35]
	v_add_u32_e32 v0, s75, v0
	ds_write_b32 v3, v0
.LBB942_420:                            ;   in Loop: Header=BB942_20 Depth=1
	s_or_b64 exec, exec, s[36:37]
	s_load_dwordx2 s[8:9], s[96:97], 0x0
	v_add_co_u32_e32 v130, vcc, v80, v110
	v_addc_co_u32_e32 v131, vcc, 0, v81, vcc
	s_waitcnt lgkmcnt(0)
	s_cmp_lt_u32 s74, s8
	s_cselect_b32 s7, 12, 18
	s_cmp_lt_u32 s33, s9
	s_cselect_b32 s8, 14, 20
	s_add_u32 s8, s96, s8
	s_addc_u32 s9, s97, 0
	s_add_u32 s36, s96, s7
	global_load_ushort v5, v4, s[8:9]
	s_addc_u32 s37, s97, 0
	global_load_ushort v56, v4, s[36:37]
	v_add_co_u32_e32 v132, vcc, v82, v128
	v_addc_co_u32_e32 v133, vcc, 0, v83, vcc
	v_add_co_u32_e32 v148, vcc, 0x800, v132
	v_cmp_eq_u32_e64 s[36:37], 0, v109
	v_cmp_lt_u32_e64 s[38:39], 1, v109
	s_mov_b32 s7, s91
	v_addc_co_u32_e32 v151, vcc, 0, v133, vcc
	s_mov_b32 s94, s75
                                        ; implicit-def: $vgpr0_vgpr1
                                        ; implicit-def: $vgpr24_vgpr25
                                        ; implicit-def: $vgpr26_vgpr27
                                        ; implicit-def: $vgpr28_vgpr29
                                        ; implicit-def: $vgpr32_vgpr33
                                        ; implicit-def: $vgpr36_vgpr37
                                        ; implicit-def: $vgpr40_vgpr41
                                        ; implicit-def: $vgpr44_vgpr45
                                        ; implicit-def: $vgpr48_vgpr49
                                        ; implicit-def: $vgpr30_vgpr31
                                        ; implicit-def: $vgpr34_vgpr35
                                        ; implicit-def: $vgpr38_vgpr39
                                        ; implicit-def: $vgpr42_vgpr43
                                        ; implicit-def: $vgpr46_vgpr47
                                        ; implicit-def: $vgpr50_vgpr51
                                        ; implicit-def: $vgpr52_vgpr53
                                        ; implicit-def: $vgpr54_vgpr55
                                        ; implicit-def: $vgpr134
                                        ; implicit-def: $vgpr135
                                        ; implicit-def: $vgpr136
                                        ; implicit-def: $vgpr137
                                        ; implicit-def: $vgpr138
                                        ; implicit-def: $vgpr139
                                        ; implicit-def: $vgpr140
                                        ; implicit-def: $vgpr141
                                        ; implicit-def: $vgpr142
                                        ; implicit-def: $vgpr143
                                        ; implicit-def: $vgpr144
                                        ; implicit-def: $vgpr145
                                        ; implicit-def: $vgpr146
                                        ; implicit-def: $vgpr147
                                        ; implicit-def: $vgpr149
                                        ; implicit-def: $vgpr150
                                        ; implicit-def: $vgpr152
                                        ; implicit-def: $vgpr154
                                        ; implicit-def: $vgpr155
	s_waitcnt vmcnt(1)
	v_mad_u32_u24 v5, v64, v5, v65
	s_waitcnt vmcnt(0)
	v_mad_u64_u32 v[56:57], s[8:9], v5, v56, v[2:3]
	v_lshrrev_b32_e32 v153, 6, v56
	s_branch .LBB942_422
.LBB942_421:                            ;   in Loop: Header=BB942_422 Depth=2
	s_or_b64 exec, exec, s[40:41]
	s_addk_i32 s7, 0xef00
	s_cmp_lt_u32 s8, s98
	s_mov_b32 s94, s8
	s_cbranch_scc0 .LBB942_644
.LBB942_422:                            ;   Parent Loop BB942_20 Depth=1
                                        ; =>  This Inner Loop Header: Depth=2
	s_add_i32 s8, s94, 0x1100
	s_cmp_gt_u32 s8, s98
	s_cbranch_scc1 .LBB942_425
; %bb.423:                              ;   in Loop: Header=BB942_422 Depth=2
	s_lshl_b64 s[40:41], s[94:95], 1
	v_mov_b32_e32 v5, s41
	v_add_co_u32_e32 v56, vcc, s40, v132
	v_addc_co_u32_e32 v57, vcc, v133, v5, vcc
	global_load_ushort v5, v[56:57], off
	global_load_ushort v160, v[56:57], off offset:128
	global_load_ushort v165, v[56:57], off offset:256
	global_load_ushort v171, v[56:57], off offset:384
	global_load_ushort v176, v[56:57], off offset:512
	global_load_ushort v181, v[56:57], off offset:640
	global_load_ushort v186, v[56:57], off offset:768
	global_load_ushort v191, v[56:57], off offset:896
	global_load_ushort v193, v[56:57], off offset:1024
	global_load_ushort v188, v[56:57], off offset:1152
	global_load_ushort v184, v[56:57], off offset:1280
	global_load_ushort v179, v[56:57], off offset:1408
	global_load_ushort v174, v[56:57], off offset:1536
	global_load_ushort v169, v[56:57], off offset:1664
	global_load_ushort v164, v[56:57], off offset:1792
	global_load_ushort v159, v[56:57], off offset:1920
	s_mov_b64 s[40:41], -1
	s_movk_i32 s9, 0x1100
	s_cbranch_execz .LBB942_426
; %bb.424:                              ;   in Loop: Header=BB942_422 Depth=2
                                        ; implicit-def: $sgpr42
	v_mov_b32_e32 v166, s42
	v_mov_b32_e32 v156, s7
	s_and_saveexec_b64 s[42:43], s[40:41]
	s_cbranch_execnz .LBB942_459
	s_branch .LBB942_460
.LBB942_425:                            ;   in Loop: Header=BB942_422 Depth=2
	s_mov_b64 s[40:41], 0
                                        ; implicit-def: $sgpr9
                                        ; implicit-def: $vgpr5
                                        ; implicit-def: $vgpr160
                                        ; implicit-def: $vgpr165
                                        ; implicit-def: $vgpr171
                                        ; implicit-def: $vgpr176
                                        ; implicit-def: $vgpr181
                                        ; implicit-def: $vgpr186
                                        ; implicit-def: $vgpr191
                                        ; implicit-def: $vgpr193
                                        ; implicit-def: $vgpr188
                                        ; implicit-def: $vgpr184
                                        ; implicit-def: $vgpr179
                                        ; implicit-def: $vgpr174
                                        ; implicit-def: $vgpr169
                                        ; implicit-def: $vgpr164
                                        ; implicit-def: $vgpr159
.LBB942_426:                            ;   in Loop: Header=BB942_422 Depth=2
	s_lshl_b64 s[40:41], s[94:95], 1
	s_waitcnt vmcnt(15)
	v_mov_b32_e32 v5, s41
	v_add_co_u32_e32 v56, vcc, s40, v132
	v_addc_co_u32_e32 v57, vcc, v133, v5, vcc
	v_cmp_gt_u32_e32 vcc, s7, v111
	s_waitcnt vmcnt(14)
	v_mov_b32_e32 v160, 0xffff8000
	v_mov_b32_e32 v5, 0xffff8000
	s_and_saveexec_b64 s[40:41], vcc
	s_cbranch_execz .LBB942_428
; %bb.427:                              ;   in Loop: Header=BB942_422 Depth=2
	global_load_ushort v5, v[56:57], off
.LBB942_428:                            ;   in Loop: Header=BB942_422 Depth=2
	s_or_b64 exec, exec, s[40:41]
	v_cmp_gt_u32_e32 vcc, s7, v112
	s_and_saveexec_b64 s[40:41], vcc
	s_cbranch_execz .LBB942_430
; %bb.429:                              ;   in Loop: Header=BB942_422 Depth=2
	global_load_ushort v160, v[56:57], off offset:128
.LBB942_430:                            ;   in Loop: Header=BB942_422 Depth=2
	s_or_b64 exec, exec, s[40:41]
	v_cmp_gt_u32_e32 vcc, s7, v113
	s_waitcnt vmcnt(12)
	v_mov_b32_e32 v171, 0xffff8000
	v_mov_b32_e32 v165, 0xffff8000
	s_and_saveexec_b64 s[40:41], vcc
	s_cbranch_execz .LBB942_432
; %bb.431:                              ;   in Loop: Header=BB942_422 Depth=2
	global_load_ushort v165, v[56:57], off offset:256
.LBB942_432:                            ;   in Loop: Header=BB942_422 Depth=2
	s_or_b64 exec, exec, s[40:41]
	v_cmp_gt_u32_e32 vcc, s7, v114
	s_and_saveexec_b64 s[40:41], vcc
	s_cbranch_execz .LBB942_434
; %bb.433:                              ;   in Loop: Header=BB942_422 Depth=2
	global_load_ushort v171, v[56:57], off offset:384
.LBB942_434:                            ;   in Loop: Header=BB942_422 Depth=2
	s_or_b64 exec, exec, s[40:41]
	v_cmp_gt_u32_e32 vcc, s7, v115
	s_waitcnt vmcnt(10)
	v_mov_b32_e32 v181, 0xffff8000
	v_mov_b32_e32 v176, 0xffff8000
	s_and_saveexec_b64 s[40:41], vcc
	s_cbranch_execz .LBB942_436
; %bb.435:                              ;   in Loop: Header=BB942_422 Depth=2
	global_load_ushort v176, v[56:57], off offset:512
.LBB942_436:                            ;   in Loop: Header=BB942_422 Depth=2
	;; [unrolled: 17-line block ×7, first 2 shown]
	s_or_b64 exec, exec, s[40:41]
	v_cmp_gt_u32_e32 vcc, s7, v126
	s_and_saveexec_b64 s[40:41], vcc
	s_cbranch_execz .LBB942_458
; %bb.457:                              ;   in Loop: Header=BB942_422 Depth=2
	global_load_ushort v159, v[56:57], off offset:1920
.LBB942_458:                            ;   in Loop: Header=BB942_422 Depth=2
	s_or_b64 exec, exec, s[40:41]
	s_sub_i32 s9, s98, s94
	v_cmp_gt_u32_e64 s[40:41], s7, v127
	s_movk_i32 s42, 0x8000
	v_mov_b32_e32 v166, s42
	v_mov_b32_e32 v156, s7
	s_and_saveexec_b64 s[42:43], s[40:41]
	s_cbranch_execz .LBB942_460
.LBB942_459:                            ;   in Loop: Header=BB942_422 Depth=2
	s_lshl_b64 s[40:41], s[94:95], 1
	v_mov_b32_e32 v57, s41
	v_add_co_u32_e32 v56, vcc, s40, v148
	v_addc_co_u32_e32 v57, vcc, v151, v57, vcc
	global_load_ushort v166, v[56:57], off
	v_mov_b32_e32 v156, s9
.LBB942_460:                            ;   in Loop: Header=BB942_422 Depth=2
	s_or_b64 exec, exec, s[42:43]
	s_waitcnt vmcnt(15)
	v_xor_b32_e32 v157, 0x7fff, v5
	v_lshrrev_b32_sdwa v5, s99, v157 dst_sel:DWORD dst_unused:UNUSED_PAD src0_sel:DWORD src1_sel:WORD_0
	v_and_b32_e32 v56, s6, v5
	v_mad_u32_u24 v5, v56, 5, v153
	v_lshl_add_u32 v158, v5, 2, v66
	v_and_b32_e32 v5, 1, v56
	v_add_co_u32_e32 v57, vcc, -1, v5
	v_addc_co_u32_e64 v161, s[40:41], 0, -1, vcc
	v_cmp_ne_u32_e32 vcc, 0, v5
	v_xor_b32_e32 v5, vcc_hi, v161
	v_and_b32_e32 v161, exec_hi, v5
	v_lshlrev_b32_e32 v5, 30, v56
	v_xor_b32_e32 v57, vcc_lo, v57
	v_cmp_gt_i64_e32 vcc, 0, v[4:5]
	v_not_b32_e32 v5, v5
	v_ashrrev_i32_e32 v5, 31, v5
	v_and_b32_e32 v57, exec_lo, v57
	v_xor_b32_e32 v162, vcc_hi, v5
	v_xor_b32_e32 v5, vcc_lo, v5
	v_and_b32_e32 v57, v57, v5
	v_lshlrev_b32_e32 v5, 29, v56
	v_cmp_gt_i64_e32 vcc, 0, v[4:5]
	v_not_b32_e32 v5, v5
	v_ashrrev_i32_e32 v5, 31, v5
	v_and_b32_e32 v161, v161, v162
	v_xor_b32_e32 v162, vcc_hi, v5
	v_xor_b32_e32 v5, vcc_lo, v5
	v_and_b32_e32 v57, v57, v5
	v_lshlrev_b32_e32 v5, 28, v56
	v_cmp_gt_i64_e32 vcc, 0, v[4:5]
	v_not_b32_e32 v5, v5
	v_ashrrev_i32_e32 v5, 31, v5
	v_and_b32_e32 v161, v161, v162
	v_xor_b32_e32 v162, vcc_hi, v5
	v_xor_b32_e32 v5, vcc_lo, v5
	v_and_b32_e32 v57, v57, v5
	v_lshlrev_b32_e32 v5, 27, v56
	v_cmp_gt_i64_e32 vcc, 0, v[4:5]
	v_not_b32_e32 v5, v5
	v_ashrrev_i32_e32 v5, 31, v5
	v_and_b32_e32 v161, v161, v162
	v_xor_b32_e32 v162, vcc_hi, v5
	v_xor_b32_e32 v5, vcc_lo, v5
	v_and_b32_e32 v57, v57, v5
	v_lshlrev_b32_e32 v5, 26, v56
	v_cmp_gt_i64_e32 vcc, 0, v[4:5]
	v_not_b32_e32 v5, v5
	v_ashrrev_i32_e32 v5, 31, v5
	v_and_b32_e32 v161, v161, v162
	v_xor_b32_e32 v162, vcc_hi, v5
	v_xor_b32_e32 v5, vcc_lo, v5
	v_and_b32_e32 v161, v161, v162
	v_and_b32_e32 v162, v57, v5
	v_lshlrev_b32_e32 v5, 25, v56
	v_cmp_gt_i64_e32 vcc, 0, v[4:5]
	v_not_b32_e32 v5, v5
	v_ashrrev_i32_e32 v5, 31, v5
	v_xor_b32_e32 v56, vcc_hi, v5
	v_xor_b32_e32 v5, vcc_lo, v5
	v_and_b32_e32 v57, v161, v56
	v_and_b32_e32 v56, v162, v5
	v_mbcnt_lo_u32_b32 v5, v56, 0
	v_mbcnt_hi_u32_b32 v161, v57, v5
	v_cmp_eq_u32_e32 vcc, 0, v161
	v_cmp_ne_u64_e64 s[40:41], 0, v[56:57]
	s_and_b64 s[42:43], s[40:41], vcc
	ds_write2_b32 v58, v4, v4 offset0:132 offset1:133
	ds_write_b32 v67, v4 offset:8
	s_waitcnt lgkmcnt(0)
	s_barrier
	s_waitcnt lgkmcnt(0)
	; wave barrier
	s_and_saveexec_b64 s[40:41], s[42:43]
	s_cbranch_execz .LBB942_462
; %bb.461:                              ;   in Loop: Header=BB942_422 Depth=2
	v_bcnt_u32_b32 v5, v56, 0
	v_bcnt_u32_b32 v5, v57, v5
	ds_write_b32 v158, v5
.LBB942_462:                            ;   in Loop: Header=BB942_422 Depth=2
	s_or_b64 exec, exec, s[40:41]
	s_waitcnt vmcnt(14)
	v_xor_b32_e32 v160, 0x7fff, v160
	v_lshrrev_b32_sdwa v5, s99, v160 dst_sel:DWORD dst_unused:UNUSED_PAD src0_sel:DWORD src1_sel:WORD_0
	v_and_b32_e32 v56, s6, v5
	v_mul_u32_u24_e32 v5, 5, v56
	v_add_lshl_u32 v5, v5, v153, 2
	; wave barrier
	v_add_u32_e32 v163, 0x210, v5
	ds_read_b32 v162, v5 offset:528
	v_and_b32_e32 v5, 1, v56
	v_add_co_u32_e32 v57, vcc, -1, v5
	v_addc_co_u32_e64 v167, s[40:41], 0, -1, vcc
	v_cmp_ne_u32_e32 vcc, 0, v5
	v_xor_b32_e32 v5, vcc_hi, v167
	v_and_b32_e32 v167, exec_hi, v5
	v_lshlrev_b32_e32 v5, 30, v56
	v_xor_b32_e32 v57, vcc_lo, v57
	v_cmp_gt_i64_e32 vcc, 0, v[4:5]
	v_not_b32_e32 v5, v5
	v_ashrrev_i32_e32 v5, 31, v5
	v_and_b32_e32 v57, exec_lo, v57
	v_xor_b32_e32 v168, vcc_hi, v5
	v_xor_b32_e32 v5, vcc_lo, v5
	v_and_b32_e32 v57, v57, v5
	v_lshlrev_b32_e32 v5, 29, v56
	v_cmp_gt_i64_e32 vcc, 0, v[4:5]
	v_not_b32_e32 v5, v5
	v_ashrrev_i32_e32 v5, 31, v5
	v_and_b32_e32 v167, v167, v168
	v_xor_b32_e32 v168, vcc_hi, v5
	v_xor_b32_e32 v5, vcc_lo, v5
	v_and_b32_e32 v57, v57, v5
	v_lshlrev_b32_e32 v5, 28, v56
	v_cmp_gt_i64_e32 vcc, 0, v[4:5]
	v_not_b32_e32 v5, v5
	v_ashrrev_i32_e32 v5, 31, v5
	v_and_b32_e32 v167, v167, v168
	v_xor_b32_e32 v168, vcc_hi, v5
	v_xor_b32_e32 v5, vcc_lo, v5
	v_and_b32_e32 v57, v57, v5
	v_lshlrev_b32_e32 v5, 27, v56
	v_cmp_gt_i64_e32 vcc, 0, v[4:5]
	v_not_b32_e32 v5, v5
	v_ashrrev_i32_e32 v5, 31, v5
	v_and_b32_e32 v167, v167, v168
	v_xor_b32_e32 v168, vcc_hi, v5
	v_xor_b32_e32 v5, vcc_lo, v5
	v_and_b32_e32 v57, v57, v5
	v_lshlrev_b32_e32 v5, 26, v56
	v_cmp_gt_i64_e32 vcc, 0, v[4:5]
	v_not_b32_e32 v5, v5
	v_ashrrev_i32_e32 v5, 31, v5
	v_and_b32_e32 v167, v167, v168
	v_xor_b32_e32 v168, vcc_hi, v5
	v_xor_b32_e32 v5, vcc_lo, v5
	v_and_b32_e32 v167, v167, v168
	v_and_b32_e32 v168, v57, v5
	v_lshlrev_b32_e32 v5, 25, v56
	v_cmp_gt_i64_e32 vcc, 0, v[4:5]
	v_not_b32_e32 v5, v5
	v_ashrrev_i32_e32 v5, 31, v5
	v_xor_b32_e32 v56, vcc_hi, v5
	v_xor_b32_e32 v5, vcc_lo, v5
	v_and_b32_e32 v57, v167, v56
	v_and_b32_e32 v56, v168, v5
	v_mbcnt_lo_u32_b32 v5, v56, 0
	v_mbcnt_hi_u32_b32 v167, v57, v5
	v_cmp_eq_u32_e32 vcc, 0, v167
	v_cmp_ne_u64_e64 s[40:41], 0, v[56:57]
	s_and_b64 s[42:43], s[40:41], vcc
	; wave barrier
	s_and_saveexec_b64 s[40:41], s[42:43]
	s_cbranch_execz .LBB942_464
; %bb.463:                              ;   in Loop: Header=BB942_422 Depth=2
	v_bcnt_u32_b32 v5, v56, 0
	v_bcnt_u32_b32 v5, v57, v5
	s_waitcnt lgkmcnt(0)
	v_add_u32_e32 v5, v162, v5
	ds_write_b32 v163, v5
.LBB942_464:                            ;   in Loop: Header=BB942_422 Depth=2
	s_or_b64 exec, exec, s[40:41]
	s_waitcnt vmcnt(13)
	v_xor_b32_e32 v165, 0x7fff, v165
	v_lshrrev_b32_sdwa v5, s99, v165 dst_sel:DWORD dst_unused:UNUSED_PAD src0_sel:DWORD src1_sel:WORD_0
	v_and_b32_e32 v56, s6, v5
	v_mul_u32_u24_e32 v5, 5, v56
	v_add_lshl_u32 v5, v5, v153, 2
	; wave barrier
	v_add_u32_e32 v170, 0x210, v5
	ds_read_b32 v168, v5 offset:528
	v_and_b32_e32 v5, 1, v56
	v_add_co_u32_e32 v57, vcc, -1, v5
	v_addc_co_u32_e64 v172, s[40:41], 0, -1, vcc
	v_cmp_ne_u32_e32 vcc, 0, v5
	v_xor_b32_e32 v5, vcc_hi, v172
	v_and_b32_e32 v172, exec_hi, v5
	v_lshlrev_b32_e32 v5, 30, v56
	v_xor_b32_e32 v57, vcc_lo, v57
	v_cmp_gt_i64_e32 vcc, 0, v[4:5]
	v_not_b32_e32 v5, v5
	v_ashrrev_i32_e32 v5, 31, v5
	v_and_b32_e32 v57, exec_lo, v57
	v_xor_b32_e32 v173, vcc_hi, v5
	v_xor_b32_e32 v5, vcc_lo, v5
	v_and_b32_e32 v57, v57, v5
	v_lshlrev_b32_e32 v5, 29, v56
	v_cmp_gt_i64_e32 vcc, 0, v[4:5]
	v_not_b32_e32 v5, v5
	v_ashrrev_i32_e32 v5, 31, v5
	v_and_b32_e32 v172, v172, v173
	v_xor_b32_e32 v173, vcc_hi, v5
	v_xor_b32_e32 v5, vcc_lo, v5
	v_and_b32_e32 v57, v57, v5
	v_lshlrev_b32_e32 v5, 28, v56
	v_cmp_gt_i64_e32 vcc, 0, v[4:5]
	v_not_b32_e32 v5, v5
	v_ashrrev_i32_e32 v5, 31, v5
	v_and_b32_e32 v172, v172, v173
	;; [unrolled: 8-line block ×4, first 2 shown]
	v_xor_b32_e32 v173, vcc_hi, v5
	v_xor_b32_e32 v5, vcc_lo, v5
	v_and_b32_e32 v172, v172, v173
	v_and_b32_e32 v173, v57, v5
	v_lshlrev_b32_e32 v5, 25, v56
	v_cmp_gt_i64_e32 vcc, 0, v[4:5]
	v_not_b32_e32 v5, v5
	v_ashrrev_i32_e32 v5, 31, v5
	v_xor_b32_e32 v56, vcc_hi, v5
	v_xor_b32_e32 v5, vcc_lo, v5
	v_and_b32_e32 v57, v172, v56
	v_and_b32_e32 v56, v173, v5
	v_mbcnt_lo_u32_b32 v5, v56, 0
	v_mbcnt_hi_u32_b32 v172, v57, v5
	v_cmp_eq_u32_e32 vcc, 0, v172
	v_cmp_ne_u64_e64 s[40:41], 0, v[56:57]
	s_and_b64 s[42:43], s[40:41], vcc
	; wave barrier
	s_and_saveexec_b64 s[40:41], s[42:43]
	s_cbranch_execz .LBB942_466
; %bb.465:                              ;   in Loop: Header=BB942_422 Depth=2
	v_bcnt_u32_b32 v5, v56, 0
	v_bcnt_u32_b32 v5, v57, v5
	s_waitcnt lgkmcnt(0)
	v_add_u32_e32 v5, v168, v5
	ds_write_b32 v170, v5
.LBB942_466:                            ;   in Loop: Header=BB942_422 Depth=2
	s_or_b64 exec, exec, s[40:41]
	s_waitcnt vmcnt(12)
	v_xor_b32_e32 v171, 0x7fff, v171
	v_lshrrev_b32_sdwa v5, s99, v171 dst_sel:DWORD dst_unused:UNUSED_PAD src0_sel:DWORD src1_sel:WORD_0
	v_and_b32_e32 v56, s6, v5
	v_mul_u32_u24_e32 v5, 5, v56
	v_add_lshl_u32 v5, v5, v153, 2
	; wave barrier
	v_add_u32_e32 v175, 0x210, v5
	ds_read_b32 v173, v5 offset:528
	v_and_b32_e32 v5, 1, v56
	v_add_co_u32_e32 v57, vcc, -1, v5
	v_addc_co_u32_e64 v177, s[40:41], 0, -1, vcc
	v_cmp_ne_u32_e32 vcc, 0, v5
	v_xor_b32_e32 v5, vcc_hi, v177
	v_and_b32_e32 v177, exec_hi, v5
	v_lshlrev_b32_e32 v5, 30, v56
	v_xor_b32_e32 v57, vcc_lo, v57
	v_cmp_gt_i64_e32 vcc, 0, v[4:5]
	v_not_b32_e32 v5, v5
	v_ashrrev_i32_e32 v5, 31, v5
	v_and_b32_e32 v57, exec_lo, v57
	v_xor_b32_e32 v178, vcc_hi, v5
	v_xor_b32_e32 v5, vcc_lo, v5
	v_and_b32_e32 v57, v57, v5
	v_lshlrev_b32_e32 v5, 29, v56
	v_cmp_gt_i64_e32 vcc, 0, v[4:5]
	v_not_b32_e32 v5, v5
	v_ashrrev_i32_e32 v5, 31, v5
	v_and_b32_e32 v177, v177, v178
	v_xor_b32_e32 v178, vcc_hi, v5
	v_xor_b32_e32 v5, vcc_lo, v5
	v_and_b32_e32 v57, v57, v5
	v_lshlrev_b32_e32 v5, 28, v56
	v_cmp_gt_i64_e32 vcc, 0, v[4:5]
	v_not_b32_e32 v5, v5
	v_ashrrev_i32_e32 v5, 31, v5
	v_and_b32_e32 v177, v177, v178
	;; [unrolled: 8-line block ×4, first 2 shown]
	v_xor_b32_e32 v178, vcc_hi, v5
	v_xor_b32_e32 v5, vcc_lo, v5
	v_and_b32_e32 v177, v177, v178
	v_and_b32_e32 v178, v57, v5
	v_lshlrev_b32_e32 v5, 25, v56
	v_cmp_gt_i64_e32 vcc, 0, v[4:5]
	v_not_b32_e32 v5, v5
	v_ashrrev_i32_e32 v5, 31, v5
	v_xor_b32_e32 v56, vcc_hi, v5
	v_xor_b32_e32 v5, vcc_lo, v5
	v_and_b32_e32 v57, v177, v56
	v_and_b32_e32 v56, v178, v5
	v_mbcnt_lo_u32_b32 v5, v56, 0
	v_mbcnt_hi_u32_b32 v177, v57, v5
	v_cmp_eq_u32_e32 vcc, 0, v177
	v_cmp_ne_u64_e64 s[40:41], 0, v[56:57]
	s_and_b64 s[42:43], s[40:41], vcc
	; wave barrier
	s_and_saveexec_b64 s[40:41], s[42:43]
	s_cbranch_execz .LBB942_468
; %bb.467:                              ;   in Loop: Header=BB942_422 Depth=2
	v_bcnt_u32_b32 v5, v56, 0
	v_bcnt_u32_b32 v5, v57, v5
	s_waitcnt lgkmcnt(0)
	v_add_u32_e32 v5, v173, v5
	ds_write_b32 v175, v5
.LBB942_468:                            ;   in Loop: Header=BB942_422 Depth=2
	s_or_b64 exec, exec, s[40:41]
	s_waitcnt vmcnt(11)
	v_xor_b32_e32 v176, 0x7fff, v176
	v_lshrrev_b32_sdwa v5, s99, v176 dst_sel:DWORD dst_unused:UNUSED_PAD src0_sel:DWORD src1_sel:WORD_0
	v_and_b32_e32 v56, s6, v5
	v_mul_u32_u24_e32 v5, 5, v56
	v_add_lshl_u32 v5, v5, v153, 2
	; wave barrier
	v_add_u32_e32 v180, 0x210, v5
	ds_read_b32 v178, v5 offset:528
	v_and_b32_e32 v5, 1, v56
	v_add_co_u32_e32 v57, vcc, -1, v5
	v_addc_co_u32_e64 v182, s[40:41], 0, -1, vcc
	v_cmp_ne_u32_e32 vcc, 0, v5
	v_xor_b32_e32 v5, vcc_hi, v182
	v_and_b32_e32 v182, exec_hi, v5
	v_lshlrev_b32_e32 v5, 30, v56
	v_xor_b32_e32 v57, vcc_lo, v57
	v_cmp_gt_i64_e32 vcc, 0, v[4:5]
	v_not_b32_e32 v5, v5
	v_ashrrev_i32_e32 v5, 31, v5
	v_and_b32_e32 v57, exec_lo, v57
	v_xor_b32_e32 v183, vcc_hi, v5
	v_xor_b32_e32 v5, vcc_lo, v5
	v_and_b32_e32 v57, v57, v5
	v_lshlrev_b32_e32 v5, 29, v56
	v_cmp_gt_i64_e32 vcc, 0, v[4:5]
	v_not_b32_e32 v5, v5
	v_ashrrev_i32_e32 v5, 31, v5
	v_and_b32_e32 v182, v182, v183
	v_xor_b32_e32 v183, vcc_hi, v5
	v_xor_b32_e32 v5, vcc_lo, v5
	v_and_b32_e32 v57, v57, v5
	v_lshlrev_b32_e32 v5, 28, v56
	v_cmp_gt_i64_e32 vcc, 0, v[4:5]
	v_not_b32_e32 v5, v5
	v_ashrrev_i32_e32 v5, 31, v5
	v_and_b32_e32 v182, v182, v183
	;; [unrolled: 8-line block ×4, first 2 shown]
	v_xor_b32_e32 v183, vcc_hi, v5
	v_xor_b32_e32 v5, vcc_lo, v5
	v_and_b32_e32 v182, v182, v183
	v_and_b32_e32 v183, v57, v5
	v_lshlrev_b32_e32 v5, 25, v56
	v_cmp_gt_i64_e32 vcc, 0, v[4:5]
	v_not_b32_e32 v5, v5
	v_ashrrev_i32_e32 v5, 31, v5
	v_xor_b32_e32 v56, vcc_hi, v5
	v_xor_b32_e32 v5, vcc_lo, v5
	v_and_b32_e32 v57, v182, v56
	v_and_b32_e32 v56, v183, v5
	v_mbcnt_lo_u32_b32 v5, v56, 0
	v_mbcnt_hi_u32_b32 v182, v57, v5
	v_cmp_eq_u32_e32 vcc, 0, v182
	v_cmp_ne_u64_e64 s[40:41], 0, v[56:57]
	s_and_b64 s[42:43], s[40:41], vcc
	; wave barrier
	s_and_saveexec_b64 s[40:41], s[42:43]
	s_cbranch_execz .LBB942_470
; %bb.469:                              ;   in Loop: Header=BB942_422 Depth=2
	v_bcnt_u32_b32 v5, v56, 0
	v_bcnt_u32_b32 v5, v57, v5
	s_waitcnt lgkmcnt(0)
	v_add_u32_e32 v5, v178, v5
	ds_write_b32 v180, v5
.LBB942_470:                            ;   in Loop: Header=BB942_422 Depth=2
	s_or_b64 exec, exec, s[40:41]
	s_waitcnt vmcnt(10)
	v_xor_b32_e32 v181, 0x7fff, v181
	v_lshrrev_b32_sdwa v5, s99, v181 dst_sel:DWORD dst_unused:UNUSED_PAD src0_sel:DWORD src1_sel:WORD_0
	v_and_b32_e32 v56, s6, v5
	v_mul_u32_u24_e32 v5, 5, v56
	v_add_lshl_u32 v5, v5, v153, 2
	; wave barrier
	v_add_u32_e32 v185, 0x210, v5
	ds_read_b32 v183, v5 offset:528
	v_and_b32_e32 v5, 1, v56
	v_add_co_u32_e32 v57, vcc, -1, v5
	v_addc_co_u32_e64 v187, s[40:41], 0, -1, vcc
	v_cmp_ne_u32_e32 vcc, 0, v5
	v_xor_b32_e32 v5, vcc_hi, v187
	v_and_b32_e32 v187, exec_hi, v5
	v_lshlrev_b32_e32 v5, 30, v56
	v_xor_b32_e32 v57, vcc_lo, v57
	v_cmp_gt_i64_e32 vcc, 0, v[4:5]
	v_not_b32_e32 v5, v5
	v_ashrrev_i32_e32 v5, 31, v5
	v_and_b32_e32 v57, exec_lo, v57
	v_xor_b32_e32 v189, vcc_hi, v5
	v_xor_b32_e32 v5, vcc_lo, v5
	v_and_b32_e32 v57, v57, v5
	v_lshlrev_b32_e32 v5, 29, v56
	v_cmp_gt_i64_e32 vcc, 0, v[4:5]
	v_not_b32_e32 v5, v5
	v_ashrrev_i32_e32 v5, 31, v5
	v_and_b32_e32 v187, v187, v189
	v_xor_b32_e32 v189, vcc_hi, v5
	v_xor_b32_e32 v5, vcc_lo, v5
	v_and_b32_e32 v57, v57, v5
	v_lshlrev_b32_e32 v5, 28, v56
	v_cmp_gt_i64_e32 vcc, 0, v[4:5]
	v_not_b32_e32 v5, v5
	v_ashrrev_i32_e32 v5, 31, v5
	v_and_b32_e32 v187, v187, v189
	;; [unrolled: 8-line block ×4, first 2 shown]
	v_xor_b32_e32 v189, vcc_hi, v5
	v_xor_b32_e32 v5, vcc_lo, v5
	v_and_b32_e32 v187, v187, v189
	v_and_b32_e32 v189, v57, v5
	v_lshlrev_b32_e32 v5, 25, v56
	v_cmp_gt_i64_e32 vcc, 0, v[4:5]
	v_not_b32_e32 v5, v5
	v_ashrrev_i32_e32 v5, 31, v5
	v_xor_b32_e32 v56, vcc_hi, v5
	v_xor_b32_e32 v5, vcc_lo, v5
	v_and_b32_e32 v57, v187, v56
	v_and_b32_e32 v56, v189, v5
	v_mbcnt_lo_u32_b32 v5, v56, 0
	v_mbcnt_hi_u32_b32 v187, v57, v5
	v_cmp_eq_u32_e32 vcc, 0, v187
	v_cmp_ne_u64_e64 s[40:41], 0, v[56:57]
	s_and_b64 s[42:43], s[40:41], vcc
	; wave barrier
	s_and_saveexec_b64 s[40:41], s[42:43]
	s_cbranch_execz .LBB942_472
; %bb.471:                              ;   in Loop: Header=BB942_422 Depth=2
	v_bcnt_u32_b32 v5, v56, 0
	v_bcnt_u32_b32 v5, v57, v5
	s_waitcnt lgkmcnt(0)
	v_add_u32_e32 v5, v183, v5
	ds_write_b32 v185, v5
.LBB942_472:                            ;   in Loop: Header=BB942_422 Depth=2
	s_or_b64 exec, exec, s[40:41]
	s_waitcnt vmcnt(9)
	v_xor_b32_e32 v186, 0x7fff, v186
	v_lshrrev_b32_sdwa v5, s99, v186 dst_sel:DWORD dst_unused:UNUSED_PAD src0_sel:DWORD src1_sel:WORD_0
	v_and_b32_e32 v56, s6, v5
	v_mul_u32_u24_e32 v5, 5, v56
	v_add_lshl_u32 v5, v5, v153, 2
	; wave barrier
	v_add_u32_e32 v190, 0x210, v5
	ds_read_b32 v189, v5 offset:528
	v_and_b32_e32 v5, 1, v56
	v_add_co_u32_e32 v57, vcc, -1, v5
	v_addc_co_u32_e64 v192, s[40:41], 0, -1, vcc
	v_cmp_ne_u32_e32 vcc, 0, v5
	v_xor_b32_e32 v5, vcc_hi, v192
	v_and_b32_e32 v192, exec_hi, v5
	v_lshlrev_b32_e32 v5, 30, v56
	v_xor_b32_e32 v57, vcc_lo, v57
	v_cmp_gt_i64_e32 vcc, 0, v[4:5]
	v_not_b32_e32 v5, v5
	v_ashrrev_i32_e32 v5, 31, v5
	v_and_b32_e32 v57, exec_lo, v57
	v_xor_b32_e32 v194, vcc_hi, v5
	v_xor_b32_e32 v5, vcc_lo, v5
	v_and_b32_e32 v57, v57, v5
	v_lshlrev_b32_e32 v5, 29, v56
	v_cmp_gt_i64_e32 vcc, 0, v[4:5]
	v_not_b32_e32 v5, v5
	v_ashrrev_i32_e32 v5, 31, v5
	v_and_b32_e32 v192, v192, v194
	v_xor_b32_e32 v194, vcc_hi, v5
	v_xor_b32_e32 v5, vcc_lo, v5
	v_and_b32_e32 v57, v57, v5
	v_lshlrev_b32_e32 v5, 28, v56
	v_cmp_gt_i64_e32 vcc, 0, v[4:5]
	v_not_b32_e32 v5, v5
	v_ashrrev_i32_e32 v5, 31, v5
	v_and_b32_e32 v192, v192, v194
	;; [unrolled: 8-line block ×4, first 2 shown]
	v_xor_b32_e32 v194, vcc_hi, v5
	v_xor_b32_e32 v5, vcc_lo, v5
	v_and_b32_e32 v192, v192, v194
	v_and_b32_e32 v194, v57, v5
	v_lshlrev_b32_e32 v5, 25, v56
	v_cmp_gt_i64_e32 vcc, 0, v[4:5]
	v_not_b32_e32 v5, v5
	v_ashrrev_i32_e32 v5, 31, v5
	v_xor_b32_e32 v56, vcc_hi, v5
	v_xor_b32_e32 v5, vcc_lo, v5
	v_and_b32_e32 v57, v192, v56
	v_and_b32_e32 v56, v194, v5
	v_mbcnt_lo_u32_b32 v5, v56, 0
	v_mbcnt_hi_u32_b32 v192, v57, v5
	v_cmp_eq_u32_e32 vcc, 0, v192
	v_cmp_ne_u64_e64 s[40:41], 0, v[56:57]
	s_and_b64 s[42:43], s[40:41], vcc
	; wave barrier
	s_and_saveexec_b64 s[40:41], s[42:43]
	s_cbranch_execz .LBB942_474
; %bb.473:                              ;   in Loop: Header=BB942_422 Depth=2
	v_bcnt_u32_b32 v5, v56, 0
	v_bcnt_u32_b32 v5, v57, v5
	s_waitcnt lgkmcnt(0)
	v_add_u32_e32 v5, v189, v5
	ds_write_b32 v190, v5
.LBB942_474:                            ;   in Loop: Header=BB942_422 Depth=2
	s_or_b64 exec, exec, s[40:41]
	s_waitcnt vmcnt(8)
	v_xor_b32_e32 v191, 0x7fff, v191
	v_lshrrev_b32_sdwa v5, s99, v191 dst_sel:DWORD dst_unused:UNUSED_PAD src0_sel:DWORD src1_sel:WORD_0
	v_and_b32_e32 v56, s6, v5
	v_mul_u32_u24_e32 v5, 5, v56
	v_add_lshl_u32 v5, v5, v153, 2
	; wave barrier
	v_add_u32_e32 v195, 0x210, v5
	ds_read_b32 v194, v5 offset:528
	v_and_b32_e32 v5, 1, v56
	v_add_co_u32_e32 v57, vcc, -1, v5
	v_addc_co_u32_e64 v196, s[40:41], 0, -1, vcc
	v_cmp_ne_u32_e32 vcc, 0, v5
	v_xor_b32_e32 v5, vcc_hi, v196
	v_and_b32_e32 v196, exec_hi, v5
	v_lshlrev_b32_e32 v5, 30, v56
	v_xor_b32_e32 v57, vcc_lo, v57
	v_cmp_gt_i64_e32 vcc, 0, v[4:5]
	v_not_b32_e32 v5, v5
	v_ashrrev_i32_e32 v5, 31, v5
	v_and_b32_e32 v57, exec_lo, v57
	v_xor_b32_e32 v197, vcc_hi, v5
	v_xor_b32_e32 v5, vcc_lo, v5
	v_and_b32_e32 v57, v57, v5
	v_lshlrev_b32_e32 v5, 29, v56
	v_cmp_gt_i64_e32 vcc, 0, v[4:5]
	v_not_b32_e32 v5, v5
	v_ashrrev_i32_e32 v5, 31, v5
	v_and_b32_e32 v196, v196, v197
	v_xor_b32_e32 v197, vcc_hi, v5
	v_xor_b32_e32 v5, vcc_lo, v5
	v_and_b32_e32 v57, v57, v5
	v_lshlrev_b32_e32 v5, 28, v56
	v_cmp_gt_i64_e32 vcc, 0, v[4:5]
	v_not_b32_e32 v5, v5
	v_ashrrev_i32_e32 v5, 31, v5
	v_and_b32_e32 v196, v196, v197
	;; [unrolled: 8-line block ×4, first 2 shown]
	v_xor_b32_e32 v197, vcc_hi, v5
	v_xor_b32_e32 v5, vcc_lo, v5
	v_and_b32_e32 v196, v196, v197
	v_and_b32_e32 v197, v57, v5
	v_lshlrev_b32_e32 v5, 25, v56
	v_cmp_gt_i64_e32 vcc, 0, v[4:5]
	v_not_b32_e32 v5, v5
	v_ashrrev_i32_e32 v5, 31, v5
	v_xor_b32_e32 v56, vcc_hi, v5
	v_xor_b32_e32 v5, vcc_lo, v5
	v_and_b32_e32 v57, v196, v56
	v_and_b32_e32 v56, v197, v5
	v_mbcnt_lo_u32_b32 v5, v56, 0
	v_mbcnt_hi_u32_b32 v196, v57, v5
	v_cmp_eq_u32_e32 vcc, 0, v196
	v_cmp_ne_u64_e64 s[40:41], 0, v[56:57]
	s_and_b64 s[42:43], s[40:41], vcc
	; wave barrier
	s_and_saveexec_b64 s[40:41], s[42:43]
	s_cbranch_execz .LBB942_476
; %bb.475:                              ;   in Loop: Header=BB942_422 Depth=2
	v_bcnt_u32_b32 v5, v56, 0
	v_bcnt_u32_b32 v5, v57, v5
	s_waitcnt lgkmcnt(0)
	v_add_u32_e32 v5, v194, v5
	ds_write_b32 v195, v5
.LBB942_476:                            ;   in Loop: Header=BB942_422 Depth=2
	s_or_b64 exec, exec, s[40:41]
	s_waitcnt vmcnt(7)
	v_xor_b32_e32 v193, 0x7fff, v193
	v_lshrrev_b32_sdwa v5, s99, v193 dst_sel:DWORD dst_unused:UNUSED_PAD src0_sel:DWORD src1_sel:WORD_0
	v_and_b32_e32 v56, s6, v5
	v_mul_u32_u24_e32 v5, 5, v56
	v_add_lshl_u32 v5, v5, v153, 2
	; wave barrier
	v_add_u32_e32 v198, 0x210, v5
	ds_read_b32 v197, v5 offset:528
	v_and_b32_e32 v5, 1, v56
	v_add_co_u32_e32 v57, vcc, -1, v5
	v_addc_co_u32_e64 v199, s[40:41], 0, -1, vcc
	v_cmp_ne_u32_e32 vcc, 0, v5
	v_xor_b32_e32 v5, vcc_hi, v199
	v_and_b32_e32 v199, exec_hi, v5
	v_lshlrev_b32_e32 v5, 30, v56
	v_xor_b32_e32 v57, vcc_lo, v57
	v_cmp_gt_i64_e32 vcc, 0, v[4:5]
	v_not_b32_e32 v5, v5
	v_ashrrev_i32_e32 v5, 31, v5
	v_and_b32_e32 v57, exec_lo, v57
	v_xor_b32_e32 v200, vcc_hi, v5
	v_xor_b32_e32 v5, vcc_lo, v5
	v_and_b32_e32 v57, v57, v5
	v_lshlrev_b32_e32 v5, 29, v56
	v_cmp_gt_i64_e32 vcc, 0, v[4:5]
	v_not_b32_e32 v5, v5
	v_ashrrev_i32_e32 v5, 31, v5
	v_and_b32_e32 v199, v199, v200
	v_xor_b32_e32 v200, vcc_hi, v5
	v_xor_b32_e32 v5, vcc_lo, v5
	v_and_b32_e32 v57, v57, v5
	v_lshlrev_b32_e32 v5, 28, v56
	v_cmp_gt_i64_e32 vcc, 0, v[4:5]
	v_not_b32_e32 v5, v5
	v_ashrrev_i32_e32 v5, 31, v5
	v_and_b32_e32 v199, v199, v200
	;; [unrolled: 8-line block ×4, first 2 shown]
	v_xor_b32_e32 v200, vcc_hi, v5
	v_xor_b32_e32 v5, vcc_lo, v5
	v_and_b32_e32 v199, v199, v200
	v_and_b32_e32 v200, v57, v5
	v_lshlrev_b32_e32 v5, 25, v56
	v_cmp_gt_i64_e32 vcc, 0, v[4:5]
	v_not_b32_e32 v5, v5
	v_ashrrev_i32_e32 v5, 31, v5
	v_xor_b32_e32 v56, vcc_hi, v5
	v_xor_b32_e32 v5, vcc_lo, v5
	v_and_b32_e32 v57, v199, v56
	v_and_b32_e32 v56, v200, v5
	v_mbcnt_lo_u32_b32 v5, v56, 0
	v_mbcnt_hi_u32_b32 v199, v57, v5
	v_cmp_eq_u32_e32 vcc, 0, v199
	v_cmp_ne_u64_e64 s[40:41], 0, v[56:57]
	s_and_b64 s[42:43], s[40:41], vcc
	; wave barrier
	s_and_saveexec_b64 s[40:41], s[42:43]
	s_cbranch_execz .LBB942_478
; %bb.477:                              ;   in Loop: Header=BB942_422 Depth=2
	v_bcnt_u32_b32 v5, v56, 0
	v_bcnt_u32_b32 v5, v57, v5
	s_waitcnt lgkmcnt(0)
	v_add_u32_e32 v5, v197, v5
	ds_write_b32 v198, v5
.LBB942_478:                            ;   in Loop: Header=BB942_422 Depth=2
	s_or_b64 exec, exec, s[40:41]
	s_waitcnt vmcnt(6)
	v_xor_b32_e32 v188, 0x7fff, v188
	v_lshrrev_b32_sdwa v5, s99, v188 dst_sel:DWORD dst_unused:UNUSED_PAD src0_sel:DWORD src1_sel:WORD_0
	v_and_b32_e32 v56, s6, v5
	v_mul_u32_u24_e32 v5, 5, v56
	v_add_lshl_u32 v5, v5, v153, 2
	; wave barrier
	v_add_u32_e32 v201, 0x210, v5
	ds_read_b32 v200, v5 offset:528
	v_and_b32_e32 v5, 1, v56
	v_add_co_u32_e32 v57, vcc, -1, v5
	v_addc_co_u32_e64 v202, s[40:41], 0, -1, vcc
	v_cmp_ne_u32_e32 vcc, 0, v5
	v_xor_b32_e32 v5, vcc_hi, v202
	v_and_b32_e32 v202, exec_hi, v5
	v_lshlrev_b32_e32 v5, 30, v56
	v_xor_b32_e32 v57, vcc_lo, v57
	v_cmp_gt_i64_e32 vcc, 0, v[4:5]
	v_not_b32_e32 v5, v5
	v_ashrrev_i32_e32 v5, 31, v5
	v_and_b32_e32 v57, exec_lo, v57
	v_xor_b32_e32 v203, vcc_hi, v5
	v_xor_b32_e32 v5, vcc_lo, v5
	v_and_b32_e32 v57, v57, v5
	v_lshlrev_b32_e32 v5, 29, v56
	v_cmp_gt_i64_e32 vcc, 0, v[4:5]
	v_not_b32_e32 v5, v5
	v_ashrrev_i32_e32 v5, 31, v5
	v_and_b32_e32 v202, v202, v203
	v_xor_b32_e32 v203, vcc_hi, v5
	v_xor_b32_e32 v5, vcc_lo, v5
	v_and_b32_e32 v57, v57, v5
	v_lshlrev_b32_e32 v5, 28, v56
	v_cmp_gt_i64_e32 vcc, 0, v[4:5]
	v_not_b32_e32 v5, v5
	v_ashrrev_i32_e32 v5, 31, v5
	v_and_b32_e32 v202, v202, v203
	;; [unrolled: 8-line block ×4, first 2 shown]
	v_xor_b32_e32 v203, vcc_hi, v5
	v_xor_b32_e32 v5, vcc_lo, v5
	v_and_b32_e32 v202, v202, v203
	v_and_b32_e32 v203, v57, v5
	v_lshlrev_b32_e32 v5, 25, v56
	v_cmp_gt_i64_e32 vcc, 0, v[4:5]
	v_not_b32_e32 v5, v5
	v_ashrrev_i32_e32 v5, 31, v5
	v_xor_b32_e32 v56, vcc_hi, v5
	v_xor_b32_e32 v5, vcc_lo, v5
	v_and_b32_e32 v57, v202, v56
	v_and_b32_e32 v56, v203, v5
	v_mbcnt_lo_u32_b32 v5, v56, 0
	v_mbcnt_hi_u32_b32 v202, v57, v5
	v_cmp_eq_u32_e32 vcc, 0, v202
	v_cmp_ne_u64_e64 s[40:41], 0, v[56:57]
	s_and_b64 s[42:43], s[40:41], vcc
	; wave barrier
	s_and_saveexec_b64 s[40:41], s[42:43]
	s_cbranch_execz .LBB942_480
; %bb.479:                              ;   in Loop: Header=BB942_422 Depth=2
	v_bcnt_u32_b32 v5, v56, 0
	v_bcnt_u32_b32 v5, v57, v5
	s_waitcnt lgkmcnt(0)
	v_add_u32_e32 v5, v200, v5
	ds_write_b32 v201, v5
.LBB942_480:                            ;   in Loop: Header=BB942_422 Depth=2
	s_or_b64 exec, exec, s[40:41]
	s_waitcnt vmcnt(5)
	v_xor_b32_e32 v184, 0x7fff, v184
	v_lshrrev_b32_sdwa v5, s99, v184 dst_sel:DWORD dst_unused:UNUSED_PAD src0_sel:DWORD src1_sel:WORD_0
	v_and_b32_e32 v56, s6, v5
	v_mul_u32_u24_e32 v5, 5, v56
	v_add_lshl_u32 v5, v5, v153, 2
	; wave barrier
	v_add_u32_e32 v205, 0x210, v5
	ds_read_b32 v203, v5 offset:528
	v_and_b32_e32 v5, 1, v56
	v_add_co_u32_e32 v57, vcc, -1, v5
	v_addc_co_u32_e64 v204, s[40:41], 0, -1, vcc
	v_cmp_ne_u32_e32 vcc, 0, v5
	v_xor_b32_e32 v5, vcc_hi, v204
	v_and_b32_e32 v204, exec_hi, v5
	v_lshlrev_b32_e32 v5, 30, v56
	v_xor_b32_e32 v57, vcc_lo, v57
	v_cmp_gt_i64_e32 vcc, 0, v[4:5]
	v_not_b32_e32 v5, v5
	v_ashrrev_i32_e32 v5, 31, v5
	v_and_b32_e32 v57, exec_lo, v57
	v_xor_b32_e32 v206, vcc_hi, v5
	v_xor_b32_e32 v5, vcc_lo, v5
	v_and_b32_e32 v57, v57, v5
	v_lshlrev_b32_e32 v5, 29, v56
	v_cmp_gt_i64_e32 vcc, 0, v[4:5]
	v_not_b32_e32 v5, v5
	v_ashrrev_i32_e32 v5, 31, v5
	v_and_b32_e32 v204, v204, v206
	v_xor_b32_e32 v206, vcc_hi, v5
	v_xor_b32_e32 v5, vcc_lo, v5
	v_and_b32_e32 v57, v57, v5
	v_lshlrev_b32_e32 v5, 28, v56
	v_cmp_gt_i64_e32 vcc, 0, v[4:5]
	v_not_b32_e32 v5, v5
	v_ashrrev_i32_e32 v5, 31, v5
	v_and_b32_e32 v204, v204, v206
	;; [unrolled: 8-line block ×4, first 2 shown]
	v_xor_b32_e32 v206, vcc_hi, v5
	v_xor_b32_e32 v5, vcc_lo, v5
	v_and_b32_e32 v204, v204, v206
	v_and_b32_e32 v206, v57, v5
	v_lshlrev_b32_e32 v5, 25, v56
	v_cmp_gt_i64_e32 vcc, 0, v[4:5]
	v_not_b32_e32 v5, v5
	v_ashrrev_i32_e32 v5, 31, v5
	v_xor_b32_e32 v56, vcc_hi, v5
	v_xor_b32_e32 v5, vcc_lo, v5
	v_and_b32_e32 v57, v204, v56
	v_and_b32_e32 v56, v206, v5
	v_mbcnt_lo_u32_b32 v5, v56, 0
	v_mbcnt_hi_u32_b32 v206, v57, v5
	v_cmp_eq_u32_e32 vcc, 0, v206
	v_cmp_ne_u64_e64 s[40:41], 0, v[56:57]
	s_and_b64 s[42:43], s[40:41], vcc
	; wave barrier
	s_and_saveexec_b64 s[40:41], s[42:43]
	s_cbranch_execz .LBB942_482
; %bb.481:                              ;   in Loop: Header=BB942_422 Depth=2
	v_bcnt_u32_b32 v5, v56, 0
	v_bcnt_u32_b32 v5, v57, v5
	s_waitcnt lgkmcnt(0)
	v_add_u32_e32 v5, v203, v5
	ds_write_b32 v205, v5
.LBB942_482:                            ;   in Loop: Header=BB942_422 Depth=2
	s_or_b64 exec, exec, s[40:41]
	s_waitcnt vmcnt(4)
	v_xor_b32_e32 v204, 0x7fff, v179
	v_lshrrev_b32_sdwa v5, s99, v204 dst_sel:DWORD dst_unused:UNUSED_PAD src0_sel:DWORD src1_sel:WORD_0
	v_and_b32_e32 v56, s6, v5
	v_mul_u32_u24_e32 v5, 5, v56
	v_add_lshl_u32 v5, v5, v153, 2
	; wave barrier
	v_add_u32_e32 v179, 0x210, v5
	ds_read_b32 v207, v5 offset:528
	v_and_b32_e32 v5, 1, v56
	v_add_co_u32_e32 v57, vcc, -1, v5
	v_addc_co_u32_e64 v208, s[40:41], 0, -1, vcc
	v_cmp_ne_u32_e32 vcc, 0, v5
	v_xor_b32_e32 v5, vcc_hi, v208
	v_and_b32_e32 v208, exec_hi, v5
	v_lshlrev_b32_e32 v5, 30, v56
	v_xor_b32_e32 v57, vcc_lo, v57
	v_cmp_gt_i64_e32 vcc, 0, v[4:5]
	v_not_b32_e32 v5, v5
	v_ashrrev_i32_e32 v5, 31, v5
	v_and_b32_e32 v57, exec_lo, v57
	v_xor_b32_e32 v209, vcc_hi, v5
	v_xor_b32_e32 v5, vcc_lo, v5
	v_and_b32_e32 v57, v57, v5
	v_lshlrev_b32_e32 v5, 29, v56
	v_cmp_gt_i64_e32 vcc, 0, v[4:5]
	v_not_b32_e32 v5, v5
	v_ashrrev_i32_e32 v5, 31, v5
	v_and_b32_e32 v208, v208, v209
	v_xor_b32_e32 v209, vcc_hi, v5
	v_xor_b32_e32 v5, vcc_lo, v5
	v_and_b32_e32 v57, v57, v5
	v_lshlrev_b32_e32 v5, 28, v56
	v_cmp_gt_i64_e32 vcc, 0, v[4:5]
	v_not_b32_e32 v5, v5
	v_ashrrev_i32_e32 v5, 31, v5
	v_and_b32_e32 v208, v208, v209
	;; [unrolled: 8-line block ×4, first 2 shown]
	v_xor_b32_e32 v209, vcc_hi, v5
	v_xor_b32_e32 v5, vcc_lo, v5
	v_and_b32_e32 v208, v208, v209
	v_and_b32_e32 v209, v57, v5
	v_lshlrev_b32_e32 v5, 25, v56
	v_cmp_gt_i64_e32 vcc, 0, v[4:5]
	v_not_b32_e32 v5, v5
	v_ashrrev_i32_e32 v5, 31, v5
	v_xor_b32_e32 v56, vcc_hi, v5
	v_xor_b32_e32 v5, vcc_lo, v5
	v_and_b32_e32 v57, v208, v56
	v_and_b32_e32 v56, v209, v5
	v_mbcnt_lo_u32_b32 v5, v56, 0
	v_mbcnt_hi_u32_b32 v209, v57, v5
	v_cmp_eq_u32_e32 vcc, 0, v209
	v_cmp_ne_u64_e64 s[40:41], 0, v[56:57]
	s_and_b64 s[42:43], s[40:41], vcc
	; wave barrier
	s_and_saveexec_b64 s[40:41], s[42:43]
	s_cbranch_execz .LBB942_484
; %bb.483:                              ;   in Loop: Header=BB942_422 Depth=2
	v_bcnt_u32_b32 v5, v56, 0
	v_bcnt_u32_b32 v5, v57, v5
	s_waitcnt lgkmcnt(0)
	v_add_u32_e32 v5, v207, v5
	ds_write_b32 v179, v5
.LBB942_484:                            ;   in Loop: Header=BB942_422 Depth=2
	s_or_b64 exec, exec, s[40:41]
	s_waitcnt vmcnt(3)
	v_xor_b32_e32 v208, 0x7fff, v174
	v_lshrrev_b32_sdwa v5, s99, v208 dst_sel:DWORD dst_unused:UNUSED_PAD src0_sel:DWORD src1_sel:WORD_0
	v_and_b32_e32 v56, s6, v5
	v_mul_u32_u24_e32 v5, 5, v56
	v_add_lshl_u32 v5, v5, v153, 2
	; wave barrier
	v_add_u32_e32 v174, 0x210, v5
	ds_read_b32 v210, v5 offset:528
	v_and_b32_e32 v5, 1, v56
	v_add_co_u32_e32 v57, vcc, -1, v5
	v_addc_co_u32_e64 v211, s[40:41], 0, -1, vcc
	v_cmp_ne_u32_e32 vcc, 0, v5
	v_xor_b32_e32 v5, vcc_hi, v211
	v_and_b32_e32 v211, exec_hi, v5
	v_lshlrev_b32_e32 v5, 30, v56
	v_xor_b32_e32 v57, vcc_lo, v57
	v_cmp_gt_i64_e32 vcc, 0, v[4:5]
	v_not_b32_e32 v5, v5
	v_ashrrev_i32_e32 v5, 31, v5
	v_and_b32_e32 v57, exec_lo, v57
	v_xor_b32_e32 v212, vcc_hi, v5
	v_xor_b32_e32 v5, vcc_lo, v5
	v_and_b32_e32 v57, v57, v5
	v_lshlrev_b32_e32 v5, 29, v56
	v_cmp_gt_i64_e32 vcc, 0, v[4:5]
	v_not_b32_e32 v5, v5
	v_ashrrev_i32_e32 v5, 31, v5
	v_and_b32_e32 v211, v211, v212
	v_xor_b32_e32 v212, vcc_hi, v5
	v_xor_b32_e32 v5, vcc_lo, v5
	v_and_b32_e32 v57, v57, v5
	v_lshlrev_b32_e32 v5, 28, v56
	v_cmp_gt_i64_e32 vcc, 0, v[4:5]
	v_not_b32_e32 v5, v5
	v_ashrrev_i32_e32 v5, 31, v5
	v_and_b32_e32 v211, v211, v212
	;; [unrolled: 8-line block ×4, first 2 shown]
	v_xor_b32_e32 v212, vcc_hi, v5
	v_xor_b32_e32 v5, vcc_lo, v5
	v_and_b32_e32 v211, v211, v212
	v_and_b32_e32 v212, v57, v5
	v_lshlrev_b32_e32 v5, 25, v56
	v_cmp_gt_i64_e32 vcc, 0, v[4:5]
	v_not_b32_e32 v5, v5
	v_ashrrev_i32_e32 v5, 31, v5
	v_xor_b32_e32 v56, vcc_hi, v5
	v_xor_b32_e32 v5, vcc_lo, v5
	v_and_b32_e32 v57, v211, v56
	v_and_b32_e32 v56, v212, v5
	v_mbcnt_lo_u32_b32 v5, v56, 0
	v_mbcnt_hi_u32_b32 v212, v57, v5
	v_cmp_eq_u32_e32 vcc, 0, v212
	v_cmp_ne_u64_e64 s[40:41], 0, v[56:57]
	s_and_b64 s[42:43], s[40:41], vcc
	; wave barrier
	s_and_saveexec_b64 s[40:41], s[42:43]
	s_cbranch_execz .LBB942_486
; %bb.485:                              ;   in Loop: Header=BB942_422 Depth=2
	v_bcnt_u32_b32 v5, v56, 0
	v_bcnt_u32_b32 v5, v57, v5
	s_waitcnt lgkmcnt(0)
	v_add_u32_e32 v5, v210, v5
	ds_write_b32 v174, v5
.LBB942_486:                            ;   in Loop: Header=BB942_422 Depth=2
	s_or_b64 exec, exec, s[40:41]
	s_waitcnt vmcnt(2)
	v_xor_b32_e32 v211, 0x7fff, v169
	v_lshrrev_b32_sdwa v5, s99, v211 dst_sel:DWORD dst_unused:UNUSED_PAD src0_sel:DWORD src1_sel:WORD_0
	v_and_b32_e32 v56, s6, v5
	v_mul_u32_u24_e32 v5, 5, v56
	v_add_lshl_u32 v5, v5, v153, 2
	; wave barrier
	v_add_u32_e32 v169, 0x210, v5
	ds_read_b32 v213, v5 offset:528
	v_and_b32_e32 v5, 1, v56
	v_add_co_u32_e32 v57, vcc, -1, v5
	v_addc_co_u32_e64 v214, s[40:41], 0, -1, vcc
	v_cmp_ne_u32_e32 vcc, 0, v5
	v_xor_b32_e32 v5, vcc_hi, v214
	v_and_b32_e32 v214, exec_hi, v5
	v_lshlrev_b32_e32 v5, 30, v56
	v_xor_b32_e32 v57, vcc_lo, v57
	v_cmp_gt_i64_e32 vcc, 0, v[4:5]
	v_not_b32_e32 v5, v5
	v_ashrrev_i32_e32 v5, 31, v5
	v_and_b32_e32 v57, exec_lo, v57
	v_xor_b32_e32 v215, vcc_hi, v5
	v_xor_b32_e32 v5, vcc_lo, v5
	v_and_b32_e32 v57, v57, v5
	v_lshlrev_b32_e32 v5, 29, v56
	v_cmp_gt_i64_e32 vcc, 0, v[4:5]
	v_not_b32_e32 v5, v5
	v_ashrrev_i32_e32 v5, 31, v5
	v_and_b32_e32 v214, v214, v215
	v_xor_b32_e32 v215, vcc_hi, v5
	v_xor_b32_e32 v5, vcc_lo, v5
	v_and_b32_e32 v57, v57, v5
	v_lshlrev_b32_e32 v5, 28, v56
	v_cmp_gt_i64_e32 vcc, 0, v[4:5]
	v_not_b32_e32 v5, v5
	v_ashrrev_i32_e32 v5, 31, v5
	v_and_b32_e32 v214, v214, v215
	;; [unrolled: 8-line block ×4, first 2 shown]
	v_xor_b32_e32 v215, vcc_hi, v5
	v_xor_b32_e32 v5, vcc_lo, v5
	v_and_b32_e32 v214, v214, v215
	v_and_b32_e32 v215, v57, v5
	v_lshlrev_b32_e32 v5, 25, v56
	v_cmp_gt_i64_e32 vcc, 0, v[4:5]
	v_not_b32_e32 v5, v5
	v_ashrrev_i32_e32 v5, 31, v5
	v_xor_b32_e32 v56, vcc_hi, v5
	v_xor_b32_e32 v5, vcc_lo, v5
	v_and_b32_e32 v57, v214, v56
	v_and_b32_e32 v56, v215, v5
	v_mbcnt_lo_u32_b32 v5, v56, 0
	v_mbcnt_hi_u32_b32 v215, v57, v5
	v_cmp_eq_u32_e32 vcc, 0, v215
	v_cmp_ne_u64_e64 s[40:41], 0, v[56:57]
	s_and_b64 s[42:43], s[40:41], vcc
	; wave barrier
	s_and_saveexec_b64 s[40:41], s[42:43]
	s_cbranch_execz .LBB942_488
; %bb.487:                              ;   in Loop: Header=BB942_422 Depth=2
	v_bcnt_u32_b32 v5, v56, 0
	v_bcnt_u32_b32 v5, v57, v5
	s_waitcnt lgkmcnt(0)
	v_add_u32_e32 v5, v213, v5
	ds_write_b32 v169, v5
.LBB942_488:                            ;   in Loop: Header=BB942_422 Depth=2
	s_or_b64 exec, exec, s[40:41]
	s_waitcnt vmcnt(0)
	v_xor_b32_e32 v214, 0x7fff, v164
	v_lshrrev_b32_sdwa v5, s99, v214 dst_sel:DWORD dst_unused:UNUSED_PAD src0_sel:DWORD src1_sel:WORD_0
	v_and_b32_e32 v56, s6, v5
	v_mul_u32_u24_e32 v5, 5, v56
	v_add_lshl_u32 v5, v5, v153, 2
	; wave barrier
	v_add_u32_e32 v164, 0x210, v5
	ds_read_b32 v216, v5 offset:528
	v_and_b32_e32 v5, 1, v56
	v_add_co_u32_e32 v57, vcc, -1, v5
	v_addc_co_u32_e64 v217, s[40:41], 0, -1, vcc
	v_cmp_ne_u32_e32 vcc, 0, v5
	v_xor_b32_e32 v5, vcc_hi, v217
	v_and_b32_e32 v217, exec_hi, v5
	v_lshlrev_b32_e32 v5, 30, v56
	v_xor_b32_e32 v57, vcc_lo, v57
	v_cmp_gt_i64_e32 vcc, 0, v[4:5]
	v_not_b32_e32 v5, v5
	v_ashrrev_i32_e32 v5, 31, v5
	v_and_b32_e32 v57, exec_lo, v57
	v_xor_b32_e32 v218, vcc_hi, v5
	v_xor_b32_e32 v5, vcc_lo, v5
	v_and_b32_e32 v57, v57, v5
	v_lshlrev_b32_e32 v5, 29, v56
	v_cmp_gt_i64_e32 vcc, 0, v[4:5]
	v_not_b32_e32 v5, v5
	v_ashrrev_i32_e32 v5, 31, v5
	v_and_b32_e32 v217, v217, v218
	v_xor_b32_e32 v218, vcc_hi, v5
	v_xor_b32_e32 v5, vcc_lo, v5
	v_and_b32_e32 v57, v57, v5
	v_lshlrev_b32_e32 v5, 28, v56
	v_cmp_gt_i64_e32 vcc, 0, v[4:5]
	v_not_b32_e32 v5, v5
	v_ashrrev_i32_e32 v5, 31, v5
	v_and_b32_e32 v217, v217, v218
	v_xor_b32_e32 v218, vcc_hi, v5
	v_xor_b32_e32 v5, vcc_lo, v5
	v_and_b32_e32 v57, v57, v5
	v_lshlrev_b32_e32 v5, 27, v56
	v_cmp_gt_i64_e32 vcc, 0, v[4:5]
	v_not_b32_e32 v5, v5
	v_ashrrev_i32_e32 v5, 31, v5
	v_and_b32_e32 v217, v217, v218
	v_xor_b32_e32 v218, vcc_hi, v5
	v_xor_b32_e32 v5, vcc_lo, v5
	v_and_b32_e32 v57, v57, v5
	v_lshlrev_b32_e32 v5, 26, v56
	v_cmp_gt_i64_e32 vcc, 0, v[4:5]
	v_not_b32_e32 v5, v5
	v_ashrrev_i32_e32 v5, 31, v5
	v_and_b32_e32 v217, v217, v218
	v_xor_b32_e32 v218, vcc_hi, v5
	v_xor_b32_e32 v5, vcc_lo, v5
	v_and_b32_e32 v217, v217, v218
	v_and_b32_e32 v218, v57, v5
	v_lshlrev_b32_e32 v5, 25, v56
	v_cmp_gt_i64_e32 vcc, 0, v[4:5]
	v_not_b32_e32 v5, v5
	v_ashrrev_i32_e32 v5, 31, v5
	v_xor_b32_e32 v56, vcc_hi, v5
	v_xor_b32_e32 v5, vcc_lo, v5
	v_and_b32_e32 v57, v217, v56
	v_and_b32_e32 v56, v218, v5
	v_mbcnt_lo_u32_b32 v5, v56, 0
	v_mbcnt_hi_u32_b32 v218, v57, v5
	v_cmp_eq_u32_e32 vcc, 0, v218
	v_cmp_ne_u64_e64 s[40:41], 0, v[56:57]
	s_and_b64 s[42:43], s[40:41], vcc
	; wave barrier
	s_and_saveexec_b64 s[40:41], s[42:43]
	s_cbranch_execz .LBB942_490
; %bb.489:                              ;   in Loop: Header=BB942_422 Depth=2
	v_bcnt_u32_b32 v5, v56, 0
	v_bcnt_u32_b32 v5, v57, v5
	s_waitcnt lgkmcnt(0)
	v_add_u32_e32 v5, v216, v5
	ds_write_b32 v164, v5
.LBB942_490:                            ;   in Loop: Header=BB942_422 Depth=2
	s_or_b64 exec, exec, s[40:41]
	v_xor_b32_e32 v217, 0x7fff, v159
	v_lshrrev_b32_sdwa v5, s99, v217 dst_sel:DWORD dst_unused:UNUSED_PAD src0_sel:DWORD src1_sel:WORD_0
	v_and_b32_e32 v56, s6, v5
	v_mul_u32_u24_e32 v5, 5, v56
	v_add_lshl_u32 v5, v5, v153, 2
	; wave barrier
	v_add_u32_e32 v159, 0x210, v5
	ds_read_b32 v219, v5 offset:528
	v_and_b32_e32 v5, 1, v56
	v_add_co_u32_e32 v57, vcc, -1, v5
	v_addc_co_u32_e64 v220, s[40:41], 0, -1, vcc
	v_cmp_ne_u32_e32 vcc, 0, v5
	v_xor_b32_e32 v5, vcc_hi, v220
	v_and_b32_e32 v220, exec_hi, v5
	v_lshlrev_b32_e32 v5, 30, v56
	v_xor_b32_e32 v57, vcc_lo, v57
	v_cmp_gt_i64_e32 vcc, 0, v[4:5]
	v_not_b32_e32 v5, v5
	v_ashrrev_i32_e32 v5, 31, v5
	v_and_b32_e32 v57, exec_lo, v57
	v_xor_b32_e32 v221, vcc_hi, v5
	v_xor_b32_e32 v5, vcc_lo, v5
	v_and_b32_e32 v57, v57, v5
	v_lshlrev_b32_e32 v5, 29, v56
	v_cmp_gt_i64_e32 vcc, 0, v[4:5]
	v_not_b32_e32 v5, v5
	v_ashrrev_i32_e32 v5, 31, v5
	v_and_b32_e32 v220, v220, v221
	v_xor_b32_e32 v221, vcc_hi, v5
	v_xor_b32_e32 v5, vcc_lo, v5
	v_and_b32_e32 v57, v57, v5
	v_lshlrev_b32_e32 v5, 28, v56
	v_cmp_gt_i64_e32 vcc, 0, v[4:5]
	v_not_b32_e32 v5, v5
	v_ashrrev_i32_e32 v5, 31, v5
	v_and_b32_e32 v220, v220, v221
	;; [unrolled: 8-line block ×4, first 2 shown]
	v_xor_b32_e32 v221, vcc_hi, v5
	v_xor_b32_e32 v5, vcc_lo, v5
	v_and_b32_e32 v220, v220, v221
	v_and_b32_e32 v221, v57, v5
	v_lshlrev_b32_e32 v5, 25, v56
	v_cmp_gt_i64_e32 vcc, 0, v[4:5]
	v_not_b32_e32 v5, v5
	v_ashrrev_i32_e32 v5, 31, v5
	v_xor_b32_e32 v56, vcc_hi, v5
	v_xor_b32_e32 v5, vcc_lo, v5
	v_and_b32_e32 v57, v220, v56
	v_and_b32_e32 v56, v221, v5
	v_mbcnt_lo_u32_b32 v5, v56, 0
	v_mbcnt_hi_u32_b32 v221, v57, v5
	v_cmp_eq_u32_e32 vcc, 0, v221
	v_cmp_ne_u64_e64 s[40:41], 0, v[56:57]
	s_and_b64 s[42:43], s[40:41], vcc
	; wave barrier
	s_and_saveexec_b64 s[40:41], s[42:43]
	s_cbranch_execz .LBB942_492
; %bb.491:                              ;   in Loop: Header=BB942_422 Depth=2
	v_bcnt_u32_b32 v5, v56, 0
	v_bcnt_u32_b32 v5, v57, v5
	s_waitcnt lgkmcnt(0)
	v_add_u32_e32 v5, v219, v5
	ds_write_b32 v159, v5
.LBB942_492:                            ;   in Loop: Header=BB942_422 Depth=2
	s_or_b64 exec, exec, s[40:41]
	v_xor_b32_e32 v220, 0x7fff, v166
	v_lshrrev_b32_sdwa v5, s99, v220 dst_sel:DWORD dst_unused:UNUSED_PAD src0_sel:DWORD src1_sel:WORD_0
	v_and_b32_e32 v56, s6, v5
	v_mul_u32_u24_e32 v5, 5, v56
	v_add_lshl_u32 v5, v5, v153, 2
	; wave barrier
	v_add_u32_e32 v166, 0x210, v5
	ds_read_b32 v222, v5 offset:528
	v_and_b32_e32 v5, 1, v56
	v_add_co_u32_e32 v57, vcc, -1, v5
	v_addc_co_u32_e64 v223, s[40:41], 0, -1, vcc
	v_cmp_ne_u32_e32 vcc, 0, v5
	v_xor_b32_e32 v5, vcc_hi, v223
	v_and_b32_e32 v223, exec_hi, v5
	v_lshlrev_b32_e32 v5, 30, v56
	v_xor_b32_e32 v57, vcc_lo, v57
	v_cmp_gt_i64_e32 vcc, 0, v[4:5]
	v_not_b32_e32 v5, v5
	v_ashrrev_i32_e32 v5, 31, v5
	v_and_b32_e32 v57, exec_lo, v57
	v_xor_b32_e32 v224, vcc_hi, v5
	v_xor_b32_e32 v5, vcc_lo, v5
	v_and_b32_e32 v57, v57, v5
	v_lshlrev_b32_e32 v5, 29, v56
	v_cmp_gt_i64_e32 vcc, 0, v[4:5]
	v_not_b32_e32 v5, v5
	v_ashrrev_i32_e32 v5, 31, v5
	v_and_b32_e32 v223, v223, v224
	v_xor_b32_e32 v224, vcc_hi, v5
	v_xor_b32_e32 v5, vcc_lo, v5
	v_and_b32_e32 v57, v57, v5
	v_lshlrev_b32_e32 v5, 28, v56
	v_cmp_gt_i64_e32 vcc, 0, v[4:5]
	v_not_b32_e32 v5, v5
	v_ashrrev_i32_e32 v5, 31, v5
	v_and_b32_e32 v223, v223, v224
	;; [unrolled: 8-line block ×4, first 2 shown]
	v_xor_b32_e32 v224, vcc_hi, v5
	v_xor_b32_e32 v5, vcc_lo, v5
	v_and_b32_e32 v223, v223, v224
	v_and_b32_e32 v224, v57, v5
	v_lshlrev_b32_e32 v5, 25, v56
	v_cmp_gt_i64_e32 vcc, 0, v[4:5]
	v_not_b32_e32 v5, v5
	v_ashrrev_i32_e32 v5, 31, v5
	v_xor_b32_e32 v56, vcc_hi, v5
	v_xor_b32_e32 v5, vcc_lo, v5
	v_and_b32_e32 v57, v223, v56
	v_and_b32_e32 v56, v224, v5
	v_mbcnt_lo_u32_b32 v5, v56, 0
	v_mbcnt_hi_u32_b32 v5, v57, v5
	v_cmp_eq_u32_e32 vcc, 0, v5
	v_cmp_ne_u64_e64 s[40:41], 0, v[56:57]
	s_and_b64 s[42:43], s[40:41], vcc
	; wave barrier
	s_and_saveexec_b64 s[40:41], s[42:43]
	s_cbranch_execz .LBB942_494
; %bb.493:                              ;   in Loop: Header=BB942_422 Depth=2
	v_bcnt_u32_b32 v56, v56, 0
	v_bcnt_u32_b32 v56, v57, v56
	s_waitcnt lgkmcnt(0)
	v_add_u32_e32 v56, v222, v56
	ds_write_b32 v166, v56
.LBB942_494:                            ;   in Loop: Header=BB942_422 Depth=2
	s_or_b64 exec, exec, s[40:41]
	; wave barrier
	s_waitcnt lgkmcnt(0)
	s_barrier
	ds_read_b32 v223, v58 offset:528
	ds_read2_b32 v[56:57], v67 offset0:1 offset1:2
	s_waitcnt lgkmcnt(0)
	v_add3_u32 v57, v56, v223, v57
	s_nop 1
	v_mov_b32_dpp v224, v57 row_shr:1 row_mask:0xf bank_mask:0xf
	v_cndmask_b32_e64 v224, v224, 0, s[20:21]
	v_add_u32_e32 v57, v224, v57
	s_nop 1
	v_mov_b32_dpp v224, v57 row_shr:2 row_mask:0xf bank_mask:0xf
	v_cndmask_b32_e64 v224, 0, v224, s[22:23]
	v_add_u32_e32 v57, v57, v224
	;; [unrolled: 4-line block ×4, first 2 shown]
	s_nop 1
	v_mov_b32_dpp v224, v57 row_bcast:15 row_mask:0xf bank_mask:0xf
	v_cndmask_b32_e64 v224, v224, 0, s[28:29]
	v_add_u32_e32 v57, v57, v224
	s_nop 1
	v_mov_b32_dpp v224, v57 row_bcast:31 row_mask:0xf bank_mask:0xf
	v_cndmask_b32_e64 v224, 0, v224, s[30:31]
	v_add_u32_e32 v57, v57, v224
	s_and_saveexec_b64 s[40:41], s[12:13]
	s_cbranch_execz .LBB942_496
; %bb.495:                              ;   in Loop: Header=BB942_422 Depth=2
	ds_write_b32 v60, v57 offset:512
.LBB942_496:                            ;   in Loop: Header=BB942_422 Depth=2
	s_or_b64 exec, exec, s[40:41]
	s_waitcnt lgkmcnt(0)
	s_barrier
	s_and_saveexec_b64 s[40:41], s[14:15]
	s_cbranch_execz .LBB942_498
; %bb.497:                              ;   in Loop: Header=BB942_422 Depth=2
	ds_read_b32 v224, v69 offset:512
	s_waitcnt lgkmcnt(0)
	s_nop 0
	v_mov_b32_dpp v225, v224 row_shr:1 row_mask:0xf bank_mask:0xf
	v_cndmask_b32_e64 v225, v225, 0, s[36:37]
	v_add_u32_e32 v224, v225, v224
	s_nop 1
	v_mov_b32_dpp v225, v224 row_shr:2 row_mask:0xf bank_mask:0xf
	v_cndmask_b32_e64 v225, 0, v225, s[38:39]
	v_add_u32_e32 v224, v224, v225
	ds_write_b32 v69, v224 offset:512
.LBB942_498:                            ;   in Loop: Header=BB942_422 Depth=2
	s_or_b64 exec, exec, s[40:41]
	v_mov_b32_e32 v224, 0
	s_waitcnt lgkmcnt(0)
	s_barrier
	s_and_saveexec_b64 s[40:41], s[10:11]
	s_cbranch_execz .LBB942_500
; %bb.499:                              ;   in Loop: Header=BB942_422 Depth=2
	ds_read_b32 v224, v60 offset:508
.LBB942_500:                            ;   in Loop: Header=BB942_422 Depth=2
	s_or_b64 exec, exec, s[40:41]
	s_waitcnt lgkmcnt(0)
	v_add_u32_e32 v57, v224, v57
	ds_bpermute_b32 v57, v129, v57
	s_waitcnt lgkmcnt(0)
	v_cndmask_b32_e64 v57, v57, v224, s[34:35]
	v_cndmask_b32_e64 v57, v57, 0, s[16:17]
	v_add_u32_e32 v223, v57, v223
	v_add_u32_e32 v56, v223, v56
	ds_write_b32 v58, v57 offset:528
	ds_write2_b32 v67, v223, v56 offset0:1 offset1:2
	s_waitcnt lgkmcnt(0)
	s_barrier
	ds_read_b32 v56, v158
	ds_read_b32 v57, v163
	;; [unrolled: 1-line block ×17, first 2 shown]
	s_and_saveexec_b64 s[40:41], s[4:5]
	s_cbranch_execz .LBB942_504
; %bb.501:                              ;   in Loop: Header=BB942_422 Depth=2
	ds_read_b32 v154, v70 offset:528
	v_mov_b32_e32 v155, 0x1100
	s_and_saveexec_b64 s[42:43], s[18:19]
	s_cbranch_execz .LBB942_503
; %bb.502:                              ;   in Loop: Header=BB942_422 Depth=2
	ds_read_b32 v155, v70 offset:548
.LBB942_503:                            ;   in Loop: Header=BB942_422 Depth=2
	s_or_b64 exec, exec, s[42:43]
	s_waitcnt lgkmcnt(0)
	v_sub_u32_e32 v155, v155, v154
.LBB942_504:                            ;   in Loop: Header=BB942_422 Depth=2
	s_or_b64 exec, exec, s[40:41]
	s_waitcnt lgkmcnt(0)
	s_barrier
	s_and_saveexec_b64 s[40:41], s[4:5]
	s_cbranch_execz .LBB942_506
; %bb.505:                              ;   in Loop: Header=BB942_422 Depth=2
	ds_read_b32 v159, v3
	s_waitcnt lgkmcnt(0)
	v_sub_u32_e32 v159, v159, v154
	ds_write_b32 v3, v159
.LBB942_506:                            ;   in Loop: Header=BB942_422 Depth=2
	s_or_b64 exec, exec, s[40:41]
	v_add_u32_e32 v179, v56, v161
	v_add3_u32 v175, v167, v162, v57
	v_lshlrev_b32_e32 v56, 1, v179
	v_add3_u32 v174, v172, v168, v158
	ds_write_b16 v56, v157 offset:512
	v_lshlrev_b32_e32 v56, 1, v175
	v_add3_u32 v173, v177, v173, v163
	ds_write_b16 v56, v160 offset:512
	;; [unrolled: 3-line block ×15, first 2 shown]
	v_lshlrev_b32_e32 v56, 1, v158
	ds_write_b16 v56, v217 offset:512
	v_lshlrev_b32_e32 v56, 1, v5
	v_cmp_lt_u32_e64 s[40:41], v2, v156
	ds_write_b16 v56, v220 offset:512
	s_waitcnt lgkmcnt(0)
	s_barrier
	s_and_saveexec_b64 s[42:43], s[40:41]
	s_cbranch_execz .LBB942_558
; %bb.507:                              ;   in Loop: Header=BB942_422 Depth=2
	v_add_u32_e32 v56, v70, v75
	ds_read_u16 v56, v56 offset:512
	v_mov_b32_e32 v160, s81
	s_waitcnt lgkmcnt(0)
	v_lshrrev_b32_sdwa v57, s99, v56 dst_sel:DWORD dst_unused:UNUSED_PAD src0_sel:DWORD src1_sel:WORD_0
	v_and_b32_e32 v57, s6, v57
	v_lshlrev_b32_e32 v57, 2, v57
	ds_read_b32 v157, v57
	v_mov_b32_e32 v57, v4
	v_xor_b32_e32 v165, 0x7fff, v56
	s_waitcnt lgkmcnt(0)
	v_add_u32_e32 v56, v157, v2
	v_lshlrev_b64 v[56:57], 1, v[56:57]
	v_add_co_u32_e32 v56, vcc, s80, v56
	v_addc_co_u32_e32 v57, vcc, v160, v57, vcc
	global_store_short v[56:57], v165, off
	s_or_b64 exec, exec, s[42:43]
	v_cmp_lt_u32_e64 s[42:43], v7, v156
	s_and_saveexec_b64 s[44:45], s[42:43]
	s_cbranch_execnz .LBB942_559
.LBB942_508:                            ;   in Loop: Header=BB942_422 Depth=2
	s_or_b64 exec, exec, s[44:45]
	v_cmp_lt_u32_e64 s[44:45], v13, v156
	s_and_saveexec_b64 s[46:47], s[44:45]
	s_cbranch_execz .LBB942_560
.LBB942_509:                            ;   in Loop: Header=BB942_422 Depth=2
	ds_read_u16 v56, v76 offset:1024
	v_mov_b32_e32 v160, s81
	s_waitcnt lgkmcnt(0)
	v_lshrrev_b32_sdwa v57, s99, v56 dst_sel:DWORD dst_unused:UNUSED_PAD src0_sel:DWORD src1_sel:WORD_0
	v_and_b32_e32 v57, s6, v57
	v_lshlrev_b32_e32 v57, 2, v57
	ds_read_b32 v157, v57
	v_mov_b32_e32 v57, v4
	v_xor_b32_e32 v165, 0x7fff, v56
	s_waitcnt lgkmcnt(0)
	v_add_u32_e32 v56, v157, v13
	v_lshlrev_b64 v[56:57], 1, v[56:57]
	v_add_co_u32_e32 v56, vcc, s80, v56
	v_addc_co_u32_e32 v57, vcc, v160, v57, vcc
	global_store_short v[56:57], v165, off
	s_or_b64 exec, exec, s[46:47]
	v_cmp_lt_u32_e64 s[46:47], v15, v156
	s_and_saveexec_b64 s[48:49], s[46:47]
	s_cbranch_execnz .LBB942_561
.LBB942_510:                            ;   in Loop: Header=BB942_422 Depth=2
	s_or_b64 exec, exec, s[48:49]
	v_cmp_lt_u32_e64 s[48:49], v17, v156
	s_and_saveexec_b64 s[50:51], s[48:49]
	s_cbranch_execz .LBB942_562
.LBB942_511:                            ;   in Loop: Header=BB942_422 Depth=2
	ds_read_u16 v56, v76 offset:2048
	v_mov_b32_e32 v160, s81
	s_waitcnt lgkmcnt(0)
	v_lshrrev_b32_sdwa v57, s99, v56 dst_sel:DWORD dst_unused:UNUSED_PAD src0_sel:DWORD src1_sel:WORD_0
	v_and_b32_e32 v57, s6, v57
	v_lshlrev_b32_e32 v57, 2, v57
	ds_read_b32 v157, v57
	v_mov_b32_e32 v57, v4
	v_xor_b32_e32 v165, 0x7fff, v56
	s_waitcnt lgkmcnt(0)
	v_add_u32_e32 v56, v157, v17
	v_lshlrev_b64 v[56:57], 1, v[56:57]
	v_add_co_u32_e32 v56, vcc, s80, v56
	v_addc_co_u32_e32 v57, vcc, v160, v57, vcc
	global_store_short v[56:57], v165, off
	s_or_b64 exec, exec, s[50:51]
	v_cmp_lt_u32_e64 s[50:51], v19, v156
	s_and_saveexec_b64 s[52:53], s[50:51]
	s_cbranch_execnz .LBB942_563
.LBB942_512:                            ;   in Loop: Header=BB942_422 Depth=2
	s_or_b64 exec, exec, s[52:53]
	v_cmp_lt_u32_e64 s[52:53], v21, v156
	s_and_saveexec_b64 s[54:55], s[52:53]
	s_cbranch_execz .LBB942_564
.LBB942_513:                            ;   in Loop: Header=BB942_422 Depth=2
	ds_read_u16 v56, v76 offset:3072
	v_mov_b32_e32 v160, s81
	s_waitcnt lgkmcnt(0)
	v_lshrrev_b32_sdwa v57, s99, v56 dst_sel:DWORD dst_unused:UNUSED_PAD src0_sel:DWORD src1_sel:WORD_0
	v_and_b32_e32 v57, s6, v57
	v_lshlrev_b32_e32 v57, 2, v57
	ds_read_b32 v157, v57
	v_mov_b32_e32 v57, v4
	v_xor_b32_e32 v165, 0x7fff, v56
	s_waitcnt lgkmcnt(0)
	v_add_u32_e32 v56, v157, v21
	v_lshlrev_b64 v[56:57], 1, v[56:57]
	v_add_co_u32_e32 v56, vcc, s80, v56
	v_addc_co_u32_e32 v57, vcc, v160, v57, vcc
	global_store_short v[56:57], v165, off
	s_or_b64 exec, exec, s[54:55]
	v_cmp_lt_u32_e64 s[54:55], v23, v156
	s_and_saveexec_b64 s[56:57], s[54:55]
	s_cbranch_execnz .LBB942_565
.LBB942_514:                            ;   in Loop: Header=BB942_422 Depth=2
	s_or_b64 exec, exec, s[56:57]
	v_cmp_lt_u32_e64 s[56:57], v6, v156
	s_and_saveexec_b64 s[58:59], s[56:57]
	s_cbranch_execz .LBB942_566
.LBB942_515:                            ;   in Loop: Header=BB942_422 Depth=2
	ds_read_u16 v56, v76 offset:4096
	v_mov_b32_e32 v160, s81
	s_waitcnt lgkmcnt(0)
	v_lshrrev_b32_sdwa v57, s99, v56 dst_sel:DWORD dst_unused:UNUSED_PAD src0_sel:DWORD src1_sel:WORD_0
	v_and_b32_e32 v57, s6, v57
	v_lshlrev_b32_e32 v57, 2, v57
	ds_read_b32 v157, v57
	v_mov_b32_e32 v57, v4
	v_xor_b32_e32 v165, 0x7fff, v56
	s_waitcnt lgkmcnt(0)
	v_add_u32_e32 v56, v157, v6
	v_lshlrev_b64 v[56:57], 1, v[56:57]
	v_add_co_u32_e32 v56, vcc, s80, v56
	v_addc_co_u32_e32 v57, vcc, v160, v57, vcc
	global_store_short v[56:57], v165, off
	s_or_b64 exec, exec, s[58:59]
	v_cmp_lt_u32_e64 s[58:59], v8, v156
	s_and_saveexec_b64 s[60:61], s[58:59]
	s_cbranch_execnz .LBB942_567
.LBB942_516:                            ;   in Loop: Header=BB942_422 Depth=2
	s_or_b64 exec, exec, s[60:61]
	v_cmp_lt_u32_e64 s[60:61], v10, v156
	s_and_saveexec_b64 s[62:63], s[60:61]
	s_cbranch_execz .LBB942_568
.LBB942_517:                            ;   in Loop: Header=BB942_422 Depth=2
	ds_read_u16 v56, v76 offset:5120
	v_mov_b32_e32 v160, s81
	s_waitcnt lgkmcnt(0)
	v_lshrrev_b32_sdwa v57, s99, v56 dst_sel:DWORD dst_unused:UNUSED_PAD src0_sel:DWORD src1_sel:WORD_0
	v_and_b32_e32 v57, s6, v57
	v_lshlrev_b32_e32 v57, 2, v57
	ds_read_b32 v157, v57
	v_mov_b32_e32 v57, v4
	v_xor_b32_e32 v165, 0x7fff, v56
	s_waitcnt lgkmcnt(0)
	v_add_u32_e32 v56, v157, v10
	v_lshlrev_b64 v[56:57], 1, v[56:57]
	v_add_co_u32_e32 v56, vcc, s80, v56
	v_addc_co_u32_e32 v57, vcc, v160, v57, vcc
	global_store_short v[56:57], v165, off
	s_or_b64 exec, exec, s[62:63]
	v_cmp_lt_u32_e64 s[62:63], v12, v156
	s_and_saveexec_b64 s[64:65], s[62:63]
	s_cbranch_execnz .LBB942_569
.LBB942_518:                            ;   in Loop: Header=BB942_422 Depth=2
	s_or_b64 exec, exec, s[64:65]
	v_cmp_lt_u32_e64 s[64:65], v14, v156
	s_and_saveexec_b64 s[66:67], s[64:65]
	s_cbranch_execz .LBB942_570
.LBB942_519:                            ;   in Loop: Header=BB942_422 Depth=2
	ds_read_u16 v56, v76 offset:6144
	v_mov_b32_e32 v160, s81
	s_waitcnt lgkmcnt(0)
	v_lshrrev_b32_sdwa v57, s99, v56 dst_sel:DWORD dst_unused:UNUSED_PAD src0_sel:DWORD src1_sel:WORD_0
	v_and_b32_e32 v57, s6, v57
	v_lshlrev_b32_e32 v57, 2, v57
	ds_read_b32 v157, v57
	v_mov_b32_e32 v57, v4
	v_xor_b32_e32 v165, 0x7fff, v56
	s_waitcnt lgkmcnt(0)
	v_add_u32_e32 v56, v157, v14
	v_lshlrev_b64 v[56:57], 1, v[56:57]
	v_add_co_u32_e32 v56, vcc, s80, v56
	v_addc_co_u32_e32 v57, vcc, v160, v57, vcc
	global_store_short v[56:57], v165, off
	s_or_b64 exec, exec, s[66:67]
	v_cmp_lt_u32_e64 s[66:67], v16, v156
	s_and_saveexec_b64 s[68:69], s[66:67]
	s_cbranch_execnz .LBB942_571
.LBB942_520:                            ;   in Loop: Header=BB942_422 Depth=2
	s_or_b64 exec, exec, s[68:69]
	v_cmp_lt_u32_e64 s[68:69], v18, v156
	s_and_saveexec_b64 s[70:71], s[68:69]
	s_cbranch_execz .LBB942_572
.LBB942_521:                            ;   in Loop: Header=BB942_422 Depth=2
	ds_read_u16 v56, v76 offset:7168
	v_mov_b32_e32 v160, s81
	s_waitcnt lgkmcnt(0)
	v_lshrrev_b32_sdwa v57, s99, v56 dst_sel:DWORD dst_unused:UNUSED_PAD src0_sel:DWORD src1_sel:WORD_0
	v_and_b32_e32 v57, s6, v57
	v_lshlrev_b32_e32 v57, 2, v57
	ds_read_b32 v157, v57
	v_mov_b32_e32 v57, v4
	v_xor_b32_e32 v165, 0x7fff, v56
	s_waitcnt lgkmcnt(0)
	v_add_u32_e32 v56, v157, v18
	v_lshlrev_b64 v[56:57], 1, v[56:57]
	v_add_co_u32_e32 v56, vcc, s80, v56
	v_addc_co_u32_e32 v57, vcc, v160, v57, vcc
	global_store_short v[56:57], v165, off
	s_or_b64 exec, exec, s[70:71]
	v_cmp_lt_u32_e64 s[70:71], v20, v156
	s_and_saveexec_b64 s[72:73], s[70:71]
	s_cbranch_execnz .LBB942_573
.LBB942_522:                            ;   in Loop: Header=BB942_422 Depth=2
	s_or_b64 exec, exec, s[72:73]
	v_cmp_lt_u32_e64 s[72:73], v22, v156
	s_and_saveexec_b64 s[82:83], s[72:73]
	s_cbranch_execz .LBB942_524
.LBB942_523:                            ;   in Loop: Header=BB942_422 Depth=2
	ds_read_u16 v56, v76 offset:8192
	v_mov_b32_e32 v160, s81
	s_waitcnt lgkmcnt(0)
	v_lshrrev_b32_sdwa v57, s99, v56 dst_sel:DWORD dst_unused:UNUSED_PAD src0_sel:DWORD src1_sel:WORD_0
	v_and_b32_e32 v57, s6, v57
	v_lshlrev_b32_e32 v57, 2, v57
	ds_read_b32 v157, v57
	v_mov_b32_e32 v57, v4
	v_xor_b32_e32 v165, 0x7fff, v56
	s_waitcnt lgkmcnt(0)
	v_add_u32_e32 v56, v157, v22
	v_lshlrev_b64 v[56:57], 1, v[56:57]
	v_add_co_u32_e32 v56, vcc, s80, v56
	v_addc_co_u32_e32 v57, vcc, v160, v57, vcc
	global_store_short v[56:57], v165, off
.LBB942_524:                            ;   in Loop: Header=BB942_422 Depth=2
	s_or_b64 exec, exec, s[82:83]
	s_lshl_b64 s[82:83], s[94:95], 3
	v_mov_b32_e32 v57, s83
	v_add_co_u32_e32 v56, vcc, s82, v130
	v_addc_co_u32_e32 v57, vcc, v131, v57, vcc
	v_cmp_lt_u32_e32 vcc, v111, v156
	s_and_saveexec_b64 s[82:83], vcc
	s_xor_b64 s[82:83], exec, s[82:83]
	s_cbranch_execz .LBB942_574
; %bb.525:                              ;   in Loop: Header=BB942_422 Depth=2
	global_load_dwordx2 v[54:55], v[56:57], off
	s_or_b64 exec, exec, s[82:83]
	v_cmp_lt_u32_e32 vcc, v112, v156
	s_and_saveexec_b64 s[82:83], vcc
	s_cbranch_execnz .LBB942_575
.LBB942_526:                            ;   in Loop: Header=BB942_422 Depth=2
	s_or_b64 exec, exec, s[82:83]
	v_cmp_lt_u32_e32 vcc, v113, v156
	s_and_saveexec_b64 s[82:83], vcc
	s_cbranch_execz .LBB942_576
.LBB942_527:                            ;   in Loop: Header=BB942_422 Depth=2
	global_load_dwordx2 v[50:51], v[56:57], off offset:1024
	s_or_b64 exec, exec, s[82:83]
	v_cmp_lt_u32_e32 vcc, v114, v156
	s_and_saveexec_b64 s[82:83], vcc
	s_cbranch_execnz .LBB942_577
.LBB942_528:                            ;   in Loop: Header=BB942_422 Depth=2
	s_or_b64 exec, exec, s[82:83]
	v_cmp_lt_u32_e32 vcc, v115, v156
	s_and_saveexec_b64 s[82:83], vcc
	s_cbranch_execz .LBB942_578
.LBB942_529:                            ;   in Loop: Header=BB942_422 Depth=2
	global_load_dwordx2 v[42:43], v[56:57], off offset:2048
	s_or_b64 exec, exec, s[82:83]
	v_cmp_lt_u32_e32 vcc, v116, v156
	s_and_saveexec_b64 s[82:83], vcc
	s_cbranch_execnz .LBB942_579
.LBB942_530:                            ;   in Loop: Header=BB942_422 Depth=2
	s_or_b64 exec, exec, s[82:83]
	v_cmp_lt_u32_e32 vcc, v117, v156
	s_and_saveexec_b64 s[82:83], vcc
	s_cbranch_execz .LBB942_580
.LBB942_531:                            ;   in Loop: Header=BB942_422 Depth=2
	global_load_dwordx2 v[34:35], v[56:57], off offset:3072
	s_or_b64 exec, exec, s[82:83]
	v_cmp_lt_u32_e32 vcc, v118, v156
	s_and_saveexec_b64 s[82:83], vcc
	s_cbranch_execnz .LBB942_581
.LBB942_532:                            ;   in Loop: Header=BB942_422 Depth=2
	s_or_b64 exec, exec, s[82:83]
	v_cmp_lt_u32_e32 vcc, v119, v156
	s_and_saveexec_b64 s[82:83], vcc
	s_cbranch_execz .LBB942_582
.LBB942_533:                            ;   in Loop: Header=BB942_422 Depth=2
	v_add_co_u32_e32 v48, vcc, 0x1000, v56
	v_addc_co_u32_e32 v49, vcc, 0, v57, vcc
	global_load_dwordx2 v[48:49], v[48:49], off
	s_or_b64 exec, exec, s[82:83]
	v_cmp_lt_u32_e32 vcc, v120, v156
	s_and_saveexec_b64 s[82:83], vcc
	s_cbranch_execnz .LBB942_583
.LBB942_534:                            ;   in Loop: Header=BB942_422 Depth=2
	s_or_b64 exec, exec, s[82:83]
	v_cmp_lt_u32_e32 vcc, v121, v156
	s_and_saveexec_b64 s[82:83], vcc
	s_cbranch_execz .LBB942_584
.LBB942_535:                            ;   in Loop: Header=BB942_422 Depth=2
	v_add_co_u32_e32 v40, vcc, 0x1000, v56
	v_addc_co_u32_e32 v41, vcc, 0, v57, vcc
	global_load_dwordx2 v[40:41], v[40:41], off offset:1024
	s_or_b64 exec, exec, s[82:83]
	v_cmp_lt_u32_e32 vcc, v122, v156
	s_and_saveexec_b64 s[82:83], vcc
	s_cbranch_execnz .LBB942_585
.LBB942_536:                            ;   in Loop: Header=BB942_422 Depth=2
	s_or_b64 exec, exec, s[82:83]
	v_cmp_lt_u32_e32 vcc, v123, v156
	s_and_saveexec_b64 s[82:83], vcc
	s_cbranch_execz .LBB942_586
.LBB942_537:                            ;   in Loop: Header=BB942_422 Depth=2
	v_add_co_u32_e32 v32, vcc, 0x1000, v56
	v_addc_co_u32_e32 v33, vcc, 0, v57, vcc
	global_load_dwordx2 v[32:33], v[32:33], off offset:2048
	s_or_b64 exec, exec, s[82:83]
	v_cmp_lt_u32_e32 vcc, v124, v156
	s_and_saveexec_b64 s[82:83], vcc
	s_cbranch_execnz .LBB942_587
.LBB942_538:                            ;   in Loop: Header=BB942_422 Depth=2
	s_or_b64 exec, exec, s[82:83]
	v_cmp_lt_u32_e32 vcc, v125, v156
	s_and_saveexec_b64 s[82:83], vcc
	s_cbranch_execz .LBB942_588
.LBB942_539:                            ;   in Loop: Header=BB942_422 Depth=2
	v_add_co_u32_e32 v26, vcc, 0x1000, v56
	v_addc_co_u32_e32 v27, vcc, 0, v57, vcc
	global_load_dwordx2 v[26:27], v[26:27], off offset:3072
	s_or_b64 exec, exec, s[82:83]
	v_cmp_lt_u32_e32 vcc, v126, v156
	s_and_saveexec_b64 s[82:83], vcc
	s_cbranch_execnz .LBB942_589
.LBB942_540:                            ;   in Loop: Header=BB942_422 Depth=2
	s_or_b64 exec, exec, s[82:83]
	v_cmp_lt_u32_e32 vcc, v127, v156
	s_and_saveexec_b64 s[82:83], vcc
	s_cbranch_execz .LBB942_590
.LBB942_541:                            ;   in Loop: Header=BB942_422 Depth=2
	v_add_co_u32_e32 v0, vcc, 0x2000, v56
	v_addc_co_u32_e32 v1, vcc, 0, v57, vcc
	global_load_dwordx2 v[0:1], v[0:1], off
	s_or_b64 exec, exec, s[82:83]
	s_and_saveexec_b64 s[82:83], s[40:41]
	s_cbranch_execnz .LBB942_591
.LBB942_542:                            ;   in Loop: Header=BB942_422 Depth=2
	s_or_b64 exec, exec, s[82:83]
	s_and_saveexec_b64 s[82:83], s[42:43]
	s_cbranch_execz .LBB942_592
.LBB942_543:                            ;   in Loop: Header=BB942_422 Depth=2
	ds_read_u16 v56, v76 offset:512
	s_waitcnt lgkmcnt(0)
	v_lshrrev_b32_e32 v56, s99, v56
	v_and_b32_e32 v150, s6, v56
	s_or_b64 exec, exec, s[82:83]
	s_and_saveexec_b64 s[82:83], s[44:45]
	s_cbranch_execnz .LBB942_593
.LBB942_544:                            ;   in Loop: Header=BB942_422 Depth=2
	s_or_b64 exec, exec, s[82:83]
	s_and_saveexec_b64 s[82:83], s[46:47]
	s_cbranch_execz .LBB942_594
.LBB942_545:                            ;   in Loop: Header=BB942_422 Depth=2
	ds_read_u16 v56, v76 offset:1536
	s_waitcnt lgkmcnt(0)
	v_lshrrev_b32_e32 v56, s99, v56
	v_and_b32_e32 v147, s6, v56
	s_or_b64 exec, exec, s[82:83]
	s_and_saveexec_b64 s[82:83], s[48:49]
	s_cbranch_execnz .LBB942_595
.LBB942_546:                            ;   in Loop: Header=BB942_422 Depth=2
	s_or_b64 exec, exec, s[82:83]
	s_and_saveexec_b64 s[82:83], s[50:51]
	s_cbranch_execz .LBB942_596
.LBB942_547:                            ;   in Loop: Header=BB942_422 Depth=2
	ds_read_u16 v56, v76 offset:2560
	s_waitcnt lgkmcnt(0)
	v_lshrrev_b32_e32 v56, s99, v56
	v_and_b32_e32 v145, s6, v56
	s_or_b64 exec, exec, s[82:83]
	s_and_saveexec_b64 s[82:83], s[52:53]
	s_cbranch_execnz .LBB942_597
.LBB942_548:                            ;   in Loop: Header=BB942_422 Depth=2
	s_or_b64 exec, exec, s[82:83]
	s_and_saveexec_b64 s[82:83], s[54:55]
	s_cbranch_execz .LBB942_598
.LBB942_549:                            ;   in Loop: Header=BB942_422 Depth=2
	ds_read_u16 v56, v76 offset:3584
	s_waitcnt lgkmcnt(0)
	v_lshrrev_b32_e32 v56, s99, v56
	v_and_b32_e32 v143, s6, v56
	s_or_b64 exec, exec, s[82:83]
	s_and_saveexec_b64 s[82:83], s[56:57]
	s_cbranch_execnz .LBB942_599
.LBB942_550:                            ;   in Loop: Header=BB942_422 Depth=2
	s_or_b64 exec, exec, s[82:83]
	s_and_saveexec_b64 s[82:83], s[58:59]
	s_cbranch_execz .LBB942_600
.LBB942_551:                            ;   in Loop: Header=BB942_422 Depth=2
	ds_read_u16 v56, v76 offset:4608
	s_waitcnt lgkmcnt(0)
	v_lshrrev_b32_e32 v56, s99, v56
	v_and_b32_e32 v141, s6, v56
	s_or_b64 exec, exec, s[82:83]
	s_and_saveexec_b64 s[82:83], s[60:61]
	s_cbranch_execnz .LBB942_601
.LBB942_552:                            ;   in Loop: Header=BB942_422 Depth=2
	s_or_b64 exec, exec, s[82:83]
	s_and_saveexec_b64 s[82:83], s[62:63]
	s_cbranch_execz .LBB942_602
.LBB942_553:                            ;   in Loop: Header=BB942_422 Depth=2
	ds_read_u16 v56, v76 offset:5632
	s_waitcnt lgkmcnt(0)
	v_lshrrev_b32_e32 v56, s99, v56
	v_and_b32_e32 v139, s6, v56
	s_or_b64 exec, exec, s[82:83]
	s_and_saveexec_b64 s[82:83], s[64:65]
	s_cbranch_execnz .LBB942_603
.LBB942_554:                            ;   in Loop: Header=BB942_422 Depth=2
	s_or_b64 exec, exec, s[82:83]
	s_and_saveexec_b64 s[82:83], s[66:67]
	s_cbranch_execz .LBB942_604
.LBB942_555:                            ;   in Loop: Header=BB942_422 Depth=2
	ds_read_u16 v56, v76 offset:6656
	s_waitcnt lgkmcnt(0)
	v_lshrrev_b32_e32 v56, s99, v56
	v_and_b32_e32 v137, s6, v56
	s_or_b64 exec, exec, s[82:83]
	s_and_saveexec_b64 s[82:83], s[68:69]
	s_cbranch_execnz .LBB942_605
.LBB942_556:                            ;   in Loop: Header=BB942_422 Depth=2
	s_or_b64 exec, exec, s[82:83]
	s_and_saveexec_b64 s[82:83], s[70:71]
	s_cbranch_execz .LBB942_606
.LBB942_557:                            ;   in Loop: Header=BB942_422 Depth=2
	ds_read_u16 v56, v76 offset:7680
	s_waitcnt lgkmcnt(0)
	v_lshrrev_b32_e32 v56, s99, v56
	v_and_b32_e32 v135, s6, v56
	s_or_b64 exec, exec, s[82:83]
	s_and_saveexec_b64 s[82:83], s[72:73]
	s_cbranch_execnz .LBB942_607
	s_branch .LBB942_608
.LBB942_558:                            ;   in Loop: Header=BB942_422 Depth=2
	s_or_b64 exec, exec, s[42:43]
	v_cmp_lt_u32_e64 s[42:43], v7, v156
	s_and_saveexec_b64 s[44:45], s[42:43]
	s_cbranch_execz .LBB942_508
.LBB942_559:                            ;   in Loop: Header=BB942_422 Depth=2
	ds_read_u16 v56, v76 offset:512
	v_mov_b32_e32 v160, s81
	s_waitcnt lgkmcnt(0)
	v_lshrrev_b32_sdwa v57, s99, v56 dst_sel:DWORD dst_unused:UNUSED_PAD src0_sel:DWORD src1_sel:WORD_0
	v_and_b32_e32 v57, s6, v57
	v_lshlrev_b32_e32 v57, 2, v57
	ds_read_b32 v157, v57
	v_mov_b32_e32 v57, v4
	v_xor_b32_e32 v165, 0x7fff, v56
	s_waitcnt lgkmcnt(0)
	v_add_u32_e32 v56, v157, v7
	v_lshlrev_b64 v[56:57], 1, v[56:57]
	v_add_co_u32_e32 v56, vcc, s80, v56
	v_addc_co_u32_e32 v57, vcc, v160, v57, vcc
	global_store_short v[56:57], v165, off
	s_or_b64 exec, exec, s[44:45]
	v_cmp_lt_u32_e64 s[44:45], v13, v156
	s_and_saveexec_b64 s[46:47], s[44:45]
	s_cbranch_execnz .LBB942_509
.LBB942_560:                            ;   in Loop: Header=BB942_422 Depth=2
	s_or_b64 exec, exec, s[46:47]
	v_cmp_lt_u32_e64 s[46:47], v15, v156
	s_and_saveexec_b64 s[48:49], s[46:47]
	s_cbranch_execz .LBB942_510
.LBB942_561:                            ;   in Loop: Header=BB942_422 Depth=2
	ds_read_u16 v56, v76 offset:1536
	v_mov_b32_e32 v160, s81
	s_waitcnt lgkmcnt(0)
	v_lshrrev_b32_sdwa v57, s99, v56 dst_sel:DWORD dst_unused:UNUSED_PAD src0_sel:DWORD src1_sel:WORD_0
	v_and_b32_e32 v57, s6, v57
	v_lshlrev_b32_e32 v57, 2, v57
	ds_read_b32 v157, v57
	v_mov_b32_e32 v57, v4
	v_xor_b32_e32 v165, 0x7fff, v56
	s_waitcnt lgkmcnt(0)
	v_add_u32_e32 v56, v157, v15
	v_lshlrev_b64 v[56:57], 1, v[56:57]
	v_add_co_u32_e32 v56, vcc, s80, v56
	v_addc_co_u32_e32 v57, vcc, v160, v57, vcc
	global_store_short v[56:57], v165, off
	s_or_b64 exec, exec, s[48:49]
	v_cmp_lt_u32_e64 s[48:49], v17, v156
	s_and_saveexec_b64 s[50:51], s[48:49]
	s_cbranch_execnz .LBB942_511
.LBB942_562:                            ;   in Loop: Header=BB942_422 Depth=2
	s_or_b64 exec, exec, s[50:51]
	v_cmp_lt_u32_e64 s[50:51], v19, v156
	s_and_saveexec_b64 s[52:53], s[50:51]
	s_cbranch_execz .LBB942_512
.LBB942_563:                            ;   in Loop: Header=BB942_422 Depth=2
	ds_read_u16 v56, v76 offset:2560
	v_mov_b32_e32 v160, s81
	s_waitcnt lgkmcnt(0)
	v_lshrrev_b32_sdwa v57, s99, v56 dst_sel:DWORD dst_unused:UNUSED_PAD src0_sel:DWORD src1_sel:WORD_0
	v_and_b32_e32 v57, s6, v57
	v_lshlrev_b32_e32 v57, 2, v57
	ds_read_b32 v157, v57
	v_mov_b32_e32 v57, v4
	v_xor_b32_e32 v165, 0x7fff, v56
	s_waitcnt lgkmcnt(0)
	v_add_u32_e32 v56, v157, v19
	v_lshlrev_b64 v[56:57], 1, v[56:57]
	v_add_co_u32_e32 v56, vcc, s80, v56
	v_addc_co_u32_e32 v57, vcc, v160, v57, vcc
	global_store_short v[56:57], v165, off
	s_or_b64 exec, exec, s[52:53]
	v_cmp_lt_u32_e64 s[52:53], v21, v156
	s_and_saveexec_b64 s[54:55], s[52:53]
	s_cbranch_execnz .LBB942_513
.LBB942_564:                            ;   in Loop: Header=BB942_422 Depth=2
	s_or_b64 exec, exec, s[54:55]
	v_cmp_lt_u32_e64 s[54:55], v23, v156
	s_and_saveexec_b64 s[56:57], s[54:55]
	s_cbranch_execz .LBB942_514
.LBB942_565:                            ;   in Loop: Header=BB942_422 Depth=2
	ds_read_u16 v56, v76 offset:3584
	v_mov_b32_e32 v160, s81
	s_waitcnt lgkmcnt(0)
	v_lshrrev_b32_sdwa v57, s99, v56 dst_sel:DWORD dst_unused:UNUSED_PAD src0_sel:DWORD src1_sel:WORD_0
	v_and_b32_e32 v57, s6, v57
	v_lshlrev_b32_e32 v57, 2, v57
	ds_read_b32 v157, v57
	v_mov_b32_e32 v57, v4
	v_xor_b32_e32 v165, 0x7fff, v56
	s_waitcnt lgkmcnt(0)
	v_add_u32_e32 v56, v157, v23
	v_lshlrev_b64 v[56:57], 1, v[56:57]
	v_add_co_u32_e32 v56, vcc, s80, v56
	v_addc_co_u32_e32 v57, vcc, v160, v57, vcc
	global_store_short v[56:57], v165, off
	s_or_b64 exec, exec, s[56:57]
	v_cmp_lt_u32_e64 s[56:57], v6, v156
	s_and_saveexec_b64 s[58:59], s[56:57]
	s_cbranch_execnz .LBB942_515
.LBB942_566:                            ;   in Loop: Header=BB942_422 Depth=2
	s_or_b64 exec, exec, s[58:59]
	v_cmp_lt_u32_e64 s[58:59], v8, v156
	s_and_saveexec_b64 s[60:61], s[58:59]
	s_cbranch_execz .LBB942_516
.LBB942_567:                            ;   in Loop: Header=BB942_422 Depth=2
	ds_read_u16 v56, v76 offset:4608
	v_mov_b32_e32 v160, s81
	s_waitcnt lgkmcnt(0)
	v_lshrrev_b32_sdwa v57, s99, v56 dst_sel:DWORD dst_unused:UNUSED_PAD src0_sel:DWORD src1_sel:WORD_0
	v_and_b32_e32 v57, s6, v57
	v_lshlrev_b32_e32 v57, 2, v57
	ds_read_b32 v157, v57
	v_mov_b32_e32 v57, v4
	v_xor_b32_e32 v165, 0x7fff, v56
	s_waitcnt lgkmcnt(0)
	v_add_u32_e32 v56, v157, v8
	v_lshlrev_b64 v[56:57], 1, v[56:57]
	v_add_co_u32_e32 v56, vcc, s80, v56
	v_addc_co_u32_e32 v57, vcc, v160, v57, vcc
	global_store_short v[56:57], v165, off
	s_or_b64 exec, exec, s[60:61]
	v_cmp_lt_u32_e64 s[60:61], v10, v156
	s_and_saveexec_b64 s[62:63], s[60:61]
	s_cbranch_execnz .LBB942_517
.LBB942_568:                            ;   in Loop: Header=BB942_422 Depth=2
	s_or_b64 exec, exec, s[62:63]
	v_cmp_lt_u32_e64 s[62:63], v12, v156
	s_and_saveexec_b64 s[64:65], s[62:63]
	s_cbranch_execz .LBB942_518
.LBB942_569:                            ;   in Loop: Header=BB942_422 Depth=2
	ds_read_u16 v56, v76 offset:5632
	v_mov_b32_e32 v160, s81
	s_waitcnt lgkmcnt(0)
	v_lshrrev_b32_sdwa v57, s99, v56 dst_sel:DWORD dst_unused:UNUSED_PAD src0_sel:DWORD src1_sel:WORD_0
	v_and_b32_e32 v57, s6, v57
	v_lshlrev_b32_e32 v57, 2, v57
	ds_read_b32 v157, v57
	v_mov_b32_e32 v57, v4
	v_xor_b32_e32 v165, 0x7fff, v56
	s_waitcnt lgkmcnt(0)
	v_add_u32_e32 v56, v157, v12
	v_lshlrev_b64 v[56:57], 1, v[56:57]
	v_add_co_u32_e32 v56, vcc, s80, v56
	v_addc_co_u32_e32 v57, vcc, v160, v57, vcc
	global_store_short v[56:57], v165, off
	s_or_b64 exec, exec, s[64:65]
	v_cmp_lt_u32_e64 s[64:65], v14, v156
	s_and_saveexec_b64 s[66:67], s[64:65]
	s_cbranch_execnz .LBB942_519
.LBB942_570:                            ;   in Loop: Header=BB942_422 Depth=2
	s_or_b64 exec, exec, s[66:67]
	v_cmp_lt_u32_e64 s[66:67], v16, v156
	s_and_saveexec_b64 s[68:69], s[66:67]
	s_cbranch_execz .LBB942_520
.LBB942_571:                            ;   in Loop: Header=BB942_422 Depth=2
	ds_read_u16 v56, v76 offset:6656
	v_mov_b32_e32 v160, s81
	s_waitcnt lgkmcnt(0)
	v_lshrrev_b32_sdwa v57, s99, v56 dst_sel:DWORD dst_unused:UNUSED_PAD src0_sel:DWORD src1_sel:WORD_0
	v_and_b32_e32 v57, s6, v57
	v_lshlrev_b32_e32 v57, 2, v57
	ds_read_b32 v157, v57
	v_mov_b32_e32 v57, v4
	v_xor_b32_e32 v165, 0x7fff, v56
	s_waitcnt lgkmcnt(0)
	v_add_u32_e32 v56, v157, v16
	v_lshlrev_b64 v[56:57], 1, v[56:57]
	v_add_co_u32_e32 v56, vcc, s80, v56
	v_addc_co_u32_e32 v57, vcc, v160, v57, vcc
	global_store_short v[56:57], v165, off
	s_or_b64 exec, exec, s[68:69]
	v_cmp_lt_u32_e64 s[68:69], v18, v156
	s_and_saveexec_b64 s[70:71], s[68:69]
	s_cbranch_execnz .LBB942_521
.LBB942_572:                            ;   in Loop: Header=BB942_422 Depth=2
	s_or_b64 exec, exec, s[70:71]
	v_cmp_lt_u32_e64 s[70:71], v20, v156
	s_and_saveexec_b64 s[72:73], s[70:71]
	s_cbranch_execz .LBB942_522
.LBB942_573:                            ;   in Loop: Header=BB942_422 Depth=2
	ds_read_u16 v56, v76 offset:7680
	v_mov_b32_e32 v160, s81
	s_waitcnt lgkmcnt(0)
	v_lshrrev_b32_sdwa v57, s99, v56 dst_sel:DWORD dst_unused:UNUSED_PAD src0_sel:DWORD src1_sel:WORD_0
	v_and_b32_e32 v57, s6, v57
	v_lshlrev_b32_e32 v57, 2, v57
	ds_read_b32 v157, v57
	v_mov_b32_e32 v57, v4
	v_xor_b32_e32 v165, 0x7fff, v56
	s_waitcnt lgkmcnt(0)
	v_add_u32_e32 v56, v157, v20
	v_lshlrev_b64 v[56:57], 1, v[56:57]
	v_add_co_u32_e32 v56, vcc, s80, v56
	v_addc_co_u32_e32 v57, vcc, v160, v57, vcc
	global_store_short v[56:57], v165, off
	s_or_b64 exec, exec, s[72:73]
	v_cmp_lt_u32_e64 s[72:73], v22, v156
	s_and_saveexec_b64 s[82:83], s[72:73]
	s_cbranch_execnz .LBB942_523
	s_branch .LBB942_524
.LBB942_574:                            ;   in Loop: Header=BB942_422 Depth=2
	s_or_b64 exec, exec, s[82:83]
	v_cmp_lt_u32_e32 vcc, v112, v156
	s_and_saveexec_b64 s[82:83], vcc
	s_cbranch_execz .LBB942_526
.LBB942_575:                            ;   in Loop: Header=BB942_422 Depth=2
	global_load_dwordx2 v[52:53], v[56:57], off offset:512
	s_or_b64 exec, exec, s[82:83]
	v_cmp_lt_u32_e32 vcc, v113, v156
	s_and_saveexec_b64 s[82:83], vcc
	s_cbranch_execnz .LBB942_527
.LBB942_576:                            ;   in Loop: Header=BB942_422 Depth=2
	s_or_b64 exec, exec, s[82:83]
	v_cmp_lt_u32_e32 vcc, v114, v156
	s_and_saveexec_b64 s[82:83], vcc
	s_cbranch_execz .LBB942_528
.LBB942_577:                            ;   in Loop: Header=BB942_422 Depth=2
	global_load_dwordx2 v[46:47], v[56:57], off offset:1536
	s_or_b64 exec, exec, s[82:83]
	v_cmp_lt_u32_e32 vcc, v115, v156
	s_and_saveexec_b64 s[82:83], vcc
	s_cbranch_execnz .LBB942_529
.LBB942_578:                            ;   in Loop: Header=BB942_422 Depth=2
	s_or_b64 exec, exec, s[82:83]
	v_cmp_lt_u32_e32 vcc, v116, v156
	s_and_saveexec_b64 s[82:83], vcc
	s_cbranch_execz .LBB942_530
.LBB942_579:                            ;   in Loop: Header=BB942_422 Depth=2
	global_load_dwordx2 v[38:39], v[56:57], off offset:2560
	s_or_b64 exec, exec, s[82:83]
	v_cmp_lt_u32_e32 vcc, v117, v156
	s_and_saveexec_b64 s[82:83], vcc
	s_cbranch_execnz .LBB942_531
.LBB942_580:                            ;   in Loop: Header=BB942_422 Depth=2
	s_or_b64 exec, exec, s[82:83]
	v_cmp_lt_u32_e32 vcc, v118, v156
	s_and_saveexec_b64 s[82:83], vcc
	s_cbranch_execz .LBB942_532
.LBB942_581:                            ;   in Loop: Header=BB942_422 Depth=2
	global_load_dwordx2 v[30:31], v[56:57], off offset:3584
	s_or_b64 exec, exec, s[82:83]
	v_cmp_lt_u32_e32 vcc, v119, v156
	s_and_saveexec_b64 s[82:83], vcc
	s_cbranch_execnz .LBB942_533
.LBB942_582:                            ;   in Loop: Header=BB942_422 Depth=2
	s_or_b64 exec, exec, s[82:83]
	v_cmp_lt_u32_e32 vcc, v120, v156
	s_and_saveexec_b64 s[82:83], vcc
	s_cbranch_execz .LBB942_534
.LBB942_583:                            ;   in Loop: Header=BB942_422 Depth=2
	v_add_co_u32_e32 v44, vcc, 0x1000, v56
	v_addc_co_u32_e32 v45, vcc, 0, v57, vcc
	global_load_dwordx2 v[44:45], v[44:45], off offset:512
	s_or_b64 exec, exec, s[82:83]
	v_cmp_lt_u32_e32 vcc, v121, v156
	s_and_saveexec_b64 s[82:83], vcc
	s_cbranch_execnz .LBB942_535
.LBB942_584:                            ;   in Loop: Header=BB942_422 Depth=2
	s_or_b64 exec, exec, s[82:83]
	v_cmp_lt_u32_e32 vcc, v122, v156
	s_and_saveexec_b64 s[82:83], vcc
	s_cbranch_execz .LBB942_536
.LBB942_585:                            ;   in Loop: Header=BB942_422 Depth=2
	v_add_co_u32_e32 v36, vcc, 0x1000, v56
	v_addc_co_u32_e32 v37, vcc, 0, v57, vcc
	global_load_dwordx2 v[36:37], v[36:37], off offset:1536
	s_or_b64 exec, exec, s[82:83]
	v_cmp_lt_u32_e32 vcc, v123, v156
	s_and_saveexec_b64 s[82:83], vcc
	s_cbranch_execnz .LBB942_537
.LBB942_586:                            ;   in Loop: Header=BB942_422 Depth=2
	s_or_b64 exec, exec, s[82:83]
	v_cmp_lt_u32_e32 vcc, v124, v156
	s_and_saveexec_b64 s[82:83], vcc
	s_cbranch_execz .LBB942_538
.LBB942_587:                            ;   in Loop: Header=BB942_422 Depth=2
	v_add_co_u32_e32 v28, vcc, 0x1000, v56
	v_addc_co_u32_e32 v29, vcc, 0, v57, vcc
	global_load_dwordx2 v[28:29], v[28:29], off offset:2560
	s_or_b64 exec, exec, s[82:83]
	v_cmp_lt_u32_e32 vcc, v125, v156
	s_and_saveexec_b64 s[82:83], vcc
	s_cbranch_execnz .LBB942_539
.LBB942_588:                            ;   in Loop: Header=BB942_422 Depth=2
	s_or_b64 exec, exec, s[82:83]
	v_cmp_lt_u32_e32 vcc, v126, v156
	s_and_saveexec_b64 s[82:83], vcc
	s_cbranch_execz .LBB942_540
.LBB942_589:                            ;   in Loop: Header=BB942_422 Depth=2
	v_add_co_u32_e32 v24, vcc, 0x1000, v56
	v_addc_co_u32_e32 v25, vcc, 0, v57, vcc
	global_load_dwordx2 v[24:25], v[24:25], off offset:3584
	s_or_b64 exec, exec, s[82:83]
	v_cmp_lt_u32_e32 vcc, v127, v156
	s_and_saveexec_b64 s[82:83], vcc
	s_cbranch_execnz .LBB942_541
.LBB942_590:                            ;   in Loop: Header=BB942_422 Depth=2
	s_or_b64 exec, exec, s[82:83]
	s_and_saveexec_b64 s[82:83], s[40:41]
	s_cbranch_execz .LBB942_542
.LBB942_591:                            ;   in Loop: Header=BB942_422 Depth=2
	v_add_u32_e32 v56, v70, v75
	ds_read_u16 v56, v56 offset:512
	s_waitcnt lgkmcnt(0)
	v_lshrrev_b32_e32 v56, s99, v56
	v_and_b32_e32 v152, s6, v56
	s_or_b64 exec, exec, s[82:83]
	s_and_saveexec_b64 s[82:83], s[42:43]
	s_cbranch_execnz .LBB942_543
.LBB942_592:                            ;   in Loop: Header=BB942_422 Depth=2
	s_or_b64 exec, exec, s[82:83]
	s_and_saveexec_b64 s[82:83], s[44:45]
	s_cbranch_execz .LBB942_544
.LBB942_593:                            ;   in Loop: Header=BB942_422 Depth=2
	ds_read_u16 v56, v76 offset:1024
	s_waitcnt lgkmcnt(0)
	v_lshrrev_b32_e32 v56, s99, v56
	v_and_b32_e32 v149, s6, v56
	s_or_b64 exec, exec, s[82:83]
	s_and_saveexec_b64 s[82:83], s[46:47]
	s_cbranch_execnz .LBB942_545
.LBB942_594:                            ;   in Loop: Header=BB942_422 Depth=2
	s_or_b64 exec, exec, s[82:83]
	s_and_saveexec_b64 s[82:83], s[48:49]
	s_cbranch_execz .LBB942_546
.LBB942_595:                            ;   in Loop: Header=BB942_422 Depth=2
	ds_read_u16 v56, v76 offset:2048
	s_waitcnt lgkmcnt(0)
	v_lshrrev_b32_e32 v56, s99, v56
	v_and_b32_e32 v146, s6, v56
	s_or_b64 exec, exec, s[82:83]
	s_and_saveexec_b64 s[82:83], s[50:51]
	s_cbranch_execnz .LBB942_547
.LBB942_596:                            ;   in Loop: Header=BB942_422 Depth=2
	s_or_b64 exec, exec, s[82:83]
	s_and_saveexec_b64 s[82:83], s[52:53]
	s_cbranch_execz .LBB942_548
.LBB942_597:                            ;   in Loop: Header=BB942_422 Depth=2
	ds_read_u16 v56, v76 offset:3072
	s_waitcnt lgkmcnt(0)
	v_lshrrev_b32_e32 v56, s99, v56
	v_and_b32_e32 v144, s6, v56
	s_or_b64 exec, exec, s[82:83]
	s_and_saveexec_b64 s[82:83], s[54:55]
	s_cbranch_execnz .LBB942_549
.LBB942_598:                            ;   in Loop: Header=BB942_422 Depth=2
	s_or_b64 exec, exec, s[82:83]
	s_and_saveexec_b64 s[82:83], s[56:57]
	s_cbranch_execz .LBB942_550
.LBB942_599:                            ;   in Loop: Header=BB942_422 Depth=2
	ds_read_u16 v56, v76 offset:4096
	s_waitcnt lgkmcnt(0)
	v_lshrrev_b32_e32 v56, s99, v56
	v_and_b32_e32 v142, s6, v56
	s_or_b64 exec, exec, s[82:83]
	s_and_saveexec_b64 s[82:83], s[58:59]
	s_cbranch_execnz .LBB942_551
.LBB942_600:                            ;   in Loop: Header=BB942_422 Depth=2
	s_or_b64 exec, exec, s[82:83]
	s_and_saveexec_b64 s[82:83], s[60:61]
	s_cbranch_execz .LBB942_552
.LBB942_601:                            ;   in Loop: Header=BB942_422 Depth=2
	ds_read_u16 v56, v76 offset:5120
	s_waitcnt lgkmcnt(0)
	v_lshrrev_b32_e32 v56, s99, v56
	v_and_b32_e32 v140, s6, v56
	s_or_b64 exec, exec, s[82:83]
	s_and_saveexec_b64 s[82:83], s[62:63]
	s_cbranch_execnz .LBB942_553
.LBB942_602:                            ;   in Loop: Header=BB942_422 Depth=2
	s_or_b64 exec, exec, s[82:83]
	s_and_saveexec_b64 s[82:83], s[64:65]
	s_cbranch_execz .LBB942_554
.LBB942_603:                            ;   in Loop: Header=BB942_422 Depth=2
	ds_read_u16 v56, v76 offset:6144
	s_waitcnt lgkmcnt(0)
	v_lshrrev_b32_e32 v56, s99, v56
	v_and_b32_e32 v138, s6, v56
	s_or_b64 exec, exec, s[82:83]
	s_and_saveexec_b64 s[82:83], s[66:67]
	s_cbranch_execnz .LBB942_555
.LBB942_604:                            ;   in Loop: Header=BB942_422 Depth=2
	s_or_b64 exec, exec, s[82:83]
	s_and_saveexec_b64 s[82:83], s[68:69]
	s_cbranch_execz .LBB942_556
.LBB942_605:                            ;   in Loop: Header=BB942_422 Depth=2
	ds_read_u16 v56, v76 offset:7168
	s_waitcnt lgkmcnt(0)
	v_lshrrev_b32_e32 v56, s99, v56
	v_and_b32_e32 v136, s6, v56
	s_or_b64 exec, exec, s[82:83]
	s_and_saveexec_b64 s[82:83], s[70:71]
	s_cbranch_execnz .LBB942_557
.LBB942_606:                            ;   in Loop: Header=BB942_422 Depth=2
	s_or_b64 exec, exec, s[82:83]
	s_and_saveexec_b64 s[82:83], s[72:73]
	s_cbranch_execz .LBB942_608
.LBB942_607:                            ;   in Loop: Header=BB942_422 Depth=2
	ds_read_u16 v56, v76 offset:8192
	s_waitcnt lgkmcnt(0)
	v_lshrrev_b32_e32 v56, s99, v56
	v_and_b32_e32 v134, s6, v56
.LBB942_608:                            ;   in Loop: Header=BB942_422 Depth=2
	s_or_b64 exec, exec, s[82:83]
	v_lshlrev_b32_e32 v56, 3, v179
	s_barrier
	s_waitcnt vmcnt(0)
	ds_write_b64 v56, v[54:55] offset:512
	v_lshlrev_b32_e32 v56, 3, v175
	ds_write_b64 v56, v[52:53] offset:512
	v_lshlrev_b32_e32 v56, 3, v174
	;; [unrolled: 2-line block ×15, first 2 shown]
	v_lshlrev_b32_e32 v5, 3, v5
	ds_write_b64 v56, v[24:25] offset:512
	ds_write_b64 v5, v[0:1] offset:512
	s_waitcnt lgkmcnt(0)
	s_barrier
	s_and_saveexec_b64 s[82:83], s[40:41]
	s_cbranch_execz .LBB942_628
; %bb.609:                              ;   in Loop: Header=BB942_422 Depth=2
	v_lshlrev_b32_e32 v5, 2, v152
	ds_read_b32 v5, v5
	ds_read_b64 v[56:57], v68 offset:512
	v_mov_b32_e32 v157, v4
	v_mov_b32_e32 v158, s87
	s_waitcnt lgkmcnt(1)
	v_add_u32_e32 v156, v5, v2
	v_lshlrev_b64 v[156:157], 3, v[156:157]
	v_add_co_u32_e32 v156, vcc, s86, v156
	v_addc_co_u32_e32 v157, vcc, v158, v157, vcc
	s_waitcnt lgkmcnt(0)
	global_store_dwordx2 v[156:157], v[56:57], off
	s_or_b64 exec, exec, s[82:83]
	s_and_saveexec_b64 s[40:41], s[42:43]
	s_cbranch_execnz .LBB942_629
.LBB942_610:                            ;   in Loop: Header=BB942_422 Depth=2
	s_or_b64 exec, exec, s[40:41]
	s_and_saveexec_b64 s[40:41], s[44:45]
	s_cbranch_execz .LBB942_630
.LBB942_611:                            ;   in Loop: Header=BB942_422 Depth=2
	v_lshlrev_b32_e32 v5, 2, v149
	ds_read_b32 v5, v5
	v_add_u32_e32 v56, v76, v77
	ds_read_b64 v[56:57], v56 offset:4096
	v_mov_b32_e32 v157, v4
	v_mov_b32_e32 v158, s87
	s_waitcnt lgkmcnt(1)
	v_add_u32_e32 v156, v5, v13
	v_lshlrev_b64 v[156:157], 3, v[156:157]
	v_add_co_u32_e32 v156, vcc, s86, v156
	v_addc_co_u32_e32 v157, vcc, v158, v157, vcc
	s_waitcnt lgkmcnt(0)
	global_store_dwordx2 v[156:157], v[56:57], off
	s_or_b64 exec, exec, s[40:41]
	s_and_saveexec_b64 s[40:41], s[46:47]
	s_cbranch_execnz .LBB942_631
.LBB942_612:                            ;   in Loop: Header=BB942_422 Depth=2
	s_or_b64 exec, exec, s[40:41]
	s_and_saveexec_b64 s[40:41], s[48:49]
	s_cbranch_execz .LBB942_632
.LBB942_613:                            ;   in Loop: Header=BB942_422 Depth=2
	v_lshlrev_b32_e32 v5, 2, v146
	ds_read_b32 v5, v5
	v_add_u32_e32 v56, v76, v77
	ds_read_b64 v[56:57], v56 offset:8192
	v_mov_b32_e32 v157, v4
	v_mov_b32_e32 v158, s87
	s_waitcnt lgkmcnt(1)
	v_add_u32_e32 v156, v5, v17
	v_lshlrev_b64 v[156:157], 3, v[156:157]
	v_add_co_u32_e32 v156, vcc, s86, v156
	v_addc_co_u32_e32 v157, vcc, v158, v157, vcc
	s_waitcnt lgkmcnt(0)
	global_store_dwordx2 v[156:157], v[56:57], off
	s_or_b64 exec, exec, s[40:41]
	s_and_saveexec_b64 s[40:41], s[50:51]
	s_cbranch_execnz .LBB942_633
.LBB942_614:                            ;   in Loop: Header=BB942_422 Depth=2
	s_or_b64 exec, exec, s[40:41]
	s_and_saveexec_b64 s[40:41], s[52:53]
	s_cbranch_execz .LBB942_634
.LBB942_615:                            ;   in Loop: Header=BB942_422 Depth=2
	v_lshlrev_b32_e32 v5, 2, v144
	ds_read_b32 v5, v5
	v_add_u32_e32 v56, v76, v77
	ds_read_b64 v[56:57], v56 offset:12288
	v_mov_b32_e32 v157, v4
	v_mov_b32_e32 v158, s87
	s_waitcnt lgkmcnt(1)
	v_add_u32_e32 v156, v5, v21
	v_lshlrev_b64 v[156:157], 3, v[156:157]
	v_add_co_u32_e32 v156, vcc, s86, v156
	v_addc_co_u32_e32 v157, vcc, v158, v157, vcc
	s_waitcnt lgkmcnt(0)
	global_store_dwordx2 v[156:157], v[56:57], off
	s_or_b64 exec, exec, s[40:41]
	s_and_saveexec_b64 s[40:41], s[54:55]
	s_cbranch_execnz .LBB942_635
.LBB942_616:                            ;   in Loop: Header=BB942_422 Depth=2
	s_or_b64 exec, exec, s[40:41]
	s_and_saveexec_b64 s[40:41], s[56:57]
	s_cbranch_execz .LBB942_636
.LBB942_617:                            ;   in Loop: Header=BB942_422 Depth=2
	v_lshlrev_b32_e32 v5, 2, v142
	ds_read_b32 v5, v5
	v_add_u32_e32 v56, v76, v77
	ds_read_b64 v[56:57], v56 offset:16384
	v_mov_b32_e32 v157, v4
	v_mov_b32_e32 v158, s87
	s_waitcnt lgkmcnt(1)
	v_add_u32_e32 v156, v5, v6
	v_lshlrev_b64 v[156:157], 3, v[156:157]
	v_add_co_u32_e32 v156, vcc, s86, v156
	v_addc_co_u32_e32 v157, vcc, v158, v157, vcc
	s_waitcnt lgkmcnt(0)
	global_store_dwordx2 v[156:157], v[56:57], off
	s_or_b64 exec, exec, s[40:41]
	s_and_saveexec_b64 s[40:41], s[58:59]
	s_cbranch_execnz .LBB942_637
.LBB942_618:                            ;   in Loop: Header=BB942_422 Depth=2
	s_or_b64 exec, exec, s[40:41]
	s_and_saveexec_b64 s[40:41], s[60:61]
	s_cbranch_execz .LBB942_638
.LBB942_619:                            ;   in Loop: Header=BB942_422 Depth=2
	v_lshlrev_b32_e32 v5, 2, v140
	ds_read_b32 v5, v5
	v_add_u32_e32 v56, v76, v77
	ds_read_b64 v[56:57], v56 offset:20480
	v_mov_b32_e32 v157, v4
	v_mov_b32_e32 v158, s87
	s_waitcnt lgkmcnt(1)
	v_add_u32_e32 v156, v5, v10
	v_lshlrev_b64 v[156:157], 3, v[156:157]
	v_add_co_u32_e32 v156, vcc, s86, v156
	v_addc_co_u32_e32 v157, vcc, v158, v157, vcc
	s_waitcnt lgkmcnt(0)
	global_store_dwordx2 v[156:157], v[56:57], off
	s_or_b64 exec, exec, s[40:41]
	s_and_saveexec_b64 s[40:41], s[62:63]
	s_cbranch_execnz .LBB942_639
.LBB942_620:                            ;   in Loop: Header=BB942_422 Depth=2
	s_or_b64 exec, exec, s[40:41]
	s_and_saveexec_b64 s[40:41], s[64:65]
	s_cbranch_execz .LBB942_640
.LBB942_621:                            ;   in Loop: Header=BB942_422 Depth=2
	v_lshlrev_b32_e32 v5, 2, v138
	ds_read_b32 v5, v5
	v_add_u32_e32 v56, v76, v77
	ds_read_b64 v[56:57], v56 offset:24576
	v_mov_b32_e32 v157, v4
	v_mov_b32_e32 v158, s87
	s_waitcnt lgkmcnt(1)
	v_add_u32_e32 v156, v5, v14
	v_lshlrev_b64 v[156:157], 3, v[156:157]
	v_add_co_u32_e32 v156, vcc, s86, v156
	v_addc_co_u32_e32 v157, vcc, v158, v157, vcc
	s_waitcnt lgkmcnt(0)
	global_store_dwordx2 v[156:157], v[56:57], off
	s_or_b64 exec, exec, s[40:41]
	s_and_saveexec_b64 s[40:41], s[66:67]
	s_cbranch_execnz .LBB942_641
.LBB942_622:                            ;   in Loop: Header=BB942_422 Depth=2
	s_or_b64 exec, exec, s[40:41]
	s_and_saveexec_b64 s[40:41], s[68:69]
	s_cbranch_execz .LBB942_642
.LBB942_623:                            ;   in Loop: Header=BB942_422 Depth=2
	v_lshlrev_b32_e32 v5, 2, v136
	ds_read_b32 v5, v5
	v_add_u32_e32 v56, v76, v77
	ds_read_b64 v[56:57], v56 offset:28672
	v_mov_b32_e32 v157, v4
	v_mov_b32_e32 v158, s87
	s_waitcnt lgkmcnt(1)
	v_add_u32_e32 v156, v5, v18
	v_lshlrev_b64 v[156:157], 3, v[156:157]
	v_add_co_u32_e32 v156, vcc, s86, v156
	v_addc_co_u32_e32 v157, vcc, v158, v157, vcc
	s_waitcnt lgkmcnt(0)
	global_store_dwordx2 v[156:157], v[56:57], off
	s_or_b64 exec, exec, s[40:41]
	s_and_saveexec_b64 s[40:41], s[70:71]
	s_cbranch_execnz .LBB942_643
.LBB942_624:                            ;   in Loop: Header=BB942_422 Depth=2
	s_or_b64 exec, exec, s[40:41]
	s_and_saveexec_b64 s[40:41], s[72:73]
	s_cbranch_execz .LBB942_626
.LBB942_625:                            ;   in Loop: Header=BB942_422 Depth=2
	v_lshlrev_b32_e32 v5, 2, v134
	ds_read_b32 v5, v5
	v_add_u32_e32 v56, v76, v77
	ds_read_b64 v[56:57], v56 offset:32768
	v_mov_b32_e32 v157, v4
	v_mov_b32_e32 v158, s87
	s_waitcnt lgkmcnt(1)
	v_add_u32_e32 v156, v5, v22
	v_lshlrev_b64 v[156:157], 3, v[156:157]
	v_add_co_u32_e32 v156, vcc, s86, v156
	v_addc_co_u32_e32 v157, vcc, v158, v157, vcc
	s_waitcnt lgkmcnt(0)
	global_store_dwordx2 v[156:157], v[56:57], off
.LBB942_626:                            ;   in Loop: Header=BB942_422 Depth=2
	s_or_b64 exec, exec, s[40:41]
	s_barrier
	s_and_saveexec_b64 s[40:41], s[4:5]
	s_cbranch_execz .LBB942_421
; %bb.627:                              ;   in Loop: Header=BB942_422 Depth=2
	ds_read_b32 v5, v3
	s_waitcnt lgkmcnt(0)
	v_add3_u32 v5, v154, v155, v5
	ds_write_b32 v3, v5
	s_branch .LBB942_421
.LBB942_628:                            ;   in Loop: Header=BB942_422 Depth=2
	s_or_b64 exec, exec, s[82:83]
	s_and_saveexec_b64 s[40:41], s[42:43]
	s_cbranch_execz .LBB942_610
.LBB942_629:                            ;   in Loop: Header=BB942_422 Depth=2
	v_lshlrev_b32_e32 v5, 2, v150
	ds_read_b32 v5, v5
	v_add_u32_e32 v56, v76, v77
	ds_read_b64 v[56:57], v56 offset:2048
	v_mov_b32_e32 v157, v4
	v_mov_b32_e32 v158, s87
	s_waitcnt lgkmcnt(1)
	v_add_u32_e32 v156, v5, v7
	v_lshlrev_b64 v[156:157], 3, v[156:157]
	v_add_co_u32_e32 v156, vcc, s86, v156
	v_addc_co_u32_e32 v157, vcc, v158, v157, vcc
	s_waitcnt lgkmcnt(0)
	global_store_dwordx2 v[156:157], v[56:57], off
	s_or_b64 exec, exec, s[40:41]
	s_and_saveexec_b64 s[40:41], s[44:45]
	s_cbranch_execnz .LBB942_611
.LBB942_630:                            ;   in Loop: Header=BB942_422 Depth=2
	s_or_b64 exec, exec, s[40:41]
	s_and_saveexec_b64 s[40:41], s[46:47]
	s_cbranch_execz .LBB942_612
.LBB942_631:                            ;   in Loop: Header=BB942_422 Depth=2
	v_lshlrev_b32_e32 v5, 2, v147
	ds_read_b32 v5, v5
	v_add_u32_e32 v56, v76, v77
	ds_read_b64 v[56:57], v56 offset:6144
	v_mov_b32_e32 v157, v4
	v_mov_b32_e32 v158, s87
	s_waitcnt lgkmcnt(1)
	v_add_u32_e32 v156, v5, v15
	v_lshlrev_b64 v[156:157], 3, v[156:157]
	v_add_co_u32_e32 v156, vcc, s86, v156
	v_addc_co_u32_e32 v157, vcc, v158, v157, vcc
	s_waitcnt lgkmcnt(0)
	global_store_dwordx2 v[156:157], v[56:57], off
	s_or_b64 exec, exec, s[40:41]
	s_and_saveexec_b64 s[40:41], s[48:49]
	s_cbranch_execnz .LBB942_613
.LBB942_632:                            ;   in Loop: Header=BB942_422 Depth=2
	s_or_b64 exec, exec, s[40:41]
	s_and_saveexec_b64 s[40:41], s[50:51]
	s_cbranch_execz .LBB942_614
.LBB942_633:                            ;   in Loop: Header=BB942_422 Depth=2
	v_lshlrev_b32_e32 v5, 2, v145
	ds_read_b32 v5, v5
	v_add_u32_e32 v56, v76, v77
	ds_read_b64 v[56:57], v56 offset:10240
	v_mov_b32_e32 v157, v4
	v_mov_b32_e32 v158, s87
	s_waitcnt lgkmcnt(1)
	v_add_u32_e32 v156, v5, v19
	v_lshlrev_b64 v[156:157], 3, v[156:157]
	v_add_co_u32_e32 v156, vcc, s86, v156
	v_addc_co_u32_e32 v157, vcc, v158, v157, vcc
	s_waitcnt lgkmcnt(0)
	global_store_dwordx2 v[156:157], v[56:57], off
	s_or_b64 exec, exec, s[40:41]
	s_and_saveexec_b64 s[40:41], s[52:53]
	s_cbranch_execnz .LBB942_615
.LBB942_634:                            ;   in Loop: Header=BB942_422 Depth=2
	s_or_b64 exec, exec, s[40:41]
	s_and_saveexec_b64 s[40:41], s[54:55]
	s_cbranch_execz .LBB942_616
.LBB942_635:                            ;   in Loop: Header=BB942_422 Depth=2
	v_lshlrev_b32_e32 v5, 2, v143
	ds_read_b32 v5, v5
	v_add_u32_e32 v56, v76, v77
	ds_read_b64 v[56:57], v56 offset:14336
	v_mov_b32_e32 v157, v4
	v_mov_b32_e32 v158, s87
	s_waitcnt lgkmcnt(1)
	v_add_u32_e32 v156, v5, v23
	v_lshlrev_b64 v[156:157], 3, v[156:157]
	v_add_co_u32_e32 v156, vcc, s86, v156
	v_addc_co_u32_e32 v157, vcc, v158, v157, vcc
	s_waitcnt lgkmcnt(0)
	global_store_dwordx2 v[156:157], v[56:57], off
	s_or_b64 exec, exec, s[40:41]
	s_and_saveexec_b64 s[40:41], s[56:57]
	s_cbranch_execnz .LBB942_617
.LBB942_636:                            ;   in Loop: Header=BB942_422 Depth=2
	s_or_b64 exec, exec, s[40:41]
	s_and_saveexec_b64 s[40:41], s[58:59]
	s_cbranch_execz .LBB942_618
.LBB942_637:                            ;   in Loop: Header=BB942_422 Depth=2
	v_lshlrev_b32_e32 v5, 2, v141
	ds_read_b32 v5, v5
	v_add_u32_e32 v56, v76, v77
	ds_read_b64 v[56:57], v56 offset:18432
	v_mov_b32_e32 v157, v4
	v_mov_b32_e32 v158, s87
	s_waitcnt lgkmcnt(1)
	v_add_u32_e32 v156, v5, v8
	v_lshlrev_b64 v[156:157], 3, v[156:157]
	v_add_co_u32_e32 v156, vcc, s86, v156
	v_addc_co_u32_e32 v157, vcc, v158, v157, vcc
	s_waitcnt lgkmcnt(0)
	global_store_dwordx2 v[156:157], v[56:57], off
	s_or_b64 exec, exec, s[40:41]
	s_and_saveexec_b64 s[40:41], s[60:61]
	s_cbranch_execnz .LBB942_619
.LBB942_638:                            ;   in Loop: Header=BB942_422 Depth=2
	s_or_b64 exec, exec, s[40:41]
	s_and_saveexec_b64 s[40:41], s[62:63]
	s_cbranch_execz .LBB942_620
.LBB942_639:                            ;   in Loop: Header=BB942_422 Depth=2
	v_lshlrev_b32_e32 v5, 2, v139
	ds_read_b32 v5, v5
	v_add_u32_e32 v56, v76, v77
	ds_read_b64 v[56:57], v56 offset:22528
	v_mov_b32_e32 v157, v4
	v_mov_b32_e32 v158, s87
	s_waitcnt lgkmcnt(1)
	v_add_u32_e32 v156, v5, v12
	v_lshlrev_b64 v[156:157], 3, v[156:157]
	v_add_co_u32_e32 v156, vcc, s86, v156
	v_addc_co_u32_e32 v157, vcc, v158, v157, vcc
	s_waitcnt lgkmcnt(0)
	global_store_dwordx2 v[156:157], v[56:57], off
	s_or_b64 exec, exec, s[40:41]
	s_and_saveexec_b64 s[40:41], s[64:65]
	s_cbranch_execnz .LBB942_621
.LBB942_640:                            ;   in Loop: Header=BB942_422 Depth=2
	s_or_b64 exec, exec, s[40:41]
	s_and_saveexec_b64 s[40:41], s[66:67]
	s_cbranch_execz .LBB942_622
.LBB942_641:                            ;   in Loop: Header=BB942_422 Depth=2
	v_lshlrev_b32_e32 v5, 2, v137
	ds_read_b32 v5, v5
	v_add_u32_e32 v56, v76, v77
	ds_read_b64 v[56:57], v56 offset:26624
	v_mov_b32_e32 v157, v4
	v_mov_b32_e32 v158, s87
	s_waitcnt lgkmcnt(1)
	v_add_u32_e32 v156, v5, v16
	v_lshlrev_b64 v[156:157], 3, v[156:157]
	v_add_co_u32_e32 v156, vcc, s86, v156
	v_addc_co_u32_e32 v157, vcc, v158, v157, vcc
	s_waitcnt lgkmcnt(0)
	global_store_dwordx2 v[156:157], v[56:57], off
	s_or_b64 exec, exec, s[40:41]
	s_and_saveexec_b64 s[40:41], s[68:69]
	s_cbranch_execnz .LBB942_623
.LBB942_642:                            ;   in Loop: Header=BB942_422 Depth=2
	s_or_b64 exec, exec, s[40:41]
	s_and_saveexec_b64 s[40:41], s[70:71]
	s_cbranch_execz .LBB942_624
.LBB942_643:                            ;   in Loop: Header=BB942_422 Depth=2
	v_lshlrev_b32_e32 v5, 2, v135
	ds_read_b32 v5, v5
	v_add_u32_e32 v56, v76, v77
	ds_read_b64 v[56:57], v56 offset:30720
	v_mov_b32_e32 v157, v4
	v_mov_b32_e32 v158, s87
	s_waitcnt lgkmcnt(1)
	v_add_u32_e32 v156, v5, v20
	v_lshlrev_b64 v[156:157], 3, v[156:157]
	v_add_co_u32_e32 v156, vcc, s86, v156
	v_addc_co_u32_e32 v157, vcc, v158, v157, vcc
	s_waitcnt lgkmcnt(0)
	global_store_dwordx2 v[156:157], v[56:57], off
	s_or_b64 exec, exec, s[40:41]
	s_and_saveexec_b64 s[40:41], s[72:73]
	s_cbranch_execnz .LBB942_625
	s_branch .LBB942_626
.LBB942_644:                            ;   in Loop: Header=BB942_20 Depth=1
	s_waitcnt lgkmcnt(0)
	s_barrier
.LBB942_645:                            ;   in Loop: Header=BB942_20 Depth=1
	s_mov_b64 s[20:21], 0
.LBB942_646:                            ;   in Loop: Header=BB942_20 Depth=1
	s_andn2_b64 vcc, exec, s[20:21]
	s_cbranch_vccnz .LBB942_19
; %bb.647:                              ;   in Loop: Header=BB942_20 Depth=1
	s_mov_b64 s[20:21], -1
	s_and_b64 vcc, exec, s[92:93]
	s_cbranch_vccz .LBB942_959
; %bb.648:                              ;   in Loop: Header=BB942_20 Depth=1
	s_mov_b32 s7, s91
	s_mov_b32 s94, s75
	s_barrier
	s_waitcnt lgkmcnt(0)
                                        ; implicit-def: $vgpr39
                                        ; implicit-def: $vgpr5
                                        ; implicit-def: $vgpr24
                                        ; implicit-def: $vgpr25
                                        ; implicit-def: $vgpr26
                                        ; implicit-def: $vgpr27
                                        ; implicit-def: $vgpr28
                                        ; implicit-def: $vgpr29
                                        ; implicit-def: $vgpr30
                                        ; implicit-def: $vgpr31
                                        ; implicit-def: $vgpr32
                                        ; implicit-def: $vgpr33
                                        ; implicit-def: $vgpr34
                                        ; implicit-def: $vgpr35
                                        ; implicit-def: $vgpr36
                                        ; implicit-def: $vgpr37
                                        ; implicit-def: $vgpr38
	s_branch .LBB942_650
.LBB942_649:                            ;   in Loop: Header=BB942_650 Depth=2
	s_or_b64 exec, exec, s[20:21]
	s_addk_i32 s7, 0xef00
	s_cmp_ge_u32 s8, s98
	s_mov_b32 s94, s8
	s_cbranch_scc1 .LBB942_724
.LBB942_650:                            ;   Parent Loop BB942_20 Depth=1
                                        ; =>  This Inner Loop Header: Depth=2
	s_add_i32 s8, s94, 0x1100
	s_cmp_gt_u32 s8, s98
	s_cbranch_scc1 .LBB942_653
; %bb.651:                              ;   in Loop: Header=BB942_650 Depth=2
	s_lshl_b64 s[20:21], s[94:95], 1
	v_mov_b32_e32 v1, s21
	v_add_co_u32_e32 v0, vcc, s20, v84
	v_addc_co_u32_e32 v1, vcc, v85, v1, vcc
	s_waitcnt vmcnt(0)
	v_add_co_u32_e32 v56, vcc, s88, v0
	v_addc_co_u32_e32 v57, vcc, 0, v1, vcc
	global_load_ushort v41, v[0:1], off
	global_load_ushort v42, v[0:1], off offset:512
	global_load_ushort v43, v[0:1], off offset:1024
	;; [unrolled: 1-line block ×7, first 2 shown]
	global_load_ushort v49, v[56:57], off
	global_load_ushort v50, v[56:57], off offset:512
	global_load_ushort v51, v[56:57], off offset:1024
	global_load_ushort v52, v[56:57], off offset:1536
	global_load_ushort v53, v[56:57], off offset:2048
	global_load_ushort v54, v[56:57], off offset:2560
	global_load_ushort v55, v[56:57], off offset:3072
	s_nop 0
	global_load_ushort v56, v[56:57], off offset:3584
	v_add_co_u32_e32 v0, vcc, 0x2000, v0
	v_addc_co_u32_e32 v1, vcc, 0, v1, vcc
	s_mov_b64 s[20:21], -1
	s_movk_i32 s9, 0x1100
	s_cbranch_execz .LBB942_654
; %bb.652:                              ;   in Loop: Header=BB942_650 Depth=2
                                        ; implicit-def: $vgpr38
                                        ; implicit-def: $vgpr37
                                        ; implicit-def: $vgpr36
                                        ; implicit-def: $vgpr35
                                        ; implicit-def: $vgpr34
                                        ; implicit-def: $vgpr33
                                        ; implicit-def: $vgpr32
                                        ; implicit-def: $vgpr31
                                        ; implicit-def: $vgpr30
                                        ; implicit-def: $vgpr29
                                        ; implicit-def: $vgpr28
                                        ; implicit-def: $vgpr27
                                        ; implicit-def: $vgpr26
                                        ; implicit-def: $vgpr25
                                        ; implicit-def: $vgpr24
                                        ; implicit-def: $vgpr5
                                        ; implicit-def: $vgpr39
	v_mov_b32_e32 v40, s7
	s_and_saveexec_b64 s[22:23], s[20:21]
	s_cbranch_execnz .LBB942_689
	s_branch .LBB942_690
.LBB942_653:                            ;   in Loop: Header=BB942_650 Depth=2
	s_mov_b64 s[20:21], 0
                                        ; implicit-def: $sgpr9
                                        ; implicit-def: $vgpr41
                                        ; implicit-def: $vgpr42
                                        ; implicit-def: $vgpr43
                                        ; implicit-def: $vgpr44
                                        ; implicit-def: $vgpr45
                                        ; implicit-def: $vgpr46
                                        ; implicit-def: $vgpr47
                                        ; implicit-def: $vgpr48
                                        ; implicit-def: $vgpr49
                                        ; implicit-def: $vgpr50
                                        ; implicit-def: $vgpr51
                                        ; implicit-def: $vgpr52
                                        ; implicit-def: $vgpr53
                                        ; implicit-def: $vgpr54
                                        ; implicit-def: $vgpr55
                                        ; implicit-def: $vgpr56
                                        ; implicit-def: $vgpr0_vgpr1
.LBB942_654:                            ;   in Loop: Header=BB942_650 Depth=2
	s_lshl_b64 s[22:23], s[94:95], 1
	s_add_u32 s22, s76, s22
	s_addc_u32 s23, s77, s23
	v_cmp_gt_u32_e32 vcc, s7, v2
	s_and_saveexec_b64 s[24:25], vcc
	s_cbranch_execz .LBB942_670
; %bb.655:                              ;   in Loop: Header=BB942_650 Depth=2
	global_load_ushort v38, v92, s[22:23]
	s_or_b64 exec, exec, s[24:25]
	v_cmp_gt_u32_e32 vcc, s7, v7
	s_and_saveexec_b64 s[24:25], vcc
	s_cbranch_execnz .LBB942_671
.LBB942_656:                            ;   in Loop: Header=BB942_650 Depth=2
	s_or_b64 exec, exec, s[24:25]
	v_cmp_gt_u32_e32 vcc, s7, v13
	s_and_saveexec_b64 s[24:25], vcc
	s_cbranch_execz .LBB942_672
.LBB942_657:                            ;   in Loop: Header=BB942_650 Depth=2
	global_load_ushort v36, v92, s[22:23] offset:1024
	s_or_b64 exec, exec, s[24:25]
	v_cmp_gt_u32_e32 vcc, s7, v15
	s_and_saveexec_b64 s[24:25], vcc
	s_cbranch_execnz .LBB942_673
.LBB942_658:                            ;   in Loop: Header=BB942_650 Depth=2
	s_or_b64 exec, exec, s[24:25]
	v_cmp_gt_u32_e32 vcc, s7, v17
	s_and_saveexec_b64 s[24:25], vcc
	s_cbranch_execz .LBB942_674
.LBB942_659:                            ;   in Loop: Header=BB942_650 Depth=2
	global_load_ushort v34, v92, s[22:23] offset:2048
	s_or_b64 exec, exec, s[24:25]
	v_cmp_gt_u32_e32 vcc, s7, v19
	s_and_saveexec_b64 s[24:25], vcc
	s_cbranch_execnz .LBB942_675
.LBB942_660:                            ;   in Loop: Header=BB942_650 Depth=2
	s_or_b64 exec, exec, s[24:25]
	v_cmp_gt_u32_e32 vcc, s7, v21
	s_and_saveexec_b64 s[24:25], vcc
	s_cbranch_execz .LBB942_676
.LBB942_661:                            ;   in Loop: Header=BB942_650 Depth=2
	global_load_ushort v32, v92, s[22:23] offset:3072
	s_or_b64 exec, exec, s[24:25]
	v_cmp_gt_u32_e32 vcc, s7, v23
	s_and_saveexec_b64 s[24:25], vcc
	s_cbranch_execnz .LBB942_677
.LBB942_662:                            ;   in Loop: Header=BB942_650 Depth=2
	s_or_b64 exec, exec, s[24:25]
	v_cmp_gt_u32_e32 vcc, s7, v6
	s_and_saveexec_b64 s[24:25], vcc
	s_cbranch_execz .LBB942_678
.LBB942_663:                            ;   in Loop: Header=BB942_650 Depth=2
	global_load_ushort v30, v93, s[22:23]
	s_or_b64 exec, exec, s[24:25]
	v_cmp_gt_u32_e32 vcc, s7, v8
	s_and_saveexec_b64 s[24:25], vcc
	s_cbranch_execnz .LBB942_679
.LBB942_664:                            ;   in Loop: Header=BB942_650 Depth=2
	s_or_b64 exec, exec, s[24:25]
	v_cmp_gt_u32_e32 vcc, s7, v10
	s_and_saveexec_b64 s[24:25], vcc
	s_cbranch_execz .LBB942_680
.LBB942_665:                            ;   in Loop: Header=BB942_650 Depth=2
	global_load_ushort v28, v95, s[22:23]
	s_or_b64 exec, exec, s[24:25]
	v_cmp_gt_u32_e32 vcc, s7, v12
	s_and_saveexec_b64 s[24:25], vcc
	s_cbranch_execnz .LBB942_681
.LBB942_666:                            ;   in Loop: Header=BB942_650 Depth=2
	s_or_b64 exec, exec, s[24:25]
	v_cmp_gt_u32_e32 vcc, s7, v14
	s_and_saveexec_b64 s[24:25], vcc
	s_cbranch_execz .LBB942_682
.LBB942_667:                            ;   in Loop: Header=BB942_650 Depth=2
	global_load_ushort v26, v97, s[22:23]
	s_or_b64 exec, exec, s[24:25]
	v_cmp_gt_u32_e32 vcc, s7, v16
	s_and_saveexec_b64 s[24:25], vcc
	s_cbranch_execnz .LBB942_683
.LBB942_668:                            ;   in Loop: Header=BB942_650 Depth=2
	s_or_b64 exec, exec, s[24:25]
	v_cmp_gt_u32_e32 vcc, s7, v18
	s_and_saveexec_b64 s[24:25], vcc
	s_cbranch_execz .LBB942_684
.LBB942_669:                            ;   in Loop: Header=BB942_650 Depth=2
	global_load_ushort v24, v99, s[22:23]
	s_or_b64 exec, exec, s[24:25]
	v_cmp_gt_u32_e32 vcc, s7, v20
	s_and_saveexec_b64 s[24:25], vcc
	s_cbranch_execz .LBB942_686
	s_branch .LBB942_685
.LBB942_670:                            ;   in Loop: Header=BB942_650 Depth=2
	s_or_b64 exec, exec, s[24:25]
	v_cmp_gt_u32_e32 vcc, s7, v7
	s_and_saveexec_b64 s[24:25], vcc
	s_cbranch_execz .LBB942_656
.LBB942_671:                            ;   in Loop: Header=BB942_650 Depth=2
	global_load_ushort v37, v92, s[22:23] offset:512
	s_or_b64 exec, exec, s[24:25]
	v_cmp_gt_u32_e32 vcc, s7, v13
	s_and_saveexec_b64 s[24:25], vcc
	s_cbranch_execnz .LBB942_657
.LBB942_672:                            ;   in Loop: Header=BB942_650 Depth=2
	s_or_b64 exec, exec, s[24:25]
	v_cmp_gt_u32_e32 vcc, s7, v15
	s_and_saveexec_b64 s[24:25], vcc
	s_cbranch_execz .LBB942_658
.LBB942_673:                            ;   in Loop: Header=BB942_650 Depth=2
	global_load_ushort v35, v92, s[22:23] offset:1536
	s_or_b64 exec, exec, s[24:25]
	v_cmp_gt_u32_e32 vcc, s7, v17
	s_and_saveexec_b64 s[24:25], vcc
	s_cbranch_execnz .LBB942_659
.LBB942_674:                            ;   in Loop: Header=BB942_650 Depth=2
	s_or_b64 exec, exec, s[24:25]
	v_cmp_gt_u32_e32 vcc, s7, v19
	s_and_saveexec_b64 s[24:25], vcc
	s_cbranch_execz .LBB942_660
.LBB942_675:                            ;   in Loop: Header=BB942_650 Depth=2
	global_load_ushort v33, v92, s[22:23] offset:2560
	s_or_b64 exec, exec, s[24:25]
	v_cmp_gt_u32_e32 vcc, s7, v21
	s_and_saveexec_b64 s[24:25], vcc
	s_cbranch_execnz .LBB942_661
.LBB942_676:                            ;   in Loop: Header=BB942_650 Depth=2
	s_or_b64 exec, exec, s[24:25]
	v_cmp_gt_u32_e32 vcc, s7, v23
	s_and_saveexec_b64 s[24:25], vcc
	s_cbranch_execz .LBB942_662
.LBB942_677:                            ;   in Loop: Header=BB942_650 Depth=2
	global_load_ushort v31, v92, s[22:23] offset:3584
	s_or_b64 exec, exec, s[24:25]
	v_cmp_gt_u32_e32 vcc, s7, v6
	s_and_saveexec_b64 s[24:25], vcc
	s_cbranch_execnz .LBB942_663
.LBB942_678:                            ;   in Loop: Header=BB942_650 Depth=2
	s_or_b64 exec, exec, s[24:25]
	v_cmp_gt_u32_e32 vcc, s7, v8
	s_and_saveexec_b64 s[24:25], vcc
	s_cbranch_execz .LBB942_664
.LBB942_679:                            ;   in Loop: Header=BB942_650 Depth=2
	global_load_ushort v29, v94, s[22:23]
	s_or_b64 exec, exec, s[24:25]
	v_cmp_gt_u32_e32 vcc, s7, v10
	s_and_saveexec_b64 s[24:25], vcc
	s_cbranch_execnz .LBB942_665
.LBB942_680:                            ;   in Loop: Header=BB942_650 Depth=2
	s_or_b64 exec, exec, s[24:25]
	v_cmp_gt_u32_e32 vcc, s7, v12
	s_and_saveexec_b64 s[24:25], vcc
	s_cbranch_execz .LBB942_666
.LBB942_681:                            ;   in Loop: Header=BB942_650 Depth=2
	global_load_ushort v27, v96, s[22:23]
	s_or_b64 exec, exec, s[24:25]
	v_cmp_gt_u32_e32 vcc, s7, v14
	s_and_saveexec_b64 s[24:25], vcc
	s_cbranch_execnz .LBB942_667
.LBB942_682:                            ;   in Loop: Header=BB942_650 Depth=2
	s_or_b64 exec, exec, s[24:25]
	v_cmp_gt_u32_e32 vcc, s7, v16
	s_and_saveexec_b64 s[24:25], vcc
	s_cbranch_execz .LBB942_668
.LBB942_683:                            ;   in Loop: Header=BB942_650 Depth=2
	global_load_ushort v25, v98, s[22:23]
	s_or_b64 exec, exec, s[24:25]
	v_cmp_gt_u32_e32 vcc, s7, v18
	s_and_saveexec_b64 s[24:25], vcc
	s_cbranch_execnz .LBB942_669
.LBB942_684:                            ;   in Loop: Header=BB942_650 Depth=2
	s_or_b64 exec, exec, s[24:25]
	v_cmp_gt_u32_e32 vcc, s7, v20
	s_and_saveexec_b64 s[24:25], vcc
	s_cbranch_execz .LBB942_686
.LBB942_685:                            ;   in Loop: Header=BB942_650 Depth=2
	global_load_ushort v5, v100, s[22:23]
.LBB942_686:                            ;   in Loop: Header=BB942_650 Depth=2
	s_or_b64 exec, exec, s[24:25]
	v_cmp_gt_u32_e32 vcc, s7, v22
                                        ; implicit-def: $sgpr9
                                        ; implicit-def: $vgpr0_vgpr1
	s_and_saveexec_b64 s[24:25], vcc
; %bb.687:                              ;   in Loop: Header=BB942_650 Depth=2
	v_mov_b32_e32 v1, s23
	v_add_co_u32_e32 v0, vcc, s22, v101
	s_sub_i32 s9, s98, s94
	v_addc_co_u32_e32 v1, vcc, 0, v1, vcc
	s_or_b64 s[20:21], s[20:21], exec
                                        ; implicit-def: $vgpr39
; %bb.688:                              ;   in Loop: Header=BB942_650 Depth=2
	s_or_b64 exec, exec, s[24:25]
	s_waitcnt vmcnt(0)
	v_mov_b32_e32 v41, v38
	v_mov_b32_e32 v42, v37
	;; [unrolled: 1-line block ×17, first 2 shown]
	s_and_saveexec_b64 s[22:23], s[20:21]
	s_cbranch_execz .LBB942_690
.LBB942_689:                            ;   in Loop: Header=BB942_650 Depth=2
	global_load_ushort v39, v[0:1], off
	v_mov_b32_e32 v40, s9
	s_waitcnt vmcnt(1)
	v_mov_b32_e32 v5, v56
	v_mov_b32_e32 v24, v55
	;; [unrolled: 1-line block ×16, first 2 shown]
.LBB942_690:                            ;   in Loop: Header=BB942_650 Depth=2
	s_or_b64 exec, exec, s[22:23]
	v_cmp_lt_u32_e32 vcc, v2, v40
	s_and_saveexec_b64 s[20:21], vcc
	s_cbranch_execz .LBB942_707
; %bb.691:                              ;   in Loop: Header=BB942_650 Depth=2
	v_xor_b32_e32 v0, 0x7fff, v38
	v_lshrrev_b32_sdwa v0, s89, v0 dst_sel:DWORD dst_unused:UNUSED_PAD src0_sel:DWORD src1_sel:WORD_0
	v_and_b32_e32 v0, s6, v0
	v_lshl_or_b32 v0, v0, 4, v90
	ds_add_u32 v0, v91
	s_or_b64 exec, exec, s[20:21]
	v_cmp_lt_u32_e32 vcc, v7, v40
	s_and_saveexec_b64 s[20:21], vcc
	s_cbranch_execnz .LBB942_708
.LBB942_692:                            ;   in Loop: Header=BB942_650 Depth=2
	s_or_b64 exec, exec, s[20:21]
	v_cmp_lt_u32_e32 vcc, v13, v40
	s_and_saveexec_b64 s[20:21], vcc
	s_cbranch_execz .LBB942_709
.LBB942_693:                            ;   in Loop: Header=BB942_650 Depth=2
	v_xor_b32_e32 v0, 0x7fff, v36
	v_lshrrev_b32_sdwa v0, s89, v0 dst_sel:DWORD dst_unused:UNUSED_PAD src0_sel:DWORD src1_sel:WORD_0
	v_and_b32_e32 v0, s6, v0
	v_lshl_or_b32 v0, v0, 4, v90
	ds_add_u32 v0, v91
	s_or_b64 exec, exec, s[20:21]
	v_cmp_lt_u32_e32 vcc, v15, v40
	s_and_saveexec_b64 s[20:21], vcc
	s_cbranch_execnz .LBB942_710
.LBB942_694:                            ;   in Loop: Header=BB942_650 Depth=2
	s_or_b64 exec, exec, s[20:21]
	v_cmp_lt_u32_e32 vcc, v17, v40
	s_and_saveexec_b64 s[20:21], vcc
	s_cbranch_execz .LBB942_711
.LBB942_695:                            ;   in Loop: Header=BB942_650 Depth=2
	v_xor_b32_e32 v0, 0x7fff, v34
	v_lshrrev_b32_sdwa v0, s89, v0 dst_sel:DWORD dst_unused:UNUSED_PAD src0_sel:DWORD src1_sel:WORD_0
	v_and_b32_e32 v0, s6, v0
	v_lshl_or_b32 v0, v0, 4, v90
	ds_add_u32 v0, v91
	s_or_b64 exec, exec, s[20:21]
	v_cmp_lt_u32_e32 vcc, v19, v40
	s_and_saveexec_b64 s[20:21], vcc
	s_cbranch_execnz .LBB942_712
.LBB942_696:                            ;   in Loop: Header=BB942_650 Depth=2
	s_or_b64 exec, exec, s[20:21]
	v_cmp_lt_u32_e32 vcc, v21, v40
	s_and_saveexec_b64 s[20:21], vcc
	s_cbranch_execz .LBB942_713
.LBB942_697:                            ;   in Loop: Header=BB942_650 Depth=2
	v_xor_b32_e32 v0, 0x7fff, v32
	v_lshrrev_b32_sdwa v0, s89, v0 dst_sel:DWORD dst_unused:UNUSED_PAD src0_sel:DWORD src1_sel:WORD_0
	v_and_b32_e32 v0, s6, v0
	v_lshl_or_b32 v0, v0, 4, v90
	ds_add_u32 v0, v91
	s_or_b64 exec, exec, s[20:21]
	v_cmp_lt_u32_e32 vcc, v23, v40
	s_and_saveexec_b64 s[20:21], vcc
	s_cbranch_execnz .LBB942_714
.LBB942_698:                            ;   in Loop: Header=BB942_650 Depth=2
	s_or_b64 exec, exec, s[20:21]
	v_cmp_lt_u32_e32 vcc, v6, v40
	s_and_saveexec_b64 s[20:21], vcc
	s_cbranch_execz .LBB942_715
.LBB942_699:                            ;   in Loop: Header=BB942_650 Depth=2
	v_xor_b32_e32 v0, 0x7fff, v30
	v_lshrrev_b32_sdwa v0, s89, v0 dst_sel:DWORD dst_unused:UNUSED_PAD src0_sel:DWORD src1_sel:WORD_0
	v_and_b32_e32 v0, s6, v0
	v_lshl_or_b32 v0, v0, 4, v90
	ds_add_u32 v0, v91
	s_or_b64 exec, exec, s[20:21]
	v_cmp_lt_u32_e32 vcc, v8, v40
	s_and_saveexec_b64 s[20:21], vcc
	s_cbranch_execnz .LBB942_716
.LBB942_700:                            ;   in Loop: Header=BB942_650 Depth=2
	s_or_b64 exec, exec, s[20:21]
	v_cmp_lt_u32_e32 vcc, v10, v40
	s_and_saveexec_b64 s[20:21], vcc
	s_cbranch_execz .LBB942_717
.LBB942_701:                            ;   in Loop: Header=BB942_650 Depth=2
	v_xor_b32_e32 v0, 0x7fff, v28
	v_lshrrev_b32_sdwa v0, s89, v0 dst_sel:DWORD dst_unused:UNUSED_PAD src0_sel:DWORD src1_sel:WORD_0
	v_and_b32_e32 v0, s6, v0
	v_lshl_or_b32 v0, v0, 4, v90
	ds_add_u32 v0, v91
	s_or_b64 exec, exec, s[20:21]
	v_cmp_lt_u32_e32 vcc, v12, v40
	s_and_saveexec_b64 s[20:21], vcc
	s_cbranch_execnz .LBB942_718
.LBB942_702:                            ;   in Loop: Header=BB942_650 Depth=2
	s_or_b64 exec, exec, s[20:21]
	v_cmp_lt_u32_e32 vcc, v14, v40
	s_and_saveexec_b64 s[20:21], vcc
	s_cbranch_execz .LBB942_719
.LBB942_703:                            ;   in Loop: Header=BB942_650 Depth=2
	v_xor_b32_e32 v0, 0x7fff, v26
	v_lshrrev_b32_sdwa v0, s89, v0 dst_sel:DWORD dst_unused:UNUSED_PAD src0_sel:DWORD src1_sel:WORD_0
	v_and_b32_e32 v0, s6, v0
	v_lshl_or_b32 v0, v0, 4, v90
	ds_add_u32 v0, v91
	s_or_b64 exec, exec, s[20:21]
	v_cmp_lt_u32_e32 vcc, v16, v40
	s_and_saveexec_b64 s[20:21], vcc
	s_cbranch_execnz .LBB942_720
.LBB942_704:                            ;   in Loop: Header=BB942_650 Depth=2
	s_or_b64 exec, exec, s[20:21]
	v_cmp_lt_u32_e32 vcc, v18, v40
	s_and_saveexec_b64 s[20:21], vcc
	s_cbranch_execz .LBB942_721
.LBB942_705:                            ;   in Loop: Header=BB942_650 Depth=2
	v_xor_b32_e32 v0, 0x7fff, v24
	v_lshrrev_b32_sdwa v0, s89, v0 dst_sel:DWORD dst_unused:UNUSED_PAD src0_sel:DWORD src1_sel:WORD_0
	v_and_b32_e32 v0, s6, v0
	v_lshl_or_b32 v0, v0, 4, v90
	ds_add_u32 v0, v91
	s_or_b64 exec, exec, s[20:21]
	v_cmp_lt_u32_e32 vcc, v20, v40
	s_and_saveexec_b64 s[20:21], vcc
	s_cbranch_execnz .LBB942_722
.LBB942_706:                            ;   in Loop: Header=BB942_650 Depth=2
	s_or_b64 exec, exec, s[20:21]
	v_cmp_lt_u32_e32 vcc, v22, v40
	s_and_saveexec_b64 s[20:21], vcc
	s_cbranch_execz .LBB942_649
	s_branch .LBB942_723
.LBB942_707:                            ;   in Loop: Header=BB942_650 Depth=2
	s_or_b64 exec, exec, s[20:21]
	v_cmp_lt_u32_e32 vcc, v7, v40
	s_and_saveexec_b64 s[20:21], vcc
	s_cbranch_execz .LBB942_692
.LBB942_708:                            ;   in Loop: Header=BB942_650 Depth=2
	v_xor_b32_e32 v0, 0x7fff, v37
	v_lshrrev_b32_sdwa v0, s89, v0 dst_sel:DWORD dst_unused:UNUSED_PAD src0_sel:DWORD src1_sel:WORD_0
	v_and_b32_e32 v0, s6, v0
	v_lshl_or_b32 v0, v0, 4, v90
	ds_add_u32 v0, v91
	s_or_b64 exec, exec, s[20:21]
	v_cmp_lt_u32_e32 vcc, v13, v40
	s_and_saveexec_b64 s[20:21], vcc
	s_cbranch_execnz .LBB942_693
.LBB942_709:                            ;   in Loop: Header=BB942_650 Depth=2
	s_or_b64 exec, exec, s[20:21]
	v_cmp_lt_u32_e32 vcc, v15, v40
	s_and_saveexec_b64 s[20:21], vcc
	s_cbranch_execz .LBB942_694
.LBB942_710:                            ;   in Loop: Header=BB942_650 Depth=2
	v_xor_b32_e32 v0, 0x7fff, v35
	v_lshrrev_b32_sdwa v0, s89, v0 dst_sel:DWORD dst_unused:UNUSED_PAD src0_sel:DWORD src1_sel:WORD_0
	v_and_b32_e32 v0, s6, v0
	v_lshl_or_b32 v0, v0, 4, v90
	ds_add_u32 v0, v91
	s_or_b64 exec, exec, s[20:21]
	v_cmp_lt_u32_e32 vcc, v17, v40
	s_and_saveexec_b64 s[20:21], vcc
	s_cbranch_execnz .LBB942_695
.LBB942_711:                            ;   in Loop: Header=BB942_650 Depth=2
	s_or_b64 exec, exec, s[20:21]
	v_cmp_lt_u32_e32 vcc, v19, v40
	s_and_saveexec_b64 s[20:21], vcc
	s_cbranch_execz .LBB942_696
.LBB942_712:                            ;   in Loop: Header=BB942_650 Depth=2
	v_xor_b32_e32 v0, 0x7fff, v33
	v_lshrrev_b32_sdwa v0, s89, v0 dst_sel:DWORD dst_unused:UNUSED_PAD src0_sel:DWORD src1_sel:WORD_0
	v_and_b32_e32 v0, s6, v0
	v_lshl_or_b32 v0, v0, 4, v90
	ds_add_u32 v0, v91
	s_or_b64 exec, exec, s[20:21]
	v_cmp_lt_u32_e32 vcc, v21, v40
	s_and_saveexec_b64 s[20:21], vcc
	s_cbranch_execnz .LBB942_697
.LBB942_713:                            ;   in Loop: Header=BB942_650 Depth=2
	s_or_b64 exec, exec, s[20:21]
	v_cmp_lt_u32_e32 vcc, v23, v40
	s_and_saveexec_b64 s[20:21], vcc
	s_cbranch_execz .LBB942_698
.LBB942_714:                            ;   in Loop: Header=BB942_650 Depth=2
	v_xor_b32_e32 v0, 0x7fff, v31
	v_lshrrev_b32_sdwa v0, s89, v0 dst_sel:DWORD dst_unused:UNUSED_PAD src0_sel:DWORD src1_sel:WORD_0
	v_and_b32_e32 v0, s6, v0
	v_lshl_or_b32 v0, v0, 4, v90
	ds_add_u32 v0, v91
	s_or_b64 exec, exec, s[20:21]
	v_cmp_lt_u32_e32 vcc, v6, v40
	s_and_saveexec_b64 s[20:21], vcc
	s_cbranch_execnz .LBB942_699
.LBB942_715:                            ;   in Loop: Header=BB942_650 Depth=2
	s_or_b64 exec, exec, s[20:21]
	v_cmp_lt_u32_e32 vcc, v8, v40
	s_and_saveexec_b64 s[20:21], vcc
	s_cbranch_execz .LBB942_700
.LBB942_716:                            ;   in Loop: Header=BB942_650 Depth=2
	v_xor_b32_e32 v0, 0x7fff, v29
	v_lshrrev_b32_sdwa v0, s89, v0 dst_sel:DWORD dst_unused:UNUSED_PAD src0_sel:DWORD src1_sel:WORD_0
	v_and_b32_e32 v0, s6, v0
	v_lshl_or_b32 v0, v0, 4, v90
	ds_add_u32 v0, v91
	s_or_b64 exec, exec, s[20:21]
	v_cmp_lt_u32_e32 vcc, v10, v40
	s_and_saveexec_b64 s[20:21], vcc
	s_cbranch_execnz .LBB942_701
.LBB942_717:                            ;   in Loop: Header=BB942_650 Depth=2
	s_or_b64 exec, exec, s[20:21]
	v_cmp_lt_u32_e32 vcc, v12, v40
	s_and_saveexec_b64 s[20:21], vcc
	s_cbranch_execz .LBB942_702
.LBB942_718:                            ;   in Loop: Header=BB942_650 Depth=2
	v_xor_b32_e32 v0, 0x7fff, v27
	v_lshrrev_b32_sdwa v0, s89, v0 dst_sel:DWORD dst_unused:UNUSED_PAD src0_sel:DWORD src1_sel:WORD_0
	v_and_b32_e32 v0, s6, v0
	v_lshl_or_b32 v0, v0, 4, v90
	ds_add_u32 v0, v91
	s_or_b64 exec, exec, s[20:21]
	v_cmp_lt_u32_e32 vcc, v14, v40
	s_and_saveexec_b64 s[20:21], vcc
	s_cbranch_execnz .LBB942_703
.LBB942_719:                            ;   in Loop: Header=BB942_650 Depth=2
	s_or_b64 exec, exec, s[20:21]
	v_cmp_lt_u32_e32 vcc, v16, v40
	s_and_saveexec_b64 s[20:21], vcc
	s_cbranch_execz .LBB942_704
.LBB942_720:                            ;   in Loop: Header=BB942_650 Depth=2
	v_xor_b32_e32 v0, 0x7fff, v25
	v_lshrrev_b32_sdwa v0, s89, v0 dst_sel:DWORD dst_unused:UNUSED_PAD src0_sel:DWORD src1_sel:WORD_0
	v_and_b32_e32 v0, s6, v0
	v_lshl_or_b32 v0, v0, 4, v90
	ds_add_u32 v0, v91
	s_or_b64 exec, exec, s[20:21]
	v_cmp_lt_u32_e32 vcc, v18, v40
	s_and_saveexec_b64 s[20:21], vcc
	s_cbranch_execnz .LBB942_705
.LBB942_721:                            ;   in Loop: Header=BB942_650 Depth=2
	s_or_b64 exec, exec, s[20:21]
	v_cmp_lt_u32_e32 vcc, v20, v40
	s_and_saveexec_b64 s[20:21], vcc
	s_cbranch_execz .LBB942_706
.LBB942_722:                            ;   in Loop: Header=BB942_650 Depth=2
	v_xor_b32_e32 v0, 0x7fff, v5
	v_lshrrev_b32_sdwa v0, s89, v0 dst_sel:DWORD dst_unused:UNUSED_PAD src0_sel:DWORD src1_sel:WORD_0
	v_and_b32_e32 v0, s6, v0
	v_lshl_or_b32 v0, v0, 4, v90
	ds_add_u32 v0, v91
	s_or_b64 exec, exec, s[20:21]
	v_cmp_lt_u32_e32 vcc, v22, v40
	s_and_saveexec_b64 s[20:21], vcc
	s_cbranch_execz .LBB942_649
.LBB942_723:                            ;   in Loop: Header=BB942_650 Depth=2
	s_waitcnt vmcnt(0)
	v_xor_b32_e32 v0, 0x7fff, v39
	v_lshrrev_b32_sdwa v0, s89, v0 dst_sel:DWORD dst_unused:UNUSED_PAD src0_sel:DWORD src1_sel:WORD_0
	v_and_b32_e32 v0, s6, v0
	v_lshl_or_b32 v0, v0, 4, v90
	ds_add_u32 v0, v91
	s_branch .LBB942_649
.LBB942_724:                            ;   in Loop: Header=BB942_20 Depth=1
	v_mov_b32_e32 v0, 0
	s_waitcnt lgkmcnt(0)
	s_barrier
	s_and_saveexec_b64 s[20:21], s[4:5]
	s_cbranch_execz .LBB942_726
; %bb.725:                              ;   in Loop: Header=BB942_20 Depth=1
	ds_read2_b64 v[24:27], v59 offset1:1
	s_waitcnt lgkmcnt(0)
	v_add_u32_e32 v0, v25, v24
	v_add3_u32 v0, v0, v26, v27
.LBB942_726:                            ;   in Loop: Header=BB942_20 Depth=1
	s_or_b64 exec, exec, s[20:21]
	s_nop 0
	v_mov_b32_dpp v1, v0 row_shr:1 row_mask:0xf bank_mask:0xf
	v_cmp_eq_u32_e64 s[20:21], 0, v103
	v_cndmask_b32_e64 v1, v1, 0, s[20:21]
	v_add_u32_e32 v0, v1, v0
	v_cmp_lt_u32_e64 s[22:23], 1, v103
	v_cmp_lt_u32_e64 s[24:25], 3, v103
	v_mov_b32_dpp v1, v0 row_shr:2 row_mask:0xf bank_mask:0xf
	v_cndmask_b32_e64 v1, 0, v1, s[22:23]
	v_add_u32_e32 v0, v0, v1
	v_cmp_lt_u32_e64 s[26:27], 7, v103
	v_cmp_lt_u32_e64 s[30:31], 31, v102
	v_mov_b32_dpp v1, v0 row_shr:4 row_mask:0xf bank_mask:0xf
	v_cndmask_b32_e64 v1, 0, v1, s[24:25]
	v_add_u32_e32 v0, v0, v1
	v_cmp_eq_u32_e64 s[28:29], 0, v105
	s_nop 0
	v_mov_b32_dpp v1, v0 row_shr:8 row_mask:0xf bank_mask:0xf
	v_cndmask_b32_e64 v1, 0, v1, s[26:27]
	v_add_u32_e32 v0, v0, v1
	s_nop 1
	v_mov_b32_dpp v1, v0 row_bcast:15 row_mask:0xf bank_mask:0xf
	v_and_b32_e32 v1, v104, v1
	v_add_u32_e32 v0, v0, v1
	s_nop 1
	v_mov_b32_dpp v1, v0 row_bcast:31 row_mask:0xf bank_mask:0xf
	v_cndmask_b32_e64 v1, 0, v1, s[30:31]
	v_add_u32_e32 v0, v0, v1
	s_mov_b64 s[34:35], exec
	v_readlane_b32 s8, v232, 0
	v_readlane_b32 s9, v232, 1
	s_and_b64 s[8:9], s[34:35], s[8:9]
	s_mov_b64 exec, s[8:9]
	s_cbranch_execz .LBB942_728
; %bb.727:                              ;   in Loop: Header=BB942_20 Depth=1
	ds_write_b32 v61, v0
.LBB942_728:                            ;   in Loop: Header=BB942_20 Depth=1
	s_or_b64 exec, exec, s[34:35]
	s_waitcnt lgkmcnt(0)
	s_barrier
	s_mov_b64 s[34:35], exec
	v_readlane_b32 s8, v232, 2
	v_readlane_b32 s9, v232, 3
	s_and_b64 s[8:9], s[34:35], s[8:9]
	s_mov_b64 exec, s[8:9]
	s_cbranch_execz .LBB942_730
; %bb.729:                              ;   in Loop: Header=BB942_20 Depth=1
	ds_read_b32 v1, v62
	s_waitcnt lgkmcnt(0)
	s_nop 0
	v_mov_b32_dpp v5, v1 row_shr:1 row_mask:0xf bank_mask:0xf
	v_and_b32_e32 v5, v106, v5
	v_add_u32_e32 v1, v5, v1
	ds_write_b32 v62, v1
.LBB942_730:                            ;   in Loop: Header=BB942_20 Depth=1
	s_or_b64 exec, exec, s[34:35]
	v_mov_b32_e32 v1, 0
	s_waitcnt lgkmcnt(0)
	s_barrier
	s_and_saveexec_b64 s[34:35], s[10:11]
	s_cbranch_execz .LBB942_732
; %bb.731:                              ;   in Loop: Header=BB942_20 Depth=1
	ds_read_b32 v1, v63
.LBB942_732:                            ;   in Loop: Header=BB942_20 Depth=1
	s_or_b64 exec, exec, s[34:35]
	v_cmp_lt_i32_e32 vcc, v107, v108
	v_cndmask_b32_e32 v5, v107, v102, vcc
	s_waitcnt lgkmcnt(0)
	v_add_u32_e32 v0, v1, v0
	v_lshlrev_b32_e32 v129, 2, v5
	ds_bpermute_b32 v0, v129, v0
	v_cmp_eq_u32_e64 s[34:35], 0, v102
	s_waitcnt lgkmcnt(0)
	s_barrier
	s_and_saveexec_b64 s[36:37], s[4:5]
	s_cbranch_execz .LBB942_734
; %bb.733:                              ;   in Loop: Header=BB942_20 Depth=1
	v_cndmask_b32_e64 v0, v0, v1, s[34:35]
	v_add_u32_e32 v0, s75, v0
	ds_write_b32 v3, v0
.LBB942_734:                            ;   in Loop: Header=BB942_20 Depth=1
	s_or_b64 exec, exec, s[36:37]
	s_load_dwordx2 s[8:9], s[96:97], 0x0
	v_add_co_u32_e32 v130, vcc, v86, v110
	v_addc_co_u32_e32 v131, vcc, 0, v87, vcc
	s_waitcnt lgkmcnt(0)
	s_cmp_lt_u32 s74, s8
	s_cselect_b32 s7, 12, 18
	s_cmp_lt_u32 s33, s9
	s_cselect_b32 s8, 14, 20
	s_add_u32 s8, s96, s8
	s_addc_u32 s9, s97, 0
	s_add_u32 s36, s96, s7
	global_load_ushort v5, v4, s[8:9]
	s_addc_u32 s37, s97, 0
	global_load_ushort v56, v4, s[36:37]
	v_add_co_u32_e32 v132, vcc, v88, v128
	v_addc_co_u32_e32 v133, vcc, 0, v89, vcc
	v_add_co_u32_e32 v148, vcc, 0x800, v132
	v_cmp_eq_u32_e64 s[36:37], 0, v109
	v_cmp_lt_u32_e64 s[38:39], 1, v109
	s_mov_b32 s7, s91
	v_addc_co_u32_e32 v151, vcc, 0, v133, vcc
	s_mov_b32 s94, s75
                                        ; implicit-def: $vgpr0_vgpr1
                                        ; implicit-def: $vgpr24_vgpr25
                                        ; implicit-def: $vgpr26_vgpr27
                                        ; implicit-def: $vgpr28_vgpr29
                                        ; implicit-def: $vgpr32_vgpr33
                                        ; implicit-def: $vgpr36_vgpr37
                                        ; implicit-def: $vgpr40_vgpr41
                                        ; implicit-def: $vgpr44_vgpr45
                                        ; implicit-def: $vgpr48_vgpr49
                                        ; implicit-def: $vgpr30_vgpr31
                                        ; implicit-def: $vgpr34_vgpr35
                                        ; implicit-def: $vgpr38_vgpr39
                                        ; implicit-def: $vgpr42_vgpr43
                                        ; implicit-def: $vgpr46_vgpr47
                                        ; implicit-def: $vgpr50_vgpr51
                                        ; implicit-def: $vgpr52_vgpr53
                                        ; implicit-def: $vgpr54_vgpr55
                                        ; implicit-def: $vgpr134
                                        ; implicit-def: $vgpr135
                                        ; implicit-def: $vgpr136
                                        ; implicit-def: $vgpr137
                                        ; implicit-def: $vgpr138
                                        ; implicit-def: $vgpr139
                                        ; implicit-def: $vgpr140
                                        ; implicit-def: $vgpr141
                                        ; implicit-def: $vgpr142
                                        ; implicit-def: $vgpr143
                                        ; implicit-def: $vgpr144
                                        ; implicit-def: $vgpr145
                                        ; implicit-def: $vgpr146
                                        ; implicit-def: $vgpr147
                                        ; implicit-def: $vgpr149
                                        ; implicit-def: $vgpr150
                                        ; implicit-def: $vgpr152
                                        ; implicit-def: $vgpr154
                                        ; implicit-def: $vgpr155
	s_waitcnt vmcnt(1)
	v_mad_u32_u24 v5, v64, v5, v65
	s_waitcnt vmcnt(0)
	v_mad_u64_u32 v[56:57], s[8:9], v5, v56, v[2:3]
	v_lshrrev_b32_e32 v153, 6, v56
	s_branch .LBB942_736
.LBB942_735:                            ;   in Loop: Header=BB942_736 Depth=2
	s_or_b64 exec, exec, s[40:41]
	s_addk_i32 s7, 0xef00
	s_cmp_lt_u32 s8, s98
	s_mov_b32 s94, s8
	s_cbranch_scc0 .LBB942_958
.LBB942_736:                            ;   Parent Loop BB942_20 Depth=1
                                        ; =>  This Inner Loop Header: Depth=2
	s_add_i32 s8, s94, 0x1100
	s_cmp_gt_u32 s8, s98
	s_cbranch_scc1 .LBB942_739
; %bb.737:                              ;   in Loop: Header=BB942_736 Depth=2
	s_lshl_b64 s[40:41], s[94:95], 1
	v_mov_b32_e32 v5, s41
	v_add_co_u32_e32 v56, vcc, s40, v132
	v_addc_co_u32_e32 v57, vcc, v133, v5, vcc
	global_load_ushort v5, v[56:57], off
	global_load_ushort v160, v[56:57], off offset:128
	global_load_ushort v165, v[56:57], off offset:256
	;; [unrolled: 1-line block ×15, first 2 shown]
	s_mov_b64 s[40:41], -1
	s_movk_i32 s9, 0x1100
	s_cbranch_execz .LBB942_740
; %bb.738:                              ;   in Loop: Header=BB942_736 Depth=2
                                        ; implicit-def: $sgpr42
	v_mov_b32_e32 v166, s42
	v_mov_b32_e32 v156, s7
	s_and_saveexec_b64 s[42:43], s[40:41]
	s_cbranch_execnz .LBB942_773
	s_branch .LBB942_774
.LBB942_739:                            ;   in Loop: Header=BB942_736 Depth=2
	s_mov_b64 s[40:41], 0
                                        ; implicit-def: $sgpr9
                                        ; implicit-def: $vgpr5
                                        ; implicit-def: $vgpr160
                                        ; implicit-def: $vgpr165
                                        ; implicit-def: $vgpr171
                                        ; implicit-def: $vgpr176
                                        ; implicit-def: $vgpr181
                                        ; implicit-def: $vgpr186
                                        ; implicit-def: $vgpr191
                                        ; implicit-def: $vgpr193
                                        ; implicit-def: $vgpr188
                                        ; implicit-def: $vgpr184
                                        ; implicit-def: $vgpr179
                                        ; implicit-def: $vgpr174
                                        ; implicit-def: $vgpr169
                                        ; implicit-def: $vgpr164
                                        ; implicit-def: $vgpr159
.LBB942_740:                            ;   in Loop: Header=BB942_736 Depth=2
	s_lshl_b64 s[40:41], s[94:95], 1
	s_waitcnt vmcnt(15)
	v_mov_b32_e32 v5, s41
	v_add_co_u32_e32 v56, vcc, s40, v132
	v_addc_co_u32_e32 v57, vcc, v133, v5, vcc
	v_cmp_gt_u32_e32 vcc, s7, v111
	s_waitcnt vmcnt(14)
	v_mov_b32_e32 v160, 0xffff8000
	v_mov_b32_e32 v5, 0xffff8000
	s_and_saveexec_b64 s[40:41], vcc
	s_cbranch_execz .LBB942_742
; %bb.741:                              ;   in Loop: Header=BB942_736 Depth=2
	global_load_ushort v5, v[56:57], off
.LBB942_742:                            ;   in Loop: Header=BB942_736 Depth=2
	s_or_b64 exec, exec, s[40:41]
	v_cmp_gt_u32_e32 vcc, s7, v112
	s_and_saveexec_b64 s[40:41], vcc
	s_cbranch_execz .LBB942_744
; %bb.743:                              ;   in Loop: Header=BB942_736 Depth=2
	global_load_ushort v160, v[56:57], off offset:128
.LBB942_744:                            ;   in Loop: Header=BB942_736 Depth=2
	s_or_b64 exec, exec, s[40:41]
	v_cmp_gt_u32_e32 vcc, s7, v113
	s_waitcnt vmcnt(12)
	v_mov_b32_e32 v171, 0xffff8000
	v_mov_b32_e32 v165, 0xffff8000
	s_and_saveexec_b64 s[40:41], vcc
	s_cbranch_execz .LBB942_746
; %bb.745:                              ;   in Loop: Header=BB942_736 Depth=2
	global_load_ushort v165, v[56:57], off offset:256
.LBB942_746:                            ;   in Loop: Header=BB942_736 Depth=2
	s_or_b64 exec, exec, s[40:41]
	v_cmp_gt_u32_e32 vcc, s7, v114
	s_and_saveexec_b64 s[40:41], vcc
	s_cbranch_execz .LBB942_748
; %bb.747:                              ;   in Loop: Header=BB942_736 Depth=2
	global_load_ushort v171, v[56:57], off offset:384
.LBB942_748:                            ;   in Loop: Header=BB942_736 Depth=2
	s_or_b64 exec, exec, s[40:41]
	v_cmp_gt_u32_e32 vcc, s7, v115
	s_waitcnt vmcnt(10)
	v_mov_b32_e32 v181, 0xffff8000
	v_mov_b32_e32 v176, 0xffff8000
	s_and_saveexec_b64 s[40:41], vcc
	s_cbranch_execz .LBB942_750
; %bb.749:                              ;   in Loop: Header=BB942_736 Depth=2
	global_load_ushort v176, v[56:57], off offset:512
.LBB942_750:                            ;   in Loop: Header=BB942_736 Depth=2
	;; [unrolled: 17-line block ×7, first 2 shown]
	s_or_b64 exec, exec, s[40:41]
	v_cmp_gt_u32_e32 vcc, s7, v126
	s_and_saveexec_b64 s[40:41], vcc
	s_cbranch_execz .LBB942_772
; %bb.771:                              ;   in Loop: Header=BB942_736 Depth=2
	global_load_ushort v159, v[56:57], off offset:1920
.LBB942_772:                            ;   in Loop: Header=BB942_736 Depth=2
	s_or_b64 exec, exec, s[40:41]
	s_sub_i32 s9, s98, s94
	v_cmp_gt_u32_e64 s[40:41], s7, v127
	s_movk_i32 s42, 0x8000
	v_mov_b32_e32 v166, s42
	v_mov_b32_e32 v156, s7
	s_and_saveexec_b64 s[42:43], s[40:41]
	s_cbranch_execz .LBB942_774
.LBB942_773:                            ;   in Loop: Header=BB942_736 Depth=2
	s_lshl_b64 s[40:41], s[94:95], 1
	v_mov_b32_e32 v57, s41
	v_add_co_u32_e32 v56, vcc, s40, v148
	v_addc_co_u32_e32 v57, vcc, v151, v57, vcc
	global_load_ushort v166, v[56:57], off
	v_mov_b32_e32 v156, s9
.LBB942_774:                            ;   in Loop: Header=BB942_736 Depth=2
	s_or_b64 exec, exec, s[42:43]
	s_waitcnt vmcnt(15)
	v_xor_b32_e32 v157, 0x7fff, v5
	v_lshrrev_b32_sdwa v5, s89, v157 dst_sel:DWORD dst_unused:UNUSED_PAD src0_sel:DWORD src1_sel:WORD_0
	v_and_b32_e32 v56, s6, v5
	v_mad_u32_u24 v5, v56, 5, v153
	v_lshl_add_u32 v158, v5, 2, v66
	v_and_b32_e32 v5, 1, v56
	v_add_co_u32_e32 v57, vcc, -1, v5
	v_addc_co_u32_e64 v161, s[40:41], 0, -1, vcc
	v_cmp_ne_u32_e32 vcc, 0, v5
	v_xor_b32_e32 v5, vcc_hi, v161
	v_and_b32_e32 v161, exec_hi, v5
	v_lshlrev_b32_e32 v5, 30, v56
	v_xor_b32_e32 v57, vcc_lo, v57
	v_cmp_gt_i64_e32 vcc, 0, v[4:5]
	v_not_b32_e32 v5, v5
	v_ashrrev_i32_e32 v5, 31, v5
	v_and_b32_e32 v57, exec_lo, v57
	v_xor_b32_e32 v162, vcc_hi, v5
	v_xor_b32_e32 v5, vcc_lo, v5
	v_and_b32_e32 v57, v57, v5
	v_lshlrev_b32_e32 v5, 29, v56
	v_cmp_gt_i64_e32 vcc, 0, v[4:5]
	v_not_b32_e32 v5, v5
	v_ashrrev_i32_e32 v5, 31, v5
	v_and_b32_e32 v161, v161, v162
	v_xor_b32_e32 v162, vcc_hi, v5
	v_xor_b32_e32 v5, vcc_lo, v5
	v_and_b32_e32 v57, v57, v5
	v_lshlrev_b32_e32 v5, 28, v56
	v_cmp_gt_i64_e32 vcc, 0, v[4:5]
	v_not_b32_e32 v5, v5
	v_ashrrev_i32_e32 v5, 31, v5
	v_and_b32_e32 v161, v161, v162
	;; [unrolled: 8-line block ×4, first 2 shown]
	v_xor_b32_e32 v162, vcc_hi, v5
	v_xor_b32_e32 v5, vcc_lo, v5
	v_and_b32_e32 v161, v161, v162
	v_and_b32_e32 v162, v57, v5
	v_lshlrev_b32_e32 v5, 25, v56
	v_cmp_gt_i64_e32 vcc, 0, v[4:5]
	v_not_b32_e32 v5, v5
	v_ashrrev_i32_e32 v5, 31, v5
	v_xor_b32_e32 v56, vcc_hi, v5
	v_xor_b32_e32 v5, vcc_lo, v5
	v_and_b32_e32 v57, v161, v56
	v_and_b32_e32 v56, v162, v5
	v_mbcnt_lo_u32_b32 v5, v56, 0
	v_mbcnt_hi_u32_b32 v161, v57, v5
	v_cmp_eq_u32_e32 vcc, 0, v161
	v_cmp_ne_u64_e64 s[40:41], 0, v[56:57]
	s_and_b64 s[42:43], s[40:41], vcc
	ds_write2_b32 v58, v4, v4 offset0:132 offset1:133
	ds_write_b32 v67, v4 offset:8
	s_waitcnt lgkmcnt(0)
	s_barrier
	s_waitcnt lgkmcnt(0)
	; wave barrier
	s_and_saveexec_b64 s[40:41], s[42:43]
	s_cbranch_execz .LBB942_776
; %bb.775:                              ;   in Loop: Header=BB942_736 Depth=2
	v_bcnt_u32_b32 v5, v56, 0
	v_bcnt_u32_b32 v5, v57, v5
	ds_write_b32 v158, v5
.LBB942_776:                            ;   in Loop: Header=BB942_736 Depth=2
	s_or_b64 exec, exec, s[40:41]
	s_waitcnt vmcnt(14)
	v_xor_b32_e32 v160, 0x7fff, v160
	v_lshrrev_b32_sdwa v5, s89, v160 dst_sel:DWORD dst_unused:UNUSED_PAD src0_sel:DWORD src1_sel:WORD_0
	v_and_b32_e32 v56, s6, v5
	v_mul_u32_u24_e32 v5, 5, v56
	v_add_lshl_u32 v5, v5, v153, 2
	; wave barrier
	v_add_u32_e32 v163, 0x210, v5
	ds_read_b32 v162, v5 offset:528
	v_and_b32_e32 v5, 1, v56
	v_add_co_u32_e32 v57, vcc, -1, v5
	v_addc_co_u32_e64 v167, s[40:41], 0, -1, vcc
	v_cmp_ne_u32_e32 vcc, 0, v5
	v_xor_b32_e32 v5, vcc_hi, v167
	v_and_b32_e32 v167, exec_hi, v5
	v_lshlrev_b32_e32 v5, 30, v56
	v_xor_b32_e32 v57, vcc_lo, v57
	v_cmp_gt_i64_e32 vcc, 0, v[4:5]
	v_not_b32_e32 v5, v5
	v_ashrrev_i32_e32 v5, 31, v5
	v_and_b32_e32 v57, exec_lo, v57
	v_xor_b32_e32 v168, vcc_hi, v5
	v_xor_b32_e32 v5, vcc_lo, v5
	v_and_b32_e32 v57, v57, v5
	v_lshlrev_b32_e32 v5, 29, v56
	v_cmp_gt_i64_e32 vcc, 0, v[4:5]
	v_not_b32_e32 v5, v5
	v_ashrrev_i32_e32 v5, 31, v5
	v_and_b32_e32 v167, v167, v168
	v_xor_b32_e32 v168, vcc_hi, v5
	v_xor_b32_e32 v5, vcc_lo, v5
	v_and_b32_e32 v57, v57, v5
	v_lshlrev_b32_e32 v5, 28, v56
	v_cmp_gt_i64_e32 vcc, 0, v[4:5]
	v_not_b32_e32 v5, v5
	v_ashrrev_i32_e32 v5, 31, v5
	v_and_b32_e32 v167, v167, v168
	;; [unrolled: 8-line block ×4, first 2 shown]
	v_xor_b32_e32 v168, vcc_hi, v5
	v_xor_b32_e32 v5, vcc_lo, v5
	v_and_b32_e32 v167, v167, v168
	v_and_b32_e32 v168, v57, v5
	v_lshlrev_b32_e32 v5, 25, v56
	v_cmp_gt_i64_e32 vcc, 0, v[4:5]
	v_not_b32_e32 v5, v5
	v_ashrrev_i32_e32 v5, 31, v5
	v_xor_b32_e32 v56, vcc_hi, v5
	v_xor_b32_e32 v5, vcc_lo, v5
	v_and_b32_e32 v57, v167, v56
	v_and_b32_e32 v56, v168, v5
	v_mbcnt_lo_u32_b32 v5, v56, 0
	v_mbcnt_hi_u32_b32 v167, v57, v5
	v_cmp_eq_u32_e32 vcc, 0, v167
	v_cmp_ne_u64_e64 s[40:41], 0, v[56:57]
	s_and_b64 s[42:43], s[40:41], vcc
	; wave barrier
	s_and_saveexec_b64 s[40:41], s[42:43]
	s_cbranch_execz .LBB942_778
; %bb.777:                              ;   in Loop: Header=BB942_736 Depth=2
	v_bcnt_u32_b32 v5, v56, 0
	v_bcnt_u32_b32 v5, v57, v5
	s_waitcnt lgkmcnt(0)
	v_add_u32_e32 v5, v162, v5
	ds_write_b32 v163, v5
.LBB942_778:                            ;   in Loop: Header=BB942_736 Depth=2
	s_or_b64 exec, exec, s[40:41]
	s_waitcnt vmcnt(13)
	v_xor_b32_e32 v165, 0x7fff, v165
	v_lshrrev_b32_sdwa v5, s89, v165 dst_sel:DWORD dst_unused:UNUSED_PAD src0_sel:DWORD src1_sel:WORD_0
	v_and_b32_e32 v56, s6, v5
	v_mul_u32_u24_e32 v5, 5, v56
	v_add_lshl_u32 v5, v5, v153, 2
	; wave barrier
	v_add_u32_e32 v170, 0x210, v5
	ds_read_b32 v168, v5 offset:528
	v_and_b32_e32 v5, 1, v56
	v_add_co_u32_e32 v57, vcc, -1, v5
	v_addc_co_u32_e64 v172, s[40:41], 0, -1, vcc
	v_cmp_ne_u32_e32 vcc, 0, v5
	v_xor_b32_e32 v5, vcc_hi, v172
	v_and_b32_e32 v172, exec_hi, v5
	v_lshlrev_b32_e32 v5, 30, v56
	v_xor_b32_e32 v57, vcc_lo, v57
	v_cmp_gt_i64_e32 vcc, 0, v[4:5]
	v_not_b32_e32 v5, v5
	v_ashrrev_i32_e32 v5, 31, v5
	v_and_b32_e32 v57, exec_lo, v57
	v_xor_b32_e32 v173, vcc_hi, v5
	v_xor_b32_e32 v5, vcc_lo, v5
	v_and_b32_e32 v57, v57, v5
	v_lshlrev_b32_e32 v5, 29, v56
	v_cmp_gt_i64_e32 vcc, 0, v[4:5]
	v_not_b32_e32 v5, v5
	v_ashrrev_i32_e32 v5, 31, v5
	v_and_b32_e32 v172, v172, v173
	v_xor_b32_e32 v173, vcc_hi, v5
	v_xor_b32_e32 v5, vcc_lo, v5
	v_and_b32_e32 v57, v57, v5
	v_lshlrev_b32_e32 v5, 28, v56
	v_cmp_gt_i64_e32 vcc, 0, v[4:5]
	v_not_b32_e32 v5, v5
	v_ashrrev_i32_e32 v5, 31, v5
	v_and_b32_e32 v172, v172, v173
	;; [unrolled: 8-line block ×4, first 2 shown]
	v_xor_b32_e32 v173, vcc_hi, v5
	v_xor_b32_e32 v5, vcc_lo, v5
	v_and_b32_e32 v172, v172, v173
	v_and_b32_e32 v173, v57, v5
	v_lshlrev_b32_e32 v5, 25, v56
	v_cmp_gt_i64_e32 vcc, 0, v[4:5]
	v_not_b32_e32 v5, v5
	v_ashrrev_i32_e32 v5, 31, v5
	v_xor_b32_e32 v56, vcc_hi, v5
	v_xor_b32_e32 v5, vcc_lo, v5
	v_and_b32_e32 v57, v172, v56
	v_and_b32_e32 v56, v173, v5
	v_mbcnt_lo_u32_b32 v5, v56, 0
	v_mbcnt_hi_u32_b32 v172, v57, v5
	v_cmp_eq_u32_e32 vcc, 0, v172
	v_cmp_ne_u64_e64 s[40:41], 0, v[56:57]
	s_and_b64 s[42:43], s[40:41], vcc
	; wave barrier
	s_and_saveexec_b64 s[40:41], s[42:43]
	s_cbranch_execz .LBB942_780
; %bb.779:                              ;   in Loop: Header=BB942_736 Depth=2
	v_bcnt_u32_b32 v5, v56, 0
	v_bcnt_u32_b32 v5, v57, v5
	s_waitcnt lgkmcnt(0)
	v_add_u32_e32 v5, v168, v5
	ds_write_b32 v170, v5
.LBB942_780:                            ;   in Loop: Header=BB942_736 Depth=2
	s_or_b64 exec, exec, s[40:41]
	s_waitcnt vmcnt(12)
	v_xor_b32_e32 v171, 0x7fff, v171
	v_lshrrev_b32_sdwa v5, s89, v171 dst_sel:DWORD dst_unused:UNUSED_PAD src0_sel:DWORD src1_sel:WORD_0
	v_and_b32_e32 v56, s6, v5
	v_mul_u32_u24_e32 v5, 5, v56
	v_add_lshl_u32 v5, v5, v153, 2
	; wave barrier
	v_add_u32_e32 v175, 0x210, v5
	ds_read_b32 v173, v5 offset:528
	v_and_b32_e32 v5, 1, v56
	v_add_co_u32_e32 v57, vcc, -1, v5
	v_addc_co_u32_e64 v177, s[40:41], 0, -1, vcc
	v_cmp_ne_u32_e32 vcc, 0, v5
	v_xor_b32_e32 v5, vcc_hi, v177
	v_and_b32_e32 v177, exec_hi, v5
	v_lshlrev_b32_e32 v5, 30, v56
	v_xor_b32_e32 v57, vcc_lo, v57
	v_cmp_gt_i64_e32 vcc, 0, v[4:5]
	v_not_b32_e32 v5, v5
	v_ashrrev_i32_e32 v5, 31, v5
	v_and_b32_e32 v57, exec_lo, v57
	v_xor_b32_e32 v178, vcc_hi, v5
	v_xor_b32_e32 v5, vcc_lo, v5
	v_and_b32_e32 v57, v57, v5
	v_lshlrev_b32_e32 v5, 29, v56
	v_cmp_gt_i64_e32 vcc, 0, v[4:5]
	v_not_b32_e32 v5, v5
	v_ashrrev_i32_e32 v5, 31, v5
	v_and_b32_e32 v177, v177, v178
	v_xor_b32_e32 v178, vcc_hi, v5
	v_xor_b32_e32 v5, vcc_lo, v5
	v_and_b32_e32 v57, v57, v5
	v_lshlrev_b32_e32 v5, 28, v56
	v_cmp_gt_i64_e32 vcc, 0, v[4:5]
	v_not_b32_e32 v5, v5
	v_ashrrev_i32_e32 v5, 31, v5
	v_and_b32_e32 v177, v177, v178
	v_xor_b32_e32 v178, vcc_hi, v5
	v_xor_b32_e32 v5, vcc_lo, v5
	v_and_b32_e32 v57, v57, v5
	v_lshlrev_b32_e32 v5, 27, v56
	v_cmp_gt_i64_e32 vcc, 0, v[4:5]
	v_not_b32_e32 v5, v5
	v_ashrrev_i32_e32 v5, 31, v5
	v_and_b32_e32 v177, v177, v178
	v_xor_b32_e32 v178, vcc_hi, v5
	v_xor_b32_e32 v5, vcc_lo, v5
	v_and_b32_e32 v57, v57, v5
	v_lshlrev_b32_e32 v5, 26, v56
	v_cmp_gt_i64_e32 vcc, 0, v[4:5]
	v_not_b32_e32 v5, v5
	v_ashrrev_i32_e32 v5, 31, v5
	v_and_b32_e32 v177, v177, v178
	v_xor_b32_e32 v178, vcc_hi, v5
	v_xor_b32_e32 v5, vcc_lo, v5
	v_and_b32_e32 v177, v177, v178
	v_and_b32_e32 v178, v57, v5
	v_lshlrev_b32_e32 v5, 25, v56
	v_cmp_gt_i64_e32 vcc, 0, v[4:5]
	v_not_b32_e32 v5, v5
	v_ashrrev_i32_e32 v5, 31, v5
	v_xor_b32_e32 v56, vcc_hi, v5
	v_xor_b32_e32 v5, vcc_lo, v5
	v_and_b32_e32 v57, v177, v56
	v_and_b32_e32 v56, v178, v5
	v_mbcnt_lo_u32_b32 v5, v56, 0
	v_mbcnt_hi_u32_b32 v177, v57, v5
	v_cmp_eq_u32_e32 vcc, 0, v177
	v_cmp_ne_u64_e64 s[40:41], 0, v[56:57]
	s_and_b64 s[42:43], s[40:41], vcc
	; wave barrier
	s_and_saveexec_b64 s[40:41], s[42:43]
	s_cbranch_execz .LBB942_782
; %bb.781:                              ;   in Loop: Header=BB942_736 Depth=2
	v_bcnt_u32_b32 v5, v56, 0
	v_bcnt_u32_b32 v5, v57, v5
	s_waitcnt lgkmcnt(0)
	v_add_u32_e32 v5, v173, v5
	ds_write_b32 v175, v5
.LBB942_782:                            ;   in Loop: Header=BB942_736 Depth=2
	s_or_b64 exec, exec, s[40:41]
	s_waitcnt vmcnt(11)
	v_xor_b32_e32 v176, 0x7fff, v176
	v_lshrrev_b32_sdwa v5, s89, v176 dst_sel:DWORD dst_unused:UNUSED_PAD src0_sel:DWORD src1_sel:WORD_0
	v_and_b32_e32 v56, s6, v5
	v_mul_u32_u24_e32 v5, 5, v56
	v_add_lshl_u32 v5, v5, v153, 2
	; wave barrier
	v_add_u32_e32 v180, 0x210, v5
	ds_read_b32 v178, v5 offset:528
	v_and_b32_e32 v5, 1, v56
	v_add_co_u32_e32 v57, vcc, -1, v5
	v_addc_co_u32_e64 v182, s[40:41], 0, -1, vcc
	v_cmp_ne_u32_e32 vcc, 0, v5
	v_xor_b32_e32 v5, vcc_hi, v182
	v_and_b32_e32 v182, exec_hi, v5
	v_lshlrev_b32_e32 v5, 30, v56
	v_xor_b32_e32 v57, vcc_lo, v57
	v_cmp_gt_i64_e32 vcc, 0, v[4:5]
	v_not_b32_e32 v5, v5
	v_ashrrev_i32_e32 v5, 31, v5
	v_and_b32_e32 v57, exec_lo, v57
	v_xor_b32_e32 v183, vcc_hi, v5
	v_xor_b32_e32 v5, vcc_lo, v5
	v_and_b32_e32 v57, v57, v5
	v_lshlrev_b32_e32 v5, 29, v56
	v_cmp_gt_i64_e32 vcc, 0, v[4:5]
	v_not_b32_e32 v5, v5
	v_ashrrev_i32_e32 v5, 31, v5
	v_and_b32_e32 v182, v182, v183
	v_xor_b32_e32 v183, vcc_hi, v5
	v_xor_b32_e32 v5, vcc_lo, v5
	v_and_b32_e32 v57, v57, v5
	v_lshlrev_b32_e32 v5, 28, v56
	v_cmp_gt_i64_e32 vcc, 0, v[4:5]
	v_not_b32_e32 v5, v5
	v_ashrrev_i32_e32 v5, 31, v5
	v_and_b32_e32 v182, v182, v183
	;; [unrolled: 8-line block ×4, first 2 shown]
	v_xor_b32_e32 v183, vcc_hi, v5
	v_xor_b32_e32 v5, vcc_lo, v5
	v_and_b32_e32 v182, v182, v183
	v_and_b32_e32 v183, v57, v5
	v_lshlrev_b32_e32 v5, 25, v56
	v_cmp_gt_i64_e32 vcc, 0, v[4:5]
	v_not_b32_e32 v5, v5
	v_ashrrev_i32_e32 v5, 31, v5
	v_xor_b32_e32 v56, vcc_hi, v5
	v_xor_b32_e32 v5, vcc_lo, v5
	v_and_b32_e32 v57, v182, v56
	v_and_b32_e32 v56, v183, v5
	v_mbcnt_lo_u32_b32 v5, v56, 0
	v_mbcnt_hi_u32_b32 v182, v57, v5
	v_cmp_eq_u32_e32 vcc, 0, v182
	v_cmp_ne_u64_e64 s[40:41], 0, v[56:57]
	s_and_b64 s[42:43], s[40:41], vcc
	; wave barrier
	s_and_saveexec_b64 s[40:41], s[42:43]
	s_cbranch_execz .LBB942_784
; %bb.783:                              ;   in Loop: Header=BB942_736 Depth=2
	v_bcnt_u32_b32 v5, v56, 0
	v_bcnt_u32_b32 v5, v57, v5
	s_waitcnt lgkmcnt(0)
	v_add_u32_e32 v5, v178, v5
	ds_write_b32 v180, v5
.LBB942_784:                            ;   in Loop: Header=BB942_736 Depth=2
	s_or_b64 exec, exec, s[40:41]
	s_waitcnt vmcnt(10)
	v_xor_b32_e32 v181, 0x7fff, v181
	v_lshrrev_b32_sdwa v5, s89, v181 dst_sel:DWORD dst_unused:UNUSED_PAD src0_sel:DWORD src1_sel:WORD_0
	v_and_b32_e32 v56, s6, v5
	v_mul_u32_u24_e32 v5, 5, v56
	v_add_lshl_u32 v5, v5, v153, 2
	; wave barrier
	v_add_u32_e32 v185, 0x210, v5
	ds_read_b32 v183, v5 offset:528
	v_and_b32_e32 v5, 1, v56
	v_add_co_u32_e32 v57, vcc, -1, v5
	v_addc_co_u32_e64 v187, s[40:41], 0, -1, vcc
	v_cmp_ne_u32_e32 vcc, 0, v5
	v_xor_b32_e32 v5, vcc_hi, v187
	v_and_b32_e32 v187, exec_hi, v5
	v_lshlrev_b32_e32 v5, 30, v56
	v_xor_b32_e32 v57, vcc_lo, v57
	v_cmp_gt_i64_e32 vcc, 0, v[4:5]
	v_not_b32_e32 v5, v5
	v_ashrrev_i32_e32 v5, 31, v5
	v_and_b32_e32 v57, exec_lo, v57
	v_xor_b32_e32 v189, vcc_hi, v5
	v_xor_b32_e32 v5, vcc_lo, v5
	v_and_b32_e32 v57, v57, v5
	v_lshlrev_b32_e32 v5, 29, v56
	v_cmp_gt_i64_e32 vcc, 0, v[4:5]
	v_not_b32_e32 v5, v5
	v_ashrrev_i32_e32 v5, 31, v5
	v_and_b32_e32 v187, v187, v189
	v_xor_b32_e32 v189, vcc_hi, v5
	v_xor_b32_e32 v5, vcc_lo, v5
	v_and_b32_e32 v57, v57, v5
	v_lshlrev_b32_e32 v5, 28, v56
	v_cmp_gt_i64_e32 vcc, 0, v[4:5]
	v_not_b32_e32 v5, v5
	v_ashrrev_i32_e32 v5, 31, v5
	v_and_b32_e32 v187, v187, v189
	;; [unrolled: 8-line block ×4, first 2 shown]
	v_xor_b32_e32 v189, vcc_hi, v5
	v_xor_b32_e32 v5, vcc_lo, v5
	v_and_b32_e32 v187, v187, v189
	v_and_b32_e32 v189, v57, v5
	v_lshlrev_b32_e32 v5, 25, v56
	v_cmp_gt_i64_e32 vcc, 0, v[4:5]
	v_not_b32_e32 v5, v5
	v_ashrrev_i32_e32 v5, 31, v5
	v_xor_b32_e32 v56, vcc_hi, v5
	v_xor_b32_e32 v5, vcc_lo, v5
	v_and_b32_e32 v57, v187, v56
	v_and_b32_e32 v56, v189, v5
	v_mbcnt_lo_u32_b32 v5, v56, 0
	v_mbcnt_hi_u32_b32 v187, v57, v5
	v_cmp_eq_u32_e32 vcc, 0, v187
	v_cmp_ne_u64_e64 s[40:41], 0, v[56:57]
	s_and_b64 s[42:43], s[40:41], vcc
	; wave barrier
	s_and_saveexec_b64 s[40:41], s[42:43]
	s_cbranch_execz .LBB942_786
; %bb.785:                              ;   in Loop: Header=BB942_736 Depth=2
	v_bcnt_u32_b32 v5, v56, 0
	v_bcnt_u32_b32 v5, v57, v5
	s_waitcnt lgkmcnt(0)
	v_add_u32_e32 v5, v183, v5
	ds_write_b32 v185, v5
.LBB942_786:                            ;   in Loop: Header=BB942_736 Depth=2
	s_or_b64 exec, exec, s[40:41]
	s_waitcnt vmcnt(9)
	v_xor_b32_e32 v186, 0x7fff, v186
	v_lshrrev_b32_sdwa v5, s89, v186 dst_sel:DWORD dst_unused:UNUSED_PAD src0_sel:DWORD src1_sel:WORD_0
	v_and_b32_e32 v56, s6, v5
	v_mul_u32_u24_e32 v5, 5, v56
	v_add_lshl_u32 v5, v5, v153, 2
	; wave barrier
	v_add_u32_e32 v190, 0x210, v5
	ds_read_b32 v189, v5 offset:528
	v_and_b32_e32 v5, 1, v56
	v_add_co_u32_e32 v57, vcc, -1, v5
	v_addc_co_u32_e64 v192, s[40:41], 0, -1, vcc
	v_cmp_ne_u32_e32 vcc, 0, v5
	v_xor_b32_e32 v5, vcc_hi, v192
	v_and_b32_e32 v192, exec_hi, v5
	v_lshlrev_b32_e32 v5, 30, v56
	v_xor_b32_e32 v57, vcc_lo, v57
	v_cmp_gt_i64_e32 vcc, 0, v[4:5]
	v_not_b32_e32 v5, v5
	v_ashrrev_i32_e32 v5, 31, v5
	v_and_b32_e32 v57, exec_lo, v57
	v_xor_b32_e32 v194, vcc_hi, v5
	v_xor_b32_e32 v5, vcc_lo, v5
	v_and_b32_e32 v57, v57, v5
	v_lshlrev_b32_e32 v5, 29, v56
	v_cmp_gt_i64_e32 vcc, 0, v[4:5]
	v_not_b32_e32 v5, v5
	v_ashrrev_i32_e32 v5, 31, v5
	v_and_b32_e32 v192, v192, v194
	v_xor_b32_e32 v194, vcc_hi, v5
	v_xor_b32_e32 v5, vcc_lo, v5
	v_and_b32_e32 v57, v57, v5
	v_lshlrev_b32_e32 v5, 28, v56
	v_cmp_gt_i64_e32 vcc, 0, v[4:5]
	v_not_b32_e32 v5, v5
	v_ashrrev_i32_e32 v5, 31, v5
	v_and_b32_e32 v192, v192, v194
	;; [unrolled: 8-line block ×4, first 2 shown]
	v_xor_b32_e32 v194, vcc_hi, v5
	v_xor_b32_e32 v5, vcc_lo, v5
	v_and_b32_e32 v192, v192, v194
	v_and_b32_e32 v194, v57, v5
	v_lshlrev_b32_e32 v5, 25, v56
	v_cmp_gt_i64_e32 vcc, 0, v[4:5]
	v_not_b32_e32 v5, v5
	v_ashrrev_i32_e32 v5, 31, v5
	v_xor_b32_e32 v56, vcc_hi, v5
	v_xor_b32_e32 v5, vcc_lo, v5
	v_and_b32_e32 v57, v192, v56
	v_and_b32_e32 v56, v194, v5
	v_mbcnt_lo_u32_b32 v5, v56, 0
	v_mbcnt_hi_u32_b32 v192, v57, v5
	v_cmp_eq_u32_e32 vcc, 0, v192
	v_cmp_ne_u64_e64 s[40:41], 0, v[56:57]
	s_and_b64 s[42:43], s[40:41], vcc
	; wave barrier
	s_and_saveexec_b64 s[40:41], s[42:43]
	s_cbranch_execz .LBB942_788
; %bb.787:                              ;   in Loop: Header=BB942_736 Depth=2
	v_bcnt_u32_b32 v5, v56, 0
	v_bcnt_u32_b32 v5, v57, v5
	s_waitcnt lgkmcnt(0)
	v_add_u32_e32 v5, v189, v5
	ds_write_b32 v190, v5
.LBB942_788:                            ;   in Loop: Header=BB942_736 Depth=2
	s_or_b64 exec, exec, s[40:41]
	s_waitcnt vmcnt(8)
	v_xor_b32_e32 v191, 0x7fff, v191
	v_lshrrev_b32_sdwa v5, s89, v191 dst_sel:DWORD dst_unused:UNUSED_PAD src0_sel:DWORD src1_sel:WORD_0
	v_and_b32_e32 v56, s6, v5
	v_mul_u32_u24_e32 v5, 5, v56
	v_add_lshl_u32 v5, v5, v153, 2
	; wave barrier
	v_add_u32_e32 v195, 0x210, v5
	ds_read_b32 v194, v5 offset:528
	v_and_b32_e32 v5, 1, v56
	v_add_co_u32_e32 v57, vcc, -1, v5
	v_addc_co_u32_e64 v196, s[40:41], 0, -1, vcc
	v_cmp_ne_u32_e32 vcc, 0, v5
	v_xor_b32_e32 v5, vcc_hi, v196
	v_and_b32_e32 v196, exec_hi, v5
	v_lshlrev_b32_e32 v5, 30, v56
	v_xor_b32_e32 v57, vcc_lo, v57
	v_cmp_gt_i64_e32 vcc, 0, v[4:5]
	v_not_b32_e32 v5, v5
	v_ashrrev_i32_e32 v5, 31, v5
	v_and_b32_e32 v57, exec_lo, v57
	v_xor_b32_e32 v197, vcc_hi, v5
	v_xor_b32_e32 v5, vcc_lo, v5
	v_and_b32_e32 v57, v57, v5
	v_lshlrev_b32_e32 v5, 29, v56
	v_cmp_gt_i64_e32 vcc, 0, v[4:5]
	v_not_b32_e32 v5, v5
	v_ashrrev_i32_e32 v5, 31, v5
	v_and_b32_e32 v196, v196, v197
	v_xor_b32_e32 v197, vcc_hi, v5
	v_xor_b32_e32 v5, vcc_lo, v5
	v_and_b32_e32 v57, v57, v5
	v_lshlrev_b32_e32 v5, 28, v56
	v_cmp_gt_i64_e32 vcc, 0, v[4:5]
	v_not_b32_e32 v5, v5
	v_ashrrev_i32_e32 v5, 31, v5
	v_and_b32_e32 v196, v196, v197
	;; [unrolled: 8-line block ×4, first 2 shown]
	v_xor_b32_e32 v197, vcc_hi, v5
	v_xor_b32_e32 v5, vcc_lo, v5
	v_and_b32_e32 v196, v196, v197
	v_and_b32_e32 v197, v57, v5
	v_lshlrev_b32_e32 v5, 25, v56
	v_cmp_gt_i64_e32 vcc, 0, v[4:5]
	v_not_b32_e32 v5, v5
	v_ashrrev_i32_e32 v5, 31, v5
	v_xor_b32_e32 v56, vcc_hi, v5
	v_xor_b32_e32 v5, vcc_lo, v5
	v_and_b32_e32 v57, v196, v56
	v_and_b32_e32 v56, v197, v5
	v_mbcnt_lo_u32_b32 v5, v56, 0
	v_mbcnt_hi_u32_b32 v196, v57, v5
	v_cmp_eq_u32_e32 vcc, 0, v196
	v_cmp_ne_u64_e64 s[40:41], 0, v[56:57]
	s_and_b64 s[42:43], s[40:41], vcc
	; wave barrier
	s_and_saveexec_b64 s[40:41], s[42:43]
	s_cbranch_execz .LBB942_790
; %bb.789:                              ;   in Loop: Header=BB942_736 Depth=2
	v_bcnt_u32_b32 v5, v56, 0
	v_bcnt_u32_b32 v5, v57, v5
	s_waitcnt lgkmcnt(0)
	v_add_u32_e32 v5, v194, v5
	ds_write_b32 v195, v5
.LBB942_790:                            ;   in Loop: Header=BB942_736 Depth=2
	s_or_b64 exec, exec, s[40:41]
	s_waitcnt vmcnt(7)
	v_xor_b32_e32 v193, 0x7fff, v193
	v_lshrrev_b32_sdwa v5, s89, v193 dst_sel:DWORD dst_unused:UNUSED_PAD src0_sel:DWORD src1_sel:WORD_0
	v_and_b32_e32 v56, s6, v5
	v_mul_u32_u24_e32 v5, 5, v56
	v_add_lshl_u32 v5, v5, v153, 2
	; wave barrier
	v_add_u32_e32 v198, 0x210, v5
	ds_read_b32 v197, v5 offset:528
	v_and_b32_e32 v5, 1, v56
	v_add_co_u32_e32 v57, vcc, -1, v5
	v_addc_co_u32_e64 v199, s[40:41], 0, -1, vcc
	v_cmp_ne_u32_e32 vcc, 0, v5
	v_xor_b32_e32 v5, vcc_hi, v199
	v_and_b32_e32 v199, exec_hi, v5
	v_lshlrev_b32_e32 v5, 30, v56
	v_xor_b32_e32 v57, vcc_lo, v57
	v_cmp_gt_i64_e32 vcc, 0, v[4:5]
	v_not_b32_e32 v5, v5
	v_ashrrev_i32_e32 v5, 31, v5
	v_and_b32_e32 v57, exec_lo, v57
	v_xor_b32_e32 v200, vcc_hi, v5
	v_xor_b32_e32 v5, vcc_lo, v5
	v_and_b32_e32 v57, v57, v5
	v_lshlrev_b32_e32 v5, 29, v56
	v_cmp_gt_i64_e32 vcc, 0, v[4:5]
	v_not_b32_e32 v5, v5
	v_ashrrev_i32_e32 v5, 31, v5
	v_and_b32_e32 v199, v199, v200
	v_xor_b32_e32 v200, vcc_hi, v5
	v_xor_b32_e32 v5, vcc_lo, v5
	v_and_b32_e32 v57, v57, v5
	v_lshlrev_b32_e32 v5, 28, v56
	v_cmp_gt_i64_e32 vcc, 0, v[4:5]
	v_not_b32_e32 v5, v5
	v_ashrrev_i32_e32 v5, 31, v5
	v_and_b32_e32 v199, v199, v200
	;; [unrolled: 8-line block ×4, first 2 shown]
	v_xor_b32_e32 v200, vcc_hi, v5
	v_xor_b32_e32 v5, vcc_lo, v5
	v_and_b32_e32 v199, v199, v200
	v_and_b32_e32 v200, v57, v5
	v_lshlrev_b32_e32 v5, 25, v56
	v_cmp_gt_i64_e32 vcc, 0, v[4:5]
	v_not_b32_e32 v5, v5
	v_ashrrev_i32_e32 v5, 31, v5
	v_xor_b32_e32 v56, vcc_hi, v5
	v_xor_b32_e32 v5, vcc_lo, v5
	v_and_b32_e32 v57, v199, v56
	v_and_b32_e32 v56, v200, v5
	v_mbcnt_lo_u32_b32 v5, v56, 0
	v_mbcnt_hi_u32_b32 v199, v57, v5
	v_cmp_eq_u32_e32 vcc, 0, v199
	v_cmp_ne_u64_e64 s[40:41], 0, v[56:57]
	s_and_b64 s[42:43], s[40:41], vcc
	; wave barrier
	s_and_saveexec_b64 s[40:41], s[42:43]
	s_cbranch_execz .LBB942_792
; %bb.791:                              ;   in Loop: Header=BB942_736 Depth=2
	v_bcnt_u32_b32 v5, v56, 0
	v_bcnt_u32_b32 v5, v57, v5
	s_waitcnt lgkmcnt(0)
	v_add_u32_e32 v5, v197, v5
	ds_write_b32 v198, v5
.LBB942_792:                            ;   in Loop: Header=BB942_736 Depth=2
	s_or_b64 exec, exec, s[40:41]
	s_waitcnt vmcnt(6)
	v_xor_b32_e32 v188, 0x7fff, v188
	v_lshrrev_b32_sdwa v5, s89, v188 dst_sel:DWORD dst_unused:UNUSED_PAD src0_sel:DWORD src1_sel:WORD_0
	v_and_b32_e32 v56, s6, v5
	v_mul_u32_u24_e32 v5, 5, v56
	v_add_lshl_u32 v5, v5, v153, 2
	; wave barrier
	v_add_u32_e32 v201, 0x210, v5
	ds_read_b32 v200, v5 offset:528
	v_and_b32_e32 v5, 1, v56
	v_add_co_u32_e32 v57, vcc, -1, v5
	v_addc_co_u32_e64 v202, s[40:41], 0, -1, vcc
	v_cmp_ne_u32_e32 vcc, 0, v5
	v_xor_b32_e32 v5, vcc_hi, v202
	v_and_b32_e32 v202, exec_hi, v5
	v_lshlrev_b32_e32 v5, 30, v56
	v_xor_b32_e32 v57, vcc_lo, v57
	v_cmp_gt_i64_e32 vcc, 0, v[4:5]
	v_not_b32_e32 v5, v5
	v_ashrrev_i32_e32 v5, 31, v5
	v_and_b32_e32 v57, exec_lo, v57
	v_xor_b32_e32 v203, vcc_hi, v5
	v_xor_b32_e32 v5, vcc_lo, v5
	v_and_b32_e32 v57, v57, v5
	v_lshlrev_b32_e32 v5, 29, v56
	v_cmp_gt_i64_e32 vcc, 0, v[4:5]
	v_not_b32_e32 v5, v5
	v_ashrrev_i32_e32 v5, 31, v5
	v_and_b32_e32 v202, v202, v203
	v_xor_b32_e32 v203, vcc_hi, v5
	v_xor_b32_e32 v5, vcc_lo, v5
	v_and_b32_e32 v57, v57, v5
	v_lshlrev_b32_e32 v5, 28, v56
	v_cmp_gt_i64_e32 vcc, 0, v[4:5]
	v_not_b32_e32 v5, v5
	v_ashrrev_i32_e32 v5, 31, v5
	v_and_b32_e32 v202, v202, v203
	;; [unrolled: 8-line block ×4, first 2 shown]
	v_xor_b32_e32 v203, vcc_hi, v5
	v_xor_b32_e32 v5, vcc_lo, v5
	v_and_b32_e32 v202, v202, v203
	v_and_b32_e32 v203, v57, v5
	v_lshlrev_b32_e32 v5, 25, v56
	v_cmp_gt_i64_e32 vcc, 0, v[4:5]
	v_not_b32_e32 v5, v5
	v_ashrrev_i32_e32 v5, 31, v5
	v_xor_b32_e32 v56, vcc_hi, v5
	v_xor_b32_e32 v5, vcc_lo, v5
	v_and_b32_e32 v57, v202, v56
	v_and_b32_e32 v56, v203, v5
	v_mbcnt_lo_u32_b32 v5, v56, 0
	v_mbcnt_hi_u32_b32 v202, v57, v5
	v_cmp_eq_u32_e32 vcc, 0, v202
	v_cmp_ne_u64_e64 s[40:41], 0, v[56:57]
	s_and_b64 s[42:43], s[40:41], vcc
	; wave barrier
	s_and_saveexec_b64 s[40:41], s[42:43]
	s_cbranch_execz .LBB942_794
; %bb.793:                              ;   in Loop: Header=BB942_736 Depth=2
	v_bcnt_u32_b32 v5, v56, 0
	v_bcnt_u32_b32 v5, v57, v5
	s_waitcnt lgkmcnt(0)
	v_add_u32_e32 v5, v200, v5
	ds_write_b32 v201, v5
.LBB942_794:                            ;   in Loop: Header=BB942_736 Depth=2
	s_or_b64 exec, exec, s[40:41]
	s_waitcnt vmcnt(5)
	v_xor_b32_e32 v184, 0x7fff, v184
	v_lshrrev_b32_sdwa v5, s89, v184 dst_sel:DWORD dst_unused:UNUSED_PAD src0_sel:DWORD src1_sel:WORD_0
	v_and_b32_e32 v56, s6, v5
	v_mul_u32_u24_e32 v5, 5, v56
	v_add_lshl_u32 v5, v5, v153, 2
	; wave barrier
	v_add_u32_e32 v205, 0x210, v5
	ds_read_b32 v203, v5 offset:528
	v_and_b32_e32 v5, 1, v56
	v_add_co_u32_e32 v57, vcc, -1, v5
	v_addc_co_u32_e64 v204, s[40:41], 0, -1, vcc
	v_cmp_ne_u32_e32 vcc, 0, v5
	v_xor_b32_e32 v5, vcc_hi, v204
	v_and_b32_e32 v204, exec_hi, v5
	v_lshlrev_b32_e32 v5, 30, v56
	v_xor_b32_e32 v57, vcc_lo, v57
	v_cmp_gt_i64_e32 vcc, 0, v[4:5]
	v_not_b32_e32 v5, v5
	v_ashrrev_i32_e32 v5, 31, v5
	v_and_b32_e32 v57, exec_lo, v57
	v_xor_b32_e32 v206, vcc_hi, v5
	v_xor_b32_e32 v5, vcc_lo, v5
	v_and_b32_e32 v57, v57, v5
	v_lshlrev_b32_e32 v5, 29, v56
	v_cmp_gt_i64_e32 vcc, 0, v[4:5]
	v_not_b32_e32 v5, v5
	v_ashrrev_i32_e32 v5, 31, v5
	v_and_b32_e32 v204, v204, v206
	v_xor_b32_e32 v206, vcc_hi, v5
	v_xor_b32_e32 v5, vcc_lo, v5
	v_and_b32_e32 v57, v57, v5
	v_lshlrev_b32_e32 v5, 28, v56
	v_cmp_gt_i64_e32 vcc, 0, v[4:5]
	v_not_b32_e32 v5, v5
	v_ashrrev_i32_e32 v5, 31, v5
	v_and_b32_e32 v204, v204, v206
	;; [unrolled: 8-line block ×4, first 2 shown]
	v_xor_b32_e32 v206, vcc_hi, v5
	v_xor_b32_e32 v5, vcc_lo, v5
	v_and_b32_e32 v204, v204, v206
	v_and_b32_e32 v206, v57, v5
	v_lshlrev_b32_e32 v5, 25, v56
	v_cmp_gt_i64_e32 vcc, 0, v[4:5]
	v_not_b32_e32 v5, v5
	v_ashrrev_i32_e32 v5, 31, v5
	v_xor_b32_e32 v56, vcc_hi, v5
	v_xor_b32_e32 v5, vcc_lo, v5
	v_and_b32_e32 v57, v204, v56
	v_and_b32_e32 v56, v206, v5
	v_mbcnt_lo_u32_b32 v5, v56, 0
	v_mbcnt_hi_u32_b32 v206, v57, v5
	v_cmp_eq_u32_e32 vcc, 0, v206
	v_cmp_ne_u64_e64 s[40:41], 0, v[56:57]
	s_and_b64 s[42:43], s[40:41], vcc
	; wave barrier
	s_and_saveexec_b64 s[40:41], s[42:43]
	s_cbranch_execz .LBB942_796
; %bb.795:                              ;   in Loop: Header=BB942_736 Depth=2
	v_bcnt_u32_b32 v5, v56, 0
	v_bcnt_u32_b32 v5, v57, v5
	s_waitcnt lgkmcnt(0)
	v_add_u32_e32 v5, v203, v5
	ds_write_b32 v205, v5
.LBB942_796:                            ;   in Loop: Header=BB942_736 Depth=2
	s_or_b64 exec, exec, s[40:41]
	s_waitcnt vmcnt(4)
	v_xor_b32_e32 v204, 0x7fff, v179
	v_lshrrev_b32_sdwa v5, s89, v204 dst_sel:DWORD dst_unused:UNUSED_PAD src0_sel:DWORD src1_sel:WORD_0
	v_and_b32_e32 v56, s6, v5
	v_mul_u32_u24_e32 v5, 5, v56
	v_add_lshl_u32 v5, v5, v153, 2
	; wave barrier
	v_add_u32_e32 v179, 0x210, v5
	ds_read_b32 v207, v5 offset:528
	v_and_b32_e32 v5, 1, v56
	v_add_co_u32_e32 v57, vcc, -1, v5
	v_addc_co_u32_e64 v208, s[40:41], 0, -1, vcc
	v_cmp_ne_u32_e32 vcc, 0, v5
	v_xor_b32_e32 v5, vcc_hi, v208
	v_and_b32_e32 v208, exec_hi, v5
	v_lshlrev_b32_e32 v5, 30, v56
	v_xor_b32_e32 v57, vcc_lo, v57
	v_cmp_gt_i64_e32 vcc, 0, v[4:5]
	v_not_b32_e32 v5, v5
	v_ashrrev_i32_e32 v5, 31, v5
	v_and_b32_e32 v57, exec_lo, v57
	v_xor_b32_e32 v209, vcc_hi, v5
	v_xor_b32_e32 v5, vcc_lo, v5
	v_and_b32_e32 v57, v57, v5
	v_lshlrev_b32_e32 v5, 29, v56
	v_cmp_gt_i64_e32 vcc, 0, v[4:5]
	v_not_b32_e32 v5, v5
	v_ashrrev_i32_e32 v5, 31, v5
	v_and_b32_e32 v208, v208, v209
	v_xor_b32_e32 v209, vcc_hi, v5
	v_xor_b32_e32 v5, vcc_lo, v5
	v_and_b32_e32 v57, v57, v5
	v_lshlrev_b32_e32 v5, 28, v56
	v_cmp_gt_i64_e32 vcc, 0, v[4:5]
	v_not_b32_e32 v5, v5
	v_ashrrev_i32_e32 v5, 31, v5
	v_and_b32_e32 v208, v208, v209
	;; [unrolled: 8-line block ×4, first 2 shown]
	v_xor_b32_e32 v209, vcc_hi, v5
	v_xor_b32_e32 v5, vcc_lo, v5
	v_and_b32_e32 v208, v208, v209
	v_and_b32_e32 v209, v57, v5
	v_lshlrev_b32_e32 v5, 25, v56
	v_cmp_gt_i64_e32 vcc, 0, v[4:5]
	v_not_b32_e32 v5, v5
	v_ashrrev_i32_e32 v5, 31, v5
	v_xor_b32_e32 v56, vcc_hi, v5
	v_xor_b32_e32 v5, vcc_lo, v5
	v_and_b32_e32 v57, v208, v56
	v_and_b32_e32 v56, v209, v5
	v_mbcnt_lo_u32_b32 v5, v56, 0
	v_mbcnt_hi_u32_b32 v209, v57, v5
	v_cmp_eq_u32_e32 vcc, 0, v209
	v_cmp_ne_u64_e64 s[40:41], 0, v[56:57]
	s_and_b64 s[42:43], s[40:41], vcc
	; wave barrier
	s_and_saveexec_b64 s[40:41], s[42:43]
	s_cbranch_execz .LBB942_798
; %bb.797:                              ;   in Loop: Header=BB942_736 Depth=2
	v_bcnt_u32_b32 v5, v56, 0
	v_bcnt_u32_b32 v5, v57, v5
	s_waitcnt lgkmcnt(0)
	v_add_u32_e32 v5, v207, v5
	ds_write_b32 v179, v5
.LBB942_798:                            ;   in Loop: Header=BB942_736 Depth=2
	s_or_b64 exec, exec, s[40:41]
	s_waitcnt vmcnt(3)
	v_xor_b32_e32 v208, 0x7fff, v174
	v_lshrrev_b32_sdwa v5, s89, v208 dst_sel:DWORD dst_unused:UNUSED_PAD src0_sel:DWORD src1_sel:WORD_0
	v_and_b32_e32 v56, s6, v5
	v_mul_u32_u24_e32 v5, 5, v56
	v_add_lshl_u32 v5, v5, v153, 2
	; wave barrier
	v_add_u32_e32 v174, 0x210, v5
	ds_read_b32 v210, v5 offset:528
	v_and_b32_e32 v5, 1, v56
	v_add_co_u32_e32 v57, vcc, -1, v5
	v_addc_co_u32_e64 v211, s[40:41], 0, -1, vcc
	v_cmp_ne_u32_e32 vcc, 0, v5
	v_xor_b32_e32 v5, vcc_hi, v211
	v_and_b32_e32 v211, exec_hi, v5
	v_lshlrev_b32_e32 v5, 30, v56
	v_xor_b32_e32 v57, vcc_lo, v57
	v_cmp_gt_i64_e32 vcc, 0, v[4:5]
	v_not_b32_e32 v5, v5
	v_ashrrev_i32_e32 v5, 31, v5
	v_and_b32_e32 v57, exec_lo, v57
	v_xor_b32_e32 v212, vcc_hi, v5
	v_xor_b32_e32 v5, vcc_lo, v5
	v_and_b32_e32 v57, v57, v5
	v_lshlrev_b32_e32 v5, 29, v56
	v_cmp_gt_i64_e32 vcc, 0, v[4:5]
	v_not_b32_e32 v5, v5
	v_ashrrev_i32_e32 v5, 31, v5
	v_and_b32_e32 v211, v211, v212
	v_xor_b32_e32 v212, vcc_hi, v5
	v_xor_b32_e32 v5, vcc_lo, v5
	v_and_b32_e32 v57, v57, v5
	v_lshlrev_b32_e32 v5, 28, v56
	v_cmp_gt_i64_e32 vcc, 0, v[4:5]
	v_not_b32_e32 v5, v5
	v_ashrrev_i32_e32 v5, 31, v5
	v_and_b32_e32 v211, v211, v212
	;; [unrolled: 8-line block ×4, first 2 shown]
	v_xor_b32_e32 v212, vcc_hi, v5
	v_xor_b32_e32 v5, vcc_lo, v5
	v_and_b32_e32 v211, v211, v212
	v_and_b32_e32 v212, v57, v5
	v_lshlrev_b32_e32 v5, 25, v56
	v_cmp_gt_i64_e32 vcc, 0, v[4:5]
	v_not_b32_e32 v5, v5
	v_ashrrev_i32_e32 v5, 31, v5
	v_xor_b32_e32 v56, vcc_hi, v5
	v_xor_b32_e32 v5, vcc_lo, v5
	v_and_b32_e32 v57, v211, v56
	v_and_b32_e32 v56, v212, v5
	v_mbcnt_lo_u32_b32 v5, v56, 0
	v_mbcnt_hi_u32_b32 v212, v57, v5
	v_cmp_eq_u32_e32 vcc, 0, v212
	v_cmp_ne_u64_e64 s[40:41], 0, v[56:57]
	s_and_b64 s[42:43], s[40:41], vcc
	; wave barrier
	s_and_saveexec_b64 s[40:41], s[42:43]
	s_cbranch_execz .LBB942_800
; %bb.799:                              ;   in Loop: Header=BB942_736 Depth=2
	v_bcnt_u32_b32 v5, v56, 0
	v_bcnt_u32_b32 v5, v57, v5
	s_waitcnt lgkmcnt(0)
	v_add_u32_e32 v5, v210, v5
	ds_write_b32 v174, v5
.LBB942_800:                            ;   in Loop: Header=BB942_736 Depth=2
	s_or_b64 exec, exec, s[40:41]
	s_waitcnt vmcnt(2)
	v_xor_b32_e32 v211, 0x7fff, v169
	v_lshrrev_b32_sdwa v5, s89, v211 dst_sel:DWORD dst_unused:UNUSED_PAD src0_sel:DWORD src1_sel:WORD_0
	v_and_b32_e32 v56, s6, v5
	v_mul_u32_u24_e32 v5, 5, v56
	v_add_lshl_u32 v5, v5, v153, 2
	; wave barrier
	v_add_u32_e32 v169, 0x210, v5
	ds_read_b32 v213, v5 offset:528
	v_and_b32_e32 v5, 1, v56
	v_add_co_u32_e32 v57, vcc, -1, v5
	v_addc_co_u32_e64 v214, s[40:41], 0, -1, vcc
	v_cmp_ne_u32_e32 vcc, 0, v5
	v_xor_b32_e32 v5, vcc_hi, v214
	v_and_b32_e32 v214, exec_hi, v5
	v_lshlrev_b32_e32 v5, 30, v56
	v_xor_b32_e32 v57, vcc_lo, v57
	v_cmp_gt_i64_e32 vcc, 0, v[4:5]
	v_not_b32_e32 v5, v5
	v_ashrrev_i32_e32 v5, 31, v5
	v_and_b32_e32 v57, exec_lo, v57
	v_xor_b32_e32 v215, vcc_hi, v5
	v_xor_b32_e32 v5, vcc_lo, v5
	v_and_b32_e32 v57, v57, v5
	v_lshlrev_b32_e32 v5, 29, v56
	v_cmp_gt_i64_e32 vcc, 0, v[4:5]
	v_not_b32_e32 v5, v5
	v_ashrrev_i32_e32 v5, 31, v5
	v_and_b32_e32 v214, v214, v215
	v_xor_b32_e32 v215, vcc_hi, v5
	v_xor_b32_e32 v5, vcc_lo, v5
	v_and_b32_e32 v57, v57, v5
	v_lshlrev_b32_e32 v5, 28, v56
	v_cmp_gt_i64_e32 vcc, 0, v[4:5]
	v_not_b32_e32 v5, v5
	v_ashrrev_i32_e32 v5, 31, v5
	v_and_b32_e32 v214, v214, v215
	;; [unrolled: 8-line block ×4, first 2 shown]
	v_xor_b32_e32 v215, vcc_hi, v5
	v_xor_b32_e32 v5, vcc_lo, v5
	v_and_b32_e32 v214, v214, v215
	v_and_b32_e32 v215, v57, v5
	v_lshlrev_b32_e32 v5, 25, v56
	v_cmp_gt_i64_e32 vcc, 0, v[4:5]
	v_not_b32_e32 v5, v5
	v_ashrrev_i32_e32 v5, 31, v5
	v_xor_b32_e32 v56, vcc_hi, v5
	v_xor_b32_e32 v5, vcc_lo, v5
	v_and_b32_e32 v57, v214, v56
	v_and_b32_e32 v56, v215, v5
	v_mbcnt_lo_u32_b32 v5, v56, 0
	v_mbcnt_hi_u32_b32 v215, v57, v5
	v_cmp_eq_u32_e32 vcc, 0, v215
	v_cmp_ne_u64_e64 s[40:41], 0, v[56:57]
	s_and_b64 s[42:43], s[40:41], vcc
	; wave barrier
	s_and_saveexec_b64 s[40:41], s[42:43]
	s_cbranch_execz .LBB942_802
; %bb.801:                              ;   in Loop: Header=BB942_736 Depth=2
	v_bcnt_u32_b32 v5, v56, 0
	v_bcnt_u32_b32 v5, v57, v5
	s_waitcnt lgkmcnt(0)
	v_add_u32_e32 v5, v213, v5
	ds_write_b32 v169, v5
.LBB942_802:                            ;   in Loop: Header=BB942_736 Depth=2
	s_or_b64 exec, exec, s[40:41]
	s_waitcnt vmcnt(0)
	v_xor_b32_e32 v214, 0x7fff, v164
	v_lshrrev_b32_sdwa v5, s89, v214 dst_sel:DWORD dst_unused:UNUSED_PAD src0_sel:DWORD src1_sel:WORD_0
	v_and_b32_e32 v56, s6, v5
	v_mul_u32_u24_e32 v5, 5, v56
	v_add_lshl_u32 v5, v5, v153, 2
	; wave barrier
	v_add_u32_e32 v164, 0x210, v5
	ds_read_b32 v216, v5 offset:528
	v_and_b32_e32 v5, 1, v56
	v_add_co_u32_e32 v57, vcc, -1, v5
	v_addc_co_u32_e64 v217, s[40:41], 0, -1, vcc
	v_cmp_ne_u32_e32 vcc, 0, v5
	v_xor_b32_e32 v5, vcc_hi, v217
	v_and_b32_e32 v217, exec_hi, v5
	v_lshlrev_b32_e32 v5, 30, v56
	v_xor_b32_e32 v57, vcc_lo, v57
	v_cmp_gt_i64_e32 vcc, 0, v[4:5]
	v_not_b32_e32 v5, v5
	v_ashrrev_i32_e32 v5, 31, v5
	v_and_b32_e32 v57, exec_lo, v57
	v_xor_b32_e32 v218, vcc_hi, v5
	v_xor_b32_e32 v5, vcc_lo, v5
	v_and_b32_e32 v57, v57, v5
	v_lshlrev_b32_e32 v5, 29, v56
	v_cmp_gt_i64_e32 vcc, 0, v[4:5]
	v_not_b32_e32 v5, v5
	v_ashrrev_i32_e32 v5, 31, v5
	v_and_b32_e32 v217, v217, v218
	v_xor_b32_e32 v218, vcc_hi, v5
	v_xor_b32_e32 v5, vcc_lo, v5
	v_and_b32_e32 v57, v57, v5
	v_lshlrev_b32_e32 v5, 28, v56
	v_cmp_gt_i64_e32 vcc, 0, v[4:5]
	v_not_b32_e32 v5, v5
	v_ashrrev_i32_e32 v5, 31, v5
	v_and_b32_e32 v217, v217, v218
	;; [unrolled: 8-line block ×4, first 2 shown]
	v_xor_b32_e32 v218, vcc_hi, v5
	v_xor_b32_e32 v5, vcc_lo, v5
	v_and_b32_e32 v217, v217, v218
	v_and_b32_e32 v218, v57, v5
	v_lshlrev_b32_e32 v5, 25, v56
	v_cmp_gt_i64_e32 vcc, 0, v[4:5]
	v_not_b32_e32 v5, v5
	v_ashrrev_i32_e32 v5, 31, v5
	v_xor_b32_e32 v56, vcc_hi, v5
	v_xor_b32_e32 v5, vcc_lo, v5
	v_and_b32_e32 v57, v217, v56
	v_and_b32_e32 v56, v218, v5
	v_mbcnt_lo_u32_b32 v5, v56, 0
	v_mbcnt_hi_u32_b32 v218, v57, v5
	v_cmp_eq_u32_e32 vcc, 0, v218
	v_cmp_ne_u64_e64 s[40:41], 0, v[56:57]
	s_and_b64 s[42:43], s[40:41], vcc
	; wave barrier
	s_and_saveexec_b64 s[40:41], s[42:43]
	s_cbranch_execz .LBB942_804
; %bb.803:                              ;   in Loop: Header=BB942_736 Depth=2
	v_bcnt_u32_b32 v5, v56, 0
	v_bcnt_u32_b32 v5, v57, v5
	s_waitcnt lgkmcnt(0)
	v_add_u32_e32 v5, v216, v5
	ds_write_b32 v164, v5
.LBB942_804:                            ;   in Loop: Header=BB942_736 Depth=2
	s_or_b64 exec, exec, s[40:41]
	v_xor_b32_e32 v217, 0x7fff, v159
	v_lshrrev_b32_sdwa v5, s89, v217 dst_sel:DWORD dst_unused:UNUSED_PAD src0_sel:DWORD src1_sel:WORD_0
	v_and_b32_e32 v56, s6, v5
	v_mul_u32_u24_e32 v5, 5, v56
	v_add_lshl_u32 v5, v5, v153, 2
	; wave barrier
	v_add_u32_e32 v159, 0x210, v5
	ds_read_b32 v219, v5 offset:528
	v_and_b32_e32 v5, 1, v56
	v_add_co_u32_e32 v57, vcc, -1, v5
	v_addc_co_u32_e64 v220, s[40:41], 0, -1, vcc
	v_cmp_ne_u32_e32 vcc, 0, v5
	v_xor_b32_e32 v5, vcc_hi, v220
	v_and_b32_e32 v220, exec_hi, v5
	v_lshlrev_b32_e32 v5, 30, v56
	v_xor_b32_e32 v57, vcc_lo, v57
	v_cmp_gt_i64_e32 vcc, 0, v[4:5]
	v_not_b32_e32 v5, v5
	v_ashrrev_i32_e32 v5, 31, v5
	v_and_b32_e32 v57, exec_lo, v57
	v_xor_b32_e32 v221, vcc_hi, v5
	v_xor_b32_e32 v5, vcc_lo, v5
	v_and_b32_e32 v57, v57, v5
	v_lshlrev_b32_e32 v5, 29, v56
	v_cmp_gt_i64_e32 vcc, 0, v[4:5]
	v_not_b32_e32 v5, v5
	v_ashrrev_i32_e32 v5, 31, v5
	v_and_b32_e32 v220, v220, v221
	v_xor_b32_e32 v221, vcc_hi, v5
	v_xor_b32_e32 v5, vcc_lo, v5
	v_and_b32_e32 v57, v57, v5
	v_lshlrev_b32_e32 v5, 28, v56
	v_cmp_gt_i64_e32 vcc, 0, v[4:5]
	v_not_b32_e32 v5, v5
	v_ashrrev_i32_e32 v5, 31, v5
	v_and_b32_e32 v220, v220, v221
	v_xor_b32_e32 v221, vcc_hi, v5
	v_xor_b32_e32 v5, vcc_lo, v5
	v_and_b32_e32 v57, v57, v5
	v_lshlrev_b32_e32 v5, 27, v56
	v_cmp_gt_i64_e32 vcc, 0, v[4:5]
	v_not_b32_e32 v5, v5
	v_ashrrev_i32_e32 v5, 31, v5
	v_and_b32_e32 v220, v220, v221
	v_xor_b32_e32 v221, vcc_hi, v5
	v_xor_b32_e32 v5, vcc_lo, v5
	v_and_b32_e32 v57, v57, v5
	v_lshlrev_b32_e32 v5, 26, v56
	v_cmp_gt_i64_e32 vcc, 0, v[4:5]
	v_not_b32_e32 v5, v5
	v_ashrrev_i32_e32 v5, 31, v5
	v_and_b32_e32 v220, v220, v221
	v_xor_b32_e32 v221, vcc_hi, v5
	v_xor_b32_e32 v5, vcc_lo, v5
	v_and_b32_e32 v220, v220, v221
	v_and_b32_e32 v221, v57, v5
	v_lshlrev_b32_e32 v5, 25, v56
	v_cmp_gt_i64_e32 vcc, 0, v[4:5]
	v_not_b32_e32 v5, v5
	v_ashrrev_i32_e32 v5, 31, v5
	v_xor_b32_e32 v56, vcc_hi, v5
	v_xor_b32_e32 v5, vcc_lo, v5
	v_and_b32_e32 v57, v220, v56
	v_and_b32_e32 v56, v221, v5
	v_mbcnt_lo_u32_b32 v5, v56, 0
	v_mbcnt_hi_u32_b32 v221, v57, v5
	v_cmp_eq_u32_e32 vcc, 0, v221
	v_cmp_ne_u64_e64 s[40:41], 0, v[56:57]
	s_and_b64 s[42:43], s[40:41], vcc
	; wave barrier
	s_and_saveexec_b64 s[40:41], s[42:43]
	s_cbranch_execz .LBB942_806
; %bb.805:                              ;   in Loop: Header=BB942_736 Depth=2
	v_bcnt_u32_b32 v5, v56, 0
	v_bcnt_u32_b32 v5, v57, v5
	s_waitcnt lgkmcnt(0)
	v_add_u32_e32 v5, v219, v5
	ds_write_b32 v159, v5
.LBB942_806:                            ;   in Loop: Header=BB942_736 Depth=2
	s_or_b64 exec, exec, s[40:41]
	v_xor_b32_e32 v220, 0x7fff, v166
	v_lshrrev_b32_sdwa v5, s89, v220 dst_sel:DWORD dst_unused:UNUSED_PAD src0_sel:DWORD src1_sel:WORD_0
	v_and_b32_e32 v56, s6, v5
	v_mul_u32_u24_e32 v5, 5, v56
	v_add_lshl_u32 v5, v5, v153, 2
	; wave barrier
	v_add_u32_e32 v166, 0x210, v5
	ds_read_b32 v222, v5 offset:528
	v_and_b32_e32 v5, 1, v56
	v_add_co_u32_e32 v57, vcc, -1, v5
	v_addc_co_u32_e64 v223, s[40:41], 0, -1, vcc
	v_cmp_ne_u32_e32 vcc, 0, v5
	v_xor_b32_e32 v5, vcc_hi, v223
	v_and_b32_e32 v223, exec_hi, v5
	v_lshlrev_b32_e32 v5, 30, v56
	v_xor_b32_e32 v57, vcc_lo, v57
	v_cmp_gt_i64_e32 vcc, 0, v[4:5]
	v_not_b32_e32 v5, v5
	v_ashrrev_i32_e32 v5, 31, v5
	v_and_b32_e32 v57, exec_lo, v57
	v_xor_b32_e32 v224, vcc_hi, v5
	v_xor_b32_e32 v5, vcc_lo, v5
	v_and_b32_e32 v57, v57, v5
	v_lshlrev_b32_e32 v5, 29, v56
	v_cmp_gt_i64_e32 vcc, 0, v[4:5]
	v_not_b32_e32 v5, v5
	v_ashrrev_i32_e32 v5, 31, v5
	v_and_b32_e32 v223, v223, v224
	v_xor_b32_e32 v224, vcc_hi, v5
	v_xor_b32_e32 v5, vcc_lo, v5
	v_and_b32_e32 v57, v57, v5
	v_lshlrev_b32_e32 v5, 28, v56
	v_cmp_gt_i64_e32 vcc, 0, v[4:5]
	v_not_b32_e32 v5, v5
	v_ashrrev_i32_e32 v5, 31, v5
	v_and_b32_e32 v223, v223, v224
	;; [unrolled: 8-line block ×4, first 2 shown]
	v_xor_b32_e32 v224, vcc_hi, v5
	v_xor_b32_e32 v5, vcc_lo, v5
	v_and_b32_e32 v223, v223, v224
	v_and_b32_e32 v224, v57, v5
	v_lshlrev_b32_e32 v5, 25, v56
	v_cmp_gt_i64_e32 vcc, 0, v[4:5]
	v_not_b32_e32 v5, v5
	v_ashrrev_i32_e32 v5, 31, v5
	v_xor_b32_e32 v56, vcc_hi, v5
	v_xor_b32_e32 v5, vcc_lo, v5
	v_and_b32_e32 v57, v223, v56
	v_and_b32_e32 v56, v224, v5
	v_mbcnt_lo_u32_b32 v5, v56, 0
	v_mbcnt_hi_u32_b32 v5, v57, v5
	v_cmp_eq_u32_e32 vcc, 0, v5
	v_cmp_ne_u64_e64 s[40:41], 0, v[56:57]
	s_and_b64 s[42:43], s[40:41], vcc
	; wave barrier
	s_and_saveexec_b64 s[40:41], s[42:43]
	s_cbranch_execz .LBB942_808
; %bb.807:                              ;   in Loop: Header=BB942_736 Depth=2
	v_bcnt_u32_b32 v56, v56, 0
	v_bcnt_u32_b32 v56, v57, v56
	s_waitcnt lgkmcnt(0)
	v_add_u32_e32 v56, v222, v56
	ds_write_b32 v166, v56
.LBB942_808:                            ;   in Loop: Header=BB942_736 Depth=2
	s_or_b64 exec, exec, s[40:41]
	; wave barrier
	s_waitcnt lgkmcnt(0)
	s_barrier
	ds_read_b32 v223, v58 offset:528
	ds_read2_b32 v[56:57], v67 offset0:1 offset1:2
	s_waitcnt lgkmcnt(0)
	v_add3_u32 v57, v56, v223, v57
	s_nop 1
	v_mov_b32_dpp v224, v57 row_shr:1 row_mask:0xf bank_mask:0xf
	v_cndmask_b32_e64 v224, v224, 0, s[20:21]
	v_add_u32_e32 v57, v224, v57
	s_nop 1
	v_mov_b32_dpp v224, v57 row_shr:2 row_mask:0xf bank_mask:0xf
	v_cndmask_b32_e64 v224, 0, v224, s[22:23]
	v_add_u32_e32 v57, v57, v224
	;; [unrolled: 4-line block ×4, first 2 shown]
	s_nop 1
	v_mov_b32_dpp v224, v57 row_bcast:15 row_mask:0xf bank_mask:0xf
	v_cndmask_b32_e64 v224, v224, 0, s[28:29]
	v_add_u32_e32 v57, v57, v224
	s_nop 1
	v_mov_b32_dpp v224, v57 row_bcast:31 row_mask:0xf bank_mask:0xf
	v_cndmask_b32_e64 v224, 0, v224, s[30:31]
	v_add_u32_e32 v57, v57, v224
	s_and_saveexec_b64 s[40:41], s[12:13]
	s_cbranch_execz .LBB942_810
; %bb.809:                              ;   in Loop: Header=BB942_736 Depth=2
	ds_write_b32 v60, v57 offset:512
.LBB942_810:                            ;   in Loop: Header=BB942_736 Depth=2
	s_or_b64 exec, exec, s[40:41]
	s_waitcnt lgkmcnt(0)
	s_barrier
	s_and_saveexec_b64 s[40:41], s[14:15]
	s_cbranch_execz .LBB942_812
; %bb.811:                              ;   in Loop: Header=BB942_736 Depth=2
	ds_read_b32 v224, v69 offset:512
	s_waitcnt lgkmcnt(0)
	s_nop 0
	v_mov_b32_dpp v225, v224 row_shr:1 row_mask:0xf bank_mask:0xf
	v_cndmask_b32_e64 v225, v225, 0, s[36:37]
	v_add_u32_e32 v224, v225, v224
	s_nop 1
	v_mov_b32_dpp v225, v224 row_shr:2 row_mask:0xf bank_mask:0xf
	v_cndmask_b32_e64 v225, 0, v225, s[38:39]
	v_add_u32_e32 v224, v224, v225
	ds_write_b32 v69, v224 offset:512
.LBB942_812:                            ;   in Loop: Header=BB942_736 Depth=2
	s_or_b64 exec, exec, s[40:41]
	v_mov_b32_e32 v224, 0
	s_waitcnt lgkmcnt(0)
	s_barrier
	s_and_saveexec_b64 s[40:41], s[10:11]
	s_cbranch_execz .LBB942_814
; %bb.813:                              ;   in Loop: Header=BB942_736 Depth=2
	ds_read_b32 v224, v60 offset:508
.LBB942_814:                            ;   in Loop: Header=BB942_736 Depth=2
	s_or_b64 exec, exec, s[40:41]
	s_waitcnt lgkmcnt(0)
	v_add_u32_e32 v57, v224, v57
	ds_bpermute_b32 v57, v129, v57
	s_waitcnt lgkmcnt(0)
	v_cndmask_b32_e64 v57, v57, v224, s[34:35]
	v_cndmask_b32_e64 v57, v57, 0, s[16:17]
	v_add_u32_e32 v223, v57, v223
	v_add_u32_e32 v56, v223, v56
	ds_write_b32 v58, v57 offset:528
	ds_write2_b32 v67, v223, v56 offset0:1 offset1:2
	s_waitcnt lgkmcnt(0)
	s_barrier
	ds_read_b32 v56, v158
	ds_read_b32 v57, v163
	ds_read_b32 v158, v170
	ds_read_b32 v163, v175
	ds_read_b32 v170, v180
	ds_read_b32 v180, v185
	ds_read_b32 v185, v190
	ds_read_b32 v190, v195
	ds_read_b32 v195, v198
	ds_read_b32 v198, v201
	ds_read_b32 v201, v205
	ds_read_b32 v205, v179
	ds_read_b32 v223, v174
	ds_read_b32 v224, v169
	ds_read_b32 v225, v164
	ds_read_b32 v226, v159
	ds_read_b32 v227, v166
	s_and_saveexec_b64 s[40:41], s[4:5]
	s_cbranch_execz .LBB942_818
; %bb.815:                              ;   in Loop: Header=BB942_736 Depth=2
	ds_read_b32 v154, v70 offset:528
	v_mov_b32_e32 v155, 0x1100
	s_and_saveexec_b64 s[42:43], s[18:19]
	s_cbranch_execz .LBB942_817
; %bb.816:                              ;   in Loop: Header=BB942_736 Depth=2
	ds_read_b32 v155, v70 offset:548
.LBB942_817:                            ;   in Loop: Header=BB942_736 Depth=2
	s_or_b64 exec, exec, s[42:43]
	s_waitcnt lgkmcnt(0)
	v_sub_u32_e32 v155, v155, v154
.LBB942_818:                            ;   in Loop: Header=BB942_736 Depth=2
	s_or_b64 exec, exec, s[40:41]
	s_waitcnt lgkmcnt(0)
	s_barrier
	s_and_saveexec_b64 s[40:41], s[4:5]
	s_cbranch_execz .LBB942_820
; %bb.819:                              ;   in Loop: Header=BB942_736 Depth=2
	ds_read_b32 v159, v3
	s_waitcnt lgkmcnt(0)
	v_sub_u32_e32 v159, v159, v154
	ds_write_b32 v3, v159
.LBB942_820:                            ;   in Loop: Header=BB942_736 Depth=2
	s_or_b64 exec, exec, s[40:41]
	v_add_u32_e32 v179, v56, v161
	v_add3_u32 v175, v167, v162, v57
	v_lshlrev_b32_e32 v56, 1, v179
	v_add3_u32 v174, v172, v168, v158
	ds_write_b16 v56, v157 offset:512
	v_lshlrev_b32_e32 v56, 1, v175
	v_add3_u32 v173, v177, v173, v163
	ds_write_b16 v56, v160 offset:512
	;; [unrolled: 3-line block ×15, first 2 shown]
	v_lshlrev_b32_e32 v56, 1, v158
	ds_write_b16 v56, v217 offset:512
	v_lshlrev_b32_e32 v56, 1, v5
	v_cmp_lt_u32_e64 s[40:41], v2, v156
	ds_write_b16 v56, v220 offset:512
	s_waitcnt lgkmcnt(0)
	s_barrier
	s_and_saveexec_b64 s[42:43], s[40:41]
	s_cbranch_execz .LBB942_872
; %bb.821:                              ;   in Loop: Header=BB942_736 Depth=2
	v_add_u32_e32 v56, v70, v75
	ds_read_u16 v56, v56 offset:512
	v_mov_b32_e32 v160, s79
	s_waitcnt lgkmcnt(0)
	v_lshrrev_b32_sdwa v57, s89, v56 dst_sel:DWORD dst_unused:UNUSED_PAD src0_sel:DWORD src1_sel:WORD_0
	v_and_b32_e32 v57, s6, v57
	v_lshlrev_b32_e32 v57, 2, v57
	ds_read_b32 v157, v57
	v_mov_b32_e32 v57, v4
	v_xor_b32_e32 v165, 0x7fff, v56
	s_waitcnt lgkmcnt(0)
	v_add_u32_e32 v56, v157, v2
	v_lshlrev_b64 v[56:57], 1, v[56:57]
	v_add_co_u32_e32 v56, vcc, s78, v56
	v_addc_co_u32_e32 v57, vcc, v160, v57, vcc
	global_store_short v[56:57], v165, off
	s_or_b64 exec, exec, s[42:43]
	v_cmp_lt_u32_e64 s[42:43], v7, v156
	s_and_saveexec_b64 s[44:45], s[42:43]
	s_cbranch_execnz .LBB942_873
.LBB942_822:                            ;   in Loop: Header=BB942_736 Depth=2
	s_or_b64 exec, exec, s[44:45]
	v_cmp_lt_u32_e64 s[44:45], v13, v156
	s_and_saveexec_b64 s[46:47], s[44:45]
	s_cbranch_execz .LBB942_874
.LBB942_823:                            ;   in Loop: Header=BB942_736 Depth=2
	ds_read_u16 v56, v76 offset:1024
	v_mov_b32_e32 v160, s79
	s_waitcnt lgkmcnt(0)
	v_lshrrev_b32_sdwa v57, s89, v56 dst_sel:DWORD dst_unused:UNUSED_PAD src0_sel:DWORD src1_sel:WORD_0
	v_and_b32_e32 v57, s6, v57
	v_lshlrev_b32_e32 v57, 2, v57
	ds_read_b32 v157, v57
	v_mov_b32_e32 v57, v4
	v_xor_b32_e32 v165, 0x7fff, v56
	s_waitcnt lgkmcnt(0)
	v_add_u32_e32 v56, v157, v13
	v_lshlrev_b64 v[56:57], 1, v[56:57]
	v_add_co_u32_e32 v56, vcc, s78, v56
	v_addc_co_u32_e32 v57, vcc, v160, v57, vcc
	global_store_short v[56:57], v165, off
	s_or_b64 exec, exec, s[46:47]
	v_cmp_lt_u32_e64 s[46:47], v15, v156
	s_and_saveexec_b64 s[48:49], s[46:47]
	s_cbranch_execnz .LBB942_875
.LBB942_824:                            ;   in Loop: Header=BB942_736 Depth=2
	s_or_b64 exec, exec, s[48:49]
	v_cmp_lt_u32_e64 s[48:49], v17, v156
	s_and_saveexec_b64 s[50:51], s[48:49]
	s_cbranch_execz .LBB942_876
.LBB942_825:                            ;   in Loop: Header=BB942_736 Depth=2
	ds_read_u16 v56, v76 offset:2048
	v_mov_b32_e32 v160, s79
	s_waitcnt lgkmcnt(0)
	v_lshrrev_b32_sdwa v57, s89, v56 dst_sel:DWORD dst_unused:UNUSED_PAD src0_sel:DWORD src1_sel:WORD_0
	v_and_b32_e32 v57, s6, v57
	v_lshlrev_b32_e32 v57, 2, v57
	ds_read_b32 v157, v57
	v_mov_b32_e32 v57, v4
	v_xor_b32_e32 v165, 0x7fff, v56
	s_waitcnt lgkmcnt(0)
	v_add_u32_e32 v56, v157, v17
	v_lshlrev_b64 v[56:57], 1, v[56:57]
	v_add_co_u32_e32 v56, vcc, s78, v56
	v_addc_co_u32_e32 v57, vcc, v160, v57, vcc
	global_store_short v[56:57], v165, off
	s_or_b64 exec, exec, s[50:51]
	v_cmp_lt_u32_e64 s[50:51], v19, v156
	s_and_saveexec_b64 s[52:53], s[50:51]
	s_cbranch_execnz .LBB942_877
.LBB942_826:                            ;   in Loop: Header=BB942_736 Depth=2
	s_or_b64 exec, exec, s[52:53]
	v_cmp_lt_u32_e64 s[52:53], v21, v156
	s_and_saveexec_b64 s[54:55], s[52:53]
	s_cbranch_execz .LBB942_878
.LBB942_827:                            ;   in Loop: Header=BB942_736 Depth=2
	ds_read_u16 v56, v76 offset:3072
	v_mov_b32_e32 v160, s79
	s_waitcnt lgkmcnt(0)
	v_lshrrev_b32_sdwa v57, s89, v56 dst_sel:DWORD dst_unused:UNUSED_PAD src0_sel:DWORD src1_sel:WORD_0
	v_and_b32_e32 v57, s6, v57
	v_lshlrev_b32_e32 v57, 2, v57
	ds_read_b32 v157, v57
	v_mov_b32_e32 v57, v4
	v_xor_b32_e32 v165, 0x7fff, v56
	s_waitcnt lgkmcnt(0)
	v_add_u32_e32 v56, v157, v21
	v_lshlrev_b64 v[56:57], 1, v[56:57]
	v_add_co_u32_e32 v56, vcc, s78, v56
	v_addc_co_u32_e32 v57, vcc, v160, v57, vcc
	global_store_short v[56:57], v165, off
	s_or_b64 exec, exec, s[54:55]
	v_cmp_lt_u32_e64 s[54:55], v23, v156
	s_and_saveexec_b64 s[56:57], s[54:55]
	s_cbranch_execnz .LBB942_879
.LBB942_828:                            ;   in Loop: Header=BB942_736 Depth=2
	s_or_b64 exec, exec, s[56:57]
	v_cmp_lt_u32_e64 s[56:57], v6, v156
	s_and_saveexec_b64 s[58:59], s[56:57]
	s_cbranch_execz .LBB942_880
.LBB942_829:                            ;   in Loop: Header=BB942_736 Depth=2
	ds_read_u16 v56, v76 offset:4096
	v_mov_b32_e32 v160, s79
	s_waitcnt lgkmcnt(0)
	v_lshrrev_b32_sdwa v57, s89, v56 dst_sel:DWORD dst_unused:UNUSED_PAD src0_sel:DWORD src1_sel:WORD_0
	v_and_b32_e32 v57, s6, v57
	v_lshlrev_b32_e32 v57, 2, v57
	ds_read_b32 v157, v57
	v_mov_b32_e32 v57, v4
	v_xor_b32_e32 v165, 0x7fff, v56
	s_waitcnt lgkmcnt(0)
	v_add_u32_e32 v56, v157, v6
	v_lshlrev_b64 v[56:57], 1, v[56:57]
	v_add_co_u32_e32 v56, vcc, s78, v56
	v_addc_co_u32_e32 v57, vcc, v160, v57, vcc
	global_store_short v[56:57], v165, off
	s_or_b64 exec, exec, s[58:59]
	v_cmp_lt_u32_e64 s[58:59], v8, v156
	s_and_saveexec_b64 s[60:61], s[58:59]
	s_cbranch_execnz .LBB942_881
.LBB942_830:                            ;   in Loop: Header=BB942_736 Depth=2
	s_or_b64 exec, exec, s[60:61]
	v_cmp_lt_u32_e64 s[60:61], v10, v156
	s_and_saveexec_b64 s[62:63], s[60:61]
	s_cbranch_execz .LBB942_882
.LBB942_831:                            ;   in Loop: Header=BB942_736 Depth=2
	ds_read_u16 v56, v76 offset:5120
	v_mov_b32_e32 v160, s79
	s_waitcnt lgkmcnt(0)
	v_lshrrev_b32_sdwa v57, s89, v56 dst_sel:DWORD dst_unused:UNUSED_PAD src0_sel:DWORD src1_sel:WORD_0
	v_and_b32_e32 v57, s6, v57
	v_lshlrev_b32_e32 v57, 2, v57
	ds_read_b32 v157, v57
	v_mov_b32_e32 v57, v4
	v_xor_b32_e32 v165, 0x7fff, v56
	s_waitcnt lgkmcnt(0)
	v_add_u32_e32 v56, v157, v10
	v_lshlrev_b64 v[56:57], 1, v[56:57]
	v_add_co_u32_e32 v56, vcc, s78, v56
	v_addc_co_u32_e32 v57, vcc, v160, v57, vcc
	global_store_short v[56:57], v165, off
	s_or_b64 exec, exec, s[62:63]
	v_cmp_lt_u32_e64 s[62:63], v12, v156
	s_and_saveexec_b64 s[64:65], s[62:63]
	s_cbranch_execnz .LBB942_883
.LBB942_832:                            ;   in Loop: Header=BB942_736 Depth=2
	s_or_b64 exec, exec, s[64:65]
	v_cmp_lt_u32_e64 s[64:65], v14, v156
	s_and_saveexec_b64 s[66:67], s[64:65]
	s_cbranch_execz .LBB942_884
.LBB942_833:                            ;   in Loop: Header=BB942_736 Depth=2
	ds_read_u16 v56, v76 offset:6144
	v_mov_b32_e32 v160, s79
	s_waitcnt lgkmcnt(0)
	v_lshrrev_b32_sdwa v57, s89, v56 dst_sel:DWORD dst_unused:UNUSED_PAD src0_sel:DWORD src1_sel:WORD_0
	v_and_b32_e32 v57, s6, v57
	v_lshlrev_b32_e32 v57, 2, v57
	ds_read_b32 v157, v57
	v_mov_b32_e32 v57, v4
	v_xor_b32_e32 v165, 0x7fff, v56
	s_waitcnt lgkmcnt(0)
	v_add_u32_e32 v56, v157, v14
	v_lshlrev_b64 v[56:57], 1, v[56:57]
	v_add_co_u32_e32 v56, vcc, s78, v56
	v_addc_co_u32_e32 v57, vcc, v160, v57, vcc
	global_store_short v[56:57], v165, off
	s_or_b64 exec, exec, s[66:67]
	v_cmp_lt_u32_e64 s[66:67], v16, v156
	s_and_saveexec_b64 s[68:69], s[66:67]
	s_cbranch_execnz .LBB942_885
.LBB942_834:                            ;   in Loop: Header=BB942_736 Depth=2
	s_or_b64 exec, exec, s[68:69]
	v_cmp_lt_u32_e64 s[68:69], v18, v156
	s_and_saveexec_b64 s[70:71], s[68:69]
	s_cbranch_execz .LBB942_886
.LBB942_835:                            ;   in Loop: Header=BB942_736 Depth=2
	ds_read_u16 v56, v76 offset:7168
	v_mov_b32_e32 v160, s79
	s_waitcnt lgkmcnt(0)
	v_lshrrev_b32_sdwa v57, s89, v56 dst_sel:DWORD dst_unused:UNUSED_PAD src0_sel:DWORD src1_sel:WORD_0
	v_and_b32_e32 v57, s6, v57
	v_lshlrev_b32_e32 v57, 2, v57
	ds_read_b32 v157, v57
	v_mov_b32_e32 v57, v4
	v_xor_b32_e32 v165, 0x7fff, v56
	s_waitcnt lgkmcnt(0)
	v_add_u32_e32 v56, v157, v18
	v_lshlrev_b64 v[56:57], 1, v[56:57]
	v_add_co_u32_e32 v56, vcc, s78, v56
	v_addc_co_u32_e32 v57, vcc, v160, v57, vcc
	global_store_short v[56:57], v165, off
	s_or_b64 exec, exec, s[70:71]
	v_cmp_lt_u32_e64 s[70:71], v20, v156
	s_and_saveexec_b64 s[72:73], s[70:71]
	s_cbranch_execnz .LBB942_887
.LBB942_836:                            ;   in Loop: Header=BB942_736 Depth=2
	s_or_b64 exec, exec, s[72:73]
	v_cmp_lt_u32_e64 s[72:73], v22, v156
	s_and_saveexec_b64 s[82:83], s[72:73]
	s_cbranch_execz .LBB942_838
.LBB942_837:                            ;   in Loop: Header=BB942_736 Depth=2
	ds_read_u16 v56, v76 offset:8192
	v_mov_b32_e32 v160, s79
	s_waitcnt lgkmcnt(0)
	v_lshrrev_b32_sdwa v57, s89, v56 dst_sel:DWORD dst_unused:UNUSED_PAD src0_sel:DWORD src1_sel:WORD_0
	v_and_b32_e32 v57, s6, v57
	v_lshlrev_b32_e32 v57, 2, v57
	ds_read_b32 v157, v57
	v_mov_b32_e32 v57, v4
	v_xor_b32_e32 v165, 0x7fff, v56
	s_waitcnt lgkmcnt(0)
	v_add_u32_e32 v56, v157, v22
	v_lshlrev_b64 v[56:57], 1, v[56:57]
	v_add_co_u32_e32 v56, vcc, s78, v56
	v_addc_co_u32_e32 v57, vcc, v160, v57, vcc
	global_store_short v[56:57], v165, off
.LBB942_838:                            ;   in Loop: Header=BB942_736 Depth=2
	s_or_b64 exec, exec, s[82:83]
	s_lshl_b64 s[82:83], s[94:95], 3
	v_mov_b32_e32 v57, s83
	v_add_co_u32_e32 v56, vcc, s82, v130
	v_addc_co_u32_e32 v57, vcc, v131, v57, vcc
	v_cmp_lt_u32_e32 vcc, v111, v156
	s_and_saveexec_b64 s[82:83], vcc
	s_xor_b64 s[82:83], exec, s[82:83]
	s_cbranch_execz .LBB942_888
; %bb.839:                              ;   in Loop: Header=BB942_736 Depth=2
	global_load_dwordx2 v[54:55], v[56:57], off
	s_or_b64 exec, exec, s[82:83]
	v_cmp_lt_u32_e32 vcc, v112, v156
	s_and_saveexec_b64 s[82:83], vcc
	s_cbranch_execnz .LBB942_889
.LBB942_840:                            ;   in Loop: Header=BB942_736 Depth=2
	s_or_b64 exec, exec, s[82:83]
	v_cmp_lt_u32_e32 vcc, v113, v156
	s_and_saveexec_b64 s[82:83], vcc
	s_cbranch_execz .LBB942_890
.LBB942_841:                            ;   in Loop: Header=BB942_736 Depth=2
	global_load_dwordx2 v[50:51], v[56:57], off offset:1024
	s_or_b64 exec, exec, s[82:83]
	v_cmp_lt_u32_e32 vcc, v114, v156
	s_and_saveexec_b64 s[82:83], vcc
	s_cbranch_execnz .LBB942_891
.LBB942_842:                            ;   in Loop: Header=BB942_736 Depth=2
	s_or_b64 exec, exec, s[82:83]
	v_cmp_lt_u32_e32 vcc, v115, v156
	s_and_saveexec_b64 s[82:83], vcc
	s_cbranch_execz .LBB942_892
.LBB942_843:                            ;   in Loop: Header=BB942_736 Depth=2
	global_load_dwordx2 v[42:43], v[56:57], off offset:2048
	s_or_b64 exec, exec, s[82:83]
	v_cmp_lt_u32_e32 vcc, v116, v156
	s_and_saveexec_b64 s[82:83], vcc
	s_cbranch_execnz .LBB942_893
.LBB942_844:                            ;   in Loop: Header=BB942_736 Depth=2
	s_or_b64 exec, exec, s[82:83]
	v_cmp_lt_u32_e32 vcc, v117, v156
	s_and_saveexec_b64 s[82:83], vcc
	s_cbranch_execz .LBB942_894
.LBB942_845:                            ;   in Loop: Header=BB942_736 Depth=2
	global_load_dwordx2 v[34:35], v[56:57], off offset:3072
	s_or_b64 exec, exec, s[82:83]
	v_cmp_lt_u32_e32 vcc, v118, v156
	s_and_saveexec_b64 s[82:83], vcc
	s_cbranch_execnz .LBB942_895
.LBB942_846:                            ;   in Loop: Header=BB942_736 Depth=2
	s_or_b64 exec, exec, s[82:83]
	v_cmp_lt_u32_e32 vcc, v119, v156
	s_and_saveexec_b64 s[82:83], vcc
	s_cbranch_execz .LBB942_896
.LBB942_847:                            ;   in Loop: Header=BB942_736 Depth=2
	v_add_co_u32_e32 v48, vcc, 0x1000, v56
	v_addc_co_u32_e32 v49, vcc, 0, v57, vcc
	global_load_dwordx2 v[48:49], v[48:49], off
	s_or_b64 exec, exec, s[82:83]
	v_cmp_lt_u32_e32 vcc, v120, v156
	s_and_saveexec_b64 s[82:83], vcc
	s_cbranch_execnz .LBB942_897
.LBB942_848:                            ;   in Loop: Header=BB942_736 Depth=2
	s_or_b64 exec, exec, s[82:83]
	v_cmp_lt_u32_e32 vcc, v121, v156
	s_and_saveexec_b64 s[82:83], vcc
	s_cbranch_execz .LBB942_898
.LBB942_849:                            ;   in Loop: Header=BB942_736 Depth=2
	v_add_co_u32_e32 v40, vcc, 0x1000, v56
	v_addc_co_u32_e32 v41, vcc, 0, v57, vcc
	global_load_dwordx2 v[40:41], v[40:41], off offset:1024
	s_or_b64 exec, exec, s[82:83]
	v_cmp_lt_u32_e32 vcc, v122, v156
	s_and_saveexec_b64 s[82:83], vcc
	s_cbranch_execnz .LBB942_899
.LBB942_850:                            ;   in Loop: Header=BB942_736 Depth=2
	s_or_b64 exec, exec, s[82:83]
	v_cmp_lt_u32_e32 vcc, v123, v156
	s_and_saveexec_b64 s[82:83], vcc
	s_cbranch_execz .LBB942_900
.LBB942_851:                            ;   in Loop: Header=BB942_736 Depth=2
	v_add_co_u32_e32 v32, vcc, 0x1000, v56
	v_addc_co_u32_e32 v33, vcc, 0, v57, vcc
	global_load_dwordx2 v[32:33], v[32:33], off offset:2048
	s_or_b64 exec, exec, s[82:83]
	v_cmp_lt_u32_e32 vcc, v124, v156
	s_and_saveexec_b64 s[82:83], vcc
	s_cbranch_execnz .LBB942_901
.LBB942_852:                            ;   in Loop: Header=BB942_736 Depth=2
	s_or_b64 exec, exec, s[82:83]
	v_cmp_lt_u32_e32 vcc, v125, v156
	s_and_saveexec_b64 s[82:83], vcc
	s_cbranch_execz .LBB942_902
.LBB942_853:                            ;   in Loop: Header=BB942_736 Depth=2
	v_add_co_u32_e32 v26, vcc, 0x1000, v56
	v_addc_co_u32_e32 v27, vcc, 0, v57, vcc
	global_load_dwordx2 v[26:27], v[26:27], off offset:3072
	s_or_b64 exec, exec, s[82:83]
	v_cmp_lt_u32_e32 vcc, v126, v156
	s_and_saveexec_b64 s[82:83], vcc
	s_cbranch_execnz .LBB942_903
.LBB942_854:                            ;   in Loop: Header=BB942_736 Depth=2
	s_or_b64 exec, exec, s[82:83]
	v_cmp_lt_u32_e32 vcc, v127, v156
	s_and_saveexec_b64 s[82:83], vcc
	s_cbranch_execz .LBB942_904
.LBB942_855:                            ;   in Loop: Header=BB942_736 Depth=2
	v_add_co_u32_e32 v0, vcc, 0x2000, v56
	v_addc_co_u32_e32 v1, vcc, 0, v57, vcc
	global_load_dwordx2 v[0:1], v[0:1], off
	s_or_b64 exec, exec, s[82:83]
	s_and_saveexec_b64 s[82:83], s[40:41]
	s_cbranch_execnz .LBB942_905
.LBB942_856:                            ;   in Loop: Header=BB942_736 Depth=2
	s_or_b64 exec, exec, s[82:83]
	s_and_saveexec_b64 s[82:83], s[42:43]
	s_cbranch_execz .LBB942_906
.LBB942_857:                            ;   in Loop: Header=BB942_736 Depth=2
	ds_read_u16 v56, v76 offset:512
	s_waitcnt lgkmcnt(0)
	v_lshrrev_b32_e32 v56, s89, v56
	v_and_b32_e32 v150, s6, v56
	s_or_b64 exec, exec, s[82:83]
	s_and_saveexec_b64 s[82:83], s[44:45]
	s_cbranch_execnz .LBB942_907
.LBB942_858:                            ;   in Loop: Header=BB942_736 Depth=2
	s_or_b64 exec, exec, s[82:83]
	s_and_saveexec_b64 s[82:83], s[46:47]
	s_cbranch_execz .LBB942_908
.LBB942_859:                            ;   in Loop: Header=BB942_736 Depth=2
	ds_read_u16 v56, v76 offset:1536
	s_waitcnt lgkmcnt(0)
	v_lshrrev_b32_e32 v56, s89, v56
	v_and_b32_e32 v147, s6, v56
	s_or_b64 exec, exec, s[82:83]
	s_and_saveexec_b64 s[82:83], s[48:49]
	s_cbranch_execnz .LBB942_909
.LBB942_860:                            ;   in Loop: Header=BB942_736 Depth=2
	s_or_b64 exec, exec, s[82:83]
	s_and_saveexec_b64 s[82:83], s[50:51]
	s_cbranch_execz .LBB942_910
.LBB942_861:                            ;   in Loop: Header=BB942_736 Depth=2
	ds_read_u16 v56, v76 offset:2560
	s_waitcnt lgkmcnt(0)
	v_lshrrev_b32_e32 v56, s89, v56
	v_and_b32_e32 v145, s6, v56
	s_or_b64 exec, exec, s[82:83]
	s_and_saveexec_b64 s[82:83], s[52:53]
	s_cbranch_execnz .LBB942_911
.LBB942_862:                            ;   in Loop: Header=BB942_736 Depth=2
	s_or_b64 exec, exec, s[82:83]
	s_and_saveexec_b64 s[82:83], s[54:55]
	s_cbranch_execz .LBB942_912
.LBB942_863:                            ;   in Loop: Header=BB942_736 Depth=2
	ds_read_u16 v56, v76 offset:3584
	s_waitcnt lgkmcnt(0)
	v_lshrrev_b32_e32 v56, s89, v56
	v_and_b32_e32 v143, s6, v56
	s_or_b64 exec, exec, s[82:83]
	s_and_saveexec_b64 s[82:83], s[56:57]
	s_cbranch_execnz .LBB942_913
.LBB942_864:                            ;   in Loop: Header=BB942_736 Depth=2
	s_or_b64 exec, exec, s[82:83]
	s_and_saveexec_b64 s[82:83], s[58:59]
	s_cbranch_execz .LBB942_914
.LBB942_865:                            ;   in Loop: Header=BB942_736 Depth=2
	ds_read_u16 v56, v76 offset:4608
	s_waitcnt lgkmcnt(0)
	v_lshrrev_b32_e32 v56, s89, v56
	v_and_b32_e32 v141, s6, v56
	s_or_b64 exec, exec, s[82:83]
	s_and_saveexec_b64 s[82:83], s[60:61]
	s_cbranch_execnz .LBB942_915
.LBB942_866:                            ;   in Loop: Header=BB942_736 Depth=2
	s_or_b64 exec, exec, s[82:83]
	s_and_saveexec_b64 s[82:83], s[62:63]
	s_cbranch_execz .LBB942_916
.LBB942_867:                            ;   in Loop: Header=BB942_736 Depth=2
	ds_read_u16 v56, v76 offset:5632
	s_waitcnt lgkmcnt(0)
	v_lshrrev_b32_e32 v56, s89, v56
	v_and_b32_e32 v139, s6, v56
	s_or_b64 exec, exec, s[82:83]
	s_and_saveexec_b64 s[82:83], s[64:65]
	s_cbranch_execnz .LBB942_917
.LBB942_868:                            ;   in Loop: Header=BB942_736 Depth=2
	s_or_b64 exec, exec, s[82:83]
	s_and_saveexec_b64 s[82:83], s[66:67]
	s_cbranch_execz .LBB942_918
.LBB942_869:                            ;   in Loop: Header=BB942_736 Depth=2
	ds_read_u16 v56, v76 offset:6656
	s_waitcnt lgkmcnt(0)
	v_lshrrev_b32_e32 v56, s89, v56
	v_and_b32_e32 v137, s6, v56
	s_or_b64 exec, exec, s[82:83]
	s_and_saveexec_b64 s[82:83], s[68:69]
	s_cbranch_execnz .LBB942_919
.LBB942_870:                            ;   in Loop: Header=BB942_736 Depth=2
	s_or_b64 exec, exec, s[82:83]
	s_and_saveexec_b64 s[82:83], s[70:71]
	s_cbranch_execz .LBB942_920
.LBB942_871:                            ;   in Loop: Header=BB942_736 Depth=2
	ds_read_u16 v56, v76 offset:7680
	s_waitcnt lgkmcnt(0)
	v_lshrrev_b32_e32 v56, s89, v56
	v_and_b32_e32 v135, s6, v56
	s_or_b64 exec, exec, s[82:83]
	s_and_saveexec_b64 s[82:83], s[72:73]
	s_cbranch_execnz .LBB942_921
	s_branch .LBB942_922
.LBB942_872:                            ;   in Loop: Header=BB942_736 Depth=2
	s_or_b64 exec, exec, s[42:43]
	v_cmp_lt_u32_e64 s[42:43], v7, v156
	s_and_saveexec_b64 s[44:45], s[42:43]
	s_cbranch_execz .LBB942_822
.LBB942_873:                            ;   in Loop: Header=BB942_736 Depth=2
	ds_read_u16 v56, v76 offset:512
	v_mov_b32_e32 v160, s79
	s_waitcnt lgkmcnt(0)
	v_lshrrev_b32_sdwa v57, s89, v56 dst_sel:DWORD dst_unused:UNUSED_PAD src0_sel:DWORD src1_sel:WORD_0
	v_and_b32_e32 v57, s6, v57
	v_lshlrev_b32_e32 v57, 2, v57
	ds_read_b32 v157, v57
	v_mov_b32_e32 v57, v4
	v_xor_b32_e32 v165, 0x7fff, v56
	s_waitcnt lgkmcnt(0)
	v_add_u32_e32 v56, v157, v7
	v_lshlrev_b64 v[56:57], 1, v[56:57]
	v_add_co_u32_e32 v56, vcc, s78, v56
	v_addc_co_u32_e32 v57, vcc, v160, v57, vcc
	global_store_short v[56:57], v165, off
	s_or_b64 exec, exec, s[44:45]
	v_cmp_lt_u32_e64 s[44:45], v13, v156
	s_and_saveexec_b64 s[46:47], s[44:45]
	s_cbranch_execnz .LBB942_823
.LBB942_874:                            ;   in Loop: Header=BB942_736 Depth=2
	s_or_b64 exec, exec, s[46:47]
	v_cmp_lt_u32_e64 s[46:47], v15, v156
	s_and_saveexec_b64 s[48:49], s[46:47]
	s_cbranch_execz .LBB942_824
.LBB942_875:                            ;   in Loop: Header=BB942_736 Depth=2
	ds_read_u16 v56, v76 offset:1536
	v_mov_b32_e32 v160, s79
	s_waitcnt lgkmcnt(0)
	v_lshrrev_b32_sdwa v57, s89, v56 dst_sel:DWORD dst_unused:UNUSED_PAD src0_sel:DWORD src1_sel:WORD_0
	v_and_b32_e32 v57, s6, v57
	v_lshlrev_b32_e32 v57, 2, v57
	ds_read_b32 v157, v57
	v_mov_b32_e32 v57, v4
	v_xor_b32_e32 v165, 0x7fff, v56
	s_waitcnt lgkmcnt(0)
	v_add_u32_e32 v56, v157, v15
	v_lshlrev_b64 v[56:57], 1, v[56:57]
	v_add_co_u32_e32 v56, vcc, s78, v56
	v_addc_co_u32_e32 v57, vcc, v160, v57, vcc
	global_store_short v[56:57], v165, off
	s_or_b64 exec, exec, s[48:49]
	v_cmp_lt_u32_e64 s[48:49], v17, v156
	s_and_saveexec_b64 s[50:51], s[48:49]
	s_cbranch_execnz .LBB942_825
.LBB942_876:                            ;   in Loop: Header=BB942_736 Depth=2
	s_or_b64 exec, exec, s[50:51]
	v_cmp_lt_u32_e64 s[50:51], v19, v156
	s_and_saveexec_b64 s[52:53], s[50:51]
	s_cbranch_execz .LBB942_826
.LBB942_877:                            ;   in Loop: Header=BB942_736 Depth=2
	ds_read_u16 v56, v76 offset:2560
	v_mov_b32_e32 v160, s79
	s_waitcnt lgkmcnt(0)
	v_lshrrev_b32_sdwa v57, s89, v56 dst_sel:DWORD dst_unused:UNUSED_PAD src0_sel:DWORD src1_sel:WORD_0
	v_and_b32_e32 v57, s6, v57
	v_lshlrev_b32_e32 v57, 2, v57
	ds_read_b32 v157, v57
	v_mov_b32_e32 v57, v4
	v_xor_b32_e32 v165, 0x7fff, v56
	s_waitcnt lgkmcnt(0)
	v_add_u32_e32 v56, v157, v19
	v_lshlrev_b64 v[56:57], 1, v[56:57]
	v_add_co_u32_e32 v56, vcc, s78, v56
	v_addc_co_u32_e32 v57, vcc, v160, v57, vcc
	global_store_short v[56:57], v165, off
	s_or_b64 exec, exec, s[52:53]
	v_cmp_lt_u32_e64 s[52:53], v21, v156
	s_and_saveexec_b64 s[54:55], s[52:53]
	s_cbranch_execnz .LBB942_827
.LBB942_878:                            ;   in Loop: Header=BB942_736 Depth=2
	s_or_b64 exec, exec, s[54:55]
	v_cmp_lt_u32_e64 s[54:55], v23, v156
	s_and_saveexec_b64 s[56:57], s[54:55]
	s_cbranch_execz .LBB942_828
.LBB942_879:                            ;   in Loop: Header=BB942_736 Depth=2
	ds_read_u16 v56, v76 offset:3584
	v_mov_b32_e32 v160, s79
	s_waitcnt lgkmcnt(0)
	v_lshrrev_b32_sdwa v57, s89, v56 dst_sel:DWORD dst_unused:UNUSED_PAD src0_sel:DWORD src1_sel:WORD_0
	v_and_b32_e32 v57, s6, v57
	v_lshlrev_b32_e32 v57, 2, v57
	ds_read_b32 v157, v57
	v_mov_b32_e32 v57, v4
	v_xor_b32_e32 v165, 0x7fff, v56
	s_waitcnt lgkmcnt(0)
	v_add_u32_e32 v56, v157, v23
	v_lshlrev_b64 v[56:57], 1, v[56:57]
	v_add_co_u32_e32 v56, vcc, s78, v56
	v_addc_co_u32_e32 v57, vcc, v160, v57, vcc
	global_store_short v[56:57], v165, off
	s_or_b64 exec, exec, s[56:57]
	v_cmp_lt_u32_e64 s[56:57], v6, v156
	s_and_saveexec_b64 s[58:59], s[56:57]
	s_cbranch_execnz .LBB942_829
.LBB942_880:                            ;   in Loop: Header=BB942_736 Depth=2
	s_or_b64 exec, exec, s[58:59]
	v_cmp_lt_u32_e64 s[58:59], v8, v156
	s_and_saveexec_b64 s[60:61], s[58:59]
	s_cbranch_execz .LBB942_830
.LBB942_881:                            ;   in Loop: Header=BB942_736 Depth=2
	ds_read_u16 v56, v76 offset:4608
	v_mov_b32_e32 v160, s79
	s_waitcnt lgkmcnt(0)
	v_lshrrev_b32_sdwa v57, s89, v56 dst_sel:DWORD dst_unused:UNUSED_PAD src0_sel:DWORD src1_sel:WORD_0
	v_and_b32_e32 v57, s6, v57
	v_lshlrev_b32_e32 v57, 2, v57
	ds_read_b32 v157, v57
	v_mov_b32_e32 v57, v4
	v_xor_b32_e32 v165, 0x7fff, v56
	s_waitcnt lgkmcnt(0)
	v_add_u32_e32 v56, v157, v8
	v_lshlrev_b64 v[56:57], 1, v[56:57]
	v_add_co_u32_e32 v56, vcc, s78, v56
	v_addc_co_u32_e32 v57, vcc, v160, v57, vcc
	global_store_short v[56:57], v165, off
	s_or_b64 exec, exec, s[60:61]
	v_cmp_lt_u32_e64 s[60:61], v10, v156
	s_and_saveexec_b64 s[62:63], s[60:61]
	s_cbranch_execnz .LBB942_831
.LBB942_882:                            ;   in Loop: Header=BB942_736 Depth=2
	s_or_b64 exec, exec, s[62:63]
	v_cmp_lt_u32_e64 s[62:63], v12, v156
	s_and_saveexec_b64 s[64:65], s[62:63]
	s_cbranch_execz .LBB942_832
.LBB942_883:                            ;   in Loop: Header=BB942_736 Depth=2
	ds_read_u16 v56, v76 offset:5632
	v_mov_b32_e32 v160, s79
	s_waitcnt lgkmcnt(0)
	v_lshrrev_b32_sdwa v57, s89, v56 dst_sel:DWORD dst_unused:UNUSED_PAD src0_sel:DWORD src1_sel:WORD_0
	v_and_b32_e32 v57, s6, v57
	v_lshlrev_b32_e32 v57, 2, v57
	ds_read_b32 v157, v57
	v_mov_b32_e32 v57, v4
	v_xor_b32_e32 v165, 0x7fff, v56
	s_waitcnt lgkmcnt(0)
	v_add_u32_e32 v56, v157, v12
	v_lshlrev_b64 v[56:57], 1, v[56:57]
	v_add_co_u32_e32 v56, vcc, s78, v56
	v_addc_co_u32_e32 v57, vcc, v160, v57, vcc
	global_store_short v[56:57], v165, off
	s_or_b64 exec, exec, s[64:65]
	v_cmp_lt_u32_e64 s[64:65], v14, v156
	s_and_saveexec_b64 s[66:67], s[64:65]
	s_cbranch_execnz .LBB942_833
.LBB942_884:                            ;   in Loop: Header=BB942_736 Depth=2
	s_or_b64 exec, exec, s[66:67]
	v_cmp_lt_u32_e64 s[66:67], v16, v156
	s_and_saveexec_b64 s[68:69], s[66:67]
	s_cbranch_execz .LBB942_834
.LBB942_885:                            ;   in Loop: Header=BB942_736 Depth=2
	ds_read_u16 v56, v76 offset:6656
	v_mov_b32_e32 v160, s79
	s_waitcnt lgkmcnt(0)
	v_lshrrev_b32_sdwa v57, s89, v56 dst_sel:DWORD dst_unused:UNUSED_PAD src0_sel:DWORD src1_sel:WORD_0
	v_and_b32_e32 v57, s6, v57
	v_lshlrev_b32_e32 v57, 2, v57
	ds_read_b32 v157, v57
	v_mov_b32_e32 v57, v4
	v_xor_b32_e32 v165, 0x7fff, v56
	s_waitcnt lgkmcnt(0)
	v_add_u32_e32 v56, v157, v16
	v_lshlrev_b64 v[56:57], 1, v[56:57]
	v_add_co_u32_e32 v56, vcc, s78, v56
	v_addc_co_u32_e32 v57, vcc, v160, v57, vcc
	global_store_short v[56:57], v165, off
	s_or_b64 exec, exec, s[68:69]
	v_cmp_lt_u32_e64 s[68:69], v18, v156
	s_and_saveexec_b64 s[70:71], s[68:69]
	s_cbranch_execnz .LBB942_835
.LBB942_886:                            ;   in Loop: Header=BB942_736 Depth=2
	s_or_b64 exec, exec, s[70:71]
	v_cmp_lt_u32_e64 s[70:71], v20, v156
	s_and_saveexec_b64 s[72:73], s[70:71]
	s_cbranch_execz .LBB942_836
.LBB942_887:                            ;   in Loop: Header=BB942_736 Depth=2
	ds_read_u16 v56, v76 offset:7680
	v_mov_b32_e32 v160, s79
	s_waitcnt lgkmcnt(0)
	v_lshrrev_b32_sdwa v57, s89, v56 dst_sel:DWORD dst_unused:UNUSED_PAD src0_sel:DWORD src1_sel:WORD_0
	v_and_b32_e32 v57, s6, v57
	v_lshlrev_b32_e32 v57, 2, v57
	ds_read_b32 v157, v57
	v_mov_b32_e32 v57, v4
	v_xor_b32_e32 v165, 0x7fff, v56
	s_waitcnt lgkmcnt(0)
	v_add_u32_e32 v56, v157, v20
	v_lshlrev_b64 v[56:57], 1, v[56:57]
	v_add_co_u32_e32 v56, vcc, s78, v56
	v_addc_co_u32_e32 v57, vcc, v160, v57, vcc
	global_store_short v[56:57], v165, off
	s_or_b64 exec, exec, s[72:73]
	v_cmp_lt_u32_e64 s[72:73], v22, v156
	s_and_saveexec_b64 s[82:83], s[72:73]
	s_cbranch_execnz .LBB942_837
	s_branch .LBB942_838
.LBB942_888:                            ;   in Loop: Header=BB942_736 Depth=2
	s_or_b64 exec, exec, s[82:83]
	v_cmp_lt_u32_e32 vcc, v112, v156
	s_and_saveexec_b64 s[82:83], vcc
	s_cbranch_execz .LBB942_840
.LBB942_889:                            ;   in Loop: Header=BB942_736 Depth=2
	global_load_dwordx2 v[52:53], v[56:57], off offset:512
	s_or_b64 exec, exec, s[82:83]
	v_cmp_lt_u32_e32 vcc, v113, v156
	s_and_saveexec_b64 s[82:83], vcc
	s_cbranch_execnz .LBB942_841
.LBB942_890:                            ;   in Loop: Header=BB942_736 Depth=2
	s_or_b64 exec, exec, s[82:83]
	v_cmp_lt_u32_e32 vcc, v114, v156
	s_and_saveexec_b64 s[82:83], vcc
	s_cbranch_execz .LBB942_842
.LBB942_891:                            ;   in Loop: Header=BB942_736 Depth=2
	global_load_dwordx2 v[46:47], v[56:57], off offset:1536
	s_or_b64 exec, exec, s[82:83]
	v_cmp_lt_u32_e32 vcc, v115, v156
	s_and_saveexec_b64 s[82:83], vcc
	s_cbranch_execnz .LBB942_843
.LBB942_892:                            ;   in Loop: Header=BB942_736 Depth=2
	s_or_b64 exec, exec, s[82:83]
	v_cmp_lt_u32_e32 vcc, v116, v156
	s_and_saveexec_b64 s[82:83], vcc
	s_cbranch_execz .LBB942_844
.LBB942_893:                            ;   in Loop: Header=BB942_736 Depth=2
	global_load_dwordx2 v[38:39], v[56:57], off offset:2560
	s_or_b64 exec, exec, s[82:83]
	v_cmp_lt_u32_e32 vcc, v117, v156
	s_and_saveexec_b64 s[82:83], vcc
	s_cbranch_execnz .LBB942_845
.LBB942_894:                            ;   in Loop: Header=BB942_736 Depth=2
	s_or_b64 exec, exec, s[82:83]
	v_cmp_lt_u32_e32 vcc, v118, v156
	s_and_saveexec_b64 s[82:83], vcc
	s_cbranch_execz .LBB942_846
.LBB942_895:                            ;   in Loop: Header=BB942_736 Depth=2
	global_load_dwordx2 v[30:31], v[56:57], off offset:3584
	s_or_b64 exec, exec, s[82:83]
	v_cmp_lt_u32_e32 vcc, v119, v156
	s_and_saveexec_b64 s[82:83], vcc
	s_cbranch_execnz .LBB942_847
.LBB942_896:                            ;   in Loop: Header=BB942_736 Depth=2
	s_or_b64 exec, exec, s[82:83]
	v_cmp_lt_u32_e32 vcc, v120, v156
	s_and_saveexec_b64 s[82:83], vcc
	s_cbranch_execz .LBB942_848
.LBB942_897:                            ;   in Loop: Header=BB942_736 Depth=2
	v_add_co_u32_e32 v44, vcc, 0x1000, v56
	v_addc_co_u32_e32 v45, vcc, 0, v57, vcc
	global_load_dwordx2 v[44:45], v[44:45], off offset:512
	s_or_b64 exec, exec, s[82:83]
	v_cmp_lt_u32_e32 vcc, v121, v156
	s_and_saveexec_b64 s[82:83], vcc
	s_cbranch_execnz .LBB942_849
.LBB942_898:                            ;   in Loop: Header=BB942_736 Depth=2
	s_or_b64 exec, exec, s[82:83]
	v_cmp_lt_u32_e32 vcc, v122, v156
	s_and_saveexec_b64 s[82:83], vcc
	s_cbranch_execz .LBB942_850
.LBB942_899:                            ;   in Loop: Header=BB942_736 Depth=2
	v_add_co_u32_e32 v36, vcc, 0x1000, v56
	v_addc_co_u32_e32 v37, vcc, 0, v57, vcc
	global_load_dwordx2 v[36:37], v[36:37], off offset:1536
	s_or_b64 exec, exec, s[82:83]
	v_cmp_lt_u32_e32 vcc, v123, v156
	s_and_saveexec_b64 s[82:83], vcc
	s_cbranch_execnz .LBB942_851
.LBB942_900:                            ;   in Loop: Header=BB942_736 Depth=2
	s_or_b64 exec, exec, s[82:83]
	v_cmp_lt_u32_e32 vcc, v124, v156
	s_and_saveexec_b64 s[82:83], vcc
	s_cbranch_execz .LBB942_852
.LBB942_901:                            ;   in Loop: Header=BB942_736 Depth=2
	v_add_co_u32_e32 v28, vcc, 0x1000, v56
	v_addc_co_u32_e32 v29, vcc, 0, v57, vcc
	global_load_dwordx2 v[28:29], v[28:29], off offset:2560
	s_or_b64 exec, exec, s[82:83]
	v_cmp_lt_u32_e32 vcc, v125, v156
	s_and_saveexec_b64 s[82:83], vcc
	s_cbranch_execnz .LBB942_853
.LBB942_902:                            ;   in Loop: Header=BB942_736 Depth=2
	s_or_b64 exec, exec, s[82:83]
	v_cmp_lt_u32_e32 vcc, v126, v156
	s_and_saveexec_b64 s[82:83], vcc
	s_cbranch_execz .LBB942_854
.LBB942_903:                            ;   in Loop: Header=BB942_736 Depth=2
	v_add_co_u32_e32 v24, vcc, 0x1000, v56
	v_addc_co_u32_e32 v25, vcc, 0, v57, vcc
	global_load_dwordx2 v[24:25], v[24:25], off offset:3584
	s_or_b64 exec, exec, s[82:83]
	v_cmp_lt_u32_e32 vcc, v127, v156
	s_and_saveexec_b64 s[82:83], vcc
	s_cbranch_execnz .LBB942_855
.LBB942_904:                            ;   in Loop: Header=BB942_736 Depth=2
	s_or_b64 exec, exec, s[82:83]
	s_and_saveexec_b64 s[82:83], s[40:41]
	s_cbranch_execz .LBB942_856
.LBB942_905:                            ;   in Loop: Header=BB942_736 Depth=2
	v_add_u32_e32 v56, v70, v75
	ds_read_u16 v56, v56 offset:512
	s_waitcnt lgkmcnt(0)
	v_lshrrev_b32_e32 v56, s89, v56
	v_and_b32_e32 v152, s6, v56
	s_or_b64 exec, exec, s[82:83]
	s_and_saveexec_b64 s[82:83], s[42:43]
	s_cbranch_execnz .LBB942_857
.LBB942_906:                            ;   in Loop: Header=BB942_736 Depth=2
	s_or_b64 exec, exec, s[82:83]
	s_and_saveexec_b64 s[82:83], s[44:45]
	s_cbranch_execz .LBB942_858
.LBB942_907:                            ;   in Loop: Header=BB942_736 Depth=2
	ds_read_u16 v56, v76 offset:1024
	s_waitcnt lgkmcnt(0)
	v_lshrrev_b32_e32 v56, s89, v56
	v_and_b32_e32 v149, s6, v56
	s_or_b64 exec, exec, s[82:83]
	s_and_saveexec_b64 s[82:83], s[46:47]
	s_cbranch_execnz .LBB942_859
.LBB942_908:                            ;   in Loop: Header=BB942_736 Depth=2
	s_or_b64 exec, exec, s[82:83]
	s_and_saveexec_b64 s[82:83], s[48:49]
	s_cbranch_execz .LBB942_860
.LBB942_909:                            ;   in Loop: Header=BB942_736 Depth=2
	ds_read_u16 v56, v76 offset:2048
	s_waitcnt lgkmcnt(0)
	v_lshrrev_b32_e32 v56, s89, v56
	v_and_b32_e32 v146, s6, v56
	s_or_b64 exec, exec, s[82:83]
	s_and_saveexec_b64 s[82:83], s[50:51]
	s_cbranch_execnz .LBB942_861
.LBB942_910:                            ;   in Loop: Header=BB942_736 Depth=2
	s_or_b64 exec, exec, s[82:83]
	s_and_saveexec_b64 s[82:83], s[52:53]
	s_cbranch_execz .LBB942_862
.LBB942_911:                            ;   in Loop: Header=BB942_736 Depth=2
	ds_read_u16 v56, v76 offset:3072
	s_waitcnt lgkmcnt(0)
	v_lshrrev_b32_e32 v56, s89, v56
	v_and_b32_e32 v144, s6, v56
	s_or_b64 exec, exec, s[82:83]
	s_and_saveexec_b64 s[82:83], s[54:55]
	s_cbranch_execnz .LBB942_863
.LBB942_912:                            ;   in Loop: Header=BB942_736 Depth=2
	s_or_b64 exec, exec, s[82:83]
	s_and_saveexec_b64 s[82:83], s[56:57]
	s_cbranch_execz .LBB942_864
.LBB942_913:                            ;   in Loop: Header=BB942_736 Depth=2
	ds_read_u16 v56, v76 offset:4096
	s_waitcnt lgkmcnt(0)
	v_lshrrev_b32_e32 v56, s89, v56
	v_and_b32_e32 v142, s6, v56
	s_or_b64 exec, exec, s[82:83]
	s_and_saveexec_b64 s[82:83], s[58:59]
	s_cbranch_execnz .LBB942_865
.LBB942_914:                            ;   in Loop: Header=BB942_736 Depth=2
	s_or_b64 exec, exec, s[82:83]
	s_and_saveexec_b64 s[82:83], s[60:61]
	s_cbranch_execz .LBB942_866
.LBB942_915:                            ;   in Loop: Header=BB942_736 Depth=2
	ds_read_u16 v56, v76 offset:5120
	s_waitcnt lgkmcnt(0)
	v_lshrrev_b32_e32 v56, s89, v56
	v_and_b32_e32 v140, s6, v56
	s_or_b64 exec, exec, s[82:83]
	s_and_saveexec_b64 s[82:83], s[62:63]
	s_cbranch_execnz .LBB942_867
.LBB942_916:                            ;   in Loop: Header=BB942_736 Depth=2
	s_or_b64 exec, exec, s[82:83]
	s_and_saveexec_b64 s[82:83], s[64:65]
	s_cbranch_execz .LBB942_868
.LBB942_917:                            ;   in Loop: Header=BB942_736 Depth=2
	ds_read_u16 v56, v76 offset:6144
	s_waitcnt lgkmcnt(0)
	v_lshrrev_b32_e32 v56, s89, v56
	v_and_b32_e32 v138, s6, v56
	s_or_b64 exec, exec, s[82:83]
	s_and_saveexec_b64 s[82:83], s[66:67]
	s_cbranch_execnz .LBB942_869
.LBB942_918:                            ;   in Loop: Header=BB942_736 Depth=2
	s_or_b64 exec, exec, s[82:83]
	s_and_saveexec_b64 s[82:83], s[68:69]
	s_cbranch_execz .LBB942_870
.LBB942_919:                            ;   in Loop: Header=BB942_736 Depth=2
	ds_read_u16 v56, v76 offset:7168
	s_waitcnt lgkmcnt(0)
	v_lshrrev_b32_e32 v56, s89, v56
	v_and_b32_e32 v136, s6, v56
	s_or_b64 exec, exec, s[82:83]
	s_and_saveexec_b64 s[82:83], s[70:71]
	s_cbranch_execnz .LBB942_871
.LBB942_920:                            ;   in Loop: Header=BB942_736 Depth=2
	s_or_b64 exec, exec, s[82:83]
	s_and_saveexec_b64 s[82:83], s[72:73]
	s_cbranch_execz .LBB942_922
.LBB942_921:                            ;   in Loop: Header=BB942_736 Depth=2
	ds_read_u16 v56, v76 offset:8192
	s_waitcnt lgkmcnt(0)
	v_lshrrev_b32_e32 v56, s89, v56
	v_and_b32_e32 v134, s6, v56
.LBB942_922:                            ;   in Loop: Header=BB942_736 Depth=2
	s_or_b64 exec, exec, s[82:83]
	v_lshlrev_b32_e32 v56, 3, v179
	s_barrier
	s_waitcnt vmcnt(0)
	ds_write_b64 v56, v[54:55] offset:512
	v_lshlrev_b32_e32 v56, 3, v175
	ds_write_b64 v56, v[52:53] offset:512
	v_lshlrev_b32_e32 v56, 3, v174
	;; [unrolled: 2-line block ×15, first 2 shown]
	v_lshlrev_b32_e32 v5, 3, v5
	ds_write_b64 v56, v[24:25] offset:512
	ds_write_b64 v5, v[0:1] offset:512
	s_waitcnt lgkmcnt(0)
	s_barrier
	s_and_saveexec_b64 s[82:83], s[40:41]
	s_cbranch_execz .LBB942_942
; %bb.923:                              ;   in Loop: Header=BB942_736 Depth=2
	v_lshlrev_b32_e32 v5, 2, v152
	ds_read_b32 v5, v5
	ds_read_b64 v[56:57], v68 offset:512
	v_mov_b32_e32 v157, v4
	v_mov_b32_e32 v158, s85
	s_waitcnt lgkmcnt(1)
	v_add_u32_e32 v156, v5, v2
	v_lshlrev_b64 v[156:157], 3, v[156:157]
	v_add_co_u32_e32 v156, vcc, s84, v156
	v_addc_co_u32_e32 v157, vcc, v158, v157, vcc
	s_waitcnt lgkmcnt(0)
	global_store_dwordx2 v[156:157], v[56:57], off
	s_or_b64 exec, exec, s[82:83]
	s_and_saveexec_b64 s[40:41], s[42:43]
	s_cbranch_execnz .LBB942_943
.LBB942_924:                            ;   in Loop: Header=BB942_736 Depth=2
	s_or_b64 exec, exec, s[40:41]
	s_and_saveexec_b64 s[40:41], s[44:45]
	s_cbranch_execz .LBB942_944
.LBB942_925:                            ;   in Loop: Header=BB942_736 Depth=2
	v_lshlrev_b32_e32 v5, 2, v149
	ds_read_b32 v5, v5
	v_add_u32_e32 v56, v76, v77
	ds_read_b64 v[56:57], v56 offset:4096
	v_mov_b32_e32 v157, v4
	v_mov_b32_e32 v158, s85
	s_waitcnt lgkmcnt(1)
	v_add_u32_e32 v156, v5, v13
	v_lshlrev_b64 v[156:157], 3, v[156:157]
	v_add_co_u32_e32 v156, vcc, s84, v156
	v_addc_co_u32_e32 v157, vcc, v158, v157, vcc
	s_waitcnt lgkmcnt(0)
	global_store_dwordx2 v[156:157], v[56:57], off
	s_or_b64 exec, exec, s[40:41]
	s_and_saveexec_b64 s[40:41], s[46:47]
	s_cbranch_execnz .LBB942_945
.LBB942_926:                            ;   in Loop: Header=BB942_736 Depth=2
	s_or_b64 exec, exec, s[40:41]
	s_and_saveexec_b64 s[40:41], s[48:49]
	s_cbranch_execz .LBB942_946
.LBB942_927:                            ;   in Loop: Header=BB942_736 Depth=2
	v_lshlrev_b32_e32 v5, 2, v146
	ds_read_b32 v5, v5
	v_add_u32_e32 v56, v76, v77
	ds_read_b64 v[56:57], v56 offset:8192
	v_mov_b32_e32 v157, v4
	v_mov_b32_e32 v158, s85
	s_waitcnt lgkmcnt(1)
	v_add_u32_e32 v156, v5, v17
	v_lshlrev_b64 v[156:157], 3, v[156:157]
	v_add_co_u32_e32 v156, vcc, s84, v156
	v_addc_co_u32_e32 v157, vcc, v158, v157, vcc
	s_waitcnt lgkmcnt(0)
	global_store_dwordx2 v[156:157], v[56:57], off
	s_or_b64 exec, exec, s[40:41]
	s_and_saveexec_b64 s[40:41], s[50:51]
	s_cbranch_execnz .LBB942_947
.LBB942_928:                            ;   in Loop: Header=BB942_736 Depth=2
	s_or_b64 exec, exec, s[40:41]
	s_and_saveexec_b64 s[40:41], s[52:53]
	s_cbranch_execz .LBB942_948
.LBB942_929:                            ;   in Loop: Header=BB942_736 Depth=2
	v_lshlrev_b32_e32 v5, 2, v144
	ds_read_b32 v5, v5
	v_add_u32_e32 v56, v76, v77
	ds_read_b64 v[56:57], v56 offset:12288
	v_mov_b32_e32 v157, v4
	v_mov_b32_e32 v158, s85
	s_waitcnt lgkmcnt(1)
	v_add_u32_e32 v156, v5, v21
	v_lshlrev_b64 v[156:157], 3, v[156:157]
	v_add_co_u32_e32 v156, vcc, s84, v156
	v_addc_co_u32_e32 v157, vcc, v158, v157, vcc
	s_waitcnt lgkmcnt(0)
	global_store_dwordx2 v[156:157], v[56:57], off
	s_or_b64 exec, exec, s[40:41]
	s_and_saveexec_b64 s[40:41], s[54:55]
	s_cbranch_execnz .LBB942_949
.LBB942_930:                            ;   in Loop: Header=BB942_736 Depth=2
	s_or_b64 exec, exec, s[40:41]
	s_and_saveexec_b64 s[40:41], s[56:57]
	s_cbranch_execz .LBB942_950
.LBB942_931:                            ;   in Loop: Header=BB942_736 Depth=2
	v_lshlrev_b32_e32 v5, 2, v142
	ds_read_b32 v5, v5
	v_add_u32_e32 v56, v76, v77
	ds_read_b64 v[56:57], v56 offset:16384
	v_mov_b32_e32 v157, v4
	v_mov_b32_e32 v158, s85
	s_waitcnt lgkmcnt(1)
	v_add_u32_e32 v156, v5, v6
	v_lshlrev_b64 v[156:157], 3, v[156:157]
	v_add_co_u32_e32 v156, vcc, s84, v156
	v_addc_co_u32_e32 v157, vcc, v158, v157, vcc
	s_waitcnt lgkmcnt(0)
	global_store_dwordx2 v[156:157], v[56:57], off
	s_or_b64 exec, exec, s[40:41]
	s_and_saveexec_b64 s[40:41], s[58:59]
	s_cbranch_execnz .LBB942_951
.LBB942_932:                            ;   in Loop: Header=BB942_736 Depth=2
	s_or_b64 exec, exec, s[40:41]
	s_and_saveexec_b64 s[40:41], s[60:61]
	s_cbranch_execz .LBB942_952
.LBB942_933:                            ;   in Loop: Header=BB942_736 Depth=2
	v_lshlrev_b32_e32 v5, 2, v140
	ds_read_b32 v5, v5
	v_add_u32_e32 v56, v76, v77
	ds_read_b64 v[56:57], v56 offset:20480
	v_mov_b32_e32 v157, v4
	v_mov_b32_e32 v158, s85
	s_waitcnt lgkmcnt(1)
	v_add_u32_e32 v156, v5, v10
	v_lshlrev_b64 v[156:157], 3, v[156:157]
	v_add_co_u32_e32 v156, vcc, s84, v156
	v_addc_co_u32_e32 v157, vcc, v158, v157, vcc
	s_waitcnt lgkmcnt(0)
	global_store_dwordx2 v[156:157], v[56:57], off
	s_or_b64 exec, exec, s[40:41]
	s_and_saveexec_b64 s[40:41], s[62:63]
	s_cbranch_execnz .LBB942_953
.LBB942_934:                            ;   in Loop: Header=BB942_736 Depth=2
	s_or_b64 exec, exec, s[40:41]
	s_and_saveexec_b64 s[40:41], s[64:65]
	s_cbranch_execz .LBB942_954
.LBB942_935:                            ;   in Loop: Header=BB942_736 Depth=2
	v_lshlrev_b32_e32 v5, 2, v138
	ds_read_b32 v5, v5
	v_add_u32_e32 v56, v76, v77
	ds_read_b64 v[56:57], v56 offset:24576
	v_mov_b32_e32 v157, v4
	v_mov_b32_e32 v158, s85
	s_waitcnt lgkmcnt(1)
	v_add_u32_e32 v156, v5, v14
	v_lshlrev_b64 v[156:157], 3, v[156:157]
	v_add_co_u32_e32 v156, vcc, s84, v156
	v_addc_co_u32_e32 v157, vcc, v158, v157, vcc
	s_waitcnt lgkmcnt(0)
	global_store_dwordx2 v[156:157], v[56:57], off
	s_or_b64 exec, exec, s[40:41]
	s_and_saveexec_b64 s[40:41], s[66:67]
	s_cbranch_execnz .LBB942_955
.LBB942_936:                            ;   in Loop: Header=BB942_736 Depth=2
	s_or_b64 exec, exec, s[40:41]
	s_and_saveexec_b64 s[40:41], s[68:69]
	s_cbranch_execz .LBB942_956
.LBB942_937:                            ;   in Loop: Header=BB942_736 Depth=2
	v_lshlrev_b32_e32 v5, 2, v136
	ds_read_b32 v5, v5
	v_add_u32_e32 v56, v76, v77
	ds_read_b64 v[56:57], v56 offset:28672
	v_mov_b32_e32 v157, v4
	v_mov_b32_e32 v158, s85
	s_waitcnt lgkmcnt(1)
	v_add_u32_e32 v156, v5, v18
	v_lshlrev_b64 v[156:157], 3, v[156:157]
	v_add_co_u32_e32 v156, vcc, s84, v156
	v_addc_co_u32_e32 v157, vcc, v158, v157, vcc
	s_waitcnt lgkmcnt(0)
	global_store_dwordx2 v[156:157], v[56:57], off
	s_or_b64 exec, exec, s[40:41]
	s_and_saveexec_b64 s[40:41], s[70:71]
	s_cbranch_execnz .LBB942_957
.LBB942_938:                            ;   in Loop: Header=BB942_736 Depth=2
	s_or_b64 exec, exec, s[40:41]
	s_and_saveexec_b64 s[40:41], s[72:73]
	s_cbranch_execz .LBB942_940
.LBB942_939:                            ;   in Loop: Header=BB942_736 Depth=2
	v_lshlrev_b32_e32 v5, 2, v134
	ds_read_b32 v5, v5
	v_add_u32_e32 v56, v76, v77
	ds_read_b64 v[56:57], v56 offset:32768
	v_mov_b32_e32 v157, v4
	v_mov_b32_e32 v158, s85
	s_waitcnt lgkmcnt(1)
	v_add_u32_e32 v156, v5, v22
	v_lshlrev_b64 v[156:157], 3, v[156:157]
	v_add_co_u32_e32 v156, vcc, s84, v156
	v_addc_co_u32_e32 v157, vcc, v158, v157, vcc
	s_waitcnt lgkmcnt(0)
	global_store_dwordx2 v[156:157], v[56:57], off
.LBB942_940:                            ;   in Loop: Header=BB942_736 Depth=2
	s_or_b64 exec, exec, s[40:41]
	s_barrier
	s_and_saveexec_b64 s[40:41], s[4:5]
	s_cbranch_execz .LBB942_735
; %bb.941:                              ;   in Loop: Header=BB942_736 Depth=2
	ds_read_b32 v5, v3
	s_waitcnt lgkmcnt(0)
	v_add3_u32 v5, v154, v155, v5
	ds_write_b32 v3, v5
	s_branch .LBB942_735
.LBB942_942:                            ;   in Loop: Header=BB942_736 Depth=2
	s_or_b64 exec, exec, s[82:83]
	s_and_saveexec_b64 s[40:41], s[42:43]
	s_cbranch_execz .LBB942_924
.LBB942_943:                            ;   in Loop: Header=BB942_736 Depth=2
	v_lshlrev_b32_e32 v5, 2, v150
	ds_read_b32 v5, v5
	v_add_u32_e32 v56, v76, v77
	ds_read_b64 v[56:57], v56 offset:2048
	v_mov_b32_e32 v157, v4
	v_mov_b32_e32 v158, s85
	s_waitcnt lgkmcnt(1)
	v_add_u32_e32 v156, v5, v7
	v_lshlrev_b64 v[156:157], 3, v[156:157]
	v_add_co_u32_e32 v156, vcc, s84, v156
	v_addc_co_u32_e32 v157, vcc, v158, v157, vcc
	s_waitcnt lgkmcnt(0)
	global_store_dwordx2 v[156:157], v[56:57], off
	s_or_b64 exec, exec, s[40:41]
	s_and_saveexec_b64 s[40:41], s[44:45]
	s_cbranch_execnz .LBB942_925
.LBB942_944:                            ;   in Loop: Header=BB942_736 Depth=2
	s_or_b64 exec, exec, s[40:41]
	s_and_saveexec_b64 s[40:41], s[46:47]
	s_cbranch_execz .LBB942_926
.LBB942_945:                            ;   in Loop: Header=BB942_736 Depth=2
	v_lshlrev_b32_e32 v5, 2, v147
	ds_read_b32 v5, v5
	v_add_u32_e32 v56, v76, v77
	ds_read_b64 v[56:57], v56 offset:6144
	v_mov_b32_e32 v157, v4
	v_mov_b32_e32 v158, s85
	s_waitcnt lgkmcnt(1)
	v_add_u32_e32 v156, v5, v15
	v_lshlrev_b64 v[156:157], 3, v[156:157]
	v_add_co_u32_e32 v156, vcc, s84, v156
	v_addc_co_u32_e32 v157, vcc, v158, v157, vcc
	s_waitcnt lgkmcnt(0)
	global_store_dwordx2 v[156:157], v[56:57], off
	s_or_b64 exec, exec, s[40:41]
	s_and_saveexec_b64 s[40:41], s[48:49]
	s_cbranch_execnz .LBB942_927
.LBB942_946:                            ;   in Loop: Header=BB942_736 Depth=2
	s_or_b64 exec, exec, s[40:41]
	s_and_saveexec_b64 s[40:41], s[50:51]
	s_cbranch_execz .LBB942_928
.LBB942_947:                            ;   in Loop: Header=BB942_736 Depth=2
	v_lshlrev_b32_e32 v5, 2, v145
	ds_read_b32 v5, v5
	v_add_u32_e32 v56, v76, v77
	ds_read_b64 v[56:57], v56 offset:10240
	v_mov_b32_e32 v157, v4
	v_mov_b32_e32 v158, s85
	s_waitcnt lgkmcnt(1)
	v_add_u32_e32 v156, v5, v19
	v_lshlrev_b64 v[156:157], 3, v[156:157]
	v_add_co_u32_e32 v156, vcc, s84, v156
	v_addc_co_u32_e32 v157, vcc, v158, v157, vcc
	s_waitcnt lgkmcnt(0)
	global_store_dwordx2 v[156:157], v[56:57], off
	s_or_b64 exec, exec, s[40:41]
	s_and_saveexec_b64 s[40:41], s[52:53]
	s_cbranch_execnz .LBB942_929
.LBB942_948:                            ;   in Loop: Header=BB942_736 Depth=2
	s_or_b64 exec, exec, s[40:41]
	s_and_saveexec_b64 s[40:41], s[54:55]
	s_cbranch_execz .LBB942_930
.LBB942_949:                            ;   in Loop: Header=BB942_736 Depth=2
	v_lshlrev_b32_e32 v5, 2, v143
	ds_read_b32 v5, v5
	v_add_u32_e32 v56, v76, v77
	ds_read_b64 v[56:57], v56 offset:14336
	v_mov_b32_e32 v157, v4
	v_mov_b32_e32 v158, s85
	s_waitcnt lgkmcnt(1)
	v_add_u32_e32 v156, v5, v23
	v_lshlrev_b64 v[156:157], 3, v[156:157]
	v_add_co_u32_e32 v156, vcc, s84, v156
	v_addc_co_u32_e32 v157, vcc, v158, v157, vcc
	s_waitcnt lgkmcnt(0)
	global_store_dwordx2 v[156:157], v[56:57], off
	s_or_b64 exec, exec, s[40:41]
	s_and_saveexec_b64 s[40:41], s[56:57]
	s_cbranch_execnz .LBB942_931
.LBB942_950:                            ;   in Loop: Header=BB942_736 Depth=2
	s_or_b64 exec, exec, s[40:41]
	s_and_saveexec_b64 s[40:41], s[58:59]
	s_cbranch_execz .LBB942_932
.LBB942_951:                            ;   in Loop: Header=BB942_736 Depth=2
	v_lshlrev_b32_e32 v5, 2, v141
	ds_read_b32 v5, v5
	v_add_u32_e32 v56, v76, v77
	ds_read_b64 v[56:57], v56 offset:18432
	v_mov_b32_e32 v157, v4
	v_mov_b32_e32 v158, s85
	s_waitcnt lgkmcnt(1)
	v_add_u32_e32 v156, v5, v8
	v_lshlrev_b64 v[156:157], 3, v[156:157]
	v_add_co_u32_e32 v156, vcc, s84, v156
	v_addc_co_u32_e32 v157, vcc, v158, v157, vcc
	s_waitcnt lgkmcnt(0)
	global_store_dwordx2 v[156:157], v[56:57], off
	s_or_b64 exec, exec, s[40:41]
	s_and_saveexec_b64 s[40:41], s[60:61]
	s_cbranch_execnz .LBB942_933
.LBB942_952:                            ;   in Loop: Header=BB942_736 Depth=2
	s_or_b64 exec, exec, s[40:41]
	s_and_saveexec_b64 s[40:41], s[62:63]
	s_cbranch_execz .LBB942_934
.LBB942_953:                            ;   in Loop: Header=BB942_736 Depth=2
	v_lshlrev_b32_e32 v5, 2, v139
	ds_read_b32 v5, v5
	v_add_u32_e32 v56, v76, v77
	ds_read_b64 v[56:57], v56 offset:22528
	v_mov_b32_e32 v157, v4
	v_mov_b32_e32 v158, s85
	s_waitcnt lgkmcnt(1)
	v_add_u32_e32 v156, v5, v12
	v_lshlrev_b64 v[156:157], 3, v[156:157]
	v_add_co_u32_e32 v156, vcc, s84, v156
	v_addc_co_u32_e32 v157, vcc, v158, v157, vcc
	s_waitcnt lgkmcnt(0)
	global_store_dwordx2 v[156:157], v[56:57], off
	s_or_b64 exec, exec, s[40:41]
	s_and_saveexec_b64 s[40:41], s[64:65]
	s_cbranch_execnz .LBB942_935
.LBB942_954:                            ;   in Loop: Header=BB942_736 Depth=2
	s_or_b64 exec, exec, s[40:41]
	s_and_saveexec_b64 s[40:41], s[66:67]
	s_cbranch_execz .LBB942_936
.LBB942_955:                            ;   in Loop: Header=BB942_736 Depth=2
	v_lshlrev_b32_e32 v5, 2, v137
	ds_read_b32 v5, v5
	v_add_u32_e32 v56, v76, v77
	ds_read_b64 v[56:57], v56 offset:26624
	v_mov_b32_e32 v157, v4
	v_mov_b32_e32 v158, s85
	s_waitcnt lgkmcnt(1)
	v_add_u32_e32 v156, v5, v16
	v_lshlrev_b64 v[156:157], 3, v[156:157]
	v_add_co_u32_e32 v156, vcc, s84, v156
	v_addc_co_u32_e32 v157, vcc, v158, v157, vcc
	s_waitcnt lgkmcnt(0)
	global_store_dwordx2 v[156:157], v[56:57], off
	s_or_b64 exec, exec, s[40:41]
	s_and_saveexec_b64 s[40:41], s[68:69]
	s_cbranch_execnz .LBB942_937
.LBB942_956:                            ;   in Loop: Header=BB942_736 Depth=2
	s_or_b64 exec, exec, s[40:41]
	s_and_saveexec_b64 s[40:41], s[70:71]
	s_cbranch_execz .LBB942_938
.LBB942_957:                            ;   in Loop: Header=BB942_736 Depth=2
	v_lshlrev_b32_e32 v5, 2, v135
	ds_read_b32 v5, v5
	v_add_u32_e32 v56, v76, v77
	ds_read_b64 v[56:57], v56 offset:30720
	v_mov_b32_e32 v157, v4
	v_mov_b32_e32 v158, s85
	s_waitcnt lgkmcnt(1)
	v_add_u32_e32 v156, v5, v20
	v_lshlrev_b64 v[156:157], 3, v[156:157]
	v_add_co_u32_e32 v156, vcc, s84, v156
	v_addc_co_u32_e32 v157, vcc, v158, v157, vcc
	s_waitcnt lgkmcnt(0)
	global_store_dwordx2 v[156:157], v[56:57], off
	s_or_b64 exec, exec, s[40:41]
	s_and_saveexec_b64 s[40:41], s[72:73]
	s_cbranch_execnz .LBB942_939
	s_branch .LBB942_940
.LBB942_958:                            ;   in Loop: Header=BB942_20 Depth=1
	s_waitcnt lgkmcnt(0)
	s_barrier
	s_mov_b64 s[20:21], 0
.LBB942_959:                            ;   in Loop: Header=BB942_20 Depth=1
	s_and_b64 vcc, exec, s[20:21]
	s_cbranch_vccz .LBB942_19
; %bb.960:                              ;   in Loop: Header=BB942_20 Depth=1
	s_mov_b32 s7, s91
	s_mov_b32 s94, s75
	s_barrier
	s_waitcnt lgkmcnt(0)
                                        ; implicit-def: $vgpr39
                                        ; implicit-def: $vgpr5
                                        ; implicit-def: $vgpr24
                                        ; implicit-def: $vgpr25
                                        ; implicit-def: $vgpr26
                                        ; implicit-def: $vgpr27
                                        ; implicit-def: $vgpr28
                                        ; implicit-def: $vgpr29
                                        ; implicit-def: $vgpr30
                                        ; implicit-def: $vgpr31
                                        ; implicit-def: $vgpr32
                                        ; implicit-def: $vgpr33
                                        ; implicit-def: $vgpr34
                                        ; implicit-def: $vgpr35
                                        ; implicit-def: $vgpr36
                                        ; implicit-def: $vgpr37
                                        ; implicit-def: $vgpr38
	s_branch .LBB942_962
.LBB942_961:                            ;   in Loop: Header=BB942_962 Depth=2
	s_or_b64 exec, exec, s[20:21]
	s_addk_i32 s7, 0xef00
	s_cmp_ge_u32 s8, s98
	s_mov_b32 s94, s8
	s_cbranch_scc1 .LBB942_1036
.LBB942_962:                            ;   Parent Loop BB942_20 Depth=1
                                        ; =>  This Inner Loop Header: Depth=2
	s_add_i32 s8, s94, 0x1100
	s_cmp_gt_u32 s8, s98
	s_cbranch_scc1 .LBB942_965
; %bb.963:                              ;   in Loop: Header=BB942_962 Depth=2
	s_lshl_b64 s[20:21], s[94:95], 1
	v_mov_b32_e32 v1, s21
	v_add_co_u32_e32 v0, vcc, s20, v84
	v_addc_co_u32_e32 v1, vcc, v85, v1, vcc
	s_waitcnt vmcnt(0)
	v_add_co_u32_e32 v56, vcc, s88, v0
	v_addc_co_u32_e32 v57, vcc, 0, v1, vcc
	global_load_ushort v41, v[0:1], off
	global_load_ushort v42, v[0:1], off offset:512
	global_load_ushort v43, v[0:1], off offset:1024
	;; [unrolled: 1-line block ×7, first 2 shown]
	global_load_ushort v49, v[56:57], off
	global_load_ushort v50, v[56:57], off offset:512
	global_load_ushort v51, v[56:57], off offset:1024
	global_load_ushort v52, v[56:57], off offset:1536
	global_load_ushort v53, v[56:57], off offset:2048
	global_load_ushort v54, v[56:57], off offset:2560
	global_load_ushort v55, v[56:57], off offset:3072
	s_nop 0
	global_load_ushort v56, v[56:57], off offset:3584
	v_add_co_u32_e32 v0, vcc, 0x2000, v0
	v_addc_co_u32_e32 v1, vcc, 0, v1, vcc
	s_mov_b64 s[20:21], -1
	s_movk_i32 s9, 0x1100
	s_cbranch_execz .LBB942_966
; %bb.964:                              ;   in Loop: Header=BB942_962 Depth=2
                                        ; implicit-def: $vgpr38
                                        ; implicit-def: $vgpr37
                                        ; implicit-def: $vgpr36
                                        ; implicit-def: $vgpr35
                                        ; implicit-def: $vgpr34
                                        ; implicit-def: $vgpr33
                                        ; implicit-def: $vgpr32
                                        ; implicit-def: $vgpr31
                                        ; implicit-def: $vgpr30
                                        ; implicit-def: $vgpr29
                                        ; implicit-def: $vgpr28
                                        ; implicit-def: $vgpr27
                                        ; implicit-def: $vgpr26
                                        ; implicit-def: $vgpr25
                                        ; implicit-def: $vgpr24
                                        ; implicit-def: $vgpr5
                                        ; implicit-def: $vgpr39
	v_mov_b32_e32 v40, s7
	s_and_saveexec_b64 s[22:23], s[20:21]
	s_cbranch_execnz .LBB942_1001
	s_branch .LBB942_1002
.LBB942_965:                            ;   in Loop: Header=BB942_962 Depth=2
	s_mov_b64 s[20:21], 0
                                        ; implicit-def: $sgpr9
                                        ; implicit-def: $vgpr41
                                        ; implicit-def: $vgpr42
                                        ; implicit-def: $vgpr43
                                        ; implicit-def: $vgpr44
                                        ; implicit-def: $vgpr45
                                        ; implicit-def: $vgpr46
                                        ; implicit-def: $vgpr47
                                        ; implicit-def: $vgpr48
                                        ; implicit-def: $vgpr49
                                        ; implicit-def: $vgpr50
                                        ; implicit-def: $vgpr51
                                        ; implicit-def: $vgpr52
                                        ; implicit-def: $vgpr53
                                        ; implicit-def: $vgpr54
                                        ; implicit-def: $vgpr55
                                        ; implicit-def: $vgpr56
                                        ; implicit-def: $vgpr0_vgpr1
.LBB942_966:                            ;   in Loop: Header=BB942_962 Depth=2
	s_lshl_b64 s[22:23], s[94:95], 1
	s_add_u32 s22, s76, s22
	s_addc_u32 s23, s77, s23
	v_cmp_gt_u32_e32 vcc, s7, v2
	s_and_saveexec_b64 s[24:25], vcc
	s_cbranch_execz .LBB942_982
; %bb.967:                              ;   in Loop: Header=BB942_962 Depth=2
	global_load_ushort v38, v92, s[22:23]
	s_or_b64 exec, exec, s[24:25]
	v_cmp_gt_u32_e32 vcc, s7, v7
	s_and_saveexec_b64 s[24:25], vcc
	s_cbranch_execnz .LBB942_983
.LBB942_968:                            ;   in Loop: Header=BB942_962 Depth=2
	s_or_b64 exec, exec, s[24:25]
	v_cmp_gt_u32_e32 vcc, s7, v13
	s_and_saveexec_b64 s[24:25], vcc
	s_cbranch_execz .LBB942_984
.LBB942_969:                            ;   in Loop: Header=BB942_962 Depth=2
	global_load_ushort v36, v92, s[22:23] offset:1024
	s_or_b64 exec, exec, s[24:25]
	v_cmp_gt_u32_e32 vcc, s7, v15
	s_and_saveexec_b64 s[24:25], vcc
	s_cbranch_execnz .LBB942_985
.LBB942_970:                            ;   in Loop: Header=BB942_962 Depth=2
	s_or_b64 exec, exec, s[24:25]
	v_cmp_gt_u32_e32 vcc, s7, v17
	s_and_saveexec_b64 s[24:25], vcc
	s_cbranch_execz .LBB942_986
.LBB942_971:                            ;   in Loop: Header=BB942_962 Depth=2
	global_load_ushort v34, v92, s[22:23] offset:2048
	s_or_b64 exec, exec, s[24:25]
	v_cmp_gt_u32_e32 vcc, s7, v19
	s_and_saveexec_b64 s[24:25], vcc
	s_cbranch_execnz .LBB942_987
.LBB942_972:                            ;   in Loop: Header=BB942_962 Depth=2
	s_or_b64 exec, exec, s[24:25]
	v_cmp_gt_u32_e32 vcc, s7, v21
	s_and_saveexec_b64 s[24:25], vcc
	s_cbranch_execz .LBB942_988
.LBB942_973:                            ;   in Loop: Header=BB942_962 Depth=2
	global_load_ushort v32, v92, s[22:23] offset:3072
	s_or_b64 exec, exec, s[24:25]
	v_cmp_gt_u32_e32 vcc, s7, v23
	s_and_saveexec_b64 s[24:25], vcc
	s_cbranch_execnz .LBB942_989
.LBB942_974:                            ;   in Loop: Header=BB942_962 Depth=2
	s_or_b64 exec, exec, s[24:25]
	v_cmp_gt_u32_e32 vcc, s7, v6
	s_and_saveexec_b64 s[24:25], vcc
	s_cbranch_execz .LBB942_990
.LBB942_975:                            ;   in Loop: Header=BB942_962 Depth=2
	global_load_ushort v30, v93, s[22:23]
	s_or_b64 exec, exec, s[24:25]
	v_cmp_gt_u32_e32 vcc, s7, v8
	s_and_saveexec_b64 s[24:25], vcc
	s_cbranch_execnz .LBB942_991
.LBB942_976:                            ;   in Loop: Header=BB942_962 Depth=2
	s_or_b64 exec, exec, s[24:25]
	v_cmp_gt_u32_e32 vcc, s7, v10
	s_and_saveexec_b64 s[24:25], vcc
	s_cbranch_execz .LBB942_992
.LBB942_977:                            ;   in Loop: Header=BB942_962 Depth=2
	global_load_ushort v28, v95, s[22:23]
	s_or_b64 exec, exec, s[24:25]
	v_cmp_gt_u32_e32 vcc, s7, v12
	s_and_saveexec_b64 s[24:25], vcc
	s_cbranch_execnz .LBB942_993
.LBB942_978:                            ;   in Loop: Header=BB942_962 Depth=2
	s_or_b64 exec, exec, s[24:25]
	v_cmp_gt_u32_e32 vcc, s7, v14
	s_and_saveexec_b64 s[24:25], vcc
	s_cbranch_execz .LBB942_994
.LBB942_979:                            ;   in Loop: Header=BB942_962 Depth=2
	global_load_ushort v26, v97, s[22:23]
	s_or_b64 exec, exec, s[24:25]
	v_cmp_gt_u32_e32 vcc, s7, v16
	s_and_saveexec_b64 s[24:25], vcc
	s_cbranch_execnz .LBB942_995
.LBB942_980:                            ;   in Loop: Header=BB942_962 Depth=2
	s_or_b64 exec, exec, s[24:25]
	v_cmp_gt_u32_e32 vcc, s7, v18
	s_and_saveexec_b64 s[24:25], vcc
	s_cbranch_execz .LBB942_996
.LBB942_981:                            ;   in Loop: Header=BB942_962 Depth=2
	global_load_ushort v24, v99, s[22:23]
	s_or_b64 exec, exec, s[24:25]
	v_cmp_gt_u32_e32 vcc, s7, v20
	s_and_saveexec_b64 s[24:25], vcc
	s_cbranch_execz .LBB942_998
	s_branch .LBB942_997
.LBB942_982:                            ;   in Loop: Header=BB942_962 Depth=2
	s_or_b64 exec, exec, s[24:25]
	v_cmp_gt_u32_e32 vcc, s7, v7
	s_and_saveexec_b64 s[24:25], vcc
	s_cbranch_execz .LBB942_968
.LBB942_983:                            ;   in Loop: Header=BB942_962 Depth=2
	global_load_ushort v37, v92, s[22:23] offset:512
	s_or_b64 exec, exec, s[24:25]
	v_cmp_gt_u32_e32 vcc, s7, v13
	s_and_saveexec_b64 s[24:25], vcc
	s_cbranch_execnz .LBB942_969
.LBB942_984:                            ;   in Loop: Header=BB942_962 Depth=2
	s_or_b64 exec, exec, s[24:25]
	v_cmp_gt_u32_e32 vcc, s7, v15
	s_and_saveexec_b64 s[24:25], vcc
	s_cbranch_execz .LBB942_970
.LBB942_985:                            ;   in Loop: Header=BB942_962 Depth=2
	global_load_ushort v35, v92, s[22:23] offset:1536
	s_or_b64 exec, exec, s[24:25]
	v_cmp_gt_u32_e32 vcc, s7, v17
	s_and_saveexec_b64 s[24:25], vcc
	s_cbranch_execnz .LBB942_971
.LBB942_986:                            ;   in Loop: Header=BB942_962 Depth=2
	s_or_b64 exec, exec, s[24:25]
	v_cmp_gt_u32_e32 vcc, s7, v19
	s_and_saveexec_b64 s[24:25], vcc
	s_cbranch_execz .LBB942_972
.LBB942_987:                            ;   in Loop: Header=BB942_962 Depth=2
	global_load_ushort v33, v92, s[22:23] offset:2560
	s_or_b64 exec, exec, s[24:25]
	v_cmp_gt_u32_e32 vcc, s7, v21
	s_and_saveexec_b64 s[24:25], vcc
	s_cbranch_execnz .LBB942_973
.LBB942_988:                            ;   in Loop: Header=BB942_962 Depth=2
	s_or_b64 exec, exec, s[24:25]
	v_cmp_gt_u32_e32 vcc, s7, v23
	s_and_saveexec_b64 s[24:25], vcc
	s_cbranch_execz .LBB942_974
.LBB942_989:                            ;   in Loop: Header=BB942_962 Depth=2
	global_load_ushort v31, v92, s[22:23] offset:3584
	s_or_b64 exec, exec, s[24:25]
	v_cmp_gt_u32_e32 vcc, s7, v6
	s_and_saveexec_b64 s[24:25], vcc
	s_cbranch_execnz .LBB942_975
.LBB942_990:                            ;   in Loop: Header=BB942_962 Depth=2
	s_or_b64 exec, exec, s[24:25]
	v_cmp_gt_u32_e32 vcc, s7, v8
	s_and_saveexec_b64 s[24:25], vcc
	s_cbranch_execz .LBB942_976
.LBB942_991:                            ;   in Loop: Header=BB942_962 Depth=2
	global_load_ushort v29, v94, s[22:23]
	s_or_b64 exec, exec, s[24:25]
	v_cmp_gt_u32_e32 vcc, s7, v10
	s_and_saveexec_b64 s[24:25], vcc
	s_cbranch_execnz .LBB942_977
.LBB942_992:                            ;   in Loop: Header=BB942_962 Depth=2
	s_or_b64 exec, exec, s[24:25]
	v_cmp_gt_u32_e32 vcc, s7, v12
	s_and_saveexec_b64 s[24:25], vcc
	s_cbranch_execz .LBB942_978
.LBB942_993:                            ;   in Loop: Header=BB942_962 Depth=2
	global_load_ushort v27, v96, s[22:23]
	s_or_b64 exec, exec, s[24:25]
	v_cmp_gt_u32_e32 vcc, s7, v14
	s_and_saveexec_b64 s[24:25], vcc
	s_cbranch_execnz .LBB942_979
.LBB942_994:                            ;   in Loop: Header=BB942_962 Depth=2
	s_or_b64 exec, exec, s[24:25]
	v_cmp_gt_u32_e32 vcc, s7, v16
	s_and_saveexec_b64 s[24:25], vcc
	s_cbranch_execz .LBB942_980
.LBB942_995:                            ;   in Loop: Header=BB942_962 Depth=2
	global_load_ushort v25, v98, s[22:23]
	s_or_b64 exec, exec, s[24:25]
	v_cmp_gt_u32_e32 vcc, s7, v18
	s_and_saveexec_b64 s[24:25], vcc
	s_cbranch_execnz .LBB942_981
.LBB942_996:                            ;   in Loop: Header=BB942_962 Depth=2
	s_or_b64 exec, exec, s[24:25]
	v_cmp_gt_u32_e32 vcc, s7, v20
	s_and_saveexec_b64 s[24:25], vcc
	s_cbranch_execz .LBB942_998
.LBB942_997:                            ;   in Loop: Header=BB942_962 Depth=2
	global_load_ushort v5, v100, s[22:23]
.LBB942_998:                            ;   in Loop: Header=BB942_962 Depth=2
	s_or_b64 exec, exec, s[24:25]
	v_cmp_gt_u32_e32 vcc, s7, v22
                                        ; implicit-def: $sgpr9
                                        ; implicit-def: $vgpr0_vgpr1
	s_and_saveexec_b64 s[24:25], vcc
; %bb.999:                              ;   in Loop: Header=BB942_962 Depth=2
	v_mov_b32_e32 v1, s23
	v_add_co_u32_e32 v0, vcc, s22, v101
	s_sub_i32 s9, s98, s94
	v_addc_co_u32_e32 v1, vcc, 0, v1, vcc
	s_or_b64 s[20:21], s[20:21], exec
                                        ; implicit-def: $vgpr39
; %bb.1000:                             ;   in Loop: Header=BB942_962 Depth=2
	s_or_b64 exec, exec, s[24:25]
	s_waitcnt vmcnt(0)
	v_mov_b32_e32 v41, v38
	v_mov_b32_e32 v42, v37
	;; [unrolled: 1-line block ×17, first 2 shown]
	s_and_saveexec_b64 s[22:23], s[20:21]
	s_cbranch_execz .LBB942_1002
.LBB942_1001:                           ;   in Loop: Header=BB942_962 Depth=2
	global_load_ushort v39, v[0:1], off
	v_mov_b32_e32 v40, s9
	s_waitcnt vmcnt(1)
	v_mov_b32_e32 v5, v56
	v_mov_b32_e32 v24, v55
	;; [unrolled: 1-line block ×16, first 2 shown]
.LBB942_1002:                           ;   in Loop: Header=BB942_962 Depth=2
	s_or_b64 exec, exec, s[22:23]
	v_cmp_lt_u32_e32 vcc, v2, v40
	s_and_saveexec_b64 s[20:21], vcc
	s_cbranch_execz .LBB942_1019
; %bb.1003:                             ;   in Loop: Header=BB942_962 Depth=2
	v_xor_b32_e32 v0, 0x7fff, v38
	v_lshrrev_b32_sdwa v0, s89, v0 dst_sel:DWORD dst_unused:UNUSED_PAD src0_sel:DWORD src1_sel:WORD_0
	v_and_b32_e32 v0, s6, v0
	v_lshl_or_b32 v0, v0, 4, v90
	ds_add_u32 v0, v91
	s_or_b64 exec, exec, s[20:21]
	v_cmp_lt_u32_e32 vcc, v7, v40
	s_and_saveexec_b64 s[20:21], vcc
	s_cbranch_execnz .LBB942_1020
.LBB942_1004:                           ;   in Loop: Header=BB942_962 Depth=2
	s_or_b64 exec, exec, s[20:21]
	v_cmp_lt_u32_e32 vcc, v13, v40
	s_and_saveexec_b64 s[20:21], vcc
	s_cbranch_execz .LBB942_1021
.LBB942_1005:                           ;   in Loop: Header=BB942_962 Depth=2
	v_xor_b32_e32 v0, 0x7fff, v36
	v_lshrrev_b32_sdwa v0, s89, v0 dst_sel:DWORD dst_unused:UNUSED_PAD src0_sel:DWORD src1_sel:WORD_0
	v_and_b32_e32 v0, s6, v0
	v_lshl_or_b32 v0, v0, 4, v90
	ds_add_u32 v0, v91
	s_or_b64 exec, exec, s[20:21]
	v_cmp_lt_u32_e32 vcc, v15, v40
	s_and_saveexec_b64 s[20:21], vcc
	s_cbranch_execnz .LBB942_1022
.LBB942_1006:                           ;   in Loop: Header=BB942_962 Depth=2
	s_or_b64 exec, exec, s[20:21]
	v_cmp_lt_u32_e32 vcc, v17, v40
	s_and_saveexec_b64 s[20:21], vcc
	s_cbranch_execz .LBB942_1023
.LBB942_1007:                           ;   in Loop: Header=BB942_962 Depth=2
	v_xor_b32_e32 v0, 0x7fff, v34
	v_lshrrev_b32_sdwa v0, s89, v0 dst_sel:DWORD dst_unused:UNUSED_PAD src0_sel:DWORD src1_sel:WORD_0
	v_and_b32_e32 v0, s6, v0
	v_lshl_or_b32 v0, v0, 4, v90
	ds_add_u32 v0, v91
	s_or_b64 exec, exec, s[20:21]
	v_cmp_lt_u32_e32 vcc, v19, v40
	s_and_saveexec_b64 s[20:21], vcc
	s_cbranch_execnz .LBB942_1024
.LBB942_1008:                           ;   in Loop: Header=BB942_962 Depth=2
	s_or_b64 exec, exec, s[20:21]
	v_cmp_lt_u32_e32 vcc, v21, v40
	s_and_saveexec_b64 s[20:21], vcc
	s_cbranch_execz .LBB942_1025
.LBB942_1009:                           ;   in Loop: Header=BB942_962 Depth=2
	v_xor_b32_e32 v0, 0x7fff, v32
	v_lshrrev_b32_sdwa v0, s89, v0 dst_sel:DWORD dst_unused:UNUSED_PAD src0_sel:DWORD src1_sel:WORD_0
	v_and_b32_e32 v0, s6, v0
	v_lshl_or_b32 v0, v0, 4, v90
	ds_add_u32 v0, v91
	s_or_b64 exec, exec, s[20:21]
	v_cmp_lt_u32_e32 vcc, v23, v40
	s_and_saveexec_b64 s[20:21], vcc
	s_cbranch_execnz .LBB942_1026
.LBB942_1010:                           ;   in Loop: Header=BB942_962 Depth=2
	s_or_b64 exec, exec, s[20:21]
	v_cmp_lt_u32_e32 vcc, v6, v40
	s_and_saveexec_b64 s[20:21], vcc
	s_cbranch_execz .LBB942_1027
.LBB942_1011:                           ;   in Loop: Header=BB942_962 Depth=2
	v_xor_b32_e32 v0, 0x7fff, v30
	v_lshrrev_b32_sdwa v0, s89, v0 dst_sel:DWORD dst_unused:UNUSED_PAD src0_sel:DWORD src1_sel:WORD_0
	v_and_b32_e32 v0, s6, v0
	v_lshl_or_b32 v0, v0, 4, v90
	ds_add_u32 v0, v91
	s_or_b64 exec, exec, s[20:21]
	v_cmp_lt_u32_e32 vcc, v8, v40
	s_and_saveexec_b64 s[20:21], vcc
	s_cbranch_execnz .LBB942_1028
.LBB942_1012:                           ;   in Loop: Header=BB942_962 Depth=2
	s_or_b64 exec, exec, s[20:21]
	v_cmp_lt_u32_e32 vcc, v10, v40
	s_and_saveexec_b64 s[20:21], vcc
	s_cbranch_execz .LBB942_1029
.LBB942_1013:                           ;   in Loop: Header=BB942_962 Depth=2
	v_xor_b32_e32 v0, 0x7fff, v28
	v_lshrrev_b32_sdwa v0, s89, v0 dst_sel:DWORD dst_unused:UNUSED_PAD src0_sel:DWORD src1_sel:WORD_0
	v_and_b32_e32 v0, s6, v0
	v_lshl_or_b32 v0, v0, 4, v90
	ds_add_u32 v0, v91
	s_or_b64 exec, exec, s[20:21]
	v_cmp_lt_u32_e32 vcc, v12, v40
	s_and_saveexec_b64 s[20:21], vcc
	s_cbranch_execnz .LBB942_1030
.LBB942_1014:                           ;   in Loop: Header=BB942_962 Depth=2
	s_or_b64 exec, exec, s[20:21]
	v_cmp_lt_u32_e32 vcc, v14, v40
	s_and_saveexec_b64 s[20:21], vcc
	s_cbranch_execz .LBB942_1031
.LBB942_1015:                           ;   in Loop: Header=BB942_962 Depth=2
	v_xor_b32_e32 v0, 0x7fff, v26
	v_lshrrev_b32_sdwa v0, s89, v0 dst_sel:DWORD dst_unused:UNUSED_PAD src0_sel:DWORD src1_sel:WORD_0
	v_and_b32_e32 v0, s6, v0
	v_lshl_or_b32 v0, v0, 4, v90
	ds_add_u32 v0, v91
	s_or_b64 exec, exec, s[20:21]
	v_cmp_lt_u32_e32 vcc, v16, v40
	s_and_saveexec_b64 s[20:21], vcc
	s_cbranch_execnz .LBB942_1032
.LBB942_1016:                           ;   in Loop: Header=BB942_962 Depth=2
	s_or_b64 exec, exec, s[20:21]
	v_cmp_lt_u32_e32 vcc, v18, v40
	s_and_saveexec_b64 s[20:21], vcc
	s_cbranch_execz .LBB942_1033
.LBB942_1017:                           ;   in Loop: Header=BB942_962 Depth=2
	v_xor_b32_e32 v0, 0x7fff, v24
	v_lshrrev_b32_sdwa v0, s89, v0 dst_sel:DWORD dst_unused:UNUSED_PAD src0_sel:DWORD src1_sel:WORD_0
	v_and_b32_e32 v0, s6, v0
	v_lshl_or_b32 v0, v0, 4, v90
	ds_add_u32 v0, v91
	s_or_b64 exec, exec, s[20:21]
	v_cmp_lt_u32_e32 vcc, v20, v40
	s_and_saveexec_b64 s[20:21], vcc
	s_cbranch_execnz .LBB942_1034
.LBB942_1018:                           ;   in Loop: Header=BB942_962 Depth=2
	s_or_b64 exec, exec, s[20:21]
	v_cmp_lt_u32_e32 vcc, v22, v40
	s_and_saveexec_b64 s[20:21], vcc
	s_cbranch_execz .LBB942_961
	s_branch .LBB942_1035
.LBB942_1019:                           ;   in Loop: Header=BB942_962 Depth=2
	s_or_b64 exec, exec, s[20:21]
	v_cmp_lt_u32_e32 vcc, v7, v40
	s_and_saveexec_b64 s[20:21], vcc
	s_cbranch_execz .LBB942_1004
.LBB942_1020:                           ;   in Loop: Header=BB942_962 Depth=2
	v_xor_b32_e32 v0, 0x7fff, v37
	v_lshrrev_b32_sdwa v0, s89, v0 dst_sel:DWORD dst_unused:UNUSED_PAD src0_sel:DWORD src1_sel:WORD_0
	v_and_b32_e32 v0, s6, v0
	v_lshl_or_b32 v0, v0, 4, v90
	ds_add_u32 v0, v91
	s_or_b64 exec, exec, s[20:21]
	v_cmp_lt_u32_e32 vcc, v13, v40
	s_and_saveexec_b64 s[20:21], vcc
	s_cbranch_execnz .LBB942_1005
.LBB942_1021:                           ;   in Loop: Header=BB942_962 Depth=2
	s_or_b64 exec, exec, s[20:21]
	v_cmp_lt_u32_e32 vcc, v15, v40
	s_and_saveexec_b64 s[20:21], vcc
	s_cbranch_execz .LBB942_1006
.LBB942_1022:                           ;   in Loop: Header=BB942_962 Depth=2
	v_xor_b32_e32 v0, 0x7fff, v35
	v_lshrrev_b32_sdwa v0, s89, v0 dst_sel:DWORD dst_unused:UNUSED_PAD src0_sel:DWORD src1_sel:WORD_0
	v_and_b32_e32 v0, s6, v0
	v_lshl_or_b32 v0, v0, 4, v90
	ds_add_u32 v0, v91
	s_or_b64 exec, exec, s[20:21]
	v_cmp_lt_u32_e32 vcc, v17, v40
	s_and_saveexec_b64 s[20:21], vcc
	s_cbranch_execnz .LBB942_1007
.LBB942_1023:                           ;   in Loop: Header=BB942_962 Depth=2
	s_or_b64 exec, exec, s[20:21]
	v_cmp_lt_u32_e32 vcc, v19, v40
	s_and_saveexec_b64 s[20:21], vcc
	s_cbranch_execz .LBB942_1008
.LBB942_1024:                           ;   in Loop: Header=BB942_962 Depth=2
	v_xor_b32_e32 v0, 0x7fff, v33
	v_lshrrev_b32_sdwa v0, s89, v0 dst_sel:DWORD dst_unused:UNUSED_PAD src0_sel:DWORD src1_sel:WORD_0
	v_and_b32_e32 v0, s6, v0
	v_lshl_or_b32 v0, v0, 4, v90
	ds_add_u32 v0, v91
	s_or_b64 exec, exec, s[20:21]
	v_cmp_lt_u32_e32 vcc, v21, v40
	s_and_saveexec_b64 s[20:21], vcc
	s_cbranch_execnz .LBB942_1009
.LBB942_1025:                           ;   in Loop: Header=BB942_962 Depth=2
	s_or_b64 exec, exec, s[20:21]
	v_cmp_lt_u32_e32 vcc, v23, v40
	s_and_saveexec_b64 s[20:21], vcc
	s_cbranch_execz .LBB942_1010
.LBB942_1026:                           ;   in Loop: Header=BB942_962 Depth=2
	v_xor_b32_e32 v0, 0x7fff, v31
	v_lshrrev_b32_sdwa v0, s89, v0 dst_sel:DWORD dst_unused:UNUSED_PAD src0_sel:DWORD src1_sel:WORD_0
	v_and_b32_e32 v0, s6, v0
	v_lshl_or_b32 v0, v0, 4, v90
	ds_add_u32 v0, v91
	s_or_b64 exec, exec, s[20:21]
	v_cmp_lt_u32_e32 vcc, v6, v40
	s_and_saveexec_b64 s[20:21], vcc
	s_cbranch_execnz .LBB942_1011
.LBB942_1027:                           ;   in Loop: Header=BB942_962 Depth=2
	s_or_b64 exec, exec, s[20:21]
	v_cmp_lt_u32_e32 vcc, v8, v40
	s_and_saveexec_b64 s[20:21], vcc
	s_cbranch_execz .LBB942_1012
.LBB942_1028:                           ;   in Loop: Header=BB942_962 Depth=2
	v_xor_b32_e32 v0, 0x7fff, v29
	v_lshrrev_b32_sdwa v0, s89, v0 dst_sel:DWORD dst_unused:UNUSED_PAD src0_sel:DWORD src1_sel:WORD_0
	v_and_b32_e32 v0, s6, v0
	v_lshl_or_b32 v0, v0, 4, v90
	ds_add_u32 v0, v91
	s_or_b64 exec, exec, s[20:21]
	v_cmp_lt_u32_e32 vcc, v10, v40
	s_and_saveexec_b64 s[20:21], vcc
	s_cbranch_execnz .LBB942_1013
.LBB942_1029:                           ;   in Loop: Header=BB942_962 Depth=2
	s_or_b64 exec, exec, s[20:21]
	v_cmp_lt_u32_e32 vcc, v12, v40
	s_and_saveexec_b64 s[20:21], vcc
	s_cbranch_execz .LBB942_1014
.LBB942_1030:                           ;   in Loop: Header=BB942_962 Depth=2
	v_xor_b32_e32 v0, 0x7fff, v27
	v_lshrrev_b32_sdwa v0, s89, v0 dst_sel:DWORD dst_unused:UNUSED_PAD src0_sel:DWORD src1_sel:WORD_0
	v_and_b32_e32 v0, s6, v0
	v_lshl_or_b32 v0, v0, 4, v90
	ds_add_u32 v0, v91
	s_or_b64 exec, exec, s[20:21]
	v_cmp_lt_u32_e32 vcc, v14, v40
	s_and_saveexec_b64 s[20:21], vcc
	s_cbranch_execnz .LBB942_1015
.LBB942_1031:                           ;   in Loop: Header=BB942_962 Depth=2
	s_or_b64 exec, exec, s[20:21]
	v_cmp_lt_u32_e32 vcc, v16, v40
	s_and_saveexec_b64 s[20:21], vcc
	s_cbranch_execz .LBB942_1016
.LBB942_1032:                           ;   in Loop: Header=BB942_962 Depth=2
	v_xor_b32_e32 v0, 0x7fff, v25
	v_lshrrev_b32_sdwa v0, s89, v0 dst_sel:DWORD dst_unused:UNUSED_PAD src0_sel:DWORD src1_sel:WORD_0
	v_and_b32_e32 v0, s6, v0
	v_lshl_or_b32 v0, v0, 4, v90
	ds_add_u32 v0, v91
	s_or_b64 exec, exec, s[20:21]
	v_cmp_lt_u32_e32 vcc, v18, v40
	s_and_saveexec_b64 s[20:21], vcc
	s_cbranch_execnz .LBB942_1017
.LBB942_1033:                           ;   in Loop: Header=BB942_962 Depth=2
	s_or_b64 exec, exec, s[20:21]
	v_cmp_lt_u32_e32 vcc, v20, v40
	s_and_saveexec_b64 s[20:21], vcc
	s_cbranch_execz .LBB942_1018
.LBB942_1034:                           ;   in Loop: Header=BB942_962 Depth=2
	v_xor_b32_e32 v0, 0x7fff, v5
	v_lshrrev_b32_sdwa v0, s89, v0 dst_sel:DWORD dst_unused:UNUSED_PAD src0_sel:DWORD src1_sel:WORD_0
	v_and_b32_e32 v0, s6, v0
	v_lshl_or_b32 v0, v0, 4, v90
	ds_add_u32 v0, v91
	s_or_b64 exec, exec, s[20:21]
	v_cmp_lt_u32_e32 vcc, v22, v40
	s_and_saveexec_b64 s[20:21], vcc
	s_cbranch_execz .LBB942_961
.LBB942_1035:                           ;   in Loop: Header=BB942_962 Depth=2
	s_waitcnt vmcnt(0)
	v_xor_b32_e32 v0, 0x7fff, v39
	v_lshrrev_b32_sdwa v0, s89, v0 dst_sel:DWORD dst_unused:UNUSED_PAD src0_sel:DWORD src1_sel:WORD_0
	v_and_b32_e32 v0, s6, v0
	v_lshl_or_b32 v0, v0, 4, v90
	ds_add_u32 v0, v91
	s_branch .LBB942_961
.LBB942_1036:                           ;   in Loop: Header=BB942_20 Depth=1
	v_mov_b32_e32 v0, 0
	s_waitcnt lgkmcnt(0)
	s_barrier
	s_and_saveexec_b64 s[20:21], s[4:5]
	s_cbranch_execz .LBB942_1038
; %bb.1037:                             ;   in Loop: Header=BB942_20 Depth=1
	ds_read2_b64 v[24:27], v59 offset1:1
	s_waitcnt lgkmcnt(0)
	v_add_u32_e32 v0, v25, v24
	v_add3_u32 v0, v0, v26, v27
.LBB942_1038:                           ;   in Loop: Header=BB942_20 Depth=1
	s_or_b64 exec, exec, s[20:21]
	s_nop 0
	v_mov_b32_dpp v1, v0 row_shr:1 row_mask:0xf bank_mask:0xf
	v_cmp_eq_u32_e64 s[20:21], 0, v103
	v_cndmask_b32_e64 v1, v1, 0, s[20:21]
	v_add_u32_e32 v0, v1, v0
	v_cmp_lt_u32_e64 s[22:23], 1, v103
	v_cmp_lt_u32_e64 s[24:25], 3, v103
	v_mov_b32_dpp v1, v0 row_shr:2 row_mask:0xf bank_mask:0xf
	v_cndmask_b32_e64 v1, 0, v1, s[22:23]
	v_add_u32_e32 v0, v0, v1
	v_cmp_lt_u32_e64 s[26:27], 7, v103
	v_cmp_lt_u32_e64 s[30:31], 31, v102
	v_mov_b32_dpp v1, v0 row_shr:4 row_mask:0xf bank_mask:0xf
	v_cndmask_b32_e64 v1, 0, v1, s[24:25]
	v_add_u32_e32 v0, v0, v1
	v_cmp_eq_u32_e64 s[28:29], 0, v105
	s_nop 0
	v_mov_b32_dpp v1, v0 row_shr:8 row_mask:0xf bank_mask:0xf
	v_cndmask_b32_e64 v1, 0, v1, s[26:27]
	v_add_u32_e32 v0, v0, v1
	s_nop 1
	v_mov_b32_dpp v1, v0 row_bcast:15 row_mask:0xf bank_mask:0xf
	v_and_b32_e32 v1, v104, v1
	v_add_u32_e32 v0, v0, v1
	s_nop 1
	v_mov_b32_dpp v1, v0 row_bcast:31 row_mask:0xf bank_mask:0xf
	v_cndmask_b32_e64 v1, 0, v1, s[30:31]
	v_add_u32_e32 v0, v0, v1
	s_mov_b64 s[34:35], exec
	v_readlane_b32 s8, v232, 0
	v_readlane_b32 s9, v232, 1
	s_and_b64 s[8:9], s[34:35], s[8:9]
	s_mov_b64 exec, s[8:9]
	s_cbranch_execz .LBB942_1040
; %bb.1039:                             ;   in Loop: Header=BB942_20 Depth=1
	ds_write_b32 v61, v0
.LBB942_1040:                           ;   in Loop: Header=BB942_20 Depth=1
	s_or_b64 exec, exec, s[34:35]
	s_waitcnt lgkmcnt(0)
	s_barrier
	s_mov_b64 s[34:35], exec
	v_readlane_b32 s8, v232, 2
	v_readlane_b32 s9, v232, 3
	s_and_b64 s[8:9], s[34:35], s[8:9]
	s_mov_b64 exec, s[8:9]
	s_cbranch_execz .LBB942_1042
; %bb.1041:                             ;   in Loop: Header=BB942_20 Depth=1
	ds_read_b32 v1, v62
	s_waitcnt lgkmcnt(0)
	s_nop 0
	v_mov_b32_dpp v5, v1 row_shr:1 row_mask:0xf bank_mask:0xf
	v_and_b32_e32 v5, v106, v5
	v_add_u32_e32 v1, v5, v1
	ds_write_b32 v62, v1
.LBB942_1042:                           ;   in Loop: Header=BB942_20 Depth=1
	s_or_b64 exec, exec, s[34:35]
	v_mov_b32_e32 v1, 0
	s_waitcnt lgkmcnt(0)
	s_barrier
	s_and_saveexec_b64 s[34:35], s[10:11]
	s_cbranch_execz .LBB942_1044
; %bb.1043:                             ;   in Loop: Header=BB942_20 Depth=1
	ds_read_b32 v1, v63
.LBB942_1044:                           ;   in Loop: Header=BB942_20 Depth=1
	s_or_b64 exec, exec, s[34:35]
	v_cmp_lt_i32_e32 vcc, v107, v108
	v_cndmask_b32_e32 v5, v107, v102, vcc
	s_waitcnt lgkmcnt(0)
	v_add_u32_e32 v0, v1, v0
	v_lshlrev_b32_e32 v129, 2, v5
	ds_bpermute_b32 v0, v129, v0
	v_cmp_eq_u32_e64 s[34:35], 0, v102
	s_waitcnt lgkmcnt(0)
	s_barrier
	s_and_saveexec_b64 s[36:37], s[4:5]
	s_cbranch_execz .LBB942_1046
; %bb.1045:                             ;   in Loop: Header=BB942_20 Depth=1
	v_cndmask_b32_e64 v0, v0, v1, s[34:35]
	v_add_u32_e32 v0, s75, v0
	ds_write_b32 v3, v0
.LBB942_1046:                           ;   in Loop: Header=BB942_20 Depth=1
	s_or_b64 exec, exec, s[36:37]
	s_load_dwordx2 s[8:9], s[96:97], 0x0
	v_add_co_u32_e32 v130, vcc, v86, v110
	v_addc_co_u32_e32 v131, vcc, 0, v87, vcc
	s_waitcnt lgkmcnt(0)
	s_cmp_lt_u32 s74, s8
	s_cselect_b32 s7, 12, 18
	s_cmp_lt_u32 s33, s9
	s_cselect_b32 s8, 14, 20
	s_add_u32 s8, s96, s8
	s_addc_u32 s9, s97, 0
	s_add_u32 s36, s96, s7
	global_load_ushort v5, v4, s[8:9]
	s_addc_u32 s37, s97, 0
	global_load_ushort v56, v4, s[36:37]
	v_add_co_u32_e32 v132, vcc, v88, v128
	v_addc_co_u32_e32 v133, vcc, 0, v89, vcc
	v_add_co_u32_e32 v148, vcc, 0x800, v132
	v_cmp_eq_u32_e64 s[36:37], 0, v109
	v_cmp_lt_u32_e64 s[38:39], 1, v109
	s_mov_b32 s7, s91
	v_addc_co_u32_e32 v151, vcc, 0, v133, vcc
	s_mov_b32 s94, s75
                                        ; implicit-def: $vgpr0_vgpr1
                                        ; implicit-def: $vgpr24_vgpr25
                                        ; implicit-def: $vgpr26_vgpr27
                                        ; implicit-def: $vgpr28_vgpr29
                                        ; implicit-def: $vgpr32_vgpr33
                                        ; implicit-def: $vgpr36_vgpr37
                                        ; implicit-def: $vgpr40_vgpr41
                                        ; implicit-def: $vgpr44_vgpr45
                                        ; implicit-def: $vgpr48_vgpr49
                                        ; implicit-def: $vgpr30_vgpr31
                                        ; implicit-def: $vgpr34_vgpr35
                                        ; implicit-def: $vgpr38_vgpr39
                                        ; implicit-def: $vgpr42_vgpr43
                                        ; implicit-def: $vgpr46_vgpr47
                                        ; implicit-def: $vgpr50_vgpr51
                                        ; implicit-def: $vgpr52_vgpr53
                                        ; implicit-def: $vgpr54_vgpr55
                                        ; implicit-def: $vgpr134
                                        ; implicit-def: $vgpr135
                                        ; implicit-def: $vgpr136
                                        ; implicit-def: $vgpr137
                                        ; implicit-def: $vgpr138
                                        ; implicit-def: $vgpr139
                                        ; implicit-def: $vgpr140
                                        ; implicit-def: $vgpr141
                                        ; implicit-def: $vgpr142
                                        ; implicit-def: $vgpr143
                                        ; implicit-def: $vgpr144
                                        ; implicit-def: $vgpr145
                                        ; implicit-def: $vgpr146
                                        ; implicit-def: $vgpr147
                                        ; implicit-def: $vgpr149
                                        ; implicit-def: $vgpr150
                                        ; implicit-def: $vgpr152
                                        ; implicit-def: $vgpr154
                                        ; implicit-def: $vgpr155
	s_waitcnt vmcnt(1)
	v_mad_u32_u24 v5, v64, v5, v65
	s_waitcnt vmcnt(0)
	v_mad_u64_u32 v[56:57], s[8:9], v5, v56, v[2:3]
	v_lshrrev_b32_e32 v153, 6, v56
	s_branch .LBB942_1048
.LBB942_1047:                           ;   in Loop: Header=BB942_1048 Depth=2
	s_or_b64 exec, exec, s[40:41]
	s_addk_i32 s7, 0xef00
	s_cmp_lt_u32 s8, s98
	s_mov_b32 s94, s8
	s_cbranch_scc0 .LBB942_18
.LBB942_1048:                           ;   Parent Loop BB942_20 Depth=1
                                        ; =>  This Inner Loop Header: Depth=2
	s_add_i32 s8, s94, 0x1100
	s_cmp_gt_u32 s8, s98
	s_cbranch_scc1 .LBB942_1051
; %bb.1049:                             ;   in Loop: Header=BB942_1048 Depth=2
	s_lshl_b64 s[40:41], s[94:95], 1
	v_mov_b32_e32 v5, s41
	v_add_co_u32_e32 v56, vcc, s40, v132
	v_addc_co_u32_e32 v57, vcc, v133, v5, vcc
	global_load_ushort v5, v[56:57], off
	global_load_ushort v160, v[56:57], off offset:128
	global_load_ushort v165, v[56:57], off offset:256
	;; [unrolled: 1-line block ×15, first 2 shown]
	s_mov_b64 s[40:41], -1
	s_movk_i32 s9, 0x1100
	s_cbranch_execz .LBB942_1052
; %bb.1050:                             ;   in Loop: Header=BB942_1048 Depth=2
                                        ; implicit-def: $sgpr42
	v_mov_b32_e32 v166, s42
	v_mov_b32_e32 v156, s7
	s_and_saveexec_b64 s[42:43], s[40:41]
	s_cbranch_execnz .LBB942_1085
	s_branch .LBB942_1086
.LBB942_1051:                           ;   in Loop: Header=BB942_1048 Depth=2
	s_mov_b64 s[40:41], 0
                                        ; implicit-def: $sgpr9
                                        ; implicit-def: $vgpr5
                                        ; implicit-def: $vgpr160
                                        ; implicit-def: $vgpr165
                                        ; implicit-def: $vgpr171
                                        ; implicit-def: $vgpr176
                                        ; implicit-def: $vgpr181
                                        ; implicit-def: $vgpr186
                                        ; implicit-def: $vgpr191
                                        ; implicit-def: $vgpr193
                                        ; implicit-def: $vgpr188
                                        ; implicit-def: $vgpr184
                                        ; implicit-def: $vgpr179
                                        ; implicit-def: $vgpr174
                                        ; implicit-def: $vgpr169
                                        ; implicit-def: $vgpr164
                                        ; implicit-def: $vgpr159
.LBB942_1052:                           ;   in Loop: Header=BB942_1048 Depth=2
	s_lshl_b64 s[40:41], s[94:95], 1
	s_waitcnt vmcnt(15)
	v_mov_b32_e32 v5, s41
	v_add_co_u32_e32 v56, vcc, s40, v132
	v_addc_co_u32_e32 v57, vcc, v133, v5, vcc
	v_cmp_gt_u32_e32 vcc, s7, v111
	s_waitcnt vmcnt(14)
	v_mov_b32_e32 v160, 0xffff8000
	v_mov_b32_e32 v5, 0xffff8000
	s_and_saveexec_b64 s[40:41], vcc
	s_cbranch_execz .LBB942_1054
; %bb.1053:                             ;   in Loop: Header=BB942_1048 Depth=2
	global_load_ushort v5, v[56:57], off
.LBB942_1054:                           ;   in Loop: Header=BB942_1048 Depth=2
	s_or_b64 exec, exec, s[40:41]
	v_cmp_gt_u32_e32 vcc, s7, v112
	s_and_saveexec_b64 s[40:41], vcc
	s_cbranch_execz .LBB942_1056
; %bb.1055:                             ;   in Loop: Header=BB942_1048 Depth=2
	global_load_ushort v160, v[56:57], off offset:128
.LBB942_1056:                           ;   in Loop: Header=BB942_1048 Depth=2
	s_or_b64 exec, exec, s[40:41]
	v_cmp_gt_u32_e32 vcc, s7, v113
	s_waitcnt vmcnt(12)
	v_mov_b32_e32 v171, 0xffff8000
	v_mov_b32_e32 v165, 0xffff8000
	s_and_saveexec_b64 s[40:41], vcc
	s_cbranch_execz .LBB942_1058
; %bb.1057:                             ;   in Loop: Header=BB942_1048 Depth=2
	global_load_ushort v165, v[56:57], off offset:256
.LBB942_1058:                           ;   in Loop: Header=BB942_1048 Depth=2
	s_or_b64 exec, exec, s[40:41]
	v_cmp_gt_u32_e32 vcc, s7, v114
	s_and_saveexec_b64 s[40:41], vcc
	s_cbranch_execz .LBB942_1060
; %bb.1059:                             ;   in Loop: Header=BB942_1048 Depth=2
	global_load_ushort v171, v[56:57], off offset:384
.LBB942_1060:                           ;   in Loop: Header=BB942_1048 Depth=2
	s_or_b64 exec, exec, s[40:41]
	v_cmp_gt_u32_e32 vcc, s7, v115
	s_waitcnt vmcnt(10)
	v_mov_b32_e32 v181, 0xffff8000
	v_mov_b32_e32 v176, 0xffff8000
	s_and_saveexec_b64 s[40:41], vcc
	s_cbranch_execz .LBB942_1062
; %bb.1061:                             ;   in Loop: Header=BB942_1048 Depth=2
	global_load_ushort v176, v[56:57], off offset:512
.LBB942_1062:                           ;   in Loop: Header=BB942_1048 Depth=2
	s_or_b64 exec, exec, s[40:41]
	v_cmp_gt_u32_e32 vcc, s7, v116
	s_and_saveexec_b64 s[40:41], vcc
	s_cbranch_execz .LBB942_1064
; %bb.1063:                             ;   in Loop: Header=BB942_1048 Depth=2
	global_load_ushort v181, v[56:57], off offset:640
.LBB942_1064:                           ;   in Loop: Header=BB942_1048 Depth=2
	s_or_b64 exec, exec, s[40:41]
	v_cmp_gt_u32_e32 vcc, s7, v117
	s_waitcnt vmcnt(8)
	v_mov_b32_e32 v191, 0xffff8000
	v_mov_b32_e32 v186, 0xffff8000
	s_and_saveexec_b64 s[40:41], vcc
	s_cbranch_execz .LBB942_1066
; %bb.1065:                             ;   in Loop: Header=BB942_1048 Depth=2
	global_load_ushort v186, v[56:57], off offset:768
.LBB942_1066:                           ;   in Loop: Header=BB942_1048 Depth=2
	s_or_b64 exec, exec, s[40:41]
	v_cmp_gt_u32_e32 vcc, s7, v118
	s_and_saveexec_b64 s[40:41], vcc
	s_cbranch_execz .LBB942_1068
; %bb.1067:                             ;   in Loop: Header=BB942_1048 Depth=2
	global_load_ushort v191, v[56:57], off offset:896
.LBB942_1068:                           ;   in Loop: Header=BB942_1048 Depth=2
	s_or_b64 exec, exec, s[40:41]
	v_cmp_gt_u32_e32 vcc, s7, v119
	s_waitcnt vmcnt(6)
	v_mov_b32_e32 v188, 0xffff8000
	v_mov_b32_e32 v193, 0xffff8000
	s_and_saveexec_b64 s[40:41], vcc
	s_cbranch_execz .LBB942_1070
; %bb.1069:                             ;   in Loop: Header=BB942_1048 Depth=2
	global_load_ushort v193, v[56:57], off offset:1024
.LBB942_1070:                           ;   in Loop: Header=BB942_1048 Depth=2
	s_or_b64 exec, exec, s[40:41]
	v_cmp_gt_u32_e32 vcc, s7, v120
	s_and_saveexec_b64 s[40:41], vcc
	s_cbranch_execz .LBB942_1072
; %bb.1071:                             ;   in Loop: Header=BB942_1048 Depth=2
	global_load_ushort v188, v[56:57], off offset:1152
.LBB942_1072:                           ;   in Loop: Header=BB942_1048 Depth=2
	s_or_b64 exec, exec, s[40:41]
	v_cmp_gt_u32_e32 vcc, s7, v121
	s_waitcnt vmcnt(4)
	v_mov_b32_e32 v179, 0xffff8000
	v_mov_b32_e32 v184, 0xffff8000
	s_and_saveexec_b64 s[40:41], vcc
	s_cbranch_execz .LBB942_1074
; %bb.1073:                             ;   in Loop: Header=BB942_1048 Depth=2
	global_load_ushort v184, v[56:57], off offset:1280
.LBB942_1074:                           ;   in Loop: Header=BB942_1048 Depth=2
	s_or_b64 exec, exec, s[40:41]
	v_cmp_gt_u32_e32 vcc, s7, v122
	s_and_saveexec_b64 s[40:41], vcc
	s_cbranch_execz .LBB942_1076
; %bb.1075:                             ;   in Loop: Header=BB942_1048 Depth=2
	global_load_ushort v179, v[56:57], off offset:1408
.LBB942_1076:                           ;   in Loop: Header=BB942_1048 Depth=2
	s_or_b64 exec, exec, s[40:41]
	v_cmp_gt_u32_e32 vcc, s7, v123
	s_waitcnt vmcnt(2)
	v_mov_b32_e32 v169, 0xffff8000
	v_mov_b32_e32 v174, 0xffff8000
	s_and_saveexec_b64 s[40:41], vcc
	s_cbranch_execz .LBB942_1078
; %bb.1077:                             ;   in Loop: Header=BB942_1048 Depth=2
	global_load_ushort v174, v[56:57], off offset:1536
.LBB942_1078:                           ;   in Loop: Header=BB942_1048 Depth=2
	s_or_b64 exec, exec, s[40:41]
	v_cmp_gt_u32_e32 vcc, s7, v124
	s_and_saveexec_b64 s[40:41], vcc
	s_cbranch_execz .LBB942_1080
; %bb.1079:                             ;   in Loop: Header=BB942_1048 Depth=2
	global_load_ushort v169, v[56:57], off offset:1664
.LBB942_1080:                           ;   in Loop: Header=BB942_1048 Depth=2
	s_or_b64 exec, exec, s[40:41]
	v_cmp_gt_u32_e32 vcc, s7, v125
	s_waitcnt vmcnt(0)
	v_mov_b32_e32 v159, 0xffff8000
	v_mov_b32_e32 v164, 0xffff8000
	s_and_saveexec_b64 s[40:41], vcc
	s_cbranch_execz .LBB942_1082
; %bb.1081:                             ;   in Loop: Header=BB942_1048 Depth=2
	global_load_ushort v164, v[56:57], off offset:1792
.LBB942_1082:                           ;   in Loop: Header=BB942_1048 Depth=2
	s_or_b64 exec, exec, s[40:41]
	v_cmp_gt_u32_e32 vcc, s7, v126
	s_and_saveexec_b64 s[40:41], vcc
	s_cbranch_execz .LBB942_1084
; %bb.1083:                             ;   in Loop: Header=BB942_1048 Depth=2
	global_load_ushort v159, v[56:57], off offset:1920
.LBB942_1084:                           ;   in Loop: Header=BB942_1048 Depth=2
	s_or_b64 exec, exec, s[40:41]
	s_sub_i32 s9, s98, s94
	v_cmp_gt_u32_e64 s[40:41], s7, v127
	s_movk_i32 s42, 0x8000
	v_mov_b32_e32 v166, s42
	v_mov_b32_e32 v156, s7
	s_and_saveexec_b64 s[42:43], s[40:41]
	s_cbranch_execz .LBB942_1086
.LBB942_1085:                           ;   in Loop: Header=BB942_1048 Depth=2
	s_lshl_b64 s[40:41], s[94:95], 1
	v_mov_b32_e32 v57, s41
	v_add_co_u32_e32 v56, vcc, s40, v148
	v_addc_co_u32_e32 v57, vcc, v151, v57, vcc
	global_load_ushort v166, v[56:57], off
	v_mov_b32_e32 v156, s9
.LBB942_1086:                           ;   in Loop: Header=BB942_1048 Depth=2
	s_or_b64 exec, exec, s[42:43]
	s_waitcnt vmcnt(15)
	v_xor_b32_e32 v157, 0x7fff, v5
	v_lshrrev_b32_sdwa v5, s89, v157 dst_sel:DWORD dst_unused:UNUSED_PAD src0_sel:DWORD src1_sel:WORD_0
	v_and_b32_e32 v56, s6, v5
	v_mad_u32_u24 v5, v56, 5, v153
	v_lshl_add_u32 v158, v5, 2, v66
	v_and_b32_e32 v5, 1, v56
	v_add_co_u32_e32 v57, vcc, -1, v5
	v_addc_co_u32_e64 v161, s[40:41], 0, -1, vcc
	v_cmp_ne_u32_e32 vcc, 0, v5
	v_xor_b32_e32 v5, vcc_hi, v161
	v_and_b32_e32 v161, exec_hi, v5
	v_lshlrev_b32_e32 v5, 30, v56
	v_xor_b32_e32 v57, vcc_lo, v57
	v_cmp_gt_i64_e32 vcc, 0, v[4:5]
	v_not_b32_e32 v5, v5
	v_ashrrev_i32_e32 v5, 31, v5
	v_and_b32_e32 v57, exec_lo, v57
	v_xor_b32_e32 v162, vcc_hi, v5
	v_xor_b32_e32 v5, vcc_lo, v5
	v_and_b32_e32 v57, v57, v5
	v_lshlrev_b32_e32 v5, 29, v56
	v_cmp_gt_i64_e32 vcc, 0, v[4:5]
	v_not_b32_e32 v5, v5
	v_ashrrev_i32_e32 v5, 31, v5
	v_and_b32_e32 v161, v161, v162
	v_xor_b32_e32 v162, vcc_hi, v5
	v_xor_b32_e32 v5, vcc_lo, v5
	v_and_b32_e32 v57, v57, v5
	v_lshlrev_b32_e32 v5, 28, v56
	v_cmp_gt_i64_e32 vcc, 0, v[4:5]
	v_not_b32_e32 v5, v5
	v_ashrrev_i32_e32 v5, 31, v5
	v_and_b32_e32 v161, v161, v162
	;; [unrolled: 8-line block ×4, first 2 shown]
	v_xor_b32_e32 v162, vcc_hi, v5
	v_xor_b32_e32 v5, vcc_lo, v5
	v_and_b32_e32 v161, v161, v162
	v_and_b32_e32 v162, v57, v5
	v_lshlrev_b32_e32 v5, 25, v56
	v_cmp_gt_i64_e32 vcc, 0, v[4:5]
	v_not_b32_e32 v5, v5
	v_ashrrev_i32_e32 v5, 31, v5
	v_xor_b32_e32 v56, vcc_hi, v5
	v_xor_b32_e32 v5, vcc_lo, v5
	v_and_b32_e32 v57, v161, v56
	v_and_b32_e32 v56, v162, v5
	v_mbcnt_lo_u32_b32 v5, v56, 0
	v_mbcnt_hi_u32_b32 v161, v57, v5
	v_cmp_eq_u32_e32 vcc, 0, v161
	v_cmp_ne_u64_e64 s[40:41], 0, v[56:57]
	s_and_b64 s[42:43], s[40:41], vcc
	ds_write2_b32 v58, v4, v4 offset0:132 offset1:133
	ds_write_b32 v67, v4 offset:8
	s_waitcnt lgkmcnt(0)
	s_barrier
	s_waitcnt lgkmcnt(0)
	; wave barrier
	s_and_saveexec_b64 s[40:41], s[42:43]
	s_cbranch_execz .LBB942_1088
; %bb.1087:                             ;   in Loop: Header=BB942_1048 Depth=2
	v_bcnt_u32_b32 v5, v56, 0
	v_bcnt_u32_b32 v5, v57, v5
	ds_write_b32 v158, v5
.LBB942_1088:                           ;   in Loop: Header=BB942_1048 Depth=2
	s_or_b64 exec, exec, s[40:41]
	s_waitcnt vmcnt(14)
	v_xor_b32_e32 v160, 0x7fff, v160
	v_lshrrev_b32_sdwa v5, s89, v160 dst_sel:DWORD dst_unused:UNUSED_PAD src0_sel:DWORD src1_sel:WORD_0
	v_and_b32_e32 v56, s6, v5
	v_mul_u32_u24_e32 v5, 5, v56
	v_add_lshl_u32 v5, v5, v153, 2
	; wave barrier
	v_add_u32_e32 v163, 0x210, v5
	ds_read_b32 v162, v5 offset:528
	v_and_b32_e32 v5, 1, v56
	v_add_co_u32_e32 v57, vcc, -1, v5
	v_addc_co_u32_e64 v167, s[40:41], 0, -1, vcc
	v_cmp_ne_u32_e32 vcc, 0, v5
	v_xor_b32_e32 v5, vcc_hi, v167
	v_and_b32_e32 v167, exec_hi, v5
	v_lshlrev_b32_e32 v5, 30, v56
	v_xor_b32_e32 v57, vcc_lo, v57
	v_cmp_gt_i64_e32 vcc, 0, v[4:5]
	v_not_b32_e32 v5, v5
	v_ashrrev_i32_e32 v5, 31, v5
	v_and_b32_e32 v57, exec_lo, v57
	v_xor_b32_e32 v168, vcc_hi, v5
	v_xor_b32_e32 v5, vcc_lo, v5
	v_and_b32_e32 v57, v57, v5
	v_lshlrev_b32_e32 v5, 29, v56
	v_cmp_gt_i64_e32 vcc, 0, v[4:5]
	v_not_b32_e32 v5, v5
	v_ashrrev_i32_e32 v5, 31, v5
	v_and_b32_e32 v167, v167, v168
	v_xor_b32_e32 v168, vcc_hi, v5
	v_xor_b32_e32 v5, vcc_lo, v5
	v_and_b32_e32 v57, v57, v5
	v_lshlrev_b32_e32 v5, 28, v56
	v_cmp_gt_i64_e32 vcc, 0, v[4:5]
	v_not_b32_e32 v5, v5
	v_ashrrev_i32_e32 v5, 31, v5
	v_and_b32_e32 v167, v167, v168
	;; [unrolled: 8-line block ×4, first 2 shown]
	v_xor_b32_e32 v168, vcc_hi, v5
	v_xor_b32_e32 v5, vcc_lo, v5
	v_and_b32_e32 v167, v167, v168
	v_and_b32_e32 v168, v57, v5
	v_lshlrev_b32_e32 v5, 25, v56
	v_cmp_gt_i64_e32 vcc, 0, v[4:5]
	v_not_b32_e32 v5, v5
	v_ashrrev_i32_e32 v5, 31, v5
	v_xor_b32_e32 v56, vcc_hi, v5
	v_xor_b32_e32 v5, vcc_lo, v5
	v_and_b32_e32 v57, v167, v56
	v_and_b32_e32 v56, v168, v5
	v_mbcnt_lo_u32_b32 v5, v56, 0
	v_mbcnt_hi_u32_b32 v167, v57, v5
	v_cmp_eq_u32_e32 vcc, 0, v167
	v_cmp_ne_u64_e64 s[40:41], 0, v[56:57]
	s_and_b64 s[42:43], s[40:41], vcc
	; wave barrier
	s_and_saveexec_b64 s[40:41], s[42:43]
	s_cbranch_execz .LBB942_1090
; %bb.1089:                             ;   in Loop: Header=BB942_1048 Depth=2
	v_bcnt_u32_b32 v5, v56, 0
	v_bcnt_u32_b32 v5, v57, v5
	s_waitcnt lgkmcnt(0)
	v_add_u32_e32 v5, v162, v5
	ds_write_b32 v163, v5
.LBB942_1090:                           ;   in Loop: Header=BB942_1048 Depth=2
	s_or_b64 exec, exec, s[40:41]
	s_waitcnt vmcnt(13)
	v_xor_b32_e32 v165, 0x7fff, v165
	v_lshrrev_b32_sdwa v5, s89, v165 dst_sel:DWORD dst_unused:UNUSED_PAD src0_sel:DWORD src1_sel:WORD_0
	v_and_b32_e32 v56, s6, v5
	v_mul_u32_u24_e32 v5, 5, v56
	v_add_lshl_u32 v5, v5, v153, 2
	; wave barrier
	v_add_u32_e32 v170, 0x210, v5
	ds_read_b32 v168, v5 offset:528
	v_and_b32_e32 v5, 1, v56
	v_add_co_u32_e32 v57, vcc, -1, v5
	v_addc_co_u32_e64 v172, s[40:41], 0, -1, vcc
	v_cmp_ne_u32_e32 vcc, 0, v5
	v_xor_b32_e32 v5, vcc_hi, v172
	v_and_b32_e32 v172, exec_hi, v5
	v_lshlrev_b32_e32 v5, 30, v56
	v_xor_b32_e32 v57, vcc_lo, v57
	v_cmp_gt_i64_e32 vcc, 0, v[4:5]
	v_not_b32_e32 v5, v5
	v_ashrrev_i32_e32 v5, 31, v5
	v_and_b32_e32 v57, exec_lo, v57
	v_xor_b32_e32 v173, vcc_hi, v5
	v_xor_b32_e32 v5, vcc_lo, v5
	v_and_b32_e32 v57, v57, v5
	v_lshlrev_b32_e32 v5, 29, v56
	v_cmp_gt_i64_e32 vcc, 0, v[4:5]
	v_not_b32_e32 v5, v5
	v_ashrrev_i32_e32 v5, 31, v5
	v_and_b32_e32 v172, v172, v173
	v_xor_b32_e32 v173, vcc_hi, v5
	v_xor_b32_e32 v5, vcc_lo, v5
	v_and_b32_e32 v57, v57, v5
	v_lshlrev_b32_e32 v5, 28, v56
	v_cmp_gt_i64_e32 vcc, 0, v[4:5]
	v_not_b32_e32 v5, v5
	v_ashrrev_i32_e32 v5, 31, v5
	v_and_b32_e32 v172, v172, v173
	;; [unrolled: 8-line block ×4, first 2 shown]
	v_xor_b32_e32 v173, vcc_hi, v5
	v_xor_b32_e32 v5, vcc_lo, v5
	v_and_b32_e32 v172, v172, v173
	v_and_b32_e32 v173, v57, v5
	v_lshlrev_b32_e32 v5, 25, v56
	v_cmp_gt_i64_e32 vcc, 0, v[4:5]
	v_not_b32_e32 v5, v5
	v_ashrrev_i32_e32 v5, 31, v5
	v_xor_b32_e32 v56, vcc_hi, v5
	v_xor_b32_e32 v5, vcc_lo, v5
	v_and_b32_e32 v57, v172, v56
	v_and_b32_e32 v56, v173, v5
	v_mbcnt_lo_u32_b32 v5, v56, 0
	v_mbcnt_hi_u32_b32 v172, v57, v5
	v_cmp_eq_u32_e32 vcc, 0, v172
	v_cmp_ne_u64_e64 s[40:41], 0, v[56:57]
	s_and_b64 s[42:43], s[40:41], vcc
	; wave barrier
	s_and_saveexec_b64 s[40:41], s[42:43]
	s_cbranch_execz .LBB942_1092
; %bb.1091:                             ;   in Loop: Header=BB942_1048 Depth=2
	v_bcnt_u32_b32 v5, v56, 0
	v_bcnt_u32_b32 v5, v57, v5
	s_waitcnt lgkmcnt(0)
	v_add_u32_e32 v5, v168, v5
	ds_write_b32 v170, v5
.LBB942_1092:                           ;   in Loop: Header=BB942_1048 Depth=2
	s_or_b64 exec, exec, s[40:41]
	s_waitcnt vmcnt(12)
	v_xor_b32_e32 v171, 0x7fff, v171
	v_lshrrev_b32_sdwa v5, s89, v171 dst_sel:DWORD dst_unused:UNUSED_PAD src0_sel:DWORD src1_sel:WORD_0
	v_and_b32_e32 v56, s6, v5
	v_mul_u32_u24_e32 v5, 5, v56
	v_add_lshl_u32 v5, v5, v153, 2
	; wave barrier
	v_add_u32_e32 v175, 0x210, v5
	ds_read_b32 v173, v5 offset:528
	v_and_b32_e32 v5, 1, v56
	v_add_co_u32_e32 v57, vcc, -1, v5
	v_addc_co_u32_e64 v177, s[40:41], 0, -1, vcc
	v_cmp_ne_u32_e32 vcc, 0, v5
	v_xor_b32_e32 v5, vcc_hi, v177
	v_and_b32_e32 v177, exec_hi, v5
	v_lshlrev_b32_e32 v5, 30, v56
	v_xor_b32_e32 v57, vcc_lo, v57
	v_cmp_gt_i64_e32 vcc, 0, v[4:5]
	v_not_b32_e32 v5, v5
	v_ashrrev_i32_e32 v5, 31, v5
	v_and_b32_e32 v57, exec_lo, v57
	v_xor_b32_e32 v178, vcc_hi, v5
	v_xor_b32_e32 v5, vcc_lo, v5
	v_and_b32_e32 v57, v57, v5
	v_lshlrev_b32_e32 v5, 29, v56
	v_cmp_gt_i64_e32 vcc, 0, v[4:5]
	v_not_b32_e32 v5, v5
	v_ashrrev_i32_e32 v5, 31, v5
	v_and_b32_e32 v177, v177, v178
	v_xor_b32_e32 v178, vcc_hi, v5
	v_xor_b32_e32 v5, vcc_lo, v5
	v_and_b32_e32 v57, v57, v5
	v_lshlrev_b32_e32 v5, 28, v56
	v_cmp_gt_i64_e32 vcc, 0, v[4:5]
	v_not_b32_e32 v5, v5
	v_ashrrev_i32_e32 v5, 31, v5
	v_and_b32_e32 v177, v177, v178
	v_xor_b32_e32 v178, vcc_hi, v5
	v_xor_b32_e32 v5, vcc_lo, v5
	v_and_b32_e32 v57, v57, v5
	v_lshlrev_b32_e32 v5, 27, v56
	v_cmp_gt_i64_e32 vcc, 0, v[4:5]
	v_not_b32_e32 v5, v5
	v_ashrrev_i32_e32 v5, 31, v5
	v_and_b32_e32 v177, v177, v178
	v_xor_b32_e32 v178, vcc_hi, v5
	v_xor_b32_e32 v5, vcc_lo, v5
	v_and_b32_e32 v57, v57, v5
	v_lshlrev_b32_e32 v5, 26, v56
	v_cmp_gt_i64_e32 vcc, 0, v[4:5]
	v_not_b32_e32 v5, v5
	v_ashrrev_i32_e32 v5, 31, v5
	v_and_b32_e32 v177, v177, v178
	v_xor_b32_e32 v178, vcc_hi, v5
	v_xor_b32_e32 v5, vcc_lo, v5
	v_and_b32_e32 v177, v177, v178
	v_and_b32_e32 v178, v57, v5
	v_lshlrev_b32_e32 v5, 25, v56
	v_cmp_gt_i64_e32 vcc, 0, v[4:5]
	v_not_b32_e32 v5, v5
	v_ashrrev_i32_e32 v5, 31, v5
	v_xor_b32_e32 v56, vcc_hi, v5
	v_xor_b32_e32 v5, vcc_lo, v5
	v_and_b32_e32 v57, v177, v56
	v_and_b32_e32 v56, v178, v5
	v_mbcnt_lo_u32_b32 v5, v56, 0
	v_mbcnt_hi_u32_b32 v177, v57, v5
	v_cmp_eq_u32_e32 vcc, 0, v177
	v_cmp_ne_u64_e64 s[40:41], 0, v[56:57]
	s_and_b64 s[42:43], s[40:41], vcc
	; wave barrier
	s_and_saveexec_b64 s[40:41], s[42:43]
	s_cbranch_execz .LBB942_1094
; %bb.1093:                             ;   in Loop: Header=BB942_1048 Depth=2
	v_bcnt_u32_b32 v5, v56, 0
	v_bcnt_u32_b32 v5, v57, v5
	s_waitcnt lgkmcnt(0)
	v_add_u32_e32 v5, v173, v5
	ds_write_b32 v175, v5
.LBB942_1094:                           ;   in Loop: Header=BB942_1048 Depth=2
	s_or_b64 exec, exec, s[40:41]
	s_waitcnt vmcnt(11)
	v_xor_b32_e32 v176, 0x7fff, v176
	v_lshrrev_b32_sdwa v5, s89, v176 dst_sel:DWORD dst_unused:UNUSED_PAD src0_sel:DWORD src1_sel:WORD_0
	v_and_b32_e32 v56, s6, v5
	v_mul_u32_u24_e32 v5, 5, v56
	v_add_lshl_u32 v5, v5, v153, 2
	; wave barrier
	v_add_u32_e32 v180, 0x210, v5
	ds_read_b32 v178, v5 offset:528
	v_and_b32_e32 v5, 1, v56
	v_add_co_u32_e32 v57, vcc, -1, v5
	v_addc_co_u32_e64 v182, s[40:41], 0, -1, vcc
	v_cmp_ne_u32_e32 vcc, 0, v5
	v_xor_b32_e32 v5, vcc_hi, v182
	v_and_b32_e32 v182, exec_hi, v5
	v_lshlrev_b32_e32 v5, 30, v56
	v_xor_b32_e32 v57, vcc_lo, v57
	v_cmp_gt_i64_e32 vcc, 0, v[4:5]
	v_not_b32_e32 v5, v5
	v_ashrrev_i32_e32 v5, 31, v5
	v_and_b32_e32 v57, exec_lo, v57
	v_xor_b32_e32 v183, vcc_hi, v5
	v_xor_b32_e32 v5, vcc_lo, v5
	v_and_b32_e32 v57, v57, v5
	v_lshlrev_b32_e32 v5, 29, v56
	v_cmp_gt_i64_e32 vcc, 0, v[4:5]
	v_not_b32_e32 v5, v5
	v_ashrrev_i32_e32 v5, 31, v5
	v_and_b32_e32 v182, v182, v183
	v_xor_b32_e32 v183, vcc_hi, v5
	v_xor_b32_e32 v5, vcc_lo, v5
	v_and_b32_e32 v57, v57, v5
	v_lshlrev_b32_e32 v5, 28, v56
	v_cmp_gt_i64_e32 vcc, 0, v[4:5]
	v_not_b32_e32 v5, v5
	v_ashrrev_i32_e32 v5, 31, v5
	v_and_b32_e32 v182, v182, v183
	;; [unrolled: 8-line block ×4, first 2 shown]
	v_xor_b32_e32 v183, vcc_hi, v5
	v_xor_b32_e32 v5, vcc_lo, v5
	v_and_b32_e32 v182, v182, v183
	v_and_b32_e32 v183, v57, v5
	v_lshlrev_b32_e32 v5, 25, v56
	v_cmp_gt_i64_e32 vcc, 0, v[4:5]
	v_not_b32_e32 v5, v5
	v_ashrrev_i32_e32 v5, 31, v5
	v_xor_b32_e32 v56, vcc_hi, v5
	v_xor_b32_e32 v5, vcc_lo, v5
	v_and_b32_e32 v57, v182, v56
	v_and_b32_e32 v56, v183, v5
	v_mbcnt_lo_u32_b32 v5, v56, 0
	v_mbcnt_hi_u32_b32 v182, v57, v5
	v_cmp_eq_u32_e32 vcc, 0, v182
	v_cmp_ne_u64_e64 s[40:41], 0, v[56:57]
	s_and_b64 s[42:43], s[40:41], vcc
	; wave barrier
	s_and_saveexec_b64 s[40:41], s[42:43]
	s_cbranch_execz .LBB942_1096
; %bb.1095:                             ;   in Loop: Header=BB942_1048 Depth=2
	v_bcnt_u32_b32 v5, v56, 0
	v_bcnt_u32_b32 v5, v57, v5
	s_waitcnt lgkmcnt(0)
	v_add_u32_e32 v5, v178, v5
	ds_write_b32 v180, v5
.LBB942_1096:                           ;   in Loop: Header=BB942_1048 Depth=2
	s_or_b64 exec, exec, s[40:41]
	s_waitcnt vmcnt(10)
	v_xor_b32_e32 v181, 0x7fff, v181
	v_lshrrev_b32_sdwa v5, s89, v181 dst_sel:DWORD dst_unused:UNUSED_PAD src0_sel:DWORD src1_sel:WORD_0
	v_and_b32_e32 v56, s6, v5
	v_mul_u32_u24_e32 v5, 5, v56
	v_add_lshl_u32 v5, v5, v153, 2
	; wave barrier
	v_add_u32_e32 v185, 0x210, v5
	ds_read_b32 v183, v5 offset:528
	v_and_b32_e32 v5, 1, v56
	v_add_co_u32_e32 v57, vcc, -1, v5
	v_addc_co_u32_e64 v187, s[40:41], 0, -1, vcc
	v_cmp_ne_u32_e32 vcc, 0, v5
	v_xor_b32_e32 v5, vcc_hi, v187
	v_and_b32_e32 v187, exec_hi, v5
	v_lshlrev_b32_e32 v5, 30, v56
	v_xor_b32_e32 v57, vcc_lo, v57
	v_cmp_gt_i64_e32 vcc, 0, v[4:5]
	v_not_b32_e32 v5, v5
	v_ashrrev_i32_e32 v5, 31, v5
	v_and_b32_e32 v57, exec_lo, v57
	v_xor_b32_e32 v189, vcc_hi, v5
	v_xor_b32_e32 v5, vcc_lo, v5
	v_and_b32_e32 v57, v57, v5
	v_lshlrev_b32_e32 v5, 29, v56
	v_cmp_gt_i64_e32 vcc, 0, v[4:5]
	v_not_b32_e32 v5, v5
	v_ashrrev_i32_e32 v5, 31, v5
	v_and_b32_e32 v187, v187, v189
	v_xor_b32_e32 v189, vcc_hi, v5
	v_xor_b32_e32 v5, vcc_lo, v5
	v_and_b32_e32 v57, v57, v5
	v_lshlrev_b32_e32 v5, 28, v56
	v_cmp_gt_i64_e32 vcc, 0, v[4:5]
	v_not_b32_e32 v5, v5
	v_ashrrev_i32_e32 v5, 31, v5
	v_and_b32_e32 v187, v187, v189
	;; [unrolled: 8-line block ×4, first 2 shown]
	v_xor_b32_e32 v189, vcc_hi, v5
	v_xor_b32_e32 v5, vcc_lo, v5
	v_and_b32_e32 v187, v187, v189
	v_and_b32_e32 v189, v57, v5
	v_lshlrev_b32_e32 v5, 25, v56
	v_cmp_gt_i64_e32 vcc, 0, v[4:5]
	v_not_b32_e32 v5, v5
	v_ashrrev_i32_e32 v5, 31, v5
	v_xor_b32_e32 v56, vcc_hi, v5
	v_xor_b32_e32 v5, vcc_lo, v5
	v_and_b32_e32 v57, v187, v56
	v_and_b32_e32 v56, v189, v5
	v_mbcnt_lo_u32_b32 v5, v56, 0
	v_mbcnt_hi_u32_b32 v187, v57, v5
	v_cmp_eq_u32_e32 vcc, 0, v187
	v_cmp_ne_u64_e64 s[40:41], 0, v[56:57]
	s_and_b64 s[42:43], s[40:41], vcc
	; wave barrier
	s_and_saveexec_b64 s[40:41], s[42:43]
	s_cbranch_execz .LBB942_1098
; %bb.1097:                             ;   in Loop: Header=BB942_1048 Depth=2
	v_bcnt_u32_b32 v5, v56, 0
	v_bcnt_u32_b32 v5, v57, v5
	s_waitcnt lgkmcnt(0)
	v_add_u32_e32 v5, v183, v5
	ds_write_b32 v185, v5
.LBB942_1098:                           ;   in Loop: Header=BB942_1048 Depth=2
	s_or_b64 exec, exec, s[40:41]
	s_waitcnt vmcnt(9)
	v_xor_b32_e32 v186, 0x7fff, v186
	v_lshrrev_b32_sdwa v5, s89, v186 dst_sel:DWORD dst_unused:UNUSED_PAD src0_sel:DWORD src1_sel:WORD_0
	v_and_b32_e32 v56, s6, v5
	v_mul_u32_u24_e32 v5, 5, v56
	v_add_lshl_u32 v5, v5, v153, 2
	; wave barrier
	v_add_u32_e32 v190, 0x210, v5
	ds_read_b32 v189, v5 offset:528
	v_and_b32_e32 v5, 1, v56
	v_add_co_u32_e32 v57, vcc, -1, v5
	v_addc_co_u32_e64 v192, s[40:41], 0, -1, vcc
	v_cmp_ne_u32_e32 vcc, 0, v5
	v_xor_b32_e32 v5, vcc_hi, v192
	v_and_b32_e32 v192, exec_hi, v5
	v_lshlrev_b32_e32 v5, 30, v56
	v_xor_b32_e32 v57, vcc_lo, v57
	v_cmp_gt_i64_e32 vcc, 0, v[4:5]
	v_not_b32_e32 v5, v5
	v_ashrrev_i32_e32 v5, 31, v5
	v_and_b32_e32 v57, exec_lo, v57
	v_xor_b32_e32 v194, vcc_hi, v5
	v_xor_b32_e32 v5, vcc_lo, v5
	v_and_b32_e32 v57, v57, v5
	v_lshlrev_b32_e32 v5, 29, v56
	v_cmp_gt_i64_e32 vcc, 0, v[4:5]
	v_not_b32_e32 v5, v5
	v_ashrrev_i32_e32 v5, 31, v5
	v_and_b32_e32 v192, v192, v194
	v_xor_b32_e32 v194, vcc_hi, v5
	v_xor_b32_e32 v5, vcc_lo, v5
	v_and_b32_e32 v57, v57, v5
	v_lshlrev_b32_e32 v5, 28, v56
	v_cmp_gt_i64_e32 vcc, 0, v[4:5]
	v_not_b32_e32 v5, v5
	v_ashrrev_i32_e32 v5, 31, v5
	v_and_b32_e32 v192, v192, v194
	;; [unrolled: 8-line block ×4, first 2 shown]
	v_xor_b32_e32 v194, vcc_hi, v5
	v_xor_b32_e32 v5, vcc_lo, v5
	v_and_b32_e32 v192, v192, v194
	v_and_b32_e32 v194, v57, v5
	v_lshlrev_b32_e32 v5, 25, v56
	v_cmp_gt_i64_e32 vcc, 0, v[4:5]
	v_not_b32_e32 v5, v5
	v_ashrrev_i32_e32 v5, 31, v5
	v_xor_b32_e32 v56, vcc_hi, v5
	v_xor_b32_e32 v5, vcc_lo, v5
	v_and_b32_e32 v57, v192, v56
	v_and_b32_e32 v56, v194, v5
	v_mbcnt_lo_u32_b32 v5, v56, 0
	v_mbcnt_hi_u32_b32 v192, v57, v5
	v_cmp_eq_u32_e32 vcc, 0, v192
	v_cmp_ne_u64_e64 s[40:41], 0, v[56:57]
	s_and_b64 s[42:43], s[40:41], vcc
	; wave barrier
	s_and_saveexec_b64 s[40:41], s[42:43]
	s_cbranch_execz .LBB942_1100
; %bb.1099:                             ;   in Loop: Header=BB942_1048 Depth=2
	v_bcnt_u32_b32 v5, v56, 0
	v_bcnt_u32_b32 v5, v57, v5
	s_waitcnt lgkmcnt(0)
	v_add_u32_e32 v5, v189, v5
	ds_write_b32 v190, v5
.LBB942_1100:                           ;   in Loop: Header=BB942_1048 Depth=2
	s_or_b64 exec, exec, s[40:41]
	s_waitcnt vmcnt(8)
	v_xor_b32_e32 v191, 0x7fff, v191
	v_lshrrev_b32_sdwa v5, s89, v191 dst_sel:DWORD dst_unused:UNUSED_PAD src0_sel:DWORD src1_sel:WORD_0
	v_and_b32_e32 v56, s6, v5
	v_mul_u32_u24_e32 v5, 5, v56
	v_add_lshl_u32 v5, v5, v153, 2
	; wave barrier
	v_add_u32_e32 v195, 0x210, v5
	ds_read_b32 v194, v5 offset:528
	v_and_b32_e32 v5, 1, v56
	v_add_co_u32_e32 v57, vcc, -1, v5
	v_addc_co_u32_e64 v196, s[40:41], 0, -1, vcc
	v_cmp_ne_u32_e32 vcc, 0, v5
	v_xor_b32_e32 v5, vcc_hi, v196
	v_and_b32_e32 v196, exec_hi, v5
	v_lshlrev_b32_e32 v5, 30, v56
	v_xor_b32_e32 v57, vcc_lo, v57
	v_cmp_gt_i64_e32 vcc, 0, v[4:5]
	v_not_b32_e32 v5, v5
	v_ashrrev_i32_e32 v5, 31, v5
	v_and_b32_e32 v57, exec_lo, v57
	v_xor_b32_e32 v197, vcc_hi, v5
	v_xor_b32_e32 v5, vcc_lo, v5
	v_and_b32_e32 v57, v57, v5
	v_lshlrev_b32_e32 v5, 29, v56
	v_cmp_gt_i64_e32 vcc, 0, v[4:5]
	v_not_b32_e32 v5, v5
	v_ashrrev_i32_e32 v5, 31, v5
	v_and_b32_e32 v196, v196, v197
	v_xor_b32_e32 v197, vcc_hi, v5
	v_xor_b32_e32 v5, vcc_lo, v5
	v_and_b32_e32 v57, v57, v5
	v_lshlrev_b32_e32 v5, 28, v56
	v_cmp_gt_i64_e32 vcc, 0, v[4:5]
	v_not_b32_e32 v5, v5
	v_ashrrev_i32_e32 v5, 31, v5
	v_and_b32_e32 v196, v196, v197
	v_xor_b32_e32 v197, vcc_hi, v5
	v_xor_b32_e32 v5, vcc_lo, v5
	v_and_b32_e32 v57, v57, v5
	v_lshlrev_b32_e32 v5, 27, v56
	v_cmp_gt_i64_e32 vcc, 0, v[4:5]
	v_not_b32_e32 v5, v5
	v_ashrrev_i32_e32 v5, 31, v5
	v_and_b32_e32 v196, v196, v197
	v_xor_b32_e32 v197, vcc_hi, v5
	v_xor_b32_e32 v5, vcc_lo, v5
	v_and_b32_e32 v57, v57, v5
	v_lshlrev_b32_e32 v5, 26, v56
	v_cmp_gt_i64_e32 vcc, 0, v[4:5]
	v_not_b32_e32 v5, v5
	v_ashrrev_i32_e32 v5, 31, v5
	v_and_b32_e32 v196, v196, v197
	v_xor_b32_e32 v197, vcc_hi, v5
	v_xor_b32_e32 v5, vcc_lo, v5
	v_and_b32_e32 v196, v196, v197
	v_and_b32_e32 v197, v57, v5
	v_lshlrev_b32_e32 v5, 25, v56
	v_cmp_gt_i64_e32 vcc, 0, v[4:5]
	v_not_b32_e32 v5, v5
	v_ashrrev_i32_e32 v5, 31, v5
	v_xor_b32_e32 v56, vcc_hi, v5
	v_xor_b32_e32 v5, vcc_lo, v5
	v_and_b32_e32 v57, v196, v56
	v_and_b32_e32 v56, v197, v5
	v_mbcnt_lo_u32_b32 v5, v56, 0
	v_mbcnt_hi_u32_b32 v196, v57, v5
	v_cmp_eq_u32_e32 vcc, 0, v196
	v_cmp_ne_u64_e64 s[40:41], 0, v[56:57]
	s_and_b64 s[42:43], s[40:41], vcc
	; wave barrier
	s_and_saveexec_b64 s[40:41], s[42:43]
	s_cbranch_execz .LBB942_1102
; %bb.1101:                             ;   in Loop: Header=BB942_1048 Depth=2
	v_bcnt_u32_b32 v5, v56, 0
	v_bcnt_u32_b32 v5, v57, v5
	s_waitcnt lgkmcnt(0)
	v_add_u32_e32 v5, v194, v5
	ds_write_b32 v195, v5
.LBB942_1102:                           ;   in Loop: Header=BB942_1048 Depth=2
	s_or_b64 exec, exec, s[40:41]
	s_waitcnt vmcnt(7)
	v_xor_b32_e32 v193, 0x7fff, v193
	v_lshrrev_b32_sdwa v5, s89, v193 dst_sel:DWORD dst_unused:UNUSED_PAD src0_sel:DWORD src1_sel:WORD_0
	v_and_b32_e32 v56, s6, v5
	v_mul_u32_u24_e32 v5, 5, v56
	v_add_lshl_u32 v5, v5, v153, 2
	; wave barrier
	v_add_u32_e32 v198, 0x210, v5
	ds_read_b32 v197, v5 offset:528
	v_and_b32_e32 v5, 1, v56
	v_add_co_u32_e32 v57, vcc, -1, v5
	v_addc_co_u32_e64 v199, s[40:41], 0, -1, vcc
	v_cmp_ne_u32_e32 vcc, 0, v5
	v_xor_b32_e32 v5, vcc_hi, v199
	v_and_b32_e32 v199, exec_hi, v5
	v_lshlrev_b32_e32 v5, 30, v56
	v_xor_b32_e32 v57, vcc_lo, v57
	v_cmp_gt_i64_e32 vcc, 0, v[4:5]
	v_not_b32_e32 v5, v5
	v_ashrrev_i32_e32 v5, 31, v5
	v_and_b32_e32 v57, exec_lo, v57
	v_xor_b32_e32 v200, vcc_hi, v5
	v_xor_b32_e32 v5, vcc_lo, v5
	v_and_b32_e32 v57, v57, v5
	v_lshlrev_b32_e32 v5, 29, v56
	v_cmp_gt_i64_e32 vcc, 0, v[4:5]
	v_not_b32_e32 v5, v5
	v_ashrrev_i32_e32 v5, 31, v5
	v_and_b32_e32 v199, v199, v200
	v_xor_b32_e32 v200, vcc_hi, v5
	v_xor_b32_e32 v5, vcc_lo, v5
	v_and_b32_e32 v57, v57, v5
	v_lshlrev_b32_e32 v5, 28, v56
	v_cmp_gt_i64_e32 vcc, 0, v[4:5]
	v_not_b32_e32 v5, v5
	v_ashrrev_i32_e32 v5, 31, v5
	v_and_b32_e32 v199, v199, v200
	;; [unrolled: 8-line block ×4, first 2 shown]
	v_xor_b32_e32 v200, vcc_hi, v5
	v_xor_b32_e32 v5, vcc_lo, v5
	v_and_b32_e32 v199, v199, v200
	v_and_b32_e32 v200, v57, v5
	v_lshlrev_b32_e32 v5, 25, v56
	v_cmp_gt_i64_e32 vcc, 0, v[4:5]
	v_not_b32_e32 v5, v5
	v_ashrrev_i32_e32 v5, 31, v5
	v_xor_b32_e32 v56, vcc_hi, v5
	v_xor_b32_e32 v5, vcc_lo, v5
	v_and_b32_e32 v57, v199, v56
	v_and_b32_e32 v56, v200, v5
	v_mbcnt_lo_u32_b32 v5, v56, 0
	v_mbcnt_hi_u32_b32 v199, v57, v5
	v_cmp_eq_u32_e32 vcc, 0, v199
	v_cmp_ne_u64_e64 s[40:41], 0, v[56:57]
	s_and_b64 s[42:43], s[40:41], vcc
	; wave barrier
	s_and_saveexec_b64 s[40:41], s[42:43]
	s_cbranch_execz .LBB942_1104
; %bb.1103:                             ;   in Loop: Header=BB942_1048 Depth=2
	v_bcnt_u32_b32 v5, v56, 0
	v_bcnt_u32_b32 v5, v57, v5
	s_waitcnt lgkmcnt(0)
	v_add_u32_e32 v5, v197, v5
	ds_write_b32 v198, v5
.LBB942_1104:                           ;   in Loop: Header=BB942_1048 Depth=2
	s_or_b64 exec, exec, s[40:41]
	s_waitcnt vmcnt(6)
	v_xor_b32_e32 v188, 0x7fff, v188
	v_lshrrev_b32_sdwa v5, s89, v188 dst_sel:DWORD dst_unused:UNUSED_PAD src0_sel:DWORD src1_sel:WORD_0
	v_and_b32_e32 v56, s6, v5
	v_mul_u32_u24_e32 v5, 5, v56
	v_add_lshl_u32 v5, v5, v153, 2
	; wave barrier
	v_add_u32_e32 v201, 0x210, v5
	ds_read_b32 v200, v5 offset:528
	v_and_b32_e32 v5, 1, v56
	v_add_co_u32_e32 v57, vcc, -1, v5
	v_addc_co_u32_e64 v202, s[40:41], 0, -1, vcc
	v_cmp_ne_u32_e32 vcc, 0, v5
	v_xor_b32_e32 v5, vcc_hi, v202
	v_and_b32_e32 v202, exec_hi, v5
	v_lshlrev_b32_e32 v5, 30, v56
	v_xor_b32_e32 v57, vcc_lo, v57
	v_cmp_gt_i64_e32 vcc, 0, v[4:5]
	v_not_b32_e32 v5, v5
	v_ashrrev_i32_e32 v5, 31, v5
	v_and_b32_e32 v57, exec_lo, v57
	v_xor_b32_e32 v203, vcc_hi, v5
	v_xor_b32_e32 v5, vcc_lo, v5
	v_and_b32_e32 v57, v57, v5
	v_lshlrev_b32_e32 v5, 29, v56
	v_cmp_gt_i64_e32 vcc, 0, v[4:5]
	v_not_b32_e32 v5, v5
	v_ashrrev_i32_e32 v5, 31, v5
	v_and_b32_e32 v202, v202, v203
	v_xor_b32_e32 v203, vcc_hi, v5
	v_xor_b32_e32 v5, vcc_lo, v5
	v_and_b32_e32 v57, v57, v5
	v_lshlrev_b32_e32 v5, 28, v56
	v_cmp_gt_i64_e32 vcc, 0, v[4:5]
	v_not_b32_e32 v5, v5
	v_ashrrev_i32_e32 v5, 31, v5
	v_and_b32_e32 v202, v202, v203
	;; [unrolled: 8-line block ×4, first 2 shown]
	v_xor_b32_e32 v203, vcc_hi, v5
	v_xor_b32_e32 v5, vcc_lo, v5
	v_and_b32_e32 v202, v202, v203
	v_and_b32_e32 v203, v57, v5
	v_lshlrev_b32_e32 v5, 25, v56
	v_cmp_gt_i64_e32 vcc, 0, v[4:5]
	v_not_b32_e32 v5, v5
	v_ashrrev_i32_e32 v5, 31, v5
	v_xor_b32_e32 v56, vcc_hi, v5
	v_xor_b32_e32 v5, vcc_lo, v5
	v_and_b32_e32 v57, v202, v56
	v_and_b32_e32 v56, v203, v5
	v_mbcnt_lo_u32_b32 v5, v56, 0
	v_mbcnt_hi_u32_b32 v202, v57, v5
	v_cmp_eq_u32_e32 vcc, 0, v202
	v_cmp_ne_u64_e64 s[40:41], 0, v[56:57]
	s_and_b64 s[42:43], s[40:41], vcc
	; wave barrier
	s_and_saveexec_b64 s[40:41], s[42:43]
	s_cbranch_execz .LBB942_1106
; %bb.1105:                             ;   in Loop: Header=BB942_1048 Depth=2
	v_bcnt_u32_b32 v5, v56, 0
	v_bcnt_u32_b32 v5, v57, v5
	s_waitcnt lgkmcnt(0)
	v_add_u32_e32 v5, v200, v5
	ds_write_b32 v201, v5
.LBB942_1106:                           ;   in Loop: Header=BB942_1048 Depth=2
	s_or_b64 exec, exec, s[40:41]
	s_waitcnt vmcnt(5)
	v_xor_b32_e32 v184, 0x7fff, v184
	v_lshrrev_b32_sdwa v5, s89, v184 dst_sel:DWORD dst_unused:UNUSED_PAD src0_sel:DWORD src1_sel:WORD_0
	v_and_b32_e32 v56, s6, v5
	v_mul_u32_u24_e32 v5, 5, v56
	v_add_lshl_u32 v5, v5, v153, 2
	; wave barrier
	v_add_u32_e32 v205, 0x210, v5
	ds_read_b32 v203, v5 offset:528
	v_and_b32_e32 v5, 1, v56
	v_add_co_u32_e32 v57, vcc, -1, v5
	v_addc_co_u32_e64 v204, s[40:41], 0, -1, vcc
	v_cmp_ne_u32_e32 vcc, 0, v5
	v_xor_b32_e32 v5, vcc_hi, v204
	v_and_b32_e32 v204, exec_hi, v5
	v_lshlrev_b32_e32 v5, 30, v56
	v_xor_b32_e32 v57, vcc_lo, v57
	v_cmp_gt_i64_e32 vcc, 0, v[4:5]
	v_not_b32_e32 v5, v5
	v_ashrrev_i32_e32 v5, 31, v5
	v_and_b32_e32 v57, exec_lo, v57
	v_xor_b32_e32 v206, vcc_hi, v5
	v_xor_b32_e32 v5, vcc_lo, v5
	v_and_b32_e32 v57, v57, v5
	v_lshlrev_b32_e32 v5, 29, v56
	v_cmp_gt_i64_e32 vcc, 0, v[4:5]
	v_not_b32_e32 v5, v5
	v_ashrrev_i32_e32 v5, 31, v5
	v_and_b32_e32 v204, v204, v206
	v_xor_b32_e32 v206, vcc_hi, v5
	v_xor_b32_e32 v5, vcc_lo, v5
	v_and_b32_e32 v57, v57, v5
	v_lshlrev_b32_e32 v5, 28, v56
	v_cmp_gt_i64_e32 vcc, 0, v[4:5]
	v_not_b32_e32 v5, v5
	v_ashrrev_i32_e32 v5, 31, v5
	v_and_b32_e32 v204, v204, v206
	;; [unrolled: 8-line block ×4, first 2 shown]
	v_xor_b32_e32 v206, vcc_hi, v5
	v_xor_b32_e32 v5, vcc_lo, v5
	v_and_b32_e32 v204, v204, v206
	v_and_b32_e32 v206, v57, v5
	v_lshlrev_b32_e32 v5, 25, v56
	v_cmp_gt_i64_e32 vcc, 0, v[4:5]
	v_not_b32_e32 v5, v5
	v_ashrrev_i32_e32 v5, 31, v5
	v_xor_b32_e32 v56, vcc_hi, v5
	v_xor_b32_e32 v5, vcc_lo, v5
	v_and_b32_e32 v57, v204, v56
	v_and_b32_e32 v56, v206, v5
	v_mbcnt_lo_u32_b32 v5, v56, 0
	v_mbcnt_hi_u32_b32 v206, v57, v5
	v_cmp_eq_u32_e32 vcc, 0, v206
	v_cmp_ne_u64_e64 s[40:41], 0, v[56:57]
	s_and_b64 s[42:43], s[40:41], vcc
	; wave barrier
	s_and_saveexec_b64 s[40:41], s[42:43]
	s_cbranch_execz .LBB942_1108
; %bb.1107:                             ;   in Loop: Header=BB942_1048 Depth=2
	v_bcnt_u32_b32 v5, v56, 0
	v_bcnt_u32_b32 v5, v57, v5
	s_waitcnt lgkmcnt(0)
	v_add_u32_e32 v5, v203, v5
	ds_write_b32 v205, v5
.LBB942_1108:                           ;   in Loop: Header=BB942_1048 Depth=2
	s_or_b64 exec, exec, s[40:41]
	s_waitcnt vmcnt(4)
	v_xor_b32_e32 v204, 0x7fff, v179
	v_lshrrev_b32_sdwa v5, s89, v204 dst_sel:DWORD dst_unused:UNUSED_PAD src0_sel:DWORD src1_sel:WORD_0
	v_and_b32_e32 v56, s6, v5
	v_mul_u32_u24_e32 v5, 5, v56
	v_add_lshl_u32 v5, v5, v153, 2
	; wave barrier
	v_add_u32_e32 v179, 0x210, v5
	ds_read_b32 v207, v5 offset:528
	v_and_b32_e32 v5, 1, v56
	v_add_co_u32_e32 v57, vcc, -1, v5
	v_addc_co_u32_e64 v208, s[40:41], 0, -1, vcc
	v_cmp_ne_u32_e32 vcc, 0, v5
	v_xor_b32_e32 v5, vcc_hi, v208
	v_and_b32_e32 v208, exec_hi, v5
	v_lshlrev_b32_e32 v5, 30, v56
	v_xor_b32_e32 v57, vcc_lo, v57
	v_cmp_gt_i64_e32 vcc, 0, v[4:5]
	v_not_b32_e32 v5, v5
	v_ashrrev_i32_e32 v5, 31, v5
	v_and_b32_e32 v57, exec_lo, v57
	v_xor_b32_e32 v209, vcc_hi, v5
	v_xor_b32_e32 v5, vcc_lo, v5
	v_and_b32_e32 v57, v57, v5
	v_lshlrev_b32_e32 v5, 29, v56
	v_cmp_gt_i64_e32 vcc, 0, v[4:5]
	v_not_b32_e32 v5, v5
	v_ashrrev_i32_e32 v5, 31, v5
	v_and_b32_e32 v208, v208, v209
	v_xor_b32_e32 v209, vcc_hi, v5
	v_xor_b32_e32 v5, vcc_lo, v5
	v_and_b32_e32 v57, v57, v5
	v_lshlrev_b32_e32 v5, 28, v56
	v_cmp_gt_i64_e32 vcc, 0, v[4:5]
	v_not_b32_e32 v5, v5
	v_ashrrev_i32_e32 v5, 31, v5
	v_and_b32_e32 v208, v208, v209
	;; [unrolled: 8-line block ×4, first 2 shown]
	v_xor_b32_e32 v209, vcc_hi, v5
	v_xor_b32_e32 v5, vcc_lo, v5
	v_and_b32_e32 v208, v208, v209
	v_and_b32_e32 v209, v57, v5
	v_lshlrev_b32_e32 v5, 25, v56
	v_cmp_gt_i64_e32 vcc, 0, v[4:5]
	v_not_b32_e32 v5, v5
	v_ashrrev_i32_e32 v5, 31, v5
	v_xor_b32_e32 v56, vcc_hi, v5
	v_xor_b32_e32 v5, vcc_lo, v5
	v_and_b32_e32 v57, v208, v56
	v_and_b32_e32 v56, v209, v5
	v_mbcnt_lo_u32_b32 v5, v56, 0
	v_mbcnt_hi_u32_b32 v209, v57, v5
	v_cmp_eq_u32_e32 vcc, 0, v209
	v_cmp_ne_u64_e64 s[40:41], 0, v[56:57]
	s_and_b64 s[42:43], s[40:41], vcc
	; wave barrier
	s_and_saveexec_b64 s[40:41], s[42:43]
	s_cbranch_execz .LBB942_1110
; %bb.1109:                             ;   in Loop: Header=BB942_1048 Depth=2
	v_bcnt_u32_b32 v5, v56, 0
	v_bcnt_u32_b32 v5, v57, v5
	s_waitcnt lgkmcnt(0)
	v_add_u32_e32 v5, v207, v5
	ds_write_b32 v179, v5
.LBB942_1110:                           ;   in Loop: Header=BB942_1048 Depth=2
	s_or_b64 exec, exec, s[40:41]
	s_waitcnt vmcnt(3)
	v_xor_b32_e32 v208, 0x7fff, v174
	v_lshrrev_b32_sdwa v5, s89, v208 dst_sel:DWORD dst_unused:UNUSED_PAD src0_sel:DWORD src1_sel:WORD_0
	v_and_b32_e32 v56, s6, v5
	v_mul_u32_u24_e32 v5, 5, v56
	v_add_lshl_u32 v5, v5, v153, 2
	; wave barrier
	v_add_u32_e32 v174, 0x210, v5
	ds_read_b32 v210, v5 offset:528
	v_and_b32_e32 v5, 1, v56
	v_add_co_u32_e32 v57, vcc, -1, v5
	v_addc_co_u32_e64 v211, s[40:41], 0, -1, vcc
	v_cmp_ne_u32_e32 vcc, 0, v5
	v_xor_b32_e32 v5, vcc_hi, v211
	v_and_b32_e32 v211, exec_hi, v5
	v_lshlrev_b32_e32 v5, 30, v56
	v_xor_b32_e32 v57, vcc_lo, v57
	v_cmp_gt_i64_e32 vcc, 0, v[4:5]
	v_not_b32_e32 v5, v5
	v_ashrrev_i32_e32 v5, 31, v5
	v_and_b32_e32 v57, exec_lo, v57
	v_xor_b32_e32 v212, vcc_hi, v5
	v_xor_b32_e32 v5, vcc_lo, v5
	v_and_b32_e32 v57, v57, v5
	v_lshlrev_b32_e32 v5, 29, v56
	v_cmp_gt_i64_e32 vcc, 0, v[4:5]
	v_not_b32_e32 v5, v5
	v_ashrrev_i32_e32 v5, 31, v5
	v_and_b32_e32 v211, v211, v212
	v_xor_b32_e32 v212, vcc_hi, v5
	v_xor_b32_e32 v5, vcc_lo, v5
	v_and_b32_e32 v57, v57, v5
	v_lshlrev_b32_e32 v5, 28, v56
	v_cmp_gt_i64_e32 vcc, 0, v[4:5]
	v_not_b32_e32 v5, v5
	v_ashrrev_i32_e32 v5, 31, v5
	v_and_b32_e32 v211, v211, v212
	;; [unrolled: 8-line block ×4, first 2 shown]
	v_xor_b32_e32 v212, vcc_hi, v5
	v_xor_b32_e32 v5, vcc_lo, v5
	v_and_b32_e32 v211, v211, v212
	v_and_b32_e32 v212, v57, v5
	v_lshlrev_b32_e32 v5, 25, v56
	v_cmp_gt_i64_e32 vcc, 0, v[4:5]
	v_not_b32_e32 v5, v5
	v_ashrrev_i32_e32 v5, 31, v5
	v_xor_b32_e32 v56, vcc_hi, v5
	v_xor_b32_e32 v5, vcc_lo, v5
	v_and_b32_e32 v57, v211, v56
	v_and_b32_e32 v56, v212, v5
	v_mbcnt_lo_u32_b32 v5, v56, 0
	v_mbcnt_hi_u32_b32 v212, v57, v5
	v_cmp_eq_u32_e32 vcc, 0, v212
	v_cmp_ne_u64_e64 s[40:41], 0, v[56:57]
	s_and_b64 s[42:43], s[40:41], vcc
	; wave barrier
	s_and_saveexec_b64 s[40:41], s[42:43]
	s_cbranch_execz .LBB942_1112
; %bb.1111:                             ;   in Loop: Header=BB942_1048 Depth=2
	v_bcnt_u32_b32 v5, v56, 0
	v_bcnt_u32_b32 v5, v57, v5
	s_waitcnt lgkmcnt(0)
	v_add_u32_e32 v5, v210, v5
	ds_write_b32 v174, v5
.LBB942_1112:                           ;   in Loop: Header=BB942_1048 Depth=2
	s_or_b64 exec, exec, s[40:41]
	s_waitcnt vmcnt(2)
	v_xor_b32_e32 v211, 0x7fff, v169
	v_lshrrev_b32_sdwa v5, s89, v211 dst_sel:DWORD dst_unused:UNUSED_PAD src0_sel:DWORD src1_sel:WORD_0
	v_and_b32_e32 v56, s6, v5
	v_mul_u32_u24_e32 v5, 5, v56
	v_add_lshl_u32 v5, v5, v153, 2
	; wave barrier
	v_add_u32_e32 v169, 0x210, v5
	ds_read_b32 v213, v5 offset:528
	v_and_b32_e32 v5, 1, v56
	v_add_co_u32_e32 v57, vcc, -1, v5
	v_addc_co_u32_e64 v214, s[40:41], 0, -1, vcc
	v_cmp_ne_u32_e32 vcc, 0, v5
	v_xor_b32_e32 v5, vcc_hi, v214
	v_and_b32_e32 v214, exec_hi, v5
	v_lshlrev_b32_e32 v5, 30, v56
	v_xor_b32_e32 v57, vcc_lo, v57
	v_cmp_gt_i64_e32 vcc, 0, v[4:5]
	v_not_b32_e32 v5, v5
	v_ashrrev_i32_e32 v5, 31, v5
	v_and_b32_e32 v57, exec_lo, v57
	v_xor_b32_e32 v215, vcc_hi, v5
	v_xor_b32_e32 v5, vcc_lo, v5
	v_and_b32_e32 v57, v57, v5
	v_lshlrev_b32_e32 v5, 29, v56
	v_cmp_gt_i64_e32 vcc, 0, v[4:5]
	v_not_b32_e32 v5, v5
	v_ashrrev_i32_e32 v5, 31, v5
	v_and_b32_e32 v214, v214, v215
	v_xor_b32_e32 v215, vcc_hi, v5
	v_xor_b32_e32 v5, vcc_lo, v5
	v_and_b32_e32 v57, v57, v5
	v_lshlrev_b32_e32 v5, 28, v56
	v_cmp_gt_i64_e32 vcc, 0, v[4:5]
	v_not_b32_e32 v5, v5
	v_ashrrev_i32_e32 v5, 31, v5
	v_and_b32_e32 v214, v214, v215
	;; [unrolled: 8-line block ×4, first 2 shown]
	v_xor_b32_e32 v215, vcc_hi, v5
	v_xor_b32_e32 v5, vcc_lo, v5
	v_and_b32_e32 v214, v214, v215
	v_and_b32_e32 v215, v57, v5
	v_lshlrev_b32_e32 v5, 25, v56
	v_cmp_gt_i64_e32 vcc, 0, v[4:5]
	v_not_b32_e32 v5, v5
	v_ashrrev_i32_e32 v5, 31, v5
	v_xor_b32_e32 v56, vcc_hi, v5
	v_xor_b32_e32 v5, vcc_lo, v5
	v_and_b32_e32 v57, v214, v56
	v_and_b32_e32 v56, v215, v5
	v_mbcnt_lo_u32_b32 v5, v56, 0
	v_mbcnt_hi_u32_b32 v215, v57, v5
	v_cmp_eq_u32_e32 vcc, 0, v215
	v_cmp_ne_u64_e64 s[40:41], 0, v[56:57]
	s_and_b64 s[42:43], s[40:41], vcc
	; wave barrier
	s_and_saveexec_b64 s[40:41], s[42:43]
	s_cbranch_execz .LBB942_1114
; %bb.1113:                             ;   in Loop: Header=BB942_1048 Depth=2
	v_bcnt_u32_b32 v5, v56, 0
	v_bcnt_u32_b32 v5, v57, v5
	s_waitcnt lgkmcnt(0)
	v_add_u32_e32 v5, v213, v5
	ds_write_b32 v169, v5
.LBB942_1114:                           ;   in Loop: Header=BB942_1048 Depth=2
	s_or_b64 exec, exec, s[40:41]
	s_waitcnt vmcnt(0)
	v_xor_b32_e32 v214, 0x7fff, v164
	v_lshrrev_b32_sdwa v5, s89, v214 dst_sel:DWORD dst_unused:UNUSED_PAD src0_sel:DWORD src1_sel:WORD_0
	v_and_b32_e32 v56, s6, v5
	v_mul_u32_u24_e32 v5, 5, v56
	v_add_lshl_u32 v5, v5, v153, 2
	; wave barrier
	v_add_u32_e32 v164, 0x210, v5
	ds_read_b32 v216, v5 offset:528
	v_and_b32_e32 v5, 1, v56
	v_add_co_u32_e32 v57, vcc, -1, v5
	v_addc_co_u32_e64 v217, s[40:41], 0, -1, vcc
	v_cmp_ne_u32_e32 vcc, 0, v5
	v_xor_b32_e32 v5, vcc_hi, v217
	v_and_b32_e32 v217, exec_hi, v5
	v_lshlrev_b32_e32 v5, 30, v56
	v_xor_b32_e32 v57, vcc_lo, v57
	v_cmp_gt_i64_e32 vcc, 0, v[4:5]
	v_not_b32_e32 v5, v5
	v_ashrrev_i32_e32 v5, 31, v5
	v_and_b32_e32 v57, exec_lo, v57
	v_xor_b32_e32 v218, vcc_hi, v5
	v_xor_b32_e32 v5, vcc_lo, v5
	v_and_b32_e32 v57, v57, v5
	v_lshlrev_b32_e32 v5, 29, v56
	v_cmp_gt_i64_e32 vcc, 0, v[4:5]
	v_not_b32_e32 v5, v5
	v_ashrrev_i32_e32 v5, 31, v5
	v_and_b32_e32 v217, v217, v218
	v_xor_b32_e32 v218, vcc_hi, v5
	v_xor_b32_e32 v5, vcc_lo, v5
	v_and_b32_e32 v57, v57, v5
	v_lshlrev_b32_e32 v5, 28, v56
	v_cmp_gt_i64_e32 vcc, 0, v[4:5]
	v_not_b32_e32 v5, v5
	v_ashrrev_i32_e32 v5, 31, v5
	v_and_b32_e32 v217, v217, v218
	;; [unrolled: 8-line block ×4, first 2 shown]
	v_xor_b32_e32 v218, vcc_hi, v5
	v_xor_b32_e32 v5, vcc_lo, v5
	v_and_b32_e32 v217, v217, v218
	v_and_b32_e32 v218, v57, v5
	v_lshlrev_b32_e32 v5, 25, v56
	v_cmp_gt_i64_e32 vcc, 0, v[4:5]
	v_not_b32_e32 v5, v5
	v_ashrrev_i32_e32 v5, 31, v5
	v_xor_b32_e32 v56, vcc_hi, v5
	v_xor_b32_e32 v5, vcc_lo, v5
	v_and_b32_e32 v57, v217, v56
	v_and_b32_e32 v56, v218, v5
	v_mbcnt_lo_u32_b32 v5, v56, 0
	v_mbcnt_hi_u32_b32 v218, v57, v5
	v_cmp_eq_u32_e32 vcc, 0, v218
	v_cmp_ne_u64_e64 s[40:41], 0, v[56:57]
	s_and_b64 s[42:43], s[40:41], vcc
	; wave barrier
	s_and_saveexec_b64 s[40:41], s[42:43]
	s_cbranch_execz .LBB942_1116
; %bb.1115:                             ;   in Loop: Header=BB942_1048 Depth=2
	v_bcnt_u32_b32 v5, v56, 0
	v_bcnt_u32_b32 v5, v57, v5
	s_waitcnt lgkmcnt(0)
	v_add_u32_e32 v5, v216, v5
	ds_write_b32 v164, v5
.LBB942_1116:                           ;   in Loop: Header=BB942_1048 Depth=2
	s_or_b64 exec, exec, s[40:41]
	v_xor_b32_e32 v217, 0x7fff, v159
	v_lshrrev_b32_sdwa v5, s89, v217 dst_sel:DWORD dst_unused:UNUSED_PAD src0_sel:DWORD src1_sel:WORD_0
	v_and_b32_e32 v56, s6, v5
	v_mul_u32_u24_e32 v5, 5, v56
	v_add_lshl_u32 v5, v5, v153, 2
	; wave barrier
	v_add_u32_e32 v159, 0x210, v5
	ds_read_b32 v219, v5 offset:528
	v_and_b32_e32 v5, 1, v56
	v_add_co_u32_e32 v57, vcc, -1, v5
	v_addc_co_u32_e64 v220, s[40:41], 0, -1, vcc
	v_cmp_ne_u32_e32 vcc, 0, v5
	v_xor_b32_e32 v5, vcc_hi, v220
	v_and_b32_e32 v220, exec_hi, v5
	v_lshlrev_b32_e32 v5, 30, v56
	v_xor_b32_e32 v57, vcc_lo, v57
	v_cmp_gt_i64_e32 vcc, 0, v[4:5]
	v_not_b32_e32 v5, v5
	v_ashrrev_i32_e32 v5, 31, v5
	v_and_b32_e32 v57, exec_lo, v57
	v_xor_b32_e32 v221, vcc_hi, v5
	v_xor_b32_e32 v5, vcc_lo, v5
	v_and_b32_e32 v57, v57, v5
	v_lshlrev_b32_e32 v5, 29, v56
	v_cmp_gt_i64_e32 vcc, 0, v[4:5]
	v_not_b32_e32 v5, v5
	v_ashrrev_i32_e32 v5, 31, v5
	v_and_b32_e32 v220, v220, v221
	v_xor_b32_e32 v221, vcc_hi, v5
	v_xor_b32_e32 v5, vcc_lo, v5
	v_and_b32_e32 v57, v57, v5
	v_lshlrev_b32_e32 v5, 28, v56
	v_cmp_gt_i64_e32 vcc, 0, v[4:5]
	v_not_b32_e32 v5, v5
	v_ashrrev_i32_e32 v5, 31, v5
	v_and_b32_e32 v220, v220, v221
	;; [unrolled: 8-line block ×4, first 2 shown]
	v_xor_b32_e32 v221, vcc_hi, v5
	v_xor_b32_e32 v5, vcc_lo, v5
	v_and_b32_e32 v220, v220, v221
	v_and_b32_e32 v221, v57, v5
	v_lshlrev_b32_e32 v5, 25, v56
	v_cmp_gt_i64_e32 vcc, 0, v[4:5]
	v_not_b32_e32 v5, v5
	v_ashrrev_i32_e32 v5, 31, v5
	v_xor_b32_e32 v56, vcc_hi, v5
	v_xor_b32_e32 v5, vcc_lo, v5
	v_and_b32_e32 v57, v220, v56
	v_and_b32_e32 v56, v221, v5
	v_mbcnt_lo_u32_b32 v5, v56, 0
	v_mbcnt_hi_u32_b32 v221, v57, v5
	v_cmp_eq_u32_e32 vcc, 0, v221
	v_cmp_ne_u64_e64 s[40:41], 0, v[56:57]
	s_and_b64 s[42:43], s[40:41], vcc
	; wave barrier
	s_and_saveexec_b64 s[40:41], s[42:43]
	s_cbranch_execz .LBB942_1118
; %bb.1117:                             ;   in Loop: Header=BB942_1048 Depth=2
	v_bcnt_u32_b32 v5, v56, 0
	v_bcnt_u32_b32 v5, v57, v5
	s_waitcnt lgkmcnt(0)
	v_add_u32_e32 v5, v219, v5
	ds_write_b32 v159, v5
.LBB942_1118:                           ;   in Loop: Header=BB942_1048 Depth=2
	s_or_b64 exec, exec, s[40:41]
	v_xor_b32_e32 v220, 0x7fff, v166
	v_lshrrev_b32_sdwa v5, s89, v220 dst_sel:DWORD dst_unused:UNUSED_PAD src0_sel:DWORD src1_sel:WORD_0
	v_and_b32_e32 v56, s6, v5
	v_mul_u32_u24_e32 v5, 5, v56
	v_add_lshl_u32 v5, v5, v153, 2
	; wave barrier
	v_add_u32_e32 v166, 0x210, v5
	ds_read_b32 v222, v5 offset:528
	v_and_b32_e32 v5, 1, v56
	v_add_co_u32_e32 v57, vcc, -1, v5
	v_addc_co_u32_e64 v223, s[40:41], 0, -1, vcc
	v_cmp_ne_u32_e32 vcc, 0, v5
	v_xor_b32_e32 v5, vcc_hi, v223
	v_and_b32_e32 v223, exec_hi, v5
	v_lshlrev_b32_e32 v5, 30, v56
	v_xor_b32_e32 v57, vcc_lo, v57
	v_cmp_gt_i64_e32 vcc, 0, v[4:5]
	v_not_b32_e32 v5, v5
	v_ashrrev_i32_e32 v5, 31, v5
	v_and_b32_e32 v57, exec_lo, v57
	v_xor_b32_e32 v224, vcc_hi, v5
	v_xor_b32_e32 v5, vcc_lo, v5
	v_and_b32_e32 v57, v57, v5
	v_lshlrev_b32_e32 v5, 29, v56
	v_cmp_gt_i64_e32 vcc, 0, v[4:5]
	v_not_b32_e32 v5, v5
	v_ashrrev_i32_e32 v5, 31, v5
	v_and_b32_e32 v223, v223, v224
	v_xor_b32_e32 v224, vcc_hi, v5
	v_xor_b32_e32 v5, vcc_lo, v5
	v_and_b32_e32 v57, v57, v5
	v_lshlrev_b32_e32 v5, 28, v56
	v_cmp_gt_i64_e32 vcc, 0, v[4:5]
	v_not_b32_e32 v5, v5
	v_ashrrev_i32_e32 v5, 31, v5
	v_and_b32_e32 v223, v223, v224
	;; [unrolled: 8-line block ×4, first 2 shown]
	v_xor_b32_e32 v224, vcc_hi, v5
	v_xor_b32_e32 v5, vcc_lo, v5
	v_and_b32_e32 v223, v223, v224
	v_and_b32_e32 v224, v57, v5
	v_lshlrev_b32_e32 v5, 25, v56
	v_cmp_gt_i64_e32 vcc, 0, v[4:5]
	v_not_b32_e32 v5, v5
	v_ashrrev_i32_e32 v5, 31, v5
	v_xor_b32_e32 v56, vcc_hi, v5
	v_xor_b32_e32 v5, vcc_lo, v5
	v_and_b32_e32 v57, v223, v56
	v_and_b32_e32 v56, v224, v5
	v_mbcnt_lo_u32_b32 v5, v56, 0
	v_mbcnt_hi_u32_b32 v5, v57, v5
	v_cmp_eq_u32_e32 vcc, 0, v5
	v_cmp_ne_u64_e64 s[40:41], 0, v[56:57]
	s_and_b64 s[42:43], s[40:41], vcc
	; wave barrier
	s_and_saveexec_b64 s[40:41], s[42:43]
	s_cbranch_execz .LBB942_1120
; %bb.1119:                             ;   in Loop: Header=BB942_1048 Depth=2
	v_bcnt_u32_b32 v56, v56, 0
	v_bcnt_u32_b32 v56, v57, v56
	s_waitcnt lgkmcnt(0)
	v_add_u32_e32 v56, v222, v56
	ds_write_b32 v166, v56
.LBB942_1120:                           ;   in Loop: Header=BB942_1048 Depth=2
	s_or_b64 exec, exec, s[40:41]
	; wave barrier
	s_waitcnt lgkmcnt(0)
	s_barrier
	ds_read_b32 v223, v58 offset:528
	ds_read2_b32 v[56:57], v67 offset0:1 offset1:2
	s_waitcnt lgkmcnt(0)
	v_add3_u32 v57, v56, v223, v57
	s_nop 1
	v_mov_b32_dpp v224, v57 row_shr:1 row_mask:0xf bank_mask:0xf
	v_cndmask_b32_e64 v224, v224, 0, s[20:21]
	v_add_u32_e32 v57, v224, v57
	s_nop 1
	v_mov_b32_dpp v224, v57 row_shr:2 row_mask:0xf bank_mask:0xf
	v_cndmask_b32_e64 v224, 0, v224, s[22:23]
	v_add_u32_e32 v57, v57, v224
	;; [unrolled: 4-line block ×4, first 2 shown]
	s_nop 1
	v_mov_b32_dpp v224, v57 row_bcast:15 row_mask:0xf bank_mask:0xf
	v_cndmask_b32_e64 v224, v224, 0, s[28:29]
	v_add_u32_e32 v57, v57, v224
	s_nop 1
	v_mov_b32_dpp v224, v57 row_bcast:31 row_mask:0xf bank_mask:0xf
	v_cndmask_b32_e64 v224, 0, v224, s[30:31]
	v_add_u32_e32 v57, v57, v224
	s_and_saveexec_b64 s[40:41], s[12:13]
	s_cbranch_execz .LBB942_1122
; %bb.1121:                             ;   in Loop: Header=BB942_1048 Depth=2
	ds_write_b32 v60, v57 offset:512
.LBB942_1122:                           ;   in Loop: Header=BB942_1048 Depth=2
	s_or_b64 exec, exec, s[40:41]
	s_waitcnt lgkmcnt(0)
	s_barrier
	s_and_saveexec_b64 s[40:41], s[14:15]
	s_cbranch_execz .LBB942_1124
; %bb.1123:                             ;   in Loop: Header=BB942_1048 Depth=2
	ds_read_b32 v224, v69 offset:512
	s_waitcnt lgkmcnt(0)
	s_nop 0
	v_mov_b32_dpp v225, v224 row_shr:1 row_mask:0xf bank_mask:0xf
	v_cndmask_b32_e64 v225, v225, 0, s[36:37]
	v_add_u32_e32 v224, v225, v224
	s_nop 1
	v_mov_b32_dpp v225, v224 row_shr:2 row_mask:0xf bank_mask:0xf
	v_cndmask_b32_e64 v225, 0, v225, s[38:39]
	v_add_u32_e32 v224, v224, v225
	ds_write_b32 v69, v224 offset:512
.LBB942_1124:                           ;   in Loop: Header=BB942_1048 Depth=2
	s_or_b64 exec, exec, s[40:41]
	v_mov_b32_e32 v224, 0
	s_waitcnt lgkmcnt(0)
	s_barrier
	s_and_saveexec_b64 s[40:41], s[10:11]
	s_cbranch_execz .LBB942_1126
; %bb.1125:                             ;   in Loop: Header=BB942_1048 Depth=2
	ds_read_b32 v224, v60 offset:508
.LBB942_1126:                           ;   in Loop: Header=BB942_1048 Depth=2
	s_or_b64 exec, exec, s[40:41]
	s_waitcnt lgkmcnt(0)
	v_add_u32_e32 v57, v224, v57
	ds_bpermute_b32 v57, v129, v57
	s_waitcnt lgkmcnt(0)
	v_cndmask_b32_e64 v57, v57, v224, s[34:35]
	v_cndmask_b32_e64 v57, v57, 0, s[16:17]
	v_add_u32_e32 v223, v57, v223
	v_add_u32_e32 v56, v223, v56
	ds_write_b32 v58, v57 offset:528
	ds_write2_b32 v67, v223, v56 offset0:1 offset1:2
	s_waitcnt lgkmcnt(0)
	s_barrier
	ds_read_b32 v56, v158
	ds_read_b32 v57, v163
	;; [unrolled: 1-line block ×17, first 2 shown]
	s_and_saveexec_b64 s[40:41], s[4:5]
	s_cbranch_execz .LBB942_1130
; %bb.1127:                             ;   in Loop: Header=BB942_1048 Depth=2
	ds_read_b32 v154, v70 offset:528
	v_mov_b32_e32 v155, 0x1100
	s_and_saveexec_b64 s[42:43], s[18:19]
	s_cbranch_execz .LBB942_1129
; %bb.1128:                             ;   in Loop: Header=BB942_1048 Depth=2
	ds_read_b32 v155, v70 offset:548
.LBB942_1129:                           ;   in Loop: Header=BB942_1048 Depth=2
	s_or_b64 exec, exec, s[42:43]
	s_waitcnt lgkmcnt(0)
	v_sub_u32_e32 v155, v155, v154
.LBB942_1130:                           ;   in Loop: Header=BB942_1048 Depth=2
	s_or_b64 exec, exec, s[40:41]
	s_waitcnt lgkmcnt(0)
	s_barrier
	s_and_saveexec_b64 s[40:41], s[4:5]
	s_cbranch_execz .LBB942_1132
; %bb.1131:                             ;   in Loop: Header=BB942_1048 Depth=2
	ds_read_b32 v159, v3
	s_waitcnt lgkmcnt(0)
	v_sub_u32_e32 v159, v159, v154
	ds_write_b32 v3, v159
.LBB942_1132:                           ;   in Loop: Header=BB942_1048 Depth=2
	s_or_b64 exec, exec, s[40:41]
	v_add_u32_e32 v179, v56, v161
	v_add3_u32 v175, v167, v162, v57
	v_lshlrev_b32_e32 v56, 1, v179
	v_add3_u32 v174, v172, v168, v158
	ds_write_b16 v56, v157 offset:512
	v_lshlrev_b32_e32 v56, 1, v175
	v_add3_u32 v173, v177, v173, v163
	ds_write_b16 v56, v160 offset:512
	;; [unrolled: 3-line block ×15, first 2 shown]
	v_lshlrev_b32_e32 v56, 1, v158
	ds_write_b16 v56, v217 offset:512
	v_lshlrev_b32_e32 v56, 1, v5
	v_cmp_lt_u32_e64 s[40:41], v2, v156
	v_add_u32_e32 v157, v70, v75
	ds_write_b16 v56, v220 offset:512
	s_waitcnt lgkmcnt(0)
	s_barrier
	s_and_saveexec_b64 s[42:43], s[40:41]
	s_cbranch_execz .LBB942_1184
; %bb.1133:                             ;   in Loop: Header=BB942_1048 Depth=2
	ds_read_u16 v56, v157 offset:512
	v_mov_b32_e32 v165, s81
	s_waitcnt lgkmcnt(0)
	v_lshrrev_b32_sdwa v57, s89, v56 dst_sel:DWORD dst_unused:UNUSED_PAD src0_sel:DWORD src1_sel:WORD_0
	v_and_b32_e32 v57, s6, v57
	v_lshlrev_b32_e32 v57, 2, v57
	ds_read_b32 v160, v57
	v_mov_b32_e32 v57, v4
	v_xor_b32_e32 v171, 0x7fff, v56
	s_waitcnt lgkmcnt(0)
	v_add_u32_e32 v56, v160, v2
	v_lshlrev_b64 v[56:57], 1, v[56:57]
	v_add_co_u32_e32 v56, vcc, s80, v56
	v_addc_co_u32_e32 v57, vcc, v165, v57, vcc
	global_store_short v[56:57], v171, off
	s_or_b64 exec, exec, s[42:43]
	v_cmp_lt_u32_e64 s[42:43], v7, v156
	s_and_saveexec_b64 s[44:45], s[42:43]
	s_cbranch_execnz .LBB942_1185
.LBB942_1134:                           ;   in Loop: Header=BB942_1048 Depth=2
	s_or_b64 exec, exec, s[44:45]
	v_cmp_lt_u32_e64 s[44:45], v13, v156
	s_and_saveexec_b64 s[46:47], s[44:45]
	s_cbranch_execz .LBB942_1186
.LBB942_1135:                           ;   in Loop: Header=BB942_1048 Depth=2
	ds_read_u16 v56, v76 offset:1024
	v_mov_b32_e32 v165, s81
	s_waitcnt lgkmcnt(0)
	v_lshrrev_b32_sdwa v57, s89, v56 dst_sel:DWORD dst_unused:UNUSED_PAD src0_sel:DWORD src1_sel:WORD_0
	v_and_b32_e32 v57, s6, v57
	v_lshlrev_b32_e32 v57, 2, v57
	ds_read_b32 v160, v57
	v_mov_b32_e32 v57, v4
	v_xor_b32_e32 v171, 0x7fff, v56
	s_waitcnt lgkmcnt(0)
	v_add_u32_e32 v56, v160, v13
	v_lshlrev_b64 v[56:57], 1, v[56:57]
	v_add_co_u32_e32 v56, vcc, s80, v56
	v_addc_co_u32_e32 v57, vcc, v165, v57, vcc
	global_store_short v[56:57], v171, off
	s_or_b64 exec, exec, s[46:47]
	v_cmp_lt_u32_e64 s[46:47], v15, v156
	s_and_saveexec_b64 s[48:49], s[46:47]
	s_cbranch_execnz .LBB942_1187
.LBB942_1136:                           ;   in Loop: Header=BB942_1048 Depth=2
	s_or_b64 exec, exec, s[48:49]
	v_cmp_lt_u32_e64 s[48:49], v17, v156
	s_and_saveexec_b64 s[50:51], s[48:49]
	s_cbranch_execz .LBB942_1188
.LBB942_1137:                           ;   in Loop: Header=BB942_1048 Depth=2
	ds_read_u16 v56, v76 offset:2048
	v_mov_b32_e32 v165, s81
	s_waitcnt lgkmcnt(0)
	v_lshrrev_b32_sdwa v57, s89, v56 dst_sel:DWORD dst_unused:UNUSED_PAD src0_sel:DWORD src1_sel:WORD_0
	v_and_b32_e32 v57, s6, v57
	v_lshlrev_b32_e32 v57, 2, v57
	ds_read_b32 v160, v57
	v_mov_b32_e32 v57, v4
	v_xor_b32_e32 v171, 0x7fff, v56
	s_waitcnt lgkmcnt(0)
	v_add_u32_e32 v56, v160, v17
	v_lshlrev_b64 v[56:57], 1, v[56:57]
	v_add_co_u32_e32 v56, vcc, s80, v56
	v_addc_co_u32_e32 v57, vcc, v165, v57, vcc
	global_store_short v[56:57], v171, off
	s_or_b64 exec, exec, s[50:51]
	v_cmp_lt_u32_e64 s[50:51], v19, v156
	s_and_saveexec_b64 s[52:53], s[50:51]
	s_cbranch_execnz .LBB942_1189
.LBB942_1138:                           ;   in Loop: Header=BB942_1048 Depth=2
	s_or_b64 exec, exec, s[52:53]
	v_cmp_lt_u32_e64 s[52:53], v21, v156
	s_and_saveexec_b64 s[54:55], s[52:53]
	s_cbranch_execz .LBB942_1190
.LBB942_1139:                           ;   in Loop: Header=BB942_1048 Depth=2
	ds_read_u16 v56, v76 offset:3072
	v_mov_b32_e32 v165, s81
	s_waitcnt lgkmcnt(0)
	v_lshrrev_b32_sdwa v57, s89, v56 dst_sel:DWORD dst_unused:UNUSED_PAD src0_sel:DWORD src1_sel:WORD_0
	v_and_b32_e32 v57, s6, v57
	v_lshlrev_b32_e32 v57, 2, v57
	ds_read_b32 v160, v57
	v_mov_b32_e32 v57, v4
	v_xor_b32_e32 v171, 0x7fff, v56
	s_waitcnt lgkmcnt(0)
	v_add_u32_e32 v56, v160, v21
	v_lshlrev_b64 v[56:57], 1, v[56:57]
	v_add_co_u32_e32 v56, vcc, s80, v56
	v_addc_co_u32_e32 v57, vcc, v165, v57, vcc
	global_store_short v[56:57], v171, off
	s_or_b64 exec, exec, s[54:55]
	v_cmp_lt_u32_e64 s[54:55], v23, v156
	s_and_saveexec_b64 s[56:57], s[54:55]
	s_cbranch_execnz .LBB942_1191
.LBB942_1140:                           ;   in Loop: Header=BB942_1048 Depth=2
	s_or_b64 exec, exec, s[56:57]
	v_cmp_lt_u32_e64 s[56:57], v6, v156
	s_and_saveexec_b64 s[58:59], s[56:57]
	s_cbranch_execz .LBB942_1192
.LBB942_1141:                           ;   in Loop: Header=BB942_1048 Depth=2
	ds_read_u16 v56, v76 offset:4096
	v_mov_b32_e32 v165, s81
	s_waitcnt lgkmcnt(0)
	v_lshrrev_b32_sdwa v57, s89, v56 dst_sel:DWORD dst_unused:UNUSED_PAD src0_sel:DWORD src1_sel:WORD_0
	v_and_b32_e32 v57, s6, v57
	v_lshlrev_b32_e32 v57, 2, v57
	ds_read_b32 v160, v57
	v_mov_b32_e32 v57, v4
	v_xor_b32_e32 v171, 0x7fff, v56
	s_waitcnt lgkmcnt(0)
	v_add_u32_e32 v56, v160, v6
	v_lshlrev_b64 v[56:57], 1, v[56:57]
	v_add_co_u32_e32 v56, vcc, s80, v56
	v_addc_co_u32_e32 v57, vcc, v165, v57, vcc
	global_store_short v[56:57], v171, off
	s_or_b64 exec, exec, s[58:59]
	v_cmp_lt_u32_e64 s[58:59], v8, v156
	s_and_saveexec_b64 s[60:61], s[58:59]
	s_cbranch_execnz .LBB942_1193
.LBB942_1142:                           ;   in Loop: Header=BB942_1048 Depth=2
	s_or_b64 exec, exec, s[60:61]
	v_cmp_lt_u32_e64 s[60:61], v10, v156
	s_and_saveexec_b64 s[62:63], s[60:61]
	s_cbranch_execz .LBB942_1194
.LBB942_1143:                           ;   in Loop: Header=BB942_1048 Depth=2
	ds_read_u16 v56, v76 offset:5120
	v_mov_b32_e32 v165, s81
	s_waitcnt lgkmcnt(0)
	v_lshrrev_b32_sdwa v57, s89, v56 dst_sel:DWORD dst_unused:UNUSED_PAD src0_sel:DWORD src1_sel:WORD_0
	v_and_b32_e32 v57, s6, v57
	v_lshlrev_b32_e32 v57, 2, v57
	ds_read_b32 v160, v57
	v_mov_b32_e32 v57, v4
	v_xor_b32_e32 v171, 0x7fff, v56
	s_waitcnt lgkmcnt(0)
	v_add_u32_e32 v56, v160, v10
	v_lshlrev_b64 v[56:57], 1, v[56:57]
	v_add_co_u32_e32 v56, vcc, s80, v56
	v_addc_co_u32_e32 v57, vcc, v165, v57, vcc
	global_store_short v[56:57], v171, off
	s_or_b64 exec, exec, s[62:63]
	v_cmp_lt_u32_e64 s[62:63], v12, v156
	s_and_saveexec_b64 s[64:65], s[62:63]
	s_cbranch_execnz .LBB942_1195
.LBB942_1144:                           ;   in Loop: Header=BB942_1048 Depth=2
	s_or_b64 exec, exec, s[64:65]
	v_cmp_lt_u32_e64 s[64:65], v14, v156
	s_and_saveexec_b64 s[66:67], s[64:65]
	s_cbranch_execz .LBB942_1196
.LBB942_1145:                           ;   in Loop: Header=BB942_1048 Depth=2
	ds_read_u16 v56, v76 offset:6144
	v_mov_b32_e32 v165, s81
	s_waitcnt lgkmcnt(0)
	v_lshrrev_b32_sdwa v57, s89, v56 dst_sel:DWORD dst_unused:UNUSED_PAD src0_sel:DWORD src1_sel:WORD_0
	v_and_b32_e32 v57, s6, v57
	v_lshlrev_b32_e32 v57, 2, v57
	ds_read_b32 v160, v57
	v_mov_b32_e32 v57, v4
	v_xor_b32_e32 v171, 0x7fff, v56
	s_waitcnt lgkmcnt(0)
	v_add_u32_e32 v56, v160, v14
	v_lshlrev_b64 v[56:57], 1, v[56:57]
	v_add_co_u32_e32 v56, vcc, s80, v56
	v_addc_co_u32_e32 v57, vcc, v165, v57, vcc
	global_store_short v[56:57], v171, off
	s_or_b64 exec, exec, s[66:67]
	v_cmp_lt_u32_e64 s[66:67], v16, v156
	s_and_saveexec_b64 s[68:69], s[66:67]
	s_cbranch_execnz .LBB942_1197
.LBB942_1146:                           ;   in Loop: Header=BB942_1048 Depth=2
	s_or_b64 exec, exec, s[68:69]
	v_cmp_lt_u32_e64 s[68:69], v18, v156
	s_and_saveexec_b64 s[70:71], s[68:69]
	s_cbranch_execz .LBB942_1198
.LBB942_1147:                           ;   in Loop: Header=BB942_1048 Depth=2
	ds_read_u16 v56, v76 offset:7168
	v_mov_b32_e32 v165, s81
	s_waitcnt lgkmcnt(0)
	v_lshrrev_b32_sdwa v57, s89, v56 dst_sel:DWORD dst_unused:UNUSED_PAD src0_sel:DWORD src1_sel:WORD_0
	v_and_b32_e32 v57, s6, v57
	v_lshlrev_b32_e32 v57, 2, v57
	ds_read_b32 v160, v57
	v_mov_b32_e32 v57, v4
	v_xor_b32_e32 v171, 0x7fff, v56
	s_waitcnt lgkmcnt(0)
	v_add_u32_e32 v56, v160, v18
	v_lshlrev_b64 v[56:57], 1, v[56:57]
	v_add_co_u32_e32 v56, vcc, s80, v56
	v_addc_co_u32_e32 v57, vcc, v165, v57, vcc
	global_store_short v[56:57], v171, off
	s_or_b64 exec, exec, s[70:71]
	v_cmp_lt_u32_e64 s[70:71], v20, v156
	s_and_saveexec_b64 s[72:73], s[70:71]
	s_cbranch_execnz .LBB942_1199
.LBB942_1148:                           ;   in Loop: Header=BB942_1048 Depth=2
	s_or_b64 exec, exec, s[72:73]
	v_cmp_lt_u32_e64 s[72:73], v22, v156
	s_and_saveexec_b64 s[82:83], s[72:73]
	s_cbranch_execz .LBB942_1150
.LBB942_1149:                           ;   in Loop: Header=BB942_1048 Depth=2
	ds_read_u16 v56, v76 offset:8192
	v_mov_b32_e32 v165, s81
	s_waitcnt lgkmcnt(0)
	v_lshrrev_b32_sdwa v57, s89, v56 dst_sel:DWORD dst_unused:UNUSED_PAD src0_sel:DWORD src1_sel:WORD_0
	v_and_b32_e32 v57, s6, v57
	v_lshlrev_b32_e32 v57, 2, v57
	ds_read_b32 v160, v57
	v_mov_b32_e32 v57, v4
	v_xor_b32_e32 v171, 0x7fff, v56
	s_waitcnt lgkmcnt(0)
	v_add_u32_e32 v56, v160, v22
	v_lshlrev_b64 v[56:57], 1, v[56:57]
	v_add_co_u32_e32 v56, vcc, s80, v56
	v_addc_co_u32_e32 v57, vcc, v165, v57, vcc
	global_store_short v[56:57], v171, off
.LBB942_1150:                           ;   in Loop: Header=BB942_1048 Depth=2
	s_or_b64 exec, exec, s[82:83]
	s_lshl_b64 s[82:83], s[94:95], 3
	v_mov_b32_e32 v57, s83
	v_add_co_u32_e32 v56, vcc, s82, v130
	v_addc_co_u32_e32 v57, vcc, v131, v57, vcc
	v_cmp_lt_u32_e32 vcc, v111, v156
	s_and_saveexec_b64 s[82:83], vcc
	s_xor_b64 s[82:83], exec, s[82:83]
	s_cbranch_execz .LBB942_1200
; %bb.1151:                             ;   in Loop: Header=BB942_1048 Depth=2
	global_load_dwordx2 v[54:55], v[56:57], off
	s_or_b64 exec, exec, s[82:83]
	v_cmp_lt_u32_e32 vcc, v112, v156
	s_and_saveexec_b64 s[82:83], vcc
	s_cbranch_execnz .LBB942_1201
.LBB942_1152:                           ;   in Loop: Header=BB942_1048 Depth=2
	s_or_b64 exec, exec, s[82:83]
	v_cmp_lt_u32_e32 vcc, v113, v156
	s_and_saveexec_b64 s[82:83], vcc
	s_cbranch_execz .LBB942_1202
.LBB942_1153:                           ;   in Loop: Header=BB942_1048 Depth=2
	global_load_dwordx2 v[50:51], v[56:57], off offset:1024
	s_or_b64 exec, exec, s[82:83]
	v_cmp_lt_u32_e32 vcc, v114, v156
	s_and_saveexec_b64 s[82:83], vcc
	s_cbranch_execnz .LBB942_1203
.LBB942_1154:                           ;   in Loop: Header=BB942_1048 Depth=2
	s_or_b64 exec, exec, s[82:83]
	v_cmp_lt_u32_e32 vcc, v115, v156
	s_and_saveexec_b64 s[82:83], vcc
	s_cbranch_execz .LBB942_1204
.LBB942_1155:                           ;   in Loop: Header=BB942_1048 Depth=2
	global_load_dwordx2 v[42:43], v[56:57], off offset:2048
	s_or_b64 exec, exec, s[82:83]
	v_cmp_lt_u32_e32 vcc, v116, v156
	s_and_saveexec_b64 s[82:83], vcc
	s_cbranch_execnz .LBB942_1205
.LBB942_1156:                           ;   in Loop: Header=BB942_1048 Depth=2
	s_or_b64 exec, exec, s[82:83]
	v_cmp_lt_u32_e32 vcc, v117, v156
	s_and_saveexec_b64 s[82:83], vcc
	s_cbranch_execz .LBB942_1206
.LBB942_1157:                           ;   in Loop: Header=BB942_1048 Depth=2
	global_load_dwordx2 v[34:35], v[56:57], off offset:3072
	s_or_b64 exec, exec, s[82:83]
	v_cmp_lt_u32_e32 vcc, v118, v156
	s_and_saveexec_b64 s[82:83], vcc
	s_cbranch_execnz .LBB942_1207
.LBB942_1158:                           ;   in Loop: Header=BB942_1048 Depth=2
	s_or_b64 exec, exec, s[82:83]
	v_cmp_lt_u32_e32 vcc, v119, v156
	s_and_saveexec_b64 s[82:83], vcc
	s_cbranch_execz .LBB942_1208
.LBB942_1159:                           ;   in Loop: Header=BB942_1048 Depth=2
	v_add_co_u32_e32 v48, vcc, 0x1000, v56
	v_addc_co_u32_e32 v49, vcc, 0, v57, vcc
	global_load_dwordx2 v[48:49], v[48:49], off
	s_or_b64 exec, exec, s[82:83]
	v_cmp_lt_u32_e32 vcc, v120, v156
	s_and_saveexec_b64 s[82:83], vcc
	s_cbranch_execnz .LBB942_1209
.LBB942_1160:                           ;   in Loop: Header=BB942_1048 Depth=2
	s_or_b64 exec, exec, s[82:83]
	v_cmp_lt_u32_e32 vcc, v121, v156
	s_and_saveexec_b64 s[82:83], vcc
	s_cbranch_execz .LBB942_1210
.LBB942_1161:                           ;   in Loop: Header=BB942_1048 Depth=2
	v_add_co_u32_e32 v40, vcc, 0x1000, v56
	v_addc_co_u32_e32 v41, vcc, 0, v57, vcc
	global_load_dwordx2 v[40:41], v[40:41], off offset:1024
	s_or_b64 exec, exec, s[82:83]
	v_cmp_lt_u32_e32 vcc, v122, v156
	s_and_saveexec_b64 s[82:83], vcc
	s_cbranch_execnz .LBB942_1211
.LBB942_1162:                           ;   in Loop: Header=BB942_1048 Depth=2
	s_or_b64 exec, exec, s[82:83]
	v_cmp_lt_u32_e32 vcc, v123, v156
	s_and_saveexec_b64 s[82:83], vcc
	s_cbranch_execz .LBB942_1212
.LBB942_1163:                           ;   in Loop: Header=BB942_1048 Depth=2
	v_add_co_u32_e32 v32, vcc, 0x1000, v56
	v_addc_co_u32_e32 v33, vcc, 0, v57, vcc
	global_load_dwordx2 v[32:33], v[32:33], off offset:2048
	s_or_b64 exec, exec, s[82:83]
	v_cmp_lt_u32_e32 vcc, v124, v156
	s_and_saveexec_b64 s[82:83], vcc
	s_cbranch_execnz .LBB942_1213
.LBB942_1164:                           ;   in Loop: Header=BB942_1048 Depth=2
	s_or_b64 exec, exec, s[82:83]
	v_cmp_lt_u32_e32 vcc, v125, v156
	s_and_saveexec_b64 s[82:83], vcc
	s_cbranch_execz .LBB942_1214
.LBB942_1165:                           ;   in Loop: Header=BB942_1048 Depth=2
	v_add_co_u32_e32 v26, vcc, 0x1000, v56
	v_addc_co_u32_e32 v27, vcc, 0, v57, vcc
	global_load_dwordx2 v[26:27], v[26:27], off offset:3072
	s_or_b64 exec, exec, s[82:83]
	v_cmp_lt_u32_e32 vcc, v126, v156
	s_and_saveexec_b64 s[82:83], vcc
	s_cbranch_execnz .LBB942_1215
.LBB942_1166:                           ;   in Loop: Header=BB942_1048 Depth=2
	s_or_b64 exec, exec, s[82:83]
	v_cmp_lt_u32_e32 vcc, v127, v156
	s_and_saveexec_b64 s[82:83], vcc
	s_cbranch_execz .LBB942_1216
.LBB942_1167:                           ;   in Loop: Header=BB942_1048 Depth=2
	v_add_co_u32_e32 v0, vcc, 0x2000, v56
	v_addc_co_u32_e32 v1, vcc, 0, v57, vcc
	global_load_dwordx2 v[0:1], v[0:1], off
	s_or_b64 exec, exec, s[82:83]
	s_and_saveexec_b64 s[82:83], s[40:41]
	s_cbranch_execnz .LBB942_1217
.LBB942_1168:                           ;   in Loop: Header=BB942_1048 Depth=2
	s_or_b64 exec, exec, s[82:83]
	s_and_saveexec_b64 s[82:83], s[42:43]
	s_cbranch_execz .LBB942_1218
.LBB942_1169:                           ;   in Loop: Header=BB942_1048 Depth=2
	ds_read_u16 v56, v76 offset:512
	s_waitcnt lgkmcnt(0)
	v_lshrrev_b32_e32 v56, s89, v56
	v_and_b32_e32 v150, s6, v56
	s_or_b64 exec, exec, s[82:83]
	s_and_saveexec_b64 s[82:83], s[44:45]
	s_cbranch_execnz .LBB942_1219
.LBB942_1170:                           ;   in Loop: Header=BB942_1048 Depth=2
	s_or_b64 exec, exec, s[82:83]
	s_and_saveexec_b64 s[82:83], s[46:47]
	s_cbranch_execz .LBB942_1220
.LBB942_1171:                           ;   in Loop: Header=BB942_1048 Depth=2
	ds_read_u16 v56, v76 offset:1536
	s_waitcnt lgkmcnt(0)
	v_lshrrev_b32_e32 v56, s89, v56
	v_and_b32_e32 v147, s6, v56
	s_or_b64 exec, exec, s[82:83]
	s_and_saveexec_b64 s[82:83], s[48:49]
	s_cbranch_execnz .LBB942_1221
.LBB942_1172:                           ;   in Loop: Header=BB942_1048 Depth=2
	s_or_b64 exec, exec, s[82:83]
	s_and_saveexec_b64 s[82:83], s[50:51]
	s_cbranch_execz .LBB942_1222
.LBB942_1173:                           ;   in Loop: Header=BB942_1048 Depth=2
	ds_read_u16 v56, v76 offset:2560
	s_waitcnt lgkmcnt(0)
	v_lshrrev_b32_e32 v56, s89, v56
	v_and_b32_e32 v145, s6, v56
	s_or_b64 exec, exec, s[82:83]
	s_and_saveexec_b64 s[82:83], s[52:53]
	s_cbranch_execnz .LBB942_1223
.LBB942_1174:                           ;   in Loop: Header=BB942_1048 Depth=2
	s_or_b64 exec, exec, s[82:83]
	s_and_saveexec_b64 s[82:83], s[54:55]
	s_cbranch_execz .LBB942_1224
.LBB942_1175:                           ;   in Loop: Header=BB942_1048 Depth=2
	ds_read_u16 v56, v76 offset:3584
	s_waitcnt lgkmcnt(0)
	v_lshrrev_b32_e32 v56, s89, v56
	v_and_b32_e32 v143, s6, v56
	s_or_b64 exec, exec, s[82:83]
	s_and_saveexec_b64 s[82:83], s[56:57]
	s_cbranch_execnz .LBB942_1225
.LBB942_1176:                           ;   in Loop: Header=BB942_1048 Depth=2
	s_or_b64 exec, exec, s[82:83]
	s_and_saveexec_b64 s[82:83], s[58:59]
	s_cbranch_execz .LBB942_1226
.LBB942_1177:                           ;   in Loop: Header=BB942_1048 Depth=2
	ds_read_u16 v56, v76 offset:4608
	s_waitcnt lgkmcnt(0)
	v_lshrrev_b32_e32 v56, s89, v56
	v_and_b32_e32 v141, s6, v56
	s_or_b64 exec, exec, s[82:83]
	s_and_saveexec_b64 s[82:83], s[60:61]
	s_cbranch_execnz .LBB942_1227
.LBB942_1178:                           ;   in Loop: Header=BB942_1048 Depth=2
	s_or_b64 exec, exec, s[82:83]
	s_and_saveexec_b64 s[82:83], s[62:63]
	s_cbranch_execz .LBB942_1228
.LBB942_1179:                           ;   in Loop: Header=BB942_1048 Depth=2
	ds_read_u16 v56, v76 offset:5632
	s_waitcnt lgkmcnt(0)
	v_lshrrev_b32_e32 v56, s89, v56
	v_and_b32_e32 v139, s6, v56
	s_or_b64 exec, exec, s[82:83]
	s_and_saveexec_b64 s[82:83], s[64:65]
	s_cbranch_execnz .LBB942_1229
.LBB942_1180:                           ;   in Loop: Header=BB942_1048 Depth=2
	s_or_b64 exec, exec, s[82:83]
	s_and_saveexec_b64 s[82:83], s[66:67]
	s_cbranch_execz .LBB942_1230
.LBB942_1181:                           ;   in Loop: Header=BB942_1048 Depth=2
	ds_read_u16 v56, v76 offset:6656
	s_waitcnt lgkmcnt(0)
	v_lshrrev_b32_e32 v56, s89, v56
	v_and_b32_e32 v137, s6, v56
	s_or_b64 exec, exec, s[82:83]
	s_and_saveexec_b64 s[82:83], s[68:69]
	s_cbranch_execnz .LBB942_1231
.LBB942_1182:                           ;   in Loop: Header=BB942_1048 Depth=2
	s_or_b64 exec, exec, s[82:83]
	s_and_saveexec_b64 s[82:83], s[70:71]
	s_cbranch_execz .LBB942_1232
.LBB942_1183:                           ;   in Loop: Header=BB942_1048 Depth=2
	ds_read_u16 v56, v76 offset:7680
	s_waitcnt lgkmcnt(0)
	v_lshrrev_b32_e32 v56, s89, v56
	v_and_b32_e32 v135, s6, v56
	s_or_b64 exec, exec, s[82:83]
	s_and_saveexec_b64 s[82:83], s[72:73]
	s_cbranch_execnz .LBB942_1233
	s_branch .LBB942_1234
.LBB942_1184:                           ;   in Loop: Header=BB942_1048 Depth=2
	s_or_b64 exec, exec, s[42:43]
	v_cmp_lt_u32_e64 s[42:43], v7, v156
	s_and_saveexec_b64 s[44:45], s[42:43]
	s_cbranch_execz .LBB942_1134
.LBB942_1185:                           ;   in Loop: Header=BB942_1048 Depth=2
	ds_read_u16 v56, v76 offset:512
	v_mov_b32_e32 v165, s81
	s_waitcnt lgkmcnt(0)
	v_lshrrev_b32_sdwa v57, s89, v56 dst_sel:DWORD dst_unused:UNUSED_PAD src0_sel:DWORD src1_sel:WORD_0
	v_and_b32_e32 v57, s6, v57
	v_lshlrev_b32_e32 v57, 2, v57
	ds_read_b32 v160, v57
	v_mov_b32_e32 v57, v4
	v_xor_b32_e32 v171, 0x7fff, v56
	s_waitcnt lgkmcnt(0)
	v_add_u32_e32 v56, v160, v7
	v_lshlrev_b64 v[56:57], 1, v[56:57]
	v_add_co_u32_e32 v56, vcc, s80, v56
	v_addc_co_u32_e32 v57, vcc, v165, v57, vcc
	global_store_short v[56:57], v171, off
	s_or_b64 exec, exec, s[44:45]
	v_cmp_lt_u32_e64 s[44:45], v13, v156
	s_and_saveexec_b64 s[46:47], s[44:45]
	s_cbranch_execnz .LBB942_1135
.LBB942_1186:                           ;   in Loop: Header=BB942_1048 Depth=2
	s_or_b64 exec, exec, s[46:47]
	v_cmp_lt_u32_e64 s[46:47], v15, v156
	s_and_saveexec_b64 s[48:49], s[46:47]
	s_cbranch_execz .LBB942_1136
.LBB942_1187:                           ;   in Loop: Header=BB942_1048 Depth=2
	ds_read_u16 v56, v76 offset:1536
	v_mov_b32_e32 v165, s81
	s_waitcnt lgkmcnt(0)
	v_lshrrev_b32_sdwa v57, s89, v56 dst_sel:DWORD dst_unused:UNUSED_PAD src0_sel:DWORD src1_sel:WORD_0
	v_and_b32_e32 v57, s6, v57
	v_lshlrev_b32_e32 v57, 2, v57
	ds_read_b32 v160, v57
	v_mov_b32_e32 v57, v4
	v_xor_b32_e32 v171, 0x7fff, v56
	s_waitcnt lgkmcnt(0)
	v_add_u32_e32 v56, v160, v15
	v_lshlrev_b64 v[56:57], 1, v[56:57]
	v_add_co_u32_e32 v56, vcc, s80, v56
	v_addc_co_u32_e32 v57, vcc, v165, v57, vcc
	global_store_short v[56:57], v171, off
	s_or_b64 exec, exec, s[48:49]
	v_cmp_lt_u32_e64 s[48:49], v17, v156
	s_and_saveexec_b64 s[50:51], s[48:49]
	s_cbranch_execnz .LBB942_1137
.LBB942_1188:                           ;   in Loop: Header=BB942_1048 Depth=2
	s_or_b64 exec, exec, s[50:51]
	v_cmp_lt_u32_e64 s[50:51], v19, v156
	s_and_saveexec_b64 s[52:53], s[50:51]
	s_cbranch_execz .LBB942_1138
.LBB942_1189:                           ;   in Loop: Header=BB942_1048 Depth=2
	ds_read_u16 v56, v76 offset:2560
	v_mov_b32_e32 v165, s81
	s_waitcnt lgkmcnt(0)
	v_lshrrev_b32_sdwa v57, s89, v56 dst_sel:DWORD dst_unused:UNUSED_PAD src0_sel:DWORD src1_sel:WORD_0
	v_and_b32_e32 v57, s6, v57
	v_lshlrev_b32_e32 v57, 2, v57
	ds_read_b32 v160, v57
	v_mov_b32_e32 v57, v4
	v_xor_b32_e32 v171, 0x7fff, v56
	s_waitcnt lgkmcnt(0)
	v_add_u32_e32 v56, v160, v19
	v_lshlrev_b64 v[56:57], 1, v[56:57]
	v_add_co_u32_e32 v56, vcc, s80, v56
	v_addc_co_u32_e32 v57, vcc, v165, v57, vcc
	global_store_short v[56:57], v171, off
	s_or_b64 exec, exec, s[52:53]
	v_cmp_lt_u32_e64 s[52:53], v21, v156
	s_and_saveexec_b64 s[54:55], s[52:53]
	s_cbranch_execnz .LBB942_1139
.LBB942_1190:                           ;   in Loop: Header=BB942_1048 Depth=2
	s_or_b64 exec, exec, s[54:55]
	v_cmp_lt_u32_e64 s[54:55], v23, v156
	s_and_saveexec_b64 s[56:57], s[54:55]
	s_cbranch_execz .LBB942_1140
.LBB942_1191:                           ;   in Loop: Header=BB942_1048 Depth=2
	ds_read_u16 v56, v76 offset:3584
	v_mov_b32_e32 v165, s81
	s_waitcnt lgkmcnt(0)
	v_lshrrev_b32_sdwa v57, s89, v56 dst_sel:DWORD dst_unused:UNUSED_PAD src0_sel:DWORD src1_sel:WORD_0
	v_and_b32_e32 v57, s6, v57
	v_lshlrev_b32_e32 v57, 2, v57
	ds_read_b32 v160, v57
	v_mov_b32_e32 v57, v4
	v_xor_b32_e32 v171, 0x7fff, v56
	s_waitcnt lgkmcnt(0)
	v_add_u32_e32 v56, v160, v23
	v_lshlrev_b64 v[56:57], 1, v[56:57]
	v_add_co_u32_e32 v56, vcc, s80, v56
	v_addc_co_u32_e32 v57, vcc, v165, v57, vcc
	global_store_short v[56:57], v171, off
	s_or_b64 exec, exec, s[56:57]
	v_cmp_lt_u32_e64 s[56:57], v6, v156
	s_and_saveexec_b64 s[58:59], s[56:57]
	s_cbranch_execnz .LBB942_1141
.LBB942_1192:                           ;   in Loop: Header=BB942_1048 Depth=2
	s_or_b64 exec, exec, s[58:59]
	v_cmp_lt_u32_e64 s[58:59], v8, v156
	s_and_saveexec_b64 s[60:61], s[58:59]
	s_cbranch_execz .LBB942_1142
.LBB942_1193:                           ;   in Loop: Header=BB942_1048 Depth=2
	ds_read_u16 v56, v76 offset:4608
	v_mov_b32_e32 v165, s81
	s_waitcnt lgkmcnt(0)
	v_lshrrev_b32_sdwa v57, s89, v56 dst_sel:DWORD dst_unused:UNUSED_PAD src0_sel:DWORD src1_sel:WORD_0
	v_and_b32_e32 v57, s6, v57
	v_lshlrev_b32_e32 v57, 2, v57
	ds_read_b32 v160, v57
	v_mov_b32_e32 v57, v4
	v_xor_b32_e32 v171, 0x7fff, v56
	s_waitcnt lgkmcnt(0)
	v_add_u32_e32 v56, v160, v8
	v_lshlrev_b64 v[56:57], 1, v[56:57]
	v_add_co_u32_e32 v56, vcc, s80, v56
	v_addc_co_u32_e32 v57, vcc, v165, v57, vcc
	global_store_short v[56:57], v171, off
	s_or_b64 exec, exec, s[60:61]
	v_cmp_lt_u32_e64 s[60:61], v10, v156
	s_and_saveexec_b64 s[62:63], s[60:61]
	s_cbranch_execnz .LBB942_1143
.LBB942_1194:                           ;   in Loop: Header=BB942_1048 Depth=2
	s_or_b64 exec, exec, s[62:63]
	v_cmp_lt_u32_e64 s[62:63], v12, v156
	s_and_saveexec_b64 s[64:65], s[62:63]
	s_cbranch_execz .LBB942_1144
.LBB942_1195:                           ;   in Loop: Header=BB942_1048 Depth=2
	ds_read_u16 v56, v76 offset:5632
	v_mov_b32_e32 v165, s81
	s_waitcnt lgkmcnt(0)
	v_lshrrev_b32_sdwa v57, s89, v56 dst_sel:DWORD dst_unused:UNUSED_PAD src0_sel:DWORD src1_sel:WORD_0
	v_and_b32_e32 v57, s6, v57
	v_lshlrev_b32_e32 v57, 2, v57
	ds_read_b32 v160, v57
	v_mov_b32_e32 v57, v4
	v_xor_b32_e32 v171, 0x7fff, v56
	s_waitcnt lgkmcnt(0)
	v_add_u32_e32 v56, v160, v12
	v_lshlrev_b64 v[56:57], 1, v[56:57]
	v_add_co_u32_e32 v56, vcc, s80, v56
	v_addc_co_u32_e32 v57, vcc, v165, v57, vcc
	global_store_short v[56:57], v171, off
	s_or_b64 exec, exec, s[64:65]
	v_cmp_lt_u32_e64 s[64:65], v14, v156
	s_and_saveexec_b64 s[66:67], s[64:65]
	s_cbranch_execnz .LBB942_1145
.LBB942_1196:                           ;   in Loop: Header=BB942_1048 Depth=2
	s_or_b64 exec, exec, s[66:67]
	v_cmp_lt_u32_e64 s[66:67], v16, v156
	s_and_saveexec_b64 s[68:69], s[66:67]
	s_cbranch_execz .LBB942_1146
.LBB942_1197:                           ;   in Loop: Header=BB942_1048 Depth=2
	ds_read_u16 v56, v76 offset:6656
	v_mov_b32_e32 v165, s81
	s_waitcnt lgkmcnt(0)
	v_lshrrev_b32_sdwa v57, s89, v56 dst_sel:DWORD dst_unused:UNUSED_PAD src0_sel:DWORD src1_sel:WORD_0
	v_and_b32_e32 v57, s6, v57
	v_lshlrev_b32_e32 v57, 2, v57
	ds_read_b32 v160, v57
	v_mov_b32_e32 v57, v4
	v_xor_b32_e32 v171, 0x7fff, v56
	s_waitcnt lgkmcnt(0)
	v_add_u32_e32 v56, v160, v16
	v_lshlrev_b64 v[56:57], 1, v[56:57]
	v_add_co_u32_e32 v56, vcc, s80, v56
	v_addc_co_u32_e32 v57, vcc, v165, v57, vcc
	global_store_short v[56:57], v171, off
	s_or_b64 exec, exec, s[68:69]
	v_cmp_lt_u32_e64 s[68:69], v18, v156
	s_and_saveexec_b64 s[70:71], s[68:69]
	s_cbranch_execnz .LBB942_1147
.LBB942_1198:                           ;   in Loop: Header=BB942_1048 Depth=2
	s_or_b64 exec, exec, s[70:71]
	v_cmp_lt_u32_e64 s[70:71], v20, v156
	s_and_saveexec_b64 s[72:73], s[70:71]
	s_cbranch_execz .LBB942_1148
.LBB942_1199:                           ;   in Loop: Header=BB942_1048 Depth=2
	ds_read_u16 v56, v76 offset:7680
	v_mov_b32_e32 v165, s81
	s_waitcnt lgkmcnt(0)
	v_lshrrev_b32_sdwa v57, s89, v56 dst_sel:DWORD dst_unused:UNUSED_PAD src0_sel:DWORD src1_sel:WORD_0
	v_and_b32_e32 v57, s6, v57
	v_lshlrev_b32_e32 v57, 2, v57
	ds_read_b32 v160, v57
	v_mov_b32_e32 v57, v4
	v_xor_b32_e32 v171, 0x7fff, v56
	s_waitcnt lgkmcnt(0)
	v_add_u32_e32 v56, v160, v20
	v_lshlrev_b64 v[56:57], 1, v[56:57]
	v_add_co_u32_e32 v56, vcc, s80, v56
	v_addc_co_u32_e32 v57, vcc, v165, v57, vcc
	global_store_short v[56:57], v171, off
	s_or_b64 exec, exec, s[72:73]
	v_cmp_lt_u32_e64 s[72:73], v22, v156
	s_and_saveexec_b64 s[82:83], s[72:73]
	s_cbranch_execnz .LBB942_1149
	s_branch .LBB942_1150
.LBB942_1200:                           ;   in Loop: Header=BB942_1048 Depth=2
	s_or_b64 exec, exec, s[82:83]
	v_cmp_lt_u32_e32 vcc, v112, v156
	s_and_saveexec_b64 s[82:83], vcc
	s_cbranch_execz .LBB942_1152
.LBB942_1201:                           ;   in Loop: Header=BB942_1048 Depth=2
	global_load_dwordx2 v[52:53], v[56:57], off offset:512
	s_or_b64 exec, exec, s[82:83]
	v_cmp_lt_u32_e32 vcc, v113, v156
	s_and_saveexec_b64 s[82:83], vcc
	s_cbranch_execnz .LBB942_1153
.LBB942_1202:                           ;   in Loop: Header=BB942_1048 Depth=2
	s_or_b64 exec, exec, s[82:83]
	v_cmp_lt_u32_e32 vcc, v114, v156
	s_and_saveexec_b64 s[82:83], vcc
	s_cbranch_execz .LBB942_1154
.LBB942_1203:                           ;   in Loop: Header=BB942_1048 Depth=2
	global_load_dwordx2 v[46:47], v[56:57], off offset:1536
	s_or_b64 exec, exec, s[82:83]
	v_cmp_lt_u32_e32 vcc, v115, v156
	s_and_saveexec_b64 s[82:83], vcc
	s_cbranch_execnz .LBB942_1155
.LBB942_1204:                           ;   in Loop: Header=BB942_1048 Depth=2
	s_or_b64 exec, exec, s[82:83]
	v_cmp_lt_u32_e32 vcc, v116, v156
	s_and_saveexec_b64 s[82:83], vcc
	s_cbranch_execz .LBB942_1156
.LBB942_1205:                           ;   in Loop: Header=BB942_1048 Depth=2
	global_load_dwordx2 v[38:39], v[56:57], off offset:2560
	s_or_b64 exec, exec, s[82:83]
	v_cmp_lt_u32_e32 vcc, v117, v156
	s_and_saveexec_b64 s[82:83], vcc
	s_cbranch_execnz .LBB942_1157
.LBB942_1206:                           ;   in Loop: Header=BB942_1048 Depth=2
	s_or_b64 exec, exec, s[82:83]
	v_cmp_lt_u32_e32 vcc, v118, v156
	s_and_saveexec_b64 s[82:83], vcc
	s_cbranch_execz .LBB942_1158
.LBB942_1207:                           ;   in Loop: Header=BB942_1048 Depth=2
	global_load_dwordx2 v[30:31], v[56:57], off offset:3584
	s_or_b64 exec, exec, s[82:83]
	v_cmp_lt_u32_e32 vcc, v119, v156
	s_and_saveexec_b64 s[82:83], vcc
	s_cbranch_execnz .LBB942_1159
.LBB942_1208:                           ;   in Loop: Header=BB942_1048 Depth=2
	s_or_b64 exec, exec, s[82:83]
	v_cmp_lt_u32_e32 vcc, v120, v156
	s_and_saveexec_b64 s[82:83], vcc
	s_cbranch_execz .LBB942_1160
.LBB942_1209:                           ;   in Loop: Header=BB942_1048 Depth=2
	v_add_co_u32_e32 v44, vcc, 0x1000, v56
	v_addc_co_u32_e32 v45, vcc, 0, v57, vcc
	global_load_dwordx2 v[44:45], v[44:45], off offset:512
	s_or_b64 exec, exec, s[82:83]
	v_cmp_lt_u32_e32 vcc, v121, v156
	s_and_saveexec_b64 s[82:83], vcc
	s_cbranch_execnz .LBB942_1161
.LBB942_1210:                           ;   in Loop: Header=BB942_1048 Depth=2
	s_or_b64 exec, exec, s[82:83]
	v_cmp_lt_u32_e32 vcc, v122, v156
	s_and_saveexec_b64 s[82:83], vcc
	s_cbranch_execz .LBB942_1162
.LBB942_1211:                           ;   in Loop: Header=BB942_1048 Depth=2
	v_add_co_u32_e32 v36, vcc, 0x1000, v56
	v_addc_co_u32_e32 v37, vcc, 0, v57, vcc
	global_load_dwordx2 v[36:37], v[36:37], off offset:1536
	s_or_b64 exec, exec, s[82:83]
	v_cmp_lt_u32_e32 vcc, v123, v156
	s_and_saveexec_b64 s[82:83], vcc
	s_cbranch_execnz .LBB942_1163
.LBB942_1212:                           ;   in Loop: Header=BB942_1048 Depth=2
	s_or_b64 exec, exec, s[82:83]
	v_cmp_lt_u32_e32 vcc, v124, v156
	s_and_saveexec_b64 s[82:83], vcc
	s_cbranch_execz .LBB942_1164
.LBB942_1213:                           ;   in Loop: Header=BB942_1048 Depth=2
	v_add_co_u32_e32 v28, vcc, 0x1000, v56
	v_addc_co_u32_e32 v29, vcc, 0, v57, vcc
	global_load_dwordx2 v[28:29], v[28:29], off offset:2560
	s_or_b64 exec, exec, s[82:83]
	v_cmp_lt_u32_e32 vcc, v125, v156
	s_and_saveexec_b64 s[82:83], vcc
	s_cbranch_execnz .LBB942_1165
.LBB942_1214:                           ;   in Loop: Header=BB942_1048 Depth=2
	s_or_b64 exec, exec, s[82:83]
	v_cmp_lt_u32_e32 vcc, v126, v156
	s_and_saveexec_b64 s[82:83], vcc
	s_cbranch_execz .LBB942_1166
.LBB942_1215:                           ;   in Loop: Header=BB942_1048 Depth=2
	v_add_co_u32_e32 v24, vcc, 0x1000, v56
	v_addc_co_u32_e32 v25, vcc, 0, v57, vcc
	global_load_dwordx2 v[24:25], v[24:25], off offset:3584
	s_or_b64 exec, exec, s[82:83]
	v_cmp_lt_u32_e32 vcc, v127, v156
	s_and_saveexec_b64 s[82:83], vcc
	s_cbranch_execnz .LBB942_1167
.LBB942_1216:                           ;   in Loop: Header=BB942_1048 Depth=2
	s_or_b64 exec, exec, s[82:83]
	s_and_saveexec_b64 s[82:83], s[40:41]
	s_cbranch_execz .LBB942_1168
.LBB942_1217:                           ;   in Loop: Header=BB942_1048 Depth=2
	ds_read_u16 v56, v157 offset:512
	s_waitcnt lgkmcnt(0)
	v_lshrrev_b32_e32 v56, s89, v56
	v_and_b32_e32 v152, s6, v56
	s_or_b64 exec, exec, s[82:83]
	s_and_saveexec_b64 s[82:83], s[42:43]
	s_cbranch_execnz .LBB942_1169
.LBB942_1218:                           ;   in Loop: Header=BB942_1048 Depth=2
	s_or_b64 exec, exec, s[82:83]
	s_and_saveexec_b64 s[82:83], s[44:45]
	s_cbranch_execz .LBB942_1170
.LBB942_1219:                           ;   in Loop: Header=BB942_1048 Depth=2
	ds_read_u16 v56, v76 offset:1024
	s_waitcnt lgkmcnt(0)
	v_lshrrev_b32_e32 v56, s89, v56
	v_and_b32_e32 v149, s6, v56
	s_or_b64 exec, exec, s[82:83]
	s_and_saveexec_b64 s[82:83], s[46:47]
	s_cbranch_execnz .LBB942_1171
.LBB942_1220:                           ;   in Loop: Header=BB942_1048 Depth=2
	s_or_b64 exec, exec, s[82:83]
	s_and_saveexec_b64 s[82:83], s[48:49]
	s_cbranch_execz .LBB942_1172
.LBB942_1221:                           ;   in Loop: Header=BB942_1048 Depth=2
	ds_read_u16 v56, v76 offset:2048
	s_waitcnt lgkmcnt(0)
	v_lshrrev_b32_e32 v56, s89, v56
	v_and_b32_e32 v146, s6, v56
	s_or_b64 exec, exec, s[82:83]
	s_and_saveexec_b64 s[82:83], s[50:51]
	s_cbranch_execnz .LBB942_1173
.LBB942_1222:                           ;   in Loop: Header=BB942_1048 Depth=2
	s_or_b64 exec, exec, s[82:83]
	s_and_saveexec_b64 s[82:83], s[52:53]
	s_cbranch_execz .LBB942_1174
.LBB942_1223:                           ;   in Loop: Header=BB942_1048 Depth=2
	ds_read_u16 v56, v76 offset:3072
	s_waitcnt lgkmcnt(0)
	v_lshrrev_b32_e32 v56, s89, v56
	v_and_b32_e32 v144, s6, v56
	s_or_b64 exec, exec, s[82:83]
	s_and_saveexec_b64 s[82:83], s[54:55]
	s_cbranch_execnz .LBB942_1175
.LBB942_1224:                           ;   in Loop: Header=BB942_1048 Depth=2
	s_or_b64 exec, exec, s[82:83]
	s_and_saveexec_b64 s[82:83], s[56:57]
	s_cbranch_execz .LBB942_1176
.LBB942_1225:                           ;   in Loop: Header=BB942_1048 Depth=2
	ds_read_u16 v56, v76 offset:4096
	s_waitcnt lgkmcnt(0)
	v_lshrrev_b32_e32 v56, s89, v56
	v_and_b32_e32 v142, s6, v56
	s_or_b64 exec, exec, s[82:83]
	s_and_saveexec_b64 s[82:83], s[58:59]
	s_cbranch_execnz .LBB942_1177
.LBB942_1226:                           ;   in Loop: Header=BB942_1048 Depth=2
	s_or_b64 exec, exec, s[82:83]
	s_and_saveexec_b64 s[82:83], s[60:61]
	s_cbranch_execz .LBB942_1178
.LBB942_1227:                           ;   in Loop: Header=BB942_1048 Depth=2
	ds_read_u16 v56, v76 offset:5120
	s_waitcnt lgkmcnt(0)
	v_lshrrev_b32_e32 v56, s89, v56
	v_and_b32_e32 v140, s6, v56
	s_or_b64 exec, exec, s[82:83]
	s_and_saveexec_b64 s[82:83], s[62:63]
	s_cbranch_execnz .LBB942_1179
.LBB942_1228:                           ;   in Loop: Header=BB942_1048 Depth=2
	s_or_b64 exec, exec, s[82:83]
	s_and_saveexec_b64 s[82:83], s[64:65]
	s_cbranch_execz .LBB942_1180
.LBB942_1229:                           ;   in Loop: Header=BB942_1048 Depth=2
	ds_read_u16 v56, v76 offset:6144
	s_waitcnt lgkmcnt(0)
	v_lshrrev_b32_e32 v56, s89, v56
	v_and_b32_e32 v138, s6, v56
	s_or_b64 exec, exec, s[82:83]
	s_and_saveexec_b64 s[82:83], s[66:67]
	s_cbranch_execnz .LBB942_1181
.LBB942_1230:                           ;   in Loop: Header=BB942_1048 Depth=2
	s_or_b64 exec, exec, s[82:83]
	s_and_saveexec_b64 s[82:83], s[68:69]
	s_cbranch_execz .LBB942_1182
.LBB942_1231:                           ;   in Loop: Header=BB942_1048 Depth=2
	ds_read_u16 v56, v76 offset:7168
	s_waitcnt lgkmcnt(0)
	v_lshrrev_b32_e32 v56, s89, v56
	v_and_b32_e32 v136, s6, v56
	s_or_b64 exec, exec, s[82:83]
	s_and_saveexec_b64 s[82:83], s[70:71]
	s_cbranch_execnz .LBB942_1183
.LBB942_1232:                           ;   in Loop: Header=BB942_1048 Depth=2
	s_or_b64 exec, exec, s[82:83]
	s_and_saveexec_b64 s[82:83], s[72:73]
	s_cbranch_execz .LBB942_1234
.LBB942_1233:                           ;   in Loop: Header=BB942_1048 Depth=2
	ds_read_u16 v56, v76 offset:8192
	s_waitcnt lgkmcnt(0)
	v_lshrrev_b32_e32 v56, s89, v56
	v_and_b32_e32 v134, s6, v56
.LBB942_1234:                           ;   in Loop: Header=BB942_1048 Depth=2
	s_or_b64 exec, exec, s[82:83]
	v_lshlrev_b32_e32 v56, 3, v179
	s_barrier
	s_waitcnt vmcnt(0)
	ds_write_b64 v56, v[54:55] offset:512
	v_lshlrev_b32_e32 v56, 3, v175
	ds_write_b64 v56, v[52:53] offset:512
	v_lshlrev_b32_e32 v56, 3, v174
	;; [unrolled: 2-line block ×15, first 2 shown]
	v_lshlrev_b32_e32 v5, 3, v5
	ds_write_b64 v56, v[24:25] offset:512
	ds_write_b64 v5, v[0:1] offset:512
	s_waitcnt lgkmcnt(0)
	s_barrier
	s_and_saveexec_b64 s[82:83], s[40:41]
	s_cbranch_execz .LBB942_1254
; %bb.1235:                             ;   in Loop: Header=BB942_1048 Depth=2
	v_lshlrev_b32_e32 v5, 2, v152
	ds_read_b32 v5, v5
	ds_read_b64 v[56:57], v68 offset:512
	v_mov_b32_e32 v157, v4
	v_mov_b32_e32 v158, s87
	s_waitcnt lgkmcnt(1)
	v_add_u32_e32 v156, v5, v2
	v_lshlrev_b64 v[156:157], 3, v[156:157]
	v_add_co_u32_e32 v156, vcc, s86, v156
	v_addc_co_u32_e32 v157, vcc, v158, v157, vcc
	s_waitcnt lgkmcnt(0)
	global_store_dwordx2 v[156:157], v[56:57], off
	s_or_b64 exec, exec, s[82:83]
	v_add_u32_e32 v5, v76, v77
	s_and_saveexec_b64 s[40:41], s[42:43]
	s_cbranch_execnz .LBB942_1255
.LBB942_1236:                           ;   in Loop: Header=BB942_1048 Depth=2
	s_or_b64 exec, exec, s[40:41]
	s_and_saveexec_b64 s[40:41], s[44:45]
	s_cbranch_execz .LBB942_1256
.LBB942_1237:                           ;   in Loop: Header=BB942_1048 Depth=2
	v_lshlrev_b32_e32 v56, 2, v149
	ds_read_b32 v156, v56
	ds_read_b64 v[56:57], v5 offset:4096
	v_mov_b32_e32 v157, v4
	v_mov_b32_e32 v158, s87
	s_waitcnt lgkmcnt(1)
	v_add_u32_e32 v156, v156, v13
	v_lshlrev_b64 v[156:157], 3, v[156:157]
	v_add_co_u32_e32 v156, vcc, s86, v156
	v_addc_co_u32_e32 v157, vcc, v158, v157, vcc
	s_waitcnt lgkmcnt(0)
	global_store_dwordx2 v[156:157], v[56:57], off
	s_or_b64 exec, exec, s[40:41]
	s_and_saveexec_b64 s[40:41], s[46:47]
	s_cbranch_execnz .LBB942_1257
.LBB942_1238:                           ;   in Loop: Header=BB942_1048 Depth=2
	s_or_b64 exec, exec, s[40:41]
	s_and_saveexec_b64 s[40:41], s[48:49]
	s_cbranch_execz .LBB942_1258
.LBB942_1239:                           ;   in Loop: Header=BB942_1048 Depth=2
	v_lshlrev_b32_e32 v56, 2, v146
	ds_read_b32 v156, v56
	ds_read_b64 v[56:57], v5 offset:8192
	v_mov_b32_e32 v157, v4
	v_mov_b32_e32 v158, s87
	s_waitcnt lgkmcnt(1)
	v_add_u32_e32 v156, v156, v17
	v_lshlrev_b64 v[156:157], 3, v[156:157]
	v_add_co_u32_e32 v156, vcc, s86, v156
	v_addc_co_u32_e32 v157, vcc, v158, v157, vcc
	s_waitcnt lgkmcnt(0)
	global_store_dwordx2 v[156:157], v[56:57], off
	s_or_b64 exec, exec, s[40:41]
	s_and_saveexec_b64 s[40:41], s[50:51]
	s_cbranch_execnz .LBB942_1259
.LBB942_1240:                           ;   in Loop: Header=BB942_1048 Depth=2
	s_or_b64 exec, exec, s[40:41]
	s_and_saveexec_b64 s[40:41], s[52:53]
	s_cbranch_execz .LBB942_1260
.LBB942_1241:                           ;   in Loop: Header=BB942_1048 Depth=2
	v_lshlrev_b32_e32 v56, 2, v144
	ds_read_b32 v156, v56
	ds_read_b64 v[56:57], v5 offset:12288
	v_mov_b32_e32 v157, v4
	v_mov_b32_e32 v158, s87
	s_waitcnt lgkmcnt(1)
	v_add_u32_e32 v156, v156, v21
	v_lshlrev_b64 v[156:157], 3, v[156:157]
	v_add_co_u32_e32 v156, vcc, s86, v156
	v_addc_co_u32_e32 v157, vcc, v158, v157, vcc
	s_waitcnt lgkmcnt(0)
	global_store_dwordx2 v[156:157], v[56:57], off
	s_or_b64 exec, exec, s[40:41]
	s_and_saveexec_b64 s[40:41], s[54:55]
	s_cbranch_execnz .LBB942_1261
.LBB942_1242:                           ;   in Loop: Header=BB942_1048 Depth=2
	s_or_b64 exec, exec, s[40:41]
	s_and_saveexec_b64 s[40:41], s[56:57]
	s_cbranch_execz .LBB942_1262
.LBB942_1243:                           ;   in Loop: Header=BB942_1048 Depth=2
	v_lshlrev_b32_e32 v56, 2, v142
	ds_read_b32 v156, v56
	ds_read_b64 v[56:57], v5 offset:16384
	v_mov_b32_e32 v157, v4
	v_mov_b32_e32 v158, s87
	s_waitcnt lgkmcnt(1)
	v_add_u32_e32 v156, v156, v6
	v_lshlrev_b64 v[156:157], 3, v[156:157]
	v_add_co_u32_e32 v156, vcc, s86, v156
	v_addc_co_u32_e32 v157, vcc, v158, v157, vcc
	s_waitcnt lgkmcnt(0)
	global_store_dwordx2 v[156:157], v[56:57], off
	s_or_b64 exec, exec, s[40:41]
	s_and_saveexec_b64 s[40:41], s[58:59]
	s_cbranch_execnz .LBB942_1263
.LBB942_1244:                           ;   in Loop: Header=BB942_1048 Depth=2
	s_or_b64 exec, exec, s[40:41]
	s_and_saveexec_b64 s[40:41], s[60:61]
	s_cbranch_execz .LBB942_1264
.LBB942_1245:                           ;   in Loop: Header=BB942_1048 Depth=2
	v_lshlrev_b32_e32 v56, 2, v140
	ds_read_b32 v156, v56
	ds_read_b64 v[56:57], v5 offset:20480
	v_mov_b32_e32 v157, v4
	v_mov_b32_e32 v158, s87
	s_waitcnt lgkmcnt(1)
	v_add_u32_e32 v156, v156, v10
	v_lshlrev_b64 v[156:157], 3, v[156:157]
	v_add_co_u32_e32 v156, vcc, s86, v156
	v_addc_co_u32_e32 v157, vcc, v158, v157, vcc
	s_waitcnt lgkmcnt(0)
	global_store_dwordx2 v[156:157], v[56:57], off
	s_or_b64 exec, exec, s[40:41]
	s_and_saveexec_b64 s[40:41], s[62:63]
	s_cbranch_execnz .LBB942_1265
.LBB942_1246:                           ;   in Loop: Header=BB942_1048 Depth=2
	s_or_b64 exec, exec, s[40:41]
	s_and_saveexec_b64 s[40:41], s[64:65]
	s_cbranch_execz .LBB942_1266
.LBB942_1247:                           ;   in Loop: Header=BB942_1048 Depth=2
	v_lshlrev_b32_e32 v56, 2, v138
	ds_read_b32 v156, v56
	ds_read_b64 v[56:57], v5 offset:24576
	v_mov_b32_e32 v157, v4
	v_mov_b32_e32 v158, s87
	s_waitcnt lgkmcnt(1)
	v_add_u32_e32 v156, v156, v14
	v_lshlrev_b64 v[156:157], 3, v[156:157]
	v_add_co_u32_e32 v156, vcc, s86, v156
	v_addc_co_u32_e32 v157, vcc, v158, v157, vcc
	s_waitcnt lgkmcnt(0)
	global_store_dwordx2 v[156:157], v[56:57], off
	s_or_b64 exec, exec, s[40:41]
	s_and_saveexec_b64 s[40:41], s[66:67]
	s_cbranch_execnz .LBB942_1267
.LBB942_1248:                           ;   in Loop: Header=BB942_1048 Depth=2
	s_or_b64 exec, exec, s[40:41]
	s_and_saveexec_b64 s[40:41], s[68:69]
	s_cbranch_execz .LBB942_1268
.LBB942_1249:                           ;   in Loop: Header=BB942_1048 Depth=2
	v_lshlrev_b32_e32 v56, 2, v136
	ds_read_b32 v156, v56
	ds_read_b64 v[56:57], v5 offset:28672
	v_mov_b32_e32 v157, v4
	v_mov_b32_e32 v158, s87
	s_waitcnt lgkmcnt(1)
	v_add_u32_e32 v156, v156, v18
	v_lshlrev_b64 v[156:157], 3, v[156:157]
	v_add_co_u32_e32 v156, vcc, s86, v156
	v_addc_co_u32_e32 v157, vcc, v158, v157, vcc
	s_waitcnt lgkmcnt(0)
	global_store_dwordx2 v[156:157], v[56:57], off
	s_or_b64 exec, exec, s[40:41]
	s_and_saveexec_b64 s[40:41], s[70:71]
	s_cbranch_execnz .LBB942_1269
.LBB942_1250:                           ;   in Loop: Header=BB942_1048 Depth=2
	s_or_b64 exec, exec, s[40:41]
	s_and_saveexec_b64 s[40:41], s[72:73]
	s_cbranch_execz .LBB942_1252
.LBB942_1251:                           ;   in Loop: Header=BB942_1048 Depth=2
	v_lshlrev_b32_e32 v56, 2, v134
	ds_read_b32 v156, v56
	ds_read_b64 v[56:57], v5 offset:32768
	v_mov_b32_e32 v157, v4
	v_mov_b32_e32 v5, s87
	s_waitcnt lgkmcnt(1)
	v_add_u32_e32 v156, v156, v22
	v_lshlrev_b64 v[156:157], 3, v[156:157]
	v_add_co_u32_e32 v156, vcc, s86, v156
	v_addc_co_u32_e32 v157, vcc, v5, v157, vcc
	s_waitcnt lgkmcnt(0)
	global_store_dwordx2 v[156:157], v[56:57], off
.LBB942_1252:                           ;   in Loop: Header=BB942_1048 Depth=2
	s_or_b64 exec, exec, s[40:41]
	s_barrier
	s_and_saveexec_b64 s[40:41], s[4:5]
	s_cbranch_execz .LBB942_1047
; %bb.1253:                             ;   in Loop: Header=BB942_1048 Depth=2
	ds_read_b32 v5, v3
	s_waitcnt lgkmcnt(0)
	v_add3_u32 v5, v154, v155, v5
	ds_write_b32 v3, v5
	s_branch .LBB942_1047
.LBB942_1254:                           ;   in Loop: Header=BB942_1048 Depth=2
	s_or_b64 exec, exec, s[82:83]
	v_add_u32_e32 v5, v76, v77
	s_and_saveexec_b64 s[40:41], s[42:43]
	s_cbranch_execz .LBB942_1236
.LBB942_1255:                           ;   in Loop: Header=BB942_1048 Depth=2
	v_lshlrev_b32_e32 v56, 2, v150
	ds_read_b32 v156, v56
	ds_read_b64 v[56:57], v5 offset:2048
	v_mov_b32_e32 v157, v4
	v_mov_b32_e32 v158, s87
	s_waitcnt lgkmcnt(1)
	v_add_u32_e32 v156, v156, v7
	v_lshlrev_b64 v[156:157], 3, v[156:157]
	v_add_co_u32_e32 v156, vcc, s86, v156
	v_addc_co_u32_e32 v157, vcc, v158, v157, vcc
	s_waitcnt lgkmcnt(0)
	global_store_dwordx2 v[156:157], v[56:57], off
	s_or_b64 exec, exec, s[40:41]
	s_and_saveexec_b64 s[40:41], s[44:45]
	s_cbranch_execnz .LBB942_1237
.LBB942_1256:                           ;   in Loop: Header=BB942_1048 Depth=2
	s_or_b64 exec, exec, s[40:41]
	s_and_saveexec_b64 s[40:41], s[46:47]
	s_cbranch_execz .LBB942_1238
.LBB942_1257:                           ;   in Loop: Header=BB942_1048 Depth=2
	v_lshlrev_b32_e32 v56, 2, v147
	ds_read_b32 v156, v56
	ds_read_b64 v[56:57], v5 offset:6144
	v_mov_b32_e32 v157, v4
	v_mov_b32_e32 v158, s87
	s_waitcnt lgkmcnt(1)
	v_add_u32_e32 v156, v156, v15
	v_lshlrev_b64 v[156:157], 3, v[156:157]
	v_add_co_u32_e32 v156, vcc, s86, v156
	v_addc_co_u32_e32 v157, vcc, v158, v157, vcc
	s_waitcnt lgkmcnt(0)
	global_store_dwordx2 v[156:157], v[56:57], off
	s_or_b64 exec, exec, s[40:41]
	s_and_saveexec_b64 s[40:41], s[48:49]
	s_cbranch_execnz .LBB942_1239
.LBB942_1258:                           ;   in Loop: Header=BB942_1048 Depth=2
	s_or_b64 exec, exec, s[40:41]
	s_and_saveexec_b64 s[40:41], s[50:51]
	s_cbranch_execz .LBB942_1240
.LBB942_1259:                           ;   in Loop: Header=BB942_1048 Depth=2
	v_lshlrev_b32_e32 v56, 2, v145
	ds_read_b32 v156, v56
	ds_read_b64 v[56:57], v5 offset:10240
	v_mov_b32_e32 v157, v4
	v_mov_b32_e32 v158, s87
	s_waitcnt lgkmcnt(1)
	v_add_u32_e32 v156, v156, v19
	v_lshlrev_b64 v[156:157], 3, v[156:157]
	v_add_co_u32_e32 v156, vcc, s86, v156
	v_addc_co_u32_e32 v157, vcc, v158, v157, vcc
	s_waitcnt lgkmcnt(0)
	global_store_dwordx2 v[156:157], v[56:57], off
	s_or_b64 exec, exec, s[40:41]
	s_and_saveexec_b64 s[40:41], s[52:53]
	s_cbranch_execnz .LBB942_1241
.LBB942_1260:                           ;   in Loop: Header=BB942_1048 Depth=2
	s_or_b64 exec, exec, s[40:41]
	s_and_saveexec_b64 s[40:41], s[54:55]
	s_cbranch_execz .LBB942_1242
.LBB942_1261:                           ;   in Loop: Header=BB942_1048 Depth=2
	v_lshlrev_b32_e32 v56, 2, v143
	ds_read_b32 v156, v56
	ds_read_b64 v[56:57], v5 offset:14336
	v_mov_b32_e32 v157, v4
	v_mov_b32_e32 v158, s87
	s_waitcnt lgkmcnt(1)
	v_add_u32_e32 v156, v156, v23
	v_lshlrev_b64 v[156:157], 3, v[156:157]
	v_add_co_u32_e32 v156, vcc, s86, v156
	v_addc_co_u32_e32 v157, vcc, v158, v157, vcc
	s_waitcnt lgkmcnt(0)
	global_store_dwordx2 v[156:157], v[56:57], off
	s_or_b64 exec, exec, s[40:41]
	s_and_saveexec_b64 s[40:41], s[56:57]
	s_cbranch_execnz .LBB942_1243
.LBB942_1262:                           ;   in Loop: Header=BB942_1048 Depth=2
	s_or_b64 exec, exec, s[40:41]
	s_and_saveexec_b64 s[40:41], s[58:59]
	s_cbranch_execz .LBB942_1244
.LBB942_1263:                           ;   in Loop: Header=BB942_1048 Depth=2
	v_lshlrev_b32_e32 v56, 2, v141
	ds_read_b32 v156, v56
	ds_read_b64 v[56:57], v5 offset:18432
	v_mov_b32_e32 v157, v4
	v_mov_b32_e32 v158, s87
	s_waitcnt lgkmcnt(1)
	v_add_u32_e32 v156, v156, v8
	v_lshlrev_b64 v[156:157], 3, v[156:157]
	v_add_co_u32_e32 v156, vcc, s86, v156
	v_addc_co_u32_e32 v157, vcc, v158, v157, vcc
	s_waitcnt lgkmcnt(0)
	global_store_dwordx2 v[156:157], v[56:57], off
	s_or_b64 exec, exec, s[40:41]
	s_and_saveexec_b64 s[40:41], s[60:61]
	s_cbranch_execnz .LBB942_1245
.LBB942_1264:                           ;   in Loop: Header=BB942_1048 Depth=2
	s_or_b64 exec, exec, s[40:41]
	s_and_saveexec_b64 s[40:41], s[62:63]
	s_cbranch_execz .LBB942_1246
.LBB942_1265:                           ;   in Loop: Header=BB942_1048 Depth=2
	v_lshlrev_b32_e32 v56, 2, v139
	ds_read_b32 v156, v56
	ds_read_b64 v[56:57], v5 offset:22528
	v_mov_b32_e32 v157, v4
	v_mov_b32_e32 v158, s87
	s_waitcnt lgkmcnt(1)
	v_add_u32_e32 v156, v156, v12
	v_lshlrev_b64 v[156:157], 3, v[156:157]
	v_add_co_u32_e32 v156, vcc, s86, v156
	v_addc_co_u32_e32 v157, vcc, v158, v157, vcc
	s_waitcnt lgkmcnt(0)
	global_store_dwordx2 v[156:157], v[56:57], off
	s_or_b64 exec, exec, s[40:41]
	s_and_saveexec_b64 s[40:41], s[64:65]
	s_cbranch_execnz .LBB942_1247
.LBB942_1266:                           ;   in Loop: Header=BB942_1048 Depth=2
	s_or_b64 exec, exec, s[40:41]
	s_and_saveexec_b64 s[40:41], s[66:67]
	s_cbranch_execz .LBB942_1248
.LBB942_1267:                           ;   in Loop: Header=BB942_1048 Depth=2
	v_lshlrev_b32_e32 v56, 2, v137
	ds_read_b32 v156, v56
	ds_read_b64 v[56:57], v5 offset:26624
	v_mov_b32_e32 v157, v4
	v_mov_b32_e32 v158, s87
	s_waitcnt lgkmcnt(1)
	v_add_u32_e32 v156, v156, v16
	v_lshlrev_b64 v[156:157], 3, v[156:157]
	v_add_co_u32_e32 v156, vcc, s86, v156
	v_addc_co_u32_e32 v157, vcc, v158, v157, vcc
	s_waitcnt lgkmcnt(0)
	global_store_dwordx2 v[156:157], v[56:57], off
	s_or_b64 exec, exec, s[40:41]
	s_and_saveexec_b64 s[40:41], s[68:69]
	s_cbranch_execnz .LBB942_1249
.LBB942_1268:                           ;   in Loop: Header=BB942_1048 Depth=2
	s_or_b64 exec, exec, s[40:41]
	s_and_saveexec_b64 s[40:41], s[70:71]
	s_cbranch_execz .LBB942_1250
.LBB942_1269:                           ;   in Loop: Header=BB942_1048 Depth=2
	v_lshlrev_b32_e32 v56, 2, v135
	ds_read_b32 v156, v56
	ds_read_b64 v[56:57], v5 offset:30720
	v_mov_b32_e32 v157, v4
	v_mov_b32_e32 v158, s87
	s_waitcnt lgkmcnt(1)
	v_add_u32_e32 v156, v156, v20
	v_lshlrev_b64 v[156:157], 3, v[156:157]
	v_add_co_u32_e32 v156, vcc, s86, v156
	v_addc_co_u32_e32 v157, vcc, v158, v157, vcc
	s_waitcnt lgkmcnt(0)
	global_store_dwordx2 v[156:157], v[56:57], off
	s_or_b64 exec, exec, s[40:41]
	s_and_saveexec_b64 s[40:41], s[72:73]
	s_cbranch_execnz .LBB942_1251
	s_branch .LBB942_1252
.LBB942_1270:
	s_endpgm
	.section	.rodata,"a",@progbits
	.p2align	6, 0x0
	.amdhsa_kernel _ZN7rocprim17ROCPRIM_400000_NS6detail17trampoline_kernelINS0_14default_configENS1_36segmented_radix_sort_config_selectorIslEEZNS1_25segmented_radix_sort_implIS3_Lb1EPKsPsPKlPlN2at6native12_GLOBAL__N_18offset_tEEE10hipError_tPvRmT1_PNSt15iterator_traitsISK_E10value_typeET2_T3_PNSL_ISQ_E10value_typeET4_jRbjT5_SW_jjP12ihipStream_tbEUlT_E2_NS1_11comp_targetILNS1_3genE4ELNS1_11target_archE910ELNS1_3gpuE8ELNS1_3repE0EEENS1_30default_config_static_selectorELNS0_4arch9wavefront6targetE1EEEvSK_
		.amdhsa_group_segment_fixed_size 35336
		.amdhsa_private_segment_fixed_size 184
		.amdhsa_kernarg_size 336
		.amdhsa_user_sgpr_count 8
		.amdhsa_user_sgpr_private_segment_buffer 1
		.amdhsa_user_sgpr_dispatch_ptr 0
		.amdhsa_user_sgpr_queue_ptr 0
		.amdhsa_user_sgpr_kernarg_segment_ptr 1
		.amdhsa_user_sgpr_dispatch_id 0
		.amdhsa_user_sgpr_flat_scratch_init 1
		.amdhsa_user_sgpr_kernarg_preload_length 0
		.amdhsa_user_sgpr_kernarg_preload_offset 0
		.amdhsa_user_sgpr_private_segment_size 0
		.amdhsa_uses_dynamic_stack 0
		.amdhsa_system_sgpr_private_segment_wavefront_offset 1
		.amdhsa_system_sgpr_workgroup_id_x 1
		.amdhsa_system_sgpr_workgroup_id_y 1
		.amdhsa_system_sgpr_workgroup_id_z 0
		.amdhsa_system_sgpr_workgroup_info 0
		.amdhsa_system_vgpr_workitem_id 2
		.amdhsa_next_free_vgpr 280
		.amdhsa_next_free_sgpr 100
		.amdhsa_accum_offset 248
		.amdhsa_reserve_vcc 1
		.amdhsa_reserve_flat_scratch 1
		.amdhsa_float_round_mode_32 0
		.amdhsa_float_round_mode_16_64 0
		.amdhsa_float_denorm_mode_32 3
		.amdhsa_float_denorm_mode_16_64 3
		.amdhsa_dx10_clamp 1
		.amdhsa_ieee_mode 1
		.amdhsa_fp16_overflow 0
		.amdhsa_tg_split 0
		.amdhsa_exception_fp_ieee_invalid_op 0
		.amdhsa_exception_fp_denorm_src 0
		.amdhsa_exception_fp_ieee_div_zero 0
		.amdhsa_exception_fp_ieee_overflow 0
		.amdhsa_exception_fp_ieee_underflow 0
		.amdhsa_exception_fp_ieee_inexact 0
		.amdhsa_exception_int_div_zero 0
	.end_amdhsa_kernel
	.section	.text._ZN7rocprim17ROCPRIM_400000_NS6detail17trampoline_kernelINS0_14default_configENS1_36segmented_radix_sort_config_selectorIslEEZNS1_25segmented_radix_sort_implIS3_Lb1EPKsPsPKlPlN2at6native12_GLOBAL__N_18offset_tEEE10hipError_tPvRmT1_PNSt15iterator_traitsISK_E10value_typeET2_T3_PNSL_ISQ_E10value_typeET4_jRbjT5_SW_jjP12ihipStream_tbEUlT_E2_NS1_11comp_targetILNS1_3genE4ELNS1_11target_archE910ELNS1_3gpuE8ELNS1_3repE0EEENS1_30default_config_static_selectorELNS0_4arch9wavefront6targetE1EEEvSK_,"axG",@progbits,_ZN7rocprim17ROCPRIM_400000_NS6detail17trampoline_kernelINS0_14default_configENS1_36segmented_radix_sort_config_selectorIslEEZNS1_25segmented_radix_sort_implIS3_Lb1EPKsPsPKlPlN2at6native12_GLOBAL__N_18offset_tEEE10hipError_tPvRmT1_PNSt15iterator_traitsISK_E10value_typeET2_T3_PNSL_ISQ_E10value_typeET4_jRbjT5_SW_jjP12ihipStream_tbEUlT_E2_NS1_11comp_targetILNS1_3genE4ELNS1_11target_archE910ELNS1_3gpuE8ELNS1_3repE0EEENS1_30default_config_static_selectorELNS0_4arch9wavefront6targetE1EEEvSK_,comdat
.Lfunc_end942:
	.size	_ZN7rocprim17ROCPRIM_400000_NS6detail17trampoline_kernelINS0_14default_configENS1_36segmented_radix_sort_config_selectorIslEEZNS1_25segmented_radix_sort_implIS3_Lb1EPKsPsPKlPlN2at6native12_GLOBAL__N_18offset_tEEE10hipError_tPvRmT1_PNSt15iterator_traitsISK_E10value_typeET2_T3_PNSL_ISQ_E10value_typeET4_jRbjT5_SW_jjP12ihipStream_tbEUlT_E2_NS1_11comp_targetILNS1_3genE4ELNS1_11target_archE910ELNS1_3gpuE8ELNS1_3repE0EEENS1_30default_config_static_selectorELNS0_4arch9wavefront6targetE1EEEvSK_, .Lfunc_end942-_ZN7rocprim17ROCPRIM_400000_NS6detail17trampoline_kernelINS0_14default_configENS1_36segmented_radix_sort_config_selectorIslEEZNS1_25segmented_radix_sort_implIS3_Lb1EPKsPsPKlPlN2at6native12_GLOBAL__N_18offset_tEEE10hipError_tPvRmT1_PNSt15iterator_traitsISK_E10value_typeET2_T3_PNSL_ISQ_E10value_typeET4_jRbjT5_SW_jjP12ihipStream_tbEUlT_E2_NS1_11comp_targetILNS1_3genE4ELNS1_11target_archE910ELNS1_3gpuE8ELNS1_3repE0EEENS1_30default_config_static_selectorELNS0_4arch9wavefront6targetE1EEEvSK_
                                        ; -- End function
	.section	.AMDGPU.csdata,"",@progbits
; Kernel info:
; codeLenInByte = 66376
; NumSgprs: 106
; NumVgprs: 248
; NumAgprs: 32
; TotalNumVgprs: 280
; ScratchSize: 184
; MemoryBound: 0
; FloatMode: 240
; IeeeMode: 1
; LDSByteSize: 35336 bytes/workgroup (compile time only)
; SGPRBlocks: 13
; VGPRBlocks: 34
; NumSGPRsForWavesPerEU: 106
; NumVGPRsForWavesPerEU: 280
; AccumOffset: 248
; Occupancy: 1
; WaveLimiterHint : 1
; COMPUTE_PGM_RSRC2:SCRATCH_EN: 1
; COMPUTE_PGM_RSRC2:USER_SGPR: 8
; COMPUTE_PGM_RSRC2:TRAP_HANDLER: 0
; COMPUTE_PGM_RSRC2:TGID_X_EN: 1
; COMPUTE_PGM_RSRC2:TGID_Y_EN: 1
; COMPUTE_PGM_RSRC2:TGID_Z_EN: 0
; COMPUTE_PGM_RSRC2:TIDIG_COMP_CNT: 2
; COMPUTE_PGM_RSRC3_GFX90A:ACCUM_OFFSET: 61
; COMPUTE_PGM_RSRC3_GFX90A:TG_SPLIT: 0
	.section	.text._ZN7rocprim17ROCPRIM_400000_NS6detail17trampoline_kernelINS0_14default_configENS1_36segmented_radix_sort_config_selectorIslEEZNS1_25segmented_radix_sort_implIS3_Lb1EPKsPsPKlPlN2at6native12_GLOBAL__N_18offset_tEEE10hipError_tPvRmT1_PNSt15iterator_traitsISK_E10value_typeET2_T3_PNSL_ISQ_E10value_typeET4_jRbjT5_SW_jjP12ihipStream_tbEUlT_E2_NS1_11comp_targetILNS1_3genE3ELNS1_11target_archE908ELNS1_3gpuE7ELNS1_3repE0EEENS1_30default_config_static_selectorELNS0_4arch9wavefront6targetE1EEEvSK_,"axG",@progbits,_ZN7rocprim17ROCPRIM_400000_NS6detail17trampoline_kernelINS0_14default_configENS1_36segmented_radix_sort_config_selectorIslEEZNS1_25segmented_radix_sort_implIS3_Lb1EPKsPsPKlPlN2at6native12_GLOBAL__N_18offset_tEEE10hipError_tPvRmT1_PNSt15iterator_traitsISK_E10value_typeET2_T3_PNSL_ISQ_E10value_typeET4_jRbjT5_SW_jjP12ihipStream_tbEUlT_E2_NS1_11comp_targetILNS1_3genE3ELNS1_11target_archE908ELNS1_3gpuE7ELNS1_3repE0EEENS1_30default_config_static_selectorELNS0_4arch9wavefront6targetE1EEEvSK_,comdat
	.globl	_ZN7rocprim17ROCPRIM_400000_NS6detail17trampoline_kernelINS0_14default_configENS1_36segmented_radix_sort_config_selectorIslEEZNS1_25segmented_radix_sort_implIS3_Lb1EPKsPsPKlPlN2at6native12_GLOBAL__N_18offset_tEEE10hipError_tPvRmT1_PNSt15iterator_traitsISK_E10value_typeET2_T3_PNSL_ISQ_E10value_typeET4_jRbjT5_SW_jjP12ihipStream_tbEUlT_E2_NS1_11comp_targetILNS1_3genE3ELNS1_11target_archE908ELNS1_3gpuE7ELNS1_3repE0EEENS1_30default_config_static_selectorELNS0_4arch9wavefront6targetE1EEEvSK_ ; -- Begin function _ZN7rocprim17ROCPRIM_400000_NS6detail17trampoline_kernelINS0_14default_configENS1_36segmented_radix_sort_config_selectorIslEEZNS1_25segmented_radix_sort_implIS3_Lb1EPKsPsPKlPlN2at6native12_GLOBAL__N_18offset_tEEE10hipError_tPvRmT1_PNSt15iterator_traitsISK_E10value_typeET2_T3_PNSL_ISQ_E10value_typeET4_jRbjT5_SW_jjP12ihipStream_tbEUlT_E2_NS1_11comp_targetILNS1_3genE3ELNS1_11target_archE908ELNS1_3gpuE7ELNS1_3repE0EEENS1_30default_config_static_selectorELNS0_4arch9wavefront6targetE1EEEvSK_
	.p2align	8
	.type	_ZN7rocprim17ROCPRIM_400000_NS6detail17trampoline_kernelINS0_14default_configENS1_36segmented_radix_sort_config_selectorIslEEZNS1_25segmented_radix_sort_implIS3_Lb1EPKsPsPKlPlN2at6native12_GLOBAL__N_18offset_tEEE10hipError_tPvRmT1_PNSt15iterator_traitsISK_E10value_typeET2_T3_PNSL_ISQ_E10value_typeET4_jRbjT5_SW_jjP12ihipStream_tbEUlT_E2_NS1_11comp_targetILNS1_3genE3ELNS1_11target_archE908ELNS1_3gpuE7ELNS1_3repE0EEENS1_30default_config_static_selectorELNS0_4arch9wavefront6targetE1EEEvSK_,@function
_ZN7rocprim17ROCPRIM_400000_NS6detail17trampoline_kernelINS0_14default_configENS1_36segmented_radix_sort_config_selectorIslEEZNS1_25segmented_radix_sort_implIS3_Lb1EPKsPsPKlPlN2at6native12_GLOBAL__N_18offset_tEEE10hipError_tPvRmT1_PNSt15iterator_traitsISK_E10value_typeET2_T3_PNSL_ISQ_E10value_typeET4_jRbjT5_SW_jjP12ihipStream_tbEUlT_E2_NS1_11comp_targetILNS1_3genE3ELNS1_11target_archE908ELNS1_3gpuE7ELNS1_3repE0EEENS1_30default_config_static_selectorELNS0_4arch9wavefront6targetE1EEEvSK_: ; @_ZN7rocprim17ROCPRIM_400000_NS6detail17trampoline_kernelINS0_14default_configENS1_36segmented_radix_sort_config_selectorIslEEZNS1_25segmented_radix_sort_implIS3_Lb1EPKsPsPKlPlN2at6native12_GLOBAL__N_18offset_tEEE10hipError_tPvRmT1_PNSt15iterator_traitsISK_E10value_typeET2_T3_PNSL_ISQ_E10value_typeET4_jRbjT5_SW_jjP12ihipStream_tbEUlT_E2_NS1_11comp_targetILNS1_3genE3ELNS1_11target_archE908ELNS1_3gpuE7ELNS1_3repE0EEENS1_30default_config_static_selectorELNS0_4arch9wavefront6targetE1EEEvSK_
; %bb.0:
	.section	.rodata,"a",@progbits
	.p2align	6, 0x0
	.amdhsa_kernel _ZN7rocprim17ROCPRIM_400000_NS6detail17trampoline_kernelINS0_14default_configENS1_36segmented_radix_sort_config_selectorIslEEZNS1_25segmented_radix_sort_implIS3_Lb1EPKsPsPKlPlN2at6native12_GLOBAL__N_18offset_tEEE10hipError_tPvRmT1_PNSt15iterator_traitsISK_E10value_typeET2_T3_PNSL_ISQ_E10value_typeET4_jRbjT5_SW_jjP12ihipStream_tbEUlT_E2_NS1_11comp_targetILNS1_3genE3ELNS1_11target_archE908ELNS1_3gpuE7ELNS1_3repE0EEENS1_30default_config_static_selectorELNS0_4arch9wavefront6targetE1EEEvSK_
		.amdhsa_group_segment_fixed_size 0
		.amdhsa_private_segment_fixed_size 0
		.amdhsa_kernarg_size 80
		.amdhsa_user_sgpr_count 6
		.amdhsa_user_sgpr_private_segment_buffer 1
		.amdhsa_user_sgpr_dispatch_ptr 0
		.amdhsa_user_sgpr_queue_ptr 0
		.amdhsa_user_sgpr_kernarg_segment_ptr 1
		.amdhsa_user_sgpr_dispatch_id 0
		.amdhsa_user_sgpr_flat_scratch_init 0
		.amdhsa_user_sgpr_kernarg_preload_length 0
		.amdhsa_user_sgpr_kernarg_preload_offset 0
		.amdhsa_user_sgpr_private_segment_size 0
		.amdhsa_uses_dynamic_stack 0
		.amdhsa_system_sgpr_private_segment_wavefront_offset 0
		.amdhsa_system_sgpr_workgroup_id_x 1
		.amdhsa_system_sgpr_workgroup_id_y 0
		.amdhsa_system_sgpr_workgroup_id_z 0
		.amdhsa_system_sgpr_workgroup_info 0
		.amdhsa_system_vgpr_workitem_id 0
		.amdhsa_next_free_vgpr 1
		.amdhsa_next_free_sgpr 0
		.amdhsa_accum_offset 4
		.amdhsa_reserve_vcc 0
		.amdhsa_reserve_flat_scratch 0
		.amdhsa_float_round_mode_32 0
		.amdhsa_float_round_mode_16_64 0
		.amdhsa_float_denorm_mode_32 3
		.amdhsa_float_denorm_mode_16_64 3
		.amdhsa_dx10_clamp 1
		.amdhsa_ieee_mode 1
		.amdhsa_fp16_overflow 0
		.amdhsa_tg_split 0
		.amdhsa_exception_fp_ieee_invalid_op 0
		.amdhsa_exception_fp_denorm_src 0
		.amdhsa_exception_fp_ieee_div_zero 0
		.amdhsa_exception_fp_ieee_overflow 0
		.amdhsa_exception_fp_ieee_underflow 0
		.amdhsa_exception_fp_ieee_inexact 0
		.amdhsa_exception_int_div_zero 0
	.end_amdhsa_kernel
	.section	.text._ZN7rocprim17ROCPRIM_400000_NS6detail17trampoline_kernelINS0_14default_configENS1_36segmented_radix_sort_config_selectorIslEEZNS1_25segmented_radix_sort_implIS3_Lb1EPKsPsPKlPlN2at6native12_GLOBAL__N_18offset_tEEE10hipError_tPvRmT1_PNSt15iterator_traitsISK_E10value_typeET2_T3_PNSL_ISQ_E10value_typeET4_jRbjT5_SW_jjP12ihipStream_tbEUlT_E2_NS1_11comp_targetILNS1_3genE3ELNS1_11target_archE908ELNS1_3gpuE7ELNS1_3repE0EEENS1_30default_config_static_selectorELNS0_4arch9wavefront6targetE1EEEvSK_,"axG",@progbits,_ZN7rocprim17ROCPRIM_400000_NS6detail17trampoline_kernelINS0_14default_configENS1_36segmented_radix_sort_config_selectorIslEEZNS1_25segmented_radix_sort_implIS3_Lb1EPKsPsPKlPlN2at6native12_GLOBAL__N_18offset_tEEE10hipError_tPvRmT1_PNSt15iterator_traitsISK_E10value_typeET2_T3_PNSL_ISQ_E10value_typeET4_jRbjT5_SW_jjP12ihipStream_tbEUlT_E2_NS1_11comp_targetILNS1_3genE3ELNS1_11target_archE908ELNS1_3gpuE7ELNS1_3repE0EEENS1_30default_config_static_selectorELNS0_4arch9wavefront6targetE1EEEvSK_,comdat
.Lfunc_end943:
	.size	_ZN7rocprim17ROCPRIM_400000_NS6detail17trampoline_kernelINS0_14default_configENS1_36segmented_radix_sort_config_selectorIslEEZNS1_25segmented_radix_sort_implIS3_Lb1EPKsPsPKlPlN2at6native12_GLOBAL__N_18offset_tEEE10hipError_tPvRmT1_PNSt15iterator_traitsISK_E10value_typeET2_T3_PNSL_ISQ_E10value_typeET4_jRbjT5_SW_jjP12ihipStream_tbEUlT_E2_NS1_11comp_targetILNS1_3genE3ELNS1_11target_archE908ELNS1_3gpuE7ELNS1_3repE0EEENS1_30default_config_static_selectorELNS0_4arch9wavefront6targetE1EEEvSK_, .Lfunc_end943-_ZN7rocprim17ROCPRIM_400000_NS6detail17trampoline_kernelINS0_14default_configENS1_36segmented_radix_sort_config_selectorIslEEZNS1_25segmented_radix_sort_implIS3_Lb1EPKsPsPKlPlN2at6native12_GLOBAL__N_18offset_tEEE10hipError_tPvRmT1_PNSt15iterator_traitsISK_E10value_typeET2_T3_PNSL_ISQ_E10value_typeET4_jRbjT5_SW_jjP12ihipStream_tbEUlT_E2_NS1_11comp_targetILNS1_3genE3ELNS1_11target_archE908ELNS1_3gpuE7ELNS1_3repE0EEENS1_30default_config_static_selectorELNS0_4arch9wavefront6targetE1EEEvSK_
                                        ; -- End function
	.section	.AMDGPU.csdata,"",@progbits
; Kernel info:
; codeLenInByte = 0
; NumSgprs: 4
; NumVgprs: 0
; NumAgprs: 0
; TotalNumVgprs: 0
; ScratchSize: 0
; MemoryBound: 0
; FloatMode: 240
; IeeeMode: 1
; LDSByteSize: 0 bytes/workgroup (compile time only)
; SGPRBlocks: 0
; VGPRBlocks: 0
; NumSGPRsForWavesPerEU: 4
; NumVGPRsForWavesPerEU: 1
; AccumOffset: 4
; Occupancy: 8
; WaveLimiterHint : 0
; COMPUTE_PGM_RSRC2:SCRATCH_EN: 0
; COMPUTE_PGM_RSRC2:USER_SGPR: 6
; COMPUTE_PGM_RSRC2:TRAP_HANDLER: 0
; COMPUTE_PGM_RSRC2:TGID_X_EN: 1
; COMPUTE_PGM_RSRC2:TGID_Y_EN: 0
; COMPUTE_PGM_RSRC2:TGID_Z_EN: 0
; COMPUTE_PGM_RSRC2:TIDIG_COMP_CNT: 0
; COMPUTE_PGM_RSRC3_GFX90A:ACCUM_OFFSET: 0
; COMPUTE_PGM_RSRC3_GFX90A:TG_SPLIT: 0
	.section	.text._ZN7rocprim17ROCPRIM_400000_NS6detail17trampoline_kernelINS0_14default_configENS1_36segmented_radix_sort_config_selectorIslEEZNS1_25segmented_radix_sort_implIS3_Lb1EPKsPsPKlPlN2at6native12_GLOBAL__N_18offset_tEEE10hipError_tPvRmT1_PNSt15iterator_traitsISK_E10value_typeET2_T3_PNSL_ISQ_E10value_typeET4_jRbjT5_SW_jjP12ihipStream_tbEUlT_E2_NS1_11comp_targetILNS1_3genE2ELNS1_11target_archE906ELNS1_3gpuE6ELNS1_3repE0EEENS1_30default_config_static_selectorELNS0_4arch9wavefront6targetE1EEEvSK_,"axG",@progbits,_ZN7rocprim17ROCPRIM_400000_NS6detail17trampoline_kernelINS0_14default_configENS1_36segmented_radix_sort_config_selectorIslEEZNS1_25segmented_radix_sort_implIS3_Lb1EPKsPsPKlPlN2at6native12_GLOBAL__N_18offset_tEEE10hipError_tPvRmT1_PNSt15iterator_traitsISK_E10value_typeET2_T3_PNSL_ISQ_E10value_typeET4_jRbjT5_SW_jjP12ihipStream_tbEUlT_E2_NS1_11comp_targetILNS1_3genE2ELNS1_11target_archE906ELNS1_3gpuE6ELNS1_3repE0EEENS1_30default_config_static_selectorELNS0_4arch9wavefront6targetE1EEEvSK_,comdat
	.globl	_ZN7rocprim17ROCPRIM_400000_NS6detail17trampoline_kernelINS0_14default_configENS1_36segmented_radix_sort_config_selectorIslEEZNS1_25segmented_radix_sort_implIS3_Lb1EPKsPsPKlPlN2at6native12_GLOBAL__N_18offset_tEEE10hipError_tPvRmT1_PNSt15iterator_traitsISK_E10value_typeET2_T3_PNSL_ISQ_E10value_typeET4_jRbjT5_SW_jjP12ihipStream_tbEUlT_E2_NS1_11comp_targetILNS1_3genE2ELNS1_11target_archE906ELNS1_3gpuE6ELNS1_3repE0EEENS1_30default_config_static_selectorELNS0_4arch9wavefront6targetE1EEEvSK_ ; -- Begin function _ZN7rocprim17ROCPRIM_400000_NS6detail17trampoline_kernelINS0_14default_configENS1_36segmented_radix_sort_config_selectorIslEEZNS1_25segmented_radix_sort_implIS3_Lb1EPKsPsPKlPlN2at6native12_GLOBAL__N_18offset_tEEE10hipError_tPvRmT1_PNSt15iterator_traitsISK_E10value_typeET2_T3_PNSL_ISQ_E10value_typeET4_jRbjT5_SW_jjP12ihipStream_tbEUlT_E2_NS1_11comp_targetILNS1_3genE2ELNS1_11target_archE906ELNS1_3gpuE6ELNS1_3repE0EEENS1_30default_config_static_selectorELNS0_4arch9wavefront6targetE1EEEvSK_
	.p2align	8
	.type	_ZN7rocprim17ROCPRIM_400000_NS6detail17trampoline_kernelINS0_14default_configENS1_36segmented_radix_sort_config_selectorIslEEZNS1_25segmented_radix_sort_implIS3_Lb1EPKsPsPKlPlN2at6native12_GLOBAL__N_18offset_tEEE10hipError_tPvRmT1_PNSt15iterator_traitsISK_E10value_typeET2_T3_PNSL_ISQ_E10value_typeET4_jRbjT5_SW_jjP12ihipStream_tbEUlT_E2_NS1_11comp_targetILNS1_3genE2ELNS1_11target_archE906ELNS1_3gpuE6ELNS1_3repE0EEENS1_30default_config_static_selectorELNS0_4arch9wavefront6targetE1EEEvSK_,@function
_ZN7rocprim17ROCPRIM_400000_NS6detail17trampoline_kernelINS0_14default_configENS1_36segmented_radix_sort_config_selectorIslEEZNS1_25segmented_radix_sort_implIS3_Lb1EPKsPsPKlPlN2at6native12_GLOBAL__N_18offset_tEEE10hipError_tPvRmT1_PNSt15iterator_traitsISK_E10value_typeET2_T3_PNSL_ISQ_E10value_typeET4_jRbjT5_SW_jjP12ihipStream_tbEUlT_E2_NS1_11comp_targetILNS1_3genE2ELNS1_11target_archE906ELNS1_3gpuE6ELNS1_3repE0EEENS1_30default_config_static_selectorELNS0_4arch9wavefront6targetE1EEEvSK_: ; @_ZN7rocprim17ROCPRIM_400000_NS6detail17trampoline_kernelINS0_14default_configENS1_36segmented_radix_sort_config_selectorIslEEZNS1_25segmented_radix_sort_implIS3_Lb1EPKsPsPKlPlN2at6native12_GLOBAL__N_18offset_tEEE10hipError_tPvRmT1_PNSt15iterator_traitsISK_E10value_typeET2_T3_PNSL_ISQ_E10value_typeET4_jRbjT5_SW_jjP12ihipStream_tbEUlT_E2_NS1_11comp_targetILNS1_3genE2ELNS1_11target_archE906ELNS1_3gpuE6ELNS1_3repE0EEENS1_30default_config_static_selectorELNS0_4arch9wavefront6targetE1EEEvSK_
; %bb.0:
	.section	.rodata,"a",@progbits
	.p2align	6, 0x0
	.amdhsa_kernel _ZN7rocprim17ROCPRIM_400000_NS6detail17trampoline_kernelINS0_14default_configENS1_36segmented_radix_sort_config_selectorIslEEZNS1_25segmented_radix_sort_implIS3_Lb1EPKsPsPKlPlN2at6native12_GLOBAL__N_18offset_tEEE10hipError_tPvRmT1_PNSt15iterator_traitsISK_E10value_typeET2_T3_PNSL_ISQ_E10value_typeET4_jRbjT5_SW_jjP12ihipStream_tbEUlT_E2_NS1_11comp_targetILNS1_3genE2ELNS1_11target_archE906ELNS1_3gpuE6ELNS1_3repE0EEENS1_30default_config_static_selectorELNS0_4arch9wavefront6targetE1EEEvSK_
		.amdhsa_group_segment_fixed_size 0
		.amdhsa_private_segment_fixed_size 0
		.amdhsa_kernarg_size 80
		.amdhsa_user_sgpr_count 6
		.amdhsa_user_sgpr_private_segment_buffer 1
		.amdhsa_user_sgpr_dispatch_ptr 0
		.amdhsa_user_sgpr_queue_ptr 0
		.amdhsa_user_sgpr_kernarg_segment_ptr 1
		.amdhsa_user_sgpr_dispatch_id 0
		.amdhsa_user_sgpr_flat_scratch_init 0
		.amdhsa_user_sgpr_kernarg_preload_length 0
		.amdhsa_user_sgpr_kernarg_preload_offset 0
		.amdhsa_user_sgpr_private_segment_size 0
		.amdhsa_uses_dynamic_stack 0
		.amdhsa_system_sgpr_private_segment_wavefront_offset 0
		.amdhsa_system_sgpr_workgroup_id_x 1
		.amdhsa_system_sgpr_workgroup_id_y 0
		.amdhsa_system_sgpr_workgroup_id_z 0
		.amdhsa_system_sgpr_workgroup_info 0
		.amdhsa_system_vgpr_workitem_id 0
		.amdhsa_next_free_vgpr 1
		.amdhsa_next_free_sgpr 0
		.amdhsa_accum_offset 4
		.amdhsa_reserve_vcc 0
		.amdhsa_reserve_flat_scratch 0
		.amdhsa_float_round_mode_32 0
		.amdhsa_float_round_mode_16_64 0
		.amdhsa_float_denorm_mode_32 3
		.amdhsa_float_denorm_mode_16_64 3
		.amdhsa_dx10_clamp 1
		.amdhsa_ieee_mode 1
		.amdhsa_fp16_overflow 0
		.amdhsa_tg_split 0
		.amdhsa_exception_fp_ieee_invalid_op 0
		.amdhsa_exception_fp_denorm_src 0
		.amdhsa_exception_fp_ieee_div_zero 0
		.amdhsa_exception_fp_ieee_overflow 0
		.amdhsa_exception_fp_ieee_underflow 0
		.amdhsa_exception_fp_ieee_inexact 0
		.amdhsa_exception_int_div_zero 0
	.end_amdhsa_kernel
	.section	.text._ZN7rocprim17ROCPRIM_400000_NS6detail17trampoline_kernelINS0_14default_configENS1_36segmented_radix_sort_config_selectorIslEEZNS1_25segmented_radix_sort_implIS3_Lb1EPKsPsPKlPlN2at6native12_GLOBAL__N_18offset_tEEE10hipError_tPvRmT1_PNSt15iterator_traitsISK_E10value_typeET2_T3_PNSL_ISQ_E10value_typeET4_jRbjT5_SW_jjP12ihipStream_tbEUlT_E2_NS1_11comp_targetILNS1_3genE2ELNS1_11target_archE906ELNS1_3gpuE6ELNS1_3repE0EEENS1_30default_config_static_selectorELNS0_4arch9wavefront6targetE1EEEvSK_,"axG",@progbits,_ZN7rocprim17ROCPRIM_400000_NS6detail17trampoline_kernelINS0_14default_configENS1_36segmented_radix_sort_config_selectorIslEEZNS1_25segmented_radix_sort_implIS3_Lb1EPKsPsPKlPlN2at6native12_GLOBAL__N_18offset_tEEE10hipError_tPvRmT1_PNSt15iterator_traitsISK_E10value_typeET2_T3_PNSL_ISQ_E10value_typeET4_jRbjT5_SW_jjP12ihipStream_tbEUlT_E2_NS1_11comp_targetILNS1_3genE2ELNS1_11target_archE906ELNS1_3gpuE6ELNS1_3repE0EEENS1_30default_config_static_selectorELNS0_4arch9wavefront6targetE1EEEvSK_,comdat
.Lfunc_end944:
	.size	_ZN7rocprim17ROCPRIM_400000_NS6detail17trampoline_kernelINS0_14default_configENS1_36segmented_radix_sort_config_selectorIslEEZNS1_25segmented_radix_sort_implIS3_Lb1EPKsPsPKlPlN2at6native12_GLOBAL__N_18offset_tEEE10hipError_tPvRmT1_PNSt15iterator_traitsISK_E10value_typeET2_T3_PNSL_ISQ_E10value_typeET4_jRbjT5_SW_jjP12ihipStream_tbEUlT_E2_NS1_11comp_targetILNS1_3genE2ELNS1_11target_archE906ELNS1_3gpuE6ELNS1_3repE0EEENS1_30default_config_static_selectorELNS0_4arch9wavefront6targetE1EEEvSK_, .Lfunc_end944-_ZN7rocprim17ROCPRIM_400000_NS6detail17trampoline_kernelINS0_14default_configENS1_36segmented_radix_sort_config_selectorIslEEZNS1_25segmented_radix_sort_implIS3_Lb1EPKsPsPKlPlN2at6native12_GLOBAL__N_18offset_tEEE10hipError_tPvRmT1_PNSt15iterator_traitsISK_E10value_typeET2_T3_PNSL_ISQ_E10value_typeET4_jRbjT5_SW_jjP12ihipStream_tbEUlT_E2_NS1_11comp_targetILNS1_3genE2ELNS1_11target_archE906ELNS1_3gpuE6ELNS1_3repE0EEENS1_30default_config_static_selectorELNS0_4arch9wavefront6targetE1EEEvSK_
                                        ; -- End function
	.section	.AMDGPU.csdata,"",@progbits
; Kernel info:
; codeLenInByte = 0
; NumSgprs: 4
; NumVgprs: 0
; NumAgprs: 0
; TotalNumVgprs: 0
; ScratchSize: 0
; MemoryBound: 0
; FloatMode: 240
; IeeeMode: 1
; LDSByteSize: 0 bytes/workgroup (compile time only)
; SGPRBlocks: 0
; VGPRBlocks: 0
; NumSGPRsForWavesPerEU: 4
; NumVGPRsForWavesPerEU: 1
; AccumOffset: 4
; Occupancy: 8
; WaveLimiterHint : 0
; COMPUTE_PGM_RSRC2:SCRATCH_EN: 0
; COMPUTE_PGM_RSRC2:USER_SGPR: 6
; COMPUTE_PGM_RSRC2:TRAP_HANDLER: 0
; COMPUTE_PGM_RSRC2:TGID_X_EN: 1
; COMPUTE_PGM_RSRC2:TGID_Y_EN: 0
; COMPUTE_PGM_RSRC2:TGID_Z_EN: 0
; COMPUTE_PGM_RSRC2:TIDIG_COMP_CNT: 0
; COMPUTE_PGM_RSRC3_GFX90A:ACCUM_OFFSET: 0
; COMPUTE_PGM_RSRC3_GFX90A:TG_SPLIT: 0
	.section	.text._ZN7rocprim17ROCPRIM_400000_NS6detail17trampoline_kernelINS0_14default_configENS1_36segmented_radix_sort_config_selectorIslEEZNS1_25segmented_radix_sort_implIS3_Lb1EPKsPsPKlPlN2at6native12_GLOBAL__N_18offset_tEEE10hipError_tPvRmT1_PNSt15iterator_traitsISK_E10value_typeET2_T3_PNSL_ISQ_E10value_typeET4_jRbjT5_SW_jjP12ihipStream_tbEUlT_E2_NS1_11comp_targetILNS1_3genE10ELNS1_11target_archE1201ELNS1_3gpuE5ELNS1_3repE0EEENS1_30default_config_static_selectorELNS0_4arch9wavefront6targetE1EEEvSK_,"axG",@progbits,_ZN7rocprim17ROCPRIM_400000_NS6detail17trampoline_kernelINS0_14default_configENS1_36segmented_radix_sort_config_selectorIslEEZNS1_25segmented_radix_sort_implIS3_Lb1EPKsPsPKlPlN2at6native12_GLOBAL__N_18offset_tEEE10hipError_tPvRmT1_PNSt15iterator_traitsISK_E10value_typeET2_T3_PNSL_ISQ_E10value_typeET4_jRbjT5_SW_jjP12ihipStream_tbEUlT_E2_NS1_11comp_targetILNS1_3genE10ELNS1_11target_archE1201ELNS1_3gpuE5ELNS1_3repE0EEENS1_30default_config_static_selectorELNS0_4arch9wavefront6targetE1EEEvSK_,comdat
	.globl	_ZN7rocprim17ROCPRIM_400000_NS6detail17trampoline_kernelINS0_14default_configENS1_36segmented_radix_sort_config_selectorIslEEZNS1_25segmented_radix_sort_implIS3_Lb1EPKsPsPKlPlN2at6native12_GLOBAL__N_18offset_tEEE10hipError_tPvRmT1_PNSt15iterator_traitsISK_E10value_typeET2_T3_PNSL_ISQ_E10value_typeET4_jRbjT5_SW_jjP12ihipStream_tbEUlT_E2_NS1_11comp_targetILNS1_3genE10ELNS1_11target_archE1201ELNS1_3gpuE5ELNS1_3repE0EEENS1_30default_config_static_selectorELNS0_4arch9wavefront6targetE1EEEvSK_ ; -- Begin function _ZN7rocprim17ROCPRIM_400000_NS6detail17trampoline_kernelINS0_14default_configENS1_36segmented_radix_sort_config_selectorIslEEZNS1_25segmented_radix_sort_implIS3_Lb1EPKsPsPKlPlN2at6native12_GLOBAL__N_18offset_tEEE10hipError_tPvRmT1_PNSt15iterator_traitsISK_E10value_typeET2_T3_PNSL_ISQ_E10value_typeET4_jRbjT5_SW_jjP12ihipStream_tbEUlT_E2_NS1_11comp_targetILNS1_3genE10ELNS1_11target_archE1201ELNS1_3gpuE5ELNS1_3repE0EEENS1_30default_config_static_selectorELNS0_4arch9wavefront6targetE1EEEvSK_
	.p2align	8
	.type	_ZN7rocprim17ROCPRIM_400000_NS6detail17trampoline_kernelINS0_14default_configENS1_36segmented_radix_sort_config_selectorIslEEZNS1_25segmented_radix_sort_implIS3_Lb1EPKsPsPKlPlN2at6native12_GLOBAL__N_18offset_tEEE10hipError_tPvRmT1_PNSt15iterator_traitsISK_E10value_typeET2_T3_PNSL_ISQ_E10value_typeET4_jRbjT5_SW_jjP12ihipStream_tbEUlT_E2_NS1_11comp_targetILNS1_3genE10ELNS1_11target_archE1201ELNS1_3gpuE5ELNS1_3repE0EEENS1_30default_config_static_selectorELNS0_4arch9wavefront6targetE1EEEvSK_,@function
_ZN7rocprim17ROCPRIM_400000_NS6detail17trampoline_kernelINS0_14default_configENS1_36segmented_radix_sort_config_selectorIslEEZNS1_25segmented_radix_sort_implIS3_Lb1EPKsPsPKlPlN2at6native12_GLOBAL__N_18offset_tEEE10hipError_tPvRmT1_PNSt15iterator_traitsISK_E10value_typeET2_T3_PNSL_ISQ_E10value_typeET4_jRbjT5_SW_jjP12ihipStream_tbEUlT_E2_NS1_11comp_targetILNS1_3genE10ELNS1_11target_archE1201ELNS1_3gpuE5ELNS1_3repE0EEENS1_30default_config_static_selectorELNS0_4arch9wavefront6targetE1EEEvSK_: ; @_ZN7rocprim17ROCPRIM_400000_NS6detail17trampoline_kernelINS0_14default_configENS1_36segmented_radix_sort_config_selectorIslEEZNS1_25segmented_radix_sort_implIS3_Lb1EPKsPsPKlPlN2at6native12_GLOBAL__N_18offset_tEEE10hipError_tPvRmT1_PNSt15iterator_traitsISK_E10value_typeET2_T3_PNSL_ISQ_E10value_typeET4_jRbjT5_SW_jjP12ihipStream_tbEUlT_E2_NS1_11comp_targetILNS1_3genE10ELNS1_11target_archE1201ELNS1_3gpuE5ELNS1_3repE0EEENS1_30default_config_static_selectorELNS0_4arch9wavefront6targetE1EEEvSK_
; %bb.0:
	.section	.rodata,"a",@progbits
	.p2align	6, 0x0
	.amdhsa_kernel _ZN7rocprim17ROCPRIM_400000_NS6detail17trampoline_kernelINS0_14default_configENS1_36segmented_radix_sort_config_selectorIslEEZNS1_25segmented_radix_sort_implIS3_Lb1EPKsPsPKlPlN2at6native12_GLOBAL__N_18offset_tEEE10hipError_tPvRmT1_PNSt15iterator_traitsISK_E10value_typeET2_T3_PNSL_ISQ_E10value_typeET4_jRbjT5_SW_jjP12ihipStream_tbEUlT_E2_NS1_11comp_targetILNS1_3genE10ELNS1_11target_archE1201ELNS1_3gpuE5ELNS1_3repE0EEENS1_30default_config_static_selectorELNS0_4arch9wavefront6targetE1EEEvSK_
		.amdhsa_group_segment_fixed_size 0
		.amdhsa_private_segment_fixed_size 0
		.amdhsa_kernarg_size 80
		.amdhsa_user_sgpr_count 6
		.amdhsa_user_sgpr_private_segment_buffer 1
		.amdhsa_user_sgpr_dispatch_ptr 0
		.amdhsa_user_sgpr_queue_ptr 0
		.amdhsa_user_sgpr_kernarg_segment_ptr 1
		.amdhsa_user_sgpr_dispatch_id 0
		.amdhsa_user_sgpr_flat_scratch_init 0
		.amdhsa_user_sgpr_kernarg_preload_length 0
		.amdhsa_user_sgpr_kernarg_preload_offset 0
		.amdhsa_user_sgpr_private_segment_size 0
		.amdhsa_uses_dynamic_stack 0
		.amdhsa_system_sgpr_private_segment_wavefront_offset 0
		.amdhsa_system_sgpr_workgroup_id_x 1
		.amdhsa_system_sgpr_workgroup_id_y 0
		.amdhsa_system_sgpr_workgroup_id_z 0
		.amdhsa_system_sgpr_workgroup_info 0
		.amdhsa_system_vgpr_workitem_id 0
		.amdhsa_next_free_vgpr 1
		.amdhsa_next_free_sgpr 0
		.amdhsa_accum_offset 4
		.amdhsa_reserve_vcc 0
		.amdhsa_reserve_flat_scratch 0
		.amdhsa_float_round_mode_32 0
		.amdhsa_float_round_mode_16_64 0
		.amdhsa_float_denorm_mode_32 3
		.amdhsa_float_denorm_mode_16_64 3
		.amdhsa_dx10_clamp 1
		.amdhsa_ieee_mode 1
		.amdhsa_fp16_overflow 0
		.amdhsa_tg_split 0
		.amdhsa_exception_fp_ieee_invalid_op 0
		.amdhsa_exception_fp_denorm_src 0
		.amdhsa_exception_fp_ieee_div_zero 0
		.amdhsa_exception_fp_ieee_overflow 0
		.amdhsa_exception_fp_ieee_underflow 0
		.amdhsa_exception_fp_ieee_inexact 0
		.amdhsa_exception_int_div_zero 0
	.end_amdhsa_kernel
	.section	.text._ZN7rocprim17ROCPRIM_400000_NS6detail17trampoline_kernelINS0_14default_configENS1_36segmented_radix_sort_config_selectorIslEEZNS1_25segmented_radix_sort_implIS3_Lb1EPKsPsPKlPlN2at6native12_GLOBAL__N_18offset_tEEE10hipError_tPvRmT1_PNSt15iterator_traitsISK_E10value_typeET2_T3_PNSL_ISQ_E10value_typeET4_jRbjT5_SW_jjP12ihipStream_tbEUlT_E2_NS1_11comp_targetILNS1_3genE10ELNS1_11target_archE1201ELNS1_3gpuE5ELNS1_3repE0EEENS1_30default_config_static_selectorELNS0_4arch9wavefront6targetE1EEEvSK_,"axG",@progbits,_ZN7rocprim17ROCPRIM_400000_NS6detail17trampoline_kernelINS0_14default_configENS1_36segmented_radix_sort_config_selectorIslEEZNS1_25segmented_radix_sort_implIS3_Lb1EPKsPsPKlPlN2at6native12_GLOBAL__N_18offset_tEEE10hipError_tPvRmT1_PNSt15iterator_traitsISK_E10value_typeET2_T3_PNSL_ISQ_E10value_typeET4_jRbjT5_SW_jjP12ihipStream_tbEUlT_E2_NS1_11comp_targetILNS1_3genE10ELNS1_11target_archE1201ELNS1_3gpuE5ELNS1_3repE0EEENS1_30default_config_static_selectorELNS0_4arch9wavefront6targetE1EEEvSK_,comdat
.Lfunc_end945:
	.size	_ZN7rocprim17ROCPRIM_400000_NS6detail17trampoline_kernelINS0_14default_configENS1_36segmented_radix_sort_config_selectorIslEEZNS1_25segmented_radix_sort_implIS3_Lb1EPKsPsPKlPlN2at6native12_GLOBAL__N_18offset_tEEE10hipError_tPvRmT1_PNSt15iterator_traitsISK_E10value_typeET2_T3_PNSL_ISQ_E10value_typeET4_jRbjT5_SW_jjP12ihipStream_tbEUlT_E2_NS1_11comp_targetILNS1_3genE10ELNS1_11target_archE1201ELNS1_3gpuE5ELNS1_3repE0EEENS1_30default_config_static_selectorELNS0_4arch9wavefront6targetE1EEEvSK_, .Lfunc_end945-_ZN7rocprim17ROCPRIM_400000_NS6detail17trampoline_kernelINS0_14default_configENS1_36segmented_radix_sort_config_selectorIslEEZNS1_25segmented_radix_sort_implIS3_Lb1EPKsPsPKlPlN2at6native12_GLOBAL__N_18offset_tEEE10hipError_tPvRmT1_PNSt15iterator_traitsISK_E10value_typeET2_T3_PNSL_ISQ_E10value_typeET4_jRbjT5_SW_jjP12ihipStream_tbEUlT_E2_NS1_11comp_targetILNS1_3genE10ELNS1_11target_archE1201ELNS1_3gpuE5ELNS1_3repE0EEENS1_30default_config_static_selectorELNS0_4arch9wavefront6targetE1EEEvSK_
                                        ; -- End function
	.section	.AMDGPU.csdata,"",@progbits
; Kernel info:
; codeLenInByte = 0
; NumSgprs: 4
; NumVgprs: 0
; NumAgprs: 0
; TotalNumVgprs: 0
; ScratchSize: 0
; MemoryBound: 0
; FloatMode: 240
; IeeeMode: 1
; LDSByteSize: 0 bytes/workgroup (compile time only)
; SGPRBlocks: 0
; VGPRBlocks: 0
; NumSGPRsForWavesPerEU: 4
; NumVGPRsForWavesPerEU: 1
; AccumOffset: 4
; Occupancy: 8
; WaveLimiterHint : 0
; COMPUTE_PGM_RSRC2:SCRATCH_EN: 0
; COMPUTE_PGM_RSRC2:USER_SGPR: 6
; COMPUTE_PGM_RSRC2:TRAP_HANDLER: 0
; COMPUTE_PGM_RSRC2:TGID_X_EN: 1
; COMPUTE_PGM_RSRC2:TGID_Y_EN: 0
; COMPUTE_PGM_RSRC2:TGID_Z_EN: 0
; COMPUTE_PGM_RSRC2:TIDIG_COMP_CNT: 0
; COMPUTE_PGM_RSRC3_GFX90A:ACCUM_OFFSET: 0
; COMPUTE_PGM_RSRC3_GFX90A:TG_SPLIT: 0
	.section	.text._ZN7rocprim17ROCPRIM_400000_NS6detail17trampoline_kernelINS0_14default_configENS1_36segmented_radix_sort_config_selectorIslEEZNS1_25segmented_radix_sort_implIS3_Lb1EPKsPsPKlPlN2at6native12_GLOBAL__N_18offset_tEEE10hipError_tPvRmT1_PNSt15iterator_traitsISK_E10value_typeET2_T3_PNSL_ISQ_E10value_typeET4_jRbjT5_SW_jjP12ihipStream_tbEUlT_E2_NS1_11comp_targetILNS1_3genE10ELNS1_11target_archE1200ELNS1_3gpuE4ELNS1_3repE0EEENS1_30default_config_static_selectorELNS0_4arch9wavefront6targetE1EEEvSK_,"axG",@progbits,_ZN7rocprim17ROCPRIM_400000_NS6detail17trampoline_kernelINS0_14default_configENS1_36segmented_radix_sort_config_selectorIslEEZNS1_25segmented_radix_sort_implIS3_Lb1EPKsPsPKlPlN2at6native12_GLOBAL__N_18offset_tEEE10hipError_tPvRmT1_PNSt15iterator_traitsISK_E10value_typeET2_T3_PNSL_ISQ_E10value_typeET4_jRbjT5_SW_jjP12ihipStream_tbEUlT_E2_NS1_11comp_targetILNS1_3genE10ELNS1_11target_archE1200ELNS1_3gpuE4ELNS1_3repE0EEENS1_30default_config_static_selectorELNS0_4arch9wavefront6targetE1EEEvSK_,comdat
	.globl	_ZN7rocprim17ROCPRIM_400000_NS6detail17trampoline_kernelINS0_14default_configENS1_36segmented_radix_sort_config_selectorIslEEZNS1_25segmented_radix_sort_implIS3_Lb1EPKsPsPKlPlN2at6native12_GLOBAL__N_18offset_tEEE10hipError_tPvRmT1_PNSt15iterator_traitsISK_E10value_typeET2_T3_PNSL_ISQ_E10value_typeET4_jRbjT5_SW_jjP12ihipStream_tbEUlT_E2_NS1_11comp_targetILNS1_3genE10ELNS1_11target_archE1200ELNS1_3gpuE4ELNS1_3repE0EEENS1_30default_config_static_selectorELNS0_4arch9wavefront6targetE1EEEvSK_ ; -- Begin function _ZN7rocprim17ROCPRIM_400000_NS6detail17trampoline_kernelINS0_14default_configENS1_36segmented_radix_sort_config_selectorIslEEZNS1_25segmented_radix_sort_implIS3_Lb1EPKsPsPKlPlN2at6native12_GLOBAL__N_18offset_tEEE10hipError_tPvRmT1_PNSt15iterator_traitsISK_E10value_typeET2_T3_PNSL_ISQ_E10value_typeET4_jRbjT5_SW_jjP12ihipStream_tbEUlT_E2_NS1_11comp_targetILNS1_3genE10ELNS1_11target_archE1200ELNS1_3gpuE4ELNS1_3repE0EEENS1_30default_config_static_selectorELNS0_4arch9wavefront6targetE1EEEvSK_
	.p2align	8
	.type	_ZN7rocprim17ROCPRIM_400000_NS6detail17trampoline_kernelINS0_14default_configENS1_36segmented_radix_sort_config_selectorIslEEZNS1_25segmented_radix_sort_implIS3_Lb1EPKsPsPKlPlN2at6native12_GLOBAL__N_18offset_tEEE10hipError_tPvRmT1_PNSt15iterator_traitsISK_E10value_typeET2_T3_PNSL_ISQ_E10value_typeET4_jRbjT5_SW_jjP12ihipStream_tbEUlT_E2_NS1_11comp_targetILNS1_3genE10ELNS1_11target_archE1200ELNS1_3gpuE4ELNS1_3repE0EEENS1_30default_config_static_selectorELNS0_4arch9wavefront6targetE1EEEvSK_,@function
_ZN7rocprim17ROCPRIM_400000_NS6detail17trampoline_kernelINS0_14default_configENS1_36segmented_radix_sort_config_selectorIslEEZNS1_25segmented_radix_sort_implIS3_Lb1EPKsPsPKlPlN2at6native12_GLOBAL__N_18offset_tEEE10hipError_tPvRmT1_PNSt15iterator_traitsISK_E10value_typeET2_T3_PNSL_ISQ_E10value_typeET4_jRbjT5_SW_jjP12ihipStream_tbEUlT_E2_NS1_11comp_targetILNS1_3genE10ELNS1_11target_archE1200ELNS1_3gpuE4ELNS1_3repE0EEENS1_30default_config_static_selectorELNS0_4arch9wavefront6targetE1EEEvSK_: ; @_ZN7rocprim17ROCPRIM_400000_NS6detail17trampoline_kernelINS0_14default_configENS1_36segmented_radix_sort_config_selectorIslEEZNS1_25segmented_radix_sort_implIS3_Lb1EPKsPsPKlPlN2at6native12_GLOBAL__N_18offset_tEEE10hipError_tPvRmT1_PNSt15iterator_traitsISK_E10value_typeET2_T3_PNSL_ISQ_E10value_typeET4_jRbjT5_SW_jjP12ihipStream_tbEUlT_E2_NS1_11comp_targetILNS1_3genE10ELNS1_11target_archE1200ELNS1_3gpuE4ELNS1_3repE0EEENS1_30default_config_static_selectorELNS0_4arch9wavefront6targetE1EEEvSK_
; %bb.0:
	.section	.rodata,"a",@progbits
	.p2align	6, 0x0
	.amdhsa_kernel _ZN7rocprim17ROCPRIM_400000_NS6detail17trampoline_kernelINS0_14default_configENS1_36segmented_radix_sort_config_selectorIslEEZNS1_25segmented_radix_sort_implIS3_Lb1EPKsPsPKlPlN2at6native12_GLOBAL__N_18offset_tEEE10hipError_tPvRmT1_PNSt15iterator_traitsISK_E10value_typeET2_T3_PNSL_ISQ_E10value_typeET4_jRbjT5_SW_jjP12ihipStream_tbEUlT_E2_NS1_11comp_targetILNS1_3genE10ELNS1_11target_archE1200ELNS1_3gpuE4ELNS1_3repE0EEENS1_30default_config_static_selectorELNS0_4arch9wavefront6targetE1EEEvSK_
		.amdhsa_group_segment_fixed_size 0
		.amdhsa_private_segment_fixed_size 0
		.amdhsa_kernarg_size 80
		.amdhsa_user_sgpr_count 6
		.amdhsa_user_sgpr_private_segment_buffer 1
		.amdhsa_user_sgpr_dispatch_ptr 0
		.amdhsa_user_sgpr_queue_ptr 0
		.amdhsa_user_sgpr_kernarg_segment_ptr 1
		.amdhsa_user_sgpr_dispatch_id 0
		.amdhsa_user_sgpr_flat_scratch_init 0
		.amdhsa_user_sgpr_kernarg_preload_length 0
		.amdhsa_user_sgpr_kernarg_preload_offset 0
		.amdhsa_user_sgpr_private_segment_size 0
		.amdhsa_uses_dynamic_stack 0
		.amdhsa_system_sgpr_private_segment_wavefront_offset 0
		.amdhsa_system_sgpr_workgroup_id_x 1
		.amdhsa_system_sgpr_workgroup_id_y 0
		.amdhsa_system_sgpr_workgroup_id_z 0
		.amdhsa_system_sgpr_workgroup_info 0
		.amdhsa_system_vgpr_workitem_id 0
		.amdhsa_next_free_vgpr 1
		.amdhsa_next_free_sgpr 0
		.amdhsa_accum_offset 4
		.amdhsa_reserve_vcc 0
		.amdhsa_reserve_flat_scratch 0
		.amdhsa_float_round_mode_32 0
		.amdhsa_float_round_mode_16_64 0
		.amdhsa_float_denorm_mode_32 3
		.amdhsa_float_denorm_mode_16_64 3
		.amdhsa_dx10_clamp 1
		.amdhsa_ieee_mode 1
		.amdhsa_fp16_overflow 0
		.amdhsa_tg_split 0
		.amdhsa_exception_fp_ieee_invalid_op 0
		.amdhsa_exception_fp_denorm_src 0
		.amdhsa_exception_fp_ieee_div_zero 0
		.amdhsa_exception_fp_ieee_overflow 0
		.amdhsa_exception_fp_ieee_underflow 0
		.amdhsa_exception_fp_ieee_inexact 0
		.amdhsa_exception_int_div_zero 0
	.end_amdhsa_kernel
	.section	.text._ZN7rocprim17ROCPRIM_400000_NS6detail17trampoline_kernelINS0_14default_configENS1_36segmented_radix_sort_config_selectorIslEEZNS1_25segmented_radix_sort_implIS3_Lb1EPKsPsPKlPlN2at6native12_GLOBAL__N_18offset_tEEE10hipError_tPvRmT1_PNSt15iterator_traitsISK_E10value_typeET2_T3_PNSL_ISQ_E10value_typeET4_jRbjT5_SW_jjP12ihipStream_tbEUlT_E2_NS1_11comp_targetILNS1_3genE10ELNS1_11target_archE1200ELNS1_3gpuE4ELNS1_3repE0EEENS1_30default_config_static_selectorELNS0_4arch9wavefront6targetE1EEEvSK_,"axG",@progbits,_ZN7rocprim17ROCPRIM_400000_NS6detail17trampoline_kernelINS0_14default_configENS1_36segmented_radix_sort_config_selectorIslEEZNS1_25segmented_radix_sort_implIS3_Lb1EPKsPsPKlPlN2at6native12_GLOBAL__N_18offset_tEEE10hipError_tPvRmT1_PNSt15iterator_traitsISK_E10value_typeET2_T3_PNSL_ISQ_E10value_typeET4_jRbjT5_SW_jjP12ihipStream_tbEUlT_E2_NS1_11comp_targetILNS1_3genE10ELNS1_11target_archE1200ELNS1_3gpuE4ELNS1_3repE0EEENS1_30default_config_static_selectorELNS0_4arch9wavefront6targetE1EEEvSK_,comdat
.Lfunc_end946:
	.size	_ZN7rocprim17ROCPRIM_400000_NS6detail17trampoline_kernelINS0_14default_configENS1_36segmented_radix_sort_config_selectorIslEEZNS1_25segmented_radix_sort_implIS3_Lb1EPKsPsPKlPlN2at6native12_GLOBAL__N_18offset_tEEE10hipError_tPvRmT1_PNSt15iterator_traitsISK_E10value_typeET2_T3_PNSL_ISQ_E10value_typeET4_jRbjT5_SW_jjP12ihipStream_tbEUlT_E2_NS1_11comp_targetILNS1_3genE10ELNS1_11target_archE1200ELNS1_3gpuE4ELNS1_3repE0EEENS1_30default_config_static_selectorELNS0_4arch9wavefront6targetE1EEEvSK_, .Lfunc_end946-_ZN7rocprim17ROCPRIM_400000_NS6detail17trampoline_kernelINS0_14default_configENS1_36segmented_radix_sort_config_selectorIslEEZNS1_25segmented_radix_sort_implIS3_Lb1EPKsPsPKlPlN2at6native12_GLOBAL__N_18offset_tEEE10hipError_tPvRmT1_PNSt15iterator_traitsISK_E10value_typeET2_T3_PNSL_ISQ_E10value_typeET4_jRbjT5_SW_jjP12ihipStream_tbEUlT_E2_NS1_11comp_targetILNS1_3genE10ELNS1_11target_archE1200ELNS1_3gpuE4ELNS1_3repE0EEENS1_30default_config_static_selectorELNS0_4arch9wavefront6targetE1EEEvSK_
                                        ; -- End function
	.section	.AMDGPU.csdata,"",@progbits
; Kernel info:
; codeLenInByte = 0
; NumSgprs: 4
; NumVgprs: 0
; NumAgprs: 0
; TotalNumVgprs: 0
; ScratchSize: 0
; MemoryBound: 0
; FloatMode: 240
; IeeeMode: 1
; LDSByteSize: 0 bytes/workgroup (compile time only)
; SGPRBlocks: 0
; VGPRBlocks: 0
; NumSGPRsForWavesPerEU: 4
; NumVGPRsForWavesPerEU: 1
; AccumOffset: 4
; Occupancy: 8
; WaveLimiterHint : 0
; COMPUTE_PGM_RSRC2:SCRATCH_EN: 0
; COMPUTE_PGM_RSRC2:USER_SGPR: 6
; COMPUTE_PGM_RSRC2:TRAP_HANDLER: 0
; COMPUTE_PGM_RSRC2:TGID_X_EN: 1
; COMPUTE_PGM_RSRC2:TGID_Y_EN: 0
; COMPUTE_PGM_RSRC2:TGID_Z_EN: 0
; COMPUTE_PGM_RSRC2:TIDIG_COMP_CNT: 0
; COMPUTE_PGM_RSRC3_GFX90A:ACCUM_OFFSET: 0
; COMPUTE_PGM_RSRC3_GFX90A:TG_SPLIT: 0
	.section	.text._ZN7rocprim17ROCPRIM_400000_NS6detail17trampoline_kernelINS0_14default_configENS1_36segmented_radix_sort_config_selectorIslEEZNS1_25segmented_radix_sort_implIS3_Lb1EPKsPsPKlPlN2at6native12_GLOBAL__N_18offset_tEEE10hipError_tPvRmT1_PNSt15iterator_traitsISK_E10value_typeET2_T3_PNSL_ISQ_E10value_typeET4_jRbjT5_SW_jjP12ihipStream_tbEUlT_E2_NS1_11comp_targetILNS1_3genE9ELNS1_11target_archE1100ELNS1_3gpuE3ELNS1_3repE0EEENS1_30default_config_static_selectorELNS0_4arch9wavefront6targetE1EEEvSK_,"axG",@progbits,_ZN7rocprim17ROCPRIM_400000_NS6detail17trampoline_kernelINS0_14default_configENS1_36segmented_radix_sort_config_selectorIslEEZNS1_25segmented_radix_sort_implIS3_Lb1EPKsPsPKlPlN2at6native12_GLOBAL__N_18offset_tEEE10hipError_tPvRmT1_PNSt15iterator_traitsISK_E10value_typeET2_T3_PNSL_ISQ_E10value_typeET4_jRbjT5_SW_jjP12ihipStream_tbEUlT_E2_NS1_11comp_targetILNS1_3genE9ELNS1_11target_archE1100ELNS1_3gpuE3ELNS1_3repE0EEENS1_30default_config_static_selectorELNS0_4arch9wavefront6targetE1EEEvSK_,comdat
	.globl	_ZN7rocprim17ROCPRIM_400000_NS6detail17trampoline_kernelINS0_14default_configENS1_36segmented_radix_sort_config_selectorIslEEZNS1_25segmented_radix_sort_implIS3_Lb1EPKsPsPKlPlN2at6native12_GLOBAL__N_18offset_tEEE10hipError_tPvRmT1_PNSt15iterator_traitsISK_E10value_typeET2_T3_PNSL_ISQ_E10value_typeET4_jRbjT5_SW_jjP12ihipStream_tbEUlT_E2_NS1_11comp_targetILNS1_3genE9ELNS1_11target_archE1100ELNS1_3gpuE3ELNS1_3repE0EEENS1_30default_config_static_selectorELNS0_4arch9wavefront6targetE1EEEvSK_ ; -- Begin function _ZN7rocprim17ROCPRIM_400000_NS6detail17trampoline_kernelINS0_14default_configENS1_36segmented_radix_sort_config_selectorIslEEZNS1_25segmented_radix_sort_implIS3_Lb1EPKsPsPKlPlN2at6native12_GLOBAL__N_18offset_tEEE10hipError_tPvRmT1_PNSt15iterator_traitsISK_E10value_typeET2_T3_PNSL_ISQ_E10value_typeET4_jRbjT5_SW_jjP12ihipStream_tbEUlT_E2_NS1_11comp_targetILNS1_3genE9ELNS1_11target_archE1100ELNS1_3gpuE3ELNS1_3repE0EEENS1_30default_config_static_selectorELNS0_4arch9wavefront6targetE1EEEvSK_
	.p2align	8
	.type	_ZN7rocprim17ROCPRIM_400000_NS6detail17trampoline_kernelINS0_14default_configENS1_36segmented_radix_sort_config_selectorIslEEZNS1_25segmented_radix_sort_implIS3_Lb1EPKsPsPKlPlN2at6native12_GLOBAL__N_18offset_tEEE10hipError_tPvRmT1_PNSt15iterator_traitsISK_E10value_typeET2_T3_PNSL_ISQ_E10value_typeET4_jRbjT5_SW_jjP12ihipStream_tbEUlT_E2_NS1_11comp_targetILNS1_3genE9ELNS1_11target_archE1100ELNS1_3gpuE3ELNS1_3repE0EEENS1_30default_config_static_selectorELNS0_4arch9wavefront6targetE1EEEvSK_,@function
_ZN7rocprim17ROCPRIM_400000_NS6detail17trampoline_kernelINS0_14default_configENS1_36segmented_radix_sort_config_selectorIslEEZNS1_25segmented_radix_sort_implIS3_Lb1EPKsPsPKlPlN2at6native12_GLOBAL__N_18offset_tEEE10hipError_tPvRmT1_PNSt15iterator_traitsISK_E10value_typeET2_T3_PNSL_ISQ_E10value_typeET4_jRbjT5_SW_jjP12ihipStream_tbEUlT_E2_NS1_11comp_targetILNS1_3genE9ELNS1_11target_archE1100ELNS1_3gpuE3ELNS1_3repE0EEENS1_30default_config_static_selectorELNS0_4arch9wavefront6targetE1EEEvSK_: ; @_ZN7rocprim17ROCPRIM_400000_NS6detail17trampoline_kernelINS0_14default_configENS1_36segmented_radix_sort_config_selectorIslEEZNS1_25segmented_radix_sort_implIS3_Lb1EPKsPsPKlPlN2at6native12_GLOBAL__N_18offset_tEEE10hipError_tPvRmT1_PNSt15iterator_traitsISK_E10value_typeET2_T3_PNSL_ISQ_E10value_typeET4_jRbjT5_SW_jjP12ihipStream_tbEUlT_E2_NS1_11comp_targetILNS1_3genE9ELNS1_11target_archE1100ELNS1_3gpuE3ELNS1_3repE0EEENS1_30default_config_static_selectorELNS0_4arch9wavefront6targetE1EEEvSK_
; %bb.0:
	.section	.rodata,"a",@progbits
	.p2align	6, 0x0
	.amdhsa_kernel _ZN7rocprim17ROCPRIM_400000_NS6detail17trampoline_kernelINS0_14default_configENS1_36segmented_radix_sort_config_selectorIslEEZNS1_25segmented_radix_sort_implIS3_Lb1EPKsPsPKlPlN2at6native12_GLOBAL__N_18offset_tEEE10hipError_tPvRmT1_PNSt15iterator_traitsISK_E10value_typeET2_T3_PNSL_ISQ_E10value_typeET4_jRbjT5_SW_jjP12ihipStream_tbEUlT_E2_NS1_11comp_targetILNS1_3genE9ELNS1_11target_archE1100ELNS1_3gpuE3ELNS1_3repE0EEENS1_30default_config_static_selectorELNS0_4arch9wavefront6targetE1EEEvSK_
		.amdhsa_group_segment_fixed_size 0
		.amdhsa_private_segment_fixed_size 0
		.amdhsa_kernarg_size 80
		.amdhsa_user_sgpr_count 6
		.amdhsa_user_sgpr_private_segment_buffer 1
		.amdhsa_user_sgpr_dispatch_ptr 0
		.amdhsa_user_sgpr_queue_ptr 0
		.amdhsa_user_sgpr_kernarg_segment_ptr 1
		.amdhsa_user_sgpr_dispatch_id 0
		.amdhsa_user_sgpr_flat_scratch_init 0
		.amdhsa_user_sgpr_kernarg_preload_length 0
		.amdhsa_user_sgpr_kernarg_preload_offset 0
		.amdhsa_user_sgpr_private_segment_size 0
		.amdhsa_uses_dynamic_stack 0
		.amdhsa_system_sgpr_private_segment_wavefront_offset 0
		.amdhsa_system_sgpr_workgroup_id_x 1
		.amdhsa_system_sgpr_workgroup_id_y 0
		.amdhsa_system_sgpr_workgroup_id_z 0
		.amdhsa_system_sgpr_workgroup_info 0
		.amdhsa_system_vgpr_workitem_id 0
		.amdhsa_next_free_vgpr 1
		.amdhsa_next_free_sgpr 0
		.amdhsa_accum_offset 4
		.amdhsa_reserve_vcc 0
		.amdhsa_reserve_flat_scratch 0
		.amdhsa_float_round_mode_32 0
		.amdhsa_float_round_mode_16_64 0
		.amdhsa_float_denorm_mode_32 3
		.amdhsa_float_denorm_mode_16_64 3
		.amdhsa_dx10_clamp 1
		.amdhsa_ieee_mode 1
		.amdhsa_fp16_overflow 0
		.amdhsa_tg_split 0
		.amdhsa_exception_fp_ieee_invalid_op 0
		.amdhsa_exception_fp_denorm_src 0
		.amdhsa_exception_fp_ieee_div_zero 0
		.amdhsa_exception_fp_ieee_overflow 0
		.amdhsa_exception_fp_ieee_underflow 0
		.amdhsa_exception_fp_ieee_inexact 0
		.amdhsa_exception_int_div_zero 0
	.end_amdhsa_kernel
	.section	.text._ZN7rocprim17ROCPRIM_400000_NS6detail17trampoline_kernelINS0_14default_configENS1_36segmented_radix_sort_config_selectorIslEEZNS1_25segmented_radix_sort_implIS3_Lb1EPKsPsPKlPlN2at6native12_GLOBAL__N_18offset_tEEE10hipError_tPvRmT1_PNSt15iterator_traitsISK_E10value_typeET2_T3_PNSL_ISQ_E10value_typeET4_jRbjT5_SW_jjP12ihipStream_tbEUlT_E2_NS1_11comp_targetILNS1_3genE9ELNS1_11target_archE1100ELNS1_3gpuE3ELNS1_3repE0EEENS1_30default_config_static_selectorELNS0_4arch9wavefront6targetE1EEEvSK_,"axG",@progbits,_ZN7rocprim17ROCPRIM_400000_NS6detail17trampoline_kernelINS0_14default_configENS1_36segmented_radix_sort_config_selectorIslEEZNS1_25segmented_radix_sort_implIS3_Lb1EPKsPsPKlPlN2at6native12_GLOBAL__N_18offset_tEEE10hipError_tPvRmT1_PNSt15iterator_traitsISK_E10value_typeET2_T3_PNSL_ISQ_E10value_typeET4_jRbjT5_SW_jjP12ihipStream_tbEUlT_E2_NS1_11comp_targetILNS1_3genE9ELNS1_11target_archE1100ELNS1_3gpuE3ELNS1_3repE0EEENS1_30default_config_static_selectorELNS0_4arch9wavefront6targetE1EEEvSK_,comdat
.Lfunc_end947:
	.size	_ZN7rocprim17ROCPRIM_400000_NS6detail17trampoline_kernelINS0_14default_configENS1_36segmented_radix_sort_config_selectorIslEEZNS1_25segmented_radix_sort_implIS3_Lb1EPKsPsPKlPlN2at6native12_GLOBAL__N_18offset_tEEE10hipError_tPvRmT1_PNSt15iterator_traitsISK_E10value_typeET2_T3_PNSL_ISQ_E10value_typeET4_jRbjT5_SW_jjP12ihipStream_tbEUlT_E2_NS1_11comp_targetILNS1_3genE9ELNS1_11target_archE1100ELNS1_3gpuE3ELNS1_3repE0EEENS1_30default_config_static_selectorELNS0_4arch9wavefront6targetE1EEEvSK_, .Lfunc_end947-_ZN7rocprim17ROCPRIM_400000_NS6detail17trampoline_kernelINS0_14default_configENS1_36segmented_radix_sort_config_selectorIslEEZNS1_25segmented_radix_sort_implIS3_Lb1EPKsPsPKlPlN2at6native12_GLOBAL__N_18offset_tEEE10hipError_tPvRmT1_PNSt15iterator_traitsISK_E10value_typeET2_T3_PNSL_ISQ_E10value_typeET4_jRbjT5_SW_jjP12ihipStream_tbEUlT_E2_NS1_11comp_targetILNS1_3genE9ELNS1_11target_archE1100ELNS1_3gpuE3ELNS1_3repE0EEENS1_30default_config_static_selectorELNS0_4arch9wavefront6targetE1EEEvSK_
                                        ; -- End function
	.section	.AMDGPU.csdata,"",@progbits
; Kernel info:
; codeLenInByte = 0
; NumSgprs: 4
; NumVgprs: 0
; NumAgprs: 0
; TotalNumVgprs: 0
; ScratchSize: 0
; MemoryBound: 0
; FloatMode: 240
; IeeeMode: 1
; LDSByteSize: 0 bytes/workgroup (compile time only)
; SGPRBlocks: 0
; VGPRBlocks: 0
; NumSGPRsForWavesPerEU: 4
; NumVGPRsForWavesPerEU: 1
; AccumOffset: 4
; Occupancy: 8
; WaveLimiterHint : 0
; COMPUTE_PGM_RSRC2:SCRATCH_EN: 0
; COMPUTE_PGM_RSRC2:USER_SGPR: 6
; COMPUTE_PGM_RSRC2:TRAP_HANDLER: 0
; COMPUTE_PGM_RSRC2:TGID_X_EN: 1
; COMPUTE_PGM_RSRC2:TGID_Y_EN: 0
; COMPUTE_PGM_RSRC2:TGID_Z_EN: 0
; COMPUTE_PGM_RSRC2:TIDIG_COMP_CNT: 0
; COMPUTE_PGM_RSRC3_GFX90A:ACCUM_OFFSET: 0
; COMPUTE_PGM_RSRC3_GFX90A:TG_SPLIT: 0
	.section	.text._ZN7rocprim17ROCPRIM_400000_NS6detail17trampoline_kernelINS0_14default_configENS1_36segmented_radix_sort_config_selectorIslEEZNS1_25segmented_radix_sort_implIS3_Lb1EPKsPsPKlPlN2at6native12_GLOBAL__N_18offset_tEEE10hipError_tPvRmT1_PNSt15iterator_traitsISK_E10value_typeET2_T3_PNSL_ISQ_E10value_typeET4_jRbjT5_SW_jjP12ihipStream_tbEUlT_E2_NS1_11comp_targetILNS1_3genE8ELNS1_11target_archE1030ELNS1_3gpuE2ELNS1_3repE0EEENS1_30default_config_static_selectorELNS0_4arch9wavefront6targetE1EEEvSK_,"axG",@progbits,_ZN7rocprim17ROCPRIM_400000_NS6detail17trampoline_kernelINS0_14default_configENS1_36segmented_radix_sort_config_selectorIslEEZNS1_25segmented_radix_sort_implIS3_Lb1EPKsPsPKlPlN2at6native12_GLOBAL__N_18offset_tEEE10hipError_tPvRmT1_PNSt15iterator_traitsISK_E10value_typeET2_T3_PNSL_ISQ_E10value_typeET4_jRbjT5_SW_jjP12ihipStream_tbEUlT_E2_NS1_11comp_targetILNS1_3genE8ELNS1_11target_archE1030ELNS1_3gpuE2ELNS1_3repE0EEENS1_30default_config_static_selectorELNS0_4arch9wavefront6targetE1EEEvSK_,comdat
	.globl	_ZN7rocprim17ROCPRIM_400000_NS6detail17trampoline_kernelINS0_14default_configENS1_36segmented_radix_sort_config_selectorIslEEZNS1_25segmented_radix_sort_implIS3_Lb1EPKsPsPKlPlN2at6native12_GLOBAL__N_18offset_tEEE10hipError_tPvRmT1_PNSt15iterator_traitsISK_E10value_typeET2_T3_PNSL_ISQ_E10value_typeET4_jRbjT5_SW_jjP12ihipStream_tbEUlT_E2_NS1_11comp_targetILNS1_3genE8ELNS1_11target_archE1030ELNS1_3gpuE2ELNS1_3repE0EEENS1_30default_config_static_selectorELNS0_4arch9wavefront6targetE1EEEvSK_ ; -- Begin function _ZN7rocprim17ROCPRIM_400000_NS6detail17trampoline_kernelINS0_14default_configENS1_36segmented_radix_sort_config_selectorIslEEZNS1_25segmented_radix_sort_implIS3_Lb1EPKsPsPKlPlN2at6native12_GLOBAL__N_18offset_tEEE10hipError_tPvRmT1_PNSt15iterator_traitsISK_E10value_typeET2_T3_PNSL_ISQ_E10value_typeET4_jRbjT5_SW_jjP12ihipStream_tbEUlT_E2_NS1_11comp_targetILNS1_3genE8ELNS1_11target_archE1030ELNS1_3gpuE2ELNS1_3repE0EEENS1_30default_config_static_selectorELNS0_4arch9wavefront6targetE1EEEvSK_
	.p2align	8
	.type	_ZN7rocprim17ROCPRIM_400000_NS6detail17trampoline_kernelINS0_14default_configENS1_36segmented_radix_sort_config_selectorIslEEZNS1_25segmented_radix_sort_implIS3_Lb1EPKsPsPKlPlN2at6native12_GLOBAL__N_18offset_tEEE10hipError_tPvRmT1_PNSt15iterator_traitsISK_E10value_typeET2_T3_PNSL_ISQ_E10value_typeET4_jRbjT5_SW_jjP12ihipStream_tbEUlT_E2_NS1_11comp_targetILNS1_3genE8ELNS1_11target_archE1030ELNS1_3gpuE2ELNS1_3repE0EEENS1_30default_config_static_selectorELNS0_4arch9wavefront6targetE1EEEvSK_,@function
_ZN7rocprim17ROCPRIM_400000_NS6detail17trampoline_kernelINS0_14default_configENS1_36segmented_radix_sort_config_selectorIslEEZNS1_25segmented_radix_sort_implIS3_Lb1EPKsPsPKlPlN2at6native12_GLOBAL__N_18offset_tEEE10hipError_tPvRmT1_PNSt15iterator_traitsISK_E10value_typeET2_T3_PNSL_ISQ_E10value_typeET4_jRbjT5_SW_jjP12ihipStream_tbEUlT_E2_NS1_11comp_targetILNS1_3genE8ELNS1_11target_archE1030ELNS1_3gpuE2ELNS1_3repE0EEENS1_30default_config_static_selectorELNS0_4arch9wavefront6targetE1EEEvSK_: ; @_ZN7rocprim17ROCPRIM_400000_NS6detail17trampoline_kernelINS0_14default_configENS1_36segmented_radix_sort_config_selectorIslEEZNS1_25segmented_radix_sort_implIS3_Lb1EPKsPsPKlPlN2at6native12_GLOBAL__N_18offset_tEEE10hipError_tPvRmT1_PNSt15iterator_traitsISK_E10value_typeET2_T3_PNSL_ISQ_E10value_typeET4_jRbjT5_SW_jjP12ihipStream_tbEUlT_E2_NS1_11comp_targetILNS1_3genE8ELNS1_11target_archE1030ELNS1_3gpuE2ELNS1_3repE0EEENS1_30default_config_static_selectorELNS0_4arch9wavefront6targetE1EEEvSK_
; %bb.0:
	.section	.rodata,"a",@progbits
	.p2align	6, 0x0
	.amdhsa_kernel _ZN7rocprim17ROCPRIM_400000_NS6detail17trampoline_kernelINS0_14default_configENS1_36segmented_radix_sort_config_selectorIslEEZNS1_25segmented_radix_sort_implIS3_Lb1EPKsPsPKlPlN2at6native12_GLOBAL__N_18offset_tEEE10hipError_tPvRmT1_PNSt15iterator_traitsISK_E10value_typeET2_T3_PNSL_ISQ_E10value_typeET4_jRbjT5_SW_jjP12ihipStream_tbEUlT_E2_NS1_11comp_targetILNS1_3genE8ELNS1_11target_archE1030ELNS1_3gpuE2ELNS1_3repE0EEENS1_30default_config_static_selectorELNS0_4arch9wavefront6targetE1EEEvSK_
		.amdhsa_group_segment_fixed_size 0
		.amdhsa_private_segment_fixed_size 0
		.amdhsa_kernarg_size 80
		.amdhsa_user_sgpr_count 6
		.amdhsa_user_sgpr_private_segment_buffer 1
		.amdhsa_user_sgpr_dispatch_ptr 0
		.amdhsa_user_sgpr_queue_ptr 0
		.amdhsa_user_sgpr_kernarg_segment_ptr 1
		.amdhsa_user_sgpr_dispatch_id 0
		.amdhsa_user_sgpr_flat_scratch_init 0
		.amdhsa_user_sgpr_kernarg_preload_length 0
		.amdhsa_user_sgpr_kernarg_preload_offset 0
		.amdhsa_user_sgpr_private_segment_size 0
		.amdhsa_uses_dynamic_stack 0
		.amdhsa_system_sgpr_private_segment_wavefront_offset 0
		.amdhsa_system_sgpr_workgroup_id_x 1
		.amdhsa_system_sgpr_workgroup_id_y 0
		.amdhsa_system_sgpr_workgroup_id_z 0
		.amdhsa_system_sgpr_workgroup_info 0
		.amdhsa_system_vgpr_workitem_id 0
		.amdhsa_next_free_vgpr 1
		.amdhsa_next_free_sgpr 0
		.amdhsa_accum_offset 4
		.amdhsa_reserve_vcc 0
		.amdhsa_reserve_flat_scratch 0
		.amdhsa_float_round_mode_32 0
		.amdhsa_float_round_mode_16_64 0
		.amdhsa_float_denorm_mode_32 3
		.amdhsa_float_denorm_mode_16_64 3
		.amdhsa_dx10_clamp 1
		.amdhsa_ieee_mode 1
		.amdhsa_fp16_overflow 0
		.amdhsa_tg_split 0
		.amdhsa_exception_fp_ieee_invalid_op 0
		.amdhsa_exception_fp_denorm_src 0
		.amdhsa_exception_fp_ieee_div_zero 0
		.amdhsa_exception_fp_ieee_overflow 0
		.amdhsa_exception_fp_ieee_underflow 0
		.amdhsa_exception_fp_ieee_inexact 0
		.amdhsa_exception_int_div_zero 0
	.end_amdhsa_kernel
	.section	.text._ZN7rocprim17ROCPRIM_400000_NS6detail17trampoline_kernelINS0_14default_configENS1_36segmented_radix_sort_config_selectorIslEEZNS1_25segmented_radix_sort_implIS3_Lb1EPKsPsPKlPlN2at6native12_GLOBAL__N_18offset_tEEE10hipError_tPvRmT1_PNSt15iterator_traitsISK_E10value_typeET2_T3_PNSL_ISQ_E10value_typeET4_jRbjT5_SW_jjP12ihipStream_tbEUlT_E2_NS1_11comp_targetILNS1_3genE8ELNS1_11target_archE1030ELNS1_3gpuE2ELNS1_3repE0EEENS1_30default_config_static_selectorELNS0_4arch9wavefront6targetE1EEEvSK_,"axG",@progbits,_ZN7rocprim17ROCPRIM_400000_NS6detail17trampoline_kernelINS0_14default_configENS1_36segmented_radix_sort_config_selectorIslEEZNS1_25segmented_radix_sort_implIS3_Lb1EPKsPsPKlPlN2at6native12_GLOBAL__N_18offset_tEEE10hipError_tPvRmT1_PNSt15iterator_traitsISK_E10value_typeET2_T3_PNSL_ISQ_E10value_typeET4_jRbjT5_SW_jjP12ihipStream_tbEUlT_E2_NS1_11comp_targetILNS1_3genE8ELNS1_11target_archE1030ELNS1_3gpuE2ELNS1_3repE0EEENS1_30default_config_static_selectorELNS0_4arch9wavefront6targetE1EEEvSK_,comdat
.Lfunc_end948:
	.size	_ZN7rocprim17ROCPRIM_400000_NS6detail17trampoline_kernelINS0_14default_configENS1_36segmented_radix_sort_config_selectorIslEEZNS1_25segmented_radix_sort_implIS3_Lb1EPKsPsPKlPlN2at6native12_GLOBAL__N_18offset_tEEE10hipError_tPvRmT1_PNSt15iterator_traitsISK_E10value_typeET2_T3_PNSL_ISQ_E10value_typeET4_jRbjT5_SW_jjP12ihipStream_tbEUlT_E2_NS1_11comp_targetILNS1_3genE8ELNS1_11target_archE1030ELNS1_3gpuE2ELNS1_3repE0EEENS1_30default_config_static_selectorELNS0_4arch9wavefront6targetE1EEEvSK_, .Lfunc_end948-_ZN7rocprim17ROCPRIM_400000_NS6detail17trampoline_kernelINS0_14default_configENS1_36segmented_radix_sort_config_selectorIslEEZNS1_25segmented_radix_sort_implIS3_Lb1EPKsPsPKlPlN2at6native12_GLOBAL__N_18offset_tEEE10hipError_tPvRmT1_PNSt15iterator_traitsISK_E10value_typeET2_T3_PNSL_ISQ_E10value_typeET4_jRbjT5_SW_jjP12ihipStream_tbEUlT_E2_NS1_11comp_targetILNS1_3genE8ELNS1_11target_archE1030ELNS1_3gpuE2ELNS1_3repE0EEENS1_30default_config_static_selectorELNS0_4arch9wavefront6targetE1EEEvSK_
                                        ; -- End function
	.section	.AMDGPU.csdata,"",@progbits
; Kernel info:
; codeLenInByte = 0
; NumSgprs: 4
; NumVgprs: 0
; NumAgprs: 0
; TotalNumVgprs: 0
; ScratchSize: 0
; MemoryBound: 0
; FloatMode: 240
; IeeeMode: 1
; LDSByteSize: 0 bytes/workgroup (compile time only)
; SGPRBlocks: 0
; VGPRBlocks: 0
; NumSGPRsForWavesPerEU: 4
; NumVGPRsForWavesPerEU: 1
; AccumOffset: 4
; Occupancy: 8
; WaveLimiterHint : 0
; COMPUTE_PGM_RSRC2:SCRATCH_EN: 0
; COMPUTE_PGM_RSRC2:USER_SGPR: 6
; COMPUTE_PGM_RSRC2:TRAP_HANDLER: 0
; COMPUTE_PGM_RSRC2:TGID_X_EN: 1
; COMPUTE_PGM_RSRC2:TGID_Y_EN: 0
; COMPUTE_PGM_RSRC2:TGID_Z_EN: 0
; COMPUTE_PGM_RSRC2:TIDIG_COMP_CNT: 0
; COMPUTE_PGM_RSRC3_GFX90A:ACCUM_OFFSET: 0
; COMPUTE_PGM_RSRC3_GFX90A:TG_SPLIT: 0
	.section	.text._ZN7rocprim17ROCPRIM_400000_NS6detail17trampoline_kernelINS0_13select_configILj256ELj13ELNS0_17block_load_methodE3ELS4_3ELS4_3ELNS0_20block_scan_algorithmE0ELj4294967295EEENS1_25partition_config_selectorILNS1_17partition_subalgoE4EjNS0_10empty_typeEbEEZZNS1_14partition_implILS8_4ELb0ES6_15HIP_vector_typeIjLj2EENS0_17counting_iteratorIjlEEPS9_SG_NS0_5tupleIJPjSI_NS0_16reverse_iteratorISI_EEEEENSH_IJSG_SG_SG_EEES9_SI_JZNS1_25segmented_radix_sort_implINS0_14default_configELb0EPKsPsPKlPlN2at6native12_GLOBAL__N_18offset_tEEE10hipError_tPvRmT1_PNSt15iterator_traitsIS12_E10value_typeET2_T3_PNS13_IS18_E10value_typeET4_jRbjT5_S1E_jjP12ihipStream_tbEUljE_ZNSN_ISO_Lb0ESQ_SR_ST_SU_SY_EESZ_S10_S11_S12_S16_S17_S18_S1B_S1C_jS1D_jS1E_S1E_jjS1G_bEUljE0_EEESZ_S10_S11_S18_S1C_S1E_T6_T7_T9_mT8_S1G_bDpT10_ENKUlT_T0_E_clISt17integral_constantIbLb0EES1U_EEDaS1P_S1Q_EUlS1P_E_NS1_11comp_targetILNS1_3genE0ELNS1_11target_archE4294967295ELNS1_3gpuE0ELNS1_3repE0EEENS1_30default_config_static_selectorELNS0_4arch9wavefront6targetE1EEEvS12_,"axG",@progbits,_ZN7rocprim17ROCPRIM_400000_NS6detail17trampoline_kernelINS0_13select_configILj256ELj13ELNS0_17block_load_methodE3ELS4_3ELS4_3ELNS0_20block_scan_algorithmE0ELj4294967295EEENS1_25partition_config_selectorILNS1_17partition_subalgoE4EjNS0_10empty_typeEbEEZZNS1_14partition_implILS8_4ELb0ES6_15HIP_vector_typeIjLj2EENS0_17counting_iteratorIjlEEPS9_SG_NS0_5tupleIJPjSI_NS0_16reverse_iteratorISI_EEEEENSH_IJSG_SG_SG_EEES9_SI_JZNS1_25segmented_radix_sort_implINS0_14default_configELb0EPKsPsPKlPlN2at6native12_GLOBAL__N_18offset_tEEE10hipError_tPvRmT1_PNSt15iterator_traitsIS12_E10value_typeET2_T3_PNS13_IS18_E10value_typeET4_jRbjT5_S1E_jjP12ihipStream_tbEUljE_ZNSN_ISO_Lb0ESQ_SR_ST_SU_SY_EESZ_S10_S11_S12_S16_S17_S18_S1B_S1C_jS1D_jS1E_S1E_jjS1G_bEUljE0_EEESZ_S10_S11_S18_S1C_S1E_T6_T7_T9_mT8_S1G_bDpT10_ENKUlT_T0_E_clISt17integral_constantIbLb0EES1U_EEDaS1P_S1Q_EUlS1P_E_NS1_11comp_targetILNS1_3genE0ELNS1_11target_archE4294967295ELNS1_3gpuE0ELNS1_3repE0EEENS1_30default_config_static_selectorELNS0_4arch9wavefront6targetE1EEEvS12_,comdat
	.globl	_ZN7rocprim17ROCPRIM_400000_NS6detail17trampoline_kernelINS0_13select_configILj256ELj13ELNS0_17block_load_methodE3ELS4_3ELS4_3ELNS0_20block_scan_algorithmE0ELj4294967295EEENS1_25partition_config_selectorILNS1_17partition_subalgoE4EjNS0_10empty_typeEbEEZZNS1_14partition_implILS8_4ELb0ES6_15HIP_vector_typeIjLj2EENS0_17counting_iteratorIjlEEPS9_SG_NS0_5tupleIJPjSI_NS0_16reverse_iteratorISI_EEEEENSH_IJSG_SG_SG_EEES9_SI_JZNS1_25segmented_radix_sort_implINS0_14default_configELb0EPKsPsPKlPlN2at6native12_GLOBAL__N_18offset_tEEE10hipError_tPvRmT1_PNSt15iterator_traitsIS12_E10value_typeET2_T3_PNS13_IS18_E10value_typeET4_jRbjT5_S1E_jjP12ihipStream_tbEUljE_ZNSN_ISO_Lb0ESQ_SR_ST_SU_SY_EESZ_S10_S11_S12_S16_S17_S18_S1B_S1C_jS1D_jS1E_S1E_jjS1G_bEUljE0_EEESZ_S10_S11_S18_S1C_S1E_T6_T7_T9_mT8_S1G_bDpT10_ENKUlT_T0_E_clISt17integral_constantIbLb0EES1U_EEDaS1P_S1Q_EUlS1P_E_NS1_11comp_targetILNS1_3genE0ELNS1_11target_archE4294967295ELNS1_3gpuE0ELNS1_3repE0EEENS1_30default_config_static_selectorELNS0_4arch9wavefront6targetE1EEEvS12_ ; -- Begin function _ZN7rocprim17ROCPRIM_400000_NS6detail17trampoline_kernelINS0_13select_configILj256ELj13ELNS0_17block_load_methodE3ELS4_3ELS4_3ELNS0_20block_scan_algorithmE0ELj4294967295EEENS1_25partition_config_selectorILNS1_17partition_subalgoE4EjNS0_10empty_typeEbEEZZNS1_14partition_implILS8_4ELb0ES6_15HIP_vector_typeIjLj2EENS0_17counting_iteratorIjlEEPS9_SG_NS0_5tupleIJPjSI_NS0_16reverse_iteratorISI_EEEEENSH_IJSG_SG_SG_EEES9_SI_JZNS1_25segmented_radix_sort_implINS0_14default_configELb0EPKsPsPKlPlN2at6native12_GLOBAL__N_18offset_tEEE10hipError_tPvRmT1_PNSt15iterator_traitsIS12_E10value_typeET2_T3_PNS13_IS18_E10value_typeET4_jRbjT5_S1E_jjP12ihipStream_tbEUljE_ZNSN_ISO_Lb0ESQ_SR_ST_SU_SY_EESZ_S10_S11_S12_S16_S17_S18_S1B_S1C_jS1D_jS1E_S1E_jjS1G_bEUljE0_EEESZ_S10_S11_S18_S1C_S1E_T6_T7_T9_mT8_S1G_bDpT10_ENKUlT_T0_E_clISt17integral_constantIbLb0EES1U_EEDaS1P_S1Q_EUlS1P_E_NS1_11comp_targetILNS1_3genE0ELNS1_11target_archE4294967295ELNS1_3gpuE0ELNS1_3repE0EEENS1_30default_config_static_selectorELNS0_4arch9wavefront6targetE1EEEvS12_
	.p2align	8
	.type	_ZN7rocprim17ROCPRIM_400000_NS6detail17trampoline_kernelINS0_13select_configILj256ELj13ELNS0_17block_load_methodE3ELS4_3ELS4_3ELNS0_20block_scan_algorithmE0ELj4294967295EEENS1_25partition_config_selectorILNS1_17partition_subalgoE4EjNS0_10empty_typeEbEEZZNS1_14partition_implILS8_4ELb0ES6_15HIP_vector_typeIjLj2EENS0_17counting_iteratorIjlEEPS9_SG_NS0_5tupleIJPjSI_NS0_16reverse_iteratorISI_EEEEENSH_IJSG_SG_SG_EEES9_SI_JZNS1_25segmented_radix_sort_implINS0_14default_configELb0EPKsPsPKlPlN2at6native12_GLOBAL__N_18offset_tEEE10hipError_tPvRmT1_PNSt15iterator_traitsIS12_E10value_typeET2_T3_PNS13_IS18_E10value_typeET4_jRbjT5_S1E_jjP12ihipStream_tbEUljE_ZNSN_ISO_Lb0ESQ_SR_ST_SU_SY_EESZ_S10_S11_S12_S16_S17_S18_S1B_S1C_jS1D_jS1E_S1E_jjS1G_bEUljE0_EEESZ_S10_S11_S18_S1C_S1E_T6_T7_T9_mT8_S1G_bDpT10_ENKUlT_T0_E_clISt17integral_constantIbLb0EES1U_EEDaS1P_S1Q_EUlS1P_E_NS1_11comp_targetILNS1_3genE0ELNS1_11target_archE4294967295ELNS1_3gpuE0ELNS1_3repE0EEENS1_30default_config_static_selectorELNS0_4arch9wavefront6targetE1EEEvS12_,@function
_ZN7rocprim17ROCPRIM_400000_NS6detail17trampoline_kernelINS0_13select_configILj256ELj13ELNS0_17block_load_methodE3ELS4_3ELS4_3ELNS0_20block_scan_algorithmE0ELj4294967295EEENS1_25partition_config_selectorILNS1_17partition_subalgoE4EjNS0_10empty_typeEbEEZZNS1_14partition_implILS8_4ELb0ES6_15HIP_vector_typeIjLj2EENS0_17counting_iteratorIjlEEPS9_SG_NS0_5tupleIJPjSI_NS0_16reverse_iteratorISI_EEEEENSH_IJSG_SG_SG_EEES9_SI_JZNS1_25segmented_radix_sort_implINS0_14default_configELb0EPKsPsPKlPlN2at6native12_GLOBAL__N_18offset_tEEE10hipError_tPvRmT1_PNSt15iterator_traitsIS12_E10value_typeET2_T3_PNS13_IS18_E10value_typeET4_jRbjT5_S1E_jjP12ihipStream_tbEUljE_ZNSN_ISO_Lb0ESQ_SR_ST_SU_SY_EESZ_S10_S11_S12_S16_S17_S18_S1B_S1C_jS1D_jS1E_S1E_jjS1G_bEUljE0_EEESZ_S10_S11_S18_S1C_S1E_T6_T7_T9_mT8_S1G_bDpT10_ENKUlT_T0_E_clISt17integral_constantIbLb0EES1U_EEDaS1P_S1Q_EUlS1P_E_NS1_11comp_targetILNS1_3genE0ELNS1_11target_archE4294967295ELNS1_3gpuE0ELNS1_3repE0EEENS1_30default_config_static_selectorELNS0_4arch9wavefront6targetE1EEEvS12_: ; @_ZN7rocprim17ROCPRIM_400000_NS6detail17trampoline_kernelINS0_13select_configILj256ELj13ELNS0_17block_load_methodE3ELS4_3ELS4_3ELNS0_20block_scan_algorithmE0ELj4294967295EEENS1_25partition_config_selectorILNS1_17partition_subalgoE4EjNS0_10empty_typeEbEEZZNS1_14partition_implILS8_4ELb0ES6_15HIP_vector_typeIjLj2EENS0_17counting_iteratorIjlEEPS9_SG_NS0_5tupleIJPjSI_NS0_16reverse_iteratorISI_EEEEENSH_IJSG_SG_SG_EEES9_SI_JZNS1_25segmented_radix_sort_implINS0_14default_configELb0EPKsPsPKlPlN2at6native12_GLOBAL__N_18offset_tEEE10hipError_tPvRmT1_PNSt15iterator_traitsIS12_E10value_typeET2_T3_PNS13_IS18_E10value_typeET4_jRbjT5_S1E_jjP12ihipStream_tbEUljE_ZNSN_ISO_Lb0ESQ_SR_ST_SU_SY_EESZ_S10_S11_S12_S16_S17_S18_S1B_S1C_jS1D_jS1E_S1E_jjS1G_bEUljE0_EEESZ_S10_S11_S18_S1C_S1E_T6_T7_T9_mT8_S1G_bDpT10_ENKUlT_T0_E_clISt17integral_constantIbLb0EES1U_EEDaS1P_S1Q_EUlS1P_E_NS1_11comp_targetILNS1_3genE0ELNS1_11target_archE4294967295ELNS1_3gpuE0ELNS1_3repE0EEENS1_30default_config_static_selectorELNS0_4arch9wavefront6targetE1EEEvS12_
; %bb.0:
	.section	.rodata,"a",@progbits
	.p2align	6, 0x0
	.amdhsa_kernel _ZN7rocprim17ROCPRIM_400000_NS6detail17trampoline_kernelINS0_13select_configILj256ELj13ELNS0_17block_load_methodE3ELS4_3ELS4_3ELNS0_20block_scan_algorithmE0ELj4294967295EEENS1_25partition_config_selectorILNS1_17partition_subalgoE4EjNS0_10empty_typeEbEEZZNS1_14partition_implILS8_4ELb0ES6_15HIP_vector_typeIjLj2EENS0_17counting_iteratorIjlEEPS9_SG_NS0_5tupleIJPjSI_NS0_16reverse_iteratorISI_EEEEENSH_IJSG_SG_SG_EEES9_SI_JZNS1_25segmented_radix_sort_implINS0_14default_configELb0EPKsPsPKlPlN2at6native12_GLOBAL__N_18offset_tEEE10hipError_tPvRmT1_PNSt15iterator_traitsIS12_E10value_typeET2_T3_PNS13_IS18_E10value_typeET4_jRbjT5_S1E_jjP12ihipStream_tbEUljE_ZNSN_ISO_Lb0ESQ_SR_ST_SU_SY_EESZ_S10_S11_S12_S16_S17_S18_S1B_S1C_jS1D_jS1E_S1E_jjS1G_bEUljE0_EEESZ_S10_S11_S18_S1C_S1E_T6_T7_T9_mT8_S1G_bDpT10_ENKUlT_T0_E_clISt17integral_constantIbLb0EES1U_EEDaS1P_S1Q_EUlS1P_E_NS1_11comp_targetILNS1_3genE0ELNS1_11target_archE4294967295ELNS1_3gpuE0ELNS1_3repE0EEENS1_30default_config_static_selectorELNS0_4arch9wavefront6targetE1EEEvS12_
		.amdhsa_group_segment_fixed_size 0
		.amdhsa_private_segment_fixed_size 0
		.amdhsa_kernarg_size 176
		.amdhsa_user_sgpr_count 6
		.amdhsa_user_sgpr_private_segment_buffer 1
		.amdhsa_user_sgpr_dispatch_ptr 0
		.amdhsa_user_sgpr_queue_ptr 0
		.amdhsa_user_sgpr_kernarg_segment_ptr 1
		.amdhsa_user_sgpr_dispatch_id 0
		.amdhsa_user_sgpr_flat_scratch_init 0
		.amdhsa_user_sgpr_kernarg_preload_length 0
		.amdhsa_user_sgpr_kernarg_preload_offset 0
		.amdhsa_user_sgpr_private_segment_size 0
		.amdhsa_uses_dynamic_stack 0
		.amdhsa_system_sgpr_private_segment_wavefront_offset 0
		.amdhsa_system_sgpr_workgroup_id_x 1
		.amdhsa_system_sgpr_workgroup_id_y 0
		.amdhsa_system_sgpr_workgroup_id_z 0
		.amdhsa_system_sgpr_workgroup_info 0
		.amdhsa_system_vgpr_workitem_id 0
		.amdhsa_next_free_vgpr 1
		.amdhsa_next_free_sgpr 0
		.amdhsa_accum_offset 4
		.amdhsa_reserve_vcc 0
		.amdhsa_reserve_flat_scratch 0
		.amdhsa_float_round_mode_32 0
		.amdhsa_float_round_mode_16_64 0
		.amdhsa_float_denorm_mode_32 3
		.amdhsa_float_denorm_mode_16_64 3
		.amdhsa_dx10_clamp 1
		.amdhsa_ieee_mode 1
		.amdhsa_fp16_overflow 0
		.amdhsa_tg_split 0
		.amdhsa_exception_fp_ieee_invalid_op 0
		.amdhsa_exception_fp_denorm_src 0
		.amdhsa_exception_fp_ieee_div_zero 0
		.amdhsa_exception_fp_ieee_overflow 0
		.amdhsa_exception_fp_ieee_underflow 0
		.amdhsa_exception_fp_ieee_inexact 0
		.amdhsa_exception_int_div_zero 0
	.end_amdhsa_kernel
	.section	.text._ZN7rocprim17ROCPRIM_400000_NS6detail17trampoline_kernelINS0_13select_configILj256ELj13ELNS0_17block_load_methodE3ELS4_3ELS4_3ELNS0_20block_scan_algorithmE0ELj4294967295EEENS1_25partition_config_selectorILNS1_17partition_subalgoE4EjNS0_10empty_typeEbEEZZNS1_14partition_implILS8_4ELb0ES6_15HIP_vector_typeIjLj2EENS0_17counting_iteratorIjlEEPS9_SG_NS0_5tupleIJPjSI_NS0_16reverse_iteratorISI_EEEEENSH_IJSG_SG_SG_EEES9_SI_JZNS1_25segmented_radix_sort_implINS0_14default_configELb0EPKsPsPKlPlN2at6native12_GLOBAL__N_18offset_tEEE10hipError_tPvRmT1_PNSt15iterator_traitsIS12_E10value_typeET2_T3_PNS13_IS18_E10value_typeET4_jRbjT5_S1E_jjP12ihipStream_tbEUljE_ZNSN_ISO_Lb0ESQ_SR_ST_SU_SY_EESZ_S10_S11_S12_S16_S17_S18_S1B_S1C_jS1D_jS1E_S1E_jjS1G_bEUljE0_EEESZ_S10_S11_S18_S1C_S1E_T6_T7_T9_mT8_S1G_bDpT10_ENKUlT_T0_E_clISt17integral_constantIbLb0EES1U_EEDaS1P_S1Q_EUlS1P_E_NS1_11comp_targetILNS1_3genE0ELNS1_11target_archE4294967295ELNS1_3gpuE0ELNS1_3repE0EEENS1_30default_config_static_selectorELNS0_4arch9wavefront6targetE1EEEvS12_,"axG",@progbits,_ZN7rocprim17ROCPRIM_400000_NS6detail17trampoline_kernelINS0_13select_configILj256ELj13ELNS0_17block_load_methodE3ELS4_3ELS4_3ELNS0_20block_scan_algorithmE0ELj4294967295EEENS1_25partition_config_selectorILNS1_17partition_subalgoE4EjNS0_10empty_typeEbEEZZNS1_14partition_implILS8_4ELb0ES6_15HIP_vector_typeIjLj2EENS0_17counting_iteratorIjlEEPS9_SG_NS0_5tupleIJPjSI_NS0_16reverse_iteratorISI_EEEEENSH_IJSG_SG_SG_EEES9_SI_JZNS1_25segmented_radix_sort_implINS0_14default_configELb0EPKsPsPKlPlN2at6native12_GLOBAL__N_18offset_tEEE10hipError_tPvRmT1_PNSt15iterator_traitsIS12_E10value_typeET2_T3_PNS13_IS18_E10value_typeET4_jRbjT5_S1E_jjP12ihipStream_tbEUljE_ZNSN_ISO_Lb0ESQ_SR_ST_SU_SY_EESZ_S10_S11_S12_S16_S17_S18_S1B_S1C_jS1D_jS1E_S1E_jjS1G_bEUljE0_EEESZ_S10_S11_S18_S1C_S1E_T6_T7_T9_mT8_S1G_bDpT10_ENKUlT_T0_E_clISt17integral_constantIbLb0EES1U_EEDaS1P_S1Q_EUlS1P_E_NS1_11comp_targetILNS1_3genE0ELNS1_11target_archE4294967295ELNS1_3gpuE0ELNS1_3repE0EEENS1_30default_config_static_selectorELNS0_4arch9wavefront6targetE1EEEvS12_,comdat
.Lfunc_end949:
	.size	_ZN7rocprim17ROCPRIM_400000_NS6detail17trampoline_kernelINS0_13select_configILj256ELj13ELNS0_17block_load_methodE3ELS4_3ELS4_3ELNS0_20block_scan_algorithmE0ELj4294967295EEENS1_25partition_config_selectorILNS1_17partition_subalgoE4EjNS0_10empty_typeEbEEZZNS1_14partition_implILS8_4ELb0ES6_15HIP_vector_typeIjLj2EENS0_17counting_iteratorIjlEEPS9_SG_NS0_5tupleIJPjSI_NS0_16reverse_iteratorISI_EEEEENSH_IJSG_SG_SG_EEES9_SI_JZNS1_25segmented_radix_sort_implINS0_14default_configELb0EPKsPsPKlPlN2at6native12_GLOBAL__N_18offset_tEEE10hipError_tPvRmT1_PNSt15iterator_traitsIS12_E10value_typeET2_T3_PNS13_IS18_E10value_typeET4_jRbjT5_S1E_jjP12ihipStream_tbEUljE_ZNSN_ISO_Lb0ESQ_SR_ST_SU_SY_EESZ_S10_S11_S12_S16_S17_S18_S1B_S1C_jS1D_jS1E_S1E_jjS1G_bEUljE0_EEESZ_S10_S11_S18_S1C_S1E_T6_T7_T9_mT8_S1G_bDpT10_ENKUlT_T0_E_clISt17integral_constantIbLb0EES1U_EEDaS1P_S1Q_EUlS1P_E_NS1_11comp_targetILNS1_3genE0ELNS1_11target_archE4294967295ELNS1_3gpuE0ELNS1_3repE0EEENS1_30default_config_static_selectorELNS0_4arch9wavefront6targetE1EEEvS12_, .Lfunc_end949-_ZN7rocprim17ROCPRIM_400000_NS6detail17trampoline_kernelINS0_13select_configILj256ELj13ELNS0_17block_load_methodE3ELS4_3ELS4_3ELNS0_20block_scan_algorithmE0ELj4294967295EEENS1_25partition_config_selectorILNS1_17partition_subalgoE4EjNS0_10empty_typeEbEEZZNS1_14partition_implILS8_4ELb0ES6_15HIP_vector_typeIjLj2EENS0_17counting_iteratorIjlEEPS9_SG_NS0_5tupleIJPjSI_NS0_16reverse_iteratorISI_EEEEENSH_IJSG_SG_SG_EEES9_SI_JZNS1_25segmented_radix_sort_implINS0_14default_configELb0EPKsPsPKlPlN2at6native12_GLOBAL__N_18offset_tEEE10hipError_tPvRmT1_PNSt15iterator_traitsIS12_E10value_typeET2_T3_PNS13_IS18_E10value_typeET4_jRbjT5_S1E_jjP12ihipStream_tbEUljE_ZNSN_ISO_Lb0ESQ_SR_ST_SU_SY_EESZ_S10_S11_S12_S16_S17_S18_S1B_S1C_jS1D_jS1E_S1E_jjS1G_bEUljE0_EEESZ_S10_S11_S18_S1C_S1E_T6_T7_T9_mT8_S1G_bDpT10_ENKUlT_T0_E_clISt17integral_constantIbLb0EES1U_EEDaS1P_S1Q_EUlS1P_E_NS1_11comp_targetILNS1_3genE0ELNS1_11target_archE4294967295ELNS1_3gpuE0ELNS1_3repE0EEENS1_30default_config_static_selectorELNS0_4arch9wavefront6targetE1EEEvS12_
                                        ; -- End function
	.section	.AMDGPU.csdata,"",@progbits
; Kernel info:
; codeLenInByte = 0
; NumSgprs: 4
; NumVgprs: 0
; NumAgprs: 0
; TotalNumVgprs: 0
; ScratchSize: 0
; MemoryBound: 0
; FloatMode: 240
; IeeeMode: 1
; LDSByteSize: 0 bytes/workgroup (compile time only)
; SGPRBlocks: 0
; VGPRBlocks: 0
; NumSGPRsForWavesPerEU: 4
; NumVGPRsForWavesPerEU: 1
; AccumOffset: 4
; Occupancy: 8
; WaveLimiterHint : 0
; COMPUTE_PGM_RSRC2:SCRATCH_EN: 0
; COMPUTE_PGM_RSRC2:USER_SGPR: 6
; COMPUTE_PGM_RSRC2:TRAP_HANDLER: 0
; COMPUTE_PGM_RSRC2:TGID_X_EN: 1
; COMPUTE_PGM_RSRC2:TGID_Y_EN: 0
; COMPUTE_PGM_RSRC2:TGID_Z_EN: 0
; COMPUTE_PGM_RSRC2:TIDIG_COMP_CNT: 0
; COMPUTE_PGM_RSRC3_GFX90A:ACCUM_OFFSET: 0
; COMPUTE_PGM_RSRC3_GFX90A:TG_SPLIT: 0
	.section	.text._ZN7rocprim17ROCPRIM_400000_NS6detail17trampoline_kernelINS0_13select_configILj256ELj13ELNS0_17block_load_methodE3ELS4_3ELS4_3ELNS0_20block_scan_algorithmE0ELj4294967295EEENS1_25partition_config_selectorILNS1_17partition_subalgoE4EjNS0_10empty_typeEbEEZZNS1_14partition_implILS8_4ELb0ES6_15HIP_vector_typeIjLj2EENS0_17counting_iteratorIjlEEPS9_SG_NS0_5tupleIJPjSI_NS0_16reverse_iteratorISI_EEEEENSH_IJSG_SG_SG_EEES9_SI_JZNS1_25segmented_radix_sort_implINS0_14default_configELb0EPKsPsPKlPlN2at6native12_GLOBAL__N_18offset_tEEE10hipError_tPvRmT1_PNSt15iterator_traitsIS12_E10value_typeET2_T3_PNS13_IS18_E10value_typeET4_jRbjT5_S1E_jjP12ihipStream_tbEUljE_ZNSN_ISO_Lb0ESQ_SR_ST_SU_SY_EESZ_S10_S11_S12_S16_S17_S18_S1B_S1C_jS1D_jS1E_S1E_jjS1G_bEUljE0_EEESZ_S10_S11_S18_S1C_S1E_T6_T7_T9_mT8_S1G_bDpT10_ENKUlT_T0_E_clISt17integral_constantIbLb0EES1U_EEDaS1P_S1Q_EUlS1P_E_NS1_11comp_targetILNS1_3genE5ELNS1_11target_archE942ELNS1_3gpuE9ELNS1_3repE0EEENS1_30default_config_static_selectorELNS0_4arch9wavefront6targetE1EEEvS12_,"axG",@progbits,_ZN7rocprim17ROCPRIM_400000_NS6detail17trampoline_kernelINS0_13select_configILj256ELj13ELNS0_17block_load_methodE3ELS4_3ELS4_3ELNS0_20block_scan_algorithmE0ELj4294967295EEENS1_25partition_config_selectorILNS1_17partition_subalgoE4EjNS0_10empty_typeEbEEZZNS1_14partition_implILS8_4ELb0ES6_15HIP_vector_typeIjLj2EENS0_17counting_iteratorIjlEEPS9_SG_NS0_5tupleIJPjSI_NS0_16reverse_iteratorISI_EEEEENSH_IJSG_SG_SG_EEES9_SI_JZNS1_25segmented_radix_sort_implINS0_14default_configELb0EPKsPsPKlPlN2at6native12_GLOBAL__N_18offset_tEEE10hipError_tPvRmT1_PNSt15iterator_traitsIS12_E10value_typeET2_T3_PNS13_IS18_E10value_typeET4_jRbjT5_S1E_jjP12ihipStream_tbEUljE_ZNSN_ISO_Lb0ESQ_SR_ST_SU_SY_EESZ_S10_S11_S12_S16_S17_S18_S1B_S1C_jS1D_jS1E_S1E_jjS1G_bEUljE0_EEESZ_S10_S11_S18_S1C_S1E_T6_T7_T9_mT8_S1G_bDpT10_ENKUlT_T0_E_clISt17integral_constantIbLb0EES1U_EEDaS1P_S1Q_EUlS1P_E_NS1_11comp_targetILNS1_3genE5ELNS1_11target_archE942ELNS1_3gpuE9ELNS1_3repE0EEENS1_30default_config_static_selectorELNS0_4arch9wavefront6targetE1EEEvS12_,comdat
	.globl	_ZN7rocprim17ROCPRIM_400000_NS6detail17trampoline_kernelINS0_13select_configILj256ELj13ELNS0_17block_load_methodE3ELS4_3ELS4_3ELNS0_20block_scan_algorithmE0ELj4294967295EEENS1_25partition_config_selectorILNS1_17partition_subalgoE4EjNS0_10empty_typeEbEEZZNS1_14partition_implILS8_4ELb0ES6_15HIP_vector_typeIjLj2EENS0_17counting_iteratorIjlEEPS9_SG_NS0_5tupleIJPjSI_NS0_16reverse_iteratorISI_EEEEENSH_IJSG_SG_SG_EEES9_SI_JZNS1_25segmented_radix_sort_implINS0_14default_configELb0EPKsPsPKlPlN2at6native12_GLOBAL__N_18offset_tEEE10hipError_tPvRmT1_PNSt15iterator_traitsIS12_E10value_typeET2_T3_PNS13_IS18_E10value_typeET4_jRbjT5_S1E_jjP12ihipStream_tbEUljE_ZNSN_ISO_Lb0ESQ_SR_ST_SU_SY_EESZ_S10_S11_S12_S16_S17_S18_S1B_S1C_jS1D_jS1E_S1E_jjS1G_bEUljE0_EEESZ_S10_S11_S18_S1C_S1E_T6_T7_T9_mT8_S1G_bDpT10_ENKUlT_T0_E_clISt17integral_constantIbLb0EES1U_EEDaS1P_S1Q_EUlS1P_E_NS1_11comp_targetILNS1_3genE5ELNS1_11target_archE942ELNS1_3gpuE9ELNS1_3repE0EEENS1_30default_config_static_selectorELNS0_4arch9wavefront6targetE1EEEvS12_ ; -- Begin function _ZN7rocprim17ROCPRIM_400000_NS6detail17trampoline_kernelINS0_13select_configILj256ELj13ELNS0_17block_load_methodE3ELS4_3ELS4_3ELNS0_20block_scan_algorithmE0ELj4294967295EEENS1_25partition_config_selectorILNS1_17partition_subalgoE4EjNS0_10empty_typeEbEEZZNS1_14partition_implILS8_4ELb0ES6_15HIP_vector_typeIjLj2EENS0_17counting_iteratorIjlEEPS9_SG_NS0_5tupleIJPjSI_NS0_16reverse_iteratorISI_EEEEENSH_IJSG_SG_SG_EEES9_SI_JZNS1_25segmented_radix_sort_implINS0_14default_configELb0EPKsPsPKlPlN2at6native12_GLOBAL__N_18offset_tEEE10hipError_tPvRmT1_PNSt15iterator_traitsIS12_E10value_typeET2_T3_PNS13_IS18_E10value_typeET4_jRbjT5_S1E_jjP12ihipStream_tbEUljE_ZNSN_ISO_Lb0ESQ_SR_ST_SU_SY_EESZ_S10_S11_S12_S16_S17_S18_S1B_S1C_jS1D_jS1E_S1E_jjS1G_bEUljE0_EEESZ_S10_S11_S18_S1C_S1E_T6_T7_T9_mT8_S1G_bDpT10_ENKUlT_T0_E_clISt17integral_constantIbLb0EES1U_EEDaS1P_S1Q_EUlS1P_E_NS1_11comp_targetILNS1_3genE5ELNS1_11target_archE942ELNS1_3gpuE9ELNS1_3repE0EEENS1_30default_config_static_selectorELNS0_4arch9wavefront6targetE1EEEvS12_
	.p2align	8
	.type	_ZN7rocprim17ROCPRIM_400000_NS6detail17trampoline_kernelINS0_13select_configILj256ELj13ELNS0_17block_load_methodE3ELS4_3ELS4_3ELNS0_20block_scan_algorithmE0ELj4294967295EEENS1_25partition_config_selectorILNS1_17partition_subalgoE4EjNS0_10empty_typeEbEEZZNS1_14partition_implILS8_4ELb0ES6_15HIP_vector_typeIjLj2EENS0_17counting_iteratorIjlEEPS9_SG_NS0_5tupleIJPjSI_NS0_16reverse_iteratorISI_EEEEENSH_IJSG_SG_SG_EEES9_SI_JZNS1_25segmented_radix_sort_implINS0_14default_configELb0EPKsPsPKlPlN2at6native12_GLOBAL__N_18offset_tEEE10hipError_tPvRmT1_PNSt15iterator_traitsIS12_E10value_typeET2_T3_PNS13_IS18_E10value_typeET4_jRbjT5_S1E_jjP12ihipStream_tbEUljE_ZNSN_ISO_Lb0ESQ_SR_ST_SU_SY_EESZ_S10_S11_S12_S16_S17_S18_S1B_S1C_jS1D_jS1E_S1E_jjS1G_bEUljE0_EEESZ_S10_S11_S18_S1C_S1E_T6_T7_T9_mT8_S1G_bDpT10_ENKUlT_T0_E_clISt17integral_constantIbLb0EES1U_EEDaS1P_S1Q_EUlS1P_E_NS1_11comp_targetILNS1_3genE5ELNS1_11target_archE942ELNS1_3gpuE9ELNS1_3repE0EEENS1_30default_config_static_selectorELNS0_4arch9wavefront6targetE1EEEvS12_,@function
_ZN7rocprim17ROCPRIM_400000_NS6detail17trampoline_kernelINS0_13select_configILj256ELj13ELNS0_17block_load_methodE3ELS4_3ELS4_3ELNS0_20block_scan_algorithmE0ELj4294967295EEENS1_25partition_config_selectorILNS1_17partition_subalgoE4EjNS0_10empty_typeEbEEZZNS1_14partition_implILS8_4ELb0ES6_15HIP_vector_typeIjLj2EENS0_17counting_iteratorIjlEEPS9_SG_NS0_5tupleIJPjSI_NS0_16reverse_iteratorISI_EEEEENSH_IJSG_SG_SG_EEES9_SI_JZNS1_25segmented_radix_sort_implINS0_14default_configELb0EPKsPsPKlPlN2at6native12_GLOBAL__N_18offset_tEEE10hipError_tPvRmT1_PNSt15iterator_traitsIS12_E10value_typeET2_T3_PNS13_IS18_E10value_typeET4_jRbjT5_S1E_jjP12ihipStream_tbEUljE_ZNSN_ISO_Lb0ESQ_SR_ST_SU_SY_EESZ_S10_S11_S12_S16_S17_S18_S1B_S1C_jS1D_jS1E_S1E_jjS1G_bEUljE0_EEESZ_S10_S11_S18_S1C_S1E_T6_T7_T9_mT8_S1G_bDpT10_ENKUlT_T0_E_clISt17integral_constantIbLb0EES1U_EEDaS1P_S1Q_EUlS1P_E_NS1_11comp_targetILNS1_3genE5ELNS1_11target_archE942ELNS1_3gpuE9ELNS1_3repE0EEENS1_30default_config_static_selectorELNS0_4arch9wavefront6targetE1EEEvS12_: ; @_ZN7rocprim17ROCPRIM_400000_NS6detail17trampoline_kernelINS0_13select_configILj256ELj13ELNS0_17block_load_methodE3ELS4_3ELS4_3ELNS0_20block_scan_algorithmE0ELj4294967295EEENS1_25partition_config_selectorILNS1_17partition_subalgoE4EjNS0_10empty_typeEbEEZZNS1_14partition_implILS8_4ELb0ES6_15HIP_vector_typeIjLj2EENS0_17counting_iteratorIjlEEPS9_SG_NS0_5tupleIJPjSI_NS0_16reverse_iteratorISI_EEEEENSH_IJSG_SG_SG_EEES9_SI_JZNS1_25segmented_radix_sort_implINS0_14default_configELb0EPKsPsPKlPlN2at6native12_GLOBAL__N_18offset_tEEE10hipError_tPvRmT1_PNSt15iterator_traitsIS12_E10value_typeET2_T3_PNS13_IS18_E10value_typeET4_jRbjT5_S1E_jjP12ihipStream_tbEUljE_ZNSN_ISO_Lb0ESQ_SR_ST_SU_SY_EESZ_S10_S11_S12_S16_S17_S18_S1B_S1C_jS1D_jS1E_S1E_jjS1G_bEUljE0_EEESZ_S10_S11_S18_S1C_S1E_T6_T7_T9_mT8_S1G_bDpT10_ENKUlT_T0_E_clISt17integral_constantIbLb0EES1U_EEDaS1P_S1Q_EUlS1P_E_NS1_11comp_targetILNS1_3genE5ELNS1_11target_archE942ELNS1_3gpuE9ELNS1_3repE0EEENS1_30default_config_static_selectorELNS0_4arch9wavefront6targetE1EEEvS12_
; %bb.0:
	.section	.rodata,"a",@progbits
	.p2align	6, 0x0
	.amdhsa_kernel _ZN7rocprim17ROCPRIM_400000_NS6detail17trampoline_kernelINS0_13select_configILj256ELj13ELNS0_17block_load_methodE3ELS4_3ELS4_3ELNS0_20block_scan_algorithmE0ELj4294967295EEENS1_25partition_config_selectorILNS1_17partition_subalgoE4EjNS0_10empty_typeEbEEZZNS1_14partition_implILS8_4ELb0ES6_15HIP_vector_typeIjLj2EENS0_17counting_iteratorIjlEEPS9_SG_NS0_5tupleIJPjSI_NS0_16reverse_iteratorISI_EEEEENSH_IJSG_SG_SG_EEES9_SI_JZNS1_25segmented_radix_sort_implINS0_14default_configELb0EPKsPsPKlPlN2at6native12_GLOBAL__N_18offset_tEEE10hipError_tPvRmT1_PNSt15iterator_traitsIS12_E10value_typeET2_T3_PNS13_IS18_E10value_typeET4_jRbjT5_S1E_jjP12ihipStream_tbEUljE_ZNSN_ISO_Lb0ESQ_SR_ST_SU_SY_EESZ_S10_S11_S12_S16_S17_S18_S1B_S1C_jS1D_jS1E_S1E_jjS1G_bEUljE0_EEESZ_S10_S11_S18_S1C_S1E_T6_T7_T9_mT8_S1G_bDpT10_ENKUlT_T0_E_clISt17integral_constantIbLb0EES1U_EEDaS1P_S1Q_EUlS1P_E_NS1_11comp_targetILNS1_3genE5ELNS1_11target_archE942ELNS1_3gpuE9ELNS1_3repE0EEENS1_30default_config_static_selectorELNS0_4arch9wavefront6targetE1EEEvS12_
		.amdhsa_group_segment_fixed_size 0
		.amdhsa_private_segment_fixed_size 0
		.amdhsa_kernarg_size 176
		.amdhsa_user_sgpr_count 6
		.amdhsa_user_sgpr_private_segment_buffer 1
		.amdhsa_user_sgpr_dispatch_ptr 0
		.amdhsa_user_sgpr_queue_ptr 0
		.amdhsa_user_sgpr_kernarg_segment_ptr 1
		.amdhsa_user_sgpr_dispatch_id 0
		.amdhsa_user_sgpr_flat_scratch_init 0
		.amdhsa_user_sgpr_kernarg_preload_length 0
		.amdhsa_user_sgpr_kernarg_preload_offset 0
		.amdhsa_user_sgpr_private_segment_size 0
		.amdhsa_uses_dynamic_stack 0
		.amdhsa_system_sgpr_private_segment_wavefront_offset 0
		.amdhsa_system_sgpr_workgroup_id_x 1
		.amdhsa_system_sgpr_workgroup_id_y 0
		.amdhsa_system_sgpr_workgroup_id_z 0
		.amdhsa_system_sgpr_workgroup_info 0
		.amdhsa_system_vgpr_workitem_id 0
		.amdhsa_next_free_vgpr 1
		.amdhsa_next_free_sgpr 0
		.amdhsa_accum_offset 4
		.amdhsa_reserve_vcc 0
		.amdhsa_reserve_flat_scratch 0
		.amdhsa_float_round_mode_32 0
		.amdhsa_float_round_mode_16_64 0
		.amdhsa_float_denorm_mode_32 3
		.amdhsa_float_denorm_mode_16_64 3
		.amdhsa_dx10_clamp 1
		.amdhsa_ieee_mode 1
		.amdhsa_fp16_overflow 0
		.amdhsa_tg_split 0
		.amdhsa_exception_fp_ieee_invalid_op 0
		.amdhsa_exception_fp_denorm_src 0
		.amdhsa_exception_fp_ieee_div_zero 0
		.amdhsa_exception_fp_ieee_overflow 0
		.amdhsa_exception_fp_ieee_underflow 0
		.amdhsa_exception_fp_ieee_inexact 0
		.amdhsa_exception_int_div_zero 0
	.end_amdhsa_kernel
	.section	.text._ZN7rocprim17ROCPRIM_400000_NS6detail17trampoline_kernelINS0_13select_configILj256ELj13ELNS0_17block_load_methodE3ELS4_3ELS4_3ELNS0_20block_scan_algorithmE0ELj4294967295EEENS1_25partition_config_selectorILNS1_17partition_subalgoE4EjNS0_10empty_typeEbEEZZNS1_14partition_implILS8_4ELb0ES6_15HIP_vector_typeIjLj2EENS0_17counting_iteratorIjlEEPS9_SG_NS0_5tupleIJPjSI_NS0_16reverse_iteratorISI_EEEEENSH_IJSG_SG_SG_EEES9_SI_JZNS1_25segmented_radix_sort_implINS0_14default_configELb0EPKsPsPKlPlN2at6native12_GLOBAL__N_18offset_tEEE10hipError_tPvRmT1_PNSt15iterator_traitsIS12_E10value_typeET2_T3_PNS13_IS18_E10value_typeET4_jRbjT5_S1E_jjP12ihipStream_tbEUljE_ZNSN_ISO_Lb0ESQ_SR_ST_SU_SY_EESZ_S10_S11_S12_S16_S17_S18_S1B_S1C_jS1D_jS1E_S1E_jjS1G_bEUljE0_EEESZ_S10_S11_S18_S1C_S1E_T6_T7_T9_mT8_S1G_bDpT10_ENKUlT_T0_E_clISt17integral_constantIbLb0EES1U_EEDaS1P_S1Q_EUlS1P_E_NS1_11comp_targetILNS1_3genE5ELNS1_11target_archE942ELNS1_3gpuE9ELNS1_3repE0EEENS1_30default_config_static_selectorELNS0_4arch9wavefront6targetE1EEEvS12_,"axG",@progbits,_ZN7rocprim17ROCPRIM_400000_NS6detail17trampoline_kernelINS0_13select_configILj256ELj13ELNS0_17block_load_methodE3ELS4_3ELS4_3ELNS0_20block_scan_algorithmE0ELj4294967295EEENS1_25partition_config_selectorILNS1_17partition_subalgoE4EjNS0_10empty_typeEbEEZZNS1_14partition_implILS8_4ELb0ES6_15HIP_vector_typeIjLj2EENS0_17counting_iteratorIjlEEPS9_SG_NS0_5tupleIJPjSI_NS0_16reverse_iteratorISI_EEEEENSH_IJSG_SG_SG_EEES9_SI_JZNS1_25segmented_radix_sort_implINS0_14default_configELb0EPKsPsPKlPlN2at6native12_GLOBAL__N_18offset_tEEE10hipError_tPvRmT1_PNSt15iterator_traitsIS12_E10value_typeET2_T3_PNS13_IS18_E10value_typeET4_jRbjT5_S1E_jjP12ihipStream_tbEUljE_ZNSN_ISO_Lb0ESQ_SR_ST_SU_SY_EESZ_S10_S11_S12_S16_S17_S18_S1B_S1C_jS1D_jS1E_S1E_jjS1G_bEUljE0_EEESZ_S10_S11_S18_S1C_S1E_T6_T7_T9_mT8_S1G_bDpT10_ENKUlT_T0_E_clISt17integral_constantIbLb0EES1U_EEDaS1P_S1Q_EUlS1P_E_NS1_11comp_targetILNS1_3genE5ELNS1_11target_archE942ELNS1_3gpuE9ELNS1_3repE0EEENS1_30default_config_static_selectorELNS0_4arch9wavefront6targetE1EEEvS12_,comdat
.Lfunc_end950:
	.size	_ZN7rocprim17ROCPRIM_400000_NS6detail17trampoline_kernelINS0_13select_configILj256ELj13ELNS0_17block_load_methodE3ELS4_3ELS4_3ELNS0_20block_scan_algorithmE0ELj4294967295EEENS1_25partition_config_selectorILNS1_17partition_subalgoE4EjNS0_10empty_typeEbEEZZNS1_14partition_implILS8_4ELb0ES6_15HIP_vector_typeIjLj2EENS0_17counting_iteratorIjlEEPS9_SG_NS0_5tupleIJPjSI_NS0_16reverse_iteratorISI_EEEEENSH_IJSG_SG_SG_EEES9_SI_JZNS1_25segmented_radix_sort_implINS0_14default_configELb0EPKsPsPKlPlN2at6native12_GLOBAL__N_18offset_tEEE10hipError_tPvRmT1_PNSt15iterator_traitsIS12_E10value_typeET2_T3_PNS13_IS18_E10value_typeET4_jRbjT5_S1E_jjP12ihipStream_tbEUljE_ZNSN_ISO_Lb0ESQ_SR_ST_SU_SY_EESZ_S10_S11_S12_S16_S17_S18_S1B_S1C_jS1D_jS1E_S1E_jjS1G_bEUljE0_EEESZ_S10_S11_S18_S1C_S1E_T6_T7_T9_mT8_S1G_bDpT10_ENKUlT_T0_E_clISt17integral_constantIbLb0EES1U_EEDaS1P_S1Q_EUlS1P_E_NS1_11comp_targetILNS1_3genE5ELNS1_11target_archE942ELNS1_3gpuE9ELNS1_3repE0EEENS1_30default_config_static_selectorELNS0_4arch9wavefront6targetE1EEEvS12_, .Lfunc_end950-_ZN7rocprim17ROCPRIM_400000_NS6detail17trampoline_kernelINS0_13select_configILj256ELj13ELNS0_17block_load_methodE3ELS4_3ELS4_3ELNS0_20block_scan_algorithmE0ELj4294967295EEENS1_25partition_config_selectorILNS1_17partition_subalgoE4EjNS0_10empty_typeEbEEZZNS1_14partition_implILS8_4ELb0ES6_15HIP_vector_typeIjLj2EENS0_17counting_iteratorIjlEEPS9_SG_NS0_5tupleIJPjSI_NS0_16reverse_iteratorISI_EEEEENSH_IJSG_SG_SG_EEES9_SI_JZNS1_25segmented_radix_sort_implINS0_14default_configELb0EPKsPsPKlPlN2at6native12_GLOBAL__N_18offset_tEEE10hipError_tPvRmT1_PNSt15iterator_traitsIS12_E10value_typeET2_T3_PNS13_IS18_E10value_typeET4_jRbjT5_S1E_jjP12ihipStream_tbEUljE_ZNSN_ISO_Lb0ESQ_SR_ST_SU_SY_EESZ_S10_S11_S12_S16_S17_S18_S1B_S1C_jS1D_jS1E_S1E_jjS1G_bEUljE0_EEESZ_S10_S11_S18_S1C_S1E_T6_T7_T9_mT8_S1G_bDpT10_ENKUlT_T0_E_clISt17integral_constantIbLb0EES1U_EEDaS1P_S1Q_EUlS1P_E_NS1_11comp_targetILNS1_3genE5ELNS1_11target_archE942ELNS1_3gpuE9ELNS1_3repE0EEENS1_30default_config_static_selectorELNS0_4arch9wavefront6targetE1EEEvS12_
                                        ; -- End function
	.section	.AMDGPU.csdata,"",@progbits
; Kernel info:
; codeLenInByte = 0
; NumSgprs: 4
; NumVgprs: 0
; NumAgprs: 0
; TotalNumVgprs: 0
; ScratchSize: 0
; MemoryBound: 0
; FloatMode: 240
; IeeeMode: 1
; LDSByteSize: 0 bytes/workgroup (compile time only)
; SGPRBlocks: 0
; VGPRBlocks: 0
; NumSGPRsForWavesPerEU: 4
; NumVGPRsForWavesPerEU: 1
; AccumOffset: 4
; Occupancy: 8
; WaveLimiterHint : 0
; COMPUTE_PGM_RSRC2:SCRATCH_EN: 0
; COMPUTE_PGM_RSRC2:USER_SGPR: 6
; COMPUTE_PGM_RSRC2:TRAP_HANDLER: 0
; COMPUTE_PGM_RSRC2:TGID_X_EN: 1
; COMPUTE_PGM_RSRC2:TGID_Y_EN: 0
; COMPUTE_PGM_RSRC2:TGID_Z_EN: 0
; COMPUTE_PGM_RSRC2:TIDIG_COMP_CNT: 0
; COMPUTE_PGM_RSRC3_GFX90A:ACCUM_OFFSET: 0
; COMPUTE_PGM_RSRC3_GFX90A:TG_SPLIT: 0
	.section	.text._ZN7rocprim17ROCPRIM_400000_NS6detail17trampoline_kernelINS0_13select_configILj256ELj13ELNS0_17block_load_methodE3ELS4_3ELS4_3ELNS0_20block_scan_algorithmE0ELj4294967295EEENS1_25partition_config_selectorILNS1_17partition_subalgoE4EjNS0_10empty_typeEbEEZZNS1_14partition_implILS8_4ELb0ES6_15HIP_vector_typeIjLj2EENS0_17counting_iteratorIjlEEPS9_SG_NS0_5tupleIJPjSI_NS0_16reverse_iteratorISI_EEEEENSH_IJSG_SG_SG_EEES9_SI_JZNS1_25segmented_radix_sort_implINS0_14default_configELb0EPKsPsPKlPlN2at6native12_GLOBAL__N_18offset_tEEE10hipError_tPvRmT1_PNSt15iterator_traitsIS12_E10value_typeET2_T3_PNS13_IS18_E10value_typeET4_jRbjT5_S1E_jjP12ihipStream_tbEUljE_ZNSN_ISO_Lb0ESQ_SR_ST_SU_SY_EESZ_S10_S11_S12_S16_S17_S18_S1B_S1C_jS1D_jS1E_S1E_jjS1G_bEUljE0_EEESZ_S10_S11_S18_S1C_S1E_T6_T7_T9_mT8_S1G_bDpT10_ENKUlT_T0_E_clISt17integral_constantIbLb0EES1U_EEDaS1P_S1Q_EUlS1P_E_NS1_11comp_targetILNS1_3genE4ELNS1_11target_archE910ELNS1_3gpuE8ELNS1_3repE0EEENS1_30default_config_static_selectorELNS0_4arch9wavefront6targetE1EEEvS12_,"axG",@progbits,_ZN7rocprim17ROCPRIM_400000_NS6detail17trampoline_kernelINS0_13select_configILj256ELj13ELNS0_17block_load_methodE3ELS4_3ELS4_3ELNS0_20block_scan_algorithmE0ELj4294967295EEENS1_25partition_config_selectorILNS1_17partition_subalgoE4EjNS0_10empty_typeEbEEZZNS1_14partition_implILS8_4ELb0ES6_15HIP_vector_typeIjLj2EENS0_17counting_iteratorIjlEEPS9_SG_NS0_5tupleIJPjSI_NS0_16reverse_iteratorISI_EEEEENSH_IJSG_SG_SG_EEES9_SI_JZNS1_25segmented_radix_sort_implINS0_14default_configELb0EPKsPsPKlPlN2at6native12_GLOBAL__N_18offset_tEEE10hipError_tPvRmT1_PNSt15iterator_traitsIS12_E10value_typeET2_T3_PNS13_IS18_E10value_typeET4_jRbjT5_S1E_jjP12ihipStream_tbEUljE_ZNSN_ISO_Lb0ESQ_SR_ST_SU_SY_EESZ_S10_S11_S12_S16_S17_S18_S1B_S1C_jS1D_jS1E_S1E_jjS1G_bEUljE0_EEESZ_S10_S11_S18_S1C_S1E_T6_T7_T9_mT8_S1G_bDpT10_ENKUlT_T0_E_clISt17integral_constantIbLb0EES1U_EEDaS1P_S1Q_EUlS1P_E_NS1_11comp_targetILNS1_3genE4ELNS1_11target_archE910ELNS1_3gpuE8ELNS1_3repE0EEENS1_30default_config_static_selectorELNS0_4arch9wavefront6targetE1EEEvS12_,comdat
	.globl	_ZN7rocprim17ROCPRIM_400000_NS6detail17trampoline_kernelINS0_13select_configILj256ELj13ELNS0_17block_load_methodE3ELS4_3ELS4_3ELNS0_20block_scan_algorithmE0ELj4294967295EEENS1_25partition_config_selectorILNS1_17partition_subalgoE4EjNS0_10empty_typeEbEEZZNS1_14partition_implILS8_4ELb0ES6_15HIP_vector_typeIjLj2EENS0_17counting_iteratorIjlEEPS9_SG_NS0_5tupleIJPjSI_NS0_16reverse_iteratorISI_EEEEENSH_IJSG_SG_SG_EEES9_SI_JZNS1_25segmented_radix_sort_implINS0_14default_configELb0EPKsPsPKlPlN2at6native12_GLOBAL__N_18offset_tEEE10hipError_tPvRmT1_PNSt15iterator_traitsIS12_E10value_typeET2_T3_PNS13_IS18_E10value_typeET4_jRbjT5_S1E_jjP12ihipStream_tbEUljE_ZNSN_ISO_Lb0ESQ_SR_ST_SU_SY_EESZ_S10_S11_S12_S16_S17_S18_S1B_S1C_jS1D_jS1E_S1E_jjS1G_bEUljE0_EEESZ_S10_S11_S18_S1C_S1E_T6_T7_T9_mT8_S1G_bDpT10_ENKUlT_T0_E_clISt17integral_constantIbLb0EES1U_EEDaS1P_S1Q_EUlS1P_E_NS1_11comp_targetILNS1_3genE4ELNS1_11target_archE910ELNS1_3gpuE8ELNS1_3repE0EEENS1_30default_config_static_selectorELNS0_4arch9wavefront6targetE1EEEvS12_ ; -- Begin function _ZN7rocprim17ROCPRIM_400000_NS6detail17trampoline_kernelINS0_13select_configILj256ELj13ELNS0_17block_load_methodE3ELS4_3ELS4_3ELNS0_20block_scan_algorithmE0ELj4294967295EEENS1_25partition_config_selectorILNS1_17partition_subalgoE4EjNS0_10empty_typeEbEEZZNS1_14partition_implILS8_4ELb0ES6_15HIP_vector_typeIjLj2EENS0_17counting_iteratorIjlEEPS9_SG_NS0_5tupleIJPjSI_NS0_16reverse_iteratorISI_EEEEENSH_IJSG_SG_SG_EEES9_SI_JZNS1_25segmented_radix_sort_implINS0_14default_configELb0EPKsPsPKlPlN2at6native12_GLOBAL__N_18offset_tEEE10hipError_tPvRmT1_PNSt15iterator_traitsIS12_E10value_typeET2_T3_PNS13_IS18_E10value_typeET4_jRbjT5_S1E_jjP12ihipStream_tbEUljE_ZNSN_ISO_Lb0ESQ_SR_ST_SU_SY_EESZ_S10_S11_S12_S16_S17_S18_S1B_S1C_jS1D_jS1E_S1E_jjS1G_bEUljE0_EEESZ_S10_S11_S18_S1C_S1E_T6_T7_T9_mT8_S1G_bDpT10_ENKUlT_T0_E_clISt17integral_constantIbLb0EES1U_EEDaS1P_S1Q_EUlS1P_E_NS1_11comp_targetILNS1_3genE4ELNS1_11target_archE910ELNS1_3gpuE8ELNS1_3repE0EEENS1_30default_config_static_selectorELNS0_4arch9wavefront6targetE1EEEvS12_
	.p2align	8
	.type	_ZN7rocprim17ROCPRIM_400000_NS6detail17trampoline_kernelINS0_13select_configILj256ELj13ELNS0_17block_load_methodE3ELS4_3ELS4_3ELNS0_20block_scan_algorithmE0ELj4294967295EEENS1_25partition_config_selectorILNS1_17partition_subalgoE4EjNS0_10empty_typeEbEEZZNS1_14partition_implILS8_4ELb0ES6_15HIP_vector_typeIjLj2EENS0_17counting_iteratorIjlEEPS9_SG_NS0_5tupleIJPjSI_NS0_16reverse_iteratorISI_EEEEENSH_IJSG_SG_SG_EEES9_SI_JZNS1_25segmented_radix_sort_implINS0_14default_configELb0EPKsPsPKlPlN2at6native12_GLOBAL__N_18offset_tEEE10hipError_tPvRmT1_PNSt15iterator_traitsIS12_E10value_typeET2_T3_PNS13_IS18_E10value_typeET4_jRbjT5_S1E_jjP12ihipStream_tbEUljE_ZNSN_ISO_Lb0ESQ_SR_ST_SU_SY_EESZ_S10_S11_S12_S16_S17_S18_S1B_S1C_jS1D_jS1E_S1E_jjS1G_bEUljE0_EEESZ_S10_S11_S18_S1C_S1E_T6_T7_T9_mT8_S1G_bDpT10_ENKUlT_T0_E_clISt17integral_constantIbLb0EES1U_EEDaS1P_S1Q_EUlS1P_E_NS1_11comp_targetILNS1_3genE4ELNS1_11target_archE910ELNS1_3gpuE8ELNS1_3repE0EEENS1_30default_config_static_selectorELNS0_4arch9wavefront6targetE1EEEvS12_,@function
_ZN7rocprim17ROCPRIM_400000_NS6detail17trampoline_kernelINS0_13select_configILj256ELj13ELNS0_17block_load_methodE3ELS4_3ELS4_3ELNS0_20block_scan_algorithmE0ELj4294967295EEENS1_25partition_config_selectorILNS1_17partition_subalgoE4EjNS0_10empty_typeEbEEZZNS1_14partition_implILS8_4ELb0ES6_15HIP_vector_typeIjLj2EENS0_17counting_iteratorIjlEEPS9_SG_NS0_5tupleIJPjSI_NS0_16reverse_iteratorISI_EEEEENSH_IJSG_SG_SG_EEES9_SI_JZNS1_25segmented_radix_sort_implINS0_14default_configELb0EPKsPsPKlPlN2at6native12_GLOBAL__N_18offset_tEEE10hipError_tPvRmT1_PNSt15iterator_traitsIS12_E10value_typeET2_T3_PNS13_IS18_E10value_typeET4_jRbjT5_S1E_jjP12ihipStream_tbEUljE_ZNSN_ISO_Lb0ESQ_SR_ST_SU_SY_EESZ_S10_S11_S12_S16_S17_S18_S1B_S1C_jS1D_jS1E_S1E_jjS1G_bEUljE0_EEESZ_S10_S11_S18_S1C_S1E_T6_T7_T9_mT8_S1G_bDpT10_ENKUlT_T0_E_clISt17integral_constantIbLb0EES1U_EEDaS1P_S1Q_EUlS1P_E_NS1_11comp_targetILNS1_3genE4ELNS1_11target_archE910ELNS1_3gpuE8ELNS1_3repE0EEENS1_30default_config_static_selectorELNS0_4arch9wavefront6targetE1EEEvS12_: ; @_ZN7rocprim17ROCPRIM_400000_NS6detail17trampoline_kernelINS0_13select_configILj256ELj13ELNS0_17block_load_methodE3ELS4_3ELS4_3ELNS0_20block_scan_algorithmE0ELj4294967295EEENS1_25partition_config_selectorILNS1_17partition_subalgoE4EjNS0_10empty_typeEbEEZZNS1_14partition_implILS8_4ELb0ES6_15HIP_vector_typeIjLj2EENS0_17counting_iteratorIjlEEPS9_SG_NS0_5tupleIJPjSI_NS0_16reverse_iteratorISI_EEEEENSH_IJSG_SG_SG_EEES9_SI_JZNS1_25segmented_radix_sort_implINS0_14default_configELb0EPKsPsPKlPlN2at6native12_GLOBAL__N_18offset_tEEE10hipError_tPvRmT1_PNSt15iterator_traitsIS12_E10value_typeET2_T3_PNS13_IS18_E10value_typeET4_jRbjT5_S1E_jjP12ihipStream_tbEUljE_ZNSN_ISO_Lb0ESQ_SR_ST_SU_SY_EESZ_S10_S11_S12_S16_S17_S18_S1B_S1C_jS1D_jS1E_S1E_jjS1G_bEUljE0_EEESZ_S10_S11_S18_S1C_S1E_T6_T7_T9_mT8_S1G_bDpT10_ENKUlT_T0_E_clISt17integral_constantIbLb0EES1U_EEDaS1P_S1Q_EUlS1P_E_NS1_11comp_targetILNS1_3genE4ELNS1_11target_archE910ELNS1_3gpuE8ELNS1_3repE0EEENS1_30default_config_static_selectorELNS0_4arch9wavefront6targetE1EEEvS12_
; %bb.0:
	s_load_dwordx2 s[0:1], s[4:5], 0x68
	s_load_dword s7, s[4:5], 0x8
	s_load_dwordx2 s[56:57], s[4:5], 0x10
	s_load_dwordx4 s[44:47], s[4:5], 0x58
	s_mul_i32 s33, s6, 0xd00
	s_waitcnt lgkmcnt(0)
	v_mov_b32_e32 v3, s1
	v_mov_b32_e32 v2, s0
	s_load_dword s1, s[4:5], 0x80
	s_load_dwordx2 s[60:61], s[4:5], 0xa8
	s_load_dwordx8 s[36:43], s[4:5], 0x88
	s_load_dwordx4 s[48:51], s[46:47], 0x0
	s_waitcnt lgkmcnt(0)
	s_add_i32 s8, s1, -1
	s_mulk_i32 s1, 0xd00
	s_add_u32 s2, s56, s1
	s_addc_u32 s3, s57, 0
	s_cmp_eq_u32 s6, s8
	s_cselect_b64 s[30:31], -1, 0
	s_cmp_lg_u32 s6, s8
	v_cmp_lt_u64_e32 vcc, s[2:3], v[2:3]
	s_cselect_b64 s[2:3], -1, 0
	s_add_i32 s7, s7, s33
	s_or_b64 s[2:3], s[2:3], vcc
	s_add_i32 s7, s7, s56
	v_add_u32_e32 v1, s7, v0
	s_mov_b64 s[8:9], -1
	s_and_b64 vcc, exec, s[2:3]
	s_cbranch_vccz .LBB951_2
; %bb.1:
	v_add_u32_e32 v2, 0x100, v1
	v_lshlrev_b32_e32 v14, 2, v0
	v_add_u32_e32 v3, 0x200, v1
	v_add_u32_e32 v4, 0x300, v1
	;; [unrolled: 1-line block ×11, first 2 shown]
	ds_write2st64_b32 v14, v1, v2 offset1:4
	ds_write2st64_b32 v14, v3, v4 offset0:8 offset1:12
	ds_write2st64_b32 v14, v5, v6 offset0:16 offset1:20
	;; [unrolled: 1-line block ×5, first 2 shown]
	ds_write_b32 v14, v13 offset:12288
	s_waitcnt lgkmcnt(0)
	s_barrier
	s_mov_b64 s[8:9], 0
.LBB951_2:
	s_andn2_b64 vcc, exec, s[8:9]
	s_add_i32 s1, s1, s56
	s_cbranch_vccnz .LBB951_4
; %bb.3:
	v_add_u32_e32 v2, 0x100, v1
	v_lshlrev_b32_e32 v14, 2, v0
	v_add_u32_e32 v3, 0x200, v1
	v_add_u32_e32 v4, 0x300, v1
	;; [unrolled: 1-line block ×11, first 2 shown]
	ds_write2st64_b32 v14, v1, v2 offset1:4
	ds_write2st64_b32 v14, v3, v4 offset0:8 offset1:12
	ds_write2st64_b32 v14, v5, v6 offset0:16 offset1:20
	;; [unrolled: 1-line block ×5, first 2 shown]
	ds_write_b32 v14, v13 offset:12288
	s_waitcnt lgkmcnt(0)
	s_barrier
.LBB951_4:
	v_mul_u32_u24_e32 v31, 13, v0
	v_lshlrev_b32_e32 v1, 2, v31
	s_load_dwordx4 s[52:55], s[4:5], 0x28
	s_load_dwordx2 s[34:35], s[4:5], 0x38
	s_waitcnt lgkmcnt(0)
	ds_read2_b32 v[18:19], v1 offset1:1
	ds_read2_b32 v[16:17], v1 offset0:2 offset1:3
	ds_read2_b32 v[14:15], v1 offset0:4 offset1:5
	;; [unrolled: 1-line block ×5, first 2 shown]
	ds_read_b32 v30, v1 offset:48
	v_cndmask_b32_e64 v1, 0, 1, s[2:3]
	s_sub_i32 s7, s0, s1
	v_cmp_ne_u32_e64 s[0:1], 1, v1
	s_andn2_b64 vcc, exec, s[2:3]
	s_waitcnt lgkmcnt(0)
	s_barrier
	s_cbranch_vccnz .LBB951_32
; %bb.5:
	v_add_u32_e32 v1, s37, v18
	v_add_u32_e32 v2, s39, v18
	v_mul_lo_u32 v1, v1, s36
	v_mul_lo_u32 v2, v2, s38
	v_sub_u32_e32 v1, v1, v2
	v_cmp_lt_u32_e32 vcc, s40, v1
	v_cmp_ge_u32_e64 s[2:3], s40, v1
	s_mov_b64 s[64:65], 0
	s_mov_b64 s[62:63], 0
	s_and_saveexec_b64 s[8:9], s[2:3]
; %bb.6:
	v_add_u32_e32 v1, s42, v18
	v_add_u32_e32 v2, s60, v18
	v_mul_lo_u32 v1, v1, s41
	v_mul_lo_u32 v2, v2, s43
	v_sub_u32_e32 v1, v1, v2
	v_cmp_lt_u32_e64 s[2:3], s61, v1
	s_and_b64 s[62:63], s[2:3], exec
; %bb.7:
	s_or_b64 exec, exec, s[8:9]
	v_add_u32_e32 v1, s37, v19
	v_add_u32_e32 v2, s39, v19
	v_mul_lo_u32 v1, v1, s36
	v_mul_lo_u32 v2, v2, s38
	v_sub_u32_e32 v1, v1, v2
	v_cmp_lt_u32_e64 s[2:3], s40, v1
	v_cmp_ge_u32_e64 s[8:9], s40, v1
	s_and_saveexec_b64 s[10:11], s[8:9]
; %bb.8:
	v_add_u32_e32 v1, s42, v19
	v_add_u32_e32 v2, s60, v19
	v_mul_lo_u32 v1, v1, s41
	v_mul_lo_u32 v2, v2, s43
	v_sub_u32_e32 v1, v1, v2
	v_cmp_lt_u32_e64 s[8:9], s61, v1
	s_and_b64 s[64:65], s[8:9], exec
; %bb.9:
	s_or_b64 exec, exec, s[10:11]
	v_add_u32_e32 v1, s37, v16
	v_add_u32_e32 v2, s39, v16
	v_mul_lo_u32 v1, v1, s36
	v_mul_lo_u32 v2, v2, s38
	v_sub_u32_e32 v1, v1, v2
	v_cmp_lt_u32_e64 s[26:27], s40, v1
	v_cmp_ge_u32_e64 s[8:9], s40, v1
	s_mov_b64 s[68:69], 0
	s_mov_b64 s[66:67], 0
	s_and_saveexec_b64 s[10:11], s[8:9]
; %bb.10:
	v_add_u32_e32 v1, s42, v16
	v_add_u32_e32 v2, s60, v16
	v_mul_lo_u32 v1, v1, s41
	v_mul_lo_u32 v2, v2, s43
	v_sub_u32_e32 v1, v1, v2
	v_cmp_lt_u32_e64 s[8:9], s61, v1
	s_and_b64 s[66:67], s[8:9], exec
; %bb.11:
	s_or_b64 exec, exec, s[10:11]
	v_add_u32_e32 v1, s37, v17
	v_add_u32_e32 v2, s39, v17
	v_mul_lo_u32 v1, v1, s36
	v_mul_lo_u32 v2, v2, s38
	v_sub_u32_e32 v1, v1, v2
	v_cmp_lt_u32_e64 s[8:9], s40, v1
	v_cmp_ge_u32_e64 s[10:11], s40, v1
	s_and_saveexec_b64 s[12:13], s[10:11]
; %bb.12:
	v_add_u32_e32 v1, s42, v17
	v_add_u32_e32 v2, s60, v17
	v_mul_lo_u32 v1, v1, s41
	v_mul_lo_u32 v2, v2, s43
	v_sub_u32_e32 v1, v1, v2
	v_cmp_lt_u32_e64 s[10:11], s61, v1
	s_and_b64 s[68:69], s[10:11], exec
; %bb.13:
	s_or_b64 exec, exec, s[12:13]
	v_add_u32_e32 v1, s37, v14
	v_add_u32_e32 v2, s39, v14
	v_mul_lo_u32 v1, v1, s36
	v_mul_lo_u32 v2, v2, s38
	v_sub_u32_e32 v1, v1, v2
	v_cmp_lt_u32_e64 s[10:11], s40, v1
	;; [unrolled: 38-line block ×5, first 2 shown]
	v_cmp_ge_u32_e64 s[24:25], s40, v1
	s_mov_b64 s[84:85], 0
	s_mov_b64 s[86:87], 0
	s_and_saveexec_b64 s[28:29], s[24:25]
; %bb.26:
	v_add_u32_e32 v1, s42, v8
	v_add_u32_e32 v2, s60, v8
	v_mul_lo_u32 v1, v1, s41
	v_mul_lo_u32 v2, v2, s43
	v_sub_u32_e32 v1, v1, v2
	v_cmp_lt_u32_e64 s[24:25], s61, v1
	s_and_b64 s[86:87], s[24:25], exec
; %bb.27:
	s_or_b64 exec, exec, s[28:29]
	v_add_u32_e32 v1, s37, v9
	v_add_u32_e32 v2, s39, v9
	v_mul_lo_u32 v1, v1, s36
	v_mul_lo_u32 v2, v2, s38
	v_sub_u32_e32 v1, v1, v2
	v_cmp_lt_u32_e64 s[24:25], s40, v1
	v_cmp_ge_u32_e64 s[28:29], s40, v1
	s_and_saveexec_b64 s[46:47], s[28:29]
; %bb.28:
	v_add_u32_e32 v1, s42, v9
	v_add_u32_e32 v2, s60, v9
	v_mul_lo_u32 v1, v1, s41
	v_mul_lo_u32 v2, v2, s43
	v_sub_u32_e32 v1, v1, v2
	v_cmp_lt_u32_e64 s[28:29], s61, v1
	s_and_b64 s[84:85], s[28:29], exec
; %bb.29:
	s_or_b64 exec, exec, s[46:47]
	v_add_u32_e32 v1, s37, v30
	v_add_u32_e32 v2, s39, v30
	v_mul_lo_u32 v1, v1, s36
	v_mul_lo_u32 v2, v2, s38
	v_sub_u32_e32 v1, v1, v2
	v_cmp_ge_u32_e64 s[28:29], s40, v1
	s_mov_b64 s[46:47], -1
	s_mov_b64 s[78:79], 0
	s_mov_b64 s[58:59], 0
	s_and_saveexec_b64 s[88:89], s[28:29]
; %bb.30:
	v_add_u32_e32 v1, s42, v30
	v_add_u32_e32 v2, s60, v30
	v_mul_lo_u32 v1, v1, s41
	v_mul_lo_u32 v2, v2, s43
	v_sub_u32_e32 v1, v1, v2
	v_cmp_lt_u32_e64 s[28:29], s61, v1
	s_and_b64 s[58:59], s[28:29], exec
	s_xor_b64 s[46:47], exec, -1
; %bb.31:
	s_or_b64 exec, exec, s[88:89]
	v_cndmask_b32_e64 v52, 0, 1, s[86:87]
	v_cndmask_b32_e64 v55, 0, 1, s[24:25]
	;; [unrolled: 1-line block ×22, first 2 shown]
	v_cndmask_b32_e64 v32, 0, 1, vcc
	v_cndmask_b32_e64 v54, 0, 1, s[84:85]
	s_load_dwordx2 s[12:13], s[4:5], 0x78
	s_add_i32 s18, s7, 0xd00
	s_and_b64 vcc, exec, s[78:79]
	s_cbranch_vccnz .LBB951_33
	s_branch .LBB951_86
.LBB951_32:
                                        ; implicit-def: $sgpr46_sgpr47
                                        ; implicit-def: $sgpr58_sgpr59
                                        ; implicit-def: $vgpr54
                                        ; implicit-def: $vgpr52
                                        ; implicit-def: $vgpr50
                                        ; implicit-def: $vgpr48
                                        ; implicit-def: $vgpr46
                                        ; implicit-def: $vgpr44
                                        ; implicit-def: $vgpr42
                                        ; implicit-def: $vgpr40
                                        ; implicit-def: $vgpr38
                                        ; implicit-def: $vgpr32
                                        ; implicit-def: $vgpr34
                                        ; implicit-def: $vgpr36
                                        ; implicit-def: $vgpr39
                                        ; implicit-def: $vgpr41
                                        ; implicit-def: $vgpr43
                                        ; implicit-def: $vgpr45
                                        ; implicit-def: $vgpr47
                                        ; implicit-def: $vgpr49
                                        ; implicit-def: $vgpr51
                                        ; implicit-def: $vgpr53
                                        ; implicit-def: $vgpr55
                                        ; implicit-def: $vgpr33
                                        ; implicit-def: $vgpr35
                                        ; implicit-def: $vgpr37
	s_load_dwordx2 s[12:13], s[4:5], 0x78
	s_add_i32 s18, s7, 0xd00
	s_cbranch_execz .LBB951_86
.LBB951_33:
	v_cmp_gt_u32_e32 vcc, s18, v31
	v_mov_b32_e32 v33, 0
	v_mov_b32_e32 v32, 0
	s_and_saveexec_b64 s[4:5], vcc
	s_cbranch_execz .LBB951_37
; %bb.34:
	v_add_u32_e32 v1, s37, v18
	v_add_u32_e32 v2, s39, v18
	v_mul_lo_u32 v1, v1, s36
	v_mul_lo_u32 v2, v2, s38
	v_sub_u32_e32 v1, v1, v2
	v_cmp_lt_u32_e32 vcc, s40, v1
	v_cmp_ge_u32_e64 s[2:3], s40, v1
	s_mov_b64 s[10:11], 0
	s_and_saveexec_b64 s[8:9], s[2:3]
; %bb.35:
	v_add_u32_e32 v1, s42, v18
	v_add_u32_e32 v2, s60, v18
	v_mul_lo_u32 v1, v1, s41
	v_mul_lo_u32 v2, v2, s43
	v_sub_u32_e32 v1, v1, v2
	v_cmp_lt_u32_e64 s[2:3], s61, v1
	s_and_b64 s[10:11], s[2:3], exec
; %bb.36:
	s_or_b64 exec, exec, s[8:9]
	v_cndmask_b32_e64 v32, 0, 1, vcc
	v_cndmask_b32_e64 v33, 0, 1, s[10:11]
.LBB951_37:
	s_or_b64 exec, exec, s[4:5]
	v_add_u32_e32 v1, 1, v31
	v_cmp_gt_u32_e32 vcc, s18, v1
	v_mov_b32_e32 v34, 0
	v_mov_b32_e32 v35, 0
	s_and_saveexec_b64 s[4:5], vcc
	s_cbranch_execz .LBB951_41
; %bb.38:
	v_add_u32_e32 v1, s37, v19
	v_add_u32_e32 v2, s39, v19
	v_mul_lo_u32 v1, v1, s36
	v_mul_lo_u32 v2, v2, s38
	v_sub_u32_e32 v1, v1, v2
	v_cmp_lt_u32_e32 vcc, s40, v1
	v_cmp_ge_u32_e64 s[2:3], s40, v1
	s_mov_b64 s[10:11], 0
	s_and_saveexec_b64 s[8:9], s[2:3]
; %bb.39:
	v_add_u32_e32 v1, s42, v19
	v_add_u32_e32 v2, s60, v19
	v_mul_lo_u32 v1, v1, s41
	v_mul_lo_u32 v2, v2, s43
	v_sub_u32_e32 v1, v1, v2
	v_cmp_lt_u32_e64 s[2:3], s61, v1
	s_and_b64 s[10:11], s[2:3], exec
; %bb.40:
	s_or_b64 exec, exec, s[8:9]
	v_cndmask_b32_e64 v34, 0, 1, vcc
	v_cndmask_b32_e64 v35, 0, 1, s[10:11]
.LBB951_41:
	s_or_b64 exec, exec, s[4:5]
	v_add_u32_e32 v1, 2, v31
	;; [unrolled: 30-line block ×12, first 2 shown]
	v_cmp_gt_u32_e32 vcc, s18, v1
	s_mov_b64 s[46:47], 0
	s_mov_b64 s[58:59], 0
	s_and_saveexec_b64 s[2:3], vcc
	s_cbranch_execz .LBB951_85
; %bb.82:
	v_add_u32_e32 v1, s37, v30
	v_add_u32_e32 v2, s39, v30
	v_mul_lo_u32 v1, v1, s36
	v_mul_lo_u32 v2, v2, s38
	v_sub_u32_e32 v1, v1, v2
	v_cmp_ge_u32_e32 vcc, s40, v1
	s_mov_b64 s[8:9], -1
	s_mov_b64 s[10:11], 0
	s_and_saveexec_b64 s[4:5], vcc
; %bb.83:
	v_add_u32_e32 v1, s42, v30
	v_add_u32_e32 v2, s60, v30
	v_mul_lo_u32 v1, v1, s41
	v_mul_lo_u32 v2, v2, s43
	v_sub_u32_e32 v1, v1, v2
	v_cmp_lt_u32_e32 vcc, s61, v1
	s_and_b64 s[10:11], vcc, exec
	s_xor_b64 s[8:9], exec, -1
; %bb.84:
	s_or_b64 exec, exec, s[4:5]
	s_and_b64 s[58:59], s[10:11], exec
	s_and_b64 s[46:47], s[8:9], exec
.LBB951_85:
	s_or_b64 exec, exec, s[2:3]
.LBB951_86:
	v_and_b32_e32 v63, 0xff, v33
	v_and_b32_e32 v74, 0xff, v35
	;; [unrolled: 1-line block ×5, first 2 shown]
	v_add3_u32 v2, v74, v65, v63
	v_and_b32_e32 v76, 0xff, v42
	v_and_b32_e32 v69, 0xff, v44
	v_add3_u32 v2, v2, v75, v67
	v_and_b32_e32 v62, 0xff, v32
	v_and_b32_e32 v56, 0xff, v34
	;; [unrolled: 1-line block ×5, first 2 shown]
	v_add3_u32 v2, v2, v76, v69
	v_and_b32_e32 v57, 0xff, v39
	v_and_b32_e32 v66, 0xff, v41
	;; [unrolled: 1-line block ×4, first 2 shown]
	v_add3_u32 v3, v56, v64, v62
	v_add3_u32 v2, v2, v77, v71
	v_and_b32_e32 v58, 0xff, v43
	v_and_b32_e32 v68, 0xff, v45
	;; [unrolled: 1-line block ×3, first 2 shown]
	v_cndmask_b32_e64 v1, 0, 1, s[58:59]
	v_add3_u32 v3, v3, v57, v66
	v_add3_u32 v2, v2, v78, v73
	v_and_b32_e32 v59, 0xff, v47
	v_and_b32_e32 v70, 0xff, v49
	v_add3_u32 v3, v3, v58, v68
	v_add3_u32 v86, v2, v79, v1
	v_mbcnt_lo_u32_b32 v1, -1, 0
	v_and_b32_e32 v60, 0xff, v51
	v_and_b32_e32 v72, 0xff, v53
	v_add3_u32 v3, v3, v59, v70
	v_mbcnt_hi_u32_b32 v80, -1, v1
	v_and_b32_e32 v61, 0xff, v55
	v_add3_u32 v3, v3, v60, v72
	v_cndmask_b32_e64 v4, 0, 1, s[46:47]
	v_and_b32_e32 v84, 15, v80
	s_cmp_lg_u32 s6, 0
	v_add3_u32 v85, v3, v61, v4
	v_cmp_eq_u32_e64 s[4:5], 0, v84
	v_cmp_lt_u32_e64 s[2:3], 1, v84
	v_cmp_lt_u32_e64 s[8:9], 3, v84
	;; [unrolled: 1-line block ×3, first 2 shown]
	v_and_b32_e32 v83, 16, v80
	v_cmp_lt_u32_e32 vcc, 31, v80
	v_lshrrev_b32_e32 v81, 6, v0
	v_or_b32_e32 v82, 63, v0
	s_cbranch_scc0 .LBB951_115
; %bb.87:
	v_mov_b32_dpp v1, v85 row_shr:1 row_mask:0xf bank_mask:0xf
	v_mov_b32_dpp v2, v86 row_shr:1 row_mask:0xf bank_mask:0xf
	v_add_u32_e32 v1, v1, v85
	v_add_u32_e32 v2, v2, v86
	v_cndmask_b32_e64 v2, v2, v86, s[4:5]
	v_cndmask_b32_e64 v1, v1, v85, s[4:5]
	s_nop 0
	v_mov_b32_dpp v4, v2 row_shr:2 row_mask:0xf bank_mask:0xf
	v_mov_b32_dpp v3, v1 row_shr:2 row_mask:0xf bank_mask:0xf
	v_add_u32_e32 v3, v1, v3
	v_add_u32_e32 v4, v2, v4
	v_cndmask_b32_e64 v2, v2, v4, s[2:3]
	v_cndmask_b32_e64 v1, v1, v3, s[2:3]
	s_nop 0
	v_mov_b32_dpp v4, v2 row_shr:4 row_mask:0xf bank_mask:0xf
	v_mov_b32_dpp v3, v1 row_shr:4 row_mask:0xf bank_mask:0xf
	v_add_u32_e32 v3, v1, v3
	v_add_u32_e32 v4, v2, v4
	v_cndmask_b32_e64 v2, v2, v4, s[8:9]
	v_cndmask_b32_e64 v1, v1, v3, s[8:9]
	v_cmp_eq_u32_e64 s[8:9], 0, v83
	v_mov_b32_dpp v4, v2 row_shr:8 row_mask:0xf bank_mask:0xf
	v_mov_b32_dpp v3, v1 row_shr:8 row_mask:0xf bank_mask:0xf
	v_add_u32_e32 v3, v1, v3
	v_add_u32_e32 v4, v2, v4
	v_cndmask_b32_e64 v2, v2, v4, s[10:11]
	v_cndmask_b32_e64 v1, v1, v3, s[10:11]
	s_nop 0
	v_mov_b32_dpp v4, v2 row_bcast:15 row_mask:0xf bank_mask:0xf
	v_mov_b32_dpp v3, v1 row_bcast:15 row_mask:0xf bank_mask:0xf
	v_add_u32_e32 v3, v1, v3
	v_add_u32_e32 v4, v2, v4
	v_cndmask_b32_e64 v2, v4, v2, s[8:9]
	v_cndmask_b32_e64 v1, v3, v1, s[8:9]
	s_nop 0
	v_mov_b32_dpp v4, v2 row_bcast:31 row_mask:0xf bank_mask:0xf
	v_mov_b32_dpp v3, v1 row_bcast:31 row_mask:0xf bank_mask:0xf
	v_add_u32_e32 v4, v2, v4
	v_add_u32_e32 v5, v1, v3
	v_cndmask_b32_e32 v3, v2, v4, vcc
	v_cndmask_b32_e32 v2, v1, v5, vcc
	v_cmp_eq_u32_e32 vcc, v82, v0
	s_and_saveexec_b64 s[8:9], vcc
	s_cbranch_execz .LBB951_89
; %bb.88:
	v_lshlrev_b32_e32 v1, 3, v81
	ds_write_b64 v1, v[2:3]
.LBB951_89:
	s_or_b64 exec, exec, s[8:9]
	v_cmp_gt_u32_e32 vcc, 4, v0
	s_waitcnt lgkmcnt(0)
	s_barrier
	s_and_saveexec_b64 s[8:9], vcc
	s_cbranch_execz .LBB951_91
; %bb.90:
	v_lshlrev_b32_e32 v1, 3, v0
	ds_read_b64 v[4:5], v1
	v_and_b32_e32 v6, 3, v80
	v_cmp_eq_u32_e32 vcc, 0, v6
	s_waitcnt lgkmcnt(0)
	v_mov_b32_dpp v7, v4 row_shr:1 row_mask:0xf bank_mask:0xf
	v_mov_b32_dpp v20, v5 row_shr:1 row_mask:0xf bank_mask:0xf
	v_add_u32_e32 v7, v7, v4
	v_add_u32_e32 v20, v20, v5
	v_cndmask_b32_e32 v5, v20, v5, vcc
	v_cndmask_b32_e32 v4, v7, v4, vcc
	v_cmp_lt_u32_e32 vcc, 1, v6
	v_mov_b32_dpp v20, v5 row_shr:2 row_mask:0xf bank_mask:0xf
	v_mov_b32_dpp v7, v4 row_shr:2 row_mask:0xf bank_mask:0xf
	v_cndmask_b32_e32 v6, 0, v7, vcc
	v_cndmask_b32_e32 v7, 0, v20, vcc
	v_add_u32_e32 v5, v7, v5
	v_add_u32_e32 v4, v6, v4
	ds_write_b64 v1, v[4:5]
.LBB951_91:
	s_or_b64 exec, exec, s[8:9]
	v_cmp_gt_u32_e32 vcc, 64, v0
	v_cmp_lt_u32_e64 s[8:9], 63, v0
	s_waitcnt lgkmcnt(0)
	s_barrier
	s_waitcnt lgkmcnt(0)
                                        ; implicit-def: $vgpr21
	s_and_saveexec_b64 s[10:11], s[8:9]
	s_xor_b64 s[8:9], exec, s[10:11]
	s_cbranch_execz .LBB951_93
; %bb.92:
	v_lshl_add_u32 v1, v81, 3, -8
	ds_read_b64 v[20:21], v1
	s_waitcnt lgkmcnt(0)
	v_add_u32_e32 v3, v21, v3
	v_add_u32_e32 v2, v20, v2
.LBB951_93:
	s_andn2_saveexec_b64 s[8:9], s[8:9]
; %bb.94:
                                        ; implicit-def: $vgpr20
; %bb.95:
	s_or_b64 exec, exec, s[8:9]
	v_add_u32_e32 v1, -1, v80
	v_and_b32_e32 v4, 64, v80
	v_cmp_lt_i32_e64 s[8:9], v1, v4
	v_cndmask_b32_e64 v1, v1, v80, s[8:9]
	v_lshlrev_b32_e32 v4, 2, v1
	ds_bpermute_b32 v1, v4, v2
	ds_bpermute_b32 v87, v4, v3
	v_cmp_eq_u32_e64 s[8:9], 0, v80
	s_and_saveexec_b64 s[10:11], vcc
	s_cbranch_execz .LBB951_114
; %bb.96:
	v_mov_b32_e32 v7, 0
	ds_read_b64 v[22:23], v7 offset:24
	s_and_saveexec_b64 s[14:15], s[8:9]
	s_cbranch_execz .LBB951_98
; %bb.97:
	s_add_i32 s16, s6, 64
	s_mov_b32 s17, 0
	s_lshl_b64 s[16:17], s[16:17], 4
	s_waitcnt lgkmcnt(0)
	v_and_b32_e32 v2, 0xff000000, v23
	v_and_b32_e32 v3, 0xff0000, v23
	s_add_u32 s16, s12, s16
	v_or_b32_e32 v2, v3, v2
	v_and_b32_e32 v3, 0xff00, v23
	s_addc_u32 s17, s13, s17
	v_or_b32_e32 v2, v2, v3
	v_or_b32_sdwa v5, v2, v23 dst_sel:DWORD dst_unused:UNUSED_PAD src0_sel:DWORD src1_sel:BYTE_0
	v_mov_b32_e32 v6, 1
	v_mov_b32_e32 v4, v22
	v_pk_mov_b32 v[2:3], s[16:17], s[16:17] op_sel:[0,1]
	;;#ASMSTART
	global_store_dwordx4 v[2:3], v[4:7] off	
s_waitcnt vmcnt(0)
	;;#ASMEND
.LBB951_98:
	s_or_b64 exec, exec, s[14:15]
	v_xad_u32 v24, v80, -1, s6
	v_add_u32_e32 v6, 64, v24
	v_lshlrev_b64 v[2:3], 4, v[6:7]
	v_mov_b32_e32 v4, s13
	v_add_co_u32_e32 v26, vcc, s12, v2
	v_addc_co_u32_e32 v27, vcc, v4, v3, vcc
	;;#ASMSTART
	global_load_dwordx4 v[2:5], v[26:27] off glc	
s_waitcnt vmcnt(0)
	;;#ASMEND
	v_and_b32_e32 v5, 0xff, v3
	v_and_b32_e32 v6, 0xff00, v3
	v_or3_b32 v5, 0, v5, v6
	v_or3_b32 v2, v2, 0, 0
	v_and_b32_e32 v6, 0xff000000, v3
	v_and_b32_e32 v3, 0xff0000, v3
	v_or3_b32 v3, v5, v3, v6
	v_or3_b32 v2, v2, 0, 0
	v_cmp_eq_u16_sdwa s[16:17], v4, v7 src0_sel:BYTE_0 src1_sel:DWORD
	s_and_saveexec_b64 s[14:15], s[16:17]
	s_cbranch_execz .LBB951_102
; %bb.99:
	s_mov_b64 s[16:17], 0
	v_mov_b32_e32 v6, 0
.LBB951_100:                            ; =>This Inner Loop Header: Depth=1
	;;#ASMSTART
	global_load_dwordx4 v[2:5], v[26:27] off glc	
s_waitcnt vmcnt(0)
	;;#ASMEND
	v_cmp_ne_u16_sdwa s[20:21], v4, v6 src0_sel:BYTE_0 src1_sel:DWORD
	s_or_b64 s[16:17], s[20:21], s[16:17]
	s_andn2_b64 exec, exec, s[16:17]
	s_cbranch_execnz .LBB951_100
; %bb.101:
	s_or_b64 exec, exec, s[16:17]
.LBB951_102:
	s_or_b64 exec, exec, s[14:15]
	v_and_b32_e32 v89, 63, v80
	v_cmp_ne_u32_e32 vcc, 63, v89
	v_mov_b32_e32 v88, 2
	v_addc_co_u32_e32 v26, vcc, 0, v80, vcc
	v_cmp_eq_u16_sdwa s[14:15], v4, v88 src0_sel:BYTE_0 src1_sel:DWORD
	v_lshlrev_b64 v[6:7], v80, -1
	v_lshlrev_b32_e32 v90, 2, v26
	v_and_b32_e32 v5, s15, v7
	ds_bpermute_b32 v26, v90, v2
	ds_bpermute_b32 v27, v90, v3
	v_or_b32_e32 v5, 0x80000000, v5
	v_and_b32_e32 v25, s14, v6
	v_ffbl_b32_e32 v5, v5
	v_add_u32_e32 v5, 32, v5
	v_ffbl_b32_e32 v25, v25
	v_min_u32_e32 v5, v25, v5
	s_waitcnt lgkmcnt(1)
	v_add_u32_e32 v25, v26, v2
	s_waitcnt lgkmcnt(0)
	v_add_u32_e32 v26, v27, v3
	v_cmp_lt_u32_e32 vcc, v89, v5
	v_cndmask_b32_e32 v3, v3, v26, vcc
	v_cndmask_b32_e32 v2, v2, v25, vcc
	v_cmp_gt_u32_e32 vcc, 62, v89
	v_cndmask_b32_e64 v25, 0, 1, vcc
	v_lshlrev_b32_e32 v25, 1, v25
	v_add_lshl_u32 v91, v25, v80, 2
	ds_bpermute_b32 v25, v91, v2
	ds_bpermute_b32 v26, v91, v3
	v_add_u32_e32 v92, 2, v89
	v_cmp_gt_u32_e32 vcc, v92, v5
	v_add_u32_e32 v94, 4, v89
	s_waitcnt lgkmcnt(1)
	v_add_u32_e32 v25, v2, v25
	s_waitcnt lgkmcnt(0)
	v_add_u32_e32 v26, v3, v26
	v_cndmask_b32_e32 v3, v26, v3, vcc
	v_cndmask_b32_e32 v2, v25, v2, vcc
	v_cmp_gt_u32_e32 vcc, 60, v89
	v_cndmask_b32_e64 v25, 0, 1, vcc
	v_lshlrev_b32_e32 v25, 2, v25
	v_add_lshl_u32 v93, v25, v80, 2
	ds_bpermute_b32 v25, v93, v2
	ds_bpermute_b32 v26, v93, v3
	v_cmp_gt_u32_e32 vcc, v94, v5
	v_add_u32_e32 v96, 8, v89
	v_add_u32_e32 v98, 16, v89
	s_waitcnt lgkmcnt(1)
	v_add_u32_e32 v25, v2, v25
	s_waitcnt lgkmcnt(0)
	v_add_u32_e32 v26, v3, v26
	v_cndmask_b32_e32 v3, v26, v3, vcc
	v_cndmask_b32_e32 v2, v25, v2, vcc
	v_cmp_gt_u32_e32 vcc, 56, v89
	v_cndmask_b32_e64 v25, 0, 1, vcc
	v_lshlrev_b32_e32 v25, 3, v25
	v_add_lshl_u32 v95, v25, v80, 2
	ds_bpermute_b32 v25, v95, v2
	ds_bpermute_b32 v26, v95, v3
	v_cmp_gt_u32_e32 vcc, v96, v5
	v_add_u32_e32 v100, 32, v89
	s_waitcnt lgkmcnt(1)
	v_add_u32_e32 v25, v2, v25
	s_waitcnt lgkmcnt(0)
	v_add_u32_e32 v26, v3, v26
	v_cndmask_b32_e32 v3, v26, v3, vcc
	v_cndmask_b32_e32 v2, v25, v2, vcc
	v_cmp_gt_u32_e32 vcc, 48, v89
	v_cndmask_b32_e64 v25, 0, 1, vcc
	v_lshlrev_b32_e32 v25, 4, v25
	v_add_lshl_u32 v97, v25, v80, 2
	ds_bpermute_b32 v25, v97, v2
	ds_bpermute_b32 v26, v97, v3
	v_cmp_gt_u32_e32 vcc, v98, v5
	s_waitcnt lgkmcnt(1)
	v_add_u32_e32 v25, v2, v25
	s_waitcnt lgkmcnt(0)
	v_add_u32_e32 v26, v3, v26
	v_cndmask_b32_e32 v3, v26, v3, vcc
	v_cndmask_b32_e32 v2, v25, v2, vcc
	v_cmp_gt_u32_e32 vcc, 32, v89
	v_cndmask_b32_e64 v25, 0, 1, vcc
	v_lshlrev_b32_e32 v25, 5, v25
	v_add_lshl_u32 v99, v25, v80, 2
	ds_bpermute_b32 v25, v99, v2
	ds_bpermute_b32 v26, v99, v3
	v_cmp_le_u32_e32 vcc, v100, v5
	s_waitcnt lgkmcnt(1)
	v_cndmask_b32_e32 v5, 0, v25, vcc
	s_waitcnt lgkmcnt(0)
	v_cndmask_b32_e32 v25, 0, v26, vcc
	v_add_u32_e32 v3, v3, v25
	v_add_u32_e32 v2, v2, v5
	v_mov_b32_e32 v25, 0
	s_branch .LBB951_104
.LBB951_103:                            ;   in Loop: Header=BB951_104 Depth=1
	s_or_b64 exec, exec, s[14:15]
	v_cmp_eq_u16_sdwa s[14:15], v4, v88 src0_sel:BYTE_0 src1_sel:DWORD
	v_and_b32_e32 v5, s15, v7
	ds_bpermute_b32 v29, v90, v2
	ds_bpermute_b32 v101, v90, v3
	v_or_b32_e32 v5, 0x80000000, v5
	v_and_b32_e32 v28, s14, v6
	v_ffbl_b32_e32 v5, v5
	v_add_u32_e32 v5, 32, v5
	v_ffbl_b32_e32 v28, v28
	v_min_u32_e32 v5, v28, v5
	s_waitcnt lgkmcnt(1)
	v_add_u32_e32 v28, v29, v2
	s_waitcnt lgkmcnt(0)
	v_add_u32_e32 v29, v101, v3
	v_cmp_lt_u32_e32 vcc, v89, v5
	v_cndmask_b32_e32 v3, v3, v29, vcc
	v_cndmask_b32_e32 v2, v2, v28, vcc
	ds_bpermute_b32 v28, v91, v2
	ds_bpermute_b32 v29, v91, v3
	v_cmp_gt_u32_e32 vcc, v92, v5
	v_subrev_u32_e32 v24, 64, v24
	s_waitcnt lgkmcnt(1)
	v_add_u32_e32 v28, v2, v28
	s_waitcnt lgkmcnt(0)
	v_add_u32_e32 v29, v3, v29
	v_cndmask_b32_e32 v3, v29, v3, vcc
	v_cndmask_b32_e32 v2, v28, v2, vcc
	ds_bpermute_b32 v28, v93, v2
	ds_bpermute_b32 v29, v93, v3
	v_cmp_gt_u32_e32 vcc, v94, v5
	s_waitcnt lgkmcnt(1)
	v_add_u32_e32 v28, v2, v28
	s_waitcnt lgkmcnt(0)
	v_add_u32_e32 v29, v3, v29
	v_cndmask_b32_e32 v3, v29, v3, vcc
	v_cndmask_b32_e32 v2, v28, v2, vcc
	ds_bpermute_b32 v28, v95, v2
	ds_bpermute_b32 v29, v95, v3
	v_cmp_gt_u32_e32 vcc, v96, v5
	;; [unrolled: 9-line block ×3, first 2 shown]
	s_waitcnt lgkmcnt(1)
	v_add_u32_e32 v28, v2, v28
	s_waitcnt lgkmcnt(0)
	v_add_u32_e32 v29, v3, v29
	v_cndmask_b32_e32 v3, v29, v3, vcc
	v_cndmask_b32_e32 v2, v28, v2, vcc
	ds_bpermute_b32 v28, v99, v2
	ds_bpermute_b32 v29, v99, v3
	v_cmp_le_u32_e32 vcc, v100, v5
	s_waitcnt lgkmcnt(1)
	v_cndmask_b32_e32 v5, 0, v28, vcc
	s_waitcnt lgkmcnt(0)
	v_cndmask_b32_e32 v28, 0, v29, vcc
	v_add3_u32 v3, v28, v27, v3
	v_add3_u32 v2, v5, v26, v2
.LBB951_104:                            ; =>This Loop Header: Depth=1
                                        ;     Child Loop BB951_107 Depth 2
	v_cmp_ne_u16_sdwa s[14:15], v4, v88 src0_sel:BYTE_0 src1_sel:DWORD
	v_cndmask_b32_e64 v4, 0, 1, s[14:15]
	;;#ASMSTART
	;;#ASMEND
	v_cmp_ne_u32_e32 vcc, 0, v4
	s_cmp_lg_u64 vcc, exec
	v_pk_mov_b32 v[26:27], v[2:3], v[2:3] op_sel:[0,1]
	s_cbranch_scc1 .LBB951_109
; %bb.105:                              ;   in Loop: Header=BB951_104 Depth=1
	v_lshlrev_b64 v[2:3], 4, v[24:25]
	v_mov_b32_e32 v4, s13
	v_add_co_u32_e32 v28, vcc, s12, v2
	v_addc_co_u32_e32 v29, vcc, v4, v3, vcc
	;;#ASMSTART
	global_load_dwordx4 v[2:5], v[28:29] off glc	
s_waitcnt vmcnt(0)
	;;#ASMEND
	v_and_b32_e32 v5, 0xff, v3
	v_and_b32_e32 v101, 0xff00, v3
	v_or3_b32 v5, 0, v5, v101
	v_or3_b32 v2, v2, 0, 0
	v_and_b32_e32 v101, 0xff000000, v3
	v_and_b32_e32 v3, 0xff0000, v3
	v_or3_b32 v3, v5, v3, v101
	v_or3_b32 v2, v2, 0, 0
	v_cmp_eq_u16_sdwa s[16:17], v4, v25 src0_sel:BYTE_0 src1_sel:DWORD
	s_and_saveexec_b64 s[14:15], s[16:17]
	s_cbranch_execz .LBB951_103
; %bb.106:                              ;   in Loop: Header=BB951_104 Depth=1
	s_mov_b64 s[16:17], 0
.LBB951_107:                            ;   Parent Loop BB951_104 Depth=1
                                        ; =>  This Inner Loop Header: Depth=2
	;;#ASMSTART
	global_load_dwordx4 v[2:5], v[28:29] off glc	
s_waitcnt vmcnt(0)
	;;#ASMEND
	v_cmp_ne_u16_sdwa s[20:21], v4, v25 src0_sel:BYTE_0 src1_sel:DWORD
	s_or_b64 s[16:17], s[20:21], s[16:17]
	s_andn2_b64 exec, exec, s[16:17]
	s_cbranch_execnz .LBB951_107
; %bb.108:                              ;   in Loop: Header=BB951_104 Depth=1
	s_or_b64 exec, exec, s[16:17]
	s_branch .LBB951_103
.LBB951_109:                            ;   in Loop: Header=BB951_104 Depth=1
                                        ; implicit-def: $vgpr4
                                        ; implicit-def: $vgpr2_vgpr3
	s_cbranch_execz .LBB951_104
; %bb.110:
	s_and_saveexec_b64 s[14:15], s[8:9]
	s_cbranch_execz .LBB951_112
; %bb.111:
	s_add_i32 s6, s6, 64
	s_mov_b32 s7, 0
	v_add_u32_e32 v3, v27, v23
	s_lshl_b64 s[6:7], s[6:7], 4
	s_add_u32 s6, s12, s6
	v_and_b32_e32 v4, 0xff000000, v3
	v_and_b32_e32 v6, 0xff0000, v3
	s_addc_u32 s7, s13, s7
	v_or_b32_e32 v4, v6, v4
	v_and_b32_e32 v6, 0xff00, v3
	v_and_b32_e32 v3, 0xff, v3
	v_add_u32_e32 v2, v26, v22
	v_mov_b32_e32 v5, 0
	v_or3_b32 v3, v4, v6, v3
	v_mov_b32_e32 v4, 2
	v_pk_mov_b32 v[6:7], s[6:7], s[6:7] op_sel:[0,1]
	;;#ASMSTART
	global_store_dwordx4 v[6:7], v[2:5] off	
s_waitcnt vmcnt(0)
	;;#ASMEND
	s_movk_i32 s6, 0x3400
	v_add_u32_e64 v2, s6, 0
	ds_write2_b32 v2, v22, v23 offset1:2
	ds_write2_b32 v2, v26, v27 offset0:4 offset1:6
.LBB951_112:
	s_or_b64 exec, exec, s[14:15]
	v_cmp_eq_u32_e32 vcc, 0, v0
	s_and_b64 exec, exec, vcc
	s_cbranch_execz .LBB951_114
; %bb.113:
	v_mov_b32_e32 v2, 0
	ds_write_b64 v2, v[26:27] offset:24
.LBB951_114:
	s_or_b64 exec, exec, s[10:11]
	v_mov_b32_e32 v2, 0
	s_waitcnt lgkmcnt(0)
	s_barrier
	ds_read_b64 v[6:7], v2 offset:24
	s_movk_i32 s6, 0x3400
	v_cndmask_b32_e64 v2, v87, v21, s[8:9]
	v_cndmask_b32_e64 v1, v1, v20, s[8:9]
	v_add_u32_e64 v4, s6, 0
	s_waitcnt lgkmcnt(0)
	v_add_u32_e32 v20, v6, v1
	v_add_u32_e32 v1, v7, v2
	s_barrier
	ds_read2_b32 v[2:3], v4 offset1:2
	ds_read2_b32 v[4:5], v4 offset0:4 offset1:6
	v_cmp_eq_u32_e32 vcc, 0, v0
	v_cndmask_b32_e32 v1, v1, v7, vcc
	v_cndmask_b32_e32 v20, v20, v6, vcc
	s_branch .LBB951_125
.LBB951_115:
                                        ; implicit-def: $vgpr1
                                        ; implicit-def: $vgpr4
                                        ; implicit-def: $vgpr2
                                        ; implicit-def: $vgpr20_vgpr21
	s_cbranch_execz .LBB951_125
; %bb.116:
	s_nop 0
	v_mov_b32_dpp v1, v85 row_shr:1 row_mask:0xf bank_mask:0xf
	s_waitcnt lgkmcnt(0)
	v_mov_b32_dpp v2, v86 row_shr:1 row_mask:0xf bank_mask:0xf
	v_add_u32_e32 v1, v1, v85
	v_add_u32_e32 v2, v2, v86
	v_cndmask_b32_e64 v2, v2, v86, s[4:5]
	v_cndmask_b32_e64 v1, v1, v85, s[4:5]
	v_cmp_lt_u32_e32 vcc, 3, v84
	v_mov_b32_dpp v4, v2 row_shr:2 row_mask:0xf bank_mask:0xf
	v_mov_b32_dpp v3, v1 row_shr:2 row_mask:0xf bank_mask:0xf
	v_add_u32_e32 v3, v1, v3
	v_add_u32_e32 v4, v2, v4
	v_cndmask_b32_e64 v2, v2, v4, s[2:3]
	v_cndmask_b32_e64 v1, v1, v3, s[2:3]
	s_nop 0
	v_mov_b32_dpp v4, v2 row_shr:4 row_mask:0xf bank_mask:0xf
	v_mov_b32_dpp v3, v1 row_shr:4 row_mask:0xf bank_mask:0xf
	v_add_u32_e32 v3, v1, v3
	v_add_u32_e32 v4, v2, v4
	v_cndmask_b32_e32 v2, v2, v4, vcc
	v_cndmask_b32_e32 v1, v1, v3, vcc
	v_cmp_lt_u32_e32 vcc, 7, v84
	v_mov_b32_dpp v4, v2 row_shr:8 row_mask:0xf bank_mask:0xf
	v_mov_b32_dpp v3, v1 row_shr:8 row_mask:0xf bank_mask:0xf
	v_add_u32_e32 v3, v1, v3
	v_add_u32_e32 v4, v2, v4
	v_cndmask_b32_e32 v2, v2, v4, vcc
	v_cndmask_b32_e32 v1, v1, v3, vcc
	v_cmp_eq_u32_e32 vcc, 0, v83
	v_mov_b32_dpp v4, v2 row_bcast:15 row_mask:0xf bank_mask:0xf
	v_mov_b32_dpp v3, v1 row_bcast:15 row_mask:0xf bank_mask:0xf
	v_add_u32_e32 v3, v1, v3
	v_add_u32_e32 v4, v2, v4
	v_cndmask_b32_e32 v2, v4, v2, vcc
	v_cndmask_b32_e32 v1, v3, v1, vcc
	v_cmp_lt_u32_e32 vcc, 31, v80
	v_mov_b32_dpp v4, v2 row_bcast:31 row_mask:0xf bank_mask:0xf
	v_mov_b32_dpp v3, v1 row_bcast:31 row_mask:0xf bank_mask:0xf
	v_add_u32_e32 v4, v2, v4
	v_add_u32_e32 v5, v1, v3
	v_cndmask_b32_e32 v3, v2, v4, vcc
	v_cndmask_b32_e32 v2, v1, v5, vcc
	v_cmp_eq_u32_e32 vcc, v82, v0
	s_and_saveexec_b64 s[2:3], vcc
	s_cbranch_execz .LBB951_118
; %bb.117:
	v_lshlrev_b32_e32 v1, 3, v81
	ds_write_b64 v1, v[2:3]
.LBB951_118:
	s_or_b64 exec, exec, s[2:3]
	v_cmp_gt_u32_e32 vcc, 4, v0
	s_waitcnt lgkmcnt(0)
	s_barrier
	s_and_saveexec_b64 s[2:3], vcc
	s_cbranch_execz .LBB951_120
; %bb.119:
	v_lshlrev_b32_e32 v1, 3, v0
	ds_read_b64 v[4:5], v1
	v_and_b32_e32 v6, 3, v80
	v_cmp_eq_u32_e32 vcc, 0, v6
	s_waitcnt lgkmcnt(0)
	v_mov_b32_dpp v7, v4 row_shr:1 row_mask:0xf bank_mask:0xf
	v_mov_b32_dpp v20, v5 row_shr:1 row_mask:0xf bank_mask:0xf
	v_add_u32_e32 v7, v7, v4
	v_add_u32_e32 v20, v20, v5
	v_cndmask_b32_e32 v5, v20, v5, vcc
	v_cndmask_b32_e32 v4, v7, v4, vcc
	v_cmp_lt_u32_e32 vcc, 1, v6
	v_mov_b32_dpp v20, v5 row_shr:2 row_mask:0xf bank_mask:0xf
	v_mov_b32_dpp v7, v4 row_shr:2 row_mask:0xf bank_mask:0xf
	v_cndmask_b32_e32 v6, 0, v7, vcc
	v_cndmask_b32_e32 v7, 0, v20, vcc
	v_add_u32_e32 v5, v7, v5
	v_add_u32_e32 v4, v6, v4
	ds_write_b64 v1, v[4:5]
.LBB951_120:
	s_or_b64 exec, exec, s[2:3]
	v_cmp_lt_u32_e32 vcc, 63, v0
	v_mov_b32_e32 v4, 0
	v_mov_b32_e32 v6, 0
	;; [unrolled: 1-line block ×3, first 2 shown]
	s_waitcnt lgkmcnt(0)
	s_barrier
	s_and_saveexec_b64 s[2:3], vcc
	s_cbranch_execz .LBB951_122
; %bb.121:
	v_lshl_add_u32 v1, v81, 3, -8
	ds_read_b64 v[6:7], v1
.LBB951_122:
	s_or_b64 exec, exec, s[2:3]
	s_waitcnt lgkmcnt(0)
	v_add_u32_e32 v5, v7, v3
	v_add_u32_e32 v1, v6, v2
	v_add_u32_e32 v2, -1, v80
	v_and_b32_e32 v3, 64, v80
	v_cmp_lt_i32_e32 vcc, v2, v3
	v_cndmask_b32_e32 v2, v2, v80, vcc
	v_lshlrev_b32_e32 v20, 2, v2
	ds_read_b64 v[2:3], v4 offset:24
	ds_bpermute_b32 v1, v20, v1
	ds_bpermute_b32 v20, v20, v5
	v_cmp_eq_u32_e32 vcc, 0, v0
	s_waitcnt lgkmcnt(2)
	v_readfirstlane_b32 s4, v3
	s_and_saveexec_b64 s[2:3], vcc
	s_cbranch_execz .LBB951_124
; %bb.123:
	s_add_u32 s6, s12, 0x400
	s_mov_b32 s8, 0
	s_addc_u32 s7, s13, 0
	s_and_b32 s9, s4, 0xff000000
	s_and_b32 s11, s4, 0xff0000
	s_mov_b32 s10, s8
	s_or_b64 s[10:11], s[10:11], s[8:9]
	s_and_b32 s9, s4, 0xff00
	s_or_b64 s[10:11], s[10:11], s[8:9]
	s_and_b32 s9, s4, 0xff
	s_or_b64 s[8:9], s[10:11], s[8:9]
	v_mov_b32_e32 v3, s9
	v_mov_b32_e32 v4, 2
	;; [unrolled: 1-line block ×3, first 2 shown]
	v_pk_mov_b32 v[22:23], s[6:7], s[6:7] op_sel:[0,1]
	;;#ASMSTART
	global_store_dwordx4 v[22:23], v[2:5] off	
s_waitcnt vmcnt(0)
	;;#ASMEND
.LBB951_124:
	s_or_b64 exec, exec, s[2:3]
	v_cmp_eq_u32_e64 s[2:3], 0, v80
	s_waitcnt lgkmcnt(1)
	v_cndmask_b32_e64 v3, v1, v6, s[2:3]
	s_waitcnt lgkmcnt(0)
	v_cndmask_b32_e64 v1, v20, v7, s[2:3]
	v_mov_b32_e32 v4, 0
	v_cndmask_b32_e64 v1, v1, 0, vcc
	v_cndmask_b32_e64 v20, v3, 0, vcc
	s_barrier
	v_mov_b32_e32 v3, s4
	v_mov_b32_e32 v5, 0
.LBB951_125:
	v_add_u32_e32 v24, v1, v63
	v_add_u32_e32 v25, v24, v74
	;; [unrolled: 1-line block ×14, first 2 shown]
	v_mov_b32_e32 v7, s49
	s_waitcnt lgkmcnt(0)
	v_add_co_u32_e32 v6, vcc, s48, v4
	v_add_u32_e32 v64, v58, v68
	v_add_u32_e32 v68, v66, v71
	v_addc_co_u32_e32 v7, vcc, 0, v7, vcc
	v_add_u32_e32 v69, v68, v78
	v_mov_b32_e32 v22, s51
	v_sub_co_u32_e32 v23, vcc, s50, v2
	v_add_u32_e32 v71, v69, v73
	v_subbrev_co_u32_e32 v73, vcc, 0, v22, vcc
	v_add_co_u32_e32 v22, vcc, v23, v5
	v_addc_co_u32_e32 v23, vcc, 0, v73, vcc
	v_lshlrev_b32_e32 v73, 1, v2
	v_sub_u32_e32 v1, v1, v5
	v_add_u32_e32 v74, v73, v3
	v_sub_u32_e32 v20, v20, v4
	v_add_u32_e32 v1, v1, v2
	v_add_u32_e32 v31, v74, v31
	v_and_b32_e32 v33, 1, v33
	v_add_u32_e32 v74, v20, v1
	v_and_b32_e32 v32, 1, v32
	v_sub_u32_e32 v74, v31, v74
	v_cmp_eq_u32_e32 vcc, 1, v33
	v_cndmask_b32_e32 v1, v74, v1, vcc
	v_cmp_eq_u32_e32 vcc, 1, v32
	v_cndmask_b32_e32 v1, v1, v20, vcc
	v_lshlrev_b32_e32 v1, 2, v1
	v_sub_u32_e32 v20, v24, v5
	ds_write_b32 v1, v18
	v_sub_u32_e32 v1, v21, v4
	v_add_u32_e32 v20, v20, v2
	v_add_u32_e32 v24, v20, v1
	v_and_b32_e32 v21, 1, v35
	v_sub_u32_e32 v24, v31, v24
	v_and_b32_e32 v18, 1, v34
	v_add_u32_e32 v24, 1, v24
	v_cmp_eq_u32_e32 vcc, 1, v21
	v_cndmask_b32_e32 v20, v24, v20, vcc
	v_cmp_eq_u32_e32 vcc, 1, v18
	v_cndmask_b32_e32 v1, v20, v1, vcc
	v_lshlrev_b32_e32 v1, 2, v1
	ds_write_b32 v1, v19
	v_sub_u32_e32 v19, v25, v5
	v_sub_u32_e32 v1, v26, v4
	v_add_u32_e32 v19, v19, v2
	v_add_u32_e32 v21, v19, v1
	v_and_b32_e32 v20, 1, v37
	v_sub_u32_e32 v21, v31, v21
	v_and_b32_e32 v18, 1, v36
	v_add_u32_e32 v21, 2, v21
	v_cmp_eq_u32_e32 vcc, 1, v20
	v_cndmask_b32_e32 v19, v21, v19, vcc
	v_cmp_eq_u32_e32 vcc, 1, v18
	v_cndmask_b32_e32 v1, v19, v1, vcc
	v_lshlrev_b32_e32 v1, 2, v1
	v_sub_u32_e32 v18, v28, v5
	ds_write_b32 v1, v16
	v_sub_u32_e32 v1, v27, v4
	v_add_u32_e32 v18, v18, v2
	v_add_u32_e32 v20, v1, v18
	v_and_b32_e32 v19, 1, v38
	v_sub_u32_e32 v20, v31, v20
	v_and_b32_e32 v16, 1, v39
	v_add_u32_e32 v20, 3, v20
	v_cmp_eq_u32_e32 vcc, 1, v19
	v_cndmask_b32_e32 v18, v20, v18, vcc
	v_cmp_eq_u32_e32 vcc, 1, v16
	v_cndmask_b32_e32 v1, v18, v1, vcc
	v_lshlrev_b32_e32 v1, 2, v1
	ds_write_b32 v1, v17
	v_sub_u32_e32 v17, v29, v5
	v_sub_u32_e32 v1, v56, v4
	v_add_u32_e32 v17, v17, v2
	v_add_u32_e32 v19, v1, v17
	v_and_b32_e32 v18, 1, v40
	v_sub_u32_e32 v19, v31, v19
	v_and_b32_e32 v16, 1, v41
	v_add_u32_e32 v19, 4, v19
	;; [unrolled: 28-line block ×3, first 2 shown]
	v_cmp_eq_u32_e32 vcc, 1, v16
	v_cndmask_b32_e32 v15, v17, v15, vcc
	v_cmp_eq_u32_e32 vcc, 1, v14
	v_cndmask_b32_e32 v1, v15, v1, vcc
	v_lshlrev_b32_e32 v1, 2, v1
	v_sub_u32_e32 v14, v65, v5
	ds_write_b32 v1, v12
	v_sub_u32_e32 v1, v64, v4
	v_add_u32_e32 v14, v14, v2
	v_add_u32_e32 v16, v1, v14
	v_and_b32_e32 v15, 1, v46
	v_sub_u32_e32 v16, v31, v16
	v_and_b32_e32 v12, 1, v47
	v_add_u32_e32 v16, 7, v16
	v_cmp_eq_u32_e32 vcc, 1, v15
	v_cndmask_b32_e32 v14, v16, v14, vcc
	v_cmp_eq_u32_e32 vcc, 1, v12
	v_cndmask_b32_e32 v1, v14, v1, vcc
	v_lshlrev_b32_e32 v1, 2, v1
	v_add_u32_e32 v59, v64, v59
	ds_write_b32 v1, v13
	v_sub_u32_e32 v13, v66, v5
	v_sub_u32_e32 v1, v59, v4
	v_add_u32_e32 v13, v13, v2
	v_add_u32_e32 v15, v1, v13
	v_and_b32_e32 v14, 1, v48
	v_sub_u32_e32 v15, v31, v15
	v_and_b32_e32 v12, 1, v49
	v_add_u32_e32 v15, 8, v15
	v_cmp_eq_u32_e32 vcc, 1, v14
	v_cndmask_b32_e32 v13, v15, v13, vcc
	v_cmp_eq_u32_e32 vcc, 1, v12
	v_cndmask_b32_e32 v1, v13, v1, vcc
	v_add_u32_e32 v67, v59, v70
	v_lshlrev_b32_e32 v1, 2, v1
	v_sub_u32_e32 v12, v68, v5
	ds_write_b32 v1, v10
	v_sub_u32_e32 v1, v67, v4
	v_add_u32_e32 v12, v12, v2
	v_add_u32_e32 v14, v1, v12
	v_and_b32_e32 v13, 1, v50
	v_sub_u32_e32 v14, v31, v14
	v_and_b32_e32 v10, 1, v51
	v_add_u32_e32 v14, 9, v14
	v_cmp_eq_u32_e32 vcc, 1, v13
	v_cndmask_b32_e32 v12, v14, v12, vcc
	v_cmp_eq_u32_e32 vcc, 1, v10
	v_cndmask_b32_e32 v1, v12, v1, vcc
	v_lshlrev_b32_e32 v1, 2, v1
	v_add_u32_e32 v60, v67, v60
	ds_write_b32 v1, v11
	v_sub_u32_e32 v11, v69, v5
	v_sub_u32_e32 v1, v60, v4
	v_add_u32_e32 v11, v11, v2
	v_add_u32_e32 v13, v1, v11
	v_and_b32_e32 v12, 1, v52
	v_sub_u32_e32 v13, v31, v13
	v_and_b32_e32 v10, 1, v53
	v_add_u32_e32 v13, 10, v13
	v_cmp_eq_u32_e32 vcc, 1, v12
	v_cndmask_b32_e32 v11, v13, v11, vcc
	v_cmp_eq_u32_e32 vcc, 1, v10
	v_cndmask_b32_e32 v1, v11, v1, vcc
	v_add_u32_e32 v70, v60, v72
	v_lshlrev_b32_e32 v1, 2, v1
	v_sub_u32_e32 v10, v71, v5
	ds_write_b32 v1, v8
	v_sub_u32_e32 v1, v70, v4
	v_add_u32_e32 v10, v10, v2
	v_add_u32_e32 v12, v1, v10
	v_and_b32_e32 v11, 1, v54
	v_sub_u32_e32 v12, v31, v12
	v_and_b32_e32 v8, 1, v55
	v_add_u32_e32 v12, 11, v12
	v_cmp_eq_u32_e32 vcc, 1, v11
	v_cndmask_b32_e32 v10, v12, v10, vcc
	v_cmp_eq_u32_e32 vcc, 1, v8
	v_cndmask_b32_e32 v1, v10, v1, vcc
	v_add_u32_e32 v72, v71, v79
	v_add_u32_e32 v61, v70, v61
	v_lshlrev_b32_e32 v1, 2, v1
	ds_write_b32 v1, v9
	v_sub_u32_e32 v1, v61, v4
	v_sub_u32_e32 v4, v72, v5
	v_add_u32_e32 v4, v4, v2
	v_add_u32_e32 v8, v1, v4
	v_sub_u32_e32 v8, v31, v8
	v_add_u32_e32 v8, 12, v8
	v_cndmask_b32_e64 v4, v8, v4, s[58:59]
	v_cndmask_b32_e64 v1, v4, v1, s[46:47]
	v_lshlrev_b32_e32 v1, 2, v1
	ds_write_b32 v1, v30
	v_add_co_u32_e32 v1, vcc, v3, v73
	v_addc_co_u32_e64 v4, s[2:3], 0, 0, vcc
	v_add_co_u32_e32 v1, vcc, v1, v22
	v_addc_co_u32_e32 v4, vcc, v4, v23, vcc
	s_add_u32 s4, s56, s33
	v_add_co_u32_e32 v1, vcc, v1, v6
	s_addc_u32 s5, s57, 0
	v_addc_co_u32_e32 v4, vcc, v4, v7, vcc
	v_mov_b32_e32 v8, s5
	v_sub_co_u32_e32 v1, vcc, s4, v1
	v_subb_co_u32_e32 v4, vcc, v8, v4, vcc
	v_lshlrev_b64 v[8:9], 2, v[22:23]
	v_mov_b32_e32 v10, s55
	v_add_co_u32_e32 v8, vcc, s54, v8
	v_addc_co_u32_e32 v9, vcc, v10, v9, vcc
	v_lshlrev_b64 v[10:11], 2, v[6:7]
	v_mov_b32_e32 v13, s53
	v_add_co_u32_e32 v10, vcc, s52, v10
	s_add_u32 s6, s34, -4
	v_addc_co_u32_e32 v11, vcc, v13, v11, vcc
	s_addc_u32 s7, s35, -1
	v_add_u32_e32 v12, v2, v3
	s_and_b64 vcc, exec, s[0:1]
	s_mov_b64 s[0:1], -1
	s_waitcnt lgkmcnt(0)
	s_barrier
	s_cbranch_vccz .LBB951_129
; %bb.126:
	s_and_b64 vcc, exec, s[0:1]
	s_cbranch_vccnz .LBB951_234
.LBB951_127:
	v_cmp_eq_u32_e32 vcc, 0, v0
	s_and_b64 s[0:1], vcc, s[30:31]
	s_and_saveexec_b64 s[2:3], s[0:1]
	s_cbranch_execnz .LBB951_352
.LBB951_128:
	s_endpgm
.LBB951_129:
	v_cmp_le_u32_e32 vcc, v2, v0
	s_and_saveexec_b64 s[0:1], vcc
	s_xor_b64 s[0:1], exec, s[0:1]
	s_cbranch_execz .LBB951_135
; %bb.130:
	v_cmp_le_u32_e32 vcc, v12, v0
	s_and_saveexec_b64 s[2:3], vcc
	s_xor_b64 s[2:3], exec, s[2:3]
	s_cbranch_execz .LBB951_132
; %bb.131:
	v_lshlrev_b32_e32 v13, 2, v0
	v_add_co_u32_e32 v14, vcc, v1, v0
	ds_read_b32 v13, v13
	v_addc_co_u32_e32 v15, vcc, 0, v4, vcc
	v_lshlrev_b64 v[14:15], 2, v[14:15]
	v_mov_b32_e32 v16, s35
	v_sub_co_u32_e32 v14, vcc, s34, v14
	v_subb_co_u32_e32 v15, vcc, v16, v15, vcc
	s_waitcnt lgkmcnt(0)
	global_store_dword v[14:15], v13, off offset:-4
.LBB951_132:
	s_andn2_saveexec_b64 s[2:3], s[2:3]
	s_cbranch_execz .LBB951_134
; %bb.133:
	v_lshlrev_b32_e32 v13, 2, v0
	ds_read_b32 v14, v13
	v_readfirstlane_b32 s4, v8
	v_readfirstlane_b32 s5, v9
	s_waitcnt lgkmcnt(0)
	s_nop 3
	global_store_dword v13, v14, s[4:5]
.LBB951_134:
	s_or_b64 exec, exec, s[2:3]
.LBB951_135:
	s_andn2_saveexec_b64 s[0:1], s[0:1]
	s_cbranch_execz .LBB951_137
; %bb.136:
	v_lshlrev_b32_e32 v13, 2, v0
	ds_read_b32 v14, v13
	v_readfirstlane_b32 s2, v10
	v_readfirstlane_b32 s3, v11
	s_waitcnt lgkmcnt(0)
	s_nop 3
	global_store_dword v13, v14, s[2:3]
.LBB951_137:
	s_or_b64 exec, exec, s[0:1]
	v_or_b32_e32 v13, 0x100, v0
	v_cmp_le_u32_e32 vcc, v2, v13
	s_and_saveexec_b64 s[0:1], vcc
	s_xor_b64 s[0:1], exec, s[0:1]
	s_cbranch_execz .LBB951_143
; %bb.138:
	v_cmp_le_u32_e32 vcc, v12, v13
	s_and_saveexec_b64 s[2:3], vcc
	s_xor_b64 s[2:3], exec, s[2:3]
	s_cbranch_execz .LBB951_140
; %bb.139:
	v_lshlrev_b32_e32 v13, 2, v0
	ds_read_b32 v13, v13 offset:1024
	v_add_co_u32_e32 v14, vcc, v1, v0
	v_addc_co_u32_e32 v15, vcc, 0, v4, vcc
	v_lshlrev_b64 v[14:15], 2, v[14:15]
	v_mov_b32_e32 v16, s7
	v_sub_co_u32_e32 v14, vcc, s6, v14
	v_subb_co_u32_e32 v15, vcc, v16, v15, vcc
	s_waitcnt lgkmcnt(0)
	global_store_dword v[14:15], v13, off offset:-1024
.LBB951_140:
	s_andn2_saveexec_b64 s[2:3], s[2:3]
	s_cbranch_execz .LBB951_142
; %bb.141:
	v_lshlrev_b32_e32 v13, 2, v0
	ds_read_b32 v14, v13 offset:1024
	v_readfirstlane_b32 s4, v8
	v_readfirstlane_b32 s5, v9
	s_waitcnt lgkmcnt(0)
	s_nop 3
	global_store_dword v13, v14, s[4:5] offset:1024
.LBB951_142:
	s_or_b64 exec, exec, s[2:3]
.LBB951_143:
	s_andn2_saveexec_b64 s[0:1], s[0:1]
	s_cbranch_execz .LBB951_145
; %bb.144:
	v_lshlrev_b32_e32 v13, 2, v0
	ds_read_b32 v14, v13 offset:1024
	v_readfirstlane_b32 s2, v10
	v_readfirstlane_b32 s3, v11
	s_waitcnt lgkmcnt(0)
	s_nop 3
	global_store_dword v13, v14, s[2:3] offset:1024
.LBB951_145:
	s_or_b64 exec, exec, s[0:1]
	v_or_b32_e32 v13, 0x200, v0
	v_cmp_le_u32_e32 vcc, v2, v13
	s_and_saveexec_b64 s[0:1], vcc
	s_xor_b64 s[0:1], exec, s[0:1]
	s_cbranch_execz .LBB951_151
; %bb.146:
	v_cmp_le_u32_e32 vcc, v12, v13
	s_and_saveexec_b64 s[2:3], vcc
	s_xor_b64 s[2:3], exec, s[2:3]
	s_cbranch_execz .LBB951_148
; %bb.147:
	v_lshlrev_b32_e32 v13, 2, v0
	ds_read_b32 v13, v13 offset:2048
	v_add_co_u32_e32 v14, vcc, v1, v0
	v_addc_co_u32_e32 v15, vcc, 0, v4, vcc
	v_lshlrev_b64 v[14:15], 2, v[14:15]
	v_mov_b32_e32 v16, s7
	v_sub_co_u32_e32 v14, vcc, s6, v14
	v_subb_co_u32_e32 v15, vcc, v16, v15, vcc
	s_waitcnt lgkmcnt(0)
	global_store_dword v[14:15], v13, off offset:-2048
.LBB951_148:
	s_andn2_saveexec_b64 s[2:3], s[2:3]
	s_cbranch_execz .LBB951_150
; %bb.149:
	v_lshlrev_b32_e32 v13, 2, v0
	ds_read_b32 v14, v13 offset:2048
	v_readfirstlane_b32 s4, v8
	v_readfirstlane_b32 s5, v9
	s_waitcnt lgkmcnt(0)
	s_nop 3
	global_store_dword v13, v14, s[4:5] offset:2048
.LBB951_150:
	s_or_b64 exec, exec, s[2:3]
.LBB951_151:
	s_andn2_saveexec_b64 s[0:1], s[0:1]
	s_cbranch_execz .LBB951_153
; %bb.152:
	v_lshlrev_b32_e32 v13, 2, v0
	ds_read_b32 v14, v13 offset:2048
	v_readfirstlane_b32 s2, v10
	v_readfirstlane_b32 s3, v11
	s_waitcnt lgkmcnt(0)
	s_nop 3
	global_store_dword v13, v14, s[2:3] offset:2048
.LBB951_153:
	;; [unrolled: 47-line block ×3, first 2 shown]
	s_or_b64 exec, exec, s[0:1]
	v_or_b32_e32 v13, 0x400, v0
	v_cmp_le_u32_e32 vcc, v2, v13
	s_and_saveexec_b64 s[0:1], vcc
	s_xor_b64 s[0:1], exec, s[0:1]
	s_cbranch_execz .LBB951_167
; %bb.162:
	v_cmp_le_u32_e32 vcc, v12, v13
	s_and_saveexec_b64 s[2:3], vcc
	s_xor_b64 s[2:3], exec, s[2:3]
	s_cbranch_execz .LBB951_164
; %bb.163:
	v_lshlrev_b32_e32 v13, 2, v0
	ds_read_b32 v13, v13 offset:4096
	v_add_co_u32_e32 v14, vcc, v1, v0
	v_addc_co_u32_e32 v15, vcc, 0, v4, vcc
	v_lshlrev_b64 v[14:15], 2, v[14:15]
	v_mov_b32_e32 v16, s7
	v_sub_co_u32_e32 v14, vcc, s6, v14
	v_subb_co_u32_e32 v15, vcc, v16, v15, vcc
	s_waitcnt lgkmcnt(0)
	global_store_dword v[14:15], v13, off offset:-4096
                                        ; implicit-def: $vgpr13
.LBB951_164:
	s_andn2_saveexec_b64 s[2:3], s[2:3]
	s_cbranch_execz .LBB951_166
; %bb.165:
	v_lshlrev_b32_e32 v14, 2, v0
	ds_read_b32 v14, v14 offset:4096
	v_lshlrev_b32_e32 v13, 2, v13
	v_readfirstlane_b32 s4, v8
	v_readfirstlane_b32 s5, v9
	s_waitcnt lgkmcnt(0)
	s_nop 3
	global_store_dword v13, v14, s[4:5]
.LBB951_166:
	s_or_b64 exec, exec, s[2:3]
                                        ; implicit-def: $vgpr13
.LBB951_167:
	s_andn2_saveexec_b64 s[0:1], s[0:1]
	s_cbranch_execz .LBB951_169
; %bb.168:
	v_lshlrev_b32_e32 v14, 2, v0
	ds_read_b32 v14, v14 offset:4096
	v_lshlrev_b32_e32 v13, 2, v13
	v_readfirstlane_b32 s2, v10
	v_readfirstlane_b32 s3, v11
	s_waitcnt lgkmcnt(0)
	s_nop 3
	global_store_dword v13, v14, s[2:3]
.LBB951_169:
	s_or_b64 exec, exec, s[0:1]
	v_or_b32_e32 v13, 0x500, v0
	v_cmp_le_u32_e32 vcc, v2, v13
	s_and_saveexec_b64 s[0:1], vcc
	s_xor_b64 s[0:1], exec, s[0:1]
	s_cbranch_execz .LBB951_175
; %bb.170:
	v_cmp_le_u32_e32 vcc, v12, v13
	s_and_saveexec_b64 s[2:3], vcc
	s_xor_b64 s[2:3], exec, s[2:3]
	s_cbranch_execz .LBB951_172
; %bb.171:
	v_add_co_u32_e32 v14, vcc, v1, v13
	v_lshlrev_b32_e32 v13, 2, v0
	ds_read_b32 v13, v13 offset:5120
	v_addc_co_u32_e32 v15, vcc, 0, v4, vcc
	v_lshlrev_b64 v[14:15], 2, v[14:15]
	v_mov_b32_e32 v16, s7
	v_sub_co_u32_e32 v14, vcc, s6, v14
	v_subb_co_u32_e32 v15, vcc, v16, v15, vcc
	s_waitcnt lgkmcnt(0)
	global_store_dword v[14:15], v13, off
                                        ; implicit-def: $vgpr13
.LBB951_172:
	s_andn2_saveexec_b64 s[2:3], s[2:3]
	s_cbranch_execz .LBB951_174
; %bb.173:
	v_lshlrev_b32_e32 v14, 2, v0
	ds_read_b32 v14, v14 offset:5120
	v_lshlrev_b32_e32 v13, 2, v13
	v_readfirstlane_b32 s4, v8
	v_readfirstlane_b32 s5, v9
	s_waitcnt lgkmcnt(0)
	s_nop 3
	global_store_dword v13, v14, s[4:5]
.LBB951_174:
	s_or_b64 exec, exec, s[2:3]
                                        ; implicit-def: $vgpr13
.LBB951_175:
	s_andn2_saveexec_b64 s[0:1], s[0:1]
	s_cbranch_execz .LBB951_177
; %bb.176:
	v_lshlrev_b32_e32 v14, 2, v0
	ds_read_b32 v14, v14 offset:5120
	v_lshlrev_b32_e32 v13, 2, v13
	v_readfirstlane_b32 s2, v10
	v_readfirstlane_b32 s3, v11
	s_waitcnt lgkmcnt(0)
	s_nop 3
	global_store_dword v13, v14, s[2:3]
.LBB951_177:
	s_or_b64 exec, exec, s[0:1]
	v_or_b32_e32 v13, 0x600, v0
	v_cmp_le_u32_e32 vcc, v2, v13
	s_and_saveexec_b64 s[0:1], vcc
	s_xor_b64 s[0:1], exec, s[0:1]
	s_cbranch_execz .LBB951_183
; %bb.178:
	v_cmp_le_u32_e32 vcc, v12, v13
	s_and_saveexec_b64 s[2:3], vcc
	s_xor_b64 s[2:3], exec, s[2:3]
	s_cbranch_execz .LBB951_180
; %bb.179:
	v_add_co_u32_e32 v14, vcc, v1, v13
	v_lshlrev_b32_e32 v13, 2, v0
	ds_read_b32 v13, v13 offset:6144
	v_addc_co_u32_e32 v15, vcc, 0, v4, vcc
	v_lshlrev_b64 v[14:15], 2, v[14:15]
	v_mov_b32_e32 v16, s7
	v_sub_co_u32_e32 v14, vcc, s6, v14
	v_subb_co_u32_e32 v15, vcc, v16, v15, vcc
	s_waitcnt lgkmcnt(0)
	global_store_dword v[14:15], v13, off
                                        ; implicit-def: $vgpr13
.LBB951_180:
	s_andn2_saveexec_b64 s[2:3], s[2:3]
	s_cbranch_execz .LBB951_182
; %bb.181:
	v_lshlrev_b32_e32 v14, 2, v0
	ds_read_b32 v14, v14 offset:6144
	v_lshlrev_b32_e32 v13, 2, v13
	v_readfirstlane_b32 s4, v8
	v_readfirstlane_b32 s5, v9
	s_waitcnt lgkmcnt(0)
	s_nop 3
	global_store_dword v13, v14, s[4:5]
.LBB951_182:
	s_or_b64 exec, exec, s[2:3]
                                        ; implicit-def: $vgpr13
.LBB951_183:
	;; [unrolled: 51-line block ×8, first 2 shown]
	s_andn2_saveexec_b64 s[0:1], s[0:1]
	s_cbranch_execz .LBB951_233
; %bb.232:
	v_lshlrev_b32_e32 v14, 2, v0
	ds_read_b32 v14, v14 offset:12288
	v_lshlrev_b32_e32 v13, 2, v13
	v_readfirstlane_b32 s2, v10
	v_readfirstlane_b32 s3, v11
	s_waitcnt lgkmcnt(0)
	s_nop 3
	global_store_dword v13, v14, s[2:3]
.LBB951_233:
	s_or_b64 exec, exec, s[0:1]
	s_branch .LBB951_127
.LBB951_234:
	v_cmp_gt_u32_e32 vcc, s18, v0
	s_and_saveexec_b64 s[0:1], vcc
	s_cbranch_execz .LBB951_243
; %bb.235:
	v_cmp_le_u32_e32 vcc, v2, v0
	s_and_saveexec_b64 s[2:3], vcc
	s_xor_b64 s[2:3], exec, s[2:3]
	s_cbranch_execz .LBB951_241
; %bb.236:
	v_cmp_le_u32_e32 vcc, v12, v0
	s_and_saveexec_b64 s[4:5], vcc
	s_xor_b64 s[4:5], exec, s[4:5]
	s_cbranch_execz .LBB951_238
; %bb.237:
	v_lshlrev_b32_e32 v13, 2, v0
	v_add_co_u32_e32 v14, vcc, v1, v0
	ds_read_b32 v13, v13
	v_addc_co_u32_e32 v15, vcc, 0, v4, vcc
	v_lshlrev_b64 v[14:15], 2, v[14:15]
	v_mov_b32_e32 v16, s35
	v_sub_co_u32_e32 v14, vcc, s34, v14
	v_subb_co_u32_e32 v15, vcc, v16, v15, vcc
	s_waitcnt lgkmcnt(0)
	global_store_dword v[14:15], v13, off offset:-4
.LBB951_238:
	s_andn2_saveexec_b64 s[4:5], s[4:5]
	s_cbranch_execz .LBB951_240
; %bb.239:
	v_lshlrev_b32_e32 v13, 2, v0
	ds_read_b32 v14, v13
	v_readfirstlane_b32 s8, v8
	v_readfirstlane_b32 s9, v9
	s_waitcnt lgkmcnt(0)
	s_nop 3
	global_store_dword v13, v14, s[8:9]
.LBB951_240:
	s_or_b64 exec, exec, s[4:5]
.LBB951_241:
	s_andn2_saveexec_b64 s[2:3], s[2:3]
	s_cbranch_execz .LBB951_243
; %bb.242:
	v_lshlrev_b32_e32 v13, 2, v0
	ds_read_b32 v14, v13
	v_readfirstlane_b32 s2, v10
	v_readfirstlane_b32 s3, v11
	s_waitcnt lgkmcnt(0)
	s_nop 3
	global_store_dword v13, v14, s[2:3]
.LBB951_243:
	s_or_b64 exec, exec, s[0:1]
	v_or_b32_e32 v13, 0x100, v0
	v_cmp_gt_u32_e32 vcc, s18, v13
	s_and_saveexec_b64 s[0:1], vcc
	s_cbranch_execz .LBB951_252
; %bb.244:
	v_cmp_le_u32_e32 vcc, v2, v13
	s_and_saveexec_b64 s[2:3], vcc
	s_xor_b64 s[2:3], exec, s[2:3]
	s_cbranch_execz .LBB951_250
; %bb.245:
	v_cmp_le_u32_e32 vcc, v12, v13
	s_and_saveexec_b64 s[4:5], vcc
	s_xor_b64 s[4:5], exec, s[4:5]
	s_cbranch_execz .LBB951_247
; %bb.246:
	v_lshlrev_b32_e32 v13, 2, v0
	ds_read_b32 v13, v13 offset:1024
	v_add_co_u32_e32 v14, vcc, v1, v0
	v_addc_co_u32_e32 v15, vcc, 0, v4, vcc
	v_lshlrev_b64 v[14:15], 2, v[14:15]
	v_mov_b32_e32 v16, s7
	v_sub_co_u32_e32 v14, vcc, s6, v14
	v_subb_co_u32_e32 v15, vcc, v16, v15, vcc
	s_waitcnt lgkmcnt(0)
	global_store_dword v[14:15], v13, off offset:-1024
.LBB951_247:
	s_andn2_saveexec_b64 s[4:5], s[4:5]
	s_cbranch_execz .LBB951_249
; %bb.248:
	v_lshlrev_b32_e32 v13, 2, v0
	ds_read_b32 v14, v13 offset:1024
	v_readfirstlane_b32 s8, v8
	v_readfirstlane_b32 s9, v9
	s_waitcnt lgkmcnt(0)
	s_nop 3
	global_store_dword v13, v14, s[8:9] offset:1024
.LBB951_249:
	s_or_b64 exec, exec, s[4:5]
.LBB951_250:
	s_andn2_saveexec_b64 s[2:3], s[2:3]
	s_cbranch_execz .LBB951_252
; %bb.251:
	v_lshlrev_b32_e32 v13, 2, v0
	ds_read_b32 v14, v13 offset:1024
	v_readfirstlane_b32 s2, v10
	v_readfirstlane_b32 s3, v11
	s_waitcnt lgkmcnt(0)
	s_nop 3
	global_store_dword v13, v14, s[2:3] offset:1024
.LBB951_252:
	s_or_b64 exec, exec, s[0:1]
	v_or_b32_e32 v13, 0x200, v0
	v_cmp_gt_u32_e32 vcc, s18, v13
	s_and_saveexec_b64 s[0:1], vcc
	s_cbranch_execz .LBB951_261
; %bb.253:
	v_cmp_le_u32_e32 vcc, v2, v13
	s_and_saveexec_b64 s[2:3], vcc
	s_xor_b64 s[2:3], exec, s[2:3]
	s_cbranch_execz .LBB951_259
; %bb.254:
	v_cmp_le_u32_e32 vcc, v12, v13
	s_and_saveexec_b64 s[4:5], vcc
	s_xor_b64 s[4:5], exec, s[4:5]
	s_cbranch_execz .LBB951_256
; %bb.255:
	v_lshlrev_b32_e32 v13, 2, v0
	ds_read_b32 v13, v13 offset:2048
	v_add_co_u32_e32 v14, vcc, v1, v0
	v_addc_co_u32_e32 v15, vcc, 0, v4, vcc
	v_lshlrev_b64 v[14:15], 2, v[14:15]
	v_mov_b32_e32 v16, s7
	v_sub_co_u32_e32 v14, vcc, s6, v14
	v_subb_co_u32_e32 v15, vcc, v16, v15, vcc
	s_waitcnt lgkmcnt(0)
	global_store_dword v[14:15], v13, off offset:-2048
.LBB951_256:
	s_andn2_saveexec_b64 s[4:5], s[4:5]
	s_cbranch_execz .LBB951_258
; %bb.257:
	v_lshlrev_b32_e32 v13, 2, v0
	ds_read_b32 v14, v13 offset:2048
	v_readfirstlane_b32 s8, v8
	v_readfirstlane_b32 s9, v9
	s_waitcnt lgkmcnt(0)
	s_nop 3
	global_store_dword v13, v14, s[8:9] offset:2048
.LBB951_258:
	s_or_b64 exec, exec, s[4:5]
.LBB951_259:
	s_andn2_saveexec_b64 s[2:3], s[2:3]
	s_cbranch_execz .LBB951_261
; %bb.260:
	v_lshlrev_b32_e32 v13, 2, v0
	ds_read_b32 v14, v13 offset:2048
	v_readfirstlane_b32 s2, v10
	v_readfirstlane_b32 s3, v11
	s_waitcnt lgkmcnt(0)
	s_nop 3
	global_store_dword v13, v14, s[2:3] offset:2048
.LBB951_261:
	s_or_b64 exec, exec, s[0:1]
	v_or_b32_e32 v13, 0x300, v0
	v_cmp_gt_u32_e32 vcc, s18, v13
	s_and_saveexec_b64 s[0:1], vcc
	s_cbranch_execz .LBB951_270
; %bb.262:
	v_cmp_le_u32_e32 vcc, v2, v13
	s_and_saveexec_b64 s[2:3], vcc
	s_xor_b64 s[2:3], exec, s[2:3]
	s_cbranch_execz .LBB951_268
; %bb.263:
	v_cmp_le_u32_e32 vcc, v12, v13
	s_and_saveexec_b64 s[4:5], vcc
	s_xor_b64 s[4:5], exec, s[4:5]
	s_cbranch_execz .LBB951_265
; %bb.264:
	v_lshlrev_b32_e32 v13, 2, v0
	ds_read_b32 v13, v13 offset:3072
	v_add_co_u32_e32 v14, vcc, v1, v0
	v_addc_co_u32_e32 v15, vcc, 0, v4, vcc
	v_lshlrev_b64 v[14:15], 2, v[14:15]
	v_mov_b32_e32 v16, s7
	v_sub_co_u32_e32 v14, vcc, s6, v14
	v_subb_co_u32_e32 v15, vcc, v16, v15, vcc
	s_waitcnt lgkmcnt(0)
	global_store_dword v[14:15], v13, off offset:-3072
.LBB951_265:
	s_andn2_saveexec_b64 s[4:5], s[4:5]
	s_cbranch_execz .LBB951_267
; %bb.266:
	v_lshlrev_b32_e32 v13, 2, v0
	ds_read_b32 v14, v13 offset:3072
	v_readfirstlane_b32 s8, v8
	v_readfirstlane_b32 s9, v9
	s_waitcnt lgkmcnt(0)
	s_nop 3
	global_store_dword v13, v14, s[8:9] offset:3072
.LBB951_267:
	s_or_b64 exec, exec, s[4:5]
.LBB951_268:
	s_andn2_saveexec_b64 s[2:3], s[2:3]
	s_cbranch_execz .LBB951_270
; %bb.269:
	v_lshlrev_b32_e32 v13, 2, v0
	ds_read_b32 v14, v13 offset:3072
	v_readfirstlane_b32 s2, v10
	v_readfirstlane_b32 s3, v11
	s_waitcnt lgkmcnt(0)
	s_nop 3
	global_store_dword v13, v14, s[2:3] offset:3072
.LBB951_270:
	s_or_b64 exec, exec, s[0:1]
	v_or_b32_e32 v13, 0x400, v0
	v_cmp_gt_u32_e32 vcc, s18, v13
	s_and_saveexec_b64 s[0:1], vcc
	s_cbranch_execz .LBB951_279
; %bb.271:
	v_cmp_le_u32_e32 vcc, v2, v13
	s_and_saveexec_b64 s[2:3], vcc
	s_xor_b64 s[2:3], exec, s[2:3]
	s_cbranch_execz .LBB951_277
; %bb.272:
	v_cmp_le_u32_e32 vcc, v12, v13
	s_and_saveexec_b64 s[4:5], vcc
	s_xor_b64 s[4:5], exec, s[4:5]
	s_cbranch_execz .LBB951_274
; %bb.273:
	v_lshlrev_b32_e32 v13, 2, v0
	ds_read_b32 v13, v13 offset:4096
	v_add_co_u32_e32 v14, vcc, v1, v0
	v_addc_co_u32_e32 v15, vcc, 0, v4, vcc
	v_lshlrev_b64 v[14:15], 2, v[14:15]
	v_mov_b32_e32 v16, s7
	v_sub_co_u32_e32 v14, vcc, s6, v14
	v_subb_co_u32_e32 v15, vcc, v16, v15, vcc
	s_waitcnt lgkmcnt(0)
	global_store_dword v[14:15], v13, off offset:-4096
                                        ; implicit-def: $vgpr13
.LBB951_274:
	s_andn2_saveexec_b64 s[4:5], s[4:5]
	s_cbranch_execz .LBB951_276
; %bb.275:
	v_lshlrev_b32_e32 v14, 2, v0
	ds_read_b32 v14, v14 offset:4096
	v_lshlrev_b32_e32 v13, 2, v13
	v_readfirstlane_b32 s8, v8
	v_readfirstlane_b32 s9, v9
	s_waitcnt lgkmcnt(0)
	s_nop 3
	global_store_dword v13, v14, s[8:9]
.LBB951_276:
	s_or_b64 exec, exec, s[4:5]
                                        ; implicit-def: $vgpr13
.LBB951_277:
	s_andn2_saveexec_b64 s[2:3], s[2:3]
	s_cbranch_execz .LBB951_279
; %bb.278:
	v_lshlrev_b32_e32 v14, 2, v0
	ds_read_b32 v14, v14 offset:4096
	v_lshlrev_b32_e32 v13, 2, v13
	v_readfirstlane_b32 s2, v10
	v_readfirstlane_b32 s3, v11
	s_waitcnt lgkmcnt(0)
	s_nop 3
	global_store_dword v13, v14, s[2:3]
.LBB951_279:
	s_or_b64 exec, exec, s[0:1]
	v_or_b32_e32 v13, 0x500, v0
	v_cmp_gt_u32_e32 vcc, s18, v13
	s_and_saveexec_b64 s[0:1], vcc
	s_cbranch_execz .LBB951_288
; %bb.280:
	v_cmp_le_u32_e32 vcc, v2, v13
	s_and_saveexec_b64 s[2:3], vcc
	s_xor_b64 s[2:3], exec, s[2:3]
	s_cbranch_execz .LBB951_286
; %bb.281:
	v_cmp_le_u32_e32 vcc, v12, v13
	s_and_saveexec_b64 s[4:5], vcc
	s_xor_b64 s[4:5], exec, s[4:5]
	s_cbranch_execz .LBB951_283
; %bb.282:
	v_add_co_u32_e32 v14, vcc, v1, v13
	v_lshlrev_b32_e32 v13, 2, v0
	ds_read_b32 v13, v13 offset:5120
	v_addc_co_u32_e32 v15, vcc, 0, v4, vcc
	v_lshlrev_b64 v[14:15], 2, v[14:15]
	v_mov_b32_e32 v16, s7
	v_sub_co_u32_e32 v14, vcc, s6, v14
	v_subb_co_u32_e32 v15, vcc, v16, v15, vcc
	s_waitcnt lgkmcnt(0)
	global_store_dword v[14:15], v13, off
                                        ; implicit-def: $vgpr13
.LBB951_283:
	s_andn2_saveexec_b64 s[4:5], s[4:5]
	s_cbranch_execz .LBB951_285
; %bb.284:
	v_lshlrev_b32_e32 v14, 2, v0
	ds_read_b32 v14, v14 offset:5120
	v_lshlrev_b32_e32 v13, 2, v13
	v_readfirstlane_b32 s8, v8
	v_readfirstlane_b32 s9, v9
	s_waitcnt lgkmcnt(0)
	s_nop 3
	global_store_dword v13, v14, s[8:9]
.LBB951_285:
	s_or_b64 exec, exec, s[4:5]
                                        ; implicit-def: $vgpr13
.LBB951_286:
	s_andn2_saveexec_b64 s[2:3], s[2:3]
	s_cbranch_execz .LBB951_288
; %bb.287:
	v_lshlrev_b32_e32 v14, 2, v0
	ds_read_b32 v14, v14 offset:5120
	v_lshlrev_b32_e32 v13, 2, v13
	v_readfirstlane_b32 s2, v10
	v_readfirstlane_b32 s3, v11
	s_waitcnt lgkmcnt(0)
	s_nop 3
	global_store_dword v13, v14, s[2:3]
.LBB951_288:
	s_or_b64 exec, exec, s[0:1]
	v_or_b32_e32 v13, 0x600, v0
	v_cmp_gt_u32_e32 vcc, s18, v13
	s_and_saveexec_b64 s[0:1], vcc
	s_cbranch_execz .LBB951_297
; %bb.289:
	v_cmp_le_u32_e32 vcc, v2, v13
	s_and_saveexec_b64 s[2:3], vcc
	s_xor_b64 s[2:3], exec, s[2:3]
	s_cbranch_execz .LBB951_295
; %bb.290:
	v_cmp_le_u32_e32 vcc, v12, v13
	s_and_saveexec_b64 s[4:5], vcc
	s_xor_b64 s[4:5], exec, s[4:5]
	s_cbranch_execz .LBB951_292
; %bb.291:
	v_add_co_u32_e32 v14, vcc, v1, v13
	v_lshlrev_b32_e32 v13, 2, v0
	ds_read_b32 v13, v13 offset:6144
	v_addc_co_u32_e32 v15, vcc, 0, v4, vcc
	v_lshlrev_b64 v[14:15], 2, v[14:15]
	v_mov_b32_e32 v16, s7
	v_sub_co_u32_e32 v14, vcc, s6, v14
	v_subb_co_u32_e32 v15, vcc, v16, v15, vcc
	s_waitcnt lgkmcnt(0)
	global_store_dword v[14:15], v13, off
                                        ; implicit-def: $vgpr13
.LBB951_292:
	s_andn2_saveexec_b64 s[4:5], s[4:5]
	s_cbranch_execz .LBB951_294
; %bb.293:
	v_lshlrev_b32_e32 v14, 2, v0
	ds_read_b32 v14, v14 offset:6144
	v_lshlrev_b32_e32 v13, 2, v13
	v_readfirstlane_b32 s8, v8
	v_readfirstlane_b32 s9, v9
	s_waitcnt lgkmcnt(0)
	s_nop 3
	global_store_dword v13, v14, s[8:9]
.LBB951_294:
	s_or_b64 exec, exec, s[4:5]
                                        ; implicit-def: $vgpr13
.LBB951_295:
	s_andn2_saveexec_b64 s[2:3], s[2:3]
	s_cbranch_execz .LBB951_297
; %bb.296:
	v_lshlrev_b32_e32 v14, 2, v0
	ds_read_b32 v14, v14 offset:6144
	v_lshlrev_b32_e32 v13, 2, v13
	v_readfirstlane_b32 s2, v10
	v_readfirstlane_b32 s3, v11
	s_waitcnt lgkmcnt(0)
	s_nop 3
	global_store_dword v13, v14, s[2:3]
.LBB951_297:
	;; [unrolled: 55-line block ×7, first 2 shown]
	s_or_b64 exec, exec, s[0:1]
	v_or_b32_e32 v13, 0xc00, v0
	v_cmp_gt_u32_e32 vcc, s18, v13
	s_and_saveexec_b64 s[0:1], vcc
	s_cbranch_execz .LBB951_351
; %bb.343:
	v_cmp_le_u32_e32 vcc, v2, v13
	s_and_saveexec_b64 s[2:3], vcc
	s_xor_b64 s[2:3], exec, s[2:3]
	s_cbranch_execz .LBB951_349
; %bb.344:
	v_cmp_le_u32_e32 vcc, v12, v13
	s_and_saveexec_b64 s[4:5], vcc
	s_xor_b64 s[4:5], exec, s[4:5]
	s_cbranch_execz .LBB951_346
; %bb.345:
	v_add_co_u32_e32 v8, vcc, v1, v13
	v_lshlrev_b32_e32 v1, 2, v0
	ds_read_b32 v1, v1 offset:12288
	v_addc_co_u32_e32 v9, vcc, 0, v4, vcc
	v_lshlrev_b64 v[8:9], 2, v[8:9]
	v_mov_b32_e32 v4, s7
	v_sub_co_u32_e32 v8, vcc, s6, v8
	v_subb_co_u32_e32 v9, vcc, v4, v9, vcc
	s_waitcnt lgkmcnt(0)
	global_store_dword v[8:9], v1, off
                                        ; implicit-def: $vgpr13
                                        ; implicit-def: $vgpr8_vgpr9
.LBB951_346:
	s_andn2_saveexec_b64 s[4:5], s[4:5]
	s_cbranch_execz .LBB951_348
; %bb.347:
	v_lshlrev_b32_e32 v1, 2, v0
	ds_read_b32 v1, v1 offset:12288
	v_lshlrev_b32_e32 v4, 2, v13
	v_readfirstlane_b32 s6, v8
	v_readfirstlane_b32 s7, v9
	s_waitcnt lgkmcnt(0)
	s_nop 3
	global_store_dword v4, v1, s[6:7]
.LBB951_348:
	s_or_b64 exec, exec, s[4:5]
                                        ; implicit-def: $vgpr13
                                        ; implicit-def: $vgpr10_vgpr11
.LBB951_349:
	s_andn2_saveexec_b64 s[2:3], s[2:3]
	s_cbranch_execz .LBB951_351
; %bb.350:
	v_lshlrev_b32_e32 v1, 2, v0
	ds_read_b32 v1, v1 offset:12288
	v_lshlrev_b32_e32 v4, 2, v13
	v_readfirstlane_b32 s2, v10
	v_readfirstlane_b32 s3, v11
	s_waitcnt lgkmcnt(0)
	s_nop 3
	global_store_dword v4, v1, s[2:3]
.LBB951_351:
	s_or_b64 exec, exec, s[0:1]
	v_cmp_eq_u32_e32 vcc, 0, v0
	s_and_b64 s[0:1], vcc, s[30:31]
	s_and_saveexec_b64 s[2:3], s[0:1]
	s_cbranch_execz .LBB951_128
.LBB951_352:
	v_add_co_u32_e32 v0, vcc, v6, v2
	v_addc_co_u32_e32 v1, vcc, 0, v7, vcc
	v_mov_b32_e32 v2, s51
	v_add_co_u32_e32 v3, vcc, s50, v3
	v_addc_co_u32_e32 v6, vcc, 0, v2, vcc
	v_add_co_u32_e32 v2, vcc, v3, v5
	v_mov_b32_e32 v4, 0
	v_addc_co_u32_e32 v3, vcc, 0, v6, vcc
	global_store_dwordx4 v4, v[0:3], s[44:45]
	s_endpgm
	.section	.rodata,"a",@progbits
	.p2align	6, 0x0
	.amdhsa_kernel _ZN7rocprim17ROCPRIM_400000_NS6detail17trampoline_kernelINS0_13select_configILj256ELj13ELNS0_17block_load_methodE3ELS4_3ELS4_3ELNS0_20block_scan_algorithmE0ELj4294967295EEENS1_25partition_config_selectorILNS1_17partition_subalgoE4EjNS0_10empty_typeEbEEZZNS1_14partition_implILS8_4ELb0ES6_15HIP_vector_typeIjLj2EENS0_17counting_iteratorIjlEEPS9_SG_NS0_5tupleIJPjSI_NS0_16reverse_iteratorISI_EEEEENSH_IJSG_SG_SG_EEES9_SI_JZNS1_25segmented_radix_sort_implINS0_14default_configELb0EPKsPsPKlPlN2at6native12_GLOBAL__N_18offset_tEEE10hipError_tPvRmT1_PNSt15iterator_traitsIS12_E10value_typeET2_T3_PNS13_IS18_E10value_typeET4_jRbjT5_S1E_jjP12ihipStream_tbEUljE_ZNSN_ISO_Lb0ESQ_SR_ST_SU_SY_EESZ_S10_S11_S12_S16_S17_S18_S1B_S1C_jS1D_jS1E_S1E_jjS1G_bEUljE0_EEESZ_S10_S11_S18_S1C_S1E_T6_T7_T9_mT8_S1G_bDpT10_ENKUlT_T0_E_clISt17integral_constantIbLb0EES1U_EEDaS1P_S1Q_EUlS1P_E_NS1_11comp_targetILNS1_3genE4ELNS1_11target_archE910ELNS1_3gpuE8ELNS1_3repE0EEENS1_30default_config_static_selectorELNS0_4arch9wavefront6targetE1EEEvS12_
		.amdhsa_group_segment_fixed_size 13340
		.amdhsa_private_segment_fixed_size 0
		.amdhsa_kernarg_size 176
		.amdhsa_user_sgpr_count 6
		.amdhsa_user_sgpr_private_segment_buffer 1
		.amdhsa_user_sgpr_dispatch_ptr 0
		.amdhsa_user_sgpr_queue_ptr 0
		.amdhsa_user_sgpr_kernarg_segment_ptr 1
		.amdhsa_user_sgpr_dispatch_id 0
		.amdhsa_user_sgpr_flat_scratch_init 0
		.amdhsa_user_sgpr_kernarg_preload_length 0
		.amdhsa_user_sgpr_kernarg_preload_offset 0
		.amdhsa_user_sgpr_private_segment_size 0
		.amdhsa_uses_dynamic_stack 0
		.amdhsa_system_sgpr_private_segment_wavefront_offset 0
		.amdhsa_system_sgpr_workgroup_id_x 1
		.amdhsa_system_sgpr_workgroup_id_y 0
		.amdhsa_system_sgpr_workgroup_id_z 0
		.amdhsa_system_sgpr_workgroup_info 0
		.amdhsa_system_vgpr_workitem_id 0
		.amdhsa_next_free_vgpr 102
		.amdhsa_next_free_sgpr 90
		.amdhsa_accum_offset 104
		.amdhsa_reserve_vcc 1
		.amdhsa_reserve_flat_scratch 0
		.amdhsa_float_round_mode_32 0
		.amdhsa_float_round_mode_16_64 0
		.amdhsa_float_denorm_mode_32 3
		.amdhsa_float_denorm_mode_16_64 3
		.amdhsa_dx10_clamp 1
		.amdhsa_ieee_mode 1
		.amdhsa_fp16_overflow 0
		.amdhsa_tg_split 0
		.amdhsa_exception_fp_ieee_invalid_op 0
		.amdhsa_exception_fp_denorm_src 0
		.amdhsa_exception_fp_ieee_div_zero 0
		.amdhsa_exception_fp_ieee_overflow 0
		.amdhsa_exception_fp_ieee_underflow 0
		.amdhsa_exception_fp_ieee_inexact 0
		.amdhsa_exception_int_div_zero 0
	.end_amdhsa_kernel
	.section	.text._ZN7rocprim17ROCPRIM_400000_NS6detail17trampoline_kernelINS0_13select_configILj256ELj13ELNS0_17block_load_methodE3ELS4_3ELS4_3ELNS0_20block_scan_algorithmE0ELj4294967295EEENS1_25partition_config_selectorILNS1_17partition_subalgoE4EjNS0_10empty_typeEbEEZZNS1_14partition_implILS8_4ELb0ES6_15HIP_vector_typeIjLj2EENS0_17counting_iteratorIjlEEPS9_SG_NS0_5tupleIJPjSI_NS0_16reverse_iteratorISI_EEEEENSH_IJSG_SG_SG_EEES9_SI_JZNS1_25segmented_radix_sort_implINS0_14default_configELb0EPKsPsPKlPlN2at6native12_GLOBAL__N_18offset_tEEE10hipError_tPvRmT1_PNSt15iterator_traitsIS12_E10value_typeET2_T3_PNS13_IS18_E10value_typeET4_jRbjT5_S1E_jjP12ihipStream_tbEUljE_ZNSN_ISO_Lb0ESQ_SR_ST_SU_SY_EESZ_S10_S11_S12_S16_S17_S18_S1B_S1C_jS1D_jS1E_S1E_jjS1G_bEUljE0_EEESZ_S10_S11_S18_S1C_S1E_T6_T7_T9_mT8_S1G_bDpT10_ENKUlT_T0_E_clISt17integral_constantIbLb0EES1U_EEDaS1P_S1Q_EUlS1P_E_NS1_11comp_targetILNS1_3genE4ELNS1_11target_archE910ELNS1_3gpuE8ELNS1_3repE0EEENS1_30default_config_static_selectorELNS0_4arch9wavefront6targetE1EEEvS12_,"axG",@progbits,_ZN7rocprim17ROCPRIM_400000_NS6detail17trampoline_kernelINS0_13select_configILj256ELj13ELNS0_17block_load_methodE3ELS4_3ELS4_3ELNS0_20block_scan_algorithmE0ELj4294967295EEENS1_25partition_config_selectorILNS1_17partition_subalgoE4EjNS0_10empty_typeEbEEZZNS1_14partition_implILS8_4ELb0ES6_15HIP_vector_typeIjLj2EENS0_17counting_iteratorIjlEEPS9_SG_NS0_5tupleIJPjSI_NS0_16reverse_iteratorISI_EEEEENSH_IJSG_SG_SG_EEES9_SI_JZNS1_25segmented_radix_sort_implINS0_14default_configELb0EPKsPsPKlPlN2at6native12_GLOBAL__N_18offset_tEEE10hipError_tPvRmT1_PNSt15iterator_traitsIS12_E10value_typeET2_T3_PNS13_IS18_E10value_typeET4_jRbjT5_S1E_jjP12ihipStream_tbEUljE_ZNSN_ISO_Lb0ESQ_SR_ST_SU_SY_EESZ_S10_S11_S12_S16_S17_S18_S1B_S1C_jS1D_jS1E_S1E_jjS1G_bEUljE0_EEESZ_S10_S11_S18_S1C_S1E_T6_T7_T9_mT8_S1G_bDpT10_ENKUlT_T0_E_clISt17integral_constantIbLb0EES1U_EEDaS1P_S1Q_EUlS1P_E_NS1_11comp_targetILNS1_3genE4ELNS1_11target_archE910ELNS1_3gpuE8ELNS1_3repE0EEENS1_30default_config_static_selectorELNS0_4arch9wavefront6targetE1EEEvS12_,comdat
.Lfunc_end951:
	.size	_ZN7rocprim17ROCPRIM_400000_NS6detail17trampoline_kernelINS0_13select_configILj256ELj13ELNS0_17block_load_methodE3ELS4_3ELS4_3ELNS0_20block_scan_algorithmE0ELj4294967295EEENS1_25partition_config_selectorILNS1_17partition_subalgoE4EjNS0_10empty_typeEbEEZZNS1_14partition_implILS8_4ELb0ES6_15HIP_vector_typeIjLj2EENS0_17counting_iteratorIjlEEPS9_SG_NS0_5tupleIJPjSI_NS0_16reverse_iteratorISI_EEEEENSH_IJSG_SG_SG_EEES9_SI_JZNS1_25segmented_radix_sort_implINS0_14default_configELb0EPKsPsPKlPlN2at6native12_GLOBAL__N_18offset_tEEE10hipError_tPvRmT1_PNSt15iterator_traitsIS12_E10value_typeET2_T3_PNS13_IS18_E10value_typeET4_jRbjT5_S1E_jjP12ihipStream_tbEUljE_ZNSN_ISO_Lb0ESQ_SR_ST_SU_SY_EESZ_S10_S11_S12_S16_S17_S18_S1B_S1C_jS1D_jS1E_S1E_jjS1G_bEUljE0_EEESZ_S10_S11_S18_S1C_S1E_T6_T7_T9_mT8_S1G_bDpT10_ENKUlT_T0_E_clISt17integral_constantIbLb0EES1U_EEDaS1P_S1Q_EUlS1P_E_NS1_11comp_targetILNS1_3genE4ELNS1_11target_archE910ELNS1_3gpuE8ELNS1_3repE0EEENS1_30default_config_static_selectorELNS0_4arch9wavefront6targetE1EEEvS12_, .Lfunc_end951-_ZN7rocprim17ROCPRIM_400000_NS6detail17trampoline_kernelINS0_13select_configILj256ELj13ELNS0_17block_load_methodE3ELS4_3ELS4_3ELNS0_20block_scan_algorithmE0ELj4294967295EEENS1_25partition_config_selectorILNS1_17partition_subalgoE4EjNS0_10empty_typeEbEEZZNS1_14partition_implILS8_4ELb0ES6_15HIP_vector_typeIjLj2EENS0_17counting_iteratorIjlEEPS9_SG_NS0_5tupleIJPjSI_NS0_16reverse_iteratorISI_EEEEENSH_IJSG_SG_SG_EEES9_SI_JZNS1_25segmented_radix_sort_implINS0_14default_configELb0EPKsPsPKlPlN2at6native12_GLOBAL__N_18offset_tEEE10hipError_tPvRmT1_PNSt15iterator_traitsIS12_E10value_typeET2_T3_PNS13_IS18_E10value_typeET4_jRbjT5_S1E_jjP12ihipStream_tbEUljE_ZNSN_ISO_Lb0ESQ_SR_ST_SU_SY_EESZ_S10_S11_S12_S16_S17_S18_S1B_S1C_jS1D_jS1E_S1E_jjS1G_bEUljE0_EEESZ_S10_S11_S18_S1C_S1E_T6_T7_T9_mT8_S1G_bDpT10_ENKUlT_T0_E_clISt17integral_constantIbLb0EES1U_EEDaS1P_S1Q_EUlS1P_E_NS1_11comp_targetILNS1_3genE4ELNS1_11target_archE910ELNS1_3gpuE8ELNS1_3repE0EEENS1_30default_config_static_selectorELNS0_4arch9wavefront6targetE1EEEvS12_
                                        ; -- End function
	.section	.AMDGPU.csdata,"",@progbits
; Kernel info:
; codeLenInByte = 13332
; NumSgprs: 94
; NumVgprs: 102
; NumAgprs: 0
; TotalNumVgprs: 102
; ScratchSize: 0
; MemoryBound: 0
; FloatMode: 240
; IeeeMode: 1
; LDSByteSize: 13340 bytes/workgroup (compile time only)
; SGPRBlocks: 11
; VGPRBlocks: 12
; NumSGPRsForWavesPerEU: 94
; NumVGPRsForWavesPerEU: 102
; AccumOffset: 104
; Occupancy: 4
; WaveLimiterHint : 1
; COMPUTE_PGM_RSRC2:SCRATCH_EN: 0
; COMPUTE_PGM_RSRC2:USER_SGPR: 6
; COMPUTE_PGM_RSRC2:TRAP_HANDLER: 0
; COMPUTE_PGM_RSRC2:TGID_X_EN: 1
; COMPUTE_PGM_RSRC2:TGID_Y_EN: 0
; COMPUTE_PGM_RSRC2:TGID_Z_EN: 0
; COMPUTE_PGM_RSRC2:TIDIG_COMP_CNT: 0
; COMPUTE_PGM_RSRC3_GFX90A:ACCUM_OFFSET: 25
; COMPUTE_PGM_RSRC3_GFX90A:TG_SPLIT: 0
	.section	.text._ZN7rocprim17ROCPRIM_400000_NS6detail17trampoline_kernelINS0_13select_configILj256ELj13ELNS0_17block_load_methodE3ELS4_3ELS4_3ELNS0_20block_scan_algorithmE0ELj4294967295EEENS1_25partition_config_selectorILNS1_17partition_subalgoE4EjNS0_10empty_typeEbEEZZNS1_14partition_implILS8_4ELb0ES6_15HIP_vector_typeIjLj2EENS0_17counting_iteratorIjlEEPS9_SG_NS0_5tupleIJPjSI_NS0_16reverse_iteratorISI_EEEEENSH_IJSG_SG_SG_EEES9_SI_JZNS1_25segmented_radix_sort_implINS0_14default_configELb0EPKsPsPKlPlN2at6native12_GLOBAL__N_18offset_tEEE10hipError_tPvRmT1_PNSt15iterator_traitsIS12_E10value_typeET2_T3_PNS13_IS18_E10value_typeET4_jRbjT5_S1E_jjP12ihipStream_tbEUljE_ZNSN_ISO_Lb0ESQ_SR_ST_SU_SY_EESZ_S10_S11_S12_S16_S17_S18_S1B_S1C_jS1D_jS1E_S1E_jjS1G_bEUljE0_EEESZ_S10_S11_S18_S1C_S1E_T6_T7_T9_mT8_S1G_bDpT10_ENKUlT_T0_E_clISt17integral_constantIbLb0EES1U_EEDaS1P_S1Q_EUlS1P_E_NS1_11comp_targetILNS1_3genE3ELNS1_11target_archE908ELNS1_3gpuE7ELNS1_3repE0EEENS1_30default_config_static_selectorELNS0_4arch9wavefront6targetE1EEEvS12_,"axG",@progbits,_ZN7rocprim17ROCPRIM_400000_NS6detail17trampoline_kernelINS0_13select_configILj256ELj13ELNS0_17block_load_methodE3ELS4_3ELS4_3ELNS0_20block_scan_algorithmE0ELj4294967295EEENS1_25partition_config_selectorILNS1_17partition_subalgoE4EjNS0_10empty_typeEbEEZZNS1_14partition_implILS8_4ELb0ES6_15HIP_vector_typeIjLj2EENS0_17counting_iteratorIjlEEPS9_SG_NS0_5tupleIJPjSI_NS0_16reverse_iteratorISI_EEEEENSH_IJSG_SG_SG_EEES9_SI_JZNS1_25segmented_radix_sort_implINS0_14default_configELb0EPKsPsPKlPlN2at6native12_GLOBAL__N_18offset_tEEE10hipError_tPvRmT1_PNSt15iterator_traitsIS12_E10value_typeET2_T3_PNS13_IS18_E10value_typeET4_jRbjT5_S1E_jjP12ihipStream_tbEUljE_ZNSN_ISO_Lb0ESQ_SR_ST_SU_SY_EESZ_S10_S11_S12_S16_S17_S18_S1B_S1C_jS1D_jS1E_S1E_jjS1G_bEUljE0_EEESZ_S10_S11_S18_S1C_S1E_T6_T7_T9_mT8_S1G_bDpT10_ENKUlT_T0_E_clISt17integral_constantIbLb0EES1U_EEDaS1P_S1Q_EUlS1P_E_NS1_11comp_targetILNS1_3genE3ELNS1_11target_archE908ELNS1_3gpuE7ELNS1_3repE0EEENS1_30default_config_static_selectorELNS0_4arch9wavefront6targetE1EEEvS12_,comdat
	.globl	_ZN7rocprim17ROCPRIM_400000_NS6detail17trampoline_kernelINS0_13select_configILj256ELj13ELNS0_17block_load_methodE3ELS4_3ELS4_3ELNS0_20block_scan_algorithmE0ELj4294967295EEENS1_25partition_config_selectorILNS1_17partition_subalgoE4EjNS0_10empty_typeEbEEZZNS1_14partition_implILS8_4ELb0ES6_15HIP_vector_typeIjLj2EENS0_17counting_iteratorIjlEEPS9_SG_NS0_5tupleIJPjSI_NS0_16reverse_iteratorISI_EEEEENSH_IJSG_SG_SG_EEES9_SI_JZNS1_25segmented_radix_sort_implINS0_14default_configELb0EPKsPsPKlPlN2at6native12_GLOBAL__N_18offset_tEEE10hipError_tPvRmT1_PNSt15iterator_traitsIS12_E10value_typeET2_T3_PNS13_IS18_E10value_typeET4_jRbjT5_S1E_jjP12ihipStream_tbEUljE_ZNSN_ISO_Lb0ESQ_SR_ST_SU_SY_EESZ_S10_S11_S12_S16_S17_S18_S1B_S1C_jS1D_jS1E_S1E_jjS1G_bEUljE0_EEESZ_S10_S11_S18_S1C_S1E_T6_T7_T9_mT8_S1G_bDpT10_ENKUlT_T0_E_clISt17integral_constantIbLb0EES1U_EEDaS1P_S1Q_EUlS1P_E_NS1_11comp_targetILNS1_3genE3ELNS1_11target_archE908ELNS1_3gpuE7ELNS1_3repE0EEENS1_30default_config_static_selectorELNS0_4arch9wavefront6targetE1EEEvS12_ ; -- Begin function _ZN7rocprim17ROCPRIM_400000_NS6detail17trampoline_kernelINS0_13select_configILj256ELj13ELNS0_17block_load_methodE3ELS4_3ELS4_3ELNS0_20block_scan_algorithmE0ELj4294967295EEENS1_25partition_config_selectorILNS1_17partition_subalgoE4EjNS0_10empty_typeEbEEZZNS1_14partition_implILS8_4ELb0ES6_15HIP_vector_typeIjLj2EENS0_17counting_iteratorIjlEEPS9_SG_NS0_5tupleIJPjSI_NS0_16reverse_iteratorISI_EEEEENSH_IJSG_SG_SG_EEES9_SI_JZNS1_25segmented_radix_sort_implINS0_14default_configELb0EPKsPsPKlPlN2at6native12_GLOBAL__N_18offset_tEEE10hipError_tPvRmT1_PNSt15iterator_traitsIS12_E10value_typeET2_T3_PNS13_IS18_E10value_typeET4_jRbjT5_S1E_jjP12ihipStream_tbEUljE_ZNSN_ISO_Lb0ESQ_SR_ST_SU_SY_EESZ_S10_S11_S12_S16_S17_S18_S1B_S1C_jS1D_jS1E_S1E_jjS1G_bEUljE0_EEESZ_S10_S11_S18_S1C_S1E_T6_T7_T9_mT8_S1G_bDpT10_ENKUlT_T0_E_clISt17integral_constantIbLb0EES1U_EEDaS1P_S1Q_EUlS1P_E_NS1_11comp_targetILNS1_3genE3ELNS1_11target_archE908ELNS1_3gpuE7ELNS1_3repE0EEENS1_30default_config_static_selectorELNS0_4arch9wavefront6targetE1EEEvS12_
	.p2align	8
	.type	_ZN7rocprim17ROCPRIM_400000_NS6detail17trampoline_kernelINS0_13select_configILj256ELj13ELNS0_17block_load_methodE3ELS4_3ELS4_3ELNS0_20block_scan_algorithmE0ELj4294967295EEENS1_25partition_config_selectorILNS1_17partition_subalgoE4EjNS0_10empty_typeEbEEZZNS1_14partition_implILS8_4ELb0ES6_15HIP_vector_typeIjLj2EENS0_17counting_iteratorIjlEEPS9_SG_NS0_5tupleIJPjSI_NS0_16reverse_iteratorISI_EEEEENSH_IJSG_SG_SG_EEES9_SI_JZNS1_25segmented_radix_sort_implINS0_14default_configELb0EPKsPsPKlPlN2at6native12_GLOBAL__N_18offset_tEEE10hipError_tPvRmT1_PNSt15iterator_traitsIS12_E10value_typeET2_T3_PNS13_IS18_E10value_typeET4_jRbjT5_S1E_jjP12ihipStream_tbEUljE_ZNSN_ISO_Lb0ESQ_SR_ST_SU_SY_EESZ_S10_S11_S12_S16_S17_S18_S1B_S1C_jS1D_jS1E_S1E_jjS1G_bEUljE0_EEESZ_S10_S11_S18_S1C_S1E_T6_T7_T9_mT8_S1G_bDpT10_ENKUlT_T0_E_clISt17integral_constantIbLb0EES1U_EEDaS1P_S1Q_EUlS1P_E_NS1_11comp_targetILNS1_3genE3ELNS1_11target_archE908ELNS1_3gpuE7ELNS1_3repE0EEENS1_30default_config_static_selectorELNS0_4arch9wavefront6targetE1EEEvS12_,@function
_ZN7rocprim17ROCPRIM_400000_NS6detail17trampoline_kernelINS0_13select_configILj256ELj13ELNS0_17block_load_methodE3ELS4_3ELS4_3ELNS0_20block_scan_algorithmE0ELj4294967295EEENS1_25partition_config_selectorILNS1_17partition_subalgoE4EjNS0_10empty_typeEbEEZZNS1_14partition_implILS8_4ELb0ES6_15HIP_vector_typeIjLj2EENS0_17counting_iteratorIjlEEPS9_SG_NS0_5tupleIJPjSI_NS0_16reverse_iteratorISI_EEEEENSH_IJSG_SG_SG_EEES9_SI_JZNS1_25segmented_radix_sort_implINS0_14default_configELb0EPKsPsPKlPlN2at6native12_GLOBAL__N_18offset_tEEE10hipError_tPvRmT1_PNSt15iterator_traitsIS12_E10value_typeET2_T3_PNS13_IS18_E10value_typeET4_jRbjT5_S1E_jjP12ihipStream_tbEUljE_ZNSN_ISO_Lb0ESQ_SR_ST_SU_SY_EESZ_S10_S11_S12_S16_S17_S18_S1B_S1C_jS1D_jS1E_S1E_jjS1G_bEUljE0_EEESZ_S10_S11_S18_S1C_S1E_T6_T7_T9_mT8_S1G_bDpT10_ENKUlT_T0_E_clISt17integral_constantIbLb0EES1U_EEDaS1P_S1Q_EUlS1P_E_NS1_11comp_targetILNS1_3genE3ELNS1_11target_archE908ELNS1_3gpuE7ELNS1_3repE0EEENS1_30default_config_static_selectorELNS0_4arch9wavefront6targetE1EEEvS12_: ; @_ZN7rocprim17ROCPRIM_400000_NS6detail17trampoline_kernelINS0_13select_configILj256ELj13ELNS0_17block_load_methodE3ELS4_3ELS4_3ELNS0_20block_scan_algorithmE0ELj4294967295EEENS1_25partition_config_selectorILNS1_17partition_subalgoE4EjNS0_10empty_typeEbEEZZNS1_14partition_implILS8_4ELb0ES6_15HIP_vector_typeIjLj2EENS0_17counting_iteratorIjlEEPS9_SG_NS0_5tupleIJPjSI_NS0_16reverse_iteratorISI_EEEEENSH_IJSG_SG_SG_EEES9_SI_JZNS1_25segmented_radix_sort_implINS0_14default_configELb0EPKsPsPKlPlN2at6native12_GLOBAL__N_18offset_tEEE10hipError_tPvRmT1_PNSt15iterator_traitsIS12_E10value_typeET2_T3_PNS13_IS18_E10value_typeET4_jRbjT5_S1E_jjP12ihipStream_tbEUljE_ZNSN_ISO_Lb0ESQ_SR_ST_SU_SY_EESZ_S10_S11_S12_S16_S17_S18_S1B_S1C_jS1D_jS1E_S1E_jjS1G_bEUljE0_EEESZ_S10_S11_S18_S1C_S1E_T6_T7_T9_mT8_S1G_bDpT10_ENKUlT_T0_E_clISt17integral_constantIbLb0EES1U_EEDaS1P_S1Q_EUlS1P_E_NS1_11comp_targetILNS1_3genE3ELNS1_11target_archE908ELNS1_3gpuE7ELNS1_3repE0EEENS1_30default_config_static_selectorELNS0_4arch9wavefront6targetE1EEEvS12_
; %bb.0:
	.section	.rodata,"a",@progbits
	.p2align	6, 0x0
	.amdhsa_kernel _ZN7rocprim17ROCPRIM_400000_NS6detail17trampoline_kernelINS0_13select_configILj256ELj13ELNS0_17block_load_methodE3ELS4_3ELS4_3ELNS0_20block_scan_algorithmE0ELj4294967295EEENS1_25partition_config_selectorILNS1_17partition_subalgoE4EjNS0_10empty_typeEbEEZZNS1_14partition_implILS8_4ELb0ES6_15HIP_vector_typeIjLj2EENS0_17counting_iteratorIjlEEPS9_SG_NS0_5tupleIJPjSI_NS0_16reverse_iteratorISI_EEEEENSH_IJSG_SG_SG_EEES9_SI_JZNS1_25segmented_radix_sort_implINS0_14default_configELb0EPKsPsPKlPlN2at6native12_GLOBAL__N_18offset_tEEE10hipError_tPvRmT1_PNSt15iterator_traitsIS12_E10value_typeET2_T3_PNS13_IS18_E10value_typeET4_jRbjT5_S1E_jjP12ihipStream_tbEUljE_ZNSN_ISO_Lb0ESQ_SR_ST_SU_SY_EESZ_S10_S11_S12_S16_S17_S18_S1B_S1C_jS1D_jS1E_S1E_jjS1G_bEUljE0_EEESZ_S10_S11_S18_S1C_S1E_T6_T7_T9_mT8_S1G_bDpT10_ENKUlT_T0_E_clISt17integral_constantIbLb0EES1U_EEDaS1P_S1Q_EUlS1P_E_NS1_11comp_targetILNS1_3genE3ELNS1_11target_archE908ELNS1_3gpuE7ELNS1_3repE0EEENS1_30default_config_static_selectorELNS0_4arch9wavefront6targetE1EEEvS12_
		.amdhsa_group_segment_fixed_size 0
		.amdhsa_private_segment_fixed_size 0
		.amdhsa_kernarg_size 176
		.amdhsa_user_sgpr_count 6
		.amdhsa_user_sgpr_private_segment_buffer 1
		.amdhsa_user_sgpr_dispatch_ptr 0
		.amdhsa_user_sgpr_queue_ptr 0
		.amdhsa_user_sgpr_kernarg_segment_ptr 1
		.amdhsa_user_sgpr_dispatch_id 0
		.amdhsa_user_sgpr_flat_scratch_init 0
		.amdhsa_user_sgpr_kernarg_preload_length 0
		.amdhsa_user_sgpr_kernarg_preload_offset 0
		.amdhsa_user_sgpr_private_segment_size 0
		.amdhsa_uses_dynamic_stack 0
		.amdhsa_system_sgpr_private_segment_wavefront_offset 0
		.amdhsa_system_sgpr_workgroup_id_x 1
		.amdhsa_system_sgpr_workgroup_id_y 0
		.amdhsa_system_sgpr_workgroup_id_z 0
		.amdhsa_system_sgpr_workgroup_info 0
		.amdhsa_system_vgpr_workitem_id 0
		.amdhsa_next_free_vgpr 1
		.amdhsa_next_free_sgpr 0
		.amdhsa_accum_offset 4
		.amdhsa_reserve_vcc 0
		.amdhsa_reserve_flat_scratch 0
		.amdhsa_float_round_mode_32 0
		.amdhsa_float_round_mode_16_64 0
		.amdhsa_float_denorm_mode_32 3
		.amdhsa_float_denorm_mode_16_64 3
		.amdhsa_dx10_clamp 1
		.amdhsa_ieee_mode 1
		.amdhsa_fp16_overflow 0
		.amdhsa_tg_split 0
		.amdhsa_exception_fp_ieee_invalid_op 0
		.amdhsa_exception_fp_denorm_src 0
		.amdhsa_exception_fp_ieee_div_zero 0
		.amdhsa_exception_fp_ieee_overflow 0
		.amdhsa_exception_fp_ieee_underflow 0
		.amdhsa_exception_fp_ieee_inexact 0
		.amdhsa_exception_int_div_zero 0
	.end_amdhsa_kernel
	.section	.text._ZN7rocprim17ROCPRIM_400000_NS6detail17trampoline_kernelINS0_13select_configILj256ELj13ELNS0_17block_load_methodE3ELS4_3ELS4_3ELNS0_20block_scan_algorithmE0ELj4294967295EEENS1_25partition_config_selectorILNS1_17partition_subalgoE4EjNS0_10empty_typeEbEEZZNS1_14partition_implILS8_4ELb0ES6_15HIP_vector_typeIjLj2EENS0_17counting_iteratorIjlEEPS9_SG_NS0_5tupleIJPjSI_NS0_16reverse_iteratorISI_EEEEENSH_IJSG_SG_SG_EEES9_SI_JZNS1_25segmented_radix_sort_implINS0_14default_configELb0EPKsPsPKlPlN2at6native12_GLOBAL__N_18offset_tEEE10hipError_tPvRmT1_PNSt15iterator_traitsIS12_E10value_typeET2_T3_PNS13_IS18_E10value_typeET4_jRbjT5_S1E_jjP12ihipStream_tbEUljE_ZNSN_ISO_Lb0ESQ_SR_ST_SU_SY_EESZ_S10_S11_S12_S16_S17_S18_S1B_S1C_jS1D_jS1E_S1E_jjS1G_bEUljE0_EEESZ_S10_S11_S18_S1C_S1E_T6_T7_T9_mT8_S1G_bDpT10_ENKUlT_T0_E_clISt17integral_constantIbLb0EES1U_EEDaS1P_S1Q_EUlS1P_E_NS1_11comp_targetILNS1_3genE3ELNS1_11target_archE908ELNS1_3gpuE7ELNS1_3repE0EEENS1_30default_config_static_selectorELNS0_4arch9wavefront6targetE1EEEvS12_,"axG",@progbits,_ZN7rocprim17ROCPRIM_400000_NS6detail17trampoline_kernelINS0_13select_configILj256ELj13ELNS0_17block_load_methodE3ELS4_3ELS4_3ELNS0_20block_scan_algorithmE0ELj4294967295EEENS1_25partition_config_selectorILNS1_17partition_subalgoE4EjNS0_10empty_typeEbEEZZNS1_14partition_implILS8_4ELb0ES6_15HIP_vector_typeIjLj2EENS0_17counting_iteratorIjlEEPS9_SG_NS0_5tupleIJPjSI_NS0_16reverse_iteratorISI_EEEEENSH_IJSG_SG_SG_EEES9_SI_JZNS1_25segmented_radix_sort_implINS0_14default_configELb0EPKsPsPKlPlN2at6native12_GLOBAL__N_18offset_tEEE10hipError_tPvRmT1_PNSt15iterator_traitsIS12_E10value_typeET2_T3_PNS13_IS18_E10value_typeET4_jRbjT5_S1E_jjP12ihipStream_tbEUljE_ZNSN_ISO_Lb0ESQ_SR_ST_SU_SY_EESZ_S10_S11_S12_S16_S17_S18_S1B_S1C_jS1D_jS1E_S1E_jjS1G_bEUljE0_EEESZ_S10_S11_S18_S1C_S1E_T6_T7_T9_mT8_S1G_bDpT10_ENKUlT_T0_E_clISt17integral_constantIbLb0EES1U_EEDaS1P_S1Q_EUlS1P_E_NS1_11comp_targetILNS1_3genE3ELNS1_11target_archE908ELNS1_3gpuE7ELNS1_3repE0EEENS1_30default_config_static_selectorELNS0_4arch9wavefront6targetE1EEEvS12_,comdat
.Lfunc_end952:
	.size	_ZN7rocprim17ROCPRIM_400000_NS6detail17trampoline_kernelINS0_13select_configILj256ELj13ELNS0_17block_load_methodE3ELS4_3ELS4_3ELNS0_20block_scan_algorithmE0ELj4294967295EEENS1_25partition_config_selectorILNS1_17partition_subalgoE4EjNS0_10empty_typeEbEEZZNS1_14partition_implILS8_4ELb0ES6_15HIP_vector_typeIjLj2EENS0_17counting_iteratorIjlEEPS9_SG_NS0_5tupleIJPjSI_NS0_16reverse_iteratorISI_EEEEENSH_IJSG_SG_SG_EEES9_SI_JZNS1_25segmented_radix_sort_implINS0_14default_configELb0EPKsPsPKlPlN2at6native12_GLOBAL__N_18offset_tEEE10hipError_tPvRmT1_PNSt15iterator_traitsIS12_E10value_typeET2_T3_PNS13_IS18_E10value_typeET4_jRbjT5_S1E_jjP12ihipStream_tbEUljE_ZNSN_ISO_Lb0ESQ_SR_ST_SU_SY_EESZ_S10_S11_S12_S16_S17_S18_S1B_S1C_jS1D_jS1E_S1E_jjS1G_bEUljE0_EEESZ_S10_S11_S18_S1C_S1E_T6_T7_T9_mT8_S1G_bDpT10_ENKUlT_T0_E_clISt17integral_constantIbLb0EES1U_EEDaS1P_S1Q_EUlS1P_E_NS1_11comp_targetILNS1_3genE3ELNS1_11target_archE908ELNS1_3gpuE7ELNS1_3repE0EEENS1_30default_config_static_selectorELNS0_4arch9wavefront6targetE1EEEvS12_, .Lfunc_end952-_ZN7rocprim17ROCPRIM_400000_NS6detail17trampoline_kernelINS0_13select_configILj256ELj13ELNS0_17block_load_methodE3ELS4_3ELS4_3ELNS0_20block_scan_algorithmE0ELj4294967295EEENS1_25partition_config_selectorILNS1_17partition_subalgoE4EjNS0_10empty_typeEbEEZZNS1_14partition_implILS8_4ELb0ES6_15HIP_vector_typeIjLj2EENS0_17counting_iteratorIjlEEPS9_SG_NS0_5tupleIJPjSI_NS0_16reverse_iteratorISI_EEEEENSH_IJSG_SG_SG_EEES9_SI_JZNS1_25segmented_radix_sort_implINS0_14default_configELb0EPKsPsPKlPlN2at6native12_GLOBAL__N_18offset_tEEE10hipError_tPvRmT1_PNSt15iterator_traitsIS12_E10value_typeET2_T3_PNS13_IS18_E10value_typeET4_jRbjT5_S1E_jjP12ihipStream_tbEUljE_ZNSN_ISO_Lb0ESQ_SR_ST_SU_SY_EESZ_S10_S11_S12_S16_S17_S18_S1B_S1C_jS1D_jS1E_S1E_jjS1G_bEUljE0_EEESZ_S10_S11_S18_S1C_S1E_T6_T7_T9_mT8_S1G_bDpT10_ENKUlT_T0_E_clISt17integral_constantIbLb0EES1U_EEDaS1P_S1Q_EUlS1P_E_NS1_11comp_targetILNS1_3genE3ELNS1_11target_archE908ELNS1_3gpuE7ELNS1_3repE0EEENS1_30default_config_static_selectorELNS0_4arch9wavefront6targetE1EEEvS12_
                                        ; -- End function
	.section	.AMDGPU.csdata,"",@progbits
; Kernel info:
; codeLenInByte = 0
; NumSgprs: 4
; NumVgprs: 0
; NumAgprs: 0
; TotalNumVgprs: 0
; ScratchSize: 0
; MemoryBound: 0
; FloatMode: 240
; IeeeMode: 1
; LDSByteSize: 0 bytes/workgroup (compile time only)
; SGPRBlocks: 0
; VGPRBlocks: 0
; NumSGPRsForWavesPerEU: 4
; NumVGPRsForWavesPerEU: 1
; AccumOffset: 4
; Occupancy: 8
; WaveLimiterHint : 0
; COMPUTE_PGM_RSRC2:SCRATCH_EN: 0
; COMPUTE_PGM_RSRC2:USER_SGPR: 6
; COMPUTE_PGM_RSRC2:TRAP_HANDLER: 0
; COMPUTE_PGM_RSRC2:TGID_X_EN: 1
; COMPUTE_PGM_RSRC2:TGID_Y_EN: 0
; COMPUTE_PGM_RSRC2:TGID_Z_EN: 0
; COMPUTE_PGM_RSRC2:TIDIG_COMP_CNT: 0
; COMPUTE_PGM_RSRC3_GFX90A:ACCUM_OFFSET: 0
; COMPUTE_PGM_RSRC3_GFX90A:TG_SPLIT: 0
	.section	.text._ZN7rocprim17ROCPRIM_400000_NS6detail17trampoline_kernelINS0_13select_configILj256ELj13ELNS0_17block_load_methodE3ELS4_3ELS4_3ELNS0_20block_scan_algorithmE0ELj4294967295EEENS1_25partition_config_selectorILNS1_17partition_subalgoE4EjNS0_10empty_typeEbEEZZNS1_14partition_implILS8_4ELb0ES6_15HIP_vector_typeIjLj2EENS0_17counting_iteratorIjlEEPS9_SG_NS0_5tupleIJPjSI_NS0_16reverse_iteratorISI_EEEEENSH_IJSG_SG_SG_EEES9_SI_JZNS1_25segmented_radix_sort_implINS0_14default_configELb0EPKsPsPKlPlN2at6native12_GLOBAL__N_18offset_tEEE10hipError_tPvRmT1_PNSt15iterator_traitsIS12_E10value_typeET2_T3_PNS13_IS18_E10value_typeET4_jRbjT5_S1E_jjP12ihipStream_tbEUljE_ZNSN_ISO_Lb0ESQ_SR_ST_SU_SY_EESZ_S10_S11_S12_S16_S17_S18_S1B_S1C_jS1D_jS1E_S1E_jjS1G_bEUljE0_EEESZ_S10_S11_S18_S1C_S1E_T6_T7_T9_mT8_S1G_bDpT10_ENKUlT_T0_E_clISt17integral_constantIbLb0EES1U_EEDaS1P_S1Q_EUlS1P_E_NS1_11comp_targetILNS1_3genE2ELNS1_11target_archE906ELNS1_3gpuE6ELNS1_3repE0EEENS1_30default_config_static_selectorELNS0_4arch9wavefront6targetE1EEEvS12_,"axG",@progbits,_ZN7rocprim17ROCPRIM_400000_NS6detail17trampoline_kernelINS0_13select_configILj256ELj13ELNS0_17block_load_methodE3ELS4_3ELS4_3ELNS0_20block_scan_algorithmE0ELj4294967295EEENS1_25partition_config_selectorILNS1_17partition_subalgoE4EjNS0_10empty_typeEbEEZZNS1_14partition_implILS8_4ELb0ES6_15HIP_vector_typeIjLj2EENS0_17counting_iteratorIjlEEPS9_SG_NS0_5tupleIJPjSI_NS0_16reverse_iteratorISI_EEEEENSH_IJSG_SG_SG_EEES9_SI_JZNS1_25segmented_radix_sort_implINS0_14default_configELb0EPKsPsPKlPlN2at6native12_GLOBAL__N_18offset_tEEE10hipError_tPvRmT1_PNSt15iterator_traitsIS12_E10value_typeET2_T3_PNS13_IS18_E10value_typeET4_jRbjT5_S1E_jjP12ihipStream_tbEUljE_ZNSN_ISO_Lb0ESQ_SR_ST_SU_SY_EESZ_S10_S11_S12_S16_S17_S18_S1B_S1C_jS1D_jS1E_S1E_jjS1G_bEUljE0_EEESZ_S10_S11_S18_S1C_S1E_T6_T7_T9_mT8_S1G_bDpT10_ENKUlT_T0_E_clISt17integral_constantIbLb0EES1U_EEDaS1P_S1Q_EUlS1P_E_NS1_11comp_targetILNS1_3genE2ELNS1_11target_archE906ELNS1_3gpuE6ELNS1_3repE0EEENS1_30default_config_static_selectorELNS0_4arch9wavefront6targetE1EEEvS12_,comdat
	.globl	_ZN7rocprim17ROCPRIM_400000_NS6detail17trampoline_kernelINS0_13select_configILj256ELj13ELNS0_17block_load_methodE3ELS4_3ELS4_3ELNS0_20block_scan_algorithmE0ELj4294967295EEENS1_25partition_config_selectorILNS1_17partition_subalgoE4EjNS0_10empty_typeEbEEZZNS1_14partition_implILS8_4ELb0ES6_15HIP_vector_typeIjLj2EENS0_17counting_iteratorIjlEEPS9_SG_NS0_5tupleIJPjSI_NS0_16reverse_iteratorISI_EEEEENSH_IJSG_SG_SG_EEES9_SI_JZNS1_25segmented_radix_sort_implINS0_14default_configELb0EPKsPsPKlPlN2at6native12_GLOBAL__N_18offset_tEEE10hipError_tPvRmT1_PNSt15iterator_traitsIS12_E10value_typeET2_T3_PNS13_IS18_E10value_typeET4_jRbjT5_S1E_jjP12ihipStream_tbEUljE_ZNSN_ISO_Lb0ESQ_SR_ST_SU_SY_EESZ_S10_S11_S12_S16_S17_S18_S1B_S1C_jS1D_jS1E_S1E_jjS1G_bEUljE0_EEESZ_S10_S11_S18_S1C_S1E_T6_T7_T9_mT8_S1G_bDpT10_ENKUlT_T0_E_clISt17integral_constantIbLb0EES1U_EEDaS1P_S1Q_EUlS1P_E_NS1_11comp_targetILNS1_3genE2ELNS1_11target_archE906ELNS1_3gpuE6ELNS1_3repE0EEENS1_30default_config_static_selectorELNS0_4arch9wavefront6targetE1EEEvS12_ ; -- Begin function _ZN7rocprim17ROCPRIM_400000_NS6detail17trampoline_kernelINS0_13select_configILj256ELj13ELNS0_17block_load_methodE3ELS4_3ELS4_3ELNS0_20block_scan_algorithmE0ELj4294967295EEENS1_25partition_config_selectorILNS1_17partition_subalgoE4EjNS0_10empty_typeEbEEZZNS1_14partition_implILS8_4ELb0ES6_15HIP_vector_typeIjLj2EENS0_17counting_iteratorIjlEEPS9_SG_NS0_5tupleIJPjSI_NS0_16reverse_iteratorISI_EEEEENSH_IJSG_SG_SG_EEES9_SI_JZNS1_25segmented_radix_sort_implINS0_14default_configELb0EPKsPsPKlPlN2at6native12_GLOBAL__N_18offset_tEEE10hipError_tPvRmT1_PNSt15iterator_traitsIS12_E10value_typeET2_T3_PNS13_IS18_E10value_typeET4_jRbjT5_S1E_jjP12ihipStream_tbEUljE_ZNSN_ISO_Lb0ESQ_SR_ST_SU_SY_EESZ_S10_S11_S12_S16_S17_S18_S1B_S1C_jS1D_jS1E_S1E_jjS1G_bEUljE0_EEESZ_S10_S11_S18_S1C_S1E_T6_T7_T9_mT8_S1G_bDpT10_ENKUlT_T0_E_clISt17integral_constantIbLb0EES1U_EEDaS1P_S1Q_EUlS1P_E_NS1_11comp_targetILNS1_3genE2ELNS1_11target_archE906ELNS1_3gpuE6ELNS1_3repE0EEENS1_30default_config_static_selectorELNS0_4arch9wavefront6targetE1EEEvS12_
	.p2align	8
	.type	_ZN7rocprim17ROCPRIM_400000_NS6detail17trampoline_kernelINS0_13select_configILj256ELj13ELNS0_17block_load_methodE3ELS4_3ELS4_3ELNS0_20block_scan_algorithmE0ELj4294967295EEENS1_25partition_config_selectorILNS1_17partition_subalgoE4EjNS0_10empty_typeEbEEZZNS1_14partition_implILS8_4ELb0ES6_15HIP_vector_typeIjLj2EENS0_17counting_iteratorIjlEEPS9_SG_NS0_5tupleIJPjSI_NS0_16reverse_iteratorISI_EEEEENSH_IJSG_SG_SG_EEES9_SI_JZNS1_25segmented_radix_sort_implINS0_14default_configELb0EPKsPsPKlPlN2at6native12_GLOBAL__N_18offset_tEEE10hipError_tPvRmT1_PNSt15iterator_traitsIS12_E10value_typeET2_T3_PNS13_IS18_E10value_typeET4_jRbjT5_S1E_jjP12ihipStream_tbEUljE_ZNSN_ISO_Lb0ESQ_SR_ST_SU_SY_EESZ_S10_S11_S12_S16_S17_S18_S1B_S1C_jS1D_jS1E_S1E_jjS1G_bEUljE0_EEESZ_S10_S11_S18_S1C_S1E_T6_T7_T9_mT8_S1G_bDpT10_ENKUlT_T0_E_clISt17integral_constantIbLb0EES1U_EEDaS1P_S1Q_EUlS1P_E_NS1_11comp_targetILNS1_3genE2ELNS1_11target_archE906ELNS1_3gpuE6ELNS1_3repE0EEENS1_30default_config_static_selectorELNS0_4arch9wavefront6targetE1EEEvS12_,@function
_ZN7rocprim17ROCPRIM_400000_NS6detail17trampoline_kernelINS0_13select_configILj256ELj13ELNS0_17block_load_methodE3ELS4_3ELS4_3ELNS0_20block_scan_algorithmE0ELj4294967295EEENS1_25partition_config_selectorILNS1_17partition_subalgoE4EjNS0_10empty_typeEbEEZZNS1_14partition_implILS8_4ELb0ES6_15HIP_vector_typeIjLj2EENS0_17counting_iteratorIjlEEPS9_SG_NS0_5tupleIJPjSI_NS0_16reverse_iteratorISI_EEEEENSH_IJSG_SG_SG_EEES9_SI_JZNS1_25segmented_radix_sort_implINS0_14default_configELb0EPKsPsPKlPlN2at6native12_GLOBAL__N_18offset_tEEE10hipError_tPvRmT1_PNSt15iterator_traitsIS12_E10value_typeET2_T3_PNS13_IS18_E10value_typeET4_jRbjT5_S1E_jjP12ihipStream_tbEUljE_ZNSN_ISO_Lb0ESQ_SR_ST_SU_SY_EESZ_S10_S11_S12_S16_S17_S18_S1B_S1C_jS1D_jS1E_S1E_jjS1G_bEUljE0_EEESZ_S10_S11_S18_S1C_S1E_T6_T7_T9_mT8_S1G_bDpT10_ENKUlT_T0_E_clISt17integral_constantIbLb0EES1U_EEDaS1P_S1Q_EUlS1P_E_NS1_11comp_targetILNS1_3genE2ELNS1_11target_archE906ELNS1_3gpuE6ELNS1_3repE0EEENS1_30default_config_static_selectorELNS0_4arch9wavefront6targetE1EEEvS12_: ; @_ZN7rocprim17ROCPRIM_400000_NS6detail17trampoline_kernelINS0_13select_configILj256ELj13ELNS0_17block_load_methodE3ELS4_3ELS4_3ELNS0_20block_scan_algorithmE0ELj4294967295EEENS1_25partition_config_selectorILNS1_17partition_subalgoE4EjNS0_10empty_typeEbEEZZNS1_14partition_implILS8_4ELb0ES6_15HIP_vector_typeIjLj2EENS0_17counting_iteratorIjlEEPS9_SG_NS0_5tupleIJPjSI_NS0_16reverse_iteratorISI_EEEEENSH_IJSG_SG_SG_EEES9_SI_JZNS1_25segmented_radix_sort_implINS0_14default_configELb0EPKsPsPKlPlN2at6native12_GLOBAL__N_18offset_tEEE10hipError_tPvRmT1_PNSt15iterator_traitsIS12_E10value_typeET2_T3_PNS13_IS18_E10value_typeET4_jRbjT5_S1E_jjP12ihipStream_tbEUljE_ZNSN_ISO_Lb0ESQ_SR_ST_SU_SY_EESZ_S10_S11_S12_S16_S17_S18_S1B_S1C_jS1D_jS1E_S1E_jjS1G_bEUljE0_EEESZ_S10_S11_S18_S1C_S1E_T6_T7_T9_mT8_S1G_bDpT10_ENKUlT_T0_E_clISt17integral_constantIbLb0EES1U_EEDaS1P_S1Q_EUlS1P_E_NS1_11comp_targetILNS1_3genE2ELNS1_11target_archE906ELNS1_3gpuE6ELNS1_3repE0EEENS1_30default_config_static_selectorELNS0_4arch9wavefront6targetE1EEEvS12_
; %bb.0:
	.section	.rodata,"a",@progbits
	.p2align	6, 0x0
	.amdhsa_kernel _ZN7rocprim17ROCPRIM_400000_NS6detail17trampoline_kernelINS0_13select_configILj256ELj13ELNS0_17block_load_methodE3ELS4_3ELS4_3ELNS0_20block_scan_algorithmE0ELj4294967295EEENS1_25partition_config_selectorILNS1_17partition_subalgoE4EjNS0_10empty_typeEbEEZZNS1_14partition_implILS8_4ELb0ES6_15HIP_vector_typeIjLj2EENS0_17counting_iteratorIjlEEPS9_SG_NS0_5tupleIJPjSI_NS0_16reverse_iteratorISI_EEEEENSH_IJSG_SG_SG_EEES9_SI_JZNS1_25segmented_radix_sort_implINS0_14default_configELb0EPKsPsPKlPlN2at6native12_GLOBAL__N_18offset_tEEE10hipError_tPvRmT1_PNSt15iterator_traitsIS12_E10value_typeET2_T3_PNS13_IS18_E10value_typeET4_jRbjT5_S1E_jjP12ihipStream_tbEUljE_ZNSN_ISO_Lb0ESQ_SR_ST_SU_SY_EESZ_S10_S11_S12_S16_S17_S18_S1B_S1C_jS1D_jS1E_S1E_jjS1G_bEUljE0_EEESZ_S10_S11_S18_S1C_S1E_T6_T7_T9_mT8_S1G_bDpT10_ENKUlT_T0_E_clISt17integral_constantIbLb0EES1U_EEDaS1P_S1Q_EUlS1P_E_NS1_11comp_targetILNS1_3genE2ELNS1_11target_archE906ELNS1_3gpuE6ELNS1_3repE0EEENS1_30default_config_static_selectorELNS0_4arch9wavefront6targetE1EEEvS12_
		.amdhsa_group_segment_fixed_size 0
		.amdhsa_private_segment_fixed_size 0
		.amdhsa_kernarg_size 176
		.amdhsa_user_sgpr_count 6
		.amdhsa_user_sgpr_private_segment_buffer 1
		.amdhsa_user_sgpr_dispatch_ptr 0
		.amdhsa_user_sgpr_queue_ptr 0
		.amdhsa_user_sgpr_kernarg_segment_ptr 1
		.amdhsa_user_sgpr_dispatch_id 0
		.amdhsa_user_sgpr_flat_scratch_init 0
		.amdhsa_user_sgpr_kernarg_preload_length 0
		.amdhsa_user_sgpr_kernarg_preload_offset 0
		.amdhsa_user_sgpr_private_segment_size 0
		.amdhsa_uses_dynamic_stack 0
		.amdhsa_system_sgpr_private_segment_wavefront_offset 0
		.amdhsa_system_sgpr_workgroup_id_x 1
		.amdhsa_system_sgpr_workgroup_id_y 0
		.amdhsa_system_sgpr_workgroup_id_z 0
		.amdhsa_system_sgpr_workgroup_info 0
		.amdhsa_system_vgpr_workitem_id 0
		.amdhsa_next_free_vgpr 1
		.amdhsa_next_free_sgpr 0
		.amdhsa_accum_offset 4
		.amdhsa_reserve_vcc 0
		.amdhsa_reserve_flat_scratch 0
		.amdhsa_float_round_mode_32 0
		.amdhsa_float_round_mode_16_64 0
		.amdhsa_float_denorm_mode_32 3
		.amdhsa_float_denorm_mode_16_64 3
		.amdhsa_dx10_clamp 1
		.amdhsa_ieee_mode 1
		.amdhsa_fp16_overflow 0
		.amdhsa_tg_split 0
		.amdhsa_exception_fp_ieee_invalid_op 0
		.amdhsa_exception_fp_denorm_src 0
		.amdhsa_exception_fp_ieee_div_zero 0
		.amdhsa_exception_fp_ieee_overflow 0
		.amdhsa_exception_fp_ieee_underflow 0
		.amdhsa_exception_fp_ieee_inexact 0
		.amdhsa_exception_int_div_zero 0
	.end_amdhsa_kernel
	.section	.text._ZN7rocprim17ROCPRIM_400000_NS6detail17trampoline_kernelINS0_13select_configILj256ELj13ELNS0_17block_load_methodE3ELS4_3ELS4_3ELNS0_20block_scan_algorithmE0ELj4294967295EEENS1_25partition_config_selectorILNS1_17partition_subalgoE4EjNS0_10empty_typeEbEEZZNS1_14partition_implILS8_4ELb0ES6_15HIP_vector_typeIjLj2EENS0_17counting_iteratorIjlEEPS9_SG_NS0_5tupleIJPjSI_NS0_16reverse_iteratorISI_EEEEENSH_IJSG_SG_SG_EEES9_SI_JZNS1_25segmented_radix_sort_implINS0_14default_configELb0EPKsPsPKlPlN2at6native12_GLOBAL__N_18offset_tEEE10hipError_tPvRmT1_PNSt15iterator_traitsIS12_E10value_typeET2_T3_PNS13_IS18_E10value_typeET4_jRbjT5_S1E_jjP12ihipStream_tbEUljE_ZNSN_ISO_Lb0ESQ_SR_ST_SU_SY_EESZ_S10_S11_S12_S16_S17_S18_S1B_S1C_jS1D_jS1E_S1E_jjS1G_bEUljE0_EEESZ_S10_S11_S18_S1C_S1E_T6_T7_T9_mT8_S1G_bDpT10_ENKUlT_T0_E_clISt17integral_constantIbLb0EES1U_EEDaS1P_S1Q_EUlS1P_E_NS1_11comp_targetILNS1_3genE2ELNS1_11target_archE906ELNS1_3gpuE6ELNS1_3repE0EEENS1_30default_config_static_selectorELNS0_4arch9wavefront6targetE1EEEvS12_,"axG",@progbits,_ZN7rocprim17ROCPRIM_400000_NS6detail17trampoline_kernelINS0_13select_configILj256ELj13ELNS0_17block_load_methodE3ELS4_3ELS4_3ELNS0_20block_scan_algorithmE0ELj4294967295EEENS1_25partition_config_selectorILNS1_17partition_subalgoE4EjNS0_10empty_typeEbEEZZNS1_14partition_implILS8_4ELb0ES6_15HIP_vector_typeIjLj2EENS0_17counting_iteratorIjlEEPS9_SG_NS0_5tupleIJPjSI_NS0_16reverse_iteratorISI_EEEEENSH_IJSG_SG_SG_EEES9_SI_JZNS1_25segmented_radix_sort_implINS0_14default_configELb0EPKsPsPKlPlN2at6native12_GLOBAL__N_18offset_tEEE10hipError_tPvRmT1_PNSt15iterator_traitsIS12_E10value_typeET2_T3_PNS13_IS18_E10value_typeET4_jRbjT5_S1E_jjP12ihipStream_tbEUljE_ZNSN_ISO_Lb0ESQ_SR_ST_SU_SY_EESZ_S10_S11_S12_S16_S17_S18_S1B_S1C_jS1D_jS1E_S1E_jjS1G_bEUljE0_EEESZ_S10_S11_S18_S1C_S1E_T6_T7_T9_mT8_S1G_bDpT10_ENKUlT_T0_E_clISt17integral_constantIbLb0EES1U_EEDaS1P_S1Q_EUlS1P_E_NS1_11comp_targetILNS1_3genE2ELNS1_11target_archE906ELNS1_3gpuE6ELNS1_3repE0EEENS1_30default_config_static_selectorELNS0_4arch9wavefront6targetE1EEEvS12_,comdat
.Lfunc_end953:
	.size	_ZN7rocprim17ROCPRIM_400000_NS6detail17trampoline_kernelINS0_13select_configILj256ELj13ELNS0_17block_load_methodE3ELS4_3ELS4_3ELNS0_20block_scan_algorithmE0ELj4294967295EEENS1_25partition_config_selectorILNS1_17partition_subalgoE4EjNS0_10empty_typeEbEEZZNS1_14partition_implILS8_4ELb0ES6_15HIP_vector_typeIjLj2EENS0_17counting_iteratorIjlEEPS9_SG_NS0_5tupleIJPjSI_NS0_16reverse_iteratorISI_EEEEENSH_IJSG_SG_SG_EEES9_SI_JZNS1_25segmented_radix_sort_implINS0_14default_configELb0EPKsPsPKlPlN2at6native12_GLOBAL__N_18offset_tEEE10hipError_tPvRmT1_PNSt15iterator_traitsIS12_E10value_typeET2_T3_PNS13_IS18_E10value_typeET4_jRbjT5_S1E_jjP12ihipStream_tbEUljE_ZNSN_ISO_Lb0ESQ_SR_ST_SU_SY_EESZ_S10_S11_S12_S16_S17_S18_S1B_S1C_jS1D_jS1E_S1E_jjS1G_bEUljE0_EEESZ_S10_S11_S18_S1C_S1E_T6_T7_T9_mT8_S1G_bDpT10_ENKUlT_T0_E_clISt17integral_constantIbLb0EES1U_EEDaS1P_S1Q_EUlS1P_E_NS1_11comp_targetILNS1_3genE2ELNS1_11target_archE906ELNS1_3gpuE6ELNS1_3repE0EEENS1_30default_config_static_selectorELNS0_4arch9wavefront6targetE1EEEvS12_, .Lfunc_end953-_ZN7rocprim17ROCPRIM_400000_NS6detail17trampoline_kernelINS0_13select_configILj256ELj13ELNS0_17block_load_methodE3ELS4_3ELS4_3ELNS0_20block_scan_algorithmE0ELj4294967295EEENS1_25partition_config_selectorILNS1_17partition_subalgoE4EjNS0_10empty_typeEbEEZZNS1_14partition_implILS8_4ELb0ES6_15HIP_vector_typeIjLj2EENS0_17counting_iteratorIjlEEPS9_SG_NS0_5tupleIJPjSI_NS0_16reverse_iteratorISI_EEEEENSH_IJSG_SG_SG_EEES9_SI_JZNS1_25segmented_radix_sort_implINS0_14default_configELb0EPKsPsPKlPlN2at6native12_GLOBAL__N_18offset_tEEE10hipError_tPvRmT1_PNSt15iterator_traitsIS12_E10value_typeET2_T3_PNS13_IS18_E10value_typeET4_jRbjT5_S1E_jjP12ihipStream_tbEUljE_ZNSN_ISO_Lb0ESQ_SR_ST_SU_SY_EESZ_S10_S11_S12_S16_S17_S18_S1B_S1C_jS1D_jS1E_S1E_jjS1G_bEUljE0_EEESZ_S10_S11_S18_S1C_S1E_T6_T7_T9_mT8_S1G_bDpT10_ENKUlT_T0_E_clISt17integral_constantIbLb0EES1U_EEDaS1P_S1Q_EUlS1P_E_NS1_11comp_targetILNS1_3genE2ELNS1_11target_archE906ELNS1_3gpuE6ELNS1_3repE0EEENS1_30default_config_static_selectorELNS0_4arch9wavefront6targetE1EEEvS12_
                                        ; -- End function
	.section	.AMDGPU.csdata,"",@progbits
; Kernel info:
; codeLenInByte = 0
; NumSgprs: 4
; NumVgprs: 0
; NumAgprs: 0
; TotalNumVgprs: 0
; ScratchSize: 0
; MemoryBound: 0
; FloatMode: 240
; IeeeMode: 1
; LDSByteSize: 0 bytes/workgroup (compile time only)
; SGPRBlocks: 0
; VGPRBlocks: 0
; NumSGPRsForWavesPerEU: 4
; NumVGPRsForWavesPerEU: 1
; AccumOffset: 4
; Occupancy: 8
; WaveLimiterHint : 0
; COMPUTE_PGM_RSRC2:SCRATCH_EN: 0
; COMPUTE_PGM_RSRC2:USER_SGPR: 6
; COMPUTE_PGM_RSRC2:TRAP_HANDLER: 0
; COMPUTE_PGM_RSRC2:TGID_X_EN: 1
; COMPUTE_PGM_RSRC2:TGID_Y_EN: 0
; COMPUTE_PGM_RSRC2:TGID_Z_EN: 0
; COMPUTE_PGM_RSRC2:TIDIG_COMP_CNT: 0
; COMPUTE_PGM_RSRC3_GFX90A:ACCUM_OFFSET: 0
; COMPUTE_PGM_RSRC3_GFX90A:TG_SPLIT: 0
	.section	.text._ZN7rocprim17ROCPRIM_400000_NS6detail17trampoline_kernelINS0_13select_configILj256ELj13ELNS0_17block_load_methodE3ELS4_3ELS4_3ELNS0_20block_scan_algorithmE0ELj4294967295EEENS1_25partition_config_selectorILNS1_17partition_subalgoE4EjNS0_10empty_typeEbEEZZNS1_14partition_implILS8_4ELb0ES6_15HIP_vector_typeIjLj2EENS0_17counting_iteratorIjlEEPS9_SG_NS0_5tupleIJPjSI_NS0_16reverse_iteratorISI_EEEEENSH_IJSG_SG_SG_EEES9_SI_JZNS1_25segmented_radix_sort_implINS0_14default_configELb0EPKsPsPKlPlN2at6native12_GLOBAL__N_18offset_tEEE10hipError_tPvRmT1_PNSt15iterator_traitsIS12_E10value_typeET2_T3_PNS13_IS18_E10value_typeET4_jRbjT5_S1E_jjP12ihipStream_tbEUljE_ZNSN_ISO_Lb0ESQ_SR_ST_SU_SY_EESZ_S10_S11_S12_S16_S17_S18_S1B_S1C_jS1D_jS1E_S1E_jjS1G_bEUljE0_EEESZ_S10_S11_S18_S1C_S1E_T6_T7_T9_mT8_S1G_bDpT10_ENKUlT_T0_E_clISt17integral_constantIbLb0EES1U_EEDaS1P_S1Q_EUlS1P_E_NS1_11comp_targetILNS1_3genE10ELNS1_11target_archE1200ELNS1_3gpuE4ELNS1_3repE0EEENS1_30default_config_static_selectorELNS0_4arch9wavefront6targetE1EEEvS12_,"axG",@progbits,_ZN7rocprim17ROCPRIM_400000_NS6detail17trampoline_kernelINS0_13select_configILj256ELj13ELNS0_17block_load_methodE3ELS4_3ELS4_3ELNS0_20block_scan_algorithmE0ELj4294967295EEENS1_25partition_config_selectorILNS1_17partition_subalgoE4EjNS0_10empty_typeEbEEZZNS1_14partition_implILS8_4ELb0ES6_15HIP_vector_typeIjLj2EENS0_17counting_iteratorIjlEEPS9_SG_NS0_5tupleIJPjSI_NS0_16reverse_iteratorISI_EEEEENSH_IJSG_SG_SG_EEES9_SI_JZNS1_25segmented_radix_sort_implINS0_14default_configELb0EPKsPsPKlPlN2at6native12_GLOBAL__N_18offset_tEEE10hipError_tPvRmT1_PNSt15iterator_traitsIS12_E10value_typeET2_T3_PNS13_IS18_E10value_typeET4_jRbjT5_S1E_jjP12ihipStream_tbEUljE_ZNSN_ISO_Lb0ESQ_SR_ST_SU_SY_EESZ_S10_S11_S12_S16_S17_S18_S1B_S1C_jS1D_jS1E_S1E_jjS1G_bEUljE0_EEESZ_S10_S11_S18_S1C_S1E_T6_T7_T9_mT8_S1G_bDpT10_ENKUlT_T0_E_clISt17integral_constantIbLb0EES1U_EEDaS1P_S1Q_EUlS1P_E_NS1_11comp_targetILNS1_3genE10ELNS1_11target_archE1200ELNS1_3gpuE4ELNS1_3repE0EEENS1_30default_config_static_selectorELNS0_4arch9wavefront6targetE1EEEvS12_,comdat
	.globl	_ZN7rocprim17ROCPRIM_400000_NS6detail17trampoline_kernelINS0_13select_configILj256ELj13ELNS0_17block_load_methodE3ELS4_3ELS4_3ELNS0_20block_scan_algorithmE0ELj4294967295EEENS1_25partition_config_selectorILNS1_17partition_subalgoE4EjNS0_10empty_typeEbEEZZNS1_14partition_implILS8_4ELb0ES6_15HIP_vector_typeIjLj2EENS0_17counting_iteratorIjlEEPS9_SG_NS0_5tupleIJPjSI_NS0_16reverse_iteratorISI_EEEEENSH_IJSG_SG_SG_EEES9_SI_JZNS1_25segmented_radix_sort_implINS0_14default_configELb0EPKsPsPKlPlN2at6native12_GLOBAL__N_18offset_tEEE10hipError_tPvRmT1_PNSt15iterator_traitsIS12_E10value_typeET2_T3_PNS13_IS18_E10value_typeET4_jRbjT5_S1E_jjP12ihipStream_tbEUljE_ZNSN_ISO_Lb0ESQ_SR_ST_SU_SY_EESZ_S10_S11_S12_S16_S17_S18_S1B_S1C_jS1D_jS1E_S1E_jjS1G_bEUljE0_EEESZ_S10_S11_S18_S1C_S1E_T6_T7_T9_mT8_S1G_bDpT10_ENKUlT_T0_E_clISt17integral_constantIbLb0EES1U_EEDaS1P_S1Q_EUlS1P_E_NS1_11comp_targetILNS1_3genE10ELNS1_11target_archE1200ELNS1_3gpuE4ELNS1_3repE0EEENS1_30default_config_static_selectorELNS0_4arch9wavefront6targetE1EEEvS12_ ; -- Begin function _ZN7rocprim17ROCPRIM_400000_NS6detail17trampoline_kernelINS0_13select_configILj256ELj13ELNS0_17block_load_methodE3ELS4_3ELS4_3ELNS0_20block_scan_algorithmE0ELj4294967295EEENS1_25partition_config_selectorILNS1_17partition_subalgoE4EjNS0_10empty_typeEbEEZZNS1_14partition_implILS8_4ELb0ES6_15HIP_vector_typeIjLj2EENS0_17counting_iteratorIjlEEPS9_SG_NS0_5tupleIJPjSI_NS0_16reverse_iteratorISI_EEEEENSH_IJSG_SG_SG_EEES9_SI_JZNS1_25segmented_radix_sort_implINS0_14default_configELb0EPKsPsPKlPlN2at6native12_GLOBAL__N_18offset_tEEE10hipError_tPvRmT1_PNSt15iterator_traitsIS12_E10value_typeET2_T3_PNS13_IS18_E10value_typeET4_jRbjT5_S1E_jjP12ihipStream_tbEUljE_ZNSN_ISO_Lb0ESQ_SR_ST_SU_SY_EESZ_S10_S11_S12_S16_S17_S18_S1B_S1C_jS1D_jS1E_S1E_jjS1G_bEUljE0_EEESZ_S10_S11_S18_S1C_S1E_T6_T7_T9_mT8_S1G_bDpT10_ENKUlT_T0_E_clISt17integral_constantIbLb0EES1U_EEDaS1P_S1Q_EUlS1P_E_NS1_11comp_targetILNS1_3genE10ELNS1_11target_archE1200ELNS1_3gpuE4ELNS1_3repE0EEENS1_30default_config_static_selectorELNS0_4arch9wavefront6targetE1EEEvS12_
	.p2align	8
	.type	_ZN7rocprim17ROCPRIM_400000_NS6detail17trampoline_kernelINS0_13select_configILj256ELj13ELNS0_17block_load_methodE3ELS4_3ELS4_3ELNS0_20block_scan_algorithmE0ELj4294967295EEENS1_25partition_config_selectorILNS1_17partition_subalgoE4EjNS0_10empty_typeEbEEZZNS1_14partition_implILS8_4ELb0ES6_15HIP_vector_typeIjLj2EENS0_17counting_iteratorIjlEEPS9_SG_NS0_5tupleIJPjSI_NS0_16reverse_iteratorISI_EEEEENSH_IJSG_SG_SG_EEES9_SI_JZNS1_25segmented_radix_sort_implINS0_14default_configELb0EPKsPsPKlPlN2at6native12_GLOBAL__N_18offset_tEEE10hipError_tPvRmT1_PNSt15iterator_traitsIS12_E10value_typeET2_T3_PNS13_IS18_E10value_typeET4_jRbjT5_S1E_jjP12ihipStream_tbEUljE_ZNSN_ISO_Lb0ESQ_SR_ST_SU_SY_EESZ_S10_S11_S12_S16_S17_S18_S1B_S1C_jS1D_jS1E_S1E_jjS1G_bEUljE0_EEESZ_S10_S11_S18_S1C_S1E_T6_T7_T9_mT8_S1G_bDpT10_ENKUlT_T0_E_clISt17integral_constantIbLb0EES1U_EEDaS1P_S1Q_EUlS1P_E_NS1_11comp_targetILNS1_3genE10ELNS1_11target_archE1200ELNS1_3gpuE4ELNS1_3repE0EEENS1_30default_config_static_selectorELNS0_4arch9wavefront6targetE1EEEvS12_,@function
_ZN7rocprim17ROCPRIM_400000_NS6detail17trampoline_kernelINS0_13select_configILj256ELj13ELNS0_17block_load_methodE3ELS4_3ELS4_3ELNS0_20block_scan_algorithmE0ELj4294967295EEENS1_25partition_config_selectorILNS1_17partition_subalgoE4EjNS0_10empty_typeEbEEZZNS1_14partition_implILS8_4ELb0ES6_15HIP_vector_typeIjLj2EENS0_17counting_iteratorIjlEEPS9_SG_NS0_5tupleIJPjSI_NS0_16reverse_iteratorISI_EEEEENSH_IJSG_SG_SG_EEES9_SI_JZNS1_25segmented_radix_sort_implINS0_14default_configELb0EPKsPsPKlPlN2at6native12_GLOBAL__N_18offset_tEEE10hipError_tPvRmT1_PNSt15iterator_traitsIS12_E10value_typeET2_T3_PNS13_IS18_E10value_typeET4_jRbjT5_S1E_jjP12ihipStream_tbEUljE_ZNSN_ISO_Lb0ESQ_SR_ST_SU_SY_EESZ_S10_S11_S12_S16_S17_S18_S1B_S1C_jS1D_jS1E_S1E_jjS1G_bEUljE0_EEESZ_S10_S11_S18_S1C_S1E_T6_T7_T9_mT8_S1G_bDpT10_ENKUlT_T0_E_clISt17integral_constantIbLb0EES1U_EEDaS1P_S1Q_EUlS1P_E_NS1_11comp_targetILNS1_3genE10ELNS1_11target_archE1200ELNS1_3gpuE4ELNS1_3repE0EEENS1_30default_config_static_selectorELNS0_4arch9wavefront6targetE1EEEvS12_: ; @_ZN7rocprim17ROCPRIM_400000_NS6detail17trampoline_kernelINS0_13select_configILj256ELj13ELNS0_17block_load_methodE3ELS4_3ELS4_3ELNS0_20block_scan_algorithmE0ELj4294967295EEENS1_25partition_config_selectorILNS1_17partition_subalgoE4EjNS0_10empty_typeEbEEZZNS1_14partition_implILS8_4ELb0ES6_15HIP_vector_typeIjLj2EENS0_17counting_iteratorIjlEEPS9_SG_NS0_5tupleIJPjSI_NS0_16reverse_iteratorISI_EEEEENSH_IJSG_SG_SG_EEES9_SI_JZNS1_25segmented_radix_sort_implINS0_14default_configELb0EPKsPsPKlPlN2at6native12_GLOBAL__N_18offset_tEEE10hipError_tPvRmT1_PNSt15iterator_traitsIS12_E10value_typeET2_T3_PNS13_IS18_E10value_typeET4_jRbjT5_S1E_jjP12ihipStream_tbEUljE_ZNSN_ISO_Lb0ESQ_SR_ST_SU_SY_EESZ_S10_S11_S12_S16_S17_S18_S1B_S1C_jS1D_jS1E_S1E_jjS1G_bEUljE0_EEESZ_S10_S11_S18_S1C_S1E_T6_T7_T9_mT8_S1G_bDpT10_ENKUlT_T0_E_clISt17integral_constantIbLb0EES1U_EEDaS1P_S1Q_EUlS1P_E_NS1_11comp_targetILNS1_3genE10ELNS1_11target_archE1200ELNS1_3gpuE4ELNS1_3repE0EEENS1_30default_config_static_selectorELNS0_4arch9wavefront6targetE1EEEvS12_
; %bb.0:
	.section	.rodata,"a",@progbits
	.p2align	6, 0x0
	.amdhsa_kernel _ZN7rocprim17ROCPRIM_400000_NS6detail17trampoline_kernelINS0_13select_configILj256ELj13ELNS0_17block_load_methodE3ELS4_3ELS4_3ELNS0_20block_scan_algorithmE0ELj4294967295EEENS1_25partition_config_selectorILNS1_17partition_subalgoE4EjNS0_10empty_typeEbEEZZNS1_14partition_implILS8_4ELb0ES6_15HIP_vector_typeIjLj2EENS0_17counting_iteratorIjlEEPS9_SG_NS0_5tupleIJPjSI_NS0_16reverse_iteratorISI_EEEEENSH_IJSG_SG_SG_EEES9_SI_JZNS1_25segmented_radix_sort_implINS0_14default_configELb0EPKsPsPKlPlN2at6native12_GLOBAL__N_18offset_tEEE10hipError_tPvRmT1_PNSt15iterator_traitsIS12_E10value_typeET2_T3_PNS13_IS18_E10value_typeET4_jRbjT5_S1E_jjP12ihipStream_tbEUljE_ZNSN_ISO_Lb0ESQ_SR_ST_SU_SY_EESZ_S10_S11_S12_S16_S17_S18_S1B_S1C_jS1D_jS1E_S1E_jjS1G_bEUljE0_EEESZ_S10_S11_S18_S1C_S1E_T6_T7_T9_mT8_S1G_bDpT10_ENKUlT_T0_E_clISt17integral_constantIbLb0EES1U_EEDaS1P_S1Q_EUlS1P_E_NS1_11comp_targetILNS1_3genE10ELNS1_11target_archE1200ELNS1_3gpuE4ELNS1_3repE0EEENS1_30default_config_static_selectorELNS0_4arch9wavefront6targetE1EEEvS12_
		.amdhsa_group_segment_fixed_size 0
		.amdhsa_private_segment_fixed_size 0
		.amdhsa_kernarg_size 176
		.amdhsa_user_sgpr_count 6
		.amdhsa_user_sgpr_private_segment_buffer 1
		.amdhsa_user_sgpr_dispatch_ptr 0
		.amdhsa_user_sgpr_queue_ptr 0
		.amdhsa_user_sgpr_kernarg_segment_ptr 1
		.amdhsa_user_sgpr_dispatch_id 0
		.amdhsa_user_sgpr_flat_scratch_init 0
		.amdhsa_user_sgpr_kernarg_preload_length 0
		.amdhsa_user_sgpr_kernarg_preload_offset 0
		.amdhsa_user_sgpr_private_segment_size 0
		.amdhsa_uses_dynamic_stack 0
		.amdhsa_system_sgpr_private_segment_wavefront_offset 0
		.amdhsa_system_sgpr_workgroup_id_x 1
		.amdhsa_system_sgpr_workgroup_id_y 0
		.amdhsa_system_sgpr_workgroup_id_z 0
		.amdhsa_system_sgpr_workgroup_info 0
		.amdhsa_system_vgpr_workitem_id 0
		.amdhsa_next_free_vgpr 1
		.amdhsa_next_free_sgpr 0
		.amdhsa_accum_offset 4
		.amdhsa_reserve_vcc 0
		.amdhsa_reserve_flat_scratch 0
		.amdhsa_float_round_mode_32 0
		.amdhsa_float_round_mode_16_64 0
		.amdhsa_float_denorm_mode_32 3
		.amdhsa_float_denorm_mode_16_64 3
		.amdhsa_dx10_clamp 1
		.amdhsa_ieee_mode 1
		.amdhsa_fp16_overflow 0
		.amdhsa_tg_split 0
		.amdhsa_exception_fp_ieee_invalid_op 0
		.amdhsa_exception_fp_denorm_src 0
		.amdhsa_exception_fp_ieee_div_zero 0
		.amdhsa_exception_fp_ieee_overflow 0
		.amdhsa_exception_fp_ieee_underflow 0
		.amdhsa_exception_fp_ieee_inexact 0
		.amdhsa_exception_int_div_zero 0
	.end_amdhsa_kernel
	.section	.text._ZN7rocprim17ROCPRIM_400000_NS6detail17trampoline_kernelINS0_13select_configILj256ELj13ELNS0_17block_load_methodE3ELS4_3ELS4_3ELNS0_20block_scan_algorithmE0ELj4294967295EEENS1_25partition_config_selectorILNS1_17partition_subalgoE4EjNS0_10empty_typeEbEEZZNS1_14partition_implILS8_4ELb0ES6_15HIP_vector_typeIjLj2EENS0_17counting_iteratorIjlEEPS9_SG_NS0_5tupleIJPjSI_NS0_16reverse_iteratorISI_EEEEENSH_IJSG_SG_SG_EEES9_SI_JZNS1_25segmented_radix_sort_implINS0_14default_configELb0EPKsPsPKlPlN2at6native12_GLOBAL__N_18offset_tEEE10hipError_tPvRmT1_PNSt15iterator_traitsIS12_E10value_typeET2_T3_PNS13_IS18_E10value_typeET4_jRbjT5_S1E_jjP12ihipStream_tbEUljE_ZNSN_ISO_Lb0ESQ_SR_ST_SU_SY_EESZ_S10_S11_S12_S16_S17_S18_S1B_S1C_jS1D_jS1E_S1E_jjS1G_bEUljE0_EEESZ_S10_S11_S18_S1C_S1E_T6_T7_T9_mT8_S1G_bDpT10_ENKUlT_T0_E_clISt17integral_constantIbLb0EES1U_EEDaS1P_S1Q_EUlS1P_E_NS1_11comp_targetILNS1_3genE10ELNS1_11target_archE1200ELNS1_3gpuE4ELNS1_3repE0EEENS1_30default_config_static_selectorELNS0_4arch9wavefront6targetE1EEEvS12_,"axG",@progbits,_ZN7rocprim17ROCPRIM_400000_NS6detail17trampoline_kernelINS0_13select_configILj256ELj13ELNS0_17block_load_methodE3ELS4_3ELS4_3ELNS0_20block_scan_algorithmE0ELj4294967295EEENS1_25partition_config_selectorILNS1_17partition_subalgoE4EjNS0_10empty_typeEbEEZZNS1_14partition_implILS8_4ELb0ES6_15HIP_vector_typeIjLj2EENS0_17counting_iteratorIjlEEPS9_SG_NS0_5tupleIJPjSI_NS0_16reverse_iteratorISI_EEEEENSH_IJSG_SG_SG_EEES9_SI_JZNS1_25segmented_radix_sort_implINS0_14default_configELb0EPKsPsPKlPlN2at6native12_GLOBAL__N_18offset_tEEE10hipError_tPvRmT1_PNSt15iterator_traitsIS12_E10value_typeET2_T3_PNS13_IS18_E10value_typeET4_jRbjT5_S1E_jjP12ihipStream_tbEUljE_ZNSN_ISO_Lb0ESQ_SR_ST_SU_SY_EESZ_S10_S11_S12_S16_S17_S18_S1B_S1C_jS1D_jS1E_S1E_jjS1G_bEUljE0_EEESZ_S10_S11_S18_S1C_S1E_T6_T7_T9_mT8_S1G_bDpT10_ENKUlT_T0_E_clISt17integral_constantIbLb0EES1U_EEDaS1P_S1Q_EUlS1P_E_NS1_11comp_targetILNS1_3genE10ELNS1_11target_archE1200ELNS1_3gpuE4ELNS1_3repE0EEENS1_30default_config_static_selectorELNS0_4arch9wavefront6targetE1EEEvS12_,comdat
.Lfunc_end954:
	.size	_ZN7rocprim17ROCPRIM_400000_NS6detail17trampoline_kernelINS0_13select_configILj256ELj13ELNS0_17block_load_methodE3ELS4_3ELS4_3ELNS0_20block_scan_algorithmE0ELj4294967295EEENS1_25partition_config_selectorILNS1_17partition_subalgoE4EjNS0_10empty_typeEbEEZZNS1_14partition_implILS8_4ELb0ES6_15HIP_vector_typeIjLj2EENS0_17counting_iteratorIjlEEPS9_SG_NS0_5tupleIJPjSI_NS0_16reverse_iteratorISI_EEEEENSH_IJSG_SG_SG_EEES9_SI_JZNS1_25segmented_radix_sort_implINS0_14default_configELb0EPKsPsPKlPlN2at6native12_GLOBAL__N_18offset_tEEE10hipError_tPvRmT1_PNSt15iterator_traitsIS12_E10value_typeET2_T3_PNS13_IS18_E10value_typeET4_jRbjT5_S1E_jjP12ihipStream_tbEUljE_ZNSN_ISO_Lb0ESQ_SR_ST_SU_SY_EESZ_S10_S11_S12_S16_S17_S18_S1B_S1C_jS1D_jS1E_S1E_jjS1G_bEUljE0_EEESZ_S10_S11_S18_S1C_S1E_T6_T7_T9_mT8_S1G_bDpT10_ENKUlT_T0_E_clISt17integral_constantIbLb0EES1U_EEDaS1P_S1Q_EUlS1P_E_NS1_11comp_targetILNS1_3genE10ELNS1_11target_archE1200ELNS1_3gpuE4ELNS1_3repE0EEENS1_30default_config_static_selectorELNS0_4arch9wavefront6targetE1EEEvS12_, .Lfunc_end954-_ZN7rocprim17ROCPRIM_400000_NS6detail17trampoline_kernelINS0_13select_configILj256ELj13ELNS0_17block_load_methodE3ELS4_3ELS4_3ELNS0_20block_scan_algorithmE0ELj4294967295EEENS1_25partition_config_selectorILNS1_17partition_subalgoE4EjNS0_10empty_typeEbEEZZNS1_14partition_implILS8_4ELb0ES6_15HIP_vector_typeIjLj2EENS0_17counting_iteratorIjlEEPS9_SG_NS0_5tupleIJPjSI_NS0_16reverse_iteratorISI_EEEEENSH_IJSG_SG_SG_EEES9_SI_JZNS1_25segmented_radix_sort_implINS0_14default_configELb0EPKsPsPKlPlN2at6native12_GLOBAL__N_18offset_tEEE10hipError_tPvRmT1_PNSt15iterator_traitsIS12_E10value_typeET2_T3_PNS13_IS18_E10value_typeET4_jRbjT5_S1E_jjP12ihipStream_tbEUljE_ZNSN_ISO_Lb0ESQ_SR_ST_SU_SY_EESZ_S10_S11_S12_S16_S17_S18_S1B_S1C_jS1D_jS1E_S1E_jjS1G_bEUljE0_EEESZ_S10_S11_S18_S1C_S1E_T6_T7_T9_mT8_S1G_bDpT10_ENKUlT_T0_E_clISt17integral_constantIbLb0EES1U_EEDaS1P_S1Q_EUlS1P_E_NS1_11comp_targetILNS1_3genE10ELNS1_11target_archE1200ELNS1_3gpuE4ELNS1_3repE0EEENS1_30default_config_static_selectorELNS0_4arch9wavefront6targetE1EEEvS12_
                                        ; -- End function
	.section	.AMDGPU.csdata,"",@progbits
; Kernel info:
; codeLenInByte = 0
; NumSgprs: 4
; NumVgprs: 0
; NumAgprs: 0
; TotalNumVgprs: 0
; ScratchSize: 0
; MemoryBound: 0
; FloatMode: 240
; IeeeMode: 1
; LDSByteSize: 0 bytes/workgroup (compile time only)
; SGPRBlocks: 0
; VGPRBlocks: 0
; NumSGPRsForWavesPerEU: 4
; NumVGPRsForWavesPerEU: 1
; AccumOffset: 4
; Occupancy: 8
; WaveLimiterHint : 0
; COMPUTE_PGM_RSRC2:SCRATCH_EN: 0
; COMPUTE_PGM_RSRC2:USER_SGPR: 6
; COMPUTE_PGM_RSRC2:TRAP_HANDLER: 0
; COMPUTE_PGM_RSRC2:TGID_X_EN: 1
; COMPUTE_PGM_RSRC2:TGID_Y_EN: 0
; COMPUTE_PGM_RSRC2:TGID_Z_EN: 0
; COMPUTE_PGM_RSRC2:TIDIG_COMP_CNT: 0
; COMPUTE_PGM_RSRC3_GFX90A:ACCUM_OFFSET: 0
; COMPUTE_PGM_RSRC3_GFX90A:TG_SPLIT: 0
	.section	.text._ZN7rocprim17ROCPRIM_400000_NS6detail17trampoline_kernelINS0_13select_configILj256ELj13ELNS0_17block_load_methodE3ELS4_3ELS4_3ELNS0_20block_scan_algorithmE0ELj4294967295EEENS1_25partition_config_selectorILNS1_17partition_subalgoE4EjNS0_10empty_typeEbEEZZNS1_14partition_implILS8_4ELb0ES6_15HIP_vector_typeIjLj2EENS0_17counting_iteratorIjlEEPS9_SG_NS0_5tupleIJPjSI_NS0_16reverse_iteratorISI_EEEEENSH_IJSG_SG_SG_EEES9_SI_JZNS1_25segmented_radix_sort_implINS0_14default_configELb0EPKsPsPKlPlN2at6native12_GLOBAL__N_18offset_tEEE10hipError_tPvRmT1_PNSt15iterator_traitsIS12_E10value_typeET2_T3_PNS13_IS18_E10value_typeET4_jRbjT5_S1E_jjP12ihipStream_tbEUljE_ZNSN_ISO_Lb0ESQ_SR_ST_SU_SY_EESZ_S10_S11_S12_S16_S17_S18_S1B_S1C_jS1D_jS1E_S1E_jjS1G_bEUljE0_EEESZ_S10_S11_S18_S1C_S1E_T6_T7_T9_mT8_S1G_bDpT10_ENKUlT_T0_E_clISt17integral_constantIbLb0EES1U_EEDaS1P_S1Q_EUlS1P_E_NS1_11comp_targetILNS1_3genE9ELNS1_11target_archE1100ELNS1_3gpuE3ELNS1_3repE0EEENS1_30default_config_static_selectorELNS0_4arch9wavefront6targetE1EEEvS12_,"axG",@progbits,_ZN7rocprim17ROCPRIM_400000_NS6detail17trampoline_kernelINS0_13select_configILj256ELj13ELNS0_17block_load_methodE3ELS4_3ELS4_3ELNS0_20block_scan_algorithmE0ELj4294967295EEENS1_25partition_config_selectorILNS1_17partition_subalgoE4EjNS0_10empty_typeEbEEZZNS1_14partition_implILS8_4ELb0ES6_15HIP_vector_typeIjLj2EENS0_17counting_iteratorIjlEEPS9_SG_NS0_5tupleIJPjSI_NS0_16reverse_iteratorISI_EEEEENSH_IJSG_SG_SG_EEES9_SI_JZNS1_25segmented_radix_sort_implINS0_14default_configELb0EPKsPsPKlPlN2at6native12_GLOBAL__N_18offset_tEEE10hipError_tPvRmT1_PNSt15iterator_traitsIS12_E10value_typeET2_T3_PNS13_IS18_E10value_typeET4_jRbjT5_S1E_jjP12ihipStream_tbEUljE_ZNSN_ISO_Lb0ESQ_SR_ST_SU_SY_EESZ_S10_S11_S12_S16_S17_S18_S1B_S1C_jS1D_jS1E_S1E_jjS1G_bEUljE0_EEESZ_S10_S11_S18_S1C_S1E_T6_T7_T9_mT8_S1G_bDpT10_ENKUlT_T0_E_clISt17integral_constantIbLb0EES1U_EEDaS1P_S1Q_EUlS1P_E_NS1_11comp_targetILNS1_3genE9ELNS1_11target_archE1100ELNS1_3gpuE3ELNS1_3repE0EEENS1_30default_config_static_selectorELNS0_4arch9wavefront6targetE1EEEvS12_,comdat
	.globl	_ZN7rocprim17ROCPRIM_400000_NS6detail17trampoline_kernelINS0_13select_configILj256ELj13ELNS0_17block_load_methodE3ELS4_3ELS4_3ELNS0_20block_scan_algorithmE0ELj4294967295EEENS1_25partition_config_selectorILNS1_17partition_subalgoE4EjNS0_10empty_typeEbEEZZNS1_14partition_implILS8_4ELb0ES6_15HIP_vector_typeIjLj2EENS0_17counting_iteratorIjlEEPS9_SG_NS0_5tupleIJPjSI_NS0_16reverse_iteratorISI_EEEEENSH_IJSG_SG_SG_EEES9_SI_JZNS1_25segmented_radix_sort_implINS0_14default_configELb0EPKsPsPKlPlN2at6native12_GLOBAL__N_18offset_tEEE10hipError_tPvRmT1_PNSt15iterator_traitsIS12_E10value_typeET2_T3_PNS13_IS18_E10value_typeET4_jRbjT5_S1E_jjP12ihipStream_tbEUljE_ZNSN_ISO_Lb0ESQ_SR_ST_SU_SY_EESZ_S10_S11_S12_S16_S17_S18_S1B_S1C_jS1D_jS1E_S1E_jjS1G_bEUljE0_EEESZ_S10_S11_S18_S1C_S1E_T6_T7_T9_mT8_S1G_bDpT10_ENKUlT_T0_E_clISt17integral_constantIbLb0EES1U_EEDaS1P_S1Q_EUlS1P_E_NS1_11comp_targetILNS1_3genE9ELNS1_11target_archE1100ELNS1_3gpuE3ELNS1_3repE0EEENS1_30default_config_static_selectorELNS0_4arch9wavefront6targetE1EEEvS12_ ; -- Begin function _ZN7rocprim17ROCPRIM_400000_NS6detail17trampoline_kernelINS0_13select_configILj256ELj13ELNS0_17block_load_methodE3ELS4_3ELS4_3ELNS0_20block_scan_algorithmE0ELj4294967295EEENS1_25partition_config_selectorILNS1_17partition_subalgoE4EjNS0_10empty_typeEbEEZZNS1_14partition_implILS8_4ELb0ES6_15HIP_vector_typeIjLj2EENS0_17counting_iteratorIjlEEPS9_SG_NS0_5tupleIJPjSI_NS0_16reverse_iteratorISI_EEEEENSH_IJSG_SG_SG_EEES9_SI_JZNS1_25segmented_radix_sort_implINS0_14default_configELb0EPKsPsPKlPlN2at6native12_GLOBAL__N_18offset_tEEE10hipError_tPvRmT1_PNSt15iterator_traitsIS12_E10value_typeET2_T3_PNS13_IS18_E10value_typeET4_jRbjT5_S1E_jjP12ihipStream_tbEUljE_ZNSN_ISO_Lb0ESQ_SR_ST_SU_SY_EESZ_S10_S11_S12_S16_S17_S18_S1B_S1C_jS1D_jS1E_S1E_jjS1G_bEUljE0_EEESZ_S10_S11_S18_S1C_S1E_T6_T7_T9_mT8_S1G_bDpT10_ENKUlT_T0_E_clISt17integral_constantIbLb0EES1U_EEDaS1P_S1Q_EUlS1P_E_NS1_11comp_targetILNS1_3genE9ELNS1_11target_archE1100ELNS1_3gpuE3ELNS1_3repE0EEENS1_30default_config_static_selectorELNS0_4arch9wavefront6targetE1EEEvS12_
	.p2align	8
	.type	_ZN7rocprim17ROCPRIM_400000_NS6detail17trampoline_kernelINS0_13select_configILj256ELj13ELNS0_17block_load_methodE3ELS4_3ELS4_3ELNS0_20block_scan_algorithmE0ELj4294967295EEENS1_25partition_config_selectorILNS1_17partition_subalgoE4EjNS0_10empty_typeEbEEZZNS1_14partition_implILS8_4ELb0ES6_15HIP_vector_typeIjLj2EENS0_17counting_iteratorIjlEEPS9_SG_NS0_5tupleIJPjSI_NS0_16reverse_iteratorISI_EEEEENSH_IJSG_SG_SG_EEES9_SI_JZNS1_25segmented_radix_sort_implINS0_14default_configELb0EPKsPsPKlPlN2at6native12_GLOBAL__N_18offset_tEEE10hipError_tPvRmT1_PNSt15iterator_traitsIS12_E10value_typeET2_T3_PNS13_IS18_E10value_typeET4_jRbjT5_S1E_jjP12ihipStream_tbEUljE_ZNSN_ISO_Lb0ESQ_SR_ST_SU_SY_EESZ_S10_S11_S12_S16_S17_S18_S1B_S1C_jS1D_jS1E_S1E_jjS1G_bEUljE0_EEESZ_S10_S11_S18_S1C_S1E_T6_T7_T9_mT8_S1G_bDpT10_ENKUlT_T0_E_clISt17integral_constantIbLb0EES1U_EEDaS1P_S1Q_EUlS1P_E_NS1_11comp_targetILNS1_3genE9ELNS1_11target_archE1100ELNS1_3gpuE3ELNS1_3repE0EEENS1_30default_config_static_selectorELNS0_4arch9wavefront6targetE1EEEvS12_,@function
_ZN7rocprim17ROCPRIM_400000_NS6detail17trampoline_kernelINS0_13select_configILj256ELj13ELNS0_17block_load_methodE3ELS4_3ELS4_3ELNS0_20block_scan_algorithmE0ELj4294967295EEENS1_25partition_config_selectorILNS1_17partition_subalgoE4EjNS0_10empty_typeEbEEZZNS1_14partition_implILS8_4ELb0ES6_15HIP_vector_typeIjLj2EENS0_17counting_iteratorIjlEEPS9_SG_NS0_5tupleIJPjSI_NS0_16reverse_iteratorISI_EEEEENSH_IJSG_SG_SG_EEES9_SI_JZNS1_25segmented_radix_sort_implINS0_14default_configELb0EPKsPsPKlPlN2at6native12_GLOBAL__N_18offset_tEEE10hipError_tPvRmT1_PNSt15iterator_traitsIS12_E10value_typeET2_T3_PNS13_IS18_E10value_typeET4_jRbjT5_S1E_jjP12ihipStream_tbEUljE_ZNSN_ISO_Lb0ESQ_SR_ST_SU_SY_EESZ_S10_S11_S12_S16_S17_S18_S1B_S1C_jS1D_jS1E_S1E_jjS1G_bEUljE0_EEESZ_S10_S11_S18_S1C_S1E_T6_T7_T9_mT8_S1G_bDpT10_ENKUlT_T0_E_clISt17integral_constantIbLb0EES1U_EEDaS1P_S1Q_EUlS1P_E_NS1_11comp_targetILNS1_3genE9ELNS1_11target_archE1100ELNS1_3gpuE3ELNS1_3repE0EEENS1_30default_config_static_selectorELNS0_4arch9wavefront6targetE1EEEvS12_: ; @_ZN7rocprim17ROCPRIM_400000_NS6detail17trampoline_kernelINS0_13select_configILj256ELj13ELNS0_17block_load_methodE3ELS4_3ELS4_3ELNS0_20block_scan_algorithmE0ELj4294967295EEENS1_25partition_config_selectorILNS1_17partition_subalgoE4EjNS0_10empty_typeEbEEZZNS1_14partition_implILS8_4ELb0ES6_15HIP_vector_typeIjLj2EENS0_17counting_iteratorIjlEEPS9_SG_NS0_5tupleIJPjSI_NS0_16reverse_iteratorISI_EEEEENSH_IJSG_SG_SG_EEES9_SI_JZNS1_25segmented_radix_sort_implINS0_14default_configELb0EPKsPsPKlPlN2at6native12_GLOBAL__N_18offset_tEEE10hipError_tPvRmT1_PNSt15iterator_traitsIS12_E10value_typeET2_T3_PNS13_IS18_E10value_typeET4_jRbjT5_S1E_jjP12ihipStream_tbEUljE_ZNSN_ISO_Lb0ESQ_SR_ST_SU_SY_EESZ_S10_S11_S12_S16_S17_S18_S1B_S1C_jS1D_jS1E_S1E_jjS1G_bEUljE0_EEESZ_S10_S11_S18_S1C_S1E_T6_T7_T9_mT8_S1G_bDpT10_ENKUlT_T0_E_clISt17integral_constantIbLb0EES1U_EEDaS1P_S1Q_EUlS1P_E_NS1_11comp_targetILNS1_3genE9ELNS1_11target_archE1100ELNS1_3gpuE3ELNS1_3repE0EEENS1_30default_config_static_selectorELNS0_4arch9wavefront6targetE1EEEvS12_
; %bb.0:
	.section	.rodata,"a",@progbits
	.p2align	6, 0x0
	.amdhsa_kernel _ZN7rocprim17ROCPRIM_400000_NS6detail17trampoline_kernelINS0_13select_configILj256ELj13ELNS0_17block_load_methodE3ELS4_3ELS4_3ELNS0_20block_scan_algorithmE0ELj4294967295EEENS1_25partition_config_selectorILNS1_17partition_subalgoE4EjNS0_10empty_typeEbEEZZNS1_14partition_implILS8_4ELb0ES6_15HIP_vector_typeIjLj2EENS0_17counting_iteratorIjlEEPS9_SG_NS0_5tupleIJPjSI_NS0_16reverse_iteratorISI_EEEEENSH_IJSG_SG_SG_EEES9_SI_JZNS1_25segmented_radix_sort_implINS0_14default_configELb0EPKsPsPKlPlN2at6native12_GLOBAL__N_18offset_tEEE10hipError_tPvRmT1_PNSt15iterator_traitsIS12_E10value_typeET2_T3_PNS13_IS18_E10value_typeET4_jRbjT5_S1E_jjP12ihipStream_tbEUljE_ZNSN_ISO_Lb0ESQ_SR_ST_SU_SY_EESZ_S10_S11_S12_S16_S17_S18_S1B_S1C_jS1D_jS1E_S1E_jjS1G_bEUljE0_EEESZ_S10_S11_S18_S1C_S1E_T6_T7_T9_mT8_S1G_bDpT10_ENKUlT_T0_E_clISt17integral_constantIbLb0EES1U_EEDaS1P_S1Q_EUlS1P_E_NS1_11comp_targetILNS1_3genE9ELNS1_11target_archE1100ELNS1_3gpuE3ELNS1_3repE0EEENS1_30default_config_static_selectorELNS0_4arch9wavefront6targetE1EEEvS12_
		.amdhsa_group_segment_fixed_size 0
		.amdhsa_private_segment_fixed_size 0
		.amdhsa_kernarg_size 176
		.amdhsa_user_sgpr_count 6
		.amdhsa_user_sgpr_private_segment_buffer 1
		.amdhsa_user_sgpr_dispatch_ptr 0
		.amdhsa_user_sgpr_queue_ptr 0
		.amdhsa_user_sgpr_kernarg_segment_ptr 1
		.amdhsa_user_sgpr_dispatch_id 0
		.amdhsa_user_sgpr_flat_scratch_init 0
		.amdhsa_user_sgpr_kernarg_preload_length 0
		.amdhsa_user_sgpr_kernarg_preload_offset 0
		.amdhsa_user_sgpr_private_segment_size 0
		.amdhsa_uses_dynamic_stack 0
		.amdhsa_system_sgpr_private_segment_wavefront_offset 0
		.amdhsa_system_sgpr_workgroup_id_x 1
		.amdhsa_system_sgpr_workgroup_id_y 0
		.amdhsa_system_sgpr_workgroup_id_z 0
		.amdhsa_system_sgpr_workgroup_info 0
		.amdhsa_system_vgpr_workitem_id 0
		.amdhsa_next_free_vgpr 1
		.amdhsa_next_free_sgpr 0
		.amdhsa_accum_offset 4
		.amdhsa_reserve_vcc 0
		.amdhsa_reserve_flat_scratch 0
		.amdhsa_float_round_mode_32 0
		.amdhsa_float_round_mode_16_64 0
		.amdhsa_float_denorm_mode_32 3
		.amdhsa_float_denorm_mode_16_64 3
		.amdhsa_dx10_clamp 1
		.amdhsa_ieee_mode 1
		.amdhsa_fp16_overflow 0
		.amdhsa_tg_split 0
		.amdhsa_exception_fp_ieee_invalid_op 0
		.amdhsa_exception_fp_denorm_src 0
		.amdhsa_exception_fp_ieee_div_zero 0
		.amdhsa_exception_fp_ieee_overflow 0
		.amdhsa_exception_fp_ieee_underflow 0
		.amdhsa_exception_fp_ieee_inexact 0
		.amdhsa_exception_int_div_zero 0
	.end_amdhsa_kernel
	.section	.text._ZN7rocprim17ROCPRIM_400000_NS6detail17trampoline_kernelINS0_13select_configILj256ELj13ELNS0_17block_load_methodE3ELS4_3ELS4_3ELNS0_20block_scan_algorithmE0ELj4294967295EEENS1_25partition_config_selectorILNS1_17partition_subalgoE4EjNS0_10empty_typeEbEEZZNS1_14partition_implILS8_4ELb0ES6_15HIP_vector_typeIjLj2EENS0_17counting_iteratorIjlEEPS9_SG_NS0_5tupleIJPjSI_NS0_16reverse_iteratorISI_EEEEENSH_IJSG_SG_SG_EEES9_SI_JZNS1_25segmented_radix_sort_implINS0_14default_configELb0EPKsPsPKlPlN2at6native12_GLOBAL__N_18offset_tEEE10hipError_tPvRmT1_PNSt15iterator_traitsIS12_E10value_typeET2_T3_PNS13_IS18_E10value_typeET4_jRbjT5_S1E_jjP12ihipStream_tbEUljE_ZNSN_ISO_Lb0ESQ_SR_ST_SU_SY_EESZ_S10_S11_S12_S16_S17_S18_S1B_S1C_jS1D_jS1E_S1E_jjS1G_bEUljE0_EEESZ_S10_S11_S18_S1C_S1E_T6_T7_T9_mT8_S1G_bDpT10_ENKUlT_T0_E_clISt17integral_constantIbLb0EES1U_EEDaS1P_S1Q_EUlS1P_E_NS1_11comp_targetILNS1_3genE9ELNS1_11target_archE1100ELNS1_3gpuE3ELNS1_3repE0EEENS1_30default_config_static_selectorELNS0_4arch9wavefront6targetE1EEEvS12_,"axG",@progbits,_ZN7rocprim17ROCPRIM_400000_NS6detail17trampoline_kernelINS0_13select_configILj256ELj13ELNS0_17block_load_methodE3ELS4_3ELS4_3ELNS0_20block_scan_algorithmE0ELj4294967295EEENS1_25partition_config_selectorILNS1_17partition_subalgoE4EjNS0_10empty_typeEbEEZZNS1_14partition_implILS8_4ELb0ES6_15HIP_vector_typeIjLj2EENS0_17counting_iteratorIjlEEPS9_SG_NS0_5tupleIJPjSI_NS0_16reverse_iteratorISI_EEEEENSH_IJSG_SG_SG_EEES9_SI_JZNS1_25segmented_radix_sort_implINS0_14default_configELb0EPKsPsPKlPlN2at6native12_GLOBAL__N_18offset_tEEE10hipError_tPvRmT1_PNSt15iterator_traitsIS12_E10value_typeET2_T3_PNS13_IS18_E10value_typeET4_jRbjT5_S1E_jjP12ihipStream_tbEUljE_ZNSN_ISO_Lb0ESQ_SR_ST_SU_SY_EESZ_S10_S11_S12_S16_S17_S18_S1B_S1C_jS1D_jS1E_S1E_jjS1G_bEUljE0_EEESZ_S10_S11_S18_S1C_S1E_T6_T7_T9_mT8_S1G_bDpT10_ENKUlT_T0_E_clISt17integral_constantIbLb0EES1U_EEDaS1P_S1Q_EUlS1P_E_NS1_11comp_targetILNS1_3genE9ELNS1_11target_archE1100ELNS1_3gpuE3ELNS1_3repE0EEENS1_30default_config_static_selectorELNS0_4arch9wavefront6targetE1EEEvS12_,comdat
.Lfunc_end955:
	.size	_ZN7rocprim17ROCPRIM_400000_NS6detail17trampoline_kernelINS0_13select_configILj256ELj13ELNS0_17block_load_methodE3ELS4_3ELS4_3ELNS0_20block_scan_algorithmE0ELj4294967295EEENS1_25partition_config_selectorILNS1_17partition_subalgoE4EjNS0_10empty_typeEbEEZZNS1_14partition_implILS8_4ELb0ES6_15HIP_vector_typeIjLj2EENS0_17counting_iteratorIjlEEPS9_SG_NS0_5tupleIJPjSI_NS0_16reverse_iteratorISI_EEEEENSH_IJSG_SG_SG_EEES9_SI_JZNS1_25segmented_radix_sort_implINS0_14default_configELb0EPKsPsPKlPlN2at6native12_GLOBAL__N_18offset_tEEE10hipError_tPvRmT1_PNSt15iterator_traitsIS12_E10value_typeET2_T3_PNS13_IS18_E10value_typeET4_jRbjT5_S1E_jjP12ihipStream_tbEUljE_ZNSN_ISO_Lb0ESQ_SR_ST_SU_SY_EESZ_S10_S11_S12_S16_S17_S18_S1B_S1C_jS1D_jS1E_S1E_jjS1G_bEUljE0_EEESZ_S10_S11_S18_S1C_S1E_T6_T7_T9_mT8_S1G_bDpT10_ENKUlT_T0_E_clISt17integral_constantIbLb0EES1U_EEDaS1P_S1Q_EUlS1P_E_NS1_11comp_targetILNS1_3genE9ELNS1_11target_archE1100ELNS1_3gpuE3ELNS1_3repE0EEENS1_30default_config_static_selectorELNS0_4arch9wavefront6targetE1EEEvS12_, .Lfunc_end955-_ZN7rocprim17ROCPRIM_400000_NS6detail17trampoline_kernelINS0_13select_configILj256ELj13ELNS0_17block_load_methodE3ELS4_3ELS4_3ELNS0_20block_scan_algorithmE0ELj4294967295EEENS1_25partition_config_selectorILNS1_17partition_subalgoE4EjNS0_10empty_typeEbEEZZNS1_14partition_implILS8_4ELb0ES6_15HIP_vector_typeIjLj2EENS0_17counting_iteratorIjlEEPS9_SG_NS0_5tupleIJPjSI_NS0_16reverse_iteratorISI_EEEEENSH_IJSG_SG_SG_EEES9_SI_JZNS1_25segmented_radix_sort_implINS0_14default_configELb0EPKsPsPKlPlN2at6native12_GLOBAL__N_18offset_tEEE10hipError_tPvRmT1_PNSt15iterator_traitsIS12_E10value_typeET2_T3_PNS13_IS18_E10value_typeET4_jRbjT5_S1E_jjP12ihipStream_tbEUljE_ZNSN_ISO_Lb0ESQ_SR_ST_SU_SY_EESZ_S10_S11_S12_S16_S17_S18_S1B_S1C_jS1D_jS1E_S1E_jjS1G_bEUljE0_EEESZ_S10_S11_S18_S1C_S1E_T6_T7_T9_mT8_S1G_bDpT10_ENKUlT_T0_E_clISt17integral_constantIbLb0EES1U_EEDaS1P_S1Q_EUlS1P_E_NS1_11comp_targetILNS1_3genE9ELNS1_11target_archE1100ELNS1_3gpuE3ELNS1_3repE0EEENS1_30default_config_static_selectorELNS0_4arch9wavefront6targetE1EEEvS12_
                                        ; -- End function
	.section	.AMDGPU.csdata,"",@progbits
; Kernel info:
; codeLenInByte = 0
; NumSgprs: 4
; NumVgprs: 0
; NumAgprs: 0
; TotalNumVgprs: 0
; ScratchSize: 0
; MemoryBound: 0
; FloatMode: 240
; IeeeMode: 1
; LDSByteSize: 0 bytes/workgroup (compile time only)
; SGPRBlocks: 0
; VGPRBlocks: 0
; NumSGPRsForWavesPerEU: 4
; NumVGPRsForWavesPerEU: 1
; AccumOffset: 4
; Occupancy: 8
; WaveLimiterHint : 0
; COMPUTE_PGM_RSRC2:SCRATCH_EN: 0
; COMPUTE_PGM_RSRC2:USER_SGPR: 6
; COMPUTE_PGM_RSRC2:TRAP_HANDLER: 0
; COMPUTE_PGM_RSRC2:TGID_X_EN: 1
; COMPUTE_PGM_RSRC2:TGID_Y_EN: 0
; COMPUTE_PGM_RSRC2:TGID_Z_EN: 0
; COMPUTE_PGM_RSRC2:TIDIG_COMP_CNT: 0
; COMPUTE_PGM_RSRC3_GFX90A:ACCUM_OFFSET: 0
; COMPUTE_PGM_RSRC3_GFX90A:TG_SPLIT: 0
	.section	.text._ZN7rocprim17ROCPRIM_400000_NS6detail17trampoline_kernelINS0_13select_configILj256ELj13ELNS0_17block_load_methodE3ELS4_3ELS4_3ELNS0_20block_scan_algorithmE0ELj4294967295EEENS1_25partition_config_selectorILNS1_17partition_subalgoE4EjNS0_10empty_typeEbEEZZNS1_14partition_implILS8_4ELb0ES6_15HIP_vector_typeIjLj2EENS0_17counting_iteratorIjlEEPS9_SG_NS0_5tupleIJPjSI_NS0_16reverse_iteratorISI_EEEEENSH_IJSG_SG_SG_EEES9_SI_JZNS1_25segmented_radix_sort_implINS0_14default_configELb0EPKsPsPKlPlN2at6native12_GLOBAL__N_18offset_tEEE10hipError_tPvRmT1_PNSt15iterator_traitsIS12_E10value_typeET2_T3_PNS13_IS18_E10value_typeET4_jRbjT5_S1E_jjP12ihipStream_tbEUljE_ZNSN_ISO_Lb0ESQ_SR_ST_SU_SY_EESZ_S10_S11_S12_S16_S17_S18_S1B_S1C_jS1D_jS1E_S1E_jjS1G_bEUljE0_EEESZ_S10_S11_S18_S1C_S1E_T6_T7_T9_mT8_S1G_bDpT10_ENKUlT_T0_E_clISt17integral_constantIbLb0EES1U_EEDaS1P_S1Q_EUlS1P_E_NS1_11comp_targetILNS1_3genE8ELNS1_11target_archE1030ELNS1_3gpuE2ELNS1_3repE0EEENS1_30default_config_static_selectorELNS0_4arch9wavefront6targetE1EEEvS12_,"axG",@progbits,_ZN7rocprim17ROCPRIM_400000_NS6detail17trampoline_kernelINS0_13select_configILj256ELj13ELNS0_17block_load_methodE3ELS4_3ELS4_3ELNS0_20block_scan_algorithmE0ELj4294967295EEENS1_25partition_config_selectorILNS1_17partition_subalgoE4EjNS0_10empty_typeEbEEZZNS1_14partition_implILS8_4ELb0ES6_15HIP_vector_typeIjLj2EENS0_17counting_iteratorIjlEEPS9_SG_NS0_5tupleIJPjSI_NS0_16reverse_iteratorISI_EEEEENSH_IJSG_SG_SG_EEES9_SI_JZNS1_25segmented_radix_sort_implINS0_14default_configELb0EPKsPsPKlPlN2at6native12_GLOBAL__N_18offset_tEEE10hipError_tPvRmT1_PNSt15iterator_traitsIS12_E10value_typeET2_T3_PNS13_IS18_E10value_typeET4_jRbjT5_S1E_jjP12ihipStream_tbEUljE_ZNSN_ISO_Lb0ESQ_SR_ST_SU_SY_EESZ_S10_S11_S12_S16_S17_S18_S1B_S1C_jS1D_jS1E_S1E_jjS1G_bEUljE0_EEESZ_S10_S11_S18_S1C_S1E_T6_T7_T9_mT8_S1G_bDpT10_ENKUlT_T0_E_clISt17integral_constantIbLb0EES1U_EEDaS1P_S1Q_EUlS1P_E_NS1_11comp_targetILNS1_3genE8ELNS1_11target_archE1030ELNS1_3gpuE2ELNS1_3repE0EEENS1_30default_config_static_selectorELNS0_4arch9wavefront6targetE1EEEvS12_,comdat
	.globl	_ZN7rocprim17ROCPRIM_400000_NS6detail17trampoline_kernelINS0_13select_configILj256ELj13ELNS0_17block_load_methodE3ELS4_3ELS4_3ELNS0_20block_scan_algorithmE0ELj4294967295EEENS1_25partition_config_selectorILNS1_17partition_subalgoE4EjNS0_10empty_typeEbEEZZNS1_14partition_implILS8_4ELb0ES6_15HIP_vector_typeIjLj2EENS0_17counting_iteratorIjlEEPS9_SG_NS0_5tupleIJPjSI_NS0_16reverse_iteratorISI_EEEEENSH_IJSG_SG_SG_EEES9_SI_JZNS1_25segmented_radix_sort_implINS0_14default_configELb0EPKsPsPKlPlN2at6native12_GLOBAL__N_18offset_tEEE10hipError_tPvRmT1_PNSt15iterator_traitsIS12_E10value_typeET2_T3_PNS13_IS18_E10value_typeET4_jRbjT5_S1E_jjP12ihipStream_tbEUljE_ZNSN_ISO_Lb0ESQ_SR_ST_SU_SY_EESZ_S10_S11_S12_S16_S17_S18_S1B_S1C_jS1D_jS1E_S1E_jjS1G_bEUljE0_EEESZ_S10_S11_S18_S1C_S1E_T6_T7_T9_mT8_S1G_bDpT10_ENKUlT_T0_E_clISt17integral_constantIbLb0EES1U_EEDaS1P_S1Q_EUlS1P_E_NS1_11comp_targetILNS1_3genE8ELNS1_11target_archE1030ELNS1_3gpuE2ELNS1_3repE0EEENS1_30default_config_static_selectorELNS0_4arch9wavefront6targetE1EEEvS12_ ; -- Begin function _ZN7rocprim17ROCPRIM_400000_NS6detail17trampoline_kernelINS0_13select_configILj256ELj13ELNS0_17block_load_methodE3ELS4_3ELS4_3ELNS0_20block_scan_algorithmE0ELj4294967295EEENS1_25partition_config_selectorILNS1_17partition_subalgoE4EjNS0_10empty_typeEbEEZZNS1_14partition_implILS8_4ELb0ES6_15HIP_vector_typeIjLj2EENS0_17counting_iteratorIjlEEPS9_SG_NS0_5tupleIJPjSI_NS0_16reverse_iteratorISI_EEEEENSH_IJSG_SG_SG_EEES9_SI_JZNS1_25segmented_radix_sort_implINS0_14default_configELb0EPKsPsPKlPlN2at6native12_GLOBAL__N_18offset_tEEE10hipError_tPvRmT1_PNSt15iterator_traitsIS12_E10value_typeET2_T3_PNS13_IS18_E10value_typeET4_jRbjT5_S1E_jjP12ihipStream_tbEUljE_ZNSN_ISO_Lb0ESQ_SR_ST_SU_SY_EESZ_S10_S11_S12_S16_S17_S18_S1B_S1C_jS1D_jS1E_S1E_jjS1G_bEUljE0_EEESZ_S10_S11_S18_S1C_S1E_T6_T7_T9_mT8_S1G_bDpT10_ENKUlT_T0_E_clISt17integral_constantIbLb0EES1U_EEDaS1P_S1Q_EUlS1P_E_NS1_11comp_targetILNS1_3genE8ELNS1_11target_archE1030ELNS1_3gpuE2ELNS1_3repE0EEENS1_30default_config_static_selectorELNS0_4arch9wavefront6targetE1EEEvS12_
	.p2align	8
	.type	_ZN7rocprim17ROCPRIM_400000_NS6detail17trampoline_kernelINS0_13select_configILj256ELj13ELNS0_17block_load_methodE3ELS4_3ELS4_3ELNS0_20block_scan_algorithmE0ELj4294967295EEENS1_25partition_config_selectorILNS1_17partition_subalgoE4EjNS0_10empty_typeEbEEZZNS1_14partition_implILS8_4ELb0ES6_15HIP_vector_typeIjLj2EENS0_17counting_iteratorIjlEEPS9_SG_NS0_5tupleIJPjSI_NS0_16reverse_iteratorISI_EEEEENSH_IJSG_SG_SG_EEES9_SI_JZNS1_25segmented_radix_sort_implINS0_14default_configELb0EPKsPsPKlPlN2at6native12_GLOBAL__N_18offset_tEEE10hipError_tPvRmT1_PNSt15iterator_traitsIS12_E10value_typeET2_T3_PNS13_IS18_E10value_typeET4_jRbjT5_S1E_jjP12ihipStream_tbEUljE_ZNSN_ISO_Lb0ESQ_SR_ST_SU_SY_EESZ_S10_S11_S12_S16_S17_S18_S1B_S1C_jS1D_jS1E_S1E_jjS1G_bEUljE0_EEESZ_S10_S11_S18_S1C_S1E_T6_T7_T9_mT8_S1G_bDpT10_ENKUlT_T0_E_clISt17integral_constantIbLb0EES1U_EEDaS1P_S1Q_EUlS1P_E_NS1_11comp_targetILNS1_3genE8ELNS1_11target_archE1030ELNS1_3gpuE2ELNS1_3repE0EEENS1_30default_config_static_selectorELNS0_4arch9wavefront6targetE1EEEvS12_,@function
_ZN7rocprim17ROCPRIM_400000_NS6detail17trampoline_kernelINS0_13select_configILj256ELj13ELNS0_17block_load_methodE3ELS4_3ELS4_3ELNS0_20block_scan_algorithmE0ELj4294967295EEENS1_25partition_config_selectorILNS1_17partition_subalgoE4EjNS0_10empty_typeEbEEZZNS1_14partition_implILS8_4ELb0ES6_15HIP_vector_typeIjLj2EENS0_17counting_iteratorIjlEEPS9_SG_NS0_5tupleIJPjSI_NS0_16reverse_iteratorISI_EEEEENSH_IJSG_SG_SG_EEES9_SI_JZNS1_25segmented_radix_sort_implINS0_14default_configELb0EPKsPsPKlPlN2at6native12_GLOBAL__N_18offset_tEEE10hipError_tPvRmT1_PNSt15iterator_traitsIS12_E10value_typeET2_T3_PNS13_IS18_E10value_typeET4_jRbjT5_S1E_jjP12ihipStream_tbEUljE_ZNSN_ISO_Lb0ESQ_SR_ST_SU_SY_EESZ_S10_S11_S12_S16_S17_S18_S1B_S1C_jS1D_jS1E_S1E_jjS1G_bEUljE0_EEESZ_S10_S11_S18_S1C_S1E_T6_T7_T9_mT8_S1G_bDpT10_ENKUlT_T0_E_clISt17integral_constantIbLb0EES1U_EEDaS1P_S1Q_EUlS1P_E_NS1_11comp_targetILNS1_3genE8ELNS1_11target_archE1030ELNS1_3gpuE2ELNS1_3repE0EEENS1_30default_config_static_selectorELNS0_4arch9wavefront6targetE1EEEvS12_: ; @_ZN7rocprim17ROCPRIM_400000_NS6detail17trampoline_kernelINS0_13select_configILj256ELj13ELNS0_17block_load_methodE3ELS4_3ELS4_3ELNS0_20block_scan_algorithmE0ELj4294967295EEENS1_25partition_config_selectorILNS1_17partition_subalgoE4EjNS0_10empty_typeEbEEZZNS1_14partition_implILS8_4ELb0ES6_15HIP_vector_typeIjLj2EENS0_17counting_iteratorIjlEEPS9_SG_NS0_5tupleIJPjSI_NS0_16reverse_iteratorISI_EEEEENSH_IJSG_SG_SG_EEES9_SI_JZNS1_25segmented_radix_sort_implINS0_14default_configELb0EPKsPsPKlPlN2at6native12_GLOBAL__N_18offset_tEEE10hipError_tPvRmT1_PNSt15iterator_traitsIS12_E10value_typeET2_T3_PNS13_IS18_E10value_typeET4_jRbjT5_S1E_jjP12ihipStream_tbEUljE_ZNSN_ISO_Lb0ESQ_SR_ST_SU_SY_EESZ_S10_S11_S12_S16_S17_S18_S1B_S1C_jS1D_jS1E_S1E_jjS1G_bEUljE0_EEESZ_S10_S11_S18_S1C_S1E_T6_T7_T9_mT8_S1G_bDpT10_ENKUlT_T0_E_clISt17integral_constantIbLb0EES1U_EEDaS1P_S1Q_EUlS1P_E_NS1_11comp_targetILNS1_3genE8ELNS1_11target_archE1030ELNS1_3gpuE2ELNS1_3repE0EEENS1_30default_config_static_selectorELNS0_4arch9wavefront6targetE1EEEvS12_
; %bb.0:
	.section	.rodata,"a",@progbits
	.p2align	6, 0x0
	.amdhsa_kernel _ZN7rocprim17ROCPRIM_400000_NS6detail17trampoline_kernelINS0_13select_configILj256ELj13ELNS0_17block_load_methodE3ELS4_3ELS4_3ELNS0_20block_scan_algorithmE0ELj4294967295EEENS1_25partition_config_selectorILNS1_17partition_subalgoE4EjNS0_10empty_typeEbEEZZNS1_14partition_implILS8_4ELb0ES6_15HIP_vector_typeIjLj2EENS0_17counting_iteratorIjlEEPS9_SG_NS0_5tupleIJPjSI_NS0_16reverse_iteratorISI_EEEEENSH_IJSG_SG_SG_EEES9_SI_JZNS1_25segmented_radix_sort_implINS0_14default_configELb0EPKsPsPKlPlN2at6native12_GLOBAL__N_18offset_tEEE10hipError_tPvRmT1_PNSt15iterator_traitsIS12_E10value_typeET2_T3_PNS13_IS18_E10value_typeET4_jRbjT5_S1E_jjP12ihipStream_tbEUljE_ZNSN_ISO_Lb0ESQ_SR_ST_SU_SY_EESZ_S10_S11_S12_S16_S17_S18_S1B_S1C_jS1D_jS1E_S1E_jjS1G_bEUljE0_EEESZ_S10_S11_S18_S1C_S1E_T6_T7_T9_mT8_S1G_bDpT10_ENKUlT_T0_E_clISt17integral_constantIbLb0EES1U_EEDaS1P_S1Q_EUlS1P_E_NS1_11comp_targetILNS1_3genE8ELNS1_11target_archE1030ELNS1_3gpuE2ELNS1_3repE0EEENS1_30default_config_static_selectorELNS0_4arch9wavefront6targetE1EEEvS12_
		.amdhsa_group_segment_fixed_size 0
		.amdhsa_private_segment_fixed_size 0
		.amdhsa_kernarg_size 176
		.amdhsa_user_sgpr_count 6
		.amdhsa_user_sgpr_private_segment_buffer 1
		.amdhsa_user_sgpr_dispatch_ptr 0
		.amdhsa_user_sgpr_queue_ptr 0
		.amdhsa_user_sgpr_kernarg_segment_ptr 1
		.amdhsa_user_sgpr_dispatch_id 0
		.amdhsa_user_sgpr_flat_scratch_init 0
		.amdhsa_user_sgpr_kernarg_preload_length 0
		.amdhsa_user_sgpr_kernarg_preload_offset 0
		.amdhsa_user_sgpr_private_segment_size 0
		.amdhsa_uses_dynamic_stack 0
		.amdhsa_system_sgpr_private_segment_wavefront_offset 0
		.amdhsa_system_sgpr_workgroup_id_x 1
		.amdhsa_system_sgpr_workgroup_id_y 0
		.amdhsa_system_sgpr_workgroup_id_z 0
		.amdhsa_system_sgpr_workgroup_info 0
		.amdhsa_system_vgpr_workitem_id 0
		.amdhsa_next_free_vgpr 1
		.amdhsa_next_free_sgpr 0
		.amdhsa_accum_offset 4
		.amdhsa_reserve_vcc 0
		.amdhsa_reserve_flat_scratch 0
		.amdhsa_float_round_mode_32 0
		.amdhsa_float_round_mode_16_64 0
		.amdhsa_float_denorm_mode_32 3
		.amdhsa_float_denorm_mode_16_64 3
		.amdhsa_dx10_clamp 1
		.amdhsa_ieee_mode 1
		.amdhsa_fp16_overflow 0
		.amdhsa_tg_split 0
		.amdhsa_exception_fp_ieee_invalid_op 0
		.amdhsa_exception_fp_denorm_src 0
		.amdhsa_exception_fp_ieee_div_zero 0
		.amdhsa_exception_fp_ieee_overflow 0
		.amdhsa_exception_fp_ieee_underflow 0
		.amdhsa_exception_fp_ieee_inexact 0
		.amdhsa_exception_int_div_zero 0
	.end_amdhsa_kernel
	.section	.text._ZN7rocprim17ROCPRIM_400000_NS6detail17trampoline_kernelINS0_13select_configILj256ELj13ELNS0_17block_load_methodE3ELS4_3ELS4_3ELNS0_20block_scan_algorithmE0ELj4294967295EEENS1_25partition_config_selectorILNS1_17partition_subalgoE4EjNS0_10empty_typeEbEEZZNS1_14partition_implILS8_4ELb0ES6_15HIP_vector_typeIjLj2EENS0_17counting_iteratorIjlEEPS9_SG_NS0_5tupleIJPjSI_NS0_16reverse_iteratorISI_EEEEENSH_IJSG_SG_SG_EEES9_SI_JZNS1_25segmented_radix_sort_implINS0_14default_configELb0EPKsPsPKlPlN2at6native12_GLOBAL__N_18offset_tEEE10hipError_tPvRmT1_PNSt15iterator_traitsIS12_E10value_typeET2_T3_PNS13_IS18_E10value_typeET4_jRbjT5_S1E_jjP12ihipStream_tbEUljE_ZNSN_ISO_Lb0ESQ_SR_ST_SU_SY_EESZ_S10_S11_S12_S16_S17_S18_S1B_S1C_jS1D_jS1E_S1E_jjS1G_bEUljE0_EEESZ_S10_S11_S18_S1C_S1E_T6_T7_T9_mT8_S1G_bDpT10_ENKUlT_T0_E_clISt17integral_constantIbLb0EES1U_EEDaS1P_S1Q_EUlS1P_E_NS1_11comp_targetILNS1_3genE8ELNS1_11target_archE1030ELNS1_3gpuE2ELNS1_3repE0EEENS1_30default_config_static_selectorELNS0_4arch9wavefront6targetE1EEEvS12_,"axG",@progbits,_ZN7rocprim17ROCPRIM_400000_NS6detail17trampoline_kernelINS0_13select_configILj256ELj13ELNS0_17block_load_methodE3ELS4_3ELS4_3ELNS0_20block_scan_algorithmE0ELj4294967295EEENS1_25partition_config_selectorILNS1_17partition_subalgoE4EjNS0_10empty_typeEbEEZZNS1_14partition_implILS8_4ELb0ES6_15HIP_vector_typeIjLj2EENS0_17counting_iteratorIjlEEPS9_SG_NS0_5tupleIJPjSI_NS0_16reverse_iteratorISI_EEEEENSH_IJSG_SG_SG_EEES9_SI_JZNS1_25segmented_radix_sort_implINS0_14default_configELb0EPKsPsPKlPlN2at6native12_GLOBAL__N_18offset_tEEE10hipError_tPvRmT1_PNSt15iterator_traitsIS12_E10value_typeET2_T3_PNS13_IS18_E10value_typeET4_jRbjT5_S1E_jjP12ihipStream_tbEUljE_ZNSN_ISO_Lb0ESQ_SR_ST_SU_SY_EESZ_S10_S11_S12_S16_S17_S18_S1B_S1C_jS1D_jS1E_S1E_jjS1G_bEUljE0_EEESZ_S10_S11_S18_S1C_S1E_T6_T7_T9_mT8_S1G_bDpT10_ENKUlT_T0_E_clISt17integral_constantIbLb0EES1U_EEDaS1P_S1Q_EUlS1P_E_NS1_11comp_targetILNS1_3genE8ELNS1_11target_archE1030ELNS1_3gpuE2ELNS1_3repE0EEENS1_30default_config_static_selectorELNS0_4arch9wavefront6targetE1EEEvS12_,comdat
.Lfunc_end956:
	.size	_ZN7rocprim17ROCPRIM_400000_NS6detail17trampoline_kernelINS0_13select_configILj256ELj13ELNS0_17block_load_methodE3ELS4_3ELS4_3ELNS0_20block_scan_algorithmE0ELj4294967295EEENS1_25partition_config_selectorILNS1_17partition_subalgoE4EjNS0_10empty_typeEbEEZZNS1_14partition_implILS8_4ELb0ES6_15HIP_vector_typeIjLj2EENS0_17counting_iteratorIjlEEPS9_SG_NS0_5tupleIJPjSI_NS0_16reverse_iteratorISI_EEEEENSH_IJSG_SG_SG_EEES9_SI_JZNS1_25segmented_radix_sort_implINS0_14default_configELb0EPKsPsPKlPlN2at6native12_GLOBAL__N_18offset_tEEE10hipError_tPvRmT1_PNSt15iterator_traitsIS12_E10value_typeET2_T3_PNS13_IS18_E10value_typeET4_jRbjT5_S1E_jjP12ihipStream_tbEUljE_ZNSN_ISO_Lb0ESQ_SR_ST_SU_SY_EESZ_S10_S11_S12_S16_S17_S18_S1B_S1C_jS1D_jS1E_S1E_jjS1G_bEUljE0_EEESZ_S10_S11_S18_S1C_S1E_T6_T7_T9_mT8_S1G_bDpT10_ENKUlT_T0_E_clISt17integral_constantIbLb0EES1U_EEDaS1P_S1Q_EUlS1P_E_NS1_11comp_targetILNS1_3genE8ELNS1_11target_archE1030ELNS1_3gpuE2ELNS1_3repE0EEENS1_30default_config_static_selectorELNS0_4arch9wavefront6targetE1EEEvS12_, .Lfunc_end956-_ZN7rocprim17ROCPRIM_400000_NS6detail17trampoline_kernelINS0_13select_configILj256ELj13ELNS0_17block_load_methodE3ELS4_3ELS4_3ELNS0_20block_scan_algorithmE0ELj4294967295EEENS1_25partition_config_selectorILNS1_17partition_subalgoE4EjNS0_10empty_typeEbEEZZNS1_14partition_implILS8_4ELb0ES6_15HIP_vector_typeIjLj2EENS0_17counting_iteratorIjlEEPS9_SG_NS0_5tupleIJPjSI_NS0_16reverse_iteratorISI_EEEEENSH_IJSG_SG_SG_EEES9_SI_JZNS1_25segmented_radix_sort_implINS0_14default_configELb0EPKsPsPKlPlN2at6native12_GLOBAL__N_18offset_tEEE10hipError_tPvRmT1_PNSt15iterator_traitsIS12_E10value_typeET2_T3_PNS13_IS18_E10value_typeET4_jRbjT5_S1E_jjP12ihipStream_tbEUljE_ZNSN_ISO_Lb0ESQ_SR_ST_SU_SY_EESZ_S10_S11_S12_S16_S17_S18_S1B_S1C_jS1D_jS1E_S1E_jjS1G_bEUljE0_EEESZ_S10_S11_S18_S1C_S1E_T6_T7_T9_mT8_S1G_bDpT10_ENKUlT_T0_E_clISt17integral_constantIbLb0EES1U_EEDaS1P_S1Q_EUlS1P_E_NS1_11comp_targetILNS1_3genE8ELNS1_11target_archE1030ELNS1_3gpuE2ELNS1_3repE0EEENS1_30default_config_static_selectorELNS0_4arch9wavefront6targetE1EEEvS12_
                                        ; -- End function
	.section	.AMDGPU.csdata,"",@progbits
; Kernel info:
; codeLenInByte = 0
; NumSgprs: 4
; NumVgprs: 0
; NumAgprs: 0
; TotalNumVgprs: 0
; ScratchSize: 0
; MemoryBound: 0
; FloatMode: 240
; IeeeMode: 1
; LDSByteSize: 0 bytes/workgroup (compile time only)
; SGPRBlocks: 0
; VGPRBlocks: 0
; NumSGPRsForWavesPerEU: 4
; NumVGPRsForWavesPerEU: 1
; AccumOffset: 4
; Occupancy: 8
; WaveLimiterHint : 0
; COMPUTE_PGM_RSRC2:SCRATCH_EN: 0
; COMPUTE_PGM_RSRC2:USER_SGPR: 6
; COMPUTE_PGM_RSRC2:TRAP_HANDLER: 0
; COMPUTE_PGM_RSRC2:TGID_X_EN: 1
; COMPUTE_PGM_RSRC2:TGID_Y_EN: 0
; COMPUTE_PGM_RSRC2:TGID_Z_EN: 0
; COMPUTE_PGM_RSRC2:TIDIG_COMP_CNT: 0
; COMPUTE_PGM_RSRC3_GFX90A:ACCUM_OFFSET: 0
; COMPUTE_PGM_RSRC3_GFX90A:TG_SPLIT: 0
	.section	.text._ZN7rocprim17ROCPRIM_400000_NS6detail17trampoline_kernelINS0_13select_configILj256ELj13ELNS0_17block_load_methodE3ELS4_3ELS4_3ELNS0_20block_scan_algorithmE0ELj4294967295EEENS1_25partition_config_selectorILNS1_17partition_subalgoE4EjNS0_10empty_typeEbEEZZNS1_14partition_implILS8_4ELb0ES6_15HIP_vector_typeIjLj2EENS0_17counting_iteratorIjlEEPS9_SG_NS0_5tupleIJPjSI_NS0_16reverse_iteratorISI_EEEEENSH_IJSG_SG_SG_EEES9_SI_JZNS1_25segmented_radix_sort_implINS0_14default_configELb0EPKsPsPKlPlN2at6native12_GLOBAL__N_18offset_tEEE10hipError_tPvRmT1_PNSt15iterator_traitsIS12_E10value_typeET2_T3_PNS13_IS18_E10value_typeET4_jRbjT5_S1E_jjP12ihipStream_tbEUljE_ZNSN_ISO_Lb0ESQ_SR_ST_SU_SY_EESZ_S10_S11_S12_S16_S17_S18_S1B_S1C_jS1D_jS1E_S1E_jjS1G_bEUljE0_EEESZ_S10_S11_S18_S1C_S1E_T6_T7_T9_mT8_S1G_bDpT10_ENKUlT_T0_E_clISt17integral_constantIbLb1EES1U_EEDaS1P_S1Q_EUlS1P_E_NS1_11comp_targetILNS1_3genE0ELNS1_11target_archE4294967295ELNS1_3gpuE0ELNS1_3repE0EEENS1_30default_config_static_selectorELNS0_4arch9wavefront6targetE1EEEvS12_,"axG",@progbits,_ZN7rocprim17ROCPRIM_400000_NS6detail17trampoline_kernelINS0_13select_configILj256ELj13ELNS0_17block_load_methodE3ELS4_3ELS4_3ELNS0_20block_scan_algorithmE0ELj4294967295EEENS1_25partition_config_selectorILNS1_17partition_subalgoE4EjNS0_10empty_typeEbEEZZNS1_14partition_implILS8_4ELb0ES6_15HIP_vector_typeIjLj2EENS0_17counting_iteratorIjlEEPS9_SG_NS0_5tupleIJPjSI_NS0_16reverse_iteratorISI_EEEEENSH_IJSG_SG_SG_EEES9_SI_JZNS1_25segmented_radix_sort_implINS0_14default_configELb0EPKsPsPKlPlN2at6native12_GLOBAL__N_18offset_tEEE10hipError_tPvRmT1_PNSt15iterator_traitsIS12_E10value_typeET2_T3_PNS13_IS18_E10value_typeET4_jRbjT5_S1E_jjP12ihipStream_tbEUljE_ZNSN_ISO_Lb0ESQ_SR_ST_SU_SY_EESZ_S10_S11_S12_S16_S17_S18_S1B_S1C_jS1D_jS1E_S1E_jjS1G_bEUljE0_EEESZ_S10_S11_S18_S1C_S1E_T6_T7_T9_mT8_S1G_bDpT10_ENKUlT_T0_E_clISt17integral_constantIbLb1EES1U_EEDaS1P_S1Q_EUlS1P_E_NS1_11comp_targetILNS1_3genE0ELNS1_11target_archE4294967295ELNS1_3gpuE0ELNS1_3repE0EEENS1_30default_config_static_selectorELNS0_4arch9wavefront6targetE1EEEvS12_,comdat
	.globl	_ZN7rocprim17ROCPRIM_400000_NS6detail17trampoline_kernelINS0_13select_configILj256ELj13ELNS0_17block_load_methodE3ELS4_3ELS4_3ELNS0_20block_scan_algorithmE0ELj4294967295EEENS1_25partition_config_selectorILNS1_17partition_subalgoE4EjNS0_10empty_typeEbEEZZNS1_14partition_implILS8_4ELb0ES6_15HIP_vector_typeIjLj2EENS0_17counting_iteratorIjlEEPS9_SG_NS0_5tupleIJPjSI_NS0_16reverse_iteratorISI_EEEEENSH_IJSG_SG_SG_EEES9_SI_JZNS1_25segmented_radix_sort_implINS0_14default_configELb0EPKsPsPKlPlN2at6native12_GLOBAL__N_18offset_tEEE10hipError_tPvRmT1_PNSt15iterator_traitsIS12_E10value_typeET2_T3_PNS13_IS18_E10value_typeET4_jRbjT5_S1E_jjP12ihipStream_tbEUljE_ZNSN_ISO_Lb0ESQ_SR_ST_SU_SY_EESZ_S10_S11_S12_S16_S17_S18_S1B_S1C_jS1D_jS1E_S1E_jjS1G_bEUljE0_EEESZ_S10_S11_S18_S1C_S1E_T6_T7_T9_mT8_S1G_bDpT10_ENKUlT_T0_E_clISt17integral_constantIbLb1EES1U_EEDaS1P_S1Q_EUlS1P_E_NS1_11comp_targetILNS1_3genE0ELNS1_11target_archE4294967295ELNS1_3gpuE0ELNS1_3repE0EEENS1_30default_config_static_selectorELNS0_4arch9wavefront6targetE1EEEvS12_ ; -- Begin function _ZN7rocprim17ROCPRIM_400000_NS6detail17trampoline_kernelINS0_13select_configILj256ELj13ELNS0_17block_load_methodE3ELS4_3ELS4_3ELNS0_20block_scan_algorithmE0ELj4294967295EEENS1_25partition_config_selectorILNS1_17partition_subalgoE4EjNS0_10empty_typeEbEEZZNS1_14partition_implILS8_4ELb0ES6_15HIP_vector_typeIjLj2EENS0_17counting_iteratorIjlEEPS9_SG_NS0_5tupleIJPjSI_NS0_16reverse_iteratorISI_EEEEENSH_IJSG_SG_SG_EEES9_SI_JZNS1_25segmented_radix_sort_implINS0_14default_configELb0EPKsPsPKlPlN2at6native12_GLOBAL__N_18offset_tEEE10hipError_tPvRmT1_PNSt15iterator_traitsIS12_E10value_typeET2_T3_PNS13_IS18_E10value_typeET4_jRbjT5_S1E_jjP12ihipStream_tbEUljE_ZNSN_ISO_Lb0ESQ_SR_ST_SU_SY_EESZ_S10_S11_S12_S16_S17_S18_S1B_S1C_jS1D_jS1E_S1E_jjS1G_bEUljE0_EEESZ_S10_S11_S18_S1C_S1E_T6_T7_T9_mT8_S1G_bDpT10_ENKUlT_T0_E_clISt17integral_constantIbLb1EES1U_EEDaS1P_S1Q_EUlS1P_E_NS1_11comp_targetILNS1_3genE0ELNS1_11target_archE4294967295ELNS1_3gpuE0ELNS1_3repE0EEENS1_30default_config_static_selectorELNS0_4arch9wavefront6targetE1EEEvS12_
	.p2align	8
	.type	_ZN7rocprim17ROCPRIM_400000_NS6detail17trampoline_kernelINS0_13select_configILj256ELj13ELNS0_17block_load_methodE3ELS4_3ELS4_3ELNS0_20block_scan_algorithmE0ELj4294967295EEENS1_25partition_config_selectorILNS1_17partition_subalgoE4EjNS0_10empty_typeEbEEZZNS1_14partition_implILS8_4ELb0ES6_15HIP_vector_typeIjLj2EENS0_17counting_iteratorIjlEEPS9_SG_NS0_5tupleIJPjSI_NS0_16reverse_iteratorISI_EEEEENSH_IJSG_SG_SG_EEES9_SI_JZNS1_25segmented_radix_sort_implINS0_14default_configELb0EPKsPsPKlPlN2at6native12_GLOBAL__N_18offset_tEEE10hipError_tPvRmT1_PNSt15iterator_traitsIS12_E10value_typeET2_T3_PNS13_IS18_E10value_typeET4_jRbjT5_S1E_jjP12ihipStream_tbEUljE_ZNSN_ISO_Lb0ESQ_SR_ST_SU_SY_EESZ_S10_S11_S12_S16_S17_S18_S1B_S1C_jS1D_jS1E_S1E_jjS1G_bEUljE0_EEESZ_S10_S11_S18_S1C_S1E_T6_T7_T9_mT8_S1G_bDpT10_ENKUlT_T0_E_clISt17integral_constantIbLb1EES1U_EEDaS1P_S1Q_EUlS1P_E_NS1_11comp_targetILNS1_3genE0ELNS1_11target_archE4294967295ELNS1_3gpuE0ELNS1_3repE0EEENS1_30default_config_static_selectorELNS0_4arch9wavefront6targetE1EEEvS12_,@function
_ZN7rocprim17ROCPRIM_400000_NS6detail17trampoline_kernelINS0_13select_configILj256ELj13ELNS0_17block_load_methodE3ELS4_3ELS4_3ELNS0_20block_scan_algorithmE0ELj4294967295EEENS1_25partition_config_selectorILNS1_17partition_subalgoE4EjNS0_10empty_typeEbEEZZNS1_14partition_implILS8_4ELb0ES6_15HIP_vector_typeIjLj2EENS0_17counting_iteratorIjlEEPS9_SG_NS0_5tupleIJPjSI_NS0_16reverse_iteratorISI_EEEEENSH_IJSG_SG_SG_EEES9_SI_JZNS1_25segmented_radix_sort_implINS0_14default_configELb0EPKsPsPKlPlN2at6native12_GLOBAL__N_18offset_tEEE10hipError_tPvRmT1_PNSt15iterator_traitsIS12_E10value_typeET2_T3_PNS13_IS18_E10value_typeET4_jRbjT5_S1E_jjP12ihipStream_tbEUljE_ZNSN_ISO_Lb0ESQ_SR_ST_SU_SY_EESZ_S10_S11_S12_S16_S17_S18_S1B_S1C_jS1D_jS1E_S1E_jjS1G_bEUljE0_EEESZ_S10_S11_S18_S1C_S1E_T6_T7_T9_mT8_S1G_bDpT10_ENKUlT_T0_E_clISt17integral_constantIbLb1EES1U_EEDaS1P_S1Q_EUlS1P_E_NS1_11comp_targetILNS1_3genE0ELNS1_11target_archE4294967295ELNS1_3gpuE0ELNS1_3repE0EEENS1_30default_config_static_selectorELNS0_4arch9wavefront6targetE1EEEvS12_: ; @_ZN7rocprim17ROCPRIM_400000_NS6detail17trampoline_kernelINS0_13select_configILj256ELj13ELNS0_17block_load_methodE3ELS4_3ELS4_3ELNS0_20block_scan_algorithmE0ELj4294967295EEENS1_25partition_config_selectorILNS1_17partition_subalgoE4EjNS0_10empty_typeEbEEZZNS1_14partition_implILS8_4ELb0ES6_15HIP_vector_typeIjLj2EENS0_17counting_iteratorIjlEEPS9_SG_NS0_5tupleIJPjSI_NS0_16reverse_iteratorISI_EEEEENSH_IJSG_SG_SG_EEES9_SI_JZNS1_25segmented_radix_sort_implINS0_14default_configELb0EPKsPsPKlPlN2at6native12_GLOBAL__N_18offset_tEEE10hipError_tPvRmT1_PNSt15iterator_traitsIS12_E10value_typeET2_T3_PNS13_IS18_E10value_typeET4_jRbjT5_S1E_jjP12ihipStream_tbEUljE_ZNSN_ISO_Lb0ESQ_SR_ST_SU_SY_EESZ_S10_S11_S12_S16_S17_S18_S1B_S1C_jS1D_jS1E_S1E_jjS1G_bEUljE0_EEESZ_S10_S11_S18_S1C_S1E_T6_T7_T9_mT8_S1G_bDpT10_ENKUlT_T0_E_clISt17integral_constantIbLb1EES1U_EEDaS1P_S1Q_EUlS1P_E_NS1_11comp_targetILNS1_3genE0ELNS1_11target_archE4294967295ELNS1_3gpuE0ELNS1_3repE0EEENS1_30default_config_static_selectorELNS0_4arch9wavefront6targetE1EEEvS12_
; %bb.0:
	.section	.rodata,"a",@progbits
	.p2align	6, 0x0
	.amdhsa_kernel _ZN7rocprim17ROCPRIM_400000_NS6detail17trampoline_kernelINS0_13select_configILj256ELj13ELNS0_17block_load_methodE3ELS4_3ELS4_3ELNS0_20block_scan_algorithmE0ELj4294967295EEENS1_25partition_config_selectorILNS1_17partition_subalgoE4EjNS0_10empty_typeEbEEZZNS1_14partition_implILS8_4ELb0ES6_15HIP_vector_typeIjLj2EENS0_17counting_iteratorIjlEEPS9_SG_NS0_5tupleIJPjSI_NS0_16reverse_iteratorISI_EEEEENSH_IJSG_SG_SG_EEES9_SI_JZNS1_25segmented_radix_sort_implINS0_14default_configELb0EPKsPsPKlPlN2at6native12_GLOBAL__N_18offset_tEEE10hipError_tPvRmT1_PNSt15iterator_traitsIS12_E10value_typeET2_T3_PNS13_IS18_E10value_typeET4_jRbjT5_S1E_jjP12ihipStream_tbEUljE_ZNSN_ISO_Lb0ESQ_SR_ST_SU_SY_EESZ_S10_S11_S12_S16_S17_S18_S1B_S1C_jS1D_jS1E_S1E_jjS1G_bEUljE0_EEESZ_S10_S11_S18_S1C_S1E_T6_T7_T9_mT8_S1G_bDpT10_ENKUlT_T0_E_clISt17integral_constantIbLb1EES1U_EEDaS1P_S1Q_EUlS1P_E_NS1_11comp_targetILNS1_3genE0ELNS1_11target_archE4294967295ELNS1_3gpuE0ELNS1_3repE0EEENS1_30default_config_static_selectorELNS0_4arch9wavefront6targetE1EEEvS12_
		.amdhsa_group_segment_fixed_size 0
		.amdhsa_private_segment_fixed_size 0
		.amdhsa_kernarg_size 184
		.amdhsa_user_sgpr_count 6
		.amdhsa_user_sgpr_private_segment_buffer 1
		.amdhsa_user_sgpr_dispatch_ptr 0
		.amdhsa_user_sgpr_queue_ptr 0
		.amdhsa_user_sgpr_kernarg_segment_ptr 1
		.amdhsa_user_sgpr_dispatch_id 0
		.amdhsa_user_sgpr_flat_scratch_init 0
		.amdhsa_user_sgpr_kernarg_preload_length 0
		.amdhsa_user_sgpr_kernarg_preload_offset 0
		.amdhsa_user_sgpr_private_segment_size 0
		.amdhsa_uses_dynamic_stack 0
		.amdhsa_system_sgpr_private_segment_wavefront_offset 0
		.amdhsa_system_sgpr_workgroup_id_x 1
		.amdhsa_system_sgpr_workgroup_id_y 0
		.amdhsa_system_sgpr_workgroup_id_z 0
		.amdhsa_system_sgpr_workgroup_info 0
		.amdhsa_system_vgpr_workitem_id 0
		.amdhsa_next_free_vgpr 1
		.amdhsa_next_free_sgpr 0
		.amdhsa_accum_offset 4
		.amdhsa_reserve_vcc 0
		.amdhsa_reserve_flat_scratch 0
		.amdhsa_float_round_mode_32 0
		.amdhsa_float_round_mode_16_64 0
		.amdhsa_float_denorm_mode_32 3
		.amdhsa_float_denorm_mode_16_64 3
		.amdhsa_dx10_clamp 1
		.amdhsa_ieee_mode 1
		.amdhsa_fp16_overflow 0
		.amdhsa_tg_split 0
		.amdhsa_exception_fp_ieee_invalid_op 0
		.amdhsa_exception_fp_denorm_src 0
		.amdhsa_exception_fp_ieee_div_zero 0
		.amdhsa_exception_fp_ieee_overflow 0
		.amdhsa_exception_fp_ieee_underflow 0
		.amdhsa_exception_fp_ieee_inexact 0
		.amdhsa_exception_int_div_zero 0
	.end_amdhsa_kernel
	.section	.text._ZN7rocprim17ROCPRIM_400000_NS6detail17trampoline_kernelINS0_13select_configILj256ELj13ELNS0_17block_load_methodE3ELS4_3ELS4_3ELNS0_20block_scan_algorithmE0ELj4294967295EEENS1_25partition_config_selectorILNS1_17partition_subalgoE4EjNS0_10empty_typeEbEEZZNS1_14partition_implILS8_4ELb0ES6_15HIP_vector_typeIjLj2EENS0_17counting_iteratorIjlEEPS9_SG_NS0_5tupleIJPjSI_NS0_16reverse_iteratorISI_EEEEENSH_IJSG_SG_SG_EEES9_SI_JZNS1_25segmented_radix_sort_implINS0_14default_configELb0EPKsPsPKlPlN2at6native12_GLOBAL__N_18offset_tEEE10hipError_tPvRmT1_PNSt15iterator_traitsIS12_E10value_typeET2_T3_PNS13_IS18_E10value_typeET4_jRbjT5_S1E_jjP12ihipStream_tbEUljE_ZNSN_ISO_Lb0ESQ_SR_ST_SU_SY_EESZ_S10_S11_S12_S16_S17_S18_S1B_S1C_jS1D_jS1E_S1E_jjS1G_bEUljE0_EEESZ_S10_S11_S18_S1C_S1E_T6_T7_T9_mT8_S1G_bDpT10_ENKUlT_T0_E_clISt17integral_constantIbLb1EES1U_EEDaS1P_S1Q_EUlS1P_E_NS1_11comp_targetILNS1_3genE0ELNS1_11target_archE4294967295ELNS1_3gpuE0ELNS1_3repE0EEENS1_30default_config_static_selectorELNS0_4arch9wavefront6targetE1EEEvS12_,"axG",@progbits,_ZN7rocprim17ROCPRIM_400000_NS6detail17trampoline_kernelINS0_13select_configILj256ELj13ELNS0_17block_load_methodE3ELS4_3ELS4_3ELNS0_20block_scan_algorithmE0ELj4294967295EEENS1_25partition_config_selectorILNS1_17partition_subalgoE4EjNS0_10empty_typeEbEEZZNS1_14partition_implILS8_4ELb0ES6_15HIP_vector_typeIjLj2EENS0_17counting_iteratorIjlEEPS9_SG_NS0_5tupleIJPjSI_NS0_16reverse_iteratorISI_EEEEENSH_IJSG_SG_SG_EEES9_SI_JZNS1_25segmented_radix_sort_implINS0_14default_configELb0EPKsPsPKlPlN2at6native12_GLOBAL__N_18offset_tEEE10hipError_tPvRmT1_PNSt15iterator_traitsIS12_E10value_typeET2_T3_PNS13_IS18_E10value_typeET4_jRbjT5_S1E_jjP12ihipStream_tbEUljE_ZNSN_ISO_Lb0ESQ_SR_ST_SU_SY_EESZ_S10_S11_S12_S16_S17_S18_S1B_S1C_jS1D_jS1E_S1E_jjS1G_bEUljE0_EEESZ_S10_S11_S18_S1C_S1E_T6_T7_T9_mT8_S1G_bDpT10_ENKUlT_T0_E_clISt17integral_constantIbLb1EES1U_EEDaS1P_S1Q_EUlS1P_E_NS1_11comp_targetILNS1_3genE0ELNS1_11target_archE4294967295ELNS1_3gpuE0ELNS1_3repE0EEENS1_30default_config_static_selectorELNS0_4arch9wavefront6targetE1EEEvS12_,comdat
.Lfunc_end957:
	.size	_ZN7rocprim17ROCPRIM_400000_NS6detail17trampoline_kernelINS0_13select_configILj256ELj13ELNS0_17block_load_methodE3ELS4_3ELS4_3ELNS0_20block_scan_algorithmE0ELj4294967295EEENS1_25partition_config_selectorILNS1_17partition_subalgoE4EjNS0_10empty_typeEbEEZZNS1_14partition_implILS8_4ELb0ES6_15HIP_vector_typeIjLj2EENS0_17counting_iteratorIjlEEPS9_SG_NS0_5tupleIJPjSI_NS0_16reverse_iteratorISI_EEEEENSH_IJSG_SG_SG_EEES9_SI_JZNS1_25segmented_radix_sort_implINS0_14default_configELb0EPKsPsPKlPlN2at6native12_GLOBAL__N_18offset_tEEE10hipError_tPvRmT1_PNSt15iterator_traitsIS12_E10value_typeET2_T3_PNS13_IS18_E10value_typeET4_jRbjT5_S1E_jjP12ihipStream_tbEUljE_ZNSN_ISO_Lb0ESQ_SR_ST_SU_SY_EESZ_S10_S11_S12_S16_S17_S18_S1B_S1C_jS1D_jS1E_S1E_jjS1G_bEUljE0_EEESZ_S10_S11_S18_S1C_S1E_T6_T7_T9_mT8_S1G_bDpT10_ENKUlT_T0_E_clISt17integral_constantIbLb1EES1U_EEDaS1P_S1Q_EUlS1P_E_NS1_11comp_targetILNS1_3genE0ELNS1_11target_archE4294967295ELNS1_3gpuE0ELNS1_3repE0EEENS1_30default_config_static_selectorELNS0_4arch9wavefront6targetE1EEEvS12_, .Lfunc_end957-_ZN7rocprim17ROCPRIM_400000_NS6detail17trampoline_kernelINS0_13select_configILj256ELj13ELNS0_17block_load_methodE3ELS4_3ELS4_3ELNS0_20block_scan_algorithmE0ELj4294967295EEENS1_25partition_config_selectorILNS1_17partition_subalgoE4EjNS0_10empty_typeEbEEZZNS1_14partition_implILS8_4ELb0ES6_15HIP_vector_typeIjLj2EENS0_17counting_iteratorIjlEEPS9_SG_NS0_5tupleIJPjSI_NS0_16reverse_iteratorISI_EEEEENSH_IJSG_SG_SG_EEES9_SI_JZNS1_25segmented_radix_sort_implINS0_14default_configELb0EPKsPsPKlPlN2at6native12_GLOBAL__N_18offset_tEEE10hipError_tPvRmT1_PNSt15iterator_traitsIS12_E10value_typeET2_T3_PNS13_IS18_E10value_typeET4_jRbjT5_S1E_jjP12ihipStream_tbEUljE_ZNSN_ISO_Lb0ESQ_SR_ST_SU_SY_EESZ_S10_S11_S12_S16_S17_S18_S1B_S1C_jS1D_jS1E_S1E_jjS1G_bEUljE0_EEESZ_S10_S11_S18_S1C_S1E_T6_T7_T9_mT8_S1G_bDpT10_ENKUlT_T0_E_clISt17integral_constantIbLb1EES1U_EEDaS1P_S1Q_EUlS1P_E_NS1_11comp_targetILNS1_3genE0ELNS1_11target_archE4294967295ELNS1_3gpuE0ELNS1_3repE0EEENS1_30default_config_static_selectorELNS0_4arch9wavefront6targetE1EEEvS12_
                                        ; -- End function
	.section	.AMDGPU.csdata,"",@progbits
; Kernel info:
; codeLenInByte = 0
; NumSgprs: 4
; NumVgprs: 0
; NumAgprs: 0
; TotalNumVgprs: 0
; ScratchSize: 0
; MemoryBound: 0
; FloatMode: 240
; IeeeMode: 1
; LDSByteSize: 0 bytes/workgroup (compile time only)
; SGPRBlocks: 0
; VGPRBlocks: 0
; NumSGPRsForWavesPerEU: 4
; NumVGPRsForWavesPerEU: 1
; AccumOffset: 4
; Occupancy: 8
; WaveLimiterHint : 0
; COMPUTE_PGM_RSRC2:SCRATCH_EN: 0
; COMPUTE_PGM_RSRC2:USER_SGPR: 6
; COMPUTE_PGM_RSRC2:TRAP_HANDLER: 0
; COMPUTE_PGM_RSRC2:TGID_X_EN: 1
; COMPUTE_PGM_RSRC2:TGID_Y_EN: 0
; COMPUTE_PGM_RSRC2:TGID_Z_EN: 0
; COMPUTE_PGM_RSRC2:TIDIG_COMP_CNT: 0
; COMPUTE_PGM_RSRC3_GFX90A:ACCUM_OFFSET: 0
; COMPUTE_PGM_RSRC3_GFX90A:TG_SPLIT: 0
	.section	.text._ZN7rocprim17ROCPRIM_400000_NS6detail17trampoline_kernelINS0_13select_configILj256ELj13ELNS0_17block_load_methodE3ELS4_3ELS4_3ELNS0_20block_scan_algorithmE0ELj4294967295EEENS1_25partition_config_selectorILNS1_17partition_subalgoE4EjNS0_10empty_typeEbEEZZNS1_14partition_implILS8_4ELb0ES6_15HIP_vector_typeIjLj2EENS0_17counting_iteratorIjlEEPS9_SG_NS0_5tupleIJPjSI_NS0_16reverse_iteratorISI_EEEEENSH_IJSG_SG_SG_EEES9_SI_JZNS1_25segmented_radix_sort_implINS0_14default_configELb0EPKsPsPKlPlN2at6native12_GLOBAL__N_18offset_tEEE10hipError_tPvRmT1_PNSt15iterator_traitsIS12_E10value_typeET2_T3_PNS13_IS18_E10value_typeET4_jRbjT5_S1E_jjP12ihipStream_tbEUljE_ZNSN_ISO_Lb0ESQ_SR_ST_SU_SY_EESZ_S10_S11_S12_S16_S17_S18_S1B_S1C_jS1D_jS1E_S1E_jjS1G_bEUljE0_EEESZ_S10_S11_S18_S1C_S1E_T6_T7_T9_mT8_S1G_bDpT10_ENKUlT_T0_E_clISt17integral_constantIbLb1EES1U_EEDaS1P_S1Q_EUlS1P_E_NS1_11comp_targetILNS1_3genE5ELNS1_11target_archE942ELNS1_3gpuE9ELNS1_3repE0EEENS1_30default_config_static_selectorELNS0_4arch9wavefront6targetE1EEEvS12_,"axG",@progbits,_ZN7rocprim17ROCPRIM_400000_NS6detail17trampoline_kernelINS0_13select_configILj256ELj13ELNS0_17block_load_methodE3ELS4_3ELS4_3ELNS0_20block_scan_algorithmE0ELj4294967295EEENS1_25partition_config_selectorILNS1_17partition_subalgoE4EjNS0_10empty_typeEbEEZZNS1_14partition_implILS8_4ELb0ES6_15HIP_vector_typeIjLj2EENS0_17counting_iteratorIjlEEPS9_SG_NS0_5tupleIJPjSI_NS0_16reverse_iteratorISI_EEEEENSH_IJSG_SG_SG_EEES9_SI_JZNS1_25segmented_radix_sort_implINS0_14default_configELb0EPKsPsPKlPlN2at6native12_GLOBAL__N_18offset_tEEE10hipError_tPvRmT1_PNSt15iterator_traitsIS12_E10value_typeET2_T3_PNS13_IS18_E10value_typeET4_jRbjT5_S1E_jjP12ihipStream_tbEUljE_ZNSN_ISO_Lb0ESQ_SR_ST_SU_SY_EESZ_S10_S11_S12_S16_S17_S18_S1B_S1C_jS1D_jS1E_S1E_jjS1G_bEUljE0_EEESZ_S10_S11_S18_S1C_S1E_T6_T7_T9_mT8_S1G_bDpT10_ENKUlT_T0_E_clISt17integral_constantIbLb1EES1U_EEDaS1P_S1Q_EUlS1P_E_NS1_11comp_targetILNS1_3genE5ELNS1_11target_archE942ELNS1_3gpuE9ELNS1_3repE0EEENS1_30default_config_static_selectorELNS0_4arch9wavefront6targetE1EEEvS12_,comdat
	.globl	_ZN7rocprim17ROCPRIM_400000_NS6detail17trampoline_kernelINS0_13select_configILj256ELj13ELNS0_17block_load_methodE3ELS4_3ELS4_3ELNS0_20block_scan_algorithmE0ELj4294967295EEENS1_25partition_config_selectorILNS1_17partition_subalgoE4EjNS0_10empty_typeEbEEZZNS1_14partition_implILS8_4ELb0ES6_15HIP_vector_typeIjLj2EENS0_17counting_iteratorIjlEEPS9_SG_NS0_5tupleIJPjSI_NS0_16reverse_iteratorISI_EEEEENSH_IJSG_SG_SG_EEES9_SI_JZNS1_25segmented_radix_sort_implINS0_14default_configELb0EPKsPsPKlPlN2at6native12_GLOBAL__N_18offset_tEEE10hipError_tPvRmT1_PNSt15iterator_traitsIS12_E10value_typeET2_T3_PNS13_IS18_E10value_typeET4_jRbjT5_S1E_jjP12ihipStream_tbEUljE_ZNSN_ISO_Lb0ESQ_SR_ST_SU_SY_EESZ_S10_S11_S12_S16_S17_S18_S1B_S1C_jS1D_jS1E_S1E_jjS1G_bEUljE0_EEESZ_S10_S11_S18_S1C_S1E_T6_T7_T9_mT8_S1G_bDpT10_ENKUlT_T0_E_clISt17integral_constantIbLb1EES1U_EEDaS1P_S1Q_EUlS1P_E_NS1_11comp_targetILNS1_3genE5ELNS1_11target_archE942ELNS1_3gpuE9ELNS1_3repE0EEENS1_30default_config_static_selectorELNS0_4arch9wavefront6targetE1EEEvS12_ ; -- Begin function _ZN7rocprim17ROCPRIM_400000_NS6detail17trampoline_kernelINS0_13select_configILj256ELj13ELNS0_17block_load_methodE3ELS4_3ELS4_3ELNS0_20block_scan_algorithmE0ELj4294967295EEENS1_25partition_config_selectorILNS1_17partition_subalgoE4EjNS0_10empty_typeEbEEZZNS1_14partition_implILS8_4ELb0ES6_15HIP_vector_typeIjLj2EENS0_17counting_iteratorIjlEEPS9_SG_NS0_5tupleIJPjSI_NS0_16reverse_iteratorISI_EEEEENSH_IJSG_SG_SG_EEES9_SI_JZNS1_25segmented_radix_sort_implINS0_14default_configELb0EPKsPsPKlPlN2at6native12_GLOBAL__N_18offset_tEEE10hipError_tPvRmT1_PNSt15iterator_traitsIS12_E10value_typeET2_T3_PNS13_IS18_E10value_typeET4_jRbjT5_S1E_jjP12ihipStream_tbEUljE_ZNSN_ISO_Lb0ESQ_SR_ST_SU_SY_EESZ_S10_S11_S12_S16_S17_S18_S1B_S1C_jS1D_jS1E_S1E_jjS1G_bEUljE0_EEESZ_S10_S11_S18_S1C_S1E_T6_T7_T9_mT8_S1G_bDpT10_ENKUlT_T0_E_clISt17integral_constantIbLb1EES1U_EEDaS1P_S1Q_EUlS1P_E_NS1_11comp_targetILNS1_3genE5ELNS1_11target_archE942ELNS1_3gpuE9ELNS1_3repE0EEENS1_30default_config_static_selectorELNS0_4arch9wavefront6targetE1EEEvS12_
	.p2align	8
	.type	_ZN7rocprim17ROCPRIM_400000_NS6detail17trampoline_kernelINS0_13select_configILj256ELj13ELNS0_17block_load_methodE3ELS4_3ELS4_3ELNS0_20block_scan_algorithmE0ELj4294967295EEENS1_25partition_config_selectorILNS1_17partition_subalgoE4EjNS0_10empty_typeEbEEZZNS1_14partition_implILS8_4ELb0ES6_15HIP_vector_typeIjLj2EENS0_17counting_iteratorIjlEEPS9_SG_NS0_5tupleIJPjSI_NS0_16reverse_iteratorISI_EEEEENSH_IJSG_SG_SG_EEES9_SI_JZNS1_25segmented_radix_sort_implINS0_14default_configELb0EPKsPsPKlPlN2at6native12_GLOBAL__N_18offset_tEEE10hipError_tPvRmT1_PNSt15iterator_traitsIS12_E10value_typeET2_T3_PNS13_IS18_E10value_typeET4_jRbjT5_S1E_jjP12ihipStream_tbEUljE_ZNSN_ISO_Lb0ESQ_SR_ST_SU_SY_EESZ_S10_S11_S12_S16_S17_S18_S1B_S1C_jS1D_jS1E_S1E_jjS1G_bEUljE0_EEESZ_S10_S11_S18_S1C_S1E_T6_T7_T9_mT8_S1G_bDpT10_ENKUlT_T0_E_clISt17integral_constantIbLb1EES1U_EEDaS1P_S1Q_EUlS1P_E_NS1_11comp_targetILNS1_3genE5ELNS1_11target_archE942ELNS1_3gpuE9ELNS1_3repE0EEENS1_30default_config_static_selectorELNS0_4arch9wavefront6targetE1EEEvS12_,@function
_ZN7rocprim17ROCPRIM_400000_NS6detail17trampoline_kernelINS0_13select_configILj256ELj13ELNS0_17block_load_methodE3ELS4_3ELS4_3ELNS0_20block_scan_algorithmE0ELj4294967295EEENS1_25partition_config_selectorILNS1_17partition_subalgoE4EjNS0_10empty_typeEbEEZZNS1_14partition_implILS8_4ELb0ES6_15HIP_vector_typeIjLj2EENS0_17counting_iteratorIjlEEPS9_SG_NS0_5tupleIJPjSI_NS0_16reverse_iteratorISI_EEEEENSH_IJSG_SG_SG_EEES9_SI_JZNS1_25segmented_radix_sort_implINS0_14default_configELb0EPKsPsPKlPlN2at6native12_GLOBAL__N_18offset_tEEE10hipError_tPvRmT1_PNSt15iterator_traitsIS12_E10value_typeET2_T3_PNS13_IS18_E10value_typeET4_jRbjT5_S1E_jjP12ihipStream_tbEUljE_ZNSN_ISO_Lb0ESQ_SR_ST_SU_SY_EESZ_S10_S11_S12_S16_S17_S18_S1B_S1C_jS1D_jS1E_S1E_jjS1G_bEUljE0_EEESZ_S10_S11_S18_S1C_S1E_T6_T7_T9_mT8_S1G_bDpT10_ENKUlT_T0_E_clISt17integral_constantIbLb1EES1U_EEDaS1P_S1Q_EUlS1P_E_NS1_11comp_targetILNS1_3genE5ELNS1_11target_archE942ELNS1_3gpuE9ELNS1_3repE0EEENS1_30default_config_static_selectorELNS0_4arch9wavefront6targetE1EEEvS12_: ; @_ZN7rocprim17ROCPRIM_400000_NS6detail17trampoline_kernelINS0_13select_configILj256ELj13ELNS0_17block_load_methodE3ELS4_3ELS4_3ELNS0_20block_scan_algorithmE0ELj4294967295EEENS1_25partition_config_selectorILNS1_17partition_subalgoE4EjNS0_10empty_typeEbEEZZNS1_14partition_implILS8_4ELb0ES6_15HIP_vector_typeIjLj2EENS0_17counting_iteratorIjlEEPS9_SG_NS0_5tupleIJPjSI_NS0_16reverse_iteratorISI_EEEEENSH_IJSG_SG_SG_EEES9_SI_JZNS1_25segmented_radix_sort_implINS0_14default_configELb0EPKsPsPKlPlN2at6native12_GLOBAL__N_18offset_tEEE10hipError_tPvRmT1_PNSt15iterator_traitsIS12_E10value_typeET2_T3_PNS13_IS18_E10value_typeET4_jRbjT5_S1E_jjP12ihipStream_tbEUljE_ZNSN_ISO_Lb0ESQ_SR_ST_SU_SY_EESZ_S10_S11_S12_S16_S17_S18_S1B_S1C_jS1D_jS1E_S1E_jjS1G_bEUljE0_EEESZ_S10_S11_S18_S1C_S1E_T6_T7_T9_mT8_S1G_bDpT10_ENKUlT_T0_E_clISt17integral_constantIbLb1EES1U_EEDaS1P_S1Q_EUlS1P_E_NS1_11comp_targetILNS1_3genE5ELNS1_11target_archE942ELNS1_3gpuE9ELNS1_3repE0EEENS1_30default_config_static_selectorELNS0_4arch9wavefront6targetE1EEEvS12_
; %bb.0:
	.section	.rodata,"a",@progbits
	.p2align	6, 0x0
	.amdhsa_kernel _ZN7rocprim17ROCPRIM_400000_NS6detail17trampoline_kernelINS0_13select_configILj256ELj13ELNS0_17block_load_methodE3ELS4_3ELS4_3ELNS0_20block_scan_algorithmE0ELj4294967295EEENS1_25partition_config_selectorILNS1_17partition_subalgoE4EjNS0_10empty_typeEbEEZZNS1_14partition_implILS8_4ELb0ES6_15HIP_vector_typeIjLj2EENS0_17counting_iteratorIjlEEPS9_SG_NS0_5tupleIJPjSI_NS0_16reverse_iteratorISI_EEEEENSH_IJSG_SG_SG_EEES9_SI_JZNS1_25segmented_radix_sort_implINS0_14default_configELb0EPKsPsPKlPlN2at6native12_GLOBAL__N_18offset_tEEE10hipError_tPvRmT1_PNSt15iterator_traitsIS12_E10value_typeET2_T3_PNS13_IS18_E10value_typeET4_jRbjT5_S1E_jjP12ihipStream_tbEUljE_ZNSN_ISO_Lb0ESQ_SR_ST_SU_SY_EESZ_S10_S11_S12_S16_S17_S18_S1B_S1C_jS1D_jS1E_S1E_jjS1G_bEUljE0_EEESZ_S10_S11_S18_S1C_S1E_T6_T7_T9_mT8_S1G_bDpT10_ENKUlT_T0_E_clISt17integral_constantIbLb1EES1U_EEDaS1P_S1Q_EUlS1P_E_NS1_11comp_targetILNS1_3genE5ELNS1_11target_archE942ELNS1_3gpuE9ELNS1_3repE0EEENS1_30default_config_static_selectorELNS0_4arch9wavefront6targetE1EEEvS12_
		.amdhsa_group_segment_fixed_size 0
		.amdhsa_private_segment_fixed_size 0
		.amdhsa_kernarg_size 184
		.amdhsa_user_sgpr_count 6
		.amdhsa_user_sgpr_private_segment_buffer 1
		.amdhsa_user_sgpr_dispatch_ptr 0
		.amdhsa_user_sgpr_queue_ptr 0
		.amdhsa_user_sgpr_kernarg_segment_ptr 1
		.amdhsa_user_sgpr_dispatch_id 0
		.amdhsa_user_sgpr_flat_scratch_init 0
		.amdhsa_user_sgpr_kernarg_preload_length 0
		.amdhsa_user_sgpr_kernarg_preload_offset 0
		.amdhsa_user_sgpr_private_segment_size 0
		.amdhsa_uses_dynamic_stack 0
		.amdhsa_system_sgpr_private_segment_wavefront_offset 0
		.amdhsa_system_sgpr_workgroup_id_x 1
		.amdhsa_system_sgpr_workgroup_id_y 0
		.amdhsa_system_sgpr_workgroup_id_z 0
		.amdhsa_system_sgpr_workgroup_info 0
		.amdhsa_system_vgpr_workitem_id 0
		.amdhsa_next_free_vgpr 1
		.amdhsa_next_free_sgpr 0
		.amdhsa_accum_offset 4
		.amdhsa_reserve_vcc 0
		.amdhsa_reserve_flat_scratch 0
		.amdhsa_float_round_mode_32 0
		.amdhsa_float_round_mode_16_64 0
		.amdhsa_float_denorm_mode_32 3
		.amdhsa_float_denorm_mode_16_64 3
		.amdhsa_dx10_clamp 1
		.amdhsa_ieee_mode 1
		.amdhsa_fp16_overflow 0
		.amdhsa_tg_split 0
		.amdhsa_exception_fp_ieee_invalid_op 0
		.amdhsa_exception_fp_denorm_src 0
		.amdhsa_exception_fp_ieee_div_zero 0
		.amdhsa_exception_fp_ieee_overflow 0
		.amdhsa_exception_fp_ieee_underflow 0
		.amdhsa_exception_fp_ieee_inexact 0
		.amdhsa_exception_int_div_zero 0
	.end_amdhsa_kernel
	.section	.text._ZN7rocprim17ROCPRIM_400000_NS6detail17trampoline_kernelINS0_13select_configILj256ELj13ELNS0_17block_load_methodE3ELS4_3ELS4_3ELNS0_20block_scan_algorithmE0ELj4294967295EEENS1_25partition_config_selectorILNS1_17partition_subalgoE4EjNS0_10empty_typeEbEEZZNS1_14partition_implILS8_4ELb0ES6_15HIP_vector_typeIjLj2EENS0_17counting_iteratorIjlEEPS9_SG_NS0_5tupleIJPjSI_NS0_16reverse_iteratorISI_EEEEENSH_IJSG_SG_SG_EEES9_SI_JZNS1_25segmented_radix_sort_implINS0_14default_configELb0EPKsPsPKlPlN2at6native12_GLOBAL__N_18offset_tEEE10hipError_tPvRmT1_PNSt15iterator_traitsIS12_E10value_typeET2_T3_PNS13_IS18_E10value_typeET4_jRbjT5_S1E_jjP12ihipStream_tbEUljE_ZNSN_ISO_Lb0ESQ_SR_ST_SU_SY_EESZ_S10_S11_S12_S16_S17_S18_S1B_S1C_jS1D_jS1E_S1E_jjS1G_bEUljE0_EEESZ_S10_S11_S18_S1C_S1E_T6_T7_T9_mT8_S1G_bDpT10_ENKUlT_T0_E_clISt17integral_constantIbLb1EES1U_EEDaS1P_S1Q_EUlS1P_E_NS1_11comp_targetILNS1_3genE5ELNS1_11target_archE942ELNS1_3gpuE9ELNS1_3repE0EEENS1_30default_config_static_selectorELNS0_4arch9wavefront6targetE1EEEvS12_,"axG",@progbits,_ZN7rocprim17ROCPRIM_400000_NS6detail17trampoline_kernelINS0_13select_configILj256ELj13ELNS0_17block_load_methodE3ELS4_3ELS4_3ELNS0_20block_scan_algorithmE0ELj4294967295EEENS1_25partition_config_selectorILNS1_17partition_subalgoE4EjNS0_10empty_typeEbEEZZNS1_14partition_implILS8_4ELb0ES6_15HIP_vector_typeIjLj2EENS0_17counting_iteratorIjlEEPS9_SG_NS0_5tupleIJPjSI_NS0_16reverse_iteratorISI_EEEEENSH_IJSG_SG_SG_EEES9_SI_JZNS1_25segmented_radix_sort_implINS0_14default_configELb0EPKsPsPKlPlN2at6native12_GLOBAL__N_18offset_tEEE10hipError_tPvRmT1_PNSt15iterator_traitsIS12_E10value_typeET2_T3_PNS13_IS18_E10value_typeET4_jRbjT5_S1E_jjP12ihipStream_tbEUljE_ZNSN_ISO_Lb0ESQ_SR_ST_SU_SY_EESZ_S10_S11_S12_S16_S17_S18_S1B_S1C_jS1D_jS1E_S1E_jjS1G_bEUljE0_EEESZ_S10_S11_S18_S1C_S1E_T6_T7_T9_mT8_S1G_bDpT10_ENKUlT_T0_E_clISt17integral_constantIbLb1EES1U_EEDaS1P_S1Q_EUlS1P_E_NS1_11comp_targetILNS1_3genE5ELNS1_11target_archE942ELNS1_3gpuE9ELNS1_3repE0EEENS1_30default_config_static_selectorELNS0_4arch9wavefront6targetE1EEEvS12_,comdat
.Lfunc_end958:
	.size	_ZN7rocprim17ROCPRIM_400000_NS6detail17trampoline_kernelINS0_13select_configILj256ELj13ELNS0_17block_load_methodE3ELS4_3ELS4_3ELNS0_20block_scan_algorithmE0ELj4294967295EEENS1_25partition_config_selectorILNS1_17partition_subalgoE4EjNS0_10empty_typeEbEEZZNS1_14partition_implILS8_4ELb0ES6_15HIP_vector_typeIjLj2EENS0_17counting_iteratorIjlEEPS9_SG_NS0_5tupleIJPjSI_NS0_16reverse_iteratorISI_EEEEENSH_IJSG_SG_SG_EEES9_SI_JZNS1_25segmented_radix_sort_implINS0_14default_configELb0EPKsPsPKlPlN2at6native12_GLOBAL__N_18offset_tEEE10hipError_tPvRmT1_PNSt15iterator_traitsIS12_E10value_typeET2_T3_PNS13_IS18_E10value_typeET4_jRbjT5_S1E_jjP12ihipStream_tbEUljE_ZNSN_ISO_Lb0ESQ_SR_ST_SU_SY_EESZ_S10_S11_S12_S16_S17_S18_S1B_S1C_jS1D_jS1E_S1E_jjS1G_bEUljE0_EEESZ_S10_S11_S18_S1C_S1E_T6_T7_T9_mT8_S1G_bDpT10_ENKUlT_T0_E_clISt17integral_constantIbLb1EES1U_EEDaS1P_S1Q_EUlS1P_E_NS1_11comp_targetILNS1_3genE5ELNS1_11target_archE942ELNS1_3gpuE9ELNS1_3repE0EEENS1_30default_config_static_selectorELNS0_4arch9wavefront6targetE1EEEvS12_, .Lfunc_end958-_ZN7rocprim17ROCPRIM_400000_NS6detail17trampoline_kernelINS0_13select_configILj256ELj13ELNS0_17block_load_methodE3ELS4_3ELS4_3ELNS0_20block_scan_algorithmE0ELj4294967295EEENS1_25partition_config_selectorILNS1_17partition_subalgoE4EjNS0_10empty_typeEbEEZZNS1_14partition_implILS8_4ELb0ES6_15HIP_vector_typeIjLj2EENS0_17counting_iteratorIjlEEPS9_SG_NS0_5tupleIJPjSI_NS0_16reverse_iteratorISI_EEEEENSH_IJSG_SG_SG_EEES9_SI_JZNS1_25segmented_radix_sort_implINS0_14default_configELb0EPKsPsPKlPlN2at6native12_GLOBAL__N_18offset_tEEE10hipError_tPvRmT1_PNSt15iterator_traitsIS12_E10value_typeET2_T3_PNS13_IS18_E10value_typeET4_jRbjT5_S1E_jjP12ihipStream_tbEUljE_ZNSN_ISO_Lb0ESQ_SR_ST_SU_SY_EESZ_S10_S11_S12_S16_S17_S18_S1B_S1C_jS1D_jS1E_S1E_jjS1G_bEUljE0_EEESZ_S10_S11_S18_S1C_S1E_T6_T7_T9_mT8_S1G_bDpT10_ENKUlT_T0_E_clISt17integral_constantIbLb1EES1U_EEDaS1P_S1Q_EUlS1P_E_NS1_11comp_targetILNS1_3genE5ELNS1_11target_archE942ELNS1_3gpuE9ELNS1_3repE0EEENS1_30default_config_static_selectorELNS0_4arch9wavefront6targetE1EEEvS12_
                                        ; -- End function
	.section	.AMDGPU.csdata,"",@progbits
; Kernel info:
; codeLenInByte = 0
; NumSgprs: 4
; NumVgprs: 0
; NumAgprs: 0
; TotalNumVgprs: 0
; ScratchSize: 0
; MemoryBound: 0
; FloatMode: 240
; IeeeMode: 1
; LDSByteSize: 0 bytes/workgroup (compile time only)
; SGPRBlocks: 0
; VGPRBlocks: 0
; NumSGPRsForWavesPerEU: 4
; NumVGPRsForWavesPerEU: 1
; AccumOffset: 4
; Occupancy: 8
; WaveLimiterHint : 0
; COMPUTE_PGM_RSRC2:SCRATCH_EN: 0
; COMPUTE_PGM_RSRC2:USER_SGPR: 6
; COMPUTE_PGM_RSRC2:TRAP_HANDLER: 0
; COMPUTE_PGM_RSRC2:TGID_X_EN: 1
; COMPUTE_PGM_RSRC2:TGID_Y_EN: 0
; COMPUTE_PGM_RSRC2:TGID_Z_EN: 0
; COMPUTE_PGM_RSRC2:TIDIG_COMP_CNT: 0
; COMPUTE_PGM_RSRC3_GFX90A:ACCUM_OFFSET: 0
; COMPUTE_PGM_RSRC3_GFX90A:TG_SPLIT: 0
	.section	.text._ZN7rocprim17ROCPRIM_400000_NS6detail17trampoline_kernelINS0_13select_configILj256ELj13ELNS0_17block_load_methodE3ELS4_3ELS4_3ELNS0_20block_scan_algorithmE0ELj4294967295EEENS1_25partition_config_selectorILNS1_17partition_subalgoE4EjNS0_10empty_typeEbEEZZNS1_14partition_implILS8_4ELb0ES6_15HIP_vector_typeIjLj2EENS0_17counting_iteratorIjlEEPS9_SG_NS0_5tupleIJPjSI_NS0_16reverse_iteratorISI_EEEEENSH_IJSG_SG_SG_EEES9_SI_JZNS1_25segmented_radix_sort_implINS0_14default_configELb0EPKsPsPKlPlN2at6native12_GLOBAL__N_18offset_tEEE10hipError_tPvRmT1_PNSt15iterator_traitsIS12_E10value_typeET2_T3_PNS13_IS18_E10value_typeET4_jRbjT5_S1E_jjP12ihipStream_tbEUljE_ZNSN_ISO_Lb0ESQ_SR_ST_SU_SY_EESZ_S10_S11_S12_S16_S17_S18_S1B_S1C_jS1D_jS1E_S1E_jjS1G_bEUljE0_EEESZ_S10_S11_S18_S1C_S1E_T6_T7_T9_mT8_S1G_bDpT10_ENKUlT_T0_E_clISt17integral_constantIbLb1EES1U_EEDaS1P_S1Q_EUlS1P_E_NS1_11comp_targetILNS1_3genE4ELNS1_11target_archE910ELNS1_3gpuE8ELNS1_3repE0EEENS1_30default_config_static_selectorELNS0_4arch9wavefront6targetE1EEEvS12_,"axG",@progbits,_ZN7rocprim17ROCPRIM_400000_NS6detail17trampoline_kernelINS0_13select_configILj256ELj13ELNS0_17block_load_methodE3ELS4_3ELS4_3ELNS0_20block_scan_algorithmE0ELj4294967295EEENS1_25partition_config_selectorILNS1_17partition_subalgoE4EjNS0_10empty_typeEbEEZZNS1_14partition_implILS8_4ELb0ES6_15HIP_vector_typeIjLj2EENS0_17counting_iteratorIjlEEPS9_SG_NS0_5tupleIJPjSI_NS0_16reverse_iteratorISI_EEEEENSH_IJSG_SG_SG_EEES9_SI_JZNS1_25segmented_radix_sort_implINS0_14default_configELb0EPKsPsPKlPlN2at6native12_GLOBAL__N_18offset_tEEE10hipError_tPvRmT1_PNSt15iterator_traitsIS12_E10value_typeET2_T3_PNS13_IS18_E10value_typeET4_jRbjT5_S1E_jjP12ihipStream_tbEUljE_ZNSN_ISO_Lb0ESQ_SR_ST_SU_SY_EESZ_S10_S11_S12_S16_S17_S18_S1B_S1C_jS1D_jS1E_S1E_jjS1G_bEUljE0_EEESZ_S10_S11_S18_S1C_S1E_T6_T7_T9_mT8_S1G_bDpT10_ENKUlT_T0_E_clISt17integral_constantIbLb1EES1U_EEDaS1P_S1Q_EUlS1P_E_NS1_11comp_targetILNS1_3genE4ELNS1_11target_archE910ELNS1_3gpuE8ELNS1_3repE0EEENS1_30default_config_static_selectorELNS0_4arch9wavefront6targetE1EEEvS12_,comdat
	.globl	_ZN7rocprim17ROCPRIM_400000_NS6detail17trampoline_kernelINS0_13select_configILj256ELj13ELNS0_17block_load_methodE3ELS4_3ELS4_3ELNS0_20block_scan_algorithmE0ELj4294967295EEENS1_25partition_config_selectorILNS1_17partition_subalgoE4EjNS0_10empty_typeEbEEZZNS1_14partition_implILS8_4ELb0ES6_15HIP_vector_typeIjLj2EENS0_17counting_iteratorIjlEEPS9_SG_NS0_5tupleIJPjSI_NS0_16reverse_iteratorISI_EEEEENSH_IJSG_SG_SG_EEES9_SI_JZNS1_25segmented_radix_sort_implINS0_14default_configELb0EPKsPsPKlPlN2at6native12_GLOBAL__N_18offset_tEEE10hipError_tPvRmT1_PNSt15iterator_traitsIS12_E10value_typeET2_T3_PNS13_IS18_E10value_typeET4_jRbjT5_S1E_jjP12ihipStream_tbEUljE_ZNSN_ISO_Lb0ESQ_SR_ST_SU_SY_EESZ_S10_S11_S12_S16_S17_S18_S1B_S1C_jS1D_jS1E_S1E_jjS1G_bEUljE0_EEESZ_S10_S11_S18_S1C_S1E_T6_T7_T9_mT8_S1G_bDpT10_ENKUlT_T0_E_clISt17integral_constantIbLb1EES1U_EEDaS1P_S1Q_EUlS1P_E_NS1_11comp_targetILNS1_3genE4ELNS1_11target_archE910ELNS1_3gpuE8ELNS1_3repE0EEENS1_30default_config_static_selectorELNS0_4arch9wavefront6targetE1EEEvS12_ ; -- Begin function _ZN7rocprim17ROCPRIM_400000_NS6detail17trampoline_kernelINS0_13select_configILj256ELj13ELNS0_17block_load_methodE3ELS4_3ELS4_3ELNS0_20block_scan_algorithmE0ELj4294967295EEENS1_25partition_config_selectorILNS1_17partition_subalgoE4EjNS0_10empty_typeEbEEZZNS1_14partition_implILS8_4ELb0ES6_15HIP_vector_typeIjLj2EENS0_17counting_iteratorIjlEEPS9_SG_NS0_5tupleIJPjSI_NS0_16reverse_iteratorISI_EEEEENSH_IJSG_SG_SG_EEES9_SI_JZNS1_25segmented_radix_sort_implINS0_14default_configELb0EPKsPsPKlPlN2at6native12_GLOBAL__N_18offset_tEEE10hipError_tPvRmT1_PNSt15iterator_traitsIS12_E10value_typeET2_T3_PNS13_IS18_E10value_typeET4_jRbjT5_S1E_jjP12ihipStream_tbEUljE_ZNSN_ISO_Lb0ESQ_SR_ST_SU_SY_EESZ_S10_S11_S12_S16_S17_S18_S1B_S1C_jS1D_jS1E_S1E_jjS1G_bEUljE0_EEESZ_S10_S11_S18_S1C_S1E_T6_T7_T9_mT8_S1G_bDpT10_ENKUlT_T0_E_clISt17integral_constantIbLb1EES1U_EEDaS1P_S1Q_EUlS1P_E_NS1_11comp_targetILNS1_3genE4ELNS1_11target_archE910ELNS1_3gpuE8ELNS1_3repE0EEENS1_30default_config_static_selectorELNS0_4arch9wavefront6targetE1EEEvS12_
	.p2align	8
	.type	_ZN7rocprim17ROCPRIM_400000_NS6detail17trampoline_kernelINS0_13select_configILj256ELj13ELNS0_17block_load_methodE3ELS4_3ELS4_3ELNS0_20block_scan_algorithmE0ELj4294967295EEENS1_25partition_config_selectorILNS1_17partition_subalgoE4EjNS0_10empty_typeEbEEZZNS1_14partition_implILS8_4ELb0ES6_15HIP_vector_typeIjLj2EENS0_17counting_iteratorIjlEEPS9_SG_NS0_5tupleIJPjSI_NS0_16reverse_iteratorISI_EEEEENSH_IJSG_SG_SG_EEES9_SI_JZNS1_25segmented_radix_sort_implINS0_14default_configELb0EPKsPsPKlPlN2at6native12_GLOBAL__N_18offset_tEEE10hipError_tPvRmT1_PNSt15iterator_traitsIS12_E10value_typeET2_T3_PNS13_IS18_E10value_typeET4_jRbjT5_S1E_jjP12ihipStream_tbEUljE_ZNSN_ISO_Lb0ESQ_SR_ST_SU_SY_EESZ_S10_S11_S12_S16_S17_S18_S1B_S1C_jS1D_jS1E_S1E_jjS1G_bEUljE0_EEESZ_S10_S11_S18_S1C_S1E_T6_T7_T9_mT8_S1G_bDpT10_ENKUlT_T0_E_clISt17integral_constantIbLb1EES1U_EEDaS1P_S1Q_EUlS1P_E_NS1_11comp_targetILNS1_3genE4ELNS1_11target_archE910ELNS1_3gpuE8ELNS1_3repE0EEENS1_30default_config_static_selectorELNS0_4arch9wavefront6targetE1EEEvS12_,@function
_ZN7rocprim17ROCPRIM_400000_NS6detail17trampoline_kernelINS0_13select_configILj256ELj13ELNS0_17block_load_methodE3ELS4_3ELS4_3ELNS0_20block_scan_algorithmE0ELj4294967295EEENS1_25partition_config_selectorILNS1_17partition_subalgoE4EjNS0_10empty_typeEbEEZZNS1_14partition_implILS8_4ELb0ES6_15HIP_vector_typeIjLj2EENS0_17counting_iteratorIjlEEPS9_SG_NS0_5tupleIJPjSI_NS0_16reverse_iteratorISI_EEEEENSH_IJSG_SG_SG_EEES9_SI_JZNS1_25segmented_radix_sort_implINS0_14default_configELb0EPKsPsPKlPlN2at6native12_GLOBAL__N_18offset_tEEE10hipError_tPvRmT1_PNSt15iterator_traitsIS12_E10value_typeET2_T3_PNS13_IS18_E10value_typeET4_jRbjT5_S1E_jjP12ihipStream_tbEUljE_ZNSN_ISO_Lb0ESQ_SR_ST_SU_SY_EESZ_S10_S11_S12_S16_S17_S18_S1B_S1C_jS1D_jS1E_S1E_jjS1G_bEUljE0_EEESZ_S10_S11_S18_S1C_S1E_T6_T7_T9_mT8_S1G_bDpT10_ENKUlT_T0_E_clISt17integral_constantIbLb1EES1U_EEDaS1P_S1Q_EUlS1P_E_NS1_11comp_targetILNS1_3genE4ELNS1_11target_archE910ELNS1_3gpuE8ELNS1_3repE0EEENS1_30default_config_static_selectorELNS0_4arch9wavefront6targetE1EEEvS12_: ; @_ZN7rocprim17ROCPRIM_400000_NS6detail17trampoline_kernelINS0_13select_configILj256ELj13ELNS0_17block_load_methodE3ELS4_3ELS4_3ELNS0_20block_scan_algorithmE0ELj4294967295EEENS1_25partition_config_selectorILNS1_17partition_subalgoE4EjNS0_10empty_typeEbEEZZNS1_14partition_implILS8_4ELb0ES6_15HIP_vector_typeIjLj2EENS0_17counting_iteratorIjlEEPS9_SG_NS0_5tupleIJPjSI_NS0_16reverse_iteratorISI_EEEEENSH_IJSG_SG_SG_EEES9_SI_JZNS1_25segmented_radix_sort_implINS0_14default_configELb0EPKsPsPKlPlN2at6native12_GLOBAL__N_18offset_tEEE10hipError_tPvRmT1_PNSt15iterator_traitsIS12_E10value_typeET2_T3_PNS13_IS18_E10value_typeET4_jRbjT5_S1E_jjP12ihipStream_tbEUljE_ZNSN_ISO_Lb0ESQ_SR_ST_SU_SY_EESZ_S10_S11_S12_S16_S17_S18_S1B_S1C_jS1D_jS1E_S1E_jjS1G_bEUljE0_EEESZ_S10_S11_S18_S1C_S1E_T6_T7_T9_mT8_S1G_bDpT10_ENKUlT_T0_E_clISt17integral_constantIbLb1EES1U_EEDaS1P_S1Q_EUlS1P_E_NS1_11comp_targetILNS1_3genE4ELNS1_11target_archE910ELNS1_3gpuE8ELNS1_3repE0EEENS1_30default_config_static_selectorELNS0_4arch9wavefront6targetE1EEEvS12_
; %bb.0:
	s_load_dwordx2 s[48:49], s[4:5], 0x10
	s_load_dwordx4 s[44:47], s[4:5], 0x28
	s_load_dwordx2 s[34:35], s[4:5], 0x38
	s_load_dwordx4 s[28:31], s[4:5], 0x58
	s_load_dwordx2 s[2:3], s[4:5], 0x68
	s_load_dwordx2 s[50:51], s[4:5], 0x78
	;; [unrolled: 1-line block ×3, first 2 shown]
	s_load_dwordx8 s[36:43], s[4:5], 0x90
	v_cmp_eq_u32_e64 s[0:1], 0, v0
	s_and_saveexec_b64 s[6:7], s[0:1]
	s_cbranch_execz .LBB959_4
; %bb.1:
	s_mov_b64 s[10:11], exec
	v_mbcnt_lo_u32_b32 v1, s10, 0
	v_mbcnt_hi_u32_b32 v1, s11, v1
	v_cmp_eq_u32_e32 vcc, 0, v1
                                        ; implicit-def: $vgpr2
	s_and_saveexec_b64 s[8:9], vcc
	s_cbranch_execz .LBB959_3
; %bb.2:
	s_load_dwordx2 s[12:13], s[4:5], 0x88
	s_bcnt1_i32_b64 s10, s[10:11]
	v_mov_b32_e32 v2, 0
	v_mov_b32_e32 v3, s10
	s_waitcnt lgkmcnt(0)
	global_atomic_add v2, v2, v3, s[12:13] glc
.LBB959_3:
	s_or_b64 exec, exec, s[8:9]
	s_waitcnt vmcnt(0)
	v_readfirstlane_b32 s8, v2
	v_add_u32_e32 v1, s8, v1
	v_mov_b32_e32 v2, 0
	ds_write_b32 v2, v1
.LBB959_4:
	s_or_b64 exec, exec, s[6:7]
	v_mov_b32_e32 v1, 0
	s_load_dword s7, s[4:5], 0x8
	s_load_dword s6, s[4:5], 0x80
	s_waitcnt lgkmcnt(0)
	s_barrier
	ds_read_b32 v8, v1
	s_waitcnt lgkmcnt(0)
	s_barrier
	global_load_dwordx4 v[2:5], v1, s[30:31]
	v_mov_b32_e32 v7, s3
	s_movk_i32 s3, 0xd00
	s_add_i32 s8, s7, s48
	v_mul_lo_u32 v34, v8, s3
	s_add_i32 s7, s6, -1
	s_mul_i32 s3, s6, 0xd00
	s_add_u32 s4, s48, s3
	v_readfirstlane_b32 s33, v8
	s_addc_u32 s5, s49, 0
	s_cmp_eq_u32 s33, s7
	v_mov_b32_e32 v6, s2
	s_cselect_b64 s[30:31], -1, 0
	s_cmp_lg_u32 s33, s7
	v_cmp_lt_u64_e32 vcc, s[4:5], v[6:7]
	s_cselect_b64 s[4:5], -1, 0
	s_or_b64 s[4:5], vcc, s[4:5]
	v_add_u32_e32 v1, s8, v34
	s_mov_b64 s[6:7], -1
	s_and_b64 vcc, exec, s[4:5]
	v_add_u32_e32 v1, v1, v0
	s_cbranch_vccz .LBB959_6
; %bb.5:
	v_add_u32_e32 v6, 0x100, v1
	v_lshlrev_b32_e32 v18, 2, v0
	v_add_u32_e32 v7, 0x200, v1
	v_add_u32_e32 v8, 0x300, v1
	v_add_u32_e32 v9, 0x400, v1
	v_add_u32_e32 v10, 0x500, v1
	v_add_u32_e32 v11, 0x600, v1
	v_add_u32_e32 v12, 0x700, v1
	v_add_u32_e32 v13, 0x800, v1
	v_add_u32_e32 v14, 0x900, v1
	v_add_u32_e32 v15, 0xa00, v1
	v_add_u32_e32 v16, 0xb00, v1
	v_add_u32_e32 v17, 0xc00, v1
	ds_write2st64_b32 v18, v1, v6 offset1:4
	ds_write2st64_b32 v18, v7, v8 offset0:8 offset1:12
	ds_write2st64_b32 v18, v9, v10 offset0:16 offset1:20
	;; [unrolled: 1-line block ×5, first 2 shown]
	ds_write_b32 v18, v17 offset:12288
	s_waitcnt lgkmcnt(0)
	s_barrier
	s_mov_b64 s[6:7], 0
.LBB959_6:
	s_andn2_b64 vcc, exec, s[6:7]
	s_add_i32 s3, s3, s48
	s_cbranch_vccnz .LBB959_8
; %bb.7:
	v_add_u32_e32 v6, 0x100, v1
	v_lshlrev_b32_e32 v18, 2, v0
	v_add_u32_e32 v7, 0x200, v1
	v_add_u32_e32 v8, 0x300, v1
	;; [unrolled: 1-line block ×11, first 2 shown]
	ds_write2st64_b32 v18, v1, v6 offset1:4
	ds_write2st64_b32 v18, v7, v8 offset0:8 offset1:12
	ds_write2st64_b32 v18, v9, v10 offset0:16 offset1:20
	;; [unrolled: 1-line block ×5, first 2 shown]
	ds_write_b32 v18, v17 offset:12288
	s_waitcnt lgkmcnt(0)
	s_barrier
.LBB959_8:
	v_mul_u32_u24_e32 v36, 13, v0
	v_lshlrev_b32_e32 v1, 2, v36
	ds_read2_b32 v[22:23], v1 offset1:1
	ds_read2_b32 v[20:21], v1 offset0:2 offset1:3
	ds_read2_b32 v[18:19], v1 offset0:4 offset1:5
	;; [unrolled: 1-line block ×5, first 2 shown]
	ds_read_b32 v35, v1 offset:48
	v_cndmask_b32_e64 v1, 0, 1, s[4:5]
	s_sub_i32 s86, s2, s3
	v_cmp_ne_u32_e64 s[2:3], 1, v1
	s_andn2_b64 vcc, exec, s[4:5]
	s_waitcnt lgkmcnt(0)
	s_barrier
	s_cbranch_vccnz .LBB959_36
; %bb.9:
	v_add_u32_e32 v1, s37, v22
	v_add_u32_e32 v6, s39, v22
	v_mul_lo_u32 v1, v1, s36
	v_mul_lo_u32 v6, v6, s38
	v_sub_u32_e32 v1, v1, v6
	v_cmp_lt_u32_e32 vcc, s40, v1
	v_cmp_ge_u32_e64 s[4:5], s40, v1
	s_mov_b64 s[60:61], 0
	s_mov_b64 s[58:59], 0
	s_and_saveexec_b64 s[6:7], s[4:5]
; %bb.10:
	v_add_u32_e32 v1, s42, v22
	v_add_u32_e32 v6, s56, v22
	v_mul_lo_u32 v1, v1, s41
	v_mul_lo_u32 v6, v6, s43
	v_sub_u32_e32 v1, v1, v6
	v_cmp_lt_u32_e64 s[4:5], s57, v1
	s_and_b64 s[58:59], s[4:5], exec
; %bb.11:
	s_or_b64 exec, exec, s[6:7]
	v_add_u32_e32 v1, s37, v23
	v_add_u32_e32 v6, s39, v23
	v_mul_lo_u32 v1, v1, s36
	v_mul_lo_u32 v6, v6, s38
	v_sub_u32_e32 v1, v1, v6
	v_cmp_lt_u32_e64 s[4:5], s40, v1
	v_cmp_ge_u32_e64 s[6:7], s40, v1
	s_and_saveexec_b64 s[8:9], s[6:7]
; %bb.12:
	v_add_u32_e32 v1, s42, v23
	v_add_u32_e32 v6, s56, v23
	v_mul_lo_u32 v1, v1, s41
	v_mul_lo_u32 v6, v6, s43
	v_sub_u32_e32 v1, v1, v6
	v_cmp_lt_u32_e64 s[6:7], s57, v1
	s_and_b64 s[60:61], s[6:7], exec
; %bb.13:
	s_or_b64 exec, exec, s[8:9]
	v_add_u32_e32 v1, s37, v20
	v_add_u32_e32 v6, s39, v20
	v_mul_lo_u32 v1, v1, s36
	v_mul_lo_u32 v6, v6, s38
	v_sub_u32_e32 v1, v1, v6
	v_cmp_lt_u32_e64 s[6:7], s40, v1
	v_cmp_ge_u32_e64 s[8:9], s40, v1
	s_mov_b64 s[64:65], 0
	s_mov_b64 s[62:63], 0
	s_and_saveexec_b64 s[10:11], s[8:9]
; %bb.14:
	v_add_u32_e32 v1, s42, v20
	v_add_u32_e32 v6, s56, v20
	v_mul_lo_u32 v1, v1, s41
	v_mul_lo_u32 v6, v6, s43
	v_sub_u32_e32 v1, v1, v6
	v_cmp_lt_u32_e64 s[8:9], s57, v1
	s_and_b64 s[62:63], s[8:9], exec
; %bb.15:
	s_or_b64 exec, exec, s[10:11]
	v_add_u32_e32 v1, s37, v21
	v_add_u32_e32 v6, s39, v21
	v_mul_lo_u32 v1, v1, s36
	v_mul_lo_u32 v6, v6, s38
	v_sub_u32_e32 v1, v1, v6
	v_cmp_lt_u32_e64 s[8:9], s40, v1
	v_cmp_ge_u32_e64 s[10:11], s40, v1
	s_and_saveexec_b64 s[12:13], s[10:11]
; %bb.16:
	v_add_u32_e32 v1, s42, v21
	v_add_u32_e32 v6, s56, v21
	v_mul_lo_u32 v1, v1, s41
	v_mul_lo_u32 v6, v6, s43
	v_sub_u32_e32 v1, v1, v6
	v_cmp_lt_u32_e64 s[10:11], s57, v1
	s_and_b64 s[64:65], s[10:11], exec
; %bb.17:
	s_or_b64 exec, exec, s[12:13]
	v_add_u32_e32 v1, s37, v18
	v_add_u32_e32 v6, s39, v18
	v_mul_lo_u32 v1, v1, s36
	v_mul_lo_u32 v6, v6, s38
	v_sub_u32_e32 v1, v1, v6
	v_cmp_lt_u32_e64 s[10:11], s40, v1
	;; [unrolled: 38-line block ×5, first 2 shown]
	v_cmp_ge_u32_e64 s[24:25], s40, v1
	s_mov_b64 s[80:81], 0
	s_mov_b64 s[82:83], 0
	s_and_saveexec_b64 s[26:27], s[24:25]
; %bb.30:
	v_add_u32_e32 v1, s42, v12
	v_add_u32_e32 v6, s56, v12
	v_mul_lo_u32 v1, v1, s41
	v_mul_lo_u32 v6, v6, s43
	v_sub_u32_e32 v1, v1, v6
	v_cmp_lt_u32_e64 s[24:25], s57, v1
	s_and_b64 s[82:83], s[24:25], exec
; %bb.31:
	s_or_b64 exec, exec, s[26:27]
	v_add_u32_e32 v1, s37, v13
	v_add_u32_e32 v6, s39, v13
	v_mul_lo_u32 v1, v1, s36
	v_mul_lo_u32 v6, v6, s38
	v_sub_u32_e32 v1, v1, v6
	v_cmp_lt_u32_e64 s[24:25], s40, v1
	v_cmp_ge_u32_e64 s[26:27], s40, v1
	s_and_saveexec_b64 s[52:53], s[26:27]
; %bb.32:
	v_add_u32_e32 v1, s42, v13
	v_add_u32_e32 v6, s56, v13
	v_mul_lo_u32 v1, v1, s41
	v_mul_lo_u32 v6, v6, s43
	v_sub_u32_e32 v1, v1, v6
	v_cmp_lt_u32_e64 s[26:27], s57, v1
	s_and_b64 s[80:81], s[26:27], exec
; %bb.33:
	s_or_b64 exec, exec, s[52:53]
	v_add_u32_e32 v1, s37, v35
	v_add_u32_e32 v6, s39, v35
	v_mul_lo_u32 v1, v1, s36
	v_mul_lo_u32 v6, v6, s38
	v_sub_u32_e32 v1, v1, v6
	v_cmp_ge_u32_e64 s[26:27], s40, v1
	s_mov_b64 s[52:53], -1
	s_mov_b64 s[74:75], 0
	s_mov_b64 s[54:55], 0
	s_and_saveexec_b64 s[84:85], s[26:27]
; %bb.34:
	v_add_u32_e32 v1, s42, v35
	v_add_u32_e32 v6, s56, v35
	v_mul_lo_u32 v1, v1, s41
	v_mul_lo_u32 v6, v6, s43
	v_sub_u32_e32 v1, v1, v6
	v_cmp_lt_u32_e64 s[26:27], s57, v1
	s_and_b64 s[54:55], s[26:27], exec
	s_xor_b64 s[52:53], exec, -1
; %bb.35:
	s_or_b64 exec, exec, s[84:85]
	v_cndmask_b32_e64 v57, 0, 1, s[82:83]
	v_cndmask_b32_e64 v60, 0, 1, s[24:25]
	;; [unrolled: 1-line block ×22, first 2 shown]
	v_cndmask_b32_e64 v37, 0, 1, vcc
	v_cndmask_b32_e64 v59, 0, 1, s[80:81]
	s_add_i32 s16, s86, 0xd00
	s_and_b64 vcc, exec, s[74:75]
	s_cbranch_vccnz .LBB959_37
	s_branch .LBB959_90
.LBB959_36:
                                        ; implicit-def: $sgpr52_sgpr53
                                        ; implicit-def: $sgpr54_sgpr55
                                        ; implicit-def: $vgpr59
                                        ; implicit-def: $vgpr57
                                        ; implicit-def: $vgpr55
                                        ; implicit-def: $vgpr53
                                        ; implicit-def: $vgpr51
                                        ; implicit-def: $vgpr49
                                        ; implicit-def: $vgpr47
                                        ; implicit-def: $vgpr45
                                        ; implicit-def: $vgpr43
                                        ; implicit-def: $vgpr37
                                        ; implicit-def: $vgpr39
                                        ; implicit-def: $vgpr41
                                        ; implicit-def: $vgpr44
                                        ; implicit-def: $vgpr46
                                        ; implicit-def: $vgpr48
                                        ; implicit-def: $vgpr50
                                        ; implicit-def: $vgpr52
                                        ; implicit-def: $vgpr54
                                        ; implicit-def: $vgpr56
                                        ; implicit-def: $vgpr58
                                        ; implicit-def: $vgpr60
                                        ; implicit-def: $vgpr38
                                        ; implicit-def: $vgpr40
                                        ; implicit-def: $vgpr42
	s_add_i32 s16, s86, 0xd00
	s_cbranch_execz .LBB959_90
.LBB959_37:
	v_cmp_gt_u32_e32 vcc, s16, v36
	v_mov_b32_e32 v38, 0
	v_mov_b32_e32 v37, 0
	s_and_saveexec_b64 s[6:7], vcc
	s_cbranch_execz .LBB959_41
; %bb.38:
	v_add_u32_e32 v1, s37, v22
	v_add_u32_e32 v6, s39, v22
	v_mul_lo_u32 v1, v1, s36
	v_mul_lo_u32 v6, v6, s38
	v_sub_u32_e32 v1, v1, v6
	v_cmp_lt_u32_e32 vcc, s40, v1
	v_cmp_ge_u32_e64 s[4:5], s40, v1
	s_mov_b64 s[10:11], 0
	s_and_saveexec_b64 s[8:9], s[4:5]
; %bb.39:
	v_add_u32_e32 v1, s42, v22
	v_add_u32_e32 v6, s56, v22
	v_mul_lo_u32 v1, v1, s41
	v_mul_lo_u32 v6, v6, s43
	v_sub_u32_e32 v1, v1, v6
	v_cmp_lt_u32_e64 s[4:5], s57, v1
	s_and_b64 s[10:11], s[4:5], exec
; %bb.40:
	s_or_b64 exec, exec, s[8:9]
	v_cndmask_b32_e64 v37, 0, 1, vcc
	v_cndmask_b32_e64 v38, 0, 1, s[10:11]
.LBB959_41:
	s_or_b64 exec, exec, s[6:7]
	v_add_u32_e32 v1, 1, v36
	v_cmp_gt_u32_e32 vcc, s16, v1
	v_mov_b32_e32 v39, 0
	v_mov_b32_e32 v40, 0
	s_and_saveexec_b64 s[6:7], vcc
	s_cbranch_execz .LBB959_45
; %bb.42:
	v_add_u32_e32 v1, s37, v23
	v_add_u32_e32 v6, s39, v23
	v_mul_lo_u32 v1, v1, s36
	v_mul_lo_u32 v6, v6, s38
	v_sub_u32_e32 v1, v1, v6
	v_cmp_lt_u32_e32 vcc, s40, v1
	v_cmp_ge_u32_e64 s[4:5], s40, v1
	s_mov_b64 s[10:11], 0
	s_and_saveexec_b64 s[8:9], s[4:5]
; %bb.43:
	v_add_u32_e32 v1, s42, v23
	v_add_u32_e32 v6, s56, v23
	v_mul_lo_u32 v1, v1, s41
	v_mul_lo_u32 v6, v6, s43
	v_sub_u32_e32 v1, v1, v6
	v_cmp_lt_u32_e64 s[4:5], s57, v1
	s_and_b64 s[10:11], s[4:5], exec
; %bb.44:
	s_or_b64 exec, exec, s[8:9]
	v_cndmask_b32_e64 v39, 0, 1, vcc
	v_cndmask_b32_e64 v40, 0, 1, s[10:11]
.LBB959_45:
	s_or_b64 exec, exec, s[6:7]
	v_add_u32_e32 v1, 2, v36
	;; [unrolled: 30-line block ×12, first 2 shown]
	v_cmp_gt_u32_e32 vcc, s16, v1
	s_mov_b64 s[52:53], 0
	s_mov_b64 s[54:55], 0
	s_and_saveexec_b64 s[4:5], vcc
	s_cbranch_execz .LBB959_89
; %bb.86:
	v_add_u32_e32 v1, s37, v35
	v_add_u32_e32 v6, s39, v35
	v_mul_lo_u32 v1, v1, s36
	v_mul_lo_u32 v6, v6, s38
	v_sub_u32_e32 v1, v1, v6
	v_cmp_ge_u32_e32 vcc, s40, v1
	s_mov_b64 s[8:9], -1
	s_mov_b64 s[10:11], 0
	s_and_saveexec_b64 s[6:7], vcc
; %bb.87:
	v_add_u32_e32 v1, s42, v35
	v_add_u32_e32 v6, s56, v35
	v_mul_lo_u32 v1, v1, s41
	v_mul_lo_u32 v6, v6, s43
	v_sub_u32_e32 v1, v1, v6
	v_cmp_lt_u32_e32 vcc, s57, v1
	s_and_b64 s[10:11], vcc, exec
	s_xor_b64 s[8:9], exec, -1
; %bb.88:
	s_or_b64 exec, exec, s[6:7]
	s_and_b64 s[54:55], s[10:11], exec
	s_and_b64 s[52:53], s[8:9], exec
.LBB959_89:
	s_or_b64 exec, exec, s[4:5]
.LBB959_90:
	v_and_b32_e32 v68, 0xff, v38
	v_and_b32_e32 v79, 0xff, v40
	;; [unrolled: 1-line block ×5, first 2 shown]
	v_add3_u32 v6, v79, v70, v68
	v_and_b32_e32 v81, 0xff, v47
	v_and_b32_e32 v74, 0xff, v49
	v_add3_u32 v6, v6, v80, v72
	v_and_b32_e32 v67, 0xff, v37
	v_and_b32_e32 v61, 0xff, v39
	;; [unrolled: 1-line block ×5, first 2 shown]
	v_add3_u32 v6, v6, v81, v74
	v_and_b32_e32 v62, 0xff, v44
	v_and_b32_e32 v71, 0xff, v46
	;; [unrolled: 1-line block ×4, first 2 shown]
	v_add3_u32 v7, v61, v69, v67
	v_add3_u32 v6, v6, v82, v76
	v_and_b32_e32 v63, 0xff, v48
	v_and_b32_e32 v73, 0xff, v50
	;; [unrolled: 1-line block ×3, first 2 shown]
	v_cndmask_b32_e64 v1, 0, 1, s[54:55]
	v_add3_u32 v7, v7, v62, v71
	v_add3_u32 v6, v6, v83, v78
	v_and_b32_e32 v64, 0xff, v52
	v_and_b32_e32 v75, 0xff, v54
	v_add3_u32 v7, v7, v63, v73
	v_add3_u32 v91, v6, v84, v1
	v_mbcnt_lo_u32_b32 v1, -1, 0
	v_and_b32_e32 v65, 0xff, v56
	v_and_b32_e32 v77, 0xff, v58
	v_add3_u32 v7, v7, v64, v75
	v_mbcnt_hi_u32_b32 v85, -1, v1
	v_and_b32_e32 v66, 0xff, v60
	v_add3_u32 v7, v7, v65, v77
	v_cndmask_b32_e64 v8, 0, 1, s[52:53]
	v_and_b32_e32 v89, 15, v85
	s_cmp_lg_u32 s33, 0
	v_add3_u32 v90, v7, v66, v8
	v_cmp_eq_u32_e64 s[6:7], 0, v89
	v_cmp_lt_u32_e64 s[4:5], 1, v89
	v_cmp_lt_u32_e64 s[10:11], 3, v89
	;; [unrolled: 1-line block ×3, first 2 shown]
	v_and_b32_e32 v88, 16, v85
	v_cmp_lt_u32_e32 vcc, 31, v85
	v_lshrrev_b32_e32 v86, 6, v0
	v_or_b32_e32 v87, 63, v0
	s_cbranch_scc0 .LBB959_123
; %bb.91:
	v_mov_b32_dpp v1, v90 row_shr:1 row_mask:0xf bank_mask:0xf
	v_mov_b32_dpp v6, v91 row_shr:1 row_mask:0xf bank_mask:0xf
	v_add_u32_e32 v1, v1, v90
	v_add_u32_e32 v6, v6, v91
	v_cndmask_b32_e64 v6, v6, v91, s[6:7]
	v_cndmask_b32_e64 v1, v1, v90, s[6:7]
	s_nop 0
	v_mov_b32_dpp v8, v6 row_shr:2 row_mask:0xf bank_mask:0xf
	v_mov_b32_dpp v7, v1 row_shr:2 row_mask:0xf bank_mask:0xf
	v_add_u32_e32 v7, v1, v7
	v_add_u32_e32 v8, v6, v8
	v_cndmask_b32_e64 v6, v6, v8, s[4:5]
	v_cndmask_b32_e64 v1, v1, v7, s[4:5]
	s_nop 0
	v_mov_b32_dpp v8, v6 row_shr:4 row_mask:0xf bank_mask:0xf
	v_mov_b32_dpp v7, v1 row_shr:4 row_mask:0xf bank_mask:0xf
	v_add_u32_e32 v7, v1, v7
	v_add_u32_e32 v8, v6, v8
	v_cndmask_b32_e64 v6, v6, v8, s[10:11]
	v_cndmask_b32_e64 v1, v1, v7, s[10:11]
	s_nop 0
	v_mov_b32_dpp v8, v6 row_shr:8 row_mask:0xf bank_mask:0xf
	v_mov_b32_dpp v7, v1 row_shr:8 row_mask:0xf bank_mask:0xf
	v_add_u32_e32 v7, v1, v7
	v_add_u32_e32 v8, v6, v8
	v_cndmask_b32_e64 v6, v6, v8, s[8:9]
	v_cndmask_b32_e64 v1, v1, v7, s[8:9]
	v_cmp_eq_u32_e64 s[8:9], 0, v88
	v_mov_b32_dpp v8, v6 row_bcast:15 row_mask:0xf bank_mask:0xf
	v_mov_b32_dpp v7, v1 row_bcast:15 row_mask:0xf bank_mask:0xf
	v_add_u32_e32 v7, v1, v7
	v_add_u32_e32 v8, v6, v8
	v_cndmask_b32_e64 v6, v8, v6, s[8:9]
	v_cndmask_b32_e64 v1, v7, v1, s[8:9]
	s_nop 0
	v_mov_b32_dpp v8, v6 row_bcast:31 row_mask:0xf bank_mask:0xf
	v_mov_b32_dpp v7, v1 row_bcast:31 row_mask:0xf bank_mask:0xf
	v_add_u32_e32 v8, v6, v8
	v_add_u32_e32 v9, v1, v7
	v_cndmask_b32_e32 v7, v6, v8, vcc
	v_cndmask_b32_e32 v6, v1, v9, vcc
	v_cmp_eq_u32_e32 vcc, v87, v0
	s_and_saveexec_b64 s[8:9], vcc
	s_cbranch_execz .LBB959_93
; %bb.92:
	v_lshlrev_b32_e32 v1, 3, v86
	ds_write_b64 v1, v[6:7]
.LBB959_93:
	s_or_b64 exec, exec, s[8:9]
	v_cmp_gt_u32_e32 vcc, 4, v0
	s_waitcnt lgkmcnt(0)
	s_barrier
	s_and_saveexec_b64 s[8:9], vcc
	s_cbranch_execz .LBB959_95
; %bb.94:
	v_lshlrev_b32_e32 v1, 3, v0
	ds_read_b64 v[8:9], v1
	v_and_b32_e32 v10, 3, v85
	v_cmp_eq_u32_e32 vcc, 0, v10
	s_waitcnt lgkmcnt(0)
	v_mov_b32_dpp v11, v8 row_shr:1 row_mask:0xf bank_mask:0xf
	v_mov_b32_dpp v24, v9 row_shr:1 row_mask:0xf bank_mask:0xf
	v_add_u32_e32 v11, v11, v8
	v_add_u32_e32 v24, v24, v9
	v_cndmask_b32_e32 v9, v24, v9, vcc
	v_cndmask_b32_e32 v8, v11, v8, vcc
	v_cmp_lt_u32_e32 vcc, 1, v10
	v_mov_b32_dpp v24, v9 row_shr:2 row_mask:0xf bank_mask:0xf
	v_mov_b32_dpp v11, v8 row_shr:2 row_mask:0xf bank_mask:0xf
	v_cndmask_b32_e32 v10, 0, v11, vcc
	v_cndmask_b32_e32 v11, 0, v24, vcc
	v_add_u32_e32 v9, v11, v9
	v_add_u32_e32 v8, v10, v8
	ds_write_b64 v1, v[8:9]
.LBB959_95:
	s_or_b64 exec, exec, s[8:9]
	v_cmp_gt_u32_e32 vcc, 64, v0
	v_cmp_lt_u32_e64 s[8:9], 63, v0
	s_waitcnt lgkmcnt(0)
	s_barrier
	s_waitcnt lgkmcnt(0)
                                        ; implicit-def: $vgpr25
	s_and_saveexec_b64 s[10:11], s[8:9]
	s_xor_b64 s[8:9], exec, s[10:11]
	s_cbranch_execz .LBB959_97
; %bb.96:
	v_lshl_add_u32 v1, v86, 3, -8
	ds_read_b64 v[24:25], v1
	s_waitcnt lgkmcnt(0)
	v_add_u32_e32 v7, v25, v7
	v_add_u32_e32 v6, v24, v6
.LBB959_97:
	s_andn2_saveexec_b64 s[8:9], s[8:9]
; %bb.98:
                                        ; implicit-def: $vgpr24
; %bb.99:
	s_or_b64 exec, exec, s[8:9]
	v_add_u32_e32 v1, -1, v85
	v_and_b32_e32 v8, 64, v85
	v_cmp_lt_i32_e64 s[8:9], v1, v8
	v_cndmask_b32_e64 v1, v1, v85, s[8:9]
	v_lshlrev_b32_e32 v8, 2, v1
	ds_bpermute_b32 v1, v8, v6
	ds_bpermute_b32 v92, v8, v7
	v_cmp_eq_u32_e64 s[8:9], 0, v85
	s_and_saveexec_b64 s[10:11], vcc
	s_cbranch_execz .LBB959_122
; %bb.100:
	v_mov_b32_e32 v11, 0
	ds_read_b64 v[26:27], v11 offset:24
	s_and_saveexec_b64 s[12:13], s[8:9]
	s_cbranch_execz .LBB959_102
; %bb.101:
	s_add_i32 s14, s33, 64
	s_mov_b32 s15, 0
	s_lshl_b64 s[14:15], s[14:15], 4
	s_waitcnt lgkmcnt(0)
	v_and_b32_e32 v6, 0xff000000, v27
	v_and_b32_e32 v7, 0xff0000, v27
	s_add_u32 s14, s50, s14
	v_or_b32_e32 v6, v7, v6
	v_and_b32_e32 v7, 0xff00, v27
	s_addc_u32 s15, s51, s15
	v_or_b32_e32 v6, v6, v7
	v_or_b32_sdwa v9, v6, v27 dst_sel:DWORD dst_unused:UNUSED_PAD src0_sel:DWORD src1_sel:BYTE_0
	v_mov_b32_e32 v10, 1
	v_mov_b32_e32 v8, v26
	v_pk_mov_b32 v[6:7], s[14:15], s[14:15] op_sel:[0,1]
	;;#ASMSTART
	global_store_dwordx4 v[6:7], v[8:11] off	
s_waitcnt vmcnt(0)
	;;#ASMEND
.LBB959_102:
	s_or_b64 exec, exec, s[12:13]
	v_xad_u32 v28, v85, -1, s33
	v_add_u32_e32 v10, 64, v28
	v_lshlrev_b64 v[6:7], 4, v[10:11]
	v_mov_b32_e32 v8, s51
	v_add_co_u32_e32 v30, vcc, s50, v6
	v_addc_co_u32_e32 v31, vcc, v8, v7, vcc
	;;#ASMSTART
	global_load_dwordx4 v[6:9], v[30:31] off glc	
s_waitcnt vmcnt(0)
	;;#ASMEND
	v_and_b32_e32 v9, 0xff, v7
	v_and_b32_e32 v10, 0xff00, v7
	v_or3_b32 v9, 0, v9, v10
	v_or3_b32 v6, v6, 0, 0
	v_and_b32_e32 v10, 0xff000000, v7
	v_and_b32_e32 v7, 0xff0000, v7
	v_or3_b32 v7, v9, v7, v10
	v_or3_b32 v6, v6, 0, 0
	v_cmp_eq_u16_sdwa s[14:15], v8, v11 src0_sel:BYTE_0 src1_sel:DWORD
	s_and_saveexec_b64 s[12:13], s[14:15]
	s_cbranch_execz .LBB959_108
; %bb.103:
	s_mov_b32 s17, 1
	s_mov_b64 s[14:15], 0
	v_mov_b32_e32 v10, 0
.LBB959_104:                            ; =>This Loop Header: Depth=1
                                        ;     Child Loop BB959_105 Depth 2
	s_max_u32 s18, s17, 1
.LBB959_105:                            ;   Parent Loop BB959_104 Depth=1
                                        ; =>  This Inner Loop Header: Depth=2
	s_add_i32 s18, s18, -1
	s_cmp_eq_u32 s18, 0
	s_sleep 1
	s_cbranch_scc0 .LBB959_105
; %bb.106:                              ;   in Loop: Header=BB959_104 Depth=1
	s_cmp_lt_u32 s17, 32
	s_cselect_b64 s[18:19], -1, 0
	s_cmp_lg_u64 s[18:19], 0
	s_addc_u32 s17, s17, 0
	;;#ASMSTART
	global_load_dwordx4 v[6:9], v[30:31] off glc	
s_waitcnt vmcnt(0)
	;;#ASMEND
	v_cmp_ne_u16_sdwa s[18:19], v8, v10 src0_sel:BYTE_0 src1_sel:DWORD
	s_or_b64 s[14:15], s[18:19], s[14:15]
	s_andn2_b64 exec, exec, s[14:15]
	s_cbranch_execnz .LBB959_104
; %bb.107:
	s_or_b64 exec, exec, s[14:15]
.LBB959_108:
	s_or_b64 exec, exec, s[12:13]
	v_and_b32_e32 v94, 63, v85
	v_cmp_ne_u32_e32 vcc, 63, v94
	v_mov_b32_e32 v93, 2
	v_addc_co_u32_e32 v30, vcc, 0, v85, vcc
	v_cmp_eq_u16_sdwa s[12:13], v8, v93 src0_sel:BYTE_0 src1_sel:DWORD
	v_lshlrev_b64 v[10:11], v85, -1
	v_lshlrev_b32_e32 v95, 2, v30
	v_and_b32_e32 v9, s13, v11
	ds_bpermute_b32 v30, v95, v6
	ds_bpermute_b32 v31, v95, v7
	v_or_b32_e32 v9, 0x80000000, v9
	v_and_b32_e32 v29, s12, v10
	v_ffbl_b32_e32 v9, v9
	v_add_u32_e32 v9, 32, v9
	v_ffbl_b32_e32 v29, v29
	v_min_u32_e32 v9, v29, v9
	s_waitcnt lgkmcnt(1)
	v_add_u32_e32 v29, v30, v6
	s_waitcnt lgkmcnt(0)
	v_add_u32_e32 v30, v31, v7
	v_cmp_lt_u32_e32 vcc, v94, v9
	v_cndmask_b32_e32 v7, v7, v30, vcc
	v_cndmask_b32_e32 v6, v6, v29, vcc
	v_cmp_gt_u32_e32 vcc, 62, v94
	v_cndmask_b32_e64 v29, 0, 1, vcc
	v_lshlrev_b32_e32 v29, 1, v29
	v_add_lshl_u32 v96, v29, v85, 2
	ds_bpermute_b32 v29, v96, v6
	ds_bpermute_b32 v30, v96, v7
	v_add_u32_e32 v97, 2, v94
	v_cmp_gt_u32_e32 vcc, v97, v9
	v_add_u32_e32 v99, 4, v94
	s_waitcnt lgkmcnt(1)
	v_add_u32_e32 v29, v6, v29
	s_waitcnt lgkmcnt(0)
	v_add_u32_e32 v30, v7, v30
	v_cndmask_b32_e32 v7, v30, v7, vcc
	v_cndmask_b32_e32 v6, v29, v6, vcc
	v_cmp_gt_u32_e32 vcc, 60, v94
	v_cndmask_b32_e64 v29, 0, 1, vcc
	v_lshlrev_b32_e32 v29, 2, v29
	v_add_lshl_u32 v98, v29, v85, 2
	ds_bpermute_b32 v29, v98, v6
	ds_bpermute_b32 v30, v98, v7
	v_cmp_gt_u32_e32 vcc, v99, v9
	v_add_u32_e32 v101, 8, v94
	v_add_u32_e32 v103, 16, v94
	s_waitcnt lgkmcnt(1)
	v_add_u32_e32 v29, v6, v29
	s_waitcnt lgkmcnt(0)
	v_add_u32_e32 v30, v7, v30
	v_cndmask_b32_e32 v7, v30, v7, vcc
	v_cndmask_b32_e32 v6, v29, v6, vcc
	v_cmp_gt_u32_e32 vcc, 56, v94
	v_cndmask_b32_e64 v29, 0, 1, vcc
	v_lshlrev_b32_e32 v29, 3, v29
	v_add_lshl_u32 v100, v29, v85, 2
	ds_bpermute_b32 v29, v100, v6
	ds_bpermute_b32 v30, v100, v7
	v_cmp_gt_u32_e32 vcc, v101, v9
	v_add_u32_e32 v105, 32, v94
	s_waitcnt lgkmcnt(1)
	v_add_u32_e32 v29, v6, v29
	s_waitcnt lgkmcnt(0)
	v_add_u32_e32 v30, v7, v30
	v_cndmask_b32_e32 v7, v30, v7, vcc
	v_cndmask_b32_e32 v6, v29, v6, vcc
	v_cmp_gt_u32_e32 vcc, 48, v94
	v_cndmask_b32_e64 v29, 0, 1, vcc
	v_lshlrev_b32_e32 v29, 4, v29
	v_add_lshl_u32 v102, v29, v85, 2
	ds_bpermute_b32 v29, v102, v6
	ds_bpermute_b32 v30, v102, v7
	v_cmp_gt_u32_e32 vcc, v103, v9
	s_waitcnt lgkmcnt(1)
	v_add_u32_e32 v29, v6, v29
	s_waitcnt lgkmcnt(0)
	v_add_u32_e32 v30, v7, v30
	v_cndmask_b32_e32 v7, v30, v7, vcc
	v_cndmask_b32_e32 v6, v29, v6, vcc
	v_cmp_gt_u32_e32 vcc, 32, v94
	v_cndmask_b32_e64 v29, 0, 1, vcc
	v_lshlrev_b32_e32 v29, 5, v29
	v_add_lshl_u32 v104, v29, v85, 2
	ds_bpermute_b32 v29, v104, v6
	ds_bpermute_b32 v30, v104, v7
	v_cmp_le_u32_e32 vcc, v105, v9
	s_waitcnt lgkmcnt(1)
	v_cndmask_b32_e32 v9, 0, v29, vcc
	s_waitcnt lgkmcnt(0)
	v_cndmask_b32_e32 v29, 0, v30, vcc
	v_add_u32_e32 v7, v7, v29
	v_add_u32_e32 v6, v6, v9
	v_mov_b32_e32 v29, 0
	s_branch .LBB959_110
.LBB959_109:                            ;   in Loop: Header=BB959_110 Depth=1
	s_or_b64 exec, exec, s[12:13]
	v_cmp_eq_u16_sdwa s[12:13], v8, v93 src0_sel:BYTE_0 src1_sel:DWORD
	v_and_b32_e32 v9, s13, v11
	ds_bpermute_b32 v33, v95, v6
	ds_bpermute_b32 v106, v95, v7
	v_or_b32_e32 v9, 0x80000000, v9
	v_and_b32_e32 v32, s12, v10
	v_ffbl_b32_e32 v9, v9
	v_add_u32_e32 v9, 32, v9
	v_ffbl_b32_e32 v32, v32
	v_min_u32_e32 v9, v32, v9
	s_waitcnt lgkmcnt(1)
	v_add_u32_e32 v32, v33, v6
	s_waitcnt lgkmcnt(0)
	v_add_u32_e32 v33, v106, v7
	v_cmp_lt_u32_e32 vcc, v94, v9
	v_cndmask_b32_e32 v7, v7, v33, vcc
	v_cndmask_b32_e32 v6, v6, v32, vcc
	ds_bpermute_b32 v32, v96, v6
	ds_bpermute_b32 v33, v96, v7
	v_cmp_gt_u32_e32 vcc, v97, v9
	v_subrev_u32_e32 v28, 64, v28
	s_waitcnt lgkmcnt(1)
	v_add_u32_e32 v32, v6, v32
	s_waitcnt lgkmcnt(0)
	v_add_u32_e32 v33, v7, v33
	v_cndmask_b32_e32 v7, v33, v7, vcc
	v_cndmask_b32_e32 v6, v32, v6, vcc
	ds_bpermute_b32 v32, v98, v6
	ds_bpermute_b32 v33, v98, v7
	v_cmp_gt_u32_e32 vcc, v99, v9
	s_waitcnt lgkmcnt(1)
	v_add_u32_e32 v32, v6, v32
	s_waitcnt lgkmcnt(0)
	v_add_u32_e32 v33, v7, v33
	v_cndmask_b32_e32 v7, v33, v7, vcc
	v_cndmask_b32_e32 v6, v32, v6, vcc
	ds_bpermute_b32 v32, v100, v6
	ds_bpermute_b32 v33, v100, v7
	v_cmp_gt_u32_e32 vcc, v101, v9
	s_waitcnt lgkmcnt(1)
	v_add_u32_e32 v32, v6, v32
	s_waitcnt lgkmcnt(0)
	v_add_u32_e32 v33, v7, v33
	v_cndmask_b32_e32 v7, v33, v7, vcc
	v_cndmask_b32_e32 v6, v32, v6, vcc
	ds_bpermute_b32 v32, v102, v6
	ds_bpermute_b32 v33, v102, v7
	v_cmp_gt_u32_e32 vcc, v103, v9
	s_waitcnt lgkmcnt(1)
	v_add_u32_e32 v32, v6, v32
	s_waitcnt lgkmcnt(0)
	v_add_u32_e32 v33, v7, v33
	v_cndmask_b32_e32 v7, v33, v7, vcc
	v_cndmask_b32_e32 v6, v32, v6, vcc
	ds_bpermute_b32 v32, v104, v6
	ds_bpermute_b32 v33, v104, v7
	v_cmp_le_u32_e32 vcc, v105, v9
	s_waitcnt lgkmcnt(1)
	v_cndmask_b32_e32 v9, 0, v32, vcc
	s_waitcnt lgkmcnt(0)
	v_cndmask_b32_e32 v32, 0, v33, vcc
	v_add3_u32 v7, v32, v31, v7
	v_add3_u32 v6, v9, v30, v6
.LBB959_110:                            ; =>This Loop Header: Depth=1
                                        ;     Child Loop BB959_113 Depth 2
                                        ;       Child Loop BB959_114 Depth 3
	v_cmp_ne_u16_sdwa s[12:13], v8, v93 src0_sel:BYTE_0 src1_sel:DWORD
	v_cndmask_b32_e64 v8, 0, 1, s[12:13]
	;;#ASMSTART
	;;#ASMEND
	v_cmp_ne_u32_e32 vcc, 0, v8
	s_cmp_lg_u64 vcc, exec
	v_pk_mov_b32 v[30:31], v[6:7], v[6:7] op_sel:[0,1]
	s_cbranch_scc1 .LBB959_117
; %bb.111:                              ;   in Loop: Header=BB959_110 Depth=1
	v_lshlrev_b64 v[6:7], 4, v[28:29]
	v_mov_b32_e32 v8, s51
	v_add_co_u32_e32 v32, vcc, s50, v6
	v_addc_co_u32_e32 v33, vcc, v8, v7, vcc
	;;#ASMSTART
	global_load_dwordx4 v[6:9], v[32:33] off glc	
s_waitcnt vmcnt(0)
	;;#ASMEND
	v_and_b32_e32 v9, 0xff, v7
	v_and_b32_e32 v106, 0xff00, v7
	v_or3_b32 v9, 0, v9, v106
	v_or3_b32 v6, v6, 0, 0
	v_and_b32_e32 v106, 0xff000000, v7
	v_and_b32_e32 v7, 0xff0000, v7
	v_or3_b32 v7, v9, v7, v106
	v_or3_b32 v6, v6, 0, 0
	v_cmp_eq_u16_sdwa s[14:15], v8, v29 src0_sel:BYTE_0 src1_sel:DWORD
	s_and_saveexec_b64 s[12:13], s[14:15]
	s_cbranch_execz .LBB959_109
; %bb.112:                              ;   in Loop: Header=BB959_110 Depth=1
	s_mov_b32 s17, 1
	s_mov_b64 s[14:15], 0
.LBB959_113:                            ;   Parent Loop BB959_110 Depth=1
                                        ; =>  This Loop Header: Depth=2
                                        ;       Child Loop BB959_114 Depth 3
	s_max_u32 s18, s17, 1
.LBB959_114:                            ;   Parent Loop BB959_110 Depth=1
                                        ;     Parent Loop BB959_113 Depth=2
                                        ; =>    This Inner Loop Header: Depth=3
	s_add_i32 s18, s18, -1
	s_cmp_eq_u32 s18, 0
	s_sleep 1
	s_cbranch_scc0 .LBB959_114
; %bb.115:                              ;   in Loop: Header=BB959_113 Depth=2
	s_cmp_lt_u32 s17, 32
	s_cselect_b64 s[18:19], -1, 0
	s_cmp_lg_u64 s[18:19], 0
	s_addc_u32 s17, s17, 0
	;;#ASMSTART
	global_load_dwordx4 v[6:9], v[32:33] off glc	
s_waitcnt vmcnt(0)
	;;#ASMEND
	v_cmp_ne_u16_sdwa s[18:19], v8, v29 src0_sel:BYTE_0 src1_sel:DWORD
	s_or_b64 s[14:15], s[18:19], s[14:15]
	s_andn2_b64 exec, exec, s[14:15]
	s_cbranch_execnz .LBB959_113
; %bb.116:                              ;   in Loop: Header=BB959_110 Depth=1
	s_or_b64 exec, exec, s[14:15]
	s_branch .LBB959_109
.LBB959_117:                            ;   in Loop: Header=BB959_110 Depth=1
                                        ; implicit-def: $vgpr8
                                        ; implicit-def: $vgpr6_vgpr7
	s_cbranch_execz .LBB959_110
; %bb.118:
	s_and_saveexec_b64 s[12:13], s[8:9]
	s_cbranch_execz .LBB959_120
; %bb.119:
	s_add_i32 s14, s33, 64
	s_mov_b32 s15, 0
	v_add_u32_e32 v7, v31, v27
	s_lshl_b64 s[14:15], s[14:15], 4
	s_add_u32 s14, s50, s14
	v_and_b32_e32 v8, 0xff000000, v7
	v_and_b32_e32 v10, 0xff0000, v7
	s_addc_u32 s15, s51, s15
	v_or_b32_e32 v8, v10, v8
	v_and_b32_e32 v10, 0xff00, v7
	v_and_b32_e32 v7, 0xff, v7
	v_add_u32_e32 v6, v30, v26
	v_mov_b32_e32 v9, 0
	v_or3_b32 v7, v8, v10, v7
	v_mov_b32_e32 v8, 2
	v_pk_mov_b32 v[10:11], s[14:15], s[14:15] op_sel:[0,1]
	;;#ASMSTART
	global_store_dwordx4 v[10:11], v[6:9] off	
s_waitcnt vmcnt(0)
	;;#ASMEND
	s_movk_i32 s14, 0x3400
	v_add_u32_e64 v6, s14, 0
	ds_write2_b32 v6, v26, v27 offset1:2
	ds_write2_b32 v6, v30, v31 offset0:4 offset1:6
.LBB959_120:
	s_or_b64 exec, exec, s[12:13]
	s_and_b64 exec, exec, s[0:1]
	s_cbranch_execz .LBB959_122
; %bb.121:
	v_mov_b32_e32 v6, 0
	ds_write_b64 v6, v[30:31] offset:24
.LBB959_122:
	s_or_b64 exec, exec, s[10:11]
	v_mov_b32_e32 v6, 0
	s_waitcnt lgkmcnt(0)
	s_barrier
	ds_read_b64 v[10:11], v6 offset:24
	v_cndmask_b32_e64 v25, v92, v25, s[8:9]
	v_cndmask_b32_e64 v1, v1, v24, s[8:9]
	s_movk_i32 s8, 0x3400
	s_waitcnt lgkmcnt(0)
	v_add_u32_e32 v24, v10, v1
	v_add_u32_e64 v1, s8, 0
	s_barrier
	ds_read2_b32 v[6:7], v1 offset1:2
	ds_read2_b32 v[8:9], v1 offset0:4 offset1:6
	v_add_u32_e32 v1, v11, v25
	v_cndmask_b32_e64 v1, v1, v11, s[0:1]
	v_cndmask_b32_e64 v10, v24, v10, s[0:1]
	s_branch .LBB959_133
.LBB959_123:
                                        ; implicit-def: $vgpr1
                                        ; implicit-def: $vgpr8
                                        ; implicit-def: $vgpr6
                                        ; implicit-def: $vgpr10_vgpr11
	s_cbranch_execz .LBB959_133
; %bb.124:
	s_nop 0
	v_mov_b32_dpp v1, v90 row_shr:1 row_mask:0xf bank_mask:0xf
	s_waitcnt lgkmcnt(1)
	v_mov_b32_dpp v6, v91 row_shr:1 row_mask:0xf bank_mask:0xf
	v_add_u32_e32 v1, v1, v90
	v_add_u32_e32 v6, v6, v91
	v_cndmask_b32_e64 v6, v6, v91, s[6:7]
	v_cndmask_b32_e64 v1, v1, v90, s[6:7]
	v_cmp_lt_u32_e32 vcc, 3, v89
	s_waitcnt lgkmcnt(0)
	v_mov_b32_dpp v8, v6 row_shr:2 row_mask:0xf bank_mask:0xf
	v_mov_b32_dpp v7, v1 row_shr:2 row_mask:0xf bank_mask:0xf
	v_add_u32_e32 v7, v1, v7
	v_add_u32_e32 v8, v6, v8
	v_cndmask_b32_e64 v6, v6, v8, s[4:5]
	v_cndmask_b32_e64 v1, v1, v7, s[4:5]
	s_nop 0
	v_mov_b32_dpp v8, v6 row_shr:4 row_mask:0xf bank_mask:0xf
	v_mov_b32_dpp v7, v1 row_shr:4 row_mask:0xf bank_mask:0xf
	v_add_u32_e32 v7, v1, v7
	v_add_u32_e32 v8, v6, v8
	v_cndmask_b32_e32 v6, v6, v8, vcc
	v_cndmask_b32_e32 v1, v1, v7, vcc
	v_cmp_lt_u32_e32 vcc, 7, v89
	v_mov_b32_dpp v8, v6 row_shr:8 row_mask:0xf bank_mask:0xf
	v_mov_b32_dpp v7, v1 row_shr:8 row_mask:0xf bank_mask:0xf
	v_add_u32_e32 v7, v1, v7
	v_add_u32_e32 v8, v6, v8
	v_cndmask_b32_e32 v6, v6, v8, vcc
	v_cndmask_b32_e32 v1, v1, v7, vcc
	v_cmp_eq_u32_e32 vcc, 0, v88
	v_mov_b32_dpp v8, v6 row_bcast:15 row_mask:0xf bank_mask:0xf
	v_mov_b32_dpp v7, v1 row_bcast:15 row_mask:0xf bank_mask:0xf
	v_add_u32_e32 v7, v1, v7
	v_add_u32_e32 v8, v6, v8
	v_cndmask_b32_e32 v6, v8, v6, vcc
	v_cndmask_b32_e32 v1, v7, v1, vcc
	v_cmp_lt_u32_e32 vcc, 31, v85
	v_mov_b32_dpp v8, v6 row_bcast:31 row_mask:0xf bank_mask:0xf
	v_mov_b32_dpp v7, v1 row_bcast:31 row_mask:0xf bank_mask:0xf
	v_add_u32_e32 v8, v6, v8
	v_add_u32_e32 v9, v1, v7
	v_cndmask_b32_e32 v7, v6, v8, vcc
	v_cndmask_b32_e32 v6, v1, v9, vcc
	v_cmp_eq_u32_e32 vcc, v87, v0
	s_and_saveexec_b64 s[4:5], vcc
	s_cbranch_execz .LBB959_126
; %bb.125:
	v_lshlrev_b32_e32 v1, 3, v86
	ds_write_b64 v1, v[6:7]
.LBB959_126:
	s_or_b64 exec, exec, s[4:5]
	v_cmp_gt_u32_e32 vcc, 4, v0
	s_waitcnt lgkmcnt(0)
	s_barrier
	s_and_saveexec_b64 s[4:5], vcc
	s_cbranch_execz .LBB959_128
; %bb.127:
	v_lshlrev_b32_e32 v1, 3, v0
	ds_read_b64 v[8:9], v1
	v_and_b32_e32 v10, 3, v85
	v_cmp_eq_u32_e32 vcc, 0, v10
	s_waitcnt lgkmcnt(0)
	v_mov_b32_dpp v11, v8 row_shr:1 row_mask:0xf bank_mask:0xf
	v_mov_b32_dpp v24, v9 row_shr:1 row_mask:0xf bank_mask:0xf
	v_add_u32_e32 v11, v11, v8
	v_add_u32_e32 v24, v24, v9
	v_cndmask_b32_e32 v9, v24, v9, vcc
	v_cndmask_b32_e32 v8, v11, v8, vcc
	v_cmp_lt_u32_e32 vcc, 1, v10
	v_mov_b32_dpp v24, v9 row_shr:2 row_mask:0xf bank_mask:0xf
	v_mov_b32_dpp v11, v8 row_shr:2 row_mask:0xf bank_mask:0xf
	v_cndmask_b32_e32 v10, 0, v11, vcc
	v_cndmask_b32_e32 v11, 0, v24, vcc
	v_add_u32_e32 v9, v11, v9
	v_add_u32_e32 v8, v10, v8
	ds_write_b64 v1, v[8:9]
.LBB959_128:
	s_or_b64 exec, exec, s[4:5]
	v_cmp_lt_u32_e32 vcc, 63, v0
	v_mov_b32_e32 v8, 0
	v_mov_b32_e32 v10, 0
	;; [unrolled: 1-line block ×3, first 2 shown]
	s_waitcnt lgkmcnt(0)
	s_barrier
	s_and_saveexec_b64 s[4:5], vcc
	s_cbranch_execz .LBB959_130
; %bb.129:
	v_lshl_add_u32 v1, v86, 3, -8
	ds_read_b64 v[10:11], v1
.LBB959_130:
	s_or_b64 exec, exec, s[4:5]
	s_waitcnt lgkmcnt(0)
	v_add_u32_e32 v9, v11, v7
	v_add_u32_e32 v1, v10, v6
	v_add_u32_e32 v6, -1, v85
	v_and_b32_e32 v7, 64, v85
	v_cmp_lt_i32_e32 vcc, v6, v7
	v_cndmask_b32_e32 v6, v6, v85, vcc
	v_lshlrev_b32_e32 v24, 2, v6
	ds_read_b64 v[6:7], v8 offset:24
	ds_bpermute_b32 v1, v24, v1
	ds_bpermute_b32 v24, v24, v9
	s_waitcnt lgkmcnt(2)
	v_readfirstlane_b32 s6, v7
	s_and_saveexec_b64 s[4:5], s[0:1]
	s_cbranch_execz .LBB959_132
; %bb.131:
	s_add_u32 s8, s50, 0x400
	s_mov_b32 s10, 0
	s_addc_u32 s9, s51, 0
	s_and_b32 s11, s6, 0xff000000
	s_and_b32 s13, s6, 0xff0000
	s_mov_b32 s12, s10
	s_or_b64 s[12:13], s[12:13], s[10:11]
	s_and_b32 s11, s6, 0xff00
	s_or_b64 s[12:13], s[12:13], s[10:11]
	s_and_b32 s11, s6, 0xff
	s_or_b64 s[10:11], s[12:13], s[10:11]
	v_mov_b32_e32 v7, s11
	v_mov_b32_e32 v8, 2
	;; [unrolled: 1-line block ×3, first 2 shown]
	v_pk_mov_b32 v[26:27], s[8:9], s[8:9] op_sel:[0,1]
	;;#ASMSTART
	global_store_dwordx4 v[26:27], v[6:9] off	
s_waitcnt vmcnt(0)
	;;#ASMEND
.LBB959_132:
	s_or_b64 exec, exec, s[4:5]
	v_cmp_eq_u32_e32 vcc, 0, v85
	s_waitcnt lgkmcnt(1)
	v_cndmask_b32_e32 v7, v1, v10, vcc
	s_waitcnt lgkmcnt(0)
	v_cndmask_b32_e32 v1, v24, v11, vcc
	v_mov_b32_e32 v8, 0
	v_cndmask_b32_e64 v1, v1, 0, s[0:1]
	v_cndmask_b32_e64 v10, v7, 0, s[0:1]
	s_barrier
	v_mov_b32_e32 v7, s6
	v_mov_b32_e32 v9, 0
.LBB959_133:
	v_add_u32_e32 v11, v10, v67
	v_add_u32_e32 v26, v1, v68
	;; [unrolled: 1-line block ×13, first 2 shown]
	s_waitcnt vmcnt(0) lgkmcnt(0)
	v_add_co_u32_e32 v2, vcc, v2, v8
	v_add_u32_e32 v68, v62, v74
	v_add_u32_e32 v64, v67, v64
	v_addc_co_u32_e32 v3, vcc, 0, v3, vcc
	v_add_u32_e32 v69, v68, v82
	v_add_u32_e32 v70, v64, v75
	v_sub_co_u32_e32 v24, vcc, v4, v6
	v_add_u32_e32 v71, v69, v76
	v_add_u32_e32 v65, v70, v65
	v_subbrev_co_u32_e32 v25, vcc, 0, v5, vcc
	v_lshlrev_b32_e32 v76, 1, v6
	v_sub_u32_e32 v1, v1, v9
	v_add_u32_e32 v73, v65, v77
	v_add_co_u32_e32 v24, vcc, v24, v9
	v_add_u32_e32 v77, v76, v7
	v_sub_u32_e32 v10, v10, v8
	v_add_u32_e32 v1, v1, v6
	v_addc_co_u32_e32 v25, vcc, 0, v25, vcc
	v_add_u32_e32 v36, v77, v36
	v_and_b32_e32 v38, 1, v38
	v_add_u32_e32 v77, v10, v1
	v_and_b32_e32 v37, 1, v37
	v_sub_u32_e32 v77, v36, v77
	v_cmp_eq_u32_e32 vcc, 1, v38
	v_cndmask_b32_e32 v1, v77, v1, vcc
	v_cmp_eq_u32_e32 vcc, 1, v37
	v_cndmask_b32_e32 v1, v1, v10, vcc
	v_lshlrev_b32_e32 v1, 2, v1
	ds_write_b32 v1, v22
	v_sub_u32_e32 v1, v11, v8
	v_sub_u32_e32 v11, v26, v9
	v_add_u32_e32 v11, v11, v6
	v_add_u32_e32 v26, v11, v1
	v_and_b32_e32 v22, 1, v40
	v_sub_u32_e32 v26, v36, v26
	v_and_b32_e32 v10, 1, v39
	v_add_u32_e32 v26, 1, v26
	v_cmp_eq_u32_e32 vcc, 1, v22
	v_cndmask_b32_e32 v11, v26, v11, vcc
	v_cmp_eq_u32_e32 vcc, 1, v10
	v_cndmask_b32_e32 v1, v11, v1, vcc
	v_lshlrev_b32_e32 v1, 2, v1
	v_sub_u32_e32 v11, v27, v9
	ds_write_b32 v1, v23
	v_sub_u32_e32 v1, v28, v8
	v_add_u32_e32 v11, v11, v6
	v_add_u32_e32 v23, v11, v1
	v_and_b32_e32 v22, 1, v42
	v_sub_u32_e32 v23, v36, v23
	v_and_b32_e32 v10, 1, v41
	v_add_u32_e32 v23, 2, v23
	v_cmp_eq_u32_e32 vcc, 1, v22
	v_cndmask_b32_e32 v11, v23, v11, vcc
	v_cmp_eq_u32_e32 vcc, 1, v10
	v_cndmask_b32_e32 v1, v11, v1, vcc
	v_lshlrev_b32_e32 v1, 2, v1
	v_sub_u32_e32 v11, v30, v9
	ds_write_b32 v1, v20
	;; [unrolled: 14-line block ×8, first 2 shown]
	v_sub_u32_e32 v1, v70, v8
	v_add_u32_e32 v11, v11, v6
	v_add_u32_e32 v16, v1, v11
	v_and_b32_e32 v14, 1, v55
	v_sub_u32_e32 v16, v36, v16
	v_and_b32_e32 v10, 1, v56
	v_add_u32_e32 v16, 9, v16
	v_cmp_eq_u32_e32 vcc, 1, v14
	v_cndmask_b32_e32 v11, v16, v11, vcc
	v_cmp_eq_u32_e32 vcc, 1, v10
	v_add_u32_e32 v72, v71, v83
	v_cndmask_b32_e32 v1, v11, v1, vcc
	v_lshlrev_b32_e32 v1, 2, v1
	v_sub_u32_e32 v11, v72, v9
	ds_write_b32 v1, v15
	v_sub_u32_e32 v1, v65, v8
	v_add_u32_e32 v11, v11, v6
	v_add_u32_e32 v15, v1, v11
	v_and_b32_e32 v14, 1, v57
	v_sub_u32_e32 v15, v36, v15
	v_and_b32_e32 v10, 1, v58
	v_add_u32_e32 v15, 10, v15
	v_cmp_eq_u32_e32 vcc, 1, v14
	v_cndmask_b32_e32 v11, v15, v11, vcc
	v_cmp_eq_u32_e32 vcc, 1, v10
	v_add_u32_e32 v74, v72, v78
	v_cndmask_b32_e32 v1, v11, v1, vcc
	v_lshlrev_b32_e32 v1, 2, v1
	v_sub_u32_e32 v11, v74, v9
	ds_write_b32 v1, v12
	v_sub_u32_e32 v1, v73, v8
	v_add_u32_e32 v11, v11, v6
	v_add_u32_e32 v14, v1, v11
	v_and_b32_e32 v12, 1, v59
	v_sub_u32_e32 v14, v36, v14
	v_and_b32_e32 v10, 1, v60
	v_add_u32_e32 v14, 11, v14
	v_cmp_eq_u32_e32 vcc, 1, v12
	v_cndmask_b32_e32 v11, v14, v11, vcc
	v_cmp_eq_u32_e32 vcc, 1, v10
	v_cndmask_b32_e32 v1, v11, v1, vcc
	v_add_u32_e32 v75, v74, v84
	v_add_u32_e32 v66, v73, v66
	v_lshlrev_b32_e32 v1, 2, v1
	ds_write_b32 v1, v13
	v_sub_u32_e32 v1, v66, v8
	v_sub_u32_e32 v8, v75, v9
	v_add_u32_e32 v8, v8, v6
	v_add_u32_e32 v10, v1, v8
	v_sub_u32_e32 v10, v36, v10
	v_add_u32_e32 v10, 12, v10
	v_cndmask_b32_e64 v8, v10, v8, s[54:55]
	v_cndmask_b32_e64 v1, v8, v1, s[52:53]
	v_lshlrev_b32_e32 v1, 2, v1
	ds_write_b32 v1, v35
	v_mov_b32_e32 v1, s49
	v_add_co_u32_e32 v8, vcc, s48, v34
	v_addc_co_u32_e32 v10, vcc, 0, v1, vcc
	v_add_co_u32_e32 v1, vcc, v7, v76
	v_addc_co_u32_e64 v11, s[4:5], 0, 0, vcc
	v_add_co_u32_e32 v1, vcc, v1, v24
	v_addc_co_u32_e32 v11, vcc, v11, v25, vcc
	v_add_co_u32_e32 v1, vcc, v1, v2
	v_addc_co_u32_e32 v11, vcc, v11, v3, vcc
	v_sub_co_u32_e32 v1, vcc, v8, v1
	v_subb_co_u32_e32 v8, vcc, v10, v11, vcc
	v_lshlrev_b64 v[10:11], 2, v[24:25]
	v_mov_b32_e32 v12, s47
	v_add_co_u32_e32 v10, vcc, s46, v10
	v_addc_co_u32_e32 v11, vcc, v12, v11, vcc
	v_lshlrev_b64 v[12:13], 2, v[2:3]
	v_mov_b32_e32 v15, s45
	v_add_co_u32_e32 v12, vcc, s44, v12
	s_add_u32 s8, s34, -4
	v_addc_co_u32_e32 v13, vcc, v15, v13, vcc
	s_addc_u32 s9, s35, -1
	v_add_u32_e32 v14, v6, v7
	s_and_b64 vcc, exec, s[2:3]
	s_mov_b64 s[2:3], -1
	s_waitcnt lgkmcnt(0)
	s_barrier
	s_cbranch_vccz .LBB959_137
; %bb.134:
	s_and_b64 vcc, exec, s[2:3]
	s_cbranch_vccnz .LBB959_242
.LBB959_135:
	s_and_b64 s[0:1], s[0:1], s[30:31]
	s_and_saveexec_b64 s[2:3], s[0:1]
	s_cbranch_execnz .LBB959_360
.LBB959_136:
	s_endpgm
.LBB959_137:
	v_cmp_le_u32_e32 vcc, v6, v0
	s_and_saveexec_b64 s[2:3], vcc
	s_xor_b64 s[2:3], exec, s[2:3]
	s_cbranch_execz .LBB959_143
; %bb.138:
	v_cmp_le_u32_e32 vcc, v14, v0
	s_and_saveexec_b64 s[4:5], vcc
	s_xor_b64 s[4:5], exec, s[4:5]
	s_cbranch_execz .LBB959_140
; %bb.139:
	v_lshlrev_b32_e32 v15, 2, v0
	v_add_co_u32_e32 v16, vcc, v1, v0
	ds_read_b32 v15, v15
	v_addc_co_u32_e32 v17, vcc, 0, v8, vcc
	v_lshlrev_b64 v[16:17], 2, v[16:17]
	v_mov_b32_e32 v18, s35
	v_sub_co_u32_e32 v16, vcc, s34, v16
	v_subb_co_u32_e32 v17, vcc, v18, v17, vcc
	s_waitcnt lgkmcnt(0)
	global_store_dword v[16:17], v15, off offset:-4
.LBB959_140:
	s_andn2_saveexec_b64 s[4:5], s[4:5]
	s_cbranch_execz .LBB959_142
; %bb.141:
	v_lshlrev_b32_e32 v15, 2, v0
	ds_read_b32 v16, v15
	v_readfirstlane_b32 s6, v10
	v_readfirstlane_b32 s7, v11
	s_waitcnt lgkmcnt(0)
	s_nop 3
	global_store_dword v15, v16, s[6:7]
.LBB959_142:
	s_or_b64 exec, exec, s[4:5]
.LBB959_143:
	s_andn2_saveexec_b64 s[2:3], s[2:3]
	s_cbranch_execz .LBB959_145
; %bb.144:
	v_lshlrev_b32_e32 v15, 2, v0
	ds_read_b32 v16, v15
	v_readfirstlane_b32 s4, v12
	v_readfirstlane_b32 s5, v13
	s_waitcnt lgkmcnt(0)
	s_nop 3
	global_store_dword v15, v16, s[4:5]
.LBB959_145:
	s_or_b64 exec, exec, s[2:3]
	v_or_b32_e32 v15, 0x100, v0
	v_cmp_le_u32_e32 vcc, v6, v15
	s_and_saveexec_b64 s[2:3], vcc
	s_xor_b64 s[2:3], exec, s[2:3]
	s_cbranch_execz .LBB959_151
; %bb.146:
	v_cmp_le_u32_e32 vcc, v14, v15
	s_and_saveexec_b64 s[4:5], vcc
	s_xor_b64 s[4:5], exec, s[4:5]
	s_cbranch_execz .LBB959_148
; %bb.147:
	v_lshlrev_b32_e32 v15, 2, v0
	ds_read_b32 v15, v15 offset:1024
	v_add_co_u32_e32 v16, vcc, v1, v0
	v_addc_co_u32_e32 v17, vcc, 0, v8, vcc
	v_lshlrev_b64 v[16:17], 2, v[16:17]
	v_mov_b32_e32 v18, s9
	v_sub_co_u32_e32 v16, vcc, s8, v16
	v_subb_co_u32_e32 v17, vcc, v18, v17, vcc
	s_waitcnt lgkmcnt(0)
	global_store_dword v[16:17], v15, off offset:-1024
.LBB959_148:
	s_andn2_saveexec_b64 s[4:5], s[4:5]
	s_cbranch_execz .LBB959_150
; %bb.149:
	v_lshlrev_b32_e32 v15, 2, v0
	ds_read_b32 v16, v15 offset:1024
	v_readfirstlane_b32 s6, v10
	v_readfirstlane_b32 s7, v11
	s_waitcnt lgkmcnt(0)
	s_nop 3
	global_store_dword v15, v16, s[6:7] offset:1024
.LBB959_150:
	s_or_b64 exec, exec, s[4:5]
.LBB959_151:
	s_andn2_saveexec_b64 s[2:3], s[2:3]
	s_cbranch_execz .LBB959_153
; %bb.152:
	v_lshlrev_b32_e32 v15, 2, v0
	ds_read_b32 v16, v15 offset:1024
	v_readfirstlane_b32 s4, v12
	v_readfirstlane_b32 s5, v13
	s_waitcnt lgkmcnt(0)
	s_nop 3
	global_store_dword v15, v16, s[4:5] offset:1024
.LBB959_153:
	s_or_b64 exec, exec, s[2:3]
	v_or_b32_e32 v15, 0x200, v0
	v_cmp_le_u32_e32 vcc, v6, v15
	s_and_saveexec_b64 s[2:3], vcc
	s_xor_b64 s[2:3], exec, s[2:3]
	s_cbranch_execz .LBB959_159
; %bb.154:
	v_cmp_le_u32_e32 vcc, v14, v15
	s_and_saveexec_b64 s[4:5], vcc
	s_xor_b64 s[4:5], exec, s[4:5]
	s_cbranch_execz .LBB959_156
; %bb.155:
	v_lshlrev_b32_e32 v15, 2, v0
	ds_read_b32 v15, v15 offset:2048
	v_add_co_u32_e32 v16, vcc, v1, v0
	v_addc_co_u32_e32 v17, vcc, 0, v8, vcc
	v_lshlrev_b64 v[16:17], 2, v[16:17]
	v_mov_b32_e32 v18, s9
	v_sub_co_u32_e32 v16, vcc, s8, v16
	v_subb_co_u32_e32 v17, vcc, v18, v17, vcc
	s_waitcnt lgkmcnt(0)
	global_store_dword v[16:17], v15, off offset:-2048
.LBB959_156:
	s_andn2_saveexec_b64 s[4:5], s[4:5]
	s_cbranch_execz .LBB959_158
; %bb.157:
	v_lshlrev_b32_e32 v15, 2, v0
	ds_read_b32 v16, v15 offset:2048
	v_readfirstlane_b32 s6, v10
	v_readfirstlane_b32 s7, v11
	s_waitcnt lgkmcnt(0)
	s_nop 3
	global_store_dword v15, v16, s[6:7] offset:2048
.LBB959_158:
	s_or_b64 exec, exec, s[4:5]
.LBB959_159:
	s_andn2_saveexec_b64 s[2:3], s[2:3]
	s_cbranch_execz .LBB959_161
; %bb.160:
	v_lshlrev_b32_e32 v15, 2, v0
	ds_read_b32 v16, v15 offset:2048
	v_readfirstlane_b32 s4, v12
	v_readfirstlane_b32 s5, v13
	s_waitcnt lgkmcnt(0)
	s_nop 3
	global_store_dword v15, v16, s[4:5] offset:2048
.LBB959_161:
	s_or_b64 exec, exec, s[2:3]
	v_or_b32_e32 v15, 0x300, v0
	v_cmp_le_u32_e32 vcc, v6, v15
	s_and_saveexec_b64 s[2:3], vcc
	s_xor_b64 s[2:3], exec, s[2:3]
	s_cbranch_execz .LBB959_167
; %bb.162:
	v_cmp_le_u32_e32 vcc, v14, v15
	s_and_saveexec_b64 s[4:5], vcc
	s_xor_b64 s[4:5], exec, s[4:5]
	s_cbranch_execz .LBB959_164
; %bb.163:
	v_lshlrev_b32_e32 v15, 2, v0
	ds_read_b32 v15, v15 offset:3072
	v_add_co_u32_e32 v16, vcc, v1, v0
	v_addc_co_u32_e32 v17, vcc, 0, v8, vcc
	v_lshlrev_b64 v[16:17], 2, v[16:17]
	v_mov_b32_e32 v18, s9
	v_sub_co_u32_e32 v16, vcc, s8, v16
	v_subb_co_u32_e32 v17, vcc, v18, v17, vcc
	s_waitcnt lgkmcnt(0)
	global_store_dword v[16:17], v15, off offset:-3072
.LBB959_164:
	s_andn2_saveexec_b64 s[4:5], s[4:5]
	s_cbranch_execz .LBB959_166
; %bb.165:
	v_lshlrev_b32_e32 v15, 2, v0
	ds_read_b32 v16, v15 offset:3072
	v_readfirstlane_b32 s6, v10
	v_readfirstlane_b32 s7, v11
	s_waitcnt lgkmcnt(0)
	s_nop 3
	global_store_dword v15, v16, s[6:7] offset:3072
.LBB959_166:
	s_or_b64 exec, exec, s[4:5]
.LBB959_167:
	s_andn2_saveexec_b64 s[2:3], s[2:3]
	s_cbranch_execz .LBB959_169
; %bb.168:
	v_lshlrev_b32_e32 v15, 2, v0
	ds_read_b32 v16, v15 offset:3072
	v_readfirstlane_b32 s4, v12
	v_readfirstlane_b32 s5, v13
	s_waitcnt lgkmcnt(0)
	s_nop 3
	global_store_dword v15, v16, s[4:5] offset:3072
.LBB959_169:
	s_or_b64 exec, exec, s[2:3]
	v_or_b32_e32 v15, 0x400, v0
	v_cmp_le_u32_e32 vcc, v6, v15
	s_and_saveexec_b64 s[2:3], vcc
	s_xor_b64 s[2:3], exec, s[2:3]
	s_cbranch_execz .LBB959_175
; %bb.170:
	v_cmp_le_u32_e32 vcc, v14, v15
	s_and_saveexec_b64 s[4:5], vcc
	s_xor_b64 s[4:5], exec, s[4:5]
	s_cbranch_execz .LBB959_172
; %bb.171:
	v_lshlrev_b32_e32 v15, 2, v0
	ds_read_b32 v15, v15 offset:4096
	v_add_co_u32_e32 v16, vcc, v1, v0
	v_addc_co_u32_e32 v17, vcc, 0, v8, vcc
	v_lshlrev_b64 v[16:17], 2, v[16:17]
	v_mov_b32_e32 v18, s9
	v_sub_co_u32_e32 v16, vcc, s8, v16
	v_subb_co_u32_e32 v17, vcc, v18, v17, vcc
	s_waitcnt lgkmcnt(0)
	global_store_dword v[16:17], v15, off offset:-4096
                                        ; implicit-def: $vgpr15
.LBB959_172:
	s_andn2_saveexec_b64 s[4:5], s[4:5]
	s_cbranch_execz .LBB959_174
; %bb.173:
	v_lshlrev_b32_e32 v16, 2, v0
	ds_read_b32 v16, v16 offset:4096
	v_lshlrev_b32_e32 v15, 2, v15
	v_readfirstlane_b32 s6, v10
	v_readfirstlane_b32 s7, v11
	s_waitcnt lgkmcnt(0)
	s_nop 3
	global_store_dword v15, v16, s[6:7]
.LBB959_174:
	s_or_b64 exec, exec, s[4:5]
                                        ; implicit-def: $vgpr15
.LBB959_175:
	s_andn2_saveexec_b64 s[2:3], s[2:3]
	s_cbranch_execz .LBB959_177
; %bb.176:
	v_lshlrev_b32_e32 v16, 2, v0
	ds_read_b32 v16, v16 offset:4096
	v_lshlrev_b32_e32 v15, 2, v15
	v_readfirstlane_b32 s4, v12
	v_readfirstlane_b32 s5, v13
	s_waitcnt lgkmcnt(0)
	s_nop 3
	global_store_dword v15, v16, s[4:5]
.LBB959_177:
	s_or_b64 exec, exec, s[2:3]
	v_or_b32_e32 v15, 0x500, v0
	v_cmp_le_u32_e32 vcc, v6, v15
	s_and_saveexec_b64 s[2:3], vcc
	s_xor_b64 s[2:3], exec, s[2:3]
	s_cbranch_execz .LBB959_183
; %bb.178:
	v_cmp_le_u32_e32 vcc, v14, v15
	s_and_saveexec_b64 s[4:5], vcc
	s_xor_b64 s[4:5], exec, s[4:5]
	s_cbranch_execz .LBB959_180
; %bb.179:
	v_add_co_u32_e32 v16, vcc, v1, v15
	v_lshlrev_b32_e32 v15, 2, v0
	ds_read_b32 v15, v15 offset:5120
	v_addc_co_u32_e32 v17, vcc, 0, v8, vcc
	v_lshlrev_b64 v[16:17], 2, v[16:17]
	v_mov_b32_e32 v18, s9
	v_sub_co_u32_e32 v16, vcc, s8, v16
	v_subb_co_u32_e32 v17, vcc, v18, v17, vcc
	s_waitcnt lgkmcnt(0)
	global_store_dword v[16:17], v15, off
                                        ; implicit-def: $vgpr15
.LBB959_180:
	s_andn2_saveexec_b64 s[4:5], s[4:5]
	s_cbranch_execz .LBB959_182
; %bb.181:
	v_lshlrev_b32_e32 v16, 2, v0
	ds_read_b32 v16, v16 offset:5120
	v_lshlrev_b32_e32 v15, 2, v15
	v_readfirstlane_b32 s6, v10
	v_readfirstlane_b32 s7, v11
	s_waitcnt lgkmcnt(0)
	s_nop 3
	global_store_dword v15, v16, s[6:7]
.LBB959_182:
	s_or_b64 exec, exec, s[4:5]
                                        ; implicit-def: $vgpr15
.LBB959_183:
	s_andn2_saveexec_b64 s[2:3], s[2:3]
	s_cbranch_execz .LBB959_185
; %bb.184:
	v_lshlrev_b32_e32 v16, 2, v0
	ds_read_b32 v16, v16 offset:5120
	v_lshlrev_b32_e32 v15, 2, v15
	v_readfirstlane_b32 s4, v12
	v_readfirstlane_b32 s5, v13
	s_waitcnt lgkmcnt(0)
	s_nop 3
	global_store_dword v15, v16, s[4:5]
.LBB959_185:
	s_or_b64 exec, exec, s[2:3]
	v_or_b32_e32 v15, 0x600, v0
	v_cmp_le_u32_e32 vcc, v6, v15
	s_and_saveexec_b64 s[2:3], vcc
	s_xor_b64 s[2:3], exec, s[2:3]
	s_cbranch_execz .LBB959_191
; %bb.186:
	v_cmp_le_u32_e32 vcc, v14, v15
	s_and_saveexec_b64 s[4:5], vcc
	s_xor_b64 s[4:5], exec, s[4:5]
	s_cbranch_execz .LBB959_188
; %bb.187:
	v_add_co_u32_e32 v16, vcc, v1, v15
	v_lshlrev_b32_e32 v15, 2, v0
	ds_read_b32 v15, v15 offset:6144
	v_addc_co_u32_e32 v17, vcc, 0, v8, vcc
	v_lshlrev_b64 v[16:17], 2, v[16:17]
	v_mov_b32_e32 v18, s9
	v_sub_co_u32_e32 v16, vcc, s8, v16
	v_subb_co_u32_e32 v17, vcc, v18, v17, vcc
	s_waitcnt lgkmcnt(0)
	global_store_dword v[16:17], v15, off
                                        ; implicit-def: $vgpr15
.LBB959_188:
	s_andn2_saveexec_b64 s[4:5], s[4:5]
	s_cbranch_execz .LBB959_190
; %bb.189:
	v_lshlrev_b32_e32 v16, 2, v0
	ds_read_b32 v16, v16 offset:6144
	v_lshlrev_b32_e32 v15, 2, v15
	v_readfirstlane_b32 s6, v10
	v_readfirstlane_b32 s7, v11
	s_waitcnt lgkmcnt(0)
	s_nop 3
	global_store_dword v15, v16, s[6:7]
.LBB959_190:
	s_or_b64 exec, exec, s[4:5]
                                        ; implicit-def: $vgpr15
.LBB959_191:
	;; [unrolled: 51-line block ×8, first 2 shown]
	s_andn2_saveexec_b64 s[2:3], s[2:3]
	s_cbranch_execz .LBB959_241
; %bb.240:
	v_lshlrev_b32_e32 v16, 2, v0
	ds_read_b32 v16, v16 offset:12288
	v_lshlrev_b32_e32 v15, 2, v15
	v_readfirstlane_b32 s4, v12
	v_readfirstlane_b32 s5, v13
	s_waitcnt lgkmcnt(0)
	s_nop 3
	global_store_dword v15, v16, s[4:5]
.LBB959_241:
	s_or_b64 exec, exec, s[2:3]
	s_branch .LBB959_135
.LBB959_242:
	v_cmp_gt_u32_e32 vcc, s16, v0
	s_and_saveexec_b64 s[2:3], vcc
	s_cbranch_execz .LBB959_251
; %bb.243:
	v_cmp_le_u32_e32 vcc, v6, v0
	s_and_saveexec_b64 s[4:5], vcc
	s_xor_b64 s[4:5], exec, s[4:5]
	s_cbranch_execz .LBB959_249
; %bb.244:
	v_cmp_le_u32_e32 vcc, v14, v0
	s_and_saveexec_b64 s[6:7], vcc
	s_xor_b64 s[6:7], exec, s[6:7]
	s_cbranch_execz .LBB959_246
; %bb.245:
	v_lshlrev_b32_e32 v15, 2, v0
	v_add_co_u32_e32 v16, vcc, v1, v0
	ds_read_b32 v15, v15
	v_addc_co_u32_e32 v17, vcc, 0, v8, vcc
	v_lshlrev_b64 v[16:17], 2, v[16:17]
	v_mov_b32_e32 v18, s35
	v_sub_co_u32_e32 v16, vcc, s34, v16
	v_subb_co_u32_e32 v17, vcc, v18, v17, vcc
	s_waitcnt lgkmcnt(0)
	global_store_dword v[16:17], v15, off offset:-4
.LBB959_246:
	s_andn2_saveexec_b64 s[6:7], s[6:7]
	s_cbranch_execz .LBB959_248
; %bb.247:
	v_lshlrev_b32_e32 v15, 2, v0
	ds_read_b32 v16, v15
	v_readfirstlane_b32 s10, v10
	v_readfirstlane_b32 s11, v11
	s_waitcnt lgkmcnt(0)
	s_nop 3
	global_store_dword v15, v16, s[10:11]
.LBB959_248:
	s_or_b64 exec, exec, s[6:7]
.LBB959_249:
	s_andn2_saveexec_b64 s[4:5], s[4:5]
	s_cbranch_execz .LBB959_251
; %bb.250:
	v_lshlrev_b32_e32 v15, 2, v0
	ds_read_b32 v16, v15
	v_readfirstlane_b32 s4, v12
	v_readfirstlane_b32 s5, v13
	s_waitcnt lgkmcnt(0)
	s_nop 3
	global_store_dword v15, v16, s[4:5]
.LBB959_251:
	s_or_b64 exec, exec, s[2:3]
	v_or_b32_e32 v15, 0x100, v0
	v_cmp_gt_u32_e32 vcc, s16, v15
	s_and_saveexec_b64 s[2:3], vcc
	s_cbranch_execz .LBB959_260
; %bb.252:
	v_cmp_le_u32_e32 vcc, v6, v15
	s_and_saveexec_b64 s[4:5], vcc
	s_xor_b64 s[4:5], exec, s[4:5]
	s_cbranch_execz .LBB959_258
; %bb.253:
	v_cmp_le_u32_e32 vcc, v14, v15
	s_and_saveexec_b64 s[6:7], vcc
	s_xor_b64 s[6:7], exec, s[6:7]
	s_cbranch_execz .LBB959_255
; %bb.254:
	v_lshlrev_b32_e32 v15, 2, v0
	ds_read_b32 v15, v15 offset:1024
	v_add_co_u32_e32 v16, vcc, v1, v0
	v_addc_co_u32_e32 v17, vcc, 0, v8, vcc
	v_lshlrev_b64 v[16:17], 2, v[16:17]
	v_mov_b32_e32 v18, s9
	v_sub_co_u32_e32 v16, vcc, s8, v16
	v_subb_co_u32_e32 v17, vcc, v18, v17, vcc
	s_waitcnt lgkmcnt(0)
	global_store_dword v[16:17], v15, off offset:-1024
.LBB959_255:
	s_andn2_saveexec_b64 s[6:7], s[6:7]
	s_cbranch_execz .LBB959_257
; %bb.256:
	v_lshlrev_b32_e32 v15, 2, v0
	ds_read_b32 v16, v15 offset:1024
	v_readfirstlane_b32 s10, v10
	v_readfirstlane_b32 s11, v11
	s_waitcnt lgkmcnt(0)
	s_nop 3
	global_store_dword v15, v16, s[10:11] offset:1024
.LBB959_257:
	s_or_b64 exec, exec, s[6:7]
.LBB959_258:
	s_andn2_saveexec_b64 s[4:5], s[4:5]
	s_cbranch_execz .LBB959_260
; %bb.259:
	v_lshlrev_b32_e32 v15, 2, v0
	ds_read_b32 v16, v15 offset:1024
	v_readfirstlane_b32 s4, v12
	v_readfirstlane_b32 s5, v13
	s_waitcnt lgkmcnt(0)
	s_nop 3
	global_store_dword v15, v16, s[4:5] offset:1024
.LBB959_260:
	s_or_b64 exec, exec, s[2:3]
	v_or_b32_e32 v15, 0x200, v0
	v_cmp_gt_u32_e32 vcc, s16, v15
	s_and_saveexec_b64 s[2:3], vcc
	s_cbranch_execz .LBB959_269
; %bb.261:
	v_cmp_le_u32_e32 vcc, v6, v15
	s_and_saveexec_b64 s[4:5], vcc
	s_xor_b64 s[4:5], exec, s[4:5]
	s_cbranch_execz .LBB959_267
; %bb.262:
	v_cmp_le_u32_e32 vcc, v14, v15
	s_and_saveexec_b64 s[6:7], vcc
	s_xor_b64 s[6:7], exec, s[6:7]
	s_cbranch_execz .LBB959_264
; %bb.263:
	v_lshlrev_b32_e32 v15, 2, v0
	ds_read_b32 v15, v15 offset:2048
	v_add_co_u32_e32 v16, vcc, v1, v0
	v_addc_co_u32_e32 v17, vcc, 0, v8, vcc
	v_lshlrev_b64 v[16:17], 2, v[16:17]
	v_mov_b32_e32 v18, s9
	v_sub_co_u32_e32 v16, vcc, s8, v16
	v_subb_co_u32_e32 v17, vcc, v18, v17, vcc
	s_waitcnt lgkmcnt(0)
	global_store_dword v[16:17], v15, off offset:-2048
.LBB959_264:
	s_andn2_saveexec_b64 s[6:7], s[6:7]
	s_cbranch_execz .LBB959_266
; %bb.265:
	v_lshlrev_b32_e32 v15, 2, v0
	ds_read_b32 v16, v15 offset:2048
	v_readfirstlane_b32 s10, v10
	v_readfirstlane_b32 s11, v11
	s_waitcnt lgkmcnt(0)
	s_nop 3
	global_store_dword v15, v16, s[10:11] offset:2048
.LBB959_266:
	s_or_b64 exec, exec, s[6:7]
.LBB959_267:
	s_andn2_saveexec_b64 s[4:5], s[4:5]
	s_cbranch_execz .LBB959_269
; %bb.268:
	v_lshlrev_b32_e32 v15, 2, v0
	ds_read_b32 v16, v15 offset:2048
	v_readfirstlane_b32 s4, v12
	v_readfirstlane_b32 s5, v13
	s_waitcnt lgkmcnt(0)
	s_nop 3
	global_store_dword v15, v16, s[4:5] offset:2048
.LBB959_269:
	;; [unrolled: 51-line block ×3, first 2 shown]
	s_or_b64 exec, exec, s[2:3]
	v_or_b32_e32 v15, 0x400, v0
	v_cmp_gt_u32_e32 vcc, s16, v15
	s_and_saveexec_b64 s[2:3], vcc
	s_cbranch_execz .LBB959_287
; %bb.279:
	v_cmp_le_u32_e32 vcc, v6, v15
	s_and_saveexec_b64 s[4:5], vcc
	s_xor_b64 s[4:5], exec, s[4:5]
	s_cbranch_execz .LBB959_285
; %bb.280:
	v_cmp_le_u32_e32 vcc, v14, v15
	s_and_saveexec_b64 s[6:7], vcc
	s_xor_b64 s[6:7], exec, s[6:7]
	s_cbranch_execz .LBB959_282
; %bb.281:
	v_lshlrev_b32_e32 v15, 2, v0
	ds_read_b32 v15, v15 offset:4096
	v_add_co_u32_e32 v16, vcc, v1, v0
	v_addc_co_u32_e32 v17, vcc, 0, v8, vcc
	v_lshlrev_b64 v[16:17], 2, v[16:17]
	v_mov_b32_e32 v18, s9
	v_sub_co_u32_e32 v16, vcc, s8, v16
	v_subb_co_u32_e32 v17, vcc, v18, v17, vcc
	s_waitcnt lgkmcnt(0)
	global_store_dword v[16:17], v15, off offset:-4096
                                        ; implicit-def: $vgpr15
.LBB959_282:
	s_andn2_saveexec_b64 s[6:7], s[6:7]
	s_cbranch_execz .LBB959_284
; %bb.283:
	v_lshlrev_b32_e32 v16, 2, v0
	ds_read_b32 v16, v16 offset:4096
	v_lshlrev_b32_e32 v15, 2, v15
	v_readfirstlane_b32 s10, v10
	v_readfirstlane_b32 s11, v11
	s_waitcnt lgkmcnt(0)
	s_nop 3
	global_store_dword v15, v16, s[10:11]
.LBB959_284:
	s_or_b64 exec, exec, s[6:7]
                                        ; implicit-def: $vgpr15
.LBB959_285:
	s_andn2_saveexec_b64 s[4:5], s[4:5]
	s_cbranch_execz .LBB959_287
; %bb.286:
	v_lshlrev_b32_e32 v16, 2, v0
	ds_read_b32 v16, v16 offset:4096
	v_lshlrev_b32_e32 v15, 2, v15
	v_readfirstlane_b32 s4, v12
	v_readfirstlane_b32 s5, v13
	s_waitcnt lgkmcnt(0)
	s_nop 3
	global_store_dword v15, v16, s[4:5]
.LBB959_287:
	s_or_b64 exec, exec, s[2:3]
	v_or_b32_e32 v15, 0x500, v0
	v_cmp_gt_u32_e32 vcc, s16, v15
	s_and_saveexec_b64 s[2:3], vcc
	s_cbranch_execz .LBB959_296
; %bb.288:
	v_cmp_le_u32_e32 vcc, v6, v15
	s_and_saveexec_b64 s[4:5], vcc
	s_xor_b64 s[4:5], exec, s[4:5]
	s_cbranch_execz .LBB959_294
; %bb.289:
	v_cmp_le_u32_e32 vcc, v14, v15
	s_and_saveexec_b64 s[6:7], vcc
	s_xor_b64 s[6:7], exec, s[6:7]
	s_cbranch_execz .LBB959_291
; %bb.290:
	v_add_co_u32_e32 v16, vcc, v1, v15
	v_lshlrev_b32_e32 v15, 2, v0
	ds_read_b32 v15, v15 offset:5120
	v_addc_co_u32_e32 v17, vcc, 0, v8, vcc
	v_lshlrev_b64 v[16:17], 2, v[16:17]
	v_mov_b32_e32 v18, s9
	v_sub_co_u32_e32 v16, vcc, s8, v16
	v_subb_co_u32_e32 v17, vcc, v18, v17, vcc
	s_waitcnt lgkmcnt(0)
	global_store_dword v[16:17], v15, off
                                        ; implicit-def: $vgpr15
.LBB959_291:
	s_andn2_saveexec_b64 s[6:7], s[6:7]
	s_cbranch_execz .LBB959_293
; %bb.292:
	v_lshlrev_b32_e32 v16, 2, v0
	ds_read_b32 v16, v16 offset:5120
	v_lshlrev_b32_e32 v15, 2, v15
	v_readfirstlane_b32 s10, v10
	v_readfirstlane_b32 s11, v11
	s_waitcnt lgkmcnt(0)
	s_nop 3
	global_store_dword v15, v16, s[10:11]
.LBB959_293:
	s_or_b64 exec, exec, s[6:7]
                                        ; implicit-def: $vgpr15
.LBB959_294:
	s_andn2_saveexec_b64 s[4:5], s[4:5]
	s_cbranch_execz .LBB959_296
; %bb.295:
	v_lshlrev_b32_e32 v16, 2, v0
	ds_read_b32 v16, v16 offset:5120
	v_lshlrev_b32_e32 v15, 2, v15
	v_readfirstlane_b32 s4, v12
	v_readfirstlane_b32 s5, v13
	s_waitcnt lgkmcnt(0)
	s_nop 3
	global_store_dword v15, v16, s[4:5]
.LBB959_296:
	s_or_b64 exec, exec, s[2:3]
	v_or_b32_e32 v15, 0x600, v0
	v_cmp_gt_u32_e32 vcc, s16, v15
	s_and_saveexec_b64 s[2:3], vcc
	s_cbranch_execz .LBB959_305
; %bb.297:
	v_cmp_le_u32_e32 vcc, v6, v15
	s_and_saveexec_b64 s[4:5], vcc
	s_xor_b64 s[4:5], exec, s[4:5]
	s_cbranch_execz .LBB959_303
; %bb.298:
	v_cmp_le_u32_e32 vcc, v14, v15
	s_and_saveexec_b64 s[6:7], vcc
	s_xor_b64 s[6:7], exec, s[6:7]
	s_cbranch_execz .LBB959_300
; %bb.299:
	v_add_co_u32_e32 v16, vcc, v1, v15
	v_lshlrev_b32_e32 v15, 2, v0
	ds_read_b32 v15, v15 offset:6144
	v_addc_co_u32_e32 v17, vcc, 0, v8, vcc
	v_lshlrev_b64 v[16:17], 2, v[16:17]
	v_mov_b32_e32 v18, s9
	v_sub_co_u32_e32 v16, vcc, s8, v16
	v_subb_co_u32_e32 v17, vcc, v18, v17, vcc
	s_waitcnt lgkmcnt(0)
	global_store_dword v[16:17], v15, off
                                        ; implicit-def: $vgpr15
.LBB959_300:
	s_andn2_saveexec_b64 s[6:7], s[6:7]
	s_cbranch_execz .LBB959_302
; %bb.301:
	v_lshlrev_b32_e32 v16, 2, v0
	ds_read_b32 v16, v16 offset:6144
	v_lshlrev_b32_e32 v15, 2, v15
	v_readfirstlane_b32 s10, v10
	v_readfirstlane_b32 s11, v11
	s_waitcnt lgkmcnt(0)
	s_nop 3
	global_store_dword v15, v16, s[10:11]
.LBB959_302:
	s_or_b64 exec, exec, s[6:7]
                                        ; implicit-def: $vgpr15
.LBB959_303:
	s_andn2_saveexec_b64 s[4:5], s[4:5]
	s_cbranch_execz .LBB959_305
; %bb.304:
	v_lshlrev_b32_e32 v16, 2, v0
	ds_read_b32 v16, v16 offset:6144
	v_lshlrev_b32_e32 v15, 2, v15
	v_readfirstlane_b32 s4, v12
	v_readfirstlane_b32 s5, v13
	s_waitcnt lgkmcnt(0)
	s_nop 3
	global_store_dword v15, v16, s[4:5]
.LBB959_305:
	;; [unrolled: 55-line block ×7, first 2 shown]
	s_or_b64 exec, exec, s[2:3]
	v_or_b32_e32 v15, 0xc00, v0
	v_cmp_gt_u32_e32 vcc, s16, v15
	s_and_saveexec_b64 s[2:3], vcc
	s_cbranch_execz .LBB959_359
; %bb.351:
	v_cmp_le_u32_e32 vcc, v6, v15
	s_and_saveexec_b64 s[4:5], vcc
	s_xor_b64 s[4:5], exec, s[4:5]
	s_cbranch_execz .LBB959_357
; %bb.352:
	v_cmp_le_u32_e32 vcc, v14, v15
	s_and_saveexec_b64 s[6:7], vcc
	s_xor_b64 s[6:7], exec, s[6:7]
	s_cbranch_execz .LBB959_354
; %bb.353:
	v_add_co_u32_e32 v10, vcc, v1, v15
	v_lshlrev_b32_e32 v0, 2, v0
	v_addc_co_u32_e32 v11, vcc, 0, v8, vcc
	ds_read_b32 v8, v0 offset:12288
	v_lshlrev_b64 v[0:1], 2, v[10:11]
	v_mov_b32_e32 v10, s9
	v_sub_co_u32_e32 v0, vcc, s8, v0
	v_subb_co_u32_e32 v1, vcc, v10, v1, vcc
	s_waitcnt lgkmcnt(0)
	global_store_dword v[0:1], v8, off
                                        ; implicit-def: $vgpr0
                                        ; implicit-def: $vgpr15
                                        ; implicit-def: $vgpr10_vgpr11
.LBB959_354:
	s_andn2_saveexec_b64 s[6:7], s[6:7]
	s_cbranch_execz .LBB959_356
; %bb.355:
	v_lshlrev_b32_e32 v0, 2, v0
	ds_read_b32 v0, v0 offset:12288
	v_lshlrev_b32_e32 v1, 2, v15
	v_readfirstlane_b32 s8, v10
	v_readfirstlane_b32 s9, v11
	s_waitcnt lgkmcnt(0)
	s_nop 3
	global_store_dword v1, v0, s[8:9]
.LBB959_356:
	s_or_b64 exec, exec, s[6:7]
                                        ; implicit-def: $vgpr0
                                        ; implicit-def: $vgpr15
                                        ; implicit-def: $vgpr12_vgpr13
.LBB959_357:
	s_andn2_saveexec_b64 s[4:5], s[4:5]
	s_cbranch_execz .LBB959_359
; %bb.358:
	v_lshlrev_b32_e32 v0, 2, v0
	ds_read_b32 v0, v0 offset:12288
	v_lshlrev_b32_e32 v1, 2, v15
	v_readfirstlane_b32 s4, v12
	v_readfirstlane_b32 s5, v13
	s_waitcnt lgkmcnt(0)
	s_nop 3
	global_store_dword v1, v0, s[4:5]
.LBB959_359:
	s_or_b64 exec, exec, s[2:3]
	s_and_b64 s[0:1], s[0:1], s[30:31]
	s_and_saveexec_b64 s[2:3], s[0:1]
	s_cbranch_execz .LBB959_136
.LBB959_360:
	v_add_co_u32_e32 v0, vcc, v2, v6
	v_addc_co_u32_e32 v1, vcc, 0, v3, vcc
	v_add_co_u32_e32 v2, vcc, v4, v7
	v_addc_co_u32_e32 v3, vcc, 0, v5, vcc
	v_add_co_u32_e32 v2, vcc, v2, v9
	v_mov_b32_e32 v8, 0
	v_addc_co_u32_e32 v3, vcc, 0, v3, vcc
	global_store_dwordx4 v8, v[0:3], s[28:29]
	s_endpgm
	.section	.rodata,"a",@progbits
	.p2align	6, 0x0
	.amdhsa_kernel _ZN7rocprim17ROCPRIM_400000_NS6detail17trampoline_kernelINS0_13select_configILj256ELj13ELNS0_17block_load_methodE3ELS4_3ELS4_3ELNS0_20block_scan_algorithmE0ELj4294967295EEENS1_25partition_config_selectorILNS1_17partition_subalgoE4EjNS0_10empty_typeEbEEZZNS1_14partition_implILS8_4ELb0ES6_15HIP_vector_typeIjLj2EENS0_17counting_iteratorIjlEEPS9_SG_NS0_5tupleIJPjSI_NS0_16reverse_iteratorISI_EEEEENSH_IJSG_SG_SG_EEES9_SI_JZNS1_25segmented_radix_sort_implINS0_14default_configELb0EPKsPsPKlPlN2at6native12_GLOBAL__N_18offset_tEEE10hipError_tPvRmT1_PNSt15iterator_traitsIS12_E10value_typeET2_T3_PNS13_IS18_E10value_typeET4_jRbjT5_S1E_jjP12ihipStream_tbEUljE_ZNSN_ISO_Lb0ESQ_SR_ST_SU_SY_EESZ_S10_S11_S12_S16_S17_S18_S1B_S1C_jS1D_jS1E_S1E_jjS1G_bEUljE0_EEESZ_S10_S11_S18_S1C_S1E_T6_T7_T9_mT8_S1G_bDpT10_ENKUlT_T0_E_clISt17integral_constantIbLb1EES1U_EEDaS1P_S1Q_EUlS1P_E_NS1_11comp_targetILNS1_3genE4ELNS1_11target_archE910ELNS1_3gpuE8ELNS1_3repE0EEENS1_30default_config_static_selectorELNS0_4arch9wavefront6targetE1EEEvS12_
		.amdhsa_group_segment_fixed_size 13340
		.amdhsa_private_segment_fixed_size 0
		.amdhsa_kernarg_size 184
		.amdhsa_user_sgpr_count 6
		.amdhsa_user_sgpr_private_segment_buffer 1
		.amdhsa_user_sgpr_dispatch_ptr 0
		.amdhsa_user_sgpr_queue_ptr 0
		.amdhsa_user_sgpr_kernarg_segment_ptr 1
		.amdhsa_user_sgpr_dispatch_id 0
		.amdhsa_user_sgpr_flat_scratch_init 0
		.amdhsa_user_sgpr_kernarg_preload_length 0
		.amdhsa_user_sgpr_kernarg_preload_offset 0
		.amdhsa_user_sgpr_private_segment_size 0
		.amdhsa_uses_dynamic_stack 0
		.amdhsa_system_sgpr_private_segment_wavefront_offset 0
		.amdhsa_system_sgpr_workgroup_id_x 1
		.amdhsa_system_sgpr_workgroup_id_y 0
		.amdhsa_system_sgpr_workgroup_id_z 0
		.amdhsa_system_sgpr_workgroup_info 0
		.amdhsa_system_vgpr_workitem_id 0
		.amdhsa_next_free_vgpr 107
		.amdhsa_next_free_sgpr 87
		.amdhsa_accum_offset 108
		.amdhsa_reserve_vcc 1
		.amdhsa_reserve_flat_scratch 0
		.amdhsa_float_round_mode_32 0
		.amdhsa_float_round_mode_16_64 0
		.amdhsa_float_denorm_mode_32 3
		.amdhsa_float_denorm_mode_16_64 3
		.amdhsa_dx10_clamp 1
		.amdhsa_ieee_mode 1
		.amdhsa_fp16_overflow 0
		.amdhsa_tg_split 0
		.amdhsa_exception_fp_ieee_invalid_op 0
		.amdhsa_exception_fp_denorm_src 0
		.amdhsa_exception_fp_ieee_div_zero 0
		.amdhsa_exception_fp_ieee_overflow 0
		.amdhsa_exception_fp_ieee_underflow 0
		.amdhsa_exception_fp_ieee_inexact 0
		.amdhsa_exception_int_div_zero 0
	.end_amdhsa_kernel
	.section	.text._ZN7rocprim17ROCPRIM_400000_NS6detail17trampoline_kernelINS0_13select_configILj256ELj13ELNS0_17block_load_methodE3ELS4_3ELS4_3ELNS0_20block_scan_algorithmE0ELj4294967295EEENS1_25partition_config_selectorILNS1_17partition_subalgoE4EjNS0_10empty_typeEbEEZZNS1_14partition_implILS8_4ELb0ES6_15HIP_vector_typeIjLj2EENS0_17counting_iteratorIjlEEPS9_SG_NS0_5tupleIJPjSI_NS0_16reverse_iteratorISI_EEEEENSH_IJSG_SG_SG_EEES9_SI_JZNS1_25segmented_radix_sort_implINS0_14default_configELb0EPKsPsPKlPlN2at6native12_GLOBAL__N_18offset_tEEE10hipError_tPvRmT1_PNSt15iterator_traitsIS12_E10value_typeET2_T3_PNS13_IS18_E10value_typeET4_jRbjT5_S1E_jjP12ihipStream_tbEUljE_ZNSN_ISO_Lb0ESQ_SR_ST_SU_SY_EESZ_S10_S11_S12_S16_S17_S18_S1B_S1C_jS1D_jS1E_S1E_jjS1G_bEUljE0_EEESZ_S10_S11_S18_S1C_S1E_T6_T7_T9_mT8_S1G_bDpT10_ENKUlT_T0_E_clISt17integral_constantIbLb1EES1U_EEDaS1P_S1Q_EUlS1P_E_NS1_11comp_targetILNS1_3genE4ELNS1_11target_archE910ELNS1_3gpuE8ELNS1_3repE0EEENS1_30default_config_static_selectorELNS0_4arch9wavefront6targetE1EEEvS12_,"axG",@progbits,_ZN7rocprim17ROCPRIM_400000_NS6detail17trampoline_kernelINS0_13select_configILj256ELj13ELNS0_17block_load_methodE3ELS4_3ELS4_3ELNS0_20block_scan_algorithmE0ELj4294967295EEENS1_25partition_config_selectorILNS1_17partition_subalgoE4EjNS0_10empty_typeEbEEZZNS1_14partition_implILS8_4ELb0ES6_15HIP_vector_typeIjLj2EENS0_17counting_iteratorIjlEEPS9_SG_NS0_5tupleIJPjSI_NS0_16reverse_iteratorISI_EEEEENSH_IJSG_SG_SG_EEES9_SI_JZNS1_25segmented_radix_sort_implINS0_14default_configELb0EPKsPsPKlPlN2at6native12_GLOBAL__N_18offset_tEEE10hipError_tPvRmT1_PNSt15iterator_traitsIS12_E10value_typeET2_T3_PNS13_IS18_E10value_typeET4_jRbjT5_S1E_jjP12ihipStream_tbEUljE_ZNSN_ISO_Lb0ESQ_SR_ST_SU_SY_EESZ_S10_S11_S12_S16_S17_S18_S1B_S1C_jS1D_jS1E_S1E_jjS1G_bEUljE0_EEESZ_S10_S11_S18_S1C_S1E_T6_T7_T9_mT8_S1G_bDpT10_ENKUlT_T0_E_clISt17integral_constantIbLb1EES1U_EEDaS1P_S1Q_EUlS1P_E_NS1_11comp_targetILNS1_3genE4ELNS1_11target_archE910ELNS1_3gpuE8ELNS1_3repE0EEENS1_30default_config_static_selectorELNS0_4arch9wavefront6targetE1EEEvS12_,comdat
.Lfunc_end959:
	.size	_ZN7rocprim17ROCPRIM_400000_NS6detail17trampoline_kernelINS0_13select_configILj256ELj13ELNS0_17block_load_methodE3ELS4_3ELS4_3ELNS0_20block_scan_algorithmE0ELj4294967295EEENS1_25partition_config_selectorILNS1_17partition_subalgoE4EjNS0_10empty_typeEbEEZZNS1_14partition_implILS8_4ELb0ES6_15HIP_vector_typeIjLj2EENS0_17counting_iteratorIjlEEPS9_SG_NS0_5tupleIJPjSI_NS0_16reverse_iteratorISI_EEEEENSH_IJSG_SG_SG_EEES9_SI_JZNS1_25segmented_radix_sort_implINS0_14default_configELb0EPKsPsPKlPlN2at6native12_GLOBAL__N_18offset_tEEE10hipError_tPvRmT1_PNSt15iterator_traitsIS12_E10value_typeET2_T3_PNS13_IS18_E10value_typeET4_jRbjT5_S1E_jjP12ihipStream_tbEUljE_ZNSN_ISO_Lb0ESQ_SR_ST_SU_SY_EESZ_S10_S11_S12_S16_S17_S18_S1B_S1C_jS1D_jS1E_S1E_jjS1G_bEUljE0_EEESZ_S10_S11_S18_S1C_S1E_T6_T7_T9_mT8_S1G_bDpT10_ENKUlT_T0_E_clISt17integral_constantIbLb1EES1U_EEDaS1P_S1Q_EUlS1P_E_NS1_11comp_targetILNS1_3genE4ELNS1_11target_archE910ELNS1_3gpuE8ELNS1_3repE0EEENS1_30default_config_static_selectorELNS0_4arch9wavefront6targetE1EEEvS12_, .Lfunc_end959-_ZN7rocprim17ROCPRIM_400000_NS6detail17trampoline_kernelINS0_13select_configILj256ELj13ELNS0_17block_load_methodE3ELS4_3ELS4_3ELNS0_20block_scan_algorithmE0ELj4294967295EEENS1_25partition_config_selectorILNS1_17partition_subalgoE4EjNS0_10empty_typeEbEEZZNS1_14partition_implILS8_4ELb0ES6_15HIP_vector_typeIjLj2EENS0_17counting_iteratorIjlEEPS9_SG_NS0_5tupleIJPjSI_NS0_16reverse_iteratorISI_EEEEENSH_IJSG_SG_SG_EEES9_SI_JZNS1_25segmented_radix_sort_implINS0_14default_configELb0EPKsPsPKlPlN2at6native12_GLOBAL__N_18offset_tEEE10hipError_tPvRmT1_PNSt15iterator_traitsIS12_E10value_typeET2_T3_PNS13_IS18_E10value_typeET4_jRbjT5_S1E_jjP12ihipStream_tbEUljE_ZNSN_ISO_Lb0ESQ_SR_ST_SU_SY_EESZ_S10_S11_S12_S16_S17_S18_S1B_S1C_jS1D_jS1E_S1E_jjS1G_bEUljE0_EEESZ_S10_S11_S18_S1C_S1E_T6_T7_T9_mT8_S1G_bDpT10_ENKUlT_T0_E_clISt17integral_constantIbLb1EES1U_EEDaS1P_S1Q_EUlS1P_E_NS1_11comp_targetILNS1_3genE4ELNS1_11target_archE910ELNS1_3gpuE8ELNS1_3repE0EEENS1_30default_config_static_selectorELNS0_4arch9wavefront6targetE1EEEvS12_
                                        ; -- End function
	.section	.AMDGPU.csdata,"",@progbits
; Kernel info:
; codeLenInByte = 13512
; NumSgprs: 91
; NumVgprs: 107
; NumAgprs: 0
; TotalNumVgprs: 107
; ScratchSize: 0
; MemoryBound: 0
; FloatMode: 240
; IeeeMode: 1
; LDSByteSize: 13340 bytes/workgroup (compile time only)
; SGPRBlocks: 11
; VGPRBlocks: 13
; NumSGPRsForWavesPerEU: 91
; NumVGPRsForWavesPerEU: 107
; AccumOffset: 108
; Occupancy: 4
; WaveLimiterHint : 1
; COMPUTE_PGM_RSRC2:SCRATCH_EN: 0
; COMPUTE_PGM_RSRC2:USER_SGPR: 6
; COMPUTE_PGM_RSRC2:TRAP_HANDLER: 0
; COMPUTE_PGM_RSRC2:TGID_X_EN: 1
; COMPUTE_PGM_RSRC2:TGID_Y_EN: 0
; COMPUTE_PGM_RSRC2:TGID_Z_EN: 0
; COMPUTE_PGM_RSRC2:TIDIG_COMP_CNT: 0
; COMPUTE_PGM_RSRC3_GFX90A:ACCUM_OFFSET: 26
; COMPUTE_PGM_RSRC3_GFX90A:TG_SPLIT: 0
	.section	.text._ZN7rocprim17ROCPRIM_400000_NS6detail17trampoline_kernelINS0_13select_configILj256ELj13ELNS0_17block_load_methodE3ELS4_3ELS4_3ELNS0_20block_scan_algorithmE0ELj4294967295EEENS1_25partition_config_selectorILNS1_17partition_subalgoE4EjNS0_10empty_typeEbEEZZNS1_14partition_implILS8_4ELb0ES6_15HIP_vector_typeIjLj2EENS0_17counting_iteratorIjlEEPS9_SG_NS0_5tupleIJPjSI_NS0_16reverse_iteratorISI_EEEEENSH_IJSG_SG_SG_EEES9_SI_JZNS1_25segmented_radix_sort_implINS0_14default_configELb0EPKsPsPKlPlN2at6native12_GLOBAL__N_18offset_tEEE10hipError_tPvRmT1_PNSt15iterator_traitsIS12_E10value_typeET2_T3_PNS13_IS18_E10value_typeET4_jRbjT5_S1E_jjP12ihipStream_tbEUljE_ZNSN_ISO_Lb0ESQ_SR_ST_SU_SY_EESZ_S10_S11_S12_S16_S17_S18_S1B_S1C_jS1D_jS1E_S1E_jjS1G_bEUljE0_EEESZ_S10_S11_S18_S1C_S1E_T6_T7_T9_mT8_S1G_bDpT10_ENKUlT_T0_E_clISt17integral_constantIbLb1EES1U_EEDaS1P_S1Q_EUlS1P_E_NS1_11comp_targetILNS1_3genE3ELNS1_11target_archE908ELNS1_3gpuE7ELNS1_3repE0EEENS1_30default_config_static_selectorELNS0_4arch9wavefront6targetE1EEEvS12_,"axG",@progbits,_ZN7rocprim17ROCPRIM_400000_NS6detail17trampoline_kernelINS0_13select_configILj256ELj13ELNS0_17block_load_methodE3ELS4_3ELS4_3ELNS0_20block_scan_algorithmE0ELj4294967295EEENS1_25partition_config_selectorILNS1_17partition_subalgoE4EjNS0_10empty_typeEbEEZZNS1_14partition_implILS8_4ELb0ES6_15HIP_vector_typeIjLj2EENS0_17counting_iteratorIjlEEPS9_SG_NS0_5tupleIJPjSI_NS0_16reverse_iteratorISI_EEEEENSH_IJSG_SG_SG_EEES9_SI_JZNS1_25segmented_radix_sort_implINS0_14default_configELb0EPKsPsPKlPlN2at6native12_GLOBAL__N_18offset_tEEE10hipError_tPvRmT1_PNSt15iterator_traitsIS12_E10value_typeET2_T3_PNS13_IS18_E10value_typeET4_jRbjT5_S1E_jjP12ihipStream_tbEUljE_ZNSN_ISO_Lb0ESQ_SR_ST_SU_SY_EESZ_S10_S11_S12_S16_S17_S18_S1B_S1C_jS1D_jS1E_S1E_jjS1G_bEUljE0_EEESZ_S10_S11_S18_S1C_S1E_T6_T7_T9_mT8_S1G_bDpT10_ENKUlT_T0_E_clISt17integral_constantIbLb1EES1U_EEDaS1P_S1Q_EUlS1P_E_NS1_11comp_targetILNS1_3genE3ELNS1_11target_archE908ELNS1_3gpuE7ELNS1_3repE0EEENS1_30default_config_static_selectorELNS0_4arch9wavefront6targetE1EEEvS12_,comdat
	.globl	_ZN7rocprim17ROCPRIM_400000_NS6detail17trampoline_kernelINS0_13select_configILj256ELj13ELNS0_17block_load_methodE3ELS4_3ELS4_3ELNS0_20block_scan_algorithmE0ELj4294967295EEENS1_25partition_config_selectorILNS1_17partition_subalgoE4EjNS0_10empty_typeEbEEZZNS1_14partition_implILS8_4ELb0ES6_15HIP_vector_typeIjLj2EENS0_17counting_iteratorIjlEEPS9_SG_NS0_5tupleIJPjSI_NS0_16reverse_iteratorISI_EEEEENSH_IJSG_SG_SG_EEES9_SI_JZNS1_25segmented_radix_sort_implINS0_14default_configELb0EPKsPsPKlPlN2at6native12_GLOBAL__N_18offset_tEEE10hipError_tPvRmT1_PNSt15iterator_traitsIS12_E10value_typeET2_T3_PNS13_IS18_E10value_typeET4_jRbjT5_S1E_jjP12ihipStream_tbEUljE_ZNSN_ISO_Lb0ESQ_SR_ST_SU_SY_EESZ_S10_S11_S12_S16_S17_S18_S1B_S1C_jS1D_jS1E_S1E_jjS1G_bEUljE0_EEESZ_S10_S11_S18_S1C_S1E_T6_T7_T9_mT8_S1G_bDpT10_ENKUlT_T0_E_clISt17integral_constantIbLb1EES1U_EEDaS1P_S1Q_EUlS1P_E_NS1_11comp_targetILNS1_3genE3ELNS1_11target_archE908ELNS1_3gpuE7ELNS1_3repE0EEENS1_30default_config_static_selectorELNS0_4arch9wavefront6targetE1EEEvS12_ ; -- Begin function _ZN7rocprim17ROCPRIM_400000_NS6detail17trampoline_kernelINS0_13select_configILj256ELj13ELNS0_17block_load_methodE3ELS4_3ELS4_3ELNS0_20block_scan_algorithmE0ELj4294967295EEENS1_25partition_config_selectorILNS1_17partition_subalgoE4EjNS0_10empty_typeEbEEZZNS1_14partition_implILS8_4ELb0ES6_15HIP_vector_typeIjLj2EENS0_17counting_iteratorIjlEEPS9_SG_NS0_5tupleIJPjSI_NS0_16reverse_iteratorISI_EEEEENSH_IJSG_SG_SG_EEES9_SI_JZNS1_25segmented_radix_sort_implINS0_14default_configELb0EPKsPsPKlPlN2at6native12_GLOBAL__N_18offset_tEEE10hipError_tPvRmT1_PNSt15iterator_traitsIS12_E10value_typeET2_T3_PNS13_IS18_E10value_typeET4_jRbjT5_S1E_jjP12ihipStream_tbEUljE_ZNSN_ISO_Lb0ESQ_SR_ST_SU_SY_EESZ_S10_S11_S12_S16_S17_S18_S1B_S1C_jS1D_jS1E_S1E_jjS1G_bEUljE0_EEESZ_S10_S11_S18_S1C_S1E_T6_T7_T9_mT8_S1G_bDpT10_ENKUlT_T0_E_clISt17integral_constantIbLb1EES1U_EEDaS1P_S1Q_EUlS1P_E_NS1_11comp_targetILNS1_3genE3ELNS1_11target_archE908ELNS1_3gpuE7ELNS1_3repE0EEENS1_30default_config_static_selectorELNS0_4arch9wavefront6targetE1EEEvS12_
	.p2align	8
	.type	_ZN7rocprim17ROCPRIM_400000_NS6detail17trampoline_kernelINS0_13select_configILj256ELj13ELNS0_17block_load_methodE3ELS4_3ELS4_3ELNS0_20block_scan_algorithmE0ELj4294967295EEENS1_25partition_config_selectorILNS1_17partition_subalgoE4EjNS0_10empty_typeEbEEZZNS1_14partition_implILS8_4ELb0ES6_15HIP_vector_typeIjLj2EENS0_17counting_iteratorIjlEEPS9_SG_NS0_5tupleIJPjSI_NS0_16reverse_iteratorISI_EEEEENSH_IJSG_SG_SG_EEES9_SI_JZNS1_25segmented_radix_sort_implINS0_14default_configELb0EPKsPsPKlPlN2at6native12_GLOBAL__N_18offset_tEEE10hipError_tPvRmT1_PNSt15iterator_traitsIS12_E10value_typeET2_T3_PNS13_IS18_E10value_typeET4_jRbjT5_S1E_jjP12ihipStream_tbEUljE_ZNSN_ISO_Lb0ESQ_SR_ST_SU_SY_EESZ_S10_S11_S12_S16_S17_S18_S1B_S1C_jS1D_jS1E_S1E_jjS1G_bEUljE0_EEESZ_S10_S11_S18_S1C_S1E_T6_T7_T9_mT8_S1G_bDpT10_ENKUlT_T0_E_clISt17integral_constantIbLb1EES1U_EEDaS1P_S1Q_EUlS1P_E_NS1_11comp_targetILNS1_3genE3ELNS1_11target_archE908ELNS1_3gpuE7ELNS1_3repE0EEENS1_30default_config_static_selectorELNS0_4arch9wavefront6targetE1EEEvS12_,@function
_ZN7rocprim17ROCPRIM_400000_NS6detail17trampoline_kernelINS0_13select_configILj256ELj13ELNS0_17block_load_methodE3ELS4_3ELS4_3ELNS0_20block_scan_algorithmE0ELj4294967295EEENS1_25partition_config_selectorILNS1_17partition_subalgoE4EjNS0_10empty_typeEbEEZZNS1_14partition_implILS8_4ELb0ES6_15HIP_vector_typeIjLj2EENS0_17counting_iteratorIjlEEPS9_SG_NS0_5tupleIJPjSI_NS0_16reverse_iteratorISI_EEEEENSH_IJSG_SG_SG_EEES9_SI_JZNS1_25segmented_radix_sort_implINS0_14default_configELb0EPKsPsPKlPlN2at6native12_GLOBAL__N_18offset_tEEE10hipError_tPvRmT1_PNSt15iterator_traitsIS12_E10value_typeET2_T3_PNS13_IS18_E10value_typeET4_jRbjT5_S1E_jjP12ihipStream_tbEUljE_ZNSN_ISO_Lb0ESQ_SR_ST_SU_SY_EESZ_S10_S11_S12_S16_S17_S18_S1B_S1C_jS1D_jS1E_S1E_jjS1G_bEUljE0_EEESZ_S10_S11_S18_S1C_S1E_T6_T7_T9_mT8_S1G_bDpT10_ENKUlT_T0_E_clISt17integral_constantIbLb1EES1U_EEDaS1P_S1Q_EUlS1P_E_NS1_11comp_targetILNS1_3genE3ELNS1_11target_archE908ELNS1_3gpuE7ELNS1_3repE0EEENS1_30default_config_static_selectorELNS0_4arch9wavefront6targetE1EEEvS12_: ; @_ZN7rocprim17ROCPRIM_400000_NS6detail17trampoline_kernelINS0_13select_configILj256ELj13ELNS0_17block_load_methodE3ELS4_3ELS4_3ELNS0_20block_scan_algorithmE0ELj4294967295EEENS1_25partition_config_selectorILNS1_17partition_subalgoE4EjNS0_10empty_typeEbEEZZNS1_14partition_implILS8_4ELb0ES6_15HIP_vector_typeIjLj2EENS0_17counting_iteratorIjlEEPS9_SG_NS0_5tupleIJPjSI_NS0_16reverse_iteratorISI_EEEEENSH_IJSG_SG_SG_EEES9_SI_JZNS1_25segmented_radix_sort_implINS0_14default_configELb0EPKsPsPKlPlN2at6native12_GLOBAL__N_18offset_tEEE10hipError_tPvRmT1_PNSt15iterator_traitsIS12_E10value_typeET2_T3_PNS13_IS18_E10value_typeET4_jRbjT5_S1E_jjP12ihipStream_tbEUljE_ZNSN_ISO_Lb0ESQ_SR_ST_SU_SY_EESZ_S10_S11_S12_S16_S17_S18_S1B_S1C_jS1D_jS1E_S1E_jjS1G_bEUljE0_EEESZ_S10_S11_S18_S1C_S1E_T6_T7_T9_mT8_S1G_bDpT10_ENKUlT_T0_E_clISt17integral_constantIbLb1EES1U_EEDaS1P_S1Q_EUlS1P_E_NS1_11comp_targetILNS1_3genE3ELNS1_11target_archE908ELNS1_3gpuE7ELNS1_3repE0EEENS1_30default_config_static_selectorELNS0_4arch9wavefront6targetE1EEEvS12_
; %bb.0:
	.section	.rodata,"a",@progbits
	.p2align	6, 0x0
	.amdhsa_kernel _ZN7rocprim17ROCPRIM_400000_NS6detail17trampoline_kernelINS0_13select_configILj256ELj13ELNS0_17block_load_methodE3ELS4_3ELS4_3ELNS0_20block_scan_algorithmE0ELj4294967295EEENS1_25partition_config_selectorILNS1_17partition_subalgoE4EjNS0_10empty_typeEbEEZZNS1_14partition_implILS8_4ELb0ES6_15HIP_vector_typeIjLj2EENS0_17counting_iteratorIjlEEPS9_SG_NS0_5tupleIJPjSI_NS0_16reverse_iteratorISI_EEEEENSH_IJSG_SG_SG_EEES9_SI_JZNS1_25segmented_radix_sort_implINS0_14default_configELb0EPKsPsPKlPlN2at6native12_GLOBAL__N_18offset_tEEE10hipError_tPvRmT1_PNSt15iterator_traitsIS12_E10value_typeET2_T3_PNS13_IS18_E10value_typeET4_jRbjT5_S1E_jjP12ihipStream_tbEUljE_ZNSN_ISO_Lb0ESQ_SR_ST_SU_SY_EESZ_S10_S11_S12_S16_S17_S18_S1B_S1C_jS1D_jS1E_S1E_jjS1G_bEUljE0_EEESZ_S10_S11_S18_S1C_S1E_T6_T7_T9_mT8_S1G_bDpT10_ENKUlT_T0_E_clISt17integral_constantIbLb1EES1U_EEDaS1P_S1Q_EUlS1P_E_NS1_11comp_targetILNS1_3genE3ELNS1_11target_archE908ELNS1_3gpuE7ELNS1_3repE0EEENS1_30default_config_static_selectorELNS0_4arch9wavefront6targetE1EEEvS12_
		.amdhsa_group_segment_fixed_size 0
		.amdhsa_private_segment_fixed_size 0
		.amdhsa_kernarg_size 184
		.amdhsa_user_sgpr_count 6
		.amdhsa_user_sgpr_private_segment_buffer 1
		.amdhsa_user_sgpr_dispatch_ptr 0
		.amdhsa_user_sgpr_queue_ptr 0
		.amdhsa_user_sgpr_kernarg_segment_ptr 1
		.amdhsa_user_sgpr_dispatch_id 0
		.amdhsa_user_sgpr_flat_scratch_init 0
		.amdhsa_user_sgpr_kernarg_preload_length 0
		.amdhsa_user_sgpr_kernarg_preload_offset 0
		.amdhsa_user_sgpr_private_segment_size 0
		.amdhsa_uses_dynamic_stack 0
		.amdhsa_system_sgpr_private_segment_wavefront_offset 0
		.amdhsa_system_sgpr_workgroup_id_x 1
		.amdhsa_system_sgpr_workgroup_id_y 0
		.amdhsa_system_sgpr_workgroup_id_z 0
		.amdhsa_system_sgpr_workgroup_info 0
		.amdhsa_system_vgpr_workitem_id 0
		.amdhsa_next_free_vgpr 1
		.amdhsa_next_free_sgpr 0
		.amdhsa_accum_offset 4
		.amdhsa_reserve_vcc 0
		.amdhsa_reserve_flat_scratch 0
		.amdhsa_float_round_mode_32 0
		.amdhsa_float_round_mode_16_64 0
		.amdhsa_float_denorm_mode_32 3
		.amdhsa_float_denorm_mode_16_64 3
		.amdhsa_dx10_clamp 1
		.amdhsa_ieee_mode 1
		.amdhsa_fp16_overflow 0
		.amdhsa_tg_split 0
		.amdhsa_exception_fp_ieee_invalid_op 0
		.amdhsa_exception_fp_denorm_src 0
		.amdhsa_exception_fp_ieee_div_zero 0
		.amdhsa_exception_fp_ieee_overflow 0
		.amdhsa_exception_fp_ieee_underflow 0
		.amdhsa_exception_fp_ieee_inexact 0
		.amdhsa_exception_int_div_zero 0
	.end_amdhsa_kernel
	.section	.text._ZN7rocprim17ROCPRIM_400000_NS6detail17trampoline_kernelINS0_13select_configILj256ELj13ELNS0_17block_load_methodE3ELS4_3ELS4_3ELNS0_20block_scan_algorithmE0ELj4294967295EEENS1_25partition_config_selectorILNS1_17partition_subalgoE4EjNS0_10empty_typeEbEEZZNS1_14partition_implILS8_4ELb0ES6_15HIP_vector_typeIjLj2EENS0_17counting_iteratorIjlEEPS9_SG_NS0_5tupleIJPjSI_NS0_16reverse_iteratorISI_EEEEENSH_IJSG_SG_SG_EEES9_SI_JZNS1_25segmented_radix_sort_implINS0_14default_configELb0EPKsPsPKlPlN2at6native12_GLOBAL__N_18offset_tEEE10hipError_tPvRmT1_PNSt15iterator_traitsIS12_E10value_typeET2_T3_PNS13_IS18_E10value_typeET4_jRbjT5_S1E_jjP12ihipStream_tbEUljE_ZNSN_ISO_Lb0ESQ_SR_ST_SU_SY_EESZ_S10_S11_S12_S16_S17_S18_S1B_S1C_jS1D_jS1E_S1E_jjS1G_bEUljE0_EEESZ_S10_S11_S18_S1C_S1E_T6_T7_T9_mT8_S1G_bDpT10_ENKUlT_T0_E_clISt17integral_constantIbLb1EES1U_EEDaS1P_S1Q_EUlS1P_E_NS1_11comp_targetILNS1_3genE3ELNS1_11target_archE908ELNS1_3gpuE7ELNS1_3repE0EEENS1_30default_config_static_selectorELNS0_4arch9wavefront6targetE1EEEvS12_,"axG",@progbits,_ZN7rocprim17ROCPRIM_400000_NS6detail17trampoline_kernelINS0_13select_configILj256ELj13ELNS0_17block_load_methodE3ELS4_3ELS4_3ELNS0_20block_scan_algorithmE0ELj4294967295EEENS1_25partition_config_selectorILNS1_17partition_subalgoE4EjNS0_10empty_typeEbEEZZNS1_14partition_implILS8_4ELb0ES6_15HIP_vector_typeIjLj2EENS0_17counting_iteratorIjlEEPS9_SG_NS0_5tupleIJPjSI_NS0_16reverse_iteratorISI_EEEEENSH_IJSG_SG_SG_EEES9_SI_JZNS1_25segmented_radix_sort_implINS0_14default_configELb0EPKsPsPKlPlN2at6native12_GLOBAL__N_18offset_tEEE10hipError_tPvRmT1_PNSt15iterator_traitsIS12_E10value_typeET2_T3_PNS13_IS18_E10value_typeET4_jRbjT5_S1E_jjP12ihipStream_tbEUljE_ZNSN_ISO_Lb0ESQ_SR_ST_SU_SY_EESZ_S10_S11_S12_S16_S17_S18_S1B_S1C_jS1D_jS1E_S1E_jjS1G_bEUljE0_EEESZ_S10_S11_S18_S1C_S1E_T6_T7_T9_mT8_S1G_bDpT10_ENKUlT_T0_E_clISt17integral_constantIbLb1EES1U_EEDaS1P_S1Q_EUlS1P_E_NS1_11comp_targetILNS1_3genE3ELNS1_11target_archE908ELNS1_3gpuE7ELNS1_3repE0EEENS1_30default_config_static_selectorELNS0_4arch9wavefront6targetE1EEEvS12_,comdat
.Lfunc_end960:
	.size	_ZN7rocprim17ROCPRIM_400000_NS6detail17trampoline_kernelINS0_13select_configILj256ELj13ELNS0_17block_load_methodE3ELS4_3ELS4_3ELNS0_20block_scan_algorithmE0ELj4294967295EEENS1_25partition_config_selectorILNS1_17partition_subalgoE4EjNS0_10empty_typeEbEEZZNS1_14partition_implILS8_4ELb0ES6_15HIP_vector_typeIjLj2EENS0_17counting_iteratorIjlEEPS9_SG_NS0_5tupleIJPjSI_NS0_16reverse_iteratorISI_EEEEENSH_IJSG_SG_SG_EEES9_SI_JZNS1_25segmented_radix_sort_implINS0_14default_configELb0EPKsPsPKlPlN2at6native12_GLOBAL__N_18offset_tEEE10hipError_tPvRmT1_PNSt15iterator_traitsIS12_E10value_typeET2_T3_PNS13_IS18_E10value_typeET4_jRbjT5_S1E_jjP12ihipStream_tbEUljE_ZNSN_ISO_Lb0ESQ_SR_ST_SU_SY_EESZ_S10_S11_S12_S16_S17_S18_S1B_S1C_jS1D_jS1E_S1E_jjS1G_bEUljE0_EEESZ_S10_S11_S18_S1C_S1E_T6_T7_T9_mT8_S1G_bDpT10_ENKUlT_T0_E_clISt17integral_constantIbLb1EES1U_EEDaS1P_S1Q_EUlS1P_E_NS1_11comp_targetILNS1_3genE3ELNS1_11target_archE908ELNS1_3gpuE7ELNS1_3repE0EEENS1_30default_config_static_selectorELNS0_4arch9wavefront6targetE1EEEvS12_, .Lfunc_end960-_ZN7rocprim17ROCPRIM_400000_NS6detail17trampoline_kernelINS0_13select_configILj256ELj13ELNS0_17block_load_methodE3ELS4_3ELS4_3ELNS0_20block_scan_algorithmE0ELj4294967295EEENS1_25partition_config_selectorILNS1_17partition_subalgoE4EjNS0_10empty_typeEbEEZZNS1_14partition_implILS8_4ELb0ES6_15HIP_vector_typeIjLj2EENS0_17counting_iteratorIjlEEPS9_SG_NS0_5tupleIJPjSI_NS0_16reverse_iteratorISI_EEEEENSH_IJSG_SG_SG_EEES9_SI_JZNS1_25segmented_radix_sort_implINS0_14default_configELb0EPKsPsPKlPlN2at6native12_GLOBAL__N_18offset_tEEE10hipError_tPvRmT1_PNSt15iterator_traitsIS12_E10value_typeET2_T3_PNS13_IS18_E10value_typeET4_jRbjT5_S1E_jjP12ihipStream_tbEUljE_ZNSN_ISO_Lb0ESQ_SR_ST_SU_SY_EESZ_S10_S11_S12_S16_S17_S18_S1B_S1C_jS1D_jS1E_S1E_jjS1G_bEUljE0_EEESZ_S10_S11_S18_S1C_S1E_T6_T7_T9_mT8_S1G_bDpT10_ENKUlT_T0_E_clISt17integral_constantIbLb1EES1U_EEDaS1P_S1Q_EUlS1P_E_NS1_11comp_targetILNS1_3genE3ELNS1_11target_archE908ELNS1_3gpuE7ELNS1_3repE0EEENS1_30default_config_static_selectorELNS0_4arch9wavefront6targetE1EEEvS12_
                                        ; -- End function
	.section	.AMDGPU.csdata,"",@progbits
; Kernel info:
; codeLenInByte = 0
; NumSgprs: 4
; NumVgprs: 0
; NumAgprs: 0
; TotalNumVgprs: 0
; ScratchSize: 0
; MemoryBound: 0
; FloatMode: 240
; IeeeMode: 1
; LDSByteSize: 0 bytes/workgroup (compile time only)
; SGPRBlocks: 0
; VGPRBlocks: 0
; NumSGPRsForWavesPerEU: 4
; NumVGPRsForWavesPerEU: 1
; AccumOffset: 4
; Occupancy: 8
; WaveLimiterHint : 0
; COMPUTE_PGM_RSRC2:SCRATCH_EN: 0
; COMPUTE_PGM_RSRC2:USER_SGPR: 6
; COMPUTE_PGM_RSRC2:TRAP_HANDLER: 0
; COMPUTE_PGM_RSRC2:TGID_X_EN: 1
; COMPUTE_PGM_RSRC2:TGID_Y_EN: 0
; COMPUTE_PGM_RSRC2:TGID_Z_EN: 0
; COMPUTE_PGM_RSRC2:TIDIG_COMP_CNT: 0
; COMPUTE_PGM_RSRC3_GFX90A:ACCUM_OFFSET: 0
; COMPUTE_PGM_RSRC3_GFX90A:TG_SPLIT: 0
	.section	.text._ZN7rocprim17ROCPRIM_400000_NS6detail17trampoline_kernelINS0_13select_configILj256ELj13ELNS0_17block_load_methodE3ELS4_3ELS4_3ELNS0_20block_scan_algorithmE0ELj4294967295EEENS1_25partition_config_selectorILNS1_17partition_subalgoE4EjNS0_10empty_typeEbEEZZNS1_14partition_implILS8_4ELb0ES6_15HIP_vector_typeIjLj2EENS0_17counting_iteratorIjlEEPS9_SG_NS0_5tupleIJPjSI_NS0_16reverse_iteratorISI_EEEEENSH_IJSG_SG_SG_EEES9_SI_JZNS1_25segmented_radix_sort_implINS0_14default_configELb0EPKsPsPKlPlN2at6native12_GLOBAL__N_18offset_tEEE10hipError_tPvRmT1_PNSt15iterator_traitsIS12_E10value_typeET2_T3_PNS13_IS18_E10value_typeET4_jRbjT5_S1E_jjP12ihipStream_tbEUljE_ZNSN_ISO_Lb0ESQ_SR_ST_SU_SY_EESZ_S10_S11_S12_S16_S17_S18_S1B_S1C_jS1D_jS1E_S1E_jjS1G_bEUljE0_EEESZ_S10_S11_S18_S1C_S1E_T6_T7_T9_mT8_S1G_bDpT10_ENKUlT_T0_E_clISt17integral_constantIbLb1EES1U_EEDaS1P_S1Q_EUlS1P_E_NS1_11comp_targetILNS1_3genE2ELNS1_11target_archE906ELNS1_3gpuE6ELNS1_3repE0EEENS1_30default_config_static_selectorELNS0_4arch9wavefront6targetE1EEEvS12_,"axG",@progbits,_ZN7rocprim17ROCPRIM_400000_NS6detail17trampoline_kernelINS0_13select_configILj256ELj13ELNS0_17block_load_methodE3ELS4_3ELS4_3ELNS0_20block_scan_algorithmE0ELj4294967295EEENS1_25partition_config_selectorILNS1_17partition_subalgoE4EjNS0_10empty_typeEbEEZZNS1_14partition_implILS8_4ELb0ES6_15HIP_vector_typeIjLj2EENS0_17counting_iteratorIjlEEPS9_SG_NS0_5tupleIJPjSI_NS0_16reverse_iteratorISI_EEEEENSH_IJSG_SG_SG_EEES9_SI_JZNS1_25segmented_radix_sort_implINS0_14default_configELb0EPKsPsPKlPlN2at6native12_GLOBAL__N_18offset_tEEE10hipError_tPvRmT1_PNSt15iterator_traitsIS12_E10value_typeET2_T3_PNS13_IS18_E10value_typeET4_jRbjT5_S1E_jjP12ihipStream_tbEUljE_ZNSN_ISO_Lb0ESQ_SR_ST_SU_SY_EESZ_S10_S11_S12_S16_S17_S18_S1B_S1C_jS1D_jS1E_S1E_jjS1G_bEUljE0_EEESZ_S10_S11_S18_S1C_S1E_T6_T7_T9_mT8_S1G_bDpT10_ENKUlT_T0_E_clISt17integral_constantIbLb1EES1U_EEDaS1P_S1Q_EUlS1P_E_NS1_11comp_targetILNS1_3genE2ELNS1_11target_archE906ELNS1_3gpuE6ELNS1_3repE0EEENS1_30default_config_static_selectorELNS0_4arch9wavefront6targetE1EEEvS12_,comdat
	.globl	_ZN7rocprim17ROCPRIM_400000_NS6detail17trampoline_kernelINS0_13select_configILj256ELj13ELNS0_17block_load_methodE3ELS4_3ELS4_3ELNS0_20block_scan_algorithmE0ELj4294967295EEENS1_25partition_config_selectorILNS1_17partition_subalgoE4EjNS0_10empty_typeEbEEZZNS1_14partition_implILS8_4ELb0ES6_15HIP_vector_typeIjLj2EENS0_17counting_iteratorIjlEEPS9_SG_NS0_5tupleIJPjSI_NS0_16reverse_iteratorISI_EEEEENSH_IJSG_SG_SG_EEES9_SI_JZNS1_25segmented_radix_sort_implINS0_14default_configELb0EPKsPsPKlPlN2at6native12_GLOBAL__N_18offset_tEEE10hipError_tPvRmT1_PNSt15iterator_traitsIS12_E10value_typeET2_T3_PNS13_IS18_E10value_typeET4_jRbjT5_S1E_jjP12ihipStream_tbEUljE_ZNSN_ISO_Lb0ESQ_SR_ST_SU_SY_EESZ_S10_S11_S12_S16_S17_S18_S1B_S1C_jS1D_jS1E_S1E_jjS1G_bEUljE0_EEESZ_S10_S11_S18_S1C_S1E_T6_T7_T9_mT8_S1G_bDpT10_ENKUlT_T0_E_clISt17integral_constantIbLb1EES1U_EEDaS1P_S1Q_EUlS1P_E_NS1_11comp_targetILNS1_3genE2ELNS1_11target_archE906ELNS1_3gpuE6ELNS1_3repE0EEENS1_30default_config_static_selectorELNS0_4arch9wavefront6targetE1EEEvS12_ ; -- Begin function _ZN7rocprim17ROCPRIM_400000_NS6detail17trampoline_kernelINS0_13select_configILj256ELj13ELNS0_17block_load_methodE3ELS4_3ELS4_3ELNS0_20block_scan_algorithmE0ELj4294967295EEENS1_25partition_config_selectorILNS1_17partition_subalgoE4EjNS0_10empty_typeEbEEZZNS1_14partition_implILS8_4ELb0ES6_15HIP_vector_typeIjLj2EENS0_17counting_iteratorIjlEEPS9_SG_NS0_5tupleIJPjSI_NS0_16reverse_iteratorISI_EEEEENSH_IJSG_SG_SG_EEES9_SI_JZNS1_25segmented_radix_sort_implINS0_14default_configELb0EPKsPsPKlPlN2at6native12_GLOBAL__N_18offset_tEEE10hipError_tPvRmT1_PNSt15iterator_traitsIS12_E10value_typeET2_T3_PNS13_IS18_E10value_typeET4_jRbjT5_S1E_jjP12ihipStream_tbEUljE_ZNSN_ISO_Lb0ESQ_SR_ST_SU_SY_EESZ_S10_S11_S12_S16_S17_S18_S1B_S1C_jS1D_jS1E_S1E_jjS1G_bEUljE0_EEESZ_S10_S11_S18_S1C_S1E_T6_T7_T9_mT8_S1G_bDpT10_ENKUlT_T0_E_clISt17integral_constantIbLb1EES1U_EEDaS1P_S1Q_EUlS1P_E_NS1_11comp_targetILNS1_3genE2ELNS1_11target_archE906ELNS1_3gpuE6ELNS1_3repE0EEENS1_30default_config_static_selectorELNS0_4arch9wavefront6targetE1EEEvS12_
	.p2align	8
	.type	_ZN7rocprim17ROCPRIM_400000_NS6detail17trampoline_kernelINS0_13select_configILj256ELj13ELNS0_17block_load_methodE3ELS4_3ELS4_3ELNS0_20block_scan_algorithmE0ELj4294967295EEENS1_25partition_config_selectorILNS1_17partition_subalgoE4EjNS0_10empty_typeEbEEZZNS1_14partition_implILS8_4ELb0ES6_15HIP_vector_typeIjLj2EENS0_17counting_iteratorIjlEEPS9_SG_NS0_5tupleIJPjSI_NS0_16reverse_iteratorISI_EEEEENSH_IJSG_SG_SG_EEES9_SI_JZNS1_25segmented_radix_sort_implINS0_14default_configELb0EPKsPsPKlPlN2at6native12_GLOBAL__N_18offset_tEEE10hipError_tPvRmT1_PNSt15iterator_traitsIS12_E10value_typeET2_T3_PNS13_IS18_E10value_typeET4_jRbjT5_S1E_jjP12ihipStream_tbEUljE_ZNSN_ISO_Lb0ESQ_SR_ST_SU_SY_EESZ_S10_S11_S12_S16_S17_S18_S1B_S1C_jS1D_jS1E_S1E_jjS1G_bEUljE0_EEESZ_S10_S11_S18_S1C_S1E_T6_T7_T9_mT8_S1G_bDpT10_ENKUlT_T0_E_clISt17integral_constantIbLb1EES1U_EEDaS1P_S1Q_EUlS1P_E_NS1_11comp_targetILNS1_3genE2ELNS1_11target_archE906ELNS1_3gpuE6ELNS1_3repE0EEENS1_30default_config_static_selectorELNS0_4arch9wavefront6targetE1EEEvS12_,@function
_ZN7rocprim17ROCPRIM_400000_NS6detail17trampoline_kernelINS0_13select_configILj256ELj13ELNS0_17block_load_methodE3ELS4_3ELS4_3ELNS0_20block_scan_algorithmE0ELj4294967295EEENS1_25partition_config_selectorILNS1_17partition_subalgoE4EjNS0_10empty_typeEbEEZZNS1_14partition_implILS8_4ELb0ES6_15HIP_vector_typeIjLj2EENS0_17counting_iteratorIjlEEPS9_SG_NS0_5tupleIJPjSI_NS0_16reverse_iteratorISI_EEEEENSH_IJSG_SG_SG_EEES9_SI_JZNS1_25segmented_radix_sort_implINS0_14default_configELb0EPKsPsPKlPlN2at6native12_GLOBAL__N_18offset_tEEE10hipError_tPvRmT1_PNSt15iterator_traitsIS12_E10value_typeET2_T3_PNS13_IS18_E10value_typeET4_jRbjT5_S1E_jjP12ihipStream_tbEUljE_ZNSN_ISO_Lb0ESQ_SR_ST_SU_SY_EESZ_S10_S11_S12_S16_S17_S18_S1B_S1C_jS1D_jS1E_S1E_jjS1G_bEUljE0_EEESZ_S10_S11_S18_S1C_S1E_T6_T7_T9_mT8_S1G_bDpT10_ENKUlT_T0_E_clISt17integral_constantIbLb1EES1U_EEDaS1P_S1Q_EUlS1P_E_NS1_11comp_targetILNS1_3genE2ELNS1_11target_archE906ELNS1_3gpuE6ELNS1_3repE0EEENS1_30default_config_static_selectorELNS0_4arch9wavefront6targetE1EEEvS12_: ; @_ZN7rocprim17ROCPRIM_400000_NS6detail17trampoline_kernelINS0_13select_configILj256ELj13ELNS0_17block_load_methodE3ELS4_3ELS4_3ELNS0_20block_scan_algorithmE0ELj4294967295EEENS1_25partition_config_selectorILNS1_17partition_subalgoE4EjNS0_10empty_typeEbEEZZNS1_14partition_implILS8_4ELb0ES6_15HIP_vector_typeIjLj2EENS0_17counting_iteratorIjlEEPS9_SG_NS0_5tupleIJPjSI_NS0_16reverse_iteratorISI_EEEEENSH_IJSG_SG_SG_EEES9_SI_JZNS1_25segmented_radix_sort_implINS0_14default_configELb0EPKsPsPKlPlN2at6native12_GLOBAL__N_18offset_tEEE10hipError_tPvRmT1_PNSt15iterator_traitsIS12_E10value_typeET2_T3_PNS13_IS18_E10value_typeET4_jRbjT5_S1E_jjP12ihipStream_tbEUljE_ZNSN_ISO_Lb0ESQ_SR_ST_SU_SY_EESZ_S10_S11_S12_S16_S17_S18_S1B_S1C_jS1D_jS1E_S1E_jjS1G_bEUljE0_EEESZ_S10_S11_S18_S1C_S1E_T6_T7_T9_mT8_S1G_bDpT10_ENKUlT_T0_E_clISt17integral_constantIbLb1EES1U_EEDaS1P_S1Q_EUlS1P_E_NS1_11comp_targetILNS1_3genE2ELNS1_11target_archE906ELNS1_3gpuE6ELNS1_3repE0EEENS1_30default_config_static_selectorELNS0_4arch9wavefront6targetE1EEEvS12_
; %bb.0:
	.section	.rodata,"a",@progbits
	.p2align	6, 0x0
	.amdhsa_kernel _ZN7rocprim17ROCPRIM_400000_NS6detail17trampoline_kernelINS0_13select_configILj256ELj13ELNS0_17block_load_methodE3ELS4_3ELS4_3ELNS0_20block_scan_algorithmE0ELj4294967295EEENS1_25partition_config_selectorILNS1_17partition_subalgoE4EjNS0_10empty_typeEbEEZZNS1_14partition_implILS8_4ELb0ES6_15HIP_vector_typeIjLj2EENS0_17counting_iteratorIjlEEPS9_SG_NS0_5tupleIJPjSI_NS0_16reverse_iteratorISI_EEEEENSH_IJSG_SG_SG_EEES9_SI_JZNS1_25segmented_radix_sort_implINS0_14default_configELb0EPKsPsPKlPlN2at6native12_GLOBAL__N_18offset_tEEE10hipError_tPvRmT1_PNSt15iterator_traitsIS12_E10value_typeET2_T3_PNS13_IS18_E10value_typeET4_jRbjT5_S1E_jjP12ihipStream_tbEUljE_ZNSN_ISO_Lb0ESQ_SR_ST_SU_SY_EESZ_S10_S11_S12_S16_S17_S18_S1B_S1C_jS1D_jS1E_S1E_jjS1G_bEUljE0_EEESZ_S10_S11_S18_S1C_S1E_T6_T7_T9_mT8_S1G_bDpT10_ENKUlT_T0_E_clISt17integral_constantIbLb1EES1U_EEDaS1P_S1Q_EUlS1P_E_NS1_11comp_targetILNS1_3genE2ELNS1_11target_archE906ELNS1_3gpuE6ELNS1_3repE0EEENS1_30default_config_static_selectorELNS0_4arch9wavefront6targetE1EEEvS12_
		.amdhsa_group_segment_fixed_size 0
		.amdhsa_private_segment_fixed_size 0
		.amdhsa_kernarg_size 184
		.amdhsa_user_sgpr_count 6
		.amdhsa_user_sgpr_private_segment_buffer 1
		.amdhsa_user_sgpr_dispatch_ptr 0
		.amdhsa_user_sgpr_queue_ptr 0
		.amdhsa_user_sgpr_kernarg_segment_ptr 1
		.amdhsa_user_sgpr_dispatch_id 0
		.amdhsa_user_sgpr_flat_scratch_init 0
		.amdhsa_user_sgpr_kernarg_preload_length 0
		.amdhsa_user_sgpr_kernarg_preload_offset 0
		.amdhsa_user_sgpr_private_segment_size 0
		.amdhsa_uses_dynamic_stack 0
		.amdhsa_system_sgpr_private_segment_wavefront_offset 0
		.amdhsa_system_sgpr_workgroup_id_x 1
		.amdhsa_system_sgpr_workgroup_id_y 0
		.amdhsa_system_sgpr_workgroup_id_z 0
		.amdhsa_system_sgpr_workgroup_info 0
		.amdhsa_system_vgpr_workitem_id 0
		.amdhsa_next_free_vgpr 1
		.amdhsa_next_free_sgpr 0
		.amdhsa_accum_offset 4
		.amdhsa_reserve_vcc 0
		.amdhsa_reserve_flat_scratch 0
		.amdhsa_float_round_mode_32 0
		.amdhsa_float_round_mode_16_64 0
		.amdhsa_float_denorm_mode_32 3
		.amdhsa_float_denorm_mode_16_64 3
		.amdhsa_dx10_clamp 1
		.amdhsa_ieee_mode 1
		.amdhsa_fp16_overflow 0
		.amdhsa_tg_split 0
		.amdhsa_exception_fp_ieee_invalid_op 0
		.amdhsa_exception_fp_denorm_src 0
		.amdhsa_exception_fp_ieee_div_zero 0
		.amdhsa_exception_fp_ieee_overflow 0
		.amdhsa_exception_fp_ieee_underflow 0
		.amdhsa_exception_fp_ieee_inexact 0
		.amdhsa_exception_int_div_zero 0
	.end_amdhsa_kernel
	.section	.text._ZN7rocprim17ROCPRIM_400000_NS6detail17trampoline_kernelINS0_13select_configILj256ELj13ELNS0_17block_load_methodE3ELS4_3ELS4_3ELNS0_20block_scan_algorithmE0ELj4294967295EEENS1_25partition_config_selectorILNS1_17partition_subalgoE4EjNS0_10empty_typeEbEEZZNS1_14partition_implILS8_4ELb0ES6_15HIP_vector_typeIjLj2EENS0_17counting_iteratorIjlEEPS9_SG_NS0_5tupleIJPjSI_NS0_16reverse_iteratorISI_EEEEENSH_IJSG_SG_SG_EEES9_SI_JZNS1_25segmented_radix_sort_implINS0_14default_configELb0EPKsPsPKlPlN2at6native12_GLOBAL__N_18offset_tEEE10hipError_tPvRmT1_PNSt15iterator_traitsIS12_E10value_typeET2_T3_PNS13_IS18_E10value_typeET4_jRbjT5_S1E_jjP12ihipStream_tbEUljE_ZNSN_ISO_Lb0ESQ_SR_ST_SU_SY_EESZ_S10_S11_S12_S16_S17_S18_S1B_S1C_jS1D_jS1E_S1E_jjS1G_bEUljE0_EEESZ_S10_S11_S18_S1C_S1E_T6_T7_T9_mT8_S1G_bDpT10_ENKUlT_T0_E_clISt17integral_constantIbLb1EES1U_EEDaS1P_S1Q_EUlS1P_E_NS1_11comp_targetILNS1_3genE2ELNS1_11target_archE906ELNS1_3gpuE6ELNS1_3repE0EEENS1_30default_config_static_selectorELNS0_4arch9wavefront6targetE1EEEvS12_,"axG",@progbits,_ZN7rocprim17ROCPRIM_400000_NS6detail17trampoline_kernelINS0_13select_configILj256ELj13ELNS0_17block_load_methodE3ELS4_3ELS4_3ELNS0_20block_scan_algorithmE0ELj4294967295EEENS1_25partition_config_selectorILNS1_17partition_subalgoE4EjNS0_10empty_typeEbEEZZNS1_14partition_implILS8_4ELb0ES6_15HIP_vector_typeIjLj2EENS0_17counting_iteratorIjlEEPS9_SG_NS0_5tupleIJPjSI_NS0_16reverse_iteratorISI_EEEEENSH_IJSG_SG_SG_EEES9_SI_JZNS1_25segmented_radix_sort_implINS0_14default_configELb0EPKsPsPKlPlN2at6native12_GLOBAL__N_18offset_tEEE10hipError_tPvRmT1_PNSt15iterator_traitsIS12_E10value_typeET2_T3_PNS13_IS18_E10value_typeET4_jRbjT5_S1E_jjP12ihipStream_tbEUljE_ZNSN_ISO_Lb0ESQ_SR_ST_SU_SY_EESZ_S10_S11_S12_S16_S17_S18_S1B_S1C_jS1D_jS1E_S1E_jjS1G_bEUljE0_EEESZ_S10_S11_S18_S1C_S1E_T6_T7_T9_mT8_S1G_bDpT10_ENKUlT_T0_E_clISt17integral_constantIbLb1EES1U_EEDaS1P_S1Q_EUlS1P_E_NS1_11comp_targetILNS1_3genE2ELNS1_11target_archE906ELNS1_3gpuE6ELNS1_3repE0EEENS1_30default_config_static_selectorELNS0_4arch9wavefront6targetE1EEEvS12_,comdat
.Lfunc_end961:
	.size	_ZN7rocprim17ROCPRIM_400000_NS6detail17trampoline_kernelINS0_13select_configILj256ELj13ELNS0_17block_load_methodE3ELS4_3ELS4_3ELNS0_20block_scan_algorithmE0ELj4294967295EEENS1_25partition_config_selectorILNS1_17partition_subalgoE4EjNS0_10empty_typeEbEEZZNS1_14partition_implILS8_4ELb0ES6_15HIP_vector_typeIjLj2EENS0_17counting_iteratorIjlEEPS9_SG_NS0_5tupleIJPjSI_NS0_16reverse_iteratorISI_EEEEENSH_IJSG_SG_SG_EEES9_SI_JZNS1_25segmented_radix_sort_implINS0_14default_configELb0EPKsPsPKlPlN2at6native12_GLOBAL__N_18offset_tEEE10hipError_tPvRmT1_PNSt15iterator_traitsIS12_E10value_typeET2_T3_PNS13_IS18_E10value_typeET4_jRbjT5_S1E_jjP12ihipStream_tbEUljE_ZNSN_ISO_Lb0ESQ_SR_ST_SU_SY_EESZ_S10_S11_S12_S16_S17_S18_S1B_S1C_jS1D_jS1E_S1E_jjS1G_bEUljE0_EEESZ_S10_S11_S18_S1C_S1E_T6_T7_T9_mT8_S1G_bDpT10_ENKUlT_T0_E_clISt17integral_constantIbLb1EES1U_EEDaS1P_S1Q_EUlS1P_E_NS1_11comp_targetILNS1_3genE2ELNS1_11target_archE906ELNS1_3gpuE6ELNS1_3repE0EEENS1_30default_config_static_selectorELNS0_4arch9wavefront6targetE1EEEvS12_, .Lfunc_end961-_ZN7rocprim17ROCPRIM_400000_NS6detail17trampoline_kernelINS0_13select_configILj256ELj13ELNS0_17block_load_methodE3ELS4_3ELS4_3ELNS0_20block_scan_algorithmE0ELj4294967295EEENS1_25partition_config_selectorILNS1_17partition_subalgoE4EjNS0_10empty_typeEbEEZZNS1_14partition_implILS8_4ELb0ES6_15HIP_vector_typeIjLj2EENS0_17counting_iteratorIjlEEPS9_SG_NS0_5tupleIJPjSI_NS0_16reverse_iteratorISI_EEEEENSH_IJSG_SG_SG_EEES9_SI_JZNS1_25segmented_radix_sort_implINS0_14default_configELb0EPKsPsPKlPlN2at6native12_GLOBAL__N_18offset_tEEE10hipError_tPvRmT1_PNSt15iterator_traitsIS12_E10value_typeET2_T3_PNS13_IS18_E10value_typeET4_jRbjT5_S1E_jjP12ihipStream_tbEUljE_ZNSN_ISO_Lb0ESQ_SR_ST_SU_SY_EESZ_S10_S11_S12_S16_S17_S18_S1B_S1C_jS1D_jS1E_S1E_jjS1G_bEUljE0_EEESZ_S10_S11_S18_S1C_S1E_T6_T7_T9_mT8_S1G_bDpT10_ENKUlT_T0_E_clISt17integral_constantIbLb1EES1U_EEDaS1P_S1Q_EUlS1P_E_NS1_11comp_targetILNS1_3genE2ELNS1_11target_archE906ELNS1_3gpuE6ELNS1_3repE0EEENS1_30default_config_static_selectorELNS0_4arch9wavefront6targetE1EEEvS12_
                                        ; -- End function
	.section	.AMDGPU.csdata,"",@progbits
; Kernel info:
; codeLenInByte = 0
; NumSgprs: 4
; NumVgprs: 0
; NumAgprs: 0
; TotalNumVgprs: 0
; ScratchSize: 0
; MemoryBound: 0
; FloatMode: 240
; IeeeMode: 1
; LDSByteSize: 0 bytes/workgroup (compile time only)
; SGPRBlocks: 0
; VGPRBlocks: 0
; NumSGPRsForWavesPerEU: 4
; NumVGPRsForWavesPerEU: 1
; AccumOffset: 4
; Occupancy: 8
; WaveLimiterHint : 0
; COMPUTE_PGM_RSRC2:SCRATCH_EN: 0
; COMPUTE_PGM_RSRC2:USER_SGPR: 6
; COMPUTE_PGM_RSRC2:TRAP_HANDLER: 0
; COMPUTE_PGM_RSRC2:TGID_X_EN: 1
; COMPUTE_PGM_RSRC2:TGID_Y_EN: 0
; COMPUTE_PGM_RSRC2:TGID_Z_EN: 0
; COMPUTE_PGM_RSRC2:TIDIG_COMP_CNT: 0
; COMPUTE_PGM_RSRC3_GFX90A:ACCUM_OFFSET: 0
; COMPUTE_PGM_RSRC3_GFX90A:TG_SPLIT: 0
	.section	.text._ZN7rocprim17ROCPRIM_400000_NS6detail17trampoline_kernelINS0_13select_configILj256ELj13ELNS0_17block_load_methodE3ELS4_3ELS4_3ELNS0_20block_scan_algorithmE0ELj4294967295EEENS1_25partition_config_selectorILNS1_17partition_subalgoE4EjNS0_10empty_typeEbEEZZNS1_14partition_implILS8_4ELb0ES6_15HIP_vector_typeIjLj2EENS0_17counting_iteratorIjlEEPS9_SG_NS0_5tupleIJPjSI_NS0_16reverse_iteratorISI_EEEEENSH_IJSG_SG_SG_EEES9_SI_JZNS1_25segmented_radix_sort_implINS0_14default_configELb0EPKsPsPKlPlN2at6native12_GLOBAL__N_18offset_tEEE10hipError_tPvRmT1_PNSt15iterator_traitsIS12_E10value_typeET2_T3_PNS13_IS18_E10value_typeET4_jRbjT5_S1E_jjP12ihipStream_tbEUljE_ZNSN_ISO_Lb0ESQ_SR_ST_SU_SY_EESZ_S10_S11_S12_S16_S17_S18_S1B_S1C_jS1D_jS1E_S1E_jjS1G_bEUljE0_EEESZ_S10_S11_S18_S1C_S1E_T6_T7_T9_mT8_S1G_bDpT10_ENKUlT_T0_E_clISt17integral_constantIbLb1EES1U_EEDaS1P_S1Q_EUlS1P_E_NS1_11comp_targetILNS1_3genE10ELNS1_11target_archE1200ELNS1_3gpuE4ELNS1_3repE0EEENS1_30default_config_static_selectorELNS0_4arch9wavefront6targetE1EEEvS12_,"axG",@progbits,_ZN7rocprim17ROCPRIM_400000_NS6detail17trampoline_kernelINS0_13select_configILj256ELj13ELNS0_17block_load_methodE3ELS4_3ELS4_3ELNS0_20block_scan_algorithmE0ELj4294967295EEENS1_25partition_config_selectorILNS1_17partition_subalgoE4EjNS0_10empty_typeEbEEZZNS1_14partition_implILS8_4ELb0ES6_15HIP_vector_typeIjLj2EENS0_17counting_iteratorIjlEEPS9_SG_NS0_5tupleIJPjSI_NS0_16reverse_iteratorISI_EEEEENSH_IJSG_SG_SG_EEES9_SI_JZNS1_25segmented_radix_sort_implINS0_14default_configELb0EPKsPsPKlPlN2at6native12_GLOBAL__N_18offset_tEEE10hipError_tPvRmT1_PNSt15iterator_traitsIS12_E10value_typeET2_T3_PNS13_IS18_E10value_typeET4_jRbjT5_S1E_jjP12ihipStream_tbEUljE_ZNSN_ISO_Lb0ESQ_SR_ST_SU_SY_EESZ_S10_S11_S12_S16_S17_S18_S1B_S1C_jS1D_jS1E_S1E_jjS1G_bEUljE0_EEESZ_S10_S11_S18_S1C_S1E_T6_T7_T9_mT8_S1G_bDpT10_ENKUlT_T0_E_clISt17integral_constantIbLb1EES1U_EEDaS1P_S1Q_EUlS1P_E_NS1_11comp_targetILNS1_3genE10ELNS1_11target_archE1200ELNS1_3gpuE4ELNS1_3repE0EEENS1_30default_config_static_selectorELNS0_4arch9wavefront6targetE1EEEvS12_,comdat
	.globl	_ZN7rocprim17ROCPRIM_400000_NS6detail17trampoline_kernelINS0_13select_configILj256ELj13ELNS0_17block_load_methodE3ELS4_3ELS4_3ELNS0_20block_scan_algorithmE0ELj4294967295EEENS1_25partition_config_selectorILNS1_17partition_subalgoE4EjNS0_10empty_typeEbEEZZNS1_14partition_implILS8_4ELb0ES6_15HIP_vector_typeIjLj2EENS0_17counting_iteratorIjlEEPS9_SG_NS0_5tupleIJPjSI_NS0_16reverse_iteratorISI_EEEEENSH_IJSG_SG_SG_EEES9_SI_JZNS1_25segmented_radix_sort_implINS0_14default_configELb0EPKsPsPKlPlN2at6native12_GLOBAL__N_18offset_tEEE10hipError_tPvRmT1_PNSt15iterator_traitsIS12_E10value_typeET2_T3_PNS13_IS18_E10value_typeET4_jRbjT5_S1E_jjP12ihipStream_tbEUljE_ZNSN_ISO_Lb0ESQ_SR_ST_SU_SY_EESZ_S10_S11_S12_S16_S17_S18_S1B_S1C_jS1D_jS1E_S1E_jjS1G_bEUljE0_EEESZ_S10_S11_S18_S1C_S1E_T6_T7_T9_mT8_S1G_bDpT10_ENKUlT_T0_E_clISt17integral_constantIbLb1EES1U_EEDaS1P_S1Q_EUlS1P_E_NS1_11comp_targetILNS1_3genE10ELNS1_11target_archE1200ELNS1_3gpuE4ELNS1_3repE0EEENS1_30default_config_static_selectorELNS0_4arch9wavefront6targetE1EEEvS12_ ; -- Begin function _ZN7rocprim17ROCPRIM_400000_NS6detail17trampoline_kernelINS0_13select_configILj256ELj13ELNS0_17block_load_methodE3ELS4_3ELS4_3ELNS0_20block_scan_algorithmE0ELj4294967295EEENS1_25partition_config_selectorILNS1_17partition_subalgoE4EjNS0_10empty_typeEbEEZZNS1_14partition_implILS8_4ELb0ES6_15HIP_vector_typeIjLj2EENS0_17counting_iteratorIjlEEPS9_SG_NS0_5tupleIJPjSI_NS0_16reverse_iteratorISI_EEEEENSH_IJSG_SG_SG_EEES9_SI_JZNS1_25segmented_radix_sort_implINS0_14default_configELb0EPKsPsPKlPlN2at6native12_GLOBAL__N_18offset_tEEE10hipError_tPvRmT1_PNSt15iterator_traitsIS12_E10value_typeET2_T3_PNS13_IS18_E10value_typeET4_jRbjT5_S1E_jjP12ihipStream_tbEUljE_ZNSN_ISO_Lb0ESQ_SR_ST_SU_SY_EESZ_S10_S11_S12_S16_S17_S18_S1B_S1C_jS1D_jS1E_S1E_jjS1G_bEUljE0_EEESZ_S10_S11_S18_S1C_S1E_T6_T7_T9_mT8_S1G_bDpT10_ENKUlT_T0_E_clISt17integral_constantIbLb1EES1U_EEDaS1P_S1Q_EUlS1P_E_NS1_11comp_targetILNS1_3genE10ELNS1_11target_archE1200ELNS1_3gpuE4ELNS1_3repE0EEENS1_30default_config_static_selectorELNS0_4arch9wavefront6targetE1EEEvS12_
	.p2align	8
	.type	_ZN7rocprim17ROCPRIM_400000_NS6detail17trampoline_kernelINS0_13select_configILj256ELj13ELNS0_17block_load_methodE3ELS4_3ELS4_3ELNS0_20block_scan_algorithmE0ELj4294967295EEENS1_25partition_config_selectorILNS1_17partition_subalgoE4EjNS0_10empty_typeEbEEZZNS1_14partition_implILS8_4ELb0ES6_15HIP_vector_typeIjLj2EENS0_17counting_iteratorIjlEEPS9_SG_NS0_5tupleIJPjSI_NS0_16reverse_iteratorISI_EEEEENSH_IJSG_SG_SG_EEES9_SI_JZNS1_25segmented_radix_sort_implINS0_14default_configELb0EPKsPsPKlPlN2at6native12_GLOBAL__N_18offset_tEEE10hipError_tPvRmT1_PNSt15iterator_traitsIS12_E10value_typeET2_T3_PNS13_IS18_E10value_typeET4_jRbjT5_S1E_jjP12ihipStream_tbEUljE_ZNSN_ISO_Lb0ESQ_SR_ST_SU_SY_EESZ_S10_S11_S12_S16_S17_S18_S1B_S1C_jS1D_jS1E_S1E_jjS1G_bEUljE0_EEESZ_S10_S11_S18_S1C_S1E_T6_T7_T9_mT8_S1G_bDpT10_ENKUlT_T0_E_clISt17integral_constantIbLb1EES1U_EEDaS1P_S1Q_EUlS1P_E_NS1_11comp_targetILNS1_3genE10ELNS1_11target_archE1200ELNS1_3gpuE4ELNS1_3repE0EEENS1_30default_config_static_selectorELNS0_4arch9wavefront6targetE1EEEvS12_,@function
_ZN7rocprim17ROCPRIM_400000_NS6detail17trampoline_kernelINS0_13select_configILj256ELj13ELNS0_17block_load_methodE3ELS4_3ELS4_3ELNS0_20block_scan_algorithmE0ELj4294967295EEENS1_25partition_config_selectorILNS1_17partition_subalgoE4EjNS0_10empty_typeEbEEZZNS1_14partition_implILS8_4ELb0ES6_15HIP_vector_typeIjLj2EENS0_17counting_iteratorIjlEEPS9_SG_NS0_5tupleIJPjSI_NS0_16reverse_iteratorISI_EEEEENSH_IJSG_SG_SG_EEES9_SI_JZNS1_25segmented_radix_sort_implINS0_14default_configELb0EPKsPsPKlPlN2at6native12_GLOBAL__N_18offset_tEEE10hipError_tPvRmT1_PNSt15iterator_traitsIS12_E10value_typeET2_T3_PNS13_IS18_E10value_typeET4_jRbjT5_S1E_jjP12ihipStream_tbEUljE_ZNSN_ISO_Lb0ESQ_SR_ST_SU_SY_EESZ_S10_S11_S12_S16_S17_S18_S1B_S1C_jS1D_jS1E_S1E_jjS1G_bEUljE0_EEESZ_S10_S11_S18_S1C_S1E_T6_T7_T9_mT8_S1G_bDpT10_ENKUlT_T0_E_clISt17integral_constantIbLb1EES1U_EEDaS1P_S1Q_EUlS1P_E_NS1_11comp_targetILNS1_3genE10ELNS1_11target_archE1200ELNS1_3gpuE4ELNS1_3repE0EEENS1_30default_config_static_selectorELNS0_4arch9wavefront6targetE1EEEvS12_: ; @_ZN7rocprim17ROCPRIM_400000_NS6detail17trampoline_kernelINS0_13select_configILj256ELj13ELNS0_17block_load_methodE3ELS4_3ELS4_3ELNS0_20block_scan_algorithmE0ELj4294967295EEENS1_25partition_config_selectorILNS1_17partition_subalgoE4EjNS0_10empty_typeEbEEZZNS1_14partition_implILS8_4ELb0ES6_15HIP_vector_typeIjLj2EENS0_17counting_iteratorIjlEEPS9_SG_NS0_5tupleIJPjSI_NS0_16reverse_iteratorISI_EEEEENSH_IJSG_SG_SG_EEES9_SI_JZNS1_25segmented_radix_sort_implINS0_14default_configELb0EPKsPsPKlPlN2at6native12_GLOBAL__N_18offset_tEEE10hipError_tPvRmT1_PNSt15iterator_traitsIS12_E10value_typeET2_T3_PNS13_IS18_E10value_typeET4_jRbjT5_S1E_jjP12ihipStream_tbEUljE_ZNSN_ISO_Lb0ESQ_SR_ST_SU_SY_EESZ_S10_S11_S12_S16_S17_S18_S1B_S1C_jS1D_jS1E_S1E_jjS1G_bEUljE0_EEESZ_S10_S11_S18_S1C_S1E_T6_T7_T9_mT8_S1G_bDpT10_ENKUlT_T0_E_clISt17integral_constantIbLb1EES1U_EEDaS1P_S1Q_EUlS1P_E_NS1_11comp_targetILNS1_3genE10ELNS1_11target_archE1200ELNS1_3gpuE4ELNS1_3repE0EEENS1_30default_config_static_selectorELNS0_4arch9wavefront6targetE1EEEvS12_
; %bb.0:
	.section	.rodata,"a",@progbits
	.p2align	6, 0x0
	.amdhsa_kernel _ZN7rocprim17ROCPRIM_400000_NS6detail17trampoline_kernelINS0_13select_configILj256ELj13ELNS0_17block_load_methodE3ELS4_3ELS4_3ELNS0_20block_scan_algorithmE0ELj4294967295EEENS1_25partition_config_selectorILNS1_17partition_subalgoE4EjNS0_10empty_typeEbEEZZNS1_14partition_implILS8_4ELb0ES6_15HIP_vector_typeIjLj2EENS0_17counting_iteratorIjlEEPS9_SG_NS0_5tupleIJPjSI_NS0_16reverse_iteratorISI_EEEEENSH_IJSG_SG_SG_EEES9_SI_JZNS1_25segmented_radix_sort_implINS0_14default_configELb0EPKsPsPKlPlN2at6native12_GLOBAL__N_18offset_tEEE10hipError_tPvRmT1_PNSt15iterator_traitsIS12_E10value_typeET2_T3_PNS13_IS18_E10value_typeET4_jRbjT5_S1E_jjP12ihipStream_tbEUljE_ZNSN_ISO_Lb0ESQ_SR_ST_SU_SY_EESZ_S10_S11_S12_S16_S17_S18_S1B_S1C_jS1D_jS1E_S1E_jjS1G_bEUljE0_EEESZ_S10_S11_S18_S1C_S1E_T6_T7_T9_mT8_S1G_bDpT10_ENKUlT_T0_E_clISt17integral_constantIbLb1EES1U_EEDaS1P_S1Q_EUlS1P_E_NS1_11comp_targetILNS1_3genE10ELNS1_11target_archE1200ELNS1_3gpuE4ELNS1_3repE0EEENS1_30default_config_static_selectorELNS0_4arch9wavefront6targetE1EEEvS12_
		.amdhsa_group_segment_fixed_size 0
		.amdhsa_private_segment_fixed_size 0
		.amdhsa_kernarg_size 184
		.amdhsa_user_sgpr_count 6
		.amdhsa_user_sgpr_private_segment_buffer 1
		.amdhsa_user_sgpr_dispatch_ptr 0
		.amdhsa_user_sgpr_queue_ptr 0
		.amdhsa_user_sgpr_kernarg_segment_ptr 1
		.amdhsa_user_sgpr_dispatch_id 0
		.amdhsa_user_sgpr_flat_scratch_init 0
		.amdhsa_user_sgpr_kernarg_preload_length 0
		.amdhsa_user_sgpr_kernarg_preload_offset 0
		.amdhsa_user_sgpr_private_segment_size 0
		.amdhsa_uses_dynamic_stack 0
		.amdhsa_system_sgpr_private_segment_wavefront_offset 0
		.amdhsa_system_sgpr_workgroup_id_x 1
		.amdhsa_system_sgpr_workgroup_id_y 0
		.amdhsa_system_sgpr_workgroup_id_z 0
		.amdhsa_system_sgpr_workgroup_info 0
		.amdhsa_system_vgpr_workitem_id 0
		.amdhsa_next_free_vgpr 1
		.amdhsa_next_free_sgpr 0
		.amdhsa_accum_offset 4
		.amdhsa_reserve_vcc 0
		.amdhsa_reserve_flat_scratch 0
		.amdhsa_float_round_mode_32 0
		.amdhsa_float_round_mode_16_64 0
		.amdhsa_float_denorm_mode_32 3
		.amdhsa_float_denorm_mode_16_64 3
		.amdhsa_dx10_clamp 1
		.amdhsa_ieee_mode 1
		.amdhsa_fp16_overflow 0
		.amdhsa_tg_split 0
		.amdhsa_exception_fp_ieee_invalid_op 0
		.amdhsa_exception_fp_denorm_src 0
		.amdhsa_exception_fp_ieee_div_zero 0
		.amdhsa_exception_fp_ieee_overflow 0
		.amdhsa_exception_fp_ieee_underflow 0
		.amdhsa_exception_fp_ieee_inexact 0
		.amdhsa_exception_int_div_zero 0
	.end_amdhsa_kernel
	.section	.text._ZN7rocprim17ROCPRIM_400000_NS6detail17trampoline_kernelINS0_13select_configILj256ELj13ELNS0_17block_load_methodE3ELS4_3ELS4_3ELNS0_20block_scan_algorithmE0ELj4294967295EEENS1_25partition_config_selectorILNS1_17partition_subalgoE4EjNS0_10empty_typeEbEEZZNS1_14partition_implILS8_4ELb0ES6_15HIP_vector_typeIjLj2EENS0_17counting_iteratorIjlEEPS9_SG_NS0_5tupleIJPjSI_NS0_16reverse_iteratorISI_EEEEENSH_IJSG_SG_SG_EEES9_SI_JZNS1_25segmented_radix_sort_implINS0_14default_configELb0EPKsPsPKlPlN2at6native12_GLOBAL__N_18offset_tEEE10hipError_tPvRmT1_PNSt15iterator_traitsIS12_E10value_typeET2_T3_PNS13_IS18_E10value_typeET4_jRbjT5_S1E_jjP12ihipStream_tbEUljE_ZNSN_ISO_Lb0ESQ_SR_ST_SU_SY_EESZ_S10_S11_S12_S16_S17_S18_S1B_S1C_jS1D_jS1E_S1E_jjS1G_bEUljE0_EEESZ_S10_S11_S18_S1C_S1E_T6_T7_T9_mT8_S1G_bDpT10_ENKUlT_T0_E_clISt17integral_constantIbLb1EES1U_EEDaS1P_S1Q_EUlS1P_E_NS1_11comp_targetILNS1_3genE10ELNS1_11target_archE1200ELNS1_3gpuE4ELNS1_3repE0EEENS1_30default_config_static_selectorELNS0_4arch9wavefront6targetE1EEEvS12_,"axG",@progbits,_ZN7rocprim17ROCPRIM_400000_NS6detail17trampoline_kernelINS0_13select_configILj256ELj13ELNS0_17block_load_methodE3ELS4_3ELS4_3ELNS0_20block_scan_algorithmE0ELj4294967295EEENS1_25partition_config_selectorILNS1_17partition_subalgoE4EjNS0_10empty_typeEbEEZZNS1_14partition_implILS8_4ELb0ES6_15HIP_vector_typeIjLj2EENS0_17counting_iteratorIjlEEPS9_SG_NS0_5tupleIJPjSI_NS0_16reverse_iteratorISI_EEEEENSH_IJSG_SG_SG_EEES9_SI_JZNS1_25segmented_radix_sort_implINS0_14default_configELb0EPKsPsPKlPlN2at6native12_GLOBAL__N_18offset_tEEE10hipError_tPvRmT1_PNSt15iterator_traitsIS12_E10value_typeET2_T3_PNS13_IS18_E10value_typeET4_jRbjT5_S1E_jjP12ihipStream_tbEUljE_ZNSN_ISO_Lb0ESQ_SR_ST_SU_SY_EESZ_S10_S11_S12_S16_S17_S18_S1B_S1C_jS1D_jS1E_S1E_jjS1G_bEUljE0_EEESZ_S10_S11_S18_S1C_S1E_T6_T7_T9_mT8_S1G_bDpT10_ENKUlT_T0_E_clISt17integral_constantIbLb1EES1U_EEDaS1P_S1Q_EUlS1P_E_NS1_11comp_targetILNS1_3genE10ELNS1_11target_archE1200ELNS1_3gpuE4ELNS1_3repE0EEENS1_30default_config_static_selectorELNS0_4arch9wavefront6targetE1EEEvS12_,comdat
.Lfunc_end962:
	.size	_ZN7rocprim17ROCPRIM_400000_NS6detail17trampoline_kernelINS0_13select_configILj256ELj13ELNS0_17block_load_methodE3ELS4_3ELS4_3ELNS0_20block_scan_algorithmE0ELj4294967295EEENS1_25partition_config_selectorILNS1_17partition_subalgoE4EjNS0_10empty_typeEbEEZZNS1_14partition_implILS8_4ELb0ES6_15HIP_vector_typeIjLj2EENS0_17counting_iteratorIjlEEPS9_SG_NS0_5tupleIJPjSI_NS0_16reverse_iteratorISI_EEEEENSH_IJSG_SG_SG_EEES9_SI_JZNS1_25segmented_radix_sort_implINS0_14default_configELb0EPKsPsPKlPlN2at6native12_GLOBAL__N_18offset_tEEE10hipError_tPvRmT1_PNSt15iterator_traitsIS12_E10value_typeET2_T3_PNS13_IS18_E10value_typeET4_jRbjT5_S1E_jjP12ihipStream_tbEUljE_ZNSN_ISO_Lb0ESQ_SR_ST_SU_SY_EESZ_S10_S11_S12_S16_S17_S18_S1B_S1C_jS1D_jS1E_S1E_jjS1G_bEUljE0_EEESZ_S10_S11_S18_S1C_S1E_T6_T7_T9_mT8_S1G_bDpT10_ENKUlT_T0_E_clISt17integral_constantIbLb1EES1U_EEDaS1P_S1Q_EUlS1P_E_NS1_11comp_targetILNS1_3genE10ELNS1_11target_archE1200ELNS1_3gpuE4ELNS1_3repE0EEENS1_30default_config_static_selectorELNS0_4arch9wavefront6targetE1EEEvS12_, .Lfunc_end962-_ZN7rocprim17ROCPRIM_400000_NS6detail17trampoline_kernelINS0_13select_configILj256ELj13ELNS0_17block_load_methodE3ELS4_3ELS4_3ELNS0_20block_scan_algorithmE0ELj4294967295EEENS1_25partition_config_selectorILNS1_17partition_subalgoE4EjNS0_10empty_typeEbEEZZNS1_14partition_implILS8_4ELb0ES6_15HIP_vector_typeIjLj2EENS0_17counting_iteratorIjlEEPS9_SG_NS0_5tupleIJPjSI_NS0_16reverse_iteratorISI_EEEEENSH_IJSG_SG_SG_EEES9_SI_JZNS1_25segmented_radix_sort_implINS0_14default_configELb0EPKsPsPKlPlN2at6native12_GLOBAL__N_18offset_tEEE10hipError_tPvRmT1_PNSt15iterator_traitsIS12_E10value_typeET2_T3_PNS13_IS18_E10value_typeET4_jRbjT5_S1E_jjP12ihipStream_tbEUljE_ZNSN_ISO_Lb0ESQ_SR_ST_SU_SY_EESZ_S10_S11_S12_S16_S17_S18_S1B_S1C_jS1D_jS1E_S1E_jjS1G_bEUljE0_EEESZ_S10_S11_S18_S1C_S1E_T6_T7_T9_mT8_S1G_bDpT10_ENKUlT_T0_E_clISt17integral_constantIbLb1EES1U_EEDaS1P_S1Q_EUlS1P_E_NS1_11comp_targetILNS1_3genE10ELNS1_11target_archE1200ELNS1_3gpuE4ELNS1_3repE0EEENS1_30default_config_static_selectorELNS0_4arch9wavefront6targetE1EEEvS12_
                                        ; -- End function
	.section	.AMDGPU.csdata,"",@progbits
; Kernel info:
; codeLenInByte = 0
; NumSgprs: 4
; NumVgprs: 0
; NumAgprs: 0
; TotalNumVgprs: 0
; ScratchSize: 0
; MemoryBound: 0
; FloatMode: 240
; IeeeMode: 1
; LDSByteSize: 0 bytes/workgroup (compile time only)
; SGPRBlocks: 0
; VGPRBlocks: 0
; NumSGPRsForWavesPerEU: 4
; NumVGPRsForWavesPerEU: 1
; AccumOffset: 4
; Occupancy: 8
; WaveLimiterHint : 0
; COMPUTE_PGM_RSRC2:SCRATCH_EN: 0
; COMPUTE_PGM_RSRC2:USER_SGPR: 6
; COMPUTE_PGM_RSRC2:TRAP_HANDLER: 0
; COMPUTE_PGM_RSRC2:TGID_X_EN: 1
; COMPUTE_PGM_RSRC2:TGID_Y_EN: 0
; COMPUTE_PGM_RSRC2:TGID_Z_EN: 0
; COMPUTE_PGM_RSRC2:TIDIG_COMP_CNT: 0
; COMPUTE_PGM_RSRC3_GFX90A:ACCUM_OFFSET: 0
; COMPUTE_PGM_RSRC3_GFX90A:TG_SPLIT: 0
	.section	.text._ZN7rocprim17ROCPRIM_400000_NS6detail17trampoline_kernelINS0_13select_configILj256ELj13ELNS0_17block_load_methodE3ELS4_3ELS4_3ELNS0_20block_scan_algorithmE0ELj4294967295EEENS1_25partition_config_selectorILNS1_17partition_subalgoE4EjNS0_10empty_typeEbEEZZNS1_14partition_implILS8_4ELb0ES6_15HIP_vector_typeIjLj2EENS0_17counting_iteratorIjlEEPS9_SG_NS0_5tupleIJPjSI_NS0_16reverse_iteratorISI_EEEEENSH_IJSG_SG_SG_EEES9_SI_JZNS1_25segmented_radix_sort_implINS0_14default_configELb0EPKsPsPKlPlN2at6native12_GLOBAL__N_18offset_tEEE10hipError_tPvRmT1_PNSt15iterator_traitsIS12_E10value_typeET2_T3_PNS13_IS18_E10value_typeET4_jRbjT5_S1E_jjP12ihipStream_tbEUljE_ZNSN_ISO_Lb0ESQ_SR_ST_SU_SY_EESZ_S10_S11_S12_S16_S17_S18_S1B_S1C_jS1D_jS1E_S1E_jjS1G_bEUljE0_EEESZ_S10_S11_S18_S1C_S1E_T6_T7_T9_mT8_S1G_bDpT10_ENKUlT_T0_E_clISt17integral_constantIbLb1EES1U_EEDaS1P_S1Q_EUlS1P_E_NS1_11comp_targetILNS1_3genE9ELNS1_11target_archE1100ELNS1_3gpuE3ELNS1_3repE0EEENS1_30default_config_static_selectorELNS0_4arch9wavefront6targetE1EEEvS12_,"axG",@progbits,_ZN7rocprim17ROCPRIM_400000_NS6detail17trampoline_kernelINS0_13select_configILj256ELj13ELNS0_17block_load_methodE3ELS4_3ELS4_3ELNS0_20block_scan_algorithmE0ELj4294967295EEENS1_25partition_config_selectorILNS1_17partition_subalgoE4EjNS0_10empty_typeEbEEZZNS1_14partition_implILS8_4ELb0ES6_15HIP_vector_typeIjLj2EENS0_17counting_iteratorIjlEEPS9_SG_NS0_5tupleIJPjSI_NS0_16reverse_iteratorISI_EEEEENSH_IJSG_SG_SG_EEES9_SI_JZNS1_25segmented_radix_sort_implINS0_14default_configELb0EPKsPsPKlPlN2at6native12_GLOBAL__N_18offset_tEEE10hipError_tPvRmT1_PNSt15iterator_traitsIS12_E10value_typeET2_T3_PNS13_IS18_E10value_typeET4_jRbjT5_S1E_jjP12ihipStream_tbEUljE_ZNSN_ISO_Lb0ESQ_SR_ST_SU_SY_EESZ_S10_S11_S12_S16_S17_S18_S1B_S1C_jS1D_jS1E_S1E_jjS1G_bEUljE0_EEESZ_S10_S11_S18_S1C_S1E_T6_T7_T9_mT8_S1G_bDpT10_ENKUlT_T0_E_clISt17integral_constantIbLb1EES1U_EEDaS1P_S1Q_EUlS1P_E_NS1_11comp_targetILNS1_3genE9ELNS1_11target_archE1100ELNS1_3gpuE3ELNS1_3repE0EEENS1_30default_config_static_selectorELNS0_4arch9wavefront6targetE1EEEvS12_,comdat
	.globl	_ZN7rocprim17ROCPRIM_400000_NS6detail17trampoline_kernelINS0_13select_configILj256ELj13ELNS0_17block_load_methodE3ELS4_3ELS4_3ELNS0_20block_scan_algorithmE0ELj4294967295EEENS1_25partition_config_selectorILNS1_17partition_subalgoE4EjNS0_10empty_typeEbEEZZNS1_14partition_implILS8_4ELb0ES6_15HIP_vector_typeIjLj2EENS0_17counting_iteratorIjlEEPS9_SG_NS0_5tupleIJPjSI_NS0_16reverse_iteratorISI_EEEEENSH_IJSG_SG_SG_EEES9_SI_JZNS1_25segmented_radix_sort_implINS0_14default_configELb0EPKsPsPKlPlN2at6native12_GLOBAL__N_18offset_tEEE10hipError_tPvRmT1_PNSt15iterator_traitsIS12_E10value_typeET2_T3_PNS13_IS18_E10value_typeET4_jRbjT5_S1E_jjP12ihipStream_tbEUljE_ZNSN_ISO_Lb0ESQ_SR_ST_SU_SY_EESZ_S10_S11_S12_S16_S17_S18_S1B_S1C_jS1D_jS1E_S1E_jjS1G_bEUljE0_EEESZ_S10_S11_S18_S1C_S1E_T6_T7_T9_mT8_S1G_bDpT10_ENKUlT_T0_E_clISt17integral_constantIbLb1EES1U_EEDaS1P_S1Q_EUlS1P_E_NS1_11comp_targetILNS1_3genE9ELNS1_11target_archE1100ELNS1_3gpuE3ELNS1_3repE0EEENS1_30default_config_static_selectorELNS0_4arch9wavefront6targetE1EEEvS12_ ; -- Begin function _ZN7rocprim17ROCPRIM_400000_NS6detail17trampoline_kernelINS0_13select_configILj256ELj13ELNS0_17block_load_methodE3ELS4_3ELS4_3ELNS0_20block_scan_algorithmE0ELj4294967295EEENS1_25partition_config_selectorILNS1_17partition_subalgoE4EjNS0_10empty_typeEbEEZZNS1_14partition_implILS8_4ELb0ES6_15HIP_vector_typeIjLj2EENS0_17counting_iteratorIjlEEPS9_SG_NS0_5tupleIJPjSI_NS0_16reverse_iteratorISI_EEEEENSH_IJSG_SG_SG_EEES9_SI_JZNS1_25segmented_radix_sort_implINS0_14default_configELb0EPKsPsPKlPlN2at6native12_GLOBAL__N_18offset_tEEE10hipError_tPvRmT1_PNSt15iterator_traitsIS12_E10value_typeET2_T3_PNS13_IS18_E10value_typeET4_jRbjT5_S1E_jjP12ihipStream_tbEUljE_ZNSN_ISO_Lb0ESQ_SR_ST_SU_SY_EESZ_S10_S11_S12_S16_S17_S18_S1B_S1C_jS1D_jS1E_S1E_jjS1G_bEUljE0_EEESZ_S10_S11_S18_S1C_S1E_T6_T7_T9_mT8_S1G_bDpT10_ENKUlT_T0_E_clISt17integral_constantIbLb1EES1U_EEDaS1P_S1Q_EUlS1P_E_NS1_11comp_targetILNS1_3genE9ELNS1_11target_archE1100ELNS1_3gpuE3ELNS1_3repE0EEENS1_30default_config_static_selectorELNS0_4arch9wavefront6targetE1EEEvS12_
	.p2align	8
	.type	_ZN7rocprim17ROCPRIM_400000_NS6detail17trampoline_kernelINS0_13select_configILj256ELj13ELNS0_17block_load_methodE3ELS4_3ELS4_3ELNS0_20block_scan_algorithmE0ELj4294967295EEENS1_25partition_config_selectorILNS1_17partition_subalgoE4EjNS0_10empty_typeEbEEZZNS1_14partition_implILS8_4ELb0ES6_15HIP_vector_typeIjLj2EENS0_17counting_iteratorIjlEEPS9_SG_NS0_5tupleIJPjSI_NS0_16reverse_iteratorISI_EEEEENSH_IJSG_SG_SG_EEES9_SI_JZNS1_25segmented_radix_sort_implINS0_14default_configELb0EPKsPsPKlPlN2at6native12_GLOBAL__N_18offset_tEEE10hipError_tPvRmT1_PNSt15iterator_traitsIS12_E10value_typeET2_T3_PNS13_IS18_E10value_typeET4_jRbjT5_S1E_jjP12ihipStream_tbEUljE_ZNSN_ISO_Lb0ESQ_SR_ST_SU_SY_EESZ_S10_S11_S12_S16_S17_S18_S1B_S1C_jS1D_jS1E_S1E_jjS1G_bEUljE0_EEESZ_S10_S11_S18_S1C_S1E_T6_T7_T9_mT8_S1G_bDpT10_ENKUlT_T0_E_clISt17integral_constantIbLb1EES1U_EEDaS1P_S1Q_EUlS1P_E_NS1_11comp_targetILNS1_3genE9ELNS1_11target_archE1100ELNS1_3gpuE3ELNS1_3repE0EEENS1_30default_config_static_selectorELNS0_4arch9wavefront6targetE1EEEvS12_,@function
_ZN7rocprim17ROCPRIM_400000_NS6detail17trampoline_kernelINS0_13select_configILj256ELj13ELNS0_17block_load_methodE3ELS4_3ELS4_3ELNS0_20block_scan_algorithmE0ELj4294967295EEENS1_25partition_config_selectorILNS1_17partition_subalgoE4EjNS0_10empty_typeEbEEZZNS1_14partition_implILS8_4ELb0ES6_15HIP_vector_typeIjLj2EENS0_17counting_iteratorIjlEEPS9_SG_NS0_5tupleIJPjSI_NS0_16reverse_iteratorISI_EEEEENSH_IJSG_SG_SG_EEES9_SI_JZNS1_25segmented_radix_sort_implINS0_14default_configELb0EPKsPsPKlPlN2at6native12_GLOBAL__N_18offset_tEEE10hipError_tPvRmT1_PNSt15iterator_traitsIS12_E10value_typeET2_T3_PNS13_IS18_E10value_typeET4_jRbjT5_S1E_jjP12ihipStream_tbEUljE_ZNSN_ISO_Lb0ESQ_SR_ST_SU_SY_EESZ_S10_S11_S12_S16_S17_S18_S1B_S1C_jS1D_jS1E_S1E_jjS1G_bEUljE0_EEESZ_S10_S11_S18_S1C_S1E_T6_T7_T9_mT8_S1G_bDpT10_ENKUlT_T0_E_clISt17integral_constantIbLb1EES1U_EEDaS1P_S1Q_EUlS1P_E_NS1_11comp_targetILNS1_3genE9ELNS1_11target_archE1100ELNS1_3gpuE3ELNS1_3repE0EEENS1_30default_config_static_selectorELNS0_4arch9wavefront6targetE1EEEvS12_: ; @_ZN7rocprim17ROCPRIM_400000_NS6detail17trampoline_kernelINS0_13select_configILj256ELj13ELNS0_17block_load_methodE3ELS4_3ELS4_3ELNS0_20block_scan_algorithmE0ELj4294967295EEENS1_25partition_config_selectorILNS1_17partition_subalgoE4EjNS0_10empty_typeEbEEZZNS1_14partition_implILS8_4ELb0ES6_15HIP_vector_typeIjLj2EENS0_17counting_iteratorIjlEEPS9_SG_NS0_5tupleIJPjSI_NS0_16reverse_iteratorISI_EEEEENSH_IJSG_SG_SG_EEES9_SI_JZNS1_25segmented_radix_sort_implINS0_14default_configELb0EPKsPsPKlPlN2at6native12_GLOBAL__N_18offset_tEEE10hipError_tPvRmT1_PNSt15iterator_traitsIS12_E10value_typeET2_T3_PNS13_IS18_E10value_typeET4_jRbjT5_S1E_jjP12ihipStream_tbEUljE_ZNSN_ISO_Lb0ESQ_SR_ST_SU_SY_EESZ_S10_S11_S12_S16_S17_S18_S1B_S1C_jS1D_jS1E_S1E_jjS1G_bEUljE0_EEESZ_S10_S11_S18_S1C_S1E_T6_T7_T9_mT8_S1G_bDpT10_ENKUlT_T0_E_clISt17integral_constantIbLb1EES1U_EEDaS1P_S1Q_EUlS1P_E_NS1_11comp_targetILNS1_3genE9ELNS1_11target_archE1100ELNS1_3gpuE3ELNS1_3repE0EEENS1_30default_config_static_selectorELNS0_4arch9wavefront6targetE1EEEvS12_
; %bb.0:
	.section	.rodata,"a",@progbits
	.p2align	6, 0x0
	.amdhsa_kernel _ZN7rocprim17ROCPRIM_400000_NS6detail17trampoline_kernelINS0_13select_configILj256ELj13ELNS0_17block_load_methodE3ELS4_3ELS4_3ELNS0_20block_scan_algorithmE0ELj4294967295EEENS1_25partition_config_selectorILNS1_17partition_subalgoE4EjNS0_10empty_typeEbEEZZNS1_14partition_implILS8_4ELb0ES6_15HIP_vector_typeIjLj2EENS0_17counting_iteratorIjlEEPS9_SG_NS0_5tupleIJPjSI_NS0_16reverse_iteratorISI_EEEEENSH_IJSG_SG_SG_EEES9_SI_JZNS1_25segmented_radix_sort_implINS0_14default_configELb0EPKsPsPKlPlN2at6native12_GLOBAL__N_18offset_tEEE10hipError_tPvRmT1_PNSt15iterator_traitsIS12_E10value_typeET2_T3_PNS13_IS18_E10value_typeET4_jRbjT5_S1E_jjP12ihipStream_tbEUljE_ZNSN_ISO_Lb0ESQ_SR_ST_SU_SY_EESZ_S10_S11_S12_S16_S17_S18_S1B_S1C_jS1D_jS1E_S1E_jjS1G_bEUljE0_EEESZ_S10_S11_S18_S1C_S1E_T6_T7_T9_mT8_S1G_bDpT10_ENKUlT_T0_E_clISt17integral_constantIbLb1EES1U_EEDaS1P_S1Q_EUlS1P_E_NS1_11comp_targetILNS1_3genE9ELNS1_11target_archE1100ELNS1_3gpuE3ELNS1_3repE0EEENS1_30default_config_static_selectorELNS0_4arch9wavefront6targetE1EEEvS12_
		.amdhsa_group_segment_fixed_size 0
		.amdhsa_private_segment_fixed_size 0
		.amdhsa_kernarg_size 184
		.amdhsa_user_sgpr_count 6
		.amdhsa_user_sgpr_private_segment_buffer 1
		.amdhsa_user_sgpr_dispatch_ptr 0
		.amdhsa_user_sgpr_queue_ptr 0
		.amdhsa_user_sgpr_kernarg_segment_ptr 1
		.amdhsa_user_sgpr_dispatch_id 0
		.amdhsa_user_sgpr_flat_scratch_init 0
		.amdhsa_user_sgpr_kernarg_preload_length 0
		.amdhsa_user_sgpr_kernarg_preload_offset 0
		.amdhsa_user_sgpr_private_segment_size 0
		.amdhsa_uses_dynamic_stack 0
		.amdhsa_system_sgpr_private_segment_wavefront_offset 0
		.amdhsa_system_sgpr_workgroup_id_x 1
		.amdhsa_system_sgpr_workgroup_id_y 0
		.amdhsa_system_sgpr_workgroup_id_z 0
		.amdhsa_system_sgpr_workgroup_info 0
		.amdhsa_system_vgpr_workitem_id 0
		.amdhsa_next_free_vgpr 1
		.amdhsa_next_free_sgpr 0
		.amdhsa_accum_offset 4
		.amdhsa_reserve_vcc 0
		.amdhsa_reserve_flat_scratch 0
		.amdhsa_float_round_mode_32 0
		.amdhsa_float_round_mode_16_64 0
		.amdhsa_float_denorm_mode_32 3
		.amdhsa_float_denorm_mode_16_64 3
		.amdhsa_dx10_clamp 1
		.amdhsa_ieee_mode 1
		.amdhsa_fp16_overflow 0
		.amdhsa_tg_split 0
		.amdhsa_exception_fp_ieee_invalid_op 0
		.amdhsa_exception_fp_denorm_src 0
		.amdhsa_exception_fp_ieee_div_zero 0
		.amdhsa_exception_fp_ieee_overflow 0
		.amdhsa_exception_fp_ieee_underflow 0
		.amdhsa_exception_fp_ieee_inexact 0
		.amdhsa_exception_int_div_zero 0
	.end_amdhsa_kernel
	.section	.text._ZN7rocprim17ROCPRIM_400000_NS6detail17trampoline_kernelINS0_13select_configILj256ELj13ELNS0_17block_load_methodE3ELS4_3ELS4_3ELNS0_20block_scan_algorithmE0ELj4294967295EEENS1_25partition_config_selectorILNS1_17partition_subalgoE4EjNS0_10empty_typeEbEEZZNS1_14partition_implILS8_4ELb0ES6_15HIP_vector_typeIjLj2EENS0_17counting_iteratorIjlEEPS9_SG_NS0_5tupleIJPjSI_NS0_16reverse_iteratorISI_EEEEENSH_IJSG_SG_SG_EEES9_SI_JZNS1_25segmented_radix_sort_implINS0_14default_configELb0EPKsPsPKlPlN2at6native12_GLOBAL__N_18offset_tEEE10hipError_tPvRmT1_PNSt15iterator_traitsIS12_E10value_typeET2_T3_PNS13_IS18_E10value_typeET4_jRbjT5_S1E_jjP12ihipStream_tbEUljE_ZNSN_ISO_Lb0ESQ_SR_ST_SU_SY_EESZ_S10_S11_S12_S16_S17_S18_S1B_S1C_jS1D_jS1E_S1E_jjS1G_bEUljE0_EEESZ_S10_S11_S18_S1C_S1E_T6_T7_T9_mT8_S1G_bDpT10_ENKUlT_T0_E_clISt17integral_constantIbLb1EES1U_EEDaS1P_S1Q_EUlS1P_E_NS1_11comp_targetILNS1_3genE9ELNS1_11target_archE1100ELNS1_3gpuE3ELNS1_3repE0EEENS1_30default_config_static_selectorELNS0_4arch9wavefront6targetE1EEEvS12_,"axG",@progbits,_ZN7rocprim17ROCPRIM_400000_NS6detail17trampoline_kernelINS0_13select_configILj256ELj13ELNS0_17block_load_methodE3ELS4_3ELS4_3ELNS0_20block_scan_algorithmE0ELj4294967295EEENS1_25partition_config_selectorILNS1_17partition_subalgoE4EjNS0_10empty_typeEbEEZZNS1_14partition_implILS8_4ELb0ES6_15HIP_vector_typeIjLj2EENS0_17counting_iteratorIjlEEPS9_SG_NS0_5tupleIJPjSI_NS0_16reverse_iteratorISI_EEEEENSH_IJSG_SG_SG_EEES9_SI_JZNS1_25segmented_radix_sort_implINS0_14default_configELb0EPKsPsPKlPlN2at6native12_GLOBAL__N_18offset_tEEE10hipError_tPvRmT1_PNSt15iterator_traitsIS12_E10value_typeET2_T3_PNS13_IS18_E10value_typeET4_jRbjT5_S1E_jjP12ihipStream_tbEUljE_ZNSN_ISO_Lb0ESQ_SR_ST_SU_SY_EESZ_S10_S11_S12_S16_S17_S18_S1B_S1C_jS1D_jS1E_S1E_jjS1G_bEUljE0_EEESZ_S10_S11_S18_S1C_S1E_T6_T7_T9_mT8_S1G_bDpT10_ENKUlT_T0_E_clISt17integral_constantIbLb1EES1U_EEDaS1P_S1Q_EUlS1P_E_NS1_11comp_targetILNS1_3genE9ELNS1_11target_archE1100ELNS1_3gpuE3ELNS1_3repE0EEENS1_30default_config_static_selectorELNS0_4arch9wavefront6targetE1EEEvS12_,comdat
.Lfunc_end963:
	.size	_ZN7rocprim17ROCPRIM_400000_NS6detail17trampoline_kernelINS0_13select_configILj256ELj13ELNS0_17block_load_methodE3ELS4_3ELS4_3ELNS0_20block_scan_algorithmE0ELj4294967295EEENS1_25partition_config_selectorILNS1_17partition_subalgoE4EjNS0_10empty_typeEbEEZZNS1_14partition_implILS8_4ELb0ES6_15HIP_vector_typeIjLj2EENS0_17counting_iteratorIjlEEPS9_SG_NS0_5tupleIJPjSI_NS0_16reverse_iteratorISI_EEEEENSH_IJSG_SG_SG_EEES9_SI_JZNS1_25segmented_radix_sort_implINS0_14default_configELb0EPKsPsPKlPlN2at6native12_GLOBAL__N_18offset_tEEE10hipError_tPvRmT1_PNSt15iterator_traitsIS12_E10value_typeET2_T3_PNS13_IS18_E10value_typeET4_jRbjT5_S1E_jjP12ihipStream_tbEUljE_ZNSN_ISO_Lb0ESQ_SR_ST_SU_SY_EESZ_S10_S11_S12_S16_S17_S18_S1B_S1C_jS1D_jS1E_S1E_jjS1G_bEUljE0_EEESZ_S10_S11_S18_S1C_S1E_T6_T7_T9_mT8_S1G_bDpT10_ENKUlT_T0_E_clISt17integral_constantIbLb1EES1U_EEDaS1P_S1Q_EUlS1P_E_NS1_11comp_targetILNS1_3genE9ELNS1_11target_archE1100ELNS1_3gpuE3ELNS1_3repE0EEENS1_30default_config_static_selectorELNS0_4arch9wavefront6targetE1EEEvS12_, .Lfunc_end963-_ZN7rocprim17ROCPRIM_400000_NS6detail17trampoline_kernelINS0_13select_configILj256ELj13ELNS0_17block_load_methodE3ELS4_3ELS4_3ELNS0_20block_scan_algorithmE0ELj4294967295EEENS1_25partition_config_selectorILNS1_17partition_subalgoE4EjNS0_10empty_typeEbEEZZNS1_14partition_implILS8_4ELb0ES6_15HIP_vector_typeIjLj2EENS0_17counting_iteratorIjlEEPS9_SG_NS0_5tupleIJPjSI_NS0_16reverse_iteratorISI_EEEEENSH_IJSG_SG_SG_EEES9_SI_JZNS1_25segmented_radix_sort_implINS0_14default_configELb0EPKsPsPKlPlN2at6native12_GLOBAL__N_18offset_tEEE10hipError_tPvRmT1_PNSt15iterator_traitsIS12_E10value_typeET2_T3_PNS13_IS18_E10value_typeET4_jRbjT5_S1E_jjP12ihipStream_tbEUljE_ZNSN_ISO_Lb0ESQ_SR_ST_SU_SY_EESZ_S10_S11_S12_S16_S17_S18_S1B_S1C_jS1D_jS1E_S1E_jjS1G_bEUljE0_EEESZ_S10_S11_S18_S1C_S1E_T6_T7_T9_mT8_S1G_bDpT10_ENKUlT_T0_E_clISt17integral_constantIbLb1EES1U_EEDaS1P_S1Q_EUlS1P_E_NS1_11comp_targetILNS1_3genE9ELNS1_11target_archE1100ELNS1_3gpuE3ELNS1_3repE0EEENS1_30default_config_static_selectorELNS0_4arch9wavefront6targetE1EEEvS12_
                                        ; -- End function
	.section	.AMDGPU.csdata,"",@progbits
; Kernel info:
; codeLenInByte = 0
; NumSgprs: 4
; NumVgprs: 0
; NumAgprs: 0
; TotalNumVgprs: 0
; ScratchSize: 0
; MemoryBound: 0
; FloatMode: 240
; IeeeMode: 1
; LDSByteSize: 0 bytes/workgroup (compile time only)
; SGPRBlocks: 0
; VGPRBlocks: 0
; NumSGPRsForWavesPerEU: 4
; NumVGPRsForWavesPerEU: 1
; AccumOffset: 4
; Occupancy: 8
; WaveLimiterHint : 0
; COMPUTE_PGM_RSRC2:SCRATCH_EN: 0
; COMPUTE_PGM_RSRC2:USER_SGPR: 6
; COMPUTE_PGM_RSRC2:TRAP_HANDLER: 0
; COMPUTE_PGM_RSRC2:TGID_X_EN: 1
; COMPUTE_PGM_RSRC2:TGID_Y_EN: 0
; COMPUTE_PGM_RSRC2:TGID_Z_EN: 0
; COMPUTE_PGM_RSRC2:TIDIG_COMP_CNT: 0
; COMPUTE_PGM_RSRC3_GFX90A:ACCUM_OFFSET: 0
; COMPUTE_PGM_RSRC3_GFX90A:TG_SPLIT: 0
	.section	.text._ZN7rocprim17ROCPRIM_400000_NS6detail17trampoline_kernelINS0_13select_configILj256ELj13ELNS0_17block_load_methodE3ELS4_3ELS4_3ELNS0_20block_scan_algorithmE0ELj4294967295EEENS1_25partition_config_selectorILNS1_17partition_subalgoE4EjNS0_10empty_typeEbEEZZNS1_14partition_implILS8_4ELb0ES6_15HIP_vector_typeIjLj2EENS0_17counting_iteratorIjlEEPS9_SG_NS0_5tupleIJPjSI_NS0_16reverse_iteratorISI_EEEEENSH_IJSG_SG_SG_EEES9_SI_JZNS1_25segmented_radix_sort_implINS0_14default_configELb0EPKsPsPKlPlN2at6native12_GLOBAL__N_18offset_tEEE10hipError_tPvRmT1_PNSt15iterator_traitsIS12_E10value_typeET2_T3_PNS13_IS18_E10value_typeET4_jRbjT5_S1E_jjP12ihipStream_tbEUljE_ZNSN_ISO_Lb0ESQ_SR_ST_SU_SY_EESZ_S10_S11_S12_S16_S17_S18_S1B_S1C_jS1D_jS1E_S1E_jjS1G_bEUljE0_EEESZ_S10_S11_S18_S1C_S1E_T6_T7_T9_mT8_S1G_bDpT10_ENKUlT_T0_E_clISt17integral_constantIbLb1EES1U_EEDaS1P_S1Q_EUlS1P_E_NS1_11comp_targetILNS1_3genE8ELNS1_11target_archE1030ELNS1_3gpuE2ELNS1_3repE0EEENS1_30default_config_static_selectorELNS0_4arch9wavefront6targetE1EEEvS12_,"axG",@progbits,_ZN7rocprim17ROCPRIM_400000_NS6detail17trampoline_kernelINS0_13select_configILj256ELj13ELNS0_17block_load_methodE3ELS4_3ELS4_3ELNS0_20block_scan_algorithmE0ELj4294967295EEENS1_25partition_config_selectorILNS1_17partition_subalgoE4EjNS0_10empty_typeEbEEZZNS1_14partition_implILS8_4ELb0ES6_15HIP_vector_typeIjLj2EENS0_17counting_iteratorIjlEEPS9_SG_NS0_5tupleIJPjSI_NS0_16reverse_iteratorISI_EEEEENSH_IJSG_SG_SG_EEES9_SI_JZNS1_25segmented_radix_sort_implINS0_14default_configELb0EPKsPsPKlPlN2at6native12_GLOBAL__N_18offset_tEEE10hipError_tPvRmT1_PNSt15iterator_traitsIS12_E10value_typeET2_T3_PNS13_IS18_E10value_typeET4_jRbjT5_S1E_jjP12ihipStream_tbEUljE_ZNSN_ISO_Lb0ESQ_SR_ST_SU_SY_EESZ_S10_S11_S12_S16_S17_S18_S1B_S1C_jS1D_jS1E_S1E_jjS1G_bEUljE0_EEESZ_S10_S11_S18_S1C_S1E_T6_T7_T9_mT8_S1G_bDpT10_ENKUlT_T0_E_clISt17integral_constantIbLb1EES1U_EEDaS1P_S1Q_EUlS1P_E_NS1_11comp_targetILNS1_3genE8ELNS1_11target_archE1030ELNS1_3gpuE2ELNS1_3repE0EEENS1_30default_config_static_selectorELNS0_4arch9wavefront6targetE1EEEvS12_,comdat
	.globl	_ZN7rocprim17ROCPRIM_400000_NS6detail17trampoline_kernelINS0_13select_configILj256ELj13ELNS0_17block_load_methodE3ELS4_3ELS4_3ELNS0_20block_scan_algorithmE0ELj4294967295EEENS1_25partition_config_selectorILNS1_17partition_subalgoE4EjNS0_10empty_typeEbEEZZNS1_14partition_implILS8_4ELb0ES6_15HIP_vector_typeIjLj2EENS0_17counting_iteratorIjlEEPS9_SG_NS0_5tupleIJPjSI_NS0_16reverse_iteratorISI_EEEEENSH_IJSG_SG_SG_EEES9_SI_JZNS1_25segmented_radix_sort_implINS0_14default_configELb0EPKsPsPKlPlN2at6native12_GLOBAL__N_18offset_tEEE10hipError_tPvRmT1_PNSt15iterator_traitsIS12_E10value_typeET2_T3_PNS13_IS18_E10value_typeET4_jRbjT5_S1E_jjP12ihipStream_tbEUljE_ZNSN_ISO_Lb0ESQ_SR_ST_SU_SY_EESZ_S10_S11_S12_S16_S17_S18_S1B_S1C_jS1D_jS1E_S1E_jjS1G_bEUljE0_EEESZ_S10_S11_S18_S1C_S1E_T6_T7_T9_mT8_S1G_bDpT10_ENKUlT_T0_E_clISt17integral_constantIbLb1EES1U_EEDaS1P_S1Q_EUlS1P_E_NS1_11comp_targetILNS1_3genE8ELNS1_11target_archE1030ELNS1_3gpuE2ELNS1_3repE0EEENS1_30default_config_static_selectorELNS0_4arch9wavefront6targetE1EEEvS12_ ; -- Begin function _ZN7rocprim17ROCPRIM_400000_NS6detail17trampoline_kernelINS0_13select_configILj256ELj13ELNS0_17block_load_methodE3ELS4_3ELS4_3ELNS0_20block_scan_algorithmE0ELj4294967295EEENS1_25partition_config_selectorILNS1_17partition_subalgoE4EjNS0_10empty_typeEbEEZZNS1_14partition_implILS8_4ELb0ES6_15HIP_vector_typeIjLj2EENS0_17counting_iteratorIjlEEPS9_SG_NS0_5tupleIJPjSI_NS0_16reverse_iteratorISI_EEEEENSH_IJSG_SG_SG_EEES9_SI_JZNS1_25segmented_radix_sort_implINS0_14default_configELb0EPKsPsPKlPlN2at6native12_GLOBAL__N_18offset_tEEE10hipError_tPvRmT1_PNSt15iterator_traitsIS12_E10value_typeET2_T3_PNS13_IS18_E10value_typeET4_jRbjT5_S1E_jjP12ihipStream_tbEUljE_ZNSN_ISO_Lb0ESQ_SR_ST_SU_SY_EESZ_S10_S11_S12_S16_S17_S18_S1B_S1C_jS1D_jS1E_S1E_jjS1G_bEUljE0_EEESZ_S10_S11_S18_S1C_S1E_T6_T7_T9_mT8_S1G_bDpT10_ENKUlT_T0_E_clISt17integral_constantIbLb1EES1U_EEDaS1P_S1Q_EUlS1P_E_NS1_11comp_targetILNS1_3genE8ELNS1_11target_archE1030ELNS1_3gpuE2ELNS1_3repE0EEENS1_30default_config_static_selectorELNS0_4arch9wavefront6targetE1EEEvS12_
	.p2align	8
	.type	_ZN7rocprim17ROCPRIM_400000_NS6detail17trampoline_kernelINS0_13select_configILj256ELj13ELNS0_17block_load_methodE3ELS4_3ELS4_3ELNS0_20block_scan_algorithmE0ELj4294967295EEENS1_25partition_config_selectorILNS1_17partition_subalgoE4EjNS0_10empty_typeEbEEZZNS1_14partition_implILS8_4ELb0ES6_15HIP_vector_typeIjLj2EENS0_17counting_iteratorIjlEEPS9_SG_NS0_5tupleIJPjSI_NS0_16reverse_iteratorISI_EEEEENSH_IJSG_SG_SG_EEES9_SI_JZNS1_25segmented_radix_sort_implINS0_14default_configELb0EPKsPsPKlPlN2at6native12_GLOBAL__N_18offset_tEEE10hipError_tPvRmT1_PNSt15iterator_traitsIS12_E10value_typeET2_T3_PNS13_IS18_E10value_typeET4_jRbjT5_S1E_jjP12ihipStream_tbEUljE_ZNSN_ISO_Lb0ESQ_SR_ST_SU_SY_EESZ_S10_S11_S12_S16_S17_S18_S1B_S1C_jS1D_jS1E_S1E_jjS1G_bEUljE0_EEESZ_S10_S11_S18_S1C_S1E_T6_T7_T9_mT8_S1G_bDpT10_ENKUlT_T0_E_clISt17integral_constantIbLb1EES1U_EEDaS1P_S1Q_EUlS1P_E_NS1_11comp_targetILNS1_3genE8ELNS1_11target_archE1030ELNS1_3gpuE2ELNS1_3repE0EEENS1_30default_config_static_selectorELNS0_4arch9wavefront6targetE1EEEvS12_,@function
_ZN7rocprim17ROCPRIM_400000_NS6detail17trampoline_kernelINS0_13select_configILj256ELj13ELNS0_17block_load_methodE3ELS4_3ELS4_3ELNS0_20block_scan_algorithmE0ELj4294967295EEENS1_25partition_config_selectorILNS1_17partition_subalgoE4EjNS0_10empty_typeEbEEZZNS1_14partition_implILS8_4ELb0ES6_15HIP_vector_typeIjLj2EENS0_17counting_iteratorIjlEEPS9_SG_NS0_5tupleIJPjSI_NS0_16reverse_iteratorISI_EEEEENSH_IJSG_SG_SG_EEES9_SI_JZNS1_25segmented_radix_sort_implINS0_14default_configELb0EPKsPsPKlPlN2at6native12_GLOBAL__N_18offset_tEEE10hipError_tPvRmT1_PNSt15iterator_traitsIS12_E10value_typeET2_T3_PNS13_IS18_E10value_typeET4_jRbjT5_S1E_jjP12ihipStream_tbEUljE_ZNSN_ISO_Lb0ESQ_SR_ST_SU_SY_EESZ_S10_S11_S12_S16_S17_S18_S1B_S1C_jS1D_jS1E_S1E_jjS1G_bEUljE0_EEESZ_S10_S11_S18_S1C_S1E_T6_T7_T9_mT8_S1G_bDpT10_ENKUlT_T0_E_clISt17integral_constantIbLb1EES1U_EEDaS1P_S1Q_EUlS1P_E_NS1_11comp_targetILNS1_3genE8ELNS1_11target_archE1030ELNS1_3gpuE2ELNS1_3repE0EEENS1_30default_config_static_selectorELNS0_4arch9wavefront6targetE1EEEvS12_: ; @_ZN7rocprim17ROCPRIM_400000_NS6detail17trampoline_kernelINS0_13select_configILj256ELj13ELNS0_17block_load_methodE3ELS4_3ELS4_3ELNS0_20block_scan_algorithmE0ELj4294967295EEENS1_25partition_config_selectorILNS1_17partition_subalgoE4EjNS0_10empty_typeEbEEZZNS1_14partition_implILS8_4ELb0ES6_15HIP_vector_typeIjLj2EENS0_17counting_iteratorIjlEEPS9_SG_NS0_5tupleIJPjSI_NS0_16reverse_iteratorISI_EEEEENSH_IJSG_SG_SG_EEES9_SI_JZNS1_25segmented_radix_sort_implINS0_14default_configELb0EPKsPsPKlPlN2at6native12_GLOBAL__N_18offset_tEEE10hipError_tPvRmT1_PNSt15iterator_traitsIS12_E10value_typeET2_T3_PNS13_IS18_E10value_typeET4_jRbjT5_S1E_jjP12ihipStream_tbEUljE_ZNSN_ISO_Lb0ESQ_SR_ST_SU_SY_EESZ_S10_S11_S12_S16_S17_S18_S1B_S1C_jS1D_jS1E_S1E_jjS1G_bEUljE0_EEESZ_S10_S11_S18_S1C_S1E_T6_T7_T9_mT8_S1G_bDpT10_ENKUlT_T0_E_clISt17integral_constantIbLb1EES1U_EEDaS1P_S1Q_EUlS1P_E_NS1_11comp_targetILNS1_3genE8ELNS1_11target_archE1030ELNS1_3gpuE2ELNS1_3repE0EEENS1_30default_config_static_selectorELNS0_4arch9wavefront6targetE1EEEvS12_
; %bb.0:
	.section	.rodata,"a",@progbits
	.p2align	6, 0x0
	.amdhsa_kernel _ZN7rocprim17ROCPRIM_400000_NS6detail17trampoline_kernelINS0_13select_configILj256ELj13ELNS0_17block_load_methodE3ELS4_3ELS4_3ELNS0_20block_scan_algorithmE0ELj4294967295EEENS1_25partition_config_selectorILNS1_17partition_subalgoE4EjNS0_10empty_typeEbEEZZNS1_14partition_implILS8_4ELb0ES6_15HIP_vector_typeIjLj2EENS0_17counting_iteratorIjlEEPS9_SG_NS0_5tupleIJPjSI_NS0_16reverse_iteratorISI_EEEEENSH_IJSG_SG_SG_EEES9_SI_JZNS1_25segmented_radix_sort_implINS0_14default_configELb0EPKsPsPKlPlN2at6native12_GLOBAL__N_18offset_tEEE10hipError_tPvRmT1_PNSt15iterator_traitsIS12_E10value_typeET2_T3_PNS13_IS18_E10value_typeET4_jRbjT5_S1E_jjP12ihipStream_tbEUljE_ZNSN_ISO_Lb0ESQ_SR_ST_SU_SY_EESZ_S10_S11_S12_S16_S17_S18_S1B_S1C_jS1D_jS1E_S1E_jjS1G_bEUljE0_EEESZ_S10_S11_S18_S1C_S1E_T6_T7_T9_mT8_S1G_bDpT10_ENKUlT_T0_E_clISt17integral_constantIbLb1EES1U_EEDaS1P_S1Q_EUlS1P_E_NS1_11comp_targetILNS1_3genE8ELNS1_11target_archE1030ELNS1_3gpuE2ELNS1_3repE0EEENS1_30default_config_static_selectorELNS0_4arch9wavefront6targetE1EEEvS12_
		.amdhsa_group_segment_fixed_size 0
		.amdhsa_private_segment_fixed_size 0
		.amdhsa_kernarg_size 184
		.amdhsa_user_sgpr_count 6
		.amdhsa_user_sgpr_private_segment_buffer 1
		.amdhsa_user_sgpr_dispatch_ptr 0
		.amdhsa_user_sgpr_queue_ptr 0
		.amdhsa_user_sgpr_kernarg_segment_ptr 1
		.amdhsa_user_sgpr_dispatch_id 0
		.amdhsa_user_sgpr_flat_scratch_init 0
		.amdhsa_user_sgpr_kernarg_preload_length 0
		.amdhsa_user_sgpr_kernarg_preload_offset 0
		.amdhsa_user_sgpr_private_segment_size 0
		.amdhsa_uses_dynamic_stack 0
		.amdhsa_system_sgpr_private_segment_wavefront_offset 0
		.amdhsa_system_sgpr_workgroup_id_x 1
		.amdhsa_system_sgpr_workgroup_id_y 0
		.amdhsa_system_sgpr_workgroup_id_z 0
		.amdhsa_system_sgpr_workgroup_info 0
		.amdhsa_system_vgpr_workitem_id 0
		.amdhsa_next_free_vgpr 1
		.amdhsa_next_free_sgpr 0
		.amdhsa_accum_offset 4
		.amdhsa_reserve_vcc 0
		.amdhsa_reserve_flat_scratch 0
		.amdhsa_float_round_mode_32 0
		.amdhsa_float_round_mode_16_64 0
		.amdhsa_float_denorm_mode_32 3
		.amdhsa_float_denorm_mode_16_64 3
		.amdhsa_dx10_clamp 1
		.amdhsa_ieee_mode 1
		.amdhsa_fp16_overflow 0
		.amdhsa_tg_split 0
		.amdhsa_exception_fp_ieee_invalid_op 0
		.amdhsa_exception_fp_denorm_src 0
		.amdhsa_exception_fp_ieee_div_zero 0
		.amdhsa_exception_fp_ieee_overflow 0
		.amdhsa_exception_fp_ieee_underflow 0
		.amdhsa_exception_fp_ieee_inexact 0
		.amdhsa_exception_int_div_zero 0
	.end_amdhsa_kernel
	.section	.text._ZN7rocprim17ROCPRIM_400000_NS6detail17trampoline_kernelINS0_13select_configILj256ELj13ELNS0_17block_load_methodE3ELS4_3ELS4_3ELNS0_20block_scan_algorithmE0ELj4294967295EEENS1_25partition_config_selectorILNS1_17partition_subalgoE4EjNS0_10empty_typeEbEEZZNS1_14partition_implILS8_4ELb0ES6_15HIP_vector_typeIjLj2EENS0_17counting_iteratorIjlEEPS9_SG_NS0_5tupleIJPjSI_NS0_16reverse_iteratorISI_EEEEENSH_IJSG_SG_SG_EEES9_SI_JZNS1_25segmented_radix_sort_implINS0_14default_configELb0EPKsPsPKlPlN2at6native12_GLOBAL__N_18offset_tEEE10hipError_tPvRmT1_PNSt15iterator_traitsIS12_E10value_typeET2_T3_PNS13_IS18_E10value_typeET4_jRbjT5_S1E_jjP12ihipStream_tbEUljE_ZNSN_ISO_Lb0ESQ_SR_ST_SU_SY_EESZ_S10_S11_S12_S16_S17_S18_S1B_S1C_jS1D_jS1E_S1E_jjS1G_bEUljE0_EEESZ_S10_S11_S18_S1C_S1E_T6_T7_T9_mT8_S1G_bDpT10_ENKUlT_T0_E_clISt17integral_constantIbLb1EES1U_EEDaS1P_S1Q_EUlS1P_E_NS1_11comp_targetILNS1_3genE8ELNS1_11target_archE1030ELNS1_3gpuE2ELNS1_3repE0EEENS1_30default_config_static_selectorELNS0_4arch9wavefront6targetE1EEEvS12_,"axG",@progbits,_ZN7rocprim17ROCPRIM_400000_NS6detail17trampoline_kernelINS0_13select_configILj256ELj13ELNS0_17block_load_methodE3ELS4_3ELS4_3ELNS0_20block_scan_algorithmE0ELj4294967295EEENS1_25partition_config_selectorILNS1_17partition_subalgoE4EjNS0_10empty_typeEbEEZZNS1_14partition_implILS8_4ELb0ES6_15HIP_vector_typeIjLj2EENS0_17counting_iteratorIjlEEPS9_SG_NS0_5tupleIJPjSI_NS0_16reverse_iteratorISI_EEEEENSH_IJSG_SG_SG_EEES9_SI_JZNS1_25segmented_radix_sort_implINS0_14default_configELb0EPKsPsPKlPlN2at6native12_GLOBAL__N_18offset_tEEE10hipError_tPvRmT1_PNSt15iterator_traitsIS12_E10value_typeET2_T3_PNS13_IS18_E10value_typeET4_jRbjT5_S1E_jjP12ihipStream_tbEUljE_ZNSN_ISO_Lb0ESQ_SR_ST_SU_SY_EESZ_S10_S11_S12_S16_S17_S18_S1B_S1C_jS1D_jS1E_S1E_jjS1G_bEUljE0_EEESZ_S10_S11_S18_S1C_S1E_T6_T7_T9_mT8_S1G_bDpT10_ENKUlT_T0_E_clISt17integral_constantIbLb1EES1U_EEDaS1P_S1Q_EUlS1P_E_NS1_11comp_targetILNS1_3genE8ELNS1_11target_archE1030ELNS1_3gpuE2ELNS1_3repE0EEENS1_30default_config_static_selectorELNS0_4arch9wavefront6targetE1EEEvS12_,comdat
.Lfunc_end964:
	.size	_ZN7rocprim17ROCPRIM_400000_NS6detail17trampoline_kernelINS0_13select_configILj256ELj13ELNS0_17block_load_methodE3ELS4_3ELS4_3ELNS0_20block_scan_algorithmE0ELj4294967295EEENS1_25partition_config_selectorILNS1_17partition_subalgoE4EjNS0_10empty_typeEbEEZZNS1_14partition_implILS8_4ELb0ES6_15HIP_vector_typeIjLj2EENS0_17counting_iteratorIjlEEPS9_SG_NS0_5tupleIJPjSI_NS0_16reverse_iteratorISI_EEEEENSH_IJSG_SG_SG_EEES9_SI_JZNS1_25segmented_radix_sort_implINS0_14default_configELb0EPKsPsPKlPlN2at6native12_GLOBAL__N_18offset_tEEE10hipError_tPvRmT1_PNSt15iterator_traitsIS12_E10value_typeET2_T3_PNS13_IS18_E10value_typeET4_jRbjT5_S1E_jjP12ihipStream_tbEUljE_ZNSN_ISO_Lb0ESQ_SR_ST_SU_SY_EESZ_S10_S11_S12_S16_S17_S18_S1B_S1C_jS1D_jS1E_S1E_jjS1G_bEUljE0_EEESZ_S10_S11_S18_S1C_S1E_T6_T7_T9_mT8_S1G_bDpT10_ENKUlT_T0_E_clISt17integral_constantIbLb1EES1U_EEDaS1P_S1Q_EUlS1P_E_NS1_11comp_targetILNS1_3genE8ELNS1_11target_archE1030ELNS1_3gpuE2ELNS1_3repE0EEENS1_30default_config_static_selectorELNS0_4arch9wavefront6targetE1EEEvS12_, .Lfunc_end964-_ZN7rocprim17ROCPRIM_400000_NS6detail17trampoline_kernelINS0_13select_configILj256ELj13ELNS0_17block_load_methodE3ELS4_3ELS4_3ELNS0_20block_scan_algorithmE0ELj4294967295EEENS1_25partition_config_selectorILNS1_17partition_subalgoE4EjNS0_10empty_typeEbEEZZNS1_14partition_implILS8_4ELb0ES6_15HIP_vector_typeIjLj2EENS0_17counting_iteratorIjlEEPS9_SG_NS0_5tupleIJPjSI_NS0_16reverse_iteratorISI_EEEEENSH_IJSG_SG_SG_EEES9_SI_JZNS1_25segmented_radix_sort_implINS0_14default_configELb0EPKsPsPKlPlN2at6native12_GLOBAL__N_18offset_tEEE10hipError_tPvRmT1_PNSt15iterator_traitsIS12_E10value_typeET2_T3_PNS13_IS18_E10value_typeET4_jRbjT5_S1E_jjP12ihipStream_tbEUljE_ZNSN_ISO_Lb0ESQ_SR_ST_SU_SY_EESZ_S10_S11_S12_S16_S17_S18_S1B_S1C_jS1D_jS1E_S1E_jjS1G_bEUljE0_EEESZ_S10_S11_S18_S1C_S1E_T6_T7_T9_mT8_S1G_bDpT10_ENKUlT_T0_E_clISt17integral_constantIbLb1EES1U_EEDaS1P_S1Q_EUlS1P_E_NS1_11comp_targetILNS1_3genE8ELNS1_11target_archE1030ELNS1_3gpuE2ELNS1_3repE0EEENS1_30default_config_static_selectorELNS0_4arch9wavefront6targetE1EEEvS12_
                                        ; -- End function
	.section	.AMDGPU.csdata,"",@progbits
; Kernel info:
; codeLenInByte = 0
; NumSgprs: 4
; NumVgprs: 0
; NumAgprs: 0
; TotalNumVgprs: 0
; ScratchSize: 0
; MemoryBound: 0
; FloatMode: 240
; IeeeMode: 1
; LDSByteSize: 0 bytes/workgroup (compile time only)
; SGPRBlocks: 0
; VGPRBlocks: 0
; NumSGPRsForWavesPerEU: 4
; NumVGPRsForWavesPerEU: 1
; AccumOffset: 4
; Occupancy: 8
; WaveLimiterHint : 0
; COMPUTE_PGM_RSRC2:SCRATCH_EN: 0
; COMPUTE_PGM_RSRC2:USER_SGPR: 6
; COMPUTE_PGM_RSRC2:TRAP_HANDLER: 0
; COMPUTE_PGM_RSRC2:TGID_X_EN: 1
; COMPUTE_PGM_RSRC2:TGID_Y_EN: 0
; COMPUTE_PGM_RSRC2:TGID_Z_EN: 0
; COMPUTE_PGM_RSRC2:TIDIG_COMP_CNT: 0
; COMPUTE_PGM_RSRC3_GFX90A:ACCUM_OFFSET: 0
; COMPUTE_PGM_RSRC3_GFX90A:TG_SPLIT: 0
	.section	.text._ZN7rocprim17ROCPRIM_400000_NS6detail17trampoline_kernelINS0_13select_configILj256ELj13ELNS0_17block_load_methodE3ELS4_3ELS4_3ELNS0_20block_scan_algorithmE0ELj4294967295EEENS1_25partition_config_selectorILNS1_17partition_subalgoE4EjNS0_10empty_typeEbEEZZNS1_14partition_implILS8_4ELb0ES6_15HIP_vector_typeIjLj2EENS0_17counting_iteratorIjlEEPS9_SG_NS0_5tupleIJPjSI_NS0_16reverse_iteratorISI_EEEEENSH_IJSG_SG_SG_EEES9_SI_JZNS1_25segmented_radix_sort_implINS0_14default_configELb0EPKsPsPKlPlN2at6native12_GLOBAL__N_18offset_tEEE10hipError_tPvRmT1_PNSt15iterator_traitsIS12_E10value_typeET2_T3_PNS13_IS18_E10value_typeET4_jRbjT5_S1E_jjP12ihipStream_tbEUljE_ZNSN_ISO_Lb0ESQ_SR_ST_SU_SY_EESZ_S10_S11_S12_S16_S17_S18_S1B_S1C_jS1D_jS1E_S1E_jjS1G_bEUljE0_EEESZ_S10_S11_S18_S1C_S1E_T6_T7_T9_mT8_S1G_bDpT10_ENKUlT_T0_E_clISt17integral_constantIbLb1EES1T_IbLb0EEEEDaS1P_S1Q_EUlS1P_E_NS1_11comp_targetILNS1_3genE0ELNS1_11target_archE4294967295ELNS1_3gpuE0ELNS1_3repE0EEENS1_30default_config_static_selectorELNS0_4arch9wavefront6targetE1EEEvS12_,"axG",@progbits,_ZN7rocprim17ROCPRIM_400000_NS6detail17trampoline_kernelINS0_13select_configILj256ELj13ELNS0_17block_load_methodE3ELS4_3ELS4_3ELNS0_20block_scan_algorithmE0ELj4294967295EEENS1_25partition_config_selectorILNS1_17partition_subalgoE4EjNS0_10empty_typeEbEEZZNS1_14partition_implILS8_4ELb0ES6_15HIP_vector_typeIjLj2EENS0_17counting_iteratorIjlEEPS9_SG_NS0_5tupleIJPjSI_NS0_16reverse_iteratorISI_EEEEENSH_IJSG_SG_SG_EEES9_SI_JZNS1_25segmented_radix_sort_implINS0_14default_configELb0EPKsPsPKlPlN2at6native12_GLOBAL__N_18offset_tEEE10hipError_tPvRmT1_PNSt15iterator_traitsIS12_E10value_typeET2_T3_PNS13_IS18_E10value_typeET4_jRbjT5_S1E_jjP12ihipStream_tbEUljE_ZNSN_ISO_Lb0ESQ_SR_ST_SU_SY_EESZ_S10_S11_S12_S16_S17_S18_S1B_S1C_jS1D_jS1E_S1E_jjS1G_bEUljE0_EEESZ_S10_S11_S18_S1C_S1E_T6_T7_T9_mT8_S1G_bDpT10_ENKUlT_T0_E_clISt17integral_constantIbLb1EES1T_IbLb0EEEEDaS1P_S1Q_EUlS1P_E_NS1_11comp_targetILNS1_3genE0ELNS1_11target_archE4294967295ELNS1_3gpuE0ELNS1_3repE0EEENS1_30default_config_static_selectorELNS0_4arch9wavefront6targetE1EEEvS12_,comdat
	.globl	_ZN7rocprim17ROCPRIM_400000_NS6detail17trampoline_kernelINS0_13select_configILj256ELj13ELNS0_17block_load_methodE3ELS4_3ELS4_3ELNS0_20block_scan_algorithmE0ELj4294967295EEENS1_25partition_config_selectorILNS1_17partition_subalgoE4EjNS0_10empty_typeEbEEZZNS1_14partition_implILS8_4ELb0ES6_15HIP_vector_typeIjLj2EENS0_17counting_iteratorIjlEEPS9_SG_NS0_5tupleIJPjSI_NS0_16reverse_iteratorISI_EEEEENSH_IJSG_SG_SG_EEES9_SI_JZNS1_25segmented_radix_sort_implINS0_14default_configELb0EPKsPsPKlPlN2at6native12_GLOBAL__N_18offset_tEEE10hipError_tPvRmT1_PNSt15iterator_traitsIS12_E10value_typeET2_T3_PNS13_IS18_E10value_typeET4_jRbjT5_S1E_jjP12ihipStream_tbEUljE_ZNSN_ISO_Lb0ESQ_SR_ST_SU_SY_EESZ_S10_S11_S12_S16_S17_S18_S1B_S1C_jS1D_jS1E_S1E_jjS1G_bEUljE0_EEESZ_S10_S11_S18_S1C_S1E_T6_T7_T9_mT8_S1G_bDpT10_ENKUlT_T0_E_clISt17integral_constantIbLb1EES1T_IbLb0EEEEDaS1P_S1Q_EUlS1P_E_NS1_11comp_targetILNS1_3genE0ELNS1_11target_archE4294967295ELNS1_3gpuE0ELNS1_3repE0EEENS1_30default_config_static_selectorELNS0_4arch9wavefront6targetE1EEEvS12_ ; -- Begin function _ZN7rocprim17ROCPRIM_400000_NS6detail17trampoline_kernelINS0_13select_configILj256ELj13ELNS0_17block_load_methodE3ELS4_3ELS4_3ELNS0_20block_scan_algorithmE0ELj4294967295EEENS1_25partition_config_selectorILNS1_17partition_subalgoE4EjNS0_10empty_typeEbEEZZNS1_14partition_implILS8_4ELb0ES6_15HIP_vector_typeIjLj2EENS0_17counting_iteratorIjlEEPS9_SG_NS0_5tupleIJPjSI_NS0_16reverse_iteratorISI_EEEEENSH_IJSG_SG_SG_EEES9_SI_JZNS1_25segmented_radix_sort_implINS0_14default_configELb0EPKsPsPKlPlN2at6native12_GLOBAL__N_18offset_tEEE10hipError_tPvRmT1_PNSt15iterator_traitsIS12_E10value_typeET2_T3_PNS13_IS18_E10value_typeET4_jRbjT5_S1E_jjP12ihipStream_tbEUljE_ZNSN_ISO_Lb0ESQ_SR_ST_SU_SY_EESZ_S10_S11_S12_S16_S17_S18_S1B_S1C_jS1D_jS1E_S1E_jjS1G_bEUljE0_EEESZ_S10_S11_S18_S1C_S1E_T6_T7_T9_mT8_S1G_bDpT10_ENKUlT_T0_E_clISt17integral_constantIbLb1EES1T_IbLb0EEEEDaS1P_S1Q_EUlS1P_E_NS1_11comp_targetILNS1_3genE0ELNS1_11target_archE4294967295ELNS1_3gpuE0ELNS1_3repE0EEENS1_30default_config_static_selectorELNS0_4arch9wavefront6targetE1EEEvS12_
	.p2align	8
	.type	_ZN7rocprim17ROCPRIM_400000_NS6detail17trampoline_kernelINS0_13select_configILj256ELj13ELNS0_17block_load_methodE3ELS4_3ELS4_3ELNS0_20block_scan_algorithmE0ELj4294967295EEENS1_25partition_config_selectorILNS1_17partition_subalgoE4EjNS0_10empty_typeEbEEZZNS1_14partition_implILS8_4ELb0ES6_15HIP_vector_typeIjLj2EENS0_17counting_iteratorIjlEEPS9_SG_NS0_5tupleIJPjSI_NS0_16reverse_iteratorISI_EEEEENSH_IJSG_SG_SG_EEES9_SI_JZNS1_25segmented_radix_sort_implINS0_14default_configELb0EPKsPsPKlPlN2at6native12_GLOBAL__N_18offset_tEEE10hipError_tPvRmT1_PNSt15iterator_traitsIS12_E10value_typeET2_T3_PNS13_IS18_E10value_typeET4_jRbjT5_S1E_jjP12ihipStream_tbEUljE_ZNSN_ISO_Lb0ESQ_SR_ST_SU_SY_EESZ_S10_S11_S12_S16_S17_S18_S1B_S1C_jS1D_jS1E_S1E_jjS1G_bEUljE0_EEESZ_S10_S11_S18_S1C_S1E_T6_T7_T9_mT8_S1G_bDpT10_ENKUlT_T0_E_clISt17integral_constantIbLb1EES1T_IbLb0EEEEDaS1P_S1Q_EUlS1P_E_NS1_11comp_targetILNS1_3genE0ELNS1_11target_archE4294967295ELNS1_3gpuE0ELNS1_3repE0EEENS1_30default_config_static_selectorELNS0_4arch9wavefront6targetE1EEEvS12_,@function
_ZN7rocprim17ROCPRIM_400000_NS6detail17trampoline_kernelINS0_13select_configILj256ELj13ELNS0_17block_load_methodE3ELS4_3ELS4_3ELNS0_20block_scan_algorithmE0ELj4294967295EEENS1_25partition_config_selectorILNS1_17partition_subalgoE4EjNS0_10empty_typeEbEEZZNS1_14partition_implILS8_4ELb0ES6_15HIP_vector_typeIjLj2EENS0_17counting_iteratorIjlEEPS9_SG_NS0_5tupleIJPjSI_NS0_16reverse_iteratorISI_EEEEENSH_IJSG_SG_SG_EEES9_SI_JZNS1_25segmented_radix_sort_implINS0_14default_configELb0EPKsPsPKlPlN2at6native12_GLOBAL__N_18offset_tEEE10hipError_tPvRmT1_PNSt15iterator_traitsIS12_E10value_typeET2_T3_PNS13_IS18_E10value_typeET4_jRbjT5_S1E_jjP12ihipStream_tbEUljE_ZNSN_ISO_Lb0ESQ_SR_ST_SU_SY_EESZ_S10_S11_S12_S16_S17_S18_S1B_S1C_jS1D_jS1E_S1E_jjS1G_bEUljE0_EEESZ_S10_S11_S18_S1C_S1E_T6_T7_T9_mT8_S1G_bDpT10_ENKUlT_T0_E_clISt17integral_constantIbLb1EES1T_IbLb0EEEEDaS1P_S1Q_EUlS1P_E_NS1_11comp_targetILNS1_3genE0ELNS1_11target_archE4294967295ELNS1_3gpuE0ELNS1_3repE0EEENS1_30default_config_static_selectorELNS0_4arch9wavefront6targetE1EEEvS12_: ; @_ZN7rocprim17ROCPRIM_400000_NS6detail17trampoline_kernelINS0_13select_configILj256ELj13ELNS0_17block_load_methodE3ELS4_3ELS4_3ELNS0_20block_scan_algorithmE0ELj4294967295EEENS1_25partition_config_selectorILNS1_17partition_subalgoE4EjNS0_10empty_typeEbEEZZNS1_14partition_implILS8_4ELb0ES6_15HIP_vector_typeIjLj2EENS0_17counting_iteratorIjlEEPS9_SG_NS0_5tupleIJPjSI_NS0_16reverse_iteratorISI_EEEEENSH_IJSG_SG_SG_EEES9_SI_JZNS1_25segmented_radix_sort_implINS0_14default_configELb0EPKsPsPKlPlN2at6native12_GLOBAL__N_18offset_tEEE10hipError_tPvRmT1_PNSt15iterator_traitsIS12_E10value_typeET2_T3_PNS13_IS18_E10value_typeET4_jRbjT5_S1E_jjP12ihipStream_tbEUljE_ZNSN_ISO_Lb0ESQ_SR_ST_SU_SY_EESZ_S10_S11_S12_S16_S17_S18_S1B_S1C_jS1D_jS1E_S1E_jjS1G_bEUljE0_EEESZ_S10_S11_S18_S1C_S1E_T6_T7_T9_mT8_S1G_bDpT10_ENKUlT_T0_E_clISt17integral_constantIbLb1EES1T_IbLb0EEEEDaS1P_S1Q_EUlS1P_E_NS1_11comp_targetILNS1_3genE0ELNS1_11target_archE4294967295ELNS1_3gpuE0ELNS1_3repE0EEENS1_30default_config_static_selectorELNS0_4arch9wavefront6targetE1EEEvS12_
; %bb.0:
	.section	.rodata,"a",@progbits
	.p2align	6, 0x0
	.amdhsa_kernel _ZN7rocprim17ROCPRIM_400000_NS6detail17trampoline_kernelINS0_13select_configILj256ELj13ELNS0_17block_load_methodE3ELS4_3ELS4_3ELNS0_20block_scan_algorithmE0ELj4294967295EEENS1_25partition_config_selectorILNS1_17partition_subalgoE4EjNS0_10empty_typeEbEEZZNS1_14partition_implILS8_4ELb0ES6_15HIP_vector_typeIjLj2EENS0_17counting_iteratorIjlEEPS9_SG_NS0_5tupleIJPjSI_NS0_16reverse_iteratorISI_EEEEENSH_IJSG_SG_SG_EEES9_SI_JZNS1_25segmented_radix_sort_implINS0_14default_configELb0EPKsPsPKlPlN2at6native12_GLOBAL__N_18offset_tEEE10hipError_tPvRmT1_PNSt15iterator_traitsIS12_E10value_typeET2_T3_PNS13_IS18_E10value_typeET4_jRbjT5_S1E_jjP12ihipStream_tbEUljE_ZNSN_ISO_Lb0ESQ_SR_ST_SU_SY_EESZ_S10_S11_S12_S16_S17_S18_S1B_S1C_jS1D_jS1E_S1E_jjS1G_bEUljE0_EEESZ_S10_S11_S18_S1C_S1E_T6_T7_T9_mT8_S1G_bDpT10_ENKUlT_T0_E_clISt17integral_constantIbLb1EES1T_IbLb0EEEEDaS1P_S1Q_EUlS1P_E_NS1_11comp_targetILNS1_3genE0ELNS1_11target_archE4294967295ELNS1_3gpuE0ELNS1_3repE0EEENS1_30default_config_static_selectorELNS0_4arch9wavefront6targetE1EEEvS12_
		.amdhsa_group_segment_fixed_size 0
		.amdhsa_private_segment_fixed_size 0
		.amdhsa_kernarg_size 176
		.amdhsa_user_sgpr_count 6
		.amdhsa_user_sgpr_private_segment_buffer 1
		.amdhsa_user_sgpr_dispatch_ptr 0
		.amdhsa_user_sgpr_queue_ptr 0
		.amdhsa_user_sgpr_kernarg_segment_ptr 1
		.amdhsa_user_sgpr_dispatch_id 0
		.amdhsa_user_sgpr_flat_scratch_init 0
		.amdhsa_user_sgpr_kernarg_preload_length 0
		.amdhsa_user_sgpr_kernarg_preload_offset 0
		.amdhsa_user_sgpr_private_segment_size 0
		.amdhsa_uses_dynamic_stack 0
		.amdhsa_system_sgpr_private_segment_wavefront_offset 0
		.amdhsa_system_sgpr_workgroup_id_x 1
		.amdhsa_system_sgpr_workgroup_id_y 0
		.amdhsa_system_sgpr_workgroup_id_z 0
		.amdhsa_system_sgpr_workgroup_info 0
		.amdhsa_system_vgpr_workitem_id 0
		.amdhsa_next_free_vgpr 1
		.amdhsa_next_free_sgpr 0
		.amdhsa_accum_offset 4
		.amdhsa_reserve_vcc 0
		.amdhsa_reserve_flat_scratch 0
		.amdhsa_float_round_mode_32 0
		.amdhsa_float_round_mode_16_64 0
		.amdhsa_float_denorm_mode_32 3
		.amdhsa_float_denorm_mode_16_64 3
		.amdhsa_dx10_clamp 1
		.amdhsa_ieee_mode 1
		.amdhsa_fp16_overflow 0
		.amdhsa_tg_split 0
		.amdhsa_exception_fp_ieee_invalid_op 0
		.amdhsa_exception_fp_denorm_src 0
		.amdhsa_exception_fp_ieee_div_zero 0
		.amdhsa_exception_fp_ieee_overflow 0
		.amdhsa_exception_fp_ieee_underflow 0
		.amdhsa_exception_fp_ieee_inexact 0
		.amdhsa_exception_int_div_zero 0
	.end_amdhsa_kernel
	.section	.text._ZN7rocprim17ROCPRIM_400000_NS6detail17trampoline_kernelINS0_13select_configILj256ELj13ELNS0_17block_load_methodE3ELS4_3ELS4_3ELNS0_20block_scan_algorithmE0ELj4294967295EEENS1_25partition_config_selectorILNS1_17partition_subalgoE4EjNS0_10empty_typeEbEEZZNS1_14partition_implILS8_4ELb0ES6_15HIP_vector_typeIjLj2EENS0_17counting_iteratorIjlEEPS9_SG_NS0_5tupleIJPjSI_NS0_16reverse_iteratorISI_EEEEENSH_IJSG_SG_SG_EEES9_SI_JZNS1_25segmented_radix_sort_implINS0_14default_configELb0EPKsPsPKlPlN2at6native12_GLOBAL__N_18offset_tEEE10hipError_tPvRmT1_PNSt15iterator_traitsIS12_E10value_typeET2_T3_PNS13_IS18_E10value_typeET4_jRbjT5_S1E_jjP12ihipStream_tbEUljE_ZNSN_ISO_Lb0ESQ_SR_ST_SU_SY_EESZ_S10_S11_S12_S16_S17_S18_S1B_S1C_jS1D_jS1E_S1E_jjS1G_bEUljE0_EEESZ_S10_S11_S18_S1C_S1E_T6_T7_T9_mT8_S1G_bDpT10_ENKUlT_T0_E_clISt17integral_constantIbLb1EES1T_IbLb0EEEEDaS1P_S1Q_EUlS1P_E_NS1_11comp_targetILNS1_3genE0ELNS1_11target_archE4294967295ELNS1_3gpuE0ELNS1_3repE0EEENS1_30default_config_static_selectorELNS0_4arch9wavefront6targetE1EEEvS12_,"axG",@progbits,_ZN7rocprim17ROCPRIM_400000_NS6detail17trampoline_kernelINS0_13select_configILj256ELj13ELNS0_17block_load_methodE3ELS4_3ELS4_3ELNS0_20block_scan_algorithmE0ELj4294967295EEENS1_25partition_config_selectorILNS1_17partition_subalgoE4EjNS0_10empty_typeEbEEZZNS1_14partition_implILS8_4ELb0ES6_15HIP_vector_typeIjLj2EENS0_17counting_iteratorIjlEEPS9_SG_NS0_5tupleIJPjSI_NS0_16reverse_iteratorISI_EEEEENSH_IJSG_SG_SG_EEES9_SI_JZNS1_25segmented_radix_sort_implINS0_14default_configELb0EPKsPsPKlPlN2at6native12_GLOBAL__N_18offset_tEEE10hipError_tPvRmT1_PNSt15iterator_traitsIS12_E10value_typeET2_T3_PNS13_IS18_E10value_typeET4_jRbjT5_S1E_jjP12ihipStream_tbEUljE_ZNSN_ISO_Lb0ESQ_SR_ST_SU_SY_EESZ_S10_S11_S12_S16_S17_S18_S1B_S1C_jS1D_jS1E_S1E_jjS1G_bEUljE0_EEESZ_S10_S11_S18_S1C_S1E_T6_T7_T9_mT8_S1G_bDpT10_ENKUlT_T0_E_clISt17integral_constantIbLb1EES1T_IbLb0EEEEDaS1P_S1Q_EUlS1P_E_NS1_11comp_targetILNS1_3genE0ELNS1_11target_archE4294967295ELNS1_3gpuE0ELNS1_3repE0EEENS1_30default_config_static_selectorELNS0_4arch9wavefront6targetE1EEEvS12_,comdat
.Lfunc_end965:
	.size	_ZN7rocprim17ROCPRIM_400000_NS6detail17trampoline_kernelINS0_13select_configILj256ELj13ELNS0_17block_load_methodE3ELS4_3ELS4_3ELNS0_20block_scan_algorithmE0ELj4294967295EEENS1_25partition_config_selectorILNS1_17partition_subalgoE4EjNS0_10empty_typeEbEEZZNS1_14partition_implILS8_4ELb0ES6_15HIP_vector_typeIjLj2EENS0_17counting_iteratorIjlEEPS9_SG_NS0_5tupleIJPjSI_NS0_16reverse_iteratorISI_EEEEENSH_IJSG_SG_SG_EEES9_SI_JZNS1_25segmented_radix_sort_implINS0_14default_configELb0EPKsPsPKlPlN2at6native12_GLOBAL__N_18offset_tEEE10hipError_tPvRmT1_PNSt15iterator_traitsIS12_E10value_typeET2_T3_PNS13_IS18_E10value_typeET4_jRbjT5_S1E_jjP12ihipStream_tbEUljE_ZNSN_ISO_Lb0ESQ_SR_ST_SU_SY_EESZ_S10_S11_S12_S16_S17_S18_S1B_S1C_jS1D_jS1E_S1E_jjS1G_bEUljE0_EEESZ_S10_S11_S18_S1C_S1E_T6_T7_T9_mT8_S1G_bDpT10_ENKUlT_T0_E_clISt17integral_constantIbLb1EES1T_IbLb0EEEEDaS1P_S1Q_EUlS1P_E_NS1_11comp_targetILNS1_3genE0ELNS1_11target_archE4294967295ELNS1_3gpuE0ELNS1_3repE0EEENS1_30default_config_static_selectorELNS0_4arch9wavefront6targetE1EEEvS12_, .Lfunc_end965-_ZN7rocprim17ROCPRIM_400000_NS6detail17trampoline_kernelINS0_13select_configILj256ELj13ELNS0_17block_load_methodE3ELS4_3ELS4_3ELNS0_20block_scan_algorithmE0ELj4294967295EEENS1_25partition_config_selectorILNS1_17partition_subalgoE4EjNS0_10empty_typeEbEEZZNS1_14partition_implILS8_4ELb0ES6_15HIP_vector_typeIjLj2EENS0_17counting_iteratorIjlEEPS9_SG_NS0_5tupleIJPjSI_NS0_16reverse_iteratorISI_EEEEENSH_IJSG_SG_SG_EEES9_SI_JZNS1_25segmented_radix_sort_implINS0_14default_configELb0EPKsPsPKlPlN2at6native12_GLOBAL__N_18offset_tEEE10hipError_tPvRmT1_PNSt15iterator_traitsIS12_E10value_typeET2_T3_PNS13_IS18_E10value_typeET4_jRbjT5_S1E_jjP12ihipStream_tbEUljE_ZNSN_ISO_Lb0ESQ_SR_ST_SU_SY_EESZ_S10_S11_S12_S16_S17_S18_S1B_S1C_jS1D_jS1E_S1E_jjS1G_bEUljE0_EEESZ_S10_S11_S18_S1C_S1E_T6_T7_T9_mT8_S1G_bDpT10_ENKUlT_T0_E_clISt17integral_constantIbLb1EES1T_IbLb0EEEEDaS1P_S1Q_EUlS1P_E_NS1_11comp_targetILNS1_3genE0ELNS1_11target_archE4294967295ELNS1_3gpuE0ELNS1_3repE0EEENS1_30default_config_static_selectorELNS0_4arch9wavefront6targetE1EEEvS12_
                                        ; -- End function
	.section	.AMDGPU.csdata,"",@progbits
; Kernel info:
; codeLenInByte = 0
; NumSgprs: 4
; NumVgprs: 0
; NumAgprs: 0
; TotalNumVgprs: 0
; ScratchSize: 0
; MemoryBound: 0
; FloatMode: 240
; IeeeMode: 1
; LDSByteSize: 0 bytes/workgroup (compile time only)
; SGPRBlocks: 0
; VGPRBlocks: 0
; NumSGPRsForWavesPerEU: 4
; NumVGPRsForWavesPerEU: 1
; AccumOffset: 4
; Occupancy: 8
; WaveLimiterHint : 0
; COMPUTE_PGM_RSRC2:SCRATCH_EN: 0
; COMPUTE_PGM_RSRC2:USER_SGPR: 6
; COMPUTE_PGM_RSRC2:TRAP_HANDLER: 0
; COMPUTE_PGM_RSRC2:TGID_X_EN: 1
; COMPUTE_PGM_RSRC2:TGID_Y_EN: 0
; COMPUTE_PGM_RSRC2:TGID_Z_EN: 0
; COMPUTE_PGM_RSRC2:TIDIG_COMP_CNT: 0
; COMPUTE_PGM_RSRC3_GFX90A:ACCUM_OFFSET: 0
; COMPUTE_PGM_RSRC3_GFX90A:TG_SPLIT: 0
	.section	.text._ZN7rocprim17ROCPRIM_400000_NS6detail17trampoline_kernelINS0_13select_configILj256ELj13ELNS0_17block_load_methodE3ELS4_3ELS4_3ELNS0_20block_scan_algorithmE0ELj4294967295EEENS1_25partition_config_selectorILNS1_17partition_subalgoE4EjNS0_10empty_typeEbEEZZNS1_14partition_implILS8_4ELb0ES6_15HIP_vector_typeIjLj2EENS0_17counting_iteratorIjlEEPS9_SG_NS0_5tupleIJPjSI_NS0_16reverse_iteratorISI_EEEEENSH_IJSG_SG_SG_EEES9_SI_JZNS1_25segmented_radix_sort_implINS0_14default_configELb0EPKsPsPKlPlN2at6native12_GLOBAL__N_18offset_tEEE10hipError_tPvRmT1_PNSt15iterator_traitsIS12_E10value_typeET2_T3_PNS13_IS18_E10value_typeET4_jRbjT5_S1E_jjP12ihipStream_tbEUljE_ZNSN_ISO_Lb0ESQ_SR_ST_SU_SY_EESZ_S10_S11_S12_S16_S17_S18_S1B_S1C_jS1D_jS1E_S1E_jjS1G_bEUljE0_EEESZ_S10_S11_S18_S1C_S1E_T6_T7_T9_mT8_S1G_bDpT10_ENKUlT_T0_E_clISt17integral_constantIbLb1EES1T_IbLb0EEEEDaS1P_S1Q_EUlS1P_E_NS1_11comp_targetILNS1_3genE5ELNS1_11target_archE942ELNS1_3gpuE9ELNS1_3repE0EEENS1_30default_config_static_selectorELNS0_4arch9wavefront6targetE1EEEvS12_,"axG",@progbits,_ZN7rocprim17ROCPRIM_400000_NS6detail17trampoline_kernelINS0_13select_configILj256ELj13ELNS0_17block_load_methodE3ELS4_3ELS4_3ELNS0_20block_scan_algorithmE0ELj4294967295EEENS1_25partition_config_selectorILNS1_17partition_subalgoE4EjNS0_10empty_typeEbEEZZNS1_14partition_implILS8_4ELb0ES6_15HIP_vector_typeIjLj2EENS0_17counting_iteratorIjlEEPS9_SG_NS0_5tupleIJPjSI_NS0_16reverse_iteratorISI_EEEEENSH_IJSG_SG_SG_EEES9_SI_JZNS1_25segmented_radix_sort_implINS0_14default_configELb0EPKsPsPKlPlN2at6native12_GLOBAL__N_18offset_tEEE10hipError_tPvRmT1_PNSt15iterator_traitsIS12_E10value_typeET2_T3_PNS13_IS18_E10value_typeET4_jRbjT5_S1E_jjP12ihipStream_tbEUljE_ZNSN_ISO_Lb0ESQ_SR_ST_SU_SY_EESZ_S10_S11_S12_S16_S17_S18_S1B_S1C_jS1D_jS1E_S1E_jjS1G_bEUljE0_EEESZ_S10_S11_S18_S1C_S1E_T6_T7_T9_mT8_S1G_bDpT10_ENKUlT_T0_E_clISt17integral_constantIbLb1EES1T_IbLb0EEEEDaS1P_S1Q_EUlS1P_E_NS1_11comp_targetILNS1_3genE5ELNS1_11target_archE942ELNS1_3gpuE9ELNS1_3repE0EEENS1_30default_config_static_selectorELNS0_4arch9wavefront6targetE1EEEvS12_,comdat
	.globl	_ZN7rocprim17ROCPRIM_400000_NS6detail17trampoline_kernelINS0_13select_configILj256ELj13ELNS0_17block_load_methodE3ELS4_3ELS4_3ELNS0_20block_scan_algorithmE0ELj4294967295EEENS1_25partition_config_selectorILNS1_17partition_subalgoE4EjNS0_10empty_typeEbEEZZNS1_14partition_implILS8_4ELb0ES6_15HIP_vector_typeIjLj2EENS0_17counting_iteratorIjlEEPS9_SG_NS0_5tupleIJPjSI_NS0_16reverse_iteratorISI_EEEEENSH_IJSG_SG_SG_EEES9_SI_JZNS1_25segmented_radix_sort_implINS0_14default_configELb0EPKsPsPKlPlN2at6native12_GLOBAL__N_18offset_tEEE10hipError_tPvRmT1_PNSt15iterator_traitsIS12_E10value_typeET2_T3_PNS13_IS18_E10value_typeET4_jRbjT5_S1E_jjP12ihipStream_tbEUljE_ZNSN_ISO_Lb0ESQ_SR_ST_SU_SY_EESZ_S10_S11_S12_S16_S17_S18_S1B_S1C_jS1D_jS1E_S1E_jjS1G_bEUljE0_EEESZ_S10_S11_S18_S1C_S1E_T6_T7_T9_mT8_S1G_bDpT10_ENKUlT_T0_E_clISt17integral_constantIbLb1EES1T_IbLb0EEEEDaS1P_S1Q_EUlS1P_E_NS1_11comp_targetILNS1_3genE5ELNS1_11target_archE942ELNS1_3gpuE9ELNS1_3repE0EEENS1_30default_config_static_selectorELNS0_4arch9wavefront6targetE1EEEvS12_ ; -- Begin function _ZN7rocprim17ROCPRIM_400000_NS6detail17trampoline_kernelINS0_13select_configILj256ELj13ELNS0_17block_load_methodE3ELS4_3ELS4_3ELNS0_20block_scan_algorithmE0ELj4294967295EEENS1_25partition_config_selectorILNS1_17partition_subalgoE4EjNS0_10empty_typeEbEEZZNS1_14partition_implILS8_4ELb0ES6_15HIP_vector_typeIjLj2EENS0_17counting_iteratorIjlEEPS9_SG_NS0_5tupleIJPjSI_NS0_16reverse_iteratorISI_EEEEENSH_IJSG_SG_SG_EEES9_SI_JZNS1_25segmented_radix_sort_implINS0_14default_configELb0EPKsPsPKlPlN2at6native12_GLOBAL__N_18offset_tEEE10hipError_tPvRmT1_PNSt15iterator_traitsIS12_E10value_typeET2_T3_PNS13_IS18_E10value_typeET4_jRbjT5_S1E_jjP12ihipStream_tbEUljE_ZNSN_ISO_Lb0ESQ_SR_ST_SU_SY_EESZ_S10_S11_S12_S16_S17_S18_S1B_S1C_jS1D_jS1E_S1E_jjS1G_bEUljE0_EEESZ_S10_S11_S18_S1C_S1E_T6_T7_T9_mT8_S1G_bDpT10_ENKUlT_T0_E_clISt17integral_constantIbLb1EES1T_IbLb0EEEEDaS1P_S1Q_EUlS1P_E_NS1_11comp_targetILNS1_3genE5ELNS1_11target_archE942ELNS1_3gpuE9ELNS1_3repE0EEENS1_30default_config_static_selectorELNS0_4arch9wavefront6targetE1EEEvS12_
	.p2align	8
	.type	_ZN7rocprim17ROCPRIM_400000_NS6detail17trampoline_kernelINS0_13select_configILj256ELj13ELNS0_17block_load_methodE3ELS4_3ELS4_3ELNS0_20block_scan_algorithmE0ELj4294967295EEENS1_25partition_config_selectorILNS1_17partition_subalgoE4EjNS0_10empty_typeEbEEZZNS1_14partition_implILS8_4ELb0ES6_15HIP_vector_typeIjLj2EENS0_17counting_iteratorIjlEEPS9_SG_NS0_5tupleIJPjSI_NS0_16reverse_iteratorISI_EEEEENSH_IJSG_SG_SG_EEES9_SI_JZNS1_25segmented_radix_sort_implINS0_14default_configELb0EPKsPsPKlPlN2at6native12_GLOBAL__N_18offset_tEEE10hipError_tPvRmT1_PNSt15iterator_traitsIS12_E10value_typeET2_T3_PNS13_IS18_E10value_typeET4_jRbjT5_S1E_jjP12ihipStream_tbEUljE_ZNSN_ISO_Lb0ESQ_SR_ST_SU_SY_EESZ_S10_S11_S12_S16_S17_S18_S1B_S1C_jS1D_jS1E_S1E_jjS1G_bEUljE0_EEESZ_S10_S11_S18_S1C_S1E_T6_T7_T9_mT8_S1G_bDpT10_ENKUlT_T0_E_clISt17integral_constantIbLb1EES1T_IbLb0EEEEDaS1P_S1Q_EUlS1P_E_NS1_11comp_targetILNS1_3genE5ELNS1_11target_archE942ELNS1_3gpuE9ELNS1_3repE0EEENS1_30default_config_static_selectorELNS0_4arch9wavefront6targetE1EEEvS12_,@function
_ZN7rocprim17ROCPRIM_400000_NS6detail17trampoline_kernelINS0_13select_configILj256ELj13ELNS0_17block_load_methodE3ELS4_3ELS4_3ELNS0_20block_scan_algorithmE0ELj4294967295EEENS1_25partition_config_selectorILNS1_17partition_subalgoE4EjNS0_10empty_typeEbEEZZNS1_14partition_implILS8_4ELb0ES6_15HIP_vector_typeIjLj2EENS0_17counting_iteratorIjlEEPS9_SG_NS0_5tupleIJPjSI_NS0_16reverse_iteratorISI_EEEEENSH_IJSG_SG_SG_EEES9_SI_JZNS1_25segmented_radix_sort_implINS0_14default_configELb0EPKsPsPKlPlN2at6native12_GLOBAL__N_18offset_tEEE10hipError_tPvRmT1_PNSt15iterator_traitsIS12_E10value_typeET2_T3_PNS13_IS18_E10value_typeET4_jRbjT5_S1E_jjP12ihipStream_tbEUljE_ZNSN_ISO_Lb0ESQ_SR_ST_SU_SY_EESZ_S10_S11_S12_S16_S17_S18_S1B_S1C_jS1D_jS1E_S1E_jjS1G_bEUljE0_EEESZ_S10_S11_S18_S1C_S1E_T6_T7_T9_mT8_S1G_bDpT10_ENKUlT_T0_E_clISt17integral_constantIbLb1EES1T_IbLb0EEEEDaS1P_S1Q_EUlS1P_E_NS1_11comp_targetILNS1_3genE5ELNS1_11target_archE942ELNS1_3gpuE9ELNS1_3repE0EEENS1_30default_config_static_selectorELNS0_4arch9wavefront6targetE1EEEvS12_: ; @_ZN7rocprim17ROCPRIM_400000_NS6detail17trampoline_kernelINS0_13select_configILj256ELj13ELNS0_17block_load_methodE3ELS4_3ELS4_3ELNS0_20block_scan_algorithmE0ELj4294967295EEENS1_25partition_config_selectorILNS1_17partition_subalgoE4EjNS0_10empty_typeEbEEZZNS1_14partition_implILS8_4ELb0ES6_15HIP_vector_typeIjLj2EENS0_17counting_iteratorIjlEEPS9_SG_NS0_5tupleIJPjSI_NS0_16reverse_iteratorISI_EEEEENSH_IJSG_SG_SG_EEES9_SI_JZNS1_25segmented_radix_sort_implINS0_14default_configELb0EPKsPsPKlPlN2at6native12_GLOBAL__N_18offset_tEEE10hipError_tPvRmT1_PNSt15iterator_traitsIS12_E10value_typeET2_T3_PNS13_IS18_E10value_typeET4_jRbjT5_S1E_jjP12ihipStream_tbEUljE_ZNSN_ISO_Lb0ESQ_SR_ST_SU_SY_EESZ_S10_S11_S12_S16_S17_S18_S1B_S1C_jS1D_jS1E_S1E_jjS1G_bEUljE0_EEESZ_S10_S11_S18_S1C_S1E_T6_T7_T9_mT8_S1G_bDpT10_ENKUlT_T0_E_clISt17integral_constantIbLb1EES1T_IbLb0EEEEDaS1P_S1Q_EUlS1P_E_NS1_11comp_targetILNS1_3genE5ELNS1_11target_archE942ELNS1_3gpuE9ELNS1_3repE0EEENS1_30default_config_static_selectorELNS0_4arch9wavefront6targetE1EEEvS12_
; %bb.0:
	.section	.rodata,"a",@progbits
	.p2align	6, 0x0
	.amdhsa_kernel _ZN7rocprim17ROCPRIM_400000_NS6detail17trampoline_kernelINS0_13select_configILj256ELj13ELNS0_17block_load_methodE3ELS4_3ELS4_3ELNS0_20block_scan_algorithmE0ELj4294967295EEENS1_25partition_config_selectorILNS1_17partition_subalgoE4EjNS0_10empty_typeEbEEZZNS1_14partition_implILS8_4ELb0ES6_15HIP_vector_typeIjLj2EENS0_17counting_iteratorIjlEEPS9_SG_NS0_5tupleIJPjSI_NS0_16reverse_iteratorISI_EEEEENSH_IJSG_SG_SG_EEES9_SI_JZNS1_25segmented_radix_sort_implINS0_14default_configELb0EPKsPsPKlPlN2at6native12_GLOBAL__N_18offset_tEEE10hipError_tPvRmT1_PNSt15iterator_traitsIS12_E10value_typeET2_T3_PNS13_IS18_E10value_typeET4_jRbjT5_S1E_jjP12ihipStream_tbEUljE_ZNSN_ISO_Lb0ESQ_SR_ST_SU_SY_EESZ_S10_S11_S12_S16_S17_S18_S1B_S1C_jS1D_jS1E_S1E_jjS1G_bEUljE0_EEESZ_S10_S11_S18_S1C_S1E_T6_T7_T9_mT8_S1G_bDpT10_ENKUlT_T0_E_clISt17integral_constantIbLb1EES1T_IbLb0EEEEDaS1P_S1Q_EUlS1P_E_NS1_11comp_targetILNS1_3genE5ELNS1_11target_archE942ELNS1_3gpuE9ELNS1_3repE0EEENS1_30default_config_static_selectorELNS0_4arch9wavefront6targetE1EEEvS12_
		.amdhsa_group_segment_fixed_size 0
		.amdhsa_private_segment_fixed_size 0
		.amdhsa_kernarg_size 176
		.amdhsa_user_sgpr_count 6
		.amdhsa_user_sgpr_private_segment_buffer 1
		.amdhsa_user_sgpr_dispatch_ptr 0
		.amdhsa_user_sgpr_queue_ptr 0
		.amdhsa_user_sgpr_kernarg_segment_ptr 1
		.amdhsa_user_sgpr_dispatch_id 0
		.amdhsa_user_sgpr_flat_scratch_init 0
		.amdhsa_user_sgpr_kernarg_preload_length 0
		.amdhsa_user_sgpr_kernarg_preload_offset 0
		.amdhsa_user_sgpr_private_segment_size 0
		.amdhsa_uses_dynamic_stack 0
		.amdhsa_system_sgpr_private_segment_wavefront_offset 0
		.amdhsa_system_sgpr_workgroup_id_x 1
		.amdhsa_system_sgpr_workgroup_id_y 0
		.amdhsa_system_sgpr_workgroup_id_z 0
		.amdhsa_system_sgpr_workgroup_info 0
		.amdhsa_system_vgpr_workitem_id 0
		.amdhsa_next_free_vgpr 1
		.amdhsa_next_free_sgpr 0
		.amdhsa_accum_offset 4
		.amdhsa_reserve_vcc 0
		.amdhsa_reserve_flat_scratch 0
		.amdhsa_float_round_mode_32 0
		.amdhsa_float_round_mode_16_64 0
		.amdhsa_float_denorm_mode_32 3
		.amdhsa_float_denorm_mode_16_64 3
		.amdhsa_dx10_clamp 1
		.amdhsa_ieee_mode 1
		.amdhsa_fp16_overflow 0
		.amdhsa_tg_split 0
		.amdhsa_exception_fp_ieee_invalid_op 0
		.amdhsa_exception_fp_denorm_src 0
		.amdhsa_exception_fp_ieee_div_zero 0
		.amdhsa_exception_fp_ieee_overflow 0
		.amdhsa_exception_fp_ieee_underflow 0
		.amdhsa_exception_fp_ieee_inexact 0
		.amdhsa_exception_int_div_zero 0
	.end_amdhsa_kernel
	.section	.text._ZN7rocprim17ROCPRIM_400000_NS6detail17trampoline_kernelINS0_13select_configILj256ELj13ELNS0_17block_load_methodE3ELS4_3ELS4_3ELNS0_20block_scan_algorithmE0ELj4294967295EEENS1_25partition_config_selectorILNS1_17partition_subalgoE4EjNS0_10empty_typeEbEEZZNS1_14partition_implILS8_4ELb0ES6_15HIP_vector_typeIjLj2EENS0_17counting_iteratorIjlEEPS9_SG_NS0_5tupleIJPjSI_NS0_16reverse_iteratorISI_EEEEENSH_IJSG_SG_SG_EEES9_SI_JZNS1_25segmented_radix_sort_implINS0_14default_configELb0EPKsPsPKlPlN2at6native12_GLOBAL__N_18offset_tEEE10hipError_tPvRmT1_PNSt15iterator_traitsIS12_E10value_typeET2_T3_PNS13_IS18_E10value_typeET4_jRbjT5_S1E_jjP12ihipStream_tbEUljE_ZNSN_ISO_Lb0ESQ_SR_ST_SU_SY_EESZ_S10_S11_S12_S16_S17_S18_S1B_S1C_jS1D_jS1E_S1E_jjS1G_bEUljE0_EEESZ_S10_S11_S18_S1C_S1E_T6_T7_T9_mT8_S1G_bDpT10_ENKUlT_T0_E_clISt17integral_constantIbLb1EES1T_IbLb0EEEEDaS1P_S1Q_EUlS1P_E_NS1_11comp_targetILNS1_3genE5ELNS1_11target_archE942ELNS1_3gpuE9ELNS1_3repE0EEENS1_30default_config_static_selectorELNS0_4arch9wavefront6targetE1EEEvS12_,"axG",@progbits,_ZN7rocprim17ROCPRIM_400000_NS6detail17trampoline_kernelINS0_13select_configILj256ELj13ELNS0_17block_load_methodE3ELS4_3ELS4_3ELNS0_20block_scan_algorithmE0ELj4294967295EEENS1_25partition_config_selectorILNS1_17partition_subalgoE4EjNS0_10empty_typeEbEEZZNS1_14partition_implILS8_4ELb0ES6_15HIP_vector_typeIjLj2EENS0_17counting_iteratorIjlEEPS9_SG_NS0_5tupleIJPjSI_NS0_16reverse_iteratorISI_EEEEENSH_IJSG_SG_SG_EEES9_SI_JZNS1_25segmented_radix_sort_implINS0_14default_configELb0EPKsPsPKlPlN2at6native12_GLOBAL__N_18offset_tEEE10hipError_tPvRmT1_PNSt15iterator_traitsIS12_E10value_typeET2_T3_PNS13_IS18_E10value_typeET4_jRbjT5_S1E_jjP12ihipStream_tbEUljE_ZNSN_ISO_Lb0ESQ_SR_ST_SU_SY_EESZ_S10_S11_S12_S16_S17_S18_S1B_S1C_jS1D_jS1E_S1E_jjS1G_bEUljE0_EEESZ_S10_S11_S18_S1C_S1E_T6_T7_T9_mT8_S1G_bDpT10_ENKUlT_T0_E_clISt17integral_constantIbLb1EES1T_IbLb0EEEEDaS1P_S1Q_EUlS1P_E_NS1_11comp_targetILNS1_3genE5ELNS1_11target_archE942ELNS1_3gpuE9ELNS1_3repE0EEENS1_30default_config_static_selectorELNS0_4arch9wavefront6targetE1EEEvS12_,comdat
.Lfunc_end966:
	.size	_ZN7rocprim17ROCPRIM_400000_NS6detail17trampoline_kernelINS0_13select_configILj256ELj13ELNS0_17block_load_methodE3ELS4_3ELS4_3ELNS0_20block_scan_algorithmE0ELj4294967295EEENS1_25partition_config_selectorILNS1_17partition_subalgoE4EjNS0_10empty_typeEbEEZZNS1_14partition_implILS8_4ELb0ES6_15HIP_vector_typeIjLj2EENS0_17counting_iteratorIjlEEPS9_SG_NS0_5tupleIJPjSI_NS0_16reverse_iteratorISI_EEEEENSH_IJSG_SG_SG_EEES9_SI_JZNS1_25segmented_radix_sort_implINS0_14default_configELb0EPKsPsPKlPlN2at6native12_GLOBAL__N_18offset_tEEE10hipError_tPvRmT1_PNSt15iterator_traitsIS12_E10value_typeET2_T3_PNS13_IS18_E10value_typeET4_jRbjT5_S1E_jjP12ihipStream_tbEUljE_ZNSN_ISO_Lb0ESQ_SR_ST_SU_SY_EESZ_S10_S11_S12_S16_S17_S18_S1B_S1C_jS1D_jS1E_S1E_jjS1G_bEUljE0_EEESZ_S10_S11_S18_S1C_S1E_T6_T7_T9_mT8_S1G_bDpT10_ENKUlT_T0_E_clISt17integral_constantIbLb1EES1T_IbLb0EEEEDaS1P_S1Q_EUlS1P_E_NS1_11comp_targetILNS1_3genE5ELNS1_11target_archE942ELNS1_3gpuE9ELNS1_3repE0EEENS1_30default_config_static_selectorELNS0_4arch9wavefront6targetE1EEEvS12_, .Lfunc_end966-_ZN7rocprim17ROCPRIM_400000_NS6detail17trampoline_kernelINS0_13select_configILj256ELj13ELNS0_17block_load_methodE3ELS4_3ELS4_3ELNS0_20block_scan_algorithmE0ELj4294967295EEENS1_25partition_config_selectorILNS1_17partition_subalgoE4EjNS0_10empty_typeEbEEZZNS1_14partition_implILS8_4ELb0ES6_15HIP_vector_typeIjLj2EENS0_17counting_iteratorIjlEEPS9_SG_NS0_5tupleIJPjSI_NS0_16reverse_iteratorISI_EEEEENSH_IJSG_SG_SG_EEES9_SI_JZNS1_25segmented_radix_sort_implINS0_14default_configELb0EPKsPsPKlPlN2at6native12_GLOBAL__N_18offset_tEEE10hipError_tPvRmT1_PNSt15iterator_traitsIS12_E10value_typeET2_T3_PNS13_IS18_E10value_typeET4_jRbjT5_S1E_jjP12ihipStream_tbEUljE_ZNSN_ISO_Lb0ESQ_SR_ST_SU_SY_EESZ_S10_S11_S12_S16_S17_S18_S1B_S1C_jS1D_jS1E_S1E_jjS1G_bEUljE0_EEESZ_S10_S11_S18_S1C_S1E_T6_T7_T9_mT8_S1G_bDpT10_ENKUlT_T0_E_clISt17integral_constantIbLb1EES1T_IbLb0EEEEDaS1P_S1Q_EUlS1P_E_NS1_11comp_targetILNS1_3genE5ELNS1_11target_archE942ELNS1_3gpuE9ELNS1_3repE0EEENS1_30default_config_static_selectorELNS0_4arch9wavefront6targetE1EEEvS12_
                                        ; -- End function
	.section	.AMDGPU.csdata,"",@progbits
; Kernel info:
; codeLenInByte = 0
; NumSgprs: 4
; NumVgprs: 0
; NumAgprs: 0
; TotalNumVgprs: 0
; ScratchSize: 0
; MemoryBound: 0
; FloatMode: 240
; IeeeMode: 1
; LDSByteSize: 0 bytes/workgroup (compile time only)
; SGPRBlocks: 0
; VGPRBlocks: 0
; NumSGPRsForWavesPerEU: 4
; NumVGPRsForWavesPerEU: 1
; AccumOffset: 4
; Occupancy: 8
; WaveLimiterHint : 0
; COMPUTE_PGM_RSRC2:SCRATCH_EN: 0
; COMPUTE_PGM_RSRC2:USER_SGPR: 6
; COMPUTE_PGM_RSRC2:TRAP_HANDLER: 0
; COMPUTE_PGM_RSRC2:TGID_X_EN: 1
; COMPUTE_PGM_RSRC2:TGID_Y_EN: 0
; COMPUTE_PGM_RSRC2:TGID_Z_EN: 0
; COMPUTE_PGM_RSRC2:TIDIG_COMP_CNT: 0
; COMPUTE_PGM_RSRC3_GFX90A:ACCUM_OFFSET: 0
; COMPUTE_PGM_RSRC3_GFX90A:TG_SPLIT: 0
	.section	.text._ZN7rocprim17ROCPRIM_400000_NS6detail17trampoline_kernelINS0_13select_configILj256ELj13ELNS0_17block_load_methodE3ELS4_3ELS4_3ELNS0_20block_scan_algorithmE0ELj4294967295EEENS1_25partition_config_selectorILNS1_17partition_subalgoE4EjNS0_10empty_typeEbEEZZNS1_14partition_implILS8_4ELb0ES6_15HIP_vector_typeIjLj2EENS0_17counting_iteratorIjlEEPS9_SG_NS0_5tupleIJPjSI_NS0_16reverse_iteratorISI_EEEEENSH_IJSG_SG_SG_EEES9_SI_JZNS1_25segmented_radix_sort_implINS0_14default_configELb0EPKsPsPKlPlN2at6native12_GLOBAL__N_18offset_tEEE10hipError_tPvRmT1_PNSt15iterator_traitsIS12_E10value_typeET2_T3_PNS13_IS18_E10value_typeET4_jRbjT5_S1E_jjP12ihipStream_tbEUljE_ZNSN_ISO_Lb0ESQ_SR_ST_SU_SY_EESZ_S10_S11_S12_S16_S17_S18_S1B_S1C_jS1D_jS1E_S1E_jjS1G_bEUljE0_EEESZ_S10_S11_S18_S1C_S1E_T6_T7_T9_mT8_S1G_bDpT10_ENKUlT_T0_E_clISt17integral_constantIbLb1EES1T_IbLb0EEEEDaS1P_S1Q_EUlS1P_E_NS1_11comp_targetILNS1_3genE4ELNS1_11target_archE910ELNS1_3gpuE8ELNS1_3repE0EEENS1_30default_config_static_selectorELNS0_4arch9wavefront6targetE1EEEvS12_,"axG",@progbits,_ZN7rocprim17ROCPRIM_400000_NS6detail17trampoline_kernelINS0_13select_configILj256ELj13ELNS0_17block_load_methodE3ELS4_3ELS4_3ELNS0_20block_scan_algorithmE0ELj4294967295EEENS1_25partition_config_selectorILNS1_17partition_subalgoE4EjNS0_10empty_typeEbEEZZNS1_14partition_implILS8_4ELb0ES6_15HIP_vector_typeIjLj2EENS0_17counting_iteratorIjlEEPS9_SG_NS0_5tupleIJPjSI_NS0_16reverse_iteratorISI_EEEEENSH_IJSG_SG_SG_EEES9_SI_JZNS1_25segmented_radix_sort_implINS0_14default_configELb0EPKsPsPKlPlN2at6native12_GLOBAL__N_18offset_tEEE10hipError_tPvRmT1_PNSt15iterator_traitsIS12_E10value_typeET2_T3_PNS13_IS18_E10value_typeET4_jRbjT5_S1E_jjP12ihipStream_tbEUljE_ZNSN_ISO_Lb0ESQ_SR_ST_SU_SY_EESZ_S10_S11_S12_S16_S17_S18_S1B_S1C_jS1D_jS1E_S1E_jjS1G_bEUljE0_EEESZ_S10_S11_S18_S1C_S1E_T6_T7_T9_mT8_S1G_bDpT10_ENKUlT_T0_E_clISt17integral_constantIbLb1EES1T_IbLb0EEEEDaS1P_S1Q_EUlS1P_E_NS1_11comp_targetILNS1_3genE4ELNS1_11target_archE910ELNS1_3gpuE8ELNS1_3repE0EEENS1_30default_config_static_selectorELNS0_4arch9wavefront6targetE1EEEvS12_,comdat
	.globl	_ZN7rocprim17ROCPRIM_400000_NS6detail17trampoline_kernelINS0_13select_configILj256ELj13ELNS0_17block_load_methodE3ELS4_3ELS4_3ELNS0_20block_scan_algorithmE0ELj4294967295EEENS1_25partition_config_selectorILNS1_17partition_subalgoE4EjNS0_10empty_typeEbEEZZNS1_14partition_implILS8_4ELb0ES6_15HIP_vector_typeIjLj2EENS0_17counting_iteratorIjlEEPS9_SG_NS0_5tupleIJPjSI_NS0_16reverse_iteratorISI_EEEEENSH_IJSG_SG_SG_EEES9_SI_JZNS1_25segmented_radix_sort_implINS0_14default_configELb0EPKsPsPKlPlN2at6native12_GLOBAL__N_18offset_tEEE10hipError_tPvRmT1_PNSt15iterator_traitsIS12_E10value_typeET2_T3_PNS13_IS18_E10value_typeET4_jRbjT5_S1E_jjP12ihipStream_tbEUljE_ZNSN_ISO_Lb0ESQ_SR_ST_SU_SY_EESZ_S10_S11_S12_S16_S17_S18_S1B_S1C_jS1D_jS1E_S1E_jjS1G_bEUljE0_EEESZ_S10_S11_S18_S1C_S1E_T6_T7_T9_mT8_S1G_bDpT10_ENKUlT_T0_E_clISt17integral_constantIbLb1EES1T_IbLb0EEEEDaS1P_S1Q_EUlS1P_E_NS1_11comp_targetILNS1_3genE4ELNS1_11target_archE910ELNS1_3gpuE8ELNS1_3repE0EEENS1_30default_config_static_selectorELNS0_4arch9wavefront6targetE1EEEvS12_ ; -- Begin function _ZN7rocprim17ROCPRIM_400000_NS6detail17trampoline_kernelINS0_13select_configILj256ELj13ELNS0_17block_load_methodE3ELS4_3ELS4_3ELNS0_20block_scan_algorithmE0ELj4294967295EEENS1_25partition_config_selectorILNS1_17partition_subalgoE4EjNS0_10empty_typeEbEEZZNS1_14partition_implILS8_4ELb0ES6_15HIP_vector_typeIjLj2EENS0_17counting_iteratorIjlEEPS9_SG_NS0_5tupleIJPjSI_NS0_16reverse_iteratorISI_EEEEENSH_IJSG_SG_SG_EEES9_SI_JZNS1_25segmented_radix_sort_implINS0_14default_configELb0EPKsPsPKlPlN2at6native12_GLOBAL__N_18offset_tEEE10hipError_tPvRmT1_PNSt15iterator_traitsIS12_E10value_typeET2_T3_PNS13_IS18_E10value_typeET4_jRbjT5_S1E_jjP12ihipStream_tbEUljE_ZNSN_ISO_Lb0ESQ_SR_ST_SU_SY_EESZ_S10_S11_S12_S16_S17_S18_S1B_S1C_jS1D_jS1E_S1E_jjS1G_bEUljE0_EEESZ_S10_S11_S18_S1C_S1E_T6_T7_T9_mT8_S1G_bDpT10_ENKUlT_T0_E_clISt17integral_constantIbLb1EES1T_IbLb0EEEEDaS1P_S1Q_EUlS1P_E_NS1_11comp_targetILNS1_3genE4ELNS1_11target_archE910ELNS1_3gpuE8ELNS1_3repE0EEENS1_30default_config_static_selectorELNS0_4arch9wavefront6targetE1EEEvS12_
	.p2align	8
	.type	_ZN7rocprim17ROCPRIM_400000_NS6detail17trampoline_kernelINS0_13select_configILj256ELj13ELNS0_17block_load_methodE3ELS4_3ELS4_3ELNS0_20block_scan_algorithmE0ELj4294967295EEENS1_25partition_config_selectorILNS1_17partition_subalgoE4EjNS0_10empty_typeEbEEZZNS1_14partition_implILS8_4ELb0ES6_15HIP_vector_typeIjLj2EENS0_17counting_iteratorIjlEEPS9_SG_NS0_5tupleIJPjSI_NS0_16reverse_iteratorISI_EEEEENSH_IJSG_SG_SG_EEES9_SI_JZNS1_25segmented_radix_sort_implINS0_14default_configELb0EPKsPsPKlPlN2at6native12_GLOBAL__N_18offset_tEEE10hipError_tPvRmT1_PNSt15iterator_traitsIS12_E10value_typeET2_T3_PNS13_IS18_E10value_typeET4_jRbjT5_S1E_jjP12ihipStream_tbEUljE_ZNSN_ISO_Lb0ESQ_SR_ST_SU_SY_EESZ_S10_S11_S12_S16_S17_S18_S1B_S1C_jS1D_jS1E_S1E_jjS1G_bEUljE0_EEESZ_S10_S11_S18_S1C_S1E_T6_T7_T9_mT8_S1G_bDpT10_ENKUlT_T0_E_clISt17integral_constantIbLb1EES1T_IbLb0EEEEDaS1P_S1Q_EUlS1P_E_NS1_11comp_targetILNS1_3genE4ELNS1_11target_archE910ELNS1_3gpuE8ELNS1_3repE0EEENS1_30default_config_static_selectorELNS0_4arch9wavefront6targetE1EEEvS12_,@function
_ZN7rocprim17ROCPRIM_400000_NS6detail17trampoline_kernelINS0_13select_configILj256ELj13ELNS0_17block_load_methodE3ELS4_3ELS4_3ELNS0_20block_scan_algorithmE0ELj4294967295EEENS1_25partition_config_selectorILNS1_17partition_subalgoE4EjNS0_10empty_typeEbEEZZNS1_14partition_implILS8_4ELb0ES6_15HIP_vector_typeIjLj2EENS0_17counting_iteratorIjlEEPS9_SG_NS0_5tupleIJPjSI_NS0_16reverse_iteratorISI_EEEEENSH_IJSG_SG_SG_EEES9_SI_JZNS1_25segmented_radix_sort_implINS0_14default_configELb0EPKsPsPKlPlN2at6native12_GLOBAL__N_18offset_tEEE10hipError_tPvRmT1_PNSt15iterator_traitsIS12_E10value_typeET2_T3_PNS13_IS18_E10value_typeET4_jRbjT5_S1E_jjP12ihipStream_tbEUljE_ZNSN_ISO_Lb0ESQ_SR_ST_SU_SY_EESZ_S10_S11_S12_S16_S17_S18_S1B_S1C_jS1D_jS1E_S1E_jjS1G_bEUljE0_EEESZ_S10_S11_S18_S1C_S1E_T6_T7_T9_mT8_S1G_bDpT10_ENKUlT_T0_E_clISt17integral_constantIbLb1EES1T_IbLb0EEEEDaS1P_S1Q_EUlS1P_E_NS1_11comp_targetILNS1_3genE4ELNS1_11target_archE910ELNS1_3gpuE8ELNS1_3repE0EEENS1_30default_config_static_selectorELNS0_4arch9wavefront6targetE1EEEvS12_: ; @_ZN7rocprim17ROCPRIM_400000_NS6detail17trampoline_kernelINS0_13select_configILj256ELj13ELNS0_17block_load_methodE3ELS4_3ELS4_3ELNS0_20block_scan_algorithmE0ELj4294967295EEENS1_25partition_config_selectorILNS1_17partition_subalgoE4EjNS0_10empty_typeEbEEZZNS1_14partition_implILS8_4ELb0ES6_15HIP_vector_typeIjLj2EENS0_17counting_iteratorIjlEEPS9_SG_NS0_5tupleIJPjSI_NS0_16reverse_iteratorISI_EEEEENSH_IJSG_SG_SG_EEES9_SI_JZNS1_25segmented_radix_sort_implINS0_14default_configELb0EPKsPsPKlPlN2at6native12_GLOBAL__N_18offset_tEEE10hipError_tPvRmT1_PNSt15iterator_traitsIS12_E10value_typeET2_T3_PNS13_IS18_E10value_typeET4_jRbjT5_S1E_jjP12ihipStream_tbEUljE_ZNSN_ISO_Lb0ESQ_SR_ST_SU_SY_EESZ_S10_S11_S12_S16_S17_S18_S1B_S1C_jS1D_jS1E_S1E_jjS1G_bEUljE0_EEESZ_S10_S11_S18_S1C_S1E_T6_T7_T9_mT8_S1G_bDpT10_ENKUlT_T0_E_clISt17integral_constantIbLb1EES1T_IbLb0EEEEDaS1P_S1Q_EUlS1P_E_NS1_11comp_targetILNS1_3genE4ELNS1_11target_archE910ELNS1_3gpuE8ELNS1_3repE0EEENS1_30default_config_static_selectorELNS0_4arch9wavefront6targetE1EEEvS12_
; %bb.0:
	s_load_dwordx2 s[0:1], s[4:5], 0x68
	s_load_dword s7, s[4:5], 0x8
	s_load_dwordx2 s[56:57], s[4:5], 0x10
	s_load_dwordx4 s[44:47], s[4:5], 0x58
	s_mul_i32 s33, s6, 0xd00
	s_waitcnt lgkmcnt(0)
	v_mov_b32_e32 v3, s1
	v_mov_b32_e32 v2, s0
	s_load_dword s1, s[4:5], 0x80
	s_load_dwordx2 s[60:61], s[4:5], 0xa8
	s_load_dwordx8 s[36:43], s[4:5], 0x88
	s_load_dwordx4 s[48:51], s[46:47], 0x0
	s_waitcnt lgkmcnt(0)
	s_add_i32 s8, s1, -1
	s_mulk_i32 s1, 0xd00
	s_add_u32 s2, s56, s1
	s_addc_u32 s3, s57, 0
	s_cmp_eq_u32 s6, s8
	s_cselect_b64 s[30:31], -1, 0
	s_cmp_lg_u32 s6, s8
	v_cmp_lt_u64_e32 vcc, s[2:3], v[2:3]
	s_cselect_b64 s[2:3], -1, 0
	s_add_i32 s7, s7, s33
	s_or_b64 s[2:3], s[2:3], vcc
	s_add_i32 s7, s7, s56
	v_add_u32_e32 v1, s7, v0
	s_mov_b64 s[8:9], -1
	s_and_b64 vcc, exec, s[2:3]
	s_cbranch_vccz .LBB967_2
; %bb.1:
	v_add_u32_e32 v2, 0x100, v1
	v_lshlrev_b32_e32 v14, 2, v0
	v_add_u32_e32 v3, 0x200, v1
	v_add_u32_e32 v4, 0x300, v1
	v_add_u32_e32 v5, 0x400, v1
	v_add_u32_e32 v6, 0x500, v1
	v_add_u32_e32 v7, 0x600, v1
	v_add_u32_e32 v8, 0x700, v1
	v_add_u32_e32 v9, 0x800, v1
	v_add_u32_e32 v10, 0x900, v1
	v_add_u32_e32 v11, 0xa00, v1
	v_add_u32_e32 v12, 0xb00, v1
	v_add_u32_e32 v13, 0xc00, v1
	ds_write2st64_b32 v14, v1, v2 offset1:4
	ds_write2st64_b32 v14, v3, v4 offset0:8 offset1:12
	ds_write2st64_b32 v14, v5, v6 offset0:16 offset1:20
	;; [unrolled: 1-line block ×5, first 2 shown]
	ds_write_b32 v14, v13 offset:12288
	s_waitcnt lgkmcnt(0)
	s_barrier
	s_mov_b64 s[8:9], 0
.LBB967_2:
	s_andn2_b64 vcc, exec, s[8:9]
	s_add_i32 s1, s1, s56
	s_cbranch_vccnz .LBB967_4
; %bb.3:
	v_add_u32_e32 v2, 0x100, v1
	v_lshlrev_b32_e32 v14, 2, v0
	v_add_u32_e32 v3, 0x200, v1
	v_add_u32_e32 v4, 0x300, v1
	;; [unrolled: 1-line block ×11, first 2 shown]
	ds_write2st64_b32 v14, v1, v2 offset1:4
	ds_write2st64_b32 v14, v3, v4 offset0:8 offset1:12
	ds_write2st64_b32 v14, v5, v6 offset0:16 offset1:20
	;; [unrolled: 1-line block ×5, first 2 shown]
	ds_write_b32 v14, v13 offset:12288
	s_waitcnt lgkmcnt(0)
	s_barrier
.LBB967_4:
	v_mul_u32_u24_e32 v31, 13, v0
	v_lshlrev_b32_e32 v1, 2, v31
	s_load_dwordx4 s[52:55], s[4:5], 0x28
	s_load_dwordx2 s[34:35], s[4:5], 0x38
	s_waitcnt lgkmcnt(0)
	ds_read2_b32 v[18:19], v1 offset1:1
	ds_read2_b32 v[16:17], v1 offset0:2 offset1:3
	ds_read2_b32 v[14:15], v1 offset0:4 offset1:5
	;; [unrolled: 1-line block ×5, first 2 shown]
	ds_read_b32 v30, v1 offset:48
	v_cndmask_b32_e64 v1, 0, 1, s[2:3]
	s_sub_i32 s7, s0, s1
	v_cmp_ne_u32_e64 s[0:1], 1, v1
	s_andn2_b64 vcc, exec, s[2:3]
	s_waitcnt lgkmcnt(0)
	s_barrier
	s_cbranch_vccnz .LBB967_32
; %bb.5:
	v_add_u32_e32 v1, s37, v18
	v_add_u32_e32 v2, s39, v18
	v_mul_lo_u32 v1, v1, s36
	v_mul_lo_u32 v2, v2, s38
	v_sub_u32_e32 v1, v1, v2
	v_cmp_lt_u32_e32 vcc, s40, v1
	v_cmp_ge_u32_e64 s[2:3], s40, v1
	s_mov_b64 s[64:65], 0
	s_mov_b64 s[62:63], 0
	s_and_saveexec_b64 s[8:9], s[2:3]
; %bb.6:
	v_add_u32_e32 v1, s42, v18
	v_add_u32_e32 v2, s60, v18
	v_mul_lo_u32 v1, v1, s41
	v_mul_lo_u32 v2, v2, s43
	v_sub_u32_e32 v1, v1, v2
	v_cmp_lt_u32_e64 s[2:3], s61, v1
	s_and_b64 s[62:63], s[2:3], exec
; %bb.7:
	s_or_b64 exec, exec, s[8:9]
	v_add_u32_e32 v1, s37, v19
	v_add_u32_e32 v2, s39, v19
	v_mul_lo_u32 v1, v1, s36
	v_mul_lo_u32 v2, v2, s38
	v_sub_u32_e32 v1, v1, v2
	v_cmp_lt_u32_e64 s[2:3], s40, v1
	v_cmp_ge_u32_e64 s[8:9], s40, v1
	s_and_saveexec_b64 s[10:11], s[8:9]
; %bb.8:
	v_add_u32_e32 v1, s42, v19
	v_add_u32_e32 v2, s60, v19
	v_mul_lo_u32 v1, v1, s41
	v_mul_lo_u32 v2, v2, s43
	v_sub_u32_e32 v1, v1, v2
	v_cmp_lt_u32_e64 s[8:9], s61, v1
	s_and_b64 s[64:65], s[8:9], exec
; %bb.9:
	s_or_b64 exec, exec, s[10:11]
	v_add_u32_e32 v1, s37, v16
	v_add_u32_e32 v2, s39, v16
	v_mul_lo_u32 v1, v1, s36
	v_mul_lo_u32 v2, v2, s38
	v_sub_u32_e32 v1, v1, v2
	v_cmp_lt_u32_e64 s[26:27], s40, v1
	v_cmp_ge_u32_e64 s[8:9], s40, v1
	s_mov_b64 s[68:69], 0
	s_mov_b64 s[66:67], 0
	s_and_saveexec_b64 s[10:11], s[8:9]
; %bb.10:
	v_add_u32_e32 v1, s42, v16
	v_add_u32_e32 v2, s60, v16
	v_mul_lo_u32 v1, v1, s41
	v_mul_lo_u32 v2, v2, s43
	v_sub_u32_e32 v1, v1, v2
	v_cmp_lt_u32_e64 s[8:9], s61, v1
	s_and_b64 s[66:67], s[8:9], exec
; %bb.11:
	s_or_b64 exec, exec, s[10:11]
	v_add_u32_e32 v1, s37, v17
	v_add_u32_e32 v2, s39, v17
	v_mul_lo_u32 v1, v1, s36
	v_mul_lo_u32 v2, v2, s38
	v_sub_u32_e32 v1, v1, v2
	v_cmp_lt_u32_e64 s[8:9], s40, v1
	v_cmp_ge_u32_e64 s[10:11], s40, v1
	s_and_saveexec_b64 s[12:13], s[10:11]
; %bb.12:
	v_add_u32_e32 v1, s42, v17
	v_add_u32_e32 v2, s60, v17
	v_mul_lo_u32 v1, v1, s41
	v_mul_lo_u32 v2, v2, s43
	v_sub_u32_e32 v1, v1, v2
	v_cmp_lt_u32_e64 s[10:11], s61, v1
	s_and_b64 s[68:69], s[10:11], exec
; %bb.13:
	s_or_b64 exec, exec, s[12:13]
	v_add_u32_e32 v1, s37, v14
	v_add_u32_e32 v2, s39, v14
	v_mul_lo_u32 v1, v1, s36
	v_mul_lo_u32 v2, v2, s38
	v_sub_u32_e32 v1, v1, v2
	v_cmp_lt_u32_e64 s[10:11], s40, v1
	;; [unrolled: 38-line block ×5, first 2 shown]
	v_cmp_ge_u32_e64 s[24:25], s40, v1
	s_mov_b64 s[84:85], 0
	s_mov_b64 s[86:87], 0
	s_and_saveexec_b64 s[28:29], s[24:25]
; %bb.26:
	v_add_u32_e32 v1, s42, v8
	v_add_u32_e32 v2, s60, v8
	v_mul_lo_u32 v1, v1, s41
	v_mul_lo_u32 v2, v2, s43
	v_sub_u32_e32 v1, v1, v2
	v_cmp_lt_u32_e64 s[24:25], s61, v1
	s_and_b64 s[86:87], s[24:25], exec
; %bb.27:
	s_or_b64 exec, exec, s[28:29]
	v_add_u32_e32 v1, s37, v9
	v_add_u32_e32 v2, s39, v9
	v_mul_lo_u32 v1, v1, s36
	v_mul_lo_u32 v2, v2, s38
	v_sub_u32_e32 v1, v1, v2
	v_cmp_lt_u32_e64 s[24:25], s40, v1
	v_cmp_ge_u32_e64 s[28:29], s40, v1
	s_and_saveexec_b64 s[46:47], s[28:29]
; %bb.28:
	v_add_u32_e32 v1, s42, v9
	v_add_u32_e32 v2, s60, v9
	v_mul_lo_u32 v1, v1, s41
	v_mul_lo_u32 v2, v2, s43
	v_sub_u32_e32 v1, v1, v2
	v_cmp_lt_u32_e64 s[28:29], s61, v1
	s_and_b64 s[84:85], s[28:29], exec
; %bb.29:
	s_or_b64 exec, exec, s[46:47]
	v_add_u32_e32 v1, s37, v30
	v_add_u32_e32 v2, s39, v30
	v_mul_lo_u32 v1, v1, s36
	v_mul_lo_u32 v2, v2, s38
	v_sub_u32_e32 v1, v1, v2
	v_cmp_ge_u32_e64 s[28:29], s40, v1
	s_mov_b64 s[46:47], -1
	s_mov_b64 s[78:79], 0
	s_mov_b64 s[58:59], 0
	s_and_saveexec_b64 s[88:89], s[28:29]
; %bb.30:
	v_add_u32_e32 v1, s42, v30
	v_add_u32_e32 v2, s60, v30
	v_mul_lo_u32 v1, v1, s41
	v_mul_lo_u32 v2, v2, s43
	v_sub_u32_e32 v1, v1, v2
	v_cmp_lt_u32_e64 s[28:29], s61, v1
	s_and_b64 s[58:59], s[28:29], exec
	s_xor_b64 s[46:47], exec, -1
; %bb.31:
	s_or_b64 exec, exec, s[88:89]
	v_cndmask_b32_e64 v52, 0, 1, s[86:87]
	v_cndmask_b32_e64 v55, 0, 1, s[24:25]
	;; [unrolled: 1-line block ×22, first 2 shown]
	v_cndmask_b32_e64 v32, 0, 1, vcc
	v_cndmask_b32_e64 v54, 0, 1, s[84:85]
	s_load_dwordx2 s[12:13], s[4:5], 0x78
	s_add_i32 s18, s7, 0xd00
	s_and_b64 vcc, exec, s[78:79]
	s_cbranch_vccnz .LBB967_33
	s_branch .LBB967_86
.LBB967_32:
                                        ; implicit-def: $sgpr46_sgpr47
                                        ; implicit-def: $sgpr58_sgpr59
                                        ; implicit-def: $vgpr54
                                        ; implicit-def: $vgpr52
                                        ; implicit-def: $vgpr50
                                        ; implicit-def: $vgpr48
                                        ; implicit-def: $vgpr46
                                        ; implicit-def: $vgpr44
                                        ; implicit-def: $vgpr42
                                        ; implicit-def: $vgpr40
                                        ; implicit-def: $vgpr38
                                        ; implicit-def: $vgpr32
                                        ; implicit-def: $vgpr34
                                        ; implicit-def: $vgpr36
                                        ; implicit-def: $vgpr39
                                        ; implicit-def: $vgpr41
                                        ; implicit-def: $vgpr43
                                        ; implicit-def: $vgpr45
                                        ; implicit-def: $vgpr47
                                        ; implicit-def: $vgpr49
                                        ; implicit-def: $vgpr51
                                        ; implicit-def: $vgpr53
                                        ; implicit-def: $vgpr55
                                        ; implicit-def: $vgpr33
                                        ; implicit-def: $vgpr35
                                        ; implicit-def: $vgpr37
	s_load_dwordx2 s[12:13], s[4:5], 0x78
	s_add_i32 s18, s7, 0xd00
	s_cbranch_execz .LBB967_86
.LBB967_33:
	v_cmp_gt_u32_e32 vcc, s18, v31
	v_mov_b32_e32 v33, 0
	v_mov_b32_e32 v32, 0
	s_and_saveexec_b64 s[4:5], vcc
	s_cbranch_execz .LBB967_37
; %bb.34:
	v_add_u32_e32 v1, s37, v18
	v_add_u32_e32 v2, s39, v18
	v_mul_lo_u32 v1, v1, s36
	v_mul_lo_u32 v2, v2, s38
	v_sub_u32_e32 v1, v1, v2
	v_cmp_lt_u32_e32 vcc, s40, v1
	v_cmp_ge_u32_e64 s[2:3], s40, v1
	s_mov_b64 s[10:11], 0
	s_and_saveexec_b64 s[8:9], s[2:3]
; %bb.35:
	v_add_u32_e32 v1, s42, v18
	v_add_u32_e32 v2, s60, v18
	v_mul_lo_u32 v1, v1, s41
	v_mul_lo_u32 v2, v2, s43
	v_sub_u32_e32 v1, v1, v2
	v_cmp_lt_u32_e64 s[2:3], s61, v1
	s_and_b64 s[10:11], s[2:3], exec
; %bb.36:
	s_or_b64 exec, exec, s[8:9]
	v_cndmask_b32_e64 v32, 0, 1, vcc
	v_cndmask_b32_e64 v33, 0, 1, s[10:11]
.LBB967_37:
	s_or_b64 exec, exec, s[4:5]
	v_add_u32_e32 v1, 1, v31
	v_cmp_gt_u32_e32 vcc, s18, v1
	v_mov_b32_e32 v34, 0
	v_mov_b32_e32 v35, 0
	s_and_saveexec_b64 s[4:5], vcc
	s_cbranch_execz .LBB967_41
; %bb.38:
	v_add_u32_e32 v1, s37, v19
	v_add_u32_e32 v2, s39, v19
	v_mul_lo_u32 v1, v1, s36
	v_mul_lo_u32 v2, v2, s38
	v_sub_u32_e32 v1, v1, v2
	v_cmp_lt_u32_e32 vcc, s40, v1
	v_cmp_ge_u32_e64 s[2:3], s40, v1
	s_mov_b64 s[10:11], 0
	s_and_saveexec_b64 s[8:9], s[2:3]
; %bb.39:
	v_add_u32_e32 v1, s42, v19
	v_add_u32_e32 v2, s60, v19
	v_mul_lo_u32 v1, v1, s41
	v_mul_lo_u32 v2, v2, s43
	v_sub_u32_e32 v1, v1, v2
	v_cmp_lt_u32_e64 s[2:3], s61, v1
	s_and_b64 s[10:11], s[2:3], exec
; %bb.40:
	s_or_b64 exec, exec, s[8:9]
	v_cndmask_b32_e64 v34, 0, 1, vcc
	v_cndmask_b32_e64 v35, 0, 1, s[10:11]
.LBB967_41:
	s_or_b64 exec, exec, s[4:5]
	v_add_u32_e32 v1, 2, v31
	;; [unrolled: 30-line block ×12, first 2 shown]
	v_cmp_gt_u32_e32 vcc, s18, v1
	s_mov_b64 s[46:47], 0
	s_mov_b64 s[58:59], 0
	s_and_saveexec_b64 s[2:3], vcc
	s_cbranch_execz .LBB967_85
; %bb.82:
	v_add_u32_e32 v1, s37, v30
	v_add_u32_e32 v2, s39, v30
	v_mul_lo_u32 v1, v1, s36
	v_mul_lo_u32 v2, v2, s38
	v_sub_u32_e32 v1, v1, v2
	v_cmp_ge_u32_e32 vcc, s40, v1
	s_mov_b64 s[8:9], -1
	s_mov_b64 s[10:11], 0
	s_and_saveexec_b64 s[4:5], vcc
; %bb.83:
	v_add_u32_e32 v1, s42, v30
	v_add_u32_e32 v2, s60, v30
	v_mul_lo_u32 v1, v1, s41
	v_mul_lo_u32 v2, v2, s43
	v_sub_u32_e32 v1, v1, v2
	v_cmp_lt_u32_e32 vcc, s61, v1
	s_and_b64 s[10:11], vcc, exec
	s_xor_b64 s[8:9], exec, -1
; %bb.84:
	s_or_b64 exec, exec, s[4:5]
	s_and_b64 s[58:59], s[10:11], exec
	s_and_b64 s[46:47], s[8:9], exec
.LBB967_85:
	s_or_b64 exec, exec, s[2:3]
.LBB967_86:
	v_and_b32_e32 v63, 0xff, v33
	v_and_b32_e32 v74, 0xff, v35
	;; [unrolled: 1-line block ×5, first 2 shown]
	v_add3_u32 v2, v74, v65, v63
	v_and_b32_e32 v76, 0xff, v42
	v_and_b32_e32 v69, 0xff, v44
	v_add3_u32 v2, v2, v75, v67
	v_and_b32_e32 v62, 0xff, v32
	v_and_b32_e32 v56, 0xff, v34
	;; [unrolled: 1-line block ×5, first 2 shown]
	v_add3_u32 v2, v2, v76, v69
	v_and_b32_e32 v57, 0xff, v39
	v_and_b32_e32 v66, 0xff, v41
	;; [unrolled: 1-line block ×4, first 2 shown]
	v_add3_u32 v3, v56, v64, v62
	v_add3_u32 v2, v2, v77, v71
	v_and_b32_e32 v58, 0xff, v43
	v_and_b32_e32 v68, 0xff, v45
	;; [unrolled: 1-line block ×3, first 2 shown]
	v_cndmask_b32_e64 v1, 0, 1, s[58:59]
	v_add3_u32 v3, v3, v57, v66
	v_add3_u32 v2, v2, v78, v73
	v_and_b32_e32 v59, 0xff, v47
	v_and_b32_e32 v70, 0xff, v49
	v_add3_u32 v3, v3, v58, v68
	v_add3_u32 v86, v2, v79, v1
	v_mbcnt_lo_u32_b32 v1, -1, 0
	v_and_b32_e32 v60, 0xff, v51
	v_and_b32_e32 v72, 0xff, v53
	v_add3_u32 v3, v3, v59, v70
	v_mbcnt_hi_u32_b32 v80, -1, v1
	v_and_b32_e32 v61, 0xff, v55
	v_add3_u32 v3, v3, v60, v72
	v_cndmask_b32_e64 v4, 0, 1, s[46:47]
	v_and_b32_e32 v84, 15, v80
	s_cmp_lg_u32 s6, 0
	v_add3_u32 v85, v3, v61, v4
	v_cmp_eq_u32_e64 s[4:5], 0, v84
	v_cmp_lt_u32_e64 s[2:3], 1, v84
	v_cmp_lt_u32_e64 s[8:9], 3, v84
	;; [unrolled: 1-line block ×3, first 2 shown]
	v_and_b32_e32 v83, 16, v80
	v_cmp_lt_u32_e32 vcc, 31, v80
	v_lshrrev_b32_e32 v81, 6, v0
	v_or_b32_e32 v82, 63, v0
	s_cbranch_scc0 .LBB967_119
; %bb.87:
	v_mov_b32_dpp v1, v85 row_shr:1 row_mask:0xf bank_mask:0xf
	v_mov_b32_dpp v2, v86 row_shr:1 row_mask:0xf bank_mask:0xf
	v_add_u32_e32 v1, v1, v85
	v_add_u32_e32 v2, v2, v86
	v_cndmask_b32_e64 v2, v2, v86, s[4:5]
	v_cndmask_b32_e64 v1, v1, v85, s[4:5]
	s_nop 0
	v_mov_b32_dpp v4, v2 row_shr:2 row_mask:0xf bank_mask:0xf
	v_mov_b32_dpp v3, v1 row_shr:2 row_mask:0xf bank_mask:0xf
	v_add_u32_e32 v3, v1, v3
	v_add_u32_e32 v4, v2, v4
	v_cndmask_b32_e64 v2, v2, v4, s[2:3]
	v_cndmask_b32_e64 v1, v1, v3, s[2:3]
	s_nop 0
	v_mov_b32_dpp v4, v2 row_shr:4 row_mask:0xf bank_mask:0xf
	v_mov_b32_dpp v3, v1 row_shr:4 row_mask:0xf bank_mask:0xf
	v_add_u32_e32 v3, v1, v3
	v_add_u32_e32 v4, v2, v4
	v_cndmask_b32_e64 v2, v2, v4, s[8:9]
	v_cndmask_b32_e64 v1, v1, v3, s[8:9]
	v_cmp_eq_u32_e64 s[8:9], 0, v83
	v_mov_b32_dpp v4, v2 row_shr:8 row_mask:0xf bank_mask:0xf
	v_mov_b32_dpp v3, v1 row_shr:8 row_mask:0xf bank_mask:0xf
	v_add_u32_e32 v3, v1, v3
	v_add_u32_e32 v4, v2, v4
	v_cndmask_b32_e64 v2, v2, v4, s[10:11]
	v_cndmask_b32_e64 v1, v1, v3, s[10:11]
	s_nop 0
	v_mov_b32_dpp v4, v2 row_bcast:15 row_mask:0xf bank_mask:0xf
	v_mov_b32_dpp v3, v1 row_bcast:15 row_mask:0xf bank_mask:0xf
	v_add_u32_e32 v3, v1, v3
	v_add_u32_e32 v4, v2, v4
	v_cndmask_b32_e64 v2, v4, v2, s[8:9]
	v_cndmask_b32_e64 v1, v3, v1, s[8:9]
	s_nop 0
	v_mov_b32_dpp v4, v2 row_bcast:31 row_mask:0xf bank_mask:0xf
	v_mov_b32_dpp v3, v1 row_bcast:31 row_mask:0xf bank_mask:0xf
	v_add_u32_e32 v4, v2, v4
	v_add_u32_e32 v5, v1, v3
	v_cndmask_b32_e32 v3, v2, v4, vcc
	v_cndmask_b32_e32 v2, v1, v5, vcc
	v_cmp_eq_u32_e32 vcc, v82, v0
	s_and_saveexec_b64 s[8:9], vcc
	s_cbranch_execz .LBB967_89
; %bb.88:
	v_lshlrev_b32_e32 v1, 3, v81
	ds_write_b64 v1, v[2:3]
.LBB967_89:
	s_or_b64 exec, exec, s[8:9]
	v_cmp_gt_u32_e32 vcc, 4, v0
	s_waitcnt lgkmcnt(0)
	s_barrier
	s_and_saveexec_b64 s[8:9], vcc
	s_cbranch_execz .LBB967_91
; %bb.90:
	v_lshlrev_b32_e32 v1, 3, v0
	ds_read_b64 v[4:5], v1
	v_and_b32_e32 v6, 3, v80
	v_cmp_eq_u32_e32 vcc, 0, v6
	s_waitcnt lgkmcnt(0)
	v_mov_b32_dpp v7, v4 row_shr:1 row_mask:0xf bank_mask:0xf
	v_mov_b32_dpp v20, v5 row_shr:1 row_mask:0xf bank_mask:0xf
	v_add_u32_e32 v7, v7, v4
	v_add_u32_e32 v20, v20, v5
	v_cndmask_b32_e32 v5, v20, v5, vcc
	v_cndmask_b32_e32 v4, v7, v4, vcc
	v_cmp_lt_u32_e32 vcc, 1, v6
	v_mov_b32_dpp v20, v5 row_shr:2 row_mask:0xf bank_mask:0xf
	v_mov_b32_dpp v7, v4 row_shr:2 row_mask:0xf bank_mask:0xf
	v_cndmask_b32_e32 v6, 0, v7, vcc
	v_cndmask_b32_e32 v7, 0, v20, vcc
	v_add_u32_e32 v5, v7, v5
	v_add_u32_e32 v4, v6, v4
	ds_write_b64 v1, v[4:5]
.LBB967_91:
	s_or_b64 exec, exec, s[8:9]
	v_cmp_gt_u32_e32 vcc, 64, v0
	v_cmp_lt_u32_e64 s[8:9], 63, v0
	s_waitcnt lgkmcnt(0)
	s_barrier
	s_waitcnt lgkmcnt(0)
                                        ; implicit-def: $vgpr21
	s_and_saveexec_b64 s[10:11], s[8:9]
	s_xor_b64 s[8:9], exec, s[10:11]
	s_cbranch_execz .LBB967_93
; %bb.92:
	v_lshl_add_u32 v1, v81, 3, -8
	ds_read_b64 v[20:21], v1
	s_waitcnt lgkmcnt(0)
	v_add_u32_e32 v3, v21, v3
	v_add_u32_e32 v2, v20, v2
.LBB967_93:
	s_andn2_saveexec_b64 s[8:9], s[8:9]
; %bb.94:
                                        ; implicit-def: $vgpr20
; %bb.95:
	s_or_b64 exec, exec, s[8:9]
	v_add_u32_e32 v1, -1, v80
	v_and_b32_e32 v4, 64, v80
	v_cmp_lt_i32_e64 s[8:9], v1, v4
	v_cndmask_b32_e64 v1, v1, v80, s[8:9]
	v_lshlrev_b32_e32 v4, 2, v1
	ds_bpermute_b32 v1, v4, v2
	ds_bpermute_b32 v87, v4, v3
	v_cmp_eq_u32_e64 s[8:9], 0, v80
	s_and_saveexec_b64 s[10:11], vcc
	s_cbranch_execz .LBB967_118
; %bb.96:
	v_mov_b32_e32 v7, 0
	ds_read_b64 v[22:23], v7 offset:24
	s_and_saveexec_b64 s[14:15], s[8:9]
	s_cbranch_execz .LBB967_98
; %bb.97:
	s_add_i32 s16, s6, 64
	s_mov_b32 s17, 0
	s_lshl_b64 s[16:17], s[16:17], 4
	s_waitcnt lgkmcnt(0)
	v_and_b32_e32 v2, 0xff000000, v23
	v_and_b32_e32 v3, 0xff0000, v23
	s_add_u32 s16, s12, s16
	v_or_b32_e32 v2, v3, v2
	v_and_b32_e32 v3, 0xff00, v23
	s_addc_u32 s17, s13, s17
	v_or_b32_e32 v2, v2, v3
	v_or_b32_sdwa v5, v2, v23 dst_sel:DWORD dst_unused:UNUSED_PAD src0_sel:DWORD src1_sel:BYTE_0
	v_mov_b32_e32 v6, 1
	v_mov_b32_e32 v4, v22
	v_pk_mov_b32 v[2:3], s[16:17], s[16:17] op_sel:[0,1]
	;;#ASMSTART
	global_store_dwordx4 v[2:3], v[4:7] off	
s_waitcnt vmcnt(0)
	;;#ASMEND
.LBB967_98:
	s_or_b64 exec, exec, s[14:15]
	v_xad_u32 v24, v80, -1, s6
	v_add_u32_e32 v6, 64, v24
	v_lshlrev_b64 v[2:3], 4, v[6:7]
	v_mov_b32_e32 v4, s13
	v_add_co_u32_e32 v26, vcc, s12, v2
	v_addc_co_u32_e32 v27, vcc, v4, v3, vcc
	;;#ASMSTART
	global_load_dwordx4 v[2:5], v[26:27] off glc	
s_waitcnt vmcnt(0)
	;;#ASMEND
	v_and_b32_e32 v5, 0xff, v3
	v_and_b32_e32 v6, 0xff00, v3
	v_or3_b32 v5, 0, v5, v6
	v_or3_b32 v2, v2, 0, 0
	v_and_b32_e32 v6, 0xff000000, v3
	v_and_b32_e32 v3, 0xff0000, v3
	v_or3_b32 v3, v5, v3, v6
	v_or3_b32 v2, v2, 0, 0
	v_cmp_eq_u16_sdwa s[16:17], v4, v7 src0_sel:BYTE_0 src1_sel:DWORD
	s_and_saveexec_b64 s[14:15], s[16:17]
	s_cbranch_execz .LBB967_104
; %bb.99:
	s_mov_b32 s7, 1
	s_mov_b64 s[16:17], 0
	v_mov_b32_e32 v6, 0
.LBB967_100:                            ; =>This Loop Header: Depth=1
                                        ;     Child Loop BB967_101 Depth 2
	s_max_u32 s19, s7, 1
.LBB967_101:                            ;   Parent Loop BB967_100 Depth=1
                                        ; =>  This Inner Loop Header: Depth=2
	s_add_i32 s19, s19, -1
	s_cmp_eq_u32 s19, 0
	s_sleep 1
	s_cbranch_scc0 .LBB967_101
; %bb.102:                              ;   in Loop: Header=BB967_100 Depth=1
	s_cmp_lt_u32 s7, 32
	s_cselect_b64 s[20:21], -1, 0
	s_cmp_lg_u64 s[20:21], 0
	s_addc_u32 s7, s7, 0
	;;#ASMSTART
	global_load_dwordx4 v[2:5], v[26:27] off glc	
s_waitcnt vmcnt(0)
	;;#ASMEND
	v_cmp_ne_u16_sdwa s[20:21], v4, v6 src0_sel:BYTE_0 src1_sel:DWORD
	s_or_b64 s[16:17], s[20:21], s[16:17]
	s_andn2_b64 exec, exec, s[16:17]
	s_cbranch_execnz .LBB967_100
; %bb.103:
	s_or_b64 exec, exec, s[16:17]
.LBB967_104:
	s_or_b64 exec, exec, s[14:15]
	v_and_b32_e32 v89, 63, v80
	v_cmp_ne_u32_e32 vcc, 63, v89
	v_mov_b32_e32 v88, 2
	v_addc_co_u32_e32 v26, vcc, 0, v80, vcc
	v_cmp_eq_u16_sdwa s[14:15], v4, v88 src0_sel:BYTE_0 src1_sel:DWORD
	v_lshlrev_b64 v[6:7], v80, -1
	v_lshlrev_b32_e32 v90, 2, v26
	v_and_b32_e32 v5, s15, v7
	ds_bpermute_b32 v26, v90, v2
	ds_bpermute_b32 v27, v90, v3
	v_or_b32_e32 v5, 0x80000000, v5
	v_and_b32_e32 v25, s14, v6
	v_ffbl_b32_e32 v5, v5
	v_add_u32_e32 v5, 32, v5
	v_ffbl_b32_e32 v25, v25
	v_min_u32_e32 v5, v25, v5
	s_waitcnt lgkmcnt(1)
	v_add_u32_e32 v25, v26, v2
	s_waitcnt lgkmcnt(0)
	v_add_u32_e32 v26, v27, v3
	v_cmp_lt_u32_e32 vcc, v89, v5
	v_cndmask_b32_e32 v3, v3, v26, vcc
	v_cndmask_b32_e32 v2, v2, v25, vcc
	v_cmp_gt_u32_e32 vcc, 62, v89
	v_cndmask_b32_e64 v25, 0, 1, vcc
	v_lshlrev_b32_e32 v25, 1, v25
	v_add_lshl_u32 v91, v25, v80, 2
	ds_bpermute_b32 v25, v91, v2
	ds_bpermute_b32 v26, v91, v3
	v_add_u32_e32 v92, 2, v89
	v_cmp_gt_u32_e32 vcc, v92, v5
	v_add_u32_e32 v94, 4, v89
	s_waitcnt lgkmcnt(1)
	v_add_u32_e32 v25, v2, v25
	s_waitcnt lgkmcnt(0)
	v_add_u32_e32 v26, v3, v26
	v_cndmask_b32_e32 v3, v26, v3, vcc
	v_cndmask_b32_e32 v2, v25, v2, vcc
	v_cmp_gt_u32_e32 vcc, 60, v89
	v_cndmask_b32_e64 v25, 0, 1, vcc
	v_lshlrev_b32_e32 v25, 2, v25
	v_add_lshl_u32 v93, v25, v80, 2
	ds_bpermute_b32 v25, v93, v2
	ds_bpermute_b32 v26, v93, v3
	v_cmp_gt_u32_e32 vcc, v94, v5
	v_add_u32_e32 v96, 8, v89
	v_add_u32_e32 v98, 16, v89
	s_waitcnt lgkmcnt(1)
	v_add_u32_e32 v25, v2, v25
	s_waitcnt lgkmcnt(0)
	v_add_u32_e32 v26, v3, v26
	v_cndmask_b32_e32 v3, v26, v3, vcc
	v_cndmask_b32_e32 v2, v25, v2, vcc
	v_cmp_gt_u32_e32 vcc, 56, v89
	v_cndmask_b32_e64 v25, 0, 1, vcc
	v_lshlrev_b32_e32 v25, 3, v25
	v_add_lshl_u32 v95, v25, v80, 2
	ds_bpermute_b32 v25, v95, v2
	ds_bpermute_b32 v26, v95, v3
	v_cmp_gt_u32_e32 vcc, v96, v5
	v_add_u32_e32 v100, 32, v89
	s_waitcnt lgkmcnt(1)
	v_add_u32_e32 v25, v2, v25
	s_waitcnt lgkmcnt(0)
	v_add_u32_e32 v26, v3, v26
	v_cndmask_b32_e32 v3, v26, v3, vcc
	v_cndmask_b32_e32 v2, v25, v2, vcc
	v_cmp_gt_u32_e32 vcc, 48, v89
	v_cndmask_b32_e64 v25, 0, 1, vcc
	v_lshlrev_b32_e32 v25, 4, v25
	v_add_lshl_u32 v97, v25, v80, 2
	ds_bpermute_b32 v25, v97, v2
	ds_bpermute_b32 v26, v97, v3
	v_cmp_gt_u32_e32 vcc, v98, v5
	s_waitcnt lgkmcnt(1)
	v_add_u32_e32 v25, v2, v25
	s_waitcnt lgkmcnt(0)
	v_add_u32_e32 v26, v3, v26
	v_cndmask_b32_e32 v3, v26, v3, vcc
	v_cndmask_b32_e32 v2, v25, v2, vcc
	v_cmp_gt_u32_e32 vcc, 32, v89
	v_cndmask_b32_e64 v25, 0, 1, vcc
	v_lshlrev_b32_e32 v25, 5, v25
	v_add_lshl_u32 v99, v25, v80, 2
	ds_bpermute_b32 v25, v99, v2
	ds_bpermute_b32 v26, v99, v3
	v_cmp_le_u32_e32 vcc, v100, v5
	s_waitcnt lgkmcnt(1)
	v_cndmask_b32_e32 v5, 0, v25, vcc
	s_waitcnt lgkmcnt(0)
	v_cndmask_b32_e32 v25, 0, v26, vcc
	v_add_u32_e32 v3, v3, v25
	v_add_u32_e32 v2, v2, v5
	v_mov_b32_e32 v25, 0
	s_branch .LBB967_106
.LBB967_105:                            ;   in Loop: Header=BB967_106 Depth=1
	s_or_b64 exec, exec, s[14:15]
	v_cmp_eq_u16_sdwa s[14:15], v4, v88 src0_sel:BYTE_0 src1_sel:DWORD
	v_and_b32_e32 v5, s15, v7
	ds_bpermute_b32 v29, v90, v2
	ds_bpermute_b32 v101, v90, v3
	v_or_b32_e32 v5, 0x80000000, v5
	v_and_b32_e32 v28, s14, v6
	v_ffbl_b32_e32 v5, v5
	v_add_u32_e32 v5, 32, v5
	v_ffbl_b32_e32 v28, v28
	v_min_u32_e32 v5, v28, v5
	s_waitcnt lgkmcnt(1)
	v_add_u32_e32 v28, v29, v2
	s_waitcnt lgkmcnt(0)
	v_add_u32_e32 v29, v101, v3
	v_cmp_lt_u32_e32 vcc, v89, v5
	v_cndmask_b32_e32 v3, v3, v29, vcc
	v_cndmask_b32_e32 v2, v2, v28, vcc
	ds_bpermute_b32 v28, v91, v2
	ds_bpermute_b32 v29, v91, v3
	v_cmp_gt_u32_e32 vcc, v92, v5
	v_subrev_u32_e32 v24, 64, v24
	s_waitcnt lgkmcnt(1)
	v_add_u32_e32 v28, v2, v28
	s_waitcnt lgkmcnt(0)
	v_add_u32_e32 v29, v3, v29
	v_cndmask_b32_e32 v3, v29, v3, vcc
	v_cndmask_b32_e32 v2, v28, v2, vcc
	ds_bpermute_b32 v28, v93, v2
	ds_bpermute_b32 v29, v93, v3
	v_cmp_gt_u32_e32 vcc, v94, v5
	s_waitcnt lgkmcnt(1)
	v_add_u32_e32 v28, v2, v28
	s_waitcnt lgkmcnt(0)
	v_add_u32_e32 v29, v3, v29
	v_cndmask_b32_e32 v3, v29, v3, vcc
	v_cndmask_b32_e32 v2, v28, v2, vcc
	ds_bpermute_b32 v28, v95, v2
	ds_bpermute_b32 v29, v95, v3
	v_cmp_gt_u32_e32 vcc, v96, v5
	;; [unrolled: 9-line block ×3, first 2 shown]
	s_waitcnt lgkmcnt(1)
	v_add_u32_e32 v28, v2, v28
	s_waitcnt lgkmcnt(0)
	v_add_u32_e32 v29, v3, v29
	v_cndmask_b32_e32 v3, v29, v3, vcc
	v_cndmask_b32_e32 v2, v28, v2, vcc
	ds_bpermute_b32 v28, v99, v2
	ds_bpermute_b32 v29, v99, v3
	v_cmp_le_u32_e32 vcc, v100, v5
	s_waitcnt lgkmcnt(1)
	v_cndmask_b32_e32 v5, 0, v28, vcc
	s_waitcnt lgkmcnt(0)
	v_cndmask_b32_e32 v28, 0, v29, vcc
	v_add3_u32 v3, v28, v27, v3
	v_add3_u32 v2, v5, v26, v2
.LBB967_106:                            ; =>This Loop Header: Depth=1
                                        ;     Child Loop BB967_109 Depth 2
                                        ;       Child Loop BB967_110 Depth 3
	v_cmp_ne_u16_sdwa s[14:15], v4, v88 src0_sel:BYTE_0 src1_sel:DWORD
	v_cndmask_b32_e64 v4, 0, 1, s[14:15]
	;;#ASMSTART
	;;#ASMEND
	v_cmp_ne_u32_e32 vcc, 0, v4
	s_cmp_lg_u64 vcc, exec
	v_pk_mov_b32 v[26:27], v[2:3], v[2:3] op_sel:[0,1]
	s_cbranch_scc1 .LBB967_113
; %bb.107:                              ;   in Loop: Header=BB967_106 Depth=1
	v_lshlrev_b64 v[2:3], 4, v[24:25]
	v_mov_b32_e32 v4, s13
	v_add_co_u32_e32 v28, vcc, s12, v2
	v_addc_co_u32_e32 v29, vcc, v4, v3, vcc
	;;#ASMSTART
	global_load_dwordx4 v[2:5], v[28:29] off glc	
s_waitcnt vmcnt(0)
	;;#ASMEND
	v_and_b32_e32 v5, 0xff, v3
	v_and_b32_e32 v101, 0xff00, v3
	v_or3_b32 v5, 0, v5, v101
	v_or3_b32 v2, v2, 0, 0
	v_and_b32_e32 v101, 0xff000000, v3
	v_and_b32_e32 v3, 0xff0000, v3
	v_or3_b32 v3, v5, v3, v101
	v_or3_b32 v2, v2, 0, 0
	v_cmp_eq_u16_sdwa s[16:17], v4, v25 src0_sel:BYTE_0 src1_sel:DWORD
	s_and_saveexec_b64 s[14:15], s[16:17]
	s_cbranch_execz .LBB967_105
; %bb.108:                              ;   in Loop: Header=BB967_106 Depth=1
	s_mov_b32 s7, 1
	s_mov_b64 s[16:17], 0
.LBB967_109:                            ;   Parent Loop BB967_106 Depth=1
                                        ; =>  This Loop Header: Depth=2
                                        ;       Child Loop BB967_110 Depth 3
	s_max_u32 s19, s7, 1
.LBB967_110:                            ;   Parent Loop BB967_106 Depth=1
                                        ;     Parent Loop BB967_109 Depth=2
                                        ; =>    This Inner Loop Header: Depth=3
	s_add_i32 s19, s19, -1
	s_cmp_eq_u32 s19, 0
	s_sleep 1
	s_cbranch_scc0 .LBB967_110
; %bb.111:                              ;   in Loop: Header=BB967_109 Depth=2
	s_cmp_lt_u32 s7, 32
	s_cselect_b64 s[20:21], -1, 0
	s_cmp_lg_u64 s[20:21], 0
	s_addc_u32 s7, s7, 0
	;;#ASMSTART
	global_load_dwordx4 v[2:5], v[28:29] off glc	
s_waitcnt vmcnt(0)
	;;#ASMEND
	v_cmp_ne_u16_sdwa s[20:21], v4, v25 src0_sel:BYTE_0 src1_sel:DWORD
	s_or_b64 s[16:17], s[20:21], s[16:17]
	s_andn2_b64 exec, exec, s[16:17]
	s_cbranch_execnz .LBB967_109
; %bb.112:                              ;   in Loop: Header=BB967_106 Depth=1
	s_or_b64 exec, exec, s[16:17]
	s_branch .LBB967_105
.LBB967_113:                            ;   in Loop: Header=BB967_106 Depth=1
                                        ; implicit-def: $vgpr4
                                        ; implicit-def: $vgpr2_vgpr3
	s_cbranch_execz .LBB967_106
; %bb.114:
	s_and_saveexec_b64 s[14:15], s[8:9]
	s_cbranch_execz .LBB967_116
; %bb.115:
	s_add_i32 s6, s6, 64
	s_mov_b32 s7, 0
	v_add_u32_e32 v3, v27, v23
	s_lshl_b64 s[6:7], s[6:7], 4
	s_add_u32 s6, s12, s6
	v_and_b32_e32 v4, 0xff000000, v3
	v_and_b32_e32 v6, 0xff0000, v3
	s_addc_u32 s7, s13, s7
	v_or_b32_e32 v4, v6, v4
	v_and_b32_e32 v6, 0xff00, v3
	v_and_b32_e32 v3, 0xff, v3
	v_add_u32_e32 v2, v26, v22
	v_mov_b32_e32 v5, 0
	v_or3_b32 v3, v4, v6, v3
	v_mov_b32_e32 v4, 2
	v_pk_mov_b32 v[6:7], s[6:7], s[6:7] op_sel:[0,1]
	;;#ASMSTART
	global_store_dwordx4 v[6:7], v[2:5] off	
s_waitcnt vmcnt(0)
	;;#ASMEND
	s_movk_i32 s6, 0x3400
	v_add_u32_e64 v2, s6, 0
	ds_write2_b32 v2, v22, v23 offset1:2
	ds_write2_b32 v2, v26, v27 offset0:4 offset1:6
.LBB967_116:
	s_or_b64 exec, exec, s[14:15]
	v_cmp_eq_u32_e32 vcc, 0, v0
	s_and_b64 exec, exec, vcc
	s_cbranch_execz .LBB967_118
; %bb.117:
	v_mov_b32_e32 v2, 0
	ds_write_b64 v2, v[26:27] offset:24
.LBB967_118:
	s_or_b64 exec, exec, s[10:11]
	v_mov_b32_e32 v2, 0
	s_waitcnt lgkmcnt(0)
	s_barrier
	ds_read_b64 v[6:7], v2 offset:24
	s_movk_i32 s6, 0x3400
	v_cndmask_b32_e64 v2, v87, v21, s[8:9]
	v_cndmask_b32_e64 v1, v1, v20, s[8:9]
	v_add_u32_e64 v4, s6, 0
	s_waitcnt lgkmcnt(0)
	v_add_u32_e32 v20, v6, v1
	v_add_u32_e32 v1, v7, v2
	s_barrier
	ds_read2_b32 v[2:3], v4 offset1:2
	ds_read2_b32 v[4:5], v4 offset0:4 offset1:6
	v_cmp_eq_u32_e32 vcc, 0, v0
	v_cndmask_b32_e32 v1, v1, v7, vcc
	v_cndmask_b32_e32 v20, v20, v6, vcc
	s_branch .LBB967_129
.LBB967_119:
                                        ; implicit-def: $vgpr1
                                        ; implicit-def: $vgpr4
                                        ; implicit-def: $vgpr2
                                        ; implicit-def: $vgpr20_vgpr21
	s_cbranch_execz .LBB967_129
; %bb.120:
	s_nop 0
	v_mov_b32_dpp v1, v85 row_shr:1 row_mask:0xf bank_mask:0xf
	s_waitcnt lgkmcnt(0)
	v_mov_b32_dpp v2, v86 row_shr:1 row_mask:0xf bank_mask:0xf
	v_add_u32_e32 v1, v1, v85
	v_add_u32_e32 v2, v2, v86
	v_cndmask_b32_e64 v2, v2, v86, s[4:5]
	v_cndmask_b32_e64 v1, v1, v85, s[4:5]
	v_cmp_lt_u32_e32 vcc, 3, v84
	v_mov_b32_dpp v4, v2 row_shr:2 row_mask:0xf bank_mask:0xf
	v_mov_b32_dpp v3, v1 row_shr:2 row_mask:0xf bank_mask:0xf
	v_add_u32_e32 v3, v1, v3
	v_add_u32_e32 v4, v2, v4
	v_cndmask_b32_e64 v2, v2, v4, s[2:3]
	v_cndmask_b32_e64 v1, v1, v3, s[2:3]
	s_nop 0
	v_mov_b32_dpp v4, v2 row_shr:4 row_mask:0xf bank_mask:0xf
	v_mov_b32_dpp v3, v1 row_shr:4 row_mask:0xf bank_mask:0xf
	v_add_u32_e32 v3, v1, v3
	v_add_u32_e32 v4, v2, v4
	v_cndmask_b32_e32 v2, v2, v4, vcc
	v_cndmask_b32_e32 v1, v1, v3, vcc
	v_cmp_lt_u32_e32 vcc, 7, v84
	v_mov_b32_dpp v4, v2 row_shr:8 row_mask:0xf bank_mask:0xf
	v_mov_b32_dpp v3, v1 row_shr:8 row_mask:0xf bank_mask:0xf
	v_add_u32_e32 v3, v1, v3
	v_add_u32_e32 v4, v2, v4
	v_cndmask_b32_e32 v2, v2, v4, vcc
	v_cndmask_b32_e32 v1, v1, v3, vcc
	v_cmp_eq_u32_e32 vcc, 0, v83
	v_mov_b32_dpp v4, v2 row_bcast:15 row_mask:0xf bank_mask:0xf
	v_mov_b32_dpp v3, v1 row_bcast:15 row_mask:0xf bank_mask:0xf
	v_add_u32_e32 v3, v1, v3
	v_add_u32_e32 v4, v2, v4
	v_cndmask_b32_e32 v2, v4, v2, vcc
	v_cndmask_b32_e32 v1, v3, v1, vcc
	v_cmp_lt_u32_e32 vcc, 31, v80
	v_mov_b32_dpp v4, v2 row_bcast:31 row_mask:0xf bank_mask:0xf
	v_mov_b32_dpp v3, v1 row_bcast:31 row_mask:0xf bank_mask:0xf
	v_add_u32_e32 v4, v2, v4
	v_add_u32_e32 v5, v1, v3
	v_cndmask_b32_e32 v3, v2, v4, vcc
	v_cndmask_b32_e32 v2, v1, v5, vcc
	v_cmp_eq_u32_e32 vcc, v82, v0
	s_and_saveexec_b64 s[2:3], vcc
	s_cbranch_execz .LBB967_122
; %bb.121:
	v_lshlrev_b32_e32 v1, 3, v81
	ds_write_b64 v1, v[2:3]
.LBB967_122:
	s_or_b64 exec, exec, s[2:3]
	v_cmp_gt_u32_e32 vcc, 4, v0
	s_waitcnt lgkmcnt(0)
	s_barrier
	s_and_saveexec_b64 s[2:3], vcc
	s_cbranch_execz .LBB967_124
; %bb.123:
	v_lshlrev_b32_e32 v1, 3, v0
	ds_read_b64 v[4:5], v1
	v_and_b32_e32 v6, 3, v80
	v_cmp_eq_u32_e32 vcc, 0, v6
	s_waitcnt lgkmcnt(0)
	v_mov_b32_dpp v7, v4 row_shr:1 row_mask:0xf bank_mask:0xf
	v_mov_b32_dpp v20, v5 row_shr:1 row_mask:0xf bank_mask:0xf
	v_add_u32_e32 v7, v7, v4
	v_add_u32_e32 v20, v20, v5
	v_cndmask_b32_e32 v5, v20, v5, vcc
	v_cndmask_b32_e32 v4, v7, v4, vcc
	v_cmp_lt_u32_e32 vcc, 1, v6
	v_mov_b32_dpp v20, v5 row_shr:2 row_mask:0xf bank_mask:0xf
	v_mov_b32_dpp v7, v4 row_shr:2 row_mask:0xf bank_mask:0xf
	v_cndmask_b32_e32 v6, 0, v7, vcc
	v_cndmask_b32_e32 v7, 0, v20, vcc
	v_add_u32_e32 v5, v7, v5
	v_add_u32_e32 v4, v6, v4
	ds_write_b64 v1, v[4:5]
.LBB967_124:
	s_or_b64 exec, exec, s[2:3]
	v_cmp_lt_u32_e32 vcc, 63, v0
	v_mov_b32_e32 v4, 0
	v_mov_b32_e32 v6, 0
	;; [unrolled: 1-line block ×3, first 2 shown]
	s_waitcnt lgkmcnt(0)
	s_barrier
	s_and_saveexec_b64 s[2:3], vcc
	s_cbranch_execz .LBB967_126
; %bb.125:
	v_lshl_add_u32 v1, v81, 3, -8
	ds_read_b64 v[6:7], v1
.LBB967_126:
	s_or_b64 exec, exec, s[2:3]
	s_waitcnt lgkmcnt(0)
	v_add_u32_e32 v5, v7, v3
	v_add_u32_e32 v1, v6, v2
	v_add_u32_e32 v2, -1, v80
	v_and_b32_e32 v3, 64, v80
	v_cmp_lt_i32_e32 vcc, v2, v3
	v_cndmask_b32_e32 v2, v2, v80, vcc
	v_lshlrev_b32_e32 v20, 2, v2
	ds_read_b64 v[2:3], v4 offset:24
	ds_bpermute_b32 v1, v20, v1
	ds_bpermute_b32 v20, v20, v5
	v_cmp_eq_u32_e32 vcc, 0, v0
	s_waitcnt lgkmcnt(2)
	v_readfirstlane_b32 s4, v3
	s_and_saveexec_b64 s[2:3], vcc
	s_cbranch_execz .LBB967_128
; %bb.127:
	s_add_u32 s6, s12, 0x400
	s_mov_b32 s8, 0
	s_addc_u32 s7, s13, 0
	s_and_b32 s9, s4, 0xff000000
	s_and_b32 s11, s4, 0xff0000
	s_mov_b32 s10, s8
	s_or_b64 s[10:11], s[10:11], s[8:9]
	s_and_b32 s9, s4, 0xff00
	s_or_b64 s[10:11], s[10:11], s[8:9]
	s_and_b32 s9, s4, 0xff
	s_or_b64 s[8:9], s[10:11], s[8:9]
	v_mov_b32_e32 v3, s9
	v_mov_b32_e32 v4, 2
	;; [unrolled: 1-line block ×3, first 2 shown]
	v_pk_mov_b32 v[22:23], s[6:7], s[6:7] op_sel:[0,1]
	;;#ASMSTART
	global_store_dwordx4 v[22:23], v[2:5] off	
s_waitcnt vmcnt(0)
	;;#ASMEND
.LBB967_128:
	s_or_b64 exec, exec, s[2:3]
	v_cmp_eq_u32_e64 s[2:3], 0, v80
	s_waitcnt lgkmcnt(1)
	v_cndmask_b32_e64 v3, v1, v6, s[2:3]
	s_waitcnt lgkmcnt(0)
	v_cndmask_b32_e64 v1, v20, v7, s[2:3]
	v_mov_b32_e32 v4, 0
	v_cndmask_b32_e64 v1, v1, 0, vcc
	v_cndmask_b32_e64 v20, v3, 0, vcc
	s_barrier
	v_mov_b32_e32 v3, s4
	v_mov_b32_e32 v5, 0
.LBB967_129:
	v_add_u32_e32 v24, v1, v63
	v_add_u32_e32 v25, v24, v74
	;; [unrolled: 1-line block ×14, first 2 shown]
	v_mov_b32_e32 v7, s49
	s_waitcnt lgkmcnt(0)
	v_add_co_u32_e32 v6, vcc, s48, v4
	v_add_u32_e32 v64, v58, v68
	v_add_u32_e32 v68, v66, v71
	v_addc_co_u32_e32 v7, vcc, 0, v7, vcc
	v_add_u32_e32 v69, v68, v78
	v_mov_b32_e32 v22, s51
	v_sub_co_u32_e32 v23, vcc, s50, v2
	v_add_u32_e32 v71, v69, v73
	v_subbrev_co_u32_e32 v73, vcc, 0, v22, vcc
	v_add_co_u32_e32 v22, vcc, v23, v5
	v_addc_co_u32_e32 v23, vcc, 0, v73, vcc
	v_lshlrev_b32_e32 v73, 1, v2
	v_sub_u32_e32 v1, v1, v5
	v_add_u32_e32 v74, v73, v3
	v_sub_u32_e32 v20, v20, v4
	v_add_u32_e32 v1, v1, v2
	v_add_u32_e32 v31, v74, v31
	v_and_b32_e32 v33, 1, v33
	v_add_u32_e32 v74, v20, v1
	v_and_b32_e32 v32, 1, v32
	v_sub_u32_e32 v74, v31, v74
	v_cmp_eq_u32_e32 vcc, 1, v33
	v_cndmask_b32_e32 v1, v74, v1, vcc
	v_cmp_eq_u32_e32 vcc, 1, v32
	v_cndmask_b32_e32 v1, v1, v20, vcc
	v_lshlrev_b32_e32 v1, 2, v1
	v_sub_u32_e32 v20, v24, v5
	ds_write_b32 v1, v18
	v_sub_u32_e32 v1, v21, v4
	v_add_u32_e32 v20, v20, v2
	v_add_u32_e32 v24, v20, v1
	v_and_b32_e32 v21, 1, v35
	v_sub_u32_e32 v24, v31, v24
	v_and_b32_e32 v18, 1, v34
	v_add_u32_e32 v24, 1, v24
	v_cmp_eq_u32_e32 vcc, 1, v21
	v_cndmask_b32_e32 v20, v24, v20, vcc
	v_cmp_eq_u32_e32 vcc, 1, v18
	v_cndmask_b32_e32 v1, v20, v1, vcc
	v_lshlrev_b32_e32 v1, 2, v1
	ds_write_b32 v1, v19
	v_sub_u32_e32 v19, v25, v5
	v_sub_u32_e32 v1, v26, v4
	v_add_u32_e32 v19, v19, v2
	v_add_u32_e32 v21, v19, v1
	v_and_b32_e32 v20, 1, v37
	v_sub_u32_e32 v21, v31, v21
	v_and_b32_e32 v18, 1, v36
	v_add_u32_e32 v21, 2, v21
	v_cmp_eq_u32_e32 vcc, 1, v20
	v_cndmask_b32_e32 v19, v21, v19, vcc
	v_cmp_eq_u32_e32 vcc, 1, v18
	v_cndmask_b32_e32 v1, v19, v1, vcc
	v_lshlrev_b32_e32 v1, 2, v1
	v_sub_u32_e32 v18, v28, v5
	ds_write_b32 v1, v16
	v_sub_u32_e32 v1, v27, v4
	v_add_u32_e32 v18, v18, v2
	v_add_u32_e32 v20, v1, v18
	v_and_b32_e32 v19, 1, v38
	v_sub_u32_e32 v20, v31, v20
	v_and_b32_e32 v16, 1, v39
	v_add_u32_e32 v20, 3, v20
	v_cmp_eq_u32_e32 vcc, 1, v19
	v_cndmask_b32_e32 v18, v20, v18, vcc
	v_cmp_eq_u32_e32 vcc, 1, v16
	v_cndmask_b32_e32 v1, v18, v1, vcc
	v_lshlrev_b32_e32 v1, 2, v1
	ds_write_b32 v1, v17
	v_sub_u32_e32 v17, v29, v5
	v_sub_u32_e32 v1, v56, v4
	v_add_u32_e32 v17, v17, v2
	v_add_u32_e32 v19, v1, v17
	v_and_b32_e32 v18, 1, v40
	v_sub_u32_e32 v19, v31, v19
	v_and_b32_e32 v16, 1, v41
	v_add_u32_e32 v19, 4, v19
	;; [unrolled: 28-line block ×3, first 2 shown]
	v_cmp_eq_u32_e32 vcc, 1, v16
	v_cndmask_b32_e32 v15, v17, v15, vcc
	v_cmp_eq_u32_e32 vcc, 1, v14
	v_cndmask_b32_e32 v1, v15, v1, vcc
	v_lshlrev_b32_e32 v1, 2, v1
	v_sub_u32_e32 v14, v65, v5
	ds_write_b32 v1, v12
	v_sub_u32_e32 v1, v64, v4
	v_add_u32_e32 v14, v14, v2
	v_add_u32_e32 v16, v1, v14
	v_and_b32_e32 v15, 1, v46
	v_sub_u32_e32 v16, v31, v16
	v_and_b32_e32 v12, 1, v47
	v_add_u32_e32 v16, 7, v16
	v_cmp_eq_u32_e32 vcc, 1, v15
	v_cndmask_b32_e32 v14, v16, v14, vcc
	v_cmp_eq_u32_e32 vcc, 1, v12
	v_cndmask_b32_e32 v1, v14, v1, vcc
	v_lshlrev_b32_e32 v1, 2, v1
	v_add_u32_e32 v59, v64, v59
	ds_write_b32 v1, v13
	v_sub_u32_e32 v13, v66, v5
	v_sub_u32_e32 v1, v59, v4
	v_add_u32_e32 v13, v13, v2
	v_add_u32_e32 v15, v1, v13
	v_and_b32_e32 v14, 1, v48
	v_sub_u32_e32 v15, v31, v15
	v_and_b32_e32 v12, 1, v49
	v_add_u32_e32 v15, 8, v15
	v_cmp_eq_u32_e32 vcc, 1, v14
	v_cndmask_b32_e32 v13, v15, v13, vcc
	v_cmp_eq_u32_e32 vcc, 1, v12
	v_cndmask_b32_e32 v1, v13, v1, vcc
	v_add_u32_e32 v67, v59, v70
	v_lshlrev_b32_e32 v1, 2, v1
	v_sub_u32_e32 v12, v68, v5
	ds_write_b32 v1, v10
	v_sub_u32_e32 v1, v67, v4
	v_add_u32_e32 v12, v12, v2
	v_add_u32_e32 v14, v1, v12
	v_and_b32_e32 v13, 1, v50
	v_sub_u32_e32 v14, v31, v14
	v_and_b32_e32 v10, 1, v51
	v_add_u32_e32 v14, 9, v14
	v_cmp_eq_u32_e32 vcc, 1, v13
	v_cndmask_b32_e32 v12, v14, v12, vcc
	v_cmp_eq_u32_e32 vcc, 1, v10
	v_cndmask_b32_e32 v1, v12, v1, vcc
	v_lshlrev_b32_e32 v1, 2, v1
	v_add_u32_e32 v60, v67, v60
	ds_write_b32 v1, v11
	v_sub_u32_e32 v11, v69, v5
	v_sub_u32_e32 v1, v60, v4
	v_add_u32_e32 v11, v11, v2
	v_add_u32_e32 v13, v1, v11
	v_and_b32_e32 v12, 1, v52
	v_sub_u32_e32 v13, v31, v13
	v_and_b32_e32 v10, 1, v53
	v_add_u32_e32 v13, 10, v13
	v_cmp_eq_u32_e32 vcc, 1, v12
	v_cndmask_b32_e32 v11, v13, v11, vcc
	v_cmp_eq_u32_e32 vcc, 1, v10
	v_cndmask_b32_e32 v1, v11, v1, vcc
	v_add_u32_e32 v70, v60, v72
	v_lshlrev_b32_e32 v1, 2, v1
	v_sub_u32_e32 v10, v71, v5
	ds_write_b32 v1, v8
	v_sub_u32_e32 v1, v70, v4
	v_add_u32_e32 v10, v10, v2
	v_add_u32_e32 v12, v1, v10
	v_and_b32_e32 v11, 1, v54
	v_sub_u32_e32 v12, v31, v12
	v_and_b32_e32 v8, 1, v55
	v_add_u32_e32 v12, 11, v12
	v_cmp_eq_u32_e32 vcc, 1, v11
	v_cndmask_b32_e32 v10, v12, v10, vcc
	v_cmp_eq_u32_e32 vcc, 1, v8
	v_cndmask_b32_e32 v1, v10, v1, vcc
	v_add_u32_e32 v72, v71, v79
	v_add_u32_e32 v61, v70, v61
	v_lshlrev_b32_e32 v1, 2, v1
	ds_write_b32 v1, v9
	v_sub_u32_e32 v1, v61, v4
	v_sub_u32_e32 v4, v72, v5
	v_add_u32_e32 v4, v4, v2
	v_add_u32_e32 v8, v1, v4
	v_sub_u32_e32 v8, v31, v8
	v_add_u32_e32 v8, 12, v8
	v_cndmask_b32_e64 v4, v8, v4, s[58:59]
	v_cndmask_b32_e64 v1, v4, v1, s[46:47]
	v_lshlrev_b32_e32 v1, 2, v1
	ds_write_b32 v1, v30
	v_add_co_u32_e32 v1, vcc, v3, v73
	v_addc_co_u32_e64 v4, s[2:3], 0, 0, vcc
	v_add_co_u32_e32 v1, vcc, v1, v22
	v_addc_co_u32_e32 v4, vcc, v4, v23, vcc
	s_add_u32 s4, s56, s33
	v_add_co_u32_e32 v1, vcc, v1, v6
	s_addc_u32 s5, s57, 0
	v_addc_co_u32_e32 v4, vcc, v4, v7, vcc
	v_mov_b32_e32 v8, s5
	v_sub_co_u32_e32 v1, vcc, s4, v1
	v_subb_co_u32_e32 v4, vcc, v8, v4, vcc
	v_lshlrev_b64 v[8:9], 2, v[22:23]
	v_mov_b32_e32 v10, s55
	v_add_co_u32_e32 v8, vcc, s54, v8
	v_addc_co_u32_e32 v9, vcc, v10, v9, vcc
	v_lshlrev_b64 v[10:11], 2, v[6:7]
	v_mov_b32_e32 v13, s53
	v_add_co_u32_e32 v10, vcc, s52, v10
	s_add_u32 s6, s34, -4
	v_addc_co_u32_e32 v11, vcc, v13, v11, vcc
	s_addc_u32 s7, s35, -1
	v_add_u32_e32 v12, v2, v3
	s_and_b64 vcc, exec, s[0:1]
	s_mov_b64 s[0:1], -1
	s_waitcnt lgkmcnt(0)
	s_barrier
	s_cbranch_vccz .LBB967_133
; %bb.130:
	s_and_b64 vcc, exec, s[0:1]
	s_cbranch_vccnz .LBB967_238
.LBB967_131:
	v_cmp_eq_u32_e32 vcc, 0, v0
	s_and_b64 s[0:1], vcc, s[30:31]
	s_and_saveexec_b64 s[2:3], s[0:1]
	s_cbranch_execnz .LBB967_356
.LBB967_132:
	s_endpgm
.LBB967_133:
	v_cmp_le_u32_e32 vcc, v2, v0
	s_and_saveexec_b64 s[0:1], vcc
	s_xor_b64 s[0:1], exec, s[0:1]
	s_cbranch_execz .LBB967_139
; %bb.134:
	v_cmp_le_u32_e32 vcc, v12, v0
	s_and_saveexec_b64 s[2:3], vcc
	s_xor_b64 s[2:3], exec, s[2:3]
	s_cbranch_execz .LBB967_136
; %bb.135:
	v_lshlrev_b32_e32 v13, 2, v0
	v_add_co_u32_e32 v14, vcc, v1, v0
	ds_read_b32 v13, v13
	v_addc_co_u32_e32 v15, vcc, 0, v4, vcc
	v_lshlrev_b64 v[14:15], 2, v[14:15]
	v_mov_b32_e32 v16, s35
	v_sub_co_u32_e32 v14, vcc, s34, v14
	v_subb_co_u32_e32 v15, vcc, v16, v15, vcc
	s_waitcnt lgkmcnt(0)
	global_store_dword v[14:15], v13, off offset:-4
.LBB967_136:
	s_andn2_saveexec_b64 s[2:3], s[2:3]
	s_cbranch_execz .LBB967_138
; %bb.137:
	v_lshlrev_b32_e32 v13, 2, v0
	ds_read_b32 v14, v13
	v_readfirstlane_b32 s4, v8
	v_readfirstlane_b32 s5, v9
	s_waitcnt lgkmcnt(0)
	s_nop 3
	global_store_dword v13, v14, s[4:5]
.LBB967_138:
	s_or_b64 exec, exec, s[2:3]
.LBB967_139:
	s_andn2_saveexec_b64 s[0:1], s[0:1]
	s_cbranch_execz .LBB967_141
; %bb.140:
	v_lshlrev_b32_e32 v13, 2, v0
	ds_read_b32 v14, v13
	v_readfirstlane_b32 s2, v10
	v_readfirstlane_b32 s3, v11
	s_waitcnt lgkmcnt(0)
	s_nop 3
	global_store_dword v13, v14, s[2:3]
.LBB967_141:
	s_or_b64 exec, exec, s[0:1]
	v_or_b32_e32 v13, 0x100, v0
	v_cmp_le_u32_e32 vcc, v2, v13
	s_and_saveexec_b64 s[0:1], vcc
	s_xor_b64 s[0:1], exec, s[0:1]
	s_cbranch_execz .LBB967_147
; %bb.142:
	v_cmp_le_u32_e32 vcc, v12, v13
	s_and_saveexec_b64 s[2:3], vcc
	s_xor_b64 s[2:3], exec, s[2:3]
	s_cbranch_execz .LBB967_144
; %bb.143:
	v_lshlrev_b32_e32 v13, 2, v0
	ds_read_b32 v13, v13 offset:1024
	v_add_co_u32_e32 v14, vcc, v1, v0
	v_addc_co_u32_e32 v15, vcc, 0, v4, vcc
	v_lshlrev_b64 v[14:15], 2, v[14:15]
	v_mov_b32_e32 v16, s7
	v_sub_co_u32_e32 v14, vcc, s6, v14
	v_subb_co_u32_e32 v15, vcc, v16, v15, vcc
	s_waitcnt lgkmcnt(0)
	global_store_dword v[14:15], v13, off offset:-1024
.LBB967_144:
	s_andn2_saveexec_b64 s[2:3], s[2:3]
	s_cbranch_execz .LBB967_146
; %bb.145:
	v_lshlrev_b32_e32 v13, 2, v0
	ds_read_b32 v14, v13 offset:1024
	v_readfirstlane_b32 s4, v8
	v_readfirstlane_b32 s5, v9
	s_waitcnt lgkmcnt(0)
	s_nop 3
	global_store_dword v13, v14, s[4:5] offset:1024
.LBB967_146:
	s_or_b64 exec, exec, s[2:3]
.LBB967_147:
	s_andn2_saveexec_b64 s[0:1], s[0:1]
	s_cbranch_execz .LBB967_149
; %bb.148:
	v_lshlrev_b32_e32 v13, 2, v0
	ds_read_b32 v14, v13 offset:1024
	v_readfirstlane_b32 s2, v10
	v_readfirstlane_b32 s3, v11
	s_waitcnt lgkmcnt(0)
	s_nop 3
	global_store_dword v13, v14, s[2:3] offset:1024
.LBB967_149:
	s_or_b64 exec, exec, s[0:1]
	v_or_b32_e32 v13, 0x200, v0
	v_cmp_le_u32_e32 vcc, v2, v13
	s_and_saveexec_b64 s[0:1], vcc
	s_xor_b64 s[0:1], exec, s[0:1]
	s_cbranch_execz .LBB967_155
; %bb.150:
	v_cmp_le_u32_e32 vcc, v12, v13
	s_and_saveexec_b64 s[2:3], vcc
	s_xor_b64 s[2:3], exec, s[2:3]
	s_cbranch_execz .LBB967_152
; %bb.151:
	v_lshlrev_b32_e32 v13, 2, v0
	ds_read_b32 v13, v13 offset:2048
	v_add_co_u32_e32 v14, vcc, v1, v0
	v_addc_co_u32_e32 v15, vcc, 0, v4, vcc
	v_lshlrev_b64 v[14:15], 2, v[14:15]
	v_mov_b32_e32 v16, s7
	v_sub_co_u32_e32 v14, vcc, s6, v14
	v_subb_co_u32_e32 v15, vcc, v16, v15, vcc
	s_waitcnt lgkmcnt(0)
	global_store_dword v[14:15], v13, off offset:-2048
.LBB967_152:
	s_andn2_saveexec_b64 s[2:3], s[2:3]
	s_cbranch_execz .LBB967_154
; %bb.153:
	v_lshlrev_b32_e32 v13, 2, v0
	ds_read_b32 v14, v13 offset:2048
	v_readfirstlane_b32 s4, v8
	v_readfirstlane_b32 s5, v9
	s_waitcnt lgkmcnt(0)
	s_nop 3
	global_store_dword v13, v14, s[4:5] offset:2048
.LBB967_154:
	s_or_b64 exec, exec, s[2:3]
.LBB967_155:
	s_andn2_saveexec_b64 s[0:1], s[0:1]
	s_cbranch_execz .LBB967_157
; %bb.156:
	v_lshlrev_b32_e32 v13, 2, v0
	ds_read_b32 v14, v13 offset:2048
	v_readfirstlane_b32 s2, v10
	v_readfirstlane_b32 s3, v11
	s_waitcnt lgkmcnt(0)
	s_nop 3
	global_store_dword v13, v14, s[2:3] offset:2048
.LBB967_157:
	;; [unrolled: 47-line block ×3, first 2 shown]
	s_or_b64 exec, exec, s[0:1]
	v_or_b32_e32 v13, 0x400, v0
	v_cmp_le_u32_e32 vcc, v2, v13
	s_and_saveexec_b64 s[0:1], vcc
	s_xor_b64 s[0:1], exec, s[0:1]
	s_cbranch_execz .LBB967_171
; %bb.166:
	v_cmp_le_u32_e32 vcc, v12, v13
	s_and_saveexec_b64 s[2:3], vcc
	s_xor_b64 s[2:3], exec, s[2:3]
	s_cbranch_execz .LBB967_168
; %bb.167:
	v_lshlrev_b32_e32 v13, 2, v0
	ds_read_b32 v13, v13 offset:4096
	v_add_co_u32_e32 v14, vcc, v1, v0
	v_addc_co_u32_e32 v15, vcc, 0, v4, vcc
	v_lshlrev_b64 v[14:15], 2, v[14:15]
	v_mov_b32_e32 v16, s7
	v_sub_co_u32_e32 v14, vcc, s6, v14
	v_subb_co_u32_e32 v15, vcc, v16, v15, vcc
	s_waitcnt lgkmcnt(0)
	global_store_dword v[14:15], v13, off offset:-4096
                                        ; implicit-def: $vgpr13
.LBB967_168:
	s_andn2_saveexec_b64 s[2:3], s[2:3]
	s_cbranch_execz .LBB967_170
; %bb.169:
	v_lshlrev_b32_e32 v14, 2, v0
	ds_read_b32 v14, v14 offset:4096
	v_lshlrev_b32_e32 v13, 2, v13
	v_readfirstlane_b32 s4, v8
	v_readfirstlane_b32 s5, v9
	s_waitcnt lgkmcnt(0)
	s_nop 3
	global_store_dword v13, v14, s[4:5]
.LBB967_170:
	s_or_b64 exec, exec, s[2:3]
                                        ; implicit-def: $vgpr13
.LBB967_171:
	s_andn2_saveexec_b64 s[0:1], s[0:1]
	s_cbranch_execz .LBB967_173
; %bb.172:
	v_lshlrev_b32_e32 v14, 2, v0
	ds_read_b32 v14, v14 offset:4096
	v_lshlrev_b32_e32 v13, 2, v13
	v_readfirstlane_b32 s2, v10
	v_readfirstlane_b32 s3, v11
	s_waitcnt lgkmcnt(0)
	s_nop 3
	global_store_dword v13, v14, s[2:3]
.LBB967_173:
	s_or_b64 exec, exec, s[0:1]
	v_or_b32_e32 v13, 0x500, v0
	v_cmp_le_u32_e32 vcc, v2, v13
	s_and_saveexec_b64 s[0:1], vcc
	s_xor_b64 s[0:1], exec, s[0:1]
	s_cbranch_execz .LBB967_179
; %bb.174:
	v_cmp_le_u32_e32 vcc, v12, v13
	s_and_saveexec_b64 s[2:3], vcc
	s_xor_b64 s[2:3], exec, s[2:3]
	s_cbranch_execz .LBB967_176
; %bb.175:
	v_add_co_u32_e32 v14, vcc, v1, v13
	v_lshlrev_b32_e32 v13, 2, v0
	ds_read_b32 v13, v13 offset:5120
	v_addc_co_u32_e32 v15, vcc, 0, v4, vcc
	v_lshlrev_b64 v[14:15], 2, v[14:15]
	v_mov_b32_e32 v16, s7
	v_sub_co_u32_e32 v14, vcc, s6, v14
	v_subb_co_u32_e32 v15, vcc, v16, v15, vcc
	s_waitcnt lgkmcnt(0)
	global_store_dword v[14:15], v13, off
                                        ; implicit-def: $vgpr13
.LBB967_176:
	s_andn2_saveexec_b64 s[2:3], s[2:3]
	s_cbranch_execz .LBB967_178
; %bb.177:
	v_lshlrev_b32_e32 v14, 2, v0
	ds_read_b32 v14, v14 offset:5120
	v_lshlrev_b32_e32 v13, 2, v13
	v_readfirstlane_b32 s4, v8
	v_readfirstlane_b32 s5, v9
	s_waitcnt lgkmcnt(0)
	s_nop 3
	global_store_dword v13, v14, s[4:5]
.LBB967_178:
	s_or_b64 exec, exec, s[2:3]
                                        ; implicit-def: $vgpr13
.LBB967_179:
	s_andn2_saveexec_b64 s[0:1], s[0:1]
	s_cbranch_execz .LBB967_181
; %bb.180:
	v_lshlrev_b32_e32 v14, 2, v0
	ds_read_b32 v14, v14 offset:5120
	v_lshlrev_b32_e32 v13, 2, v13
	v_readfirstlane_b32 s2, v10
	v_readfirstlane_b32 s3, v11
	s_waitcnt lgkmcnt(0)
	s_nop 3
	global_store_dword v13, v14, s[2:3]
.LBB967_181:
	s_or_b64 exec, exec, s[0:1]
	v_or_b32_e32 v13, 0x600, v0
	v_cmp_le_u32_e32 vcc, v2, v13
	s_and_saveexec_b64 s[0:1], vcc
	s_xor_b64 s[0:1], exec, s[0:1]
	s_cbranch_execz .LBB967_187
; %bb.182:
	v_cmp_le_u32_e32 vcc, v12, v13
	s_and_saveexec_b64 s[2:3], vcc
	s_xor_b64 s[2:3], exec, s[2:3]
	s_cbranch_execz .LBB967_184
; %bb.183:
	v_add_co_u32_e32 v14, vcc, v1, v13
	v_lshlrev_b32_e32 v13, 2, v0
	ds_read_b32 v13, v13 offset:6144
	v_addc_co_u32_e32 v15, vcc, 0, v4, vcc
	v_lshlrev_b64 v[14:15], 2, v[14:15]
	v_mov_b32_e32 v16, s7
	v_sub_co_u32_e32 v14, vcc, s6, v14
	v_subb_co_u32_e32 v15, vcc, v16, v15, vcc
	s_waitcnt lgkmcnt(0)
	global_store_dword v[14:15], v13, off
                                        ; implicit-def: $vgpr13
.LBB967_184:
	s_andn2_saveexec_b64 s[2:3], s[2:3]
	s_cbranch_execz .LBB967_186
; %bb.185:
	v_lshlrev_b32_e32 v14, 2, v0
	ds_read_b32 v14, v14 offset:6144
	v_lshlrev_b32_e32 v13, 2, v13
	v_readfirstlane_b32 s4, v8
	v_readfirstlane_b32 s5, v9
	s_waitcnt lgkmcnt(0)
	s_nop 3
	global_store_dword v13, v14, s[4:5]
.LBB967_186:
	s_or_b64 exec, exec, s[2:3]
                                        ; implicit-def: $vgpr13
.LBB967_187:
	;; [unrolled: 51-line block ×8, first 2 shown]
	s_andn2_saveexec_b64 s[0:1], s[0:1]
	s_cbranch_execz .LBB967_237
; %bb.236:
	v_lshlrev_b32_e32 v14, 2, v0
	ds_read_b32 v14, v14 offset:12288
	v_lshlrev_b32_e32 v13, 2, v13
	v_readfirstlane_b32 s2, v10
	v_readfirstlane_b32 s3, v11
	s_waitcnt lgkmcnt(0)
	s_nop 3
	global_store_dword v13, v14, s[2:3]
.LBB967_237:
	s_or_b64 exec, exec, s[0:1]
	s_branch .LBB967_131
.LBB967_238:
	v_cmp_gt_u32_e32 vcc, s18, v0
	s_and_saveexec_b64 s[0:1], vcc
	s_cbranch_execz .LBB967_247
; %bb.239:
	v_cmp_le_u32_e32 vcc, v2, v0
	s_and_saveexec_b64 s[2:3], vcc
	s_xor_b64 s[2:3], exec, s[2:3]
	s_cbranch_execz .LBB967_245
; %bb.240:
	v_cmp_le_u32_e32 vcc, v12, v0
	s_and_saveexec_b64 s[4:5], vcc
	s_xor_b64 s[4:5], exec, s[4:5]
	s_cbranch_execz .LBB967_242
; %bb.241:
	v_lshlrev_b32_e32 v13, 2, v0
	v_add_co_u32_e32 v14, vcc, v1, v0
	ds_read_b32 v13, v13
	v_addc_co_u32_e32 v15, vcc, 0, v4, vcc
	v_lshlrev_b64 v[14:15], 2, v[14:15]
	v_mov_b32_e32 v16, s35
	v_sub_co_u32_e32 v14, vcc, s34, v14
	v_subb_co_u32_e32 v15, vcc, v16, v15, vcc
	s_waitcnt lgkmcnt(0)
	global_store_dword v[14:15], v13, off offset:-4
.LBB967_242:
	s_andn2_saveexec_b64 s[4:5], s[4:5]
	s_cbranch_execz .LBB967_244
; %bb.243:
	v_lshlrev_b32_e32 v13, 2, v0
	ds_read_b32 v14, v13
	v_readfirstlane_b32 s8, v8
	v_readfirstlane_b32 s9, v9
	s_waitcnt lgkmcnt(0)
	s_nop 3
	global_store_dword v13, v14, s[8:9]
.LBB967_244:
	s_or_b64 exec, exec, s[4:5]
.LBB967_245:
	s_andn2_saveexec_b64 s[2:3], s[2:3]
	s_cbranch_execz .LBB967_247
; %bb.246:
	v_lshlrev_b32_e32 v13, 2, v0
	ds_read_b32 v14, v13
	v_readfirstlane_b32 s2, v10
	v_readfirstlane_b32 s3, v11
	s_waitcnt lgkmcnt(0)
	s_nop 3
	global_store_dword v13, v14, s[2:3]
.LBB967_247:
	s_or_b64 exec, exec, s[0:1]
	v_or_b32_e32 v13, 0x100, v0
	v_cmp_gt_u32_e32 vcc, s18, v13
	s_and_saveexec_b64 s[0:1], vcc
	s_cbranch_execz .LBB967_256
; %bb.248:
	v_cmp_le_u32_e32 vcc, v2, v13
	s_and_saveexec_b64 s[2:3], vcc
	s_xor_b64 s[2:3], exec, s[2:3]
	s_cbranch_execz .LBB967_254
; %bb.249:
	v_cmp_le_u32_e32 vcc, v12, v13
	s_and_saveexec_b64 s[4:5], vcc
	s_xor_b64 s[4:5], exec, s[4:5]
	s_cbranch_execz .LBB967_251
; %bb.250:
	v_lshlrev_b32_e32 v13, 2, v0
	ds_read_b32 v13, v13 offset:1024
	v_add_co_u32_e32 v14, vcc, v1, v0
	v_addc_co_u32_e32 v15, vcc, 0, v4, vcc
	v_lshlrev_b64 v[14:15], 2, v[14:15]
	v_mov_b32_e32 v16, s7
	v_sub_co_u32_e32 v14, vcc, s6, v14
	v_subb_co_u32_e32 v15, vcc, v16, v15, vcc
	s_waitcnt lgkmcnt(0)
	global_store_dword v[14:15], v13, off offset:-1024
.LBB967_251:
	s_andn2_saveexec_b64 s[4:5], s[4:5]
	s_cbranch_execz .LBB967_253
; %bb.252:
	v_lshlrev_b32_e32 v13, 2, v0
	ds_read_b32 v14, v13 offset:1024
	v_readfirstlane_b32 s8, v8
	v_readfirstlane_b32 s9, v9
	s_waitcnt lgkmcnt(0)
	s_nop 3
	global_store_dword v13, v14, s[8:9] offset:1024
.LBB967_253:
	s_or_b64 exec, exec, s[4:5]
.LBB967_254:
	s_andn2_saveexec_b64 s[2:3], s[2:3]
	s_cbranch_execz .LBB967_256
; %bb.255:
	v_lshlrev_b32_e32 v13, 2, v0
	ds_read_b32 v14, v13 offset:1024
	v_readfirstlane_b32 s2, v10
	v_readfirstlane_b32 s3, v11
	s_waitcnt lgkmcnt(0)
	s_nop 3
	global_store_dword v13, v14, s[2:3] offset:1024
.LBB967_256:
	s_or_b64 exec, exec, s[0:1]
	v_or_b32_e32 v13, 0x200, v0
	v_cmp_gt_u32_e32 vcc, s18, v13
	s_and_saveexec_b64 s[0:1], vcc
	s_cbranch_execz .LBB967_265
; %bb.257:
	v_cmp_le_u32_e32 vcc, v2, v13
	s_and_saveexec_b64 s[2:3], vcc
	s_xor_b64 s[2:3], exec, s[2:3]
	s_cbranch_execz .LBB967_263
; %bb.258:
	v_cmp_le_u32_e32 vcc, v12, v13
	s_and_saveexec_b64 s[4:5], vcc
	s_xor_b64 s[4:5], exec, s[4:5]
	s_cbranch_execz .LBB967_260
; %bb.259:
	v_lshlrev_b32_e32 v13, 2, v0
	ds_read_b32 v13, v13 offset:2048
	v_add_co_u32_e32 v14, vcc, v1, v0
	v_addc_co_u32_e32 v15, vcc, 0, v4, vcc
	v_lshlrev_b64 v[14:15], 2, v[14:15]
	v_mov_b32_e32 v16, s7
	v_sub_co_u32_e32 v14, vcc, s6, v14
	v_subb_co_u32_e32 v15, vcc, v16, v15, vcc
	s_waitcnt lgkmcnt(0)
	global_store_dword v[14:15], v13, off offset:-2048
.LBB967_260:
	s_andn2_saveexec_b64 s[4:5], s[4:5]
	s_cbranch_execz .LBB967_262
; %bb.261:
	v_lshlrev_b32_e32 v13, 2, v0
	ds_read_b32 v14, v13 offset:2048
	v_readfirstlane_b32 s8, v8
	v_readfirstlane_b32 s9, v9
	s_waitcnt lgkmcnt(0)
	s_nop 3
	global_store_dword v13, v14, s[8:9] offset:2048
.LBB967_262:
	s_or_b64 exec, exec, s[4:5]
.LBB967_263:
	s_andn2_saveexec_b64 s[2:3], s[2:3]
	s_cbranch_execz .LBB967_265
; %bb.264:
	v_lshlrev_b32_e32 v13, 2, v0
	ds_read_b32 v14, v13 offset:2048
	v_readfirstlane_b32 s2, v10
	v_readfirstlane_b32 s3, v11
	s_waitcnt lgkmcnt(0)
	s_nop 3
	global_store_dword v13, v14, s[2:3] offset:2048
.LBB967_265:
	;; [unrolled: 51-line block ×3, first 2 shown]
	s_or_b64 exec, exec, s[0:1]
	v_or_b32_e32 v13, 0x400, v0
	v_cmp_gt_u32_e32 vcc, s18, v13
	s_and_saveexec_b64 s[0:1], vcc
	s_cbranch_execz .LBB967_283
; %bb.275:
	v_cmp_le_u32_e32 vcc, v2, v13
	s_and_saveexec_b64 s[2:3], vcc
	s_xor_b64 s[2:3], exec, s[2:3]
	s_cbranch_execz .LBB967_281
; %bb.276:
	v_cmp_le_u32_e32 vcc, v12, v13
	s_and_saveexec_b64 s[4:5], vcc
	s_xor_b64 s[4:5], exec, s[4:5]
	s_cbranch_execz .LBB967_278
; %bb.277:
	v_lshlrev_b32_e32 v13, 2, v0
	ds_read_b32 v13, v13 offset:4096
	v_add_co_u32_e32 v14, vcc, v1, v0
	v_addc_co_u32_e32 v15, vcc, 0, v4, vcc
	v_lshlrev_b64 v[14:15], 2, v[14:15]
	v_mov_b32_e32 v16, s7
	v_sub_co_u32_e32 v14, vcc, s6, v14
	v_subb_co_u32_e32 v15, vcc, v16, v15, vcc
	s_waitcnt lgkmcnt(0)
	global_store_dword v[14:15], v13, off offset:-4096
                                        ; implicit-def: $vgpr13
.LBB967_278:
	s_andn2_saveexec_b64 s[4:5], s[4:5]
	s_cbranch_execz .LBB967_280
; %bb.279:
	v_lshlrev_b32_e32 v14, 2, v0
	ds_read_b32 v14, v14 offset:4096
	v_lshlrev_b32_e32 v13, 2, v13
	v_readfirstlane_b32 s8, v8
	v_readfirstlane_b32 s9, v9
	s_waitcnt lgkmcnt(0)
	s_nop 3
	global_store_dword v13, v14, s[8:9]
.LBB967_280:
	s_or_b64 exec, exec, s[4:5]
                                        ; implicit-def: $vgpr13
.LBB967_281:
	s_andn2_saveexec_b64 s[2:3], s[2:3]
	s_cbranch_execz .LBB967_283
; %bb.282:
	v_lshlrev_b32_e32 v14, 2, v0
	ds_read_b32 v14, v14 offset:4096
	v_lshlrev_b32_e32 v13, 2, v13
	v_readfirstlane_b32 s2, v10
	v_readfirstlane_b32 s3, v11
	s_waitcnt lgkmcnt(0)
	s_nop 3
	global_store_dword v13, v14, s[2:3]
.LBB967_283:
	s_or_b64 exec, exec, s[0:1]
	v_or_b32_e32 v13, 0x500, v0
	v_cmp_gt_u32_e32 vcc, s18, v13
	s_and_saveexec_b64 s[0:1], vcc
	s_cbranch_execz .LBB967_292
; %bb.284:
	v_cmp_le_u32_e32 vcc, v2, v13
	s_and_saveexec_b64 s[2:3], vcc
	s_xor_b64 s[2:3], exec, s[2:3]
	s_cbranch_execz .LBB967_290
; %bb.285:
	v_cmp_le_u32_e32 vcc, v12, v13
	s_and_saveexec_b64 s[4:5], vcc
	s_xor_b64 s[4:5], exec, s[4:5]
	s_cbranch_execz .LBB967_287
; %bb.286:
	v_add_co_u32_e32 v14, vcc, v1, v13
	v_lshlrev_b32_e32 v13, 2, v0
	ds_read_b32 v13, v13 offset:5120
	v_addc_co_u32_e32 v15, vcc, 0, v4, vcc
	v_lshlrev_b64 v[14:15], 2, v[14:15]
	v_mov_b32_e32 v16, s7
	v_sub_co_u32_e32 v14, vcc, s6, v14
	v_subb_co_u32_e32 v15, vcc, v16, v15, vcc
	s_waitcnt lgkmcnt(0)
	global_store_dword v[14:15], v13, off
                                        ; implicit-def: $vgpr13
.LBB967_287:
	s_andn2_saveexec_b64 s[4:5], s[4:5]
	s_cbranch_execz .LBB967_289
; %bb.288:
	v_lshlrev_b32_e32 v14, 2, v0
	ds_read_b32 v14, v14 offset:5120
	v_lshlrev_b32_e32 v13, 2, v13
	v_readfirstlane_b32 s8, v8
	v_readfirstlane_b32 s9, v9
	s_waitcnt lgkmcnt(0)
	s_nop 3
	global_store_dword v13, v14, s[8:9]
.LBB967_289:
	s_or_b64 exec, exec, s[4:5]
                                        ; implicit-def: $vgpr13
.LBB967_290:
	s_andn2_saveexec_b64 s[2:3], s[2:3]
	s_cbranch_execz .LBB967_292
; %bb.291:
	v_lshlrev_b32_e32 v14, 2, v0
	ds_read_b32 v14, v14 offset:5120
	v_lshlrev_b32_e32 v13, 2, v13
	v_readfirstlane_b32 s2, v10
	v_readfirstlane_b32 s3, v11
	s_waitcnt lgkmcnt(0)
	s_nop 3
	global_store_dword v13, v14, s[2:3]
.LBB967_292:
	s_or_b64 exec, exec, s[0:1]
	v_or_b32_e32 v13, 0x600, v0
	v_cmp_gt_u32_e32 vcc, s18, v13
	s_and_saveexec_b64 s[0:1], vcc
	s_cbranch_execz .LBB967_301
; %bb.293:
	v_cmp_le_u32_e32 vcc, v2, v13
	s_and_saveexec_b64 s[2:3], vcc
	s_xor_b64 s[2:3], exec, s[2:3]
	s_cbranch_execz .LBB967_299
; %bb.294:
	v_cmp_le_u32_e32 vcc, v12, v13
	s_and_saveexec_b64 s[4:5], vcc
	s_xor_b64 s[4:5], exec, s[4:5]
	s_cbranch_execz .LBB967_296
; %bb.295:
	v_add_co_u32_e32 v14, vcc, v1, v13
	v_lshlrev_b32_e32 v13, 2, v0
	ds_read_b32 v13, v13 offset:6144
	v_addc_co_u32_e32 v15, vcc, 0, v4, vcc
	v_lshlrev_b64 v[14:15], 2, v[14:15]
	v_mov_b32_e32 v16, s7
	v_sub_co_u32_e32 v14, vcc, s6, v14
	v_subb_co_u32_e32 v15, vcc, v16, v15, vcc
	s_waitcnt lgkmcnt(0)
	global_store_dword v[14:15], v13, off
                                        ; implicit-def: $vgpr13
.LBB967_296:
	s_andn2_saveexec_b64 s[4:5], s[4:5]
	s_cbranch_execz .LBB967_298
; %bb.297:
	v_lshlrev_b32_e32 v14, 2, v0
	ds_read_b32 v14, v14 offset:6144
	v_lshlrev_b32_e32 v13, 2, v13
	v_readfirstlane_b32 s8, v8
	v_readfirstlane_b32 s9, v9
	s_waitcnt lgkmcnt(0)
	s_nop 3
	global_store_dword v13, v14, s[8:9]
.LBB967_298:
	s_or_b64 exec, exec, s[4:5]
                                        ; implicit-def: $vgpr13
.LBB967_299:
	s_andn2_saveexec_b64 s[2:3], s[2:3]
	s_cbranch_execz .LBB967_301
; %bb.300:
	v_lshlrev_b32_e32 v14, 2, v0
	ds_read_b32 v14, v14 offset:6144
	v_lshlrev_b32_e32 v13, 2, v13
	v_readfirstlane_b32 s2, v10
	v_readfirstlane_b32 s3, v11
	s_waitcnt lgkmcnt(0)
	s_nop 3
	global_store_dword v13, v14, s[2:3]
.LBB967_301:
	;; [unrolled: 55-line block ×7, first 2 shown]
	s_or_b64 exec, exec, s[0:1]
	v_or_b32_e32 v13, 0xc00, v0
	v_cmp_gt_u32_e32 vcc, s18, v13
	s_and_saveexec_b64 s[0:1], vcc
	s_cbranch_execz .LBB967_355
; %bb.347:
	v_cmp_le_u32_e32 vcc, v2, v13
	s_and_saveexec_b64 s[2:3], vcc
	s_xor_b64 s[2:3], exec, s[2:3]
	s_cbranch_execz .LBB967_353
; %bb.348:
	v_cmp_le_u32_e32 vcc, v12, v13
	s_and_saveexec_b64 s[4:5], vcc
	s_xor_b64 s[4:5], exec, s[4:5]
	s_cbranch_execz .LBB967_350
; %bb.349:
	v_add_co_u32_e32 v8, vcc, v1, v13
	v_lshlrev_b32_e32 v1, 2, v0
	ds_read_b32 v1, v1 offset:12288
	v_addc_co_u32_e32 v9, vcc, 0, v4, vcc
	v_lshlrev_b64 v[8:9], 2, v[8:9]
	v_mov_b32_e32 v4, s7
	v_sub_co_u32_e32 v8, vcc, s6, v8
	v_subb_co_u32_e32 v9, vcc, v4, v9, vcc
	s_waitcnt lgkmcnt(0)
	global_store_dword v[8:9], v1, off
                                        ; implicit-def: $vgpr13
                                        ; implicit-def: $vgpr8_vgpr9
.LBB967_350:
	s_andn2_saveexec_b64 s[4:5], s[4:5]
	s_cbranch_execz .LBB967_352
; %bb.351:
	v_lshlrev_b32_e32 v1, 2, v0
	ds_read_b32 v1, v1 offset:12288
	v_lshlrev_b32_e32 v4, 2, v13
	v_readfirstlane_b32 s6, v8
	v_readfirstlane_b32 s7, v9
	s_waitcnt lgkmcnt(0)
	s_nop 3
	global_store_dword v4, v1, s[6:7]
.LBB967_352:
	s_or_b64 exec, exec, s[4:5]
                                        ; implicit-def: $vgpr13
                                        ; implicit-def: $vgpr10_vgpr11
.LBB967_353:
	s_andn2_saveexec_b64 s[2:3], s[2:3]
	s_cbranch_execz .LBB967_355
; %bb.354:
	v_lshlrev_b32_e32 v1, 2, v0
	ds_read_b32 v1, v1 offset:12288
	v_lshlrev_b32_e32 v4, 2, v13
	v_readfirstlane_b32 s2, v10
	v_readfirstlane_b32 s3, v11
	s_waitcnt lgkmcnt(0)
	s_nop 3
	global_store_dword v4, v1, s[2:3]
.LBB967_355:
	s_or_b64 exec, exec, s[0:1]
	v_cmp_eq_u32_e32 vcc, 0, v0
	s_and_b64 s[0:1], vcc, s[30:31]
	s_and_saveexec_b64 s[2:3], s[0:1]
	s_cbranch_execz .LBB967_132
.LBB967_356:
	v_add_co_u32_e32 v0, vcc, v6, v2
	v_addc_co_u32_e32 v1, vcc, 0, v7, vcc
	v_mov_b32_e32 v2, s51
	v_add_co_u32_e32 v3, vcc, s50, v3
	v_addc_co_u32_e32 v6, vcc, 0, v2, vcc
	v_add_co_u32_e32 v2, vcc, v3, v5
	v_mov_b32_e32 v4, 0
	v_addc_co_u32_e32 v3, vcc, 0, v6, vcc
	global_store_dwordx4 v4, v[0:3], s[44:45]
	s_endpgm
	.section	.rodata,"a",@progbits
	.p2align	6, 0x0
	.amdhsa_kernel _ZN7rocprim17ROCPRIM_400000_NS6detail17trampoline_kernelINS0_13select_configILj256ELj13ELNS0_17block_load_methodE3ELS4_3ELS4_3ELNS0_20block_scan_algorithmE0ELj4294967295EEENS1_25partition_config_selectorILNS1_17partition_subalgoE4EjNS0_10empty_typeEbEEZZNS1_14partition_implILS8_4ELb0ES6_15HIP_vector_typeIjLj2EENS0_17counting_iteratorIjlEEPS9_SG_NS0_5tupleIJPjSI_NS0_16reverse_iteratorISI_EEEEENSH_IJSG_SG_SG_EEES9_SI_JZNS1_25segmented_radix_sort_implINS0_14default_configELb0EPKsPsPKlPlN2at6native12_GLOBAL__N_18offset_tEEE10hipError_tPvRmT1_PNSt15iterator_traitsIS12_E10value_typeET2_T3_PNS13_IS18_E10value_typeET4_jRbjT5_S1E_jjP12ihipStream_tbEUljE_ZNSN_ISO_Lb0ESQ_SR_ST_SU_SY_EESZ_S10_S11_S12_S16_S17_S18_S1B_S1C_jS1D_jS1E_S1E_jjS1G_bEUljE0_EEESZ_S10_S11_S18_S1C_S1E_T6_T7_T9_mT8_S1G_bDpT10_ENKUlT_T0_E_clISt17integral_constantIbLb1EES1T_IbLb0EEEEDaS1P_S1Q_EUlS1P_E_NS1_11comp_targetILNS1_3genE4ELNS1_11target_archE910ELNS1_3gpuE8ELNS1_3repE0EEENS1_30default_config_static_selectorELNS0_4arch9wavefront6targetE1EEEvS12_
		.amdhsa_group_segment_fixed_size 13340
		.amdhsa_private_segment_fixed_size 0
		.amdhsa_kernarg_size 176
		.amdhsa_user_sgpr_count 6
		.amdhsa_user_sgpr_private_segment_buffer 1
		.amdhsa_user_sgpr_dispatch_ptr 0
		.amdhsa_user_sgpr_queue_ptr 0
		.amdhsa_user_sgpr_kernarg_segment_ptr 1
		.amdhsa_user_sgpr_dispatch_id 0
		.amdhsa_user_sgpr_flat_scratch_init 0
		.amdhsa_user_sgpr_kernarg_preload_length 0
		.amdhsa_user_sgpr_kernarg_preload_offset 0
		.amdhsa_user_sgpr_private_segment_size 0
		.amdhsa_uses_dynamic_stack 0
		.amdhsa_system_sgpr_private_segment_wavefront_offset 0
		.amdhsa_system_sgpr_workgroup_id_x 1
		.amdhsa_system_sgpr_workgroup_id_y 0
		.amdhsa_system_sgpr_workgroup_id_z 0
		.amdhsa_system_sgpr_workgroup_info 0
		.amdhsa_system_vgpr_workitem_id 0
		.amdhsa_next_free_vgpr 102
		.amdhsa_next_free_sgpr 90
		.amdhsa_accum_offset 104
		.amdhsa_reserve_vcc 1
		.amdhsa_reserve_flat_scratch 0
		.amdhsa_float_round_mode_32 0
		.amdhsa_float_round_mode_16_64 0
		.amdhsa_float_denorm_mode_32 3
		.amdhsa_float_denorm_mode_16_64 3
		.amdhsa_dx10_clamp 1
		.amdhsa_ieee_mode 1
		.amdhsa_fp16_overflow 0
		.amdhsa_tg_split 0
		.amdhsa_exception_fp_ieee_invalid_op 0
		.amdhsa_exception_fp_denorm_src 0
		.amdhsa_exception_fp_ieee_div_zero 0
		.amdhsa_exception_fp_ieee_overflow 0
		.amdhsa_exception_fp_ieee_underflow 0
		.amdhsa_exception_fp_ieee_inexact 0
		.amdhsa_exception_int_div_zero 0
	.end_amdhsa_kernel
	.section	.text._ZN7rocprim17ROCPRIM_400000_NS6detail17trampoline_kernelINS0_13select_configILj256ELj13ELNS0_17block_load_methodE3ELS4_3ELS4_3ELNS0_20block_scan_algorithmE0ELj4294967295EEENS1_25partition_config_selectorILNS1_17partition_subalgoE4EjNS0_10empty_typeEbEEZZNS1_14partition_implILS8_4ELb0ES6_15HIP_vector_typeIjLj2EENS0_17counting_iteratorIjlEEPS9_SG_NS0_5tupleIJPjSI_NS0_16reverse_iteratorISI_EEEEENSH_IJSG_SG_SG_EEES9_SI_JZNS1_25segmented_radix_sort_implINS0_14default_configELb0EPKsPsPKlPlN2at6native12_GLOBAL__N_18offset_tEEE10hipError_tPvRmT1_PNSt15iterator_traitsIS12_E10value_typeET2_T3_PNS13_IS18_E10value_typeET4_jRbjT5_S1E_jjP12ihipStream_tbEUljE_ZNSN_ISO_Lb0ESQ_SR_ST_SU_SY_EESZ_S10_S11_S12_S16_S17_S18_S1B_S1C_jS1D_jS1E_S1E_jjS1G_bEUljE0_EEESZ_S10_S11_S18_S1C_S1E_T6_T7_T9_mT8_S1G_bDpT10_ENKUlT_T0_E_clISt17integral_constantIbLb1EES1T_IbLb0EEEEDaS1P_S1Q_EUlS1P_E_NS1_11comp_targetILNS1_3genE4ELNS1_11target_archE910ELNS1_3gpuE8ELNS1_3repE0EEENS1_30default_config_static_selectorELNS0_4arch9wavefront6targetE1EEEvS12_,"axG",@progbits,_ZN7rocprim17ROCPRIM_400000_NS6detail17trampoline_kernelINS0_13select_configILj256ELj13ELNS0_17block_load_methodE3ELS4_3ELS4_3ELNS0_20block_scan_algorithmE0ELj4294967295EEENS1_25partition_config_selectorILNS1_17partition_subalgoE4EjNS0_10empty_typeEbEEZZNS1_14partition_implILS8_4ELb0ES6_15HIP_vector_typeIjLj2EENS0_17counting_iteratorIjlEEPS9_SG_NS0_5tupleIJPjSI_NS0_16reverse_iteratorISI_EEEEENSH_IJSG_SG_SG_EEES9_SI_JZNS1_25segmented_radix_sort_implINS0_14default_configELb0EPKsPsPKlPlN2at6native12_GLOBAL__N_18offset_tEEE10hipError_tPvRmT1_PNSt15iterator_traitsIS12_E10value_typeET2_T3_PNS13_IS18_E10value_typeET4_jRbjT5_S1E_jjP12ihipStream_tbEUljE_ZNSN_ISO_Lb0ESQ_SR_ST_SU_SY_EESZ_S10_S11_S12_S16_S17_S18_S1B_S1C_jS1D_jS1E_S1E_jjS1G_bEUljE0_EEESZ_S10_S11_S18_S1C_S1E_T6_T7_T9_mT8_S1G_bDpT10_ENKUlT_T0_E_clISt17integral_constantIbLb1EES1T_IbLb0EEEEDaS1P_S1Q_EUlS1P_E_NS1_11comp_targetILNS1_3genE4ELNS1_11target_archE910ELNS1_3gpuE8ELNS1_3repE0EEENS1_30default_config_static_selectorELNS0_4arch9wavefront6targetE1EEEvS12_,comdat
.Lfunc_end967:
	.size	_ZN7rocprim17ROCPRIM_400000_NS6detail17trampoline_kernelINS0_13select_configILj256ELj13ELNS0_17block_load_methodE3ELS4_3ELS4_3ELNS0_20block_scan_algorithmE0ELj4294967295EEENS1_25partition_config_selectorILNS1_17partition_subalgoE4EjNS0_10empty_typeEbEEZZNS1_14partition_implILS8_4ELb0ES6_15HIP_vector_typeIjLj2EENS0_17counting_iteratorIjlEEPS9_SG_NS0_5tupleIJPjSI_NS0_16reverse_iteratorISI_EEEEENSH_IJSG_SG_SG_EEES9_SI_JZNS1_25segmented_radix_sort_implINS0_14default_configELb0EPKsPsPKlPlN2at6native12_GLOBAL__N_18offset_tEEE10hipError_tPvRmT1_PNSt15iterator_traitsIS12_E10value_typeET2_T3_PNS13_IS18_E10value_typeET4_jRbjT5_S1E_jjP12ihipStream_tbEUljE_ZNSN_ISO_Lb0ESQ_SR_ST_SU_SY_EESZ_S10_S11_S12_S16_S17_S18_S1B_S1C_jS1D_jS1E_S1E_jjS1G_bEUljE0_EEESZ_S10_S11_S18_S1C_S1E_T6_T7_T9_mT8_S1G_bDpT10_ENKUlT_T0_E_clISt17integral_constantIbLb1EES1T_IbLb0EEEEDaS1P_S1Q_EUlS1P_E_NS1_11comp_targetILNS1_3genE4ELNS1_11target_archE910ELNS1_3gpuE8ELNS1_3repE0EEENS1_30default_config_static_selectorELNS0_4arch9wavefront6targetE1EEEvS12_, .Lfunc_end967-_ZN7rocprim17ROCPRIM_400000_NS6detail17trampoline_kernelINS0_13select_configILj256ELj13ELNS0_17block_load_methodE3ELS4_3ELS4_3ELNS0_20block_scan_algorithmE0ELj4294967295EEENS1_25partition_config_selectorILNS1_17partition_subalgoE4EjNS0_10empty_typeEbEEZZNS1_14partition_implILS8_4ELb0ES6_15HIP_vector_typeIjLj2EENS0_17counting_iteratorIjlEEPS9_SG_NS0_5tupleIJPjSI_NS0_16reverse_iteratorISI_EEEEENSH_IJSG_SG_SG_EEES9_SI_JZNS1_25segmented_radix_sort_implINS0_14default_configELb0EPKsPsPKlPlN2at6native12_GLOBAL__N_18offset_tEEE10hipError_tPvRmT1_PNSt15iterator_traitsIS12_E10value_typeET2_T3_PNS13_IS18_E10value_typeET4_jRbjT5_S1E_jjP12ihipStream_tbEUljE_ZNSN_ISO_Lb0ESQ_SR_ST_SU_SY_EESZ_S10_S11_S12_S16_S17_S18_S1B_S1C_jS1D_jS1E_S1E_jjS1G_bEUljE0_EEESZ_S10_S11_S18_S1C_S1E_T6_T7_T9_mT8_S1G_bDpT10_ENKUlT_T0_E_clISt17integral_constantIbLb1EES1T_IbLb0EEEEDaS1P_S1Q_EUlS1P_E_NS1_11comp_targetILNS1_3genE4ELNS1_11target_archE910ELNS1_3gpuE8ELNS1_3repE0EEENS1_30default_config_static_selectorELNS0_4arch9wavefront6targetE1EEEvS12_
                                        ; -- End function
	.section	.AMDGPU.csdata,"",@progbits
; Kernel info:
; codeLenInByte = 13412
; NumSgprs: 94
; NumVgprs: 102
; NumAgprs: 0
; TotalNumVgprs: 102
; ScratchSize: 0
; MemoryBound: 0
; FloatMode: 240
; IeeeMode: 1
; LDSByteSize: 13340 bytes/workgroup (compile time only)
; SGPRBlocks: 11
; VGPRBlocks: 12
; NumSGPRsForWavesPerEU: 94
; NumVGPRsForWavesPerEU: 102
; AccumOffset: 104
; Occupancy: 4
; WaveLimiterHint : 1
; COMPUTE_PGM_RSRC2:SCRATCH_EN: 0
; COMPUTE_PGM_RSRC2:USER_SGPR: 6
; COMPUTE_PGM_RSRC2:TRAP_HANDLER: 0
; COMPUTE_PGM_RSRC2:TGID_X_EN: 1
; COMPUTE_PGM_RSRC2:TGID_Y_EN: 0
; COMPUTE_PGM_RSRC2:TGID_Z_EN: 0
; COMPUTE_PGM_RSRC2:TIDIG_COMP_CNT: 0
; COMPUTE_PGM_RSRC3_GFX90A:ACCUM_OFFSET: 25
; COMPUTE_PGM_RSRC3_GFX90A:TG_SPLIT: 0
	.section	.text._ZN7rocprim17ROCPRIM_400000_NS6detail17trampoline_kernelINS0_13select_configILj256ELj13ELNS0_17block_load_methodE3ELS4_3ELS4_3ELNS0_20block_scan_algorithmE0ELj4294967295EEENS1_25partition_config_selectorILNS1_17partition_subalgoE4EjNS0_10empty_typeEbEEZZNS1_14partition_implILS8_4ELb0ES6_15HIP_vector_typeIjLj2EENS0_17counting_iteratorIjlEEPS9_SG_NS0_5tupleIJPjSI_NS0_16reverse_iteratorISI_EEEEENSH_IJSG_SG_SG_EEES9_SI_JZNS1_25segmented_radix_sort_implINS0_14default_configELb0EPKsPsPKlPlN2at6native12_GLOBAL__N_18offset_tEEE10hipError_tPvRmT1_PNSt15iterator_traitsIS12_E10value_typeET2_T3_PNS13_IS18_E10value_typeET4_jRbjT5_S1E_jjP12ihipStream_tbEUljE_ZNSN_ISO_Lb0ESQ_SR_ST_SU_SY_EESZ_S10_S11_S12_S16_S17_S18_S1B_S1C_jS1D_jS1E_S1E_jjS1G_bEUljE0_EEESZ_S10_S11_S18_S1C_S1E_T6_T7_T9_mT8_S1G_bDpT10_ENKUlT_T0_E_clISt17integral_constantIbLb1EES1T_IbLb0EEEEDaS1P_S1Q_EUlS1P_E_NS1_11comp_targetILNS1_3genE3ELNS1_11target_archE908ELNS1_3gpuE7ELNS1_3repE0EEENS1_30default_config_static_selectorELNS0_4arch9wavefront6targetE1EEEvS12_,"axG",@progbits,_ZN7rocprim17ROCPRIM_400000_NS6detail17trampoline_kernelINS0_13select_configILj256ELj13ELNS0_17block_load_methodE3ELS4_3ELS4_3ELNS0_20block_scan_algorithmE0ELj4294967295EEENS1_25partition_config_selectorILNS1_17partition_subalgoE4EjNS0_10empty_typeEbEEZZNS1_14partition_implILS8_4ELb0ES6_15HIP_vector_typeIjLj2EENS0_17counting_iteratorIjlEEPS9_SG_NS0_5tupleIJPjSI_NS0_16reverse_iteratorISI_EEEEENSH_IJSG_SG_SG_EEES9_SI_JZNS1_25segmented_radix_sort_implINS0_14default_configELb0EPKsPsPKlPlN2at6native12_GLOBAL__N_18offset_tEEE10hipError_tPvRmT1_PNSt15iterator_traitsIS12_E10value_typeET2_T3_PNS13_IS18_E10value_typeET4_jRbjT5_S1E_jjP12ihipStream_tbEUljE_ZNSN_ISO_Lb0ESQ_SR_ST_SU_SY_EESZ_S10_S11_S12_S16_S17_S18_S1B_S1C_jS1D_jS1E_S1E_jjS1G_bEUljE0_EEESZ_S10_S11_S18_S1C_S1E_T6_T7_T9_mT8_S1G_bDpT10_ENKUlT_T0_E_clISt17integral_constantIbLb1EES1T_IbLb0EEEEDaS1P_S1Q_EUlS1P_E_NS1_11comp_targetILNS1_3genE3ELNS1_11target_archE908ELNS1_3gpuE7ELNS1_3repE0EEENS1_30default_config_static_selectorELNS0_4arch9wavefront6targetE1EEEvS12_,comdat
	.globl	_ZN7rocprim17ROCPRIM_400000_NS6detail17trampoline_kernelINS0_13select_configILj256ELj13ELNS0_17block_load_methodE3ELS4_3ELS4_3ELNS0_20block_scan_algorithmE0ELj4294967295EEENS1_25partition_config_selectorILNS1_17partition_subalgoE4EjNS0_10empty_typeEbEEZZNS1_14partition_implILS8_4ELb0ES6_15HIP_vector_typeIjLj2EENS0_17counting_iteratorIjlEEPS9_SG_NS0_5tupleIJPjSI_NS0_16reverse_iteratorISI_EEEEENSH_IJSG_SG_SG_EEES9_SI_JZNS1_25segmented_radix_sort_implINS0_14default_configELb0EPKsPsPKlPlN2at6native12_GLOBAL__N_18offset_tEEE10hipError_tPvRmT1_PNSt15iterator_traitsIS12_E10value_typeET2_T3_PNS13_IS18_E10value_typeET4_jRbjT5_S1E_jjP12ihipStream_tbEUljE_ZNSN_ISO_Lb0ESQ_SR_ST_SU_SY_EESZ_S10_S11_S12_S16_S17_S18_S1B_S1C_jS1D_jS1E_S1E_jjS1G_bEUljE0_EEESZ_S10_S11_S18_S1C_S1E_T6_T7_T9_mT8_S1G_bDpT10_ENKUlT_T0_E_clISt17integral_constantIbLb1EES1T_IbLb0EEEEDaS1P_S1Q_EUlS1P_E_NS1_11comp_targetILNS1_3genE3ELNS1_11target_archE908ELNS1_3gpuE7ELNS1_3repE0EEENS1_30default_config_static_selectorELNS0_4arch9wavefront6targetE1EEEvS12_ ; -- Begin function _ZN7rocprim17ROCPRIM_400000_NS6detail17trampoline_kernelINS0_13select_configILj256ELj13ELNS0_17block_load_methodE3ELS4_3ELS4_3ELNS0_20block_scan_algorithmE0ELj4294967295EEENS1_25partition_config_selectorILNS1_17partition_subalgoE4EjNS0_10empty_typeEbEEZZNS1_14partition_implILS8_4ELb0ES6_15HIP_vector_typeIjLj2EENS0_17counting_iteratorIjlEEPS9_SG_NS0_5tupleIJPjSI_NS0_16reverse_iteratorISI_EEEEENSH_IJSG_SG_SG_EEES9_SI_JZNS1_25segmented_radix_sort_implINS0_14default_configELb0EPKsPsPKlPlN2at6native12_GLOBAL__N_18offset_tEEE10hipError_tPvRmT1_PNSt15iterator_traitsIS12_E10value_typeET2_T3_PNS13_IS18_E10value_typeET4_jRbjT5_S1E_jjP12ihipStream_tbEUljE_ZNSN_ISO_Lb0ESQ_SR_ST_SU_SY_EESZ_S10_S11_S12_S16_S17_S18_S1B_S1C_jS1D_jS1E_S1E_jjS1G_bEUljE0_EEESZ_S10_S11_S18_S1C_S1E_T6_T7_T9_mT8_S1G_bDpT10_ENKUlT_T0_E_clISt17integral_constantIbLb1EES1T_IbLb0EEEEDaS1P_S1Q_EUlS1P_E_NS1_11comp_targetILNS1_3genE3ELNS1_11target_archE908ELNS1_3gpuE7ELNS1_3repE0EEENS1_30default_config_static_selectorELNS0_4arch9wavefront6targetE1EEEvS12_
	.p2align	8
	.type	_ZN7rocprim17ROCPRIM_400000_NS6detail17trampoline_kernelINS0_13select_configILj256ELj13ELNS0_17block_load_methodE3ELS4_3ELS4_3ELNS0_20block_scan_algorithmE0ELj4294967295EEENS1_25partition_config_selectorILNS1_17partition_subalgoE4EjNS0_10empty_typeEbEEZZNS1_14partition_implILS8_4ELb0ES6_15HIP_vector_typeIjLj2EENS0_17counting_iteratorIjlEEPS9_SG_NS0_5tupleIJPjSI_NS0_16reverse_iteratorISI_EEEEENSH_IJSG_SG_SG_EEES9_SI_JZNS1_25segmented_radix_sort_implINS0_14default_configELb0EPKsPsPKlPlN2at6native12_GLOBAL__N_18offset_tEEE10hipError_tPvRmT1_PNSt15iterator_traitsIS12_E10value_typeET2_T3_PNS13_IS18_E10value_typeET4_jRbjT5_S1E_jjP12ihipStream_tbEUljE_ZNSN_ISO_Lb0ESQ_SR_ST_SU_SY_EESZ_S10_S11_S12_S16_S17_S18_S1B_S1C_jS1D_jS1E_S1E_jjS1G_bEUljE0_EEESZ_S10_S11_S18_S1C_S1E_T6_T7_T9_mT8_S1G_bDpT10_ENKUlT_T0_E_clISt17integral_constantIbLb1EES1T_IbLb0EEEEDaS1P_S1Q_EUlS1P_E_NS1_11comp_targetILNS1_3genE3ELNS1_11target_archE908ELNS1_3gpuE7ELNS1_3repE0EEENS1_30default_config_static_selectorELNS0_4arch9wavefront6targetE1EEEvS12_,@function
_ZN7rocprim17ROCPRIM_400000_NS6detail17trampoline_kernelINS0_13select_configILj256ELj13ELNS0_17block_load_methodE3ELS4_3ELS4_3ELNS0_20block_scan_algorithmE0ELj4294967295EEENS1_25partition_config_selectorILNS1_17partition_subalgoE4EjNS0_10empty_typeEbEEZZNS1_14partition_implILS8_4ELb0ES6_15HIP_vector_typeIjLj2EENS0_17counting_iteratorIjlEEPS9_SG_NS0_5tupleIJPjSI_NS0_16reverse_iteratorISI_EEEEENSH_IJSG_SG_SG_EEES9_SI_JZNS1_25segmented_radix_sort_implINS0_14default_configELb0EPKsPsPKlPlN2at6native12_GLOBAL__N_18offset_tEEE10hipError_tPvRmT1_PNSt15iterator_traitsIS12_E10value_typeET2_T3_PNS13_IS18_E10value_typeET4_jRbjT5_S1E_jjP12ihipStream_tbEUljE_ZNSN_ISO_Lb0ESQ_SR_ST_SU_SY_EESZ_S10_S11_S12_S16_S17_S18_S1B_S1C_jS1D_jS1E_S1E_jjS1G_bEUljE0_EEESZ_S10_S11_S18_S1C_S1E_T6_T7_T9_mT8_S1G_bDpT10_ENKUlT_T0_E_clISt17integral_constantIbLb1EES1T_IbLb0EEEEDaS1P_S1Q_EUlS1P_E_NS1_11comp_targetILNS1_3genE3ELNS1_11target_archE908ELNS1_3gpuE7ELNS1_3repE0EEENS1_30default_config_static_selectorELNS0_4arch9wavefront6targetE1EEEvS12_: ; @_ZN7rocprim17ROCPRIM_400000_NS6detail17trampoline_kernelINS0_13select_configILj256ELj13ELNS0_17block_load_methodE3ELS4_3ELS4_3ELNS0_20block_scan_algorithmE0ELj4294967295EEENS1_25partition_config_selectorILNS1_17partition_subalgoE4EjNS0_10empty_typeEbEEZZNS1_14partition_implILS8_4ELb0ES6_15HIP_vector_typeIjLj2EENS0_17counting_iteratorIjlEEPS9_SG_NS0_5tupleIJPjSI_NS0_16reverse_iteratorISI_EEEEENSH_IJSG_SG_SG_EEES9_SI_JZNS1_25segmented_radix_sort_implINS0_14default_configELb0EPKsPsPKlPlN2at6native12_GLOBAL__N_18offset_tEEE10hipError_tPvRmT1_PNSt15iterator_traitsIS12_E10value_typeET2_T3_PNS13_IS18_E10value_typeET4_jRbjT5_S1E_jjP12ihipStream_tbEUljE_ZNSN_ISO_Lb0ESQ_SR_ST_SU_SY_EESZ_S10_S11_S12_S16_S17_S18_S1B_S1C_jS1D_jS1E_S1E_jjS1G_bEUljE0_EEESZ_S10_S11_S18_S1C_S1E_T6_T7_T9_mT8_S1G_bDpT10_ENKUlT_T0_E_clISt17integral_constantIbLb1EES1T_IbLb0EEEEDaS1P_S1Q_EUlS1P_E_NS1_11comp_targetILNS1_3genE3ELNS1_11target_archE908ELNS1_3gpuE7ELNS1_3repE0EEENS1_30default_config_static_selectorELNS0_4arch9wavefront6targetE1EEEvS12_
; %bb.0:
	.section	.rodata,"a",@progbits
	.p2align	6, 0x0
	.amdhsa_kernel _ZN7rocprim17ROCPRIM_400000_NS6detail17trampoline_kernelINS0_13select_configILj256ELj13ELNS0_17block_load_methodE3ELS4_3ELS4_3ELNS0_20block_scan_algorithmE0ELj4294967295EEENS1_25partition_config_selectorILNS1_17partition_subalgoE4EjNS0_10empty_typeEbEEZZNS1_14partition_implILS8_4ELb0ES6_15HIP_vector_typeIjLj2EENS0_17counting_iteratorIjlEEPS9_SG_NS0_5tupleIJPjSI_NS0_16reverse_iteratorISI_EEEEENSH_IJSG_SG_SG_EEES9_SI_JZNS1_25segmented_radix_sort_implINS0_14default_configELb0EPKsPsPKlPlN2at6native12_GLOBAL__N_18offset_tEEE10hipError_tPvRmT1_PNSt15iterator_traitsIS12_E10value_typeET2_T3_PNS13_IS18_E10value_typeET4_jRbjT5_S1E_jjP12ihipStream_tbEUljE_ZNSN_ISO_Lb0ESQ_SR_ST_SU_SY_EESZ_S10_S11_S12_S16_S17_S18_S1B_S1C_jS1D_jS1E_S1E_jjS1G_bEUljE0_EEESZ_S10_S11_S18_S1C_S1E_T6_T7_T9_mT8_S1G_bDpT10_ENKUlT_T0_E_clISt17integral_constantIbLb1EES1T_IbLb0EEEEDaS1P_S1Q_EUlS1P_E_NS1_11comp_targetILNS1_3genE3ELNS1_11target_archE908ELNS1_3gpuE7ELNS1_3repE0EEENS1_30default_config_static_selectorELNS0_4arch9wavefront6targetE1EEEvS12_
		.amdhsa_group_segment_fixed_size 0
		.amdhsa_private_segment_fixed_size 0
		.amdhsa_kernarg_size 176
		.amdhsa_user_sgpr_count 6
		.amdhsa_user_sgpr_private_segment_buffer 1
		.amdhsa_user_sgpr_dispatch_ptr 0
		.amdhsa_user_sgpr_queue_ptr 0
		.amdhsa_user_sgpr_kernarg_segment_ptr 1
		.amdhsa_user_sgpr_dispatch_id 0
		.amdhsa_user_sgpr_flat_scratch_init 0
		.amdhsa_user_sgpr_kernarg_preload_length 0
		.amdhsa_user_sgpr_kernarg_preload_offset 0
		.amdhsa_user_sgpr_private_segment_size 0
		.amdhsa_uses_dynamic_stack 0
		.amdhsa_system_sgpr_private_segment_wavefront_offset 0
		.amdhsa_system_sgpr_workgroup_id_x 1
		.amdhsa_system_sgpr_workgroup_id_y 0
		.amdhsa_system_sgpr_workgroup_id_z 0
		.amdhsa_system_sgpr_workgroup_info 0
		.amdhsa_system_vgpr_workitem_id 0
		.amdhsa_next_free_vgpr 1
		.amdhsa_next_free_sgpr 0
		.amdhsa_accum_offset 4
		.amdhsa_reserve_vcc 0
		.amdhsa_reserve_flat_scratch 0
		.amdhsa_float_round_mode_32 0
		.amdhsa_float_round_mode_16_64 0
		.amdhsa_float_denorm_mode_32 3
		.amdhsa_float_denorm_mode_16_64 3
		.amdhsa_dx10_clamp 1
		.amdhsa_ieee_mode 1
		.amdhsa_fp16_overflow 0
		.amdhsa_tg_split 0
		.amdhsa_exception_fp_ieee_invalid_op 0
		.amdhsa_exception_fp_denorm_src 0
		.amdhsa_exception_fp_ieee_div_zero 0
		.amdhsa_exception_fp_ieee_overflow 0
		.amdhsa_exception_fp_ieee_underflow 0
		.amdhsa_exception_fp_ieee_inexact 0
		.amdhsa_exception_int_div_zero 0
	.end_amdhsa_kernel
	.section	.text._ZN7rocprim17ROCPRIM_400000_NS6detail17trampoline_kernelINS0_13select_configILj256ELj13ELNS0_17block_load_methodE3ELS4_3ELS4_3ELNS0_20block_scan_algorithmE0ELj4294967295EEENS1_25partition_config_selectorILNS1_17partition_subalgoE4EjNS0_10empty_typeEbEEZZNS1_14partition_implILS8_4ELb0ES6_15HIP_vector_typeIjLj2EENS0_17counting_iteratorIjlEEPS9_SG_NS0_5tupleIJPjSI_NS0_16reverse_iteratorISI_EEEEENSH_IJSG_SG_SG_EEES9_SI_JZNS1_25segmented_radix_sort_implINS0_14default_configELb0EPKsPsPKlPlN2at6native12_GLOBAL__N_18offset_tEEE10hipError_tPvRmT1_PNSt15iterator_traitsIS12_E10value_typeET2_T3_PNS13_IS18_E10value_typeET4_jRbjT5_S1E_jjP12ihipStream_tbEUljE_ZNSN_ISO_Lb0ESQ_SR_ST_SU_SY_EESZ_S10_S11_S12_S16_S17_S18_S1B_S1C_jS1D_jS1E_S1E_jjS1G_bEUljE0_EEESZ_S10_S11_S18_S1C_S1E_T6_T7_T9_mT8_S1G_bDpT10_ENKUlT_T0_E_clISt17integral_constantIbLb1EES1T_IbLb0EEEEDaS1P_S1Q_EUlS1P_E_NS1_11comp_targetILNS1_3genE3ELNS1_11target_archE908ELNS1_3gpuE7ELNS1_3repE0EEENS1_30default_config_static_selectorELNS0_4arch9wavefront6targetE1EEEvS12_,"axG",@progbits,_ZN7rocprim17ROCPRIM_400000_NS6detail17trampoline_kernelINS0_13select_configILj256ELj13ELNS0_17block_load_methodE3ELS4_3ELS4_3ELNS0_20block_scan_algorithmE0ELj4294967295EEENS1_25partition_config_selectorILNS1_17partition_subalgoE4EjNS0_10empty_typeEbEEZZNS1_14partition_implILS8_4ELb0ES6_15HIP_vector_typeIjLj2EENS0_17counting_iteratorIjlEEPS9_SG_NS0_5tupleIJPjSI_NS0_16reverse_iteratorISI_EEEEENSH_IJSG_SG_SG_EEES9_SI_JZNS1_25segmented_radix_sort_implINS0_14default_configELb0EPKsPsPKlPlN2at6native12_GLOBAL__N_18offset_tEEE10hipError_tPvRmT1_PNSt15iterator_traitsIS12_E10value_typeET2_T3_PNS13_IS18_E10value_typeET4_jRbjT5_S1E_jjP12ihipStream_tbEUljE_ZNSN_ISO_Lb0ESQ_SR_ST_SU_SY_EESZ_S10_S11_S12_S16_S17_S18_S1B_S1C_jS1D_jS1E_S1E_jjS1G_bEUljE0_EEESZ_S10_S11_S18_S1C_S1E_T6_T7_T9_mT8_S1G_bDpT10_ENKUlT_T0_E_clISt17integral_constantIbLb1EES1T_IbLb0EEEEDaS1P_S1Q_EUlS1P_E_NS1_11comp_targetILNS1_3genE3ELNS1_11target_archE908ELNS1_3gpuE7ELNS1_3repE0EEENS1_30default_config_static_selectorELNS0_4arch9wavefront6targetE1EEEvS12_,comdat
.Lfunc_end968:
	.size	_ZN7rocprim17ROCPRIM_400000_NS6detail17trampoline_kernelINS0_13select_configILj256ELj13ELNS0_17block_load_methodE3ELS4_3ELS4_3ELNS0_20block_scan_algorithmE0ELj4294967295EEENS1_25partition_config_selectorILNS1_17partition_subalgoE4EjNS0_10empty_typeEbEEZZNS1_14partition_implILS8_4ELb0ES6_15HIP_vector_typeIjLj2EENS0_17counting_iteratorIjlEEPS9_SG_NS0_5tupleIJPjSI_NS0_16reverse_iteratorISI_EEEEENSH_IJSG_SG_SG_EEES9_SI_JZNS1_25segmented_radix_sort_implINS0_14default_configELb0EPKsPsPKlPlN2at6native12_GLOBAL__N_18offset_tEEE10hipError_tPvRmT1_PNSt15iterator_traitsIS12_E10value_typeET2_T3_PNS13_IS18_E10value_typeET4_jRbjT5_S1E_jjP12ihipStream_tbEUljE_ZNSN_ISO_Lb0ESQ_SR_ST_SU_SY_EESZ_S10_S11_S12_S16_S17_S18_S1B_S1C_jS1D_jS1E_S1E_jjS1G_bEUljE0_EEESZ_S10_S11_S18_S1C_S1E_T6_T7_T9_mT8_S1G_bDpT10_ENKUlT_T0_E_clISt17integral_constantIbLb1EES1T_IbLb0EEEEDaS1P_S1Q_EUlS1P_E_NS1_11comp_targetILNS1_3genE3ELNS1_11target_archE908ELNS1_3gpuE7ELNS1_3repE0EEENS1_30default_config_static_selectorELNS0_4arch9wavefront6targetE1EEEvS12_, .Lfunc_end968-_ZN7rocprim17ROCPRIM_400000_NS6detail17trampoline_kernelINS0_13select_configILj256ELj13ELNS0_17block_load_methodE3ELS4_3ELS4_3ELNS0_20block_scan_algorithmE0ELj4294967295EEENS1_25partition_config_selectorILNS1_17partition_subalgoE4EjNS0_10empty_typeEbEEZZNS1_14partition_implILS8_4ELb0ES6_15HIP_vector_typeIjLj2EENS0_17counting_iteratorIjlEEPS9_SG_NS0_5tupleIJPjSI_NS0_16reverse_iteratorISI_EEEEENSH_IJSG_SG_SG_EEES9_SI_JZNS1_25segmented_radix_sort_implINS0_14default_configELb0EPKsPsPKlPlN2at6native12_GLOBAL__N_18offset_tEEE10hipError_tPvRmT1_PNSt15iterator_traitsIS12_E10value_typeET2_T3_PNS13_IS18_E10value_typeET4_jRbjT5_S1E_jjP12ihipStream_tbEUljE_ZNSN_ISO_Lb0ESQ_SR_ST_SU_SY_EESZ_S10_S11_S12_S16_S17_S18_S1B_S1C_jS1D_jS1E_S1E_jjS1G_bEUljE0_EEESZ_S10_S11_S18_S1C_S1E_T6_T7_T9_mT8_S1G_bDpT10_ENKUlT_T0_E_clISt17integral_constantIbLb1EES1T_IbLb0EEEEDaS1P_S1Q_EUlS1P_E_NS1_11comp_targetILNS1_3genE3ELNS1_11target_archE908ELNS1_3gpuE7ELNS1_3repE0EEENS1_30default_config_static_selectorELNS0_4arch9wavefront6targetE1EEEvS12_
                                        ; -- End function
	.section	.AMDGPU.csdata,"",@progbits
; Kernel info:
; codeLenInByte = 0
; NumSgprs: 4
; NumVgprs: 0
; NumAgprs: 0
; TotalNumVgprs: 0
; ScratchSize: 0
; MemoryBound: 0
; FloatMode: 240
; IeeeMode: 1
; LDSByteSize: 0 bytes/workgroup (compile time only)
; SGPRBlocks: 0
; VGPRBlocks: 0
; NumSGPRsForWavesPerEU: 4
; NumVGPRsForWavesPerEU: 1
; AccumOffset: 4
; Occupancy: 8
; WaveLimiterHint : 0
; COMPUTE_PGM_RSRC2:SCRATCH_EN: 0
; COMPUTE_PGM_RSRC2:USER_SGPR: 6
; COMPUTE_PGM_RSRC2:TRAP_HANDLER: 0
; COMPUTE_PGM_RSRC2:TGID_X_EN: 1
; COMPUTE_PGM_RSRC2:TGID_Y_EN: 0
; COMPUTE_PGM_RSRC2:TGID_Z_EN: 0
; COMPUTE_PGM_RSRC2:TIDIG_COMP_CNT: 0
; COMPUTE_PGM_RSRC3_GFX90A:ACCUM_OFFSET: 0
; COMPUTE_PGM_RSRC3_GFX90A:TG_SPLIT: 0
	.section	.text._ZN7rocprim17ROCPRIM_400000_NS6detail17trampoline_kernelINS0_13select_configILj256ELj13ELNS0_17block_load_methodE3ELS4_3ELS4_3ELNS0_20block_scan_algorithmE0ELj4294967295EEENS1_25partition_config_selectorILNS1_17partition_subalgoE4EjNS0_10empty_typeEbEEZZNS1_14partition_implILS8_4ELb0ES6_15HIP_vector_typeIjLj2EENS0_17counting_iteratorIjlEEPS9_SG_NS0_5tupleIJPjSI_NS0_16reverse_iteratorISI_EEEEENSH_IJSG_SG_SG_EEES9_SI_JZNS1_25segmented_radix_sort_implINS0_14default_configELb0EPKsPsPKlPlN2at6native12_GLOBAL__N_18offset_tEEE10hipError_tPvRmT1_PNSt15iterator_traitsIS12_E10value_typeET2_T3_PNS13_IS18_E10value_typeET4_jRbjT5_S1E_jjP12ihipStream_tbEUljE_ZNSN_ISO_Lb0ESQ_SR_ST_SU_SY_EESZ_S10_S11_S12_S16_S17_S18_S1B_S1C_jS1D_jS1E_S1E_jjS1G_bEUljE0_EEESZ_S10_S11_S18_S1C_S1E_T6_T7_T9_mT8_S1G_bDpT10_ENKUlT_T0_E_clISt17integral_constantIbLb1EES1T_IbLb0EEEEDaS1P_S1Q_EUlS1P_E_NS1_11comp_targetILNS1_3genE2ELNS1_11target_archE906ELNS1_3gpuE6ELNS1_3repE0EEENS1_30default_config_static_selectorELNS0_4arch9wavefront6targetE1EEEvS12_,"axG",@progbits,_ZN7rocprim17ROCPRIM_400000_NS6detail17trampoline_kernelINS0_13select_configILj256ELj13ELNS0_17block_load_methodE3ELS4_3ELS4_3ELNS0_20block_scan_algorithmE0ELj4294967295EEENS1_25partition_config_selectorILNS1_17partition_subalgoE4EjNS0_10empty_typeEbEEZZNS1_14partition_implILS8_4ELb0ES6_15HIP_vector_typeIjLj2EENS0_17counting_iteratorIjlEEPS9_SG_NS0_5tupleIJPjSI_NS0_16reverse_iteratorISI_EEEEENSH_IJSG_SG_SG_EEES9_SI_JZNS1_25segmented_radix_sort_implINS0_14default_configELb0EPKsPsPKlPlN2at6native12_GLOBAL__N_18offset_tEEE10hipError_tPvRmT1_PNSt15iterator_traitsIS12_E10value_typeET2_T3_PNS13_IS18_E10value_typeET4_jRbjT5_S1E_jjP12ihipStream_tbEUljE_ZNSN_ISO_Lb0ESQ_SR_ST_SU_SY_EESZ_S10_S11_S12_S16_S17_S18_S1B_S1C_jS1D_jS1E_S1E_jjS1G_bEUljE0_EEESZ_S10_S11_S18_S1C_S1E_T6_T7_T9_mT8_S1G_bDpT10_ENKUlT_T0_E_clISt17integral_constantIbLb1EES1T_IbLb0EEEEDaS1P_S1Q_EUlS1P_E_NS1_11comp_targetILNS1_3genE2ELNS1_11target_archE906ELNS1_3gpuE6ELNS1_3repE0EEENS1_30default_config_static_selectorELNS0_4arch9wavefront6targetE1EEEvS12_,comdat
	.globl	_ZN7rocprim17ROCPRIM_400000_NS6detail17trampoline_kernelINS0_13select_configILj256ELj13ELNS0_17block_load_methodE3ELS4_3ELS4_3ELNS0_20block_scan_algorithmE0ELj4294967295EEENS1_25partition_config_selectorILNS1_17partition_subalgoE4EjNS0_10empty_typeEbEEZZNS1_14partition_implILS8_4ELb0ES6_15HIP_vector_typeIjLj2EENS0_17counting_iteratorIjlEEPS9_SG_NS0_5tupleIJPjSI_NS0_16reverse_iteratorISI_EEEEENSH_IJSG_SG_SG_EEES9_SI_JZNS1_25segmented_radix_sort_implINS0_14default_configELb0EPKsPsPKlPlN2at6native12_GLOBAL__N_18offset_tEEE10hipError_tPvRmT1_PNSt15iterator_traitsIS12_E10value_typeET2_T3_PNS13_IS18_E10value_typeET4_jRbjT5_S1E_jjP12ihipStream_tbEUljE_ZNSN_ISO_Lb0ESQ_SR_ST_SU_SY_EESZ_S10_S11_S12_S16_S17_S18_S1B_S1C_jS1D_jS1E_S1E_jjS1G_bEUljE0_EEESZ_S10_S11_S18_S1C_S1E_T6_T7_T9_mT8_S1G_bDpT10_ENKUlT_T0_E_clISt17integral_constantIbLb1EES1T_IbLb0EEEEDaS1P_S1Q_EUlS1P_E_NS1_11comp_targetILNS1_3genE2ELNS1_11target_archE906ELNS1_3gpuE6ELNS1_3repE0EEENS1_30default_config_static_selectorELNS0_4arch9wavefront6targetE1EEEvS12_ ; -- Begin function _ZN7rocprim17ROCPRIM_400000_NS6detail17trampoline_kernelINS0_13select_configILj256ELj13ELNS0_17block_load_methodE3ELS4_3ELS4_3ELNS0_20block_scan_algorithmE0ELj4294967295EEENS1_25partition_config_selectorILNS1_17partition_subalgoE4EjNS0_10empty_typeEbEEZZNS1_14partition_implILS8_4ELb0ES6_15HIP_vector_typeIjLj2EENS0_17counting_iteratorIjlEEPS9_SG_NS0_5tupleIJPjSI_NS0_16reverse_iteratorISI_EEEEENSH_IJSG_SG_SG_EEES9_SI_JZNS1_25segmented_radix_sort_implINS0_14default_configELb0EPKsPsPKlPlN2at6native12_GLOBAL__N_18offset_tEEE10hipError_tPvRmT1_PNSt15iterator_traitsIS12_E10value_typeET2_T3_PNS13_IS18_E10value_typeET4_jRbjT5_S1E_jjP12ihipStream_tbEUljE_ZNSN_ISO_Lb0ESQ_SR_ST_SU_SY_EESZ_S10_S11_S12_S16_S17_S18_S1B_S1C_jS1D_jS1E_S1E_jjS1G_bEUljE0_EEESZ_S10_S11_S18_S1C_S1E_T6_T7_T9_mT8_S1G_bDpT10_ENKUlT_T0_E_clISt17integral_constantIbLb1EES1T_IbLb0EEEEDaS1P_S1Q_EUlS1P_E_NS1_11comp_targetILNS1_3genE2ELNS1_11target_archE906ELNS1_3gpuE6ELNS1_3repE0EEENS1_30default_config_static_selectorELNS0_4arch9wavefront6targetE1EEEvS12_
	.p2align	8
	.type	_ZN7rocprim17ROCPRIM_400000_NS6detail17trampoline_kernelINS0_13select_configILj256ELj13ELNS0_17block_load_methodE3ELS4_3ELS4_3ELNS0_20block_scan_algorithmE0ELj4294967295EEENS1_25partition_config_selectorILNS1_17partition_subalgoE4EjNS0_10empty_typeEbEEZZNS1_14partition_implILS8_4ELb0ES6_15HIP_vector_typeIjLj2EENS0_17counting_iteratorIjlEEPS9_SG_NS0_5tupleIJPjSI_NS0_16reverse_iteratorISI_EEEEENSH_IJSG_SG_SG_EEES9_SI_JZNS1_25segmented_radix_sort_implINS0_14default_configELb0EPKsPsPKlPlN2at6native12_GLOBAL__N_18offset_tEEE10hipError_tPvRmT1_PNSt15iterator_traitsIS12_E10value_typeET2_T3_PNS13_IS18_E10value_typeET4_jRbjT5_S1E_jjP12ihipStream_tbEUljE_ZNSN_ISO_Lb0ESQ_SR_ST_SU_SY_EESZ_S10_S11_S12_S16_S17_S18_S1B_S1C_jS1D_jS1E_S1E_jjS1G_bEUljE0_EEESZ_S10_S11_S18_S1C_S1E_T6_T7_T9_mT8_S1G_bDpT10_ENKUlT_T0_E_clISt17integral_constantIbLb1EES1T_IbLb0EEEEDaS1P_S1Q_EUlS1P_E_NS1_11comp_targetILNS1_3genE2ELNS1_11target_archE906ELNS1_3gpuE6ELNS1_3repE0EEENS1_30default_config_static_selectorELNS0_4arch9wavefront6targetE1EEEvS12_,@function
_ZN7rocprim17ROCPRIM_400000_NS6detail17trampoline_kernelINS0_13select_configILj256ELj13ELNS0_17block_load_methodE3ELS4_3ELS4_3ELNS0_20block_scan_algorithmE0ELj4294967295EEENS1_25partition_config_selectorILNS1_17partition_subalgoE4EjNS0_10empty_typeEbEEZZNS1_14partition_implILS8_4ELb0ES6_15HIP_vector_typeIjLj2EENS0_17counting_iteratorIjlEEPS9_SG_NS0_5tupleIJPjSI_NS0_16reverse_iteratorISI_EEEEENSH_IJSG_SG_SG_EEES9_SI_JZNS1_25segmented_radix_sort_implINS0_14default_configELb0EPKsPsPKlPlN2at6native12_GLOBAL__N_18offset_tEEE10hipError_tPvRmT1_PNSt15iterator_traitsIS12_E10value_typeET2_T3_PNS13_IS18_E10value_typeET4_jRbjT5_S1E_jjP12ihipStream_tbEUljE_ZNSN_ISO_Lb0ESQ_SR_ST_SU_SY_EESZ_S10_S11_S12_S16_S17_S18_S1B_S1C_jS1D_jS1E_S1E_jjS1G_bEUljE0_EEESZ_S10_S11_S18_S1C_S1E_T6_T7_T9_mT8_S1G_bDpT10_ENKUlT_T0_E_clISt17integral_constantIbLb1EES1T_IbLb0EEEEDaS1P_S1Q_EUlS1P_E_NS1_11comp_targetILNS1_3genE2ELNS1_11target_archE906ELNS1_3gpuE6ELNS1_3repE0EEENS1_30default_config_static_selectorELNS0_4arch9wavefront6targetE1EEEvS12_: ; @_ZN7rocprim17ROCPRIM_400000_NS6detail17trampoline_kernelINS0_13select_configILj256ELj13ELNS0_17block_load_methodE3ELS4_3ELS4_3ELNS0_20block_scan_algorithmE0ELj4294967295EEENS1_25partition_config_selectorILNS1_17partition_subalgoE4EjNS0_10empty_typeEbEEZZNS1_14partition_implILS8_4ELb0ES6_15HIP_vector_typeIjLj2EENS0_17counting_iteratorIjlEEPS9_SG_NS0_5tupleIJPjSI_NS0_16reverse_iteratorISI_EEEEENSH_IJSG_SG_SG_EEES9_SI_JZNS1_25segmented_radix_sort_implINS0_14default_configELb0EPKsPsPKlPlN2at6native12_GLOBAL__N_18offset_tEEE10hipError_tPvRmT1_PNSt15iterator_traitsIS12_E10value_typeET2_T3_PNS13_IS18_E10value_typeET4_jRbjT5_S1E_jjP12ihipStream_tbEUljE_ZNSN_ISO_Lb0ESQ_SR_ST_SU_SY_EESZ_S10_S11_S12_S16_S17_S18_S1B_S1C_jS1D_jS1E_S1E_jjS1G_bEUljE0_EEESZ_S10_S11_S18_S1C_S1E_T6_T7_T9_mT8_S1G_bDpT10_ENKUlT_T0_E_clISt17integral_constantIbLb1EES1T_IbLb0EEEEDaS1P_S1Q_EUlS1P_E_NS1_11comp_targetILNS1_3genE2ELNS1_11target_archE906ELNS1_3gpuE6ELNS1_3repE0EEENS1_30default_config_static_selectorELNS0_4arch9wavefront6targetE1EEEvS12_
; %bb.0:
	.section	.rodata,"a",@progbits
	.p2align	6, 0x0
	.amdhsa_kernel _ZN7rocprim17ROCPRIM_400000_NS6detail17trampoline_kernelINS0_13select_configILj256ELj13ELNS0_17block_load_methodE3ELS4_3ELS4_3ELNS0_20block_scan_algorithmE0ELj4294967295EEENS1_25partition_config_selectorILNS1_17partition_subalgoE4EjNS0_10empty_typeEbEEZZNS1_14partition_implILS8_4ELb0ES6_15HIP_vector_typeIjLj2EENS0_17counting_iteratorIjlEEPS9_SG_NS0_5tupleIJPjSI_NS0_16reverse_iteratorISI_EEEEENSH_IJSG_SG_SG_EEES9_SI_JZNS1_25segmented_radix_sort_implINS0_14default_configELb0EPKsPsPKlPlN2at6native12_GLOBAL__N_18offset_tEEE10hipError_tPvRmT1_PNSt15iterator_traitsIS12_E10value_typeET2_T3_PNS13_IS18_E10value_typeET4_jRbjT5_S1E_jjP12ihipStream_tbEUljE_ZNSN_ISO_Lb0ESQ_SR_ST_SU_SY_EESZ_S10_S11_S12_S16_S17_S18_S1B_S1C_jS1D_jS1E_S1E_jjS1G_bEUljE0_EEESZ_S10_S11_S18_S1C_S1E_T6_T7_T9_mT8_S1G_bDpT10_ENKUlT_T0_E_clISt17integral_constantIbLb1EES1T_IbLb0EEEEDaS1P_S1Q_EUlS1P_E_NS1_11comp_targetILNS1_3genE2ELNS1_11target_archE906ELNS1_3gpuE6ELNS1_3repE0EEENS1_30default_config_static_selectorELNS0_4arch9wavefront6targetE1EEEvS12_
		.amdhsa_group_segment_fixed_size 0
		.amdhsa_private_segment_fixed_size 0
		.amdhsa_kernarg_size 176
		.amdhsa_user_sgpr_count 6
		.amdhsa_user_sgpr_private_segment_buffer 1
		.amdhsa_user_sgpr_dispatch_ptr 0
		.amdhsa_user_sgpr_queue_ptr 0
		.amdhsa_user_sgpr_kernarg_segment_ptr 1
		.amdhsa_user_sgpr_dispatch_id 0
		.amdhsa_user_sgpr_flat_scratch_init 0
		.amdhsa_user_sgpr_kernarg_preload_length 0
		.amdhsa_user_sgpr_kernarg_preload_offset 0
		.amdhsa_user_sgpr_private_segment_size 0
		.amdhsa_uses_dynamic_stack 0
		.amdhsa_system_sgpr_private_segment_wavefront_offset 0
		.amdhsa_system_sgpr_workgroup_id_x 1
		.amdhsa_system_sgpr_workgroup_id_y 0
		.amdhsa_system_sgpr_workgroup_id_z 0
		.amdhsa_system_sgpr_workgroup_info 0
		.amdhsa_system_vgpr_workitem_id 0
		.amdhsa_next_free_vgpr 1
		.amdhsa_next_free_sgpr 0
		.amdhsa_accum_offset 4
		.amdhsa_reserve_vcc 0
		.amdhsa_reserve_flat_scratch 0
		.amdhsa_float_round_mode_32 0
		.amdhsa_float_round_mode_16_64 0
		.amdhsa_float_denorm_mode_32 3
		.amdhsa_float_denorm_mode_16_64 3
		.amdhsa_dx10_clamp 1
		.amdhsa_ieee_mode 1
		.amdhsa_fp16_overflow 0
		.amdhsa_tg_split 0
		.amdhsa_exception_fp_ieee_invalid_op 0
		.amdhsa_exception_fp_denorm_src 0
		.amdhsa_exception_fp_ieee_div_zero 0
		.amdhsa_exception_fp_ieee_overflow 0
		.amdhsa_exception_fp_ieee_underflow 0
		.amdhsa_exception_fp_ieee_inexact 0
		.amdhsa_exception_int_div_zero 0
	.end_amdhsa_kernel
	.section	.text._ZN7rocprim17ROCPRIM_400000_NS6detail17trampoline_kernelINS0_13select_configILj256ELj13ELNS0_17block_load_methodE3ELS4_3ELS4_3ELNS0_20block_scan_algorithmE0ELj4294967295EEENS1_25partition_config_selectorILNS1_17partition_subalgoE4EjNS0_10empty_typeEbEEZZNS1_14partition_implILS8_4ELb0ES6_15HIP_vector_typeIjLj2EENS0_17counting_iteratorIjlEEPS9_SG_NS0_5tupleIJPjSI_NS0_16reverse_iteratorISI_EEEEENSH_IJSG_SG_SG_EEES9_SI_JZNS1_25segmented_radix_sort_implINS0_14default_configELb0EPKsPsPKlPlN2at6native12_GLOBAL__N_18offset_tEEE10hipError_tPvRmT1_PNSt15iterator_traitsIS12_E10value_typeET2_T3_PNS13_IS18_E10value_typeET4_jRbjT5_S1E_jjP12ihipStream_tbEUljE_ZNSN_ISO_Lb0ESQ_SR_ST_SU_SY_EESZ_S10_S11_S12_S16_S17_S18_S1B_S1C_jS1D_jS1E_S1E_jjS1G_bEUljE0_EEESZ_S10_S11_S18_S1C_S1E_T6_T7_T9_mT8_S1G_bDpT10_ENKUlT_T0_E_clISt17integral_constantIbLb1EES1T_IbLb0EEEEDaS1P_S1Q_EUlS1P_E_NS1_11comp_targetILNS1_3genE2ELNS1_11target_archE906ELNS1_3gpuE6ELNS1_3repE0EEENS1_30default_config_static_selectorELNS0_4arch9wavefront6targetE1EEEvS12_,"axG",@progbits,_ZN7rocprim17ROCPRIM_400000_NS6detail17trampoline_kernelINS0_13select_configILj256ELj13ELNS0_17block_load_methodE3ELS4_3ELS4_3ELNS0_20block_scan_algorithmE0ELj4294967295EEENS1_25partition_config_selectorILNS1_17partition_subalgoE4EjNS0_10empty_typeEbEEZZNS1_14partition_implILS8_4ELb0ES6_15HIP_vector_typeIjLj2EENS0_17counting_iteratorIjlEEPS9_SG_NS0_5tupleIJPjSI_NS0_16reverse_iteratorISI_EEEEENSH_IJSG_SG_SG_EEES9_SI_JZNS1_25segmented_radix_sort_implINS0_14default_configELb0EPKsPsPKlPlN2at6native12_GLOBAL__N_18offset_tEEE10hipError_tPvRmT1_PNSt15iterator_traitsIS12_E10value_typeET2_T3_PNS13_IS18_E10value_typeET4_jRbjT5_S1E_jjP12ihipStream_tbEUljE_ZNSN_ISO_Lb0ESQ_SR_ST_SU_SY_EESZ_S10_S11_S12_S16_S17_S18_S1B_S1C_jS1D_jS1E_S1E_jjS1G_bEUljE0_EEESZ_S10_S11_S18_S1C_S1E_T6_T7_T9_mT8_S1G_bDpT10_ENKUlT_T0_E_clISt17integral_constantIbLb1EES1T_IbLb0EEEEDaS1P_S1Q_EUlS1P_E_NS1_11comp_targetILNS1_3genE2ELNS1_11target_archE906ELNS1_3gpuE6ELNS1_3repE0EEENS1_30default_config_static_selectorELNS0_4arch9wavefront6targetE1EEEvS12_,comdat
.Lfunc_end969:
	.size	_ZN7rocprim17ROCPRIM_400000_NS6detail17trampoline_kernelINS0_13select_configILj256ELj13ELNS0_17block_load_methodE3ELS4_3ELS4_3ELNS0_20block_scan_algorithmE0ELj4294967295EEENS1_25partition_config_selectorILNS1_17partition_subalgoE4EjNS0_10empty_typeEbEEZZNS1_14partition_implILS8_4ELb0ES6_15HIP_vector_typeIjLj2EENS0_17counting_iteratorIjlEEPS9_SG_NS0_5tupleIJPjSI_NS0_16reverse_iteratorISI_EEEEENSH_IJSG_SG_SG_EEES9_SI_JZNS1_25segmented_radix_sort_implINS0_14default_configELb0EPKsPsPKlPlN2at6native12_GLOBAL__N_18offset_tEEE10hipError_tPvRmT1_PNSt15iterator_traitsIS12_E10value_typeET2_T3_PNS13_IS18_E10value_typeET4_jRbjT5_S1E_jjP12ihipStream_tbEUljE_ZNSN_ISO_Lb0ESQ_SR_ST_SU_SY_EESZ_S10_S11_S12_S16_S17_S18_S1B_S1C_jS1D_jS1E_S1E_jjS1G_bEUljE0_EEESZ_S10_S11_S18_S1C_S1E_T6_T7_T9_mT8_S1G_bDpT10_ENKUlT_T0_E_clISt17integral_constantIbLb1EES1T_IbLb0EEEEDaS1P_S1Q_EUlS1P_E_NS1_11comp_targetILNS1_3genE2ELNS1_11target_archE906ELNS1_3gpuE6ELNS1_3repE0EEENS1_30default_config_static_selectorELNS0_4arch9wavefront6targetE1EEEvS12_, .Lfunc_end969-_ZN7rocprim17ROCPRIM_400000_NS6detail17trampoline_kernelINS0_13select_configILj256ELj13ELNS0_17block_load_methodE3ELS4_3ELS4_3ELNS0_20block_scan_algorithmE0ELj4294967295EEENS1_25partition_config_selectorILNS1_17partition_subalgoE4EjNS0_10empty_typeEbEEZZNS1_14partition_implILS8_4ELb0ES6_15HIP_vector_typeIjLj2EENS0_17counting_iteratorIjlEEPS9_SG_NS0_5tupleIJPjSI_NS0_16reverse_iteratorISI_EEEEENSH_IJSG_SG_SG_EEES9_SI_JZNS1_25segmented_radix_sort_implINS0_14default_configELb0EPKsPsPKlPlN2at6native12_GLOBAL__N_18offset_tEEE10hipError_tPvRmT1_PNSt15iterator_traitsIS12_E10value_typeET2_T3_PNS13_IS18_E10value_typeET4_jRbjT5_S1E_jjP12ihipStream_tbEUljE_ZNSN_ISO_Lb0ESQ_SR_ST_SU_SY_EESZ_S10_S11_S12_S16_S17_S18_S1B_S1C_jS1D_jS1E_S1E_jjS1G_bEUljE0_EEESZ_S10_S11_S18_S1C_S1E_T6_T7_T9_mT8_S1G_bDpT10_ENKUlT_T0_E_clISt17integral_constantIbLb1EES1T_IbLb0EEEEDaS1P_S1Q_EUlS1P_E_NS1_11comp_targetILNS1_3genE2ELNS1_11target_archE906ELNS1_3gpuE6ELNS1_3repE0EEENS1_30default_config_static_selectorELNS0_4arch9wavefront6targetE1EEEvS12_
                                        ; -- End function
	.section	.AMDGPU.csdata,"",@progbits
; Kernel info:
; codeLenInByte = 0
; NumSgprs: 4
; NumVgprs: 0
; NumAgprs: 0
; TotalNumVgprs: 0
; ScratchSize: 0
; MemoryBound: 0
; FloatMode: 240
; IeeeMode: 1
; LDSByteSize: 0 bytes/workgroup (compile time only)
; SGPRBlocks: 0
; VGPRBlocks: 0
; NumSGPRsForWavesPerEU: 4
; NumVGPRsForWavesPerEU: 1
; AccumOffset: 4
; Occupancy: 8
; WaveLimiterHint : 0
; COMPUTE_PGM_RSRC2:SCRATCH_EN: 0
; COMPUTE_PGM_RSRC2:USER_SGPR: 6
; COMPUTE_PGM_RSRC2:TRAP_HANDLER: 0
; COMPUTE_PGM_RSRC2:TGID_X_EN: 1
; COMPUTE_PGM_RSRC2:TGID_Y_EN: 0
; COMPUTE_PGM_RSRC2:TGID_Z_EN: 0
; COMPUTE_PGM_RSRC2:TIDIG_COMP_CNT: 0
; COMPUTE_PGM_RSRC3_GFX90A:ACCUM_OFFSET: 0
; COMPUTE_PGM_RSRC3_GFX90A:TG_SPLIT: 0
	.section	.text._ZN7rocprim17ROCPRIM_400000_NS6detail17trampoline_kernelINS0_13select_configILj256ELj13ELNS0_17block_load_methodE3ELS4_3ELS4_3ELNS0_20block_scan_algorithmE0ELj4294967295EEENS1_25partition_config_selectorILNS1_17partition_subalgoE4EjNS0_10empty_typeEbEEZZNS1_14partition_implILS8_4ELb0ES6_15HIP_vector_typeIjLj2EENS0_17counting_iteratorIjlEEPS9_SG_NS0_5tupleIJPjSI_NS0_16reverse_iteratorISI_EEEEENSH_IJSG_SG_SG_EEES9_SI_JZNS1_25segmented_radix_sort_implINS0_14default_configELb0EPKsPsPKlPlN2at6native12_GLOBAL__N_18offset_tEEE10hipError_tPvRmT1_PNSt15iterator_traitsIS12_E10value_typeET2_T3_PNS13_IS18_E10value_typeET4_jRbjT5_S1E_jjP12ihipStream_tbEUljE_ZNSN_ISO_Lb0ESQ_SR_ST_SU_SY_EESZ_S10_S11_S12_S16_S17_S18_S1B_S1C_jS1D_jS1E_S1E_jjS1G_bEUljE0_EEESZ_S10_S11_S18_S1C_S1E_T6_T7_T9_mT8_S1G_bDpT10_ENKUlT_T0_E_clISt17integral_constantIbLb1EES1T_IbLb0EEEEDaS1P_S1Q_EUlS1P_E_NS1_11comp_targetILNS1_3genE10ELNS1_11target_archE1200ELNS1_3gpuE4ELNS1_3repE0EEENS1_30default_config_static_selectorELNS0_4arch9wavefront6targetE1EEEvS12_,"axG",@progbits,_ZN7rocprim17ROCPRIM_400000_NS6detail17trampoline_kernelINS0_13select_configILj256ELj13ELNS0_17block_load_methodE3ELS4_3ELS4_3ELNS0_20block_scan_algorithmE0ELj4294967295EEENS1_25partition_config_selectorILNS1_17partition_subalgoE4EjNS0_10empty_typeEbEEZZNS1_14partition_implILS8_4ELb0ES6_15HIP_vector_typeIjLj2EENS0_17counting_iteratorIjlEEPS9_SG_NS0_5tupleIJPjSI_NS0_16reverse_iteratorISI_EEEEENSH_IJSG_SG_SG_EEES9_SI_JZNS1_25segmented_radix_sort_implINS0_14default_configELb0EPKsPsPKlPlN2at6native12_GLOBAL__N_18offset_tEEE10hipError_tPvRmT1_PNSt15iterator_traitsIS12_E10value_typeET2_T3_PNS13_IS18_E10value_typeET4_jRbjT5_S1E_jjP12ihipStream_tbEUljE_ZNSN_ISO_Lb0ESQ_SR_ST_SU_SY_EESZ_S10_S11_S12_S16_S17_S18_S1B_S1C_jS1D_jS1E_S1E_jjS1G_bEUljE0_EEESZ_S10_S11_S18_S1C_S1E_T6_T7_T9_mT8_S1G_bDpT10_ENKUlT_T0_E_clISt17integral_constantIbLb1EES1T_IbLb0EEEEDaS1P_S1Q_EUlS1P_E_NS1_11comp_targetILNS1_3genE10ELNS1_11target_archE1200ELNS1_3gpuE4ELNS1_3repE0EEENS1_30default_config_static_selectorELNS0_4arch9wavefront6targetE1EEEvS12_,comdat
	.globl	_ZN7rocprim17ROCPRIM_400000_NS6detail17trampoline_kernelINS0_13select_configILj256ELj13ELNS0_17block_load_methodE3ELS4_3ELS4_3ELNS0_20block_scan_algorithmE0ELj4294967295EEENS1_25partition_config_selectorILNS1_17partition_subalgoE4EjNS0_10empty_typeEbEEZZNS1_14partition_implILS8_4ELb0ES6_15HIP_vector_typeIjLj2EENS0_17counting_iteratorIjlEEPS9_SG_NS0_5tupleIJPjSI_NS0_16reverse_iteratorISI_EEEEENSH_IJSG_SG_SG_EEES9_SI_JZNS1_25segmented_radix_sort_implINS0_14default_configELb0EPKsPsPKlPlN2at6native12_GLOBAL__N_18offset_tEEE10hipError_tPvRmT1_PNSt15iterator_traitsIS12_E10value_typeET2_T3_PNS13_IS18_E10value_typeET4_jRbjT5_S1E_jjP12ihipStream_tbEUljE_ZNSN_ISO_Lb0ESQ_SR_ST_SU_SY_EESZ_S10_S11_S12_S16_S17_S18_S1B_S1C_jS1D_jS1E_S1E_jjS1G_bEUljE0_EEESZ_S10_S11_S18_S1C_S1E_T6_T7_T9_mT8_S1G_bDpT10_ENKUlT_T0_E_clISt17integral_constantIbLb1EES1T_IbLb0EEEEDaS1P_S1Q_EUlS1P_E_NS1_11comp_targetILNS1_3genE10ELNS1_11target_archE1200ELNS1_3gpuE4ELNS1_3repE0EEENS1_30default_config_static_selectorELNS0_4arch9wavefront6targetE1EEEvS12_ ; -- Begin function _ZN7rocprim17ROCPRIM_400000_NS6detail17trampoline_kernelINS0_13select_configILj256ELj13ELNS0_17block_load_methodE3ELS4_3ELS4_3ELNS0_20block_scan_algorithmE0ELj4294967295EEENS1_25partition_config_selectorILNS1_17partition_subalgoE4EjNS0_10empty_typeEbEEZZNS1_14partition_implILS8_4ELb0ES6_15HIP_vector_typeIjLj2EENS0_17counting_iteratorIjlEEPS9_SG_NS0_5tupleIJPjSI_NS0_16reverse_iteratorISI_EEEEENSH_IJSG_SG_SG_EEES9_SI_JZNS1_25segmented_radix_sort_implINS0_14default_configELb0EPKsPsPKlPlN2at6native12_GLOBAL__N_18offset_tEEE10hipError_tPvRmT1_PNSt15iterator_traitsIS12_E10value_typeET2_T3_PNS13_IS18_E10value_typeET4_jRbjT5_S1E_jjP12ihipStream_tbEUljE_ZNSN_ISO_Lb0ESQ_SR_ST_SU_SY_EESZ_S10_S11_S12_S16_S17_S18_S1B_S1C_jS1D_jS1E_S1E_jjS1G_bEUljE0_EEESZ_S10_S11_S18_S1C_S1E_T6_T7_T9_mT8_S1G_bDpT10_ENKUlT_T0_E_clISt17integral_constantIbLb1EES1T_IbLb0EEEEDaS1P_S1Q_EUlS1P_E_NS1_11comp_targetILNS1_3genE10ELNS1_11target_archE1200ELNS1_3gpuE4ELNS1_3repE0EEENS1_30default_config_static_selectorELNS0_4arch9wavefront6targetE1EEEvS12_
	.p2align	8
	.type	_ZN7rocprim17ROCPRIM_400000_NS6detail17trampoline_kernelINS0_13select_configILj256ELj13ELNS0_17block_load_methodE3ELS4_3ELS4_3ELNS0_20block_scan_algorithmE0ELj4294967295EEENS1_25partition_config_selectorILNS1_17partition_subalgoE4EjNS0_10empty_typeEbEEZZNS1_14partition_implILS8_4ELb0ES6_15HIP_vector_typeIjLj2EENS0_17counting_iteratorIjlEEPS9_SG_NS0_5tupleIJPjSI_NS0_16reverse_iteratorISI_EEEEENSH_IJSG_SG_SG_EEES9_SI_JZNS1_25segmented_radix_sort_implINS0_14default_configELb0EPKsPsPKlPlN2at6native12_GLOBAL__N_18offset_tEEE10hipError_tPvRmT1_PNSt15iterator_traitsIS12_E10value_typeET2_T3_PNS13_IS18_E10value_typeET4_jRbjT5_S1E_jjP12ihipStream_tbEUljE_ZNSN_ISO_Lb0ESQ_SR_ST_SU_SY_EESZ_S10_S11_S12_S16_S17_S18_S1B_S1C_jS1D_jS1E_S1E_jjS1G_bEUljE0_EEESZ_S10_S11_S18_S1C_S1E_T6_T7_T9_mT8_S1G_bDpT10_ENKUlT_T0_E_clISt17integral_constantIbLb1EES1T_IbLb0EEEEDaS1P_S1Q_EUlS1P_E_NS1_11comp_targetILNS1_3genE10ELNS1_11target_archE1200ELNS1_3gpuE4ELNS1_3repE0EEENS1_30default_config_static_selectorELNS0_4arch9wavefront6targetE1EEEvS12_,@function
_ZN7rocprim17ROCPRIM_400000_NS6detail17trampoline_kernelINS0_13select_configILj256ELj13ELNS0_17block_load_methodE3ELS4_3ELS4_3ELNS0_20block_scan_algorithmE0ELj4294967295EEENS1_25partition_config_selectorILNS1_17partition_subalgoE4EjNS0_10empty_typeEbEEZZNS1_14partition_implILS8_4ELb0ES6_15HIP_vector_typeIjLj2EENS0_17counting_iteratorIjlEEPS9_SG_NS0_5tupleIJPjSI_NS0_16reverse_iteratorISI_EEEEENSH_IJSG_SG_SG_EEES9_SI_JZNS1_25segmented_radix_sort_implINS0_14default_configELb0EPKsPsPKlPlN2at6native12_GLOBAL__N_18offset_tEEE10hipError_tPvRmT1_PNSt15iterator_traitsIS12_E10value_typeET2_T3_PNS13_IS18_E10value_typeET4_jRbjT5_S1E_jjP12ihipStream_tbEUljE_ZNSN_ISO_Lb0ESQ_SR_ST_SU_SY_EESZ_S10_S11_S12_S16_S17_S18_S1B_S1C_jS1D_jS1E_S1E_jjS1G_bEUljE0_EEESZ_S10_S11_S18_S1C_S1E_T6_T7_T9_mT8_S1G_bDpT10_ENKUlT_T0_E_clISt17integral_constantIbLb1EES1T_IbLb0EEEEDaS1P_S1Q_EUlS1P_E_NS1_11comp_targetILNS1_3genE10ELNS1_11target_archE1200ELNS1_3gpuE4ELNS1_3repE0EEENS1_30default_config_static_selectorELNS0_4arch9wavefront6targetE1EEEvS12_: ; @_ZN7rocprim17ROCPRIM_400000_NS6detail17trampoline_kernelINS0_13select_configILj256ELj13ELNS0_17block_load_methodE3ELS4_3ELS4_3ELNS0_20block_scan_algorithmE0ELj4294967295EEENS1_25partition_config_selectorILNS1_17partition_subalgoE4EjNS0_10empty_typeEbEEZZNS1_14partition_implILS8_4ELb0ES6_15HIP_vector_typeIjLj2EENS0_17counting_iteratorIjlEEPS9_SG_NS0_5tupleIJPjSI_NS0_16reverse_iteratorISI_EEEEENSH_IJSG_SG_SG_EEES9_SI_JZNS1_25segmented_radix_sort_implINS0_14default_configELb0EPKsPsPKlPlN2at6native12_GLOBAL__N_18offset_tEEE10hipError_tPvRmT1_PNSt15iterator_traitsIS12_E10value_typeET2_T3_PNS13_IS18_E10value_typeET4_jRbjT5_S1E_jjP12ihipStream_tbEUljE_ZNSN_ISO_Lb0ESQ_SR_ST_SU_SY_EESZ_S10_S11_S12_S16_S17_S18_S1B_S1C_jS1D_jS1E_S1E_jjS1G_bEUljE0_EEESZ_S10_S11_S18_S1C_S1E_T6_T7_T9_mT8_S1G_bDpT10_ENKUlT_T0_E_clISt17integral_constantIbLb1EES1T_IbLb0EEEEDaS1P_S1Q_EUlS1P_E_NS1_11comp_targetILNS1_3genE10ELNS1_11target_archE1200ELNS1_3gpuE4ELNS1_3repE0EEENS1_30default_config_static_selectorELNS0_4arch9wavefront6targetE1EEEvS12_
; %bb.0:
	.section	.rodata,"a",@progbits
	.p2align	6, 0x0
	.amdhsa_kernel _ZN7rocprim17ROCPRIM_400000_NS6detail17trampoline_kernelINS0_13select_configILj256ELj13ELNS0_17block_load_methodE3ELS4_3ELS4_3ELNS0_20block_scan_algorithmE0ELj4294967295EEENS1_25partition_config_selectorILNS1_17partition_subalgoE4EjNS0_10empty_typeEbEEZZNS1_14partition_implILS8_4ELb0ES6_15HIP_vector_typeIjLj2EENS0_17counting_iteratorIjlEEPS9_SG_NS0_5tupleIJPjSI_NS0_16reverse_iteratorISI_EEEEENSH_IJSG_SG_SG_EEES9_SI_JZNS1_25segmented_radix_sort_implINS0_14default_configELb0EPKsPsPKlPlN2at6native12_GLOBAL__N_18offset_tEEE10hipError_tPvRmT1_PNSt15iterator_traitsIS12_E10value_typeET2_T3_PNS13_IS18_E10value_typeET4_jRbjT5_S1E_jjP12ihipStream_tbEUljE_ZNSN_ISO_Lb0ESQ_SR_ST_SU_SY_EESZ_S10_S11_S12_S16_S17_S18_S1B_S1C_jS1D_jS1E_S1E_jjS1G_bEUljE0_EEESZ_S10_S11_S18_S1C_S1E_T6_T7_T9_mT8_S1G_bDpT10_ENKUlT_T0_E_clISt17integral_constantIbLb1EES1T_IbLb0EEEEDaS1P_S1Q_EUlS1P_E_NS1_11comp_targetILNS1_3genE10ELNS1_11target_archE1200ELNS1_3gpuE4ELNS1_3repE0EEENS1_30default_config_static_selectorELNS0_4arch9wavefront6targetE1EEEvS12_
		.amdhsa_group_segment_fixed_size 0
		.amdhsa_private_segment_fixed_size 0
		.amdhsa_kernarg_size 176
		.amdhsa_user_sgpr_count 6
		.amdhsa_user_sgpr_private_segment_buffer 1
		.amdhsa_user_sgpr_dispatch_ptr 0
		.amdhsa_user_sgpr_queue_ptr 0
		.amdhsa_user_sgpr_kernarg_segment_ptr 1
		.amdhsa_user_sgpr_dispatch_id 0
		.amdhsa_user_sgpr_flat_scratch_init 0
		.amdhsa_user_sgpr_kernarg_preload_length 0
		.amdhsa_user_sgpr_kernarg_preload_offset 0
		.amdhsa_user_sgpr_private_segment_size 0
		.amdhsa_uses_dynamic_stack 0
		.amdhsa_system_sgpr_private_segment_wavefront_offset 0
		.amdhsa_system_sgpr_workgroup_id_x 1
		.amdhsa_system_sgpr_workgroup_id_y 0
		.amdhsa_system_sgpr_workgroup_id_z 0
		.amdhsa_system_sgpr_workgroup_info 0
		.amdhsa_system_vgpr_workitem_id 0
		.amdhsa_next_free_vgpr 1
		.amdhsa_next_free_sgpr 0
		.amdhsa_accum_offset 4
		.amdhsa_reserve_vcc 0
		.amdhsa_reserve_flat_scratch 0
		.amdhsa_float_round_mode_32 0
		.amdhsa_float_round_mode_16_64 0
		.amdhsa_float_denorm_mode_32 3
		.amdhsa_float_denorm_mode_16_64 3
		.amdhsa_dx10_clamp 1
		.amdhsa_ieee_mode 1
		.amdhsa_fp16_overflow 0
		.amdhsa_tg_split 0
		.amdhsa_exception_fp_ieee_invalid_op 0
		.amdhsa_exception_fp_denorm_src 0
		.amdhsa_exception_fp_ieee_div_zero 0
		.amdhsa_exception_fp_ieee_overflow 0
		.amdhsa_exception_fp_ieee_underflow 0
		.amdhsa_exception_fp_ieee_inexact 0
		.amdhsa_exception_int_div_zero 0
	.end_amdhsa_kernel
	.section	.text._ZN7rocprim17ROCPRIM_400000_NS6detail17trampoline_kernelINS0_13select_configILj256ELj13ELNS0_17block_load_methodE3ELS4_3ELS4_3ELNS0_20block_scan_algorithmE0ELj4294967295EEENS1_25partition_config_selectorILNS1_17partition_subalgoE4EjNS0_10empty_typeEbEEZZNS1_14partition_implILS8_4ELb0ES6_15HIP_vector_typeIjLj2EENS0_17counting_iteratorIjlEEPS9_SG_NS0_5tupleIJPjSI_NS0_16reverse_iteratorISI_EEEEENSH_IJSG_SG_SG_EEES9_SI_JZNS1_25segmented_radix_sort_implINS0_14default_configELb0EPKsPsPKlPlN2at6native12_GLOBAL__N_18offset_tEEE10hipError_tPvRmT1_PNSt15iterator_traitsIS12_E10value_typeET2_T3_PNS13_IS18_E10value_typeET4_jRbjT5_S1E_jjP12ihipStream_tbEUljE_ZNSN_ISO_Lb0ESQ_SR_ST_SU_SY_EESZ_S10_S11_S12_S16_S17_S18_S1B_S1C_jS1D_jS1E_S1E_jjS1G_bEUljE0_EEESZ_S10_S11_S18_S1C_S1E_T6_T7_T9_mT8_S1G_bDpT10_ENKUlT_T0_E_clISt17integral_constantIbLb1EES1T_IbLb0EEEEDaS1P_S1Q_EUlS1P_E_NS1_11comp_targetILNS1_3genE10ELNS1_11target_archE1200ELNS1_3gpuE4ELNS1_3repE0EEENS1_30default_config_static_selectorELNS0_4arch9wavefront6targetE1EEEvS12_,"axG",@progbits,_ZN7rocprim17ROCPRIM_400000_NS6detail17trampoline_kernelINS0_13select_configILj256ELj13ELNS0_17block_load_methodE3ELS4_3ELS4_3ELNS0_20block_scan_algorithmE0ELj4294967295EEENS1_25partition_config_selectorILNS1_17partition_subalgoE4EjNS0_10empty_typeEbEEZZNS1_14partition_implILS8_4ELb0ES6_15HIP_vector_typeIjLj2EENS0_17counting_iteratorIjlEEPS9_SG_NS0_5tupleIJPjSI_NS0_16reverse_iteratorISI_EEEEENSH_IJSG_SG_SG_EEES9_SI_JZNS1_25segmented_radix_sort_implINS0_14default_configELb0EPKsPsPKlPlN2at6native12_GLOBAL__N_18offset_tEEE10hipError_tPvRmT1_PNSt15iterator_traitsIS12_E10value_typeET2_T3_PNS13_IS18_E10value_typeET4_jRbjT5_S1E_jjP12ihipStream_tbEUljE_ZNSN_ISO_Lb0ESQ_SR_ST_SU_SY_EESZ_S10_S11_S12_S16_S17_S18_S1B_S1C_jS1D_jS1E_S1E_jjS1G_bEUljE0_EEESZ_S10_S11_S18_S1C_S1E_T6_T7_T9_mT8_S1G_bDpT10_ENKUlT_T0_E_clISt17integral_constantIbLb1EES1T_IbLb0EEEEDaS1P_S1Q_EUlS1P_E_NS1_11comp_targetILNS1_3genE10ELNS1_11target_archE1200ELNS1_3gpuE4ELNS1_3repE0EEENS1_30default_config_static_selectorELNS0_4arch9wavefront6targetE1EEEvS12_,comdat
.Lfunc_end970:
	.size	_ZN7rocprim17ROCPRIM_400000_NS6detail17trampoline_kernelINS0_13select_configILj256ELj13ELNS0_17block_load_methodE3ELS4_3ELS4_3ELNS0_20block_scan_algorithmE0ELj4294967295EEENS1_25partition_config_selectorILNS1_17partition_subalgoE4EjNS0_10empty_typeEbEEZZNS1_14partition_implILS8_4ELb0ES6_15HIP_vector_typeIjLj2EENS0_17counting_iteratorIjlEEPS9_SG_NS0_5tupleIJPjSI_NS0_16reverse_iteratorISI_EEEEENSH_IJSG_SG_SG_EEES9_SI_JZNS1_25segmented_radix_sort_implINS0_14default_configELb0EPKsPsPKlPlN2at6native12_GLOBAL__N_18offset_tEEE10hipError_tPvRmT1_PNSt15iterator_traitsIS12_E10value_typeET2_T3_PNS13_IS18_E10value_typeET4_jRbjT5_S1E_jjP12ihipStream_tbEUljE_ZNSN_ISO_Lb0ESQ_SR_ST_SU_SY_EESZ_S10_S11_S12_S16_S17_S18_S1B_S1C_jS1D_jS1E_S1E_jjS1G_bEUljE0_EEESZ_S10_S11_S18_S1C_S1E_T6_T7_T9_mT8_S1G_bDpT10_ENKUlT_T0_E_clISt17integral_constantIbLb1EES1T_IbLb0EEEEDaS1P_S1Q_EUlS1P_E_NS1_11comp_targetILNS1_3genE10ELNS1_11target_archE1200ELNS1_3gpuE4ELNS1_3repE0EEENS1_30default_config_static_selectorELNS0_4arch9wavefront6targetE1EEEvS12_, .Lfunc_end970-_ZN7rocprim17ROCPRIM_400000_NS6detail17trampoline_kernelINS0_13select_configILj256ELj13ELNS0_17block_load_methodE3ELS4_3ELS4_3ELNS0_20block_scan_algorithmE0ELj4294967295EEENS1_25partition_config_selectorILNS1_17partition_subalgoE4EjNS0_10empty_typeEbEEZZNS1_14partition_implILS8_4ELb0ES6_15HIP_vector_typeIjLj2EENS0_17counting_iteratorIjlEEPS9_SG_NS0_5tupleIJPjSI_NS0_16reverse_iteratorISI_EEEEENSH_IJSG_SG_SG_EEES9_SI_JZNS1_25segmented_radix_sort_implINS0_14default_configELb0EPKsPsPKlPlN2at6native12_GLOBAL__N_18offset_tEEE10hipError_tPvRmT1_PNSt15iterator_traitsIS12_E10value_typeET2_T3_PNS13_IS18_E10value_typeET4_jRbjT5_S1E_jjP12ihipStream_tbEUljE_ZNSN_ISO_Lb0ESQ_SR_ST_SU_SY_EESZ_S10_S11_S12_S16_S17_S18_S1B_S1C_jS1D_jS1E_S1E_jjS1G_bEUljE0_EEESZ_S10_S11_S18_S1C_S1E_T6_T7_T9_mT8_S1G_bDpT10_ENKUlT_T0_E_clISt17integral_constantIbLb1EES1T_IbLb0EEEEDaS1P_S1Q_EUlS1P_E_NS1_11comp_targetILNS1_3genE10ELNS1_11target_archE1200ELNS1_3gpuE4ELNS1_3repE0EEENS1_30default_config_static_selectorELNS0_4arch9wavefront6targetE1EEEvS12_
                                        ; -- End function
	.section	.AMDGPU.csdata,"",@progbits
; Kernel info:
; codeLenInByte = 0
; NumSgprs: 4
; NumVgprs: 0
; NumAgprs: 0
; TotalNumVgprs: 0
; ScratchSize: 0
; MemoryBound: 0
; FloatMode: 240
; IeeeMode: 1
; LDSByteSize: 0 bytes/workgroup (compile time only)
; SGPRBlocks: 0
; VGPRBlocks: 0
; NumSGPRsForWavesPerEU: 4
; NumVGPRsForWavesPerEU: 1
; AccumOffset: 4
; Occupancy: 8
; WaveLimiterHint : 0
; COMPUTE_PGM_RSRC2:SCRATCH_EN: 0
; COMPUTE_PGM_RSRC2:USER_SGPR: 6
; COMPUTE_PGM_RSRC2:TRAP_HANDLER: 0
; COMPUTE_PGM_RSRC2:TGID_X_EN: 1
; COMPUTE_PGM_RSRC2:TGID_Y_EN: 0
; COMPUTE_PGM_RSRC2:TGID_Z_EN: 0
; COMPUTE_PGM_RSRC2:TIDIG_COMP_CNT: 0
; COMPUTE_PGM_RSRC3_GFX90A:ACCUM_OFFSET: 0
; COMPUTE_PGM_RSRC3_GFX90A:TG_SPLIT: 0
	.section	.text._ZN7rocprim17ROCPRIM_400000_NS6detail17trampoline_kernelINS0_13select_configILj256ELj13ELNS0_17block_load_methodE3ELS4_3ELS4_3ELNS0_20block_scan_algorithmE0ELj4294967295EEENS1_25partition_config_selectorILNS1_17partition_subalgoE4EjNS0_10empty_typeEbEEZZNS1_14partition_implILS8_4ELb0ES6_15HIP_vector_typeIjLj2EENS0_17counting_iteratorIjlEEPS9_SG_NS0_5tupleIJPjSI_NS0_16reverse_iteratorISI_EEEEENSH_IJSG_SG_SG_EEES9_SI_JZNS1_25segmented_radix_sort_implINS0_14default_configELb0EPKsPsPKlPlN2at6native12_GLOBAL__N_18offset_tEEE10hipError_tPvRmT1_PNSt15iterator_traitsIS12_E10value_typeET2_T3_PNS13_IS18_E10value_typeET4_jRbjT5_S1E_jjP12ihipStream_tbEUljE_ZNSN_ISO_Lb0ESQ_SR_ST_SU_SY_EESZ_S10_S11_S12_S16_S17_S18_S1B_S1C_jS1D_jS1E_S1E_jjS1G_bEUljE0_EEESZ_S10_S11_S18_S1C_S1E_T6_T7_T9_mT8_S1G_bDpT10_ENKUlT_T0_E_clISt17integral_constantIbLb1EES1T_IbLb0EEEEDaS1P_S1Q_EUlS1P_E_NS1_11comp_targetILNS1_3genE9ELNS1_11target_archE1100ELNS1_3gpuE3ELNS1_3repE0EEENS1_30default_config_static_selectorELNS0_4arch9wavefront6targetE1EEEvS12_,"axG",@progbits,_ZN7rocprim17ROCPRIM_400000_NS6detail17trampoline_kernelINS0_13select_configILj256ELj13ELNS0_17block_load_methodE3ELS4_3ELS4_3ELNS0_20block_scan_algorithmE0ELj4294967295EEENS1_25partition_config_selectorILNS1_17partition_subalgoE4EjNS0_10empty_typeEbEEZZNS1_14partition_implILS8_4ELb0ES6_15HIP_vector_typeIjLj2EENS0_17counting_iteratorIjlEEPS9_SG_NS0_5tupleIJPjSI_NS0_16reverse_iteratorISI_EEEEENSH_IJSG_SG_SG_EEES9_SI_JZNS1_25segmented_radix_sort_implINS0_14default_configELb0EPKsPsPKlPlN2at6native12_GLOBAL__N_18offset_tEEE10hipError_tPvRmT1_PNSt15iterator_traitsIS12_E10value_typeET2_T3_PNS13_IS18_E10value_typeET4_jRbjT5_S1E_jjP12ihipStream_tbEUljE_ZNSN_ISO_Lb0ESQ_SR_ST_SU_SY_EESZ_S10_S11_S12_S16_S17_S18_S1B_S1C_jS1D_jS1E_S1E_jjS1G_bEUljE0_EEESZ_S10_S11_S18_S1C_S1E_T6_T7_T9_mT8_S1G_bDpT10_ENKUlT_T0_E_clISt17integral_constantIbLb1EES1T_IbLb0EEEEDaS1P_S1Q_EUlS1P_E_NS1_11comp_targetILNS1_3genE9ELNS1_11target_archE1100ELNS1_3gpuE3ELNS1_3repE0EEENS1_30default_config_static_selectorELNS0_4arch9wavefront6targetE1EEEvS12_,comdat
	.globl	_ZN7rocprim17ROCPRIM_400000_NS6detail17trampoline_kernelINS0_13select_configILj256ELj13ELNS0_17block_load_methodE3ELS4_3ELS4_3ELNS0_20block_scan_algorithmE0ELj4294967295EEENS1_25partition_config_selectorILNS1_17partition_subalgoE4EjNS0_10empty_typeEbEEZZNS1_14partition_implILS8_4ELb0ES6_15HIP_vector_typeIjLj2EENS0_17counting_iteratorIjlEEPS9_SG_NS0_5tupleIJPjSI_NS0_16reverse_iteratorISI_EEEEENSH_IJSG_SG_SG_EEES9_SI_JZNS1_25segmented_radix_sort_implINS0_14default_configELb0EPKsPsPKlPlN2at6native12_GLOBAL__N_18offset_tEEE10hipError_tPvRmT1_PNSt15iterator_traitsIS12_E10value_typeET2_T3_PNS13_IS18_E10value_typeET4_jRbjT5_S1E_jjP12ihipStream_tbEUljE_ZNSN_ISO_Lb0ESQ_SR_ST_SU_SY_EESZ_S10_S11_S12_S16_S17_S18_S1B_S1C_jS1D_jS1E_S1E_jjS1G_bEUljE0_EEESZ_S10_S11_S18_S1C_S1E_T6_T7_T9_mT8_S1G_bDpT10_ENKUlT_T0_E_clISt17integral_constantIbLb1EES1T_IbLb0EEEEDaS1P_S1Q_EUlS1P_E_NS1_11comp_targetILNS1_3genE9ELNS1_11target_archE1100ELNS1_3gpuE3ELNS1_3repE0EEENS1_30default_config_static_selectorELNS0_4arch9wavefront6targetE1EEEvS12_ ; -- Begin function _ZN7rocprim17ROCPRIM_400000_NS6detail17trampoline_kernelINS0_13select_configILj256ELj13ELNS0_17block_load_methodE3ELS4_3ELS4_3ELNS0_20block_scan_algorithmE0ELj4294967295EEENS1_25partition_config_selectorILNS1_17partition_subalgoE4EjNS0_10empty_typeEbEEZZNS1_14partition_implILS8_4ELb0ES6_15HIP_vector_typeIjLj2EENS0_17counting_iteratorIjlEEPS9_SG_NS0_5tupleIJPjSI_NS0_16reverse_iteratorISI_EEEEENSH_IJSG_SG_SG_EEES9_SI_JZNS1_25segmented_radix_sort_implINS0_14default_configELb0EPKsPsPKlPlN2at6native12_GLOBAL__N_18offset_tEEE10hipError_tPvRmT1_PNSt15iterator_traitsIS12_E10value_typeET2_T3_PNS13_IS18_E10value_typeET4_jRbjT5_S1E_jjP12ihipStream_tbEUljE_ZNSN_ISO_Lb0ESQ_SR_ST_SU_SY_EESZ_S10_S11_S12_S16_S17_S18_S1B_S1C_jS1D_jS1E_S1E_jjS1G_bEUljE0_EEESZ_S10_S11_S18_S1C_S1E_T6_T7_T9_mT8_S1G_bDpT10_ENKUlT_T0_E_clISt17integral_constantIbLb1EES1T_IbLb0EEEEDaS1P_S1Q_EUlS1P_E_NS1_11comp_targetILNS1_3genE9ELNS1_11target_archE1100ELNS1_3gpuE3ELNS1_3repE0EEENS1_30default_config_static_selectorELNS0_4arch9wavefront6targetE1EEEvS12_
	.p2align	8
	.type	_ZN7rocprim17ROCPRIM_400000_NS6detail17trampoline_kernelINS0_13select_configILj256ELj13ELNS0_17block_load_methodE3ELS4_3ELS4_3ELNS0_20block_scan_algorithmE0ELj4294967295EEENS1_25partition_config_selectorILNS1_17partition_subalgoE4EjNS0_10empty_typeEbEEZZNS1_14partition_implILS8_4ELb0ES6_15HIP_vector_typeIjLj2EENS0_17counting_iteratorIjlEEPS9_SG_NS0_5tupleIJPjSI_NS0_16reverse_iteratorISI_EEEEENSH_IJSG_SG_SG_EEES9_SI_JZNS1_25segmented_radix_sort_implINS0_14default_configELb0EPKsPsPKlPlN2at6native12_GLOBAL__N_18offset_tEEE10hipError_tPvRmT1_PNSt15iterator_traitsIS12_E10value_typeET2_T3_PNS13_IS18_E10value_typeET4_jRbjT5_S1E_jjP12ihipStream_tbEUljE_ZNSN_ISO_Lb0ESQ_SR_ST_SU_SY_EESZ_S10_S11_S12_S16_S17_S18_S1B_S1C_jS1D_jS1E_S1E_jjS1G_bEUljE0_EEESZ_S10_S11_S18_S1C_S1E_T6_T7_T9_mT8_S1G_bDpT10_ENKUlT_T0_E_clISt17integral_constantIbLb1EES1T_IbLb0EEEEDaS1P_S1Q_EUlS1P_E_NS1_11comp_targetILNS1_3genE9ELNS1_11target_archE1100ELNS1_3gpuE3ELNS1_3repE0EEENS1_30default_config_static_selectorELNS0_4arch9wavefront6targetE1EEEvS12_,@function
_ZN7rocprim17ROCPRIM_400000_NS6detail17trampoline_kernelINS0_13select_configILj256ELj13ELNS0_17block_load_methodE3ELS4_3ELS4_3ELNS0_20block_scan_algorithmE0ELj4294967295EEENS1_25partition_config_selectorILNS1_17partition_subalgoE4EjNS0_10empty_typeEbEEZZNS1_14partition_implILS8_4ELb0ES6_15HIP_vector_typeIjLj2EENS0_17counting_iteratorIjlEEPS9_SG_NS0_5tupleIJPjSI_NS0_16reverse_iteratorISI_EEEEENSH_IJSG_SG_SG_EEES9_SI_JZNS1_25segmented_radix_sort_implINS0_14default_configELb0EPKsPsPKlPlN2at6native12_GLOBAL__N_18offset_tEEE10hipError_tPvRmT1_PNSt15iterator_traitsIS12_E10value_typeET2_T3_PNS13_IS18_E10value_typeET4_jRbjT5_S1E_jjP12ihipStream_tbEUljE_ZNSN_ISO_Lb0ESQ_SR_ST_SU_SY_EESZ_S10_S11_S12_S16_S17_S18_S1B_S1C_jS1D_jS1E_S1E_jjS1G_bEUljE0_EEESZ_S10_S11_S18_S1C_S1E_T6_T7_T9_mT8_S1G_bDpT10_ENKUlT_T0_E_clISt17integral_constantIbLb1EES1T_IbLb0EEEEDaS1P_S1Q_EUlS1P_E_NS1_11comp_targetILNS1_3genE9ELNS1_11target_archE1100ELNS1_3gpuE3ELNS1_3repE0EEENS1_30default_config_static_selectorELNS0_4arch9wavefront6targetE1EEEvS12_: ; @_ZN7rocprim17ROCPRIM_400000_NS6detail17trampoline_kernelINS0_13select_configILj256ELj13ELNS0_17block_load_methodE3ELS4_3ELS4_3ELNS0_20block_scan_algorithmE0ELj4294967295EEENS1_25partition_config_selectorILNS1_17partition_subalgoE4EjNS0_10empty_typeEbEEZZNS1_14partition_implILS8_4ELb0ES6_15HIP_vector_typeIjLj2EENS0_17counting_iteratorIjlEEPS9_SG_NS0_5tupleIJPjSI_NS0_16reverse_iteratorISI_EEEEENSH_IJSG_SG_SG_EEES9_SI_JZNS1_25segmented_radix_sort_implINS0_14default_configELb0EPKsPsPKlPlN2at6native12_GLOBAL__N_18offset_tEEE10hipError_tPvRmT1_PNSt15iterator_traitsIS12_E10value_typeET2_T3_PNS13_IS18_E10value_typeET4_jRbjT5_S1E_jjP12ihipStream_tbEUljE_ZNSN_ISO_Lb0ESQ_SR_ST_SU_SY_EESZ_S10_S11_S12_S16_S17_S18_S1B_S1C_jS1D_jS1E_S1E_jjS1G_bEUljE0_EEESZ_S10_S11_S18_S1C_S1E_T6_T7_T9_mT8_S1G_bDpT10_ENKUlT_T0_E_clISt17integral_constantIbLb1EES1T_IbLb0EEEEDaS1P_S1Q_EUlS1P_E_NS1_11comp_targetILNS1_3genE9ELNS1_11target_archE1100ELNS1_3gpuE3ELNS1_3repE0EEENS1_30default_config_static_selectorELNS0_4arch9wavefront6targetE1EEEvS12_
; %bb.0:
	.section	.rodata,"a",@progbits
	.p2align	6, 0x0
	.amdhsa_kernel _ZN7rocprim17ROCPRIM_400000_NS6detail17trampoline_kernelINS0_13select_configILj256ELj13ELNS0_17block_load_methodE3ELS4_3ELS4_3ELNS0_20block_scan_algorithmE0ELj4294967295EEENS1_25partition_config_selectorILNS1_17partition_subalgoE4EjNS0_10empty_typeEbEEZZNS1_14partition_implILS8_4ELb0ES6_15HIP_vector_typeIjLj2EENS0_17counting_iteratorIjlEEPS9_SG_NS0_5tupleIJPjSI_NS0_16reverse_iteratorISI_EEEEENSH_IJSG_SG_SG_EEES9_SI_JZNS1_25segmented_radix_sort_implINS0_14default_configELb0EPKsPsPKlPlN2at6native12_GLOBAL__N_18offset_tEEE10hipError_tPvRmT1_PNSt15iterator_traitsIS12_E10value_typeET2_T3_PNS13_IS18_E10value_typeET4_jRbjT5_S1E_jjP12ihipStream_tbEUljE_ZNSN_ISO_Lb0ESQ_SR_ST_SU_SY_EESZ_S10_S11_S12_S16_S17_S18_S1B_S1C_jS1D_jS1E_S1E_jjS1G_bEUljE0_EEESZ_S10_S11_S18_S1C_S1E_T6_T7_T9_mT8_S1G_bDpT10_ENKUlT_T0_E_clISt17integral_constantIbLb1EES1T_IbLb0EEEEDaS1P_S1Q_EUlS1P_E_NS1_11comp_targetILNS1_3genE9ELNS1_11target_archE1100ELNS1_3gpuE3ELNS1_3repE0EEENS1_30default_config_static_selectorELNS0_4arch9wavefront6targetE1EEEvS12_
		.amdhsa_group_segment_fixed_size 0
		.amdhsa_private_segment_fixed_size 0
		.amdhsa_kernarg_size 176
		.amdhsa_user_sgpr_count 6
		.amdhsa_user_sgpr_private_segment_buffer 1
		.amdhsa_user_sgpr_dispatch_ptr 0
		.amdhsa_user_sgpr_queue_ptr 0
		.amdhsa_user_sgpr_kernarg_segment_ptr 1
		.amdhsa_user_sgpr_dispatch_id 0
		.amdhsa_user_sgpr_flat_scratch_init 0
		.amdhsa_user_sgpr_kernarg_preload_length 0
		.amdhsa_user_sgpr_kernarg_preload_offset 0
		.amdhsa_user_sgpr_private_segment_size 0
		.amdhsa_uses_dynamic_stack 0
		.amdhsa_system_sgpr_private_segment_wavefront_offset 0
		.amdhsa_system_sgpr_workgroup_id_x 1
		.amdhsa_system_sgpr_workgroup_id_y 0
		.amdhsa_system_sgpr_workgroup_id_z 0
		.amdhsa_system_sgpr_workgroup_info 0
		.amdhsa_system_vgpr_workitem_id 0
		.amdhsa_next_free_vgpr 1
		.amdhsa_next_free_sgpr 0
		.amdhsa_accum_offset 4
		.amdhsa_reserve_vcc 0
		.amdhsa_reserve_flat_scratch 0
		.amdhsa_float_round_mode_32 0
		.amdhsa_float_round_mode_16_64 0
		.amdhsa_float_denorm_mode_32 3
		.amdhsa_float_denorm_mode_16_64 3
		.amdhsa_dx10_clamp 1
		.amdhsa_ieee_mode 1
		.amdhsa_fp16_overflow 0
		.amdhsa_tg_split 0
		.amdhsa_exception_fp_ieee_invalid_op 0
		.amdhsa_exception_fp_denorm_src 0
		.amdhsa_exception_fp_ieee_div_zero 0
		.amdhsa_exception_fp_ieee_overflow 0
		.amdhsa_exception_fp_ieee_underflow 0
		.amdhsa_exception_fp_ieee_inexact 0
		.amdhsa_exception_int_div_zero 0
	.end_amdhsa_kernel
	.section	.text._ZN7rocprim17ROCPRIM_400000_NS6detail17trampoline_kernelINS0_13select_configILj256ELj13ELNS0_17block_load_methodE3ELS4_3ELS4_3ELNS0_20block_scan_algorithmE0ELj4294967295EEENS1_25partition_config_selectorILNS1_17partition_subalgoE4EjNS0_10empty_typeEbEEZZNS1_14partition_implILS8_4ELb0ES6_15HIP_vector_typeIjLj2EENS0_17counting_iteratorIjlEEPS9_SG_NS0_5tupleIJPjSI_NS0_16reverse_iteratorISI_EEEEENSH_IJSG_SG_SG_EEES9_SI_JZNS1_25segmented_radix_sort_implINS0_14default_configELb0EPKsPsPKlPlN2at6native12_GLOBAL__N_18offset_tEEE10hipError_tPvRmT1_PNSt15iterator_traitsIS12_E10value_typeET2_T3_PNS13_IS18_E10value_typeET4_jRbjT5_S1E_jjP12ihipStream_tbEUljE_ZNSN_ISO_Lb0ESQ_SR_ST_SU_SY_EESZ_S10_S11_S12_S16_S17_S18_S1B_S1C_jS1D_jS1E_S1E_jjS1G_bEUljE0_EEESZ_S10_S11_S18_S1C_S1E_T6_T7_T9_mT8_S1G_bDpT10_ENKUlT_T0_E_clISt17integral_constantIbLb1EES1T_IbLb0EEEEDaS1P_S1Q_EUlS1P_E_NS1_11comp_targetILNS1_3genE9ELNS1_11target_archE1100ELNS1_3gpuE3ELNS1_3repE0EEENS1_30default_config_static_selectorELNS0_4arch9wavefront6targetE1EEEvS12_,"axG",@progbits,_ZN7rocprim17ROCPRIM_400000_NS6detail17trampoline_kernelINS0_13select_configILj256ELj13ELNS0_17block_load_methodE3ELS4_3ELS4_3ELNS0_20block_scan_algorithmE0ELj4294967295EEENS1_25partition_config_selectorILNS1_17partition_subalgoE4EjNS0_10empty_typeEbEEZZNS1_14partition_implILS8_4ELb0ES6_15HIP_vector_typeIjLj2EENS0_17counting_iteratorIjlEEPS9_SG_NS0_5tupleIJPjSI_NS0_16reverse_iteratorISI_EEEEENSH_IJSG_SG_SG_EEES9_SI_JZNS1_25segmented_radix_sort_implINS0_14default_configELb0EPKsPsPKlPlN2at6native12_GLOBAL__N_18offset_tEEE10hipError_tPvRmT1_PNSt15iterator_traitsIS12_E10value_typeET2_T3_PNS13_IS18_E10value_typeET4_jRbjT5_S1E_jjP12ihipStream_tbEUljE_ZNSN_ISO_Lb0ESQ_SR_ST_SU_SY_EESZ_S10_S11_S12_S16_S17_S18_S1B_S1C_jS1D_jS1E_S1E_jjS1G_bEUljE0_EEESZ_S10_S11_S18_S1C_S1E_T6_T7_T9_mT8_S1G_bDpT10_ENKUlT_T0_E_clISt17integral_constantIbLb1EES1T_IbLb0EEEEDaS1P_S1Q_EUlS1P_E_NS1_11comp_targetILNS1_3genE9ELNS1_11target_archE1100ELNS1_3gpuE3ELNS1_3repE0EEENS1_30default_config_static_selectorELNS0_4arch9wavefront6targetE1EEEvS12_,comdat
.Lfunc_end971:
	.size	_ZN7rocprim17ROCPRIM_400000_NS6detail17trampoline_kernelINS0_13select_configILj256ELj13ELNS0_17block_load_methodE3ELS4_3ELS4_3ELNS0_20block_scan_algorithmE0ELj4294967295EEENS1_25partition_config_selectorILNS1_17partition_subalgoE4EjNS0_10empty_typeEbEEZZNS1_14partition_implILS8_4ELb0ES6_15HIP_vector_typeIjLj2EENS0_17counting_iteratorIjlEEPS9_SG_NS0_5tupleIJPjSI_NS0_16reverse_iteratorISI_EEEEENSH_IJSG_SG_SG_EEES9_SI_JZNS1_25segmented_radix_sort_implINS0_14default_configELb0EPKsPsPKlPlN2at6native12_GLOBAL__N_18offset_tEEE10hipError_tPvRmT1_PNSt15iterator_traitsIS12_E10value_typeET2_T3_PNS13_IS18_E10value_typeET4_jRbjT5_S1E_jjP12ihipStream_tbEUljE_ZNSN_ISO_Lb0ESQ_SR_ST_SU_SY_EESZ_S10_S11_S12_S16_S17_S18_S1B_S1C_jS1D_jS1E_S1E_jjS1G_bEUljE0_EEESZ_S10_S11_S18_S1C_S1E_T6_T7_T9_mT8_S1G_bDpT10_ENKUlT_T0_E_clISt17integral_constantIbLb1EES1T_IbLb0EEEEDaS1P_S1Q_EUlS1P_E_NS1_11comp_targetILNS1_3genE9ELNS1_11target_archE1100ELNS1_3gpuE3ELNS1_3repE0EEENS1_30default_config_static_selectorELNS0_4arch9wavefront6targetE1EEEvS12_, .Lfunc_end971-_ZN7rocprim17ROCPRIM_400000_NS6detail17trampoline_kernelINS0_13select_configILj256ELj13ELNS0_17block_load_methodE3ELS4_3ELS4_3ELNS0_20block_scan_algorithmE0ELj4294967295EEENS1_25partition_config_selectorILNS1_17partition_subalgoE4EjNS0_10empty_typeEbEEZZNS1_14partition_implILS8_4ELb0ES6_15HIP_vector_typeIjLj2EENS0_17counting_iteratorIjlEEPS9_SG_NS0_5tupleIJPjSI_NS0_16reverse_iteratorISI_EEEEENSH_IJSG_SG_SG_EEES9_SI_JZNS1_25segmented_radix_sort_implINS0_14default_configELb0EPKsPsPKlPlN2at6native12_GLOBAL__N_18offset_tEEE10hipError_tPvRmT1_PNSt15iterator_traitsIS12_E10value_typeET2_T3_PNS13_IS18_E10value_typeET4_jRbjT5_S1E_jjP12ihipStream_tbEUljE_ZNSN_ISO_Lb0ESQ_SR_ST_SU_SY_EESZ_S10_S11_S12_S16_S17_S18_S1B_S1C_jS1D_jS1E_S1E_jjS1G_bEUljE0_EEESZ_S10_S11_S18_S1C_S1E_T6_T7_T9_mT8_S1G_bDpT10_ENKUlT_T0_E_clISt17integral_constantIbLb1EES1T_IbLb0EEEEDaS1P_S1Q_EUlS1P_E_NS1_11comp_targetILNS1_3genE9ELNS1_11target_archE1100ELNS1_3gpuE3ELNS1_3repE0EEENS1_30default_config_static_selectorELNS0_4arch9wavefront6targetE1EEEvS12_
                                        ; -- End function
	.section	.AMDGPU.csdata,"",@progbits
; Kernel info:
; codeLenInByte = 0
; NumSgprs: 4
; NumVgprs: 0
; NumAgprs: 0
; TotalNumVgprs: 0
; ScratchSize: 0
; MemoryBound: 0
; FloatMode: 240
; IeeeMode: 1
; LDSByteSize: 0 bytes/workgroup (compile time only)
; SGPRBlocks: 0
; VGPRBlocks: 0
; NumSGPRsForWavesPerEU: 4
; NumVGPRsForWavesPerEU: 1
; AccumOffset: 4
; Occupancy: 8
; WaveLimiterHint : 0
; COMPUTE_PGM_RSRC2:SCRATCH_EN: 0
; COMPUTE_PGM_RSRC2:USER_SGPR: 6
; COMPUTE_PGM_RSRC2:TRAP_HANDLER: 0
; COMPUTE_PGM_RSRC2:TGID_X_EN: 1
; COMPUTE_PGM_RSRC2:TGID_Y_EN: 0
; COMPUTE_PGM_RSRC2:TGID_Z_EN: 0
; COMPUTE_PGM_RSRC2:TIDIG_COMP_CNT: 0
; COMPUTE_PGM_RSRC3_GFX90A:ACCUM_OFFSET: 0
; COMPUTE_PGM_RSRC3_GFX90A:TG_SPLIT: 0
	.section	.text._ZN7rocprim17ROCPRIM_400000_NS6detail17trampoline_kernelINS0_13select_configILj256ELj13ELNS0_17block_load_methodE3ELS4_3ELS4_3ELNS0_20block_scan_algorithmE0ELj4294967295EEENS1_25partition_config_selectorILNS1_17partition_subalgoE4EjNS0_10empty_typeEbEEZZNS1_14partition_implILS8_4ELb0ES6_15HIP_vector_typeIjLj2EENS0_17counting_iteratorIjlEEPS9_SG_NS0_5tupleIJPjSI_NS0_16reverse_iteratorISI_EEEEENSH_IJSG_SG_SG_EEES9_SI_JZNS1_25segmented_radix_sort_implINS0_14default_configELb0EPKsPsPKlPlN2at6native12_GLOBAL__N_18offset_tEEE10hipError_tPvRmT1_PNSt15iterator_traitsIS12_E10value_typeET2_T3_PNS13_IS18_E10value_typeET4_jRbjT5_S1E_jjP12ihipStream_tbEUljE_ZNSN_ISO_Lb0ESQ_SR_ST_SU_SY_EESZ_S10_S11_S12_S16_S17_S18_S1B_S1C_jS1D_jS1E_S1E_jjS1G_bEUljE0_EEESZ_S10_S11_S18_S1C_S1E_T6_T7_T9_mT8_S1G_bDpT10_ENKUlT_T0_E_clISt17integral_constantIbLb1EES1T_IbLb0EEEEDaS1P_S1Q_EUlS1P_E_NS1_11comp_targetILNS1_3genE8ELNS1_11target_archE1030ELNS1_3gpuE2ELNS1_3repE0EEENS1_30default_config_static_selectorELNS0_4arch9wavefront6targetE1EEEvS12_,"axG",@progbits,_ZN7rocprim17ROCPRIM_400000_NS6detail17trampoline_kernelINS0_13select_configILj256ELj13ELNS0_17block_load_methodE3ELS4_3ELS4_3ELNS0_20block_scan_algorithmE0ELj4294967295EEENS1_25partition_config_selectorILNS1_17partition_subalgoE4EjNS0_10empty_typeEbEEZZNS1_14partition_implILS8_4ELb0ES6_15HIP_vector_typeIjLj2EENS0_17counting_iteratorIjlEEPS9_SG_NS0_5tupleIJPjSI_NS0_16reverse_iteratorISI_EEEEENSH_IJSG_SG_SG_EEES9_SI_JZNS1_25segmented_radix_sort_implINS0_14default_configELb0EPKsPsPKlPlN2at6native12_GLOBAL__N_18offset_tEEE10hipError_tPvRmT1_PNSt15iterator_traitsIS12_E10value_typeET2_T3_PNS13_IS18_E10value_typeET4_jRbjT5_S1E_jjP12ihipStream_tbEUljE_ZNSN_ISO_Lb0ESQ_SR_ST_SU_SY_EESZ_S10_S11_S12_S16_S17_S18_S1B_S1C_jS1D_jS1E_S1E_jjS1G_bEUljE0_EEESZ_S10_S11_S18_S1C_S1E_T6_T7_T9_mT8_S1G_bDpT10_ENKUlT_T0_E_clISt17integral_constantIbLb1EES1T_IbLb0EEEEDaS1P_S1Q_EUlS1P_E_NS1_11comp_targetILNS1_3genE8ELNS1_11target_archE1030ELNS1_3gpuE2ELNS1_3repE0EEENS1_30default_config_static_selectorELNS0_4arch9wavefront6targetE1EEEvS12_,comdat
	.globl	_ZN7rocprim17ROCPRIM_400000_NS6detail17trampoline_kernelINS0_13select_configILj256ELj13ELNS0_17block_load_methodE3ELS4_3ELS4_3ELNS0_20block_scan_algorithmE0ELj4294967295EEENS1_25partition_config_selectorILNS1_17partition_subalgoE4EjNS0_10empty_typeEbEEZZNS1_14partition_implILS8_4ELb0ES6_15HIP_vector_typeIjLj2EENS0_17counting_iteratorIjlEEPS9_SG_NS0_5tupleIJPjSI_NS0_16reverse_iteratorISI_EEEEENSH_IJSG_SG_SG_EEES9_SI_JZNS1_25segmented_radix_sort_implINS0_14default_configELb0EPKsPsPKlPlN2at6native12_GLOBAL__N_18offset_tEEE10hipError_tPvRmT1_PNSt15iterator_traitsIS12_E10value_typeET2_T3_PNS13_IS18_E10value_typeET4_jRbjT5_S1E_jjP12ihipStream_tbEUljE_ZNSN_ISO_Lb0ESQ_SR_ST_SU_SY_EESZ_S10_S11_S12_S16_S17_S18_S1B_S1C_jS1D_jS1E_S1E_jjS1G_bEUljE0_EEESZ_S10_S11_S18_S1C_S1E_T6_T7_T9_mT8_S1G_bDpT10_ENKUlT_T0_E_clISt17integral_constantIbLb1EES1T_IbLb0EEEEDaS1P_S1Q_EUlS1P_E_NS1_11comp_targetILNS1_3genE8ELNS1_11target_archE1030ELNS1_3gpuE2ELNS1_3repE0EEENS1_30default_config_static_selectorELNS0_4arch9wavefront6targetE1EEEvS12_ ; -- Begin function _ZN7rocprim17ROCPRIM_400000_NS6detail17trampoline_kernelINS0_13select_configILj256ELj13ELNS0_17block_load_methodE3ELS4_3ELS4_3ELNS0_20block_scan_algorithmE0ELj4294967295EEENS1_25partition_config_selectorILNS1_17partition_subalgoE4EjNS0_10empty_typeEbEEZZNS1_14partition_implILS8_4ELb0ES6_15HIP_vector_typeIjLj2EENS0_17counting_iteratorIjlEEPS9_SG_NS0_5tupleIJPjSI_NS0_16reverse_iteratorISI_EEEEENSH_IJSG_SG_SG_EEES9_SI_JZNS1_25segmented_radix_sort_implINS0_14default_configELb0EPKsPsPKlPlN2at6native12_GLOBAL__N_18offset_tEEE10hipError_tPvRmT1_PNSt15iterator_traitsIS12_E10value_typeET2_T3_PNS13_IS18_E10value_typeET4_jRbjT5_S1E_jjP12ihipStream_tbEUljE_ZNSN_ISO_Lb0ESQ_SR_ST_SU_SY_EESZ_S10_S11_S12_S16_S17_S18_S1B_S1C_jS1D_jS1E_S1E_jjS1G_bEUljE0_EEESZ_S10_S11_S18_S1C_S1E_T6_T7_T9_mT8_S1G_bDpT10_ENKUlT_T0_E_clISt17integral_constantIbLb1EES1T_IbLb0EEEEDaS1P_S1Q_EUlS1P_E_NS1_11comp_targetILNS1_3genE8ELNS1_11target_archE1030ELNS1_3gpuE2ELNS1_3repE0EEENS1_30default_config_static_selectorELNS0_4arch9wavefront6targetE1EEEvS12_
	.p2align	8
	.type	_ZN7rocprim17ROCPRIM_400000_NS6detail17trampoline_kernelINS0_13select_configILj256ELj13ELNS0_17block_load_methodE3ELS4_3ELS4_3ELNS0_20block_scan_algorithmE0ELj4294967295EEENS1_25partition_config_selectorILNS1_17partition_subalgoE4EjNS0_10empty_typeEbEEZZNS1_14partition_implILS8_4ELb0ES6_15HIP_vector_typeIjLj2EENS0_17counting_iteratorIjlEEPS9_SG_NS0_5tupleIJPjSI_NS0_16reverse_iteratorISI_EEEEENSH_IJSG_SG_SG_EEES9_SI_JZNS1_25segmented_radix_sort_implINS0_14default_configELb0EPKsPsPKlPlN2at6native12_GLOBAL__N_18offset_tEEE10hipError_tPvRmT1_PNSt15iterator_traitsIS12_E10value_typeET2_T3_PNS13_IS18_E10value_typeET4_jRbjT5_S1E_jjP12ihipStream_tbEUljE_ZNSN_ISO_Lb0ESQ_SR_ST_SU_SY_EESZ_S10_S11_S12_S16_S17_S18_S1B_S1C_jS1D_jS1E_S1E_jjS1G_bEUljE0_EEESZ_S10_S11_S18_S1C_S1E_T6_T7_T9_mT8_S1G_bDpT10_ENKUlT_T0_E_clISt17integral_constantIbLb1EES1T_IbLb0EEEEDaS1P_S1Q_EUlS1P_E_NS1_11comp_targetILNS1_3genE8ELNS1_11target_archE1030ELNS1_3gpuE2ELNS1_3repE0EEENS1_30default_config_static_selectorELNS0_4arch9wavefront6targetE1EEEvS12_,@function
_ZN7rocprim17ROCPRIM_400000_NS6detail17trampoline_kernelINS0_13select_configILj256ELj13ELNS0_17block_load_methodE3ELS4_3ELS4_3ELNS0_20block_scan_algorithmE0ELj4294967295EEENS1_25partition_config_selectorILNS1_17partition_subalgoE4EjNS0_10empty_typeEbEEZZNS1_14partition_implILS8_4ELb0ES6_15HIP_vector_typeIjLj2EENS0_17counting_iteratorIjlEEPS9_SG_NS0_5tupleIJPjSI_NS0_16reverse_iteratorISI_EEEEENSH_IJSG_SG_SG_EEES9_SI_JZNS1_25segmented_radix_sort_implINS0_14default_configELb0EPKsPsPKlPlN2at6native12_GLOBAL__N_18offset_tEEE10hipError_tPvRmT1_PNSt15iterator_traitsIS12_E10value_typeET2_T3_PNS13_IS18_E10value_typeET4_jRbjT5_S1E_jjP12ihipStream_tbEUljE_ZNSN_ISO_Lb0ESQ_SR_ST_SU_SY_EESZ_S10_S11_S12_S16_S17_S18_S1B_S1C_jS1D_jS1E_S1E_jjS1G_bEUljE0_EEESZ_S10_S11_S18_S1C_S1E_T6_T7_T9_mT8_S1G_bDpT10_ENKUlT_T0_E_clISt17integral_constantIbLb1EES1T_IbLb0EEEEDaS1P_S1Q_EUlS1P_E_NS1_11comp_targetILNS1_3genE8ELNS1_11target_archE1030ELNS1_3gpuE2ELNS1_3repE0EEENS1_30default_config_static_selectorELNS0_4arch9wavefront6targetE1EEEvS12_: ; @_ZN7rocprim17ROCPRIM_400000_NS6detail17trampoline_kernelINS0_13select_configILj256ELj13ELNS0_17block_load_methodE3ELS4_3ELS4_3ELNS0_20block_scan_algorithmE0ELj4294967295EEENS1_25partition_config_selectorILNS1_17partition_subalgoE4EjNS0_10empty_typeEbEEZZNS1_14partition_implILS8_4ELb0ES6_15HIP_vector_typeIjLj2EENS0_17counting_iteratorIjlEEPS9_SG_NS0_5tupleIJPjSI_NS0_16reverse_iteratorISI_EEEEENSH_IJSG_SG_SG_EEES9_SI_JZNS1_25segmented_radix_sort_implINS0_14default_configELb0EPKsPsPKlPlN2at6native12_GLOBAL__N_18offset_tEEE10hipError_tPvRmT1_PNSt15iterator_traitsIS12_E10value_typeET2_T3_PNS13_IS18_E10value_typeET4_jRbjT5_S1E_jjP12ihipStream_tbEUljE_ZNSN_ISO_Lb0ESQ_SR_ST_SU_SY_EESZ_S10_S11_S12_S16_S17_S18_S1B_S1C_jS1D_jS1E_S1E_jjS1G_bEUljE0_EEESZ_S10_S11_S18_S1C_S1E_T6_T7_T9_mT8_S1G_bDpT10_ENKUlT_T0_E_clISt17integral_constantIbLb1EES1T_IbLb0EEEEDaS1P_S1Q_EUlS1P_E_NS1_11comp_targetILNS1_3genE8ELNS1_11target_archE1030ELNS1_3gpuE2ELNS1_3repE0EEENS1_30default_config_static_selectorELNS0_4arch9wavefront6targetE1EEEvS12_
; %bb.0:
	.section	.rodata,"a",@progbits
	.p2align	6, 0x0
	.amdhsa_kernel _ZN7rocprim17ROCPRIM_400000_NS6detail17trampoline_kernelINS0_13select_configILj256ELj13ELNS0_17block_load_methodE3ELS4_3ELS4_3ELNS0_20block_scan_algorithmE0ELj4294967295EEENS1_25partition_config_selectorILNS1_17partition_subalgoE4EjNS0_10empty_typeEbEEZZNS1_14partition_implILS8_4ELb0ES6_15HIP_vector_typeIjLj2EENS0_17counting_iteratorIjlEEPS9_SG_NS0_5tupleIJPjSI_NS0_16reverse_iteratorISI_EEEEENSH_IJSG_SG_SG_EEES9_SI_JZNS1_25segmented_radix_sort_implINS0_14default_configELb0EPKsPsPKlPlN2at6native12_GLOBAL__N_18offset_tEEE10hipError_tPvRmT1_PNSt15iterator_traitsIS12_E10value_typeET2_T3_PNS13_IS18_E10value_typeET4_jRbjT5_S1E_jjP12ihipStream_tbEUljE_ZNSN_ISO_Lb0ESQ_SR_ST_SU_SY_EESZ_S10_S11_S12_S16_S17_S18_S1B_S1C_jS1D_jS1E_S1E_jjS1G_bEUljE0_EEESZ_S10_S11_S18_S1C_S1E_T6_T7_T9_mT8_S1G_bDpT10_ENKUlT_T0_E_clISt17integral_constantIbLb1EES1T_IbLb0EEEEDaS1P_S1Q_EUlS1P_E_NS1_11comp_targetILNS1_3genE8ELNS1_11target_archE1030ELNS1_3gpuE2ELNS1_3repE0EEENS1_30default_config_static_selectorELNS0_4arch9wavefront6targetE1EEEvS12_
		.amdhsa_group_segment_fixed_size 0
		.amdhsa_private_segment_fixed_size 0
		.amdhsa_kernarg_size 176
		.amdhsa_user_sgpr_count 6
		.amdhsa_user_sgpr_private_segment_buffer 1
		.amdhsa_user_sgpr_dispatch_ptr 0
		.amdhsa_user_sgpr_queue_ptr 0
		.amdhsa_user_sgpr_kernarg_segment_ptr 1
		.amdhsa_user_sgpr_dispatch_id 0
		.amdhsa_user_sgpr_flat_scratch_init 0
		.amdhsa_user_sgpr_kernarg_preload_length 0
		.amdhsa_user_sgpr_kernarg_preload_offset 0
		.amdhsa_user_sgpr_private_segment_size 0
		.amdhsa_uses_dynamic_stack 0
		.amdhsa_system_sgpr_private_segment_wavefront_offset 0
		.amdhsa_system_sgpr_workgroup_id_x 1
		.amdhsa_system_sgpr_workgroup_id_y 0
		.amdhsa_system_sgpr_workgroup_id_z 0
		.amdhsa_system_sgpr_workgroup_info 0
		.amdhsa_system_vgpr_workitem_id 0
		.amdhsa_next_free_vgpr 1
		.amdhsa_next_free_sgpr 0
		.amdhsa_accum_offset 4
		.amdhsa_reserve_vcc 0
		.amdhsa_reserve_flat_scratch 0
		.amdhsa_float_round_mode_32 0
		.amdhsa_float_round_mode_16_64 0
		.amdhsa_float_denorm_mode_32 3
		.amdhsa_float_denorm_mode_16_64 3
		.amdhsa_dx10_clamp 1
		.amdhsa_ieee_mode 1
		.amdhsa_fp16_overflow 0
		.amdhsa_tg_split 0
		.amdhsa_exception_fp_ieee_invalid_op 0
		.amdhsa_exception_fp_denorm_src 0
		.amdhsa_exception_fp_ieee_div_zero 0
		.amdhsa_exception_fp_ieee_overflow 0
		.amdhsa_exception_fp_ieee_underflow 0
		.amdhsa_exception_fp_ieee_inexact 0
		.amdhsa_exception_int_div_zero 0
	.end_amdhsa_kernel
	.section	.text._ZN7rocprim17ROCPRIM_400000_NS6detail17trampoline_kernelINS0_13select_configILj256ELj13ELNS0_17block_load_methodE3ELS4_3ELS4_3ELNS0_20block_scan_algorithmE0ELj4294967295EEENS1_25partition_config_selectorILNS1_17partition_subalgoE4EjNS0_10empty_typeEbEEZZNS1_14partition_implILS8_4ELb0ES6_15HIP_vector_typeIjLj2EENS0_17counting_iteratorIjlEEPS9_SG_NS0_5tupleIJPjSI_NS0_16reverse_iteratorISI_EEEEENSH_IJSG_SG_SG_EEES9_SI_JZNS1_25segmented_radix_sort_implINS0_14default_configELb0EPKsPsPKlPlN2at6native12_GLOBAL__N_18offset_tEEE10hipError_tPvRmT1_PNSt15iterator_traitsIS12_E10value_typeET2_T3_PNS13_IS18_E10value_typeET4_jRbjT5_S1E_jjP12ihipStream_tbEUljE_ZNSN_ISO_Lb0ESQ_SR_ST_SU_SY_EESZ_S10_S11_S12_S16_S17_S18_S1B_S1C_jS1D_jS1E_S1E_jjS1G_bEUljE0_EEESZ_S10_S11_S18_S1C_S1E_T6_T7_T9_mT8_S1G_bDpT10_ENKUlT_T0_E_clISt17integral_constantIbLb1EES1T_IbLb0EEEEDaS1P_S1Q_EUlS1P_E_NS1_11comp_targetILNS1_3genE8ELNS1_11target_archE1030ELNS1_3gpuE2ELNS1_3repE0EEENS1_30default_config_static_selectorELNS0_4arch9wavefront6targetE1EEEvS12_,"axG",@progbits,_ZN7rocprim17ROCPRIM_400000_NS6detail17trampoline_kernelINS0_13select_configILj256ELj13ELNS0_17block_load_methodE3ELS4_3ELS4_3ELNS0_20block_scan_algorithmE0ELj4294967295EEENS1_25partition_config_selectorILNS1_17partition_subalgoE4EjNS0_10empty_typeEbEEZZNS1_14partition_implILS8_4ELb0ES6_15HIP_vector_typeIjLj2EENS0_17counting_iteratorIjlEEPS9_SG_NS0_5tupleIJPjSI_NS0_16reverse_iteratorISI_EEEEENSH_IJSG_SG_SG_EEES9_SI_JZNS1_25segmented_radix_sort_implINS0_14default_configELb0EPKsPsPKlPlN2at6native12_GLOBAL__N_18offset_tEEE10hipError_tPvRmT1_PNSt15iterator_traitsIS12_E10value_typeET2_T3_PNS13_IS18_E10value_typeET4_jRbjT5_S1E_jjP12ihipStream_tbEUljE_ZNSN_ISO_Lb0ESQ_SR_ST_SU_SY_EESZ_S10_S11_S12_S16_S17_S18_S1B_S1C_jS1D_jS1E_S1E_jjS1G_bEUljE0_EEESZ_S10_S11_S18_S1C_S1E_T6_T7_T9_mT8_S1G_bDpT10_ENKUlT_T0_E_clISt17integral_constantIbLb1EES1T_IbLb0EEEEDaS1P_S1Q_EUlS1P_E_NS1_11comp_targetILNS1_3genE8ELNS1_11target_archE1030ELNS1_3gpuE2ELNS1_3repE0EEENS1_30default_config_static_selectorELNS0_4arch9wavefront6targetE1EEEvS12_,comdat
.Lfunc_end972:
	.size	_ZN7rocprim17ROCPRIM_400000_NS6detail17trampoline_kernelINS0_13select_configILj256ELj13ELNS0_17block_load_methodE3ELS4_3ELS4_3ELNS0_20block_scan_algorithmE0ELj4294967295EEENS1_25partition_config_selectorILNS1_17partition_subalgoE4EjNS0_10empty_typeEbEEZZNS1_14partition_implILS8_4ELb0ES6_15HIP_vector_typeIjLj2EENS0_17counting_iteratorIjlEEPS9_SG_NS0_5tupleIJPjSI_NS0_16reverse_iteratorISI_EEEEENSH_IJSG_SG_SG_EEES9_SI_JZNS1_25segmented_radix_sort_implINS0_14default_configELb0EPKsPsPKlPlN2at6native12_GLOBAL__N_18offset_tEEE10hipError_tPvRmT1_PNSt15iterator_traitsIS12_E10value_typeET2_T3_PNS13_IS18_E10value_typeET4_jRbjT5_S1E_jjP12ihipStream_tbEUljE_ZNSN_ISO_Lb0ESQ_SR_ST_SU_SY_EESZ_S10_S11_S12_S16_S17_S18_S1B_S1C_jS1D_jS1E_S1E_jjS1G_bEUljE0_EEESZ_S10_S11_S18_S1C_S1E_T6_T7_T9_mT8_S1G_bDpT10_ENKUlT_T0_E_clISt17integral_constantIbLb1EES1T_IbLb0EEEEDaS1P_S1Q_EUlS1P_E_NS1_11comp_targetILNS1_3genE8ELNS1_11target_archE1030ELNS1_3gpuE2ELNS1_3repE0EEENS1_30default_config_static_selectorELNS0_4arch9wavefront6targetE1EEEvS12_, .Lfunc_end972-_ZN7rocprim17ROCPRIM_400000_NS6detail17trampoline_kernelINS0_13select_configILj256ELj13ELNS0_17block_load_methodE3ELS4_3ELS4_3ELNS0_20block_scan_algorithmE0ELj4294967295EEENS1_25partition_config_selectorILNS1_17partition_subalgoE4EjNS0_10empty_typeEbEEZZNS1_14partition_implILS8_4ELb0ES6_15HIP_vector_typeIjLj2EENS0_17counting_iteratorIjlEEPS9_SG_NS0_5tupleIJPjSI_NS0_16reverse_iteratorISI_EEEEENSH_IJSG_SG_SG_EEES9_SI_JZNS1_25segmented_radix_sort_implINS0_14default_configELb0EPKsPsPKlPlN2at6native12_GLOBAL__N_18offset_tEEE10hipError_tPvRmT1_PNSt15iterator_traitsIS12_E10value_typeET2_T3_PNS13_IS18_E10value_typeET4_jRbjT5_S1E_jjP12ihipStream_tbEUljE_ZNSN_ISO_Lb0ESQ_SR_ST_SU_SY_EESZ_S10_S11_S12_S16_S17_S18_S1B_S1C_jS1D_jS1E_S1E_jjS1G_bEUljE0_EEESZ_S10_S11_S18_S1C_S1E_T6_T7_T9_mT8_S1G_bDpT10_ENKUlT_T0_E_clISt17integral_constantIbLb1EES1T_IbLb0EEEEDaS1P_S1Q_EUlS1P_E_NS1_11comp_targetILNS1_3genE8ELNS1_11target_archE1030ELNS1_3gpuE2ELNS1_3repE0EEENS1_30default_config_static_selectorELNS0_4arch9wavefront6targetE1EEEvS12_
                                        ; -- End function
	.section	.AMDGPU.csdata,"",@progbits
; Kernel info:
; codeLenInByte = 0
; NumSgprs: 4
; NumVgprs: 0
; NumAgprs: 0
; TotalNumVgprs: 0
; ScratchSize: 0
; MemoryBound: 0
; FloatMode: 240
; IeeeMode: 1
; LDSByteSize: 0 bytes/workgroup (compile time only)
; SGPRBlocks: 0
; VGPRBlocks: 0
; NumSGPRsForWavesPerEU: 4
; NumVGPRsForWavesPerEU: 1
; AccumOffset: 4
; Occupancy: 8
; WaveLimiterHint : 0
; COMPUTE_PGM_RSRC2:SCRATCH_EN: 0
; COMPUTE_PGM_RSRC2:USER_SGPR: 6
; COMPUTE_PGM_RSRC2:TRAP_HANDLER: 0
; COMPUTE_PGM_RSRC2:TGID_X_EN: 1
; COMPUTE_PGM_RSRC2:TGID_Y_EN: 0
; COMPUTE_PGM_RSRC2:TGID_Z_EN: 0
; COMPUTE_PGM_RSRC2:TIDIG_COMP_CNT: 0
; COMPUTE_PGM_RSRC3_GFX90A:ACCUM_OFFSET: 0
; COMPUTE_PGM_RSRC3_GFX90A:TG_SPLIT: 0
	.section	.text._ZN7rocprim17ROCPRIM_400000_NS6detail17trampoline_kernelINS0_13select_configILj256ELj13ELNS0_17block_load_methodE3ELS4_3ELS4_3ELNS0_20block_scan_algorithmE0ELj4294967295EEENS1_25partition_config_selectorILNS1_17partition_subalgoE4EjNS0_10empty_typeEbEEZZNS1_14partition_implILS8_4ELb0ES6_15HIP_vector_typeIjLj2EENS0_17counting_iteratorIjlEEPS9_SG_NS0_5tupleIJPjSI_NS0_16reverse_iteratorISI_EEEEENSH_IJSG_SG_SG_EEES9_SI_JZNS1_25segmented_radix_sort_implINS0_14default_configELb0EPKsPsPKlPlN2at6native12_GLOBAL__N_18offset_tEEE10hipError_tPvRmT1_PNSt15iterator_traitsIS12_E10value_typeET2_T3_PNS13_IS18_E10value_typeET4_jRbjT5_S1E_jjP12ihipStream_tbEUljE_ZNSN_ISO_Lb0ESQ_SR_ST_SU_SY_EESZ_S10_S11_S12_S16_S17_S18_S1B_S1C_jS1D_jS1E_S1E_jjS1G_bEUljE0_EEESZ_S10_S11_S18_S1C_S1E_T6_T7_T9_mT8_S1G_bDpT10_ENKUlT_T0_E_clISt17integral_constantIbLb0EES1T_IbLb1EEEEDaS1P_S1Q_EUlS1P_E_NS1_11comp_targetILNS1_3genE0ELNS1_11target_archE4294967295ELNS1_3gpuE0ELNS1_3repE0EEENS1_30default_config_static_selectorELNS0_4arch9wavefront6targetE1EEEvS12_,"axG",@progbits,_ZN7rocprim17ROCPRIM_400000_NS6detail17trampoline_kernelINS0_13select_configILj256ELj13ELNS0_17block_load_methodE3ELS4_3ELS4_3ELNS0_20block_scan_algorithmE0ELj4294967295EEENS1_25partition_config_selectorILNS1_17partition_subalgoE4EjNS0_10empty_typeEbEEZZNS1_14partition_implILS8_4ELb0ES6_15HIP_vector_typeIjLj2EENS0_17counting_iteratorIjlEEPS9_SG_NS0_5tupleIJPjSI_NS0_16reverse_iteratorISI_EEEEENSH_IJSG_SG_SG_EEES9_SI_JZNS1_25segmented_radix_sort_implINS0_14default_configELb0EPKsPsPKlPlN2at6native12_GLOBAL__N_18offset_tEEE10hipError_tPvRmT1_PNSt15iterator_traitsIS12_E10value_typeET2_T3_PNS13_IS18_E10value_typeET4_jRbjT5_S1E_jjP12ihipStream_tbEUljE_ZNSN_ISO_Lb0ESQ_SR_ST_SU_SY_EESZ_S10_S11_S12_S16_S17_S18_S1B_S1C_jS1D_jS1E_S1E_jjS1G_bEUljE0_EEESZ_S10_S11_S18_S1C_S1E_T6_T7_T9_mT8_S1G_bDpT10_ENKUlT_T0_E_clISt17integral_constantIbLb0EES1T_IbLb1EEEEDaS1P_S1Q_EUlS1P_E_NS1_11comp_targetILNS1_3genE0ELNS1_11target_archE4294967295ELNS1_3gpuE0ELNS1_3repE0EEENS1_30default_config_static_selectorELNS0_4arch9wavefront6targetE1EEEvS12_,comdat
	.globl	_ZN7rocprim17ROCPRIM_400000_NS6detail17trampoline_kernelINS0_13select_configILj256ELj13ELNS0_17block_load_methodE3ELS4_3ELS4_3ELNS0_20block_scan_algorithmE0ELj4294967295EEENS1_25partition_config_selectorILNS1_17partition_subalgoE4EjNS0_10empty_typeEbEEZZNS1_14partition_implILS8_4ELb0ES6_15HIP_vector_typeIjLj2EENS0_17counting_iteratorIjlEEPS9_SG_NS0_5tupleIJPjSI_NS0_16reverse_iteratorISI_EEEEENSH_IJSG_SG_SG_EEES9_SI_JZNS1_25segmented_radix_sort_implINS0_14default_configELb0EPKsPsPKlPlN2at6native12_GLOBAL__N_18offset_tEEE10hipError_tPvRmT1_PNSt15iterator_traitsIS12_E10value_typeET2_T3_PNS13_IS18_E10value_typeET4_jRbjT5_S1E_jjP12ihipStream_tbEUljE_ZNSN_ISO_Lb0ESQ_SR_ST_SU_SY_EESZ_S10_S11_S12_S16_S17_S18_S1B_S1C_jS1D_jS1E_S1E_jjS1G_bEUljE0_EEESZ_S10_S11_S18_S1C_S1E_T6_T7_T9_mT8_S1G_bDpT10_ENKUlT_T0_E_clISt17integral_constantIbLb0EES1T_IbLb1EEEEDaS1P_S1Q_EUlS1P_E_NS1_11comp_targetILNS1_3genE0ELNS1_11target_archE4294967295ELNS1_3gpuE0ELNS1_3repE0EEENS1_30default_config_static_selectorELNS0_4arch9wavefront6targetE1EEEvS12_ ; -- Begin function _ZN7rocprim17ROCPRIM_400000_NS6detail17trampoline_kernelINS0_13select_configILj256ELj13ELNS0_17block_load_methodE3ELS4_3ELS4_3ELNS0_20block_scan_algorithmE0ELj4294967295EEENS1_25partition_config_selectorILNS1_17partition_subalgoE4EjNS0_10empty_typeEbEEZZNS1_14partition_implILS8_4ELb0ES6_15HIP_vector_typeIjLj2EENS0_17counting_iteratorIjlEEPS9_SG_NS0_5tupleIJPjSI_NS0_16reverse_iteratorISI_EEEEENSH_IJSG_SG_SG_EEES9_SI_JZNS1_25segmented_radix_sort_implINS0_14default_configELb0EPKsPsPKlPlN2at6native12_GLOBAL__N_18offset_tEEE10hipError_tPvRmT1_PNSt15iterator_traitsIS12_E10value_typeET2_T3_PNS13_IS18_E10value_typeET4_jRbjT5_S1E_jjP12ihipStream_tbEUljE_ZNSN_ISO_Lb0ESQ_SR_ST_SU_SY_EESZ_S10_S11_S12_S16_S17_S18_S1B_S1C_jS1D_jS1E_S1E_jjS1G_bEUljE0_EEESZ_S10_S11_S18_S1C_S1E_T6_T7_T9_mT8_S1G_bDpT10_ENKUlT_T0_E_clISt17integral_constantIbLb0EES1T_IbLb1EEEEDaS1P_S1Q_EUlS1P_E_NS1_11comp_targetILNS1_3genE0ELNS1_11target_archE4294967295ELNS1_3gpuE0ELNS1_3repE0EEENS1_30default_config_static_selectorELNS0_4arch9wavefront6targetE1EEEvS12_
	.p2align	8
	.type	_ZN7rocprim17ROCPRIM_400000_NS6detail17trampoline_kernelINS0_13select_configILj256ELj13ELNS0_17block_load_methodE3ELS4_3ELS4_3ELNS0_20block_scan_algorithmE0ELj4294967295EEENS1_25partition_config_selectorILNS1_17partition_subalgoE4EjNS0_10empty_typeEbEEZZNS1_14partition_implILS8_4ELb0ES6_15HIP_vector_typeIjLj2EENS0_17counting_iteratorIjlEEPS9_SG_NS0_5tupleIJPjSI_NS0_16reverse_iteratorISI_EEEEENSH_IJSG_SG_SG_EEES9_SI_JZNS1_25segmented_radix_sort_implINS0_14default_configELb0EPKsPsPKlPlN2at6native12_GLOBAL__N_18offset_tEEE10hipError_tPvRmT1_PNSt15iterator_traitsIS12_E10value_typeET2_T3_PNS13_IS18_E10value_typeET4_jRbjT5_S1E_jjP12ihipStream_tbEUljE_ZNSN_ISO_Lb0ESQ_SR_ST_SU_SY_EESZ_S10_S11_S12_S16_S17_S18_S1B_S1C_jS1D_jS1E_S1E_jjS1G_bEUljE0_EEESZ_S10_S11_S18_S1C_S1E_T6_T7_T9_mT8_S1G_bDpT10_ENKUlT_T0_E_clISt17integral_constantIbLb0EES1T_IbLb1EEEEDaS1P_S1Q_EUlS1P_E_NS1_11comp_targetILNS1_3genE0ELNS1_11target_archE4294967295ELNS1_3gpuE0ELNS1_3repE0EEENS1_30default_config_static_selectorELNS0_4arch9wavefront6targetE1EEEvS12_,@function
_ZN7rocprim17ROCPRIM_400000_NS6detail17trampoline_kernelINS0_13select_configILj256ELj13ELNS0_17block_load_methodE3ELS4_3ELS4_3ELNS0_20block_scan_algorithmE0ELj4294967295EEENS1_25partition_config_selectorILNS1_17partition_subalgoE4EjNS0_10empty_typeEbEEZZNS1_14partition_implILS8_4ELb0ES6_15HIP_vector_typeIjLj2EENS0_17counting_iteratorIjlEEPS9_SG_NS0_5tupleIJPjSI_NS0_16reverse_iteratorISI_EEEEENSH_IJSG_SG_SG_EEES9_SI_JZNS1_25segmented_radix_sort_implINS0_14default_configELb0EPKsPsPKlPlN2at6native12_GLOBAL__N_18offset_tEEE10hipError_tPvRmT1_PNSt15iterator_traitsIS12_E10value_typeET2_T3_PNS13_IS18_E10value_typeET4_jRbjT5_S1E_jjP12ihipStream_tbEUljE_ZNSN_ISO_Lb0ESQ_SR_ST_SU_SY_EESZ_S10_S11_S12_S16_S17_S18_S1B_S1C_jS1D_jS1E_S1E_jjS1G_bEUljE0_EEESZ_S10_S11_S18_S1C_S1E_T6_T7_T9_mT8_S1G_bDpT10_ENKUlT_T0_E_clISt17integral_constantIbLb0EES1T_IbLb1EEEEDaS1P_S1Q_EUlS1P_E_NS1_11comp_targetILNS1_3genE0ELNS1_11target_archE4294967295ELNS1_3gpuE0ELNS1_3repE0EEENS1_30default_config_static_selectorELNS0_4arch9wavefront6targetE1EEEvS12_: ; @_ZN7rocprim17ROCPRIM_400000_NS6detail17trampoline_kernelINS0_13select_configILj256ELj13ELNS0_17block_load_methodE3ELS4_3ELS4_3ELNS0_20block_scan_algorithmE0ELj4294967295EEENS1_25partition_config_selectorILNS1_17partition_subalgoE4EjNS0_10empty_typeEbEEZZNS1_14partition_implILS8_4ELb0ES6_15HIP_vector_typeIjLj2EENS0_17counting_iteratorIjlEEPS9_SG_NS0_5tupleIJPjSI_NS0_16reverse_iteratorISI_EEEEENSH_IJSG_SG_SG_EEES9_SI_JZNS1_25segmented_radix_sort_implINS0_14default_configELb0EPKsPsPKlPlN2at6native12_GLOBAL__N_18offset_tEEE10hipError_tPvRmT1_PNSt15iterator_traitsIS12_E10value_typeET2_T3_PNS13_IS18_E10value_typeET4_jRbjT5_S1E_jjP12ihipStream_tbEUljE_ZNSN_ISO_Lb0ESQ_SR_ST_SU_SY_EESZ_S10_S11_S12_S16_S17_S18_S1B_S1C_jS1D_jS1E_S1E_jjS1G_bEUljE0_EEESZ_S10_S11_S18_S1C_S1E_T6_T7_T9_mT8_S1G_bDpT10_ENKUlT_T0_E_clISt17integral_constantIbLb0EES1T_IbLb1EEEEDaS1P_S1Q_EUlS1P_E_NS1_11comp_targetILNS1_3genE0ELNS1_11target_archE4294967295ELNS1_3gpuE0ELNS1_3repE0EEENS1_30default_config_static_selectorELNS0_4arch9wavefront6targetE1EEEvS12_
; %bb.0:
	.section	.rodata,"a",@progbits
	.p2align	6, 0x0
	.amdhsa_kernel _ZN7rocprim17ROCPRIM_400000_NS6detail17trampoline_kernelINS0_13select_configILj256ELj13ELNS0_17block_load_methodE3ELS4_3ELS4_3ELNS0_20block_scan_algorithmE0ELj4294967295EEENS1_25partition_config_selectorILNS1_17partition_subalgoE4EjNS0_10empty_typeEbEEZZNS1_14partition_implILS8_4ELb0ES6_15HIP_vector_typeIjLj2EENS0_17counting_iteratorIjlEEPS9_SG_NS0_5tupleIJPjSI_NS0_16reverse_iteratorISI_EEEEENSH_IJSG_SG_SG_EEES9_SI_JZNS1_25segmented_radix_sort_implINS0_14default_configELb0EPKsPsPKlPlN2at6native12_GLOBAL__N_18offset_tEEE10hipError_tPvRmT1_PNSt15iterator_traitsIS12_E10value_typeET2_T3_PNS13_IS18_E10value_typeET4_jRbjT5_S1E_jjP12ihipStream_tbEUljE_ZNSN_ISO_Lb0ESQ_SR_ST_SU_SY_EESZ_S10_S11_S12_S16_S17_S18_S1B_S1C_jS1D_jS1E_S1E_jjS1G_bEUljE0_EEESZ_S10_S11_S18_S1C_S1E_T6_T7_T9_mT8_S1G_bDpT10_ENKUlT_T0_E_clISt17integral_constantIbLb0EES1T_IbLb1EEEEDaS1P_S1Q_EUlS1P_E_NS1_11comp_targetILNS1_3genE0ELNS1_11target_archE4294967295ELNS1_3gpuE0ELNS1_3repE0EEENS1_30default_config_static_selectorELNS0_4arch9wavefront6targetE1EEEvS12_
		.amdhsa_group_segment_fixed_size 0
		.amdhsa_private_segment_fixed_size 0
		.amdhsa_kernarg_size 184
		.amdhsa_user_sgpr_count 6
		.amdhsa_user_sgpr_private_segment_buffer 1
		.amdhsa_user_sgpr_dispatch_ptr 0
		.amdhsa_user_sgpr_queue_ptr 0
		.amdhsa_user_sgpr_kernarg_segment_ptr 1
		.amdhsa_user_sgpr_dispatch_id 0
		.amdhsa_user_sgpr_flat_scratch_init 0
		.amdhsa_user_sgpr_kernarg_preload_length 0
		.amdhsa_user_sgpr_kernarg_preload_offset 0
		.amdhsa_user_sgpr_private_segment_size 0
		.amdhsa_uses_dynamic_stack 0
		.amdhsa_system_sgpr_private_segment_wavefront_offset 0
		.amdhsa_system_sgpr_workgroup_id_x 1
		.amdhsa_system_sgpr_workgroup_id_y 0
		.amdhsa_system_sgpr_workgroup_id_z 0
		.amdhsa_system_sgpr_workgroup_info 0
		.amdhsa_system_vgpr_workitem_id 0
		.amdhsa_next_free_vgpr 1
		.amdhsa_next_free_sgpr 0
		.amdhsa_accum_offset 4
		.amdhsa_reserve_vcc 0
		.amdhsa_reserve_flat_scratch 0
		.amdhsa_float_round_mode_32 0
		.amdhsa_float_round_mode_16_64 0
		.amdhsa_float_denorm_mode_32 3
		.amdhsa_float_denorm_mode_16_64 3
		.amdhsa_dx10_clamp 1
		.amdhsa_ieee_mode 1
		.amdhsa_fp16_overflow 0
		.amdhsa_tg_split 0
		.amdhsa_exception_fp_ieee_invalid_op 0
		.amdhsa_exception_fp_denorm_src 0
		.amdhsa_exception_fp_ieee_div_zero 0
		.amdhsa_exception_fp_ieee_overflow 0
		.amdhsa_exception_fp_ieee_underflow 0
		.amdhsa_exception_fp_ieee_inexact 0
		.amdhsa_exception_int_div_zero 0
	.end_amdhsa_kernel
	.section	.text._ZN7rocprim17ROCPRIM_400000_NS6detail17trampoline_kernelINS0_13select_configILj256ELj13ELNS0_17block_load_methodE3ELS4_3ELS4_3ELNS0_20block_scan_algorithmE0ELj4294967295EEENS1_25partition_config_selectorILNS1_17partition_subalgoE4EjNS0_10empty_typeEbEEZZNS1_14partition_implILS8_4ELb0ES6_15HIP_vector_typeIjLj2EENS0_17counting_iteratorIjlEEPS9_SG_NS0_5tupleIJPjSI_NS0_16reverse_iteratorISI_EEEEENSH_IJSG_SG_SG_EEES9_SI_JZNS1_25segmented_radix_sort_implINS0_14default_configELb0EPKsPsPKlPlN2at6native12_GLOBAL__N_18offset_tEEE10hipError_tPvRmT1_PNSt15iterator_traitsIS12_E10value_typeET2_T3_PNS13_IS18_E10value_typeET4_jRbjT5_S1E_jjP12ihipStream_tbEUljE_ZNSN_ISO_Lb0ESQ_SR_ST_SU_SY_EESZ_S10_S11_S12_S16_S17_S18_S1B_S1C_jS1D_jS1E_S1E_jjS1G_bEUljE0_EEESZ_S10_S11_S18_S1C_S1E_T6_T7_T9_mT8_S1G_bDpT10_ENKUlT_T0_E_clISt17integral_constantIbLb0EES1T_IbLb1EEEEDaS1P_S1Q_EUlS1P_E_NS1_11comp_targetILNS1_3genE0ELNS1_11target_archE4294967295ELNS1_3gpuE0ELNS1_3repE0EEENS1_30default_config_static_selectorELNS0_4arch9wavefront6targetE1EEEvS12_,"axG",@progbits,_ZN7rocprim17ROCPRIM_400000_NS6detail17trampoline_kernelINS0_13select_configILj256ELj13ELNS0_17block_load_methodE3ELS4_3ELS4_3ELNS0_20block_scan_algorithmE0ELj4294967295EEENS1_25partition_config_selectorILNS1_17partition_subalgoE4EjNS0_10empty_typeEbEEZZNS1_14partition_implILS8_4ELb0ES6_15HIP_vector_typeIjLj2EENS0_17counting_iteratorIjlEEPS9_SG_NS0_5tupleIJPjSI_NS0_16reverse_iteratorISI_EEEEENSH_IJSG_SG_SG_EEES9_SI_JZNS1_25segmented_radix_sort_implINS0_14default_configELb0EPKsPsPKlPlN2at6native12_GLOBAL__N_18offset_tEEE10hipError_tPvRmT1_PNSt15iterator_traitsIS12_E10value_typeET2_T3_PNS13_IS18_E10value_typeET4_jRbjT5_S1E_jjP12ihipStream_tbEUljE_ZNSN_ISO_Lb0ESQ_SR_ST_SU_SY_EESZ_S10_S11_S12_S16_S17_S18_S1B_S1C_jS1D_jS1E_S1E_jjS1G_bEUljE0_EEESZ_S10_S11_S18_S1C_S1E_T6_T7_T9_mT8_S1G_bDpT10_ENKUlT_T0_E_clISt17integral_constantIbLb0EES1T_IbLb1EEEEDaS1P_S1Q_EUlS1P_E_NS1_11comp_targetILNS1_3genE0ELNS1_11target_archE4294967295ELNS1_3gpuE0ELNS1_3repE0EEENS1_30default_config_static_selectorELNS0_4arch9wavefront6targetE1EEEvS12_,comdat
.Lfunc_end973:
	.size	_ZN7rocprim17ROCPRIM_400000_NS6detail17trampoline_kernelINS0_13select_configILj256ELj13ELNS0_17block_load_methodE3ELS4_3ELS4_3ELNS0_20block_scan_algorithmE0ELj4294967295EEENS1_25partition_config_selectorILNS1_17partition_subalgoE4EjNS0_10empty_typeEbEEZZNS1_14partition_implILS8_4ELb0ES6_15HIP_vector_typeIjLj2EENS0_17counting_iteratorIjlEEPS9_SG_NS0_5tupleIJPjSI_NS0_16reverse_iteratorISI_EEEEENSH_IJSG_SG_SG_EEES9_SI_JZNS1_25segmented_radix_sort_implINS0_14default_configELb0EPKsPsPKlPlN2at6native12_GLOBAL__N_18offset_tEEE10hipError_tPvRmT1_PNSt15iterator_traitsIS12_E10value_typeET2_T3_PNS13_IS18_E10value_typeET4_jRbjT5_S1E_jjP12ihipStream_tbEUljE_ZNSN_ISO_Lb0ESQ_SR_ST_SU_SY_EESZ_S10_S11_S12_S16_S17_S18_S1B_S1C_jS1D_jS1E_S1E_jjS1G_bEUljE0_EEESZ_S10_S11_S18_S1C_S1E_T6_T7_T9_mT8_S1G_bDpT10_ENKUlT_T0_E_clISt17integral_constantIbLb0EES1T_IbLb1EEEEDaS1P_S1Q_EUlS1P_E_NS1_11comp_targetILNS1_3genE0ELNS1_11target_archE4294967295ELNS1_3gpuE0ELNS1_3repE0EEENS1_30default_config_static_selectorELNS0_4arch9wavefront6targetE1EEEvS12_, .Lfunc_end973-_ZN7rocprim17ROCPRIM_400000_NS6detail17trampoline_kernelINS0_13select_configILj256ELj13ELNS0_17block_load_methodE3ELS4_3ELS4_3ELNS0_20block_scan_algorithmE0ELj4294967295EEENS1_25partition_config_selectorILNS1_17partition_subalgoE4EjNS0_10empty_typeEbEEZZNS1_14partition_implILS8_4ELb0ES6_15HIP_vector_typeIjLj2EENS0_17counting_iteratorIjlEEPS9_SG_NS0_5tupleIJPjSI_NS0_16reverse_iteratorISI_EEEEENSH_IJSG_SG_SG_EEES9_SI_JZNS1_25segmented_radix_sort_implINS0_14default_configELb0EPKsPsPKlPlN2at6native12_GLOBAL__N_18offset_tEEE10hipError_tPvRmT1_PNSt15iterator_traitsIS12_E10value_typeET2_T3_PNS13_IS18_E10value_typeET4_jRbjT5_S1E_jjP12ihipStream_tbEUljE_ZNSN_ISO_Lb0ESQ_SR_ST_SU_SY_EESZ_S10_S11_S12_S16_S17_S18_S1B_S1C_jS1D_jS1E_S1E_jjS1G_bEUljE0_EEESZ_S10_S11_S18_S1C_S1E_T6_T7_T9_mT8_S1G_bDpT10_ENKUlT_T0_E_clISt17integral_constantIbLb0EES1T_IbLb1EEEEDaS1P_S1Q_EUlS1P_E_NS1_11comp_targetILNS1_3genE0ELNS1_11target_archE4294967295ELNS1_3gpuE0ELNS1_3repE0EEENS1_30default_config_static_selectorELNS0_4arch9wavefront6targetE1EEEvS12_
                                        ; -- End function
	.section	.AMDGPU.csdata,"",@progbits
; Kernel info:
; codeLenInByte = 0
; NumSgprs: 4
; NumVgprs: 0
; NumAgprs: 0
; TotalNumVgprs: 0
; ScratchSize: 0
; MemoryBound: 0
; FloatMode: 240
; IeeeMode: 1
; LDSByteSize: 0 bytes/workgroup (compile time only)
; SGPRBlocks: 0
; VGPRBlocks: 0
; NumSGPRsForWavesPerEU: 4
; NumVGPRsForWavesPerEU: 1
; AccumOffset: 4
; Occupancy: 8
; WaveLimiterHint : 0
; COMPUTE_PGM_RSRC2:SCRATCH_EN: 0
; COMPUTE_PGM_RSRC2:USER_SGPR: 6
; COMPUTE_PGM_RSRC2:TRAP_HANDLER: 0
; COMPUTE_PGM_RSRC2:TGID_X_EN: 1
; COMPUTE_PGM_RSRC2:TGID_Y_EN: 0
; COMPUTE_PGM_RSRC2:TGID_Z_EN: 0
; COMPUTE_PGM_RSRC2:TIDIG_COMP_CNT: 0
; COMPUTE_PGM_RSRC3_GFX90A:ACCUM_OFFSET: 0
; COMPUTE_PGM_RSRC3_GFX90A:TG_SPLIT: 0
	.section	.text._ZN7rocprim17ROCPRIM_400000_NS6detail17trampoline_kernelINS0_13select_configILj256ELj13ELNS0_17block_load_methodE3ELS4_3ELS4_3ELNS0_20block_scan_algorithmE0ELj4294967295EEENS1_25partition_config_selectorILNS1_17partition_subalgoE4EjNS0_10empty_typeEbEEZZNS1_14partition_implILS8_4ELb0ES6_15HIP_vector_typeIjLj2EENS0_17counting_iteratorIjlEEPS9_SG_NS0_5tupleIJPjSI_NS0_16reverse_iteratorISI_EEEEENSH_IJSG_SG_SG_EEES9_SI_JZNS1_25segmented_radix_sort_implINS0_14default_configELb0EPKsPsPKlPlN2at6native12_GLOBAL__N_18offset_tEEE10hipError_tPvRmT1_PNSt15iterator_traitsIS12_E10value_typeET2_T3_PNS13_IS18_E10value_typeET4_jRbjT5_S1E_jjP12ihipStream_tbEUljE_ZNSN_ISO_Lb0ESQ_SR_ST_SU_SY_EESZ_S10_S11_S12_S16_S17_S18_S1B_S1C_jS1D_jS1E_S1E_jjS1G_bEUljE0_EEESZ_S10_S11_S18_S1C_S1E_T6_T7_T9_mT8_S1G_bDpT10_ENKUlT_T0_E_clISt17integral_constantIbLb0EES1T_IbLb1EEEEDaS1P_S1Q_EUlS1P_E_NS1_11comp_targetILNS1_3genE5ELNS1_11target_archE942ELNS1_3gpuE9ELNS1_3repE0EEENS1_30default_config_static_selectorELNS0_4arch9wavefront6targetE1EEEvS12_,"axG",@progbits,_ZN7rocprim17ROCPRIM_400000_NS6detail17trampoline_kernelINS0_13select_configILj256ELj13ELNS0_17block_load_methodE3ELS4_3ELS4_3ELNS0_20block_scan_algorithmE0ELj4294967295EEENS1_25partition_config_selectorILNS1_17partition_subalgoE4EjNS0_10empty_typeEbEEZZNS1_14partition_implILS8_4ELb0ES6_15HIP_vector_typeIjLj2EENS0_17counting_iteratorIjlEEPS9_SG_NS0_5tupleIJPjSI_NS0_16reverse_iteratorISI_EEEEENSH_IJSG_SG_SG_EEES9_SI_JZNS1_25segmented_radix_sort_implINS0_14default_configELb0EPKsPsPKlPlN2at6native12_GLOBAL__N_18offset_tEEE10hipError_tPvRmT1_PNSt15iterator_traitsIS12_E10value_typeET2_T3_PNS13_IS18_E10value_typeET4_jRbjT5_S1E_jjP12ihipStream_tbEUljE_ZNSN_ISO_Lb0ESQ_SR_ST_SU_SY_EESZ_S10_S11_S12_S16_S17_S18_S1B_S1C_jS1D_jS1E_S1E_jjS1G_bEUljE0_EEESZ_S10_S11_S18_S1C_S1E_T6_T7_T9_mT8_S1G_bDpT10_ENKUlT_T0_E_clISt17integral_constantIbLb0EES1T_IbLb1EEEEDaS1P_S1Q_EUlS1P_E_NS1_11comp_targetILNS1_3genE5ELNS1_11target_archE942ELNS1_3gpuE9ELNS1_3repE0EEENS1_30default_config_static_selectorELNS0_4arch9wavefront6targetE1EEEvS12_,comdat
	.globl	_ZN7rocprim17ROCPRIM_400000_NS6detail17trampoline_kernelINS0_13select_configILj256ELj13ELNS0_17block_load_methodE3ELS4_3ELS4_3ELNS0_20block_scan_algorithmE0ELj4294967295EEENS1_25partition_config_selectorILNS1_17partition_subalgoE4EjNS0_10empty_typeEbEEZZNS1_14partition_implILS8_4ELb0ES6_15HIP_vector_typeIjLj2EENS0_17counting_iteratorIjlEEPS9_SG_NS0_5tupleIJPjSI_NS0_16reverse_iteratorISI_EEEEENSH_IJSG_SG_SG_EEES9_SI_JZNS1_25segmented_radix_sort_implINS0_14default_configELb0EPKsPsPKlPlN2at6native12_GLOBAL__N_18offset_tEEE10hipError_tPvRmT1_PNSt15iterator_traitsIS12_E10value_typeET2_T3_PNS13_IS18_E10value_typeET4_jRbjT5_S1E_jjP12ihipStream_tbEUljE_ZNSN_ISO_Lb0ESQ_SR_ST_SU_SY_EESZ_S10_S11_S12_S16_S17_S18_S1B_S1C_jS1D_jS1E_S1E_jjS1G_bEUljE0_EEESZ_S10_S11_S18_S1C_S1E_T6_T7_T9_mT8_S1G_bDpT10_ENKUlT_T0_E_clISt17integral_constantIbLb0EES1T_IbLb1EEEEDaS1P_S1Q_EUlS1P_E_NS1_11comp_targetILNS1_3genE5ELNS1_11target_archE942ELNS1_3gpuE9ELNS1_3repE0EEENS1_30default_config_static_selectorELNS0_4arch9wavefront6targetE1EEEvS12_ ; -- Begin function _ZN7rocprim17ROCPRIM_400000_NS6detail17trampoline_kernelINS0_13select_configILj256ELj13ELNS0_17block_load_methodE3ELS4_3ELS4_3ELNS0_20block_scan_algorithmE0ELj4294967295EEENS1_25partition_config_selectorILNS1_17partition_subalgoE4EjNS0_10empty_typeEbEEZZNS1_14partition_implILS8_4ELb0ES6_15HIP_vector_typeIjLj2EENS0_17counting_iteratorIjlEEPS9_SG_NS0_5tupleIJPjSI_NS0_16reverse_iteratorISI_EEEEENSH_IJSG_SG_SG_EEES9_SI_JZNS1_25segmented_radix_sort_implINS0_14default_configELb0EPKsPsPKlPlN2at6native12_GLOBAL__N_18offset_tEEE10hipError_tPvRmT1_PNSt15iterator_traitsIS12_E10value_typeET2_T3_PNS13_IS18_E10value_typeET4_jRbjT5_S1E_jjP12ihipStream_tbEUljE_ZNSN_ISO_Lb0ESQ_SR_ST_SU_SY_EESZ_S10_S11_S12_S16_S17_S18_S1B_S1C_jS1D_jS1E_S1E_jjS1G_bEUljE0_EEESZ_S10_S11_S18_S1C_S1E_T6_T7_T9_mT8_S1G_bDpT10_ENKUlT_T0_E_clISt17integral_constantIbLb0EES1T_IbLb1EEEEDaS1P_S1Q_EUlS1P_E_NS1_11comp_targetILNS1_3genE5ELNS1_11target_archE942ELNS1_3gpuE9ELNS1_3repE0EEENS1_30default_config_static_selectorELNS0_4arch9wavefront6targetE1EEEvS12_
	.p2align	8
	.type	_ZN7rocprim17ROCPRIM_400000_NS6detail17trampoline_kernelINS0_13select_configILj256ELj13ELNS0_17block_load_methodE3ELS4_3ELS4_3ELNS0_20block_scan_algorithmE0ELj4294967295EEENS1_25partition_config_selectorILNS1_17partition_subalgoE4EjNS0_10empty_typeEbEEZZNS1_14partition_implILS8_4ELb0ES6_15HIP_vector_typeIjLj2EENS0_17counting_iteratorIjlEEPS9_SG_NS0_5tupleIJPjSI_NS0_16reverse_iteratorISI_EEEEENSH_IJSG_SG_SG_EEES9_SI_JZNS1_25segmented_radix_sort_implINS0_14default_configELb0EPKsPsPKlPlN2at6native12_GLOBAL__N_18offset_tEEE10hipError_tPvRmT1_PNSt15iterator_traitsIS12_E10value_typeET2_T3_PNS13_IS18_E10value_typeET4_jRbjT5_S1E_jjP12ihipStream_tbEUljE_ZNSN_ISO_Lb0ESQ_SR_ST_SU_SY_EESZ_S10_S11_S12_S16_S17_S18_S1B_S1C_jS1D_jS1E_S1E_jjS1G_bEUljE0_EEESZ_S10_S11_S18_S1C_S1E_T6_T7_T9_mT8_S1G_bDpT10_ENKUlT_T0_E_clISt17integral_constantIbLb0EES1T_IbLb1EEEEDaS1P_S1Q_EUlS1P_E_NS1_11comp_targetILNS1_3genE5ELNS1_11target_archE942ELNS1_3gpuE9ELNS1_3repE0EEENS1_30default_config_static_selectorELNS0_4arch9wavefront6targetE1EEEvS12_,@function
_ZN7rocprim17ROCPRIM_400000_NS6detail17trampoline_kernelINS0_13select_configILj256ELj13ELNS0_17block_load_methodE3ELS4_3ELS4_3ELNS0_20block_scan_algorithmE0ELj4294967295EEENS1_25partition_config_selectorILNS1_17partition_subalgoE4EjNS0_10empty_typeEbEEZZNS1_14partition_implILS8_4ELb0ES6_15HIP_vector_typeIjLj2EENS0_17counting_iteratorIjlEEPS9_SG_NS0_5tupleIJPjSI_NS0_16reverse_iteratorISI_EEEEENSH_IJSG_SG_SG_EEES9_SI_JZNS1_25segmented_radix_sort_implINS0_14default_configELb0EPKsPsPKlPlN2at6native12_GLOBAL__N_18offset_tEEE10hipError_tPvRmT1_PNSt15iterator_traitsIS12_E10value_typeET2_T3_PNS13_IS18_E10value_typeET4_jRbjT5_S1E_jjP12ihipStream_tbEUljE_ZNSN_ISO_Lb0ESQ_SR_ST_SU_SY_EESZ_S10_S11_S12_S16_S17_S18_S1B_S1C_jS1D_jS1E_S1E_jjS1G_bEUljE0_EEESZ_S10_S11_S18_S1C_S1E_T6_T7_T9_mT8_S1G_bDpT10_ENKUlT_T0_E_clISt17integral_constantIbLb0EES1T_IbLb1EEEEDaS1P_S1Q_EUlS1P_E_NS1_11comp_targetILNS1_3genE5ELNS1_11target_archE942ELNS1_3gpuE9ELNS1_3repE0EEENS1_30default_config_static_selectorELNS0_4arch9wavefront6targetE1EEEvS12_: ; @_ZN7rocprim17ROCPRIM_400000_NS6detail17trampoline_kernelINS0_13select_configILj256ELj13ELNS0_17block_load_methodE3ELS4_3ELS4_3ELNS0_20block_scan_algorithmE0ELj4294967295EEENS1_25partition_config_selectorILNS1_17partition_subalgoE4EjNS0_10empty_typeEbEEZZNS1_14partition_implILS8_4ELb0ES6_15HIP_vector_typeIjLj2EENS0_17counting_iteratorIjlEEPS9_SG_NS0_5tupleIJPjSI_NS0_16reverse_iteratorISI_EEEEENSH_IJSG_SG_SG_EEES9_SI_JZNS1_25segmented_radix_sort_implINS0_14default_configELb0EPKsPsPKlPlN2at6native12_GLOBAL__N_18offset_tEEE10hipError_tPvRmT1_PNSt15iterator_traitsIS12_E10value_typeET2_T3_PNS13_IS18_E10value_typeET4_jRbjT5_S1E_jjP12ihipStream_tbEUljE_ZNSN_ISO_Lb0ESQ_SR_ST_SU_SY_EESZ_S10_S11_S12_S16_S17_S18_S1B_S1C_jS1D_jS1E_S1E_jjS1G_bEUljE0_EEESZ_S10_S11_S18_S1C_S1E_T6_T7_T9_mT8_S1G_bDpT10_ENKUlT_T0_E_clISt17integral_constantIbLb0EES1T_IbLb1EEEEDaS1P_S1Q_EUlS1P_E_NS1_11comp_targetILNS1_3genE5ELNS1_11target_archE942ELNS1_3gpuE9ELNS1_3repE0EEENS1_30default_config_static_selectorELNS0_4arch9wavefront6targetE1EEEvS12_
; %bb.0:
	.section	.rodata,"a",@progbits
	.p2align	6, 0x0
	.amdhsa_kernel _ZN7rocprim17ROCPRIM_400000_NS6detail17trampoline_kernelINS0_13select_configILj256ELj13ELNS0_17block_load_methodE3ELS4_3ELS4_3ELNS0_20block_scan_algorithmE0ELj4294967295EEENS1_25partition_config_selectorILNS1_17partition_subalgoE4EjNS0_10empty_typeEbEEZZNS1_14partition_implILS8_4ELb0ES6_15HIP_vector_typeIjLj2EENS0_17counting_iteratorIjlEEPS9_SG_NS0_5tupleIJPjSI_NS0_16reverse_iteratorISI_EEEEENSH_IJSG_SG_SG_EEES9_SI_JZNS1_25segmented_radix_sort_implINS0_14default_configELb0EPKsPsPKlPlN2at6native12_GLOBAL__N_18offset_tEEE10hipError_tPvRmT1_PNSt15iterator_traitsIS12_E10value_typeET2_T3_PNS13_IS18_E10value_typeET4_jRbjT5_S1E_jjP12ihipStream_tbEUljE_ZNSN_ISO_Lb0ESQ_SR_ST_SU_SY_EESZ_S10_S11_S12_S16_S17_S18_S1B_S1C_jS1D_jS1E_S1E_jjS1G_bEUljE0_EEESZ_S10_S11_S18_S1C_S1E_T6_T7_T9_mT8_S1G_bDpT10_ENKUlT_T0_E_clISt17integral_constantIbLb0EES1T_IbLb1EEEEDaS1P_S1Q_EUlS1P_E_NS1_11comp_targetILNS1_3genE5ELNS1_11target_archE942ELNS1_3gpuE9ELNS1_3repE0EEENS1_30default_config_static_selectorELNS0_4arch9wavefront6targetE1EEEvS12_
		.amdhsa_group_segment_fixed_size 0
		.amdhsa_private_segment_fixed_size 0
		.amdhsa_kernarg_size 184
		.amdhsa_user_sgpr_count 6
		.amdhsa_user_sgpr_private_segment_buffer 1
		.amdhsa_user_sgpr_dispatch_ptr 0
		.amdhsa_user_sgpr_queue_ptr 0
		.amdhsa_user_sgpr_kernarg_segment_ptr 1
		.amdhsa_user_sgpr_dispatch_id 0
		.amdhsa_user_sgpr_flat_scratch_init 0
		.amdhsa_user_sgpr_kernarg_preload_length 0
		.amdhsa_user_sgpr_kernarg_preload_offset 0
		.amdhsa_user_sgpr_private_segment_size 0
		.amdhsa_uses_dynamic_stack 0
		.amdhsa_system_sgpr_private_segment_wavefront_offset 0
		.amdhsa_system_sgpr_workgroup_id_x 1
		.amdhsa_system_sgpr_workgroup_id_y 0
		.amdhsa_system_sgpr_workgroup_id_z 0
		.amdhsa_system_sgpr_workgroup_info 0
		.amdhsa_system_vgpr_workitem_id 0
		.amdhsa_next_free_vgpr 1
		.amdhsa_next_free_sgpr 0
		.amdhsa_accum_offset 4
		.amdhsa_reserve_vcc 0
		.amdhsa_reserve_flat_scratch 0
		.amdhsa_float_round_mode_32 0
		.amdhsa_float_round_mode_16_64 0
		.amdhsa_float_denorm_mode_32 3
		.amdhsa_float_denorm_mode_16_64 3
		.amdhsa_dx10_clamp 1
		.amdhsa_ieee_mode 1
		.amdhsa_fp16_overflow 0
		.amdhsa_tg_split 0
		.amdhsa_exception_fp_ieee_invalid_op 0
		.amdhsa_exception_fp_denorm_src 0
		.amdhsa_exception_fp_ieee_div_zero 0
		.amdhsa_exception_fp_ieee_overflow 0
		.amdhsa_exception_fp_ieee_underflow 0
		.amdhsa_exception_fp_ieee_inexact 0
		.amdhsa_exception_int_div_zero 0
	.end_amdhsa_kernel
	.section	.text._ZN7rocprim17ROCPRIM_400000_NS6detail17trampoline_kernelINS0_13select_configILj256ELj13ELNS0_17block_load_methodE3ELS4_3ELS4_3ELNS0_20block_scan_algorithmE0ELj4294967295EEENS1_25partition_config_selectorILNS1_17partition_subalgoE4EjNS0_10empty_typeEbEEZZNS1_14partition_implILS8_4ELb0ES6_15HIP_vector_typeIjLj2EENS0_17counting_iteratorIjlEEPS9_SG_NS0_5tupleIJPjSI_NS0_16reverse_iteratorISI_EEEEENSH_IJSG_SG_SG_EEES9_SI_JZNS1_25segmented_radix_sort_implINS0_14default_configELb0EPKsPsPKlPlN2at6native12_GLOBAL__N_18offset_tEEE10hipError_tPvRmT1_PNSt15iterator_traitsIS12_E10value_typeET2_T3_PNS13_IS18_E10value_typeET4_jRbjT5_S1E_jjP12ihipStream_tbEUljE_ZNSN_ISO_Lb0ESQ_SR_ST_SU_SY_EESZ_S10_S11_S12_S16_S17_S18_S1B_S1C_jS1D_jS1E_S1E_jjS1G_bEUljE0_EEESZ_S10_S11_S18_S1C_S1E_T6_T7_T9_mT8_S1G_bDpT10_ENKUlT_T0_E_clISt17integral_constantIbLb0EES1T_IbLb1EEEEDaS1P_S1Q_EUlS1P_E_NS1_11comp_targetILNS1_3genE5ELNS1_11target_archE942ELNS1_3gpuE9ELNS1_3repE0EEENS1_30default_config_static_selectorELNS0_4arch9wavefront6targetE1EEEvS12_,"axG",@progbits,_ZN7rocprim17ROCPRIM_400000_NS6detail17trampoline_kernelINS0_13select_configILj256ELj13ELNS0_17block_load_methodE3ELS4_3ELS4_3ELNS0_20block_scan_algorithmE0ELj4294967295EEENS1_25partition_config_selectorILNS1_17partition_subalgoE4EjNS0_10empty_typeEbEEZZNS1_14partition_implILS8_4ELb0ES6_15HIP_vector_typeIjLj2EENS0_17counting_iteratorIjlEEPS9_SG_NS0_5tupleIJPjSI_NS0_16reverse_iteratorISI_EEEEENSH_IJSG_SG_SG_EEES9_SI_JZNS1_25segmented_radix_sort_implINS0_14default_configELb0EPKsPsPKlPlN2at6native12_GLOBAL__N_18offset_tEEE10hipError_tPvRmT1_PNSt15iterator_traitsIS12_E10value_typeET2_T3_PNS13_IS18_E10value_typeET4_jRbjT5_S1E_jjP12ihipStream_tbEUljE_ZNSN_ISO_Lb0ESQ_SR_ST_SU_SY_EESZ_S10_S11_S12_S16_S17_S18_S1B_S1C_jS1D_jS1E_S1E_jjS1G_bEUljE0_EEESZ_S10_S11_S18_S1C_S1E_T6_T7_T9_mT8_S1G_bDpT10_ENKUlT_T0_E_clISt17integral_constantIbLb0EES1T_IbLb1EEEEDaS1P_S1Q_EUlS1P_E_NS1_11comp_targetILNS1_3genE5ELNS1_11target_archE942ELNS1_3gpuE9ELNS1_3repE0EEENS1_30default_config_static_selectorELNS0_4arch9wavefront6targetE1EEEvS12_,comdat
.Lfunc_end974:
	.size	_ZN7rocprim17ROCPRIM_400000_NS6detail17trampoline_kernelINS0_13select_configILj256ELj13ELNS0_17block_load_methodE3ELS4_3ELS4_3ELNS0_20block_scan_algorithmE0ELj4294967295EEENS1_25partition_config_selectorILNS1_17partition_subalgoE4EjNS0_10empty_typeEbEEZZNS1_14partition_implILS8_4ELb0ES6_15HIP_vector_typeIjLj2EENS0_17counting_iteratorIjlEEPS9_SG_NS0_5tupleIJPjSI_NS0_16reverse_iteratorISI_EEEEENSH_IJSG_SG_SG_EEES9_SI_JZNS1_25segmented_radix_sort_implINS0_14default_configELb0EPKsPsPKlPlN2at6native12_GLOBAL__N_18offset_tEEE10hipError_tPvRmT1_PNSt15iterator_traitsIS12_E10value_typeET2_T3_PNS13_IS18_E10value_typeET4_jRbjT5_S1E_jjP12ihipStream_tbEUljE_ZNSN_ISO_Lb0ESQ_SR_ST_SU_SY_EESZ_S10_S11_S12_S16_S17_S18_S1B_S1C_jS1D_jS1E_S1E_jjS1G_bEUljE0_EEESZ_S10_S11_S18_S1C_S1E_T6_T7_T9_mT8_S1G_bDpT10_ENKUlT_T0_E_clISt17integral_constantIbLb0EES1T_IbLb1EEEEDaS1P_S1Q_EUlS1P_E_NS1_11comp_targetILNS1_3genE5ELNS1_11target_archE942ELNS1_3gpuE9ELNS1_3repE0EEENS1_30default_config_static_selectorELNS0_4arch9wavefront6targetE1EEEvS12_, .Lfunc_end974-_ZN7rocprim17ROCPRIM_400000_NS6detail17trampoline_kernelINS0_13select_configILj256ELj13ELNS0_17block_load_methodE3ELS4_3ELS4_3ELNS0_20block_scan_algorithmE0ELj4294967295EEENS1_25partition_config_selectorILNS1_17partition_subalgoE4EjNS0_10empty_typeEbEEZZNS1_14partition_implILS8_4ELb0ES6_15HIP_vector_typeIjLj2EENS0_17counting_iteratorIjlEEPS9_SG_NS0_5tupleIJPjSI_NS0_16reverse_iteratorISI_EEEEENSH_IJSG_SG_SG_EEES9_SI_JZNS1_25segmented_radix_sort_implINS0_14default_configELb0EPKsPsPKlPlN2at6native12_GLOBAL__N_18offset_tEEE10hipError_tPvRmT1_PNSt15iterator_traitsIS12_E10value_typeET2_T3_PNS13_IS18_E10value_typeET4_jRbjT5_S1E_jjP12ihipStream_tbEUljE_ZNSN_ISO_Lb0ESQ_SR_ST_SU_SY_EESZ_S10_S11_S12_S16_S17_S18_S1B_S1C_jS1D_jS1E_S1E_jjS1G_bEUljE0_EEESZ_S10_S11_S18_S1C_S1E_T6_T7_T9_mT8_S1G_bDpT10_ENKUlT_T0_E_clISt17integral_constantIbLb0EES1T_IbLb1EEEEDaS1P_S1Q_EUlS1P_E_NS1_11comp_targetILNS1_3genE5ELNS1_11target_archE942ELNS1_3gpuE9ELNS1_3repE0EEENS1_30default_config_static_selectorELNS0_4arch9wavefront6targetE1EEEvS12_
                                        ; -- End function
	.section	.AMDGPU.csdata,"",@progbits
; Kernel info:
; codeLenInByte = 0
; NumSgprs: 4
; NumVgprs: 0
; NumAgprs: 0
; TotalNumVgprs: 0
; ScratchSize: 0
; MemoryBound: 0
; FloatMode: 240
; IeeeMode: 1
; LDSByteSize: 0 bytes/workgroup (compile time only)
; SGPRBlocks: 0
; VGPRBlocks: 0
; NumSGPRsForWavesPerEU: 4
; NumVGPRsForWavesPerEU: 1
; AccumOffset: 4
; Occupancy: 8
; WaveLimiterHint : 0
; COMPUTE_PGM_RSRC2:SCRATCH_EN: 0
; COMPUTE_PGM_RSRC2:USER_SGPR: 6
; COMPUTE_PGM_RSRC2:TRAP_HANDLER: 0
; COMPUTE_PGM_RSRC2:TGID_X_EN: 1
; COMPUTE_PGM_RSRC2:TGID_Y_EN: 0
; COMPUTE_PGM_RSRC2:TGID_Z_EN: 0
; COMPUTE_PGM_RSRC2:TIDIG_COMP_CNT: 0
; COMPUTE_PGM_RSRC3_GFX90A:ACCUM_OFFSET: 0
; COMPUTE_PGM_RSRC3_GFX90A:TG_SPLIT: 0
	.section	.text._ZN7rocprim17ROCPRIM_400000_NS6detail17trampoline_kernelINS0_13select_configILj256ELj13ELNS0_17block_load_methodE3ELS4_3ELS4_3ELNS0_20block_scan_algorithmE0ELj4294967295EEENS1_25partition_config_selectorILNS1_17partition_subalgoE4EjNS0_10empty_typeEbEEZZNS1_14partition_implILS8_4ELb0ES6_15HIP_vector_typeIjLj2EENS0_17counting_iteratorIjlEEPS9_SG_NS0_5tupleIJPjSI_NS0_16reverse_iteratorISI_EEEEENSH_IJSG_SG_SG_EEES9_SI_JZNS1_25segmented_radix_sort_implINS0_14default_configELb0EPKsPsPKlPlN2at6native12_GLOBAL__N_18offset_tEEE10hipError_tPvRmT1_PNSt15iterator_traitsIS12_E10value_typeET2_T3_PNS13_IS18_E10value_typeET4_jRbjT5_S1E_jjP12ihipStream_tbEUljE_ZNSN_ISO_Lb0ESQ_SR_ST_SU_SY_EESZ_S10_S11_S12_S16_S17_S18_S1B_S1C_jS1D_jS1E_S1E_jjS1G_bEUljE0_EEESZ_S10_S11_S18_S1C_S1E_T6_T7_T9_mT8_S1G_bDpT10_ENKUlT_T0_E_clISt17integral_constantIbLb0EES1T_IbLb1EEEEDaS1P_S1Q_EUlS1P_E_NS1_11comp_targetILNS1_3genE4ELNS1_11target_archE910ELNS1_3gpuE8ELNS1_3repE0EEENS1_30default_config_static_selectorELNS0_4arch9wavefront6targetE1EEEvS12_,"axG",@progbits,_ZN7rocprim17ROCPRIM_400000_NS6detail17trampoline_kernelINS0_13select_configILj256ELj13ELNS0_17block_load_methodE3ELS4_3ELS4_3ELNS0_20block_scan_algorithmE0ELj4294967295EEENS1_25partition_config_selectorILNS1_17partition_subalgoE4EjNS0_10empty_typeEbEEZZNS1_14partition_implILS8_4ELb0ES6_15HIP_vector_typeIjLj2EENS0_17counting_iteratorIjlEEPS9_SG_NS0_5tupleIJPjSI_NS0_16reverse_iteratorISI_EEEEENSH_IJSG_SG_SG_EEES9_SI_JZNS1_25segmented_radix_sort_implINS0_14default_configELb0EPKsPsPKlPlN2at6native12_GLOBAL__N_18offset_tEEE10hipError_tPvRmT1_PNSt15iterator_traitsIS12_E10value_typeET2_T3_PNS13_IS18_E10value_typeET4_jRbjT5_S1E_jjP12ihipStream_tbEUljE_ZNSN_ISO_Lb0ESQ_SR_ST_SU_SY_EESZ_S10_S11_S12_S16_S17_S18_S1B_S1C_jS1D_jS1E_S1E_jjS1G_bEUljE0_EEESZ_S10_S11_S18_S1C_S1E_T6_T7_T9_mT8_S1G_bDpT10_ENKUlT_T0_E_clISt17integral_constantIbLb0EES1T_IbLb1EEEEDaS1P_S1Q_EUlS1P_E_NS1_11comp_targetILNS1_3genE4ELNS1_11target_archE910ELNS1_3gpuE8ELNS1_3repE0EEENS1_30default_config_static_selectorELNS0_4arch9wavefront6targetE1EEEvS12_,comdat
	.globl	_ZN7rocprim17ROCPRIM_400000_NS6detail17trampoline_kernelINS0_13select_configILj256ELj13ELNS0_17block_load_methodE3ELS4_3ELS4_3ELNS0_20block_scan_algorithmE0ELj4294967295EEENS1_25partition_config_selectorILNS1_17partition_subalgoE4EjNS0_10empty_typeEbEEZZNS1_14partition_implILS8_4ELb0ES6_15HIP_vector_typeIjLj2EENS0_17counting_iteratorIjlEEPS9_SG_NS0_5tupleIJPjSI_NS0_16reverse_iteratorISI_EEEEENSH_IJSG_SG_SG_EEES9_SI_JZNS1_25segmented_radix_sort_implINS0_14default_configELb0EPKsPsPKlPlN2at6native12_GLOBAL__N_18offset_tEEE10hipError_tPvRmT1_PNSt15iterator_traitsIS12_E10value_typeET2_T3_PNS13_IS18_E10value_typeET4_jRbjT5_S1E_jjP12ihipStream_tbEUljE_ZNSN_ISO_Lb0ESQ_SR_ST_SU_SY_EESZ_S10_S11_S12_S16_S17_S18_S1B_S1C_jS1D_jS1E_S1E_jjS1G_bEUljE0_EEESZ_S10_S11_S18_S1C_S1E_T6_T7_T9_mT8_S1G_bDpT10_ENKUlT_T0_E_clISt17integral_constantIbLb0EES1T_IbLb1EEEEDaS1P_S1Q_EUlS1P_E_NS1_11comp_targetILNS1_3genE4ELNS1_11target_archE910ELNS1_3gpuE8ELNS1_3repE0EEENS1_30default_config_static_selectorELNS0_4arch9wavefront6targetE1EEEvS12_ ; -- Begin function _ZN7rocprim17ROCPRIM_400000_NS6detail17trampoline_kernelINS0_13select_configILj256ELj13ELNS0_17block_load_methodE3ELS4_3ELS4_3ELNS0_20block_scan_algorithmE0ELj4294967295EEENS1_25partition_config_selectorILNS1_17partition_subalgoE4EjNS0_10empty_typeEbEEZZNS1_14partition_implILS8_4ELb0ES6_15HIP_vector_typeIjLj2EENS0_17counting_iteratorIjlEEPS9_SG_NS0_5tupleIJPjSI_NS0_16reverse_iteratorISI_EEEEENSH_IJSG_SG_SG_EEES9_SI_JZNS1_25segmented_radix_sort_implINS0_14default_configELb0EPKsPsPKlPlN2at6native12_GLOBAL__N_18offset_tEEE10hipError_tPvRmT1_PNSt15iterator_traitsIS12_E10value_typeET2_T3_PNS13_IS18_E10value_typeET4_jRbjT5_S1E_jjP12ihipStream_tbEUljE_ZNSN_ISO_Lb0ESQ_SR_ST_SU_SY_EESZ_S10_S11_S12_S16_S17_S18_S1B_S1C_jS1D_jS1E_S1E_jjS1G_bEUljE0_EEESZ_S10_S11_S18_S1C_S1E_T6_T7_T9_mT8_S1G_bDpT10_ENKUlT_T0_E_clISt17integral_constantIbLb0EES1T_IbLb1EEEEDaS1P_S1Q_EUlS1P_E_NS1_11comp_targetILNS1_3genE4ELNS1_11target_archE910ELNS1_3gpuE8ELNS1_3repE0EEENS1_30default_config_static_selectorELNS0_4arch9wavefront6targetE1EEEvS12_
	.p2align	8
	.type	_ZN7rocprim17ROCPRIM_400000_NS6detail17trampoline_kernelINS0_13select_configILj256ELj13ELNS0_17block_load_methodE3ELS4_3ELS4_3ELNS0_20block_scan_algorithmE0ELj4294967295EEENS1_25partition_config_selectorILNS1_17partition_subalgoE4EjNS0_10empty_typeEbEEZZNS1_14partition_implILS8_4ELb0ES6_15HIP_vector_typeIjLj2EENS0_17counting_iteratorIjlEEPS9_SG_NS0_5tupleIJPjSI_NS0_16reverse_iteratorISI_EEEEENSH_IJSG_SG_SG_EEES9_SI_JZNS1_25segmented_radix_sort_implINS0_14default_configELb0EPKsPsPKlPlN2at6native12_GLOBAL__N_18offset_tEEE10hipError_tPvRmT1_PNSt15iterator_traitsIS12_E10value_typeET2_T3_PNS13_IS18_E10value_typeET4_jRbjT5_S1E_jjP12ihipStream_tbEUljE_ZNSN_ISO_Lb0ESQ_SR_ST_SU_SY_EESZ_S10_S11_S12_S16_S17_S18_S1B_S1C_jS1D_jS1E_S1E_jjS1G_bEUljE0_EEESZ_S10_S11_S18_S1C_S1E_T6_T7_T9_mT8_S1G_bDpT10_ENKUlT_T0_E_clISt17integral_constantIbLb0EES1T_IbLb1EEEEDaS1P_S1Q_EUlS1P_E_NS1_11comp_targetILNS1_3genE4ELNS1_11target_archE910ELNS1_3gpuE8ELNS1_3repE0EEENS1_30default_config_static_selectorELNS0_4arch9wavefront6targetE1EEEvS12_,@function
_ZN7rocprim17ROCPRIM_400000_NS6detail17trampoline_kernelINS0_13select_configILj256ELj13ELNS0_17block_load_methodE3ELS4_3ELS4_3ELNS0_20block_scan_algorithmE0ELj4294967295EEENS1_25partition_config_selectorILNS1_17partition_subalgoE4EjNS0_10empty_typeEbEEZZNS1_14partition_implILS8_4ELb0ES6_15HIP_vector_typeIjLj2EENS0_17counting_iteratorIjlEEPS9_SG_NS0_5tupleIJPjSI_NS0_16reverse_iteratorISI_EEEEENSH_IJSG_SG_SG_EEES9_SI_JZNS1_25segmented_radix_sort_implINS0_14default_configELb0EPKsPsPKlPlN2at6native12_GLOBAL__N_18offset_tEEE10hipError_tPvRmT1_PNSt15iterator_traitsIS12_E10value_typeET2_T3_PNS13_IS18_E10value_typeET4_jRbjT5_S1E_jjP12ihipStream_tbEUljE_ZNSN_ISO_Lb0ESQ_SR_ST_SU_SY_EESZ_S10_S11_S12_S16_S17_S18_S1B_S1C_jS1D_jS1E_S1E_jjS1G_bEUljE0_EEESZ_S10_S11_S18_S1C_S1E_T6_T7_T9_mT8_S1G_bDpT10_ENKUlT_T0_E_clISt17integral_constantIbLb0EES1T_IbLb1EEEEDaS1P_S1Q_EUlS1P_E_NS1_11comp_targetILNS1_3genE4ELNS1_11target_archE910ELNS1_3gpuE8ELNS1_3repE0EEENS1_30default_config_static_selectorELNS0_4arch9wavefront6targetE1EEEvS12_: ; @_ZN7rocprim17ROCPRIM_400000_NS6detail17trampoline_kernelINS0_13select_configILj256ELj13ELNS0_17block_load_methodE3ELS4_3ELS4_3ELNS0_20block_scan_algorithmE0ELj4294967295EEENS1_25partition_config_selectorILNS1_17partition_subalgoE4EjNS0_10empty_typeEbEEZZNS1_14partition_implILS8_4ELb0ES6_15HIP_vector_typeIjLj2EENS0_17counting_iteratorIjlEEPS9_SG_NS0_5tupleIJPjSI_NS0_16reverse_iteratorISI_EEEEENSH_IJSG_SG_SG_EEES9_SI_JZNS1_25segmented_radix_sort_implINS0_14default_configELb0EPKsPsPKlPlN2at6native12_GLOBAL__N_18offset_tEEE10hipError_tPvRmT1_PNSt15iterator_traitsIS12_E10value_typeET2_T3_PNS13_IS18_E10value_typeET4_jRbjT5_S1E_jjP12ihipStream_tbEUljE_ZNSN_ISO_Lb0ESQ_SR_ST_SU_SY_EESZ_S10_S11_S12_S16_S17_S18_S1B_S1C_jS1D_jS1E_S1E_jjS1G_bEUljE0_EEESZ_S10_S11_S18_S1C_S1E_T6_T7_T9_mT8_S1G_bDpT10_ENKUlT_T0_E_clISt17integral_constantIbLb0EES1T_IbLb1EEEEDaS1P_S1Q_EUlS1P_E_NS1_11comp_targetILNS1_3genE4ELNS1_11target_archE910ELNS1_3gpuE8ELNS1_3repE0EEENS1_30default_config_static_selectorELNS0_4arch9wavefront6targetE1EEEvS12_
; %bb.0:
	s_load_dwordx2 s[48:49], s[4:5], 0x10
	s_load_dwordx4 s[44:47], s[4:5], 0x28
	s_load_dwordx2 s[34:35], s[4:5], 0x38
	s_load_dwordx4 s[28:31], s[4:5], 0x58
	s_load_dwordx2 s[2:3], s[4:5], 0x68
	s_load_dwordx2 s[50:51], s[4:5], 0x78
	;; [unrolled: 1-line block ×3, first 2 shown]
	s_load_dwordx8 s[36:43], s[4:5], 0x90
	v_cmp_eq_u32_e64 s[0:1], 0, v0
	s_and_saveexec_b64 s[6:7], s[0:1]
	s_cbranch_execz .LBB975_4
; %bb.1:
	s_mov_b64 s[10:11], exec
	v_mbcnt_lo_u32_b32 v1, s10, 0
	v_mbcnt_hi_u32_b32 v1, s11, v1
	v_cmp_eq_u32_e32 vcc, 0, v1
                                        ; implicit-def: $vgpr2
	s_and_saveexec_b64 s[8:9], vcc
	s_cbranch_execz .LBB975_3
; %bb.2:
	s_load_dwordx2 s[12:13], s[4:5], 0x88
	s_bcnt1_i32_b64 s10, s[10:11]
	v_mov_b32_e32 v2, 0
	v_mov_b32_e32 v3, s10
	s_waitcnt lgkmcnt(0)
	global_atomic_add v2, v2, v3, s[12:13] glc
.LBB975_3:
	s_or_b64 exec, exec, s[8:9]
	s_waitcnt vmcnt(0)
	v_readfirstlane_b32 s8, v2
	v_add_u32_e32 v1, s8, v1
	v_mov_b32_e32 v2, 0
	ds_write_b32 v2, v1
.LBB975_4:
	s_or_b64 exec, exec, s[6:7]
	v_mov_b32_e32 v1, 0
	s_load_dword s7, s[4:5], 0x8
	s_load_dword s6, s[4:5], 0x80
	s_waitcnt lgkmcnt(0)
	s_barrier
	ds_read_b32 v8, v1
	s_waitcnt lgkmcnt(0)
	s_barrier
	global_load_dwordx4 v[2:5], v1, s[30:31]
	v_mov_b32_e32 v7, s3
	s_movk_i32 s3, 0xd00
	s_add_i32 s8, s7, s48
	v_mul_lo_u32 v34, v8, s3
	s_add_i32 s7, s6, -1
	s_mul_i32 s3, s6, 0xd00
	s_add_u32 s4, s48, s3
	v_readfirstlane_b32 s33, v8
	s_addc_u32 s5, s49, 0
	s_cmp_eq_u32 s33, s7
	v_mov_b32_e32 v6, s2
	s_cselect_b64 s[30:31], -1, 0
	s_cmp_lg_u32 s33, s7
	v_cmp_lt_u64_e32 vcc, s[4:5], v[6:7]
	s_cselect_b64 s[4:5], -1, 0
	s_or_b64 s[4:5], vcc, s[4:5]
	v_add_u32_e32 v1, s8, v34
	s_mov_b64 s[6:7], -1
	s_and_b64 vcc, exec, s[4:5]
	v_add_u32_e32 v1, v1, v0
	s_cbranch_vccz .LBB975_6
; %bb.5:
	v_add_u32_e32 v6, 0x100, v1
	v_lshlrev_b32_e32 v18, 2, v0
	v_add_u32_e32 v7, 0x200, v1
	v_add_u32_e32 v8, 0x300, v1
	;; [unrolled: 1-line block ×11, first 2 shown]
	ds_write2st64_b32 v18, v1, v6 offset1:4
	ds_write2st64_b32 v18, v7, v8 offset0:8 offset1:12
	ds_write2st64_b32 v18, v9, v10 offset0:16 offset1:20
	;; [unrolled: 1-line block ×5, first 2 shown]
	ds_write_b32 v18, v17 offset:12288
	s_waitcnt lgkmcnt(0)
	s_barrier
	s_mov_b64 s[6:7], 0
.LBB975_6:
	s_andn2_b64 vcc, exec, s[6:7]
	s_add_i32 s3, s3, s48
	s_cbranch_vccnz .LBB975_8
; %bb.7:
	v_add_u32_e32 v6, 0x100, v1
	v_lshlrev_b32_e32 v18, 2, v0
	v_add_u32_e32 v7, 0x200, v1
	v_add_u32_e32 v8, 0x300, v1
	v_add_u32_e32 v9, 0x400, v1
	v_add_u32_e32 v10, 0x500, v1
	v_add_u32_e32 v11, 0x600, v1
	v_add_u32_e32 v12, 0x700, v1
	v_add_u32_e32 v13, 0x800, v1
	v_add_u32_e32 v14, 0x900, v1
	v_add_u32_e32 v15, 0xa00, v1
	v_add_u32_e32 v16, 0xb00, v1
	v_add_u32_e32 v17, 0xc00, v1
	ds_write2st64_b32 v18, v1, v6 offset1:4
	ds_write2st64_b32 v18, v7, v8 offset0:8 offset1:12
	ds_write2st64_b32 v18, v9, v10 offset0:16 offset1:20
	;; [unrolled: 1-line block ×5, first 2 shown]
	ds_write_b32 v18, v17 offset:12288
	s_waitcnt lgkmcnt(0)
	s_barrier
.LBB975_8:
	v_mul_u32_u24_e32 v36, 13, v0
	v_lshlrev_b32_e32 v1, 2, v36
	ds_read2_b32 v[22:23], v1 offset1:1
	ds_read2_b32 v[20:21], v1 offset0:2 offset1:3
	ds_read2_b32 v[18:19], v1 offset0:4 offset1:5
	;; [unrolled: 1-line block ×5, first 2 shown]
	ds_read_b32 v35, v1 offset:48
	v_cndmask_b32_e64 v1, 0, 1, s[4:5]
	s_sub_i32 s86, s2, s3
	v_cmp_ne_u32_e64 s[2:3], 1, v1
	s_andn2_b64 vcc, exec, s[4:5]
	s_waitcnt lgkmcnt(0)
	s_barrier
	s_cbranch_vccnz .LBB975_36
; %bb.9:
	v_add_u32_e32 v1, s37, v22
	v_add_u32_e32 v6, s39, v22
	v_mul_lo_u32 v1, v1, s36
	v_mul_lo_u32 v6, v6, s38
	v_sub_u32_e32 v1, v1, v6
	v_cmp_lt_u32_e32 vcc, s40, v1
	v_cmp_ge_u32_e64 s[4:5], s40, v1
	s_mov_b64 s[60:61], 0
	s_mov_b64 s[58:59], 0
	s_and_saveexec_b64 s[6:7], s[4:5]
; %bb.10:
	v_add_u32_e32 v1, s42, v22
	v_add_u32_e32 v6, s56, v22
	v_mul_lo_u32 v1, v1, s41
	v_mul_lo_u32 v6, v6, s43
	v_sub_u32_e32 v1, v1, v6
	v_cmp_lt_u32_e64 s[4:5], s57, v1
	s_and_b64 s[58:59], s[4:5], exec
; %bb.11:
	s_or_b64 exec, exec, s[6:7]
	v_add_u32_e32 v1, s37, v23
	v_add_u32_e32 v6, s39, v23
	v_mul_lo_u32 v1, v1, s36
	v_mul_lo_u32 v6, v6, s38
	v_sub_u32_e32 v1, v1, v6
	v_cmp_lt_u32_e64 s[4:5], s40, v1
	v_cmp_ge_u32_e64 s[6:7], s40, v1
	s_and_saveexec_b64 s[8:9], s[6:7]
; %bb.12:
	v_add_u32_e32 v1, s42, v23
	v_add_u32_e32 v6, s56, v23
	v_mul_lo_u32 v1, v1, s41
	v_mul_lo_u32 v6, v6, s43
	v_sub_u32_e32 v1, v1, v6
	v_cmp_lt_u32_e64 s[6:7], s57, v1
	s_and_b64 s[60:61], s[6:7], exec
; %bb.13:
	s_or_b64 exec, exec, s[8:9]
	v_add_u32_e32 v1, s37, v20
	v_add_u32_e32 v6, s39, v20
	v_mul_lo_u32 v1, v1, s36
	v_mul_lo_u32 v6, v6, s38
	v_sub_u32_e32 v1, v1, v6
	v_cmp_lt_u32_e64 s[6:7], s40, v1
	v_cmp_ge_u32_e64 s[8:9], s40, v1
	s_mov_b64 s[64:65], 0
	s_mov_b64 s[62:63], 0
	s_and_saveexec_b64 s[10:11], s[8:9]
; %bb.14:
	v_add_u32_e32 v1, s42, v20
	v_add_u32_e32 v6, s56, v20
	v_mul_lo_u32 v1, v1, s41
	v_mul_lo_u32 v6, v6, s43
	v_sub_u32_e32 v1, v1, v6
	v_cmp_lt_u32_e64 s[8:9], s57, v1
	s_and_b64 s[62:63], s[8:9], exec
; %bb.15:
	s_or_b64 exec, exec, s[10:11]
	v_add_u32_e32 v1, s37, v21
	v_add_u32_e32 v6, s39, v21
	v_mul_lo_u32 v1, v1, s36
	v_mul_lo_u32 v6, v6, s38
	v_sub_u32_e32 v1, v1, v6
	v_cmp_lt_u32_e64 s[8:9], s40, v1
	v_cmp_ge_u32_e64 s[10:11], s40, v1
	s_and_saveexec_b64 s[12:13], s[10:11]
; %bb.16:
	v_add_u32_e32 v1, s42, v21
	v_add_u32_e32 v6, s56, v21
	v_mul_lo_u32 v1, v1, s41
	v_mul_lo_u32 v6, v6, s43
	v_sub_u32_e32 v1, v1, v6
	v_cmp_lt_u32_e64 s[10:11], s57, v1
	s_and_b64 s[64:65], s[10:11], exec
; %bb.17:
	s_or_b64 exec, exec, s[12:13]
	v_add_u32_e32 v1, s37, v18
	v_add_u32_e32 v6, s39, v18
	v_mul_lo_u32 v1, v1, s36
	v_mul_lo_u32 v6, v6, s38
	v_sub_u32_e32 v1, v1, v6
	v_cmp_lt_u32_e64 s[10:11], s40, v1
	;; [unrolled: 38-line block ×5, first 2 shown]
	v_cmp_ge_u32_e64 s[24:25], s40, v1
	s_mov_b64 s[80:81], 0
	s_mov_b64 s[82:83], 0
	s_and_saveexec_b64 s[26:27], s[24:25]
; %bb.30:
	v_add_u32_e32 v1, s42, v12
	v_add_u32_e32 v6, s56, v12
	v_mul_lo_u32 v1, v1, s41
	v_mul_lo_u32 v6, v6, s43
	v_sub_u32_e32 v1, v1, v6
	v_cmp_lt_u32_e64 s[24:25], s57, v1
	s_and_b64 s[82:83], s[24:25], exec
; %bb.31:
	s_or_b64 exec, exec, s[26:27]
	v_add_u32_e32 v1, s37, v13
	v_add_u32_e32 v6, s39, v13
	v_mul_lo_u32 v1, v1, s36
	v_mul_lo_u32 v6, v6, s38
	v_sub_u32_e32 v1, v1, v6
	v_cmp_lt_u32_e64 s[24:25], s40, v1
	v_cmp_ge_u32_e64 s[26:27], s40, v1
	s_and_saveexec_b64 s[52:53], s[26:27]
; %bb.32:
	v_add_u32_e32 v1, s42, v13
	v_add_u32_e32 v6, s56, v13
	v_mul_lo_u32 v1, v1, s41
	v_mul_lo_u32 v6, v6, s43
	v_sub_u32_e32 v1, v1, v6
	v_cmp_lt_u32_e64 s[26:27], s57, v1
	s_and_b64 s[80:81], s[26:27], exec
; %bb.33:
	s_or_b64 exec, exec, s[52:53]
	v_add_u32_e32 v1, s37, v35
	v_add_u32_e32 v6, s39, v35
	v_mul_lo_u32 v1, v1, s36
	v_mul_lo_u32 v6, v6, s38
	v_sub_u32_e32 v1, v1, v6
	v_cmp_ge_u32_e64 s[26:27], s40, v1
	s_mov_b64 s[52:53], -1
	s_mov_b64 s[74:75], 0
	s_mov_b64 s[54:55], 0
	s_and_saveexec_b64 s[84:85], s[26:27]
; %bb.34:
	v_add_u32_e32 v1, s42, v35
	v_add_u32_e32 v6, s56, v35
	v_mul_lo_u32 v1, v1, s41
	v_mul_lo_u32 v6, v6, s43
	v_sub_u32_e32 v1, v1, v6
	v_cmp_lt_u32_e64 s[26:27], s57, v1
	s_and_b64 s[54:55], s[26:27], exec
	s_xor_b64 s[52:53], exec, -1
; %bb.35:
	s_or_b64 exec, exec, s[84:85]
	v_cndmask_b32_e64 v57, 0, 1, s[82:83]
	v_cndmask_b32_e64 v60, 0, 1, s[24:25]
	v_cndmask_b32_e64 v55, 0, 1, s[78:79]
	v_cndmask_b32_e64 v58, 0, 1, s[22:23]
	v_cndmask_b32_e64 v53, 0, 1, s[76:77]
	v_cndmask_b32_e64 v56, 0, 1, s[20:21]
	v_cndmask_b32_e64 v51, 0, 1, s[72:73]
	v_cndmask_b32_e64 v54, 0, 1, s[18:19]
	v_cndmask_b32_e64 v49, 0, 1, s[70:71]
	v_cndmask_b32_e64 v52, 0, 1, s[16:17]
	v_cndmask_b32_e64 v47, 0, 1, s[68:69]
	v_cndmask_b32_e64 v50, 0, 1, s[14:15]
	v_cndmask_b32_e64 v45, 0, 1, s[66:67]
	v_cndmask_b32_e64 v48, 0, 1, s[12:13]
	v_cndmask_b32_e64 v43, 0, 1, s[64:65]
	v_cndmask_b32_e64 v46, 0, 1, s[10:11]
	v_cndmask_b32_e64 v42, 0, 1, s[62:63]
	v_cndmask_b32_e64 v44, 0, 1, s[8:9]
	v_cndmask_b32_e64 v40, 0, 1, s[60:61]
	v_cndmask_b32_e64 v41, 0, 1, s[6:7]
	v_cndmask_b32_e64 v38, 0, 1, s[58:59]
	v_cndmask_b32_e64 v39, 0, 1, s[4:5]
	v_cndmask_b32_e64 v37, 0, 1, vcc
	v_cndmask_b32_e64 v59, 0, 1, s[80:81]
	s_add_i32 s16, s86, 0xd00
	s_and_b64 vcc, exec, s[74:75]
	s_cbranch_vccnz .LBB975_37
	s_branch .LBB975_90
.LBB975_36:
                                        ; implicit-def: $sgpr52_sgpr53
                                        ; implicit-def: $sgpr54_sgpr55
                                        ; implicit-def: $vgpr59
                                        ; implicit-def: $vgpr57
                                        ; implicit-def: $vgpr55
                                        ; implicit-def: $vgpr53
                                        ; implicit-def: $vgpr51
                                        ; implicit-def: $vgpr49
                                        ; implicit-def: $vgpr47
                                        ; implicit-def: $vgpr45
                                        ; implicit-def: $vgpr43
                                        ; implicit-def: $vgpr37
                                        ; implicit-def: $vgpr39
                                        ; implicit-def: $vgpr41
                                        ; implicit-def: $vgpr44
                                        ; implicit-def: $vgpr46
                                        ; implicit-def: $vgpr48
                                        ; implicit-def: $vgpr50
                                        ; implicit-def: $vgpr52
                                        ; implicit-def: $vgpr54
                                        ; implicit-def: $vgpr56
                                        ; implicit-def: $vgpr58
                                        ; implicit-def: $vgpr60
                                        ; implicit-def: $vgpr38
                                        ; implicit-def: $vgpr40
                                        ; implicit-def: $vgpr42
	s_add_i32 s16, s86, 0xd00
	s_cbranch_execz .LBB975_90
.LBB975_37:
	v_cmp_gt_u32_e32 vcc, s16, v36
	v_mov_b32_e32 v38, 0
	v_mov_b32_e32 v37, 0
	s_and_saveexec_b64 s[6:7], vcc
	s_cbranch_execz .LBB975_41
; %bb.38:
	v_add_u32_e32 v1, s37, v22
	v_add_u32_e32 v6, s39, v22
	v_mul_lo_u32 v1, v1, s36
	v_mul_lo_u32 v6, v6, s38
	v_sub_u32_e32 v1, v1, v6
	v_cmp_lt_u32_e32 vcc, s40, v1
	v_cmp_ge_u32_e64 s[4:5], s40, v1
	s_mov_b64 s[10:11], 0
	s_and_saveexec_b64 s[8:9], s[4:5]
; %bb.39:
	v_add_u32_e32 v1, s42, v22
	v_add_u32_e32 v6, s56, v22
	v_mul_lo_u32 v1, v1, s41
	v_mul_lo_u32 v6, v6, s43
	v_sub_u32_e32 v1, v1, v6
	v_cmp_lt_u32_e64 s[4:5], s57, v1
	s_and_b64 s[10:11], s[4:5], exec
; %bb.40:
	s_or_b64 exec, exec, s[8:9]
	v_cndmask_b32_e64 v37, 0, 1, vcc
	v_cndmask_b32_e64 v38, 0, 1, s[10:11]
.LBB975_41:
	s_or_b64 exec, exec, s[6:7]
	v_add_u32_e32 v1, 1, v36
	v_cmp_gt_u32_e32 vcc, s16, v1
	v_mov_b32_e32 v39, 0
	v_mov_b32_e32 v40, 0
	s_and_saveexec_b64 s[6:7], vcc
	s_cbranch_execz .LBB975_45
; %bb.42:
	v_add_u32_e32 v1, s37, v23
	v_add_u32_e32 v6, s39, v23
	v_mul_lo_u32 v1, v1, s36
	v_mul_lo_u32 v6, v6, s38
	v_sub_u32_e32 v1, v1, v6
	v_cmp_lt_u32_e32 vcc, s40, v1
	v_cmp_ge_u32_e64 s[4:5], s40, v1
	s_mov_b64 s[10:11], 0
	s_and_saveexec_b64 s[8:9], s[4:5]
; %bb.43:
	v_add_u32_e32 v1, s42, v23
	v_add_u32_e32 v6, s56, v23
	v_mul_lo_u32 v1, v1, s41
	v_mul_lo_u32 v6, v6, s43
	v_sub_u32_e32 v1, v1, v6
	v_cmp_lt_u32_e64 s[4:5], s57, v1
	s_and_b64 s[10:11], s[4:5], exec
; %bb.44:
	s_or_b64 exec, exec, s[8:9]
	v_cndmask_b32_e64 v39, 0, 1, vcc
	v_cndmask_b32_e64 v40, 0, 1, s[10:11]
.LBB975_45:
	s_or_b64 exec, exec, s[6:7]
	v_add_u32_e32 v1, 2, v36
	;; [unrolled: 30-line block ×12, first 2 shown]
	v_cmp_gt_u32_e32 vcc, s16, v1
	s_mov_b64 s[52:53], 0
	s_mov_b64 s[54:55], 0
	s_and_saveexec_b64 s[4:5], vcc
	s_cbranch_execz .LBB975_89
; %bb.86:
	v_add_u32_e32 v1, s37, v35
	v_add_u32_e32 v6, s39, v35
	v_mul_lo_u32 v1, v1, s36
	v_mul_lo_u32 v6, v6, s38
	v_sub_u32_e32 v1, v1, v6
	v_cmp_ge_u32_e32 vcc, s40, v1
	s_mov_b64 s[8:9], -1
	s_mov_b64 s[10:11], 0
	s_and_saveexec_b64 s[6:7], vcc
; %bb.87:
	v_add_u32_e32 v1, s42, v35
	v_add_u32_e32 v6, s56, v35
	v_mul_lo_u32 v1, v1, s41
	v_mul_lo_u32 v6, v6, s43
	v_sub_u32_e32 v1, v1, v6
	v_cmp_lt_u32_e32 vcc, s57, v1
	s_and_b64 s[10:11], vcc, exec
	s_xor_b64 s[8:9], exec, -1
; %bb.88:
	s_or_b64 exec, exec, s[6:7]
	s_and_b64 s[54:55], s[10:11], exec
	s_and_b64 s[52:53], s[8:9], exec
.LBB975_89:
	s_or_b64 exec, exec, s[4:5]
.LBB975_90:
	v_and_b32_e32 v68, 0xff, v38
	v_and_b32_e32 v79, 0xff, v40
	;; [unrolled: 1-line block ×5, first 2 shown]
	v_add3_u32 v6, v79, v70, v68
	v_and_b32_e32 v81, 0xff, v47
	v_and_b32_e32 v74, 0xff, v49
	v_add3_u32 v6, v6, v80, v72
	v_and_b32_e32 v67, 0xff, v37
	v_and_b32_e32 v61, 0xff, v39
	;; [unrolled: 1-line block ×5, first 2 shown]
	v_add3_u32 v6, v6, v81, v74
	v_and_b32_e32 v62, 0xff, v44
	v_and_b32_e32 v71, 0xff, v46
	;; [unrolled: 1-line block ×4, first 2 shown]
	v_add3_u32 v7, v61, v69, v67
	v_add3_u32 v6, v6, v82, v76
	v_and_b32_e32 v63, 0xff, v48
	v_and_b32_e32 v73, 0xff, v50
	;; [unrolled: 1-line block ×3, first 2 shown]
	v_cndmask_b32_e64 v1, 0, 1, s[54:55]
	v_add3_u32 v7, v7, v62, v71
	v_add3_u32 v6, v6, v83, v78
	v_and_b32_e32 v64, 0xff, v52
	v_and_b32_e32 v75, 0xff, v54
	v_add3_u32 v7, v7, v63, v73
	v_add3_u32 v91, v6, v84, v1
	v_mbcnt_lo_u32_b32 v1, -1, 0
	v_and_b32_e32 v65, 0xff, v56
	v_and_b32_e32 v77, 0xff, v58
	v_add3_u32 v7, v7, v64, v75
	v_mbcnt_hi_u32_b32 v85, -1, v1
	v_and_b32_e32 v66, 0xff, v60
	v_add3_u32 v7, v7, v65, v77
	v_cndmask_b32_e64 v8, 0, 1, s[52:53]
	v_and_b32_e32 v89, 15, v85
	s_cmp_lg_u32 s33, 0
	v_add3_u32 v90, v7, v66, v8
	v_cmp_eq_u32_e64 s[6:7], 0, v89
	v_cmp_lt_u32_e64 s[4:5], 1, v89
	v_cmp_lt_u32_e64 s[10:11], 3, v89
	;; [unrolled: 1-line block ×3, first 2 shown]
	v_and_b32_e32 v88, 16, v85
	v_cmp_lt_u32_e32 vcc, 31, v85
	v_lshrrev_b32_e32 v86, 6, v0
	v_or_b32_e32 v87, 63, v0
	s_cbranch_scc0 .LBB975_119
; %bb.91:
	v_mov_b32_dpp v1, v90 row_shr:1 row_mask:0xf bank_mask:0xf
	v_mov_b32_dpp v6, v91 row_shr:1 row_mask:0xf bank_mask:0xf
	v_add_u32_e32 v1, v1, v90
	v_add_u32_e32 v6, v6, v91
	v_cndmask_b32_e64 v6, v6, v91, s[6:7]
	v_cndmask_b32_e64 v1, v1, v90, s[6:7]
	s_nop 0
	v_mov_b32_dpp v8, v6 row_shr:2 row_mask:0xf bank_mask:0xf
	v_mov_b32_dpp v7, v1 row_shr:2 row_mask:0xf bank_mask:0xf
	v_add_u32_e32 v7, v1, v7
	v_add_u32_e32 v8, v6, v8
	v_cndmask_b32_e64 v6, v6, v8, s[4:5]
	v_cndmask_b32_e64 v1, v1, v7, s[4:5]
	s_nop 0
	;; [unrolled: 7-line block ×3, first 2 shown]
	v_mov_b32_dpp v8, v6 row_shr:8 row_mask:0xf bank_mask:0xf
	v_mov_b32_dpp v7, v1 row_shr:8 row_mask:0xf bank_mask:0xf
	v_add_u32_e32 v7, v1, v7
	v_add_u32_e32 v8, v6, v8
	v_cndmask_b32_e64 v6, v6, v8, s[8:9]
	v_cndmask_b32_e64 v1, v1, v7, s[8:9]
	v_cmp_eq_u32_e64 s[8:9], 0, v88
	v_mov_b32_dpp v8, v6 row_bcast:15 row_mask:0xf bank_mask:0xf
	v_mov_b32_dpp v7, v1 row_bcast:15 row_mask:0xf bank_mask:0xf
	v_add_u32_e32 v7, v1, v7
	v_add_u32_e32 v8, v6, v8
	v_cndmask_b32_e64 v6, v8, v6, s[8:9]
	v_cndmask_b32_e64 v1, v7, v1, s[8:9]
	s_nop 0
	v_mov_b32_dpp v8, v6 row_bcast:31 row_mask:0xf bank_mask:0xf
	v_mov_b32_dpp v7, v1 row_bcast:31 row_mask:0xf bank_mask:0xf
	v_add_u32_e32 v8, v6, v8
	v_add_u32_e32 v9, v1, v7
	v_cndmask_b32_e32 v7, v6, v8, vcc
	v_cndmask_b32_e32 v6, v1, v9, vcc
	v_cmp_eq_u32_e32 vcc, v87, v0
	s_and_saveexec_b64 s[8:9], vcc
	s_cbranch_execz .LBB975_93
; %bb.92:
	v_lshlrev_b32_e32 v1, 3, v86
	ds_write_b64 v1, v[6:7]
.LBB975_93:
	s_or_b64 exec, exec, s[8:9]
	v_cmp_gt_u32_e32 vcc, 4, v0
	s_waitcnt lgkmcnt(0)
	s_barrier
	s_and_saveexec_b64 s[8:9], vcc
	s_cbranch_execz .LBB975_95
; %bb.94:
	v_lshlrev_b32_e32 v1, 3, v0
	ds_read_b64 v[8:9], v1
	v_and_b32_e32 v10, 3, v85
	v_cmp_eq_u32_e32 vcc, 0, v10
	s_waitcnt lgkmcnt(0)
	v_mov_b32_dpp v11, v8 row_shr:1 row_mask:0xf bank_mask:0xf
	v_mov_b32_dpp v24, v9 row_shr:1 row_mask:0xf bank_mask:0xf
	v_add_u32_e32 v11, v11, v8
	v_add_u32_e32 v24, v24, v9
	v_cndmask_b32_e32 v9, v24, v9, vcc
	v_cndmask_b32_e32 v8, v11, v8, vcc
	v_cmp_lt_u32_e32 vcc, 1, v10
	v_mov_b32_dpp v24, v9 row_shr:2 row_mask:0xf bank_mask:0xf
	v_mov_b32_dpp v11, v8 row_shr:2 row_mask:0xf bank_mask:0xf
	v_cndmask_b32_e32 v10, 0, v11, vcc
	v_cndmask_b32_e32 v11, 0, v24, vcc
	v_add_u32_e32 v9, v11, v9
	v_add_u32_e32 v8, v10, v8
	ds_write_b64 v1, v[8:9]
.LBB975_95:
	s_or_b64 exec, exec, s[8:9]
	v_cmp_gt_u32_e32 vcc, 64, v0
	v_cmp_lt_u32_e64 s[8:9], 63, v0
	s_waitcnt lgkmcnt(0)
	s_barrier
	s_waitcnt lgkmcnt(0)
                                        ; implicit-def: $vgpr25
	s_and_saveexec_b64 s[10:11], s[8:9]
	s_xor_b64 s[8:9], exec, s[10:11]
	s_cbranch_execz .LBB975_97
; %bb.96:
	v_lshl_add_u32 v1, v86, 3, -8
	ds_read_b64 v[24:25], v1
	s_waitcnt lgkmcnt(0)
	v_add_u32_e32 v7, v25, v7
	v_add_u32_e32 v6, v24, v6
.LBB975_97:
	s_andn2_saveexec_b64 s[8:9], s[8:9]
; %bb.98:
                                        ; implicit-def: $vgpr24
; %bb.99:
	s_or_b64 exec, exec, s[8:9]
	v_add_u32_e32 v1, -1, v85
	v_and_b32_e32 v8, 64, v85
	v_cmp_lt_i32_e64 s[8:9], v1, v8
	v_cndmask_b32_e64 v1, v1, v85, s[8:9]
	v_lshlrev_b32_e32 v8, 2, v1
	ds_bpermute_b32 v1, v8, v6
	ds_bpermute_b32 v92, v8, v7
	v_cmp_eq_u32_e64 s[8:9], 0, v85
	s_and_saveexec_b64 s[10:11], vcc
	s_cbranch_execz .LBB975_118
; %bb.100:
	v_mov_b32_e32 v11, 0
	ds_read_b64 v[26:27], v11 offset:24
	s_and_saveexec_b64 s[12:13], s[8:9]
	s_cbranch_execz .LBB975_102
; %bb.101:
	s_add_i32 s14, s33, 64
	s_mov_b32 s15, 0
	s_lshl_b64 s[14:15], s[14:15], 4
	s_waitcnt lgkmcnt(0)
	v_and_b32_e32 v6, 0xff000000, v27
	v_and_b32_e32 v7, 0xff0000, v27
	s_add_u32 s14, s50, s14
	v_or_b32_e32 v6, v7, v6
	v_and_b32_e32 v7, 0xff00, v27
	s_addc_u32 s15, s51, s15
	v_or_b32_e32 v6, v6, v7
	v_or_b32_sdwa v9, v6, v27 dst_sel:DWORD dst_unused:UNUSED_PAD src0_sel:DWORD src1_sel:BYTE_0
	v_mov_b32_e32 v10, 1
	v_mov_b32_e32 v8, v26
	v_pk_mov_b32 v[6:7], s[14:15], s[14:15] op_sel:[0,1]
	;;#ASMSTART
	global_store_dwordx4 v[6:7], v[8:11] off	
s_waitcnt vmcnt(0)
	;;#ASMEND
.LBB975_102:
	s_or_b64 exec, exec, s[12:13]
	v_xad_u32 v28, v85, -1, s33
	v_add_u32_e32 v10, 64, v28
	v_lshlrev_b64 v[6:7], 4, v[10:11]
	v_mov_b32_e32 v8, s51
	v_add_co_u32_e32 v30, vcc, s50, v6
	v_addc_co_u32_e32 v31, vcc, v8, v7, vcc
	;;#ASMSTART
	global_load_dwordx4 v[6:9], v[30:31] off glc	
s_waitcnt vmcnt(0)
	;;#ASMEND
	v_and_b32_e32 v9, 0xff, v7
	v_and_b32_e32 v10, 0xff00, v7
	v_or3_b32 v9, 0, v9, v10
	v_or3_b32 v6, v6, 0, 0
	v_and_b32_e32 v10, 0xff000000, v7
	v_and_b32_e32 v7, 0xff0000, v7
	v_or3_b32 v7, v9, v7, v10
	v_or3_b32 v6, v6, 0, 0
	v_cmp_eq_u16_sdwa s[14:15], v8, v11 src0_sel:BYTE_0 src1_sel:DWORD
	s_and_saveexec_b64 s[12:13], s[14:15]
	s_cbranch_execz .LBB975_106
; %bb.103:
	s_mov_b64 s[14:15], 0
	v_mov_b32_e32 v10, 0
.LBB975_104:                            ; =>This Inner Loop Header: Depth=1
	;;#ASMSTART
	global_load_dwordx4 v[6:9], v[30:31] off glc	
s_waitcnt vmcnt(0)
	;;#ASMEND
	v_cmp_ne_u16_sdwa s[18:19], v8, v10 src0_sel:BYTE_0 src1_sel:DWORD
	s_or_b64 s[14:15], s[18:19], s[14:15]
	s_andn2_b64 exec, exec, s[14:15]
	s_cbranch_execnz .LBB975_104
; %bb.105:
	s_or_b64 exec, exec, s[14:15]
.LBB975_106:
	s_or_b64 exec, exec, s[12:13]
	v_and_b32_e32 v94, 63, v85
	v_cmp_ne_u32_e32 vcc, 63, v94
	v_mov_b32_e32 v93, 2
	v_addc_co_u32_e32 v30, vcc, 0, v85, vcc
	v_cmp_eq_u16_sdwa s[12:13], v8, v93 src0_sel:BYTE_0 src1_sel:DWORD
	v_lshlrev_b64 v[10:11], v85, -1
	v_lshlrev_b32_e32 v95, 2, v30
	v_and_b32_e32 v9, s13, v11
	ds_bpermute_b32 v30, v95, v6
	ds_bpermute_b32 v31, v95, v7
	v_or_b32_e32 v9, 0x80000000, v9
	v_and_b32_e32 v29, s12, v10
	v_ffbl_b32_e32 v9, v9
	v_add_u32_e32 v9, 32, v9
	v_ffbl_b32_e32 v29, v29
	v_min_u32_e32 v9, v29, v9
	s_waitcnt lgkmcnt(1)
	v_add_u32_e32 v29, v30, v6
	s_waitcnt lgkmcnt(0)
	v_add_u32_e32 v30, v31, v7
	v_cmp_lt_u32_e32 vcc, v94, v9
	v_cndmask_b32_e32 v7, v7, v30, vcc
	v_cndmask_b32_e32 v6, v6, v29, vcc
	v_cmp_gt_u32_e32 vcc, 62, v94
	v_cndmask_b32_e64 v29, 0, 1, vcc
	v_lshlrev_b32_e32 v29, 1, v29
	v_add_lshl_u32 v96, v29, v85, 2
	ds_bpermute_b32 v29, v96, v6
	ds_bpermute_b32 v30, v96, v7
	v_add_u32_e32 v97, 2, v94
	v_cmp_gt_u32_e32 vcc, v97, v9
	v_add_u32_e32 v99, 4, v94
	s_waitcnt lgkmcnt(1)
	v_add_u32_e32 v29, v6, v29
	s_waitcnt lgkmcnt(0)
	v_add_u32_e32 v30, v7, v30
	v_cndmask_b32_e32 v7, v30, v7, vcc
	v_cndmask_b32_e32 v6, v29, v6, vcc
	v_cmp_gt_u32_e32 vcc, 60, v94
	v_cndmask_b32_e64 v29, 0, 1, vcc
	v_lshlrev_b32_e32 v29, 2, v29
	v_add_lshl_u32 v98, v29, v85, 2
	ds_bpermute_b32 v29, v98, v6
	ds_bpermute_b32 v30, v98, v7
	v_cmp_gt_u32_e32 vcc, v99, v9
	v_add_u32_e32 v101, 8, v94
	v_add_u32_e32 v103, 16, v94
	s_waitcnt lgkmcnt(1)
	v_add_u32_e32 v29, v6, v29
	s_waitcnt lgkmcnt(0)
	v_add_u32_e32 v30, v7, v30
	v_cndmask_b32_e32 v7, v30, v7, vcc
	v_cndmask_b32_e32 v6, v29, v6, vcc
	v_cmp_gt_u32_e32 vcc, 56, v94
	v_cndmask_b32_e64 v29, 0, 1, vcc
	v_lshlrev_b32_e32 v29, 3, v29
	v_add_lshl_u32 v100, v29, v85, 2
	ds_bpermute_b32 v29, v100, v6
	ds_bpermute_b32 v30, v100, v7
	v_cmp_gt_u32_e32 vcc, v101, v9
	v_add_u32_e32 v105, 32, v94
	s_waitcnt lgkmcnt(1)
	v_add_u32_e32 v29, v6, v29
	s_waitcnt lgkmcnt(0)
	v_add_u32_e32 v30, v7, v30
	v_cndmask_b32_e32 v7, v30, v7, vcc
	v_cndmask_b32_e32 v6, v29, v6, vcc
	v_cmp_gt_u32_e32 vcc, 48, v94
	v_cndmask_b32_e64 v29, 0, 1, vcc
	v_lshlrev_b32_e32 v29, 4, v29
	v_add_lshl_u32 v102, v29, v85, 2
	ds_bpermute_b32 v29, v102, v6
	ds_bpermute_b32 v30, v102, v7
	v_cmp_gt_u32_e32 vcc, v103, v9
	s_waitcnt lgkmcnt(1)
	v_add_u32_e32 v29, v6, v29
	s_waitcnt lgkmcnt(0)
	v_add_u32_e32 v30, v7, v30
	v_cndmask_b32_e32 v7, v30, v7, vcc
	v_cndmask_b32_e32 v6, v29, v6, vcc
	v_cmp_gt_u32_e32 vcc, 32, v94
	v_cndmask_b32_e64 v29, 0, 1, vcc
	v_lshlrev_b32_e32 v29, 5, v29
	v_add_lshl_u32 v104, v29, v85, 2
	ds_bpermute_b32 v29, v104, v6
	ds_bpermute_b32 v30, v104, v7
	v_cmp_le_u32_e32 vcc, v105, v9
	s_waitcnt lgkmcnt(1)
	v_cndmask_b32_e32 v9, 0, v29, vcc
	s_waitcnt lgkmcnt(0)
	v_cndmask_b32_e32 v29, 0, v30, vcc
	v_add_u32_e32 v7, v7, v29
	v_add_u32_e32 v6, v6, v9
	v_mov_b32_e32 v29, 0
	s_branch .LBB975_108
.LBB975_107:                            ;   in Loop: Header=BB975_108 Depth=1
	s_or_b64 exec, exec, s[12:13]
	v_cmp_eq_u16_sdwa s[12:13], v8, v93 src0_sel:BYTE_0 src1_sel:DWORD
	v_and_b32_e32 v9, s13, v11
	ds_bpermute_b32 v33, v95, v6
	ds_bpermute_b32 v106, v95, v7
	v_or_b32_e32 v9, 0x80000000, v9
	v_and_b32_e32 v32, s12, v10
	v_ffbl_b32_e32 v9, v9
	v_add_u32_e32 v9, 32, v9
	v_ffbl_b32_e32 v32, v32
	v_min_u32_e32 v9, v32, v9
	s_waitcnt lgkmcnt(1)
	v_add_u32_e32 v32, v33, v6
	s_waitcnt lgkmcnt(0)
	v_add_u32_e32 v33, v106, v7
	v_cmp_lt_u32_e32 vcc, v94, v9
	v_cndmask_b32_e32 v7, v7, v33, vcc
	v_cndmask_b32_e32 v6, v6, v32, vcc
	ds_bpermute_b32 v32, v96, v6
	ds_bpermute_b32 v33, v96, v7
	v_cmp_gt_u32_e32 vcc, v97, v9
	v_subrev_u32_e32 v28, 64, v28
	s_waitcnt lgkmcnt(1)
	v_add_u32_e32 v32, v6, v32
	s_waitcnt lgkmcnt(0)
	v_add_u32_e32 v33, v7, v33
	v_cndmask_b32_e32 v7, v33, v7, vcc
	v_cndmask_b32_e32 v6, v32, v6, vcc
	ds_bpermute_b32 v32, v98, v6
	ds_bpermute_b32 v33, v98, v7
	v_cmp_gt_u32_e32 vcc, v99, v9
	s_waitcnt lgkmcnt(1)
	v_add_u32_e32 v32, v6, v32
	s_waitcnt lgkmcnt(0)
	v_add_u32_e32 v33, v7, v33
	v_cndmask_b32_e32 v7, v33, v7, vcc
	v_cndmask_b32_e32 v6, v32, v6, vcc
	ds_bpermute_b32 v32, v100, v6
	ds_bpermute_b32 v33, v100, v7
	v_cmp_gt_u32_e32 vcc, v101, v9
	;; [unrolled: 9-line block ×3, first 2 shown]
	s_waitcnt lgkmcnt(1)
	v_add_u32_e32 v32, v6, v32
	s_waitcnt lgkmcnt(0)
	v_add_u32_e32 v33, v7, v33
	v_cndmask_b32_e32 v7, v33, v7, vcc
	v_cndmask_b32_e32 v6, v32, v6, vcc
	ds_bpermute_b32 v32, v104, v6
	ds_bpermute_b32 v33, v104, v7
	v_cmp_le_u32_e32 vcc, v105, v9
	s_waitcnt lgkmcnt(1)
	v_cndmask_b32_e32 v9, 0, v32, vcc
	s_waitcnt lgkmcnt(0)
	v_cndmask_b32_e32 v32, 0, v33, vcc
	v_add3_u32 v7, v32, v31, v7
	v_add3_u32 v6, v9, v30, v6
.LBB975_108:                            ; =>This Loop Header: Depth=1
                                        ;     Child Loop BB975_111 Depth 2
	v_cmp_ne_u16_sdwa s[12:13], v8, v93 src0_sel:BYTE_0 src1_sel:DWORD
	v_cndmask_b32_e64 v8, 0, 1, s[12:13]
	;;#ASMSTART
	;;#ASMEND
	v_cmp_ne_u32_e32 vcc, 0, v8
	s_cmp_lg_u64 vcc, exec
	v_pk_mov_b32 v[30:31], v[6:7], v[6:7] op_sel:[0,1]
	s_cbranch_scc1 .LBB975_113
; %bb.109:                              ;   in Loop: Header=BB975_108 Depth=1
	v_lshlrev_b64 v[6:7], 4, v[28:29]
	v_mov_b32_e32 v8, s51
	v_add_co_u32_e32 v32, vcc, s50, v6
	v_addc_co_u32_e32 v33, vcc, v8, v7, vcc
	;;#ASMSTART
	global_load_dwordx4 v[6:9], v[32:33] off glc	
s_waitcnt vmcnt(0)
	;;#ASMEND
	v_and_b32_e32 v9, 0xff, v7
	v_and_b32_e32 v106, 0xff00, v7
	v_or3_b32 v9, 0, v9, v106
	v_or3_b32 v6, v6, 0, 0
	v_and_b32_e32 v106, 0xff000000, v7
	v_and_b32_e32 v7, 0xff0000, v7
	v_or3_b32 v7, v9, v7, v106
	v_or3_b32 v6, v6, 0, 0
	v_cmp_eq_u16_sdwa s[14:15], v8, v29 src0_sel:BYTE_0 src1_sel:DWORD
	s_and_saveexec_b64 s[12:13], s[14:15]
	s_cbranch_execz .LBB975_107
; %bb.110:                              ;   in Loop: Header=BB975_108 Depth=1
	s_mov_b64 s[14:15], 0
.LBB975_111:                            ;   Parent Loop BB975_108 Depth=1
                                        ; =>  This Inner Loop Header: Depth=2
	;;#ASMSTART
	global_load_dwordx4 v[6:9], v[32:33] off glc	
s_waitcnt vmcnt(0)
	;;#ASMEND
	v_cmp_ne_u16_sdwa s[18:19], v8, v29 src0_sel:BYTE_0 src1_sel:DWORD
	s_or_b64 s[14:15], s[18:19], s[14:15]
	s_andn2_b64 exec, exec, s[14:15]
	s_cbranch_execnz .LBB975_111
; %bb.112:                              ;   in Loop: Header=BB975_108 Depth=1
	s_or_b64 exec, exec, s[14:15]
	s_branch .LBB975_107
.LBB975_113:                            ;   in Loop: Header=BB975_108 Depth=1
                                        ; implicit-def: $vgpr8
                                        ; implicit-def: $vgpr6_vgpr7
	s_cbranch_execz .LBB975_108
; %bb.114:
	s_and_saveexec_b64 s[12:13], s[8:9]
	s_cbranch_execz .LBB975_116
; %bb.115:
	s_add_i32 s14, s33, 64
	s_mov_b32 s15, 0
	v_add_u32_e32 v7, v31, v27
	s_lshl_b64 s[14:15], s[14:15], 4
	s_add_u32 s14, s50, s14
	v_and_b32_e32 v8, 0xff000000, v7
	v_and_b32_e32 v10, 0xff0000, v7
	s_addc_u32 s15, s51, s15
	v_or_b32_e32 v8, v10, v8
	v_and_b32_e32 v10, 0xff00, v7
	v_and_b32_e32 v7, 0xff, v7
	v_add_u32_e32 v6, v30, v26
	v_mov_b32_e32 v9, 0
	v_or3_b32 v7, v8, v10, v7
	v_mov_b32_e32 v8, 2
	v_pk_mov_b32 v[10:11], s[14:15], s[14:15] op_sel:[0,1]
	;;#ASMSTART
	global_store_dwordx4 v[10:11], v[6:9] off	
s_waitcnt vmcnt(0)
	;;#ASMEND
	s_movk_i32 s14, 0x3400
	v_add_u32_e64 v6, s14, 0
	ds_write2_b32 v6, v26, v27 offset1:2
	ds_write2_b32 v6, v30, v31 offset0:4 offset1:6
.LBB975_116:
	s_or_b64 exec, exec, s[12:13]
	s_and_b64 exec, exec, s[0:1]
	s_cbranch_execz .LBB975_118
; %bb.117:
	v_mov_b32_e32 v6, 0
	ds_write_b64 v6, v[30:31] offset:24
.LBB975_118:
	s_or_b64 exec, exec, s[10:11]
	v_mov_b32_e32 v6, 0
	s_waitcnt lgkmcnt(0)
	s_barrier
	ds_read_b64 v[10:11], v6 offset:24
	v_cndmask_b32_e64 v25, v92, v25, s[8:9]
	v_cndmask_b32_e64 v1, v1, v24, s[8:9]
	s_movk_i32 s8, 0x3400
	s_waitcnt lgkmcnt(0)
	v_add_u32_e32 v24, v10, v1
	v_add_u32_e64 v1, s8, 0
	s_barrier
	ds_read2_b32 v[6:7], v1 offset1:2
	ds_read2_b32 v[8:9], v1 offset0:4 offset1:6
	v_add_u32_e32 v1, v11, v25
	v_cndmask_b32_e64 v1, v1, v11, s[0:1]
	v_cndmask_b32_e64 v10, v24, v10, s[0:1]
	s_branch .LBB975_129
.LBB975_119:
                                        ; implicit-def: $vgpr1
                                        ; implicit-def: $vgpr8
                                        ; implicit-def: $vgpr6
                                        ; implicit-def: $vgpr10_vgpr11
	s_cbranch_execz .LBB975_129
; %bb.120:
	s_nop 0
	v_mov_b32_dpp v1, v90 row_shr:1 row_mask:0xf bank_mask:0xf
	s_waitcnt lgkmcnt(1)
	v_mov_b32_dpp v6, v91 row_shr:1 row_mask:0xf bank_mask:0xf
	v_add_u32_e32 v1, v1, v90
	v_add_u32_e32 v6, v6, v91
	v_cndmask_b32_e64 v6, v6, v91, s[6:7]
	v_cndmask_b32_e64 v1, v1, v90, s[6:7]
	v_cmp_lt_u32_e32 vcc, 3, v89
	s_waitcnt lgkmcnt(0)
	v_mov_b32_dpp v8, v6 row_shr:2 row_mask:0xf bank_mask:0xf
	v_mov_b32_dpp v7, v1 row_shr:2 row_mask:0xf bank_mask:0xf
	v_add_u32_e32 v7, v1, v7
	v_add_u32_e32 v8, v6, v8
	v_cndmask_b32_e64 v6, v6, v8, s[4:5]
	v_cndmask_b32_e64 v1, v1, v7, s[4:5]
	s_nop 0
	v_mov_b32_dpp v8, v6 row_shr:4 row_mask:0xf bank_mask:0xf
	v_mov_b32_dpp v7, v1 row_shr:4 row_mask:0xf bank_mask:0xf
	v_add_u32_e32 v7, v1, v7
	v_add_u32_e32 v8, v6, v8
	v_cndmask_b32_e32 v6, v6, v8, vcc
	v_cndmask_b32_e32 v1, v1, v7, vcc
	v_cmp_lt_u32_e32 vcc, 7, v89
	v_mov_b32_dpp v8, v6 row_shr:8 row_mask:0xf bank_mask:0xf
	v_mov_b32_dpp v7, v1 row_shr:8 row_mask:0xf bank_mask:0xf
	v_add_u32_e32 v7, v1, v7
	v_add_u32_e32 v8, v6, v8
	v_cndmask_b32_e32 v6, v6, v8, vcc
	v_cndmask_b32_e32 v1, v1, v7, vcc
	v_cmp_eq_u32_e32 vcc, 0, v88
	v_mov_b32_dpp v8, v6 row_bcast:15 row_mask:0xf bank_mask:0xf
	v_mov_b32_dpp v7, v1 row_bcast:15 row_mask:0xf bank_mask:0xf
	v_add_u32_e32 v7, v1, v7
	v_add_u32_e32 v8, v6, v8
	v_cndmask_b32_e32 v6, v8, v6, vcc
	v_cndmask_b32_e32 v1, v7, v1, vcc
	v_cmp_lt_u32_e32 vcc, 31, v85
	v_mov_b32_dpp v8, v6 row_bcast:31 row_mask:0xf bank_mask:0xf
	v_mov_b32_dpp v7, v1 row_bcast:31 row_mask:0xf bank_mask:0xf
	v_add_u32_e32 v8, v6, v8
	v_add_u32_e32 v9, v1, v7
	v_cndmask_b32_e32 v7, v6, v8, vcc
	v_cndmask_b32_e32 v6, v1, v9, vcc
	v_cmp_eq_u32_e32 vcc, v87, v0
	s_and_saveexec_b64 s[4:5], vcc
	s_cbranch_execz .LBB975_122
; %bb.121:
	v_lshlrev_b32_e32 v1, 3, v86
	ds_write_b64 v1, v[6:7]
.LBB975_122:
	s_or_b64 exec, exec, s[4:5]
	v_cmp_gt_u32_e32 vcc, 4, v0
	s_waitcnt lgkmcnt(0)
	s_barrier
	s_and_saveexec_b64 s[4:5], vcc
	s_cbranch_execz .LBB975_124
; %bb.123:
	v_lshlrev_b32_e32 v1, 3, v0
	ds_read_b64 v[8:9], v1
	v_and_b32_e32 v10, 3, v85
	v_cmp_eq_u32_e32 vcc, 0, v10
	s_waitcnt lgkmcnt(0)
	v_mov_b32_dpp v11, v8 row_shr:1 row_mask:0xf bank_mask:0xf
	v_mov_b32_dpp v24, v9 row_shr:1 row_mask:0xf bank_mask:0xf
	v_add_u32_e32 v11, v11, v8
	v_add_u32_e32 v24, v24, v9
	v_cndmask_b32_e32 v9, v24, v9, vcc
	v_cndmask_b32_e32 v8, v11, v8, vcc
	v_cmp_lt_u32_e32 vcc, 1, v10
	v_mov_b32_dpp v24, v9 row_shr:2 row_mask:0xf bank_mask:0xf
	v_mov_b32_dpp v11, v8 row_shr:2 row_mask:0xf bank_mask:0xf
	v_cndmask_b32_e32 v10, 0, v11, vcc
	v_cndmask_b32_e32 v11, 0, v24, vcc
	v_add_u32_e32 v9, v11, v9
	v_add_u32_e32 v8, v10, v8
	ds_write_b64 v1, v[8:9]
.LBB975_124:
	s_or_b64 exec, exec, s[4:5]
	v_cmp_lt_u32_e32 vcc, 63, v0
	v_mov_b32_e32 v8, 0
	v_mov_b32_e32 v10, 0
	;; [unrolled: 1-line block ×3, first 2 shown]
	s_waitcnt lgkmcnt(0)
	s_barrier
	s_and_saveexec_b64 s[4:5], vcc
	s_cbranch_execz .LBB975_126
; %bb.125:
	v_lshl_add_u32 v1, v86, 3, -8
	ds_read_b64 v[10:11], v1
.LBB975_126:
	s_or_b64 exec, exec, s[4:5]
	s_waitcnt lgkmcnt(0)
	v_add_u32_e32 v9, v11, v7
	v_add_u32_e32 v1, v10, v6
	v_add_u32_e32 v6, -1, v85
	v_and_b32_e32 v7, 64, v85
	v_cmp_lt_i32_e32 vcc, v6, v7
	v_cndmask_b32_e32 v6, v6, v85, vcc
	v_lshlrev_b32_e32 v24, 2, v6
	ds_read_b64 v[6:7], v8 offset:24
	ds_bpermute_b32 v1, v24, v1
	ds_bpermute_b32 v24, v24, v9
	s_waitcnt lgkmcnt(2)
	v_readfirstlane_b32 s6, v7
	s_and_saveexec_b64 s[4:5], s[0:1]
	s_cbranch_execz .LBB975_128
; %bb.127:
	s_add_u32 s8, s50, 0x400
	s_mov_b32 s10, 0
	s_addc_u32 s9, s51, 0
	s_and_b32 s11, s6, 0xff000000
	s_and_b32 s13, s6, 0xff0000
	s_mov_b32 s12, s10
	s_or_b64 s[12:13], s[12:13], s[10:11]
	s_and_b32 s11, s6, 0xff00
	s_or_b64 s[12:13], s[12:13], s[10:11]
	s_and_b32 s11, s6, 0xff
	s_or_b64 s[10:11], s[12:13], s[10:11]
	v_mov_b32_e32 v7, s11
	v_mov_b32_e32 v8, 2
	;; [unrolled: 1-line block ×3, first 2 shown]
	v_pk_mov_b32 v[26:27], s[8:9], s[8:9] op_sel:[0,1]
	;;#ASMSTART
	global_store_dwordx4 v[26:27], v[6:9] off	
s_waitcnt vmcnt(0)
	;;#ASMEND
.LBB975_128:
	s_or_b64 exec, exec, s[4:5]
	v_cmp_eq_u32_e32 vcc, 0, v85
	s_waitcnt lgkmcnt(1)
	v_cndmask_b32_e32 v7, v1, v10, vcc
	s_waitcnt lgkmcnt(0)
	v_cndmask_b32_e32 v1, v24, v11, vcc
	v_mov_b32_e32 v8, 0
	v_cndmask_b32_e64 v1, v1, 0, s[0:1]
	v_cndmask_b32_e64 v10, v7, 0, s[0:1]
	s_barrier
	v_mov_b32_e32 v7, s6
	v_mov_b32_e32 v9, 0
.LBB975_129:
	v_add_u32_e32 v11, v10, v67
	v_add_u32_e32 v26, v1, v68
	;; [unrolled: 1-line block ×13, first 2 shown]
	s_waitcnt vmcnt(0) lgkmcnt(0)
	v_add_co_u32_e32 v2, vcc, v2, v8
	v_add_u32_e32 v68, v62, v74
	v_add_u32_e32 v64, v67, v64
	v_addc_co_u32_e32 v3, vcc, 0, v3, vcc
	v_add_u32_e32 v69, v68, v82
	v_add_u32_e32 v70, v64, v75
	v_sub_co_u32_e32 v24, vcc, v4, v6
	v_add_u32_e32 v71, v69, v76
	v_add_u32_e32 v65, v70, v65
	v_subbrev_co_u32_e32 v25, vcc, 0, v5, vcc
	v_lshlrev_b32_e32 v76, 1, v6
	v_sub_u32_e32 v1, v1, v9
	v_add_u32_e32 v73, v65, v77
	v_add_co_u32_e32 v24, vcc, v24, v9
	v_add_u32_e32 v77, v76, v7
	v_sub_u32_e32 v10, v10, v8
	v_add_u32_e32 v1, v1, v6
	v_addc_co_u32_e32 v25, vcc, 0, v25, vcc
	v_add_u32_e32 v36, v77, v36
	v_and_b32_e32 v38, 1, v38
	v_add_u32_e32 v77, v10, v1
	v_and_b32_e32 v37, 1, v37
	v_sub_u32_e32 v77, v36, v77
	v_cmp_eq_u32_e32 vcc, 1, v38
	v_cndmask_b32_e32 v1, v77, v1, vcc
	v_cmp_eq_u32_e32 vcc, 1, v37
	v_cndmask_b32_e32 v1, v1, v10, vcc
	v_lshlrev_b32_e32 v1, 2, v1
	ds_write_b32 v1, v22
	v_sub_u32_e32 v1, v11, v8
	v_sub_u32_e32 v11, v26, v9
	v_add_u32_e32 v11, v11, v6
	v_add_u32_e32 v26, v11, v1
	v_and_b32_e32 v22, 1, v40
	v_sub_u32_e32 v26, v36, v26
	v_and_b32_e32 v10, 1, v39
	v_add_u32_e32 v26, 1, v26
	v_cmp_eq_u32_e32 vcc, 1, v22
	v_cndmask_b32_e32 v11, v26, v11, vcc
	v_cmp_eq_u32_e32 vcc, 1, v10
	v_cndmask_b32_e32 v1, v11, v1, vcc
	v_lshlrev_b32_e32 v1, 2, v1
	v_sub_u32_e32 v11, v27, v9
	ds_write_b32 v1, v23
	v_sub_u32_e32 v1, v28, v8
	v_add_u32_e32 v11, v11, v6
	v_add_u32_e32 v23, v11, v1
	v_and_b32_e32 v22, 1, v42
	v_sub_u32_e32 v23, v36, v23
	v_and_b32_e32 v10, 1, v41
	v_add_u32_e32 v23, 2, v23
	v_cmp_eq_u32_e32 vcc, 1, v22
	v_cndmask_b32_e32 v11, v23, v11, vcc
	v_cmp_eq_u32_e32 vcc, 1, v10
	v_cndmask_b32_e32 v1, v11, v1, vcc
	v_lshlrev_b32_e32 v1, 2, v1
	v_sub_u32_e32 v11, v30, v9
	ds_write_b32 v1, v20
	;; [unrolled: 14-line block ×8, first 2 shown]
	v_sub_u32_e32 v1, v70, v8
	v_add_u32_e32 v11, v11, v6
	v_add_u32_e32 v16, v1, v11
	v_and_b32_e32 v14, 1, v55
	v_sub_u32_e32 v16, v36, v16
	v_and_b32_e32 v10, 1, v56
	v_add_u32_e32 v16, 9, v16
	v_cmp_eq_u32_e32 vcc, 1, v14
	v_cndmask_b32_e32 v11, v16, v11, vcc
	v_cmp_eq_u32_e32 vcc, 1, v10
	v_add_u32_e32 v72, v71, v83
	v_cndmask_b32_e32 v1, v11, v1, vcc
	v_lshlrev_b32_e32 v1, 2, v1
	v_sub_u32_e32 v11, v72, v9
	ds_write_b32 v1, v15
	v_sub_u32_e32 v1, v65, v8
	v_add_u32_e32 v11, v11, v6
	v_add_u32_e32 v15, v1, v11
	v_and_b32_e32 v14, 1, v57
	v_sub_u32_e32 v15, v36, v15
	v_and_b32_e32 v10, 1, v58
	v_add_u32_e32 v15, 10, v15
	v_cmp_eq_u32_e32 vcc, 1, v14
	v_cndmask_b32_e32 v11, v15, v11, vcc
	v_cmp_eq_u32_e32 vcc, 1, v10
	v_add_u32_e32 v74, v72, v78
	v_cndmask_b32_e32 v1, v11, v1, vcc
	v_lshlrev_b32_e32 v1, 2, v1
	v_sub_u32_e32 v11, v74, v9
	ds_write_b32 v1, v12
	v_sub_u32_e32 v1, v73, v8
	v_add_u32_e32 v11, v11, v6
	v_add_u32_e32 v14, v1, v11
	v_and_b32_e32 v12, 1, v59
	v_sub_u32_e32 v14, v36, v14
	v_and_b32_e32 v10, 1, v60
	v_add_u32_e32 v14, 11, v14
	v_cmp_eq_u32_e32 vcc, 1, v12
	v_cndmask_b32_e32 v11, v14, v11, vcc
	v_cmp_eq_u32_e32 vcc, 1, v10
	v_cndmask_b32_e32 v1, v11, v1, vcc
	v_add_u32_e32 v75, v74, v84
	v_add_u32_e32 v66, v73, v66
	v_lshlrev_b32_e32 v1, 2, v1
	ds_write_b32 v1, v13
	v_sub_u32_e32 v1, v66, v8
	v_sub_u32_e32 v8, v75, v9
	v_add_u32_e32 v8, v8, v6
	v_add_u32_e32 v10, v1, v8
	v_sub_u32_e32 v10, v36, v10
	v_add_u32_e32 v10, 12, v10
	v_cndmask_b32_e64 v8, v10, v8, s[54:55]
	v_cndmask_b32_e64 v1, v8, v1, s[52:53]
	v_lshlrev_b32_e32 v1, 2, v1
	ds_write_b32 v1, v35
	v_mov_b32_e32 v1, s49
	v_add_co_u32_e32 v8, vcc, s48, v34
	v_addc_co_u32_e32 v10, vcc, 0, v1, vcc
	v_add_co_u32_e32 v1, vcc, v7, v76
	v_addc_co_u32_e64 v11, s[4:5], 0, 0, vcc
	v_add_co_u32_e32 v1, vcc, v1, v24
	v_addc_co_u32_e32 v11, vcc, v11, v25, vcc
	v_add_co_u32_e32 v1, vcc, v1, v2
	v_addc_co_u32_e32 v11, vcc, v11, v3, vcc
	v_sub_co_u32_e32 v1, vcc, v8, v1
	v_subb_co_u32_e32 v8, vcc, v10, v11, vcc
	v_lshlrev_b64 v[10:11], 2, v[24:25]
	v_mov_b32_e32 v12, s47
	v_add_co_u32_e32 v10, vcc, s46, v10
	v_addc_co_u32_e32 v11, vcc, v12, v11, vcc
	v_lshlrev_b64 v[12:13], 2, v[2:3]
	v_mov_b32_e32 v15, s45
	v_add_co_u32_e32 v12, vcc, s44, v12
	s_add_u32 s8, s34, -4
	v_addc_co_u32_e32 v13, vcc, v15, v13, vcc
	s_addc_u32 s9, s35, -1
	v_add_u32_e32 v14, v6, v7
	s_and_b64 vcc, exec, s[2:3]
	s_mov_b64 s[2:3], -1
	s_waitcnt lgkmcnt(0)
	s_barrier
	s_cbranch_vccz .LBB975_133
; %bb.130:
	s_and_b64 vcc, exec, s[2:3]
	s_cbranch_vccnz .LBB975_238
.LBB975_131:
	s_and_b64 s[0:1], s[0:1], s[30:31]
	s_and_saveexec_b64 s[2:3], s[0:1]
	s_cbranch_execnz .LBB975_356
.LBB975_132:
	s_endpgm
.LBB975_133:
	v_cmp_le_u32_e32 vcc, v6, v0
	s_and_saveexec_b64 s[2:3], vcc
	s_xor_b64 s[2:3], exec, s[2:3]
	s_cbranch_execz .LBB975_139
; %bb.134:
	v_cmp_le_u32_e32 vcc, v14, v0
	s_and_saveexec_b64 s[4:5], vcc
	s_xor_b64 s[4:5], exec, s[4:5]
	s_cbranch_execz .LBB975_136
; %bb.135:
	v_lshlrev_b32_e32 v15, 2, v0
	v_add_co_u32_e32 v16, vcc, v1, v0
	ds_read_b32 v15, v15
	v_addc_co_u32_e32 v17, vcc, 0, v8, vcc
	v_lshlrev_b64 v[16:17], 2, v[16:17]
	v_mov_b32_e32 v18, s35
	v_sub_co_u32_e32 v16, vcc, s34, v16
	v_subb_co_u32_e32 v17, vcc, v18, v17, vcc
	s_waitcnt lgkmcnt(0)
	global_store_dword v[16:17], v15, off offset:-4
.LBB975_136:
	s_andn2_saveexec_b64 s[4:5], s[4:5]
	s_cbranch_execz .LBB975_138
; %bb.137:
	v_lshlrev_b32_e32 v15, 2, v0
	ds_read_b32 v16, v15
	v_readfirstlane_b32 s6, v10
	v_readfirstlane_b32 s7, v11
	s_waitcnt lgkmcnt(0)
	s_nop 3
	global_store_dword v15, v16, s[6:7]
.LBB975_138:
	s_or_b64 exec, exec, s[4:5]
.LBB975_139:
	s_andn2_saveexec_b64 s[2:3], s[2:3]
	s_cbranch_execz .LBB975_141
; %bb.140:
	v_lshlrev_b32_e32 v15, 2, v0
	ds_read_b32 v16, v15
	v_readfirstlane_b32 s4, v12
	v_readfirstlane_b32 s5, v13
	s_waitcnt lgkmcnt(0)
	s_nop 3
	global_store_dword v15, v16, s[4:5]
.LBB975_141:
	s_or_b64 exec, exec, s[2:3]
	v_or_b32_e32 v15, 0x100, v0
	v_cmp_le_u32_e32 vcc, v6, v15
	s_and_saveexec_b64 s[2:3], vcc
	s_xor_b64 s[2:3], exec, s[2:3]
	s_cbranch_execz .LBB975_147
; %bb.142:
	v_cmp_le_u32_e32 vcc, v14, v15
	s_and_saveexec_b64 s[4:5], vcc
	s_xor_b64 s[4:5], exec, s[4:5]
	s_cbranch_execz .LBB975_144
; %bb.143:
	v_lshlrev_b32_e32 v15, 2, v0
	ds_read_b32 v15, v15 offset:1024
	v_add_co_u32_e32 v16, vcc, v1, v0
	v_addc_co_u32_e32 v17, vcc, 0, v8, vcc
	v_lshlrev_b64 v[16:17], 2, v[16:17]
	v_mov_b32_e32 v18, s9
	v_sub_co_u32_e32 v16, vcc, s8, v16
	v_subb_co_u32_e32 v17, vcc, v18, v17, vcc
	s_waitcnt lgkmcnt(0)
	global_store_dword v[16:17], v15, off offset:-1024
.LBB975_144:
	s_andn2_saveexec_b64 s[4:5], s[4:5]
	s_cbranch_execz .LBB975_146
; %bb.145:
	v_lshlrev_b32_e32 v15, 2, v0
	ds_read_b32 v16, v15 offset:1024
	v_readfirstlane_b32 s6, v10
	v_readfirstlane_b32 s7, v11
	s_waitcnt lgkmcnt(0)
	s_nop 3
	global_store_dword v15, v16, s[6:7] offset:1024
.LBB975_146:
	s_or_b64 exec, exec, s[4:5]
.LBB975_147:
	s_andn2_saveexec_b64 s[2:3], s[2:3]
	s_cbranch_execz .LBB975_149
; %bb.148:
	v_lshlrev_b32_e32 v15, 2, v0
	ds_read_b32 v16, v15 offset:1024
	v_readfirstlane_b32 s4, v12
	v_readfirstlane_b32 s5, v13
	s_waitcnt lgkmcnt(0)
	s_nop 3
	global_store_dword v15, v16, s[4:5] offset:1024
.LBB975_149:
	s_or_b64 exec, exec, s[2:3]
	v_or_b32_e32 v15, 0x200, v0
	v_cmp_le_u32_e32 vcc, v6, v15
	s_and_saveexec_b64 s[2:3], vcc
	s_xor_b64 s[2:3], exec, s[2:3]
	s_cbranch_execz .LBB975_155
; %bb.150:
	v_cmp_le_u32_e32 vcc, v14, v15
	s_and_saveexec_b64 s[4:5], vcc
	s_xor_b64 s[4:5], exec, s[4:5]
	s_cbranch_execz .LBB975_152
; %bb.151:
	v_lshlrev_b32_e32 v15, 2, v0
	ds_read_b32 v15, v15 offset:2048
	v_add_co_u32_e32 v16, vcc, v1, v0
	v_addc_co_u32_e32 v17, vcc, 0, v8, vcc
	v_lshlrev_b64 v[16:17], 2, v[16:17]
	v_mov_b32_e32 v18, s9
	v_sub_co_u32_e32 v16, vcc, s8, v16
	v_subb_co_u32_e32 v17, vcc, v18, v17, vcc
	s_waitcnt lgkmcnt(0)
	global_store_dword v[16:17], v15, off offset:-2048
.LBB975_152:
	s_andn2_saveexec_b64 s[4:5], s[4:5]
	s_cbranch_execz .LBB975_154
; %bb.153:
	v_lshlrev_b32_e32 v15, 2, v0
	ds_read_b32 v16, v15 offset:2048
	v_readfirstlane_b32 s6, v10
	v_readfirstlane_b32 s7, v11
	s_waitcnt lgkmcnt(0)
	s_nop 3
	global_store_dword v15, v16, s[6:7] offset:2048
.LBB975_154:
	s_or_b64 exec, exec, s[4:5]
.LBB975_155:
	s_andn2_saveexec_b64 s[2:3], s[2:3]
	s_cbranch_execz .LBB975_157
; %bb.156:
	v_lshlrev_b32_e32 v15, 2, v0
	ds_read_b32 v16, v15 offset:2048
	v_readfirstlane_b32 s4, v12
	v_readfirstlane_b32 s5, v13
	s_waitcnt lgkmcnt(0)
	s_nop 3
	global_store_dword v15, v16, s[4:5] offset:2048
.LBB975_157:
	;; [unrolled: 47-line block ×3, first 2 shown]
	s_or_b64 exec, exec, s[2:3]
	v_or_b32_e32 v15, 0x400, v0
	v_cmp_le_u32_e32 vcc, v6, v15
	s_and_saveexec_b64 s[2:3], vcc
	s_xor_b64 s[2:3], exec, s[2:3]
	s_cbranch_execz .LBB975_171
; %bb.166:
	v_cmp_le_u32_e32 vcc, v14, v15
	s_and_saveexec_b64 s[4:5], vcc
	s_xor_b64 s[4:5], exec, s[4:5]
	s_cbranch_execz .LBB975_168
; %bb.167:
	v_lshlrev_b32_e32 v15, 2, v0
	ds_read_b32 v15, v15 offset:4096
	v_add_co_u32_e32 v16, vcc, v1, v0
	v_addc_co_u32_e32 v17, vcc, 0, v8, vcc
	v_lshlrev_b64 v[16:17], 2, v[16:17]
	v_mov_b32_e32 v18, s9
	v_sub_co_u32_e32 v16, vcc, s8, v16
	v_subb_co_u32_e32 v17, vcc, v18, v17, vcc
	s_waitcnt lgkmcnt(0)
	global_store_dword v[16:17], v15, off offset:-4096
                                        ; implicit-def: $vgpr15
.LBB975_168:
	s_andn2_saveexec_b64 s[4:5], s[4:5]
	s_cbranch_execz .LBB975_170
; %bb.169:
	v_lshlrev_b32_e32 v16, 2, v0
	ds_read_b32 v16, v16 offset:4096
	v_lshlrev_b32_e32 v15, 2, v15
	v_readfirstlane_b32 s6, v10
	v_readfirstlane_b32 s7, v11
	s_waitcnt lgkmcnt(0)
	s_nop 3
	global_store_dword v15, v16, s[6:7]
.LBB975_170:
	s_or_b64 exec, exec, s[4:5]
                                        ; implicit-def: $vgpr15
.LBB975_171:
	s_andn2_saveexec_b64 s[2:3], s[2:3]
	s_cbranch_execz .LBB975_173
; %bb.172:
	v_lshlrev_b32_e32 v16, 2, v0
	ds_read_b32 v16, v16 offset:4096
	v_lshlrev_b32_e32 v15, 2, v15
	v_readfirstlane_b32 s4, v12
	v_readfirstlane_b32 s5, v13
	s_waitcnt lgkmcnt(0)
	s_nop 3
	global_store_dword v15, v16, s[4:5]
.LBB975_173:
	s_or_b64 exec, exec, s[2:3]
	v_or_b32_e32 v15, 0x500, v0
	v_cmp_le_u32_e32 vcc, v6, v15
	s_and_saveexec_b64 s[2:3], vcc
	s_xor_b64 s[2:3], exec, s[2:3]
	s_cbranch_execz .LBB975_179
; %bb.174:
	v_cmp_le_u32_e32 vcc, v14, v15
	s_and_saveexec_b64 s[4:5], vcc
	s_xor_b64 s[4:5], exec, s[4:5]
	s_cbranch_execz .LBB975_176
; %bb.175:
	v_add_co_u32_e32 v16, vcc, v1, v15
	v_lshlrev_b32_e32 v15, 2, v0
	ds_read_b32 v15, v15 offset:5120
	v_addc_co_u32_e32 v17, vcc, 0, v8, vcc
	v_lshlrev_b64 v[16:17], 2, v[16:17]
	v_mov_b32_e32 v18, s9
	v_sub_co_u32_e32 v16, vcc, s8, v16
	v_subb_co_u32_e32 v17, vcc, v18, v17, vcc
	s_waitcnt lgkmcnt(0)
	global_store_dword v[16:17], v15, off
                                        ; implicit-def: $vgpr15
.LBB975_176:
	s_andn2_saveexec_b64 s[4:5], s[4:5]
	s_cbranch_execz .LBB975_178
; %bb.177:
	v_lshlrev_b32_e32 v16, 2, v0
	ds_read_b32 v16, v16 offset:5120
	v_lshlrev_b32_e32 v15, 2, v15
	v_readfirstlane_b32 s6, v10
	v_readfirstlane_b32 s7, v11
	s_waitcnt lgkmcnt(0)
	s_nop 3
	global_store_dword v15, v16, s[6:7]
.LBB975_178:
	s_or_b64 exec, exec, s[4:5]
                                        ; implicit-def: $vgpr15
.LBB975_179:
	s_andn2_saveexec_b64 s[2:3], s[2:3]
	s_cbranch_execz .LBB975_181
; %bb.180:
	v_lshlrev_b32_e32 v16, 2, v0
	ds_read_b32 v16, v16 offset:5120
	v_lshlrev_b32_e32 v15, 2, v15
	v_readfirstlane_b32 s4, v12
	v_readfirstlane_b32 s5, v13
	s_waitcnt lgkmcnt(0)
	s_nop 3
	global_store_dword v15, v16, s[4:5]
.LBB975_181:
	s_or_b64 exec, exec, s[2:3]
	v_or_b32_e32 v15, 0x600, v0
	v_cmp_le_u32_e32 vcc, v6, v15
	s_and_saveexec_b64 s[2:3], vcc
	s_xor_b64 s[2:3], exec, s[2:3]
	s_cbranch_execz .LBB975_187
; %bb.182:
	v_cmp_le_u32_e32 vcc, v14, v15
	s_and_saveexec_b64 s[4:5], vcc
	s_xor_b64 s[4:5], exec, s[4:5]
	s_cbranch_execz .LBB975_184
; %bb.183:
	v_add_co_u32_e32 v16, vcc, v1, v15
	v_lshlrev_b32_e32 v15, 2, v0
	ds_read_b32 v15, v15 offset:6144
	v_addc_co_u32_e32 v17, vcc, 0, v8, vcc
	v_lshlrev_b64 v[16:17], 2, v[16:17]
	v_mov_b32_e32 v18, s9
	v_sub_co_u32_e32 v16, vcc, s8, v16
	v_subb_co_u32_e32 v17, vcc, v18, v17, vcc
	s_waitcnt lgkmcnt(0)
	global_store_dword v[16:17], v15, off
                                        ; implicit-def: $vgpr15
.LBB975_184:
	s_andn2_saveexec_b64 s[4:5], s[4:5]
	s_cbranch_execz .LBB975_186
; %bb.185:
	v_lshlrev_b32_e32 v16, 2, v0
	ds_read_b32 v16, v16 offset:6144
	v_lshlrev_b32_e32 v15, 2, v15
	v_readfirstlane_b32 s6, v10
	v_readfirstlane_b32 s7, v11
	s_waitcnt lgkmcnt(0)
	s_nop 3
	global_store_dword v15, v16, s[6:7]
.LBB975_186:
	s_or_b64 exec, exec, s[4:5]
                                        ; implicit-def: $vgpr15
.LBB975_187:
	;; [unrolled: 51-line block ×8, first 2 shown]
	s_andn2_saveexec_b64 s[2:3], s[2:3]
	s_cbranch_execz .LBB975_237
; %bb.236:
	v_lshlrev_b32_e32 v16, 2, v0
	ds_read_b32 v16, v16 offset:12288
	v_lshlrev_b32_e32 v15, 2, v15
	v_readfirstlane_b32 s4, v12
	v_readfirstlane_b32 s5, v13
	s_waitcnt lgkmcnt(0)
	s_nop 3
	global_store_dword v15, v16, s[4:5]
.LBB975_237:
	s_or_b64 exec, exec, s[2:3]
	s_branch .LBB975_131
.LBB975_238:
	v_cmp_gt_u32_e32 vcc, s16, v0
	s_and_saveexec_b64 s[2:3], vcc
	s_cbranch_execz .LBB975_247
; %bb.239:
	v_cmp_le_u32_e32 vcc, v6, v0
	s_and_saveexec_b64 s[4:5], vcc
	s_xor_b64 s[4:5], exec, s[4:5]
	s_cbranch_execz .LBB975_245
; %bb.240:
	v_cmp_le_u32_e32 vcc, v14, v0
	s_and_saveexec_b64 s[6:7], vcc
	s_xor_b64 s[6:7], exec, s[6:7]
	s_cbranch_execz .LBB975_242
; %bb.241:
	v_lshlrev_b32_e32 v15, 2, v0
	v_add_co_u32_e32 v16, vcc, v1, v0
	ds_read_b32 v15, v15
	v_addc_co_u32_e32 v17, vcc, 0, v8, vcc
	v_lshlrev_b64 v[16:17], 2, v[16:17]
	v_mov_b32_e32 v18, s35
	v_sub_co_u32_e32 v16, vcc, s34, v16
	v_subb_co_u32_e32 v17, vcc, v18, v17, vcc
	s_waitcnt lgkmcnt(0)
	global_store_dword v[16:17], v15, off offset:-4
.LBB975_242:
	s_andn2_saveexec_b64 s[6:7], s[6:7]
	s_cbranch_execz .LBB975_244
; %bb.243:
	v_lshlrev_b32_e32 v15, 2, v0
	ds_read_b32 v16, v15
	v_readfirstlane_b32 s10, v10
	v_readfirstlane_b32 s11, v11
	s_waitcnt lgkmcnt(0)
	s_nop 3
	global_store_dword v15, v16, s[10:11]
.LBB975_244:
	s_or_b64 exec, exec, s[6:7]
.LBB975_245:
	s_andn2_saveexec_b64 s[4:5], s[4:5]
	s_cbranch_execz .LBB975_247
; %bb.246:
	v_lshlrev_b32_e32 v15, 2, v0
	ds_read_b32 v16, v15
	v_readfirstlane_b32 s4, v12
	v_readfirstlane_b32 s5, v13
	s_waitcnt lgkmcnt(0)
	s_nop 3
	global_store_dword v15, v16, s[4:5]
.LBB975_247:
	s_or_b64 exec, exec, s[2:3]
	v_or_b32_e32 v15, 0x100, v0
	v_cmp_gt_u32_e32 vcc, s16, v15
	s_and_saveexec_b64 s[2:3], vcc
	s_cbranch_execz .LBB975_256
; %bb.248:
	v_cmp_le_u32_e32 vcc, v6, v15
	s_and_saveexec_b64 s[4:5], vcc
	s_xor_b64 s[4:5], exec, s[4:5]
	s_cbranch_execz .LBB975_254
; %bb.249:
	v_cmp_le_u32_e32 vcc, v14, v15
	s_and_saveexec_b64 s[6:7], vcc
	s_xor_b64 s[6:7], exec, s[6:7]
	s_cbranch_execz .LBB975_251
; %bb.250:
	v_lshlrev_b32_e32 v15, 2, v0
	ds_read_b32 v15, v15 offset:1024
	v_add_co_u32_e32 v16, vcc, v1, v0
	v_addc_co_u32_e32 v17, vcc, 0, v8, vcc
	v_lshlrev_b64 v[16:17], 2, v[16:17]
	v_mov_b32_e32 v18, s9
	v_sub_co_u32_e32 v16, vcc, s8, v16
	v_subb_co_u32_e32 v17, vcc, v18, v17, vcc
	s_waitcnt lgkmcnt(0)
	global_store_dword v[16:17], v15, off offset:-1024
.LBB975_251:
	s_andn2_saveexec_b64 s[6:7], s[6:7]
	s_cbranch_execz .LBB975_253
; %bb.252:
	v_lshlrev_b32_e32 v15, 2, v0
	ds_read_b32 v16, v15 offset:1024
	v_readfirstlane_b32 s10, v10
	v_readfirstlane_b32 s11, v11
	s_waitcnt lgkmcnt(0)
	s_nop 3
	global_store_dword v15, v16, s[10:11] offset:1024
.LBB975_253:
	s_or_b64 exec, exec, s[6:7]
.LBB975_254:
	s_andn2_saveexec_b64 s[4:5], s[4:5]
	s_cbranch_execz .LBB975_256
; %bb.255:
	v_lshlrev_b32_e32 v15, 2, v0
	ds_read_b32 v16, v15 offset:1024
	v_readfirstlane_b32 s4, v12
	v_readfirstlane_b32 s5, v13
	s_waitcnt lgkmcnt(0)
	s_nop 3
	global_store_dword v15, v16, s[4:5] offset:1024
.LBB975_256:
	s_or_b64 exec, exec, s[2:3]
	v_or_b32_e32 v15, 0x200, v0
	v_cmp_gt_u32_e32 vcc, s16, v15
	s_and_saveexec_b64 s[2:3], vcc
	s_cbranch_execz .LBB975_265
; %bb.257:
	v_cmp_le_u32_e32 vcc, v6, v15
	s_and_saveexec_b64 s[4:5], vcc
	s_xor_b64 s[4:5], exec, s[4:5]
	s_cbranch_execz .LBB975_263
; %bb.258:
	v_cmp_le_u32_e32 vcc, v14, v15
	s_and_saveexec_b64 s[6:7], vcc
	s_xor_b64 s[6:7], exec, s[6:7]
	s_cbranch_execz .LBB975_260
; %bb.259:
	v_lshlrev_b32_e32 v15, 2, v0
	ds_read_b32 v15, v15 offset:2048
	v_add_co_u32_e32 v16, vcc, v1, v0
	v_addc_co_u32_e32 v17, vcc, 0, v8, vcc
	v_lshlrev_b64 v[16:17], 2, v[16:17]
	v_mov_b32_e32 v18, s9
	v_sub_co_u32_e32 v16, vcc, s8, v16
	v_subb_co_u32_e32 v17, vcc, v18, v17, vcc
	s_waitcnt lgkmcnt(0)
	global_store_dword v[16:17], v15, off offset:-2048
.LBB975_260:
	s_andn2_saveexec_b64 s[6:7], s[6:7]
	s_cbranch_execz .LBB975_262
; %bb.261:
	v_lshlrev_b32_e32 v15, 2, v0
	ds_read_b32 v16, v15 offset:2048
	v_readfirstlane_b32 s10, v10
	v_readfirstlane_b32 s11, v11
	s_waitcnt lgkmcnt(0)
	s_nop 3
	global_store_dword v15, v16, s[10:11] offset:2048
.LBB975_262:
	s_or_b64 exec, exec, s[6:7]
.LBB975_263:
	s_andn2_saveexec_b64 s[4:5], s[4:5]
	s_cbranch_execz .LBB975_265
; %bb.264:
	v_lshlrev_b32_e32 v15, 2, v0
	ds_read_b32 v16, v15 offset:2048
	v_readfirstlane_b32 s4, v12
	v_readfirstlane_b32 s5, v13
	s_waitcnt lgkmcnt(0)
	s_nop 3
	global_store_dword v15, v16, s[4:5] offset:2048
.LBB975_265:
	;; [unrolled: 51-line block ×3, first 2 shown]
	s_or_b64 exec, exec, s[2:3]
	v_or_b32_e32 v15, 0x400, v0
	v_cmp_gt_u32_e32 vcc, s16, v15
	s_and_saveexec_b64 s[2:3], vcc
	s_cbranch_execz .LBB975_283
; %bb.275:
	v_cmp_le_u32_e32 vcc, v6, v15
	s_and_saveexec_b64 s[4:5], vcc
	s_xor_b64 s[4:5], exec, s[4:5]
	s_cbranch_execz .LBB975_281
; %bb.276:
	v_cmp_le_u32_e32 vcc, v14, v15
	s_and_saveexec_b64 s[6:7], vcc
	s_xor_b64 s[6:7], exec, s[6:7]
	s_cbranch_execz .LBB975_278
; %bb.277:
	v_lshlrev_b32_e32 v15, 2, v0
	ds_read_b32 v15, v15 offset:4096
	v_add_co_u32_e32 v16, vcc, v1, v0
	v_addc_co_u32_e32 v17, vcc, 0, v8, vcc
	v_lshlrev_b64 v[16:17], 2, v[16:17]
	v_mov_b32_e32 v18, s9
	v_sub_co_u32_e32 v16, vcc, s8, v16
	v_subb_co_u32_e32 v17, vcc, v18, v17, vcc
	s_waitcnt lgkmcnt(0)
	global_store_dword v[16:17], v15, off offset:-4096
                                        ; implicit-def: $vgpr15
.LBB975_278:
	s_andn2_saveexec_b64 s[6:7], s[6:7]
	s_cbranch_execz .LBB975_280
; %bb.279:
	v_lshlrev_b32_e32 v16, 2, v0
	ds_read_b32 v16, v16 offset:4096
	v_lshlrev_b32_e32 v15, 2, v15
	v_readfirstlane_b32 s10, v10
	v_readfirstlane_b32 s11, v11
	s_waitcnt lgkmcnt(0)
	s_nop 3
	global_store_dword v15, v16, s[10:11]
.LBB975_280:
	s_or_b64 exec, exec, s[6:7]
                                        ; implicit-def: $vgpr15
.LBB975_281:
	s_andn2_saveexec_b64 s[4:5], s[4:5]
	s_cbranch_execz .LBB975_283
; %bb.282:
	v_lshlrev_b32_e32 v16, 2, v0
	ds_read_b32 v16, v16 offset:4096
	v_lshlrev_b32_e32 v15, 2, v15
	v_readfirstlane_b32 s4, v12
	v_readfirstlane_b32 s5, v13
	s_waitcnt lgkmcnt(0)
	s_nop 3
	global_store_dword v15, v16, s[4:5]
.LBB975_283:
	s_or_b64 exec, exec, s[2:3]
	v_or_b32_e32 v15, 0x500, v0
	v_cmp_gt_u32_e32 vcc, s16, v15
	s_and_saveexec_b64 s[2:3], vcc
	s_cbranch_execz .LBB975_292
; %bb.284:
	v_cmp_le_u32_e32 vcc, v6, v15
	s_and_saveexec_b64 s[4:5], vcc
	s_xor_b64 s[4:5], exec, s[4:5]
	s_cbranch_execz .LBB975_290
; %bb.285:
	v_cmp_le_u32_e32 vcc, v14, v15
	s_and_saveexec_b64 s[6:7], vcc
	s_xor_b64 s[6:7], exec, s[6:7]
	s_cbranch_execz .LBB975_287
; %bb.286:
	v_add_co_u32_e32 v16, vcc, v1, v15
	v_lshlrev_b32_e32 v15, 2, v0
	ds_read_b32 v15, v15 offset:5120
	v_addc_co_u32_e32 v17, vcc, 0, v8, vcc
	v_lshlrev_b64 v[16:17], 2, v[16:17]
	v_mov_b32_e32 v18, s9
	v_sub_co_u32_e32 v16, vcc, s8, v16
	v_subb_co_u32_e32 v17, vcc, v18, v17, vcc
	s_waitcnt lgkmcnt(0)
	global_store_dword v[16:17], v15, off
                                        ; implicit-def: $vgpr15
.LBB975_287:
	s_andn2_saveexec_b64 s[6:7], s[6:7]
	s_cbranch_execz .LBB975_289
; %bb.288:
	v_lshlrev_b32_e32 v16, 2, v0
	ds_read_b32 v16, v16 offset:5120
	v_lshlrev_b32_e32 v15, 2, v15
	v_readfirstlane_b32 s10, v10
	v_readfirstlane_b32 s11, v11
	s_waitcnt lgkmcnt(0)
	s_nop 3
	global_store_dword v15, v16, s[10:11]
.LBB975_289:
	s_or_b64 exec, exec, s[6:7]
                                        ; implicit-def: $vgpr15
.LBB975_290:
	s_andn2_saveexec_b64 s[4:5], s[4:5]
	s_cbranch_execz .LBB975_292
; %bb.291:
	v_lshlrev_b32_e32 v16, 2, v0
	ds_read_b32 v16, v16 offset:5120
	v_lshlrev_b32_e32 v15, 2, v15
	v_readfirstlane_b32 s4, v12
	v_readfirstlane_b32 s5, v13
	s_waitcnt lgkmcnt(0)
	s_nop 3
	global_store_dword v15, v16, s[4:5]
.LBB975_292:
	s_or_b64 exec, exec, s[2:3]
	v_or_b32_e32 v15, 0x600, v0
	v_cmp_gt_u32_e32 vcc, s16, v15
	s_and_saveexec_b64 s[2:3], vcc
	s_cbranch_execz .LBB975_301
; %bb.293:
	v_cmp_le_u32_e32 vcc, v6, v15
	s_and_saveexec_b64 s[4:5], vcc
	s_xor_b64 s[4:5], exec, s[4:5]
	s_cbranch_execz .LBB975_299
; %bb.294:
	v_cmp_le_u32_e32 vcc, v14, v15
	s_and_saveexec_b64 s[6:7], vcc
	s_xor_b64 s[6:7], exec, s[6:7]
	s_cbranch_execz .LBB975_296
; %bb.295:
	v_add_co_u32_e32 v16, vcc, v1, v15
	v_lshlrev_b32_e32 v15, 2, v0
	ds_read_b32 v15, v15 offset:6144
	v_addc_co_u32_e32 v17, vcc, 0, v8, vcc
	v_lshlrev_b64 v[16:17], 2, v[16:17]
	v_mov_b32_e32 v18, s9
	v_sub_co_u32_e32 v16, vcc, s8, v16
	v_subb_co_u32_e32 v17, vcc, v18, v17, vcc
	s_waitcnt lgkmcnt(0)
	global_store_dword v[16:17], v15, off
                                        ; implicit-def: $vgpr15
.LBB975_296:
	s_andn2_saveexec_b64 s[6:7], s[6:7]
	s_cbranch_execz .LBB975_298
; %bb.297:
	v_lshlrev_b32_e32 v16, 2, v0
	ds_read_b32 v16, v16 offset:6144
	v_lshlrev_b32_e32 v15, 2, v15
	v_readfirstlane_b32 s10, v10
	v_readfirstlane_b32 s11, v11
	s_waitcnt lgkmcnt(0)
	s_nop 3
	global_store_dword v15, v16, s[10:11]
.LBB975_298:
	s_or_b64 exec, exec, s[6:7]
                                        ; implicit-def: $vgpr15
.LBB975_299:
	s_andn2_saveexec_b64 s[4:5], s[4:5]
	s_cbranch_execz .LBB975_301
; %bb.300:
	v_lshlrev_b32_e32 v16, 2, v0
	ds_read_b32 v16, v16 offset:6144
	v_lshlrev_b32_e32 v15, 2, v15
	v_readfirstlane_b32 s4, v12
	v_readfirstlane_b32 s5, v13
	s_waitcnt lgkmcnt(0)
	s_nop 3
	global_store_dword v15, v16, s[4:5]
.LBB975_301:
	;; [unrolled: 55-line block ×7, first 2 shown]
	s_or_b64 exec, exec, s[2:3]
	v_or_b32_e32 v15, 0xc00, v0
	v_cmp_gt_u32_e32 vcc, s16, v15
	s_and_saveexec_b64 s[2:3], vcc
	s_cbranch_execz .LBB975_355
; %bb.347:
	v_cmp_le_u32_e32 vcc, v6, v15
	s_and_saveexec_b64 s[4:5], vcc
	s_xor_b64 s[4:5], exec, s[4:5]
	s_cbranch_execz .LBB975_353
; %bb.348:
	v_cmp_le_u32_e32 vcc, v14, v15
	s_and_saveexec_b64 s[6:7], vcc
	s_xor_b64 s[6:7], exec, s[6:7]
	s_cbranch_execz .LBB975_350
; %bb.349:
	v_add_co_u32_e32 v10, vcc, v1, v15
	v_lshlrev_b32_e32 v0, 2, v0
	v_addc_co_u32_e32 v11, vcc, 0, v8, vcc
	ds_read_b32 v8, v0 offset:12288
	v_lshlrev_b64 v[0:1], 2, v[10:11]
	v_mov_b32_e32 v10, s9
	v_sub_co_u32_e32 v0, vcc, s8, v0
	v_subb_co_u32_e32 v1, vcc, v10, v1, vcc
	s_waitcnt lgkmcnt(0)
	global_store_dword v[0:1], v8, off
                                        ; implicit-def: $vgpr0
                                        ; implicit-def: $vgpr15
                                        ; implicit-def: $vgpr10_vgpr11
.LBB975_350:
	s_andn2_saveexec_b64 s[6:7], s[6:7]
	s_cbranch_execz .LBB975_352
; %bb.351:
	v_lshlrev_b32_e32 v0, 2, v0
	ds_read_b32 v0, v0 offset:12288
	v_lshlrev_b32_e32 v1, 2, v15
	v_readfirstlane_b32 s8, v10
	v_readfirstlane_b32 s9, v11
	s_waitcnt lgkmcnt(0)
	s_nop 3
	global_store_dword v1, v0, s[8:9]
.LBB975_352:
	s_or_b64 exec, exec, s[6:7]
                                        ; implicit-def: $vgpr0
                                        ; implicit-def: $vgpr15
                                        ; implicit-def: $vgpr12_vgpr13
.LBB975_353:
	s_andn2_saveexec_b64 s[4:5], s[4:5]
	s_cbranch_execz .LBB975_355
; %bb.354:
	v_lshlrev_b32_e32 v0, 2, v0
	ds_read_b32 v0, v0 offset:12288
	v_lshlrev_b32_e32 v1, 2, v15
	v_readfirstlane_b32 s4, v12
	v_readfirstlane_b32 s5, v13
	s_waitcnt lgkmcnt(0)
	s_nop 3
	global_store_dword v1, v0, s[4:5]
.LBB975_355:
	s_or_b64 exec, exec, s[2:3]
	s_and_b64 s[0:1], s[0:1], s[30:31]
	s_and_saveexec_b64 s[2:3], s[0:1]
	s_cbranch_execz .LBB975_132
.LBB975_356:
	v_add_co_u32_e32 v0, vcc, v2, v6
	v_addc_co_u32_e32 v1, vcc, 0, v3, vcc
	v_add_co_u32_e32 v2, vcc, v4, v7
	v_addc_co_u32_e32 v3, vcc, 0, v5, vcc
	v_add_co_u32_e32 v2, vcc, v2, v9
	v_mov_b32_e32 v8, 0
	v_addc_co_u32_e32 v3, vcc, 0, v3, vcc
	global_store_dwordx4 v8, v[0:3], s[28:29]
	s_endpgm
	.section	.rodata,"a",@progbits
	.p2align	6, 0x0
	.amdhsa_kernel _ZN7rocprim17ROCPRIM_400000_NS6detail17trampoline_kernelINS0_13select_configILj256ELj13ELNS0_17block_load_methodE3ELS4_3ELS4_3ELNS0_20block_scan_algorithmE0ELj4294967295EEENS1_25partition_config_selectorILNS1_17partition_subalgoE4EjNS0_10empty_typeEbEEZZNS1_14partition_implILS8_4ELb0ES6_15HIP_vector_typeIjLj2EENS0_17counting_iteratorIjlEEPS9_SG_NS0_5tupleIJPjSI_NS0_16reverse_iteratorISI_EEEEENSH_IJSG_SG_SG_EEES9_SI_JZNS1_25segmented_radix_sort_implINS0_14default_configELb0EPKsPsPKlPlN2at6native12_GLOBAL__N_18offset_tEEE10hipError_tPvRmT1_PNSt15iterator_traitsIS12_E10value_typeET2_T3_PNS13_IS18_E10value_typeET4_jRbjT5_S1E_jjP12ihipStream_tbEUljE_ZNSN_ISO_Lb0ESQ_SR_ST_SU_SY_EESZ_S10_S11_S12_S16_S17_S18_S1B_S1C_jS1D_jS1E_S1E_jjS1G_bEUljE0_EEESZ_S10_S11_S18_S1C_S1E_T6_T7_T9_mT8_S1G_bDpT10_ENKUlT_T0_E_clISt17integral_constantIbLb0EES1T_IbLb1EEEEDaS1P_S1Q_EUlS1P_E_NS1_11comp_targetILNS1_3genE4ELNS1_11target_archE910ELNS1_3gpuE8ELNS1_3repE0EEENS1_30default_config_static_selectorELNS0_4arch9wavefront6targetE1EEEvS12_
		.amdhsa_group_segment_fixed_size 13340
		.amdhsa_private_segment_fixed_size 0
		.amdhsa_kernarg_size 184
		.amdhsa_user_sgpr_count 6
		.amdhsa_user_sgpr_private_segment_buffer 1
		.amdhsa_user_sgpr_dispatch_ptr 0
		.amdhsa_user_sgpr_queue_ptr 0
		.amdhsa_user_sgpr_kernarg_segment_ptr 1
		.amdhsa_user_sgpr_dispatch_id 0
		.amdhsa_user_sgpr_flat_scratch_init 0
		.amdhsa_user_sgpr_kernarg_preload_length 0
		.amdhsa_user_sgpr_kernarg_preload_offset 0
		.amdhsa_user_sgpr_private_segment_size 0
		.amdhsa_uses_dynamic_stack 0
		.amdhsa_system_sgpr_private_segment_wavefront_offset 0
		.amdhsa_system_sgpr_workgroup_id_x 1
		.amdhsa_system_sgpr_workgroup_id_y 0
		.amdhsa_system_sgpr_workgroup_id_z 0
		.amdhsa_system_sgpr_workgroup_info 0
		.amdhsa_system_vgpr_workitem_id 0
		.amdhsa_next_free_vgpr 107
		.amdhsa_next_free_sgpr 87
		.amdhsa_accum_offset 108
		.amdhsa_reserve_vcc 1
		.amdhsa_reserve_flat_scratch 0
		.amdhsa_float_round_mode_32 0
		.amdhsa_float_round_mode_16_64 0
		.amdhsa_float_denorm_mode_32 3
		.amdhsa_float_denorm_mode_16_64 3
		.amdhsa_dx10_clamp 1
		.amdhsa_ieee_mode 1
		.amdhsa_fp16_overflow 0
		.amdhsa_tg_split 0
		.amdhsa_exception_fp_ieee_invalid_op 0
		.amdhsa_exception_fp_denorm_src 0
		.amdhsa_exception_fp_ieee_div_zero 0
		.amdhsa_exception_fp_ieee_overflow 0
		.amdhsa_exception_fp_ieee_underflow 0
		.amdhsa_exception_fp_ieee_inexact 0
		.amdhsa_exception_int_div_zero 0
	.end_amdhsa_kernel
	.section	.text._ZN7rocprim17ROCPRIM_400000_NS6detail17trampoline_kernelINS0_13select_configILj256ELj13ELNS0_17block_load_methodE3ELS4_3ELS4_3ELNS0_20block_scan_algorithmE0ELj4294967295EEENS1_25partition_config_selectorILNS1_17partition_subalgoE4EjNS0_10empty_typeEbEEZZNS1_14partition_implILS8_4ELb0ES6_15HIP_vector_typeIjLj2EENS0_17counting_iteratorIjlEEPS9_SG_NS0_5tupleIJPjSI_NS0_16reverse_iteratorISI_EEEEENSH_IJSG_SG_SG_EEES9_SI_JZNS1_25segmented_radix_sort_implINS0_14default_configELb0EPKsPsPKlPlN2at6native12_GLOBAL__N_18offset_tEEE10hipError_tPvRmT1_PNSt15iterator_traitsIS12_E10value_typeET2_T3_PNS13_IS18_E10value_typeET4_jRbjT5_S1E_jjP12ihipStream_tbEUljE_ZNSN_ISO_Lb0ESQ_SR_ST_SU_SY_EESZ_S10_S11_S12_S16_S17_S18_S1B_S1C_jS1D_jS1E_S1E_jjS1G_bEUljE0_EEESZ_S10_S11_S18_S1C_S1E_T6_T7_T9_mT8_S1G_bDpT10_ENKUlT_T0_E_clISt17integral_constantIbLb0EES1T_IbLb1EEEEDaS1P_S1Q_EUlS1P_E_NS1_11comp_targetILNS1_3genE4ELNS1_11target_archE910ELNS1_3gpuE8ELNS1_3repE0EEENS1_30default_config_static_selectorELNS0_4arch9wavefront6targetE1EEEvS12_,"axG",@progbits,_ZN7rocprim17ROCPRIM_400000_NS6detail17trampoline_kernelINS0_13select_configILj256ELj13ELNS0_17block_load_methodE3ELS4_3ELS4_3ELNS0_20block_scan_algorithmE0ELj4294967295EEENS1_25partition_config_selectorILNS1_17partition_subalgoE4EjNS0_10empty_typeEbEEZZNS1_14partition_implILS8_4ELb0ES6_15HIP_vector_typeIjLj2EENS0_17counting_iteratorIjlEEPS9_SG_NS0_5tupleIJPjSI_NS0_16reverse_iteratorISI_EEEEENSH_IJSG_SG_SG_EEES9_SI_JZNS1_25segmented_radix_sort_implINS0_14default_configELb0EPKsPsPKlPlN2at6native12_GLOBAL__N_18offset_tEEE10hipError_tPvRmT1_PNSt15iterator_traitsIS12_E10value_typeET2_T3_PNS13_IS18_E10value_typeET4_jRbjT5_S1E_jjP12ihipStream_tbEUljE_ZNSN_ISO_Lb0ESQ_SR_ST_SU_SY_EESZ_S10_S11_S12_S16_S17_S18_S1B_S1C_jS1D_jS1E_S1E_jjS1G_bEUljE0_EEESZ_S10_S11_S18_S1C_S1E_T6_T7_T9_mT8_S1G_bDpT10_ENKUlT_T0_E_clISt17integral_constantIbLb0EES1T_IbLb1EEEEDaS1P_S1Q_EUlS1P_E_NS1_11comp_targetILNS1_3genE4ELNS1_11target_archE910ELNS1_3gpuE8ELNS1_3repE0EEENS1_30default_config_static_selectorELNS0_4arch9wavefront6targetE1EEEvS12_,comdat
.Lfunc_end975:
	.size	_ZN7rocprim17ROCPRIM_400000_NS6detail17trampoline_kernelINS0_13select_configILj256ELj13ELNS0_17block_load_methodE3ELS4_3ELS4_3ELNS0_20block_scan_algorithmE0ELj4294967295EEENS1_25partition_config_selectorILNS1_17partition_subalgoE4EjNS0_10empty_typeEbEEZZNS1_14partition_implILS8_4ELb0ES6_15HIP_vector_typeIjLj2EENS0_17counting_iteratorIjlEEPS9_SG_NS0_5tupleIJPjSI_NS0_16reverse_iteratorISI_EEEEENSH_IJSG_SG_SG_EEES9_SI_JZNS1_25segmented_radix_sort_implINS0_14default_configELb0EPKsPsPKlPlN2at6native12_GLOBAL__N_18offset_tEEE10hipError_tPvRmT1_PNSt15iterator_traitsIS12_E10value_typeET2_T3_PNS13_IS18_E10value_typeET4_jRbjT5_S1E_jjP12ihipStream_tbEUljE_ZNSN_ISO_Lb0ESQ_SR_ST_SU_SY_EESZ_S10_S11_S12_S16_S17_S18_S1B_S1C_jS1D_jS1E_S1E_jjS1G_bEUljE0_EEESZ_S10_S11_S18_S1C_S1E_T6_T7_T9_mT8_S1G_bDpT10_ENKUlT_T0_E_clISt17integral_constantIbLb0EES1T_IbLb1EEEEDaS1P_S1Q_EUlS1P_E_NS1_11comp_targetILNS1_3genE4ELNS1_11target_archE910ELNS1_3gpuE8ELNS1_3repE0EEENS1_30default_config_static_selectorELNS0_4arch9wavefront6targetE1EEEvS12_, .Lfunc_end975-_ZN7rocprim17ROCPRIM_400000_NS6detail17trampoline_kernelINS0_13select_configILj256ELj13ELNS0_17block_load_methodE3ELS4_3ELS4_3ELNS0_20block_scan_algorithmE0ELj4294967295EEENS1_25partition_config_selectorILNS1_17partition_subalgoE4EjNS0_10empty_typeEbEEZZNS1_14partition_implILS8_4ELb0ES6_15HIP_vector_typeIjLj2EENS0_17counting_iteratorIjlEEPS9_SG_NS0_5tupleIJPjSI_NS0_16reverse_iteratorISI_EEEEENSH_IJSG_SG_SG_EEES9_SI_JZNS1_25segmented_radix_sort_implINS0_14default_configELb0EPKsPsPKlPlN2at6native12_GLOBAL__N_18offset_tEEE10hipError_tPvRmT1_PNSt15iterator_traitsIS12_E10value_typeET2_T3_PNS13_IS18_E10value_typeET4_jRbjT5_S1E_jjP12ihipStream_tbEUljE_ZNSN_ISO_Lb0ESQ_SR_ST_SU_SY_EESZ_S10_S11_S12_S16_S17_S18_S1B_S1C_jS1D_jS1E_S1E_jjS1G_bEUljE0_EEESZ_S10_S11_S18_S1C_S1E_T6_T7_T9_mT8_S1G_bDpT10_ENKUlT_T0_E_clISt17integral_constantIbLb0EES1T_IbLb1EEEEDaS1P_S1Q_EUlS1P_E_NS1_11comp_targetILNS1_3genE4ELNS1_11target_archE910ELNS1_3gpuE8ELNS1_3repE0EEENS1_30default_config_static_selectorELNS0_4arch9wavefront6targetE1EEEvS12_
                                        ; -- End function
	.section	.AMDGPU.csdata,"",@progbits
; Kernel info:
; codeLenInByte = 13432
; NumSgprs: 91
; NumVgprs: 107
; NumAgprs: 0
; TotalNumVgprs: 107
; ScratchSize: 0
; MemoryBound: 0
; FloatMode: 240
; IeeeMode: 1
; LDSByteSize: 13340 bytes/workgroup (compile time only)
; SGPRBlocks: 11
; VGPRBlocks: 13
; NumSGPRsForWavesPerEU: 91
; NumVGPRsForWavesPerEU: 107
; AccumOffset: 108
; Occupancy: 4
; WaveLimiterHint : 1
; COMPUTE_PGM_RSRC2:SCRATCH_EN: 0
; COMPUTE_PGM_RSRC2:USER_SGPR: 6
; COMPUTE_PGM_RSRC2:TRAP_HANDLER: 0
; COMPUTE_PGM_RSRC2:TGID_X_EN: 1
; COMPUTE_PGM_RSRC2:TGID_Y_EN: 0
; COMPUTE_PGM_RSRC2:TGID_Z_EN: 0
; COMPUTE_PGM_RSRC2:TIDIG_COMP_CNT: 0
; COMPUTE_PGM_RSRC3_GFX90A:ACCUM_OFFSET: 26
; COMPUTE_PGM_RSRC3_GFX90A:TG_SPLIT: 0
	.section	.text._ZN7rocprim17ROCPRIM_400000_NS6detail17trampoline_kernelINS0_13select_configILj256ELj13ELNS0_17block_load_methodE3ELS4_3ELS4_3ELNS0_20block_scan_algorithmE0ELj4294967295EEENS1_25partition_config_selectorILNS1_17partition_subalgoE4EjNS0_10empty_typeEbEEZZNS1_14partition_implILS8_4ELb0ES6_15HIP_vector_typeIjLj2EENS0_17counting_iteratorIjlEEPS9_SG_NS0_5tupleIJPjSI_NS0_16reverse_iteratorISI_EEEEENSH_IJSG_SG_SG_EEES9_SI_JZNS1_25segmented_radix_sort_implINS0_14default_configELb0EPKsPsPKlPlN2at6native12_GLOBAL__N_18offset_tEEE10hipError_tPvRmT1_PNSt15iterator_traitsIS12_E10value_typeET2_T3_PNS13_IS18_E10value_typeET4_jRbjT5_S1E_jjP12ihipStream_tbEUljE_ZNSN_ISO_Lb0ESQ_SR_ST_SU_SY_EESZ_S10_S11_S12_S16_S17_S18_S1B_S1C_jS1D_jS1E_S1E_jjS1G_bEUljE0_EEESZ_S10_S11_S18_S1C_S1E_T6_T7_T9_mT8_S1G_bDpT10_ENKUlT_T0_E_clISt17integral_constantIbLb0EES1T_IbLb1EEEEDaS1P_S1Q_EUlS1P_E_NS1_11comp_targetILNS1_3genE3ELNS1_11target_archE908ELNS1_3gpuE7ELNS1_3repE0EEENS1_30default_config_static_selectorELNS0_4arch9wavefront6targetE1EEEvS12_,"axG",@progbits,_ZN7rocprim17ROCPRIM_400000_NS6detail17trampoline_kernelINS0_13select_configILj256ELj13ELNS0_17block_load_methodE3ELS4_3ELS4_3ELNS0_20block_scan_algorithmE0ELj4294967295EEENS1_25partition_config_selectorILNS1_17partition_subalgoE4EjNS0_10empty_typeEbEEZZNS1_14partition_implILS8_4ELb0ES6_15HIP_vector_typeIjLj2EENS0_17counting_iteratorIjlEEPS9_SG_NS0_5tupleIJPjSI_NS0_16reverse_iteratorISI_EEEEENSH_IJSG_SG_SG_EEES9_SI_JZNS1_25segmented_radix_sort_implINS0_14default_configELb0EPKsPsPKlPlN2at6native12_GLOBAL__N_18offset_tEEE10hipError_tPvRmT1_PNSt15iterator_traitsIS12_E10value_typeET2_T3_PNS13_IS18_E10value_typeET4_jRbjT5_S1E_jjP12ihipStream_tbEUljE_ZNSN_ISO_Lb0ESQ_SR_ST_SU_SY_EESZ_S10_S11_S12_S16_S17_S18_S1B_S1C_jS1D_jS1E_S1E_jjS1G_bEUljE0_EEESZ_S10_S11_S18_S1C_S1E_T6_T7_T9_mT8_S1G_bDpT10_ENKUlT_T0_E_clISt17integral_constantIbLb0EES1T_IbLb1EEEEDaS1P_S1Q_EUlS1P_E_NS1_11comp_targetILNS1_3genE3ELNS1_11target_archE908ELNS1_3gpuE7ELNS1_3repE0EEENS1_30default_config_static_selectorELNS0_4arch9wavefront6targetE1EEEvS12_,comdat
	.globl	_ZN7rocprim17ROCPRIM_400000_NS6detail17trampoline_kernelINS0_13select_configILj256ELj13ELNS0_17block_load_methodE3ELS4_3ELS4_3ELNS0_20block_scan_algorithmE0ELj4294967295EEENS1_25partition_config_selectorILNS1_17partition_subalgoE4EjNS0_10empty_typeEbEEZZNS1_14partition_implILS8_4ELb0ES6_15HIP_vector_typeIjLj2EENS0_17counting_iteratorIjlEEPS9_SG_NS0_5tupleIJPjSI_NS0_16reverse_iteratorISI_EEEEENSH_IJSG_SG_SG_EEES9_SI_JZNS1_25segmented_radix_sort_implINS0_14default_configELb0EPKsPsPKlPlN2at6native12_GLOBAL__N_18offset_tEEE10hipError_tPvRmT1_PNSt15iterator_traitsIS12_E10value_typeET2_T3_PNS13_IS18_E10value_typeET4_jRbjT5_S1E_jjP12ihipStream_tbEUljE_ZNSN_ISO_Lb0ESQ_SR_ST_SU_SY_EESZ_S10_S11_S12_S16_S17_S18_S1B_S1C_jS1D_jS1E_S1E_jjS1G_bEUljE0_EEESZ_S10_S11_S18_S1C_S1E_T6_T7_T9_mT8_S1G_bDpT10_ENKUlT_T0_E_clISt17integral_constantIbLb0EES1T_IbLb1EEEEDaS1P_S1Q_EUlS1P_E_NS1_11comp_targetILNS1_3genE3ELNS1_11target_archE908ELNS1_3gpuE7ELNS1_3repE0EEENS1_30default_config_static_selectorELNS0_4arch9wavefront6targetE1EEEvS12_ ; -- Begin function _ZN7rocprim17ROCPRIM_400000_NS6detail17trampoline_kernelINS0_13select_configILj256ELj13ELNS0_17block_load_methodE3ELS4_3ELS4_3ELNS0_20block_scan_algorithmE0ELj4294967295EEENS1_25partition_config_selectorILNS1_17partition_subalgoE4EjNS0_10empty_typeEbEEZZNS1_14partition_implILS8_4ELb0ES6_15HIP_vector_typeIjLj2EENS0_17counting_iteratorIjlEEPS9_SG_NS0_5tupleIJPjSI_NS0_16reverse_iteratorISI_EEEEENSH_IJSG_SG_SG_EEES9_SI_JZNS1_25segmented_radix_sort_implINS0_14default_configELb0EPKsPsPKlPlN2at6native12_GLOBAL__N_18offset_tEEE10hipError_tPvRmT1_PNSt15iterator_traitsIS12_E10value_typeET2_T3_PNS13_IS18_E10value_typeET4_jRbjT5_S1E_jjP12ihipStream_tbEUljE_ZNSN_ISO_Lb0ESQ_SR_ST_SU_SY_EESZ_S10_S11_S12_S16_S17_S18_S1B_S1C_jS1D_jS1E_S1E_jjS1G_bEUljE0_EEESZ_S10_S11_S18_S1C_S1E_T6_T7_T9_mT8_S1G_bDpT10_ENKUlT_T0_E_clISt17integral_constantIbLb0EES1T_IbLb1EEEEDaS1P_S1Q_EUlS1P_E_NS1_11comp_targetILNS1_3genE3ELNS1_11target_archE908ELNS1_3gpuE7ELNS1_3repE0EEENS1_30default_config_static_selectorELNS0_4arch9wavefront6targetE1EEEvS12_
	.p2align	8
	.type	_ZN7rocprim17ROCPRIM_400000_NS6detail17trampoline_kernelINS0_13select_configILj256ELj13ELNS0_17block_load_methodE3ELS4_3ELS4_3ELNS0_20block_scan_algorithmE0ELj4294967295EEENS1_25partition_config_selectorILNS1_17partition_subalgoE4EjNS0_10empty_typeEbEEZZNS1_14partition_implILS8_4ELb0ES6_15HIP_vector_typeIjLj2EENS0_17counting_iteratorIjlEEPS9_SG_NS0_5tupleIJPjSI_NS0_16reverse_iteratorISI_EEEEENSH_IJSG_SG_SG_EEES9_SI_JZNS1_25segmented_radix_sort_implINS0_14default_configELb0EPKsPsPKlPlN2at6native12_GLOBAL__N_18offset_tEEE10hipError_tPvRmT1_PNSt15iterator_traitsIS12_E10value_typeET2_T3_PNS13_IS18_E10value_typeET4_jRbjT5_S1E_jjP12ihipStream_tbEUljE_ZNSN_ISO_Lb0ESQ_SR_ST_SU_SY_EESZ_S10_S11_S12_S16_S17_S18_S1B_S1C_jS1D_jS1E_S1E_jjS1G_bEUljE0_EEESZ_S10_S11_S18_S1C_S1E_T6_T7_T9_mT8_S1G_bDpT10_ENKUlT_T0_E_clISt17integral_constantIbLb0EES1T_IbLb1EEEEDaS1P_S1Q_EUlS1P_E_NS1_11comp_targetILNS1_3genE3ELNS1_11target_archE908ELNS1_3gpuE7ELNS1_3repE0EEENS1_30default_config_static_selectorELNS0_4arch9wavefront6targetE1EEEvS12_,@function
_ZN7rocprim17ROCPRIM_400000_NS6detail17trampoline_kernelINS0_13select_configILj256ELj13ELNS0_17block_load_methodE3ELS4_3ELS4_3ELNS0_20block_scan_algorithmE0ELj4294967295EEENS1_25partition_config_selectorILNS1_17partition_subalgoE4EjNS0_10empty_typeEbEEZZNS1_14partition_implILS8_4ELb0ES6_15HIP_vector_typeIjLj2EENS0_17counting_iteratorIjlEEPS9_SG_NS0_5tupleIJPjSI_NS0_16reverse_iteratorISI_EEEEENSH_IJSG_SG_SG_EEES9_SI_JZNS1_25segmented_radix_sort_implINS0_14default_configELb0EPKsPsPKlPlN2at6native12_GLOBAL__N_18offset_tEEE10hipError_tPvRmT1_PNSt15iterator_traitsIS12_E10value_typeET2_T3_PNS13_IS18_E10value_typeET4_jRbjT5_S1E_jjP12ihipStream_tbEUljE_ZNSN_ISO_Lb0ESQ_SR_ST_SU_SY_EESZ_S10_S11_S12_S16_S17_S18_S1B_S1C_jS1D_jS1E_S1E_jjS1G_bEUljE0_EEESZ_S10_S11_S18_S1C_S1E_T6_T7_T9_mT8_S1G_bDpT10_ENKUlT_T0_E_clISt17integral_constantIbLb0EES1T_IbLb1EEEEDaS1P_S1Q_EUlS1P_E_NS1_11comp_targetILNS1_3genE3ELNS1_11target_archE908ELNS1_3gpuE7ELNS1_3repE0EEENS1_30default_config_static_selectorELNS0_4arch9wavefront6targetE1EEEvS12_: ; @_ZN7rocprim17ROCPRIM_400000_NS6detail17trampoline_kernelINS0_13select_configILj256ELj13ELNS0_17block_load_methodE3ELS4_3ELS4_3ELNS0_20block_scan_algorithmE0ELj4294967295EEENS1_25partition_config_selectorILNS1_17partition_subalgoE4EjNS0_10empty_typeEbEEZZNS1_14partition_implILS8_4ELb0ES6_15HIP_vector_typeIjLj2EENS0_17counting_iteratorIjlEEPS9_SG_NS0_5tupleIJPjSI_NS0_16reverse_iteratorISI_EEEEENSH_IJSG_SG_SG_EEES9_SI_JZNS1_25segmented_radix_sort_implINS0_14default_configELb0EPKsPsPKlPlN2at6native12_GLOBAL__N_18offset_tEEE10hipError_tPvRmT1_PNSt15iterator_traitsIS12_E10value_typeET2_T3_PNS13_IS18_E10value_typeET4_jRbjT5_S1E_jjP12ihipStream_tbEUljE_ZNSN_ISO_Lb0ESQ_SR_ST_SU_SY_EESZ_S10_S11_S12_S16_S17_S18_S1B_S1C_jS1D_jS1E_S1E_jjS1G_bEUljE0_EEESZ_S10_S11_S18_S1C_S1E_T6_T7_T9_mT8_S1G_bDpT10_ENKUlT_T0_E_clISt17integral_constantIbLb0EES1T_IbLb1EEEEDaS1P_S1Q_EUlS1P_E_NS1_11comp_targetILNS1_3genE3ELNS1_11target_archE908ELNS1_3gpuE7ELNS1_3repE0EEENS1_30default_config_static_selectorELNS0_4arch9wavefront6targetE1EEEvS12_
; %bb.0:
	.section	.rodata,"a",@progbits
	.p2align	6, 0x0
	.amdhsa_kernel _ZN7rocprim17ROCPRIM_400000_NS6detail17trampoline_kernelINS0_13select_configILj256ELj13ELNS0_17block_load_methodE3ELS4_3ELS4_3ELNS0_20block_scan_algorithmE0ELj4294967295EEENS1_25partition_config_selectorILNS1_17partition_subalgoE4EjNS0_10empty_typeEbEEZZNS1_14partition_implILS8_4ELb0ES6_15HIP_vector_typeIjLj2EENS0_17counting_iteratorIjlEEPS9_SG_NS0_5tupleIJPjSI_NS0_16reverse_iteratorISI_EEEEENSH_IJSG_SG_SG_EEES9_SI_JZNS1_25segmented_radix_sort_implINS0_14default_configELb0EPKsPsPKlPlN2at6native12_GLOBAL__N_18offset_tEEE10hipError_tPvRmT1_PNSt15iterator_traitsIS12_E10value_typeET2_T3_PNS13_IS18_E10value_typeET4_jRbjT5_S1E_jjP12ihipStream_tbEUljE_ZNSN_ISO_Lb0ESQ_SR_ST_SU_SY_EESZ_S10_S11_S12_S16_S17_S18_S1B_S1C_jS1D_jS1E_S1E_jjS1G_bEUljE0_EEESZ_S10_S11_S18_S1C_S1E_T6_T7_T9_mT8_S1G_bDpT10_ENKUlT_T0_E_clISt17integral_constantIbLb0EES1T_IbLb1EEEEDaS1P_S1Q_EUlS1P_E_NS1_11comp_targetILNS1_3genE3ELNS1_11target_archE908ELNS1_3gpuE7ELNS1_3repE0EEENS1_30default_config_static_selectorELNS0_4arch9wavefront6targetE1EEEvS12_
		.amdhsa_group_segment_fixed_size 0
		.amdhsa_private_segment_fixed_size 0
		.amdhsa_kernarg_size 184
		.amdhsa_user_sgpr_count 6
		.amdhsa_user_sgpr_private_segment_buffer 1
		.amdhsa_user_sgpr_dispatch_ptr 0
		.amdhsa_user_sgpr_queue_ptr 0
		.amdhsa_user_sgpr_kernarg_segment_ptr 1
		.amdhsa_user_sgpr_dispatch_id 0
		.amdhsa_user_sgpr_flat_scratch_init 0
		.amdhsa_user_sgpr_kernarg_preload_length 0
		.amdhsa_user_sgpr_kernarg_preload_offset 0
		.amdhsa_user_sgpr_private_segment_size 0
		.amdhsa_uses_dynamic_stack 0
		.amdhsa_system_sgpr_private_segment_wavefront_offset 0
		.amdhsa_system_sgpr_workgroup_id_x 1
		.amdhsa_system_sgpr_workgroup_id_y 0
		.amdhsa_system_sgpr_workgroup_id_z 0
		.amdhsa_system_sgpr_workgroup_info 0
		.amdhsa_system_vgpr_workitem_id 0
		.amdhsa_next_free_vgpr 1
		.amdhsa_next_free_sgpr 0
		.amdhsa_accum_offset 4
		.amdhsa_reserve_vcc 0
		.amdhsa_reserve_flat_scratch 0
		.amdhsa_float_round_mode_32 0
		.amdhsa_float_round_mode_16_64 0
		.amdhsa_float_denorm_mode_32 3
		.amdhsa_float_denorm_mode_16_64 3
		.amdhsa_dx10_clamp 1
		.amdhsa_ieee_mode 1
		.amdhsa_fp16_overflow 0
		.amdhsa_tg_split 0
		.amdhsa_exception_fp_ieee_invalid_op 0
		.amdhsa_exception_fp_denorm_src 0
		.amdhsa_exception_fp_ieee_div_zero 0
		.amdhsa_exception_fp_ieee_overflow 0
		.amdhsa_exception_fp_ieee_underflow 0
		.amdhsa_exception_fp_ieee_inexact 0
		.amdhsa_exception_int_div_zero 0
	.end_amdhsa_kernel
	.section	.text._ZN7rocprim17ROCPRIM_400000_NS6detail17trampoline_kernelINS0_13select_configILj256ELj13ELNS0_17block_load_methodE3ELS4_3ELS4_3ELNS0_20block_scan_algorithmE0ELj4294967295EEENS1_25partition_config_selectorILNS1_17partition_subalgoE4EjNS0_10empty_typeEbEEZZNS1_14partition_implILS8_4ELb0ES6_15HIP_vector_typeIjLj2EENS0_17counting_iteratorIjlEEPS9_SG_NS0_5tupleIJPjSI_NS0_16reverse_iteratorISI_EEEEENSH_IJSG_SG_SG_EEES9_SI_JZNS1_25segmented_radix_sort_implINS0_14default_configELb0EPKsPsPKlPlN2at6native12_GLOBAL__N_18offset_tEEE10hipError_tPvRmT1_PNSt15iterator_traitsIS12_E10value_typeET2_T3_PNS13_IS18_E10value_typeET4_jRbjT5_S1E_jjP12ihipStream_tbEUljE_ZNSN_ISO_Lb0ESQ_SR_ST_SU_SY_EESZ_S10_S11_S12_S16_S17_S18_S1B_S1C_jS1D_jS1E_S1E_jjS1G_bEUljE0_EEESZ_S10_S11_S18_S1C_S1E_T6_T7_T9_mT8_S1G_bDpT10_ENKUlT_T0_E_clISt17integral_constantIbLb0EES1T_IbLb1EEEEDaS1P_S1Q_EUlS1P_E_NS1_11comp_targetILNS1_3genE3ELNS1_11target_archE908ELNS1_3gpuE7ELNS1_3repE0EEENS1_30default_config_static_selectorELNS0_4arch9wavefront6targetE1EEEvS12_,"axG",@progbits,_ZN7rocprim17ROCPRIM_400000_NS6detail17trampoline_kernelINS0_13select_configILj256ELj13ELNS0_17block_load_methodE3ELS4_3ELS4_3ELNS0_20block_scan_algorithmE0ELj4294967295EEENS1_25partition_config_selectorILNS1_17partition_subalgoE4EjNS0_10empty_typeEbEEZZNS1_14partition_implILS8_4ELb0ES6_15HIP_vector_typeIjLj2EENS0_17counting_iteratorIjlEEPS9_SG_NS0_5tupleIJPjSI_NS0_16reverse_iteratorISI_EEEEENSH_IJSG_SG_SG_EEES9_SI_JZNS1_25segmented_radix_sort_implINS0_14default_configELb0EPKsPsPKlPlN2at6native12_GLOBAL__N_18offset_tEEE10hipError_tPvRmT1_PNSt15iterator_traitsIS12_E10value_typeET2_T3_PNS13_IS18_E10value_typeET4_jRbjT5_S1E_jjP12ihipStream_tbEUljE_ZNSN_ISO_Lb0ESQ_SR_ST_SU_SY_EESZ_S10_S11_S12_S16_S17_S18_S1B_S1C_jS1D_jS1E_S1E_jjS1G_bEUljE0_EEESZ_S10_S11_S18_S1C_S1E_T6_T7_T9_mT8_S1G_bDpT10_ENKUlT_T0_E_clISt17integral_constantIbLb0EES1T_IbLb1EEEEDaS1P_S1Q_EUlS1P_E_NS1_11comp_targetILNS1_3genE3ELNS1_11target_archE908ELNS1_3gpuE7ELNS1_3repE0EEENS1_30default_config_static_selectorELNS0_4arch9wavefront6targetE1EEEvS12_,comdat
.Lfunc_end976:
	.size	_ZN7rocprim17ROCPRIM_400000_NS6detail17trampoline_kernelINS0_13select_configILj256ELj13ELNS0_17block_load_methodE3ELS4_3ELS4_3ELNS0_20block_scan_algorithmE0ELj4294967295EEENS1_25partition_config_selectorILNS1_17partition_subalgoE4EjNS0_10empty_typeEbEEZZNS1_14partition_implILS8_4ELb0ES6_15HIP_vector_typeIjLj2EENS0_17counting_iteratorIjlEEPS9_SG_NS0_5tupleIJPjSI_NS0_16reverse_iteratorISI_EEEEENSH_IJSG_SG_SG_EEES9_SI_JZNS1_25segmented_radix_sort_implINS0_14default_configELb0EPKsPsPKlPlN2at6native12_GLOBAL__N_18offset_tEEE10hipError_tPvRmT1_PNSt15iterator_traitsIS12_E10value_typeET2_T3_PNS13_IS18_E10value_typeET4_jRbjT5_S1E_jjP12ihipStream_tbEUljE_ZNSN_ISO_Lb0ESQ_SR_ST_SU_SY_EESZ_S10_S11_S12_S16_S17_S18_S1B_S1C_jS1D_jS1E_S1E_jjS1G_bEUljE0_EEESZ_S10_S11_S18_S1C_S1E_T6_T7_T9_mT8_S1G_bDpT10_ENKUlT_T0_E_clISt17integral_constantIbLb0EES1T_IbLb1EEEEDaS1P_S1Q_EUlS1P_E_NS1_11comp_targetILNS1_3genE3ELNS1_11target_archE908ELNS1_3gpuE7ELNS1_3repE0EEENS1_30default_config_static_selectorELNS0_4arch9wavefront6targetE1EEEvS12_, .Lfunc_end976-_ZN7rocprim17ROCPRIM_400000_NS6detail17trampoline_kernelINS0_13select_configILj256ELj13ELNS0_17block_load_methodE3ELS4_3ELS4_3ELNS0_20block_scan_algorithmE0ELj4294967295EEENS1_25partition_config_selectorILNS1_17partition_subalgoE4EjNS0_10empty_typeEbEEZZNS1_14partition_implILS8_4ELb0ES6_15HIP_vector_typeIjLj2EENS0_17counting_iteratorIjlEEPS9_SG_NS0_5tupleIJPjSI_NS0_16reverse_iteratorISI_EEEEENSH_IJSG_SG_SG_EEES9_SI_JZNS1_25segmented_radix_sort_implINS0_14default_configELb0EPKsPsPKlPlN2at6native12_GLOBAL__N_18offset_tEEE10hipError_tPvRmT1_PNSt15iterator_traitsIS12_E10value_typeET2_T3_PNS13_IS18_E10value_typeET4_jRbjT5_S1E_jjP12ihipStream_tbEUljE_ZNSN_ISO_Lb0ESQ_SR_ST_SU_SY_EESZ_S10_S11_S12_S16_S17_S18_S1B_S1C_jS1D_jS1E_S1E_jjS1G_bEUljE0_EEESZ_S10_S11_S18_S1C_S1E_T6_T7_T9_mT8_S1G_bDpT10_ENKUlT_T0_E_clISt17integral_constantIbLb0EES1T_IbLb1EEEEDaS1P_S1Q_EUlS1P_E_NS1_11comp_targetILNS1_3genE3ELNS1_11target_archE908ELNS1_3gpuE7ELNS1_3repE0EEENS1_30default_config_static_selectorELNS0_4arch9wavefront6targetE1EEEvS12_
                                        ; -- End function
	.section	.AMDGPU.csdata,"",@progbits
; Kernel info:
; codeLenInByte = 0
; NumSgprs: 4
; NumVgprs: 0
; NumAgprs: 0
; TotalNumVgprs: 0
; ScratchSize: 0
; MemoryBound: 0
; FloatMode: 240
; IeeeMode: 1
; LDSByteSize: 0 bytes/workgroup (compile time only)
; SGPRBlocks: 0
; VGPRBlocks: 0
; NumSGPRsForWavesPerEU: 4
; NumVGPRsForWavesPerEU: 1
; AccumOffset: 4
; Occupancy: 8
; WaveLimiterHint : 0
; COMPUTE_PGM_RSRC2:SCRATCH_EN: 0
; COMPUTE_PGM_RSRC2:USER_SGPR: 6
; COMPUTE_PGM_RSRC2:TRAP_HANDLER: 0
; COMPUTE_PGM_RSRC2:TGID_X_EN: 1
; COMPUTE_PGM_RSRC2:TGID_Y_EN: 0
; COMPUTE_PGM_RSRC2:TGID_Z_EN: 0
; COMPUTE_PGM_RSRC2:TIDIG_COMP_CNT: 0
; COMPUTE_PGM_RSRC3_GFX90A:ACCUM_OFFSET: 0
; COMPUTE_PGM_RSRC3_GFX90A:TG_SPLIT: 0
	.section	.text._ZN7rocprim17ROCPRIM_400000_NS6detail17trampoline_kernelINS0_13select_configILj256ELj13ELNS0_17block_load_methodE3ELS4_3ELS4_3ELNS0_20block_scan_algorithmE0ELj4294967295EEENS1_25partition_config_selectorILNS1_17partition_subalgoE4EjNS0_10empty_typeEbEEZZNS1_14partition_implILS8_4ELb0ES6_15HIP_vector_typeIjLj2EENS0_17counting_iteratorIjlEEPS9_SG_NS0_5tupleIJPjSI_NS0_16reverse_iteratorISI_EEEEENSH_IJSG_SG_SG_EEES9_SI_JZNS1_25segmented_radix_sort_implINS0_14default_configELb0EPKsPsPKlPlN2at6native12_GLOBAL__N_18offset_tEEE10hipError_tPvRmT1_PNSt15iterator_traitsIS12_E10value_typeET2_T3_PNS13_IS18_E10value_typeET4_jRbjT5_S1E_jjP12ihipStream_tbEUljE_ZNSN_ISO_Lb0ESQ_SR_ST_SU_SY_EESZ_S10_S11_S12_S16_S17_S18_S1B_S1C_jS1D_jS1E_S1E_jjS1G_bEUljE0_EEESZ_S10_S11_S18_S1C_S1E_T6_T7_T9_mT8_S1G_bDpT10_ENKUlT_T0_E_clISt17integral_constantIbLb0EES1T_IbLb1EEEEDaS1P_S1Q_EUlS1P_E_NS1_11comp_targetILNS1_3genE2ELNS1_11target_archE906ELNS1_3gpuE6ELNS1_3repE0EEENS1_30default_config_static_selectorELNS0_4arch9wavefront6targetE1EEEvS12_,"axG",@progbits,_ZN7rocprim17ROCPRIM_400000_NS6detail17trampoline_kernelINS0_13select_configILj256ELj13ELNS0_17block_load_methodE3ELS4_3ELS4_3ELNS0_20block_scan_algorithmE0ELj4294967295EEENS1_25partition_config_selectorILNS1_17partition_subalgoE4EjNS0_10empty_typeEbEEZZNS1_14partition_implILS8_4ELb0ES6_15HIP_vector_typeIjLj2EENS0_17counting_iteratorIjlEEPS9_SG_NS0_5tupleIJPjSI_NS0_16reverse_iteratorISI_EEEEENSH_IJSG_SG_SG_EEES9_SI_JZNS1_25segmented_radix_sort_implINS0_14default_configELb0EPKsPsPKlPlN2at6native12_GLOBAL__N_18offset_tEEE10hipError_tPvRmT1_PNSt15iterator_traitsIS12_E10value_typeET2_T3_PNS13_IS18_E10value_typeET4_jRbjT5_S1E_jjP12ihipStream_tbEUljE_ZNSN_ISO_Lb0ESQ_SR_ST_SU_SY_EESZ_S10_S11_S12_S16_S17_S18_S1B_S1C_jS1D_jS1E_S1E_jjS1G_bEUljE0_EEESZ_S10_S11_S18_S1C_S1E_T6_T7_T9_mT8_S1G_bDpT10_ENKUlT_T0_E_clISt17integral_constantIbLb0EES1T_IbLb1EEEEDaS1P_S1Q_EUlS1P_E_NS1_11comp_targetILNS1_3genE2ELNS1_11target_archE906ELNS1_3gpuE6ELNS1_3repE0EEENS1_30default_config_static_selectorELNS0_4arch9wavefront6targetE1EEEvS12_,comdat
	.globl	_ZN7rocprim17ROCPRIM_400000_NS6detail17trampoline_kernelINS0_13select_configILj256ELj13ELNS0_17block_load_methodE3ELS4_3ELS4_3ELNS0_20block_scan_algorithmE0ELj4294967295EEENS1_25partition_config_selectorILNS1_17partition_subalgoE4EjNS0_10empty_typeEbEEZZNS1_14partition_implILS8_4ELb0ES6_15HIP_vector_typeIjLj2EENS0_17counting_iteratorIjlEEPS9_SG_NS0_5tupleIJPjSI_NS0_16reverse_iteratorISI_EEEEENSH_IJSG_SG_SG_EEES9_SI_JZNS1_25segmented_radix_sort_implINS0_14default_configELb0EPKsPsPKlPlN2at6native12_GLOBAL__N_18offset_tEEE10hipError_tPvRmT1_PNSt15iterator_traitsIS12_E10value_typeET2_T3_PNS13_IS18_E10value_typeET4_jRbjT5_S1E_jjP12ihipStream_tbEUljE_ZNSN_ISO_Lb0ESQ_SR_ST_SU_SY_EESZ_S10_S11_S12_S16_S17_S18_S1B_S1C_jS1D_jS1E_S1E_jjS1G_bEUljE0_EEESZ_S10_S11_S18_S1C_S1E_T6_T7_T9_mT8_S1G_bDpT10_ENKUlT_T0_E_clISt17integral_constantIbLb0EES1T_IbLb1EEEEDaS1P_S1Q_EUlS1P_E_NS1_11comp_targetILNS1_3genE2ELNS1_11target_archE906ELNS1_3gpuE6ELNS1_3repE0EEENS1_30default_config_static_selectorELNS0_4arch9wavefront6targetE1EEEvS12_ ; -- Begin function _ZN7rocprim17ROCPRIM_400000_NS6detail17trampoline_kernelINS0_13select_configILj256ELj13ELNS0_17block_load_methodE3ELS4_3ELS4_3ELNS0_20block_scan_algorithmE0ELj4294967295EEENS1_25partition_config_selectorILNS1_17partition_subalgoE4EjNS0_10empty_typeEbEEZZNS1_14partition_implILS8_4ELb0ES6_15HIP_vector_typeIjLj2EENS0_17counting_iteratorIjlEEPS9_SG_NS0_5tupleIJPjSI_NS0_16reverse_iteratorISI_EEEEENSH_IJSG_SG_SG_EEES9_SI_JZNS1_25segmented_radix_sort_implINS0_14default_configELb0EPKsPsPKlPlN2at6native12_GLOBAL__N_18offset_tEEE10hipError_tPvRmT1_PNSt15iterator_traitsIS12_E10value_typeET2_T3_PNS13_IS18_E10value_typeET4_jRbjT5_S1E_jjP12ihipStream_tbEUljE_ZNSN_ISO_Lb0ESQ_SR_ST_SU_SY_EESZ_S10_S11_S12_S16_S17_S18_S1B_S1C_jS1D_jS1E_S1E_jjS1G_bEUljE0_EEESZ_S10_S11_S18_S1C_S1E_T6_T7_T9_mT8_S1G_bDpT10_ENKUlT_T0_E_clISt17integral_constantIbLb0EES1T_IbLb1EEEEDaS1P_S1Q_EUlS1P_E_NS1_11comp_targetILNS1_3genE2ELNS1_11target_archE906ELNS1_3gpuE6ELNS1_3repE0EEENS1_30default_config_static_selectorELNS0_4arch9wavefront6targetE1EEEvS12_
	.p2align	8
	.type	_ZN7rocprim17ROCPRIM_400000_NS6detail17trampoline_kernelINS0_13select_configILj256ELj13ELNS0_17block_load_methodE3ELS4_3ELS4_3ELNS0_20block_scan_algorithmE0ELj4294967295EEENS1_25partition_config_selectorILNS1_17partition_subalgoE4EjNS0_10empty_typeEbEEZZNS1_14partition_implILS8_4ELb0ES6_15HIP_vector_typeIjLj2EENS0_17counting_iteratorIjlEEPS9_SG_NS0_5tupleIJPjSI_NS0_16reverse_iteratorISI_EEEEENSH_IJSG_SG_SG_EEES9_SI_JZNS1_25segmented_radix_sort_implINS0_14default_configELb0EPKsPsPKlPlN2at6native12_GLOBAL__N_18offset_tEEE10hipError_tPvRmT1_PNSt15iterator_traitsIS12_E10value_typeET2_T3_PNS13_IS18_E10value_typeET4_jRbjT5_S1E_jjP12ihipStream_tbEUljE_ZNSN_ISO_Lb0ESQ_SR_ST_SU_SY_EESZ_S10_S11_S12_S16_S17_S18_S1B_S1C_jS1D_jS1E_S1E_jjS1G_bEUljE0_EEESZ_S10_S11_S18_S1C_S1E_T6_T7_T9_mT8_S1G_bDpT10_ENKUlT_T0_E_clISt17integral_constantIbLb0EES1T_IbLb1EEEEDaS1P_S1Q_EUlS1P_E_NS1_11comp_targetILNS1_3genE2ELNS1_11target_archE906ELNS1_3gpuE6ELNS1_3repE0EEENS1_30default_config_static_selectorELNS0_4arch9wavefront6targetE1EEEvS12_,@function
_ZN7rocprim17ROCPRIM_400000_NS6detail17trampoline_kernelINS0_13select_configILj256ELj13ELNS0_17block_load_methodE3ELS4_3ELS4_3ELNS0_20block_scan_algorithmE0ELj4294967295EEENS1_25partition_config_selectorILNS1_17partition_subalgoE4EjNS0_10empty_typeEbEEZZNS1_14partition_implILS8_4ELb0ES6_15HIP_vector_typeIjLj2EENS0_17counting_iteratorIjlEEPS9_SG_NS0_5tupleIJPjSI_NS0_16reverse_iteratorISI_EEEEENSH_IJSG_SG_SG_EEES9_SI_JZNS1_25segmented_radix_sort_implINS0_14default_configELb0EPKsPsPKlPlN2at6native12_GLOBAL__N_18offset_tEEE10hipError_tPvRmT1_PNSt15iterator_traitsIS12_E10value_typeET2_T3_PNS13_IS18_E10value_typeET4_jRbjT5_S1E_jjP12ihipStream_tbEUljE_ZNSN_ISO_Lb0ESQ_SR_ST_SU_SY_EESZ_S10_S11_S12_S16_S17_S18_S1B_S1C_jS1D_jS1E_S1E_jjS1G_bEUljE0_EEESZ_S10_S11_S18_S1C_S1E_T6_T7_T9_mT8_S1G_bDpT10_ENKUlT_T0_E_clISt17integral_constantIbLb0EES1T_IbLb1EEEEDaS1P_S1Q_EUlS1P_E_NS1_11comp_targetILNS1_3genE2ELNS1_11target_archE906ELNS1_3gpuE6ELNS1_3repE0EEENS1_30default_config_static_selectorELNS0_4arch9wavefront6targetE1EEEvS12_: ; @_ZN7rocprim17ROCPRIM_400000_NS6detail17trampoline_kernelINS0_13select_configILj256ELj13ELNS0_17block_load_methodE3ELS4_3ELS4_3ELNS0_20block_scan_algorithmE0ELj4294967295EEENS1_25partition_config_selectorILNS1_17partition_subalgoE4EjNS0_10empty_typeEbEEZZNS1_14partition_implILS8_4ELb0ES6_15HIP_vector_typeIjLj2EENS0_17counting_iteratorIjlEEPS9_SG_NS0_5tupleIJPjSI_NS0_16reverse_iteratorISI_EEEEENSH_IJSG_SG_SG_EEES9_SI_JZNS1_25segmented_radix_sort_implINS0_14default_configELb0EPKsPsPKlPlN2at6native12_GLOBAL__N_18offset_tEEE10hipError_tPvRmT1_PNSt15iterator_traitsIS12_E10value_typeET2_T3_PNS13_IS18_E10value_typeET4_jRbjT5_S1E_jjP12ihipStream_tbEUljE_ZNSN_ISO_Lb0ESQ_SR_ST_SU_SY_EESZ_S10_S11_S12_S16_S17_S18_S1B_S1C_jS1D_jS1E_S1E_jjS1G_bEUljE0_EEESZ_S10_S11_S18_S1C_S1E_T6_T7_T9_mT8_S1G_bDpT10_ENKUlT_T0_E_clISt17integral_constantIbLb0EES1T_IbLb1EEEEDaS1P_S1Q_EUlS1P_E_NS1_11comp_targetILNS1_3genE2ELNS1_11target_archE906ELNS1_3gpuE6ELNS1_3repE0EEENS1_30default_config_static_selectorELNS0_4arch9wavefront6targetE1EEEvS12_
; %bb.0:
	.section	.rodata,"a",@progbits
	.p2align	6, 0x0
	.amdhsa_kernel _ZN7rocprim17ROCPRIM_400000_NS6detail17trampoline_kernelINS0_13select_configILj256ELj13ELNS0_17block_load_methodE3ELS4_3ELS4_3ELNS0_20block_scan_algorithmE0ELj4294967295EEENS1_25partition_config_selectorILNS1_17partition_subalgoE4EjNS0_10empty_typeEbEEZZNS1_14partition_implILS8_4ELb0ES6_15HIP_vector_typeIjLj2EENS0_17counting_iteratorIjlEEPS9_SG_NS0_5tupleIJPjSI_NS0_16reverse_iteratorISI_EEEEENSH_IJSG_SG_SG_EEES9_SI_JZNS1_25segmented_radix_sort_implINS0_14default_configELb0EPKsPsPKlPlN2at6native12_GLOBAL__N_18offset_tEEE10hipError_tPvRmT1_PNSt15iterator_traitsIS12_E10value_typeET2_T3_PNS13_IS18_E10value_typeET4_jRbjT5_S1E_jjP12ihipStream_tbEUljE_ZNSN_ISO_Lb0ESQ_SR_ST_SU_SY_EESZ_S10_S11_S12_S16_S17_S18_S1B_S1C_jS1D_jS1E_S1E_jjS1G_bEUljE0_EEESZ_S10_S11_S18_S1C_S1E_T6_T7_T9_mT8_S1G_bDpT10_ENKUlT_T0_E_clISt17integral_constantIbLb0EES1T_IbLb1EEEEDaS1P_S1Q_EUlS1P_E_NS1_11comp_targetILNS1_3genE2ELNS1_11target_archE906ELNS1_3gpuE6ELNS1_3repE0EEENS1_30default_config_static_selectorELNS0_4arch9wavefront6targetE1EEEvS12_
		.amdhsa_group_segment_fixed_size 0
		.amdhsa_private_segment_fixed_size 0
		.amdhsa_kernarg_size 184
		.amdhsa_user_sgpr_count 6
		.amdhsa_user_sgpr_private_segment_buffer 1
		.amdhsa_user_sgpr_dispatch_ptr 0
		.amdhsa_user_sgpr_queue_ptr 0
		.amdhsa_user_sgpr_kernarg_segment_ptr 1
		.amdhsa_user_sgpr_dispatch_id 0
		.amdhsa_user_sgpr_flat_scratch_init 0
		.amdhsa_user_sgpr_kernarg_preload_length 0
		.amdhsa_user_sgpr_kernarg_preload_offset 0
		.amdhsa_user_sgpr_private_segment_size 0
		.amdhsa_uses_dynamic_stack 0
		.amdhsa_system_sgpr_private_segment_wavefront_offset 0
		.amdhsa_system_sgpr_workgroup_id_x 1
		.amdhsa_system_sgpr_workgroup_id_y 0
		.amdhsa_system_sgpr_workgroup_id_z 0
		.amdhsa_system_sgpr_workgroup_info 0
		.amdhsa_system_vgpr_workitem_id 0
		.amdhsa_next_free_vgpr 1
		.amdhsa_next_free_sgpr 0
		.amdhsa_accum_offset 4
		.amdhsa_reserve_vcc 0
		.amdhsa_reserve_flat_scratch 0
		.amdhsa_float_round_mode_32 0
		.amdhsa_float_round_mode_16_64 0
		.amdhsa_float_denorm_mode_32 3
		.amdhsa_float_denorm_mode_16_64 3
		.amdhsa_dx10_clamp 1
		.amdhsa_ieee_mode 1
		.amdhsa_fp16_overflow 0
		.amdhsa_tg_split 0
		.amdhsa_exception_fp_ieee_invalid_op 0
		.amdhsa_exception_fp_denorm_src 0
		.amdhsa_exception_fp_ieee_div_zero 0
		.amdhsa_exception_fp_ieee_overflow 0
		.amdhsa_exception_fp_ieee_underflow 0
		.amdhsa_exception_fp_ieee_inexact 0
		.amdhsa_exception_int_div_zero 0
	.end_amdhsa_kernel
	.section	.text._ZN7rocprim17ROCPRIM_400000_NS6detail17trampoline_kernelINS0_13select_configILj256ELj13ELNS0_17block_load_methodE3ELS4_3ELS4_3ELNS0_20block_scan_algorithmE0ELj4294967295EEENS1_25partition_config_selectorILNS1_17partition_subalgoE4EjNS0_10empty_typeEbEEZZNS1_14partition_implILS8_4ELb0ES6_15HIP_vector_typeIjLj2EENS0_17counting_iteratorIjlEEPS9_SG_NS0_5tupleIJPjSI_NS0_16reverse_iteratorISI_EEEEENSH_IJSG_SG_SG_EEES9_SI_JZNS1_25segmented_radix_sort_implINS0_14default_configELb0EPKsPsPKlPlN2at6native12_GLOBAL__N_18offset_tEEE10hipError_tPvRmT1_PNSt15iterator_traitsIS12_E10value_typeET2_T3_PNS13_IS18_E10value_typeET4_jRbjT5_S1E_jjP12ihipStream_tbEUljE_ZNSN_ISO_Lb0ESQ_SR_ST_SU_SY_EESZ_S10_S11_S12_S16_S17_S18_S1B_S1C_jS1D_jS1E_S1E_jjS1G_bEUljE0_EEESZ_S10_S11_S18_S1C_S1E_T6_T7_T9_mT8_S1G_bDpT10_ENKUlT_T0_E_clISt17integral_constantIbLb0EES1T_IbLb1EEEEDaS1P_S1Q_EUlS1P_E_NS1_11comp_targetILNS1_3genE2ELNS1_11target_archE906ELNS1_3gpuE6ELNS1_3repE0EEENS1_30default_config_static_selectorELNS0_4arch9wavefront6targetE1EEEvS12_,"axG",@progbits,_ZN7rocprim17ROCPRIM_400000_NS6detail17trampoline_kernelINS0_13select_configILj256ELj13ELNS0_17block_load_methodE3ELS4_3ELS4_3ELNS0_20block_scan_algorithmE0ELj4294967295EEENS1_25partition_config_selectorILNS1_17partition_subalgoE4EjNS0_10empty_typeEbEEZZNS1_14partition_implILS8_4ELb0ES6_15HIP_vector_typeIjLj2EENS0_17counting_iteratorIjlEEPS9_SG_NS0_5tupleIJPjSI_NS0_16reverse_iteratorISI_EEEEENSH_IJSG_SG_SG_EEES9_SI_JZNS1_25segmented_radix_sort_implINS0_14default_configELb0EPKsPsPKlPlN2at6native12_GLOBAL__N_18offset_tEEE10hipError_tPvRmT1_PNSt15iterator_traitsIS12_E10value_typeET2_T3_PNS13_IS18_E10value_typeET4_jRbjT5_S1E_jjP12ihipStream_tbEUljE_ZNSN_ISO_Lb0ESQ_SR_ST_SU_SY_EESZ_S10_S11_S12_S16_S17_S18_S1B_S1C_jS1D_jS1E_S1E_jjS1G_bEUljE0_EEESZ_S10_S11_S18_S1C_S1E_T6_T7_T9_mT8_S1G_bDpT10_ENKUlT_T0_E_clISt17integral_constantIbLb0EES1T_IbLb1EEEEDaS1P_S1Q_EUlS1P_E_NS1_11comp_targetILNS1_3genE2ELNS1_11target_archE906ELNS1_3gpuE6ELNS1_3repE0EEENS1_30default_config_static_selectorELNS0_4arch9wavefront6targetE1EEEvS12_,comdat
.Lfunc_end977:
	.size	_ZN7rocprim17ROCPRIM_400000_NS6detail17trampoline_kernelINS0_13select_configILj256ELj13ELNS0_17block_load_methodE3ELS4_3ELS4_3ELNS0_20block_scan_algorithmE0ELj4294967295EEENS1_25partition_config_selectorILNS1_17partition_subalgoE4EjNS0_10empty_typeEbEEZZNS1_14partition_implILS8_4ELb0ES6_15HIP_vector_typeIjLj2EENS0_17counting_iteratorIjlEEPS9_SG_NS0_5tupleIJPjSI_NS0_16reverse_iteratorISI_EEEEENSH_IJSG_SG_SG_EEES9_SI_JZNS1_25segmented_radix_sort_implINS0_14default_configELb0EPKsPsPKlPlN2at6native12_GLOBAL__N_18offset_tEEE10hipError_tPvRmT1_PNSt15iterator_traitsIS12_E10value_typeET2_T3_PNS13_IS18_E10value_typeET4_jRbjT5_S1E_jjP12ihipStream_tbEUljE_ZNSN_ISO_Lb0ESQ_SR_ST_SU_SY_EESZ_S10_S11_S12_S16_S17_S18_S1B_S1C_jS1D_jS1E_S1E_jjS1G_bEUljE0_EEESZ_S10_S11_S18_S1C_S1E_T6_T7_T9_mT8_S1G_bDpT10_ENKUlT_T0_E_clISt17integral_constantIbLb0EES1T_IbLb1EEEEDaS1P_S1Q_EUlS1P_E_NS1_11comp_targetILNS1_3genE2ELNS1_11target_archE906ELNS1_3gpuE6ELNS1_3repE0EEENS1_30default_config_static_selectorELNS0_4arch9wavefront6targetE1EEEvS12_, .Lfunc_end977-_ZN7rocprim17ROCPRIM_400000_NS6detail17trampoline_kernelINS0_13select_configILj256ELj13ELNS0_17block_load_methodE3ELS4_3ELS4_3ELNS0_20block_scan_algorithmE0ELj4294967295EEENS1_25partition_config_selectorILNS1_17partition_subalgoE4EjNS0_10empty_typeEbEEZZNS1_14partition_implILS8_4ELb0ES6_15HIP_vector_typeIjLj2EENS0_17counting_iteratorIjlEEPS9_SG_NS0_5tupleIJPjSI_NS0_16reverse_iteratorISI_EEEEENSH_IJSG_SG_SG_EEES9_SI_JZNS1_25segmented_radix_sort_implINS0_14default_configELb0EPKsPsPKlPlN2at6native12_GLOBAL__N_18offset_tEEE10hipError_tPvRmT1_PNSt15iterator_traitsIS12_E10value_typeET2_T3_PNS13_IS18_E10value_typeET4_jRbjT5_S1E_jjP12ihipStream_tbEUljE_ZNSN_ISO_Lb0ESQ_SR_ST_SU_SY_EESZ_S10_S11_S12_S16_S17_S18_S1B_S1C_jS1D_jS1E_S1E_jjS1G_bEUljE0_EEESZ_S10_S11_S18_S1C_S1E_T6_T7_T9_mT8_S1G_bDpT10_ENKUlT_T0_E_clISt17integral_constantIbLb0EES1T_IbLb1EEEEDaS1P_S1Q_EUlS1P_E_NS1_11comp_targetILNS1_3genE2ELNS1_11target_archE906ELNS1_3gpuE6ELNS1_3repE0EEENS1_30default_config_static_selectorELNS0_4arch9wavefront6targetE1EEEvS12_
                                        ; -- End function
	.section	.AMDGPU.csdata,"",@progbits
; Kernel info:
; codeLenInByte = 0
; NumSgprs: 4
; NumVgprs: 0
; NumAgprs: 0
; TotalNumVgprs: 0
; ScratchSize: 0
; MemoryBound: 0
; FloatMode: 240
; IeeeMode: 1
; LDSByteSize: 0 bytes/workgroup (compile time only)
; SGPRBlocks: 0
; VGPRBlocks: 0
; NumSGPRsForWavesPerEU: 4
; NumVGPRsForWavesPerEU: 1
; AccumOffset: 4
; Occupancy: 8
; WaveLimiterHint : 0
; COMPUTE_PGM_RSRC2:SCRATCH_EN: 0
; COMPUTE_PGM_RSRC2:USER_SGPR: 6
; COMPUTE_PGM_RSRC2:TRAP_HANDLER: 0
; COMPUTE_PGM_RSRC2:TGID_X_EN: 1
; COMPUTE_PGM_RSRC2:TGID_Y_EN: 0
; COMPUTE_PGM_RSRC2:TGID_Z_EN: 0
; COMPUTE_PGM_RSRC2:TIDIG_COMP_CNT: 0
; COMPUTE_PGM_RSRC3_GFX90A:ACCUM_OFFSET: 0
; COMPUTE_PGM_RSRC3_GFX90A:TG_SPLIT: 0
	.section	.text._ZN7rocprim17ROCPRIM_400000_NS6detail17trampoline_kernelINS0_13select_configILj256ELj13ELNS0_17block_load_methodE3ELS4_3ELS4_3ELNS0_20block_scan_algorithmE0ELj4294967295EEENS1_25partition_config_selectorILNS1_17partition_subalgoE4EjNS0_10empty_typeEbEEZZNS1_14partition_implILS8_4ELb0ES6_15HIP_vector_typeIjLj2EENS0_17counting_iteratorIjlEEPS9_SG_NS0_5tupleIJPjSI_NS0_16reverse_iteratorISI_EEEEENSH_IJSG_SG_SG_EEES9_SI_JZNS1_25segmented_radix_sort_implINS0_14default_configELb0EPKsPsPKlPlN2at6native12_GLOBAL__N_18offset_tEEE10hipError_tPvRmT1_PNSt15iterator_traitsIS12_E10value_typeET2_T3_PNS13_IS18_E10value_typeET4_jRbjT5_S1E_jjP12ihipStream_tbEUljE_ZNSN_ISO_Lb0ESQ_SR_ST_SU_SY_EESZ_S10_S11_S12_S16_S17_S18_S1B_S1C_jS1D_jS1E_S1E_jjS1G_bEUljE0_EEESZ_S10_S11_S18_S1C_S1E_T6_T7_T9_mT8_S1G_bDpT10_ENKUlT_T0_E_clISt17integral_constantIbLb0EES1T_IbLb1EEEEDaS1P_S1Q_EUlS1P_E_NS1_11comp_targetILNS1_3genE10ELNS1_11target_archE1200ELNS1_3gpuE4ELNS1_3repE0EEENS1_30default_config_static_selectorELNS0_4arch9wavefront6targetE1EEEvS12_,"axG",@progbits,_ZN7rocprim17ROCPRIM_400000_NS6detail17trampoline_kernelINS0_13select_configILj256ELj13ELNS0_17block_load_methodE3ELS4_3ELS4_3ELNS0_20block_scan_algorithmE0ELj4294967295EEENS1_25partition_config_selectorILNS1_17partition_subalgoE4EjNS0_10empty_typeEbEEZZNS1_14partition_implILS8_4ELb0ES6_15HIP_vector_typeIjLj2EENS0_17counting_iteratorIjlEEPS9_SG_NS0_5tupleIJPjSI_NS0_16reverse_iteratorISI_EEEEENSH_IJSG_SG_SG_EEES9_SI_JZNS1_25segmented_radix_sort_implINS0_14default_configELb0EPKsPsPKlPlN2at6native12_GLOBAL__N_18offset_tEEE10hipError_tPvRmT1_PNSt15iterator_traitsIS12_E10value_typeET2_T3_PNS13_IS18_E10value_typeET4_jRbjT5_S1E_jjP12ihipStream_tbEUljE_ZNSN_ISO_Lb0ESQ_SR_ST_SU_SY_EESZ_S10_S11_S12_S16_S17_S18_S1B_S1C_jS1D_jS1E_S1E_jjS1G_bEUljE0_EEESZ_S10_S11_S18_S1C_S1E_T6_T7_T9_mT8_S1G_bDpT10_ENKUlT_T0_E_clISt17integral_constantIbLb0EES1T_IbLb1EEEEDaS1P_S1Q_EUlS1P_E_NS1_11comp_targetILNS1_3genE10ELNS1_11target_archE1200ELNS1_3gpuE4ELNS1_3repE0EEENS1_30default_config_static_selectorELNS0_4arch9wavefront6targetE1EEEvS12_,comdat
	.globl	_ZN7rocprim17ROCPRIM_400000_NS6detail17trampoline_kernelINS0_13select_configILj256ELj13ELNS0_17block_load_methodE3ELS4_3ELS4_3ELNS0_20block_scan_algorithmE0ELj4294967295EEENS1_25partition_config_selectorILNS1_17partition_subalgoE4EjNS0_10empty_typeEbEEZZNS1_14partition_implILS8_4ELb0ES6_15HIP_vector_typeIjLj2EENS0_17counting_iteratorIjlEEPS9_SG_NS0_5tupleIJPjSI_NS0_16reverse_iteratorISI_EEEEENSH_IJSG_SG_SG_EEES9_SI_JZNS1_25segmented_radix_sort_implINS0_14default_configELb0EPKsPsPKlPlN2at6native12_GLOBAL__N_18offset_tEEE10hipError_tPvRmT1_PNSt15iterator_traitsIS12_E10value_typeET2_T3_PNS13_IS18_E10value_typeET4_jRbjT5_S1E_jjP12ihipStream_tbEUljE_ZNSN_ISO_Lb0ESQ_SR_ST_SU_SY_EESZ_S10_S11_S12_S16_S17_S18_S1B_S1C_jS1D_jS1E_S1E_jjS1G_bEUljE0_EEESZ_S10_S11_S18_S1C_S1E_T6_T7_T9_mT8_S1G_bDpT10_ENKUlT_T0_E_clISt17integral_constantIbLb0EES1T_IbLb1EEEEDaS1P_S1Q_EUlS1P_E_NS1_11comp_targetILNS1_3genE10ELNS1_11target_archE1200ELNS1_3gpuE4ELNS1_3repE0EEENS1_30default_config_static_selectorELNS0_4arch9wavefront6targetE1EEEvS12_ ; -- Begin function _ZN7rocprim17ROCPRIM_400000_NS6detail17trampoline_kernelINS0_13select_configILj256ELj13ELNS0_17block_load_methodE3ELS4_3ELS4_3ELNS0_20block_scan_algorithmE0ELj4294967295EEENS1_25partition_config_selectorILNS1_17partition_subalgoE4EjNS0_10empty_typeEbEEZZNS1_14partition_implILS8_4ELb0ES6_15HIP_vector_typeIjLj2EENS0_17counting_iteratorIjlEEPS9_SG_NS0_5tupleIJPjSI_NS0_16reverse_iteratorISI_EEEEENSH_IJSG_SG_SG_EEES9_SI_JZNS1_25segmented_radix_sort_implINS0_14default_configELb0EPKsPsPKlPlN2at6native12_GLOBAL__N_18offset_tEEE10hipError_tPvRmT1_PNSt15iterator_traitsIS12_E10value_typeET2_T3_PNS13_IS18_E10value_typeET4_jRbjT5_S1E_jjP12ihipStream_tbEUljE_ZNSN_ISO_Lb0ESQ_SR_ST_SU_SY_EESZ_S10_S11_S12_S16_S17_S18_S1B_S1C_jS1D_jS1E_S1E_jjS1G_bEUljE0_EEESZ_S10_S11_S18_S1C_S1E_T6_T7_T9_mT8_S1G_bDpT10_ENKUlT_T0_E_clISt17integral_constantIbLb0EES1T_IbLb1EEEEDaS1P_S1Q_EUlS1P_E_NS1_11comp_targetILNS1_3genE10ELNS1_11target_archE1200ELNS1_3gpuE4ELNS1_3repE0EEENS1_30default_config_static_selectorELNS0_4arch9wavefront6targetE1EEEvS12_
	.p2align	8
	.type	_ZN7rocprim17ROCPRIM_400000_NS6detail17trampoline_kernelINS0_13select_configILj256ELj13ELNS0_17block_load_methodE3ELS4_3ELS4_3ELNS0_20block_scan_algorithmE0ELj4294967295EEENS1_25partition_config_selectorILNS1_17partition_subalgoE4EjNS0_10empty_typeEbEEZZNS1_14partition_implILS8_4ELb0ES6_15HIP_vector_typeIjLj2EENS0_17counting_iteratorIjlEEPS9_SG_NS0_5tupleIJPjSI_NS0_16reverse_iteratorISI_EEEEENSH_IJSG_SG_SG_EEES9_SI_JZNS1_25segmented_radix_sort_implINS0_14default_configELb0EPKsPsPKlPlN2at6native12_GLOBAL__N_18offset_tEEE10hipError_tPvRmT1_PNSt15iterator_traitsIS12_E10value_typeET2_T3_PNS13_IS18_E10value_typeET4_jRbjT5_S1E_jjP12ihipStream_tbEUljE_ZNSN_ISO_Lb0ESQ_SR_ST_SU_SY_EESZ_S10_S11_S12_S16_S17_S18_S1B_S1C_jS1D_jS1E_S1E_jjS1G_bEUljE0_EEESZ_S10_S11_S18_S1C_S1E_T6_T7_T9_mT8_S1G_bDpT10_ENKUlT_T0_E_clISt17integral_constantIbLb0EES1T_IbLb1EEEEDaS1P_S1Q_EUlS1P_E_NS1_11comp_targetILNS1_3genE10ELNS1_11target_archE1200ELNS1_3gpuE4ELNS1_3repE0EEENS1_30default_config_static_selectorELNS0_4arch9wavefront6targetE1EEEvS12_,@function
_ZN7rocprim17ROCPRIM_400000_NS6detail17trampoline_kernelINS0_13select_configILj256ELj13ELNS0_17block_load_methodE3ELS4_3ELS4_3ELNS0_20block_scan_algorithmE0ELj4294967295EEENS1_25partition_config_selectorILNS1_17partition_subalgoE4EjNS0_10empty_typeEbEEZZNS1_14partition_implILS8_4ELb0ES6_15HIP_vector_typeIjLj2EENS0_17counting_iteratorIjlEEPS9_SG_NS0_5tupleIJPjSI_NS0_16reverse_iteratorISI_EEEEENSH_IJSG_SG_SG_EEES9_SI_JZNS1_25segmented_radix_sort_implINS0_14default_configELb0EPKsPsPKlPlN2at6native12_GLOBAL__N_18offset_tEEE10hipError_tPvRmT1_PNSt15iterator_traitsIS12_E10value_typeET2_T3_PNS13_IS18_E10value_typeET4_jRbjT5_S1E_jjP12ihipStream_tbEUljE_ZNSN_ISO_Lb0ESQ_SR_ST_SU_SY_EESZ_S10_S11_S12_S16_S17_S18_S1B_S1C_jS1D_jS1E_S1E_jjS1G_bEUljE0_EEESZ_S10_S11_S18_S1C_S1E_T6_T7_T9_mT8_S1G_bDpT10_ENKUlT_T0_E_clISt17integral_constantIbLb0EES1T_IbLb1EEEEDaS1P_S1Q_EUlS1P_E_NS1_11comp_targetILNS1_3genE10ELNS1_11target_archE1200ELNS1_3gpuE4ELNS1_3repE0EEENS1_30default_config_static_selectorELNS0_4arch9wavefront6targetE1EEEvS12_: ; @_ZN7rocprim17ROCPRIM_400000_NS6detail17trampoline_kernelINS0_13select_configILj256ELj13ELNS0_17block_load_methodE3ELS4_3ELS4_3ELNS0_20block_scan_algorithmE0ELj4294967295EEENS1_25partition_config_selectorILNS1_17partition_subalgoE4EjNS0_10empty_typeEbEEZZNS1_14partition_implILS8_4ELb0ES6_15HIP_vector_typeIjLj2EENS0_17counting_iteratorIjlEEPS9_SG_NS0_5tupleIJPjSI_NS0_16reverse_iteratorISI_EEEEENSH_IJSG_SG_SG_EEES9_SI_JZNS1_25segmented_radix_sort_implINS0_14default_configELb0EPKsPsPKlPlN2at6native12_GLOBAL__N_18offset_tEEE10hipError_tPvRmT1_PNSt15iterator_traitsIS12_E10value_typeET2_T3_PNS13_IS18_E10value_typeET4_jRbjT5_S1E_jjP12ihipStream_tbEUljE_ZNSN_ISO_Lb0ESQ_SR_ST_SU_SY_EESZ_S10_S11_S12_S16_S17_S18_S1B_S1C_jS1D_jS1E_S1E_jjS1G_bEUljE0_EEESZ_S10_S11_S18_S1C_S1E_T6_T7_T9_mT8_S1G_bDpT10_ENKUlT_T0_E_clISt17integral_constantIbLb0EES1T_IbLb1EEEEDaS1P_S1Q_EUlS1P_E_NS1_11comp_targetILNS1_3genE10ELNS1_11target_archE1200ELNS1_3gpuE4ELNS1_3repE0EEENS1_30default_config_static_selectorELNS0_4arch9wavefront6targetE1EEEvS12_
; %bb.0:
	.section	.rodata,"a",@progbits
	.p2align	6, 0x0
	.amdhsa_kernel _ZN7rocprim17ROCPRIM_400000_NS6detail17trampoline_kernelINS0_13select_configILj256ELj13ELNS0_17block_load_methodE3ELS4_3ELS4_3ELNS0_20block_scan_algorithmE0ELj4294967295EEENS1_25partition_config_selectorILNS1_17partition_subalgoE4EjNS0_10empty_typeEbEEZZNS1_14partition_implILS8_4ELb0ES6_15HIP_vector_typeIjLj2EENS0_17counting_iteratorIjlEEPS9_SG_NS0_5tupleIJPjSI_NS0_16reverse_iteratorISI_EEEEENSH_IJSG_SG_SG_EEES9_SI_JZNS1_25segmented_radix_sort_implINS0_14default_configELb0EPKsPsPKlPlN2at6native12_GLOBAL__N_18offset_tEEE10hipError_tPvRmT1_PNSt15iterator_traitsIS12_E10value_typeET2_T3_PNS13_IS18_E10value_typeET4_jRbjT5_S1E_jjP12ihipStream_tbEUljE_ZNSN_ISO_Lb0ESQ_SR_ST_SU_SY_EESZ_S10_S11_S12_S16_S17_S18_S1B_S1C_jS1D_jS1E_S1E_jjS1G_bEUljE0_EEESZ_S10_S11_S18_S1C_S1E_T6_T7_T9_mT8_S1G_bDpT10_ENKUlT_T0_E_clISt17integral_constantIbLb0EES1T_IbLb1EEEEDaS1P_S1Q_EUlS1P_E_NS1_11comp_targetILNS1_3genE10ELNS1_11target_archE1200ELNS1_3gpuE4ELNS1_3repE0EEENS1_30default_config_static_selectorELNS0_4arch9wavefront6targetE1EEEvS12_
		.amdhsa_group_segment_fixed_size 0
		.amdhsa_private_segment_fixed_size 0
		.amdhsa_kernarg_size 184
		.amdhsa_user_sgpr_count 6
		.amdhsa_user_sgpr_private_segment_buffer 1
		.amdhsa_user_sgpr_dispatch_ptr 0
		.amdhsa_user_sgpr_queue_ptr 0
		.amdhsa_user_sgpr_kernarg_segment_ptr 1
		.amdhsa_user_sgpr_dispatch_id 0
		.amdhsa_user_sgpr_flat_scratch_init 0
		.amdhsa_user_sgpr_kernarg_preload_length 0
		.amdhsa_user_sgpr_kernarg_preload_offset 0
		.amdhsa_user_sgpr_private_segment_size 0
		.amdhsa_uses_dynamic_stack 0
		.amdhsa_system_sgpr_private_segment_wavefront_offset 0
		.amdhsa_system_sgpr_workgroup_id_x 1
		.amdhsa_system_sgpr_workgroup_id_y 0
		.amdhsa_system_sgpr_workgroup_id_z 0
		.amdhsa_system_sgpr_workgroup_info 0
		.amdhsa_system_vgpr_workitem_id 0
		.amdhsa_next_free_vgpr 1
		.amdhsa_next_free_sgpr 0
		.amdhsa_accum_offset 4
		.amdhsa_reserve_vcc 0
		.amdhsa_reserve_flat_scratch 0
		.amdhsa_float_round_mode_32 0
		.amdhsa_float_round_mode_16_64 0
		.amdhsa_float_denorm_mode_32 3
		.amdhsa_float_denorm_mode_16_64 3
		.amdhsa_dx10_clamp 1
		.amdhsa_ieee_mode 1
		.amdhsa_fp16_overflow 0
		.amdhsa_tg_split 0
		.amdhsa_exception_fp_ieee_invalid_op 0
		.amdhsa_exception_fp_denorm_src 0
		.amdhsa_exception_fp_ieee_div_zero 0
		.amdhsa_exception_fp_ieee_overflow 0
		.amdhsa_exception_fp_ieee_underflow 0
		.amdhsa_exception_fp_ieee_inexact 0
		.amdhsa_exception_int_div_zero 0
	.end_amdhsa_kernel
	.section	.text._ZN7rocprim17ROCPRIM_400000_NS6detail17trampoline_kernelINS0_13select_configILj256ELj13ELNS0_17block_load_methodE3ELS4_3ELS4_3ELNS0_20block_scan_algorithmE0ELj4294967295EEENS1_25partition_config_selectorILNS1_17partition_subalgoE4EjNS0_10empty_typeEbEEZZNS1_14partition_implILS8_4ELb0ES6_15HIP_vector_typeIjLj2EENS0_17counting_iteratorIjlEEPS9_SG_NS0_5tupleIJPjSI_NS0_16reverse_iteratorISI_EEEEENSH_IJSG_SG_SG_EEES9_SI_JZNS1_25segmented_radix_sort_implINS0_14default_configELb0EPKsPsPKlPlN2at6native12_GLOBAL__N_18offset_tEEE10hipError_tPvRmT1_PNSt15iterator_traitsIS12_E10value_typeET2_T3_PNS13_IS18_E10value_typeET4_jRbjT5_S1E_jjP12ihipStream_tbEUljE_ZNSN_ISO_Lb0ESQ_SR_ST_SU_SY_EESZ_S10_S11_S12_S16_S17_S18_S1B_S1C_jS1D_jS1E_S1E_jjS1G_bEUljE0_EEESZ_S10_S11_S18_S1C_S1E_T6_T7_T9_mT8_S1G_bDpT10_ENKUlT_T0_E_clISt17integral_constantIbLb0EES1T_IbLb1EEEEDaS1P_S1Q_EUlS1P_E_NS1_11comp_targetILNS1_3genE10ELNS1_11target_archE1200ELNS1_3gpuE4ELNS1_3repE0EEENS1_30default_config_static_selectorELNS0_4arch9wavefront6targetE1EEEvS12_,"axG",@progbits,_ZN7rocprim17ROCPRIM_400000_NS6detail17trampoline_kernelINS0_13select_configILj256ELj13ELNS0_17block_load_methodE3ELS4_3ELS4_3ELNS0_20block_scan_algorithmE0ELj4294967295EEENS1_25partition_config_selectorILNS1_17partition_subalgoE4EjNS0_10empty_typeEbEEZZNS1_14partition_implILS8_4ELb0ES6_15HIP_vector_typeIjLj2EENS0_17counting_iteratorIjlEEPS9_SG_NS0_5tupleIJPjSI_NS0_16reverse_iteratorISI_EEEEENSH_IJSG_SG_SG_EEES9_SI_JZNS1_25segmented_radix_sort_implINS0_14default_configELb0EPKsPsPKlPlN2at6native12_GLOBAL__N_18offset_tEEE10hipError_tPvRmT1_PNSt15iterator_traitsIS12_E10value_typeET2_T3_PNS13_IS18_E10value_typeET4_jRbjT5_S1E_jjP12ihipStream_tbEUljE_ZNSN_ISO_Lb0ESQ_SR_ST_SU_SY_EESZ_S10_S11_S12_S16_S17_S18_S1B_S1C_jS1D_jS1E_S1E_jjS1G_bEUljE0_EEESZ_S10_S11_S18_S1C_S1E_T6_T7_T9_mT8_S1G_bDpT10_ENKUlT_T0_E_clISt17integral_constantIbLb0EES1T_IbLb1EEEEDaS1P_S1Q_EUlS1P_E_NS1_11comp_targetILNS1_3genE10ELNS1_11target_archE1200ELNS1_3gpuE4ELNS1_3repE0EEENS1_30default_config_static_selectorELNS0_4arch9wavefront6targetE1EEEvS12_,comdat
.Lfunc_end978:
	.size	_ZN7rocprim17ROCPRIM_400000_NS6detail17trampoline_kernelINS0_13select_configILj256ELj13ELNS0_17block_load_methodE3ELS4_3ELS4_3ELNS0_20block_scan_algorithmE0ELj4294967295EEENS1_25partition_config_selectorILNS1_17partition_subalgoE4EjNS0_10empty_typeEbEEZZNS1_14partition_implILS8_4ELb0ES6_15HIP_vector_typeIjLj2EENS0_17counting_iteratorIjlEEPS9_SG_NS0_5tupleIJPjSI_NS0_16reverse_iteratorISI_EEEEENSH_IJSG_SG_SG_EEES9_SI_JZNS1_25segmented_radix_sort_implINS0_14default_configELb0EPKsPsPKlPlN2at6native12_GLOBAL__N_18offset_tEEE10hipError_tPvRmT1_PNSt15iterator_traitsIS12_E10value_typeET2_T3_PNS13_IS18_E10value_typeET4_jRbjT5_S1E_jjP12ihipStream_tbEUljE_ZNSN_ISO_Lb0ESQ_SR_ST_SU_SY_EESZ_S10_S11_S12_S16_S17_S18_S1B_S1C_jS1D_jS1E_S1E_jjS1G_bEUljE0_EEESZ_S10_S11_S18_S1C_S1E_T6_T7_T9_mT8_S1G_bDpT10_ENKUlT_T0_E_clISt17integral_constantIbLb0EES1T_IbLb1EEEEDaS1P_S1Q_EUlS1P_E_NS1_11comp_targetILNS1_3genE10ELNS1_11target_archE1200ELNS1_3gpuE4ELNS1_3repE0EEENS1_30default_config_static_selectorELNS0_4arch9wavefront6targetE1EEEvS12_, .Lfunc_end978-_ZN7rocprim17ROCPRIM_400000_NS6detail17trampoline_kernelINS0_13select_configILj256ELj13ELNS0_17block_load_methodE3ELS4_3ELS4_3ELNS0_20block_scan_algorithmE0ELj4294967295EEENS1_25partition_config_selectorILNS1_17partition_subalgoE4EjNS0_10empty_typeEbEEZZNS1_14partition_implILS8_4ELb0ES6_15HIP_vector_typeIjLj2EENS0_17counting_iteratorIjlEEPS9_SG_NS0_5tupleIJPjSI_NS0_16reverse_iteratorISI_EEEEENSH_IJSG_SG_SG_EEES9_SI_JZNS1_25segmented_radix_sort_implINS0_14default_configELb0EPKsPsPKlPlN2at6native12_GLOBAL__N_18offset_tEEE10hipError_tPvRmT1_PNSt15iterator_traitsIS12_E10value_typeET2_T3_PNS13_IS18_E10value_typeET4_jRbjT5_S1E_jjP12ihipStream_tbEUljE_ZNSN_ISO_Lb0ESQ_SR_ST_SU_SY_EESZ_S10_S11_S12_S16_S17_S18_S1B_S1C_jS1D_jS1E_S1E_jjS1G_bEUljE0_EEESZ_S10_S11_S18_S1C_S1E_T6_T7_T9_mT8_S1G_bDpT10_ENKUlT_T0_E_clISt17integral_constantIbLb0EES1T_IbLb1EEEEDaS1P_S1Q_EUlS1P_E_NS1_11comp_targetILNS1_3genE10ELNS1_11target_archE1200ELNS1_3gpuE4ELNS1_3repE0EEENS1_30default_config_static_selectorELNS0_4arch9wavefront6targetE1EEEvS12_
                                        ; -- End function
	.section	.AMDGPU.csdata,"",@progbits
; Kernel info:
; codeLenInByte = 0
; NumSgprs: 4
; NumVgprs: 0
; NumAgprs: 0
; TotalNumVgprs: 0
; ScratchSize: 0
; MemoryBound: 0
; FloatMode: 240
; IeeeMode: 1
; LDSByteSize: 0 bytes/workgroup (compile time only)
; SGPRBlocks: 0
; VGPRBlocks: 0
; NumSGPRsForWavesPerEU: 4
; NumVGPRsForWavesPerEU: 1
; AccumOffset: 4
; Occupancy: 8
; WaveLimiterHint : 0
; COMPUTE_PGM_RSRC2:SCRATCH_EN: 0
; COMPUTE_PGM_RSRC2:USER_SGPR: 6
; COMPUTE_PGM_RSRC2:TRAP_HANDLER: 0
; COMPUTE_PGM_RSRC2:TGID_X_EN: 1
; COMPUTE_PGM_RSRC2:TGID_Y_EN: 0
; COMPUTE_PGM_RSRC2:TGID_Z_EN: 0
; COMPUTE_PGM_RSRC2:TIDIG_COMP_CNT: 0
; COMPUTE_PGM_RSRC3_GFX90A:ACCUM_OFFSET: 0
; COMPUTE_PGM_RSRC3_GFX90A:TG_SPLIT: 0
	.section	.text._ZN7rocprim17ROCPRIM_400000_NS6detail17trampoline_kernelINS0_13select_configILj256ELj13ELNS0_17block_load_methodE3ELS4_3ELS4_3ELNS0_20block_scan_algorithmE0ELj4294967295EEENS1_25partition_config_selectorILNS1_17partition_subalgoE4EjNS0_10empty_typeEbEEZZNS1_14partition_implILS8_4ELb0ES6_15HIP_vector_typeIjLj2EENS0_17counting_iteratorIjlEEPS9_SG_NS0_5tupleIJPjSI_NS0_16reverse_iteratorISI_EEEEENSH_IJSG_SG_SG_EEES9_SI_JZNS1_25segmented_radix_sort_implINS0_14default_configELb0EPKsPsPKlPlN2at6native12_GLOBAL__N_18offset_tEEE10hipError_tPvRmT1_PNSt15iterator_traitsIS12_E10value_typeET2_T3_PNS13_IS18_E10value_typeET4_jRbjT5_S1E_jjP12ihipStream_tbEUljE_ZNSN_ISO_Lb0ESQ_SR_ST_SU_SY_EESZ_S10_S11_S12_S16_S17_S18_S1B_S1C_jS1D_jS1E_S1E_jjS1G_bEUljE0_EEESZ_S10_S11_S18_S1C_S1E_T6_T7_T9_mT8_S1G_bDpT10_ENKUlT_T0_E_clISt17integral_constantIbLb0EES1T_IbLb1EEEEDaS1P_S1Q_EUlS1P_E_NS1_11comp_targetILNS1_3genE9ELNS1_11target_archE1100ELNS1_3gpuE3ELNS1_3repE0EEENS1_30default_config_static_selectorELNS0_4arch9wavefront6targetE1EEEvS12_,"axG",@progbits,_ZN7rocprim17ROCPRIM_400000_NS6detail17trampoline_kernelINS0_13select_configILj256ELj13ELNS0_17block_load_methodE3ELS4_3ELS4_3ELNS0_20block_scan_algorithmE0ELj4294967295EEENS1_25partition_config_selectorILNS1_17partition_subalgoE4EjNS0_10empty_typeEbEEZZNS1_14partition_implILS8_4ELb0ES6_15HIP_vector_typeIjLj2EENS0_17counting_iteratorIjlEEPS9_SG_NS0_5tupleIJPjSI_NS0_16reverse_iteratorISI_EEEEENSH_IJSG_SG_SG_EEES9_SI_JZNS1_25segmented_radix_sort_implINS0_14default_configELb0EPKsPsPKlPlN2at6native12_GLOBAL__N_18offset_tEEE10hipError_tPvRmT1_PNSt15iterator_traitsIS12_E10value_typeET2_T3_PNS13_IS18_E10value_typeET4_jRbjT5_S1E_jjP12ihipStream_tbEUljE_ZNSN_ISO_Lb0ESQ_SR_ST_SU_SY_EESZ_S10_S11_S12_S16_S17_S18_S1B_S1C_jS1D_jS1E_S1E_jjS1G_bEUljE0_EEESZ_S10_S11_S18_S1C_S1E_T6_T7_T9_mT8_S1G_bDpT10_ENKUlT_T0_E_clISt17integral_constantIbLb0EES1T_IbLb1EEEEDaS1P_S1Q_EUlS1P_E_NS1_11comp_targetILNS1_3genE9ELNS1_11target_archE1100ELNS1_3gpuE3ELNS1_3repE0EEENS1_30default_config_static_selectorELNS0_4arch9wavefront6targetE1EEEvS12_,comdat
	.globl	_ZN7rocprim17ROCPRIM_400000_NS6detail17trampoline_kernelINS0_13select_configILj256ELj13ELNS0_17block_load_methodE3ELS4_3ELS4_3ELNS0_20block_scan_algorithmE0ELj4294967295EEENS1_25partition_config_selectorILNS1_17partition_subalgoE4EjNS0_10empty_typeEbEEZZNS1_14partition_implILS8_4ELb0ES6_15HIP_vector_typeIjLj2EENS0_17counting_iteratorIjlEEPS9_SG_NS0_5tupleIJPjSI_NS0_16reverse_iteratorISI_EEEEENSH_IJSG_SG_SG_EEES9_SI_JZNS1_25segmented_radix_sort_implINS0_14default_configELb0EPKsPsPKlPlN2at6native12_GLOBAL__N_18offset_tEEE10hipError_tPvRmT1_PNSt15iterator_traitsIS12_E10value_typeET2_T3_PNS13_IS18_E10value_typeET4_jRbjT5_S1E_jjP12ihipStream_tbEUljE_ZNSN_ISO_Lb0ESQ_SR_ST_SU_SY_EESZ_S10_S11_S12_S16_S17_S18_S1B_S1C_jS1D_jS1E_S1E_jjS1G_bEUljE0_EEESZ_S10_S11_S18_S1C_S1E_T6_T7_T9_mT8_S1G_bDpT10_ENKUlT_T0_E_clISt17integral_constantIbLb0EES1T_IbLb1EEEEDaS1P_S1Q_EUlS1P_E_NS1_11comp_targetILNS1_3genE9ELNS1_11target_archE1100ELNS1_3gpuE3ELNS1_3repE0EEENS1_30default_config_static_selectorELNS0_4arch9wavefront6targetE1EEEvS12_ ; -- Begin function _ZN7rocprim17ROCPRIM_400000_NS6detail17trampoline_kernelINS0_13select_configILj256ELj13ELNS0_17block_load_methodE3ELS4_3ELS4_3ELNS0_20block_scan_algorithmE0ELj4294967295EEENS1_25partition_config_selectorILNS1_17partition_subalgoE4EjNS0_10empty_typeEbEEZZNS1_14partition_implILS8_4ELb0ES6_15HIP_vector_typeIjLj2EENS0_17counting_iteratorIjlEEPS9_SG_NS0_5tupleIJPjSI_NS0_16reverse_iteratorISI_EEEEENSH_IJSG_SG_SG_EEES9_SI_JZNS1_25segmented_radix_sort_implINS0_14default_configELb0EPKsPsPKlPlN2at6native12_GLOBAL__N_18offset_tEEE10hipError_tPvRmT1_PNSt15iterator_traitsIS12_E10value_typeET2_T3_PNS13_IS18_E10value_typeET4_jRbjT5_S1E_jjP12ihipStream_tbEUljE_ZNSN_ISO_Lb0ESQ_SR_ST_SU_SY_EESZ_S10_S11_S12_S16_S17_S18_S1B_S1C_jS1D_jS1E_S1E_jjS1G_bEUljE0_EEESZ_S10_S11_S18_S1C_S1E_T6_T7_T9_mT8_S1G_bDpT10_ENKUlT_T0_E_clISt17integral_constantIbLb0EES1T_IbLb1EEEEDaS1P_S1Q_EUlS1P_E_NS1_11comp_targetILNS1_3genE9ELNS1_11target_archE1100ELNS1_3gpuE3ELNS1_3repE0EEENS1_30default_config_static_selectorELNS0_4arch9wavefront6targetE1EEEvS12_
	.p2align	8
	.type	_ZN7rocprim17ROCPRIM_400000_NS6detail17trampoline_kernelINS0_13select_configILj256ELj13ELNS0_17block_load_methodE3ELS4_3ELS4_3ELNS0_20block_scan_algorithmE0ELj4294967295EEENS1_25partition_config_selectorILNS1_17partition_subalgoE4EjNS0_10empty_typeEbEEZZNS1_14partition_implILS8_4ELb0ES6_15HIP_vector_typeIjLj2EENS0_17counting_iteratorIjlEEPS9_SG_NS0_5tupleIJPjSI_NS0_16reverse_iteratorISI_EEEEENSH_IJSG_SG_SG_EEES9_SI_JZNS1_25segmented_radix_sort_implINS0_14default_configELb0EPKsPsPKlPlN2at6native12_GLOBAL__N_18offset_tEEE10hipError_tPvRmT1_PNSt15iterator_traitsIS12_E10value_typeET2_T3_PNS13_IS18_E10value_typeET4_jRbjT5_S1E_jjP12ihipStream_tbEUljE_ZNSN_ISO_Lb0ESQ_SR_ST_SU_SY_EESZ_S10_S11_S12_S16_S17_S18_S1B_S1C_jS1D_jS1E_S1E_jjS1G_bEUljE0_EEESZ_S10_S11_S18_S1C_S1E_T6_T7_T9_mT8_S1G_bDpT10_ENKUlT_T0_E_clISt17integral_constantIbLb0EES1T_IbLb1EEEEDaS1P_S1Q_EUlS1P_E_NS1_11comp_targetILNS1_3genE9ELNS1_11target_archE1100ELNS1_3gpuE3ELNS1_3repE0EEENS1_30default_config_static_selectorELNS0_4arch9wavefront6targetE1EEEvS12_,@function
_ZN7rocprim17ROCPRIM_400000_NS6detail17trampoline_kernelINS0_13select_configILj256ELj13ELNS0_17block_load_methodE3ELS4_3ELS4_3ELNS0_20block_scan_algorithmE0ELj4294967295EEENS1_25partition_config_selectorILNS1_17partition_subalgoE4EjNS0_10empty_typeEbEEZZNS1_14partition_implILS8_4ELb0ES6_15HIP_vector_typeIjLj2EENS0_17counting_iteratorIjlEEPS9_SG_NS0_5tupleIJPjSI_NS0_16reverse_iteratorISI_EEEEENSH_IJSG_SG_SG_EEES9_SI_JZNS1_25segmented_radix_sort_implINS0_14default_configELb0EPKsPsPKlPlN2at6native12_GLOBAL__N_18offset_tEEE10hipError_tPvRmT1_PNSt15iterator_traitsIS12_E10value_typeET2_T3_PNS13_IS18_E10value_typeET4_jRbjT5_S1E_jjP12ihipStream_tbEUljE_ZNSN_ISO_Lb0ESQ_SR_ST_SU_SY_EESZ_S10_S11_S12_S16_S17_S18_S1B_S1C_jS1D_jS1E_S1E_jjS1G_bEUljE0_EEESZ_S10_S11_S18_S1C_S1E_T6_T7_T9_mT8_S1G_bDpT10_ENKUlT_T0_E_clISt17integral_constantIbLb0EES1T_IbLb1EEEEDaS1P_S1Q_EUlS1P_E_NS1_11comp_targetILNS1_3genE9ELNS1_11target_archE1100ELNS1_3gpuE3ELNS1_3repE0EEENS1_30default_config_static_selectorELNS0_4arch9wavefront6targetE1EEEvS12_: ; @_ZN7rocprim17ROCPRIM_400000_NS6detail17trampoline_kernelINS0_13select_configILj256ELj13ELNS0_17block_load_methodE3ELS4_3ELS4_3ELNS0_20block_scan_algorithmE0ELj4294967295EEENS1_25partition_config_selectorILNS1_17partition_subalgoE4EjNS0_10empty_typeEbEEZZNS1_14partition_implILS8_4ELb0ES6_15HIP_vector_typeIjLj2EENS0_17counting_iteratorIjlEEPS9_SG_NS0_5tupleIJPjSI_NS0_16reverse_iteratorISI_EEEEENSH_IJSG_SG_SG_EEES9_SI_JZNS1_25segmented_radix_sort_implINS0_14default_configELb0EPKsPsPKlPlN2at6native12_GLOBAL__N_18offset_tEEE10hipError_tPvRmT1_PNSt15iterator_traitsIS12_E10value_typeET2_T3_PNS13_IS18_E10value_typeET4_jRbjT5_S1E_jjP12ihipStream_tbEUljE_ZNSN_ISO_Lb0ESQ_SR_ST_SU_SY_EESZ_S10_S11_S12_S16_S17_S18_S1B_S1C_jS1D_jS1E_S1E_jjS1G_bEUljE0_EEESZ_S10_S11_S18_S1C_S1E_T6_T7_T9_mT8_S1G_bDpT10_ENKUlT_T0_E_clISt17integral_constantIbLb0EES1T_IbLb1EEEEDaS1P_S1Q_EUlS1P_E_NS1_11comp_targetILNS1_3genE9ELNS1_11target_archE1100ELNS1_3gpuE3ELNS1_3repE0EEENS1_30default_config_static_selectorELNS0_4arch9wavefront6targetE1EEEvS12_
; %bb.0:
	.section	.rodata,"a",@progbits
	.p2align	6, 0x0
	.amdhsa_kernel _ZN7rocprim17ROCPRIM_400000_NS6detail17trampoline_kernelINS0_13select_configILj256ELj13ELNS0_17block_load_methodE3ELS4_3ELS4_3ELNS0_20block_scan_algorithmE0ELj4294967295EEENS1_25partition_config_selectorILNS1_17partition_subalgoE4EjNS0_10empty_typeEbEEZZNS1_14partition_implILS8_4ELb0ES6_15HIP_vector_typeIjLj2EENS0_17counting_iteratorIjlEEPS9_SG_NS0_5tupleIJPjSI_NS0_16reverse_iteratorISI_EEEEENSH_IJSG_SG_SG_EEES9_SI_JZNS1_25segmented_radix_sort_implINS0_14default_configELb0EPKsPsPKlPlN2at6native12_GLOBAL__N_18offset_tEEE10hipError_tPvRmT1_PNSt15iterator_traitsIS12_E10value_typeET2_T3_PNS13_IS18_E10value_typeET4_jRbjT5_S1E_jjP12ihipStream_tbEUljE_ZNSN_ISO_Lb0ESQ_SR_ST_SU_SY_EESZ_S10_S11_S12_S16_S17_S18_S1B_S1C_jS1D_jS1E_S1E_jjS1G_bEUljE0_EEESZ_S10_S11_S18_S1C_S1E_T6_T7_T9_mT8_S1G_bDpT10_ENKUlT_T0_E_clISt17integral_constantIbLb0EES1T_IbLb1EEEEDaS1P_S1Q_EUlS1P_E_NS1_11comp_targetILNS1_3genE9ELNS1_11target_archE1100ELNS1_3gpuE3ELNS1_3repE0EEENS1_30default_config_static_selectorELNS0_4arch9wavefront6targetE1EEEvS12_
		.amdhsa_group_segment_fixed_size 0
		.amdhsa_private_segment_fixed_size 0
		.amdhsa_kernarg_size 184
		.amdhsa_user_sgpr_count 6
		.amdhsa_user_sgpr_private_segment_buffer 1
		.amdhsa_user_sgpr_dispatch_ptr 0
		.amdhsa_user_sgpr_queue_ptr 0
		.amdhsa_user_sgpr_kernarg_segment_ptr 1
		.amdhsa_user_sgpr_dispatch_id 0
		.amdhsa_user_sgpr_flat_scratch_init 0
		.amdhsa_user_sgpr_kernarg_preload_length 0
		.amdhsa_user_sgpr_kernarg_preload_offset 0
		.amdhsa_user_sgpr_private_segment_size 0
		.amdhsa_uses_dynamic_stack 0
		.amdhsa_system_sgpr_private_segment_wavefront_offset 0
		.amdhsa_system_sgpr_workgroup_id_x 1
		.amdhsa_system_sgpr_workgroup_id_y 0
		.amdhsa_system_sgpr_workgroup_id_z 0
		.amdhsa_system_sgpr_workgroup_info 0
		.amdhsa_system_vgpr_workitem_id 0
		.amdhsa_next_free_vgpr 1
		.amdhsa_next_free_sgpr 0
		.amdhsa_accum_offset 4
		.amdhsa_reserve_vcc 0
		.amdhsa_reserve_flat_scratch 0
		.amdhsa_float_round_mode_32 0
		.amdhsa_float_round_mode_16_64 0
		.amdhsa_float_denorm_mode_32 3
		.amdhsa_float_denorm_mode_16_64 3
		.amdhsa_dx10_clamp 1
		.amdhsa_ieee_mode 1
		.amdhsa_fp16_overflow 0
		.amdhsa_tg_split 0
		.amdhsa_exception_fp_ieee_invalid_op 0
		.amdhsa_exception_fp_denorm_src 0
		.amdhsa_exception_fp_ieee_div_zero 0
		.amdhsa_exception_fp_ieee_overflow 0
		.amdhsa_exception_fp_ieee_underflow 0
		.amdhsa_exception_fp_ieee_inexact 0
		.amdhsa_exception_int_div_zero 0
	.end_amdhsa_kernel
	.section	.text._ZN7rocprim17ROCPRIM_400000_NS6detail17trampoline_kernelINS0_13select_configILj256ELj13ELNS0_17block_load_methodE3ELS4_3ELS4_3ELNS0_20block_scan_algorithmE0ELj4294967295EEENS1_25partition_config_selectorILNS1_17partition_subalgoE4EjNS0_10empty_typeEbEEZZNS1_14partition_implILS8_4ELb0ES6_15HIP_vector_typeIjLj2EENS0_17counting_iteratorIjlEEPS9_SG_NS0_5tupleIJPjSI_NS0_16reverse_iteratorISI_EEEEENSH_IJSG_SG_SG_EEES9_SI_JZNS1_25segmented_radix_sort_implINS0_14default_configELb0EPKsPsPKlPlN2at6native12_GLOBAL__N_18offset_tEEE10hipError_tPvRmT1_PNSt15iterator_traitsIS12_E10value_typeET2_T3_PNS13_IS18_E10value_typeET4_jRbjT5_S1E_jjP12ihipStream_tbEUljE_ZNSN_ISO_Lb0ESQ_SR_ST_SU_SY_EESZ_S10_S11_S12_S16_S17_S18_S1B_S1C_jS1D_jS1E_S1E_jjS1G_bEUljE0_EEESZ_S10_S11_S18_S1C_S1E_T6_T7_T9_mT8_S1G_bDpT10_ENKUlT_T0_E_clISt17integral_constantIbLb0EES1T_IbLb1EEEEDaS1P_S1Q_EUlS1P_E_NS1_11comp_targetILNS1_3genE9ELNS1_11target_archE1100ELNS1_3gpuE3ELNS1_3repE0EEENS1_30default_config_static_selectorELNS0_4arch9wavefront6targetE1EEEvS12_,"axG",@progbits,_ZN7rocprim17ROCPRIM_400000_NS6detail17trampoline_kernelINS0_13select_configILj256ELj13ELNS0_17block_load_methodE3ELS4_3ELS4_3ELNS0_20block_scan_algorithmE0ELj4294967295EEENS1_25partition_config_selectorILNS1_17partition_subalgoE4EjNS0_10empty_typeEbEEZZNS1_14partition_implILS8_4ELb0ES6_15HIP_vector_typeIjLj2EENS0_17counting_iteratorIjlEEPS9_SG_NS0_5tupleIJPjSI_NS0_16reverse_iteratorISI_EEEEENSH_IJSG_SG_SG_EEES9_SI_JZNS1_25segmented_radix_sort_implINS0_14default_configELb0EPKsPsPKlPlN2at6native12_GLOBAL__N_18offset_tEEE10hipError_tPvRmT1_PNSt15iterator_traitsIS12_E10value_typeET2_T3_PNS13_IS18_E10value_typeET4_jRbjT5_S1E_jjP12ihipStream_tbEUljE_ZNSN_ISO_Lb0ESQ_SR_ST_SU_SY_EESZ_S10_S11_S12_S16_S17_S18_S1B_S1C_jS1D_jS1E_S1E_jjS1G_bEUljE0_EEESZ_S10_S11_S18_S1C_S1E_T6_T7_T9_mT8_S1G_bDpT10_ENKUlT_T0_E_clISt17integral_constantIbLb0EES1T_IbLb1EEEEDaS1P_S1Q_EUlS1P_E_NS1_11comp_targetILNS1_3genE9ELNS1_11target_archE1100ELNS1_3gpuE3ELNS1_3repE0EEENS1_30default_config_static_selectorELNS0_4arch9wavefront6targetE1EEEvS12_,comdat
.Lfunc_end979:
	.size	_ZN7rocprim17ROCPRIM_400000_NS6detail17trampoline_kernelINS0_13select_configILj256ELj13ELNS0_17block_load_methodE3ELS4_3ELS4_3ELNS0_20block_scan_algorithmE0ELj4294967295EEENS1_25partition_config_selectorILNS1_17partition_subalgoE4EjNS0_10empty_typeEbEEZZNS1_14partition_implILS8_4ELb0ES6_15HIP_vector_typeIjLj2EENS0_17counting_iteratorIjlEEPS9_SG_NS0_5tupleIJPjSI_NS0_16reverse_iteratorISI_EEEEENSH_IJSG_SG_SG_EEES9_SI_JZNS1_25segmented_radix_sort_implINS0_14default_configELb0EPKsPsPKlPlN2at6native12_GLOBAL__N_18offset_tEEE10hipError_tPvRmT1_PNSt15iterator_traitsIS12_E10value_typeET2_T3_PNS13_IS18_E10value_typeET4_jRbjT5_S1E_jjP12ihipStream_tbEUljE_ZNSN_ISO_Lb0ESQ_SR_ST_SU_SY_EESZ_S10_S11_S12_S16_S17_S18_S1B_S1C_jS1D_jS1E_S1E_jjS1G_bEUljE0_EEESZ_S10_S11_S18_S1C_S1E_T6_T7_T9_mT8_S1G_bDpT10_ENKUlT_T0_E_clISt17integral_constantIbLb0EES1T_IbLb1EEEEDaS1P_S1Q_EUlS1P_E_NS1_11comp_targetILNS1_3genE9ELNS1_11target_archE1100ELNS1_3gpuE3ELNS1_3repE0EEENS1_30default_config_static_selectorELNS0_4arch9wavefront6targetE1EEEvS12_, .Lfunc_end979-_ZN7rocprim17ROCPRIM_400000_NS6detail17trampoline_kernelINS0_13select_configILj256ELj13ELNS0_17block_load_methodE3ELS4_3ELS4_3ELNS0_20block_scan_algorithmE0ELj4294967295EEENS1_25partition_config_selectorILNS1_17partition_subalgoE4EjNS0_10empty_typeEbEEZZNS1_14partition_implILS8_4ELb0ES6_15HIP_vector_typeIjLj2EENS0_17counting_iteratorIjlEEPS9_SG_NS0_5tupleIJPjSI_NS0_16reverse_iteratorISI_EEEEENSH_IJSG_SG_SG_EEES9_SI_JZNS1_25segmented_radix_sort_implINS0_14default_configELb0EPKsPsPKlPlN2at6native12_GLOBAL__N_18offset_tEEE10hipError_tPvRmT1_PNSt15iterator_traitsIS12_E10value_typeET2_T3_PNS13_IS18_E10value_typeET4_jRbjT5_S1E_jjP12ihipStream_tbEUljE_ZNSN_ISO_Lb0ESQ_SR_ST_SU_SY_EESZ_S10_S11_S12_S16_S17_S18_S1B_S1C_jS1D_jS1E_S1E_jjS1G_bEUljE0_EEESZ_S10_S11_S18_S1C_S1E_T6_T7_T9_mT8_S1G_bDpT10_ENKUlT_T0_E_clISt17integral_constantIbLb0EES1T_IbLb1EEEEDaS1P_S1Q_EUlS1P_E_NS1_11comp_targetILNS1_3genE9ELNS1_11target_archE1100ELNS1_3gpuE3ELNS1_3repE0EEENS1_30default_config_static_selectorELNS0_4arch9wavefront6targetE1EEEvS12_
                                        ; -- End function
	.section	.AMDGPU.csdata,"",@progbits
; Kernel info:
; codeLenInByte = 0
; NumSgprs: 4
; NumVgprs: 0
; NumAgprs: 0
; TotalNumVgprs: 0
; ScratchSize: 0
; MemoryBound: 0
; FloatMode: 240
; IeeeMode: 1
; LDSByteSize: 0 bytes/workgroup (compile time only)
; SGPRBlocks: 0
; VGPRBlocks: 0
; NumSGPRsForWavesPerEU: 4
; NumVGPRsForWavesPerEU: 1
; AccumOffset: 4
; Occupancy: 8
; WaveLimiterHint : 0
; COMPUTE_PGM_RSRC2:SCRATCH_EN: 0
; COMPUTE_PGM_RSRC2:USER_SGPR: 6
; COMPUTE_PGM_RSRC2:TRAP_HANDLER: 0
; COMPUTE_PGM_RSRC2:TGID_X_EN: 1
; COMPUTE_PGM_RSRC2:TGID_Y_EN: 0
; COMPUTE_PGM_RSRC2:TGID_Z_EN: 0
; COMPUTE_PGM_RSRC2:TIDIG_COMP_CNT: 0
; COMPUTE_PGM_RSRC3_GFX90A:ACCUM_OFFSET: 0
; COMPUTE_PGM_RSRC3_GFX90A:TG_SPLIT: 0
	.section	.text._ZN7rocprim17ROCPRIM_400000_NS6detail17trampoline_kernelINS0_13select_configILj256ELj13ELNS0_17block_load_methodE3ELS4_3ELS4_3ELNS0_20block_scan_algorithmE0ELj4294967295EEENS1_25partition_config_selectorILNS1_17partition_subalgoE4EjNS0_10empty_typeEbEEZZNS1_14partition_implILS8_4ELb0ES6_15HIP_vector_typeIjLj2EENS0_17counting_iteratorIjlEEPS9_SG_NS0_5tupleIJPjSI_NS0_16reverse_iteratorISI_EEEEENSH_IJSG_SG_SG_EEES9_SI_JZNS1_25segmented_radix_sort_implINS0_14default_configELb0EPKsPsPKlPlN2at6native12_GLOBAL__N_18offset_tEEE10hipError_tPvRmT1_PNSt15iterator_traitsIS12_E10value_typeET2_T3_PNS13_IS18_E10value_typeET4_jRbjT5_S1E_jjP12ihipStream_tbEUljE_ZNSN_ISO_Lb0ESQ_SR_ST_SU_SY_EESZ_S10_S11_S12_S16_S17_S18_S1B_S1C_jS1D_jS1E_S1E_jjS1G_bEUljE0_EEESZ_S10_S11_S18_S1C_S1E_T6_T7_T9_mT8_S1G_bDpT10_ENKUlT_T0_E_clISt17integral_constantIbLb0EES1T_IbLb1EEEEDaS1P_S1Q_EUlS1P_E_NS1_11comp_targetILNS1_3genE8ELNS1_11target_archE1030ELNS1_3gpuE2ELNS1_3repE0EEENS1_30default_config_static_selectorELNS0_4arch9wavefront6targetE1EEEvS12_,"axG",@progbits,_ZN7rocprim17ROCPRIM_400000_NS6detail17trampoline_kernelINS0_13select_configILj256ELj13ELNS0_17block_load_methodE3ELS4_3ELS4_3ELNS0_20block_scan_algorithmE0ELj4294967295EEENS1_25partition_config_selectorILNS1_17partition_subalgoE4EjNS0_10empty_typeEbEEZZNS1_14partition_implILS8_4ELb0ES6_15HIP_vector_typeIjLj2EENS0_17counting_iteratorIjlEEPS9_SG_NS0_5tupleIJPjSI_NS0_16reverse_iteratorISI_EEEEENSH_IJSG_SG_SG_EEES9_SI_JZNS1_25segmented_radix_sort_implINS0_14default_configELb0EPKsPsPKlPlN2at6native12_GLOBAL__N_18offset_tEEE10hipError_tPvRmT1_PNSt15iterator_traitsIS12_E10value_typeET2_T3_PNS13_IS18_E10value_typeET4_jRbjT5_S1E_jjP12ihipStream_tbEUljE_ZNSN_ISO_Lb0ESQ_SR_ST_SU_SY_EESZ_S10_S11_S12_S16_S17_S18_S1B_S1C_jS1D_jS1E_S1E_jjS1G_bEUljE0_EEESZ_S10_S11_S18_S1C_S1E_T6_T7_T9_mT8_S1G_bDpT10_ENKUlT_T0_E_clISt17integral_constantIbLb0EES1T_IbLb1EEEEDaS1P_S1Q_EUlS1P_E_NS1_11comp_targetILNS1_3genE8ELNS1_11target_archE1030ELNS1_3gpuE2ELNS1_3repE0EEENS1_30default_config_static_selectorELNS0_4arch9wavefront6targetE1EEEvS12_,comdat
	.globl	_ZN7rocprim17ROCPRIM_400000_NS6detail17trampoline_kernelINS0_13select_configILj256ELj13ELNS0_17block_load_methodE3ELS4_3ELS4_3ELNS0_20block_scan_algorithmE0ELj4294967295EEENS1_25partition_config_selectorILNS1_17partition_subalgoE4EjNS0_10empty_typeEbEEZZNS1_14partition_implILS8_4ELb0ES6_15HIP_vector_typeIjLj2EENS0_17counting_iteratorIjlEEPS9_SG_NS0_5tupleIJPjSI_NS0_16reverse_iteratorISI_EEEEENSH_IJSG_SG_SG_EEES9_SI_JZNS1_25segmented_radix_sort_implINS0_14default_configELb0EPKsPsPKlPlN2at6native12_GLOBAL__N_18offset_tEEE10hipError_tPvRmT1_PNSt15iterator_traitsIS12_E10value_typeET2_T3_PNS13_IS18_E10value_typeET4_jRbjT5_S1E_jjP12ihipStream_tbEUljE_ZNSN_ISO_Lb0ESQ_SR_ST_SU_SY_EESZ_S10_S11_S12_S16_S17_S18_S1B_S1C_jS1D_jS1E_S1E_jjS1G_bEUljE0_EEESZ_S10_S11_S18_S1C_S1E_T6_T7_T9_mT8_S1G_bDpT10_ENKUlT_T0_E_clISt17integral_constantIbLb0EES1T_IbLb1EEEEDaS1P_S1Q_EUlS1P_E_NS1_11comp_targetILNS1_3genE8ELNS1_11target_archE1030ELNS1_3gpuE2ELNS1_3repE0EEENS1_30default_config_static_selectorELNS0_4arch9wavefront6targetE1EEEvS12_ ; -- Begin function _ZN7rocprim17ROCPRIM_400000_NS6detail17trampoline_kernelINS0_13select_configILj256ELj13ELNS0_17block_load_methodE3ELS4_3ELS4_3ELNS0_20block_scan_algorithmE0ELj4294967295EEENS1_25partition_config_selectorILNS1_17partition_subalgoE4EjNS0_10empty_typeEbEEZZNS1_14partition_implILS8_4ELb0ES6_15HIP_vector_typeIjLj2EENS0_17counting_iteratorIjlEEPS9_SG_NS0_5tupleIJPjSI_NS0_16reverse_iteratorISI_EEEEENSH_IJSG_SG_SG_EEES9_SI_JZNS1_25segmented_radix_sort_implINS0_14default_configELb0EPKsPsPKlPlN2at6native12_GLOBAL__N_18offset_tEEE10hipError_tPvRmT1_PNSt15iterator_traitsIS12_E10value_typeET2_T3_PNS13_IS18_E10value_typeET4_jRbjT5_S1E_jjP12ihipStream_tbEUljE_ZNSN_ISO_Lb0ESQ_SR_ST_SU_SY_EESZ_S10_S11_S12_S16_S17_S18_S1B_S1C_jS1D_jS1E_S1E_jjS1G_bEUljE0_EEESZ_S10_S11_S18_S1C_S1E_T6_T7_T9_mT8_S1G_bDpT10_ENKUlT_T0_E_clISt17integral_constantIbLb0EES1T_IbLb1EEEEDaS1P_S1Q_EUlS1P_E_NS1_11comp_targetILNS1_3genE8ELNS1_11target_archE1030ELNS1_3gpuE2ELNS1_3repE0EEENS1_30default_config_static_selectorELNS0_4arch9wavefront6targetE1EEEvS12_
	.p2align	8
	.type	_ZN7rocprim17ROCPRIM_400000_NS6detail17trampoline_kernelINS0_13select_configILj256ELj13ELNS0_17block_load_methodE3ELS4_3ELS4_3ELNS0_20block_scan_algorithmE0ELj4294967295EEENS1_25partition_config_selectorILNS1_17partition_subalgoE4EjNS0_10empty_typeEbEEZZNS1_14partition_implILS8_4ELb0ES6_15HIP_vector_typeIjLj2EENS0_17counting_iteratorIjlEEPS9_SG_NS0_5tupleIJPjSI_NS0_16reverse_iteratorISI_EEEEENSH_IJSG_SG_SG_EEES9_SI_JZNS1_25segmented_radix_sort_implINS0_14default_configELb0EPKsPsPKlPlN2at6native12_GLOBAL__N_18offset_tEEE10hipError_tPvRmT1_PNSt15iterator_traitsIS12_E10value_typeET2_T3_PNS13_IS18_E10value_typeET4_jRbjT5_S1E_jjP12ihipStream_tbEUljE_ZNSN_ISO_Lb0ESQ_SR_ST_SU_SY_EESZ_S10_S11_S12_S16_S17_S18_S1B_S1C_jS1D_jS1E_S1E_jjS1G_bEUljE0_EEESZ_S10_S11_S18_S1C_S1E_T6_T7_T9_mT8_S1G_bDpT10_ENKUlT_T0_E_clISt17integral_constantIbLb0EES1T_IbLb1EEEEDaS1P_S1Q_EUlS1P_E_NS1_11comp_targetILNS1_3genE8ELNS1_11target_archE1030ELNS1_3gpuE2ELNS1_3repE0EEENS1_30default_config_static_selectorELNS0_4arch9wavefront6targetE1EEEvS12_,@function
_ZN7rocprim17ROCPRIM_400000_NS6detail17trampoline_kernelINS0_13select_configILj256ELj13ELNS0_17block_load_methodE3ELS4_3ELS4_3ELNS0_20block_scan_algorithmE0ELj4294967295EEENS1_25partition_config_selectorILNS1_17partition_subalgoE4EjNS0_10empty_typeEbEEZZNS1_14partition_implILS8_4ELb0ES6_15HIP_vector_typeIjLj2EENS0_17counting_iteratorIjlEEPS9_SG_NS0_5tupleIJPjSI_NS0_16reverse_iteratorISI_EEEEENSH_IJSG_SG_SG_EEES9_SI_JZNS1_25segmented_radix_sort_implINS0_14default_configELb0EPKsPsPKlPlN2at6native12_GLOBAL__N_18offset_tEEE10hipError_tPvRmT1_PNSt15iterator_traitsIS12_E10value_typeET2_T3_PNS13_IS18_E10value_typeET4_jRbjT5_S1E_jjP12ihipStream_tbEUljE_ZNSN_ISO_Lb0ESQ_SR_ST_SU_SY_EESZ_S10_S11_S12_S16_S17_S18_S1B_S1C_jS1D_jS1E_S1E_jjS1G_bEUljE0_EEESZ_S10_S11_S18_S1C_S1E_T6_T7_T9_mT8_S1G_bDpT10_ENKUlT_T0_E_clISt17integral_constantIbLb0EES1T_IbLb1EEEEDaS1P_S1Q_EUlS1P_E_NS1_11comp_targetILNS1_3genE8ELNS1_11target_archE1030ELNS1_3gpuE2ELNS1_3repE0EEENS1_30default_config_static_selectorELNS0_4arch9wavefront6targetE1EEEvS12_: ; @_ZN7rocprim17ROCPRIM_400000_NS6detail17trampoline_kernelINS0_13select_configILj256ELj13ELNS0_17block_load_methodE3ELS4_3ELS4_3ELNS0_20block_scan_algorithmE0ELj4294967295EEENS1_25partition_config_selectorILNS1_17partition_subalgoE4EjNS0_10empty_typeEbEEZZNS1_14partition_implILS8_4ELb0ES6_15HIP_vector_typeIjLj2EENS0_17counting_iteratorIjlEEPS9_SG_NS0_5tupleIJPjSI_NS0_16reverse_iteratorISI_EEEEENSH_IJSG_SG_SG_EEES9_SI_JZNS1_25segmented_radix_sort_implINS0_14default_configELb0EPKsPsPKlPlN2at6native12_GLOBAL__N_18offset_tEEE10hipError_tPvRmT1_PNSt15iterator_traitsIS12_E10value_typeET2_T3_PNS13_IS18_E10value_typeET4_jRbjT5_S1E_jjP12ihipStream_tbEUljE_ZNSN_ISO_Lb0ESQ_SR_ST_SU_SY_EESZ_S10_S11_S12_S16_S17_S18_S1B_S1C_jS1D_jS1E_S1E_jjS1G_bEUljE0_EEESZ_S10_S11_S18_S1C_S1E_T6_T7_T9_mT8_S1G_bDpT10_ENKUlT_T0_E_clISt17integral_constantIbLb0EES1T_IbLb1EEEEDaS1P_S1Q_EUlS1P_E_NS1_11comp_targetILNS1_3genE8ELNS1_11target_archE1030ELNS1_3gpuE2ELNS1_3repE0EEENS1_30default_config_static_selectorELNS0_4arch9wavefront6targetE1EEEvS12_
; %bb.0:
	.section	.rodata,"a",@progbits
	.p2align	6, 0x0
	.amdhsa_kernel _ZN7rocprim17ROCPRIM_400000_NS6detail17trampoline_kernelINS0_13select_configILj256ELj13ELNS0_17block_load_methodE3ELS4_3ELS4_3ELNS0_20block_scan_algorithmE0ELj4294967295EEENS1_25partition_config_selectorILNS1_17partition_subalgoE4EjNS0_10empty_typeEbEEZZNS1_14partition_implILS8_4ELb0ES6_15HIP_vector_typeIjLj2EENS0_17counting_iteratorIjlEEPS9_SG_NS0_5tupleIJPjSI_NS0_16reverse_iteratorISI_EEEEENSH_IJSG_SG_SG_EEES9_SI_JZNS1_25segmented_radix_sort_implINS0_14default_configELb0EPKsPsPKlPlN2at6native12_GLOBAL__N_18offset_tEEE10hipError_tPvRmT1_PNSt15iterator_traitsIS12_E10value_typeET2_T3_PNS13_IS18_E10value_typeET4_jRbjT5_S1E_jjP12ihipStream_tbEUljE_ZNSN_ISO_Lb0ESQ_SR_ST_SU_SY_EESZ_S10_S11_S12_S16_S17_S18_S1B_S1C_jS1D_jS1E_S1E_jjS1G_bEUljE0_EEESZ_S10_S11_S18_S1C_S1E_T6_T7_T9_mT8_S1G_bDpT10_ENKUlT_T0_E_clISt17integral_constantIbLb0EES1T_IbLb1EEEEDaS1P_S1Q_EUlS1P_E_NS1_11comp_targetILNS1_3genE8ELNS1_11target_archE1030ELNS1_3gpuE2ELNS1_3repE0EEENS1_30default_config_static_selectorELNS0_4arch9wavefront6targetE1EEEvS12_
		.amdhsa_group_segment_fixed_size 0
		.amdhsa_private_segment_fixed_size 0
		.amdhsa_kernarg_size 184
		.amdhsa_user_sgpr_count 6
		.amdhsa_user_sgpr_private_segment_buffer 1
		.amdhsa_user_sgpr_dispatch_ptr 0
		.amdhsa_user_sgpr_queue_ptr 0
		.amdhsa_user_sgpr_kernarg_segment_ptr 1
		.amdhsa_user_sgpr_dispatch_id 0
		.amdhsa_user_sgpr_flat_scratch_init 0
		.amdhsa_user_sgpr_kernarg_preload_length 0
		.amdhsa_user_sgpr_kernarg_preload_offset 0
		.amdhsa_user_sgpr_private_segment_size 0
		.amdhsa_uses_dynamic_stack 0
		.amdhsa_system_sgpr_private_segment_wavefront_offset 0
		.amdhsa_system_sgpr_workgroup_id_x 1
		.amdhsa_system_sgpr_workgroup_id_y 0
		.amdhsa_system_sgpr_workgroup_id_z 0
		.amdhsa_system_sgpr_workgroup_info 0
		.amdhsa_system_vgpr_workitem_id 0
		.amdhsa_next_free_vgpr 1
		.amdhsa_next_free_sgpr 0
		.amdhsa_accum_offset 4
		.amdhsa_reserve_vcc 0
		.amdhsa_reserve_flat_scratch 0
		.amdhsa_float_round_mode_32 0
		.amdhsa_float_round_mode_16_64 0
		.amdhsa_float_denorm_mode_32 3
		.amdhsa_float_denorm_mode_16_64 3
		.amdhsa_dx10_clamp 1
		.amdhsa_ieee_mode 1
		.amdhsa_fp16_overflow 0
		.amdhsa_tg_split 0
		.amdhsa_exception_fp_ieee_invalid_op 0
		.amdhsa_exception_fp_denorm_src 0
		.amdhsa_exception_fp_ieee_div_zero 0
		.amdhsa_exception_fp_ieee_overflow 0
		.amdhsa_exception_fp_ieee_underflow 0
		.amdhsa_exception_fp_ieee_inexact 0
		.amdhsa_exception_int_div_zero 0
	.end_amdhsa_kernel
	.section	.text._ZN7rocprim17ROCPRIM_400000_NS6detail17trampoline_kernelINS0_13select_configILj256ELj13ELNS0_17block_load_methodE3ELS4_3ELS4_3ELNS0_20block_scan_algorithmE0ELj4294967295EEENS1_25partition_config_selectorILNS1_17partition_subalgoE4EjNS0_10empty_typeEbEEZZNS1_14partition_implILS8_4ELb0ES6_15HIP_vector_typeIjLj2EENS0_17counting_iteratorIjlEEPS9_SG_NS0_5tupleIJPjSI_NS0_16reverse_iteratorISI_EEEEENSH_IJSG_SG_SG_EEES9_SI_JZNS1_25segmented_radix_sort_implINS0_14default_configELb0EPKsPsPKlPlN2at6native12_GLOBAL__N_18offset_tEEE10hipError_tPvRmT1_PNSt15iterator_traitsIS12_E10value_typeET2_T3_PNS13_IS18_E10value_typeET4_jRbjT5_S1E_jjP12ihipStream_tbEUljE_ZNSN_ISO_Lb0ESQ_SR_ST_SU_SY_EESZ_S10_S11_S12_S16_S17_S18_S1B_S1C_jS1D_jS1E_S1E_jjS1G_bEUljE0_EEESZ_S10_S11_S18_S1C_S1E_T6_T7_T9_mT8_S1G_bDpT10_ENKUlT_T0_E_clISt17integral_constantIbLb0EES1T_IbLb1EEEEDaS1P_S1Q_EUlS1P_E_NS1_11comp_targetILNS1_3genE8ELNS1_11target_archE1030ELNS1_3gpuE2ELNS1_3repE0EEENS1_30default_config_static_selectorELNS0_4arch9wavefront6targetE1EEEvS12_,"axG",@progbits,_ZN7rocprim17ROCPRIM_400000_NS6detail17trampoline_kernelINS0_13select_configILj256ELj13ELNS0_17block_load_methodE3ELS4_3ELS4_3ELNS0_20block_scan_algorithmE0ELj4294967295EEENS1_25partition_config_selectorILNS1_17partition_subalgoE4EjNS0_10empty_typeEbEEZZNS1_14partition_implILS8_4ELb0ES6_15HIP_vector_typeIjLj2EENS0_17counting_iteratorIjlEEPS9_SG_NS0_5tupleIJPjSI_NS0_16reverse_iteratorISI_EEEEENSH_IJSG_SG_SG_EEES9_SI_JZNS1_25segmented_radix_sort_implINS0_14default_configELb0EPKsPsPKlPlN2at6native12_GLOBAL__N_18offset_tEEE10hipError_tPvRmT1_PNSt15iterator_traitsIS12_E10value_typeET2_T3_PNS13_IS18_E10value_typeET4_jRbjT5_S1E_jjP12ihipStream_tbEUljE_ZNSN_ISO_Lb0ESQ_SR_ST_SU_SY_EESZ_S10_S11_S12_S16_S17_S18_S1B_S1C_jS1D_jS1E_S1E_jjS1G_bEUljE0_EEESZ_S10_S11_S18_S1C_S1E_T6_T7_T9_mT8_S1G_bDpT10_ENKUlT_T0_E_clISt17integral_constantIbLb0EES1T_IbLb1EEEEDaS1P_S1Q_EUlS1P_E_NS1_11comp_targetILNS1_3genE8ELNS1_11target_archE1030ELNS1_3gpuE2ELNS1_3repE0EEENS1_30default_config_static_selectorELNS0_4arch9wavefront6targetE1EEEvS12_,comdat
.Lfunc_end980:
	.size	_ZN7rocprim17ROCPRIM_400000_NS6detail17trampoline_kernelINS0_13select_configILj256ELj13ELNS0_17block_load_methodE3ELS4_3ELS4_3ELNS0_20block_scan_algorithmE0ELj4294967295EEENS1_25partition_config_selectorILNS1_17partition_subalgoE4EjNS0_10empty_typeEbEEZZNS1_14partition_implILS8_4ELb0ES6_15HIP_vector_typeIjLj2EENS0_17counting_iteratorIjlEEPS9_SG_NS0_5tupleIJPjSI_NS0_16reverse_iteratorISI_EEEEENSH_IJSG_SG_SG_EEES9_SI_JZNS1_25segmented_radix_sort_implINS0_14default_configELb0EPKsPsPKlPlN2at6native12_GLOBAL__N_18offset_tEEE10hipError_tPvRmT1_PNSt15iterator_traitsIS12_E10value_typeET2_T3_PNS13_IS18_E10value_typeET4_jRbjT5_S1E_jjP12ihipStream_tbEUljE_ZNSN_ISO_Lb0ESQ_SR_ST_SU_SY_EESZ_S10_S11_S12_S16_S17_S18_S1B_S1C_jS1D_jS1E_S1E_jjS1G_bEUljE0_EEESZ_S10_S11_S18_S1C_S1E_T6_T7_T9_mT8_S1G_bDpT10_ENKUlT_T0_E_clISt17integral_constantIbLb0EES1T_IbLb1EEEEDaS1P_S1Q_EUlS1P_E_NS1_11comp_targetILNS1_3genE8ELNS1_11target_archE1030ELNS1_3gpuE2ELNS1_3repE0EEENS1_30default_config_static_selectorELNS0_4arch9wavefront6targetE1EEEvS12_, .Lfunc_end980-_ZN7rocprim17ROCPRIM_400000_NS6detail17trampoline_kernelINS0_13select_configILj256ELj13ELNS0_17block_load_methodE3ELS4_3ELS4_3ELNS0_20block_scan_algorithmE0ELj4294967295EEENS1_25partition_config_selectorILNS1_17partition_subalgoE4EjNS0_10empty_typeEbEEZZNS1_14partition_implILS8_4ELb0ES6_15HIP_vector_typeIjLj2EENS0_17counting_iteratorIjlEEPS9_SG_NS0_5tupleIJPjSI_NS0_16reverse_iteratorISI_EEEEENSH_IJSG_SG_SG_EEES9_SI_JZNS1_25segmented_radix_sort_implINS0_14default_configELb0EPKsPsPKlPlN2at6native12_GLOBAL__N_18offset_tEEE10hipError_tPvRmT1_PNSt15iterator_traitsIS12_E10value_typeET2_T3_PNS13_IS18_E10value_typeET4_jRbjT5_S1E_jjP12ihipStream_tbEUljE_ZNSN_ISO_Lb0ESQ_SR_ST_SU_SY_EESZ_S10_S11_S12_S16_S17_S18_S1B_S1C_jS1D_jS1E_S1E_jjS1G_bEUljE0_EEESZ_S10_S11_S18_S1C_S1E_T6_T7_T9_mT8_S1G_bDpT10_ENKUlT_T0_E_clISt17integral_constantIbLb0EES1T_IbLb1EEEEDaS1P_S1Q_EUlS1P_E_NS1_11comp_targetILNS1_3genE8ELNS1_11target_archE1030ELNS1_3gpuE2ELNS1_3repE0EEENS1_30default_config_static_selectorELNS0_4arch9wavefront6targetE1EEEvS12_
                                        ; -- End function
	.section	.AMDGPU.csdata,"",@progbits
; Kernel info:
; codeLenInByte = 0
; NumSgprs: 4
; NumVgprs: 0
; NumAgprs: 0
; TotalNumVgprs: 0
; ScratchSize: 0
; MemoryBound: 0
; FloatMode: 240
; IeeeMode: 1
; LDSByteSize: 0 bytes/workgroup (compile time only)
; SGPRBlocks: 0
; VGPRBlocks: 0
; NumSGPRsForWavesPerEU: 4
; NumVGPRsForWavesPerEU: 1
; AccumOffset: 4
; Occupancy: 8
; WaveLimiterHint : 0
; COMPUTE_PGM_RSRC2:SCRATCH_EN: 0
; COMPUTE_PGM_RSRC2:USER_SGPR: 6
; COMPUTE_PGM_RSRC2:TRAP_HANDLER: 0
; COMPUTE_PGM_RSRC2:TGID_X_EN: 1
; COMPUTE_PGM_RSRC2:TGID_Y_EN: 0
; COMPUTE_PGM_RSRC2:TGID_Z_EN: 0
; COMPUTE_PGM_RSRC2:TIDIG_COMP_CNT: 0
; COMPUTE_PGM_RSRC3_GFX90A:ACCUM_OFFSET: 0
; COMPUTE_PGM_RSRC3_GFX90A:TG_SPLIT: 0
	.section	.text._ZN7rocprim17ROCPRIM_400000_NS6detail17trampoline_kernelINS0_13select_configILj256ELj13ELNS0_17block_load_methodE3ELS4_3ELS4_3ELNS0_20block_scan_algorithmE0ELj4294967295EEENS1_25partition_config_selectorILNS1_17partition_subalgoE3EjNS0_10empty_typeEbEEZZNS1_14partition_implILS8_3ELb0ES6_jNS0_17counting_iteratorIjlEEPS9_SE_NS0_5tupleIJPjSE_EEENSF_IJSE_SE_EEES9_SG_JZNS1_25segmented_radix_sort_implINS0_14default_configELb0EPKsPsPKlPlN2at6native12_GLOBAL__N_18offset_tEEE10hipError_tPvRmT1_PNSt15iterator_traitsISY_E10value_typeET2_T3_PNSZ_IS14_E10value_typeET4_jRbjT5_S1A_jjP12ihipStream_tbEUljE_EEESV_SW_SX_S14_S18_S1A_T6_T7_T9_mT8_S1C_bDpT10_ENKUlT_T0_E_clISt17integral_constantIbLb0EES1P_EEDaS1K_S1L_EUlS1K_E_NS1_11comp_targetILNS1_3genE0ELNS1_11target_archE4294967295ELNS1_3gpuE0ELNS1_3repE0EEENS1_30default_config_static_selectorELNS0_4arch9wavefront6targetE1EEEvSY_,"axG",@progbits,_ZN7rocprim17ROCPRIM_400000_NS6detail17trampoline_kernelINS0_13select_configILj256ELj13ELNS0_17block_load_methodE3ELS4_3ELS4_3ELNS0_20block_scan_algorithmE0ELj4294967295EEENS1_25partition_config_selectorILNS1_17partition_subalgoE3EjNS0_10empty_typeEbEEZZNS1_14partition_implILS8_3ELb0ES6_jNS0_17counting_iteratorIjlEEPS9_SE_NS0_5tupleIJPjSE_EEENSF_IJSE_SE_EEES9_SG_JZNS1_25segmented_radix_sort_implINS0_14default_configELb0EPKsPsPKlPlN2at6native12_GLOBAL__N_18offset_tEEE10hipError_tPvRmT1_PNSt15iterator_traitsISY_E10value_typeET2_T3_PNSZ_IS14_E10value_typeET4_jRbjT5_S1A_jjP12ihipStream_tbEUljE_EEESV_SW_SX_S14_S18_S1A_T6_T7_T9_mT8_S1C_bDpT10_ENKUlT_T0_E_clISt17integral_constantIbLb0EES1P_EEDaS1K_S1L_EUlS1K_E_NS1_11comp_targetILNS1_3genE0ELNS1_11target_archE4294967295ELNS1_3gpuE0ELNS1_3repE0EEENS1_30default_config_static_selectorELNS0_4arch9wavefront6targetE1EEEvSY_,comdat
	.globl	_ZN7rocprim17ROCPRIM_400000_NS6detail17trampoline_kernelINS0_13select_configILj256ELj13ELNS0_17block_load_methodE3ELS4_3ELS4_3ELNS0_20block_scan_algorithmE0ELj4294967295EEENS1_25partition_config_selectorILNS1_17partition_subalgoE3EjNS0_10empty_typeEbEEZZNS1_14partition_implILS8_3ELb0ES6_jNS0_17counting_iteratorIjlEEPS9_SE_NS0_5tupleIJPjSE_EEENSF_IJSE_SE_EEES9_SG_JZNS1_25segmented_radix_sort_implINS0_14default_configELb0EPKsPsPKlPlN2at6native12_GLOBAL__N_18offset_tEEE10hipError_tPvRmT1_PNSt15iterator_traitsISY_E10value_typeET2_T3_PNSZ_IS14_E10value_typeET4_jRbjT5_S1A_jjP12ihipStream_tbEUljE_EEESV_SW_SX_S14_S18_S1A_T6_T7_T9_mT8_S1C_bDpT10_ENKUlT_T0_E_clISt17integral_constantIbLb0EES1P_EEDaS1K_S1L_EUlS1K_E_NS1_11comp_targetILNS1_3genE0ELNS1_11target_archE4294967295ELNS1_3gpuE0ELNS1_3repE0EEENS1_30default_config_static_selectorELNS0_4arch9wavefront6targetE1EEEvSY_ ; -- Begin function _ZN7rocprim17ROCPRIM_400000_NS6detail17trampoline_kernelINS0_13select_configILj256ELj13ELNS0_17block_load_methodE3ELS4_3ELS4_3ELNS0_20block_scan_algorithmE0ELj4294967295EEENS1_25partition_config_selectorILNS1_17partition_subalgoE3EjNS0_10empty_typeEbEEZZNS1_14partition_implILS8_3ELb0ES6_jNS0_17counting_iteratorIjlEEPS9_SE_NS0_5tupleIJPjSE_EEENSF_IJSE_SE_EEES9_SG_JZNS1_25segmented_radix_sort_implINS0_14default_configELb0EPKsPsPKlPlN2at6native12_GLOBAL__N_18offset_tEEE10hipError_tPvRmT1_PNSt15iterator_traitsISY_E10value_typeET2_T3_PNSZ_IS14_E10value_typeET4_jRbjT5_S1A_jjP12ihipStream_tbEUljE_EEESV_SW_SX_S14_S18_S1A_T6_T7_T9_mT8_S1C_bDpT10_ENKUlT_T0_E_clISt17integral_constantIbLb0EES1P_EEDaS1K_S1L_EUlS1K_E_NS1_11comp_targetILNS1_3genE0ELNS1_11target_archE4294967295ELNS1_3gpuE0ELNS1_3repE0EEENS1_30default_config_static_selectorELNS0_4arch9wavefront6targetE1EEEvSY_
	.p2align	8
	.type	_ZN7rocprim17ROCPRIM_400000_NS6detail17trampoline_kernelINS0_13select_configILj256ELj13ELNS0_17block_load_methodE3ELS4_3ELS4_3ELNS0_20block_scan_algorithmE0ELj4294967295EEENS1_25partition_config_selectorILNS1_17partition_subalgoE3EjNS0_10empty_typeEbEEZZNS1_14partition_implILS8_3ELb0ES6_jNS0_17counting_iteratorIjlEEPS9_SE_NS0_5tupleIJPjSE_EEENSF_IJSE_SE_EEES9_SG_JZNS1_25segmented_radix_sort_implINS0_14default_configELb0EPKsPsPKlPlN2at6native12_GLOBAL__N_18offset_tEEE10hipError_tPvRmT1_PNSt15iterator_traitsISY_E10value_typeET2_T3_PNSZ_IS14_E10value_typeET4_jRbjT5_S1A_jjP12ihipStream_tbEUljE_EEESV_SW_SX_S14_S18_S1A_T6_T7_T9_mT8_S1C_bDpT10_ENKUlT_T0_E_clISt17integral_constantIbLb0EES1P_EEDaS1K_S1L_EUlS1K_E_NS1_11comp_targetILNS1_3genE0ELNS1_11target_archE4294967295ELNS1_3gpuE0ELNS1_3repE0EEENS1_30default_config_static_selectorELNS0_4arch9wavefront6targetE1EEEvSY_,@function
_ZN7rocprim17ROCPRIM_400000_NS6detail17trampoline_kernelINS0_13select_configILj256ELj13ELNS0_17block_load_methodE3ELS4_3ELS4_3ELNS0_20block_scan_algorithmE0ELj4294967295EEENS1_25partition_config_selectorILNS1_17partition_subalgoE3EjNS0_10empty_typeEbEEZZNS1_14partition_implILS8_3ELb0ES6_jNS0_17counting_iteratorIjlEEPS9_SE_NS0_5tupleIJPjSE_EEENSF_IJSE_SE_EEES9_SG_JZNS1_25segmented_radix_sort_implINS0_14default_configELb0EPKsPsPKlPlN2at6native12_GLOBAL__N_18offset_tEEE10hipError_tPvRmT1_PNSt15iterator_traitsISY_E10value_typeET2_T3_PNSZ_IS14_E10value_typeET4_jRbjT5_S1A_jjP12ihipStream_tbEUljE_EEESV_SW_SX_S14_S18_S1A_T6_T7_T9_mT8_S1C_bDpT10_ENKUlT_T0_E_clISt17integral_constantIbLb0EES1P_EEDaS1K_S1L_EUlS1K_E_NS1_11comp_targetILNS1_3genE0ELNS1_11target_archE4294967295ELNS1_3gpuE0ELNS1_3repE0EEENS1_30default_config_static_selectorELNS0_4arch9wavefront6targetE1EEEvSY_: ; @_ZN7rocprim17ROCPRIM_400000_NS6detail17trampoline_kernelINS0_13select_configILj256ELj13ELNS0_17block_load_methodE3ELS4_3ELS4_3ELNS0_20block_scan_algorithmE0ELj4294967295EEENS1_25partition_config_selectorILNS1_17partition_subalgoE3EjNS0_10empty_typeEbEEZZNS1_14partition_implILS8_3ELb0ES6_jNS0_17counting_iteratorIjlEEPS9_SE_NS0_5tupleIJPjSE_EEENSF_IJSE_SE_EEES9_SG_JZNS1_25segmented_radix_sort_implINS0_14default_configELb0EPKsPsPKlPlN2at6native12_GLOBAL__N_18offset_tEEE10hipError_tPvRmT1_PNSt15iterator_traitsISY_E10value_typeET2_T3_PNSZ_IS14_E10value_typeET4_jRbjT5_S1A_jjP12ihipStream_tbEUljE_EEESV_SW_SX_S14_S18_S1A_T6_T7_T9_mT8_S1C_bDpT10_ENKUlT_T0_E_clISt17integral_constantIbLb0EES1P_EEDaS1K_S1L_EUlS1K_E_NS1_11comp_targetILNS1_3genE0ELNS1_11target_archE4294967295ELNS1_3gpuE0ELNS1_3repE0EEENS1_30default_config_static_selectorELNS0_4arch9wavefront6targetE1EEEvSY_
; %bb.0:
	.section	.rodata,"a",@progbits
	.p2align	6, 0x0
	.amdhsa_kernel _ZN7rocprim17ROCPRIM_400000_NS6detail17trampoline_kernelINS0_13select_configILj256ELj13ELNS0_17block_load_methodE3ELS4_3ELS4_3ELNS0_20block_scan_algorithmE0ELj4294967295EEENS1_25partition_config_selectorILNS1_17partition_subalgoE3EjNS0_10empty_typeEbEEZZNS1_14partition_implILS8_3ELb0ES6_jNS0_17counting_iteratorIjlEEPS9_SE_NS0_5tupleIJPjSE_EEENSF_IJSE_SE_EEES9_SG_JZNS1_25segmented_radix_sort_implINS0_14default_configELb0EPKsPsPKlPlN2at6native12_GLOBAL__N_18offset_tEEE10hipError_tPvRmT1_PNSt15iterator_traitsISY_E10value_typeET2_T3_PNSZ_IS14_E10value_typeET4_jRbjT5_S1A_jjP12ihipStream_tbEUljE_EEESV_SW_SX_S14_S18_S1A_T6_T7_T9_mT8_S1C_bDpT10_ENKUlT_T0_E_clISt17integral_constantIbLb0EES1P_EEDaS1K_S1L_EUlS1K_E_NS1_11comp_targetILNS1_3genE0ELNS1_11target_archE4294967295ELNS1_3gpuE0ELNS1_3repE0EEENS1_30default_config_static_selectorELNS0_4arch9wavefront6targetE1EEEvSY_
		.amdhsa_group_segment_fixed_size 0
		.amdhsa_private_segment_fixed_size 0
		.amdhsa_kernarg_size 144
		.amdhsa_user_sgpr_count 6
		.amdhsa_user_sgpr_private_segment_buffer 1
		.amdhsa_user_sgpr_dispatch_ptr 0
		.amdhsa_user_sgpr_queue_ptr 0
		.amdhsa_user_sgpr_kernarg_segment_ptr 1
		.amdhsa_user_sgpr_dispatch_id 0
		.amdhsa_user_sgpr_flat_scratch_init 0
		.amdhsa_user_sgpr_kernarg_preload_length 0
		.amdhsa_user_sgpr_kernarg_preload_offset 0
		.amdhsa_user_sgpr_private_segment_size 0
		.amdhsa_uses_dynamic_stack 0
		.amdhsa_system_sgpr_private_segment_wavefront_offset 0
		.amdhsa_system_sgpr_workgroup_id_x 1
		.amdhsa_system_sgpr_workgroup_id_y 0
		.amdhsa_system_sgpr_workgroup_id_z 0
		.amdhsa_system_sgpr_workgroup_info 0
		.amdhsa_system_vgpr_workitem_id 0
		.amdhsa_next_free_vgpr 1
		.amdhsa_next_free_sgpr 0
		.amdhsa_accum_offset 4
		.amdhsa_reserve_vcc 0
		.amdhsa_reserve_flat_scratch 0
		.amdhsa_float_round_mode_32 0
		.amdhsa_float_round_mode_16_64 0
		.amdhsa_float_denorm_mode_32 3
		.amdhsa_float_denorm_mode_16_64 3
		.amdhsa_dx10_clamp 1
		.amdhsa_ieee_mode 1
		.amdhsa_fp16_overflow 0
		.amdhsa_tg_split 0
		.amdhsa_exception_fp_ieee_invalid_op 0
		.amdhsa_exception_fp_denorm_src 0
		.amdhsa_exception_fp_ieee_div_zero 0
		.amdhsa_exception_fp_ieee_overflow 0
		.amdhsa_exception_fp_ieee_underflow 0
		.amdhsa_exception_fp_ieee_inexact 0
		.amdhsa_exception_int_div_zero 0
	.end_amdhsa_kernel
	.section	.text._ZN7rocprim17ROCPRIM_400000_NS6detail17trampoline_kernelINS0_13select_configILj256ELj13ELNS0_17block_load_methodE3ELS4_3ELS4_3ELNS0_20block_scan_algorithmE0ELj4294967295EEENS1_25partition_config_selectorILNS1_17partition_subalgoE3EjNS0_10empty_typeEbEEZZNS1_14partition_implILS8_3ELb0ES6_jNS0_17counting_iteratorIjlEEPS9_SE_NS0_5tupleIJPjSE_EEENSF_IJSE_SE_EEES9_SG_JZNS1_25segmented_radix_sort_implINS0_14default_configELb0EPKsPsPKlPlN2at6native12_GLOBAL__N_18offset_tEEE10hipError_tPvRmT1_PNSt15iterator_traitsISY_E10value_typeET2_T3_PNSZ_IS14_E10value_typeET4_jRbjT5_S1A_jjP12ihipStream_tbEUljE_EEESV_SW_SX_S14_S18_S1A_T6_T7_T9_mT8_S1C_bDpT10_ENKUlT_T0_E_clISt17integral_constantIbLb0EES1P_EEDaS1K_S1L_EUlS1K_E_NS1_11comp_targetILNS1_3genE0ELNS1_11target_archE4294967295ELNS1_3gpuE0ELNS1_3repE0EEENS1_30default_config_static_selectorELNS0_4arch9wavefront6targetE1EEEvSY_,"axG",@progbits,_ZN7rocprim17ROCPRIM_400000_NS6detail17trampoline_kernelINS0_13select_configILj256ELj13ELNS0_17block_load_methodE3ELS4_3ELS4_3ELNS0_20block_scan_algorithmE0ELj4294967295EEENS1_25partition_config_selectorILNS1_17partition_subalgoE3EjNS0_10empty_typeEbEEZZNS1_14partition_implILS8_3ELb0ES6_jNS0_17counting_iteratorIjlEEPS9_SE_NS0_5tupleIJPjSE_EEENSF_IJSE_SE_EEES9_SG_JZNS1_25segmented_radix_sort_implINS0_14default_configELb0EPKsPsPKlPlN2at6native12_GLOBAL__N_18offset_tEEE10hipError_tPvRmT1_PNSt15iterator_traitsISY_E10value_typeET2_T3_PNSZ_IS14_E10value_typeET4_jRbjT5_S1A_jjP12ihipStream_tbEUljE_EEESV_SW_SX_S14_S18_S1A_T6_T7_T9_mT8_S1C_bDpT10_ENKUlT_T0_E_clISt17integral_constantIbLb0EES1P_EEDaS1K_S1L_EUlS1K_E_NS1_11comp_targetILNS1_3genE0ELNS1_11target_archE4294967295ELNS1_3gpuE0ELNS1_3repE0EEENS1_30default_config_static_selectorELNS0_4arch9wavefront6targetE1EEEvSY_,comdat
.Lfunc_end981:
	.size	_ZN7rocprim17ROCPRIM_400000_NS6detail17trampoline_kernelINS0_13select_configILj256ELj13ELNS0_17block_load_methodE3ELS4_3ELS4_3ELNS0_20block_scan_algorithmE0ELj4294967295EEENS1_25partition_config_selectorILNS1_17partition_subalgoE3EjNS0_10empty_typeEbEEZZNS1_14partition_implILS8_3ELb0ES6_jNS0_17counting_iteratorIjlEEPS9_SE_NS0_5tupleIJPjSE_EEENSF_IJSE_SE_EEES9_SG_JZNS1_25segmented_radix_sort_implINS0_14default_configELb0EPKsPsPKlPlN2at6native12_GLOBAL__N_18offset_tEEE10hipError_tPvRmT1_PNSt15iterator_traitsISY_E10value_typeET2_T3_PNSZ_IS14_E10value_typeET4_jRbjT5_S1A_jjP12ihipStream_tbEUljE_EEESV_SW_SX_S14_S18_S1A_T6_T7_T9_mT8_S1C_bDpT10_ENKUlT_T0_E_clISt17integral_constantIbLb0EES1P_EEDaS1K_S1L_EUlS1K_E_NS1_11comp_targetILNS1_3genE0ELNS1_11target_archE4294967295ELNS1_3gpuE0ELNS1_3repE0EEENS1_30default_config_static_selectorELNS0_4arch9wavefront6targetE1EEEvSY_, .Lfunc_end981-_ZN7rocprim17ROCPRIM_400000_NS6detail17trampoline_kernelINS0_13select_configILj256ELj13ELNS0_17block_load_methodE3ELS4_3ELS4_3ELNS0_20block_scan_algorithmE0ELj4294967295EEENS1_25partition_config_selectorILNS1_17partition_subalgoE3EjNS0_10empty_typeEbEEZZNS1_14partition_implILS8_3ELb0ES6_jNS0_17counting_iteratorIjlEEPS9_SE_NS0_5tupleIJPjSE_EEENSF_IJSE_SE_EEES9_SG_JZNS1_25segmented_radix_sort_implINS0_14default_configELb0EPKsPsPKlPlN2at6native12_GLOBAL__N_18offset_tEEE10hipError_tPvRmT1_PNSt15iterator_traitsISY_E10value_typeET2_T3_PNSZ_IS14_E10value_typeET4_jRbjT5_S1A_jjP12ihipStream_tbEUljE_EEESV_SW_SX_S14_S18_S1A_T6_T7_T9_mT8_S1C_bDpT10_ENKUlT_T0_E_clISt17integral_constantIbLb0EES1P_EEDaS1K_S1L_EUlS1K_E_NS1_11comp_targetILNS1_3genE0ELNS1_11target_archE4294967295ELNS1_3gpuE0ELNS1_3repE0EEENS1_30default_config_static_selectorELNS0_4arch9wavefront6targetE1EEEvSY_
                                        ; -- End function
	.section	.AMDGPU.csdata,"",@progbits
; Kernel info:
; codeLenInByte = 0
; NumSgprs: 4
; NumVgprs: 0
; NumAgprs: 0
; TotalNumVgprs: 0
; ScratchSize: 0
; MemoryBound: 0
; FloatMode: 240
; IeeeMode: 1
; LDSByteSize: 0 bytes/workgroup (compile time only)
; SGPRBlocks: 0
; VGPRBlocks: 0
; NumSGPRsForWavesPerEU: 4
; NumVGPRsForWavesPerEU: 1
; AccumOffset: 4
; Occupancy: 8
; WaveLimiterHint : 0
; COMPUTE_PGM_RSRC2:SCRATCH_EN: 0
; COMPUTE_PGM_RSRC2:USER_SGPR: 6
; COMPUTE_PGM_RSRC2:TRAP_HANDLER: 0
; COMPUTE_PGM_RSRC2:TGID_X_EN: 1
; COMPUTE_PGM_RSRC2:TGID_Y_EN: 0
; COMPUTE_PGM_RSRC2:TGID_Z_EN: 0
; COMPUTE_PGM_RSRC2:TIDIG_COMP_CNT: 0
; COMPUTE_PGM_RSRC3_GFX90A:ACCUM_OFFSET: 0
; COMPUTE_PGM_RSRC3_GFX90A:TG_SPLIT: 0
	.section	.text._ZN7rocprim17ROCPRIM_400000_NS6detail17trampoline_kernelINS0_13select_configILj256ELj13ELNS0_17block_load_methodE3ELS4_3ELS4_3ELNS0_20block_scan_algorithmE0ELj4294967295EEENS1_25partition_config_selectorILNS1_17partition_subalgoE3EjNS0_10empty_typeEbEEZZNS1_14partition_implILS8_3ELb0ES6_jNS0_17counting_iteratorIjlEEPS9_SE_NS0_5tupleIJPjSE_EEENSF_IJSE_SE_EEES9_SG_JZNS1_25segmented_radix_sort_implINS0_14default_configELb0EPKsPsPKlPlN2at6native12_GLOBAL__N_18offset_tEEE10hipError_tPvRmT1_PNSt15iterator_traitsISY_E10value_typeET2_T3_PNSZ_IS14_E10value_typeET4_jRbjT5_S1A_jjP12ihipStream_tbEUljE_EEESV_SW_SX_S14_S18_S1A_T6_T7_T9_mT8_S1C_bDpT10_ENKUlT_T0_E_clISt17integral_constantIbLb0EES1P_EEDaS1K_S1L_EUlS1K_E_NS1_11comp_targetILNS1_3genE5ELNS1_11target_archE942ELNS1_3gpuE9ELNS1_3repE0EEENS1_30default_config_static_selectorELNS0_4arch9wavefront6targetE1EEEvSY_,"axG",@progbits,_ZN7rocprim17ROCPRIM_400000_NS6detail17trampoline_kernelINS0_13select_configILj256ELj13ELNS0_17block_load_methodE3ELS4_3ELS4_3ELNS0_20block_scan_algorithmE0ELj4294967295EEENS1_25partition_config_selectorILNS1_17partition_subalgoE3EjNS0_10empty_typeEbEEZZNS1_14partition_implILS8_3ELb0ES6_jNS0_17counting_iteratorIjlEEPS9_SE_NS0_5tupleIJPjSE_EEENSF_IJSE_SE_EEES9_SG_JZNS1_25segmented_radix_sort_implINS0_14default_configELb0EPKsPsPKlPlN2at6native12_GLOBAL__N_18offset_tEEE10hipError_tPvRmT1_PNSt15iterator_traitsISY_E10value_typeET2_T3_PNSZ_IS14_E10value_typeET4_jRbjT5_S1A_jjP12ihipStream_tbEUljE_EEESV_SW_SX_S14_S18_S1A_T6_T7_T9_mT8_S1C_bDpT10_ENKUlT_T0_E_clISt17integral_constantIbLb0EES1P_EEDaS1K_S1L_EUlS1K_E_NS1_11comp_targetILNS1_3genE5ELNS1_11target_archE942ELNS1_3gpuE9ELNS1_3repE0EEENS1_30default_config_static_selectorELNS0_4arch9wavefront6targetE1EEEvSY_,comdat
	.globl	_ZN7rocprim17ROCPRIM_400000_NS6detail17trampoline_kernelINS0_13select_configILj256ELj13ELNS0_17block_load_methodE3ELS4_3ELS4_3ELNS0_20block_scan_algorithmE0ELj4294967295EEENS1_25partition_config_selectorILNS1_17partition_subalgoE3EjNS0_10empty_typeEbEEZZNS1_14partition_implILS8_3ELb0ES6_jNS0_17counting_iteratorIjlEEPS9_SE_NS0_5tupleIJPjSE_EEENSF_IJSE_SE_EEES9_SG_JZNS1_25segmented_radix_sort_implINS0_14default_configELb0EPKsPsPKlPlN2at6native12_GLOBAL__N_18offset_tEEE10hipError_tPvRmT1_PNSt15iterator_traitsISY_E10value_typeET2_T3_PNSZ_IS14_E10value_typeET4_jRbjT5_S1A_jjP12ihipStream_tbEUljE_EEESV_SW_SX_S14_S18_S1A_T6_T7_T9_mT8_S1C_bDpT10_ENKUlT_T0_E_clISt17integral_constantIbLb0EES1P_EEDaS1K_S1L_EUlS1K_E_NS1_11comp_targetILNS1_3genE5ELNS1_11target_archE942ELNS1_3gpuE9ELNS1_3repE0EEENS1_30default_config_static_selectorELNS0_4arch9wavefront6targetE1EEEvSY_ ; -- Begin function _ZN7rocprim17ROCPRIM_400000_NS6detail17trampoline_kernelINS0_13select_configILj256ELj13ELNS0_17block_load_methodE3ELS4_3ELS4_3ELNS0_20block_scan_algorithmE0ELj4294967295EEENS1_25partition_config_selectorILNS1_17partition_subalgoE3EjNS0_10empty_typeEbEEZZNS1_14partition_implILS8_3ELb0ES6_jNS0_17counting_iteratorIjlEEPS9_SE_NS0_5tupleIJPjSE_EEENSF_IJSE_SE_EEES9_SG_JZNS1_25segmented_radix_sort_implINS0_14default_configELb0EPKsPsPKlPlN2at6native12_GLOBAL__N_18offset_tEEE10hipError_tPvRmT1_PNSt15iterator_traitsISY_E10value_typeET2_T3_PNSZ_IS14_E10value_typeET4_jRbjT5_S1A_jjP12ihipStream_tbEUljE_EEESV_SW_SX_S14_S18_S1A_T6_T7_T9_mT8_S1C_bDpT10_ENKUlT_T0_E_clISt17integral_constantIbLb0EES1P_EEDaS1K_S1L_EUlS1K_E_NS1_11comp_targetILNS1_3genE5ELNS1_11target_archE942ELNS1_3gpuE9ELNS1_3repE0EEENS1_30default_config_static_selectorELNS0_4arch9wavefront6targetE1EEEvSY_
	.p2align	8
	.type	_ZN7rocprim17ROCPRIM_400000_NS6detail17trampoline_kernelINS0_13select_configILj256ELj13ELNS0_17block_load_methodE3ELS4_3ELS4_3ELNS0_20block_scan_algorithmE0ELj4294967295EEENS1_25partition_config_selectorILNS1_17partition_subalgoE3EjNS0_10empty_typeEbEEZZNS1_14partition_implILS8_3ELb0ES6_jNS0_17counting_iteratorIjlEEPS9_SE_NS0_5tupleIJPjSE_EEENSF_IJSE_SE_EEES9_SG_JZNS1_25segmented_radix_sort_implINS0_14default_configELb0EPKsPsPKlPlN2at6native12_GLOBAL__N_18offset_tEEE10hipError_tPvRmT1_PNSt15iterator_traitsISY_E10value_typeET2_T3_PNSZ_IS14_E10value_typeET4_jRbjT5_S1A_jjP12ihipStream_tbEUljE_EEESV_SW_SX_S14_S18_S1A_T6_T7_T9_mT8_S1C_bDpT10_ENKUlT_T0_E_clISt17integral_constantIbLb0EES1P_EEDaS1K_S1L_EUlS1K_E_NS1_11comp_targetILNS1_3genE5ELNS1_11target_archE942ELNS1_3gpuE9ELNS1_3repE0EEENS1_30default_config_static_selectorELNS0_4arch9wavefront6targetE1EEEvSY_,@function
_ZN7rocprim17ROCPRIM_400000_NS6detail17trampoline_kernelINS0_13select_configILj256ELj13ELNS0_17block_load_methodE3ELS4_3ELS4_3ELNS0_20block_scan_algorithmE0ELj4294967295EEENS1_25partition_config_selectorILNS1_17partition_subalgoE3EjNS0_10empty_typeEbEEZZNS1_14partition_implILS8_3ELb0ES6_jNS0_17counting_iteratorIjlEEPS9_SE_NS0_5tupleIJPjSE_EEENSF_IJSE_SE_EEES9_SG_JZNS1_25segmented_radix_sort_implINS0_14default_configELb0EPKsPsPKlPlN2at6native12_GLOBAL__N_18offset_tEEE10hipError_tPvRmT1_PNSt15iterator_traitsISY_E10value_typeET2_T3_PNSZ_IS14_E10value_typeET4_jRbjT5_S1A_jjP12ihipStream_tbEUljE_EEESV_SW_SX_S14_S18_S1A_T6_T7_T9_mT8_S1C_bDpT10_ENKUlT_T0_E_clISt17integral_constantIbLb0EES1P_EEDaS1K_S1L_EUlS1K_E_NS1_11comp_targetILNS1_3genE5ELNS1_11target_archE942ELNS1_3gpuE9ELNS1_3repE0EEENS1_30default_config_static_selectorELNS0_4arch9wavefront6targetE1EEEvSY_: ; @_ZN7rocprim17ROCPRIM_400000_NS6detail17trampoline_kernelINS0_13select_configILj256ELj13ELNS0_17block_load_methodE3ELS4_3ELS4_3ELNS0_20block_scan_algorithmE0ELj4294967295EEENS1_25partition_config_selectorILNS1_17partition_subalgoE3EjNS0_10empty_typeEbEEZZNS1_14partition_implILS8_3ELb0ES6_jNS0_17counting_iteratorIjlEEPS9_SE_NS0_5tupleIJPjSE_EEENSF_IJSE_SE_EEES9_SG_JZNS1_25segmented_radix_sort_implINS0_14default_configELb0EPKsPsPKlPlN2at6native12_GLOBAL__N_18offset_tEEE10hipError_tPvRmT1_PNSt15iterator_traitsISY_E10value_typeET2_T3_PNSZ_IS14_E10value_typeET4_jRbjT5_S1A_jjP12ihipStream_tbEUljE_EEESV_SW_SX_S14_S18_S1A_T6_T7_T9_mT8_S1C_bDpT10_ENKUlT_T0_E_clISt17integral_constantIbLb0EES1P_EEDaS1K_S1L_EUlS1K_E_NS1_11comp_targetILNS1_3genE5ELNS1_11target_archE942ELNS1_3gpuE9ELNS1_3repE0EEENS1_30default_config_static_selectorELNS0_4arch9wavefront6targetE1EEEvSY_
; %bb.0:
	.section	.rodata,"a",@progbits
	.p2align	6, 0x0
	.amdhsa_kernel _ZN7rocprim17ROCPRIM_400000_NS6detail17trampoline_kernelINS0_13select_configILj256ELj13ELNS0_17block_load_methodE3ELS4_3ELS4_3ELNS0_20block_scan_algorithmE0ELj4294967295EEENS1_25partition_config_selectorILNS1_17partition_subalgoE3EjNS0_10empty_typeEbEEZZNS1_14partition_implILS8_3ELb0ES6_jNS0_17counting_iteratorIjlEEPS9_SE_NS0_5tupleIJPjSE_EEENSF_IJSE_SE_EEES9_SG_JZNS1_25segmented_radix_sort_implINS0_14default_configELb0EPKsPsPKlPlN2at6native12_GLOBAL__N_18offset_tEEE10hipError_tPvRmT1_PNSt15iterator_traitsISY_E10value_typeET2_T3_PNSZ_IS14_E10value_typeET4_jRbjT5_S1A_jjP12ihipStream_tbEUljE_EEESV_SW_SX_S14_S18_S1A_T6_T7_T9_mT8_S1C_bDpT10_ENKUlT_T0_E_clISt17integral_constantIbLb0EES1P_EEDaS1K_S1L_EUlS1K_E_NS1_11comp_targetILNS1_3genE5ELNS1_11target_archE942ELNS1_3gpuE9ELNS1_3repE0EEENS1_30default_config_static_selectorELNS0_4arch9wavefront6targetE1EEEvSY_
		.amdhsa_group_segment_fixed_size 0
		.amdhsa_private_segment_fixed_size 0
		.amdhsa_kernarg_size 144
		.amdhsa_user_sgpr_count 6
		.amdhsa_user_sgpr_private_segment_buffer 1
		.amdhsa_user_sgpr_dispatch_ptr 0
		.amdhsa_user_sgpr_queue_ptr 0
		.amdhsa_user_sgpr_kernarg_segment_ptr 1
		.amdhsa_user_sgpr_dispatch_id 0
		.amdhsa_user_sgpr_flat_scratch_init 0
		.amdhsa_user_sgpr_kernarg_preload_length 0
		.amdhsa_user_sgpr_kernarg_preload_offset 0
		.amdhsa_user_sgpr_private_segment_size 0
		.amdhsa_uses_dynamic_stack 0
		.amdhsa_system_sgpr_private_segment_wavefront_offset 0
		.amdhsa_system_sgpr_workgroup_id_x 1
		.amdhsa_system_sgpr_workgroup_id_y 0
		.amdhsa_system_sgpr_workgroup_id_z 0
		.amdhsa_system_sgpr_workgroup_info 0
		.amdhsa_system_vgpr_workitem_id 0
		.amdhsa_next_free_vgpr 1
		.amdhsa_next_free_sgpr 0
		.amdhsa_accum_offset 4
		.amdhsa_reserve_vcc 0
		.amdhsa_reserve_flat_scratch 0
		.amdhsa_float_round_mode_32 0
		.amdhsa_float_round_mode_16_64 0
		.amdhsa_float_denorm_mode_32 3
		.amdhsa_float_denorm_mode_16_64 3
		.amdhsa_dx10_clamp 1
		.amdhsa_ieee_mode 1
		.amdhsa_fp16_overflow 0
		.amdhsa_tg_split 0
		.amdhsa_exception_fp_ieee_invalid_op 0
		.amdhsa_exception_fp_denorm_src 0
		.amdhsa_exception_fp_ieee_div_zero 0
		.amdhsa_exception_fp_ieee_overflow 0
		.amdhsa_exception_fp_ieee_underflow 0
		.amdhsa_exception_fp_ieee_inexact 0
		.amdhsa_exception_int_div_zero 0
	.end_amdhsa_kernel
	.section	.text._ZN7rocprim17ROCPRIM_400000_NS6detail17trampoline_kernelINS0_13select_configILj256ELj13ELNS0_17block_load_methodE3ELS4_3ELS4_3ELNS0_20block_scan_algorithmE0ELj4294967295EEENS1_25partition_config_selectorILNS1_17partition_subalgoE3EjNS0_10empty_typeEbEEZZNS1_14partition_implILS8_3ELb0ES6_jNS0_17counting_iteratorIjlEEPS9_SE_NS0_5tupleIJPjSE_EEENSF_IJSE_SE_EEES9_SG_JZNS1_25segmented_radix_sort_implINS0_14default_configELb0EPKsPsPKlPlN2at6native12_GLOBAL__N_18offset_tEEE10hipError_tPvRmT1_PNSt15iterator_traitsISY_E10value_typeET2_T3_PNSZ_IS14_E10value_typeET4_jRbjT5_S1A_jjP12ihipStream_tbEUljE_EEESV_SW_SX_S14_S18_S1A_T6_T7_T9_mT8_S1C_bDpT10_ENKUlT_T0_E_clISt17integral_constantIbLb0EES1P_EEDaS1K_S1L_EUlS1K_E_NS1_11comp_targetILNS1_3genE5ELNS1_11target_archE942ELNS1_3gpuE9ELNS1_3repE0EEENS1_30default_config_static_selectorELNS0_4arch9wavefront6targetE1EEEvSY_,"axG",@progbits,_ZN7rocprim17ROCPRIM_400000_NS6detail17trampoline_kernelINS0_13select_configILj256ELj13ELNS0_17block_load_methodE3ELS4_3ELS4_3ELNS0_20block_scan_algorithmE0ELj4294967295EEENS1_25partition_config_selectorILNS1_17partition_subalgoE3EjNS0_10empty_typeEbEEZZNS1_14partition_implILS8_3ELb0ES6_jNS0_17counting_iteratorIjlEEPS9_SE_NS0_5tupleIJPjSE_EEENSF_IJSE_SE_EEES9_SG_JZNS1_25segmented_radix_sort_implINS0_14default_configELb0EPKsPsPKlPlN2at6native12_GLOBAL__N_18offset_tEEE10hipError_tPvRmT1_PNSt15iterator_traitsISY_E10value_typeET2_T3_PNSZ_IS14_E10value_typeET4_jRbjT5_S1A_jjP12ihipStream_tbEUljE_EEESV_SW_SX_S14_S18_S1A_T6_T7_T9_mT8_S1C_bDpT10_ENKUlT_T0_E_clISt17integral_constantIbLb0EES1P_EEDaS1K_S1L_EUlS1K_E_NS1_11comp_targetILNS1_3genE5ELNS1_11target_archE942ELNS1_3gpuE9ELNS1_3repE0EEENS1_30default_config_static_selectorELNS0_4arch9wavefront6targetE1EEEvSY_,comdat
.Lfunc_end982:
	.size	_ZN7rocprim17ROCPRIM_400000_NS6detail17trampoline_kernelINS0_13select_configILj256ELj13ELNS0_17block_load_methodE3ELS4_3ELS4_3ELNS0_20block_scan_algorithmE0ELj4294967295EEENS1_25partition_config_selectorILNS1_17partition_subalgoE3EjNS0_10empty_typeEbEEZZNS1_14partition_implILS8_3ELb0ES6_jNS0_17counting_iteratorIjlEEPS9_SE_NS0_5tupleIJPjSE_EEENSF_IJSE_SE_EEES9_SG_JZNS1_25segmented_radix_sort_implINS0_14default_configELb0EPKsPsPKlPlN2at6native12_GLOBAL__N_18offset_tEEE10hipError_tPvRmT1_PNSt15iterator_traitsISY_E10value_typeET2_T3_PNSZ_IS14_E10value_typeET4_jRbjT5_S1A_jjP12ihipStream_tbEUljE_EEESV_SW_SX_S14_S18_S1A_T6_T7_T9_mT8_S1C_bDpT10_ENKUlT_T0_E_clISt17integral_constantIbLb0EES1P_EEDaS1K_S1L_EUlS1K_E_NS1_11comp_targetILNS1_3genE5ELNS1_11target_archE942ELNS1_3gpuE9ELNS1_3repE0EEENS1_30default_config_static_selectorELNS0_4arch9wavefront6targetE1EEEvSY_, .Lfunc_end982-_ZN7rocprim17ROCPRIM_400000_NS6detail17trampoline_kernelINS0_13select_configILj256ELj13ELNS0_17block_load_methodE3ELS4_3ELS4_3ELNS0_20block_scan_algorithmE0ELj4294967295EEENS1_25partition_config_selectorILNS1_17partition_subalgoE3EjNS0_10empty_typeEbEEZZNS1_14partition_implILS8_3ELb0ES6_jNS0_17counting_iteratorIjlEEPS9_SE_NS0_5tupleIJPjSE_EEENSF_IJSE_SE_EEES9_SG_JZNS1_25segmented_radix_sort_implINS0_14default_configELb0EPKsPsPKlPlN2at6native12_GLOBAL__N_18offset_tEEE10hipError_tPvRmT1_PNSt15iterator_traitsISY_E10value_typeET2_T3_PNSZ_IS14_E10value_typeET4_jRbjT5_S1A_jjP12ihipStream_tbEUljE_EEESV_SW_SX_S14_S18_S1A_T6_T7_T9_mT8_S1C_bDpT10_ENKUlT_T0_E_clISt17integral_constantIbLb0EES1P_EEDaS1K_S1L_EUlS1K_E_NS1_11comp_targetILNS1_3genE5ELNS1_11target_archE942ELNS1_3gpuE9ELNS1_3repE0EEENS1_30default_config_static_selectorELNS0_4arch9wavefront6targetE1EEEvSY_
                                        ; -- End function
	.section	.AMDGPU.csdata,"",@progbits
; Kernel info:
; codeLenInByte = 0
; NumSgprs: 4
; NumVgprs: 0
; NumAgprs: 0
; TotalNumVgprs: 0
; ScratchSize: 0
; MemoryBound: 0
; FloatMode: 240
; IeeeMode: 1
; LDSByteSize: 0 bytes/workgroup (compile time only)
; SGPRBlocks: 0
; VGPRBlocks: 0
; NumSGPRsForWavesPerEU: 4
; NumVGPRsForWavesPerEU: 1
; AccumOffset: 4
; Occupancy: 8
; WaveLimiterHint : 0
; COMPUTE_PGM_RSRC2:SCRATCH_EN: 0
; COMPUTE_PGM_RSRC2:USER_SGPR: 6
; COMPUTE_PGM_RSRC2:TRAP_HANDLER: 0
; COMPUTE_PGM_RSRC2:TGID_X_EN: 1
; COMPUTE_PGM_RSRC2:TGID_Y_EN: 0
; COMPUTE_PGM_RSRC2:TGID_Z_EN: 0
; COMPUTE_PGM_RSRC2:TIDIG_COMP_CNT: 0
; COMPUTE_PGM_RSRC3_GFX90A:ACCUM_OFFSET: 0
; COMPUTE_PGM_RSRC3_GFX90A:TG_SPLIT: 0
	.section	.text._ZN7rocprim17ROCPRIM_400000_NS6detail17trampoline_kernelINS0_13select_configILj256ELj13ELNS0_17block_load_methodE3ELS4_3ELS4_3ELNS0_20block_scan_algorithmE0ELj4294967295EEENS1_25partition_config_selectorILNS1_17partition_subalgoE3EjNS0_10empty_typeEbEEZZNS1_14partition_implILS8_3ELb0ES6_jNS0_17counting_iteratorIjlEEPS9_SE_NS0_5tupleIJPjSE_EEENSF_IJSE_SE_EEES9_SG_JZNS1_25segmented_radix_sort_implINS0_14default_configELb0EPKsPsPKlPlN2at6native12_GLOBAL__N_18offset_tEEE10hipError_tPvRmT1_PNSt15iterator_traitsISY_E10value_typeET2_T3_PNSZ_IS14_E10value_typeET4_jRbjT5_S1A_jjP12ihipStream_tbEUljE_EEESV_SW_SX_S14_S18_S1A_T6_T7_T9_mT8_S1C_bDpT10_ENKUlT_T0_E_clISt17integral_constantIbLb0EES1P_EEDaS1K_S1L_EUlS1K_E_NS1_11comp_targetILNS1_3genE4ELNS1_11target_archE910ELNS1_3gpuE8ELNS1_3repE0EEENS1_30default_config_static_selectorELNS0_4arch9wavefront6targetE1EEEvSY_,"axG",@progbits,_ZN7rocprim17ROCPRIM_400000_NS6detail17trampoline_kernelINS0_13select_configILj256ELj13ELNS0_17block_load_methodE3ELS4_3ELS4_3ELNS0_20block_scan_algorithmE0ELj4294967295EEENS1_25partition_config_selectorILNS1_17partition_subalgoE3EjNS0_10empty_typeEbEEZZNS1_14partition_implILS8_3ELb0ES6_jNS0_17counting_iteratorIjlEEPS9_SE_NS0_5tupleIJPjSE_EEENSF_IJSE_SE_EEES9_SG_JZNS1_25segmented_radix_sort_implINS0_14default_configELb0EPKsPsPKlPlN2at6native12_GLOBAL__N_18offset_tEEE10hipError_tPvRmT1_PNSt15iterator_traitsISY_E10value_typeET2_T3_PNSZ_IS14_E10value_typeET4_jRbjT5_S1A_jjP12ihipStream_tbEUljE_EEESV_SW_SX_S14_S18_S1A_T6_T7_T9_mT8_S1C_bDpT10_ENKUlT_T0_E_clISt17integral_constantIbLb0EES1P_EEDaS1K_S1L_EUlS1K_E_NS1_11comp_targetILNS1_3genE4ELNS1_11target_archE910ELNS1_3gpuE8ELNS1_3repE0EEENS1_30default_config_static_selectorELNS0_4arch9wavefront6targetE1EEEvSY_,comdat
	.globl	_ZN7rocprim17ROCPRIM_400000_NS6detail17trampoline_kernelINS0_13select_configILj256ELj13ELNS0_17block_load_methodE3ELS4_3ELS4_3ELNS0_20block_scan_algorithmE0ELj4294967295EEENS1_25partition_config_selectorILNS1_17partition_subalgoE3EjNS0_10empty_typeEbEEZZNS1_14partition_implILS8_3ELb0ES6_jNS0_17counting_iteratorIjlEEPS9_SE_NS0_5tupleIJPjSE_EEENSF_IJSE_SE_EEES9_SG_JZNS1_25segmented_radix_sort_implINS0_14default_configELb0EPKsPsPKlPlN2at6native12_GLOBAL__N_18offset_tEEE10hipError_tPvRmT1_PNSt15iterator_traitsISY_E10value_typeET2_T3_PNSZ_IS14_E10value_typeET4_jRbjT5_S1A_jjP12ihipStream_tbEUljE_EEESV_SW_SX_S14_S18_S1A_T6_T7_T9_mT8_S1C_bDpT10_ENKUlT_T0_E_clISt17integral_constantIbLb0EES1P_EEDaS1K_S1L_EUlS1K_E_NS1_11comp_targetILNS1_3genE4ELNS1_11target_archE910ELNS1_3gpuE8ELNS1_3repE0EEENS1_30default_config_static_selectorELNS0_4arch9wavefront6targetE1EEEvSY_ ; -- Begin function _ZN7rocprim17ROCPRIM_400000_NS6detail17trampoline_kernelINS0_13select_configILj256ELj13ELNS0_17block_load_methodE3ELS4_3ELS4_3ELNS0_20block_scan_algorithmE0ELj4294967295EEENS1_25partition_config_selectorILNS1_17partition_subalgoE3EjNS0_10empty_typeEbEEZZNS1_14partition_implILS8_3ELb0ES6_jNS0_17counting_iteratorIjlEEPS9_SE_NS0_5tupleIJPjSE_EEENSF_IJSE_SE_EEES9_SG_JZNS1_25segmented_radix_sort_implINS0_14default_configELb0EPKsPsPKlPlN2at6native12_GLOBAL__N_18offset_tEEE10hipError_tPvRmT1_PNSt15iterator_traitsISY_E10value_typeET2_T3_PNSZ_IS14_E10value_typeET4_jRbjT5_S1A_jjP12ihipStream_tbEUljE_EEESV_SW_SX_S14_S18_S1A_T6_T7_T9_mT8_S1C_bDpT10_ENKUlT_T0_E_clISt17integral_constantIbLb0EES1P_EEDaS1K_S1L_EUlS1K_E_NS1_11comp_targetILNS1_3genE4ELNS1_11target_archE910ELNS1_3gpuE8ELNS1_3repE0EEENS1_30default_config_static_selectorELNS0_4arch9wavefront6targetE1EEEvSY_
	.p2align	8
	.type	_ZN7rocprim17ROCPRIM_400000_NS6detail17trampoline_kernelINS0_13select_configILj256ELj13ELNS0_17block_load_methodE3ELS4_3ELS4_3ELNS0_20block_scan_algorithmE0ELj4294967295EEENS1_25partition_config_selectorILNS1_17partition_subalgoE3EjNS0_10empty_typeEbEEZZNS1_14partition_implILS8_3ELb0ES6_jNS0_17counting_iteratorIjlEEPS9_SE_NS0_5tupleIJPjSE_EEENSF_IJSE_SE_EEES9_SG_JZNS1_25segmented_radix_sort_implINS0_14default_configELb0EPKsPsPKlPlN2at6native12_GLOBAL__N_18offset_tEEE10hipError_tPvRmT1_PNSt15iterator_traitsISY_E10value_typeET2_T3_PNSZ_IS14_E10value_typeET4_jRbjT5_S1A_jjP12ihipStream_tbEUljE_EEESV_SW_SX_S14_S18_S1A_T6_T7_T9_mT8_S1C_bDpT10_ENKUlT_T0_E_clISt17integral_constantIbLb0EES1P_EEDaS1K_S1L_EUlS1K_E_NS1_11comp_targetILNS1_3genE4ELNS1_11target_archE910ELNS1_3gpuE8ELNS1_3repE0EEENS1_30default_config_static_selectorELNS0_4arch9wavefront6targetE1EEEvSY_,@function
_ZN7rocprim17ROCPRIM_400000_NS6detail17trampoline_kernelINS0_13select_configILj256ELj13ELNS0_17block_load_methodE3ELS4_3ELS4_3ELNS0_20block_scan_algorithmE0ELj4294967295EEENS1_25partition_config_selectorILNS1_17partition_subalgoE3EjNS0_10empty_typeEbEEZZNS1_14partition_implILS8_3ELb0ES6_jNS0_17counting_iteratorIjlEEPS9_SE_NS0_5tupleIJPjSE_EEENSF_IJSE_SE_EEES9_SG_JZNS1_25segmented_radix_sort_implINS0_14default_configELb0EPKsPsPKlPlN2at6native12_GLOBAL__N_18offset_tEEE10hipError_tPvRmT1_PNSt15iterator_traitsISY_E10value_typeET2_T3_PNSZ_IS14_E10value_typeET4_jRbjT5_S1A_jjP12ihipStream_tbEUljE_EEESV_SW_SX_S14_S18_S1A_T6_T7_T9_mT8_S1C_bDpT10_ENKUlT_T0_E_clISt17integral_constantIbLb0EES1P_EEDaS1K_S1L_EUlS1K_E_NS1_11comp_targetILNS1_3genE4ELNS1_11target_archE910ELNS1_3gpuE8ELNS1_3repE0EEENS1_30default_config_static_selectorELNS0_4arch9wavefront6targetE1EEEvSY_: ; @_ZN7rocprim17ROCPRIM_400000_NS6detail17trampoline_kernelINS0_13select_configILj256ELj13ELNS0_17block_load_methodE3ELS4_3ELS4_3ELNS0_20block_scan_algorithmE0ELj4294967295EEENS1_25partition_config_selectorILNS1_17partition_subalgoE3EjNS0_10empty_typeEbEEZZNS1_14partition_implILS8_3ELb0ES6_jNS0_17counting_iteratorIjlEEPS9_SE_NS0_5tupleIJPjSE_EEENSF_IJSE_SE_EEES9_SG_JZNS1_25segmented_radix_sort_implINS0_14default_configELb0EPKsPsPKlPlN2at6native12_GLOBAL__N_18offset_tEEE10hipError_tPvRmT1_PNSt15iterator_traitsISY_E10value_typeET2_T3_PNSZ_IS14_E10value_typeET4_jRbjT5_S1A_jjP12ihipStream_tbEUljE_EEESV_SW_SX_S14_S18_S1A_T6_T7_T9_mT8_S1C_bDpT10_ENKUlT_T0_E_clISt17integral_constantIbLb0EES1P_EEDaS1K_S1L_EUlS1K_E_NS1_11comp_targetILNS1_3genE4ELNS1_11target_archE910ELNS1_3gpuE8ELNS1_3repE0EEENS1_30default_config_static_selectorELNS0_4arch9wavefront6targetE1EEEvSY_
; %bb.0:
	s_load_dwordx2 s[26:27], s[4:5], 0x58
	s_load_dwordx4 s[20:23], s[4:5], 0x48
	s_load_dword s13, s[4:5], 0x8
	s_load_dwordx2 s[28:29], s[4:5], 0x10
	s_load_dword s12, s[4:5], 0x70
	s_load_dword s7, s[4:5], 0x88
	s_load_dwordx4 s[8:11], s[4:5], 0x78
	s_waitcnt lgkmcnt(0)
	s_load_dwordx2 s[30:31], s[22:23], 0x0
	v_pk_mov_b32 v[2:3], s[26:27], s[26:27] op_sel:[0,1]
	s_add_i32 s2, s12, -1
	s_mulk_i32 s12, 0xd00
	s_add_u32 s0, s28, s12
	s_addc_u32 s1, s29, 0
	s_cmp_eq_u32 s6, s2
	s_cselect_b64 s[22:23], -1, 0
	s_cmp_lg_u32 s6, s2
	s_mul_i32 s42, s6, 0xd00
	v_cmp_lt_u64_e32 vcc, s[0:1], v[2:3]
	s_cselect_b64 s[0:1], -1, 0
	s_or_b64 s[2:3], s[0:1], vcc
	s_add_i32 s0, s13, s42
	s_add_i32 s0, s0, s28
	v_add_u32_e32 v2, s0, v0
	s_mov_b64 s[0:1], -1
	s_and_b64 vcc, exec, s[2:3]
	v_lshlrev_b32_e32 v1, 2, v0
	s_cbranch_vccz .LBB983_2
; %bb.1:
	v_add_u32_e32 v3, 0x100, v2
	v_add_u32_e32 v4, 0x200, v2
	;; [unrolled: 1-line block ×12, first 2 shown]
	ds_write2st64_b32 v1, v2, v3 offset1:4
	ds_write2st64_b32 v1, v4, v5 offset0:8 offset1:12
	ds_write2st64_b32 v1, v6, v7 offset0:16 offset1:20
	ds_write2st64_b32 v1, v8, v9 offset0:24 offset1:28
	ds_write2st64_b32 v1, v10, v11 offset0:32 offset1:36
	ds_write2st64_b32 v1, v12, v13 offset0:40 offset1:44
	ds_write_b32 v1, v14 offset:12288
	s_waitcnt lgkmcnt(0)
	s_barrier
	s_mov_b64 s[0:1], 0
.LBB983_2:
	s_andn2_b64 vcc, exec, s[0:1]
	s_add_i32 s12, s12, s28
	s_cbranch_vccnz .LBB983_4
; %bb.3:
	v_add_u32_e32 v3, 0x100, v2
	v_add_u32_e32 v4, 0x200, v2
	;; [unrolled: 1-line block ×12, first 2 shown]
	ds_write2st64_b32 v1, v2, v3 offset1:4
	ds_write2st64_b32 v1, v4, v5 offset0:8 offset1:12
	ds_write2st64_b32 v1, v6, v7 offset0:16 offset1:20
	ds_write2st64_b32 v1, v8, v9 offset0:24 offset1:28
	ds_write2st64_b32 v1, v10, v11 offset0:32 offset1:36
	ds_write2st64_b32 v1, v12, v13 offset0:40 offset1:44
	ds_write_b32 v1, v14 offset:12288
	s_waitcnt lgkmcnt(0)
	s_barrier
.LBB983_4:
	v_mul_u32_u24_e32 v33, 13, v0
	v_lshlrev_b32_e32 v2, 2, v33
	s_waitcnt lgkmcnt(0)
	ds_read2_b32 v[30:31], v2 offset1:1
	ds_read2_b32 v[28:29], v2 offset0:2 offset1:3
	ds_read2_b32 v[26:27], v2 offset0:4 offset1:5
	;; [unrolled: 1-line block ×5, first 2 shown]
	ds_read_b32 v32, v2 offset:48
	v_cndmask_b32_e64 v2, 0, 1, s[2:3]
	s_sub_i32 s33, s26, s12
	v_cmp_ne_u32_e64 s[0:1], 1, v2
	s_andn2_b64 vcc, exec, s[2:3]
	s_waitcnt lgkmcnt(0)
	s_barrier
	s_cbranch_vccnz .LBB983_6
; %bb.5:
	v_add_u32_e32 v2, s9, v30
	v_add_u32_e32 v3, s11, v30
	v_mul_lo_u32 v2, v2, s8
	v_mul_lo_u32 v3, v3, s10
	v_sub_u32_e32 v2, v2, v3
	v_add_u32_e32 v3, s9, v31
	v_add_u32_e32 v4, s11, v31
	v_mul_lo_u32 v3, v3, s8
	v_mul_lo_u32 v4, v4, s10
	v_sub_u32_e32 v3, v3, v4
	;; [unrolled: 5-line block ×6, first 2 shown]
	v_add_u32_e32 v8, s9, v24
	v_add_u32_e32 v9, s11, v24
	v_mul_lo_u32 v8, v8, s8
	v_mul_lo_u32 v9, v9, s10
	v_cmp_lt_u32_e32 vcc, s7, v2
	v_sub_u32_e32 v8, v8, v9
	v_add_u32_e32 v9, s9, v25
	v_add_u32_e32 v10, s11, v25
	v_cndmask_b32_e64 v2, 0, 1, vcc
	v_cmp_lt_u32_e32 vcc, s7, v3
	v_mul_lo_u32 v9, v9, s8
	v_mul_lo_u32 v10, v10, s10
	v_cndmask_b32_e64 v3, 0, 1, vcc
	v_cmp_lt_u32_e32 vcc, s7, v4
	v_sub_u32_e32 v9, v9, v10
	v_add_u32_e32 v10, s9, v22
	v_add_u32_e32 v11, s11, v22
	v_cndmask_b32_e64 v4, 0, 1, vcc
	v_cmp_lt_u32_e32 vcc, s7, v5
	v_mul_lo_u32 v10, v10, s8
	v_mul_lo_u32 v11, v11, s10
	v_cndmask_b32_e64 v5, 0, 1, vcc
	;; [unrolled: 9-line block ×4, first 2 shown]
	v_cmp_lt_u32_e32 vcc, s7, v10
	v_sub_u32_e32 v12, v12, v13
	v_add_u32_e32 v13, s9, v21
	v_add_u32_e32 v14, s11, v21
	v_lshlrev_b16_e32 v3, 8, v3
	v_cndmask_b32_e64 v10, 0, 1, vcc
	v_cmp_lt_u32_e32 vcc, s7, v11
	v_mul_lo_u32 v13, v13, s8
	v_mul_lo_u32 v14, v14, s10
	v_or_b32_e32 v2, v2, v3
	v_lshlrev_b16_e32 v3, 8, v5
	v_cndmask_b32_e64 v11, 0, 1, vcc
	v_cmp_lt_u32_e32 vcc, s7, v12
	v_sub_u32_e32 v13, v13, v14
	v_or_b32_sdwa v3, v4, v3 dst_sel:WORD_1 dst_unused:UNUSED_PAD src0_sel:DWORD src1_sel:DWORD
	v_cndmask_b32_e64 v12, 0, 1, vcc
	v_cmp_lt_u32_e32 vcc, s7, v13
	v_add_u32_e32 v14, s9, v32
	v_add_u32_e32 v15, s11, v32
	v_or_b32_sdwa v37, v2, v3 dst_sel:DWORD dst_unused:UNUSED_PAD src0_sel:WORD_0 src1_sel:DWORD
	v_lshlrev_b16_e32 v2, 8, v7
	v_lshlrev_b16_e32 v3, 8, v9
	v_cndmask_b32_e64 v13, 0, 1, vcc
	v_mul_lo_u32 v14, v14, s8
	v_mul_lo_u32 v15, v15, s10
	v_or_b32_e32 v2, v6, v2
	v_or_b32_sdwa v3, v8, v3 dst_sel:WORD_1 dst_unused:UNUSED_PAD src0_sel:DWORD src1_sel:DWORD
	v_sub_u32_e32 v14, v14, v15
	v_or_b32_sdwa v36, v2, v3 dst_sel:DWORD dst_unused:UNUSED_PAD src0_sel:WORD_0 src1_sel:DWORD
	v_lshlrev_b16_e32 v2, 8, v11
	v_lshlrev_b16_e32 v3, 8, v13
	v_cmp_lt_u32_e32 vcc, s7, v14
	v_or_b32_e32 v2, v10, v2
	v_or_b32_sdwa v3, v12, v3 dst_sel:WORD_1 dst_unused:UNUSED_PAD src0_sel:DWORD src1_sel:DWORD
	v_cndmask_b32_e64 v34, 0, 1, vcc
	v_or_b32_sdwa v35, v2, v3 dst_sel:DWORD dst_unused:UNUSED_PAD src0_sel:WORD_0 src1_sel:DWORD
	s_mov_b64 s[2:3], 0
	s_branch .LBB983_7
.LBB983_6:
	s_mov_b64 s[2:3], -1
                                        ; implicit-def: $vgpr34
                                        ; implicit-def: $vgpr35
                                        ; implicit-def: $vgpr36
                                        ; implicit-def: $vgpr37
.LBB983_7:
	s_load_dwordx2 s[24:25], s[4:5], 0x28
	s_load_dwordx2 s[34:35], s[4:5], 0x68
	s_andn2_b64 vcc, exec, s[2:3]
	s_addk_i32 s33, 0xd00
	s_cbranch_vccnz .LBB983_35
; %bb.8:
	v_cmp_gt_u32_e32 vcc, s33, v33
	v_mov_b32_e32 v3, 0
	v_mov_b32_e32 v2, 0
	s_and_saveexec_b64 s[2:3], vcc
; %bb.9:
	v_add_u32_e32 v2, s9, v30
	v_add_u32_e32 v4, s11, v30
	v_mul_lo_u32 v2, v2, s8
	v_mul_lo_u32 v4, v4, s10
	v_sub_u32_e32 v2, v2, v4
	v_cmp_lt_u32_e32 vcc, s7, v2
	v_cndmask_b32_e64 v2, 0, 1, vcc
; %bb.10:
	s_or_b64 exec, exec, s[2:3]
	v_add_u32_e32 v4, 1, v33
	v_cmp_gt_u32_e32 vcc, s33, v4
	s_and_saveexec_b64 s[2:3], vcc
; %bb.11:
	v_add_u32_e32 v3, s9, v31
	v_add_u32_e32 v4, s11, v31
	v_mul_lo_u32 v3, v3, s8
	v_mul_lo_u32 v4, v4, s10
	v_sub_u32_e32 v3, v3, v4
	v_cmp_lt_u32_e32 vcc, s7, v3
	v_cndmask_b32_e64 v3, 0, 1, vcc
; %bb.12:
	s_or_b64 exec, exec, s[2:3]
	v_add_u32_e32 v4, 2, v33
	v_cmp_gt_u32_e32 vcc, s33, v4
	v_mov_b32_e32 v5, 0
	v_mov_b32_e32 v4, 0
	s_and_saveexec_b64 s[2:3], vcc
; %bb.13:
	v_add_u32_e32 v4, s9, v28
	v_add_u32_e32 v6, s11, v28
	v_mul_lo_u32 v4, v4, s8
	v_mul_lo_u32 v6, v6, s10
	v_sub_u32_e32 v4, v4, v6
	v_cmp_lt_u32_e32 vcc, s7, v4
	v_cndmask_b32_e64 v4, 0, 1, vcc
; %bb.14:
	s_or_b64 exec, exec, s[2:3]
	v_add_u32_e32 v6, 3, v33
	v_cmp_gt_u32_e32 vcc, s33, v6
	s_and_saveexec_b64 s[2:3], vcc
; %bb.15:
	v_add_u32_e32 v5, s9, v29
	v_add_u32_e32 v6, s11, v29
	v_mul_lo_u32 v5, v5, s8
	v_mul_lo_u32 v6, v6, s10
	v_sub_u32_e32 v5, v5, v6
	v_cmp_lt_u32_e32 vcc, s7, v5
	v_cndmask_b32_e64 v5, 0, 1, vcc
; %bb.16:
	s_or_b64 exec, exec, s[2:3]
	v_add_u32_e32 v6, 4, v33
	;; [unrolled: 28-line block ×6, first 2 shown]
	v_cmp_gt_u32_e32 vcc, s33, v14
	v_mov_b32_e32 v34, 0
	s_and_saveexec_b64 s[2:3], vcc
; %bb.33:
	v_add_u32_e32 v14, s9, v32
	v_add_u32_e32 v15, s11, v32
	v_mul_lo_u32 v14, v14, s8
	v_mul_lo_u32 v15, v15, s10
	v_sub_u32_e32 v14, v14, v15
	v_cmp_lt_u32_e32 vcc, s7, v14
	v_cndmask_b32_e64 v34, 0, 1, vcc
; %bb.34:
	s_or_b64 exec, exec, s[2:3]
	v_lshlrev_b16_e32 v3, 8, v3
	v_or_b32_e32 v2, v2, v3
	v_lshlrev_b16_e32 v3, 8, v5
	v_or_b32_sdwa v3, v4, v3 dst_sel:WORD_1 dst_unused:UNUSED_PAD src0_sel:DWORD src1_sel:DWORD
	v_or_b32_sdwa v37, v2, v3 dst_sel:DWORD dst_unused:UNUSED_PAD src0_sel:WORD_0 src1_sel:DWORD
	v_lshlrev_b16_e32 v2, 8, v7
	v_lshlrev_b16_e32 v3, 8, v9
	v_or_b32_e32 v2, v6, v2
	v_or_b32_sdwa v3, v8, v3 dst_sel:WORD_1 dst_unused:UNUSED_PAD src0_sel:DWORD src1_sel:DWORD
	v_or_b32_sdwa v36, v2, v3 dst_sel:DWORD dst_unused:UNUSED_PAD src0_sel:WORD_0 src1_sel:DWORD
	v_lshlrev_b16_e32 v2, 8, v11
	v_lshlrev_b16_e32 v3, 8, v13
	v_or_b32_e32 v2, v10, v2
	v_or_b32_sdwa v3, v12, v3 dst_sel:WORD_1 dst_unused:UNUSED_PAD src0_sel:DWORD src1_sel:DWORD
	v_or_b32_sdwa v35, v2, v3 dst_sel:DWORD dst_unused:UNUSED_PAD src0_sel:WORD_0 src1_sel:DWORD
.LBB983_35:
	v_and_b32_e32 v41, 0xff, v37
	v_bfe_u32 v42, v37, 8, 8
	v_bfe_u32 v43, v37, 16, 8
	v_lshrrev_b32_e32 v40, 24, v37
	v_and_b32_e32 v44, 0xff, v36
	v_add3_u32 v3, v42, v41, v43
	v_bfe_u32 v45, v36, 8, 8
	v_bfe_u32 v46, v36, 16, 8
	v_add3_u32 v3, v3, v40, v44
	v_lshrrev_b32_e32 v39, 24, v36
	v_and_b32_e32 v47, 0xff, v35
	v_add3_u32 v3, v3, v45, v46
	v_bfe_u32 v48, v35, 8, 8
	v_bfe_u32 v49, v35, 16, 8
	v_add3_u32 v3, v3, v39, v47
	v_lshrrev_b32_e32 v38, 24, v35
	v_and_b32_e32 v2, 0xff, v34
	v_add3_u32 v3, v3, v48, v49
	v_add3_u32 v52, v3, v38, v2
	v_mbcnt_lo_u32_b32 v2, -1, 0
	v_mbcnt_hi_u32_b32 v50, -1, v2
	v_and_b32_e32 v2, 15, v50
	v_cmp_eq_u32_e64 s[14:15], 0, v2
	v_cmp_lt_u32_e64 s[12:13], 1, v2
	v_cmp_lt_u32_e64 s[10:11], 3, v2
	;; [unrolled: 1-line block ×3, first 2 shown]
	v_and_b32_e32 v2, 16, v50
	v_cmp_eq_u32_e64 s[18:19], 0, v2
	v_or_b32_e32 v2, 63, v0
	s_cmp_lg_u32 s6, 0
	v_cmp_lt_u32_e64 s[2:3], 31, v50
	v_lshrrev_b32_e32 v51, 6, v0
	v_cmp_eq_u32_e64 s[4:5], v2, v0
	s_cbranch_scc0 .LBB983_62
; %bb.36:
	v_mov_b32_dpp v2, v52 row_shr:1 row_mask:0xf bank_mask:0xf
	v_cndmask_b32_e64 v2, v2, 0, s[14:15]
	v_add_u32_e32 v2, v2, v52
	s_nop 1
	v_mov_b32_dpp v3, v2 row_shr:2 row_mask:0xf bank_mask:0xf
	v_cndmask_b32_e64 v3, 0, v3, s[12:13]
	v_add_u32_e32 v2, v2, v3
	s_nop 1
	;; [unrolled: 4-line block ×4, first 2 shown]
	v_mov_b32_dpp v3, v2 row_bcast:15 row_mask:0xf bank_mask:0xf
	v_cndmask_b32_e64 v3, v3, 0, s[18:19]
	v_add_u32_e32 v2, v2, v3
	s_nop 1
	v_mov_b32_dpp v3, v2 row_bcast:31 row_mask:0xf bank_mask:0xf
	v_cndmask_b32_e64 v3, 0, v3, s[2:3]
	v_add_u32_e32 v2, v2, v3
	s_and_saveexec_b64 s[16:17], s[4:5]
	s_cbranch_execz .LBB983_38
; %bb.37:
	v_lshlrev_b32_e32 v3, 2, v51
	ds_write_b32 v3, v2
.LBB983_38:
	s_or_b64 exec, exec, s[16:17]
	v_cmp_gt_u32_e32 vcc, 4, v0
	s_waitcnt lgkmcnt(0)
	s_barrier
	s_and_saveexec_b64 s[16:17], vcc
	s_cbranch_execz .LBB983_40
; %bb.39:
	ds_read_b32 v3, v1
	v_and_b32_e32 v4, 3, v50
	v_cmp_ne_u32_e32 vcc, 0, v4
	s_waitcnt lgkmcnt(0)
	v_mov_b32_dpp v5, v3 row_shr:1 row_mask:0xf bank_mask:0xf
	v_cndmask_b32_e32 v5, 0, v5, vcc
	v_add_u32_e32 v3, v5, v3
	v_cmp_lt_u32_e32 vcc, 1, v4
	s_nop 0
	v_mov_b32_dpp v5, v3 row_shr:2 row_mask:0xf bank_mask:0xf
	v_cndmask_b32_e32 v4, 0, v5, vcc
	v_add_u32_e32 v3, v3, v4
	ds_write_b32 v1, v3
.LBB983_40:
	s_or_b64 exec, exec, s[16:17]
	v_cmp_gt_u32_e32 vcc, 64, v0
	v_cmp_lt_u32_e64 s[16:17], 63, v0
	s_waitcnt lgkmcnt(0)
	s_barrier
	s_waitcnt lgkmcnt(0)
                                        ; implicit-def: $vgpr12
	s_and_saveexec_b64 s[36:37], s[16:17]
	s_cbranch_execz .LBB983_42
; %bb.41:
	v_lshl_add_u32 v3, v51, 2, -4
	ds_read_b32 v12, v3
	s_waitcnt lgkmcnt(0)
	v_add_u32_e32 v2, v12, v2
.LBB983_42:
	s_or_b64 exec, exec, s[36:37]
	v_add_u32_e32 v3, -1, v50
	v_and_b32_e32 v4, 64, v50
	v_cmp_lt_i32_e64 s[16:17], v3, v4
	v_cndmask_b32_e64 v3, v3, v50, s[16:17]
	v_lshlrev_b32_e32 v3, 2, v3
	ds_bpermute_b32 v13, v3, v2
	v_cmp_eq_u32_e64 s[16:17], 0, v50
	s_and_saveexec_b64 s[36:37], vcc
	s_cbranch_execz .LBB983_61
; %bb.43:
	v_mov_b32_e32 v9, 0
	ds_read_b32 v2, v9 offset:12
	s_and_saveexec_b64 s[38:39], s[16:17]
	s_cbranch_execz .LBB983_45
; %bb.44:
	s_add_i32 s40, s6, 64
	s_mov_b32 s41, 0
	s_lshl_b64 s[40:41], s[40:41], 3
	s_add_u32 s40, s34, s40
	v_mov_b32_e32 v3, 1
	s_addc_u32 s41, s35, s41
	s_waitcnt lgkmcnt(0)
	global_store_dwordx2 v9, v[2:3], s[40:41]
.LBB983_45:
	s_or_b64 exec, exec, s[38:39]
	v_xad_u32 v4, v50, -1, s6
	v_add_u32_e32 v8, 64, v4
	v_lshlrev_b64 v[6:7], 3, v[8:9]
	v_mov_b32_e32 v3, s35
	v_add_co_u32_e32 v10, vcc, s34, v6
	v_addc_co_u32_e32 v11, vcc, v3, v7, vcc
	global_load_dwordx2 v[6:7], v[10:11], off glc
	s_waitcnt vmcnt(0)
	v_cmp_eq_u16_sdwa s[40:41], v7, v9 src0_sel:BYTE_0 src1_sel:DWORD
	s_and_saveexec_b64 s[38:39], s[40:41]
	s_cbranch_execz .LBB983_49
; %bb.46:
	s_mov_b64 s[40:41], 0
	v_mov_b32_e32 v3, 0
.LBB983_47:                             ; =>This Inner Loop Header: Depth=1
	global_load_dwordx2 v[6:7], v[10:11], off glc
	s_waitcnt vmcnt(0)
	v_cmp_ne_u16_sdwa s[44:45], v7, v3 src0_sel:BYTE_0 src1_sel:DWORD
	s_or_b64 s[40:41], s[44:45], s[40:41]
	s_andn2_b64 exec, exec, s[40:41]
	s_cbranch_execnz .LBB983_47
; %bb.48:
	s_or_b64 exec, exec, s[40:41]
.LBB983_49:
	s_or_b64 exec, exec, s[38:39]
	v_and_b32_e32 v14, 63, v50
	v_mov_b32_e32 v3, 2
	v_cmp_ne_u32_e32 vcc, 63, v14
	v_cmp_eq_u16_sdwa s[38:39], v7, v3 src0_sel:BYTE_0 src1_sel:DWORD
	v_lshlrev_b64 v[8:9], v50, -1
	v_addc_co_u32_e32 v11, vcc, 0, v50, vcc
	v_and_b32_e32 v5, s39, v9
	v_lshlrev_b32_e32 v15, 2, v11
	v_or_b32_e32 v5, 0x80000000, v5
	ds_bpermute_b32 v11, v15, v6
	v_and_b32_e32 v10, s38, v8
	v_ffbl_b32_e32 v5, v5
	v_add_u32_e32 v5, 32, v5
	v_ffbl_b32_e32 v10, v10
	v_min_u32_e32 v5, v10, v5
	v_cmp_lt_u32_e32 vcc, v14, v5
	s_waitcnt lgkmcnt(0)
	v_cndmask_b32_e32 v10, 0, v11, vcc
	v_cmp_gt_u32_e32 vcc, 62, v14
	v_add_u32_e32 v6, v10, v6
	v_cndmask_b32_e64 v10, 0, 1, vcc
	v_lshlrev_b32_e32 v10, 1, v10
	v_add_lshl_u32 v16, v10, v50, 2
	ds_bpermute_b32 v10, v16, v6
	v_add_u32_e32 v17, 2, v14
	v_cmp_le_u32_e32 vcc, v17, v5
	v_add_u32_e32 v19, 4, v14
	v_add_u32_e32 v54, 8, v14
	s_waitcnt lgkmcnt(0)
	v_cndmask_b32_e32 v10, 0, v10, vcc
	v_cmp_gt_u32_e32 vcc, 60, v14
	v_add_u32_e32 v6, v6, v10
	v_cndmask_b32_e64 v10, 0, 1, vcc
	v_lshlrev_b32_e32 v10, 2, v10
	v_add_lshl_u32 v18, v10, v50, 2
	ds_bpermute_b32 v10, v18, v6
	v_cmp_le_u32_e32 vcc, v19, v5
	v_add_u32_e32 v57, 16, v14
	v_add_u32_e32 v59, 32, v14
	s_waitcnt lgkmcnt(0)
	v_cndmask_b32_e32 v10, 0, v10, vcc
	v_cmp_gt_u32_e32 vcc, 56, v14
	v_add_u32_e32 v6, v6, v10
	v_cndmask_b32_e64 v10, 0, 1, vcc
	v_lshlrev_b32_e32 v10, 3, v10
	v_add_lshl_u32 v53, v10, v50, 2
	ds_bpermute_b32 v10, v53, v6
	v_cmp_le_u32_e32 vcc, v54, v5
	s_waitcnt lgkmcnt(0)
	v_cndmask_b32_e32 v10, 0, v10, vcc
	v_cmp_gt_u32_e32 vcc, 48, v14
	v_add_u32_e32 v6, v6, v10
	v_cndmask_b32_e64 v10, 0, 1, vcc
	v_lshlrev_b32_e32 v10, 4, v10
	v_add_lshl_u32 v56, v10, v50, 2
	ds_bpermute_b32 v10, v56, v6
	v_cmp_le_u32_e32 vcc, v57, v5
	;; [unrolled: 9-line block ×3, first 2 shown]
	s_waitcnt lgkmcnt(0)
	v_cndmask_b32_e32 v5, 0, v10, vcc
	v_add_u32_e32 v6, v6, v5
	v_mov_b32_e32 v5, 0
	s_branch .LBB983_51
.LBB983_50:                             ;   in Loop: Header=BB983_51 Depth=1
	s_or_b64 exec, exec, s[38:39]
	v_cmp_eq_u16_sdwa s[38:39], v7, v3 src0_sel:BYTE_0 src1_sel:DWORD
	v_and_b32_e32 v10, s39, v9
	v_or_b32_e32 v10, 0x80000000, v10
	ds_bpermute_b32 v60, v15, v6
	v_and_b32_e32 v11, s38, v8
	v_ffbl_b32_e32 v10, v10
	v_add_u32_e32 v10, 32, v10
	v_ffbl_b32_e32 v11, v11
	v_min_u32_e32 v10, v11, v10
	v_cmp_lt_u32_e32 vcc, v14, v10
	s_waitcnt lgkmcnt(0)
	v_cndmask_b32_e32 v11, 0, v60, vcc
	v_add_u32_e32 v6, v11, v6
	ds_bpermute_b32 v11, v16, v6
	v_cmp_le_u32_e32 vcc, v17, v10
	v_subrev_u32_e32 v4, 64, v4
	s_waitcnt lgkmcnt(0)
	v_cndmask_b32_e32 v11, 0, v11, vcc
	v_add_u32_e32 v6, v6, v11
	ds_bpermute_b32 v11, v18, v6
	v_cmp_le_u32_e32 vcc, v19, v10
	s_waitcnt lgkmcnt(0)
	v_cndmask_b32_e32 v11, 0, v11, vcc
	v_add_u32_e32 v6, v6, v11
	ds_bpermute_b32 v11, v53, v6
	v_cmp_le_u32_e32 vcc, v54, v10
	s_waitcnt lgkmcnt(0)
	v_cndmask_b32_e32 v11, 0, v11, vcc
	v_add_u32_e32 v6, v6, v11
	ds_bpermute_b32 v11, v56, v6
	v_cmp_le_u32_e32 vcc, v57, v10
	s_waitcnt lgkmcnt(0)
	v_cndmask_b32_e32 v11, 0, v11, vcc
	v_add_u32_e32 v6, v6, v11
	ds_bpermute_b32 v11, v58, v6
	v_cmp_le_u32_e32 vcc, v59, v10
	s_waitcnt lgkmcnt(0)
	v_cndmask_b32_e32 v10, 0, v11, vcc
	v_add3_u32 v6, v10, v55, v6
.LBB983_51:                             ; =>This Loop Header: Depth=1
                                        ;     Child Loop BB983_54 Depth 2
	v_cmp_ne_u16_sdwa s[38:39], v7, v3 src0_sel:BYTE_0 src1_sel:DWORD
	v_cndmask_b32_e64 v7, 0, 1, s[38:39]
	;;#ASMSTART
	;;#ASMEND
	v_cmp_ne_u32_e32 vcc, 0, v7
	s_cmp_lg_u64 vcc, exec
	v_mov_b32_e32 v55, v6
	s_cbranch_scc1 .LBB983_56
; %bb.52:                               ;   in Loop: Header=BB983_51 Depth=1
	v_lshlrev_b64 v[6:7], 3, v[4:5]
	v_mov_b32_e32 v11, s35
	v_add_co_u32_e32 v10, vcc, s34, v6
	v_addc_co_u32_e32 v11, vcc, v11, v7, vcc
	global_load_dwordx2 v[6:7], v[10:11], off glc
	s_waitcnt vmcnt(0)
	v_cmp_eq_u16_sdwa s[40:41], v7, v5 src0_sel:BYTE_0 src1_sel:DWORD
	s_and_saveexec_b64 s[38:39], s[40:41]
	s_cbranch_execz .LBB983_50
; %bb.53:                               ;   in Loop: Header=BB983_51 Depth=1
	s_mov_b64 s[40:41], 0
.LBB983_54:                             ;   Parent Loop BB983_51 Depth=1
                                        ; =>  This Inner Loop Header: Depth=2
	global_load_dwordx2 v[6:7], v[10:11], off glc
	s_waitcnt vmcnt(0)
	v_cmp_ne_u16_sdwa s[44:45], v7, v5 src0_sel:BYTE_0 src1_sel:DWORD
	s_or_b64 s[40:41], s[44:45], s[40:41]
	s_andn2_b64 exec, exec, s[40:41]
	s_cbranch_execnz .LBB983_54
; %bb.55:                               ;   in Loop: Header=BB983_51 Depth=1
	s_or_b64 exec, exec, s[40:41]
	s_branch .LBB983_50
.LBB983_56:                             ;   in Loop: Header=BB983_51 Depth=1
                                        ; implicit-def: $vgpr6
                                        ; implicit-def: $vgpr7
	s_cbranch_execz .LBB983_51
; %bb.57:
	s_and_saveexec_b64 s[38:39], s[16:17]
	s_cbranch_execz .LBB983_59
; %bb.58:
	s_add_i32 s6, s6, 64
	s_mov_b32 s7, 0
	s_lshl_b64 s[6:7], s[6:7], 3
	s_add_u32 s6, s34, s6
	v_add_u32_e32 v4, v55, v2
	v_mov_b32_e32 v5, 2
	s_addc_u32 s7, s35, s7
	v_mov_b32_e32 v3, 0
	global_store_dwordx2 v3, v[4:5], s[6:7]
	s_movk_i32 s6, 0x3400
	v_add_u32_e64 v3, s6, 0
	ds_write2_b32 v3, v2, v55 offset1:2
.LBB983_59:
	s_or_b64 exec, exec, s[38:39]
	v_cmp_eq_u32_e32 vcc, 0, v0
	s_and_b64 exec, exec, vcc
	s_cbranch_execz .LBB983_61
; %bb.60:
	v_mov_b32_e32 v2, 0
	ds_write_b32 v2, v55 offset:12
.LBB983_61:
	s_or_b64 exec, exec, s[36:37]
	v_mov_b32_e32 v2, 0
	s_waitcnt lgkmcnt(0)
	s_barrier
	ds_read_b32 v2, v2 offset:12
	v_cndmask_b32_e64 v3, v13, v12, s[16:17]
	v_cmp_ne_u32_e32 vcc, 0, v0
	v_cndmask_b32_e32 v3, 0, v3, vcc
	s_movk_i32 s6, 0x3400
	s_waitcnt lgkmcnt(0)
	v_add_u32_e32 v2, v2, v3
	v_add_u32_e32 v3, v2, v41
	;; [unrolled: 1-line block ×8, first 2 shown]
	v_add_u32_e64 v12, s6, 0
	v_add_u32_e32 v10, v9, v39
	s_barrier
	ds_read2_b32 v[18:19], v12 offset1:2
	v_add_u32_e32 v11, v10, v47
	v_add_u32_e32 v12, v11, v48
	v_add_u32_e32 v13, v12, v49
	v_add_u32_e32 v14, v13, v38
	s_branch .LBB983_72
.LBB983_62:
                                        ; implicit-def: $vgpr19
                                        ; implicit-def: $vgpr2_vgpr3_vgpr4_vgpr5_vgpr6_vgpr7_vgpr8_vgpr9_vgpr10_vgpr11_vgpr12_vgpr13_vgpr14_vgpr15_vgpr16_vgpr17
	s_cbranch_execz .LBB983_72
; %bb.63:
	s_nop 0
	v_mov_b32_dpp v2, v52 row_shr:1 row_mask:0xf bank_mask:0xf
	v_cndmask_b32_e64 v2, v2, 0, s[14:15]
	v_add_u32_e32 v2, v2, v52
	s_nop 1
	v_mov_b32_dpp v3, v2 row_shr:2 row_mask:0xf bank_mask:0xf
	v_cndmask_b32_e64 v3, 0, v3, s[12:13]
	v_add_u32_e32 v2, v2, v3
	;; [unrolled: 4-line block ×4, first 2 shown]
	s_nop 1
	v_mov_b32_dpp v3, v2 row_bcast:15 row_mask:0xf bank_mask:0xf
	v_cndmask_b32_e64 v3, v3, 0, s[18:19]
	v_add_u32_e32 v2, v2, v3
	s_nop 1
	v_mov_b32_dpp v3, v2 row_bcast:31 row_mask:0xf bank_mask:0xf
	v_cndmask_b32_e64 v3, 0, v3, s[2:3]
	v_add_u32_e32 v2, v2, v3
	s_and_saveexec_b64 s[2:3], s[4:5]
	s_cbranch_execz .LBB983_65
; %bb.64:
	v_lshlrev_b32_e32 v3, 2, v51
	ds_write_b32 v3, v2
.LBB983_65:
	s_or_b64 exec, exec, s[2:3]
	v_cmp_gt_u32_e32 vcc, 4, v0
	s_waitcnt lgkmcnt(0)
	s_barrier
	s_and_saveexec_b64 s[2:3], vcc
	s_cbranch_execz .LBB983_67
; %bb.66:
	ds_read_b32 v3, v1
	v_and_b32_e32 v4, 3, v50
	v_cmp_ne_u32_e32 vcc, 0, v4
	s_waitcnt lgkmcnt(0)
	v_mov_b32_dpp v5, v3 row_shr:1 row_mask:0xf bank_mask:0xf
	v_cndmask_b32_e32 v5, 0, v5, vcc
	v_add_u32_e32 v3, v5, v3
	v_cmp_lt_u32_e32 vcc, 1, v4
	s_nop 0
	v_mov_b32_dpp v5, v3 row_shr:2 row_mask:0xf bank_mask:0xf
	v_cndmask_b32_e32 v4, 0, v5, vcc
	v_add_u32_e32 v3, v3, v4
	ds_write_b32 v1, v3
.LBB983_67:
	s_or_b64 exec, exec, s[2:3]
	v_cmp_lt_u32_e32 vcc, 63, v0
	v_mov_b32_e32 v4, 0
	v_mov_b32_e32 v3, 0
	s_waitcnt lgkmcnt(0)
	s_barrier
	s_and_saveexec_b64 s[2:3], vcc
	s_cbranch_execz .LBB983_69
; %bb.68:
	v_lshl_add_u32 v3, v51, 2, -4
	ds_read_b32 v3, v3
.LBB983_69:
	s_or_b64 exec, exec, s[2:3]
	v_add_u32_e32 v5, -1, v50
	v_and_b32_e32 v6, 64, v50
	v_cmp_lt_i32_e32 vcc, v5, v6
	v_cndmask_b32_e32 v5, v5, v50, vcc
	s_waitcnt lgkmcnt(0)
	v_add_u32_e32 v2, v3, v2
	v_lshlrev_b32_e32 v5, 2, v5
	ds_bpermute_b32 v2, v5, v2
	ds_read_b32 v18, v4 offset:12
	v_cmp_eq_u32_e32 vcc, 0, v0
	s_and_saveexec_b64 s[2:3], vcc
	s_cbranch_execz .LBB983_71
; %bb.70:
	v_mov_b32_e32 v4, 0
	v_mov_b32_e32 v19, 2
	s_waitcnt lgkmcnt(0)
	global_store_dwordx2 v4, v[18:19], s[34:35] offset:512
.LBB983_71:
	s_or_b64 exec, exec, s[2:3]
	v_cmp_eq_u32_e64 s[2:3], 0, v50
	s_waitcnt lgkmcnt(1)
	v_cndmask_b32_e64 v2, v2, v3, s[2:3]
	v_cndmask_b32_e64 v2, v2, 0, vcc
	v_add_u32_e32 v3, v2, v41
	v_add_u32_e32 v4, v3, v42
	;; [unrolled: 1-line block ×11, first 2 shown]
	v_mov_b32_e32 v19, 0
	v_add_u32_e32 v14, v13, v38
	s_waitcnt lgkmcnt(0)
	s_barrier
.LBB983_72:
	s_waitcnt lgkmcnt(0)
	v_add_u32_e32 v33, v18, v33
	v_sub_u32_e32 v2, v2, v19
	v_and_b32_e32 v42, 1, v37
	v_sub_u32_e32 v41, v33, v2
	v_cmp_eq_u32_e32 vcc, 1, v42
	v_cndmask_b32_e32 v2, v41, v2, vcc
	v_lshlrev_b32_e32 v2, 2, v2
	v_lshrrev_b32_e32 v17, 8, v37
	ds_write_b32 v2, v30
	v_sub_u32_e32 v2, v3, v19
	v_sub_u32_e32 v3, v33, v2
	v_and_b32_e32 v17, 1, v17
	v_add_u32_e32 v3, 1, v3
	v_cmp_eq_u32_e32 vcc, 1, v17
	v_cndmask_b32_e32 v2, v3, v2, vcc
	v_lshlrev_b32_e32 v2, 2, v2
	ds_write_b32 v2, v31
	v_sub_u32_e32 v2, v4, v19
	v_mov_b32_e32 v4, 1
	v_sub_u32_e32 v3, v33, v2
	v_and_b32_sdwa v17, v4, v37 dst_sel:DWORD dst_unused:UNUSED_PAD src0_sel:DWORD src1_sel:WORD_1
	v_add_u32_e32 v3, 2, v3
	v_cmp_eq_u32_e32 vcc, 1, v17
	v_cndmask_b32_e32 v2, v3, v2, vcc
	v_lshlrev_b32_e32 v2, 2, v2
	ds_write_b32 v2, v28
	v_sub_u32_e32 v2, v5, v19
	v_sub_u32_e32 v3, v33, v2
	v_and_b32_e32 v5, 1, v40
	v_add_u32_e32 v3, 3, v3
	v_cmp_eq_u32_e32 vcc, 1, v5
	v_cndmask_b32_e32 v2, v3, v2, vcc
	v_lshlrev_b32_e32 v2, 2, v2
	ds_write_b32 v2, v29
	v_sub_u32_e32 v2, v6, v19
	v_sub_u32_e32 v3, v33, v2
	v_and_b32_e32 v5, 1, v36
	v_add_u32_e32 v3, 4, v3
	v_cmp_eq_u32_e32 vcc, 1, v5
	v_cndmask_b32_e32 v2, v3, v2, vcc
	v_lshlrev_b32_e32 v2, 2, v2
	v_lshrrev_b32_e32 v16, 8, v36
	ds_write_b32 v2, v26
	v_sub_u32_e32 v2, v7, v19
	v_sub_u32_e32 v3, v33, v2
	v_and_b32_e32 v5, 1, v16
	v_add_u32_e32 v3, 5, v3
	v_cmp_eq_u32_e32 vcc, 1, v5
	v_cndmask_b32_e32 v2, v3, v2, vcc
	v_lshlrev_b32_e32 v2, 2, v2
	ds_write_b32 v2, v27
	v_sub_u32_e32 v2, v8, v19
	v_sub_u32_e32 v3, v33, v2
	v_and_b32_sdwa v5, v4, v36 dst_sel:DWORD dst_unused:UNUSED_PAD src0_sel:DWORD src1_sel:WORD_1
	v_add_u32_e32 v3, 6, v3
	v_cmp_eq_u32_e32 vcc, 1, v5
	v_cndmask_b32_e32 v2, v3, v2, vcc
	v_lshlrev_b32_e32 v2, 2, v2
	ds_write_b32 v2, v24
	v_sub_u32_e32 v2, v9, v19
	v_sub_u32_e32 v3, v33, v2
	v_and_b32_e32 v5, 1, v39
	v_add_u32_e32 v3, 7, v3
	v_cmp_eq_u32_e32 vcc, 1, v5
	v_cndmask_b32_e32 v2, v3, v2, vcc
	v_lshlrev_b32_e32 v2, 2, v2
	ds_write_b32 v2, v25
	v_sub_u32_e32 v2, v10, v19
	v_sub_u32_e32 v3, v33, v2
	v_and_b32_e32 v5, 1, v35
	v_add_u32_e32 v3, 8, v3
	v_cmp_eq_u32_e32 vcc, 1, v5
	v_cndmask_b32_e32 v2, v3, v2, vcc
	v_lshlrev_b32_e32 v2, 2, v2
	v_lshrrev_b32_e32 v15, 8, v35
	ds_write_b32 v2, v22
	v_sub_u32_e32 v2, v11, v19
	v_sub_u32_e32 v3, v33, v2
	v_and_b32_e32 v5, 1, v15
	v_add_u32_e32 v3, 9, v3
	v_cmp_eq_u32_e32 vcc, 1, v5
	v_cndmask_b32_e32 v2, v3, v2, vcc
	v_lshlrev_b32_e32 v2, 2, v2
	ds_write_b32 v2, v23
	v_sub_u32_e32 v2, v12, v19
	v_sub_u32_e32 v3, v33, v2
	v_and_b32_sdwa v4, v4, v35 dst_sel:DWORD dst_unused:UNUSED_PAD src0_sel:DWORD src1_sel:WORD_1
	v_add_u32_e32 v3, 10, v3
	v_cmp_eq_u32_e32 vcc, 1, v4
	v_cndmask_b32_e32 v2, v3, v2, vcc
	v_lshlrev_b32_e32 v2, 2, v2
	ds_write_b32 v2, v20
	v_sub_u32_e32 v2, v13, v19
	v_sub_u32_e32 v3, v33, v2
	v_and_b32_e32 v4, 1, v38
	v_add_u32_e32 v3, 11, v3
	v_cmp_eq_u32_e32 vcc, 1, v4
	v_cndmask_b32_e32 v2, v3, v2, vcc
	v_lshlrev_b32_e32 v2, 2, v2
	ds_write_b32 v2, v21
	v_sub_u32_e32 v2, v14, v19
	v_sub_u32_e32 v3, v33, v2
	v_and_b32_e32 v4, 1, v34
	v_add_u32_e32 v3, 12, v3
	v_cmp_eq_u32_e32 vcc, 1, v4
	v_cndmask_b32_e32 v2, v3, v2, vcc
	s_add_u32 s2, s28, s42
	v_lshlrev_b32_e32 v2, 2, v2
	s_addc_u32 s3, s29, 0
	ds_write_b32 v2, v32
	s_waitcnt lgkmcnt(0)
	s_barrier
	ds_read2st64_b32 v[12:13], v1 offset1:4
	ds_read2st64_b32 v[10:11], v1 offset0:8 offset1:12
	ds_read2st64_b32 v[8:9], v1 offset0:16 offset1:20
	;; [unrolled: 1-line block ×5, first 2 shown]
	ds_read_b32 v17, v1 offset:12288
	v_mov_b32_e32 v14, s31
	v_add_co_u32_e32 v1, vcc, s30, v19
	s_sub_u32 s2, s26, s2
	v_addc_co_u32_e32 v16, vcc, 0, v14, vcc
	s_subb_u32 s3, s27, s3
	v_mov_b32_e32 v14, s3
	v_add_co_u32_e32 v15, vcc, s2, v18
	v_addc_co_u32_e32 v14, vcc, 0, v14, vcc
	s_and_b64 vcc, exec, s[0:1]
	v_add_co_u32_e64 v19, s[0:1], v15, v1
	v_or_b32_e32 v32, 0x100, v0
	v_or_b32_e32 v31, 0x200, v0
	;; [unrolled: 1-line block ×12, first 2 shown]
	v_addc_co_u32_e64 v21, s[0:1], v14, v16, s[0:1]
	s_cbranch_vccnz .LBB983_126
; %bb.73:
	v_cmp_ge_u32_e32 vcc, v0, v18
                                        ; implicit-def: $vgpr14_vgpr15
	s_and_saveexec_b64 s[0:1], vcc
	s_xor_b64 s[0:1], exec, s[0:1]
; %bb.74:
	v_not_b32_e32 v14, v0
	v_ashrrev_i32_e32 v15, 31, v14
	v_add_co_u32_e32 v14, vcc, v19, v14
	v_addc_co_u32_e32 v15, vcc, v21, v15, vcc
; %bb.75:
	s_andn2_saveexec_b64 s[0:1], s[0:1]
; %bb.76:
	v_add_co_u32_e32 v14, vcc, v1, v0
	v_addc_co_u32_e32 v15, vcc, 0, v16, vcc
; %bb.77:
	s_or_b64 exec, exec, s[0:1]
	v_lshlrev_b64 v[14:15], 2, v[14:15]
	v_mov_b32_e32 v33, s25
	v_add_co_u32_e32 v14, vcc, s24, v14
	v_addc_co_u32_e32 v15, vcc, v33, v15, vcc
	v_cmp_ge_u32_e32 vcc, v32, v18
	s_waitcnt lgkmcnt(6)
	global_store_dword v[14:15], v12, off
                                        ; implicit-def: $vgpr14_vgpr15
	s_and_saveexec_b64 s[0:1], vcc
	s_xor_b64 s[0:1], exec, s[0:1]
; %bb.78:
	v_xor_b32_e32 v14, 0xfffffeff, v0
	v_ashrrev_i32_e32 v15, 31, v14
	v_add_co_u32_e32 v14, vcc, v19, v14
	v_addc_co_u32_e32 v15, vcc, v21, v15, vcc
; %bb.79:
	s_andn2_saveexec_b64 s[0:1], s[0:1]
; %bb.80:
	v_add_co_u32_e32 v14, vcc, v1, v32
	v_addc_co_u32_e32 v15, vcc, 0, v16, vcc
; %bb.81:
	s_or_b64 exec, exec, s[0:1]
	v_lshlrev_b64 v[14:15], 2, v[14:15]
	v_mov_b32_e32 v33, s25
	v_add_co_u32_e32 v14, vcc, s24, v14
	v_addc_co_u32_e32 v15, vcc, v33, v15, vcc
	v_cmp_ge_u32_e32 vcc, v31, v18
	global_store_dword v[14:15], v13, off
                                        ; implicit-def: $vgpr14_vgpr15
	s_and_saveexec_b64 s[0:1], vcc
	s_xor_b64 s[0:1], exec, s[0:1]
; %bb.82:
	v_xor_b32_e32 v14, 0xfffffdff, v0
	v_ashrrev_i32_e32 v15, 31, v14
	v_add_co_u32_e32 v14, vcc, v19, v14
	v_addc_co_u32_e32 v15, vcc, v21, v15, vcc
; %bb.83:
	s_andn2_saveexec_b64 s[0:1], s[0:1]
; %bb.84:
	v_add_co_u32_e32 v14, vcc, v1, v31
	v_addc_co_u32_e32 v15, vcc, 0, v16, vcc
; %bb.85:
	s_or_b64 exec, exec, s[0:1]
	v_lshlrev_b64 v[14:15], 2, v[14:15]
	v_mov_b32_e32 v33, s25
	v_add_co_u32_e32 v14, vcc, s24, v14
	v_addc_co_u32_e32 v15, vcc, v33, v15, vcc
	v_cmp_ge_u32_e32 vcc, v30, v18
	s_waitcnt lgkmcnt(5)
	global_store_dword v[14:15], v10, off
                                        ; implicit-def: $vgpr14_vgpr15
	s_and_saveexec_b64 s[0:1], vcc
	s_xor_b64 s[0:1], exec, s[0:1]
; %bb.86:
	v_xor_b32_e32 v14, 0xfffffcff, v0
	v_ashrrev_i32_e32 v15, 31, v14
	v_add_co_u32_e32 v14, vcc, v19, v14
	v_addc_co_u32_e32 v15, vcc, v21, v15, vcc
; %bb.87:
	s_andn2_saveexec_b64 s[0:1], s[0:1]
; %bb.88:
	v_add_co_u32_e32 v14, vcc, v1, v30
	v_addc_co_u32_e32 v15, vcc, 0, v16, vcc
; %bb.89:
	s_or_b64 exec, exec, s[0:1]
	v_lshlrev_b64 v[14:15], 2, v[14:15]
	v_mov_b32_e32 v33, s25
	v_add_co_u32_e32 v14, vcc, s24, v14
	v_addc_co_u32_e32 v15, vcc, v33, v15, vcc
	v_cmp_ge_u32_e32 vcc, v29, v18
	global_store_dword v[14:15], v11, off
                                        ; implicit-def: $vgpr14_vgpr15
	s_and_saveexec_b64 s[0:1], vcc
	s_xor_b64 s[0:1], exec, s[0:1]
; %bb.90:
	v_xor_b32_e32 v14, 0xfffffbff, v0
	v_ashrrev_i32_e32 v15, 31, v14
	v_add_co_u32_e32 v14, vcc, v19, v14
	v_addc_co_u32_e32 v15, vcc, v21, v15, vcc
; %bb.91:
	s_andn2_saveexec_b64 s[0:1], s[0:1]
; %bb.92:
	v_add_co_u32_e32 v14, vcc, v1, v29
	v_addc_co_u32_e32 v15, vcc, 0, v16, vcc
; %bb.93:
	s_or_b64 exec, exec, s[0:1]
	v_lshlrev_b64 v[14:15], 2, v[14:15]
	v_mov_b32_e32 v33, s25
	v_add_co_u32_e32 v14, vcc, s24, v14
	v_addc_co_u32_e32 v15, vcc, v33, v15, vcc
	v_cmp_ge_u32_e32 vcc, v28, v18
	s_waitcnt lgkmcnt(4)
	global_store_dword v[14:15], v8, off
                                        ; implicit-def: $vgpr14_vgpr15
	s_and_saveexec_b64 s[0:1], vcc
	s_xor_b64 s[0:1], exec, s[0:1]
; %bb.94:
	v_xor_b32_e32 v14, 0xfffffaff, v0
	v_ashrrev_i32_e32 v15, 31, v14
	v_add_co_u32_e32 v14, vcc, v19, v14
	v_addc_co_u32_e32 v15, vcc, v21, v15, vcc
; %bb.95:
	s_andn2_saveexec_b64 s[0:1], s[0:1]
; %bb.96:
	v_add_co_u32_e32 v14, vcc, v1, v28
	v_addc_co_u32_e32 v15, vcc, 0, v16, vcc
; %bb.97:
	s_or_b64 exec, exec, s[0:1]
	v_lshlrev_b64 v[14:15], 2, v[14:15]
	v_mov_b32_e32 v33, s25
	v_add_co_u32_e32 v14, vcc, s24, v14
	v_addc_co_u32_e32 v15, vcc, v33, v15, vcc
	v_cmp_ge_u32_e32 vcc, v27, v18
	global_store_dword v[14:15], v9, off
                                        ; implicit-def: $vgpr14_vgpr15
	s_and_saveexec_b64 s[0:1], vcc
	s_xor_b64 s[0:1], exec, s[0:1]
; %bb.98:
	v_xor_b32_e32 v14, 0xfffff9ff, v0
	v_ashrrev_i32_e32 v15, 31, v14
	v_add_co_u32_e32 v14, vcc, v19, v14
	v_addc_co_u32_e32 v15, vcc, v21, v15, vcc
; %bb.99:
	s_andn2_saveexec_b64 s[0:1], s[0:1]
; %bb.100:
	v_add_co_u32_e32 v14, vcc, v1, v27
	v_addc_co_u32_e32 v15, vcc, 0, v16, vcc
; %bb.101:
	s_or_b64 exec, exec, s[0:1]
	v_lshlrev_b64 v[14:15], 2, v[14:15]
	v_mov_b32_e32 v33, s25
	v_add_co_u32_e32 v14, vcc, s24, v14
	v_addc_co_u32_e32 v15, vcc, v33, v15, vcc
	v_cmp_ge_u32_e32 vcc, v26, v18
	s_waitcnt lgkmcnt(3)
	global_store_dword v[14:15], v6, off
                                        ; implicit-def: $vgpr14_vgpr15
	s_and_saveexec_b64 s[0:1], vcc
	s_xor_b64 s[0:1], exec, s[0:1]
; %bb.102:
	v_xor_b32_e32 v14, 0xfffff8ff, v0
	v_ashrrev_i32_e32 v15, 31, v14
	v_add_co_u32_e32 v14, vcc, v19, v14
	v_addc_co_u32_e32 v15, vcc, v21, v15, vcc
; %bb.103:
	s_andn2_saveexec_b64 s[0:1], s[0:1]
; %bb.104:
	v_add_co_u32_e32 v14, vcc, v1, v26
	v_addc_co_u32_e32 v15, vcc, 0, v16, vcc
; %bb.105:
	s_or_b64 exec, exec, s[0:1]
	v_lshlrev_b64 v[14:15], 2, v[14:15]
	v_mov_b32_e32 v33, s25
	v_add_co_u32_e32 v14, vcc, s24, v14
	v_addc_co_u32_e32 v15, vcc, v33, v15, vcc
	v_cmp_ge_u32_e32 vcc, v25, v18
	global_store_dword v[14:15], v7, off
                                        ; implicit-def: $vgpr14_vgpr15
	s_and_saveexec_b64 s[0:1], vcc
	s_xor_b64 s[0:1], exec, s[0:1]
; %bb.106:
	v_xor_b32_e32 v14, 0xfffff7ff, v0
	v_ashrrev_i32_e32 v15, 31, v14
	v_add_co_u32_e32 v14, vcc, v19, v14
	v_addc_co_u32_e32 v15, vcc, v21, v15, vcc
; %bb.107:
	s_andn2_saveexec_b64 s[0:1], s[0:1]
; %bb.108:
	v_add_co_u32_e32 v14, vcc, v1, v25
	v_addc_co_u32_e32 v15, vcc, 0, v16, vcc
; %bb.109:
	s_or_b64 exec, exec, s[0:1]
	v_lshlrev_b64 v[14:15], 2, v[14:15]
	v_mov_b32_e32 v33, s25
	v_add_co_u32_e32 v14, vcc, s24, v14
	v_addc_co_u32_e32 v15, vcc, v33, v15, vcc
	v_cmp_ge_u32_e32 vcc, v24, v18
	s_waitcnt lgkmcnt(2)
	global_store_dword v[14:15], v4, off
                                        ; implicit-def: $vgpr14_vgpr15
	s_and_saveexec_b64 s[0:1], vcc
	s_xor_b64 s[0:1], exec, s[0:1]
; %bb.110:
	v_xor_b32_e32 v14, 0xfffff6ff, v0
	v_ashrrev_i32_e32 v15, 31, v14
	v_add_co_u32_e32 v14, vcc, v19, v14
	v_addc_co_u32_e32 v15, vcc, v21, v15, vcc
; %bb.111:
	s_andn2_saveexec_b64 s[0:1], s[0:1]
; %bb.112:
	v_add_co_u32_e32 v14, vcc, v1, v24
	v_addc_co_u32_e32 v15, vcc, 0, v16, vcc
; %bb.113:
	s_or_b64 exec, exec, s[0:1]
	v_lshlrev_b64 v[14:15], 2, v[14:15]
	v_mov_b32_e32 v33, s25
	v_add_co_u32_e32 v14, vcc, s24, v14
	v_addc_co_u32_e32 v15, vcc, v33, v15, vcc
	v_cmp_ge_u32_e32 vcc, v23, v18
	global_store_dword v[14:15], v5, off
                                        ; implicit-def: $vgpr14_vgpr15
	s_and_saveexec_b64 s[0:1], vcc
	s_xor_b64 s[0:1], exec, s[0:1]
; %bb.114:
	v_xor_b32_e32 v14, 0xfffff5ff, v0
	v_ashrrev_i32_e32 v15, 31, v14
	v_add_co_u32_e32 v14, vcc, v19, v14
	v_addc_co_u32_e32 v15, vcc, v21, v15, vcc
; %bb.115:
	s_andn2_saveexec_b64 s[0:1], s[0:1]
; %bb.116:
	v_add_co_u32_e32 v14, vcc, v1, v23
	v_addc_co_u32_e32 v15, vcc, 0, v16, vcc
; %bb.117:
	s_or_b64 exec, exec, s[0:1]
	v_lshlrev_b64 v[14:15], 2, v[14:15]
	v_mov_b32_e32 v33, s25
	v_add_co_u32_e32 v14, vcc, s24, v14
	v_addc_co_u32_e32 v15, vcc, v33, v15, vcc
	v_cmp_ge_u32_e32 vcc, v22, v18
	s_waitcnt lgkmcnt(1)
	global_store_dword v[14:15], v2, off
                                        ; implicit-def: $vgpr14_vgpr15
	s_and_saveexec_b64 s[0:1], vcc
	s_xor_b64 s[0:1], exec, s[0:1]
; %bb.118:
	v_xor_b32_e32 v14, 0xfffff4ff, v0
	v_ashrrev_i32_e32 v15, 31, v14
	v_add_co_u32_e32 v14, vcc, v19, v14
	v_addc_co_u32_e32 v15, vcc, v21, v15, vcc
; %bb.119:
	s_andn2_saveexec_b64 s[0:1], s[0:1]
; %bb.120:
	v_add_co_u32_e32 v14, vcc, v1, v22
	v_addc_co_u32_e32 v15, vcc, 0, v16, vcc
; %bb.121:
	s_or_b64 exec, exec, s[0:1]
	v_lshlrev_b64 v[14:15], 2, v[14:15]
	v_mov_b32_e32 v33, s25
	v_add_co_u32_e32 v14, vcc, s24, v14
	v_addc_co_u32_e32 v15, vcc, v33, v15, vcc
	v_cmp_ge_u32_e32 vcc, v20, v18
	global_store_dword v[14:15], v3, off
                                        ; implicit-def: $vgpr14_vgpr15
	s_and_saveexec_b64 s[0:1], vcc
	s_xor_b64 s[0:1], exec, s[0:1]
; %bb.122:
	v_xor_b32_e32 v14, 0xfffff3ff, v0
	v_ashrrev_i32_e32 v15, 31, v14
	v_add_co_u32_e32 v14, vcc, v19, v14
	v_addc_co_u32_e32 v15, vcc, v21, v15, vcc
; %bb.123:
	s_andn2_saveexec_b64 s[0:1], s[0:1]
; %bb.124:
	v_add_co_u32_e32 v14, vcc, v1, v20
	v_addc_co_u32_e32 v15, vcc, 0, v16, vcc
; %bb.125:
	s_or_b64 exec, exec, s[0:1]
	s_mov_b64 s[0:1], -1
	s_branch .LBB983_206
.LBB983_126:
	s_mov_b64 s[0:1], 0
                                        ; implicit-def: $vgpr14_vgpr15
	s_cbranch_execz .LBB983_206
; %bb.127:
	v_cmp_gt_u32_e32 vcc, s33, v0
	s_and_saveexec_b64 s[2:3], vcc
	s_cbranch_execz .LBB983_163
; %bb.128:
	v_cmp_ge_u32_e32 vcc, v0, v18
                                        ; implicit-def: $vgpr14_vgpr15
	s_and_saveexec_b64 s[4:5], vcc
	s_xor_b64 s[4:5], exec, s[4:5]
; %bb.129:
	v_not_b32_e32 v14, v0
	v_ashrrev_i32_e32 v15, 31, v14
	v_add_co_u32_e32 v14, vcc, v19, v14
	v_addc_co_u32_e32 v15, vcc, v21, v15, vcc
; %bb.130:
	s_andn2_saveexec_b64 s[4:5], s[4:5]
; %bb.131:
	v_add_co_u32_e32 v14, vcc, v1, v0
	v_addc_co_u32_e32 v15, vcc, 0, v16, vcc
; %bb.132:
	s_or_b64 exec, exec, s[4:5]
	v_lshlrev_b64 v[14:15], 2, v[14:15]
	v_mov_b32_e32 v33, s25
	v_add_co_u32_e32 v14, vcc, s24, v14
	v_addc_co_u32_e32 v15, vcc, v33, v15, vcc
	s_waitcnt lgkmcnt(6)
	global_store_dword v[14:15], v12, off
	s_or_b64 exec, exec, s[2:3]
	v_cmp_gt_u32_e32 vcc, s33, v32
	s_and_saveexec_b64 s[2:3], vcc
	s_cbranch_execnz .LBB983_164
.LBB983_133:
	s_or_b64 exec, exec, s[2:3]
	v_cmp_gt_u32_e32 vcc, s33, v31
	s_and_saveexec_b64 s[2:3], vcc
	s_cbranch_execz .LBB983_169
.LBB983_134:
	v_cmp_ge_u32_e32 vcc, v31, v18
                                        ; implicit-def: $vgpr12_vgpr13
	s_and_saveexec_b64 s[4:5], vcc
	s_xor_b64 s[4:5], exec, s[4:5]
	s_cbranch_execz .LBB983_136
; %bb.135:
	s_waitcnt lgkmcnt(6)
	v_xor_b32_e32 v12, 0xfffffdff, v0
	v_ashrrev_i32_e32 v13, 31, v12
	v_add_co_u32_e32 v12, vcc, v19, v12
	v_addc_co_u32_e32 v13, vcc, v21, v13, vcc
                                        ; implicit-def: $vgpr31
.LBB983_136:
	s_andn2_saveexec_b64 s[4:5], s[4:5]
	s_cbranch_execz .LBB983_138
; %bb.137:
	s_waitcnt lgkmcnt(6)
	v_add_co_u32_e32 v12, vcc, v1, v31
	v_addc_co_u32_e32 v13, vcc, 0, v16, vcc
.LBB983_138:
	s_or_b64 exec, exec, s[4:5]
	s_waitcnt lgkmcnt(6)
	v_lshlrev_b64 v[12:13], 2, v[12:13]
	v_mov_b32_e32 v14, s25
	v_add_co_u32_e32 v12, vcc, s24, v12
	v_addc_co_u32_e32 v13, vcc, v14, v13, vcc
	s_waitcnt lgkmcnt(5)
	global_store_dword v[12:13], v10, off
	s_or_b64 exec, exec, s[2:3]
	v_cmp_gt_u32_e32 vcc, s33, v30
	s_and_saveexec_b64 s[2:3], vcc
	s_cbranch_execnz .LBB983_170
.LBB983_139:
	s_or_b64 exec, exec, s[2:3]
	v_cmp_gt_u32_e32 vcc, s33, v29
	s_and_saveexec_b64 s[2:3], vcc
	s_cbranch_execz .LBB983_175
.LBB983_140:
	v_cmp_ge_u32_e32 vcc, v29, v18
                                        ; implicit-def: $vgpr10_vgpr11
	s_and_saveexec_b64 s[4:5], vcc
	s_xor_b64 s[4:5], exec, s[4:5]
	s_cbranch_execz .LBB983_142
; %bb.141:
	s_waitcnt lgkmcnt(5)
	v_xor_b32_e32 v10, 0xfffffbff, v0
	v_ashrrev_i32_e32 v11, 31, v10
	v_add_co_u32_e32 v10, vcc, v19, v10
	v_addc_co_u32_e32 v11, vcc, v21, v11, vcc
                                        ; implicit-def: $vgpr29
.LBB983_142:
	s_andn2_saveexec_b64 s[4:5], s[4:5]
	s_cbranch_execz .LBB983_144
; %bb.143:
	s_waitcnt lgkmcnt(5)
	v_add_co_u32_e32 v10, vcc, v1, v29
	v_addc_co_u32_e32 v11, vcc, 0, v16, vcc
.LBB983_144:
	s_or_b64 exec, exec, s[4:5]
	s_waitcnt lgkmcnt(5)
	v_lshlrev_b64 v[10:11], 2, v[10:11]
	v_mov_b32_e32 v12, s25
	v_add_co_u32_e32 v10, vcc, s24, v10
	v_addc_co_u32_e32 v11, vcc, v12, v11, vcc
	s_waitcnt lgkmcnt(4)
	global_store_dword v[10:11], v8, off
	s_or_b64 exec, exec, s[2:3]
	v_cmp_gt_u32_e32 vcc, s33, v28
	s_and_saveexec_b64 s[2:3], vcc
	s_cbranch_execnz .LBB983_176
.LBB983_145:
	s_or_b64 exec, exec, s[2:3]
	v_cmp_gt_u32_e32 vcc, s33, v27
	s_and_saveexec_b64 s[2:3], vcc
	s_cbranch_execz .LBB983_181
.LBB983_146:
	v_cmp_ge_u32_e32 vcc, v27, v18
                                        ; implicit-def: $vgpr8_vgpr9
	s_and_saveexec_b64 s[4:5], vcc
	s_xor_b64 s[4:5], exec, s[4:5]
	s_cbranch_execz .LBB983_148
; %bb.147:
	s_waitcnt lgkmcnt(4)
	v_xor_b32_e32 v8, 0xfffff9ff, v0
	v_ashrrev_i32_e32 v9, 31, v8
	v_add_co_u32_e32 v8, vcc, v19, v8
	v_addc_co_u32_e32 v9, vcc, v21, v9, vcc
                                        ; implicit-def: $vgpr27
.LBB983_148:
	s_andn2_saveexec_b64 s[4:5], s[4:5]
	s_cbranch_execz .LBB983_150
; %bb.149:
	s_waitcnt lgkmcnt(4)
	v_add_co_u32_e32 v8, vcc, v1, v27
	v_addc_co_u32_e32 v9, vcc, 0, v16, vcc
.LBB983_150:
	s_or_b64 exec, exec, s[4:5]
	s_waitcnt lgkmcnt(4)
	v_lshlrev_b64 v[8:9], 2, v[8:9]
	v_mov_b32_e32 v10, s25
	v_add_co_u32_e32 v8, vcc, s24, v8
	v_addc_co_u32_e32 v9, vcc, v10, v9, vcc
	s_waitcnt lgkmcnt(3)
	global_store_dword v[8:9], v6, off
	s_or_b64 exec, exec, s[2:3]
	v_cmp_gt_u32_e32 vcc, s33, v26
	s_and_saveexec_b64 s[2:3], vcc
	s_cbranch_execnz .LBB983_182
.LBB983_151:
	s_or_b64 exec, exec, s[2:3]
	v_cmp_gt_u32_e32 vcc, s33, v25
	s_and_saveexec_b64 s[2:3], vcc
	s_cbranch_execz .LBB983_187
.LBB983_152:
	v_cmp_ge_u32_e32 vcc, v25, v18
                                        ; implicit-def: $vgpr6_vgpr7
	s_and_saveexec_b64 s[4:5], vcc
	s_xor_b64 s[4:5], exec, s[4:5]
	s_cbranch_execz .LBB983_154
; %bb.153:
	s_waitcnt lgkmcnt(3)
	v_xor_b32_e32 v6, 0xfffff7ff, v0
	v_ashrrev_i32_e32 v7, 31, v6
	v_add_co_u32_e32 v6, vcc, v19, v6
	v_addc_co_u32_e32 v7, vcc, v21, v7, vcc
                                        ; implicit-def: $vgpr25
.LBB983_154:
	s_andn2_saveexec_b64 s[4:5], s[4:5]
	s_cbranch_execz .LBB983_156
; %bb.155:
	s_waitcnt lgkmcnt(3)
	v_add_co_u32_e32 v6, vcc, v1, v25
	v_addc_co_u32_e32 v7, vcc, 0, v16, vcc
.LBB983_156:
	s_or_b64 exec, exec, s[4:5]
	s_waitcnt lgkmcnt(3)
	v_lshlrev_b64 v[6:7], 2, v[6:7]
	v_mov_b32_e32 v8, s25
	v_add_co_u32_e32 v6, vcc, s24, v6
	v_addc_co_u32_e32 v7, vcc, v8, v7, vcc
	s_waitcnt lgkmcnt(2)
	global_store_dword v[6:7], v4, off
	s_or_b64 exec, exec, s[2:3]
	v_cmp_gt_u32_e32 vcc, s33, v24
	s_and_saveexec_b64 s[2:3], vcc
	s_cbranch_execnz .LBB983_188
.LBB983_157:
	s_or_b64 exec, exec, s[2:3]
	v_cmp_gt_u32_e32 vcc, s33, v23
	s_and_saveexec_b64 s[2:3], vcc
	s_cbranch_execz .LBB983_193
.LBB983_158:
	v_cmp_ge_u32_e32 vcc, v23, v18
                                        ; implicit-def: $vgpr4_vgpr5
	s_and_saveexec_b64 s[4:5], vcc
	s_xor_b64 s[4:5], exec, s[4:5]
	s_cbranch_execz .LBB983_160
; %bb.159:
	s_waitcnt lgkmcnt(2)
	v_xor_b32_e32 v4, 0xfffff5ff, v0
	v_ashrrev_i32_e32 v5, 31, v4
	v_add_co_u32_e32 v4, vcc, v19, v4
	v_addc_co_u32_e32 v5, vcc, v21, v5, vcc
                                        ; implicit-def: $vgpr23
.LBB983_160:
	s_andn2_saveexec_b64 s[4:5], s[4:5]
	s_cbranch_execz .LBB983_162
; %bb.161:
	s_waitcnt lgkmcnt(2)
	v_add_co_u32_e32 v4, vcc, v1, v23
	v_addc_co_u32_e32 v5, vcc, 0, v16, vcc
.LBB983_162:
	s_or_b64 exec, exec, s[4:5]
	s_waitcnt lgkmcnt(2)
	v_lshlrev_b64 v[4:5], 2, v[4:5]
	v_mov_b32_e32 v6, s25
	v_add_co_u32_e32 v4, vcc, s24, v4
	v_addc_co_u32_e32 v5, vcc, v6, v5, vcc
	s_waitcnt lgkmcnt(1)
	global_store_dword v[4:5], v2, off
	s_or_b64 exec, exec, s[2:3]
	v_cmp_gt_u32_e32 vcc, s33, v22
	s_and_saveexec_b64 s[2:3], vcc
	s_cbranch_execz .LBB983_199
	s_branch .LBB983_194
.LBB983_163:
	s_or_b64 exec, exec, s[2:3]
	v_cmp_gt_u32_e32 vcc, s33, v32
	s_and_saveexec_b64 s[2:3], vcc
	s_cbranch_execz .LBB983_133
.LBB983_164:
	v_cmp_ge_u32_e32 vcc, v32, v18
                                        ; implicit-def: $vgpr14_vgpr15
	s_and_saveexec_b64 s[4:5], vcc
	s_xor_b64 s[4:5], exec, s[4:5]
	s_cbranch_execz .LBB983_166
; %bb.165:
	s_waitcnt lgkmcnt(6)
	v_xor_b32_e32 v12, 0xfffffeff, v0
	v_ashrrev_i32_e32 v15, 31, v12
	v_add_co_u32_e32 v14, vcc, v19, v12
	v_addc_co_u32_e32 v15, vcc, v21, v15, vcc
                                        ; implicit-def: $vgpr32
.LBB983_166:
	s_andn2_saveexec_b64 s[4:5], s[4:5]
; %bb.167:
	v_add_co_u32_e32 v14, vcc, v1, v32
	v_addc_co_u32_e32 v15, vcc, 0, v16, vcc
; %bb.168:
	s_or_b64 exec, exec, s[4:5]
	v_lshlrev_b64 v[14:15], 2, v[14:15]
	s_waitcnt lgkmcnt(6)
	v_mov_b32_e32 v12, s25
	v_add_co_u32_e32 v14, vcc, s24, v14
	v_addc_co_u32_e32 v15, vcc, v12, v15, vcc
	global_store_dword v[14:15], v13, off
	s_or_b64 exec, exec, s[2:3]
	v_cmp_gt_u32_e32 vcc, s33, v31
	s_and_saveexec_b64 s[2:3], vcc
	s_cbranch_execnz .LBB983_134
.LBB983_169:
	s_or_b64 exec, exec, s[2:3]
	v_cmp_gt_u32_e32 vcc, s33, v30
	s_and_saveexec_b64 s[2:3], vcc
	s_cbranch_execz .LBB983_139
.LBB983_170:
	v_cmp_ge_u32_e32 vcc, v30, v18
                                        ; implicit-def: $vgpr12_vgpr13
	s_and_saveexec_b64 s[4:5], vcc
	s_xor_b64 s[4:5], exec, s[4:5]
	s_cbranch_execz .LBB983_172
; %bb.171:
	s_waitcnt lgkmcnt(5)
	v_xor_b32_e32 v10, 0xfffffcff, v0
	v_ashrrev_i32_e32 v13, 31, v10
	v_add_co_u32_e32 v12, vcc, v19, v10
	v_addc_co_u32_e32 v13, vcc, v21, v13, vcc
                                        ; implicit-def: $vgpr30
.LBB983_172:
	s_andn2_saveexec_b64 s[4:5], s[4:5]
	s_cbranch_execz .LBB983_174
; %bb.173:
	s_waitcnt lgkmcnt(6)
	v_add_co_u32_e32 v12, vcc, v1, v30
	v_addc_co_u32_e32 v13, vcc, 0, v16, vcc
.LBB983_174:
	s_or_b64 exec, exec, s[4:5]
	s_waitcnt lgkmcnt(6)
	v_lshlrev_b64 v[12:13], 2, v[12:13]
	s_waitcnt lgkmcnt(5)
	v_mov_b32_e32 v10, s25
	v_add_co_u32_e32 v12, vcc, s24, v12
	v_addc_co_u32_e32 v13, vcc, v10, v13, vcc
	global_store_dword v[12:13], v11, off
	s_or_b64 exec, exec, s[2:3]
	v_cmp_gt_u32_e32 vcc, s33, v29
	s_and_saveexec_b64 s[2:3], vcc
	s_cbranch_execnz .LBB983_140
.LBB983_175:
	s_or_b64 exec, exec, s[2:3]
	v_cmp_gt_u32_e32 vcc, s33, v28
	s_and_saveexec_b64 s[2:3], vcc
	s_cbranch_execz .LBB983_145
.LBB983_176:
	v_cmp_ge_u32_e32 vcc, v28, v18
                                        ; implicit-def: $vgpr10_vgpr11
	s_and_saveexec_b64 s[4:5], vcc
	s_xor_b64 s[4:5], exec, s[4:5]
	s_cbranch_execz .LBB983_178
; %bb.177:
	s_waitcnt lgkmcnt(4)
	v_xor_b32_e32 v8, 0xfffffaff, v0
	v_ashrrev_i32_e32 v11, 31, v8
	v_add_co_u32_e32 v10, vcc, v19, v8
	v_addc_co_u32_e32 v11, vcc, v21, v11, vcc
                                        ; implicit-def: $vgpr28
.LBB983_178:
	s_andn2_saveexec_b64 s[4:5], s[4:5]
	s_cbranch_execz .LBB983_180
; %bb.179:
	s_waitcnt lgkmcnt(5)
	v_add_co_u32_e32 v10, vcc, v1, v28
	v_addc_co_u32_e32 v11, vcc, 0, v16, vcc
.LBB983_180:
	s_or_b64 exec, exec, s[4:5]
	s_waitcnt lgkmcnt(5)
	v_lshlrev_b64 v[10:11], 2, v[10:11]
	s_waitcnt lgkmcnt(4)
	v_mov_b32_e32 v8, s25
	v_add_co_u32_e32 v10, vcc, s24, v10
	v_addc_co_u32_e32 v11, vcc, v8, v11, vcc
	global_store_dword v[10:11], v9, off
	s_or_b64 exec, exec, s[2:3]
	v_cmp_gt_u32_e32 vcc, s33, v27
	s_and_saveexec_b64 s[2:3], vcc
	s_cbranch_execnz .LBB983_146
.LBB983_181:
	s_or_b64 exec, exec, s[2:3]
	v_cmp_gt_u32_e32 vcc, s33, v26
	s_and_saveexec_b64 s[2:3], vcc
	s_cbranch_execz .LBB983_151
.LBB983_182:
	v_cmp_ge_u32_e32 vcc, v26, v18
                                        ; implicit-def: $vgpr8_vgpr9
	s_and_saveexec_b64 s[4:5], vcc
	s_xor_b64 s[4:5], exec, s[4:5]
	s_cbranch_execz .LBB983_184
; %bb.183:
	s_waitcnt lgkmcnt(3)
	v_xor_b32_e32 v6, 0xfffff8ff, v0
	v_ashrrev_i32_e32 v9, 31, v6
	v_add_co_u32_e32 v8, vcc, v19, v6
	v_addc_co_u32_e32 v9, vcc, v21, v9, vcc
                                        ; implicit-def: $vgpr26
.LBB983_184:
	s_andn2_saveexec_b64 s[4:5], s[4:5]
	s_cbranch_execz .LBB983_186
; %bb.185:
	s_waitcnt lgkmcnt(4)
	v_add_co_u32_e32 v8, vcc, v1, v26
	v_addc_co_u32_e32 v9, vcc, 0, v16, vcc
.LBB983_186:
	s_or_b64 exec, exec, s[4:5]
	s_waitcnt lgkmcnt(4)
	v_lshlrev_b64 v[8:9], 2, v[8:9]
	s_waitcnt lgkmcnt(3)
	v_mov_b32_e32 v6, s25
	v_add_co_u32_e32 v8, vcc, s24, v8
	v_addc_co_u32_e32 v9, vcc, v6, v9, vcc
	global_store_dword v[8:9], v7, off
	s_or_b64 exec, exec, s[2:3]
	v_cmp_gt_u32_e32 vcc, s33, v25
	s_and_saveexec_b64 s[2:3], vcc
	s_cbranch_execnz .LBB983_152
.LBB983_187:
	s_or_b64 exec, exec, s[2:3]
	v_cmp_gt_u32_e32 vcc, s33, v24
	s_and_saveexec_b64 s[2:3], vcc
	s_cbranch_execz .LBB983_157
.LBB983_188:
	v_cmp_ge_u32_e32 vcc, v24, v18
                                        ; implicit-def: $vgpr6_vgpr7
	s_and_saveexec_b64 s[4:5], vcc
	s_xor_b64 s[4:5], exec, s[4:5]
	s_cbranch_execz .LBB983_190
; %bb.189:
	s_waitcnt lgkmcnt(2)
	v_xor_b32_e32 v4, 0xfffff6ff, v0
	v_ashrrev_i32_e32 v7, 31, v4
	v_add_co_u32_e32 v6, vcc, v19, v4
	v_addc_co_u32_e32 v7, vcc, v21, v7, vcc
                                        ; implicit-def: $vgpr24
.LBB983_190:
	s_andn2_saveexec_b64 s[4:5], s[4:5]
	s_cbranch_execz .LBB983_192
; %bb.191:
	s_waitcnt lgkmcnt(3)
	v_add_co_u32_e32 v6, vcc, v1, v24
	v_addc_co_u32_e32 v7, vcc, 0, v16, vcc
.LBB983_192:
	s_or_b64 exec, exec, s[4:5]
	s_waitcnt lgkmcnt(3)
	v_lshlrev_b64 v[6:7], 2, v[6:7]
	s_waitcnt lgkmcnt(2)
	v_mov_b32_e32 v4, s25
	v_add_co_u32_e32 v6, vcc, s24, v6
	v_addc_co_u32_e32 v7, vcc, v4, v7, vcc
	global_store_dword v[6:7], v5, off
	s_or_b64 exec, exec, s[2:3]
	v_cmp_gt_u32_e32 vcc, s33, v23
	s_and_saveexec_b64 s[2:3], vcc
	s_cbranch_execnz .LBB983_158
.LBB983_193:
	s_or_b64 exec, exec, s[2:3]
	v_cmp_gt_u32_e32 vcc, s33, v22
	s_and_saveexec_b64 s[2:3], vcc
	s_cbranch_execz .LBB983_199
.LBB983_194:
	v_cmp_ge_u32_e32 vcc, v22, v18
                                        ; implicit-def: $vgpr4_vgpr5
	s_and_saveexec_b64 s[4:5], vcc
	s_xor_b64 s[4:5], exec, s[4:5]
	s_cbranch_execz .LBB983_196
; %bb.195:
	s_waitcnt lgkmcnt(1)
	v_xor_b32_e32 v2, 0xfffff4ff, v0
	v_ashrrev_i32_e32 v5, 31, v2
	v_add_co_u32_e32 v4, vcc, v19, v2
	v_addc_co_u32_e32 v5, vcc, v21, v5, vcc
                                        ; implicit-def: $vgpr22
.LBB983_196:
	s_andn2_saveexec_b64 s[4:5], s[4:5]
	s_cbranch_execz .LBB983_198
; %bb.197:
	s_waitcnt lgkmcnt(2)
	v_add_co_u32_e32 v4, vcc, v1, v22
	v_addc_co_u32_e32 v5, vcc, 0, v16, vcc
.LBB983_198:
	s_or_b64 exec, exec, s[4:5]
	s_waitcnt lgkmcnt(2)
	v_lshlrev_b64 v[4:5], 2, v[4:5]
	s_waitcnt lgkmcnt(1)
	v_mov_b32_e32 v2, s25
	v_add_co_u32_e32 v4, vcc, s24, v4
	v_addc_co_u32_e32 v5, vcc, v2, v5, vcc
	global_store_dword v[4:5], v3, off
.LBB983_199:
	s_or_b64 exec, exec, s[2:3]
	v_cmp_gt_u32_e32 vcc, s33, v20
                                        ; implicit-def: $vgpr14_vgpr15
	s_and_saveexec_b64 s[2:3], vcc
	s_cbranch_execz .LBB983_205
; %bb.200:
	v_cmp_ge_u32_e32 vcc, v20, v18
                                        ; implicit-def: $vgpr14_vgpr15
	s_and_saveexec_b64 s[4:5], vcc
	s_xor_b64 s[4:5], exec, s[4:5]
	s_cbranch_execz .LBB983_202
; %bb.201:
	s_waitcnt lgkmcnt(1)
	v_xor_b32_e32 v2, 0xfffff3ff, v0
	v_ashrrev_i32_e32 v3, 31, v2
	v_add_co_u32_e32 v14, vcc, v19, v2
	v_addc_co_u32_e32 v15, vcc, v21, v3, vcc
                                        ; implicit-def: $vgpr20
.LBB983_202:
	s_andn2_saveexec_b64 s[4:5], s[4:5]
; %bb.203:
	v_add_co_u32_e32 v14, vcc, v1, v20
	v_addc_co_u32_e32 v15, vcc, 0, v16, vcc
; %bb.204:
	s_or_b64 exec, exec, s[4:5]
	s_or_b64 s[0:1], s[0:1], exec
.LBB983_205:
	s_or_b64 exec, exec, s[2:3]
.LBB983_206:
	s_and_saveexec_b64 s[2:3], s[0:1]
	s_cbranch_execz .LBB983_208
; %bb.207:
	s_waitcnt lgkmcnt(1)
	v_lshlrev_b64 v[2:3], 2, v[14:15]
	v_mov_b32_e32 v4, s25
	v_add_co_u32_e32 v2, vcc, s24, v2
	v_addc_co_u32_e32 v3, vcc, v4, v3, vcc
	s_waitcnt lgkmcnt(0)
	global_store_dword v[2:3], v17, off
.LBB983_208:
	s_or_b64 exec, exec, s[2:3]
	v_cmp_eq_u32_e32 vcc, 0, v0
	s_and_b64 s[0:1], vcc, s[22:23]
	s_and_saveexec_b64 s[2:3], s[0:1]
	s_cbranch_execz .LBB983_210
; %bb.209:
	v_add_co_u32_e32 v0, vcc, v1, v18
	s_waitcnt lgkmcnt(1)
	v_mov_b32_e32 v2, 0
	v_addc_co_u32_e32 v1, vcc, 0, v16, vcc
	global_store_dwordx2 v2, v[0:1], s[20:21]
.LBB983_210:
	s_endpgm
	.section	.rodata,"a",@progbits
	.p2align	6, 0x0
	.amdhsa_kernel _ZN7rocprim17ROCPRIM_400000_NS6detail17trampoline_kernelINS0_13select_configILj256ELj13ELNS0_17block_load_methodE3ELS4_3ELS4_3ELNS0_20block_scan_algorithmE0ELj4294967295EEENS1_25partition_config_selectorILNS1_17partition_subalgoE3EjNS0_10empty_typeEbEEZZNS1_14partition_implILS8_3ELb0ES6_jNS0_17counting_iteratorIjlEEPS9_SE_NS0_5tupleIJPjSE_EEENSF_IJSE_SE_EEES9_SG_JZNS1_25segmented_radix_sort_implINS0_14default_configELb0EPKsPsPKlPlN2at6native12_GLOBAL__N_18offset_tEEE10hipError_tPvRmT1_PNSt15iterator_traitsISY_E10value_typeET2_T3_PNSZ_IS14_E10value_typeET4_jRbjT5_S1A_jjP12ihipStream_tbEUljE_EEESV_SW_SX_S14_S18_S1A_T6_T7_T9_mT8_S1C_bDpT10_ENKUlT_T0_E_clISt17integral_constantIbLb0EES1P_EEDaS1K_S1L_EUlS1K_E_NS1_11comp_targetILNS1_3genE4ELNS1_11target_archE910ELNS1_3gpuE8ELNS1_3repE0EEENS1_30default_config_static_selectorELNS0_4arch9wavefront6targetE1EEEvSY_
		.amdhsa_group_segment_fixed_size 13324
		.amdhsa_private_segment_fixed_size 0
		.amdhsa_kernarg_size 144
		.amdhsa_user_sgpr_count 6
		.amdhsa_user_sgpr_private_segment_buffer 1
		.amdhsa_user_sgpr_dispatch_ptr 0
		.amdhsa_user_sgpr_queue_ptr 0
		.amdhsa_user_sgpr_kernarg_segment_ptr 1
		.amdhsa_user_sgpr_dispatch_id 0
		.amdhsa_user_sgpr_flat_scratch_init 0
		.amdhsa_user_sgpr_kernarg_preload_length 0
		.amdhsa_user_sgpr_kernarg_preload_offset 0
		.amdhsa_user_sgpr_private_segment_size 0
		.amdhsa_uses_dynamic_stack 0
		.amdhsa_system_sgpr_private_segment_wavefront_offset 0
		.amdhsa_system_sgpr_workgroup_id_x 1
		.amdhsa_system_sgpr_workgroup_id_y 0
		.amdhsa_system_sgpr_workgroup_id_z 0
		.amdhsa_system_sgpr_workgroup_info 0
		.amdhsa_system_vgpr_workitem_id 0
		.amdhsa_next_free_vgpr 61
		.amdhsa_next_free_sgpr 46
		.amdhsa_accum_offset 64
		.amdhsa_reserve_vcc 1
		.amdhsa_reserve_flat_scratch 0
		.amdhsa_float_round_mode_32 0
		.amdhsa_float_round_mode_16_64 0
		.amdhsa_float_denorm_mode_32 3
		.amdhsa_float_denorm_mode_16_64 3
		.amdhsa_dx10_clamp 1
		.amdhsa_ieee_mode 1
		.amdhsa_fp16_overflow 0
		.amdhsa_tg_split 0
		.amdhsa_exception_fp_ieee_invalid_op 0
		.amdhsa_exception_fp_denorm_src 0
		.amdhsa_exception_fp_ieee_div_zero 0
		.amdhsa_exception_fp_ieee_overflow 0
		.amdhsa_exception_fp_ieee_underflow 0
		.amdhsa_exception_fp_ieee_inexact 0
		.amdhsa_exception_int_div_zero 0
	.end_amdhsa_kernel
	.section	.text._ZN7rocprim17ROCPRIM_400000_NS6detail17trampoline_kernelINS0_13select_configILj256ELj13ELNS0_17block_load_methodE3ELS4_3ELS4_3ELNS0_20block_scan_algorithmE0ELj4294967295EEENS1_25partition_config_selectorILNS1_17partition_subalgoE3EjNS0_10empty_typeEbEEZZNS1_14partition_implILS8_3ELb0ES6_jNS0_17counting_iteratorIjlEEPS9_SE_NS0_5tupleIJPjSE_EEENSF_IJSE_SE_EEES9_SG_JZNS1_25segmented_radix_sort_implINS0_14default_configELb0EPKsPsPKlPlN2at6native12_GLOBAL__N_18offset_tEEE10hipError_tPvRmT1_PNSt15iterator_traitsISY_E10value_typeET2_T3_PNSZ_IS14_E10value_typeET4_jRbjT5_S1A_jjP12ihipStream_tbEUljE_EEESV_SW_SX_S14_S18_S1A_T6_T7_T9_mT8_S1C_bDpT10_ENKUlT_T0_E_clISt17integral_constantIbLb0EES1P_EEDaS1K_S1L_EUlS1K_E_NS1_11comp_targetILNS1_3genE4ELNS1_11target_archE910ELNS1_3gpuE8ELNS1_3repE0EEENS1_30default_config_static_selectorELNS0_4arch9wavefront6targetE1EEEvSY_,"axG",@progbits,_ZN7rocprim17ROCPRIM_400000_NS6detail17trampoline_kernelINS0_13select_configILj256ELj13ELNS0_17block_load_methodE3ELS4_3ELS4_3ELNS0_20block_scan_algorithmE0ELj4294967295EEENS1_25partition_config_selectorILNS1_17partition_subalgoE3EjNS0_10empty_typeEbEEZZNS1_14partition_implILS8_3ELb0ES6_jNS0_17counting_iteratorIjlEEPS9_SE_NS0_5tupleIJPjSE_EEENSF_IJSE_SE_EEES9_SG_JZNS1_25segmented_radix_sort_implINS0_14default_configELb0EPKsPsPKlPlN2at6native12_GLOBAL__N_18offset_tEEE10hipError_tPvRmT1_PNSt15iterator_traitsISY_E10value_typeET2_T3_PNSZ_IS14_E10value_typeET4_jRbjT5_S1A_jjP12ihipStream_tbEUljE_EEESV_SW_SX_S14_S18_S1A_T6_T7_T9_mT8_S1C_bDpT10_ENKUlT_T0_E_clISt17integral_constantIbLb0EES1P_EEDaS1K_S1L_EUlS1K_E_NS1_11comp_targetILNS1_3genE4ELNS1_11target_archE910ELNS1_3gpuE8ELNS1_3repE0EEENS1_30default_config_static_selectorELNS0_4arch9wavefront6targetE1EEEvSY_,comdat
.Lfunc_end983:
	.size	_ZN7rocprim17ROCPRIM_400000_NS6detail17trampoline_kernelINS0_13select_configILj256ELj13ELNS0_17block_load_methodE3ELS4_3ELS4_3ELNS0_20block_scan_algorithmE0ELj4294967295EEENS1_25partition_config_selectorILNS1_17partition_subalgoE3EjNS0_10empty_typeEbEEZZNS1_14partition_implILS8_3ELb0ES6_jNS0_17counting_iteratorIjlEEPS9_SE_NS0_5tupleIJPjSE_EEENSF_IJSE_SE_EEES9_SG_JZNS1_25segmented_radix_sort_implINS0_14default_configELb0EPKsPsPKlPlN2at6native12_GLOBAL__N_18offset_tEEE10hipError_tPvRmT1_PNSt15iterator_traitsISY_E10value_typeET2_T3_PNSZ_IS14_E10value_typeET4_jRbjT5_S1A_jjP12ihipStream_tbEUljE_EEESV_SW_SX_S14_S18_S1A_T6_T7_T9_mT8_S1C_bDpT10_ENKUlT_T0_E_clISt17integral_constantIbLb0EES1P_EEDaS1K_S1L_EUlS1K_E_NS1_11comp_targetILNS1_3genE4ELNS1_11target_archE910ELNS1_3gpuE8ELNS1_3repE0EEENS1_30default_config_static_selectorELNS0_4arch9wavefront6targetE1EEEvSY_, .Lfunc_end983-_ZN7rocprim17ROCPRIM_400000_NS6detail17trampoline_kernelINS0_13select_configILj256ELj13ELNS0_17block_load_methodE3ELS4_3ELS4_3ELNS0_20block_scan_algorithmE0ELj4294967295EEENS1_25partition_config_selectorILNS1_17partition_subalgoE3EjNS0_10empty_typeEbEEZZNS1_14partition_implILS8_3ELb0ES6_jNS0_17counting_iteratorIjlEEPS9_SE_NS0_5tupleIJPjSE_EEENSF_IJSE_SE_EEES9_SG_JZNS1_25segmented_radix_sort_implINS0_14default_configELb0EPKsPsPKlPlN2at6native12_GLOBAL__N_18offset_tEEE10hipError_tPvRmT1_PNSt15iterator_traitsISY_E10value_typeET2_T3_PNSZ_IS14_E10value_typeET4_jRbjT5_S1A_jjP12ihipStream_tbEUljE_EEESV_SW_SX_S14_S18_S1A_T6_T7_T9_mT8_S1C_bDpT10_ENKUlT_T0_E_clISt17integral_constantIbLb0EES1P_EEDaS1K_S1L_EUlS1K_E_NS1_11comp_targetILNS1_3genE4ELNS1_11target_archE910ELNS1_3gpuE8ELNS1_3repE0EEENS1_30default_config_static_selectorELNS0_4arch9wavefront6targetE1EEEvSY_
                                        ; -- End function
	.section	.AMDGPU.csdata,"",@progbits
; Kernel info:
; codeLenInByte = 7676
; NumSgprs: 50
; NumVgprs: 61
; NumAgprs: 0
; TotalNumVgprs: 61
; ScratchSize: 0
; MemoryBound: 0
; FloatMode: 240
; IeeeMode: 1
; LDSByteSize: 13324 bytes/workgroup (compile time only)
; SGPRBlocks: 6
; VGPRBlocks: 7
; NumSGPRsForWavesPerEU: 50
; NumVGPRsForWavesPerEU: 61
; AccumOffset: 64
; Occupancy: 4
; WaveLimiterHint : 0
; COMPUTE_PGM_RSRC2:SCRATCH_EN: 0
; COMPUTE_PGM_RSRC2:USER_SGPR: 6
; COMPUTE_PGM_RSRC2:TRAP_HANDLER: 0
; COMPUTE_PGM_RSRC2:TGID_X_EN: 1
; COMPUTE_PGM_RSRC2:TGID_Y_EN: 0
; COMPUTE_PGM_RSRC2:TGID_Z_EN: 0
; COMPUTE_PGM_RSRC2:TIDIG_COMP_CNT: 0
; COMPUTE_PGM_RSRC3_GFX90A:ACCUM_OFFSET: 15
; COMPUTE_PGM_RSRC3_GFX90A:TG_SPLIT: 0
	.section	.text._ZN7rocprim17ROCPRIM_400000_NS6detail17trampoline_kernelINS0_13select_configILj256ELj13ELNS0_17block_load_methodE3ELS4_3ELS4_3ELNS0_20block_scan_algorithmE0ELj4294967295EEENS1_25partition_config_selectorILNS1_17partition_subalgoE3EjNS0_10empty_typeEbEEZZNS1_14partition_implILS8_3ELb0ES6_jNS0_17counting_iteratorIjlEEPS9_SE_NS0_5tupleIJPjSE_EEENSF_IJSE_SE_EEES9_SG_JZNS1_25segmented_radix_sort_implINS0_14default_configELb0EPKsPsPKlPlN2at6native12_GLOBAL__N_18offset_tEEE10hipError_tPvRmT1_PNSt15iterator_traitsISY_E10value_typeET2_T3_PNSZ_IS14_E10value_typeET4_jRbjT5_S1A_jjP12ihipStream_tbEUljE_EEESV_SW_SX_S14_S18_S1A_T6_T7_T9_mT8_S1C_bDpT10_ENKUlT_T0_E_clISt17integral_constantIbLb0EES1P_EEDaS1K_S1L_EUlS1K_E_NS1_11comp_targetILNS1_3genE3ELNS1_11target_archE908ELNS1_3gpuE7ELNS1_3repE0EEENS1_30default_config_static_selectorELNS0_4arch9wavefront6targetE1EEEvSY_,"axG",@progbits,_ZN7rocprim17ROCPRIM_400000_NS6detail17trampoline_kernelINS0_13select_configILj256ELj13ELNS0_17block_load_methodE3ELS4_3ELS4_3ELNS0_20block_scan_algorithmE0ELj4294967295EEENS1_25partition_config_selectorILNS1_17partition_subalgoE3EjNS0_10empty_typeEbEEZZNS1_14partition_implILS8_3ELb0ES6_jNS0_17counting_iteratorIjlEEPS9_SE_NS0_5tupleIJPjSE_EEENSF_IJSE_SE_EEES9_SG_JZNS1_25segmented_radix_sort_implINS0_14default_configELb0EPKsPsPKlPlN2at6native12_GLOBAL__N_18offset_tEEE10hipError_tPvRmT1_PNSt15iterator_traitsISY_E10value_typeET2_T3_PNSZ_IS14_E10value_typeET4_jRbjT5_S1A_jjP12ihipStream_tbEUljE_EEESV_SW_SX_S14_S18_S1A_T6_T7_T9_mT8_S1C_bDpT10_ENKUlT_T0_E_clISt17integral_constantIbLb0EES1P_EEDaS1K_S1L_EUlS1K_E_NS1_11comp_targetILNS1_3genE3ELNS1_11target_archE908ELNS1_3gpuE7ELNS1_3repE0EEENS1_30default_config_static_selectorELNS0_4arch9wavefront6targetE1EEEvSY_,comdat
	.globl	_ZN7rocprim17ROCPRIM_400000_NS6detail17trampoline_kernelINS0_13select_configILj256ELj13ELNS0_17block_load_methodE3ELS4_3ELS4_3ELNS0_20block_scan_algorithmE0ELj4294967295EEENS1_25partition_config_selectorILNS1_17partition_subalgoE3EjNS0_10empty_typeEbEEZZNS1_14partition_implILS8_3ELb0ES6_jNS0_17counting_iteratorIjlEEPS9_SE_NS0_5tupleIJPjSE_EEENSF_IJSE_SE_EEES9_SG_JZNS1_25segmented_radix_sort_implINS0_14default_configELb0EPKsPsPKlPlN2at6native12_GLOBAL__N_18offset_tEEE10hipError_tPvRmT1_PNSt15iterator_traitsISY_E10value_typeET2_T3_PNSZ_IS14_E10value_typeET4_jRbjT5_S1A_jjP12ihipStream_tbEUljE_EEESV_SW_SX_S14_S18_S1A_T6_T7_T9_mT8_S1C_bDpT10_ENKUlT_T0_E_clISt17integral_constantIbLb0EES1P_EEDaS1K_S1L_EUlS1K_E_NS1_11comp_targetILNS1_3genE3ELNS1_11target_archE908ELNS1_3gpuE7ELNS1_3repE0EEENS1_30default_config_static_selectorELNS0_4arch9wavefront6targetE1EEEvSY_ ; -- Begin function _ZN7rocprim17ROCPRIM_400000_NS6detail17trampoline_kernelINS0_13select_configILj256ELj13ELNS0_17block_load_methodE3ELS4_3ELS4_3ELNS0_20block_scan_algorithmE0ELj4294967295EEENS1_25partition_config_selectorILNS1_17partition_subalgoE3EjNS0_10empty_typeEbEEZZNS1_14partition_implILS8_3ELb0ES6_jNS0_17counting_iteratorIjlEEPS9_SE_NS0_5tupleIJPjSE_EEENSF_IJSE_SE_EEES9_SG_JZNS1_25segmented_radix_sort_implINS0_14default_configELb0EPKsPsPKlPlN2at6native12_GLOBAL__N_18offset_tEEE10hipError_tPvRmT1_PNSt15iterator_traitsISY_E10value_typeET2_T3_PNSZ_IS14_E10value_typeET4_jRbjT5_S1A_jjP12ihipStream_tbEUljE_EEESV_SW_SX_S14_S18_S1A_T6_T7_T9_mT8_S1C_bDpT10_ENKUlT_T0_E_clISt17integral_constantIbLb0EES1P_EEDaS1K_S1L_EUlS1K_E_NS1_11comp_targetILNS1_3genE3ELNS1_11target_archE908ELNS1_3gpuE7ELNS1_3repE0EEENS1_30default_config_static_selectorELNS0_4arch9wavefront6targetE1EEEvSY_
	.p2align	8
	.type	_ZN7rocprim17ROCPRIM_400000_NS6detail17trampoline_kernelINS0_13select_configILj256ELj13ELNS0_17block_load_methodE3ELS4_3ELS4_3ELNS0_20block_scan_algorithmE0ELj4294967295EEENS1_25partition_config_selectorILNS1_17partition_subalgoE3EjNS0_10empty_typeEbEEZZNS1_14partition_implILS8_3ELb0ES6_jNS0_17counting_iteratorIjlEEPS9_SE_NS0_5tupleIJPjSE_EEENSF_IJSE_SE_EEES9_SG_JZNS1_25segmented_radix_sort_implINS0_14default_configELb0EPKsPsPKlPlN2at6native12_GLOBAL__N_18offset_tEEE10hipError_tPvRmT1_PNSt15iterator_traitsISY_E10value_typeET2_T3_PNSZ_IS14_E10value_typeET4_jRbjT5_S1A_jjP12ihipStream_tbEUljE_EEESV_SW_SX_S14_S18_S1A_T6_T7_T9_mT8_S1C_bDpT10_ENKUlT_T0_E_clISt17integral_constantIbLb0EES1P_EEDaS1K_S1L_EUlS1K_E_NS1_11comp_targetILNS1_3genE3ELNS1_11target_archE908ELNS1_3gpuE7ELNS1_3repE0EEENS1_30default_config_static_selectorELNS0_4arch9wavefront6targetE1EEEvSY_,@function
_ZN7rocprim17ROCPRIM_400000_NS6detail17trampoline_kernelINS0_13select_configILj256ELj13ELNS0_17block_load_methodE3ELS4_3ELS4_3ELNS0_20block_scan_algorithmE0ELj4294967295EEENS1_25partition_config_selectorILNS1_17partition_subalgoE3EjNS0_10empty_typeEbEEZZNS1_14partition_implILS8_3ELb0ES6_jNS0_17counting_iteratorIjlEEPS9_SE_NS0_5tupleIJPjSE_EEENSF_IJSE_SE_EEES9_SG_JZNS1_25segmented_radix_sort_implINS0_14default_configELb0EPKsPsPKlPlN2at6native12_GLOBAL__N_18offset_tEEE10hipError_tPvRmT1_PNSt15iterator_traitsISY_E10value_typeET2_T3_PNSZ_IS14_E10value_typeET4_jRbjT5_S1A_jjP12ihipStream_tbEUljE_EEESV_SW_SX_S14_S18_S1A_T6_T7_T9_mT8_S1C_bDpT10_ENKUlT_T0_E_clISt17integral_constantIbLb0EES1P_EEDaS1K_S1L_EUlS1K_E_NS1_11comp_targetILNS1_3genE3ELNS1_11target_archE908ELNS1_3gpuE7ELNS1_3repE0EEENS1_30default_config_static_selectorELNS0_4arch9wavefront6targetE1EEEvSY_: ; @_ZN7rocprim17ROCPRIM_400000_NS6detail17trampoline_kernelINS0_13select_configILj256ELj13ELNS0_17block_load_methodE3ELS4_3ELS4_3ELNS0_20block_scan_algorithmE0ELj4294967295EEENS1_25partition_config_selectorILNS1_17partition_subalgoE3EjNS0_10empty_typeEbEEZZNS1_14partition_implILS8_3ELb0ES6_jNS0_17counting_iteratorIjlEEPS9_SE_NS0_5tupleIJPjSE_EEENSF_IJSE_SE_EEES9_SG_JZNS1_25segmented_radix_sort_implINS0_14default_configELb0EPKsPsPKlPlN2at6native12_GLOBAL__N_18offset_tEEE10hipError_tPvRmT1_PNSt15iterator_traitsISY_E10value_typeET2_T3_PNSZ_IS14_E10value_typeET4_jRbjT5_S1A_jjP12ihipStream_tbEUljE_EEESV_SW_SX_S14_S18_S1A_T6_T7_T9_mT8_S1C_bDpT10_ENKUlT_T0_E_clISt17integral_constantIbLb0EES1P_EEDaS1K_S1L_EUlS1K_E_NS1_11comp_targetILNS1_3genE3ELNS1_11target_archE908ELNS1_3gpuE7ELNS1_3repE0EEENS1_30default_config_static_selectorELNS0_4arch9wavefront6targetE1EEEvSY_
; %bb.0:
	.section	.rodata,"a",@progbits
	.p2align	6, 0x0
	.amdhsa_kernel _ZN7rocprim17ROCPRIM_400000_NS6detail17trampoline_kernelINS0_13select_configILj256ELj13ELNS0_17block_load_methodE3ELS4_3ELS4_3ELNS0_20block_scan_algorithmE0ELj4294967295EEENS1_25partition_config_selectorILNS1_17partition_subalgoE3EjNS0_10empty_typeEbEEZZNS1_14partition_implILS8_3ELb0ES6_jNS0_17counting_iteratorIjlEEPS9_SE_NS0_5tupleIJPjSE_EEENSF_IJSE_SE_EEES9_SG_JZNS1_25segmented_radix_sort_implINS0_14default_configELb0EPKsPsPKlPlN2at6native12_GLOBAL__N_18offset_tEEE10hipError_tPvRmT1_PNSt15iterator_traitsISY_E10value_typeET2_T3_PNSZ_IS14_E10value_typeET4_jRbjT5_S1A_jjP12ihipStream_tbEUljE_EEESV_SW_SX_S14_S18_S1A_T6_T7_T9_mT8_S1C_bDpT10_ENKUlT_T0_E_clISt17integral_constantIbLb0EES1P_EEDaS1K_S1L_EUlS1K_E_NS1_11comp_targetILNS1_3genE3ELNS1_11target_archE908ELNS1_3gpuE7ELNS1_3repE0EEENS1_30default_config_static_selectorELNS0_4arch9wavefront6targetE1EEEvSY_
		.amdhsa_group_segment_fixed_size 0
		.amdhsa_private_segment_fixed_size 0
		.amdhsa_kernarg_size 144
		.amdhsa_user_sgpr_count 6
		.amdhsa_user_sgpr_private_segment_buffer 1
		.amdhsa_user_sgpr_dispatch_ptr 0
		.amdhsa_user_sgpr_queue_ptr 0
		.amdhsa_user_sgpr_kernarg_segment_ptr 1
		.amdhsa_user_sgpr_dispatch_id 0
		.amdhsa_user_sgpr_flat_scratch_init 0
		.amdhsa_user_sgpr_kernarg_preload_length 0
		.amdhsa_user_sgpr_kernarg_preload_offset 0
		.amdhsa_user_sgpr_private_segment_size 0
		.amdhsa_uses_dynamic_stack 0
		.amdhsa_system_sgpr_private_segment_wavefront_offset 0
		.amdhsa_system_sgpr_workgroup_id_x 1
		.amdhsa_system_sgpr_workgroup_id_y 0
		.amdhsa_system_sgpr_workgroup_id_z 0
		.amdhsa_system_sgpr_workgroup_info 0
		.amdhsa_system_vgpr_workitem_id 0
		.amdhsa_next_free_vgpr 1
		.amdhsa_next_free_sgpr 0
		.amdhsa_accum_offset 4
		.amdhsa_reserve_vcc 0
		.amdhsa_reserve_flat_scratch 0
		.amdhsa_float_round_mode_32 0
		.amdhsa_float_round_mode_16_64 0
		.amdhsa_float_denorm_mode_32 3
		.amdhsa_float_denorm_mode_16_64 3
		.amdhsa_dx10_clamp 1
		.amdhsa_ieee_mode 1
		.amdhsa_fp16_overflow 0
		.amdhsa_tg_split 0
		.amdhsa_exception_fp_ieee_invalid_op 0
		.amdhsa_exception_fp_denorm_src 0
		.amdhsa_exception_fp_ieee_div_zero 0
		.amdhsa_exception_fp_ieee_overflow 0
		.amdhsa_exception_fp_ieee_underflow 0
		.amdhsa_exception_fp_ieee_inexact 0
		.amdhsa_exception_int_div_zero 0
	.end_amdhsa_kernel
	.section	.text._ZN7rocprim17ROCPRIM_400000_NS6detail17trampoline_kernelINS0_13select_configILj256ELj13ELNS0_17block_load_methodE3ELS4_3ELS4_3ELNS0_20block_scan_algorithmE0ELj4294967295EEENS1_25partition_config_selectorILNS1_17partition_subalgoE3EjNS0_10empty_typeEbEEZZNS1_14partition_implILS8_3ELb0ES6_jNS0_17counting_iteratorIjlEEPS9_SE_NS0_5tupleIJPjSE_EEENSF_IJSE_SE_EEES9_SG_JZNS1_25segmented_radix_sort_implINS0_14default_configELb0EPKsPsPKlPlN2at6native12_GLOBAL__N_18offset_tEEE10hipError_tPvRmT1_PNSt15iterator_traitsISY_E10value_typeET2_T3_PNSZ_IS14_E10value_typeET4_jRbjT5_S1A_jjP12ihipStream_tbEUljE_EEESV_SW_SX_S14_S18_S1A_T6_T7_T9_mT8_S1C_bDpT10_ENKUlT_T0_E_clISt17integral_constantIbLb0EES1P_EEDaS1K_S1L_EUlS1K_E_NS1_11comp_targetILNS1_3genE3ELNS1_11target_archE908ELNS1_3gpuE7ELNS1_3repE0EEENS1_30default_config_static_selectorELNS0_4arch9wavefront6targetE1EEEvSY_,"axG",@progbits,_ZN7rocprim17ROCPRIM_400000_NS6detail17trampoline_kernelINS0_13select_configILj256ELj13ELNS0_17block_load_methodE3ELS4_3ELS4_3ELNS0_20block_scan_algorithmE0ELj4294967295EEENS1_25partition_config_selectorILNS1_17partition_subalgoE3EjNS0_10empty_typeEbEEZZNS1_14partition_implILS8_3ELb0ES6_jNS0_17counting_iteratorIjlEEPS9_SE_NS0_5tupleIJPjSE_EEENSF_IJSE_SE_EEES9_SG_JZNS1_25segmented_radix_sort_implINS0_14default_configELb0EPKsPsPKlPlN2at6native12_GLOBAL__N_18offset_tEEE10hipError_tPvRmT1_PNSt15iterator_traitsISY_E10value_typeET2_T3_PNSZ_IS14_E10value_typeET4_jRbjT5_S1A_jjP12ihipStream_tbEUljE_EEESV_SW_SX_S14_S18_S1A_T6_T7_T9_mT8_S1C_bDpT10_ENKUlT_T0_E_clISt17integral_constantIbLb0EES1P_EEDaS1K_S1L_EUlS1K_E_NS1_11comp_targetILNS1_3genE3ELNS1_11target_archE908ELNS1_3gpuE7ELNS1_3repE0EEENS1_30default_config_static_selectorELNS0_4arch9wavefront6targetE1EEEvSY_,comdat
.Lfunc_end984:
	.size	_ZN7rocprim17ROCPRIM_400000_NS6detail17trampoline_kernelINS0_13select_configILj256ELj13ELNS0_17block_load_methodE3ELS4_3ELS4_3ELNS0_20block_scan_algorithmE0ELj4294967295EEENS1_25partition_config_selectorILNS1_17partition_subalgoE3EjNS0_10empty_typeEbEEZZNS1_14partition_implILS8_3ELb0ES6_jNS0_17counting_iteratorIjlEEPS9_SE_NS0_5tupleIJPjSE_EEENSF_IJSE_SE_EEES9_SG_JZNS1_25segmented_radix_sort_implINS0_14default_configELb0EPKsPsPKlPlN2at6native12_GLOBAL__N_18offset_tEEE10hipError_tPvRmT1_PNSt15iterator_traitsISY_E10value_typeET2_T3_PNSZ_IS14_E10value_typeET4_jRbjT5_S1A_jjP12ihipStream_tbEUljE_EEESV_SW_SX_S14_S18_S1A_T6_T7_T9_mT8_S1C_bDpT10_ENKUlT_T0_E_clISt17integral_constantIbLb0EES1P_EEDaS1K_S1L_EUlS1K_E_NS1_11comp_targetILNS1_3genE3ELNS1_11target_archE908ELNS1_3gpuE7ELNS1_3repE0EEENS1_30default_config_static_selectorELNS0_4arch9wavefront6targetE1EEEvSY_, .Lfunc_end984-_ZN7rocprim17ROCPRIM_400000_NS6detail17trampoline_kernelINS0_13select_configILj256ELj13ELNS0_17block_load_methodE3ELS4_3ELS4_3ELNS0_20block_scan_algorithmE0ELj4294967295EEENS1_25partition_config_selectorILNS1_17partition_subalgoE3EjNS0_10empty_typeEbEEZZNS1_14partition_implILS8_3ELb0ES6_jNS0_17counting_iteratorIjlEEPS9_SE_NS0_5tupleIJPjSE_EEENSF_IJSE_SE_EEES9_SG_JZNS1_25segmented_radix_sort_implINS0_14default_configELb0EPKsPsPKlPlN2at6native12_GLOBAL__N_18offset_tEEE10hipError_tPvRmT1_PNSt15iterator_traitsISY_E10value_typeET2_T3_PNSZ_IS14_E10value_typeET4_jRbjT5_S1A_jjP12ihipStream_tbEUljE_EEESV_SW_SX_S14_S18_S1A_T6_T7_T9_mT8_S1C_bDpT10_ENKUlT_T0_E_clISt17integral_constantIbLb0EES1P_EEDaS1K_S1L_EUlS1K_E_NS1_11comp_targetILNS1_3genE3ELNS1_11target_archE908ELNS1_3gpuE7ELNS1_3repE0EEENS1_30default_config_static_selectorELNS0_4arch9wavefront6targetE1EEEvSY_
                                        ; -- End function
	.section	.AMDGPU.csdata,"",@progbits
; Kernel info:
; codeLenInByte = 0
; NumSgprs: 4
; NumVgprs: 0
; NumAgprs: 0
; TotalNumVgprs: 0
; ScratchSize: 0
; MemoryBound: 0
; FloatMode: 240
; IeeeMode: 1
; LDSByteSize: 0 bytes/workgroup (compile time only)
; SGPRBlocks: 0
; VGPRBlocks: 0
; NumSGPRsForWavesPerEU: 4
; NumVGPRsForWavesPerEU: 1
; AccumOffset: 4
; Occupancy: 8
; WaveLimiterHint : 0
; COMPUTE_PGM_RSRC2:SCRATCH_EN: 0
; COMPUTE_PGM_RSRC2:USER_SGPR: 6
; COMPUTE_PGM_RSRC2:TRAP_HANDLER: 0
; COMPUTE_PGM_RSRC2:TGID_X_EN: 1
; COMPUTE_PGM_RSRC2:TGID_Y_EN: 0
; COMPUTE_PGM_RSRC2:TGID_Z_EN: 0
; COMPUTE_PGM_RSRC2:TIDIG_COMP_CNT: 0
; COMPUTE_PGM_RSRC3_GFX90A:ACCUM_OFFSET: 0
; COMPUTE_PGM_RSRC3_GFX90A:TG_SPLIT: 0
	.section	.text._ZN7rocprim17ROCPRIM_400000_NS6detail17trampoline_kernelINS0_13select_configILj256ELj13ELNS0_17block_load_methodE3ELS4_3ELS4_3ELNS0_20block_scan_algorithmE0ELj4294967295EEENS1_25partition_config_selectorILNS1_17partition_subalgoE3EjNS0_10empty_typeEbEEZZNS1_14partition_implILS8_3ELb0ES6_jNS0_17counting_iteratorIjlEEPS9_SE_NS0_5tupleIJPjSE_EEENSF_IJSE_SE_EEES9_SG_JZNS1_25segmented_radix_sort_implINS0_14default_configELb0EPKsPsPKlPlN2at6native12_GLOBAL__N_18offset_tEEE10hipError_tPvRmT1_PNSt15iterator_traitsISY_E10value_typeET2_T3_PNSZ_IS14_E10value_typeET4_jRbjT5_S1A_jjP12ihipStream_tbEUljE_EEESV_SW_SX_S14_S18_S1A_T6_T7_T9_mT8_S1C_bDpT10_ENKUlT_T0_E_clISt17integral_constantIbLb0EES1P_EEDaS1K_S1L_EUlS1K_E_NS1_11comp_targetILNS1_3genE2ELNS1_11target_archE906ELNS1_3gpuE6ELNS1_3repE0EEENS1_30default_config_static_selectorELNS0_4arch9wavefront6targetE1EEEvSY_,"axG",@progbits,_ZN7rocprim17ROCPRIM_400000_NS6detail17trampoline_kernelINS0_13select_configILj256ELj13ELNS0_17block_load_methodE3ELS4_3ELS4_3ELNS0_20block_scan_algorithmE0ELj4294967295EEENS1_25partition_config_selectorILNS1_17partition_subalgoE3EjNS0_10empty_typeEbEEZZNS1_14partition_implILS8_3ELb0ES6_jNS0_17counting_iteratorIjlEEPS9_SE_NS0_5tupleIJPjSE_EEENSF_IJSE_SE_EEES9_SG_JZNS1_25segmented_radix_sort_implINS0_14default_configELb0EPKsPsPKlPlN2at6native12_GLOBAL__N_18offset_tEEE10hipError_tPvRmT1_PNSt15iterator_traitsISY_E10value_typeET2_T3_PNSZ_IS14_E10value_typeET4_jRbjT5_S1A_jjP12ihipStream_tbEUljE_EEESV_SW_SX_S14_S18_S1A_T6_T7_T9_mT8_S1C_bDpT10_ENKUlT_T0_E_clISt17integral_constantIbLb0EES1P_EEDaS1K_S1L_EUlS1K_E_NS1_11comp_targetILNS1_3genE2ELNS1_11target_archE906ELNS1_3gpuE6ELNS1_3repE0EEENS1_30default_config_static_selectorELNS0_4arch9wavefront6targetE1EEEvSY_,comdat
	.globl	_ZN7rocprim17ROCPRIM_400000_NS6detail17trampoline_kernelINS0_13select_configILj256ELj13ELNS0_17block_load_methodE3ELS4_3ELS4_3ELNS0_20block_scan_algorithmE0ELj4294967295EEENS1_25partition_config_selectorILNS1_17partition_subalgoE3EjNS0_10empty_typeEbEEZZNS1_14partition_implILS8_3ELb0ES6_jNS0_17counting_iteratorIjlEEPS9_SE_NS0_5tupleIJPjSE_EEENSF_IJSE_SE_EEES9_SG_JZNS1_25segmented_radix_sort_implINS0_14default_configELb0EPKsPsPKlPlN2at6native12_GLOBAL__N_18offset_tEEE10hipError_tPvRmT1_PNSt15iterator_traitsISY_E10value_typeET2_T3_PNSZ_IS14_E10value_typeET4_jRbjT5_S1A_jjP12ihipStream_tbEUljE_EEESV_SW_SX_S14_S18_S1A_T6_T7_T9_mT8_S1C_bDpT10_ENKUlT_T0_E_clISt17integral_constantIbLb0EES1P_EEDaS1K_S1L_EUlS1K_E_NS1_11comp_targetILNS1_3genE2ELNS1_11target_archE906ELNS1_3gpuE6ELNS1_3repE0EEENS1_30default_config_static_selectorELNS0_4arch9wavefront6targetE1EEEvSY_ ; -- Begin function _ZN7rocprim17ROCPRIM_400000_NS6detail17trampoline_kernelINS0_13select_configILj256ELj13ELNS0_17block_load_methodE3ELS4_3ELS4_3ELNS0_20block_scan_algorithmE0ELj4294967295EEENS1_25partition_config_selectorILNS1_17partition_subalgoE3EjNS0_10empty_typeEbEEZZNS1_14partition_implILS8_3ELb0ES6_jNS0_17counting_iteratorIjlEEPS9_SE_NS0_5tupleIJPjSE_EEENSF_IJSE_SE_EEES9_SG_JZNS1_25segmented_radix_sort_implINS0_14default_configELb0EPKsPsPKlPlN2at6native12_GLOBAL__N_18offset_tEEE10hipError_tPvRmT1_PNSt15iterator_traitsISY_E10value_typeET2_T3_PNSZ_IS14_E10value_typeET4_jRbjT5_S1A_jjP12ihipStream_tbEUljE_EEESV_SW_SX_S14_S18_S1A_T6_T7_T9_mT8_S1C_bDpT10_ENKUlT_T0_E_clISt17integral_constantIbLb0EES1P_EEDaS1K_S1L_EUlS1K_E_NS1_11comp_targetILNS1_3genE2ELNS1_11target_archE906ELNS1_3gpuE6ELNS1_3repE0EEENS1_30default_config_static_selectorELNS0_4arch9wavefront6targetE1EEEvSY_
	.p2align	8
	.type	_ZN7rocprim17ROCPRIM_400000_NS6detail17trampoline_kernelINS0_13select_configILj256ELj13ELNS0_17block_load_methodE3ELS4_3ELS4_3ELNS0_20block_scan_algorithmE0ELj4294967295EEENS1_25partition_config_selectorILNS1_17partition_subalgoE3EjNS0_10empty_typeEbEEZZNS1_14partition_implILS8_3ELb0ES6_jNS0_17counting_iteratorIjlEEPS9_SE_NS0_5tupleIJPjSE_EEENSF_IJSE_SE_EEES9_SG_JZNS1_25segmented_radix_sort_implINS0_14default_configELb0EPKsPsPKlPlN2at6native12_GLOBAL__N_18offset_tEEE10hipError_tPvRmT1_PNSt15iterator_traitsISY_E10value_typeET2_T3_PNSZ_IS14_E10value_typeET4_jRbjT5_S1A_jjP12ihipStream_tbEUljE_EEESV_SW_SX_S14_S18_S1A_T6_T7_T9_mT8_S1C_bDpT10_ENKUlT_T0_E_clISt17integral_constantIbLb0EES1P_EEDaS1K_S1L_EUlS1K_E_NS1_11comp_targetILNS1_3genE2ELNS1_11target_archE906ELNS1_3gpuE6ELNS1_3repE0EEENS1_30default_config_static_selectorELNS0_4arch9wavefront6targetE1EEEvSY_,@function
_ZN7rocprim17ROCPRIM_400000_NS6detail17trampoline_kernelINS0_13select_configILj256ELj13ELNS0_17block_load_methodE3ELS4_3ELS4_3ELNS0_20block_scan_algorithmE0ELj4294967295EEENS1_25partition_config_selectorILNS1_17partition_subalgoE3EjNS0_10empty_typeEbEEZZNS1_14partition_implILS8_3ELb0ES6_jNS0_17counting_iteratorIjlEEPS9_SE_NS0_5tupleIJPjSE_EEENSF_IJSE_SE_EEES9_SG_JZNS1_25segmented_radix_sort_implINS0_14default_configELb0EPKsPsPKlPlN2at6native12_GLOBAL__N_18offset_tEEE10hipError_tPvRmT1_PNSt15iterator_traitsISY_E10value_typeET2_T3_PNSZ_IS14_E10value_typeET4_jRbjT5_S1A_jjP12ihipStream_tbEUljE_EEESV_SW_SX_S14_S18_S1A_T6_T7_T9_mT8_S1C_bDpT10_ENKUlT_T0_E_clISt17integral_constantIbLb0EES1P_EEDaS1K_S1L_EUlS1K_E_NS1_11comp_targetILNS1_3genE2ELNS1_11target_archE906ELNS1_3gpuE6ELNS1_3repE0EEENS1_30default_config_static_selectorELNS0_4arch9wavefront6targetE1EEEvSY_: ; @_ZN7rocprim17ROCPRIM_400000_NS6detail17trampoline_kernelINS0_13select_configILj256ELj13ELNS0_17block_load_methodE3ELS4_3ELS4_3ELNS0_20block_scan_algorithmE0ELj4294967295EEENS1_25partition_config_selectorILNS1_17partition_subalgoE3EjNS0_10empty_typeEbEEZZNS1_14partition_implILS8_3ELb0ES6_jNS0_17counting_iteratorIjlEEPS9_SE_NS0_5tupleIJPjSE_EEENSF_IJSE_SE_EEES9_SG_JZNS1_25segmented_radix_sort_implINS0_14default_configELb0EPKsPsPKlPlN2at6native12_GLOBAL__N_18offset_tEEE10hipError_tPvRmT1_PNSt15iterator_traitsISY_E10value_typeET2_T3_PNSZ_IS14_E10value_typeET4_jRbjT5_S1A_jjP12ihipStream_tbEUljE_EEESV_SW_SX_S14_S18_S1A_T6_T7_T9_mT8_S1C_bDpT10_ENKUlT_T0_E_clISt17integral_constantIbLb0EES1P_EEDaS1K_S1L_EUlS1K_E_NS1_11comp_targetILNS1_3genE2ELNS1_11target_archE906ELNS1_3gpuE6ELNS1_3repE0EEENS1_30default_config_static_selectorELNS0_4arch9wavefront6targetE1EEEvSY_
; %bb.0:
	.section	.rodata,"a",@progbits
	.p2align	6, 0x0
	.amdhsa_kernel _ZN7rocprim17ROCPRIM_400000_NS6detail17trampoline_kernelINS0_13select_configILj256ELj13ELNS0_17block_load_methodE3ELS4_3ELS4_3ELNS0_20block_scan_algorithmE0ELj4294967295EEENS1_25partition_config_selectorILNS1_17partition_subalgoE3EjNS0_10empty_typeEbEEZZNS1_14partition_implILS8_3ELb0ES6_jNS0_17counting_iteratorIjlEEPS9_SE_NS0_5tupleIJPjSE_EEENSF_IJSE_SE_EEES9_SG_JZNS1_25segmented_radix_sort_implINS0_14default_configELb0EPKsPsPKlPlN2at6native12_GLOBAL__N_18offset_tEEE10hipError_tPvRmT1_PNSt15iterator_traitsISY_E10value_typeET2_T3_PNSZ_IS14_E10value_typeET4_jRbjT5_S1A_jjP12ihipStream_tbEUljE_EEESV_SW_SX_S14_S18_S1A_T6_T7_T9_mT8_S1C_bDpT10_ENKUlT_T0_E_clISt17integral_constantIbLb0EES1P_EEDaS1K_S1L_EUlS1K_E_NS1_11comp_targetILNS1_3genE2ELNS1_11target_archE906ELNS1_3gpuE6ELNS1_3repE0EEENS1_30default_config_static_selectorELNS0_4arch9wavefront6targetE1EEEvSY_
		.amdhsa_group_segment_fixed_size 0
		.amdhsa_private_segment_fixed_size 0
		.amdhsa_kernarg_size 144
		.amdhsa_user_sgpr_count 6
		.amdhsa_user_sgpr_private_segment_buffer 1
		.amdhsa_user_sgpr_dispatch_ptr 0
		.amdhsa_user_sgpr_queue_ptr 0
		.amdhsa_user_sgpr_kernarg_segment_ptr 1
		.amdhsa_user_sgpr_dispatch_id 0
		.amdhsa_user_sgpr_flat_scratch_init 0
		.amdhsa_user_sgpr_kernarg_preload_length 0
		.amdhsa_user_sgpr_kernarg_preload_offset 0
		.amdhsa_user_sgpr_private_segment_size 0
		.amdhsa_uses_dynamic_stack 0
		.amdhsa_system_sgpr_private_segment_wavefront_offset 0
		.amdhsa_system_sgpr_workgroup_id_x 1
		.amdhsa_system_sgpr_workgroup_id_y 0
		.amdhsa_system_sgpr_workgroup_id_z 0
		.amdhsa_system_sgpr_workgroup_info 0
		.amdhsa_system_vgpr_workitem_id 0
		.amdhsa_next_free_vgpr 1
		.amdhsa_next_free_sgpr 0
		.amdhsa_accum_offset 4
		.amdhsa_reserve_vcc 0
		.amdhsa_reserve_flat_scratch 0
		.amdhsa_float_round_mode_32 0
		.amdhsa_float_round_mode_16_64 0
		.amdhsa_float_denorm_mode_32 3
		.amdhsa_float_denorm_mode_16_64 3
		.amdhsa_dx10_clamp 1
		.amdhsa_ieee_mode 1
		.amdhsa_fp16_overflow 0
		.amdhsa_tg_split 0
		.amdhsa_exception_fp_ieee_invalid_op 0
		.amdhsa_exception_fp_denorm_src 0
		.amdhsa_exception_fp_ieee_div_zero 0
		.amdhsa_exception_fp_ieee_overflow 0
		.amdhsa_exception_fp_ieee_underflow 0
		.amdhsa_exception_fp_ieee_inexact 0
		.amdhsa_exception_int_div_zero 0
	.end_amdhsa_kernel
	.section	.text._ZN7rocprim17ROCPRIM_400000_NS6detail17trampoline_kernelINS0_13select_configILj256ELj13ELNS0_17block_load_methodE3ELS4_3ELS4_3ELNS0_20block_scan_algorithmE0ELj4294967295EEENS1_25partition_config_selectorILNS1_17partition_subalgoE3EjNS0_10empty_typeEbEEZZNS1_14partition_implILS8_3ELb0ES6_jNS0_17counting_iteratorIjlEEPS9_SE_NS0_5tupleIJPjSE_EEENSF_IJSE_SE_EEES9_SG_JZNS1_25segmented_radix_sort_implINS0_14default_configELb0EPKsPsPKlPlN2at6native12_GLOBAL__N_18offset_tEEE10hipError_tPvRmT1_PNSt15iterator_traitsISY_E10value_typeET2_T3_PNSZ_IS14_E10value_typeET4_jRbjT5_S1A_jjP12ihipStream_tbEUljE_EEESV_SW_SX_S14_S18_S1A_T6_T7_T9_mT8_S1C_bDpT10_ENKUlT_T0_E_clISt17integral_constantIbLb0EES1P_EEDaS1K_S1L_EUlS1K_E_NS1_11comp_targetILNS1_3genE2ELNS1_11target_archE906ELNS1_3gpuE6ELNS1_3repE0EEENS1_30default_config_static_selectorELNS0_4arch9wavefront6targetE1EEEvSY_,"axG",@progbits,_ZN7rocprim17ROCPRIM_400000_NS6detail17trampoline_kernelINS0_13select_configILj256ELj13ELNS0_17block_load_methodE3ELS4_3ELS4_3ELNS0_20block_scan_algorithmE0ELj4294967295EEENS1_25partition_config_selectorILNS1_17partition_subalgoE3EjNS0_10empty_typeEbEEZZNS1_14partition_implILS8_3ELb0ES6_jNS0_17counting_iteratorIjlEEPS9_SE_NS0_5tupleIJPjSE_EEENSF_IJSE_SE_EEES9_SG_JZNS1_25segmented_radix_sort_implINS0_14default_configELb0EPKsPsPKlPlN2at6native12_GLOBAL__N_18offset_tEEE10hipError_tPvRmT1_PNSt15iterator_traitsISY_E10value_typeET2_T3_PNSZ_IS14_E10value_typeET4_jRbjT5_S1A_jjP12ihipStream_tbEUljE_EEESV_SW_SX_S14_S18_S1A_T6_T7_T9_mT8_S1C_bDpT10_ENKUlT_T0_E_clISt17integral_constantIbLb0EES1P_EEDaS1K_S1L_EUlS1K_E_NS1_11comp_targetILNS1_3genE2ELNS1_11target_archE906ELNS1_3gpuE6ELNS1_3repE0EEENS1_30default_config_static_selectorELNS0_4arch9wavefront6targetE1EEEvSY_,comdat
.Lfunc_end985:
	.size	_ZN7rocprim17ROCPRIM_400000_NS6detail17trampoline_kernelINS0_13select_configILj256ELj13ELNS0_17block_load_methodE3ELS4_3ELS4_3ELNS0_20block_scan_algorithmE0ELj4294967295EEENS1_25partition_config_selectorILNS1_17partition_subalgoE3EjNS0_10empty_typeEbEEZZNS1_14partition_implILS8_3ELb0ES6_jNS0_17counting_iteratorIjlEEPS9_SE_NS0_5tupleIJPjSE_EEENSF_IJSE_SE_EEES9_SG_JZNS1_25segmented_radix_sort_implINS0_14default_configELb0EPKsPsPKlPlN2at6native12_GLOBAL__N_18offset_tEEE10hipError_tPvRmT1_PNSt15iterator_traitsISY_E10value_typeET2_T3_PNSZ_IS14_E10value_typeET4_jRbjT5_S1A_jjP12ihipStream_tbEUljE_EEESV_SW_SX_S14_S18_S1A_T6_T7_T9_mT8_S1C_bDpT10_ENKUlT_T0_E_clISt17integral_constantIbLb0EES1P_EEDaS1K_S1L_EUlS1K_E_NS1_11comp_targetILNS1_3genE2ELNS1_11target_archE906ELNS1_3gpuE6ELNS1_3repE0EEENS1_30default_config_static_selectorELNS0_4arch9wavefront6targetE1EEEvSY_, .Lfunc_end985-_ZN7rocprim17ROCPRIM_400000_NS6detail17trampoline_kernelINS0_13select_configILj256ELj13ELNS0_17block_load_methodE3ELS4_3ELS4_3ELNS0_20block_scan_algorithmE0ELj4294967295EEENS1_25partition_config_selectorILNS1_17partition_subalgoE3EjNS0_10empty_typeEbEEZZNS1_14partition_implILS8_3ELb0ES6_jNS0_17counting_iteratorIjlEEPS9_SE_NS0_5tupleIJPjSE_EEENSF_IJSE_SE_EEES9_SG_JZNS1_25segmented_radix_sort_implINS0_14default_configELb0EPKsPsPKlPlN2at6native12_GLOBAL__N_18offset_tEEE10hipError_tPvRmT1_PNSt15iterator_traitsISY_E10value_typeET2_T3_PNSZ_IS14_E10value_typeET4_jRbjT5_S1A_jjP12ihipStream_tbEUljE_EEESV_SW_SX_S14_S18_S1A_T6_T7_T9_mT8_S1C_bDpT10_ENKUlT_T0_E_clISt17integral_constantIbLb0EES1P_EEDaS1K_S1L_EUlS1K_E_NS1_11comp_targetILNS1_3genE2ELNS1_11target_archE906ELNS1_3gpuE6ELNS1_3repE0EEENS1_30default_config_static_selectorELNS0_4arch9wavefront6targetE1EEEvSY_
                                        ; -- End function
	.section	.AMDGPU.csdata,"",@progbits
; Kernel info:
; codeLenInByte = 0
; NumSgprs: 4
; NumVgprs: 0
; NumAgprs: 0
; TotalNumVgprs: 0
; ScratchSize: 0
; MemoryBound: 0
; FloatMode: 240
; IeeeMode: 1
; LDSByteSize: 0 bytes/workgroup (compile time only)
; SGPRBlocks: 0
; VGPRBlocks: 0
; NumSGPRsForWavesPerEU: 4
; NumVGPRsForWavesPerEU: 1
; AccumOffset: 4
; Occupancy: 8
; WaveLimiterHint : 0
; COMPUTE_PGM_RSRC2:SCRATCH_EN: 0
; COMPUTE_PGM_RSRC2:USER_SGPR: 6
; COMPUTE_PGM_RSRC2:TRAP_HANDLER: 0
; COMPUTE_PGM_RSRC2:TGID_X_EN: 1
; COMPUTE_PGM_RSRC2:TGID_Y_EN: 0
; COMPUTE_PGM_RSRC2:TGID_Z_EN: 0
; COMPUTE_PGM_RSRC2:TIDIG_COMP_CNT: 0
; COMPUTE_PGM_RSRC3_GFX90A:ACCUM_OFFSET: 0
; COMPUTE_PGM_RSRC3_GFX90A:TG_SPLIT: 0
	.section	.text._ZN7rocprim17ROCPRIM_400000_NS6detail17trampoline_kernelINS0_13select_configILj256ELj13ELNS0_17block_load_methodE3ELS4_3ELS4_3ELNS0_20block_scan_algorithmE0ELj4294967295EEENS1_25partition_config_selectorILNS1_17partition_subalgoE3EjNS0_10empty_typeEbEEZZNS1_14partition_implILS8_3ELb0ES6_jNS0_17counting_iteratorIjlEEPS9_SE_NS0_5tupleIJPjSE_EEENSF_IJSE_SE_EEES9_SG_JZNS1_25segmented_radix_sort_implINS0_14default_configELb0EPKsPsPKlPlN2at6native12_GLOBAL__N_18offset_tEEE10hipError_tPvRmT1_PNSt15iterator_traitsISY_E10value_typeET2_T3_PNSZ_IS14_E10value_typeET4_jRbjT5_S1A_jjP12ihipStream_tbEUljE_EEESV_SW_SX_S14_S18_S1A_T6_T7_T9_mT8_S1C_bDpT10_ENKUlT_T0_E_clISt17integral_constantIbLb0EES1P_EEDaS1K_S1L_EUlS1K_E_NS1_11comp_targetILNS1_3genE10ELNS1_11target_archE1200ELNS1_3gpuE4ELNS1_3repE0EEENS1_30default_config_static_selectorELNS0_4arch9wavefront6targetE1EEEvSY_,"axG",@progbits,_ZN7rocprim17ROCPRIM_400000_NS6detail17trampoline_kernelINS0_13select_configILj256ELj13ELNS0_17block_load_methodE3ELS4_3ELS4_3ELNS0_20block_scan_algorithmE0ELj4294967295EEENS1_25partition_config_selectorILNS1_17partition_subalgoE3EjNS0_10empty_typeEbEEZZNS1_14partition_implILS8_3ELb0ES6_jNS0_17counting_iteratorIjlEEPS9_SE_NS0_5tupleIJPjSE_EEENSF_IJSE_SE_EEES9_SG_JZNS1_25segmented_radix_sort_implINS0_14default_configELb0EPKsPsPKlPlN2at6native12_GLOBAL__N_18offset_tEEE10hipError_tPvRmT1_PNSt15iterator_traitsISY_E10value_typeET2_T3_PNSZ_IS14_E10value_typeET4_jRbjT5_S1A_jjP12ihipStream_tbEUljE_EEESV_SW_SX_S14_S18_S1A_T6_T7_T9_mT8_S1C_bDpT10_ENKUlT_T0_E_clISt17integral_constantIbLb0EES1P_EEDaS1K_S1L_EUlS1K_E_NS1_11comp_targetILNS1_3genE10ELNS1_11target_archE1200ELNS1_3gpuE4ELNS1_3repE0EEENS1_30default_config_static_selectorELNS0_4arch9wavefront6targetE1EEEvSY_,comdat
	.globl	_ZN7rocprim17ROCPRIM_400000_NS6detail17trampoline_kernelINS0_13select_configILj256ELj13ELNS0_17block_load_methodE3ELS4_3ELS4_3ELNS0_20block_scan_algorithmE0ELj4294967295EEENS1_25partition_config_selectorILNS1_17partition_subalgoE3EjNS0_10empty_typeEbEEZZNS1_14partition_implILS8_3ELb0ES6_jNS0_17counting_iteratorIjlEEPS9_SE_NS0_5tupleIJPjSE_EEENSF_IJSE_SE_EEES9_SG_JZNS1_25segmented_radix_sort_implINS0_14default_configELb0EPKsPsPKlPlN2at6native12_GLOBAL__N_18offset_tEEE10hipError_tPvRmT1_PNSt15iterator_traitsISY_E10value_typeET2_T3_PNSZ_IS14_E10value_typeET4_jRbjT5_S1A_jjP12ihipStream_tbEUljE_EEESV_SW_SX_S14_S18_S1A_T6_T7_T9_mT8_S1C_bDpT10_ENKUlT_T0_E_clISt17integral_constantIbLb0EES1P_EEDaS1K_S1L_EUlS1K_E_NS1_11comp_targetILNS1_3genE10ELNS1_11target_archE1200ELNS1_3gpuE4ELNS1_3repE0EEENS1_30default_config_static_selectorELNS0_4arch9wavefront6targetE1EEEvSY_ ; -- Begin function _ZN7rocprim17ROCPRIM_400000_NS6detail17trampoline_kernelINS0_13select_configILj256ELj13ELNS0_17block_load_methodE3ELS4_3ELS4_3ELNS0_20block_scan_algorithmE0ELj4294967295EEENS1_25partition_config_selectorILNS1_17partition_subalgoE3EjNS0_10empty_typeEbEEZZNS1_14partition_implILS8_3ELb0ES6_jNS0_17counting_iteratorIjlEEPS9_SE_NS0_5tupleIJPjSE_EEENSF_IJSE_SE_EEES9_SG_JZNS1_25segmented_radix_sort_implINS0_14default_configELb0EPKsPsPKlPlN2at6native12_GLOBAL__N_18offset_tEEE10hipError_tPvRmT1_PNSt15iterator_traitsISY_E10value_typeET2_T3_PNSZ_IS14_E10value_typeET4_jRbjT5_S1A_jjP12ihipStream_tbEUljE_EEESV_SW_SX_S14_S18_S1A_T6_T7_T9_mT8_S1C_bDpT10_ENKUlT_T0_E_clISt17integral_constantIbLb0EES1P_EEDaS1K_S1L_EUlS1K_E_NS1_11comp_targetILNS1_3genE10ELNS1_11target_archE1200ELNS1_3gpuE4ELNS1_3repE0EEENS1_30default_config_static_selectorELNS0_4arch9wavefront6targetE1EEEvSY_
	.p2align	8
	.type	_ZN7rocprim17ROCPRIM_400000_NS6detail17trampoline_kernelINS0_13select_configILj256ELj13ELNS0_17block_load_methodE3ELS4_3ELS4_3ELNS0_20block_scan_algorithmE0ELj4294967295EEENS1_25partition_config_selectorILNS1_17partition_subalgoE3EjNS0_10empty_typeEbEEZZNS1_14partition_implILS8_3ELb0ES6_jNS0_17counting_iteratorIjlEEPS9_SE_NS0_5tupleIJPjSE_EEENSF_IJSE_SE_EEES9_SG_JZNS1_25segmented_radix_sort_implINS0_14default_configELb0EPKsPsPKlPlN2at6native12_GLOBAL__N_18offset_tEEE10hipError_tPvRmT1_PNSt15iterator_traitsISY_E10value_typeET2_T3_PNSZ_IS14_E10value_typeET4_jRbjT5_S1A_jjP12ihipStream_tbEUljE_EEESV_SW_SX_S14_S18_S1A_T6_T7_T9_mT8_S1C_bDpT10_ENKUlT_T0_E_clISt17integral_constantIbLb0EES1P_EEDaS1K_S1L_EUlS1K_E_NS1_11comp_targetILNS1_3genE10ELNS1_11target_archE1200ELNS1_3gpuE4ELNS1_3repE0EEENS1_30default_config_static_selectorELNS0_4arch9wavefront6targetE1EEEvSY_,@function
_ZN7rocprim17ROCPRIM_400000_NS6detail17trampoline_kernelINS0_13select_configILj256ELj13ELNS0_17block_load_methodE3ELS4_3ELS4_3ELNS0_20block_scan_algorithmE0ELj4294967295EEENS1_25partition_config_selectorILNS1_17partition_subalgoE3EjNS0_10empty_typeEbEEZZNS1_14partition_implILS8_3ELb0ES6_jNS0_17counting_iteratorIjlEEPS9_SE_NS0_5tupleIJPjSE_EEENSF_IJSE_SE_EEES9_SG_JZNS1_25segmented_radix_sort_implINS0_14default_configELb0EPKsPsPKlPlN2at6native12_GLOBAL__N_18offset_tEEE10hipError_tPvRmT1_PNSt15iterator_traitsISY_E10value_typeET2_T3_PNSZ_IS14_E10value_typeET4_jRbjT5_S1A_jjP12ihipStream_tbEUljE_EEESV_SW_SX_S14_S18_S1A_T6_T7_T9_mT8_S1C_bDpT10_ENKUlT_T0_E_clISt17integral_constantIbLb0EES1P_EEDaS1K_S1L_EUlS1K_E_NS1_11comp_targetILNS1_3genE10ELNS1_11target_archE1200ELNS1_3gpuE4ELNS1_3repE0EEENS1_30default_config_static_selectorELNS0_4arch9wavefront6targetE1EEEvSY_: ; @_ZN7rocprim17ROCPRIM_400000_NS6detail17trampoline_kernelINS0_13select_configILj256ELj13ELNS0_17block_load_methodE3ELS4_3ELS4_3ELNS0_20block_scan_algorithmE0ELj4294967295EEENS1_25partition_config_selectorILNS1_17partition_subalgoE3EjNS0_10empty_typeEbEEZZNS1_14partition_implILS8_3ELb0ES6_jNS0_17counting_iteratorIjlEEPS9_SE_NS0_5tupleIJPjSE_EEENSF_IJSE_SE_EEES9_SG_JZNS1_25segmented_radix_sort_implINS0_14default_configELb0EPKsPsPKlPlN2at6native12_GLOBAL__N_18offset_tEEE10hipError_tPvRmT1_PNSt15iterator_traitsISY_E10value_typeET2_T3_PNSZ_IS14_E10value_typeET4_jRbjT5_S1A_jjP12ihipStream_tbEUljE_EEESV_SW_SX_S14_S18_S1A_T6_T7_T9_mT8_S1C_bDpT10_ENKUlT_T0_E_clISt17integral_constantIbLb0EES1P_EEDaS1K_S1L_EUlS1K_E_NS1_11comp_targetILNS1_3genE10ELNS1_11target_archE1200ELNS1_3gpuE4ELNS1_3repE0EEENS1_30default_config_static_selectorELNS0_4arch9wavefront6targetE1EEEvSY_
; %bb.0:
	.section	.rodata,"a",@progbits
	.p2align	6, 0x0
	.amdhsa_kernel _ZN7rocprim17ROCPRIM_400000_NS6detail17trampoline_kernelINS0_13select_configILj256ELj13ELNS0_17block_load_methodE3ELS4_3ELS4_3ELNS0_20block_scan_algorithmE0ELj4294967295EEENS1_25partition_config_selectorILNS1_17partition_subalgoE3EjNS0_10empty_typeEbEEZZNS1_14partition_implILS8_3ELb0ES6_jNS0_17counting_iteratorIjlEEPS9_SE_NS0_5tupleIJPjSE_EEENSF_IJSE_SE_EEES9_SG_JZNS1_25segmented_radix_sort_implINS0_14default_configELb0EPKsPsPKlPlN2at6native12_GLOBAL__N_18offset_tEEE10hipError_tPvRmT1_PNSt15iterator_traitsISY_E10value_typeET2_T3_PNSZ_IS14_E10value_typeET4_jRbjT5_S1A_jjP12ihipStream_tbEUljE_EEESV_SW_SX_S14_S18_S1A_T6_T7_T9_mT8_S1C_bDpT10_ENKUlT_T0_E_clISt17integral_constantIbLb0EES1P_EEDaS1K_S1L_EUlS1K_E_NS1_11comp_targetILNS1_3genE10ELNS1_11target_archE1200ELNS1_3gpuE4ELNS1_3repE0EEENS1_30default_config_static_selectorELNS0_4arch9wavefront6targetE1EEEvSY_
		.amdhsa_group_segment_fixed_size 0
		.amdhsa_private_segment_fixed_size 0
		.amdhsa_kernarg_size 144
		.amdhsa_user_sgpr_count 6
		.amdhsa_user_sgpr_private_segment_buffer 1
		.amdhsa_user_sgpr_dispatch_ptr 0
		.amdhsa_user_sgpr_queue_ptr 0
		.amdhsa_user_sgpr_kernarg_segment_ptr 1
		.amdhsa_user_sgpr_dispatch_id 0
		.amdhsa_user_sgpr_flat_scratch_init 0
		.amdhsa_user_sgpr_kernarg_preload_length 0
		.amdhsa_user_sgpr_kernarg_preload_offset 0
		.amdhsa_user_sgpr_private_segment_size 0
		.amdhsa_uses_dynamic_stack 0
		.amdhsa_system_sgpr_private_segment_wavefront_offset 0
		.amdhsa_system_sgpr_workgroup_id_x 1
		.amdhsa_system_sgpr_workgroup_id_y 0
		.amdhsa_system_sgpr_workgroup_id_z 0
		.amdhsa_system_sgpr_workgroup_info 0
		.amdhsa_system_vgpr_workitem_id 0
		.amdhsa_next_free_vgpr 1
		.amdhsa_next_free_sgpr 0
		.amdhsa_accum_offset 4
		.amdhsa_reserve_vcc 0
		.amdhsa_reserve_flat_scratch 0
		.amdhsa_float_round_mode_32 0
		.amdhsa_float_round_mode_16_64 0
		.amdhsa_float_denorm_mode_32 3
		.amdhsa_float_denorm_mode_16_64 3
		.amdhsa_dx10_clamp 1
		.amdhsa_ieee_mode 1
		.amdhsa_fp16_overflow 0
		.amdhsa_tg_split 0
		.amdhsa_exception_fp_ieee_invalid_op 0
		.amdhsa_exception_fp_denorm_src 0
		.amdhsa_exception_fp_ieee_div_zero 0
		.amdhsa_exception_fp_ieee_overflow 0
		.amdhsa_exception_fp_ieee_underflow 0
		.amdhsa_exception_fp_ieee_inexact 0
		.amdhsa_exception_int_div_zero 0
	.end_amdhsa_kernel
	.section	.text._ZN7rocprim17ROCPRIM_400000_NS6detail17trampoline_kernelINS0_13select_configILj256ELj13ELNS0_17block_load_methodE3ELS4_3ELS4_3ELNS0_20block_scan_algorithmE0ELj4294967295EEENS1_25partition_config_selectorILNS1_17partition_subalgoE3EjNS0_10empty_typeEbEEZZNS1_14partition_implILS8_3ELb0ES6_jNS0_17counting_iteratorIjlEEPS9_SE_NS0_5tupleIJPjSE_EEENSF_IJSE_SE_EEES9_SG_JZNS1_25segmented_radix_sort_implINS0_14default_configELb0EPKsPsPKlPlN2at6native12_GLOBAL__N_18offset_tEEE10hipError_tPvRmT1_PNSt15iterator_traitsISY_E10value_typeET2_T3_PNSZ_IS14_E10value_typeET4_jRbjT5_S1A_jjP12ihipStream_tbEUljE_EEESV_SW_SX_S14_S18_S1A_T6_T7_T9_mT8_S1C_bDpT10_ENKUlT_T0_E_clISt17integral_constantIbLb0EES1P_EEDaS1K_S1L_EUlS1K_E_NS1_11comp_targetILNS1_3genE10ELNS1_11target_archE1200ELNS1_3gpuE4ELNS1_3repE0EEENS1_30default_config_static_selectorELNS0_4arch9wavefront6targetE1EEEvSY_,"axG",@progbits,_ZN7rocprim17ROCPRIM_400000_NS6detail17trampoline_kernelINS0_13select_configILj256ELj13ELNS0_17block_load_methodE3ELS4_3ELS4_3ELNS0_20block_scan_algorithmE0ELj4294967295EEENS1_25partition_config_selectorILNS1_17partition_subalgoE3EjNS0_10empty_typeEbEEZZNS1_14partition_implILS8_3ELb0ES6_jNS0_17counting_iteratorIjlEEPS9_SE_NS0_5tupleIJPjSE_EEENSF_IJSE_SE_EEES9_SG_JZNS1_25segmented_radix_sort_implINS0_14default_configELb0EPKsPsPKlPlN2at6native12_GLOBAL__N_18offset_tEEE10hipError_tPvRmT1_PNSt15iterator_traitsISY_E10value_typeET2_T3_PNSZ_IS14_E10value_typeET4_jRbjT5_S1A_jjP12ihipStream_tbEUljE_EEESV_SW_SX_S14_S18_S1A_T6_T7_T9_mT8_S1C_bDpT10_ENKUlT_T0_E_clISt17integral_constantIbLb0EES1P_EEDaS1K_S1L_EUlS1K_E_NS1_11comp_targetILNS1_3genE10ELNS1_11target_archE1200ELNS1_3gpuE4ELNS1_3repE0EEENS1_30default_config_static_selectorELNS0_4arch9wavefront6targetE1EEEvSY_,comdat
.Lfunc_end986:
	.size	_ZN7rocprim17ROCPRIM_400000_NS6detail17trampoline_kernelINS0_13select_configILj256ELj13ELNS0_17block_load_methodE3ELS4_3ELS4_3ELNS0_20block_scan_algorithmE0ELj4294967295EEENS1_25partition_config_selectorILNS1_17partition_subalgoE3EjNS0_10empty_typeEbEEZZNS1_14partition_implILS8_3ELb0ES6_jNS0_17counting_iteratorIjlEEPS9_SE_NS0_5tupleIJPjSE_EEENSF_IJSE_SE_EEES9_SG_JZNS1_25segmented_radix_sort_implINS0_14default_configELb0EPKsPsPKlPlN2at6native12_GLOBAL__N_18offset_tEEE10hipError_tPvRmT1_PNSt15iterator_traitsISY_E10value_typeET2_T3_PNSZ_IS14_E10value_typeET4_jRbjT5_S1A_jjP12ihipStream_tbEUljE_EEESV_SW_SX_S14_S18_S1A_T6_T7_T9_mT8_S1C_bDpT10_ENKUlT_T0_E_clISt17integral_constantIbLb0EES1P_EEDaS1K_S1L_EUlS1K_E_NS1_11comp_targetILNS1_3genE10ELNS1_11target_archE1200ELNS1_3gpuE4ELNS1_3repE0EEENS1_30default_config_static_selectorELNS0_4arch9wavefront6targetE1EEEvSY_, .Lfunc_end986-_ZN7rocprim17ROCPRIM_400000_NS6detail17trampoline_kernelINS0_13select_configILj256ELj13ELNS0_17block_load_methodE3ELS4_3ELS4_3ELNS0_20block_scan_algorithmE0ELj4294967295EEENS1_25partition_config_selectorILNS1_17partition_subalgoE3EjNS0_10empty_typeEbEEZZNS1_14partition_implILS8_3ELb0ES6_jNS0_17counting_iteratorIjlEEPS9_SE_NS0_5tupleIJPjSE_EEENSF_IJSE_SE_EEES9_SG_JZNS1_25segmented_radix_sort_implINS0_14default_configELb0EPKsPsPKlPlN2at6native12_GLOBAL__N_18offset_tEEE10hipError_tPvRmT1_PNSt15iterator_traitsISY_E10value_typeET2_T3_PNSZ_IS14_E10value_typeET4_jRbjT5_S1A_jjP12ihipStream_tbEUljE_EEESV_SW_SX_S14_S18_S1A_T6_T7_T9_mT8_S1C_bDpT10_ENKUlT_T0_E_clISt17integral_constantIbLb0EES1P_EEDaS1K_S1L_EUlS1K_E_NS1_11comp_targetILNS1_3genE10ELNS1_11target_archE1200ELNS1_3gpuE4ELNS1_3repE0EEENS1_30default_config_static_selectorELNS0_4arch9wavefront6targetE1EEEvSY_
                                        ; -- End function
	.section	.AMDGPU.csdata,"",@progbits
; Kernel info:
; codeLenInByte = 0
; NumSgprs: 4
; NumVgprs: 0
; NumAgprs: 0
; TotalNumVgprs: 0
; ScratchSize: 0
; MemoryBound: 0
; FloatMode: 240
; IeeeMode: 1
; LDSByteSize: 0 bytes/workgroup (compile time only)
; SGPRBlocks: 0
; VGPRBlocks: 0
; NumSGPRsForWavesPerEU: 4
; NumVGPRsForWavesPerEU: 1
; AccumOffset: 4
; Occupancy: 8
; WaveLimiterHint : 0
; COMPUTE_PGM_RSRC2:SCRATCH_EN: 0
; COMPUTE_PGM_RSRC2:USER_SGPR: 6
; COMPUTE_PGM_RSRC2:TRAP_HANDLER: 0
; COMPUTE_PGM_RSRC2:TGID_X_EN: 1
; COMPUTE_PGM_RSRC2:TGID_Y_EN: 0
; COMPUTE_PGM_RSRC2:TGID_Z_EN: 0
; COMPUTE_PGM_RSRC2:TIDIG_COMP_CNT: 0
; COMPUTE_PGM_RSRC3_GFX90A:ACCUM_OFFSET: 0
; COMPUTE_PGM_RSRC3_GFX90A:TG_SPLIT: 0
	.section	.text._ZN7rocprim17ROCPRIM_400000_NS6detail17trampoline_kernelINS0_13select_configILj256ELj13ELNS0_17block_load_methodE3ELS4_3ELS4_3ELNS0_20block_scan_algorithmE0ELj4294967295EEENS1_25partition_config_selectorILNS1_17partition_subalgoE3EjNS0_10empty_typeEbEEZZNS1_14partition_implILS8_3ELb0ES6_jNS0_17counting_iteratorIjlEEPS9_SE_NS0_5tupleIJPjSE_EEENSF_IJSE_SE_EEES9_SG_JZNS1_25segmented_radix_sort_implINS0_14default_configELb0EPKsPsPKlPlN2at6native12_GLOBAL__N_18offset_tEEE10hipError_tPvRmT1_PNSt15iterator_traitsISY_E10value_typeET2_T3_PNSZ_IS14_E10value_typeET4_jRbjT5_S1A_jjP12ihipStream_tbEUljE_EEESV_SW_SX_S14_S18_S1A_T6_T7_T9_mT8_S1C_bDpT10_ENKUlT_T0_E_clISt17integral_constantIbLb0EES1P_EEDaS1K_S1L_EUlS1K_E_NS1_11comp_targetILNS1_3genE9ELNS1_11target_archE1100ELNS1_3gpuE3ELNS1_3repE0EEENS1_30default_config_static_selectorELNS0_4arch9wavefront6targetE1EEEvSY_,"axG",@progbits,_ZN7rocprim17ROCPRIM_400000_NS6detail17trampoline_kernelINS0_13select_configILj256ELj13ELNS0_17block_load_methodE3ELS4_3ELS4_3ELNS0_20block_scan_algorithmE0ELj4294967295EEENS1_25partition_config_selectorILNS1_17partition_subalgoE3EjNS0_10empty_typeEbEEZZNS1_14partition_implILS8_3ELb0ES6_jNS0_17counting_iteratorIjlEEPS9_SE_NS0_5tupleIJPjSE_EEENSF_IJSE_SE_EEES9_SG_JZNS1_25segmented_radix_sort_implINS0_14default_configELb0EPKsPsPKlPlN2at6native12_GLOBAL__N_18offset_tEEE10hipError_tPvRmT1_PNSt15iterator_traitsISY_E10value_typeET2_T3_PNSZ_IS14_E10value_typeET4_jRbjT5_S1A_jjP12ihipStream_tbEUljE_EEESV_SW_SX_S14_S18_S1A_T6_T7_T9_mT8_S1C_bDpT10_ENKUlT_T0_E_clISt17integral_constantIbLb0EES1P_EEDaS1K_S1L_EUlS1K_E_NS1_11comp_targetILNS1_3genE9ELNS1_11target_archE1100ELNS1_3gpuE3ELNS1_3repE0EEENS1_30default_config_static_selectorELNS0_4arch9wavefront6targetE1EEEvSY_,comdat
	.globl	_ZN7rocprim17ROCPRIM_400000_NS6detail17trampoline_kernelINS0_13select_configILj256ELj13ELNS0_17block_load_methodE3ELS4_3ELS4_3ELNS0_20block_scan_algorithmE0ELj4294967295EEENS1_25partition_config_selectorILNS1_17partition_subalgoE3EjNS0_10empty_typeEbEEZZNS1_14partition_implILS8_3ELb0ES6_jNS0_17counting_iteratorIjlEEPS9_SE_NS0_5tupleIJPjSE_EEENSF_IJSE_SE_EEES9_SG_JZNS1_25segmented_radix_sort_implINS0_14default_configELb0EPKsPsPKlPlN2at6native12_GLOBAL__N_18offset_tEEE10hipError_tPvRmT1_PNSt15iterator_traitsISY_E10value_typeET2_T3_PNSZ_IS14_E10value_typeET4_jRbjT5_S1A_jjP12ihipStream_tbEUljE_EEESV_SW_SX_S14_S18_S1A_T6_T7_T9_mT8_S1C_bDpT10_ENKUlT_T0_E_clISt17integral_constantIbLb0EES1P_EEDaS1K_S1L_EUlS1K_E_NS1_11comp_targetILNS1_3genE9ELNS1_11target_archE1100ELNS1_3gpuE3ELNS1_3repE0EEENS1_30default_config_static_selectorELNS0_4arch9wavefront6targetE1EEEvSY_ ; -- Begin function _ZN7rocprim17ROCPRIM_400000_NS6detail17trampoline_kernelINS0_13select_configILj256ELj13ELNS0_17block_load_methodE3ELS4_3ELS4_3ELNS0_20block_scan_algorithmE0ELj4294967295EEENS1_25partition_config_selectorILNS1_17partition_subalgoE3EjNS0_10empty_typeEbEEZZNS1_14partition_implILS8_3ELb0ES6_jNS0_17counting_iteratorIjlEEPS9_SE_NS0_5tupleIJPjSE_EEENSF_IJSE_SE_EEES9_SG_JZNS1_25segmented_radix_sort_implINS0_14default_configELb0EPKsPsPKlPlN2at6native12_GLOBAL__N_18offset_tEEE10hipError_tPvRmT1_PNSt15iterator_traitsISY_E10value_typeET2_T3_PNSZ_IS14_E10value_typeET4_jRbjT5_S1A_jjP12ihipStream_tbEUljE_EEESV_SW_SX_S14_S18_S1A_T6_T7_T9_mT8_S1C_bDpT10_ENKUlT_T0_E_clISt17integral_constantIbLb0EES1P_EEDaS1K_S1L_EUlS1K_E_NS1_11comp_targetILNS1_3genE9ELNS1_11target_archE1100ELNS1_3gpuE3ELNS1_3repE0EEENS1_30default_config_static_selectorELNS0_4arch9wavefront6targetE1EEEvSY_
	.p2align	8
	.type	_ZN7rocprim17ROCPRIM_400000_NS6detail17trampoline_kernelINS0_13select_configILj256ELj13ELNS0_17block_load_methodE3ELS4_3ELS4_3ELNS0_20block_scan_algorithmE0ELj4294967295EEENS1_25partition_config_selectorILNS1_17partition_subalgoE3EjNS0_10empty_typeEbEEZZNS1_14partition_implILS8_3ELb0ES6_jNS0_17counting_iteratorIjlEEPS9_SE_NS0_5tupleIJPjSE_EEENSF_IJSE_SE_EEES9_SG_JZNS1_25segmented_radix_sort_implINS0_14default_configELb0EPKsPsPKlPlN2at6native12_GLOBAL__N_18offset_tEEE10hipError_tPvRmT1_PNSt15iterator_traitsISY_E10value_typeET2_T3_PNSZ_IS14_E10value_typeET4_jRbjT5_S1A_jjP12ihipStream_tbEUljE_EEESV_SW_SX_S14_S18_S1A_T6_T7_T9_mT8_S1C_bDpT10_ENKUlT_T0_E_clISt17integral_constantIbLb0EES1P_EEDaS1K_S1L_EUlS1K_E_NS1_11comp_targetILNS1_3genE9ELNS1_11target_archE1100ELNS1_3gpuE3ELNS1_3repE0EEENS1_30default_config_static_selectorELNS0_4arch9wavefront6targetE1EEEvSY_,@function
_ZN7rocprim17ROCPRIM_400000_NS6detail17trampoline_kernelINS0_13select_configILj256ELj13ELNS0_17block_load_methodE3ELS4_3ELS4_3ELNS0_20block_scan_algorithmE0ELj4294967295EEENS1_25partition_config_selectorILNS1_17partition_subalgoE3EjNS0_10empty_typeEbEEZZNS1_14partition_implILS8_3ELb0ES6_jNS0_17counting_iteratorIjlEEPS9_SE_NS0_5tupleIJPjSE_EEENSF_IJSE_SE_EEES9_SG_JZNS1_25segmented_radix_sort_implINS0_14default_configELb0EPKsPsPKlPlN2at6native12_GLOBAL__N_18offset_tEEE10hipError_tPvRmT1_PNSt15iterator_traitsISY_E10value_typeET2_T3_PNSZ_IS14_E10value_typeET4_jRbjT5_S1A_jjP12ihipStream_tbEUljE_EEESV_SW_SX_S14_S18_S1A_T6_T7_T9_mT8_S1C_bDpT10_ENKUlT_T0_E_clISt17integral_constantIbLb0EES1P_EEDaS1K_S1L_EUlS1K_E_NS1_11comp_targetILNS1_3genE9ELNS1_11target_archE1100ELNS1_3gpuE3ELNS1_3repE0EEENS1_30default_config_static_selectorELNS0_4arch9wavefront6targetE1EEEvSY_: ; @_ZN7rocprim17ROCPRIM_400000_NS6detail17trampoline_kernelINS0_13select_configILj256ELj13ELNS0_17block_load_methodE3ELS4_3ELS4_3ELNS0_20block_scan_algorithmE0ELj4294967295EEENS1_25partition_config_selectorILNS1_17partition_subalgoE3EjNS0_10empty_typeEbEEZZNS1_14partition_implILS8_3ELb0ES6_jNS0_17counting_iteratorIjlEEPS9_SE_NS0_5tupleIJPjSE_EEENSF_IJSE_SE_EEES9_SG_JZNS1_25segmented_radix_sort_implINS0_14default_configELb0EPKsPsPKlPlN2at6native12_GLOBAL__N_18offset_tEEE10hipError_tPvRmT1_PNSt15iterator_traitsISY_E10value_typeET2_T3_PNSZ_IS14_E10value_typeET4_jRbjT5_S1A_jjP12ihipStream_tbEUljE_EEESV_SW_SX_S14_S18_S1A_T6_T7_T9_mT8_S1C_bDpT10_ENKUlT_T0_E_clISt17integral_constantIbLb0EES1P_EEDaS1K_S1L_EUlS1K_E_NS1_11comp_targetILNS1_3genE9ELNS1_11target_archE1100ELNS1_3gpuE3ELNS1_3repE0EEENS1_30default_config_static_selectorELNS0_4arch9wavefront6targetE1EEEvSY_
; %bb.0:
	.section	.rodata,"a",@progbits
	.p2align	6, 0x0
	.amdhsa_kernel _ZN7rocprim17ROCPRIM_400000_NS6detail17trampoline_kernelINS0_13select_configILj256ELj13ELNS0_17block_load_methodE3ELS4_3ELS4_3ELNS0_20block_scan_algorithmE0ELj4294967295EEENS1_25partition_config_selectorILNS1_17partition_subalgoE3EjNS0_10empty_typeEbEEZZNS1_14partition_implILS8_3ELb0ES6_jNS0_17counting_iteratorIjlEEPS9_SE_NS0_5tupleIJPjSE_EEENSF_IJSE_SE_EEES9_SG_JZNS1_25segmented_radix_sort_implINS0_14default_configELb0EPKsPsPKlPlN2at6native12_GLOBAL__N_18offset_tEEE10hipError_tPvRmT1_PNSt15iterator_traitsISY_E10value_typeET2_T3_PNSZ_IS14_E10value_typeET4_jRbjT5_S1A_jjP12ihipStream_tbEUljE_EEESV_SW_SX_S14_S18_S1A_T6_T7_T9_mT8_S1C_bDpT10_ENKUlT_T0_E_clISt17integral_constantIbLb0EES1P_EEDaS1K_S1L_EUlS1K_E_NS1_11comp_targetILNS1_3genE9ELNS1_11target_archE1100ELNS1_3gpuE3ELNS1_3repE0EEENS1_30default_config_static_selectorELNS0_4arch9wavefront6targetE1EEEvSY_
		.amdhsa_group_segment_fixed_size 0
		.amdhsa_private_segment_fixed_size 0
		.amdhsa_kernarg_size 144
		.amdhsa_user_sgpr_count 6
		.amdhsa_user_sgpr_private_segment_buffer 1
		.amdhsa_user_sgpr_dispatch_ptr 0
		.amdhsa_user_sgpr_queue_ptr 0
		.amdhsa_user_sgpr_kernarg_segment_ptr 1
		.amdhsa_user_sgpr_dispatch_id 0
		.amdhsa_user_sgpr_flat_scratch_init 0
		.amdhsa_user_sgpr_kernarg_preload_length 0
		.amdhsa_user_sgpr_kernarg_preload_offset 0
		.amdhsa_user_sgpr_private_segment_size 0
		.amdhsa_uses_dynamic_stack 0
		.amdhsa_system_sgpr_private_segment_wavefront_offset 0
		.amdhsa_system_sgpr_workgroup_id_x 1
		.amdhsa_system_sgpr_workgroup_id_y 0
		.amdhsa_system_sgpr_workgroup_id_z 0
		.amdhsa_system_sgpr_workgroup_info 0
		.amdhsa_system_vgpr_workitem_id 0
		.amdhsa_next_free_vgpr 1
		.amdhsa_next_free_sgpr 0
		.amdhsa_accum_offset 4
		.amdhsa_reserve_vcc 0
		.amdhsa_reserve_flat_scratch 0
		.amdhsa_float_round_mode_32 0
		.amdhsa_float_round_mode_16_64 0
		.amdhsa_float_denorm_mode_32 3
		.amdhsa_float_denorm_mode_16_64 3
		.amdhsa_dx10_clamp 1
		.amdhsa_ieee_mode 1
		.amdhsa_fp16_overflow 0
		.amdhsa_tg_split 0
		.amdhsa_exception_fp_ieee_invalid_op 0
		.amdhsa_exception_fp_denorm_src 0
		.amdhsa_exception_fp_ieee_div_zero 0
		.amdhsa_exception_fp_ieee_overflow 0
		.amdhsa_exception_fp_ieee_underflow 0
		.amdhsa_exception_fp_ieee_inexact 0
		.amdhsa_exception_int_div_zero 0
	.end_amdhsa_kernel
	.section	.text._ZN7rocprim17ROCPRIM_400000_NS6detail17trampoline_kernelINS0_13select_configILj256ELj13ELNS0_17block_load_methodE3ELS4_3ELS4_3ELNS0_20block_scan_algorithmE0ELj4294967295EEENS1_25partition_config_selectorILNS1_17partition_subalgoE3EjNS0_10empty_typeEbEEZZNS1_14partition_implILS8_3ELb0ES6_jNS0_17counting_iteratorIjlEEPS9_SE_NS0_5tupleIJPjSE_EEENSF_IJSE_SE_EEES9_SG_JZNS1_25segmented_radix_sort_implINS0_14default_configELb0EPKsPsPKlPlN2at6native12_GLOBAL__N_18offset_tEEE10hipError_tPvRmT1_PNSt15iterator_traitsISY_E10value_typeET2_T3_PNSZ_IS14_E10value_typeET4_jRbjT5_S1A_jjP12ihipStream_tbEUljE_EEESV_SW_SX_S14_S18_S1A_T6_T7_T9_mT8_S1C_bDpT10_ENKUlT_T0_E_clISt17integral_constantIbLb0EES1P_EEDaS1K_S1L_EUlS1K_E_NS1_11comp_targetILNS1_3genE9ELNS1_11target_archE1100ELNS1_3gpuE3ELNS1_3repE0EEENS1_30default_config_static_selectorELNS0_4arch9wavefront6targetE1EEEvSY_,"axG",@progbits,_ZN7rocprim17ROCPRIM_400000_NS6detail17trampoline_kernelINS0_13select_configILj256ELj13ELNS0_17block_load_methodE3ELS4_3ELS4_3ELNS0_20block_scan_algorithmE0ELj4294967295EEENS1_25partition_config_selectorILNS1_17partition_subalgoE3EjNS0_10empty_typeEbEEZZNS1_14partition_implILS8_3ELb0ES6_jNS0_17counting_iteratorIjlEEPS9_SE_NS0_5tupleIJPjSE_EEENSF_IJSE_SE_EEES9_SG_JZNS1_25segmented_radix_sort_implINS0_14default_configELb0EPKsPsPKlPlN2at6native12_GLOBAL__N_18offset_tEEE10hipError_tPvRmT1_PNSt15iterator_traitsISY_E10value_typeET2_T3_PNSZ_IS14_E10value_typeET4_jRbjT5_S1A_jjP12ihipStream_tbEUljE_EEESV_SW_SX_S14_S18_S1A_T6_T7_T9_mT8_S1C_bDpT10_ENKUlT_T0_E_clISt17integral_constantIbLb0EES1P_EEDaS1K_S1L_EUlS1K_E_NS1_11comp_targetILNS1_3genE9ELNS1_11target_archE1100ELNS1_3gpuE3ELNS1_3repE0EEENS1_30default_config_static_selectorELNS0_4arch9wavefront6targetE1EEEvSY_,comdat
.Lfunc_end987:
	.size	_ZN7rocprim17ROCPRIM_400000_NS6detail17trampoline_kernelINS0_13select_configILj256ELj13ELNS0_17block_load_methodE3ELS4_3ELS4_3ELNS0_20block_scan_algorithmE0ELj4294967295EEENS1_25partition_config_selectorILNS1_17partition_subalgoE3EjNS0_10empty_typeEbEEZZNS1_14partition_implILS8_3ELb0ES6_jNS0_17counting_iteratorIjlEEPS9_SE_NS0_5tupleIJPjSE_EEENSF_IJSE_SE_EEES9_SG_JZNS1_25segmented_radix_sort_implINS0_14default_configELb0EPKsPsPKlPlN2at6native12_GLOBAL__N_18offset_tEEE10hipError_tPvRmT1_PNSt15iterator_traitsISY_E10value_typeET2_T3_PNSZ_IS14_E10value_typeET4_jRbjT5_S1A_jjP12ihipStream_tbEUljE_EEESV_SW_SX_S14_S18_S1A_T6_T7_T9_mT8_S1C_bDpT10_ENKUlT_T0_E_clISt17integral_constantIbLb0EES1P_EEDaS1K_S1L_EUlS1K_E_NS1_11comp_targetILNS1_3genE9ELNS1_11target_archE1100ELNS1_3gpuE3ELNS1_3repE0EEENS1_30default_config_static_selectorELNS0_4arch9wavefront6targetE1EEEvSY_, .Lfunc_end987-_ZN7rocprim17ROCPRIM_400000_NS6detail17trampoline_kernelINS0_13select_configILj256ELj13ELNS0_17block_load_methodE3ELS4_3ELS4_3ELNS0_20block_scan_algorithmE0ELj4294967295EEENS1_25partition_config_selectorILNS1_17partition_subalgoE3EjNS0_10empty_typeEbEEZZNS1_14partition_implILS8_3ELb0ES6_jNS0_17counting_iteratorIjlEEPS9_SE_NS0_5tupleIJPjSE_EEENSF_IJSE_SE_EEES9_SG_JZNS1_25segmented_radix_sort_implINS0_14default_configELb0EPKsPsPKlPlN2at6native12_GLOBAL__N_18offset_tEEE10hipError_tPvRmT1_PNSt15iterator_traitsISY_E10value_typeET2_T3_PNSZ_IS14_E10value_typeET4_jRbjT5_S1A_jjP12ihipStream_tbEUljE_EEESV_SW_SX_S14_S18_S1A_T6_T7_T9_mT8_S1C_bDpT10_ENKUlT_T0_E_clISt17integral_constantIbLb0EES1P_EEDaS1K_S1L_EUlS1K_E_NS1_11comp_targetILNS1_3genE9ELNS1_11target_archE1100ELNS1_3gpuE3ELNS1_3repE0EEENS1_30default_config_static_selectorELNS0_4arch9wavefront6targetE1EEEvSY_
                                        ; -- End function
	.section	.AMDGPU.csdata,"",@progbits
; Kernel info:
; codeLenInByte = 0
; NumSgprs: 4
; NumVgprs: 0
; NumAgprs: 0
; TotalNumVgprs: 0
; ScratchSize: 0
; MemoryBound: 0
; FloatMode: 240
; IeeeMode: 1
; LDSByteSize: 0 bytes/workgroup (compile time only)
; SGPRBlocks: 0
; VGPRBlocks: 0
; NumSGPRsForWavesPerEU: 4
; NumVGPRsForWavesPerEU: 1
; AccumOffset: 4
; Occupancy: 8
; WaveLimiterHint : 0
; COMPUTE_PGM_RSRC2:SCRATCH_EN: 0
; COMPUTE_PGM_RSRC2:USER_SGPR: 6
; COMPUTE_PGM_RSRC2:TRAP_HANDLER: 0
; COMPUTE_PGM_RSRC2:TGID_X_EN: 1
; COMPUTE_PGM_RSRC2:TGID_Y_EN: 0
; COMPUTE_PGM_RSRC2:TGID_Z_EN: 0
; COMPUTE_PGM_RSRC2:TIDIG_COMP_CNT: 0
; COMPUTE_PGM_RSRC3_GFX90A:ACCUM_OFFSET: 0
; COMPUTE_PGM_RSRC3_GFX90A:TG_SPLIT: 0
	.section	.text._ZN7rocprim17ROCPRIM_400000_NS6detail17trampoline_kernelINS0_13select_configILj256ELj13ELNS0_17block_load_methodE3ELS4_3ELS4_3ELNS0_20block_scan_algorithmE0ELj4294967295EEENS1_25partition_config_selectorILNS1_17partition_subalgoE3EjNS0_10empty_typeEbEEZZNS1_14partition_implILS8_3ELb0ES6_jNS0_17counting_iteratorIjlEEPS9_SE_NS0_5tupleIJPjSE_EEENSF_IJSE_SE_EEES9_SG_JZNS1_25segmented_radix_sort_implINS0_14default_configELb0EPKsPsPKlPlN2at6native12_GLOBAL__N_18offset_tEEE10hipError_tPvRmT1_PNSt15iterator_traitsISY_E10value_typeET2_T3_PNSZ_IS14_E10value_typeET4_jRbjT5_S1A_jjP12ihipStream_tbEUljE_EEESV_SW_SX_S14_S18_S1A_T6_T7_T9_mT8_S1C_bDpT10_ENKUlT_T0_E_clISt17integral_constantIbLb0EES1P_EEDaS1K_S1L_EUlS1K_E_NS1_11comp_targetILNS1_3genE8ELNS1_11target_archE1030ELNS1_3gpuE2ELNS1_3repE0EEENS1_30default_config_static_selectorELNS0_4arch9wavefront6targetE1EEEvSY_,"axG",@progbits,_ZN7rocprim17ROCPRIM_400000_NS6detail17trampoline_kernelINS0_13select_configILj256ELj13ELNS0_17block_load_methodE3ELS4_3ELS4_3ELNS0_20block_scan_algorithmE0ELj4294967295EEENS1_25partition_config_selectorILNS1_17partition_subalgoE3EjNS0_10empty_typeEbEEZZNS1_14partition_implILS8_3ELb0ES6_jNS0_17counting_iteratorIjlEEPS9_SE_NS0_5tupleIJPjSE_EEENSF_IJSE_SE_EEES9_SG_JZNS1_25segmented_radix_sort_implINS0_14default_configELb0EPKsPsPKlPlN2at6native12_GLOBAL__N_18offset_tEEE10hipError_tPvRmT1_PNSt15iterator_traitsISY_E10value_typeET2_T3_PNSZ_IS14_E10value_typeET4_jRbjT5_S1A_jjP12ihipStream_tbEUljE_EEESV_SW_SX_S14_S18_S1A_T6_T7_T9_mT8_S1C_bDpT10_ENKUlT_T0_E_clISt17integral_constantIbLb0EES1P_EEDaS1K_S1L_EUlS1K_E_NS1_11comp_targetILNS1_3genE8ELNS1_11target_archE1030ELNS1_3gpuE2ELNS1_3repE0EEENS1_30default_config_static_selectorELNS0_4arch9wavefront6targetE1EEEvSY_,comdat
	.globl	_ZN7rocprim17ROCPRIM_400000_NS6detail17trampoline_kernelINS0_13select_configILj256ELj13ELNS0_17block_load_methodE3ELS4_3ELS4_3ELNS0_20block_scan_algorithmE0ELj4294967295EEENS1_25partition_config_selectorILNS1_17partition_subalgoE3EjNS0_10empty_typeEbEEZZNS1_14partition_implILS8_3ELb0ES6_jNS0_17counting_iteratorIjlEEPS9_SE_NS0_5tupleIJPjSE_EEENSF_IJSE_SE_EEES9_SG_JZNS1_25segmented_radix_sort_implINS0_14default_configELb0EPKsPsPKlPlN2at6native12_GLOBAL__N_18offset_tEEE10hipError_tPvRmT1_PNSt15iterator_traitsISY_E10value_typeET2_T3_PNSZ_IS14_E10value_typeET4_jRbjT5_S1A_jjP12ihipStream_tbEUljE_EEESV_SW_SX_S14_S18_S1A_T6_T7_T9_mT8_S1C_bDpT10_ENKUlT_T0_E_clISt17integral_constantIbLb0EES1P_EEDaS1K_S1L_EUlS1K_E_NS1_11comp_targetILNS1_3genE8ELNS1_11target_archE1030ELNS1_3gpuE2ELNS1_3repE0EEENS1_30default_config_static_selectorELNS0_4arch9wavefront6targetE1EEEvSY_ ; -- Begin function _ZN7rocprim17ROCPRIM_400000_NS6detail17trampoline_kernelINS0_13select_configILj256ELj13ELNS0_17block_load_methodE3ELS4_3ELS4_3ELNS0_20block_scan_algorithmE0ELj4294967295EEENS1_25partition_config_selectorILNS1_17partition_subalgoE3EjNS0_10empty_typeEbEEZZNS1_14partition_implILS8_3ELb0ES6_jNS0_17counting_iteratorIjlEEPS9_SE_NS0_5tupleIJPjSE_EEENSF_IJSE_SE_EEES9_SG_JZNS1_25segmented_radix_sort_implINS0_14default_configELb0EPKsPsPKlPlN2at6native12_GLOBAL__N_18offset_tEEE10hipError_tPvRmT1_PNSt15iterator_traitsISY_E10value_typeET2_T3_PNSZ_IS14_E10value_typeET4_jRbjT5_S1A_jjP12ihipStream_tbEUljE_EEESV_SW_SX_S14_S18_S1A_T6_T7_T9_mT8_S1C_bDpT10_ENKUlT_T0_E_clISt17integral_constantIbLb0EES1P_EEDaS1K_S1L_EUlS1K_E_NS1_11comp_targetILNS1_3genE8ELNS1_11target_archE1030ELNS1_3gpuE2ELNS1_3repE0EEENS1_30default_config_static_selectorELNS0_4arch9wavefront6targetE1EEEvSY_
	.p2align	8
	.type	_ZN7rocprim17ROCPRIM_400000_NS6detail17trampoline_kernelINS0_13select_configILj256ELj13ELNS0_17block_load_methodE3ELS4_3ELS4_3ELNS0_20block_scan_algorithmE0ELj4294967295EEENS1_25partition_config_selectorILNS1_17partition_subalgoE3EjNS0_10empty_typeEbEEZZNS1_14partition_implILS8_3ELb0ES6_jNS0_17counting_iteratorIjlEEPS9_SE_NS0_5tupleIJPjSE_EEENSF_IJSE_SE_EEES9_SG_JZNS1_25segmented_radix_sort_implINS0_14default_configELb0EPKsPsPKlPlN2at6native12_GLOBAL__N_18offset_tEEE10hipError_tPvRmT1_PNSt15iterator_traitsISY_E10value_typeET2_T3_PNSZ_IS14_E10value_typeET4_jRbjT5_S1A_jjP12ihipStream_tbEUljE_EEESV_SW_SX_S14_S18_S1A_T6_T7_T9_mT8_S1C_bDpT10_ENKUlT_T0_E_clISt17integral_constantIbLb0EES1P_EEDaS1K_S1L_EUlS1K_E_NS1_11comp_targetILNS1_3genE8ELNS1_11target_archE1030ELNS1_3gpuE2ELNS1_3repE0EEENS1_30default_config_static_selectorELNS0_4arch9wavefront6targetE1EEEvSY_,@function
_ZN7rocprim17ROCPRIM_400000_NS6detail17trampoline_kernelINS0_13select_configILj256ELj13ELNS0_17block_load_methodE3ELS4_3ELS4_3ELNS0_20block_scan_algorithmE0ELj4294967295EEENS1_25partition_config_selectorILNS1_17partition_subalgoE3EjNS0_10empty_typeEbEEZZNS1_14partition_implILS8_3ELb0ES6_jNS0_17counting_iteratorIjlEEPS9_SE_NS0_5tupleIJPjSE_EEENSF_IJSE_SE_EEES9_SG_JZNS1_25segmented_radix_sort_implINS0_14default_configELb0EPKsPsPKlPlN2at6native12_GLOBAL__N_18offset_tEEE10hipError_tPvRmT1_PNSt15iterator_traitsISY_E10value_typeET2_T3_PNSZ_IS14_E10value_typeET4_jRbjT5_S1A_jjP12ihipStream_tbEUljE_EEESV_SW_SX_S14_S18_S1A_T6_T7_T9_mT8_S1C_bDpT10_ENKUlT_T0_E_clISt17integral_constantIbLb0EES1P_EEDaS1K_S1L_EUlS1K_E_NS1_11comp_targetILNS1_3genE8ELNS1_11target_archE1030ELNS1_3gpuE2ELNS1_3repE0EEENS1_30default_config_static_selectorELNS0_4arch9wavefront6targetE1EEEvSY_: ; @_ZN7rocprim17ROCPRIM_400000_NS6detail17trampoline_kernelINS0_13select_configILj256ELj13ELNS0_17block_load_methodE3ELS4_3ELS4_3ELNS0_20block_scan_algorithmE0ELj4294967295EEENS1_25partition_config_selectorILNS1_17partition_subalgoE3EjNS0_10empty_typeEbEEZZNS1_14partition_implILS8_3ELb0ES6_jNS0_17counting_iteratorIjlEEPS9_SE_NS0_5tupleIJPjSE_EEENSF_IJSE_SE_EEES9_SG_JZNS1_25segmented_radix_sort_implINS0_14default_configELb0EPKsPsPKlPlN2at6native12_GLOBAL__N_18offset_tEEE10hipError_tPvRmT1_PNSt15iterator_traitsISY_E10value_typeET2_T3_PNSZ_IS14_E10value_typeET4_jRbjT5_S1A_jjP12ihipStream_tbEUljE_EEESV_SW_SX_S14_S18_S1A_T6_T7_T9_mT8_S1C_bDpT10_ENKUlT_T0_E_clISt17integral_constantIbLb0EES1P_EEDaS1K_S1L_EUlS1K_E_NS1_11comp_targetILNS1_3genE8ELNS1_11target_archE1030ELNS1_3gpuE2ELNS1_3repE0EEENS1_30default_config_static_selectorELNS0_4arch9wavefront6targetE1EEEvSY_
; %bb.0:
	.section	.rodata,"a",@progbits
	.p2align	6, 0x0
	.amdhsa_kernel _ZN7rocprim17ROCPRIM_400000_NS6detail17trampoline_kernelINS0_13select_configILj256ELj13ELNS0_17block_load_methodE3ELS4_3ELS4_3ELNS0_20block_scan_algorithmE0ELj4294967295EEENS1_25partition_config_selectorILNS1_17partition_subalgoE3EjNS0_10empty_typeEbEEZZNS1_14partition_implILS8_3ELb0ES6_jNS0_17counting_iteratorIjlEEPS9_SE_NS0_5tupleIJPjSE_EEENSF_IJSE_SE_EEES9_SG_JZNS1_25segmented_radix_sort_implINS0_14default_configELb0EPKsPsPKlPlN2at6native12_GLOBAL__N_18offset_tEEE10hipError_tPvRmT1_PNSt15iterator_traitsISY_E10value_typeET2_T3_PNSZ_IS14_E10value_typeET4_jRbjT5_S1A_jjP12ihipStream_tbEUljE_EEESV_SW_SX_S14_S18_S1A_T6_T7_T9_mT8_S1C_bDpT10_ENKUlT_T0_E_clISt17integral_constantIbLb0EES1P_EEDaS1K_S1L_EUlS1K_E_NS1_11comp_targetILNS1_3genE8ELNS1_11target_archE1030ELNS1_3gpuE2ELNS1_3repE0EEENS1_30default_config_static_selectorELNS0_4arch9wavefront6targetE1EEEvSY_
		.amdhsa_group_segment_fixed_size 0
		.amdhsa_private_segment_fixed_size 0
		.amdhsa_kernarg_size 144
		.amdhsa_user_sgpr_count 6
		.amdhsa_user_sgpr_private_segment_buffer 1
		.amdhsa_user_sgpr_dispatch_ptr 0
		.amdhsa_user_sgpr_queue_ptr 0
		.amdhsa_user_sgpr_kernarg_segment_ptr 1
		.amdhsa_user_sgpr_dispatch_id 0
		.amdhsa_user_sgpr_flat_scratch_init 0
		.amdhsa_user_sgpr_kernarg_preload_length 0
		.amdhsa_user_sgpr_kernarg_preload_offset 0
		.amdhsa_user_sgpr_private_segment_size 0
		.amdhsa_uses_dynamic_stack 0
		.amdhsa_system_sgpr_private_segment_wavefront_offset 0
		.amdhsa_system_sgpr_workgroup_id_x 1
		.amdhsa_system_sgpr_workgroup_id_y 0
		.amdhsa_system_sgpr_workgroup_id_z 0
		.amdhsa_system_sgpr_workgroup_info 0
		.amdhsa_system_vgpr_workitem_id 0
		.amdhsa_next_free_vgpr 1
		.amdhsa_next_free_sgpr 0
		.amdhsa_accum_offset 4
		.amdhsa_reserve_vcc 0
		.amdhsa_reserve_flat_scratch 0
		.amdhsa_float_round_mode_32 0
		.amdhsa_float_round_mode_16_64 0
		.amdhsa_float_denorm_mode_32 3
		.amdhsa_float_denorm_mode_16_64 3
		.amdhsa_dx10_clamp 1
		.amdhsa_ieee_mode 1
		.amdhsa_fp16_overflow 0
		.amdhsa_tg_split 0
		.amdhsa_exception_fp_ieee_invalid_op 0
		.amdhsa_exception_fp_denorm_src 0
		.amdhsa_exception_fp_ieee_div_zero 0
		.amdhsa_exception_fp_ieee_overflow 0
		.amdhsa_exception_fp_ieee_underflow 0
		.amdhsa_exception_fp_ieee_inexact 0
		.amdhsa_exception_int_div_zero 0
	.end_amdhsa_kernel
	.section	.text._ZN7rocprim17ROCPRIM_400000_NS6detail17trampoline_kernelINS0_13select_configILj256ELj13ELNS0_17block_load_methodE3ELS4_3ELS4_3ELNS0_20block_scan_algorithmE0ELj4294967295EEENS1_25partition_config_selectorILNS1_17partition_subalgoE3EjNS0_10empty_typeEbEEZZNS1_14partition_implILS8_3ELb0ES6_jNS0_17counting_iteratorIjlEEPS9_SE_NS0_5tupleIJPjSE_EEENSF_IJSE_SE_EEES9_SG_JZNS1_25segmented_radix_sort_implINS0_14default_configELb0EPKsPsPKlPlN2at6native12_GLOBAL__N_18offset_tEEE10hipError_tPvRmT1_PNSt15iterator_traitsISY_E10value_typeET2_T3_PNSZ_IS14_E10value_typeET4_jRbjT5_S1A_jjP12ihipStream_tbEUljE_EEESV_SW_SX_S14_S18_S1A_T6_T7_T9_mT8_S1C_bDpT10_ENKUlT_T0_E_clISt17integral_constantIbLb0EES1P_EEDaS1K_S1L_EUlS1K_E_NS1_11comp_targetILNS1_3genE8ELNS1_11target_archE1030ELNS1_3gpuE2ELNS1_3repE0EEENS1_30default_config_static_selectorELNS0_4arch9wavefront6targetE1EEEvSY_,"axG",@progbits,_ZN7rocprim17ROCPRIM_400000_NS6detail17trampoline_kernelINS0_13select_configILj256ELj13ELNS0_17block_load_methodE3ELS4_3ELS4_3ELNS0_20block_scan_algorithmE0ELj4294967295EEENS1_25partition_config_selectorILNS1_17partition_subalgoE3EjNS0_10empty_typeEbEEZZNS1_14partition_implILS8_3ELb0ES6_jNS0_17counting_iteratorIjlEEPS9_SE_NS0_5tupleIJPjSE_EEENSF_IJSE_SE_EEES9_SG_JZNS1_25segmented_radix_sort_implINS0_14default_configELb0EPKsPsPKlPlN2at6native12_GLOBAL__N_18offset_tEEE10hipError_tPvRmT1_PNSt15iterator_traitsISY_E10value_typeET2_T3_PNSZ_IS14_E10value_typeET4_jRbjT5_S1A_jjP12ihipStream_tbEUljE_EEESV_SW_SX_S14_S18_S1A_T6_T7_T9_mT8_S1C_bDpT10_ENKUlT_T0_E_clISt17integral_constantIbLb0EES1P_EEDaS1K_S1L_EUlS1K_E_NS1_11comp_targetILNS1_3genE8ELNS1_11target_archE1030ELNS1_3gpuE2ELNS1_3repE0EEENS1_30default_config_static_selectorELNS0_4arch9wavefront6targetE1EEEvSY_,comdat
.Lfunc_end988:
	.size	_ZN7rocprim17ROCPRIM_400000_NS6detail17trampoline_kernelINS0_13select_configILj256ELj13ELNS0_17block_load_methodE3ELS4_3ELS4_3ELNS0_20block_scan_algorithmE0ELj4294967295EEENS1_25partition_config_selectorILNS1_17partition_subalgoE3EjNS0_10empty_typeEbEEZZNS1_14partition_implILS8_3ELb0ES6_jNS0_17counting_iteratorIjlEEPS9_SE_NS0_5tupleIJPjSE_EEENSF_IJSE_SE_EEES9_SG_JZNS1_25segmented_radix_sort_implINS0_14default_configELb0EPKsPsPKlPlN2at6native12_GLOBAL__N_18offset_tEEE10hipError_tPvRmT1_PNSt15iterator_traitsISY_E10value_typeET2_T3_PNSZ_IS14_E10value_typeET4_jRbjT5_S1A_jjP12ihipStream_tbEUljE_EEESV_SW_SX_S14_S18_S1A_T6_T7_T9_mT8_S1C_bDpT10_ENKUlT_T0_E_clISt17integral_constantIbLb0EES1P_EEDaS1K_S1L_EUlS1K_E_NS1_11comp_targetILNS1_3genE8ELNS1_11target_archE1030ELNS1_3gpuE2ELNS1_3repE0EEENS1_30default_config_static_selectorELNS0_4arch9wavefront6targetE1EEEvSY_, .Lfunc_end988-_ZN7rocprim17ROCPRIM_400000_NS6detail17trampoline_kernelINS0_13select_configILj256ELj13ELNS0_17block_load_methodE3ELS4_3ELS4_3ELNS0_20block_scan_algorithmE0ELj4294967295EEENS1_25partition_config_selectorILNS1_17partition_subalgoE3EjNS0_10empty_typeEbEEZZNS1_14partition_implILS8_3ELb0ES6_jNS0_17counting_iteratorIjlEEPS9_SE_NS0_5tupleIJPjSE_EEENSF_IJSE_SE_EEES9_SG_JZNS1_25segmented_radix_sort_implINS0_14default_configELb0EPKsPsPKlPlN2at6native12_GLOBAL__N_18offset_tEEE10hipError_tPvRmT1_PNSt15iterator_traitsISY_E10value_typeET2_T3_PNSZ_IS14_E10value_typeET4_jRbjT5_S1A_jjP12ihipStream_tbEUljE_EEESV_SW_SX_S14_S18_S1A_T6_T7_T9_mT8_S1C_bDpT10_ENKUlT_T0_E_clISt17integral_constantIbLb0EES1P_EEDaS1K_S1L_EUlS1K_E_NS1_11comp_targetILNS1_3genE8ELNS1_11target_archE1030ELNS1_3gpuE2ELNS1_3repE0EEENS1_30default_config_static_selectorELNS0_4arch9wavefront6targetE1EEEvSY_
                                        ; -- End function
	.section	.AMDGPU.csdata,"",@progbits
; Kernel info:
; codeLenInByte = 0
; NumSgprs: 4
; NumVgprs: 0
; NumAgprs: 0
; TotalNumVgprs: 0
; ScratchSize: 0
; MemoryBound: 0
; FloatMode: 240
; IeeeMode: 1
; LDSByteSize: 0 bytes/workgroup (compile time only)
; SGPRBlocks: 0
; VGPRBlocks: 0
; NumSGPRsForWavesPerEU: 4
; NumVGPRsForWavesPerEU: 1
; AccumOffset: 4
; Occupancy: 8
; WaveLimiterHint : 0
; COMPUTE_PGM_RSRC2:SCRATCH_EN: 0
; COMPUTE_PGM_RSRC2:USER_SGPR: 6
; COMPUTE_PGM_RSRC2:TRAP_HANDLER: 0
; COMPUTE_PGM_RSRC2:TGID_X_EN: 1
; COMPUTE_PGM_RSRC2:TGID_Y_EN: 0
; COMPUTE_PGM_RSRC2:TGID_Z_EN: 0
; COMPUTE_PGM_RSRC2:TIDIG_COMP_CNT: 0
; COMPUTE_PGM_RSRC3_GFX90A:ACCUM_OFFSET: 0
; COMPUTE_PGM_RSRC3_GFX90A:TG_SPLIT: 0
	.section	.text._ZN7rocprim17ROCPRIM_400000_NS6detail17trampoline_kernelINS0_13select_configILj256ELj13ELNS0_17block_load_methodE3ELS4_3ELS4_3ELNS0_20block_scan_algorithmE0ELj4294967295EEENS1_25partition_config_selectorILNS1_17partition_subalgoE3EjNS0_10empty_typeEbEEZZNS1_14partition_implILS8_3ELb0ES6_jNS0_17counting_iteratorIjlEEPS9_SE_NS0_5tupleIJPjSE_EEENSF_IJSE_SE_EEES9_SG_JZNS1_25segmented_radix_sort_implINS0_14default_configELb0EPKsPsPKlPlN2at6native12_GLOBAL__N_18offset_tEEE10hipError_tPvRmT1_PNSt15iterator_traitsISY_E10value_typeET2_T3_PNSZ_IS14_E10value_typeET4_jRbjT5_S1A_jjP12ihipStream_tbEUljE_EEESV_SW_SX_S14_S18_S1A_T6_T7_T9_mT8_S1C_bDpT10_ENKUlT_T0_E_clISt17integral_constantIbLb1EES1P_EEDaS1K_S1L_EUlS1K_E_NS1_11comp_targetILNS1_3genE0ELNS1_11target_archE4294967295ELNS1_3gpuE0ELNS1_3repE0EEENS1_30default_config_static_selectorELNS0_4arch9wavefront6targetE1EEEvSY_,"axG",@progbits,_ZN7rocprim17ROCPRIM_400000_NS6detail17trampoline_kernelINS0_13select_configILj256ELj13ELNS0_17block_load_methodE3ELS4_3ELS4_3ELNS0_20block_scan_algorithmE0ELj4294967295EEENS1_25partition_config_selectorILNS1_17partition_subalgoE3EjNS0_10empty_typeEbEEZZNS1_14partition_implILS8_3ELb0ES6_jNS0_17counting_iteratorIjlEEPS9_SE_NS0_5tupleIJPjSE_EEENSF_IJSE_SE_EEES9_SG_JZNS1_25segmented_radix_sort_implINS0_14default_configELb0EPKsPsPKlPlN2at6native12_GLOBAL__N_18offset_tEEE10hipError_tPvRmT1_PNSt15iterator_traitsISY_E10value_typeET2_T3_PNSZ_IS14_E10value_typeET4_jRbjT5_S1A_jjP12ihipStream_tbEUljE_EEESV_SW_SX_S14_S18_S1A_T6_T7_T9_mT8_S1C_bDpT10_ENKUlT_T0_E_clISt17integral_constantIbLb1EES1P_EEDaS1K_S1L_EUlS1K_E_NS1_11comp_targetILNS1_3genE0ELNS1_11target_archE4294967295ELNS1_3gpuE0ELNS1_3repE0EEENS1_30default_config_static_selectorELNS0_4arch9wavefront6targetE1EEEvSY_,comdat
	.globl	_ZN7rocprim17ROCPRIM_400000_NS6detail17trampoline_kernelINS0_13select_configILj256ELj13ELNS0_17block_load_methodE3ELS4_3ELS4_3ELNS0_20block_scan_algorithmE0ELj4294967295EEENS1_25partition_config_selectorILNS1_17partition_subalgoE3EjNS0_10empty_typeEbEEZZNS1_14partition_implILS8_3ELb0ES6_jNS0_17counting_iteratorIjlEEPS9_SE_NS0_5tupleIJPjSE_EEENSF_IJSE_SE_EEES9_SG_JZNS1_25segmented_radix_sort_implINS0_14default_configELb0EPKsPsPKlPlN2at6native12_GLOBAL__N_18offset_tEEE10hipError_tPvRmT1_PNSt15iterator_traitsISY_E10value_typeET2_T3_PNSZ_IS14_E10value_typeET4_jRbjT5_S1A_jjP12ihipStream_tbEUljE_EEESV_SW_SX_S14_S18_S1A_T6_T7_T9_mT8_S1C_bDpT10_ENKUlT_T0_E_clISt17integral_constantIbLb1EES1P_EEDaS1K_S1L_EUlS1K_E_NS1_11comp_targetILNS1_3genE0ELNS1_11target_archE4294967295ELNS1_3gpuE0ELNS1_3repE0EEENS1_30default_config_static_selectorELNS0_4arch9wavefront6targetE1EEEvSY_ ; -- Begin function _ZN7rocprim17ROCPRIM_400000_NS6detail17trampoline_kernelINS0_13select_configILj256ELj13ELNS0_17block_load_methodE3ELS4_3ELS4_3ELNS0_20block_scan_algorithmE0ELj4294967295EEENS1_25partition_config_selectorILNS1_17partition_subalgoE3EjNS0_10empty_typeEbEEZZNS1_14partition_implILS8_3ELb0ES6_jNS0_17counting_iteratorIjlEEPS9_SE_NS0_5tupleIJPjSE_EEENSF_IJSE_SE_EEES9_SG_JZNS1_25segmented_radix_sort_implINS0_14default_configELb0EPKsPsPKlPlN2at6native12_GLOBAL__N_18offset_tEEE10hipError_tPvRmT1_PNSt15iterator_traitsISY_E10value_typeET2_T3_PNSZ_IS14_E10value_typeET4_jRbjT5_S1A_jjP12ihipStream_tbEUljE_EEESV_SW_SX_S14_S18_S1A_T6_T7_T9_mT8_S1C_bDpT10_ENKUlT_T0_E_clISt17integral_constantIbLb1EES1P_EEDaS1K_S1L_EUlS1K_E_NS1_11comp_targetILNS1_3genE0ELNS1_11target_archE4294967295ELNS1_3gpuE0ELNS1_3repE0EEENS1_30default_config_static_selectorELNS0_4arch9wavefront6targetE1EEEvSY_
	.p2align	8
	.type	_ZN7rocprim17ROCPRIM_400000_NS6detail17trampoline_kernelINS0_13select_configILj256ELj13ELNS0_17block_load_methodE3ELS4_3ELS4_3ELNS0_20block_scan_algorithmE0ELj4294967295EEENS1_25partition_config_selectorILNS1_17partition_subalgoE3EjNS0_10empty_typeEbEEZZNS1_14partition_implILS8_3ELb0ES6_jNS0_17counting_iteratorIjlEEPS9_SE_NS0_5tupleIJPjSE_EEENSF_IJSE_SE_EEES9_SG_JZNS1_25segmented_radix_sort_implINS0_14default_configELb0EPKsPsPKlPlN2at6native12_GLOBAL__N_18offset_tEEE10hipError_tPvRmT1_PNSt15iterator_traitsISY_E10value_typeET2_T3_PNSZ_IS14_E10value_typeET4_jRbjT5_S1A_jjP12ihipStream_tbEUljE_EEESV_SW_SX_S14_S18_S1A_T6_T7_T9_mT8_S1C_bDpT10_ENKUlT_T0_E_clISt17integral_constantIbLb1EES1P_EEDaS1K_S1L_EUlS1K_E_NS1_11comp_targetILNS1_3genE0ELNS1_11target_archE4294967295ELNS1_3gpuE0ELNS1_3repE0EEENS1_30default_config_static_selectorELNS0_4arch9wavefront6targetE1EEEvSY_,@function
_ZN7rocprim17ROCPRIM_400000_NS6detail17trampoline_kernelINS0_13select_configILj256ELj13ELNS0_17block_load_methodE3ELS4_3ELS4_3ELNS0_20block_scan_algorithmE0ELj4294967295EEENS1_25partition_config_selectorILNS1_17partition_subalgoE3EjNS0_10empty_typeEbEEZZNS1_14partition_implILS8_3ELb0ES6_jNS0_17counting_iteratorIjlEEPS9_SE_NS0_5tupleIJPjSE_EEENSF_IJSE_SE_EEES9_SG_JZNS1_25segmented_radix_sort_implINS0_14default_configELb0EPKsPsPKlPlN2at6native12_GLOBAL__N_18offset_tEEE10hipError_tPvRmT1_PNSt15iterator_traitsISY_E10value_typeET2_T3_PNSZ_IS14_E10value_typeET4_jRbjT5_S1A_jjP12ihipStream_tbEUljE_EEESV_SW_SX_S14_S18_S1A_T6_T7_T9_mT8_S1C_bDpT10_ENKUlT_T0_E_clISt17integral_constantIbLb1EES1P_EEDaS1K_S1L_EUlS1K_E_NS1_11comp_targetILNS1_3genE0ELNS1_11target_archE4294967295ELNS1_3gpuE0ELNS1_3repE0EEENS1_30default_config_static_selectorELNS0_4arch9wavefront6targetE1EEEvSY_: ; @_ZN7rocprim17ROCPRIM_400000_NS6detail17trampoline_kernelINS0_13select_configILj256ELj13ELNS0_17block_load_methodE3ELS4_3ELS4_3ELNS0_20block_scan_algorithmE0ELj4294967295EEENS1_25partition_config_selectorILNS1_17partition_subalgoE3EjNS0_10empty_typeEbEEZZNS1_14partition_implILS8_3ELb0ES6_jNS0_17counting_iteratorIjlEEPS9_SE_NS0_5tupleIJPjSE_EEENSF_IJSE_SE_EEES9_SG_JZNS1_25segmented_radix_sort_implINS0_14default_configELb0EPKsPsPKlPlN2at6native12_GLOBAL__N_18offset_tEEE10hipError_tPvRmT1_PNSt15iterator_traitsISY_E10value_typeET2_T3_PNSZ_IS14_E10value_typeET4_jRbjT5_S1A_jjP12ihipStream_tbEUljE_EEESV_SW_SX_S14_S18_S1A_T6_T7_T9_mT8_S1C_bDpT10_ENKUlT_T0_E_clISt17integral_constantIbLb1EES1P_EEDaS1K_S1L_EUlS1K_E_NS1_11comp_targetILNS1_3genE0ELNS1_11target_archE4294967295ELNS1_3gpuE0ELNS1_3repE0EEENS1_30default_config_static_selectorELNS0_4arch9wavefront6targetE1EEEvSY_
; %bb.0:
	.section	.rodata,"a",@progbits
	.p2align	6, 0x0
	.amdhsa_kernel _ZN7rocprim17ROCPRIM_400000_NS6detail17trampoline_kernelINS0_13select_configILj256ELj13ELNS0_17block_load_methodE3ELS4_3ELS4_3ELNS0_20block_scan_algorithmE0ELj4294967295EEENS1_25partition_config_selectorILNS1_17partition_subalgoE3EjNS0_10empty_typeEbEEZZNS1_14partition_implILS8_3ELb0ES6_jNS0_17counting_iteratorIjlEEPS9_SE_NS0_5tupleIJPjSE_EEENSF_IJSE_SE_EEES9_SG_JZNS1_25segmented_radix_sort_implINS0_14default_configELb0EPKsPsPKlPlN2at6native12_GLOBAL__N_18offset_tEEE10hipError_tPvRmT1_PNSt15iterator_traitsISY_E10value_typeET2_T3_PNSZ_IS14_E10value_typeET4_jRbjT5_S1A_jjP12ihipStream_tbEUljE_EEESV_SW_SX_S14_S18_S1A_T6_T7_T9_mT8_S1C_bDpT10_ENKUlT_T0_E_clISt17integral_constantIbLb1EES1P_EEDaS1K_S1L_EUlS1K_E_NS1_11comp_targetILNS1_3genE0ELNS1_11target_archE4294967295ELNS1_3gpuE0ELNS1_3repE0EEENS1_30default_config_static_selectorELNS0_4arch9wavefront6targetE1EEEvSY_
		.amdhsa_group_segment_fixed_size 0
		.amdhsa_private_segment_fixed_size 0
		.amdhsa_kernarg_size 152
		.amdhsa_user_sgpr_count 6
		.amdhsa_user_sgpr_private_segment_buffer 1
		.amdhsa_user_sgpr_dispatch_ptr 0
		.amdhsa_user_sgpr_queue_ptr 0
		.amdhsa_user_sgpr_kernarg_segment_ptr 1
		.amdhsa_user_sgpr_dispatch_id 0
		.amdhsa_user_sgpr_flat_scratch_init 0
		.amdhsa_user_sgpr_kernarg_preload_length 0
		.amdhsa_user_sgpr_kernarg_preload_offset 0
		.amdhsa_user_sgpr_private_segment_size 0
		.amdhsa_uses_dynamic_stack 0
		.amdhsa_system_sgpr_private_segment_wavefront_offset 0
		.amdhsa_system_sgpr_workgroup_id_x 1
		.amdhsa_system_sgpr_workgroup_id_y 0
		.amdhsa_system_sgpr_workgroup_id_z 0
		.amdhsa_system_sgpr_workgroup_info 0
		.amdhsa_system_vgpr_workitem_id 0
		.amdhsa_next_free_vgpr 1
		.amdhsa_next_free_sgpr 0
		.amdhsa_accum_offset 4
		.amdhsa_reserve_vcc 0
		.amdhsa_reserve_flat_scratch 0
		.amdhsa_float_round_mode_32 0
		.amdhsa_float_round_mode_16_64 0
		.amdhsa_float_denorm_mode_32 3
		.amdhsa_float_denorm_mode_16_64 3
		.amdhsa_dx10_clamp 1
		.amdhsa_ieee_mode 1
		.amdhsa_fp16_overflow 0
		.amdhsa_tg_split 0
		.amdhsa_exception_fp_ieee_invalid_op 0
		.amdhsa_exception_fp_denorm_src 0
		.amdhsa_exception_fp_ieee_div_zero 0
		.amdhsa_exception_fp_ieee_overflow 0
		.amdhsa_exception_fp_ieee_underflow 0
		.amdhsa_exception_fp_ieee_inexact 0
		.amdhsa_exception_int_div_zero 0
	.end_amdhsa_kernel
	.section	.text._ZN7rocprim17ROCPRIM_400000_NS6detail17trampoline_kernelINS0_13select_configILj256ELj13ELNS0_17block_load_methodE3ELS4_3ELS4_3ELNS0_20block_scan_algorithmE0ELj4294967295EEENS1_25partition_config_selectorILNS1_17partition_subalgoE3EjNS0_10empty_typeEbEEZZNS1_14partition_implILS8_3ELb0ES6_jNS0_17counting_iteratorIjlEEPS9_SE_NS0_5tupleIJPjSE_EEENSF_IJSE_SE_EEES9_SG_JZNS1_25segmented_radix_sort_implINS0_14default_configELb0EPKsPsPKlPlN2at6native12_GLOBAL__N_18offset_tEEE10hipError_tPvRmT1_PNSt15iterator_traitsISY_E10value_typeET2_T3_PNSZ_IS14_E10value_typeET4_jRbjT5_S1A_jjP12ihipStream_tbEUljE_EEESV_SW_SX_S14_S18_S1A_T6_T7_T9_mT8_S1C_bDpT10_ENKUlT_T0_E_clISt17integral_constantIbLb1EES1P_EEDaS1K_S1L_EUlS1K_E_NS1_11comp_targetILNS1_3genE0ELNS1_11target_archE4294967295ELNS1_3gpuE0ELNS1_3repE0EEENS1_30default_config_static_selectorELNS0_4arch9wavefront6targetE1EEEvSY_,"axG",@progbits,_ZN7rocprim17ROCPRIM_400000_NS6detail17trampoline_kernelINS0_13select_configILj256ELj13ELNS0_17block_load_methodE3ELS4_3ELS4_3ELNS0_20block_scan_algorithmE0ELj4294967295EEENS1_25partition_config_selectorILNS1_17partition_subalgoE3EjNS0_10empty_typeEbEEZZNS1_14partition_implILS8_3ELb0ES6_jNS0_17counting_iteratorIjlEEPS9_SE_NS0_5tupleIJPjSE_EEENSF_IJSE_SE_EEES9_SG_JZNS1_25segmented_radix_sort_implINS0_14default_configELb0EPKsPsPKlPlN2at6native12_GLOBAL__N_18offset_tEEE10hipError_tPvRmT1_PNSt15iterator_traitsISY_E10value_typeET2_T3_PNSZ_IS14_E10value_typeET4_jRbjT5_S1A_jjP12ihipStream_tbEUljE_EEESV_SW_SX_S14_S18_S1A_T6_T7_T9_mT8_S1C_bDpT10_ENKUlT_T0_E_clISt17integral_constantIbLb1EES1P_EEDaS1K_S1L_EUlS1K_E_NS1_11comp_targetILNS1_3genE0ELNS1_11target_archE4294967295ELNS1_3gpuE0ELNS1_3repE0EEENS1_30default_config_static_selectorELNS0_4arch9wavefront6targetE1EEEvSY_,comdat
.Lfunc_end989:
	.size	_ZN7rocprim17ROCPRIM_400000_NS6detail17trampoline_kernelINS0_13select_configILj256ELj13ELNS0_17block_load_methodE3ELS4_3ELS4_3ELNS0_20block_scan_algorithmE0ELj4294967295EEENS1_25partition_config_selectorILNS1_17partition_subalgoE3EjNS0_10empty_typeEbEEZZNS1_14partition_implILS8_3ELb0ES6_jNS0_17counting_iteratorIjlEEPS9_SE_NS0_5tupleIJPjSE_EEENSF_IJSE_SE_EEES9_SG_JZNS1_25segmented_radix_sort_implINS0_14default_configELb0EPKsPsPKlPlN2at6native12_GLOBAL__N_18offset_tEEE10hipError_tPvRmT1_PNSt15iterator_traitsISY_E10value_typeET2_T3_PNSZ_IS14_E10value_typeET4_jRbjT5_S1A_jjP12ihipStream_tbEUljE_EEESV_SW_SX_S14_S18_S1A_T6_T7_T9_mT8_S1C_bDpT10_ENKUlT_T0_E_clISt17integral_constantIbLb1EES1P_EEDaS1K_S1L_EUlS1K_E_NS1_11comp_targetILNS1_3genE0ELNS1_11target_archE4294967295ELNS1_3gpuE0ELNS1_3repE0EEENS1_30default_config_static_selectorELNS0_4arch9wavefront6targetE1EEEvSY_, .Lfunc_end989-_ZN7rocprim17ROCPRIM_400000_NS6detail17trampoline_kernelINS0_13select_configILj256ELj13ELNS0_17block_load_methodE3ELS4_3ELS4_3ELNS0_20block_scan_algorithmE0ELj4294967295EEENS1_25partition_config_selectorILNS1_17partition_subalgoE3EjNS0_10empty_typeEbEEZZNS1_14partition_implILS8_3ELb0ES6_jNS0_17counting_iteratorIjlEEPS9_SE_NS0_5tupleIJPjSE_EEENSF_IJSE_SE_EEES9_SG_JZNS1_25segmented_radix_sort_implINS0_14default_configELb0EPKsPsPKlPlN2at6native12_GLOBAL__N_18offset_tEEE10hipError_tPvRmT1_PNSt15iterator_traitsISY_E10value_typeET2_T3_PNSZ_IS14_E10value_typeET4_jRbjT5_S1A_jjP12ihipStream_tbEUljE_EEESV_SW_SX_S14_S18_S1A_T6_T7_T9_mT8_S1C_bDpT10_ENKUlT_T0_E_clISt17integral_constantIbLb1EES1P_EEDaS1K_S1L_EUlS1K_E_NS1_11comp_targetILNS1_3genE0ELNS1_11target_archE4294967295ELNS1_3gpuE0ELNS1_3repE0EEENS1_30default_config_static_selectorELNS0_4arch9wavefront6targetE1EEEvSY_
                                        ; -- End function
	.section	.AMDGPU.csdata,"",@progbits
; Kernel info:
; codeLenInByte = 0
; NumSgprs: 4
; NumVgprs: 0
; NumAgprs: 0
; TotalNumVgprs: 0
; ScratchSize: 0
; MemoryBound: 0
; FloatMode: 240
; IeeeMode: 1
; LDSByteSize: 0 bytes/workgroup (compile time only)
; SGPRBlocks: 0
; VGPRBlocks: 0
; NumSGPRsForWavesPerEU: 4
; NumVGPRsForWavesPerEU: 1
; AccumOffset: 4
; Occupancy: 8
; WaveLimiterHint : 0
; COMPUTE_PGM_RSRC2:SCRATCH_EN: 0
; COMPUTE_PGM_RSRC2:USER_SGPR: 6
; COMPUTE_PGM_RSRC2:TRAP_HANDLER: 0
; COMPUTE_PGM_RSRC2:TGID_X_EN: 1
; COMPUTE_PGM_RSRC2:TGID_Y_EN: 0
; COMPUTE_PGM_RSRC2:TGID_Z_EN: 0
; COMPUTE_PGM_RSRC2:TIDIG_COMP_CNT: 0
; COMPUTE_PGM_RSRC3_GFX90A:ACCUM_OFFSET: 0
; COMPUTE_PGM_RSRC3_GFX90A:TG_SPLIT: 0
	.section	.text._ZN7rocprim17ROCPRIM_400000_NS6detail17trampoline_kernelINS0_13select_configILj256ELj13ELNS0_17block_load_methodE3ELS4_3ELS4_3ELNS0_20block_scan_algorithmE0ELj4294967295EEENS1_25partition_config_selectorILNS1_17partition_subalgoE3EjNS0_10empty_typeEbEEZZNS1_14partition_implILS8_3ELb0ES6_jNS0_17counting_iteratorIjlEEPS9_SE_NS0_5tupleIJPjSE_EEENSF_IJSE_SE_EEES9_SG_JZNS1_25segmented_radix_sort_implINS0_14default_configELb0EPKsPsPKlPlN2at6native12_GLOBAL__N_18offset_tEEE10hipError_tPvRmT1_PNSt15iterator_traitsISY_E10value_typeET2_T3_PNSZ_IS14_E10value_typeET4_jRbjT5_S1A_jjP12ihipStream_tbEUljE_EEESV_SW_SX_S14_S18_S1A_T6_T7_T9_mT8_S1C_bDpT10_ENKUlT_T0_E_clISt17integral_constantIbLb1EES1P_EEDaS1K_S1L_EUlS1K_E_NS1_11comp_targetILNS1_3genE5ELNS1_11target_archE942ELNS1_3gpuE9ELNS1_3repE0EEENS1_30default_config_static_selectorELNS0_4arch9wavefront6targetE1EEEvSY_,"axG",@progbits,_ZN7rocprim17ROCPRIM_400000_NS6detail17trampoline_kernelINS0_13select_configILj256ELj13ELNS0_17block_load_methodE3ELS4_3ELS4_3ELNS0_20block_scan_algorithmE0ELj4294967295EEENS1_25partition_config_selectorILNS1_17partition_subalgoE3EjNS0_10empty_typeEbEEZZNS1_14partition_implILS8_3ELb0ES6_jNS0_17counting_iteratorIjlEEPS9_SE_NS0_5tupleIJPjSE_EEENSF_IJSE_SE_EEES9_SG_JZNS1_25segmented_radix_sort_implINS0_14default_configELb0EPKsPsPKlPlN2at6native12_GLOBAL__N_18offset_tEEE10hipError_tPvRmT1_PNSt15iterator_traitsISY_E10value_typeET2_T3_PNSZ_IS14_E10value_typeET4_jRbjT5_S1A_jjP12ihipStream_tbEUljE_EEESV_SW_SX_S14_S18_S1A_T6_T7_T9_mT8_S1C_bDpT10_ENKUlT_T0_E_clISt17integral_constantIbLb1EES1P_EEDaS1K_S1L_EUlS1K_E_NS1_11comp_targetILNS1_3genE5ELNS1_11target_archE942ELNS1_3gpuE9ELNS1_3repE0EEENS1_30default_config_static_selectorELNS0_4arch9wavefront6targetE1EEEvSY_,comdat
	.globl	_ZN7rocprim17ROCPRIM_400000_NS6detail17trampoline_kernelINS0_13select_configILj256ELj13ELNS0_17block_load_methodE3ELS4_3ELS4_3ELNS0_20block_scan_algorithmE0ELj4294967295EEENS1_25partition_config_selectorILNS1_17partition_subalgoE3EjNS0_10empty_typeEbEEZZNS1_14partition_implILS8_3ELb0ES6_jNS0_17counting_iteratorIjlEEPS9_SE_NS0_5tupleIJPjSE_EEENSF_IJSE_SE_EEES9_SG_JZNS1_25segmented_radix_sort_implINS0_14default_configELb0EPKsPsPKlPlN2at6native12_GLOBAL__N_18offset_tEEE10hipError_tPvRmT1_PNSt15iterator_traitsISY_E10value_typeET2_T3_PNSZ_IS14_E10value_typeET4_jRbjT5_S1A_jjP12ihipStream_tbEUljE_EEESV_SW_SX_S14_S18_S1A_T6_T7_T9_mT8_S1C_bDpT10_ENKUlT_T0_E_clISt17integral_constantIbLb1EES1P_EEDaS1K_S1L_EUlS1K_E_NS1_11comp_targetILNS1_3genE5ELNS1_11target_archE942ELNS1_3gpuE9ELNS1_3repE0EEENS1_30default_config_static_selectorELNS0_4arch9wavefront6targetE1EEEvSY_ ; -- Begin function _ZN7rocprim17ROCPRIM_400000_NS6detail17trampoline_kernelINS0_13select_configILj256ELj13ELNS0_17block_load_methodE3ELS4_3ELS4_3ELNS0_20block_scan_algorithmE0ELj4294967295EEENS1_25partition_config_selectorILNS1_17partition_subalgoE3EjNS0_10empty_typeEbEEZZNS1_14partition_implILS8_3ELb0ES6_jNS0_17counting_iteratorIjlEEPS9_SE_NS0_5tupleIJPjSE_EEENSF_IJSE_SE_EEES9_SG_JZNS1_25segmented_radix_sort_implINS0_14default_configELb0EPKsPsPKlPlN2at6native12_GLOBAL__N_18offset_tEEE10hipError_tPvRmT1_PNSt15iterator_traitsISY_E10value_typeET2_T3_PNSZ_IS14_E10value_typeET4_jRbjT5_S1A_jjP12ihipStream_tbEUljE_EEESV_SW_SX_S14_S18_S1A_T6_T7_T9_mT8_S1C_bDpT10_ENKUlT_T0_E_clISt17integral_constantIbLb1EES1P_EEDaS1K_S1L_EUlS1K_E_NS1_11comp_targetILNS1_3genE5ELNS1_11target_archE942ELNS1_3gpuE9ELNS1_3repE0EEENS1_30default_config_static_selectorELNS0_4arch9wavefront6targetE1EEEvSY_
	.p2align	8
	.type	_ZN7rocprim17ROCPRIM_400000_NS6detail17trampoline_kernelINS0_13select_configILj256ELj13ELNS0_17block_load_methodE3ELS4_3ELS4_3ELNS0_20block_scan_algorithmE0ELj4294967295EEENS1_25partition_config_selectorILNS1_17partition_subalgoE3EjNS0_10empty_typeEbEEZZNS1_14partition_implILS8_3ELb0ES6_jNS0_17counting_iteratorIjlEEPS9_SE_NS0_5tupleIJPjSE_EEENSF_IJSE_SE_EEES9_SG_JZNS1_25segmented_radix_sort_implINS0_14default_configELb0EPKsPsPKlPlN2at6native12_GLOBAL__N_18offset_tEEE10hipError_tPvRmT1_PNSt15iterator_traitsISY_E10value_typeET2_T3_PNSZ_IS14_E10value_typeET4_jRbjT5_S1A_jjP12ihipStream_tbEUljE_EEESV_SW_SX_S14_S18_S1A_T6_T7_T9_mT8_S1C_bDpT10_ENKUlT_T0_E_clISt17integral_constantIbLb1EES1P_EEDaS1K_S1L_EUlS1K_E_NS1_11comp_targetILNS1_3genE5ELNS1_11target_archE942ELNS1_3gpuE9ELNS1_3repE0EEENS1_30default_config_static_selectorELNS0_4arch9wavefront6targetE1EEEvSY_,@function
_ZN7rocprim17ROCPRIM_400000_NS6detail17trampoline_kernelINS0_13select_configILj256ELj13ELNS0_17block_load_methodE3ELS4_3ELS4_3ELNS0_20block_scan_algorithmE0ELj4294967295EEENS1_25partition_config_selectorILNS1_17partition_subalgoE3EjNS0_10empty_typeEbEEZZNS1_14partition_implILS8_3ELb0ES6_jNS0_17counting_iteratorIjlEEPS9_SE_NS0_5tupleIJPjSE_EEENSF_IJSE_SE_EEES9_SG_JZNS1_25segmented_radix_sort_implINS0_14default_configELb0EPKsPsPKlPlN2at6native12_GLOBAL__N_18offset_tEEE10hipError_tPvRmT1_PNSt15iterator_traitsISY_E10value_typeET2_T3_PNSZ_IS14_E10value_typeET4_jRbjT5_S1A_jjP12ihipStream_tbEUljE_EEESV_SW_SX_S14_S18_S1A_T6_T7_T9_mT8_S1C_bDpT10_ENKUlT_T0_E_clISt17integral_constantIbLb1EES1P_EEDaS1K_S1L_EUlS1K_E_NS1_11comp_targetILNS1_3genE5ELNS1_11target_archE942ELNS1_3gpuE9ELNS1_3repE0EEENS1_30default_config_static_selectorELNS0_4arch9wavefront6targetE1EEEvSY_: ; @_ZN7rocprim17ROCPRIM_400000_NS6detail17trampoline_kernelINS0_13select_configILj256ELj13ELNS0_17block_load_methodE3ELS4_3ELS4_3ELNS0_20block_scan_algorithmE0ELj4294967295EEENS1_25partition_config_selectorILNS1_17partition_subalgoE3EjNS0_10empty_typeEbEEZZNS1_14partition_implILS8_3ELb0ES6_jNS0_17counting_iteratorIjlEEPS9_SE_NS0_5tupleIJPjSE_EEENSF_IJSE_SE_EEES9_SG_JZNS1_25segmented_radix_sort_implINS0_14default_configELb0EPKsPsPKlPlN2at6native12_GLOBAL__N_18offset_tEEE10hipError_tPvRmT1_PNSt15iterator_traitsISY_E10value_typeET2_T3_PNSZ_IS14_E10value_typeET4_jRbjT5_S1A_jjP12ihipStream_tbEUljE_EEESV_SW_SX_S14_S18_S1A_T6_T7_T9_mT8_S1C_bDpT10_ENKUlT_T0_E_clISt17integral_constantIbLb1EES1P_EEDaS1K_S1L_EUlS1K_E_NS1_11comp_targetILNS1_3genE5ELNS1_11target_archE942ELNS1_3gpuE9ELNS1_3repE0EEENS1_30default_config_static_selectorELNS0_4arch9wavefront6targetE1EEEvSY_
; %bb.0:
	.section	.rodata,"a",@progbits
	.p2align	6, 0x0
	.amdhsa_kernel _ZN7rocprim17ROCPRIM_400000_NS6detail17trampoline_kernelINS0_13select_configILj256ELj13ELNS0_17block_load_methodE3ELS4_3ELS4_3ELNS0_20block_scan_algorithmE0ELj4294967295EEENS1_25partition_config_selectorILNS1_17partition_subalgoE3EjNS0_10empty_typeEbEEZZNS1_14partition_implILS8_3ELb0ES6_jNS0_17counting_iteratorIjlEEPS9_SE_NS0_5tupleIJPjSE_EEENSF_IJSE_SE_EEES9_SG_JZNS1_25segmented_radix_sort_implINS0_14default_configELb0EPKsPsPKlPlN2at6native12_GLOBAL__N_18offset_tEEE10hipError_tPvRmT1_PNSt15iterator_traitsISY_E10value_typeET2_T3_PNSZ_IS14_E10value_typeET4_jRbjT5_S1A_jjP12ihipStream_tbEUljE_EEESV_SW_SX_S14_S18_S1A_T6_T7_T9_mT8_S1C_bDpT10_ENKUlT_T0_E_clISt17integral_constantIbLb1EES1P_EEDaS1K_S1L_EUlS1K_E_NS1_11comp_targetILNS1_3genE5ELNS1_11target_archE942ELNS1_3gpuE9ELNS1_3repE0EEENS1_30default_config_static_selectorELNS0_4arch9wavefront6targetE1EEEvSY_
		.amdhsa_group_segment_fixed_size 0
		.amdhsa_private_segment_fixed_size 0
		.amdhsa_kernarg_size 152
		.amdhsa_user_sgpr_count 6
		.amdhsa_user_sgpr_private_segment_buffer 1
		.amdhsa_user_sgpr_dispatch_ptr 0
		.amdhsa_user_sgpr_queue_ptr 0
		.amdhsa_user_sgpr_kernarg_segment_ptr 1
		.amdhsa_user_sgpr_dispatch_id 0
		.amdhsa_user_sgpr_flat_scratch_init 0
		.amdhsa_user_sgpr_kernarg_preload_length 0
		.amdhsa_user_sgpr_kernarg_preload_offset 0
		.amdhsa_user_sgpr_private_segment_size 0
		.amdhsa_uses_dynamic_stack 0
		.amdhsa_system_sgpr_private_segment_wavefront_offset 0
		.amdhsa_system_sgpr_workgroup_id_x 1
		.amdhsa_system_sgpr_workgroup_id_y 0
		.amdhsa_system_sgpr_workgroup_id_z 0
		.amdhsa_system_sgpr_workgroup_info 0
		.amdhsa_system_vgpr_workitem_id 0
		.amdhsa_next_free_vgpr 1
		.amdhsa_next_free_sgpr 0
		.amdhsa_accum_offset 4
		.amdhsa_reserve_vcc 0
		.amdhsa_reserve_flat_scratch 0
		.amdhsa_float_round_mode_32 0
		.amdhsa_float_round_mode_16_64 0
		.amdhsa_float_denorm_mode_32 3
		.amdhsa_float_denorm_mode_16_64 3
		.amdhsa_dx10_clamp 1
		.amdhsa_ieee_mode 1
		.amdhsa_fp16_overflow 0
		.amdhsa_tg_split 0
		.amdhsa_exception_fp_ieee_invalid_op 0
		.amdhsa_exception_fp_denorm_src 0
		.amdhsa_exception_fp_ieee_div_zero 0
		.amdhsa_exception_fp_ieee_overflow 0
		.amdhsa_exception_fp_ieee_underflow 0
		.amdhsa_exception_fp_ieee_inexact 0
		.amdhsa_exception_int_div_zero 0
	.end_amdhsa_kernel
	.section	.text._ZN7rocprim17ROCPRIM_400000_NS6detail17trampoline_kernelINS0_13select_configILj256ELj13ELNS0_17block_load_methodE3ELS4_3ELS4_3ELNS0_20block_scan_algorithmE0ELj4294967295EEENS1_25partition_config_selectorILNS1_17partition_subalgoE3EjNS0_10empty_typeEbEEZZNS1_14partition_implILS8_3ELb0ES6_jNS0_17counting_iteratorIjlEEPS9_SE_NS0_5tupleIJPjSE_EEENSF_IJSE_SE_EEES9_SG_JZNS1_25segmented_radix_sort_implINS0_14default_configELb0EPKsPsPKlPlN2at6native12_GLOBAL__N_18offset_tEEE10hipError_tPvRmT1_PNSt15iterator_traitsISY_E10value_typeET2_T3_PNSZ_IS14_E10value_typeET4_jRbjT5_S1A_jjP12ihipStream_tbEUljE_EEESV_SW_SX_S14_S18_S1A_T6_T7_T9_mT8_S1C_bDpT10_ENKUlT_T0_E_clISt17integral_constantIbLb1EES1P_EEDaS1K_S1L_EUlS1K_E_NS1_11comp_targetILNS1_3genE5ELNS1_11target_archE942ELNS1_3gpuE9ELNS1_3repE0EEENS1_30default_config_static_selectorELNS0_4arch9wavefront6targetE1EEEvSY_,"axG",@progbits,_ZN7rocprim17ROCPRIM_400000_NS6detail17trampoline_kernelINS0_13select_configILj256ELj13ELNS0_17block_load_methodE3ELS4_3ELS4_3ELNS0_20block_scan_algorithmE0ELj4294967295EEENS1_25partition_config_selectorILNS1_17partition_subalgoE3EjNS0_10empty_typeEbEEZZNS1_14partition_implILS8_3ELb0ES6_jNS0_17counting_iteratorIjlEEPS9_SE_NS0_5tupleIJPjSE_EEENSF_IJSE_SE_EEES9_SG_JZNS1_25segmented_radix_sort_implINS0_14default_configELb0EPKsPsPKlPlN2at6native12_GLOBAL__N_18offset_tEEE10hipError_tPvRmT1_PNSt15iterator_traitsISY_E10value_typeET2_T3_PNSZ_IS14_E10value_typeET4_jRbjT5_S1A_jjP12ihipStream_tbEUljE_EEESV_SW_SX_S14_S18_S1A_T6_T7_T9_mT8_S1C_bDpT10_ENKUlT_T0_E_clISt17integral_constantIbLb1EES1P_EEDaS1K_S1L_EUlS1K_E_NS1_11comp_targetILNS1_3genE5ELNS1_11target_archE942ELNS1_3gpuE9ELNS1_3repE0EEENS1_30default_config_static_selectorELNS0_4arch9wavefront6targetE1EEEvSY_,comdat
.Lfunc_end990:
	.size	_ZN7rocprim17ROCPRIM_400000_NS6detail17trampoline_kernelINS0_13select_configILj256ELj13ELNS0_17block_load_methodE3ELS4_3ELS4_3ELNS0_20block_scan_algorithmE0ELj4294967295EEENS1_25partition_config_selectorILNS1_17partition_subalgoE3EjNS0_10empty_typeEbEEZZNS1_14partition_implILS8_3ELb0ES6_jNS0_17counting_iteratorIjlEEPS9_SE_NS0_5tupleIJPjSE_EEENSF_IJSE_SE_EEES9_SG_JZNS1_25segmented_radix_sort_implINS0_14default_configELb0EPKsPsPKlPlN2at6native12_GLOBAL__N_18offset_tEEE10hipError_tPvRmT1_PNSt15iterator_traitsISY_E10value_typeET2_T3_PNSZ_IS14_E10value_typeET4_jRbjT5_S1A_jjP12ihipStream_tbEUljE_EEESV_SW_SX_S14_S18_S1A_T6_T7_T9_mT8_S1C_bDpT10_ENKUlT_T0_E_clISt17integral_constantIbLb1EES1P_EEDaS1K_S1L_EUlS1K_E_NS1_11comp_targetILNS1_3genE5ELNS1_11target_archE942ELNS1_3gpuE9ELNS1_3repE0EEENS1_30default_config_static_selectorELNS0_4arch9wavefront6targetE1EEEvSY_, .Lfunc_end990-_ZN7rocprim17ROCPRIM_400000_NS6detail17trampoline_kernelINS0_13select_configILj256ELj13ELNS0_17block_load_methodE3ELS4_3ELS4_3ELNS0_20block_scan_algorithmE0ELj4294967295EEENS1_25partition_config_selectorILNS1_17partition_subalgoE3EjNS0_10empty_typeEbEEZZNS1_14partition_implILS8_3ELb0ES6_jNS0_17counting_iteratorIjlEEPS9_SE_NS0_5tupleIJPjSE_EEENSF_IJSE_SE_EEES9_SG_JZNS1_25segmented_radix_sort_implINS0_14default_configELb0EPKsPsPKlPlN2at6native12_GLOBAL__N_18offset_tEEE10hipError_tPvRmT1_PNSt15iterator_traitsISY_E10value_typeET2_T3_PNSZ_IS14_E10value_typeET4_jRbjT5_S1A_jjP12ihipStream_tbEUljE_EEESV_SW_SX_S14_S18_S1A_T6_T7_T9_mT8_S1C_bDpT10_ENKUlT_T0_E_clISt17integral_constantIbLb1EES1P_EEDaS1K_S1L_EUlS1K_E_NS1_11comp_targetILNS1_3genE5ELNS1_11target_archE942ELNS1_3gpuE9ELNS1_3repE0EEENS1_30default_config_static_selectorELNS0_4arch9wavefront6targetE1EEEvSY_
                                        ; -- End function
	.section	.AMDGPU.csdata,"",@progbits
; Kernel info:
; codeLenInByte = 0
; NumSgprs: 4
; NumVgprs: 0
; NumAgprs: 0
; TotalNumVgprs: 0
; ScratchSize: 0
; MemoryBound: 0
; FloatMode: 240
; IeeeMode: 1
; LDSByteSize: 0 bytes/workgroup (compile time only)
; SGPRBlocks: 0
; VGPRBlocks: 0
; NumSGPRsForWavesPerEU: 4
; NumVGPRsForWavesPerEU: 1
; AccumOffset: 4
; Occupancy: 8
; WaveLimiterHint : 0
; COMPUTE_PGM_RSRC2:SCRATCH_EN: 0
; COMPUTE_PGM_RSRC2:USER_SGPR: 6
; COMPUTE_PGM_RSRC2:TRAP_HANDLER: 0
; COMPUTE_PGM_RSRC2:TGID_X_EN: 1
; COMPUTE_PGM_RSRC2:TGID_Y_EN: 0
; COMPUTE_PGM_RSRC2:TGID_Z_EN: 0
; COMPUTE_PGM_RSRC2:TIDIG_COMP_CNT: 0
; COMPUTE_PGM_RSRC3_GFX90A:ACCUM_OFFSET: 0
; COMPUTE_PGM_RSRC3_GFX90A:TG_SPLIT: 0
	.section	.text._ZN7rocprim17ROCPRIM_400000_NS6detail17trampoline_kernelINS0_13select_configILj256ELj13ELNS0_17block_load_methodE3ELS4_3ELS4_3ELNS0_20block_scan_algorithmE0ELj4294967295EEENS1_25partition_config_selectorILNS1_17partition_subalgoE3EjNS0_10empty_typeEbEEZZNS1_14partition_implILS8_3ELb0ES6_jNS0_17counting_iteratorIjlEEPS9_SE_NS0_5tupleIJPjSE_EEENSF_IJSE_SE_EEES9_SG_JZNS1_25segmented_radix_sort_implINS0_14default_configELb0EPKsPsPKlPlN2at6native12_GLOBAL__N_18offset_tEEE10hipError_tPvRmT1_PNSt15iterator_traitsISY_E10value_typeET2_T3_PNSZ_IS14_E10value_typeET4_jRbjT5_S1A_jjP12ihipStream_tbEUljE_EEESV_SW_SX_S14_S18_S1A_T6_T7_T9_mT8_S1C_bDpT10_ENKUlT_T0_E_clISt17integral_constantIbLb1EES1P_EEDaS1K_S1L_EUlS1K_E_NS1_11comp_targetILNS1_3genE4ELNS1_11target_archE910ELNS1_3gpuE8ELNS1_3repE0EEENS1_30default_config_static_selectorELNS0_4arch9wavefront6targetE1EEEvSY_,"axG",@progbits,_ZN7rocprim17ROCPRIM_400000_NS6detail17trampoline_kernelINS0_13select_configILj256ELj13ELNS0_17block_load_methodE3ELS4_3ELS4_3ELNS0_20block_scan_algorithmE0ELj4294967295EEENS1_25partition_config_selectorILNS1_17partition_subalgoE3EjNS0_10empty_typeEbEEZZNS1_14partition_implILS8_3ELb0ES6_jNS0_17counting_iteratorIjlEEPS9_SE_NS0_5tupleIJPjSE_EEENSF_IJSE_SE_EEES9_SG_JZNS1_25segmented_radix_sort_implINS0_14default_configELb0EPKsPsPKlPlN2at6native12_GLOBAL__N_18offset_tEEE10hipError_tPvRmT1_PNSt15iterator_traitsISY_E10value_typeET2_T3_PNSZ_IS14_E10value_typeET4_jRbjT5_S1A_jjP12ihipStream_tbEUljE_EEESV_SW_SX_S14_S18_S1A_T6_T7_T9_mT8_S1C_bDpT10_ENKUlT_T0_E_clISt17integral_constantIbLb1EES1P_EEDaS1K_S1L_EUlS1K_E_NS1_11comp_targetILNS1_3genE4ELNS1_11target_archE910ELNS1_3gpuE8ELNS1_3repE0EEENS1_30default_config_static_selectorELNS0_4arch9wavefront6targetE1EEEvSY_,comdat
	.globl	_ZN7rocprim17ROCPRIM_400000_NS6detail17trampoline_kernelINS0_13select_configILj256ELj13ELNS0_17block_load_methodE3ELS4_3ELS4_3ELNS0_20block_scan_algorithmE0ELj4294967295EEENS1_25partition_config_selectorILNS1_17partition_subalgoE3EjNS0_10empty_typeEbEEZZNS1_14partition_implILS8_3ELb0ES6_jNS0_17counting_iteratorIjlEEPS9_SE_NS0_5tupleIJPjSE_EEENSF_IJSE_SE_EEES9_SG_JZNS1_25segmented_radix_sort_implINS0_14default_configELb0EPKsPsPKlPlN2at6native12_GLOBAL__N_18offset_tEEE10hipError_tPvRmT1_PNSt15iterator_traitsISY_E10value_typeET2_T3_PNSZ_IS14_E10value_typeET4_jRbjT5_S1A_jjP12ihipStream_tbEUljE_EEESV_SW_SX_S14_S18_S1A_T6_T7_T9_mT8_S1C_bDpT10_ENKUlT_T0_E_clISt17integral_constantIbLb1EES1P_EEDaS1K_S1L_EUlS1K_E_NS1_11comp_targetILNS1_3genE4ELNS1_11target_archE910ELNS1_3gpuE8ELNS1_3repE0EEENS1_30default_config_static_selectorELNS0_4arch9wavefront6targetE1EEEvSY_ ; -- Begin function _ZN7rocprim17ROCPRIM_400000_NS6detail17trampoline_kernelINS0_13select_configILj256ELj13ELNS0_17block_load_methodE3ELS4_3ELS4_3ELNS0_20block_scan_algorithmE0ELj4294967295EEENS1_25partition_config_selectorILNS1_17partition_subalgoE3EjNS0_10empty_typeEbEEZZNS1_14partition_implILS8_3ELb0ES6_jNS0_17counting_iteratorIjlEEPS9_SE_NS0_5tupleIJPjSE_EEENSF_IJSE_SE_EEES9_SG_JZNS1_25segmented_radix_sort_implINS0_14default_configELb0EPKsPsPKlPlN2at6native12_GLOBAL__N_18offset_tEEE10hipError_tPvRmT1_PNSt15iterator_traitsISY_E10value_typeET2_T3_PNSZ_IS14_E10value_typeET4_jRbjT5_S1A_jjP12ihipStream_tbEUljE_EEESV_SW_SX_S14_S18_S1A_T6_T7_T9_mT8_S1C_bDpT10_ENKUlT_T0_E_clISt17integral_constantIbLb1EES1P_EEDaS1K_S1L_EUlS1K_E_NS1_11comp_targetILNS1_3genE4ELNS1_11target_archE910ELNS1_3gpuE8ELNS1_3repE0EEENS1_30default_config_static_selectorELNS0_4arch9wavefront6targetE1EEEvSY_
	.p2align	8
	.type	_ZN7rocprim17ROCPRIM_400000_NS6detail17trampoline_kernelINS0_13select_configILj256ELj13ELNS0_17block_load_methodE3ELS4_3ELS4_3ELNS0_20block_scan_algorithmE0ELj4294967295EEENS1_25partition_config_selectorILNS1_17partition_subalgoE3EjNS0_10empty_typeEbEEZZNS1_14partition_implILS8_3ELb0ES6_jNS0_17counting_iteratorIjlEEPS9_SE_NS0_5tupleIJPjSE_EEENSF_IJSE_SE_EEES9_SG_JZNS1_25segmented_radix_sort_implINS0_14default_configELb0EPKsPsPKlPlN2at6native12_GLOBAL__N_18offset_tEEE10hipError_tPvRmT1_PNSt15iterator_traitsISY_E10value_typeET2_T3_PNSZ_IS14_E10value_typeET4_jRbjT5_S1A_jjP12ihipStream_tbEUljE_EEESV_SW_SX_S14_S18_S1A_T6_T7_T9_mT8_S1C_bDpT10_ENKUlT_T0_E_clISt17integral_constantIbLb1EES1P_EEDaS1K_S1L_EUlS1K_E_NS1_11comp_targetILNS1_3genE4ELNS1_11target_archE910ELNS1_3gpuE8ELNS1_3repE0EEENS1_30default_config_static_selectorELNS0_4arch9wavefront6targetE1EEEvSY_,@function
_ZN7rocprim17ROCPRIM_400000_NS6detail17trampoline_kernelINS0_13select_configILj256ELj13ELNS0_17block_load_methodE3ELS4_3ELS4_3ELNS0_20block_scan_algorithmE0ELj4294967295EEENS1_25partition_config_selectorILNS1_17partition_subalgoE3EjNS0_10empty_typeEbEEZZNS1_14partition_implILS8_3ELb0ES6_jNS0_17counting_iteratorIjlEEPS9_SE_NS0_5tupleIJPjSE_EEENSF_IJSE_SE_EEES9_SG_JZNS1_25segmented_radix_sort_implINS0_14default_configELb0EPKsPsPKlPlN2at6native12_GLOBAL__N_18offset_tEEE10hipError_tPvRmT1_PNSt15iterator_traitsISY_E10value_typeET2_T3_PNSZ_IS14_E10value_typeET4_jRbjT5_S1A_jjP12ihipStream_tbEUljE_EEESV_SW_SX_S14_S18_S1A_T6_T7_T9_mT8_S1C_bDpT10_ENKUlT_T0_E_clISt17integral_constantIbLb1EES1P_EEDaS1K_S1L_EUlS1K_E_NS1_11comp_targetILNS1_3genE4ELNS1_11target_archE910ELNS1_3gpuE8ELNS1_3repE0EEENS1_30default_config_static_selectorELNS0_4arch9wavefront6targetE1EEEvSY_: ; @_ZN7rocprim17ROCPRIM_400000_NS6detail17trampoline_kernelINS0_13select_configILj256ELj13ELNS0_17block_load_methodE3ELS4_3ELS4_3ELNS0_20block_scan_algorithmE0ELj4294967295EEENS1_25partition_config_selectorILNS1_17partition_subalgoE3EjNS0_10empty_typeEbEEZZNS1_14partition_implILS8_3ELb0ES6_jNS0_17counting_iteratorIjlEEPS9_SE_NS0_5tupleIJPjSE_EEENSF_IJSE_SE_EEES9_SG_JZNS1_25segmented_radix_sort_implINS0_14default_configELb0EPKsPsPKlPlN2at6native12_GLOBAL__N_18offset_tEEE10hipError_tPvRmT1_PNSt15iterator_traitsISY_E10value_typeET2_T3_PNSZ_IS14_E10value_typeET4_jRbjT5_S1A_jjP12ihipStream_tbEUljE_EEESV_SW_SX_S14_S18_S1A_T6_T7_T9_mT8_S1C_bDpT10_ENKUlT_T0_E_clISt17integral_constantIbLb1EES1P_EEDaS1K_S1L_EUlS1K_E_NS1_11comp_targetILNS1_3genE4ELNS1_11target_archE910ELNS1_3gpuE8ELNS1_3repE0EEENS1_30default_config_static_selectorELNS0_4arch9wavefront6targetE1EEEvSY_
; %bb.0:
	s_load_dwordx2 s[28:29], s[4:5], 0x10
	s_load_dwordx2 s[24:25], s[4:5], 0x28
	;; [unrolled: 1-line block ×3, first 2 shown]
	s_load_dwordx4 s[20:23], s[4:5], 0x48
	s_load_dword s14, s[4:5], 0x90
	s_load_dwordx2 s[30:31], s[4:5], 0x68
	s_load_dwordx4 s[8:11], s[4:5], 0x80
	v_cmp_eq_u32_e64 s[0:1], 0, v0
	s_and_saveexec_b64 s[2:3], s[0:1]
	s_cbranch_execz .LBB991_4
; %bb.1:
	s_mov_b64 s[12:13], exec
	v_mbcnt_lo_u32_b32 v1, s12, 0
	v_mbcnt_hi_u32_b32 v1, s13, v1
	v_cmp_eq_u32_e32 vcc, 0, v1
                                        ; implicit-def: $vgpr2
	s_and_saveexec_b64 s[6:7], vcc
	s_cbranch_execz .LBB991_3
; %bb.2:
	s_load_dwordx2 s[16:17], s[4:5], 0x78
	s_bcnt1_i32_b64 s12, s[12:13]
	v_mov_b32_e32 v2, 0
	v_mov_b32_e32 v3, s12
	s_waitcnt lgkmcnt(0)
	global_atomic_add v2, v2, v3, s[16:17] glc
.LBB991_3:
	s_or_b64 exec, exec, s[6:7]
	s_waitcnt vmcnt(0)
	v_readfirstlane_b32 s6, v2
	v_add_u32_e32 v1, s6, v1
	v_mov_b32_e32 v2, 0
	ds_write_b32 v2, v1
.LBB991_4:
	s_or_b64 exec, exec, s[2:3]
	v_mov_b32_e32 v1, 0
	s_load_dword s2, s[4:5], 0x8
	s_load_dword s6, s[4:5], 0x70
	s_waitcnt lgkmcnt(0)
	s_barrier
	ds_read_b32 v2, v1
	s_waitcnt lgkmcnt(0)
	s_barrier
	global_load_dwordx2 v[20:21], v1, s[22:23]
	s_add_i32 s7, s2, s28
	s_movk_i32 s2, 0xd00
	s_add_i32 s4, s6, -1
	s_mulk_i32 s6, 0xd00
	v_mul_lo_u32 v1, v2, s2
	s_add_u32 s2, s28, s6
	v_readfirstlane_b32 s40, v2
	s_addc_u32 s3, s29, 0
	s_cmp_eq_u32 s40, s4
	v_pk_mov_b32 v[2:3], s[26:27], s[26:27] op_sel:[0,1]
	s_cselect_b64 s[22:23], -1, 0
	s_cmp_lg_u32 s40, s4
	v_cmp_lt_u64_e32 vcc, s[2:3], v[2:3]
	s_cselect_b64 s[2:3], -1, 0
	s_or_b64 s[4:5], vcc, s[2:3]
	v_add_u32_e32 v2, s7, v1
	s_mov_b64 s[2:3], -1
	s_and_b64 vcc, exec, s[4:5]
	v_add_u32_e32 v2, v2, v0
	v_lshlrev_b32_e32 v34, 2, v0
	s_cbranch_vccz .LBB991_6
; %bb.5:
	v_add_u32_e32 v3, 0x100, v2
	v_add_u32_e32 v4, 0x200, v2
	v_add_u32_e32 v5, 0x300, v2
	v_add_u32_e32 v6, 0x400, v2
	v_add_u32_e32 v7, 0x500, v2
	v_add_u32_e32 v8, 0x600, v2
	v_add_u32_e32 v9, 0x700, v2
	v_add_u32_e32 v10, 0x800, v2
	v_add_u32_e32 v11, 0x900, v2
	v_add_u32_e32 v12, 0xa00, v2
	v_add_u32_e32 v13, 0xb00, v2
	v_add_u32_e32 v14, 0xc00, v2
	ds_write2st64_b32 v34, v2, v3 offset1:4
	ds_write2st64_b32 v34, v4, v5 offset0:8 offset1:12
	ds_write2st64_b32 v34, v6, v7 offset0:16 offset1:20
	;; [unrolled: 1-line block ×5, first 2 shown]
	ds_write_b32 v34, v14 offset:12288
	s_waitcnt lgkmcnt(0)
	s_barrier
	s_mov_b64 s[2:3], 0
.LBB991_6:
	s_andn2_b64 vcc, exec, s[2:3]
	s_add_i32 s6, s6, s28
	s_cbranch_vccnz .LBB991_8
; %bb.7:
	v_add_u32_e32 v3, 0x100, v2
	v_add_u32_e32 v4, 0x200, v2
	;; [unrolled: 1-line block ×12, first 2 shown]
	ds_write2st64_b32 v34, v2, v3 offset1:4
	ds_write2st64_b32 v34, v4, v5 offset0:8 offset1:12
	ds_write2st64_b32 v34, v6, v7 offset0:16 offset1:20
	;; [unrolled: 1-line block ×5, first 2 shown]
	ds_write_b32 v34, v14 offset:12288
	s_waitcnt lgkmcnt(0)
	s_barrier
.LBB991_8:
	v_mul_u32_u24_e32 v36, 13, v0
	v_lshlrev_b32_e32 v2, 2, v36
	ds_read2_b32 v[32:33], v2 offset1:1
	ds_read2_b32 v[30:31], v2 offset0:2 offset1:3
	ds_read2_b32 v[28:29], v2 offset0:4 offset1:5
	;; [unrolled: 1-line block ×5, first 2 shown]
	ds_read_b32 v35, v2 offset:48
	v_cndmask_b32_e64 v2, 0, 1, s[4:5]
	s_sub_i32 s33, s26, s6
	v_cmp_ne_u32_e64 s[2:3], 1, v2
	s_andn2_b64 vcc, exec, s[4:5]
	s_waitcnt lgkmcnt(0)
	s_barrier
	s_cbranch_vccnz .LBB991_10
; %bb.9:
	v_add_u32_e32 v2, s9, v32
	v_add_u32_e32 v3, s11, v32
	v_mul_lo_u32 v2, v2, s8
	v_mul_lo_u32 v3, v3, s10
	v_sub_u32_e32 v2, v2, v3
	v_add_u32_e32 v3, s9, v33
	v_add_u32_e32 v4, s11, v33
	v_mul_lo_u32 v3, v3, s8
	v_mul_lo_u32 v4, v4, s10
	v_sub_u32_e32 v3, v3, v4
	;; [unrolled: 5-line block ×6, first 2 shown]
	v_add_u32_e32 v8, s9, v26
	v_add_u32_e32 v9, s11, v26
	v_mul_lo_u32 v8, v8, s8
	v_mul_lo_u32 v9, v9, s10
	v_cmp_lt_u32_e32 vcc, s14, v2
	v_sub_u32_e32 v8, v8, v9
	v_add_u32_e32 v9, s9, v27
	v_add_u32_e32 v10, s11, v27
	v_cndmask_b32_e64 v2, 0, 1, vcc
	v_cmp_lt_u32_e32 vcc, s14, v3
	v_mul_lo_u32 v9, v9, s8
	v_mul_lo_u32 v10, v10, s10
	v_cndmask_b32_e64 v3, 0, 1, vcc
	v_cmp_lt_u32_e32 vcc, s14, v4
	v_sub_u32_e32 v9, v9, v10
	v_add_u32_e32 v10, s9, v24
	v_add_u32_e32 v11, s11, v24
	v_cndmask_b32_e64 v4, 0, 1, vcc
	v_cmp_lt_u32_e32 vcc, s14, v5
	v_mul_lo_u32 v10, v10, s8
	v_mul_lo_u32 v11, v11, s10
	v_cndmask_b32_e64 v5, 0, 1, vcc
	;; [unrolled: 9-line block ×4, first 2 shown]
	v_cmp_lt_u32_e32 vcc, s14, v10
	v_sub_u32_e32 v12, v12, v13
	v_add_u32_e32 v13, s9, v23
	v_add_u32_e32 v14, s11, v23
	v_lshlrev_b16_e32 v3, 8, v3
	v_cndmask_b32_e64 v10, 0, 1, vcc
	v_cmp_lt_u32_e32 vcc, s14, v11
	v_mul_lo_u32 v13, v13, s8
	v_mul_lo_u32 v14, v14, s10
	v_or_b32_e32 v2, v2, v3
	v_lshlrev_b16_e32 v3, 8, v5
	v_cndmask_b32_e64 v11, 0, 1, vcc
	v_cmp_lt_u32_e32 vcc, s14, v12
	v_sub_u32_e32 v13, v13, v14
	v_or_b32_sdwa v3, v4, v3 dst_sel:WORD_1 dst_unused:UNUSED_PAD src0_sel:DWORD src1_sel:DWORD
	v_cndmask_b32_e64 v12, 0, 1, vcc
	v_cmp_lt_u32_e32 vcc, s14, v13
	v_add_u32_e32 v14, s9, v35
	v_add_u32_e32 v15, s11, v35
	v_or_b32_sdwa v40, v2, v3 dst_sel:DWORD dst_unused:UNUSED_PAD src0_sel:WORD_0 src1_sel:DWORD
	v_lshlrev_b16_e32 v2, 8, v7
	v_lshlrev_b16_e32 v3, 8, v9
	v_cndmask_b32_e64 v13, 0, 1, vcc
	v_mul_lo_u32 v14, v14, s8
	v_mul_lo_u32 v15, v15, s10
	v_or_b32_e32 v2, v6, v2
	v_or_b32_sdwa v3, v8, v3 dst_sel:WORD_1 dst_unused:UNUSED_PAD src0_sel:DWORD src1_sel:DWORD
	v_sub_u32_e32 v14, v14, v15
	v_or_b32_sdwa v39, v2, v3 dst_sel:DWORD dst_unused:UNUSED_PAD src0_sel:WORD_0 src1_sel:DWORD
	v_lshlrev_b16_e32 v2, 8, v11
	v_lshlrev_b16_e32 v3, 8, v13
	v_cmp_lt_u32_e32 vcc, s14, v14
	v_or_b32_e32 v2, v10, v2
	v_or_b32_sdwa v3, v12, v3 dst_sel:WORD_1 dst_unused:UNUSED_PAD src0_sel:DWORD src1_sel:DWORD
	v_cndmask_b32_e64 v37, 0, 1, vcc
	v_or_b32_sdwa v38, v2, v3 dst_sel:DWORD dst_unused:UNUSED_PAD src0_sel:WORD_0 src1_sel:DWORD
	s_addk_i32 s33, 0xd00
	s_cbranch_execz .LBB991_11
	s_branch .LBB991_38
.LBB991_10:
                                        ; implicit-def: $vgpr37
                                        ; implicit-def: $vgpr38
                                        ; implicit-def: $vgpr39
                                        ; implicit-def: $vgpr40
	s_addk_i32 s33, 0xd00
.LBB991_11:
	v_cmp_gt_u32_e32 vcc, s33, v36
	v_mov_b32_e32 v3, 0
	v_mov_b32_e32 v2, 0
	s_and_saveexec_b64 s[4:5], vcc
; %bb.12:
	v_add_u32_e32 v2, s9, v32
	v_add_u32_e32 v4, s11, v32
	v_mul_lo_u32 v2, v2, s8
	v_mul_lo_u32 v4, v4, s10
	v_sub_u32_e32 v2, v2, v4
	v_cmp_lt_u32_e32 vcc, s14, v2
	v_cndmask_b32_e64 v2, 0, 1, vcc
; %bb.13:
	s_or_b64 exec, exec, s[4:5]
	v_add_u32_e32 v4, 1, v36
	v_cmp_gt_u32_e32 vcc, s33, v4
	s_and_saveexec_b64 s[4:5], vcc
; %bb.14:
	v_add_u32_e32 v3, s9, v33
	v_add_u32_e32 v4, s11, v33
	v_mul_lo_u32 v3, v3, s8
	v_mul_lo_u32 v4, v4, s10
	v_sub_u32_e32 v3, v3, v4
	v_cmp_lt_u32_e32 vcc, s14, v3
	v_cndmask_b32_e64 v3, 0, 1, vcc
; %bb.15:
	s_or_b64 exec, exec, s[4:5]
	v_add_u32_e32 v4, 2, v36
	v_cmp_gt_u32_e32 vcc, s33, v4
	v_mov_b32_e32 v5, 0
	v_mov_b32_e32 v4, 0
	s_and_saveexec_b64 s[4:5], vcc
; %bb.16:
	v_add_u32_e32 v4, s9, v30
	v_add_u32_e32 v6, s11, v30
	v_mul_lo_u32 v4, v4, s8
	v_mul_lo_u32 v6, v6, s10
	v_sub_u32_e32 v4, v4, v6
	v_cmp_lt_u32_e32 vcc, s14, v4
	v_cndmask_b32_e64 v4, 0, 1, vcc
; %bb.17:
	s_or_b64 exec, exec, s[4:5]
	v_add_u32_e32 v6, 3, v36
	v_cmp_gt_u32_e32 vcc, s33, v6
	s_and_saveexec_b64 s[4:5], vcc
; %bb.18:
	v_add_u32_e32 v5, s9, v31
	v_add_u32_e32 v6, s11, v31
	v_mul_lo_u32 v5, v5, s8
	v_mul_lo_u32 v6, v6, s10
	v_sub_u32_e32 v5, v5, v6
	v_cmp_lt_u32_e32 vcc, s14, v5
	v_cndmask_b32_e64 v5, 0, 1, vcc
; %bb.19:
	s_or_b64 exec, exec, s[4:5]
	v_add_u32_e32 v6, 4, v36
	;; [unrolled: 28-line block ×6, first 2 shown]
	v_cmp_gt_u32_e32 vcc, s33, v14
	v_mov_b32_e32 v37, 0
	s_and_saveexec_b64 s[4:5], vcc
; %bb.36:
	v_add_u32_e32 v14, s9, v35
	v_add_u32_e32 v15, s11, v35
	v_mul_lo_u32 v14, v14, s8
	v_mul_lo_u32 v15, v15, s10
	v_sub_u32_e32 v14, v14, v15
	v_cmp_lt_u32_e32 vcc, s14, v14
	v_cndmask_b32_e64 v37, 0, 1, vcc
; %bb.37:
	s_or_b64 exec, exec, s[4:5]
	v_lshlrev_b16_e32 v3, 8, v3
	v_or_b32_e32 v2, v2, v3
	v_lshlrev_b16_e32 v3, 8, v5
	v_or_b32_sdwa v3, v4, v3 dst_sel:WORD_1 dst_unused:UNUSED_PAD src0_sel:DWORD src1_sel:DWORD
	v_or_b32_sdwa v40, v2, v3 dst_sel:DWORD dst_unused:UNUSED_PAD src0_sel:WORD_0 src1_sel:DWORD
	v_lshlrev_b16_e32 v2, 8, v7
	v_lshlrev_b16_e32 v3, 8, v9
	v_or_b32_e32 v2, v6, v2
	v_or_b32_sdwa v3, v8, v3 dst_sel:WORD_1 dst_unused:UNUSED_PAD src0_sel:DWORD src1_sel:DWORD
	v_or_b32_sdwa v39, v2, v3 dst_sel:DWORD dst_unused:UNUSED_PAD src0_sel:WORD_0 src1_sel:DWORD
	v_lshlrev_b16_e32 v2, 8, v11
	v_lshlrev_b16_e32 v3, 8, v13
	v_or_b32_e32 v2, v10, v2
	v_or_b32_sdwa v3, v12, v3 dst_sel:WORD_1 dst_unused:UNUSED_PAD src0_sel:DWORD src1_sel:DWORD
	v_or_b32_sdwa v38, v2, v3 dst_sel:DWORD dst_unused:UNUSED_PAD src0_sel:WORD_0 src1_sel:DWORD
.LBB991_38:
	v_and_b32_e32 v44, 0xff, v40
	v_bfe_u32 v45, v40, 8, 8
	v_bfe_u32 v46, v40, 16, 8
	v_lshrrev_b32_e32 v43, 24, v40
	v_and_b32_e32 v47, 0xff, v39
	v_add3_u32 v3, v45, v44, v46
	v_bfe_u32 v48, v39, 8, 8
	v_bfe_u32 v49, v39, 16, 8
	v_add3_u32 v3, v3, v43, v47
	v_lshrrev_b32_e32 v42, 24, v39
	v_and_b32_e32 v50, 0xff, v38
	v_add3_u32 v3, v3, v48, v49
	v_bfe_u32 v51, v38, 8, 8
	v_bfe_u32 v52, v38, 16, 8
	v_add3_u32 v3, v3, v42, v50
	v_lshrrev_b32_e32 v41, 24, v38
	v_and_b32_e32 v2, 0xff, v37
	v_add3_u32 v3, v3, v51, v52
	v_add3_u32 v55, v3, v41, v2
	v_mbcnt_lo_u32_b32 v2, -1, 0
	v_mbcnt_hi_u32_b32 v53, -1, v2
	v_and_b32_e32 v2, 15, v53
	v_cmp_eq_u32_e64 s[16:17], 0, v2
	v_cmp_lt_u32_e64 s[14:15], 1, v2
	v_cmp_lt_u32_e64 s[12:13], 3, v2
	;; [unrolled: 1-line block ×3, first 2 shown]
	v_and_b32_e32 v2, 16, v53
	v_cmp_eq_u32_e64 s[8:9], 0, v2
	v_or_b32_e32 v2, 63, v0
	s_cmp_lg_u32 s40, 0
	v_cmp_lt_u32_e64 s[4:5], 31, v53
	v_lshrrev_b32_e32 v54, 6, v0
	v_cmp_eq_u32_e64 s[6:7], v2, v0
	s_cbranch_scc0 .LBB991_69
; %bb.39:
	v_mov_b32_dpp v2, v55 row_shr:1 row_mask:0xf bank_mask:0xf
	v_cndmask_b32_e64 v2, v2, 0, s[16:17]
	v_add_u32_e32 v2, v2, v55
	s_nop 1
	v_mov_b32_dpp v3, v2 row_shr:2 row_mask:0xf bank_mask:0xf
	v_cndmask_b32_e64 v3, 0, v3, s[14:15]
	v_add_u32_e32 v2, v2, v3
	s_nop 1
	;; [unrolled: 4-line block ×4, first 2 shown]
	v_mov_b32_dpp v3, v2 row_bcast:15 row_mask:0xf bank_mask:0xf
	v_cndmask_b32_e64 v3, v3, 0, s[8:9]
	v_add_u32_e32 v2, v2, v3
	s_nop 1
	v_mov_b32_dpp v3, v2 row_bcast:31 row_mask:0xf bank_mask:0xf
	v_cndmask_b32_e64 v3, 0, v3, s[4:5]
	v_add_u32_e32 v2, v2, v3
	s_and_saveexec_b64 s[18:19], s[6:7]
	s_cbranch_execz .LBB991_41
; %bb.40:
	v_lshlrev_b32_e32 v3, 2, v54
	ds_write_b32 v3, v2
.LBB991_41:
	s_or_b64 exec, exec, s[18:19]
	v_cmp_gt_u32_e32 vcc, 4, v0
	s_waitcnt lgkmcnt(0)
	s_barrier
	s_and_saveexec_b64 s[18:19], vcc
	s_cbranch_execz .LBB991_43
; %bb.42:
	ds_read_b32 v3, v34
	v_and_b32_e32 v4, 3, v53
	v_cmp_ne_u32_e32 vcc, 0, v4
	s_waitcnt lgkmcnt(0)
	v_mov_b32_dpp v5, v3 row_shr:1 row_mask:0xf bank_mask:0xf
	v_cndmask_b32_e32 v5, 0, v5, vcc
	v_add_u32_e32 v3, v5, v3
	v_cmp_lt_u32_e32 vcc, 1, v4
	s_nop 0
	v_mov_b32_dpp v5, v3 row_shr:2 row_mask:0xf bank_mask:0xf
	v_cndmask_b32_e32 v4, 0, v5, vcc
	v_add_u32_e32 v3, v3, v4
	ds_write_b32 v34, v3
.LBB991_43:
	s_or_b64 exec, exec, s[18:19]
	v_cmp_gt_u32_e32 vcc, 64, v0
	v_cmp_lt_u32_e64 s[18:19], 63, v0
	s_waitcnt lgkmcnt(0)
	s_barrier
	s_waitcnt lgkmcnt(0)
                                        ; implicit-def: $vgpr12
	s_and_saveexec_b64 s[34:35], s[18:19]
	s_cbranch_execz .LBB991_45
; %bb.44:
	v_lshl_add_u32 v3, v54, 2, -4
	ds_read_b32 v12, v3
	s_waitcnt lgkmcnt(0)
	v_add_u32_e32 v2, v12, v2
.LBB991_45:
	s_or_b64 exec, exec, s[34:35]
	v_add_u32_e32 v3, -1, v53
	v_and_b32_e32 v4, 64, v53
	v_cmp_lt_i32_e64 s[18:19], v3, v4
	v_cndmask_b32_e64 v3, v3, v53, s[18:19]
	v_lshlrev_b32_e32 v3, 2, v3
	ds_bpermute_b32 v13, v3, v2
	v_cmp_eq_u32_e64 s[18:19], 0, v53
	s_and_saveexec_b64 s[34:35], vcc
	s_cbranch_execz .LBB991_68
; %bb.46:
	v_mov_b32_e32 v11, 0
	ds_read_b32 v2, v11 offset:12
	s_and_saveexec_b64 s[36:37], s[18:19]
	s_cbranch_execz .LBB991_48
; %bb.47:
	s_add_i32 s38, s40, 64
	s_mov_b32 s39, 0
	s_lshl_b64 s[38:39], s[38:39], 3
	s_add_u32 s38, s30, s38
	v_mov_b32_e32 v3, 1
	s_addc_u32 s39, s31, s39
	s_waitcnt lgkmcnt(0)
	global_store_dwordx2 v11, v[2:3], s[38:39]
.LBB991_48:
	s_or_b64 exec, exec, s[36:37]
	v_xad_u32 v4, v53, -1, s40
	v_add_u32_e32 v10, 64, v4
	v_lshlrev_b64 v[6:7], 3, v[10:11]
	v_mov_b32_e32 v3, s31
	v_add_co_u32_e32 v6, vcc, s30, v6
	v_addc_co_u32_e32 v7, vcc, v3, v7, vcc
	global_load_dwordx2 v[8:9], v[6:7], off glc
	s_waitcnt vmcnt(0)
	v_cmp_eq_u16_sdwa s[38:39], v9, v11 src0_sel:BYTE_0 src1_sel:DWORD
	s_and_saveexec_b64 s[36:37], s[38:39]
	s_cbranch_execz .LBB991_54
; %bb.49:
	s_mov_b32 s41, 1
	s_mov_b64 s[38:39], 0
	v_mov_b32_e32 v3, 0
.LBB991_50:                             ; =>This Loop Header: Depth=1
                                        ;     Child Loop BB991_51 Depth 2
	s_max_u32 s42, s41, 1
.LBB991_51:                             ;   Parent Loop BB991_50 Depth=1
                                        ; =>  This Inner Loop Header: Depth=2
	s_add_i32 s42, s42, -1
	s_cmp_eq_u32 s42, 0
	s_sleep 1
	s_cbranch_scc0 .LBB991_51
; %bb.52:                               ;   in Loop: Header=BB991_50 Depth=1
	global_load_dwordx2 v[8:9], v[6:7], off glc
	s_cmp_lt_u32 s41, 32
	s_cselect_b64 s[42:43], -1, 0
	s_cmp_lg_u64 s[42:43], 0
	s_addc_u32 s41, s41, 0
	s_waitcnt vmcnt(0)
	v_cmp_ne_u16_sdwa s[42:43], v9, v3 src0_sel:BYTE_0 src1_sel:DWORD
	s_or_b64 s[38:39], s[42:43], s[38:39]
	s_andn2_b64 exec, exec, s[38:39]
	s_cbranch_execnz .LBB991_50
; %bb.53:
	s_or_b64 exec, exec, s[38:39]
.LBB991_54:
	s_or_b64 exec, exec, s[36:37]
	v_and_b32_e32 v14, 63, v53
	v_mov_b32_e32 v3, 2
	v_cmp_ne_u32_e32 vcc, 63, v14
	v_cmp_eq_u16_sdwa s[36:37], v9, v3 src0_sel:BYTE_0 src1_sel:DWORD
	v_lshlrev_b64 v[6:7], v53, -1
	v_addc_co_u32_e32 v11, vcc, 0, v53, vcc
	v_and_b32_e32 v5, s37, v7
	v_lshlrev_b32_e32 v15, 2, v11
	v_or_b32_e32 v5, 0x80000000, v5
	ds_bpermute_b32 v11, v15, v8
	v_and_b32_e32 v10, s36, v6
	v_ffbl_b32_e32 v5, v5
	v_add_u32_e32 v5, 32, v5
	v_ffbl_b32_e32 v10, v10
	v_min_u32_e32 v5, v10, v5
	v_cmp_lt_u32_e32 vcc, v14, v5
	s_waitcnt lgkmcnt(0)
	v_cndmask_b32_e32 v10, 0, v11, vcc
	v_cmp_gt_u32_e32 vcc, 62, v14
	v_add_u32_e32 v8, v10, v8
	v_cndmask_b32_e64 v10, 0, 1, vcc
	v_lshlrev_b32_e32 v10, 1, v10
	v_add_lshl_u32 v16, v10, v53, 2
	ds_bpermute_b32 v10, v16, v8
	v_add_u32_e32 v17, 2, v14
	v_cmp_le_u32_e32 vcc, v17, v5
	v_add_u32_e32 v19, 4, v14
	v_add_u32_e32 v57, 8, v14
	s_waitcnt lgkmcnt(0)
	v_cndmask_b32_e32 v10, 0, v10, vcc
	v_cmp_gt_u32_e32 vcc, 60, v14
	v_add_u32_e32 v8, v8, v10
	v_cndmask_b32_e64 v10, 0, 1, vcc
	v_lshlrev_b32_e32 v10, 2, v10
	v_add_lshl_u32 v18, v10, v53, 2
	ds_bpermute_b32 v10, v18, v8
	v_cmp_le_u32_e32 vcc, v19, v5
	v_add_u32_e32 v60, 16, v14
	v_add_u32_e32 v62, 32, v14
	s_waitcnt lgkmcnt(0)
	v_cndmask_b32_e32 v10, 0, v10, vcc
	v_cmp_gt_u32_e32 vcc, 56, v14
	v_add_u32_e32 v8, v8, v10
	v_cndmask_b32_e64 v10, 0, 1, vcc
	v_lshlrev_b32_e32 v10, 3, v10
	v_add_lshl_u32 v56, v10, v53, 2
	ds_bpermute_b32 v10, v56, v8
	v_cmp_le_u32_e32 vcc, v57, v5
	s_waitcnt lgkmcnt(0)
	v_cndmask_b32_e32 v10, 0, v10, vcc
	v_cmp_gt_u32_e32 vcc, 48, v14
	v_add_u32_e32 v8, v8, v10
	v_cndmask_b32_e64 v10, 0, 1, vcc
	v_lshlrev_b32_e32 v10, 4, v10
	v_add_lshl_u32 v59, v10, v53, 2
	ds_bpermute_b32 v10, v59, v8
	v_cmp_le_u32_e32 vcc, v60, v5
	;; [unrolled: 9-line block ×3, first 2 shown]
	s_waitcnt lgkmcnt(0)
	v_cndmask_b32_e32 v5, 0, v10, vcc
	v_add_u32_e32 v8, v8, v5
	v_mov_b32_e32 v5, 0
	s_branch .LBB991_56
.LBB991_55:                             ;   in Loop: Header=BB991_56 Depth=1
	s_or_b64 exec, exec, s[36:37]
	v_cmp_eq_u16_sdwa s[36:37], v9, v3 src0_sel:BYTE_0 src1_sel:DWORD
	v_and_b32_e32 v10, s37, v7
	v_or_b32_e32 v10, 0x80000000, v10
	ds_bpermute_b32 v63, v15, v8
	v_and_b32_e32 v11, s36, v6
	v_ffbl_b32_e32 v10, v10
	v_add_u32_e32 v10, 32, v10
	v_ffbl_b32_e32 v11, v11
	v_min_u32_e32 v10, v11, v10
	v_cmp_lt_u32_e32 vcc, v14, v10
	s_waitcnt lgkmcnt(0)
	v_cndmask_b32_e32 v11, 0, v63, vcc
	v_add_u32_e32 v8, v11, v8
	ds_bpermute_b32 v11, v16, v8
	v_cmp_le_u32_e32 vcc, v17, v10
	v_subrev_u32_e32 v4, 64, v4
	s_waitcnt lgkmcnt(0)
	v_cndmask_b32_e32 v11, 0, v11, vcc
	v_add_u32_e32 v8, v8, v11
	ds_bpermute_b32 v11, v18, v8
	v_cmp_le_u32_e32 vcc, v19, v10
	s_waitcnt lgkmcnt(0)
	v_cndmask_b32_e32 v11, 0, v11, vcc
	v_add_u32_e32 v8, v8, v11
	ds_bpermute_b32 v11, v56, v8
	v_cmp_le_u32_e32 vcc, v57, v10
	s_waitcnt lgkmcnt(0)
	v_cndmask_b32_e32 v11, 0, v11, vcc
	v_add_u32_e32 v8, v8, v11
	ds_bpermute_b32 v11, v59, v8
	v_cmp_le_u32_e32 vcc, v60, v10
	s_waitcnt lgkmcnt(0)
	v_cndmask_b32_e32 v11, 0, v11, vcc
	v_add_u32_e32 v8, v8, v11
	ds_bpermute_b32 v11, v61, v8
	v_cmp_le_u32_e32 vcc, v62, v10
	s_waitcnt lgkmcnt(0)
	v_cndmask_b32_e32 v10, 0, v11, vcc
	v_add3_u32 v8, v10, v58, v8
.LBB991_56:                             ; =>This Loop Header: Depth=1
                                        ;     Child Loop BB991_59 Depth 2
                                        ;       Child Loop BB991_60 Depth 3
	v_cmp_ne_u16_sdwa s[36:37], v9, v3 src0_sel:BYTE_0 src1_sel:DWORD
	v_cndmask_b32_e64 v9, 0, 1, s[36:37]
	;;#ASMSTART
	;;#ASMEND
	v_cmp_ne_u32_e32 vcc, 0, v9
	s_cmp_lg_u64 vcc, exec
	v_mov_b32_e32 v58, v8
	s_cbranch_scc1 .LBB991_63
; %bb.57:                               ;   in Loop: Header=BB991_56 Depth=1
	v_lshlrev_b64 v[8:9], 3, v[4:5]
	v_mov_b32_e32 v11, s31
	v_add_co_u32_e32 v10, vcc, s30, v8
	v_addc_co_u32_e32 v11, vcc, v11, v9, vcc
	global_load_dwordx2 v[8:9], v[10:11], off glc
	s_waitcnt vmcnt(0)
	v_cmp_eq_u16_sdwa s[38:39], v9, v5 src0_sel:BYTE_0 src1_sel:DWORD
	s_and_saveexec_b64 s[36:37], s[38:39]
	s_cbranch_execz .LBB991_55
; %bb.58:                               ;   in Loop: Header=BB991_56 Depth=1
	s_mov_b32 s41, 1
	s_mov_b64 s[38:39], 0
.LBB991_59:                             ;   Parent Loop BB991_56 Depth=1
                                        ; =>  This Loop Header: Depth=2
                                        ;       Child Loop BB991_60 Depth 3
	s_max_u32 s42, s41, 1
.LBB991_60:                             ;   Parent Loop BB991_56 Depth=1
                                        ;     Parent Loop BB991_59 Depth=2
                                        ; =>    This Inner Loop Header: Depth=3
	s_add_i32 s42, s42, -1
	s_cmp_eq_u32 s42, 0
	s_sleep 1
	s_cbranch_scc0 .LBB991_60
; %bb.61:                               ;   in Loop: Header=BB991_59 Depth=2
	global_load_dwordx2 v[8:9], v[10:11], off glc
	s_cmp_lt_u32 s41, 32
	s_cselect_b64 s[42:43], -1, 0
	s_cmp_lg_u64 s[42:43], 0
	s_addc_u32 s41, s41, 0
	s_waitcnt vmcnt(0)
	v_cmp_ne_u16_sdwa s[42:43], v9, v5 src0_sel:BYTE_0 src1_sel:DWORD
	s_or_b64 s[38:39], s[42:43], s[38:39]
	s_andn2_b64 exec, exec, s[38:39]
	s_cbranch_execnz .LBB991_59
; %bb.62:                               ;   in Loop: Header=BB991_56 Depth=1
	s_or_b64 exec, exec, s[38:39]
	s_branch .LBB991_55
.LBB991_63:                             ;   in Loop: Header=BB991_56 Depth=1
                                        ; implicit-def: $vgpr8
                                        ; implicit-def: $vgpr9
	s_cbranch_execz .LBB991_56
; %bb.64:
	s_and_saveexec_b64 s[36:37], s[18:19]
	s_cbranch_execz .LBB991_66
; %bb.65:
	s_add_i32 s38, s40, 64
	s_mov_b32 s39, 0
	s_lshl_b64 s[38:39], s[38:39], 3
	s_add_u32 s38, s30, s38
	v_add_u32_e32 v4, v58, v2
	v_mov_b32_e32 v5, 2
	s_addc_u32 s39, s31, s39
	v_mov_b32_e32 v3, 0
	global_store_dwordx2 v3, v[4:5], s[38:39]
	s_movk_i32 s38, 0x3400
	v_add_u32_e64 v3, s38, 0
	ds_write2_b32 v3, v2, v58 offset1:2
.LBB991_66:
	s_or_b64 exec, exec, s[36:37]
	s_and_b64 exec, exec, s[0:1]
	s_cbranch_execz .LBB991_68
; %bb.67:
	v_mov_b32_e32 v2, 0
	ds_write_b32 v2, v58 offset:12
.LBB991_68:
	s_or_b64 exec, exec, s[34:35]
	v_mov_b32_e32 v2, 0
	s_waitcnt lgkmcnt(0)
	s_barrier
	ds_read_b32 v2, v2 offset:12
	v_cndmask_b32_e64 v3, v13, v12, s[18:19]
	v_cndmask_b32_e64 v3, v3, 0, s[0:1]
	s_movk_i32 s18, 0x3400
	v_add_u32_e64 v12, s18, 0
	s_waitcnt lgkmcnt(0)
	v_add_u32_e32 v2, v2, v3
	v_add_u32_e32 v3, v2, v44
	v_add_u32_e32 v4, v3, v45
	v_add_u32_e32 v5, v4, v46
	v_add_u32_e32 v6, v5, v43
	v_add_u32_e32 v7, v6, v47
	v_add_u32_e32 v8, v7, v48
	v_add_u32_e32 v9, v8, v49
	v_add_u32_e32 v10, v9, v42
	s_barrier
	ds_read2_b32 v[18:19], v12 offset1:2
	v_add_u32_e32 v11, v10, v50
	v_add_u32_e32 v12, v11, v51
	;; [unrolled: 1-line block ×4, first 2 shown]
	s_branch .LBB991_79
.LBB991_69:
                                        ; implicit-def: $vgpr19
                                        ; implicit-def: $vgpr2_vgpr3_vgpr4_vgpr5_vgpr6_vgpr7_vgpr8_vgpr9_vgpr10_vgpr11_vgpr12_vgpr13_vgpr14_vgpr15_vgpr16_vgpr17
	s_cbranch_execz .LBB991_79
; %bb.70:
	s_nop 0
	v_mov_b32_dpp v2, v55 row_shr:1 row_mask:0xf bank_mask:0xf
	v_cndmask_b32_e64 v2, v2, 0, s[16:17]
	v_add_u32_e32 v2, v2, v55
	s_nop 1
	v_mov_b32_dpp v3, v2 row_shr:2 row_mask:0xf bank_mask:0xf
	v_cndmask_b32_e64 v3, 0, v3, s[14:15]
	v_add_u32_e32 v2, v2, v3
	;; [unrolled: 4-line block ×4, first 2 shown]
	s_nop 1
	v_mov_b32_dpp v3, v2 row_bcast:15 row_mask:0xf bank_mask:0xf
	v_cndmask_b32_e64 v3, v3, 0, s[8:9]
	v_add_u32_e32 v2, v2, v3
	s_nop 1
	v_mov_b32_dpp v3, v2 row_bcast:31 row_mask:0xf bank_mask:0xf
	v_cndmask_b32_e64 v3, 0, v3, s[4:5]
	v_add_u32_e32 v2, v2, v3
	s_and_saveexec_b64 s[4:5], s[6:7]
	s_cbranch_execz .LBB991_72
; %bb.71:
	v_lshlrev_b32_e32 v3, 2, v54
	ds_write_b32 v3, v2
.LBB991_72:
	s_or_b64 exec, exec, s[4:5]
	v_cmp_gt_u32_e32 vcc, 4, v0
	s_waitcnt lgkmcnt(0)
	s_barrier
	s_and_saveexec_b64 s[4:5], vcc
	s_cbranch_execz .LBB991_74
; %bb.73:
	ds_read_b32 v3, v34
	v_and_b32_e32 v4, 3, v53
	v_cmp_ne_u32_e32 vcc, 0, v4
	s_waitcnt lgkmcnt(0)
	v_mov_b32_dpp v5, v3 row_shr:1 row_mask:0xf bank_mask:0xf
	v_cndmask_b32_e32 v5, 0, v5, vcc
	v_add_u32_e32 v3, v5, v3
	v_cmp_lt_u32_e32 vcc, 1, v4
	s_nop 0
	v_mov_b32_dpp v5, v3 row_shr:2 row_mask:0xf bank_mask:0xf
	v_cndmask_b32_e32 v4, 0, v5, vcc
	v_add_u32_e32 v3, v3, v4
	ds_write_b32 v34, v3
.LBB991_74:
	s_or_b64 exec, exec, s[4:5]
	v_cmp_lt_u32_e32 vcc, 63, v0
	v_mov_b32_e32 v4, 0
	v_mov_b32_e32 v3, 0
	s_waitcnt lgkmcnt(0)
	s_barrier
	s_and_saveexec_b64 s[4:5], vcc
	s_cbranch_execz .LBB991_76
; %bb.75:
	v_lshl_add_u32 v3, v54, 2, -4
	ds_read_b32 v3, v3
.LBB991_76:
	s_or_b64 exec, exec, s[4:5]
	v_add_u32_e32 v5, -1, v53
	v_and_b32_e32 v6, 64, v53
	v_cmp_lt_i32_e32 vcc, v5, v6
	v_cndmask_b32_e32 v5, v5, v53, vcc
	s_waitcnt lgkmcnt(0)
	v_add_u32_e32 v2, v3, v2
	v_lshlrev_b32_e32 v5, 2, v5
	ds_bpermute_b32 v2, v5, v2
	ds_read_b32 v18, v4 offset:12
	s_and_saveexec_b64 s[4:5], s[0:1]
	s_cbranch_execz .LBB991_78
; %bb.77:
	v_mov_b32_e32 v4, 0
	v_mov_b32_e32 v19, 2
	s_waitcnt lgkmcnt(0)
	global_store_dwordx2 v4, v[18:19], s[30:31] offset:512
.LBB991_78:
	s_or_b64 exec, exec, s[4:5]
	v_cmp_eq_u32_e32 vcc, 0, v53
	s_waitcnt lgkmcnt(1)
	v_cndmask_b32_e32 v2, v2, v3, vcc
	v_cndmask_b32_e64 v2, v2, 0, s[0:1]
	v_add_u32_e32 v3, v2, v44
	v_add_u32_e32 v4, v3, v45
	;; [unrolled: 1-line block ×11, first 2 shown]
	v_mov_b32_e32 v19, 0
	v_add_u32_e32 v14, v13, v41
	s_waitcnt lgkmcnt(0)
	s_barrier
.LBB991_79:
	s_waitcnt lgkmcnt(0)
	v_add_u32_e32 v36, v18, v36
	v_sub_u32_e32 v2, v2, v19
	v_and_b32_e32 v45, 1, v40
	v_sub_u32_e32 v44, v36, v2
	v_cmp_eq_u32_e32 vcc, 1, v45
	v_cndmask_b32_e32 v2, v44, v2, vcc
	v_lshlrev_b32_e32 v2, 2, v2
	v_lshrrev_b32_e32 v17, 8, v40
	ds_write_b32 v2, v32
	v_sub_u32_e32 v2, v3, v19
	v_sub_u32_e32 v3, v36, v2
	v_and_b32_e32 v17, 1, v17
	v_add_u32_e32 v3, 1, v3
	v_cmp_eq_u32_e32 vcc, 1, v17
	v_cndmask_b32_e32 v2, v3, v2, vcc
	v_lshlrev_b32_e32 v2, 2, v2
	ds_write_b32 v2, v33
	v_sub_u32_e32 v2, v4, v19
	v_mov_b32_e32 v4, 1
	v_sub_u32_e32 v3, v36, v2
	v_and_b32_sdwa v17, v4, v40 dst_sel:DWORD dst_unused:UNUSED_PAD src0_sel:DWORD src1_sel:WORD_1
	v_add_u32_e32 v3, 2, v3
	v_cmp_eq_u32_e32 vcc, 1, v17
	v_cndmask_b32_e32 v2, v3, v2, vcc
	v_lshlrev_b32_e32 v2, 2, v2
	ds_write_b32 v2, v30
	v_sub_u32_e32 v2, v5, v19
	v_sub_u32_e32 v3, v36, v2
	v_and_b32_e32 v5, 1, v43
	v_add_u32_e32 v3, 3, v3
	v_cmp_eq_u32_e32 vcc, 1, v5
	v_cndmask_b32_e32 v2, v3, v2, vcc
	v_lshlrev_b32_e32 v2, 2, v2
	ds_write_b32 v2, v31
	v_sub_u32_e32 v2, v6, v19
	v_sub_u32_e32 v3, v36, v2
	v_and_b32_e32 v5, 1, v39
	v_add_u32_e32 v3, 4, v3
	v_cmp_eq_u32_e32 vcc, 1, v5
	v_cndmask_b32_e32 v2, v3, v2, vcc
	v_lshlrev_b32_e32 v2, 2, v2
	v_lshrrev_b32_e32 v16, 8, v39
	ds_write_b32 v2, v28
	v_sub_u32_e32 v2, v7, v19
	v_sub_u32_e32 v3, v36, v2
	v_and_b32_e32 v5, 1, v16
	v_add_u32_e32 v3, 5, v3
	v_cmp_eq_u32_e32 vcc, 1, v5
	v_cndmask_b32_e32 v2, v3, v2, vcc
	v_lshlrev_b32_e32 v2, 2, v2
	ds_write_b32 v2, v29
	v_sub_u32_e32 v2, v8, v19
	v_sub_u32_e32 v3, v36, v2
	v_and_b32_sdwa v5, v4, v39 dst_sel:DWORD dst_unused:UNUSED_PAD src0_sel:DWORD src1_sel:WORD_1
	v_add_u32_e32 v3, 6, v3
	v_cmp_eq_u32_e32 vcc, 1, v5
	v_cndmask_b32_e32 v2, v3, v2, vcc
	v_lshlrev_b32_e32 v2, 2, v2
	ds_write_b32 v2, v26
	v_sub_u32_e32 v2, v9, v19
	v_sub_u32_e32 v3, v36, v2
	v_and_b32_e32 v5, 1, v42
	v_add_u32_e32 v3, 7, v3
	v_cmp_eq_u32_e32 vcc, 1, v5
	v_cndmask_b32_e32 v2, v3, v2, vcc
	v_lshlrev_b32_e32 v2, 2, v2
	ds_write_b32 v2, v27
	v_sub_u32_e32 v2, v10, v19
	v_sub_u32_e32 v3, v36, v2
	v_and_b32_e32 v5, 1, v38
	v_add_u32_e32 v3, 8, v3
	v_cmp_eq_u32_e32 vcc, 1, v5
	v_cndmask_b32_e32 v2, v3, v2, vcc
	v_lshlrev_b32_e32 v2, 2, v2
	v_lshrrev_b32_e32 v15, 8, v38
	ds_write_b32 v2, v24
	v_sub_u32_e32 v2, v11, v19
	v_sub_u32_e32 v3, v36, v2
	v_and_b32_e32 v5, 1, v15
	v_add_u32_e32 v3, 9, v3
	v_cmp_eq_u32_e32 vcc, 1, v5
	v_cndmask_b32_e32 v2, v3, v2, vcc
	v_lshlrev_b32_e32 v2, 2, v2
	ds_write_b32 v2, v25
	v_sub_u32_e32 v2, v12, v19
	v_sub_u32_e32 v3, v36, v2
	v_and_b32_sdwa v4, v4, v38 dst_sel:DWORD dst_unused:UNUSED_PAD src0_sel:DWORD src1_sel:WORD_1
	v_add_u32_e32 v3, 10, v3
	v_cmp_eq_u32_e32 vcc, 1, v4
	v_cndmask_b32_e32 v2, v3, v2, vcc
	v_lshlrev_b32_e32 v2, 2, v2
	ds_write_b32 v2, v22
	v_sub_u32_e32 v2, v13, v19
	v_sub_u32_e32 v3, v36, v2
	v_and_b32_e32 v4, 1, v41
	v_add_u32_e32 v3, 11, v3
	v_cmp_eq_u32_e32 vcc, 1, v4
	v_cndmask_b32_e32 v2, v3, v2, vcc
	v_lshlrev_b32_e32 v2, 2, v2
	ds_write_b32 v2, v23
	v_sub_u32_e32 v2, v14, v19
	v_sub_u32_e32 v3, v36, v2
	v_and_b32_e32 v4, 1, v37
	v_add_u32_e32 v3, 12, v3
	v_cmp_eq_u32_e32 vcc, 1, v4
	v_cndmask_b32_e32 v2, v3, v2, vcc
	s_waitcnt vmcnt(0)
	v_add_co_u32_e32 v16, vcc, v20, v19
	v_addc_co_u32_e32 v17, vcc, 0, v21, vcc
	v_mov_b32_e32 v14, s29
	v_add_co_u32_e32 v1, vcc, s28, v1
	v_addc_co_u32_e32 v14, vcc, 0, v14, vcc
	v_lshlrev_b32_e32 v2, 2, v2
	v_mov_b32_e32 v15, s27
	v_sub_co_u32_e32 v1, vcc, s26, v1
	ds_write_b32 v2, v35
	s_waitcnt lgkmcnt(0)
	s_barrier
	ds_read2st64_b32 v[12:13], v34 offset1:4
	ds_read2st64_b32 v[10:11], v34 offset0:8 offset1:12
	ds_read2st64_b32 v[8:9], v34 offset0:16 offset1:20
	;; [unrolled: 1-line block ×5, first 2 shown]
	ds_read_b32 v22, v34 offset:12288
	v_subb_co_u32_e32 v14, vcc, v15, v14, vcc
	v_add_co_u32_e32 v1, vcc, v1, v18
	v_addc_co_u32_e32 v14, vcc, 0, v14, vcc
	s_and_b64 vcc, exec, s[2:3]
	v_add_co_u32_e64 v1, s[2:3], v1, v16
	v_or_b32_e32 v35, 0x100, v0
	v_or_b32_e32 v33, 0x200, v0
	;; [unrolled: 1-line block ×12, first 2 shown]
	v_addc_co_u32_e64 v19, s[2:3], v14, v17, s[2:3]
	s_cbranch_vccnz .LBB991_136
; %bb.80:
	v_cmp_ge_u32_e32 vcc, v0, v18
                                        ; implicit-def: $vgpr14_vgpr15
	s_and_saveexec_b64 s[2:3], vcc
	s_xor_b64 s[2:3], exec, s[2:3]
; %bb.81:
	v_not_b32_e32 v14, v0
	v_ashrrev_i32_e32 v15, 31, v14
	v_add_co_u32_e32 v14, vcc, v1, v14
	v_addc_co_u32_e32 v15, vcc, v19, v15, vcc
; %bb.82:
	s_andn2_saveexec_b64 s[2:3], s[2:3]
; %bb.83:
	v_add_co_u32_e32 v14, vcc, v16, v0
	v_addc_co_u32_e32 v15, vcc, 0, v17, vcc
; %bb.84:
	s_or_b64 exec, exec, s[2:3]
	v_lshlrev_b64 v[14:15], 2, v[14:15]
	v_mov_b32_e32 v20, s25
	v_add_co_u32_e32 v14, vcc, s24, v14
	v_addc_co_u32_e32 v15, vcc, v20, v15, vcc
	v_cmp_ge_u32_e32 vcc, v35, v18
	s_waitcnt lgkmcnt(6)
	global_store_dword v[14:15], v12, off
                                        ; implicit-def: $vgpr14_vgpr15
	s_and_saveexec_b64 s[2:3], vcc
	s_xor_b64 s[2:3], exec, s[2:3]
; %bb.85:
	v_xor_b32_e32 v14, 0xfffffeff, v0
	v_ashrrev_i32_e32 v15, 31, v14
	v_add_co_u32_e32 v14, vcc, v1, v14
	v_addc_co_u32_e32 v15, vcc, v19, v15, vcc
; %bb.86:
	s_andn2_saveexec_b64 s[2:3], s[2:3]
; %bb.87:
	v_add_co_u32_e32 v14, vcc, v16, v35
	v_addc_co_u32_e32 v15, vcc, 0, v17, vcc
; %bb.88:
	s_or_b64 exec, exec, s[2:3]
	v_lshlrev_b64 v[14:15], 2, v[14:15]
	v_mov_b32_e32 v20, s25
	v_add_co_u32_e32 v14, vcc, s24, v14
	v_addc_co_u32_e32 v15, vcc, v20, v15, vcc
	v_cmp_ge_u32_e32 vcc, v33, v18
	global_store_dword v[14:15], v13, off
                                        ; implicit-def: $vgpr14_vgpr15
	s_and_saveexec_b64 s[2:3], vcc
	s_xor_b64 s[2:3], exec, s[2:3]
; %bb.89:
	v_xor_b32_e32 v14, 0xfffffdff, v0
	v_ashrrev_i32_e32 v15, 31, v14
	v_add_co_u32_e32 v14, vcc, v1, v14
	v_addc_co_u32_e32 v15, vcc, v19, v15, vcc
; %bb.90:
	s_andn2_saveexec_b64 s[2:3], s[2:3]
; %bb.91:
	v_add_co_u32_e32 v14, vcc, v16, v33
	v_addc_co_u32_e32 v15, vcc, 0, v17, vcc
; %bb.92:
	s_or_b64 exec, exec, s[2:3]
	v_lshlrev_b64 v[14:15], 2, v[14:15]
	v_mov_b32_e32 v20, s25
	v_add_co_u32_e32 v14, vcc, s24, v14
	v_addc_co_u32_e32 v15, vcc, v20, v15, vcc
	v_cmp_ge_u32_e32 vcc, v32, v18
	s_waitcnt lgkmcnt(5)
	global_store_dword v[14:15], v10, off
                                        ; implicit-def: $vgpr14_vgpr15
	s_and_saveexec_b64 s[2:3], vcc
	s_xor_b64 s[2:3], exec, s[2:3]
; %bb.93:
	v_xor_b32_e32 v14, 0xfffffcff, v0
	v_ashrrev_i32_e32 v15, 31, v14
	v_add_co_u32_e32 v14, vcc, v1, v14
	v_addc_co_u32_e32 v15, vcc, v19, v15, vcc
; %bb.94:
	s_andn2_saveexec_b64 s[2:3], s[2:3]
; %bb.95:
	v_add_co_u32_e32 v14, vcc, v16, v32
	v_addc_co_u32_e32 v15, vcc, 0, v17, vcc
; %bb.96:
	s_or_b64 exec, exec, s[2:3]
	v_lshlrev_b64 v[14:15], 2, v[14:15]
	v_mov_b32_e32 v20, s25
	v_add_co_u32_e32 v14, vcc, s24, v14
	v_addc_co_u32_e32 v15, vcc, v20, v15, vcc
	v_cmp_ge_u32_e32 vcc, v31, v18
	global_store_dword v[14:15], v11, off
                                        ; implicit-def: $vgpr14_vgpr15
	s_and_saveexec_b64 s[2:3], vcc
	s_xor_b64 s[2:3], exec, s[2:3]
; %bb.97:
	v_xor_b32_e32 v14, 0xfffffbff, v0
	;; [unrolled: 43-line block ×6, first 2 shown]
	v_ashrrev_i32_e32 v15, 31, v14
	v_add_co_u32_e32 v14, vcc, v1, v14
	v_addc_co_u32_e32 v15, vcc, v19, v15, vcc
; %bb.130:
	s_andn2_saveexec_b64 s[2:3], s[2:3]
; %bb.131:
	v_add_co_u32_e32 v14, vcc, v16, v23
	v_addc_co_u32_e32 v15, vcc, 0, v17, vcc
; %bb.132:
	s_or_b64 exec, exec, s[2:3]
	s_mov_b64 s[2:3], -1
.LBB991_133:
	s_and_saveexec_b64 s[4:5], s[2:3]
	s_cbranch_execz .LBB991_216
.LBB991_134:
	v_lshlrev_b64 v[0:1], 2, v[14:15]
	s_waitcnt lgkmcnt(1)
	v_mov_b32_e32 v2, s25
	v_add_co_u32_e32 v0, vcc, s24, v0
	v_addc_co_u32_e32 v1, vcc, v2, v1, vcc
	s_waitcnt lgkmcnt(0)
	global_store_dword v[0:1], v22, off
	s_or_b64 exec, exec, s[4:5]
	s_and_b64 s[0:1], s[0:1], s[22:23]
	s_and_saveexec_b64 s[2:3], s[0:1]
	s_cbranch_execnz .LBB991_217
.LBB991_135:
	s_endpgm
.LBB991_136:
	s_mov_b64 s[2:3], 0
                                        ; implicit-def: $vgpr14_vgpr15
	s_cbranch_execz .LBB991_133
; %bb.137:
	v_cmp_gt_u32_e32 vcc, s33, v0
	s_and_saveexec_b64 s[4:5], vcc
	s_cbranch_execz .LBB991_173
; %bb.138:
	v_cmp_ge_u32_e32 vcc, v0, v18
                                        ; implicit-def: $vgpr14_vgpr15
	s_and_saveexec_b64 s[6:7], vcc
	s_xor_b64 s[6:7], exec, s[6:7]
; %bb.139:
	v_not_b32_e32 v14, v0
	v_ashrrev_i32_e32 v15, 31, v14
	v_add_co_u32_e32 v14, vcc, v1, v14
	v_addc_co_u32_e32 v15, vcc, v19, v15, vcc
; %bb.140:
	s_andn2_saveexec_b64 s[6:7], s[6:7]
; %bb.141:
	v_add_co_u32_e32 v14, vcc, v16, v0
	v_addc_co_u32_e32 v15, vcc, 0, v17, vcc
; %bb.142:
	s_or_b64 exec, exec, s[6:7]
	v_lshlrev_b64 v[14:15], 2, v[14:15]
	v_mov_b32_e32 v20, s25
	v_add_co_u32_e32 v14, vcc, s24, v14
	v_addc_co_u32_e32 v15, vcc, v20, v15, vcc
	s_waitcnt lgkmcnt(6)
	global_store_dword v[14:15], v12, off
	s_or_b64 exec, exec, s[4:5]
	v_cmp_gt_u32_e32 vcc, s33, v35
	s_and_saveexec_b64 s[4:5], vcc
	s_cbranch_execnz .LBB991_174
.LBB991_143:
	s_or_b64 exec, exec, s[4:5]
	v_cmp_gt_u32_e32 vcc, s33, v33
	s_and_saveexec_b64 s[4:5], vcc
	s_cbranch_execz .LBB991_179
.LBB991_144:
	v_cmp_ge_u32_e32 vcc, v33, v18
                                        ; implicit-def: $vgpr12_vgpr13
	s_and_saveexec_b64 s[6:7], vcc
	s_xor_b64 s[6:7], exec, s[6:7]
	s_cbranch_execz .LBB991_146
; %bb.145:
	s_waitcnt lgkmcnt(6)
	v_xor_b32_e32 v12, 0xfffffdff, v0
	v_ashrrev_i32_e32 v13, 31, v12
	v_add_co_u32_e32 v12, vcc, v1, v12
	v_addc_co_u32_e32 v13, vcc, v19, v13, vcc
                                        ; implicit-def: $vgpr33
.LBB991_146:
	s_andn2_saveexec_b64 s[6:7], s[6:7]
	s_cbranch_execz .LBB991_148
; %bb.147:
	s_waitcnt lgkmcnt(6)
	v_add_co_u32_e32 v12, vcc, v16, v33
	v_addc_co_u32_e32 v13, vcc, 0, v17, vcc
.LBB991_148:
	s_or_b64 exec, exec, s[6:7]
	s_waitcnt lgkmcnt(6)
	v_lshlrev_b64 v[12:13], 2, v[12:13]
	v_mov_b32_e32 v14, s25
	v_add_co_u32_e32 v12, vcc, s24, v12
	v_addc_co_u32_e32 v13, vcc, v14, v13, vcc
	s_waitcnt lgkmcnt(5)
	global_store_dword v[12:13], v10, off
	s_or_b64 exec, exec, s[4:5]
	v_cmp_gt_u32_e32 vcc, s33, v32
	s_and_saveexec_b64 s[4:5], vcc
	s_cbranch_execnz .LBB991_180
.LBB991_149:
	s_or_b64 exec, exec, s[4:5]
	v_cmp_gt_u32_e32 vcc, s33, v31
	s_and_saveexec_b64 s[4:5], vcc
	s_cbranch_execz .LBB991_185
.LBB991_150:
	v_cmp_ge_u32_e32 vcc, v31, v18
                                        ; implicit-def: $vgpr10_vgpr11
	s_and_saveexec_b64 s[6:7], vcc
	s_xor_b64 s[6:7], exec, s[6:7]
	s_cbranch_execz .LBB991_152
; %bb.151:
	s_waitcnt lgkmcnt(5)
	v_xor_b32_e32 v10, 0xfffffbff, v0
	v_ashrrev_i32_e32 v11, 31, v10
	v_add_co_u32_e32 v10, vcc, v1, v10
	v_addc_co_u32_e32 v11, vcc, v19, v11, vcc
                                        ; implicit-def: $vgpr31
.LBB991_152:
	s_andn2_saveexec_b64 s[6:7], s[6:7]
	s_cbranch_execz .LBB991_154
; %bb.153:
	s_waitcnt lgkmcnt(5)
	v_add_co_u32_e32 v10, vcc, v16, v31
	v_addc_co_u32_e32 v11, vcc, 0, v17, vcc
.LBB991_154:
	s_or_b64 exec, exec, s[6:7]
	s_waitcnt lgkmcnt(5)
	v_lshlrev_b64 v[10:11], 2, v[10:11]
	v_mov_b32_e32 v12, s25
	v_add_co_u32_e32 v10, vcc, s24, v10
	v_addc_co_u32_e32 v11, vcc, v12, v11, vcc
	s_waitcnt lgkmcnt(4)
	global_store_dword v[10:11], v8, off
	s_or_b64 exec, exec, s[4:5]
	v_cmp_gt_u32_e32 vcc, s33, v30
	s_and_saveexec_b64 s[4:5], vcc
	s_cbranch_execnz .LBB991_186
.LBB991_155:
	s_or_b64 exec, exec, s[4:5]
	v_cmp_gt_u32_e32 vcc, s33, v29
	s_and_saveexec_b64 s[4:5], vcc
	s_cbranch_execz .LBB991_191
.LBB991_156:
	v_cmp_ge_u32_e32 vcc, v29, v18
                                        ; implicit-def: $vgpr8_vgpr9
	s_and_saveexec_b64 s[6:7], vcc
	s_xor_b64 s[6:7], exec, s[6:7]
	s_cbranch_execz .LBB991_158
; %bb.157:
	s_waitcnt lgkmcnt(4)
	v_xor_b32_e32 v8, 0xfffff9ff, v0
	v_ashrrev_i32_e32 v9, 31, v8
	v_add_co_u32_e32 v8, vcc, v1, v8
	v_addc_co_u32_e32 v9, vcc, v19, v9, vcc
                                        ; implicit-def: $vgpr29
.LBB991_158:
	s_andn2_saveexec_b64 s[6:7], s[6:7]
	s_cbranch_execz .LBB991_160
; %bb.159:
	s_waitcnt lgkmcnt(4)
	v_add_co_u32_e32 v8, vcc, v16, v29
	v_addc_co_u32_e32 v9, vcc, 0, v17, vcc
.LBB991_160:
	s_or_b64 exec, exec, s[6:7]
	s_waitcnt lgkmcnt(4)
	v_lshlrev_b64 v[8:9], 2, v[8:9]
	v_mov_b32_e32 v10, s25
	v_add_co_u32_e32 v8, vcc, s24, v8
	v_addc_co_u32_e32 v9, vcc, v10, v9, vcc
	s_waitcnt lgkmcnt(3)
	global_store_dword v[8:9], v6, off
	s_or_b64 exec, exec, s[4:5]
	v_cmp_gt_u32_e32 vcc, s33, v28
	s_and_saveexec_b64 s[4:5], vcc
	s_cbranch_execnz .LBB991_192
.LBB991_161:
	s_or_b64 exec, exec, s[4:5]
	v_cmp_gt_u32_e32 vcc, s33, v27
	s_and_saveexec_b64 s[4:5], vcc
	s_cbranch_execz .LBB991_197
.LBB991_162:
	v_cmp_ge_u32_e32 vcc, v27, v18
                                        ; implicit-def: $vgpr6_vgpr7
	s_and_saveexec_b64 s[6:7], vcc
	s_xor_b64 s[6:7], exec, s[6:7]
	s_cbranch_execz .LBB991_164
; %bb.163:
	s_waitcnt lgkmcnt(3)
	v_xor_b32_e32 v6, 0xfffff7ff, v0
	v_ashrrev_i32_e32 v7, 31, v6
	v_add_co_u32_e32 v6, vcc, v1, v6
	v_addc_co_u32_e32 v7, vcc, v19, v7, vcc
                                        ; implicit-def: $vgpr27
.LBB991_164:
	s_andn2_saveexec_b64 s[6:7], s[6:7]
	s_cbranch_execz .LBB991_166
; %bb.165:
	s_waitcnt lgkmcnt(3)
	v_add_co_u32_e32 v6, vcc, v16, v27
	v_addc_co_u32_e32 v7, vcc, 0, v17, vcc
.LBB991_166:
	s_or_b64 exec, exec, s[6:7]
	s_waitcnt lgkmcnt(3)
	v_lshlrev_b64 v[6:7], 2, v[6:7]
	v_mov_b32_e32 v8, s25
	v_add_co_u32_e32 v6, vcc, s24, v6
	v_addc_co_u32_e32 v7, vcc, v8, v7, vcc
	s_waitcnt lgkmcnt(2)
	global_store_dword v[6:7], v4, off
	s_or_b64 exec, exec, s[4:5]
	v_cmp_gt_u32_e32 vcc, s33, v26
	s_and_saveexec_b64 s[4:5], vcc
	s_cbranch_execnz .LBB991_198
.LBB991_167:
	s_or_b64 exec, exec, s[4:5]
	v_cmp_gt_u32_e32 vcc, s33, v25
	s_and_saveexec_b64 s[4:5], vcc
	s_cbranch_execz .LBB991_203
.LBB991_168:
	v_cmp_ge_u32_e32 vcc, v25, v18
                                        ; implicit-def: $vgpr4_vgpr5
	s_and_saveexec_b64 s[6:7], vcc
	s_xor_b64 s[6:7], exec, s[6:7]
	s_cbranch_execz .LBB991_170
; %bb.169:
	s_waitcnt lgkmcnt(2)
	v_xor_b32_e32 v4, 0xfffff5ff, v0
	v_ashrrev_i32_e32 v5, 31, v4
	v_add_co_u32_e32 v4, vcc, v1, v4
	v_addc_co_u32_e32 v5, vcc, v19, v5, vcc
                                        ; implicit-def: $vgpr25
.LBB991_170:
	s_andn2_saveexec_b64 s[6:7], s[6:7]
	s_cbranch_execz .LBB991_172
; %bb.171:
	s_waitcnt lgkmcnt(2)
	v_add_co_u32_e32 v4, vcc, v16, v25
	v_addc_co_u32_e32 v5, vcc, 0, v17, vcc
.LBB991_172:
	s_or_b64 exec, exec, s[6:7]
	s_waitcnt lgkmcnt(2)
	v_lshlrev_b64 v[4:5], 2, v[4:5]
	v_mov_b32_e32 v6, s25
	v_add_co_u32_e32 v4, vcc, s24, v4
	v_addc_co_u32_e32 v5, vcc, v6, v5, vcc
	s_waitcnt lgkmcnt(1)
	global_store_dword v[4:5], v2, off
	s_or_b64 exec, exec, s[4:5]
	v_cmp_gt_u32_e32 vcc, s33, v24
	s_and_saveexec_b64 s[4:5], vcc
	s_cbranch_execz .LBB991_209
	s_branch .LBB991_204
.LBB991_173:
	s_or_b64 exec, exec, s[4:5]
	v_cmp_gt_u32_e32 vcc, s33, v35
	s_and_saveexec_b64 s[4:5], vcc
	s_cbranch_execz .LBB991_143
.LBB991_174:
	v_cmp_ge_u32_e32 vcc, v35, v18
                                        ; implicit-def: $vgpr14_vgpr15
	s_and_saveexec_b64 s[6:7], vcc
	s_xor_b64 s[6:7], exec, s[6:7]
	s_cbranch_execz .LBB991_176
; %bb.175:
	s_waitcnt lgkmcnt(6)
	v_xor_b32_e32 v12, 0xfffffeff, v0
	v_ashrrev_i32_e32 v15, 31, v12
	v_add_co_u32_e32 v14, vcc, v1, v12
	v_addc_co_u32_e32 v15, vcc, v19, v15, vcc
                                        ; implicit-def: $vgpr35
.LBB991_176:
	s_andn2_saveexec_b64 s[6:7], s[6:7]
; %bb.177:
	v_add_co_u32_e32 v14, vcc, v16, v35
	v_addc_co_u32_e32 v15, vcc, 0, v17, vcc
; %bb.178:
	s_or_b64 exec, exec, s[6:7]
	v_lshlrev_b64 v[14:15], 2, v[14:15]
	s_waitcnt lgkmcnt(6)
	v_mov_b32_e32 v12, s25
	v_add_co_u32_e32 v14, vcc, s24, v14
	v_addc_co_u32_e32 v15, vcc, v12, v15, vcc
	global_store_dword v[14:15], v13, off
	s_or_b64 exec, exec, s[4:5]
	v_cmp_gt_u32_e32 vcc, s33, v33
	s_and_saveexec_b64 s[4:5], vcc
	s_cbranch_execnz .LBB991_144
.LBB991_179:
	s_or_b64 exec, exec, s[4:5]
	v_cmp_gt_u32_e32 vcc, s33, v32
	s_and_saveexec_b64 s[4:5], vcc
	s_cbranch_execz .LBB991_149
.LBB991_180:
	v_cmp_ge_u32_e32 vcc, v32, v18
                                        ; implicit-def: $vgpr12_vgpr13
	s_and_saveexec_b64 s[6:7], vcc
	s_xor_b64 s[6:7], exec, s[6:7]
	s_cbranch_execz .LBB991_182
; %bb.181:
	s_waitcnt lgkmcnt(5)
	v_xor_b32_e32 v10, 0xfffffcff, v0
	v_ashrrev_i32_e32 v13, 31, v10
	v_add_co_u32_e32 v12, vcc, v1, v10
	v_addc_co_u32_e32 v13, vcc, v19, v13, vcc
                                        ; implicit-def: $vgpr32
.LBB991_182:
	s_andn2_saveexec_b64 s[6:7], s[6:7]
	s_cbranch_execz .LBB991_184
; %bb.183:
	s_waitcnt lgkmcnt(6)
	v_add_co_u32_e32 v12, vcc, v16, v32
	v_addc_co_u32_e32 v13, vcc, 0, v17, vcc
.LBB991_184:
	s_or_b64 exec, exec, s[6:7]
	s_waitcnt lgkmcnt(6)
	v_lshlrev_b64 v[12:13], 2, v[12:13]
	s_waitcnt lgkmcnt(5)
	v_mov_b32_e32 v10, s25
	v_add_co_u32_e32 v12, vcc, s24, v12
	v_addc_co_u32_e32 v13, vcc, v10, v13, vcc
	global_store_dword v[12:13], v11, off
	s_or_b64 exec, exec, s[4:5]
	v_cmp_gt_u32_e32 vcc, s33, v31
	s_and_saveexec_b64 s[4:5], vcc
	s_cbranch_execnz .LBB991_150
.LBB991_185:
	s_or_b64 exec, exec, s[4:5]
	v_cmp_gt_u32_e32 vcc, s33, v30
	s_and_saveexec_b64 s[4:5], vcc
	s_cbranch_execz .LBB991_155
.LBB991_186:
	v_cmp_ge_u32_e32 vcc, v30, v18
                                        ; implicit-def: $vgpr10_vgpr11
	s_and_saveexec_b64 s[6:7], vcc
	s_xor_b64 s[6:7], exec, s[6:7]
	s_cbranch_execz .LBB991_188
; %bb.187:
	s_waitcnt lgkmcnt(4)
	v_xor_b32_e32 v8, 0xfffffaff, v0
	v_ashrrev_i32_e32 v11, 31, v8
	v_add_co_u32_e32 v10, vcc, v1, v8
	v_addc_co_u32_e32 v11, vcc, v19, v11, vcc
                                        ; implicit-def: $vgpr30
.LBB991_188:
	s_andn2_saveexec_b64 s[6:7], s[6:7]
	s_cbranch_execz .LBB991_190
; %bb.189:
	s_waitcnt lgkmcnt(5)
	v_add_co_u32_e32 v10, vcc, v16, v30
	v_addc_co_u32_e32 v11, vcc, 0, v17, vcc
.LBB991_190:
	s_or_b64 exec, exec, s[6:7]
	s_waitcnt lgkmcnt(5)
	v_lshlrev_b64 v[10:11], 2, v[10:11]
	s_waitcnt lgkmcnt(4)
	v_mov_b32_e32 v8, s25
	v_add_co_u32_e32 v10, vcc, s24, v10
	v_addc_co_u32_e32 v11, vcc, v8, v11, vcc
	global_store_dword v[10:11], v9, off
	s_or_b64 exec, exec, s[4:5]
	v_cmp_gt_u32_e32 vcc, s33, v29
	s_and_saveexec_b64 s[4:5], vcc
	s_cbranch_execnz .LBB991_156
.LBB991_191:
	s_or_b64 exec, exec, s[4:5]
	v_cmp_gt_u32_e32 vcc, s33, v28
	s_and_saveexec_b64 s[4:5], vcc
	s_cbranch_execz .LBB991_161
.LBB991_192:
	v_cmp_ge_u32_e32 vcc, v28, v18
                                        ; implicit-def: $vgpr8_vgpr9
	s_and_saveexec_b64 s[6:7], vcc
	s_xor_b64 s[6:7], exec, s[6:7]
	s_cbranch_execz .LBB991_194
; %bb.193:
	s_waitcnt lgkmcnt(3)
	v_xor_b32_e32 v6, 0xfffff8ff, v0
	v_ashrrev_i32_e32 v9, 31, v6
	v_add_co_u32_e32 v8, vcc, v1, v6
	v_addc_co_u32_e32 v9, vcc, v19, v9, vcc
                                        ; implicit-def: $vgpr28
.LBB991_194:
	s_andn2_saveexec_b64 s[6:7], s[6:7]
	s_cbranch_execz .LBB991_196
; %bb.195:
	s_waitcnt lgkmcnt(4)
	v_add_co_u32_e32 v8, vcc, v16, v28
	v_addc_co_u32_e32 v9, vcc, 0, v17, vcc
.LBB991_196:
	s_or_b64 exec, exec, s[6:7]
	s_waitcnt lgkmcnt(4)
	v_lshlrev_b64 v[8:9], 2, v[8:9]
	s_waitcnt lgkmcnt(3)
	v_mov_b32_e32 v6, s25
	v_add_co_u32_e32 v8, vcc, s24, v8
	v_addc_co_u32_e32 v9, vcc, v6, v9, vcc
	global_store_dword v[8:9], v7, off
	s_or_b64 exec, exec, s[4:5]
	v_cmp_gt_u32_e32 vcc, s33, v27
	s_and_saveexec_b64 s[4:5], vcc
	s_cbranch_execnz .LBB991_162
.LBB991_197:
	s_or_b64 exec, exec, s[4:5]
	v_cmp_gt_u32_e32 vcc, s33, v26
	s_and_saveexec_b64 s[4:5], vcc
	s_cbranch_execz .LBB991_167
.LBB991_198:
	v_cmp_ge_u32_e32 vcc, v26, v18
                                        ; implicit-def: $vgpr6_vgpr7
	s_and_saveexec_b64 s[6:7], vcc
	s_xor_b64 s[6:7], exec, s[6:7]
	s_cbranch_execz .LBB991_200
; %bb.199:
	s_waitcnt lgkmcnt(2)
	v_xor_b32_e32 v4, 0xfffff6ff, v0
	v_ashrrev_i32_e32 v7, 31, v4
	v_add_co_u32_e32 v6, vcc, v1, v4
	v_addc_co_u32_e32 v7, vcc, v19, v7, vcc
                                        ; implicit-def: $vgpr26
.LBB991_200:
	s_andn2_saveexec_b64 s[6:7], s[6:7]
	s_cbranch_execz .LBB991_202
; %bb.201:
	s_waitcnt lgkmcnt(3)
	v_add_co_u32_e32 v6, vcc, v16, v26
	v_addc_co_u32_e32 v7, vcc, 0, v17, vcc
.LBB991_202:
	s_or_b64 exec, exec, s[6:7]
	s_waitcnt lgkmcnt(3)
	v_lshlrev_b64 v[6:7], 2, v[6:7]
	s_waitcnt lgkmcnt(2)
	v_mov_b32_e32 v4, s25
	v_add_co_u32_e32 v6, vcc, s24, v6
	v_addc_co_u32_e32 v7, vcc, v4, v7, vcc
	global_store_dword v[6:7], v5, off
	s_or_b64 exec, exec, s[4:5]
	v_cmp_gt_u32_e32 vcc, s33, v25
	s_and_saveexec_b64 s[4:5], vcc
	s_cbranch_execnz .LBB991_168
.LBB991_203:
	s_or_b64 exec, exec, s[4:5]
	v_cmp_gt_u32_e32 vcc, s33, v24
	s_and_saveexec_b64 s[4:5], vcc
	s_cbranch_execz .LBB991_209
.LBB991_204:
	v_cmp_ge_u32_e32 vcc, v24, v18
                                        ; implicit-def: $vgpr4_vgpr5
	s_and_saveexec_b64 s[6:7], vcc
	s_xor_b64 s[6:7], exec, s[6:7]
	s_cbranch_execz .LBB991_206
; %bb.205:
	s_waitcnt lgkmcnt(1)
	v_xor_b32_e32 v2, 0xfffff4ff, v0
	v_ashrrev_i32_e32 v5, 31, v2
	v_add_co_u32_e32 v4, vcc, v1, v2
	v_addc_co_u32_e32 v5, vcc, v19, v5, vcc
                                        ; implicit-def: $vgpr24
.LBB991_206:
	s_andn2_saveexec_b64 s[6:7], s[6:7]
	s_cbranch_execz .LBB991_208
; %bb.207:
	s_waitcnt lgkmcnt(2)
	v_add_co_u32_e32 v4, vcc, v16, v24
	v_addc_co_u32_e32 v5, vcc, 0, v17, vcc
.LBB991_208:
	s_or_b64 exec, exec, s[6:7]
	s_waitcnt lgkmcnt(2)
	v_lshlrev_b64 v[4:5], 2, v[4:5]
	s_waitcnt lgkmcnt(1)
	v_mov_b32_e32 v2, s25
	v_add_co_u32_e32 v4, vcc, s24, v4
	v_addc_co_u32_e32 v5, vcc, v2, v5, vcc
	global_store_dword v[4:5], v3, off
.LBB991_209:
	s_or_b64 exec, exec, s[4:5]
	v_cmp_gt_u32_e32 vcc, s33, v23
                                        ; implicit-def: $vgpr14_vgpr15
	s_and_saveexec_b64 s[4:5], vcc
	s_cbranch_execz .LBB991_215
; %bb.210:
	v_cmp_ge_u32_e32 vcc, v23, v18
                                        ; implicit-def: $vgpr14_vgpr15
	s_and_saveexec_b64 s[6:7], vcc
	s_xor_b64 s[6:7], exec, s[6:7]
	s_cbranch_execz .LBB991_212
; %bb.211:
	v_xor_b32_e32 v0, 0xfffff3ff, v0
	s_waitcnt lgkmcnt(1)
	v_ashrrev_i32_e32 v2, 31, v0
	v_add_co_u32_e32 v14, vcc, v1, v0
	v_addc_co_u32_e32 v15, vcc, v19, v2, vcc
                                        ; implicit-def: $vgpr23
.LBB991_212:
	s_andn2_saveexec_b64 s[6:7], s[6:7]
; %bb.213:
	v_add_co_u32_e32 v14, vcc, v16, v23
	v_addc_co_u32_e32 v15, vcc, 0, v17, vcc
; %bb.214:
	s_or_b64 exec, exec, s[6:7]
	s_or_b64 s[2:3], s[2:3], exec
.LBB991_215:
	s_or_b64 exec, exec, s[4:5]
	s_and_saveexec_b64 s[4:5], s[2:3]
	s_cbranch_execnz .LBB991_134
.LBB991_216:
	s_or_b64 exec, exec, s[4:5]
	s_and_b64 s[0:1], s[0:1], s[22:23]
	s_and_saveexec_b64 s[2:3], s[0:1]
	s_cbranch_execz .LBB991_135
.LBB991_217:
	v_add_co_u32_e32 v0, vcc, v16, v18
	s_waitcnt lgkmcnt(1)
	v_mov_b32_e32 v2, 0
	v_addc_co_u32_e32 v1, vcc, 0, v17, vcc
	global_store_dwordx2 v2, v[0:1], s[20:21]
	s_endpgm
	.section	.rodata,"a",@progbits
	.p2align	6, 0x0
	.amdhsa_kernel _ZN7rocprim17ROCPRIM_400000_NS6detail17trampoline_kernelINS0_13select_configILj256ELj13ELNS0_17block_load_methodE3ELS4_3ELS4_3ELNS0_20block_scan_algorithmE0ELj4294967295EEENS1_25partition_config_selectorILNS1_17partition_subalgoE3EjNS0_10empty_typeEbEEZZNS1_14partition_implILS8_3ELb0ES6_jNS0_17counting_iteratorIjlEEPS9_SE_NS0_5tupleIJPjSE_EEENSF_IJSE_SE_EEES9_SG_JZNS1_25segmented_radix_sort_implINS0_14default_configELb0EPKsPsPKlPlN2at6native12_GLOBAL__N_18offset_tEEE10hipError_tPvRmT1_PNSt15iterator_traitsISY_E10value_typeET2_T3_PNSZ_IS14_E10value_typeET4_jRbjT5_S1A_jjP12ihipStream_tbEUljE_EEESV_SW_SX_S14_S18_S1A_T6_T7_T9_mT8_S1C_bDpT10_ENKUlT_T0_E_clISt17integral_constantIbLb1EES1P_EEDaS1K_S1L_EUlS1K_E_NS1_11comp_targetILNS1_3genE4ELNS1_11target_archE910ELNS1_3gpuE8ELNS1_3repE0EEENS1_30default_config_static_selectorELNS0_4arch9wavefront6targetE1EEEvSY_
		.amdhsa_group_segment_fixed_size 13324
		.amdhsa_private_segment_fixed_size 0
		.amdhsa_kernarg_size 152
		.amdhsa_user_sgpr_count 6
		.amdhsa_user_sgpr_private_segment_buffer 1
		.amdhsa_user_sgpr_dispatch_ptr 0
		.amdhsa_user_sgpr_queue_ptr 0
		.amdhsa_user_sgpr_kernarg_segment_ptr 1
		.amdhsa_user_sgpr_dispatch_id 0
		.amdhsa_user_sgpr_flat_scratch_init 0
		.amdhsa_user_sgpr_kernarg_preload_length 0
		.amdhsa_user_sgpr_kernarg_preload_offset 0
		.amdhsa_user_sgpr_private_segment_size 0
		.amdhsa_uses_dynamic_stack 0
		.amdhsa_system_sgpr_private_segment_wavefront_offset 0
		.amdhsa_system_sgpr_workgroup_id_x 1
		.amdhsa_system_sgpr_workgroup_id_y 0
		.amdhsa_system_sgpr_workgroup_id_z 0
		.amdhsa_system_sgpr_workgroup_info 0
		.amdhsa_system_vgpr_workitem_id 0
		.amdhsa_next_free_vgpr 64
		.amdhsa_next_free_sgpr 44
		.amdhsa_accum_offset 64
		.amdhsa_reserve_vcc 1
		.amdhsa_reserve_flat_scratch 0
		.amdhsa_float_round_mode_32 0
		.amdhsa_float_round_mode_16_64 0
		.amdhsa_float_denorm_mode_32 3
		.amdhsa_float_denorm_mode_16_64 3
		.amdhsa_dx10_clamp 1
		.amdhsa_ieee_mode 1
		.amdhsa_fp16_overflow 0
		.amdhsa_tg_split 0
		.amdhsa_exception_fp_ieee_invalid_op 0
		.amdhsa_exception_fp_denorm_src 0
		.amdhsa_exception_fp_ieee_div_zero 0
		.amdhsa_exception_fp_ieee_overflow 0
		.amdhsa_exception_fp_ieee_underflow 0
		.amdhsa_exception_fp_ieee_inexact 0
		.amdhsa_exception_int_div_zero 0
	.end_amdhsa_kernel
	.section	.text._ZN7rocprim17ROCPRIM_400000_NS6detail17trampoline_kernelINS0_13select_configILj256ELj13ELNS0_17block_load_methodE3ELS4_3ELS4_3ELNS0_20block_scan_algorithmE0ELj4294967295EEENS1_25partition_config_selectorILNS1_17partition_subalgoE3EjNS0_10empty_typeEbEEZZNS1_14partition_implILS8_3ELb0ES6_jNS0_17counting_iteratorIjlEEPS9_SE_NS0_5tupleIJPjSE_EEENSF_IJSE_SE_EEES9_SG_JZNS1_25segmented_radix_sort_implINS0_14default_configELb0EPKsPsPKlPlN2at6native12_GLOBAL__N_18offset_tEEE10hipError_tPvRmT1_PNSt15iterator_traitsISY_E10value_typeET2_T3_PNSZ_IS14_E10value_typeET4_jRbjT5_S1A_jjP12ihipStream_tbEUljE_EEESV_SW_SX_S14_S18_S1A_T6_T7_T9_mT8_S1C_bDpT10_ENKUlT_T0_E_clISt17integral_constantIbLb1EES1P_EEDaS1K_S1L_EUlS1K_E_NS1_11comp_targetILNS1_3genE4ELNS1_11target_archE910ELNS1_3gpuE8ELNS1_3repE0EEENS1_30default_config_static_selectorELNS0_4arch9wavefront6targetE1EEEvSY_,"axG",@progbits,_ZN7rocprim17ROCPRIM_400000_NS6detail17trampoline_kernelINS0_13select_configILj256ELj13ELNS0_17block_load_methodE3ELS4_3ELS4_3ELNS0_20block_scan_algorithmE0ELj4294967295EEENS1_25partition_config_selectorILNS1_17partition_subalgoE3EjNS0_10empty_typeEbEEZZNS1_14partition_implILS8_3ELb0ES6_jNS0_17counting_iteratorIjlEEPS9_SE_NS0_5tupleIJPjSE_EEENSF_IJSE_SE_EEES9_SG_JZNS1_25segmented_radix_sort_implINS0_14default_configELb0EPKsPsPKlPlN2at6native12_GLOBAL__N_18offset_tEEE10hipError_tPvRmT1_PNSt15iterator_traitsISY_E10value_typeET2_T3_PNSZ_IS14_E10value_typeET4_jRbjT5_S1A_jjP12ihipStream_tbEUljE_EEESV_SW_SX_S14_S18_S1A_T6_T7_T9_mT8_S1C_bDpT10_ENKUlT_T0_E_clISt17integral_constantIbLb1EES1P_EEDaS1K_S1L_EUlS1K_E_NS1_11comp_targetILNS1_3genE4ELNS1_11target_archE910ELNS1_3gpuE8ELNS1_3repE0EEENS1_30default_config_static_selectorELNS0_4arch9wavefront6targetE1EEEvSY_,comdat
.Lfunc_end991:
	.size	_ZN7rocprim17ROCPRIM_400000_NS6detail17trampoline_kernelINS0_13select_configILj256ELj13ELNS0_17block_load_methodE3ELS4_3ELS4_3ELNS0_20block_scan_algorithmE0ELj4294967295EEENS1_25partition_config_selectorILNS1_17partition_subalgoE3EjNS0_10empty_typeEbEEZZNS1_14partition_implILS8_3ELb0ES6_jNS0_17counting_iteratorIjlEEPS9_SE_NS0_5tupleIJPjSE_EEENSF_IJSE_SE_EEES9_SG_JZNS1_25segmented_radix_sort_implINS0_14default_configELb0EPKsPsPKlPlN2at6native12_GLOBAL__N_18offset_tEEE10hipError_tPvRmT1_PNSt15iterator_traitsISY_E10value_typeET2_T3_PNSZ_IS14_E10value_typeET4_jRbjT5_S1A_jjP12ihipStream_tbEUljE_EEESV_SW_SX_S14_S18_S1A_T6_T7_T9_mT8_S1C_bDpT10_ENKUlT_T0_E_clISt17integral_constantIbLb1EES1P_EEDaS1K_S1L_EUlS1K_E_NS1_11comp_targetILNS1_3genE4ELNS1_11target_archE910ELNS1_3gpuE8ELNS1_3repE0EEENS1_30default_config_static_selectorELNS0_4arch9wavefront6targetE1EEEvSY_, .Lfunc_end991-_ZN7rocprim17ROCPRIM_400000_NS6detail17trampoline_kernelINS0_13select_configILj256ELj13ELNS0_17block_load_methodE3ELS4_3ELS4_3ELNS0_20block_scan_algorithmE0ELj4294967295EEENS1_25partition_config_selectorILNS1_17partition_subalgoE3EjNS0_10empty_typeEbEEZZNS1_14partition_implILS8_3ELb0ES6_jNS0_17counting_iteratorIjlEEPS9_SE_NS0_5tupleIJPjSE_EEENSF_IJSE_SE_EEES9_SG_JZNS1_25segmented_radix_sort_implINS0_14default_configELb0EPKsPsPKlPlN2at6native12_GLOBAL__N_18offset_tEEE10hipError_tPvRmT1_PNSt15iterator_traitsISY_E10value_typeET2_T3_PNSZ_IS14_E10value_typeET4_jRbjT5_S1A_jjP12ihipStream_tbEUljE_EEESV_SW_SX_S14_S18_S1A_T6_T7_T9_mT8_S1C_bDpT10_ENKUlT_T0_E_clISt17integral_constantIbLb1EES1P_EEDaS1K_S1L_EUlS1K_E_NS1_11comp_targetILNS1_3genE4ELNS1_11target_archE910ELNS1_3gpuE8ELNS1_3repE0EEENS1_30default_config_static_selectorELNS0_4arch9wavefront6targetE1EEEvSY_
                                        ; -- End function
	.section	.AMDGPU.csdata,"",@progbits
; Kernel info:
; codeLenInByte = 7896
; NumSgprs: 48
; NumVgprs: 64
; NumAgprs: 0
; TotalNumVgprs: 64
; ScratchSize: 0
; MemoryBound: 0
; FloatMode: 240
; IeeeMode: 1
; LDSByteSize: 13324 bytes/workgroup (compile time only)
; SGPRBlocks: 5
; VGPRBlocks: 7
; NumSGPRsForWavesPerEU: 48
; NumVGPRsForWavesPerEU: 64
; AccumOffset: 64
; Occupancy: 4
; WaveLimiterHint : 0
; COMPUTE_PGM_RSRC2:SCRATCH_EN: 0
; COMPUTE_PGM_RSRC2:USER_SGPR: 6
; COMPUTE_PGM_RSRC2:TRAP_HANDLER: 0
; COMPUTE_PGM_RSRC2:TGID_X_EN: 1
; COMPUTE_PGM_RSRC2:TGID_Y_EN: 0
; COMPUTE_PGM_RSRC2:TGID_Z_EN: 0
; COMPUTE_PGM_RSRC2:TIDIG_COMP_CNT: 0
; COMPUTE_PGM_RSRC3_GFX90A:ACCUM_OFFSET: 15
; COMPUTE_PGM_RSRC3_GFX90A:TG_SPLIT: 0
	.section	.text._ZN7rocprim17ROCPRIM_400000_NS6detail17trampoline_kernelINS0_13select_configILj256ELj13ELNS0_17block_load_methodE3ELS4_3ELS4_3ELNS0_20block_scan_algorithmE0ELj4294967295EEENS1_25partition_config_selectorILNS1_17partition_subalgoE3EjNS0_10empty_typeEbEEZZNS1_14partition_implILS8_3ELb0ES6_jNS0_17counting_iteratorIjlEEPS9_SE_NS0_5tupleIJPjSE_EEENSF_IJSE_SE_EEES9_SG_JZNS1_25segmented_radix_sort_implINS0_14default_configELb0EPKsPsPKlPlN2at6native12_GLOBAL__N_18offset_tEEE10hipError_tPvRmT1_PNSt15iterator_traitsISY_E10value_typeET2_T3_PNSZ_IS14_E10value_typeET4_jRbjT5_S1A_jjP12ihipStream_tbEUljE_EEESV_SW_SX_S14_S18_S1A_T6_T7_T9_mT8_S1C_bDpT10_ENKUlT_T0_E_clISt17integral_constantIbLb1EES1P_EEDaS1K_S1L_EUlS1K_E_NS1_11comp_targetILNS1_3genE3ELNS1_11target_archE908ELNS1_3gpuE7ELNS1_3repE0EEENS1_30default_config_static_selectorELNS0_4arch9wavefront6targetE1EEEvSY_,"axG",@progbits,_ZN7rocprim17ROCPRIM_400000_NS6detail17trampoline_kernelINS0_13select_configILj256ELj13ELNS0_17block_load_methodE3ELS4_3ELS4_3ELNS0_20block_scan_algorithmE0ELj4294967295EEENS1_25partition_config_selectorILNS1_17partition_subalgoE3EjNS0_10empty_typeEbEEZZNS1_14partition_implILS8_3ELb0ES6_jNS0_17counting_iteratorIjlEEPS9_SE_NS0_5tupleIJPjSE_EEENSF_IJSE_SE_EEES9_SG_JZNS1_25segmented_radix_sort_implINS0_14default_configELb0EPKsPsPKlPlN2at6native12_GLOBAL__N_18offset_tEEE10hipError_tPvRmT1_PNSt15iterator_traitsISY_E10value_typeET2_T3_PNSZ_IS14_E10value_typeET4_jRbjT5_S1A_jjP12ihipStream_tbEUljE_EEESV_SW_SX_S14_S18_S1A_T6_T7_T9_mT8_S1C_bDpT10_ENKUlT_T0_E_clISt17integral_constantIbLb1EES1P_EEDaS1K_S1L_EUlS1K_E_NS1_11comp_targetILNS1_3genE3ELNS1_11target_archE908ELNS1_3gpuE7ELNS1_3repE0EEENS1_30default_config_static_selectorELNS0_4arch9wavefront6targetE1EEEvSY_,comdat
	.globl	_ZN7rocprim17ROCPRIM_400000_NS6detail17trampoline_kernelINS0_13select_configILj256ELj13ELNS0_17block_load_methodE3ELS4_3ELS4_3ELNS0_20block_scan_algorithmE0ELj4294967295EEENS1_25partition_config_selectorILNS1_17partition_subalgoE3EjNS0_10empty_typeEbEEZZNS1_14partition_implILS8_3ELb0ES6_jNS0_17counting_iteratorIjlEEPS9_SE_NS0_5tupleIJPjSE_EEENSF_IJSE_SE_EEES9_SG_JZNS1_25segmented_radix_sort_implINS0_14default_configELb0EPKsPsPKlPlN2at6native12_GLOBAL__N_18offset_tEEE10hipError_tPvRmT1_PNSt15iterator_traitsISY_E10value_typeET2_T3_PNSZ_IS14_E10value_typeET4_jRbjT5_S1A_jjP12ihipStream_tbEUljE_EEESV_SW_SX_S14_S18_S1A_T6_T7_T9_mT8_S1C_bDpT10_ENKUlT_T0_E_clISt17integral_constantIbLb1EES1P_EEDaS1K_S1L_EUlS1K_E_NS1_11comp_targetILNS1_3genE3ELNS1_11target_archE908ELNS1_3gpuE7ELNS1_3repE0EEENS1_30default_config_static_selectorELNS0_4arch9wavefront6targetE1EEEvSY_ ; -- Begin function _ZN7rocprim17ROCPRIM_400000_NS6detail17trampoline_kernelINS0_13select_configILj256ELj13ELNS0_17block_load_methodE3ELS4_3ELS4_3ELNS0_20block_scan_algorithmE0ELj4294967295EEENS1_25partition_config_selectorILNS1_17partition_subalgoE3EjNS0_10empty_typeEbEEZZNS1_14partition_implILS8_3ELb0ES6_jNS0_17counting_iteratorIjlEEPS9_SE_NS0_5tupleIJPjSE_EEENSF_IJSE_SE_EEES9_SG_JZNS1_25segmented_radix_sort_implINS0_14default_configELb0EPKsPsPKlPlN2at6native12_GLOBAL__N_18offset_tEEE10hipError_tPvRmT1_PNSt15iterator_traitsISY_E10value_typeET2_T3_PNSZ_IS14_E10value_typeET4_jRbjT5_S1A_jjP12ihipStream_tbEUljE_EEESV_SW_SX_S14_S18_S1A_T6_T7_T9_mT8_S1C_bDpT10_ENKUlT_T0_E_clISt17integral_constantIbLb1EES1P_EEDaS1K_S1L_EUlS1K_E_NS1_11comp_targetILNS1_3genE3ELNS1_11target_archE908ELNS1_3gpuE7ELNS1_3repE0EEENS1_30default_config_static_selectorELNS0_4arch9wavefront6targetE1EEEvSY_
	.p2align	8
	.type	_ZN7rocprim17ROCPRIM_400000_NS6detail17trampoline_kernelINS0_13select_configILj256ELj13ELNS0_17block_load_methodE3ELS4_3ELS4_3ELNS0_20block_scan_algorithmE0ELj4294967295EEENS1_25partition_config_selectorILNS1_17partition_subalgoE3EjNS0_10empty_typeEbEEZZNS1_14partition_implILS8_3ELb0ES6_jNS0_17counting_iteratorIjlEEPS9_SE_NS0_5tupleIJPjSE_EEENSF_IJSE_SE_EEES9_SG_JZNS1_25segmented_radix_sort_implINS0_14default_configELb0EPKsPsPKlPlN2at6native12_GLOBAL__N_18offset_tEEE10hipError_tPvRmT1_PNSt15iterator_traitsISY_E10value_typeET2_T3_PNSZ_IS14_E10value_typeET4_jRbjT5_S1A_jjP12ihipStream_tbEUljE_EEESV_SW_SX_S14_S18_S1A_T6_T7_T9_mT8_S1C_bDpT10_ENKUlT_T0_E_clISt17integral_constantIbLb1EES1P_EEDaS1K_S1L_EUlS1K_E_NS1_11comp_targetILNS1_3genE3ELNS1_11target_archE908ELNS1_3gpuE7ELNS1_3repE0EEENS1_30default_config_static_selectorELNS0_4arch9wavefront6targetE1EEEvSY_,@function
_ZN7rocprim17ROCPRIM_400000_NS6detail17trampoline_kernelINS0_13select_configILj256ELj13ELNS0_17block_load_methodE3ELS4_3ELS4_3ELNS0_20block_scan_algorithmE0ELj4294967295EEENS1_25partition_config_selectorILNS1_17partition_subalgoE3EjNS0_10empty_typeEbEEZZNS1_14partition_implILS8_3ELb0ES6_jNS0_17counting_iteratorIjlEEPS9_SE_NS0_5tupleIJPjSE_EEENSF_IJSE_SE_EEES9_SG_JZNS1_25segmented_radix_sort_implINS0_14default_configELb0EPKsPsPKlPlN2at6native12_GLOBAL__N_18offset_tEEE10hipError_tPvRmT1_PNSt15iterator_traitsISY_E10value_typeET2_T3_PNSZ_IS14_E10value_typeET4_jRbjT5_S1A_jjP12ihipStream_tbEUljE_EEESV_SW_SX_S14_S18_S1A_T6_T7_T9_mT8_S1C_bDpT10_ENKUlT_T0_E_clISt17integral_constantIbLb1EES1P_EEDaS1K_S1L_EUlS1K_E_NS1_11comp_targetILNS1_3genE3ELNS1_11target_archE908ELNS1_3gpuE7ELNS1_3repE0EEENS1_30default_config_static_selectorELNS0_4arch9wavefront6targetE1EEEvSY_: ; @_ZN7rocprim17ROCPRIM_400000_NS6detail17trampoline_kernelINS0_13select_configILj256ELj13ELNS0_17block_load_methodE3ELS4_3ELS4_3ELNS0_20block_scan_algorithmE0ELj4294967295EEENS1_25partition_config_selectorILNS1_17partition_subalgoE3EjNS0_10empty_typeEbEEZZNS1_14partition_implILS8_3ELb0ES6_jNS0_17counting_iteratorIjlEEPS9_SE_NS0_5tupleIJPjSE_EEENSF_IJSE_SE_EEES9_SG_JZNS1_25segmented_radix_sort_implINS0_14default_configELb0EPKsPsPKlPlN2at6native12_GLOBAL__N_18offset_tEEE10hipError_tPvRmT1_PNSt15iterator_traitsISY_E10value_typeET2_T3_PNSZ_IS14_E10value_typeET4_jRbjT5_S1A_jjP12ihipStream_tbEUljE_EEESV_SW_SX_S14_S18_S1A_T6_T7_T9_mT8_S1C_bDpT10_ENKUlT_T0_E_clISt17integral_constantIbLb1EES1P_EEDaS1K_S1L_EUlS1K_E_NS1_11comp_targetILNS1_3genE3ELNS1_11target_archE908ELNS1_3gpuE7ELNS1_3repE0EEENS1_30default_config_static_selectorELNS0_4arch9wavefront6targetE1EEEvSY_
; %bb.0:
	.section	.rodata,"a",@progbits
	.p2align	6, 0x0
	.amdhsa_kernel _ZN7rocprim17ROCPRIM_400000_NS6detail17trampoline_kernelINS0_13select_configILj256ELj13ELNS0_17block_load_methodE3ELS4_3ELS4_3ELNS0_20block_scan_algorithmE0ELj4294967295EEENS1_25partition_config_selectorILNS1_17partition_subalgoE3EjNS0_10empty_typeEbEEZZNS1_14partition_implILS8_3ELb0ES6_jNS0_17counting_iteratorIjlEEPS9_SE_NS0_5tupleIJPjSE_EEENSF_IJSE_SE_EEES9_SG_JZNS1_25segmented_radix_sort_implINS0_14default_configELb0EPKsPsPKlPlN2at6native12_GLOBAL__N_18offset_tEEE10hipError_tPvRmT1_PNSt15iterator_traitsISY_E10value_typeET2_T3_PNSZ_IS14_E10value_typeET4_jRbjT5_S1A_jjP12ihipStream_tbEUljE_EEESV_SW_SX_S14_S18_S1A_T6_T7_T9_mT8_S1C_bDpT10_ENKUlT_T0_E_clISt17integral_constantIbLb1EES1P_EEDaS1K_S1L_EUlS1K_E_NS1_11comp_targetILNS1_3genE3ELNS1_11target_archE908ELNS1_3gpuE7ELNS1_3repE0EEENS1_30default_config_static_selectorELNS0_4arch9wavefront6targetE1EEEvSY_
		.amdhsa_group_segment_fixed_size 0
		.amdhsa_private_segment_fixed_size 0
		.amdhsa_kernarg_size 152
		.amdhsa_user_sgpr_count 6
		.amdhsa_user_sgpr_private_segment_buffer 1
		.amdhsa_user_sgpr_dispatch_ptr 0
		.amdhsa_user_sgpr_queue_ptr 0
		.amdhsa_user_sgpr_kernarg_segment_ptr 1
		.amdhsa_user_sgpr_dispatch_id 0
		.amdhsa_user_sgpr_flat_scratch_init 0
		.amdhsa_user_sgpr_kernarg_preload_length 0
		.amdhsa_user_sgpr_kernarg_preload_offset 0
		.amdhsa_user_sgpr_private_segment_size 0
		.amdhsa_uses_dynamic_stack 0
		.amdhsa_system_sgpr_private_segment_wavefront_offset 0
		.amdhsa_system_sgpr_workgroup_id_x 1
		.amdhsa_system_sgpr_workgroup_id_y 0
		.amdhsa_system_sgpr_workgroup_id_z 0
		.amdhsa_system_sgpr_workgroup_info 0
		.amdhsa_system_vgpr_workitem_id 0
		.amdhsa_next_free_vgpr 1
		.amdhsa_next_free_sgpr 0
		.amdhsa_accum_offset 4
		.amdhsa_reserve_vcc 0
		.amdhsa_reserve_flat_scratch 0
		.amdhsa_float_round_mode_32 0
		.amdhsa_float_round_mode_16_64 0
		.amdhsa_float_denorm_mode_32 3
		.amdhsa_float_denorm_mode_16_64 3
		.amdhsa_dx10_clamp 1
		.amdhsa_ieee_mode 1
		.amdhsa_fp16_overflow 0
		.amdhsa_tg_split 0
		.amdhsa_exception_fp_ieee_invalid_op 0
		.amdhsa_exception_fp_denorm_src 0
		.amdhsa_exception_fp_ieee_div_zero 0
		.amdhsa_exception_fp_ieee_overflow 0
		.amdhsa_exception_fp_ieee_underflow 0
		.amdhsa_exception_fp_ieee_inexact 0
		.amdhsa_exception_int_div_zero 0
	.end_amdhsa_kernel
	.section	.text._ZN7rocprim17ROCPRIM_400000_NS6detail17trampoline_kernelINS0_13select_configILj256ELj13ELNS0_17block_load_methodE3ELS4_3ELS4_3ELNS0_20block_scan_algorithmE0ELj4294967295EEENS1_25partition_config_selectorILNS1_17partition_subalgoE3EjNS0_10empty_typeEbEEZZNS1_14partition_implILS8_3ELb0ES6_jNS0_17counting_iteratorIjlEEPS9_SE_NS0_5tupleIJPjSE_EEENSF_IJSE_SE_EEES9_SG_JZNS1_25segmented_radix_sort_implINS0_14default_configELb0EPKsPsPKlPlN2at6native12_GLOBAL__N_18offset_tEEE10hipError_tPvRmT1_PNSt15iterator_traitsISY_E10value_typeET2_T3_PNSZ_IS14_E10value_typeET4_jRbjT5_S1A_jjP12ihipStream_tbEUljE_EEESV_SW_SX_S14_S18_S1A_T6_T7_T9_mT8_S1C_bDpT10_ENKUlT_T0_E_clISt17integral_constantIbLb1EES1P_EEDaS1K_S1L_EUlS1K_E_NS1_11comp_targetILNS1_3genE3ELNS1_11target_archE908ELNS1_3gpuE7ELNS1_3repE0EEENS1_30default_config_static_selectorELNS0_4arch9wavefront6targetE1EEEvSY_,"axG",@progbits,_ZN7rocprim17ROCPRIM_400000_NS6detail17trampoline_kernelINS0_13select_configILj256ELj13ELNS0_17block_load_methodE3ELS4_3ELS4_3ELNS0_20block_scan_algorithmE0ELj4294967295EEENS1_25partition_config_selectorILNS1_17partition_subalgoE3EjNS0_10empty_typeEbEEZZNS1_14partition_implILS8_3ELb0ES6_jNS0_17counting_iteratorIjlEEPS9_SE_NS0_5tupleIJPjSE_EEENSF_IJSE_SE_EEES9_SG_JZNS1_25segmented_radix_sort_implINS0_14default_configELb0EPKsPsPKlPlN2at6native12_GLOBAL__N_18offset_tEEE10hipError_tPvRmT1_PNSt15iterator_traitsISY_E10value_typeET2_T3_PNSZ_IS14_E10value_typeET4_jRbjT5_S1A_jjP12ihipStream_tbEUljE_EEESV_SW_SX_S14_S18_S1A_T6_T7_T9_mT8_S1C_bDpT10_ENKUlT_T0_E_clISt17integral_constantIbLb1EES1P_EEDaS1K_S1L_EUlS1K_E_NS1_11comp_targetILNS1_3genE3ELNS1_11target_archE908ELNS1_3gpuE7ELNS1_3repE0EEENS1_30default_config_static_selectorELNS0_4arch9wavefront6targetE1EEEvSY_,comdat
.Lfunc_end992:
	.size	_ZN7rocprim17ROCPRIM_400000_NS6detail17trampoline_kernelINS0_13select_configILj256ELj13ELNS0_17block_load_methodE3ELS4_3ELS4_3ELNS0_20block_scan_algorithmE0ELj4294967295EEENS1_25partition_config_selectorILNS1_17partition_subalgoE3EjNS0_10empty_typeEbEEZZNS1_14partition_implILS8_3ELb0ES6_jNS0_17counting_iteratorIjlEEPS9_SE_NS0_5tupleIJPjSE_EEENSF_IJSE_SE_EEES9_SG_JZNS1_25segmented_radix_sort_implINS0_14default_configELb0EPKsPsPKlPlN2at6native12_GLOBAL__N_18offset_tEEE10hipError_tPvRmT1_PNSt15iterator_traitsISY_E10value_typeET2_T3_PNSZ_IS14_E10value_typeET4_jRbjT5_S1A_jjP12ihipStream_tbEUljE_EEESV_SW_SX_S14_S18_S1A_T6_T7_T9_mT8_S1C_bDpT10_ENKUlT_T0_E_clISt17integral_constantIbLb1EES1P_EEDaS1K_S1L_EUlS1K_E_NS1_11comp_targetILNS1_3genE3ELNS1_11target_archE908ELNS1_3gpuE7ELNS1_3repE0EEENS1_30default_config_static_selectorELNS0_4arch9wavefront6targetE1EEEvSY_, .Lfunc_end992-_ZN7rocprim17ROCPRIM_400000_NS6detail17trampoline_kernelINS0_13select_configILj256ELj13ELNS0_17block_load_methodE3ELS4_3ELS4_3ELNS0_20block_scan_algorithmE0ELj4294967295EEENS1_25partition_config_selectorILNS1_17partition_subalgoE3EjNS0_10empty_typeEbEEZZNS1_14partition_implILS8_3ELb0ES6_jNS0_17counting_iteratorIjlEEPS9_SE_NS0_5tupleIJPjSE_EEENSF_IJSE_SE_EEES9_SG_JZNS1_25segmented_radix_sort_implINS0_14default_configELb0EPKsPsPKlPlN2at6native12_GLOBAL__N_18offset_tEEE10hipError_tPvRmT1_PNSt15iterator_traitsISY_E10value_typeET2_T3_PNSZ_IS14_E10value_typeET4_jRbjT5_S1A_jjP12ihipStream_tbEUljE_EEESV_SW_SX_S14_S18_S1A_T6_T7_T9_mT8_S1C_bDpT10_ENKUlT_T0_E_clISt17integral_constantIbLb1EES1P_EEDaS1K_S1L_EUlS1K_E_NS1_11comp_targetILNS1_3genE3ELNS1_11target_archE908ELNS1_3gpuE7ELNS1_3repE0EEENS1_30default_config_static_selectorELNS0_4arch9wavefront6targetE1EEEvSY_
                                        ; -- End function
	.section	.AMDGPU.csdata,"",@progbits
; Kernel info:
; codeLenInByte = 0
; NumSgprs: 4
; NumVgprs: 0
; NumAgprs: 0
; TotalNumVgprs: 0
; ScratchSize: 0
; MemoryBound: 0
; FloatMode: 240
; IeeeMode: 1
; LDSByteSize: 0 bytes/workgroup (compile time only)
; SGPRBlocks: 0
; VGPRBlocks: 0
; NumSGPRsForWavesPerEU: 4
; NumVGPRsForWavesPerEU: 1
; AccumOffset: 4
; Occupancy: 8
; WaveLimiterHint : 0
; COMPUTE_PGM_RSRC2:SCRATCH_EN: 0
; COMPUTE_PGM_RSRC2:USER_SGPR: 6
; COMPUTE_PGM_RSRC2:TRAP_HANDLER: 0
; COMPUTE_PGM_RSRC2:TGID_X_EN: 1
; COMPUTE_PGM_RSRC2:TGID_Y_EN: 0
; COMPUTE_PGM_RSRC2:TGID_Z_EN: 0
; COMPUTE_PGM_RSRC2:TIDIG_COMP_CNT: 0
; COMPUTE_PGM_RSRC3_GFX90A:ACCUM_OFFSET: 0
; COMPUTE_PGM_RSRC3_GFX90A:TG_SPLIT: 0
	.section	.text._ZN7rocprim17ROCPRIM_400000_NS6detail17trampoline_kernelINS0_13select_configILj256ELj13ELNS0_17block_load_methodE3ELS4_3ELS4_3ELNS0_20block_scan_algorithmE0ELj4294967295EEENS1_25partition_config_selectorILNS1_17partition_subalgoE3EjNS0_10empty_typeEbEEZZNS1_14partition_implILS8_3ELb0ES6_jNS0_17counting_iteratorIjlEEPS9_SE_NS0_5tupleIJPjSE_EEENSF_IJSE_SE_EEES9_SG_JZNS1_25segmented_radix_sort_implINS0_14default_configELb0EPKsPsPKlPlN2at6native12_GLOBAL__N_18offset_tEEE10hipError_tPvRmT1_PNSt15iterator_traitsISY_E10value_typeET2_T3_PNSZ_IS14_E10value_typeET4_jRbjT5_S1A_jjP12ihipStream_tbEUljE_EEESV_SW_SX_S14_S18_S1A_T6_T7_T9_mT8_S1C_bDpT10_ENKUlT_T0_E_clISt17integral_constantIbLb1EES1P_EEDaS1K_S1L_EUlS1K_E_NS1_11comp_targetILNS1_3genE2ELNS1_11target_archE906ELNS1_3gpuE6ELNS1_3repE0EEENS1_30default_config_static_selectorELNS0_4arch9wavefront6targetE1EEEvSY_,"axG",@progbits,_ZN7rocprim17ROCPRIM_400000_NS6detail17trampoline_kernelINS0_13select_configILj256ELj13ELNS0_17block_load_methodE3ELS4_3ELS4_3ELNS0_20block_scan_algorithmE0ELj4294967295EEENS1_25partition_config_selectorILNS1_17partition_subalgoE3EjNS0_10empty_typeEbEEZZNS1_14partition_implILS8_3ELb0ES6_jNS0_17counting_iteratorIjlEEPS9_SE_NS0_5tupleIJPjSE_EEENSF_IJSE_SE_EEES9_SG_JZNS1_25segmented_radix_sort_implINS0_14default_configELb0EPKsPsPKlPlN2at6native12_GLOBAL__N_18offset_tEEE10hipError_tPvRmT1_PNSt15iterator_traitsISY_E10value_typeET2_T3_PNSZ_IS14_E10value_typeET4_jRbjT5_S1A_jjP12ihipStream_tbEUljE_EEESV_SW_SX_S14_S18_S1A_T6_T7_T9_mT8_S1C_bDpT10_ENKUlT_T0_E_clISt17integral_constantIbLb1EES1P_EEDaS1K_S1L_EUlS1K_E_NS1_11comp_targetILNS1_3genE2ELNS1_11target_archE906ELNS1_3gpuE6ELNS1_3repE0EEENS1_30default_config_static_selectorELNS0_4arch9wavefront6targetE1EEEvSY_,comdat
	.globl	_ZN7rocprim17ROCPRIM_400000_NS6detail17trampoline_kernelINS0_13select_configILj256ELj13ELNS0_17block_load_methodE3ELS4_3ELS4_3ELNS0_20block_scan_algorithmE0ELj4294967295EEENS1_25partition_config_selectorILNS1_17partition_subalgoE3EjNS0_10empty_typeEbEEZZNS1_14partition_implILS8_3ELb0ES6_jNS0_17counting_iteratorIjlEEPS9_SE_NS0_5tupleIJPjSE_EEENSF_IJSE_SE_EEES9_SG_JZNS1_25segmented_radix_sort_implINS0_14default_configELb0EPKsPsPKlPlN2at6native12_GLOBAL__N_18offset_tEEE10hipError_tPvRmT1_PNSt15iterator_traitsISY_E10value_typeET2_T3_PNSZ_IS14_E10value_typeET4_jRbjT5_S1A_jjP12ihipStream_tbEUljE_EEESV_SW_SX_S14_S18_S1A_T6_T7_T9_mT8_S1C_bDpT10_ENKUlT_T0_E_clISt17integral_constantIbLb1EES1P_EEDaS1K_S1L_EUlS1K_E_NS1_11comp_targetILNS1_3genE2ELNS1_11target_archE906ELNS1_3gpuE6ELNS1_3repE0EEENS1_30default_config_static_selectorELNS0_4arch9wavefront6targetE1EEEvSY_ ; -- Begin function _ZN7rocprim17ROCPRIM_400000_NS6detail17trampoline_kernelINS0_13select_configILj256ELj13ELNS0_17block_load_methodE3ELS4_3ELS4_3ELNS0_20block_scan_algorithmE0ELj4294967295EEENS1_25partition_config_selectorILNS1_17partition_subalgoE3EjNS0_10empty_typeEbEEZZNS1_14partition_implILS8_3ELb0ES6_jNS0_17counting_iteratorIjlEEPS9_SE_NS0_5tupleIJPjSE_EEENSF_IJSE_SE_EEES9_SG_JZNS1_25segmented_radix_sort_implINS0_14default_configELb0EPKsPsPKlPlN2at6native12_GLOBAL__N_18offset_tEEE10hipError_tPvRmT1_PNSt15iterator_traitsISY_E10value_typeET2_T3_PNSZ_IS14_E10value_typeET4_jRbjT5_S1A_jjP12ihipStream_tbEUljE_EEESV_SW_SX_S14_S18_S1A_T6_T7_T9_mT8_S1C_bDpT10_ENKUlT_T0_E_clISt17integral_constantIbLb1EES1P_EEDaS1K_S1L_EUlS1K_E_NS1_11comp_targetILNS1_3genE2ELNS1_11target_archE906ELNS1_3gpuE6ELNS1_3repE0EEENS1_30default_config_static_selectorELNS0_4arch9wavefront6targetE1EEEvSY_
	.p2align	8
	.type	_ZN7rocprim17ROCPRIM_400000_NS6detail17trampoline_kernelINS0_13select_configILj256ELj13ELNS0_17block_load_methodE3ELS4_3ELS4_3ELNS0_20block_scan_algorithmE0ELj4294967295EEENS1_25partition_config_selectorILNS1_17partition_subalgoE3EjNS0_10empty_typeEbEEZZNS1_14partition_implILS8_3ELb0ES6_jNS0_17counting_iteratorIjlEEPS9_SE_NS0_5tupleIJPjSE_EEENSF_IJSE_SE_EEES9_SG_JZNS1_25segmented_radix_sort_implINS0_14default_configELb0EPKsPsPKlPlN2at6native12_GLOBAL__N_18offset_tEEE10hipError_tPvRmT1_PNSt15iterator_traitsISY_E10value_typeET2_T3_PNSZ_IS14_E10value_typeET4_jRbjT5_S1A_jjP12ihipStream_tbEUljE_EEESV_SW_SX_S14_S18_S1A_T6_T7_T9_mT8_S1C_bDpT10_ENKUlT_T0_E_clISt17integral_constantIbLb1EES1P_EEDaS1K_S1L_EUlS1K_E_NS1_11comp_targetILNS1_3genE2ELNS1_11target_archE906ELNS1_3gpuE6ELNS1_3repE0EEENS1_30default_config_static_selectorELNS0_4arch9wavefront6targetE1EEEvSY_,@function
_ZN7rocprim17ROCPRIM_400000_NS6detail17trampoline_kernelINS0_13select_configILj256ELj13ELNS0_17block_load_methodE3ELS4_3ELS4_3ELNS0_20block_scan_algorithmE0ELj4294967295EEENS1_25partition_config_selectorILNS1_17partition_subalgoE3EjNS0_10empty_typeEbEEZZNS1_14partition_implILS8_3ELb0ES6_jNS0_17counting_iteratorIjlEEPS9_SE_NS0_5tupleIJPjSE_EEENSF_IJSE_SE_EEES9_SG_JZNS1_25segmented_radix_sort_implINS0_14default_configELb0EPKsPsPKlPlN2at6native12_GLOBAL__N_18offset_tEEE10hipError_tPvRmT1_PNSt15iterator_traitsISY_E10value_typeET2_T3_PNSZ_IS14_E10value_typeET4_jRbjT5_S1A_jjP12ihipStream_tbEUljE_EEESV_SW_SX_S14_S18_S1A_T6_T7_T9_mT8_S1C_bDpT10_ENKUlT_T0_E_clISt17integral_constantIbLb1EES1P_EEDaS1K_S1L_EUlS1K_E_NS1_11comp_targetILNS1_3genE2ELNS1_11target_archE906ELNS1_3gpuE6ELNS1_3repE0EEENS1_30default_config_static_selectorELNS0_4arch9wavefront6targetE1EEEvSY_: ; @_ZN7rocprim17ROCPRIM_400000_NS6detail17trampoline_kernelINS0_13select_configILj256ELj13ELNS0_17block_load_methodE3ELS4_3ELS4_3ELNS0_20block_scan_algorithmE0ELj4294967295EEENS1_25partition_config_selectorILNS1_17partition_subalgoE3EjNS0_10empty_typeEbEEZZNS1_14partition_implILS8_3ELb0ES6_jNS0_17counting_iteratorIjlEEPS9_SE_NS0_5tupleIJPjSE_EEENSF_IJSE_SE_EEES9_SG_JZNS1_25segmented_radix_sort_implINS0_14default_configELb0EPKsPsPKlPlN2at6native12_GLOBAL__N_18offset_tEEE10hipError_tPvRmT1_PNSt15iterator_traitsISY_E10value_typeET2_T3_PNSZ_IS14_E10value_typeET4_jRbjT5_S1A_jjP12ihipStream_tbEUljE_EEESV_SW_SX_S14_S18_S1A_T6_T7_T9_mT8_S1C_bDpT10_ENKUlT_T0_E_clISt17integral_constantIbLb1EES1P_EEDaS1K_S1L_EUlS1K_E_NS1_11comp_targetILNS1_3genE2ELNS1_11target_archE906ELNS1_3gpuE6ELNS1_3repE0EEENS1_30default_config_static_selectorELNS0_4arch9wavefront6targetE1EEEvSY_
; %bb.0:
	.section	.rodata,"a",@progbits
	.p2align	6, 0x0
	.amdhsa_kernel _ZN7rocprim17ROCPRIM_400000_NS6detail17trampoline_kernelINS0_13select_configILj256ELj13ELNS0_17block_load_methodE3ELS4_3ELS4_3ELNS0_20block_scan_algorithmE0ELj4294967295EEENS1_25partition_config_selectorILNS1_17partition_subalgoE3EjNS0_10empty_typeEbEEZZNS1_14partition_implILS8_3ELb0ES6_jNS0_17counting_iteratorIjlEEPS9_SE_NS0_5tupleIJPjSE_EEENSF_IJSE_SE_EEES9_SG_JZNS1_25segmented_radix_sort_implINS0_14default_configELb0EPKsPsPKlPlN2at6native12_GLOBAL__N_18offset_tEEE10hipError_tPvRmT1_PNSt15iterator_traitsISY_E10value_typeET2_T3_PNSZ_IS14_E10value_typeET4_jRbjT5_S1A_jjP12ihipStream_tbEUljE_EEESV_SW_SX_S14_S18_S1A_T6_T7_T9_mT8_S1C_bDpT10_ENKUlT_T0_E_clISt17integral_constantIbLb1EES1P_EEDaS1K_S1L_EUlS1K_E_NS1_11comp_targetILNS1_3genE2ELNS1_11target_archE906ELNS1_3gpuE6ELNS1_3repE0EEENS1_30default_config_static_selectorELNS0_4arch9wavefront6targetE1EEEvSY_
		.amdhsa_group_segment_fixed_size 0
		.amdhsa_private_segment_fixed_size 0
		.amdhsa_kernarg_size 152
		.amdhsa_user_sgpr_count 6
		.amdhsa_user_sgpr_private_segment_buffer 1
		.amdhsa_user_sgpr_dispatch_ptr 0
		.amdhsa_user_sgpr_queue_ptr 0
		.amdhsa_user_sgpr_kernarg_segment_ptr 1
		.amdhsa_user_sgpr_dispatch_id 0
		.amdhsa_user_sgpr_flat_scratch_init 0
		.amdhsa_user_sgpr_kernarg_preload_length 0
		.amdhsa_user_sgpr_kernarg_preload_offset 0
		.amdhsa_user_sgpr_private_segment_size 0
		.amdhsa_uses_dynamic_stack 0
		.amdhsa_system_sgpr_private_segment_wavefront_offset 0
		.amdhsa_system_sgpr_workgroup_id_x 1
		.amdhsa_system_sgpr_workgroup_id_y 0
		.amdhsa_system_sgpr_workgroup_id_z 0
		.amdhsa_system_sgpr_workgroup_info 0
		.amdhsa_system_vgpr_workitem_id 0
		.amdhsa_next_free_vgpr 1
		.amdhsa_next_free_sgpr 0
		.amdhsa_accum_offset 4
		.amdhsa_reserve_vcc 0
		.amdhsa_reserve_flat_scratch 0
		.amdhsa_float_round_mode_32 0
		.amdhsa_float_round_mode_16_64 0
		.amdhsa_float_denorm_mode_32 3
		.amdhsa_float_denorm_mode_16_64 3
		.amdhsa_dx10_clamp 1
		.amdhsa_ieee_mode 1
		.amdhsa_fp16_overflow 0
		.amdhsa_tg_split 0
		.amdhsa_exception_fp_ieee_invalid_op 0
		.amdhsa_exception_fp_denorm_src 0
		.amdhsa_exception_fp_ieee_div_zero 0
		.amdhsa_exception_fp_ieee_overflow 0
		.amdhsa_exception_fp_ieee_underflow 0
		.amdhsa_exception_fp_ieee_inexact 0
		.amdhsa_exception_int_div_zero 0
	.end_amdhsa_kernel
	.section	.text._ZN7rocprim17ROCPRIM_400000_NS6detail17trampoline_kernelINS0_13select_configILj256ELj13ELNS0_17block_load_methodE3ELS4_3ELS4_3ELNS0_20block_scan_algorithmE0ELj4294967295EEENS1_25partition_config_selectorILNS1_17partition_subalgoE3EjNS0_10empty_typeEbEEZZNS1_14partition_implILS8_3ELb0ES6_jNS0_17counting_iteratorIjlEEPS9_SE_NS0_5tupleIJPjSE_EEENSF_IJSE_SE_EEES9_SG_JZNS1_25segmented_radix_sort_implINS0_14default_configELb0EPKsPsPKlPlN2at6native12_GLOBAL__N_18offset_tEEE10hipError_tPvRmT1_PNSt15iterator_traitsISY_E10value_typeET2_T3_PNSZ_IS14_E10value_typeET4_jRbjT5_S1A_jjP12ihipStream_tbEUljE_EEESV_SW_SX_S14_S18_S1A_T6_T7_T9_mT8_S1C_bDpT10_ENKUlT_T0_E_clISt17integral_constantIbLb1EES1P_EEDaS1K_S1L_EUlS1K_E_NS1_11comp_targetILNS1_3genE2ELNS1_11target_archE906ELNS1_3gpuE6ELNS1_3repE0EEENS1_30default_config_static_selectorELNS0_4arch9wavefront6targetE1EEEvSY_,"axG",@progbits,_ZN7rocprim17ROCPRIM_400000_NS6detail17trampoline_kernelINS0_13select_configILj256ELj13ELNS0_17block_load_methodE3ELS4_3ELS4_3ELNS0_20block_scan_algorithmE0ELj4294967295EEENS1_25partition_config_selectorILNS1_17partition_subalgoE3EjNS0_10empty_typeEbEEZZNS1_14partition_implILS8_3ELb0ES6_jNS0_17counting_iteratorIjlEEPS9_SE_NS0_5tupleIJPjSE_EEENSF_IJSE_SE_EEES9_SG_JZNS1_25segmented_radix_sort_implINS0_14default_configELb0EPKsPsPKlPlN2at6native12_GLOBAL__N_18offset_tEEE10hipError_tPvRmT1_PNSt15iterator_traitsISY_E10value_typeET2_T3_PNSZ_IS14_E10value_typeET4_jRbjT5_S1A_jjP12ihipStream_tbEUljE_EEESV_SW_SX_S14_S18_S1A_T6_T7_T9_mT8_S1C_bDpT10_ENKUlT_T0_E_clISt17integral_constantIbLb1EES1P_EEDaS1K_S1L_EUlS1K_E_NS1_11comp_targetILNS1_3genE2ELNS1_11target_archE906ELNS1_3gpuE6ELNS1_3repE0EEENS1_30default_config_static_selectorELNS0_4arch9wavefront6targetE1EEEvSY_,comdat
.Lfunc_end993:
	.size	_ZN7rocprim17ROCPRIM_400000_NS6detail17trampoline_kernelINS0_13select_configILj256ELj13ELNS0_17block_load_methodE3ELS4_3ELS4_3ELNS0_20block_scan_algorithmE0ELj4294967295EEENS1_25partition_config_selectorILNS1_17partition_subalgoE3EjNS0_10empty_typeEbEEZZNS1_14partition_implILS8_3ELb0ES6_jNS0_17counting_iteratorIjlEEPS9_SE_NS0_5tupleIJPjSE_EEENSF_IJSE_SE_EEES9_SG_JZNS1_25segmented_radix_sort_implINS0_14default_configELb0EPKsPsPKlPlN2at6native12_GLOBAL__N_18offset_tEEE10hipError_tPvRmT1_PNSt15iterator_traitsISY_E10value_typeET2_T3_PNSZ_IS14_E10value_typeET4_jRbjT5_S1A_jjP12ihipStream_tbEUljE_EEESV_SW_SX_S14_S18_S1A_T6_T7_T9_mT8_S1C_bDpT10_ENKUlT_T0_E_clISt17integral_constantIbLb1EES1P_EEDaS1K_S1L_EUlS1K_E_NS1_11comp_targetILNS1_3genE2ELNS1_11target_archE906ELNS1_3gpuE6ELNS1_3repE0EEENS1_30default_config_static_selectorELNS0_4arch9wavefront6targetE1EEEvSY_, .Lfunc_end993-_ZN7rocprim17ROCPRIM_400000_NS6detail17trampoline_kernelINS0_13select_configILj256ELj13ELNS0_17block_load_methodE3ELS4_3ELS4_3ELNS0_20block_scan_algorithmE0ELj4294967295EEENS1_25partition_config_selectorILNS1_17partition_subalgoE3EjNS0_10empty_typeEbEEZZNS1_14partition_implILS8_3ELb0ES6_jNS0_17counting_iteratorIjlEEPS9_SE_NS0_5tupleIJPjSE_EEENSF_IJSE_SE_EEES9_SG_JZNS1_25segmented_radix_sort_implINS0_14default_configELb0EPKsPsPKlPlN2at6native12_GLOBAL__N_18offset_tEEE10hipError_tPvRmT1_PNSt15iterator_traitsISY_E10value_typeET2_T3_PNSZ_IS14_E10value_typeET4_jRbjT5_S1A_jjP12ihipStream_tbEUljE_EEESV_SW_SX_S14_S18_S1A_T6_T7_T9_mT8_S1C_bDpT10_ENKUlT_T0_E_clISt17integral_constantIbLb1EES1P_EEDaS1K_S1L_EUlS1K_E_NS1_11comp_targetILNS1_3genE2ELNS1_11target_archE906ELNS1_3gpuE6ELNS1_3repE0EEENS1_30default_config_static_selectorELNS0_4arch9wavefront6targetE1EEEvSY_
                                        ; -- End function
	.section	.AMDGPU.csdata,"",@progbits
; Kernel info:
; codeLenInByte = 0
; NumSgprs: 4
; NumVgprs: 0
; NumAgprs: 0
; TotalNumVgprs: 0
; ScratchSize: 0
; MemoryBound: 0
; FloatMode: 240
; IeeeMode: 1
; LDSByteSize: 0 bytes/workgroup (compile time only)
; SGPRBlocks: 0
; VGPRBlocks: 0
; NumSGPRsForWavesPerEU: 4
; NumVGPRsForWavesPerEU: 1
; AccumOffset: 4
; Occupancy: 8
; WaveLimiterHint : 0
; COMPUTE_PGM_RSRC2:SCRATCH_EN: 0
; COMPUTE_PGM_RSRC2:USER_SGPR: 6
; COMPUTE_PGM_RSRC2:TRAP_HANDLER: 0
; COMPUTE_PGM_RSRC2:TGID_X_EN: 1
; COMPUTE_PGM_RSRC2:TGID_Y_EN: 0
; COMPUTE_PGM_RSRC2:TGID_Z_EN: 0
; COMPUTE_PGM_RSRC2:TIDIG_COMP_CNT: 0
; COMPUTE_PGM_RSRC3_GFX90A:ACCUM_OFFSET: 0
; COMPUTE_PGM_RSRC3_GFX90A:TG_SPLIT: 0
	.section	.text._ZN7rocprim17ROCPRIM_400000_NS6detail17trampoline_kernelINS0_13select_configILj256ELj13ELNS0_17block_load_methodE3ELS4_3ELS4_3ELNS0_20block_scan_algorithmE0ELj4294967295EEENS1_25partition_config_selectorILNS1_17partition_subalgoE3EjNS0_10empty_typeEbEEZZNS1_14partition_implILS8_3ELb0ES6_jNS0_17counting_iteratorIjlEEPS9_SE_NS0_5tupleIJPjSE_EEENSF_IJSE_SE_EEES9_SG_JZNS1_25segmented_radix_sort_implINS0_14default_configELb0EPKsPsPKlPlN2at6native12_GLOBAL__N_18offset_tEEE10hipError_tPvRmT1_PNSt15iterator_traitsISY_E10value_typeET2_T3_PNSZ_IS14_E10value_typeET4_jRbjT5_S1A_jjP12ihipStream_tbEUljE_EEESV_SW_SX_S14_S18_S1A_T6_T7_T9_mT8_S1C_bDpT10_ENKUlT_T0_E_clISt17integral_constantIbLb1EES1P_EEDaS1K_S1L_EUlS1K_E_NS1_11comp_targetILNS1_3genE10ELNS1_11target_archE1200ELNS1_3gpuE4ELNS1_3repE0EEENS1_30default_config_static_selectorELNS0_4arch9wavefront6targetE1EEEvSY_,"axG",@progbits,_ZN7rocprim17ROCPRIM_400000_NS6detail17trampoline_kernelINS0_13select_configILj256ELj13ELNS0_17block_load_methodE3ELS4_3ELS4_3ELNS0_20block_scan_algorithmE0ELj4294967295EEENS1_25partition_config_selectorILNS1_17partition_subalgoE3EjNS0_10empty_typeEbEEZZNS1_14partition_implILS8_3ELb0ES6_jNS0_17counting_iteratorIjlEEPS9_SE_NS0_5tupleIJPjSE_EEENSF_IJSE_SE_EEES9_SG_JZNS1_25segmented_radix_sort_implINS0_14default_configELb0EPKsPsPKlPlN2at6native12_GLOBAL__N_18offset_tEEE10hipError_tPvRmT1_PNSt15iterator_traitsISY_E10value_typeET2_T3_PNSZ_IS14_E10value_typeET4_jRbjT5_S1A_jjP12ihipStream_tbEUljE_EEESV_SW_SX_S14_S18_S1A_T6_T7_T9_mT8_S1C_bDpT10_ENKUlT_T0_E_clISt17integral_constantIbLb1EES1P_EEDaS1K_S1L_EUlS1K_E_NS1_11comp_targetILNS1_3genE10ELNS1_11target_archE1200ELNS1_3gpuE4ELNS1_3repE0EEENS1_30default_config_static_selectorELNS0_4arch9wavefront6targetE1EEEvSY_,comdat
	.globl	_ZN7rocprim17ROCPRIM_400000_NS6detail17trampoline_kernelINS0_13select_configILj256ELj13ELNS0_17block_load_methodE3ELS4_3ELS4_3ELNS0_20block_scan_algorithmE0ELj4294967295EEENS1_25partition_config_selectorILNS1_17partition_subalgoE3EjNS0_10empty_typeEbEEZZNS1_14partition_implILS8_3ELb0ES6_jNS0_17counting_iteratorIjlEEPS9_SE_NS0_5tupleIJPjSE_EEENSF_IJSE_SE_EEES9_SG_JZNS1_25segmented_radix_sort_implINS0_14default_configELb0EPKsPsPKlPlN2at6native12_GLOBAL__N_18offset_tEEE10hipError_tPvRmT1_PNSt15iterator_traitsISY_E10value_typeET2_T3_PNSZ_IS14_E10value_typeET4_jRbjT5_S1A_jjP12ihipStream_tbEUljE_EEESV_SW_SX_S14_S18_S1A_T6_T7_T9_mT8_S1C_bDpT10_ENKUlT_T0_E_clISt17integral_constantIbLb1EES1P_EEDaS1K_S1L_EUlS1K_E_NS1_11comp_targetILNS1_3genE10ELNS1_11target_archE1200ELNS1_3gpuE4ELNS1_3repE0EEENS1_30default_config_static_selectorELNS0_4arch9wavefront6targetE1EEEvSY_ ; -- Begin function _ZN7rocprim17ROCPRIM_400000_NS6detail17trampoline_kernelINS0_13select_configILj256ELj13ELNS0_17block_load_methodE3ELS4_3ELS4_3ELNS0_20block_scan_algorithmE0ELj4294967295EEENS1_25partition_config_selectorILNS1_17partition_subalgoE3EjNS0_10empty_typeEbEEZZNS1_14partition_implILS8_3ELb0ES6_jNS0_17counting_iteratorIjlEEPS9_SE_NS0_5tupleIJPjSE_EEENSF_IJSE_SE_EEES9_SG_JZNS1_25segmented_radix_sort_implINS0_14default_configELb0EPKsPsPKlPlN2at6native12_GLOBAL__N_18offset_tEEE10hipError_tPvRmT1_PNSt15iterator_traitsISY_E10value_typeET2_T3_PNSZ_IS14_E10value_typeET4_jRbjT5_S1A_jjP12ihipStream_tbEUljE_EEESV_SW_SX_S14_S18_S1A_T6_T7_T9_mT8_S1C_bDpT10_ENKUlT_T0_E_clISt17integral_constantIbLb1EES1P_EEDaS1K_S1L_EUlS1K_E_NS1_11comp_targetILNS1_3genE10ELNS1_11target_archE1200ELNS1_3gpuE4ELNS1_3repE0EEENS1_30default_config_static_selectorELNS0_4arch9wavefront6targetE1EEEvSY_
	.p2align	8
	.type	_ZN7rocprim17ROCPRIM_400000_NS6detail17trampoline_kernelINS0_13select_configILj256ELj13ELNS0_17block_load_methodE3ELS4_3ELS4_3ELNS0_20block_scan_algorithmE0ELj4294967295EEENS1_25partition_config_selectorILNS1_17partition_subalgoE3EjNS0_10empty_typeEbEEZZNS1_14partition_implILS8_3ELb0ES6_jNS0_17counting_iteratorIjlEEPS9_SE_NS0_5tupleIJPjSE_EEENSF_IJSE_SE_EEES9_SG_JZNS1_25segmented_radix_sort_implINS0_14default_configELb0EPKsPsPKlPlN2at6native12_GLOBAL__N_18offset_tEEE10hipError_tPvRmT1_PNSt15iterator_traitsISY_E10value_typeET2_T3_PNSZ_IS14_E10value_typeET4_jRbjT5_S1A_jjP12ihipStream_tbEUljE_EEESV_SW_SX_S14_S18_S1A_T6_T7_T9_mT8_S1C_bDpT10_ENKUlT_T0_E_clISt17integral_constantIbLb1EES1P_EEDaS1K_S1L_EUlS1K_E_NS1_11comp_targetILNS1_3genE10ELNS1_11target_archE1200ELNS1_3gpuE4ELNS1_3repE0EEENS1_30default_config_static_selectorELNS0_4arch9wavefront6targetE1EEEvSY_,@function
_ZN7rocprim17ROCPRIM_400000_NS6detail17trampoline_kernelINS0_13select_configILj256ELj13ELNS0_17block_load_methodE3ELS4_3ELS4_3ELNS0_20block_scan_algorithmE0ELj4294967295EEENS1_25partition_config_selectorILNS1_17partition_subalgoE3EjNS0_10empty_typeEbEEZZNS1_14partition_implILS8_3ELb0ES6_jNS0_17counting_iteratorIjlEEPS9_SE_NS0_5tupleIJPjSE_EEENSF_IJSE_SE_EEES9_SG_JZNS1_25segmented_radix_sort_implINS0_14default_configELb0EPKsPsPKlPlN2at6native12_GLOBAL__N_18offset_tEEE10hipError_tPvRmT1_PNSt15iterator_traitsISY_E10value_typeET2_T3_PNSZ_IS14_E10value_typeET4_jRbjT5_S1A_jjP12ihipStream_tbEUljE_EEESV_SW_SX_S14_S18_S1A_T6_T7_T9_mT8_S1C_bDpT10_ENKUlT_T0_E_clISt17integral_constantIbLb1EES1P_EEDaS1K_S1L_EUlS1K_E_NS1_11comp_targetILNS1_3genE10ELNS1_11target_archE1200ELNS1_3gpuE4ELNS1_3repE0EEENS1_30default_config_static_selectorELNS0_4arch9wavefront6targetE1EEEvSY_: ; @_ZN7rocprim17ROCPRIM_400000_NS6detail17trampoline_kernelINS0_13select_configILj256ELj13ELNS0_17block_load_methodE3ELS4_3ELS4_3ELNS0_20block_scan_algorithmE0ELj4294967295EEENS1_25partition_config_selectorILNS1_17partition_subalgoE3EjNS0_10empty_typeEbEEZZNS1_14partition_implILS8_3ELb0ES6_jNS0_17counting_iteratorIjlEEPS9_SE_NS0_5tupleIJPjSE_EEENSF_IJSE_SE_EEES9_SG_JZNS1_25segmented_radix_sort_implINS0_14default_configELb0EPKsPsPKlPlN2at6native12_GLOBAL__N_18offset_tEEE10hipError_tPvRmT1_PNSt15iterator_traitsISY_E10value_typeET2_T3_PNSZ_IS14_E10value_typeET4_jRbjT5_S1A_jjP12ihipStream_tbEUljE_EEESV_SW_SX_S14_S18_S1A_T6_T7_T9_mT8_S1C_bDpT10_ENKUlT_T0_E_clISt17integral_constantIbLb1EES1P_EEDaS1K_S1L_EUlS1K_E_NS1_11comp_targetILNS1_3genE10ELNS1_11target_archE1200ELNS1_3gpuE4ELNS1_3repE0EEENS1_30default_config_static_selectorELNS0_4arch9wavefront6targetE1EEEvSY_
; %bb.0:
	.section	.rodata,"a",@progbits
	.p2align	6, 0x0
	.amdhsa_kernel _ZN7rocprim17ROCPRIM_400000_NS6detail17trampoline_kernelINS0_13select_configILj256ELj13ELNS0_17block_load_methodE3ELS4_3ELS4_3ELNS0_20block_scan_algorithmE0ELj4294967295EEENS1_25partition_config_selectorILNS1_17partition_subalgoE3EjNS0_10empty_typeEbEEZZNS1_14partition_implILS8_3ELb0ES6_jNS0_17counting_iteratorIjlEEPS9_SE_NS0_5tupleIJPjSE_EEENSF_IJSE_SE_EEES9_SG_JZNS1_25segmented_radix_sort_implINS0_14default_configELb0EPKsPsPKlPlN2at6native12_GLOBAL__N_18offset_tEEE10hipError_tPvRmT1_PNSt15iterator_traitsISY_E10value_typeET2_T3_PNSZ_IS14_E10value_typeET4_jRbjT5_S1A_jjP12ihipStream_tbEUljE_EEESV_SW_SX_S14_S18_S1A_T6_T7_T9_mT8_S1C_bDpT10_ENKUlT_T0_E_clISt17integral_constantIbLb1EES1P_EEDaS1K_S1L_EUlS1K_E_NS1_11comp_targetILNS1_3genE10ELNS1_11target_archE1200ELNS1_3gpuE4ELNS1_3repE0EEENS1_30default_config_static_selectorELNS0_4arch9wavefront6targetE1EEEvSY_
		.amdhsa_group_segment_fixed_size 0
		.amdhsa_private_segment_fixed_size 0
		.amdhsa_kernarg_size 152
		.amdhsa_user_sgpr_count 6
		.amdhsa_user_sgpr_private_segment_buffer 1
		.amdhsa_user_sgpr_dispatch_ptr 0
		.amdhsa_user_sgpr_queue_ptr 0
		.amdhsa_user_sgpr_kernarg_segment_ptr 1
		.amdhsa_user_sgpr_dispatch_id 0
		.amdhsa_user_sgpr_flat_scratch_init 0
		.amdhsa_user_sgpr_kernarg_preload_length 0
		.amdhsa_user_sgpr_kernarg_preload_offset 0
		.amdhsa_user_sgpr_private_segment_size 0
		.amdhsa_uses_dynamic_stack 0
		.amdhsa_system_sgpr_private_segment_wavefront_offset 0
		.amdhsa_system_sgpr_workgroup_id_x 1
		.amdhsa_system_sgpr_workgroup_id_y 0
		.amdhsa_system_sgpr_workgroup_id_z 0
		.amdhsa_system_sgpr_workgroup_info 0
		.amdhsa_system_vgpr_workitem_id 0
		.amdhsa_next_free_vgpr 1
		.amdhsa_next_free_sgpr 0
		.amdhsa_accum_offset 4
		.amdhsa_reserve_vcc 0
		.amdhsa_reserve_flat_scratch 0
		.amdhsa_float_round_mode_32 0
		.amdhsa_float_round_mode_16_64 0
		.amdhsa_float_denorm_mode_32 3
		.amdhsa_float_denorm_mode_16_64 3
		.amdhsa_dx10_clamp 1
		.amdhsa_ieee_mode 1
		.amdhsa_fp16_overflow 0
		.amdhsa_tg_split 0
		.amdhsa_exception_fp_ieee_invalid_op 0
		.amdhsa_exception_fp_denorm_src 0
		.amdhsa_exception_fp_ieee_div_zero 0
		.amdhsa_exception_fp_ieee_overflow 0
		.amdhsa_exception_fp_ieee_underflow 0
		.amdhsa_exception_fp_ieee_inexact 0
		.amdhsa_exception_int_div_zero 0
	.end_amdhsa_kernel
	.section	.text._ZN7rocprim17ROCPRIM_400000_NS6detail17trampoline_kernelINS0_13select_configILj256ELj13ELNS0_17block_load_methodE3ELS4_3ELS4_3ELNS0_20block_scan_algorithmE0ELj4294967295EEENS1_25partition_config_selectorILNS1_17partition_subalgoE3EjNS0_10empty_typeEbEEZZNS1_14partition_implILS8_3ELb0ES6_jNS0_17counting_iteratorIjlEEPS9_SE_NS0_5tupleIJPjSE_EEENSF_IJSE_SE_EEES9_SG_JZNS1_25segmented_radix_sort_implINS0_14default_configELb0EPKsPsPKlPlN2at6native12_GLOBAL__N_18offset_tEEE10hipError_tPvRmT1_PNSt15iterator_traitsISY_E10value_typeET2_T3_PNSZ_IS14_E10value_typeET4_jRbjT5_S1A_jjP12ihipStream_tbEUljE_EEESV_SW_SX_S14_S18_S1A_T6_T7_T9_mT8_S1C_bDpT10_ENKUlT_T0_E_clISt17integral_constantIbLb1EES1P_EEDaS1K_S1L_EUlS1K_E_NS1_11comp_targetILNS1_3genE10ELNS1_11target_archE1200ELNS1_3gpuE4ELNS1_3repE0EEENS1_30default_config_static_selectorELNS0_4arch9wavefront6targetE1EEEvSY_,"axG",@progbits,_ZN7rocprim17ROCPRIM_400000_NS6detail17trampoline_kernelINS0_13select_configILj256ELj13ELNS0_17block_load_methodE3ELS4_3ELS4_3ELNS0_20block_scan_algorithmE0ELj4294967295EEENS1_25partition_config_selectorILNS1_17partition_subalgoE3EjNS0_10empty_typeEbEEZZNS1_14partition_implILS8_3ELb0ES6_jNS0_17counting_iteratorIjlEEPS9_SE_NS0_5tupleIJPjSE_EEENSF_IJSE_SE_EEES9_SG_JZNS1_25segmented_radix_sort_implINS0_14default_configELb0EPKsPsPKlPlN2at6native12_GLOBAL__N_18offset_tEEE10hipError_tPvRmT1_PNSt15iterator_traitsISY_E10value_typeET2_T3_PNSZ_IS14_E10value_typeET4_jRbjT5_S1A_jjP12ihipStream_tbEUljE_EEESV_SW_SX_S14_S18_S1A_T6_T7_T9_mT8_S1C_bDpT10_ENKUlT_T0_E_clISt17integral_constantIbLb1EES1P_EEDaS1K_S1L_EUlS1K_E_NS1_11comp_targetILNS1_3genE10ELNS1_11target_archE1200ELNS1_3gpuE4ELNS1_3repE0EEENS1_30default_config_static_selectorELNS0_4arch9wavefront6targetE1EEEvSY_,comdat
.Lfunc_end994:
	.size	_ZN7rocprim17ROCPRIM_400000_NS6detail17trampoline_kernelINS0_13select_configILj256ELj13ELNS0_17block_load_methodE3ELS4_3ELS4_3ELNS0_20block_scan_algorithmE0ELj4294967295EEENS1_25partition_config_selectorILNS1_17partition_subalgoE3EjNS0_10empty_typeEbEEZZNS1_14partition_implILS8_3ELb0ES6_jNS0_17counting_iteratorIjlEEPS9_SE_NS0_5tupleIJPjSE_EEENSF_IJSE_SE_EEES9_SG_JZNS1_25segmented_radix_sort_implINS0_14default_configELb0EPKsPsPKlPlN2at6native12_GLOBAL__N_18offset_tEEE10hipError_tPvRmT1_PNSt15iterator_traitsISY_E10value_typeET2_T3_PNSZ_IS14_E10value_typeET4_jRbjT5_S1A_jjP12ihipStream_tbEUljE_EEESV_SW_SX_S14_S18_S1A_T6_T7_T9_mT8_S1C_bDpT10_ENKUlT_T0_E_clISt17integral_constantIbLb1EES1P_EEDaS1K_S1L_EUlS1K_E_NS1_11comp_targetILNS1_3genE10ELNS1_11target_archE1200ELNS1_3gpuE4ELNS1_3repE0EEENS1_30default_config_static_selectorELNS0_4arch9wavefront6targetE1EEEvSY_, .Lfunc_end994-_ZN7rocprim17ROCPRIM_400000_NS6detail17trampoline_kernelINS0_13select_configILj256ELj13ELNS0_17block_load_methodE3ELS4_3ELS4_3ELNS0_20block_scan_algorithmE0ELj4294967295EEENS1_25partition_config_selectorILNS1_17partition_subalgoE3EjNS0_10empty_typeEbEEZZNS1_14partition_implILS8_3ELb0ES6_jNS0_17counting_iteratorIjlEEPS9_SE_NS0_5tupleIJPjSE_EEENSF_IJSE_SE_EEES9_SG_JZNS1_25segmented_radix_sort_implINS0_14default_configELb0EPKsPsPKlPlN2at6native12_GLOBAL__N_18offset_tEEE10hipError_tPvRmT1_PNSt15iterator_traitsISY_E10value_typeET2_T3_PNSZ_IS14_E10value_typeET4_jRbjT5_S1A_jjP12ihipStream_tbEUljE_EEESV_SW_SX_S14_S18_S1A_T6_T7_T9_mT8_S1C_bDpT10_ENKUlT_T0_E_clISt17integral_constantIbLb1EES1P_EEDaS1K_S1L_EUlS1K_E_NS1_11comp_targetILNS1_3genE10ELNS1_11target_archE1200ELNS1_3gpuE4ELNS1_3repE0EEENS1_30default_config_static_selectorELNS0_4arch9wavefront6targetE1EEEvSY_
                                        ; -- End function
	.section	.AMDGPU.csdata,"",@progbits
; Kernel info:
; codeLenInByte = 0
; NumSgprs: 4
; NumVgprs: 0
; NumAgprs: 0
; TotalNumVgprs: 0
; ScratchSize: 0
; MemoryBound: 0
; FloatMode: 240
; IeeeMode: 1
; LDSByteSize: 0 bytes/workgroup (compile time only)
; SGPRBlocks: 0
; VGPRBlocks: 0
; NumSGPRsForWavesPerEU: 4
; NumVGPRsForWavesPerEU: 1
; AccumOffset: 4
; Occupancy: 8
; WaveLimiterHint : 0
; COMPUTE_PGM_RSRC2:SCRATCH_EN: 0
; COMPUTE_PGM_RSRC2:USER_SGPR: 6
; COMPUTE_PGM_RSRC2:TRAP_HANDLER: 0
; COMPUTE_PGM_RSRC2:TGID_X_EN: 1
; COMPUTE_PGM_RSRC2:TGID_Y_EN: 0
; COMPUTE_PGM_RSRC2:TGID_Z_EN: 0
; COMPUTE_PGM_RSRC2:TIDIG_COMP_CNT: 0
; COMPUTE_PGM_RSRC3_GFX90A:ACCUM_OFFSET: 0
; COMPUTE_PGM_RSRC3_GFX90A:TG_SPLIT: 0
	.section	.text._ZN7rocprim17ROCPRIM_400000_NS6detail17trampoline_kernelINS0_13select_configILj256ELj13ELNS0_17block_load_methodE3ELS4_3ELS4_3ELNS0_20block_scan_algorithmE0ELj4294967295EEENS1_25partition_config_selectorILNS1_17partition_subalgoE3EjNS0_10empty_typeEbEEZZNS1_14partition_implILS8_3ELb0ES6_jNS0_17counting_iteratorIjlEEPS9_SE_NS0_5tupleIJPjSE_EEENSF_IJSE_SE_EEES9_SG_JZNS1_25segmented_radix_sort_implINS0_14default_configELb0EPKsPsPKlPlN2at6native12_GLOBAL__N_18offset_tEEE10hipError_tPvRmT1_PNSt15iterator_traitsISY_E10value_typeET2_T3_PNSZ_IS14_E10value_typeET4_jRbjT5_S1A_jjP12ihipStream_tbEUljE_EEESV_SW_SX_S14_S18_S1A_T6_T7_T9_mT8_S1C_bDpT10_ENKUlT_T0_E_clISt17integral_constantIbLb1EES1P_EEDaS1K_S1L_EUlS1K_E_NS1_11comp_targetILNS1_3genE9ELNS1_11target_archE1100ELNS1_3gpuE3ELNS1_3repE0EEENS1_30default_config_static_selectorELNS0_4arch9wavefront6targetE1EEEvSY_,"axG",@progbits,_ZN7rocprim17ROCPRIM_400000_NS6detail17trampoline_kernelINS0_13select_configILj256ELj13ELNS0_17block_load_methodE3ELS4_3ELS4_3ELNS0_20block_scan_algorithmE0ELj4294967295EEENS1_25partition_config_selectorILNS1_17partition_subalgoE3EjNS0_10empty_typeEbEEZZNS1_14partition_implILS8_3ELb0ES6_jNS0_17counting_iteratorIjlEEPS9_SE_NS0_5tupleIJPjSE_EEENSF_IJSE_SE_EEES9_SG_JZNS1_25segmented_radix_sort_implINS0_14default_configELb0EPKsPsPKlPlN2at6native12_GLOBAL__N_18offset_tEEE10hipError_tPvRmT1_PNSt15iterator_traitsISY_E10value_typeET2_T3_PNSZ_IS14_E10value_typeET4_jRbjT5_S1A_jjP12ihipStream_tbEUljE_EEESV_SW_SX_S14_S18_S1A_T6_T7_T9_mT8_S1C_bDpT10_ENKUlT_T0_E_clISt17integral_constantIbLb1EES1P_EEDaS1K_S1L_EUlS1K_E_NS1_11comp_targetILNS1_3genE9ELNS1_11target_archE1100ELNS1_3gpuE3ELNS1_3repE0EEENS1_30default_config_static_selectorELNS0_4arch9wavefront6targetE1EEEvSY_,comdat
	.globl	_ZN7rocprim17ROCPRIM_400000_NS6detail17trampoline_kernelINS0_13select_configILj256ELj13ELNS0_17block_load_methodE3ELS4_3ELS4_3ELNS0_20block_scan_algorithmE0ELj4294967295EEENS1_25partition_config_selectorILNS1_17partition_subalgoE3EjNS0_10empty_typeEbEEZZNS1_14partition_implILS8_3ELb0ES6_jNS0_17counting_iteratorIjlEEPS9_SE_NS0_5tupleIJPjSE_EEENSF_IJSE_SE_EEES9_SG_JZNS1_25segmented_radix_sort_implINS0_14default_configELb0EPKsPsPKlPlN2at6native12_GLOBAL__N_18offset_tEEE10hipError_tPvRmT1_PNSt15iterator_traitsISY_E10value_typeET2_T3_PNSZ_IS14_E10value_typeET4_jRbjT5_S1A_jjP12ihipStream_tbEUljE_EEESV_SW_SX_S14_S18_S1A_T6_T7_T9_mT8_S1C_bDpT10_ENKUlT_T0_E_clISt17integral_constantIbLb1EES1P_EEDaS1K_S1L_EUlS1K_E_NS1_11comp_targetILNS1_3genE9ELNS1_11target_archE1100ELNS1_3gpuE3ELNS1_3repE0EEENS1_30default_config_static_selectorELNS0_4arch9wavefront6targetE1EEEvSY_ ; -- Begin function _ZN7rocprim17ROCPRIM_400000_NS6detail17trampoline_kernelINS0_13select_configILj256ELj13ELNS0_17block_load_methodE3ELS4_3ELS4_3ELNS0_20block_scan_algorithmE0ELj4294967295EEENS1_25partition_config_selectorILNS1_17partition_subalgoE3EjNS0_10empty_typeEbEEZZNS1_14partition_implILS8_3ELb0ES6_jNS0_17counting_iteratorIjlEEPS9_SE_NS0_5tupleIJPjSE_EEENSF_IJSE_SE_EEES9_SG_JZNS1_25segmented_radix_sort_implINS0_14default_configELb0EPKsPsPKlPlN2at6native12_GLOBAL__N_18offset_tEEE10hipError_tPvRmT1_PNSt15iterator_traitsISY_E10value_typeET2_T3_PNSZ_IS14_E10value_typeET4_jRbjT5_S1A_jjP12ihipStream_tbEUljE_EEESV_SW_SX_S14_S18_S1A_T6_T7_T9_mT8_S1C_bDpT10_ENKUlT_T0_E_clISt17integral_constantIbLb1EES1P_EEDaS1K_S1L_EUlS1K_E_NS1_11comp_targetILNS1_3genE9ELNS1_11target_archE1100ELNS1_3gpuE3ELNS1_3repE0EEENS1_30default_config_static_selectorELNS0_4arch9wavefront6targetE1EEEvSY_
	.p2align	8
	.type	_ZN7rocprim17ROCPRIM_400000_NS6detail17trampoline_kernelINS0_13select_configILj256ELj13ELNS0_17block_load_methodE3ELS4_3ELS4_3ELNS0_20block_scan_algorithmE0ELj4294967295EEENS1_25partition_config_selectorILNS1_17partition_subalgoE3EjNS0_10empty_typeEbEEZZNS1_14partition_implILS8_3ELb0ES6_jNS0_17counting_iteratorIjlEEPS9_SE_NS0_5tupleIJPjSE_EEENSF_IJSE_SE_EEES9_SG_JZNS1_25segmented_radix_sort_implINS0_14default_configELb0EPKsPsPKlPlN2at6native12_GLOBAL__N_18offset_tEEE10hipError_tPvRmT1_PNSt15iterator_traitsISY_E10value_typeET2_T3_PNSZ_IS14_E10value_typeET4_jRbjT5_S1A_jjP12ihipStream_tbEUljE_EEESV_SW_SX_S14_S18_S1A_T6_T7_T9_mT8_S1C_bDpT10_ENKUlT_T0_E_clISt17integral_constantIbLb1EES1P_EEDaS1K_S1L_EUlS1K_E_NS1_11comp_targetILNS1_3genE9ELNS1_11target_archE1100ELNS1_3gpuE3ELNS1_3repE0EEENS1_30default_config_static_selectorELNS0_4arch9wavefront6targetE1EEEvSY_,@function
_ZN7rocprim17ROCPRIM_400000_NS6detail17trampoline_kernelINS0_13select_configILj256ELj13ELNS0_17block_load_methodE3ELS4_3ELS4_3ELNS0_20block_scan_algorithmE0ELj4294967295EEENS1_25partition_config_selectorILNS1_17partition_subalgoE3EjNS0_10empty_typeEbEEZZNS1_14partition_implILS8_3ELb0ES6_jNS0_17counting_iteratorIjlEEPS9_SE_NS0_5tupleIJPjSE_EEENSF_IJSE_SE_EEES9_SG_JZNS1_25segmented_radix_sort_implINS0_14default_configELb0EPKsPsPKlPlN2at6native12_GLOBAL__N_18offset_tEEE10hipError_tPvRmT1_PNSt15iterator_traitsISY_E10value_typeET2_T3_PNSZ_IS14_E10value_typeET4_jRbjT5_S1A_jjP12ihipStream_tbEUljE_EEESV_SW_SX_S14_S18_S1A_T6_T7_T9_mT8_S1C_bDpT10_ENKUlT_T0_E_clISt17integral_constantIbLb1EES1P_EEDaS1K_S1L_EUlS1K_E_NS1_11comp_targetILNS1_3genE9ELNS1_11target_archE1100ELNS1_3gpuE3ELNS1_3repE0EEENS1_30default_config_static_selectorELNS0_4arch9wavefront6targetE1EEEvSY_: ; @_ZN7rocprim17ROCPRIM_400000_NS6detail17trampoline_kernelINS0_13select_configILj256ELj13ELNS0_17block_load_methodE3ELS4_3ELS4_3ELNS0_20block_scan_algorithmE0ELj4294967295EEENS1_25partition_config_selectorILNS1_17partition_subalgoE3EjNS0_10empty_typeEbEEZZNS1_14partition_implILS8_3ELb0ES6_jNS0_17counting_iteratorIjlEEPS9_SE_NS0_5tupleIJPjSE_EEENSF_IJSE_SE_EEES9_SG_JZNS1_25segmented_radix_sort_implINS0_14default_configELb0EPKsPsPKlPlN2at6native12_GLOBAL__N_18offset_tEEE10hipError_tPvRmT1_PNSt15iterator_traitsISY_E10value_typeET2_T3_PNSZ_IS14_E10value_typeET4_jRbjT5_S1A_jjP12ihipStream_tbEUljE_EEESV_SW_SX_S14_S18_S1A_T6_T7_T9_mT8_S1C_bDpT10_ENKUlT_T0_E_clISt17integral_constantIbLb1EES1P_EEDaS1K_S1L_EUlS1K_E_NS1_11comp_targetILNS1_3genE9ELNS1_11target_archE1100ELNS1_3gpuE3ELNS1_3repE0EEENS1_30default_config_static_selectorELNS0_4arch9wavefront6targetE1EEEvSY_
; %bb.0:
	.section	.rodata,"a",@progbits
	.p2align	6, 0x0
	.amdhsa_kernel _ZN7rocprim17ROCPRIM_400000_NS6detail17trampoline_kernelINS0_13select_configILj256ELj13ELNS0_17block_load_methodE3ELS4_3ELS4_3ELNS0_20block_scan_algorithmE0ELj4294967295EEENS1_25partition_config_selectorILNS1_17partition_subalgoE3EjNS0_10empty_typeEbEEZZNS1_14partition_implILS8_3ELb0ES6_jNS0_17counting_iteratorIjlEEPS9_SE_NS0_5tupleIJPjSE_EEENSF_IJSE_SE_EEES9_SG_JZNS1_25segmented_radix_sort_implINS0_14default_configELb0EPKsPsPKlPlN2at6native12_GLOBAL__N_18offset_tEEE10hipError_tPvRmT1_PNSt15iterator_traitsISY_E10value_typeET2_T3_PNSZ_IS14_E10value_typeET4_jRbjT5_S1A_jjP12ihipStream_tbEUljE_EEESV_SW_SX_S14_S18_S1A_T6_T7_T9_mT8_S1C_bDpT10_ENKUlT_T0_E_clISt17integral_constantIbLb1EES1P_EEDaS1K_S1L_EUlS1K_E_NS1_11comp_targetILNS1_3genE9ELNS1_11target_archE1100ELNS1_3gpuE3ELNS1_3repE0EEENS1_30default_config_static_selectorELNS0_4arch9wavefront6targetE1EEEvSY_
		.amdhsa_group_segment_fixed_size 0
		.amdhsa_private_segment_fixed_size 0
		.amdhsa_kernarg_size 152
		.amdhsa_user_sgpr_count 6
		.amdhsa_user_sgpr_private_segment_buffer 1
		.amdhsa_user_sgpr_dispatch_ptr 0
		.amdhsa_user_sgpr_queue_ptr 0
		.amdhsa_user_sgpr_kernarg_segment_ptr 1
		.amdhsa_user_sgpr_dispatch_id 0
		.amdhsa_user_sgpr_flat_scratch_init 0
		.amdhsa_user_sgpr_kernarg_preload_length 0
		.amdhsa_user_sgpr_kernarg_preload_offset 0
		.amdhsa_user_sgpr_private_segment_size 0
		.amdhsa_uses_dynamic_stack 0
		.amdhsa_system_sgpr_private_segment_wavefront_offset 0
		.amdhsa_system_sgpr_workgroup_id_x 1
		.amdhsa_system_sgpr_workgroup_id_y 0
		.amdhsa_system_sgpr_workgroup_id_z 0
		.amdhsa_system_sgpr_workgroup_info 0
		.amdhsa_system_vgpr_workitem_id 0
		.amdhsa_next_free_vgpr 1
		.amdhsa_next_free_sgpr 0
		.amdhsa_accum_offset 4
		.amdhsa_reserve_vcc 0
		.amdhsa_reserve_flat_scratch 0
		.amdhsa_float_round_mode_32 0
		.amdhsa_float_round_mode_16_64 0
		.amdhsa_float_denorm_mode_32 3
		.amdhsa_float_denorm_mode_16_64 3
		.amdhsa_dx10_clamp 1
		.amdhsa_ieee_mode 1
		.amdhsa_fp16_overflow 0
		.amdhsa_tg_split 0
		.amdhsa_exception_fp_ieee_invalid_op 0
		.amdhsa_exception_fp_denorm_src 0
		.amdhsa_exception_fp_ieee_div_zero 0
		.amdhsa_exception_fp_ieee_overflow 0
		.amdhsa_exception_fp_ieee_underflow 0
		.amdhsa_exception_fp_ieee_inexact 0
		.amdhsa_exception_int_div_zero 0
	.end_amdhsa_kernel
	.section	.text._ZN7rocprim17ROCPRIM_400000_NS6detail17trampoline_kernelINS0_13select_configILj256ELj13ELNS0_17block_load_methodE3ELS4_3ELS4_3ELNS0_20block_scan_algorithmE0ELj4294967295EEENS1_25partition_config_selectorILNS1_17partition_subalgoE3EjNS0_10empty_typeEbEEZZNS1_14partition_implILS8_3ELb0ES6_jNS0_17counting_iteratorIjlEEPS9_SE_NS0_5tupleIJPjSE_EEENSF_IJSE_SE_EEES9_SG_JZNS1_25segmented_radix_sort_implINS0_14default_configELb0EPKsPsPKlPlN2at6native12_GLOBAL__N_18offset_tEEE10hipError_tPvRmT1_PNSt15iterator_traitsISY_E10value_typeET2_T3_PNSZ_IS14_E10value_typeET4_jRbjT5_S1A_jjP12ihipStream_tbEUljE_EEESV_SW_SX_S14_S18_S1A_T6_T7_T9_mT8_S1C_bDpT10_ENKUlT_T0_E_clISt17integral_constantIbLb1EES1P_EEDaS1K_S1L_EUlS1K_E_NS1_11comp_targetILNS1_3genE9ELNS1_11target_archE1100ELNS1_3gpuE3ELNS1_3repE0EEENS1_30default_config_static_selectorELNS0_4arch9wavefront6targetE1EEEvSY_,"axG",@progbits,_ZN7rocprim17ROCPRIM_400000_NS6detail17trampoline_kernelINS0_13select_configILj256ELj13ELNS0_17block_load_methodE3ELS4_3ELS4_3ELNS0_20block_scan_algorithmE0ELj4294967295EEENS1_25partition_config_selectorILNS1_17partition_subalgoE3EjNS0_10empty_typeEbEEZZNS1_14partition_implILS8_3ELb0ES6_jNS0_17counting_iteratorIjlEEPS9_SE_NS0_5tupleIJPjSE_EEENSF_IJSE_SE_EEES9_SG_JZNS1_25segmented_radix_sort_implINS0_14default_configELb0EPKsPsPKlPlN2at6native12_GLOBAL__N_18offset_tEEE10hipError_tPvRmT1_PNSt15iterator_traitsISY_E10value_typeET2_T3_PNSZ_IS14_E10value_typeET4_jRbjT5_S1A_jjP12ihipStream_tbEUljE_EEESV_SW_SX_S14_S18_S1A_T6_T7_T9_mT8_S1C_bDpT10_ENKUlT_T0_E_clISt17integral_constantIbLb1EES1P_EEDaS1K_S1L_EUlS1K_E_NS1_11comp_targetILNS1_3genE9ELNS1_11target_archE1100ELNS1_3gpuE3ELNS1_3repE0EEENS1_30default_config_static_selectorELNS0_4arch9wavefront6targetE1EEEvSY_,comdat
.Lfunc_end995:
	.size	_ZN7rocprim17ROCPRIM_400000_NS6detail17trampoline_kernelINS0_13select_configILj256ELj13ELNS0_17block_load_methodE3ELS4_3ELS4_3ELNS0_20block_scan_algorithmE0ELj4294967295EEENS1_25partition_config_selectorILNS1_17partition_subalgoE3EjNS0_10empty_typeEbEEZZNS1_14partition_implILS8_3ELb0ES6_jNS0_17counting_iteratorIjlEEPS9_SE_NS0_5tupleIJPjSE_EEENSF_IJSE_SE_EEES9_SG_JZNS1_25segmented_radix_sort_implINS0_14default_configELb0EPKsPsPKlPlN2at6native12_GLOBAL__N_18offset_tEEE10hipError_tPvRmT1_PNSt15iterator_traitsISY_E10value_typeET2_T3_PNSZ_IS14_E10value_typeET4_jRbjT5_S1A_jjP12ihipStream_tbEUljE_EEESV_SW_SX_S14_S18_S1A_T6_T7_T9_mT8_S1C_bDpT10_ENKUlT_T0_E_clISt17integral_constantIbLb1EES1P_EEDaS1K_S1L_EUlS1K_E_NS1_11comp_targetILNS1_3genE9ELNS1_11target_archE1100ELNS1_3gpuE3ELNS1_3repE0EEENS1_30default_config_static_selectorELNS0_4arch9wavefront6targetE1EEEvSY_, .Lfunc_end995-_ZN7rocprim17ROCPRIM_400000_NS6detail17trampoline_kernelINS0_13select_configILj256ELj13ELNS0_17block_load_methodE3ELS4_3ELS4_3ELNS0_20block_scan_algorithmE0ELj4294967295EEENS1_25partition_config_selectorILNS1_17partition_subalgoE3EjNS0_10empty_typeEbEEZZNS1_14partition_implILS8_3ELb0ES6_jNS0_17counting_iteratorIjlEEPS9_SE_NS0_5tupleIJPjSE_EEENSF_IJSE_SE_EEES9_SG_JZNS1_25segmented_radix_sort_implINS0_14default_configELb0EPKsPsPKlPlN2at6native12_GLOBAL__N_18offset_tEEE10hipError_tPvRmT1_PNSt15iterator_traitsISY_E10value_typeET2_T3_PNSZ_IS14_E10value_typeET4_jRbjT5_S1A_jjP12ihipStream_tbEUljE_EEESV_SW_SX_S14_S18_S1A_T6_T7_T9_mT8_S1C_bDpT10_ENKUlT_T0_E_clISt17integral_constantIbLb1EES1P_EEDaS1K_S1L_EUlS1K_E_NS1_11comp_targetILNS1_3genE9ELNS1_11target_archE1100ELNS1_3gpuE3ELNS1_3repE0EEENS1_30default_config_static_selectorELNS0_4arch9wavefront6targetE1EEEvSY_
                                        ; -- End function
	.section	.AMDGPU.csdata,"",@progbits
; Kernel info:
; codeLenInByte = 0
; NumSgprs: 4
; NumVgprs: 0
; NumAgprs: 0
; TotalNumVgprs: 0
; ScratchSize: 0
; MemoryBound: 0
; FloatMode: 240
; IeeeMode: 1
; LDSByteSize: 0 bytes/workgroup (compile time only)
; SGPRBlocks: 0
; VGPRBlocks: 0
; NumSGPRsForWavesPerEU: 4
; NumVGPRsForWavesPerEU: 1
; AccumOffset: 4
; Occupancy: 8
; WaveLimiterHint : 0
; COMPUTE_PGM_RSRC2:SCRATCH_EN: 0
; COMPUTE_PGM_RSRC2:USER_SGPR: 6
; COMPUTE_PGM_RSRC2:TRAP_HANDLER: 0
; COMPUTE_PGM_RSRC2:TGID_X_EN: 1
; COMPUTE_PGM_RSRC2:TGID_Y_EN: 0
; COMPUTE_PGM_RSRC2:TGID_Z_EN: 0
; COMPUTE_PGM_RSRC2:TIDIG_COMP_CNT: 0
; COMPUTE_PGM_RSRC3_GFX90A:ACCUM_OFFSET: 0
; COMPUTE_PGM_RSRC3_GFX90A:TG_SPLIT: 0
	.section	.text._ZN7rocprim17ROCPRIM_400000_NS6detail17trampoline_kernelINS0_13select_configILj256ELj13ELNS0_17block_load_methodE3ELS4_3ELS4_3ELNS0_20block_scan_algorithmE0ELj4294967295EEENS1_25partition_config_selectorILNS1_17partition_subalgoE3EjNS0_10empty_typeEbEEZZNS1_14partition_implILS8_3ELb0ES6_jNS0_17counting_iteratorIjlEEPS9_SE_NS0_5tupleIJPjSE_EEENSF_IJSE_SE_EEES9_SG_JZNS1_25segmented_radix_sort_implINS0_14default_configELb0EPKsPsPKlPlN2at6native12_GLOBAL__N_18offset_tEEE10hipError_tPvRmT1_PNSt15iterator_traitsISY_E10value_typeET2_T3_PNSZ_IS14_E10value_typeET4_jRbjT5_S1A_jjP12ihipStream_tbEUljE_EEESV_SW_SX_S14_S18_S1A_T6_T7_T9_mT8_S1C_bDpT10_ENKUlT_T0_E_clISt17integral_constantIbLb1EES1P_EEDaS1K_S1L_EUlS1K_E_NS1_11comp_targetILNS1_3genE8ELNS1_11target_archE1030ELNS1_3gpuE2ELNS1_3repE0EEENS1_30default_config_static_selectorELNS0_4arch9wavefront6targetE1EEEvSY_,"axG",@progbits,_ZN7rocprim17ROCPRIM_400000_NS6detail17trampoline_kernelINS0_13select_configILj256ELj13ELNS0_17block_load_methodE3ELS4_3ELS4_3ELNS0_20block_scan_algorithmE0ELj4294967295EEENS1_25partition_config_selectorILNS1_17partition_subalgoE3EjNS0_10empty_typeEbEEZZNS1_14partition_implILS8_3ELb0ES6_jNS0_17counting_iteratorIjlEEPS9_SE_NS0_5tupleIJPjSE_EEENSF_IJSE_SE_EEES9_SG_JZNS1_25segmented_radix_sort_implINS0_14default_configELb0EPKsPsPKlPlN2at6native12_GLOBAL__N_18offset_tEEE10hipError_tPvRmT1_PNSt15iterator_traitsISY_E10value_typeET2_T3_PNSZ_IS14_E10value_typeET4_jRbjT5_S1A_jjP12ihipStream_tbEUljE_EEESV_SW_SX_S14_S18_S1A_T6_T7_T9_mT8_S1C_bDpT10_ENKUlT_T0_E_clISt17integral_constantIbLb1EES1P_EEDaS1K_S1L_EUlS1K_E_NS1_11comp_targetILNS1_3genE8ELNS1_11target_archE1030ELNS1_3gpuE2ELNS1_3repE0EEENS1_30default_config_static_selectorELNS0_4arch9wavefront6targetE1EEEvSY_,comdat
	.globl	_ZN7rocprim17ROCPRIM_400000_NS6detail17trampoline_kernelINS0_13select_configILj256ELj13ELNS0_17block_load_methodE3ELS4_3ELS4_3ELNS0_20block_scan_algorithmE0ELj4294967295EEENS1_25partition_config_selectorILNS1_17partition_subalgoE3EjNS0_10empty_typeEbEEZZNS1_14partition_implILS8_3ELb0ES6_jNS0_17counting_iteratorIjlEEPS9_SE_NS0_5tupleIJPjSE_EEENSF_IJSE_SE_EEES9_SG_JZNS1_25segmented_radix_sort_implINS0_14default_configELb0EPKsPsPKlPlN2at6native12_GLOBAL__N_18offset_tEEE10hipError_tPvRmT1_PNSt15iterator_traitsISY_E10value_typeET2_T3_PNSZ_IS14_E10value_typeET4_jRbjT5_S1A_jjP12ihipStream_tbEUljE_EEESV_SW_SX_S14_S18_S1A_T6_T7_T9_mT8_S1C_bDpT10_ENKUlT_T0_E_clISt17integral_constantIbLb1EES1P_EEDaS1K_S1L_EUlS1K_E_NS1_11comp_targetILNS1_3genE8ELNS1_11target_archE1030ELNS1_3gpuE2ELNS1_3repE0EEENS1_30default_config_static_selectorELNS0_4arch9wavefront6targetE1EEEvSY_ ; -- Begin function _ZN7rocprim17ROCPRIM_400000_NS6detail17trampoline_kernelINS0_13select_configILj256ELj13ELNS0_17block_load_methodE3ELS4_3ELS4_3ELNS0_20block_scan_algorithmE0ELj4294967295EEENS1_25partition_config_selectorILNS1_17partition_subalgoE3EjNS0_10empty_typeEbEEZZNS1_14partition_implILS8_3ELb0ES6_jNS0_17counting_iteratorIjlEEPS9_SE_NS0_5tupleIJPjSE_EEENSF_IJSE_SE_EEES9_SG_JZNS1_25segmented_radix_sort_implINS0_14default_configELb0EPKsPsPKlPlN2at6native12_GLOBAL__N_18offset_tEEE10hipError_tPvRmT1_PNSt15iterator_traitsISY_E10value_typeET2_T3_PNSZ_IS14_E10value_typeET4_jRbjT5_S1A_jjP12ihipStream_tbEUljE_EEESV_SW_SX_S14_S18_S1A_T6_T7_T9_mT8_S1C_bDpT10_ENKUlT_T0_E_clISt17integral_constantIbLb1EES1P_EEDaS1K_S1L_EUlS1K_E_NS1_11comp_targetILNS1_3genE8ELNS1_11target_archE1030ELNS1_3gpuE2ELNS1_3repE0EEENS1_30default_config_static_selectorELNS0_4arch9wavefront6targetE1EEEvSY_
	.p2align	8
	.type	_ZN7rocprim17ROCPRIM_400000_NS6detail17trampoline_kernelINS0_13select_configILj256ELj13ELNS0_17block_load_methodE3ELS4_3ELS4_3ELNS0_20block_scan_algorithmE0ELj4294967295EEENS1_25partition_config_selectorILNS1_17partition_subalgoE3EjNS0_10empty_typeEbEEZZNS1_14partition_implILS8_3ELb0ES6_jNS0_17counting_iteratorIjlEEPS9_SE_NS0_5tupleIJPjSE_EEENSF_IJSE_SE_EEES9_SG_JZNS1_25segmented_radix_sort_implINS0_14default_configELb0EPKsPsPKlPlN2at6native12_GLOBAL__N_18offset_tEEE10hipError_tPvRmT1_PNSt15iterator_traitsISY_E10value_typeET2_T3_PNSZ_IS14_E10value_typeET4_jRbjT5_S1A_jjP12ihipStream_tbEUljE_EEESV_SW_SX_S14_S18_S1A_T6_T7_T9_mT8_S1C_bDpT10_ENKUlT_T0_E_clISt17integral_constantIbLb1EES1P_EEDaS1K_S1L_EUlS1K_E_NS1_11comp_targetILNS1_3genE8ELNS1_11target_archE1030ELNS1_3gpuE2ELNS1_3repE0EEENS1_30default_config_static_selectorELNS0_4arch9wavefront6targetE1EEEvSY_,@function
_ZN7rocprim17ROCPRIM_400000_NS6detail17trampoline_kernelINS0_13select_configILj256ELj13ELNS0_17block_load_methodE3ELS4_3ELS4_3ELNS0_20block_scan_algorithmE0ELj4294967295EEENS1_25partition_config_selectorILNS1_17partition_subalgoE3EjNS0_10empty_typeEbEEZZNS1_14partition_implILS8_3ELb0ES6_jNS0_17counting_iteratorIjlEEPS9_SE_NS0_5tupleIJPjSE_EEENSF_IJSE_SE_EEES9_SG_JZNS1_25segmented_radix_sort_implINS0_14default_configELb0EPKsPsPKlPlN2at6native12_GLOBAL__N_18offset_tEEE10hipError_tPvRmT1_PNSt15iterator_traitsISY_E10value_typeET2_T3_PNSZ_IS14_E10value_typeET4_jRbjT5_S1A_jjP12ihipStream_tbEUljE_EEESV_SW_SX_S14_S18_S1A_T6_T7_T9_mT8_S1C_bDpT10_ENKUlT_T0_E_clISt17integral_constantIbLb1EES1P_EEDaS1K_S1L_EUlS1K_E_NS1_11comp_targetILNS1_3genE8ELNS1_11target_archE1030ELNS1_3gpuE2ELNS1_3repE0EEENS1_30default_config_static_selectorELNS0_4arch9wavefront6targetE1EEEvSY_: ; @_ZN7rocprim17ROCPRIM_400000_NS6detail17trampoline_kernelINS0_13select_configILj256ELj13ELNS0_17block_load_methodE3ELS4_3ELS4_3ELNS0_20block_scan_algorithmE0ELj4294967295EEENS1_25partition_config_selectorILNS1_17partition_subalgoE3EjNS0_10empty_typeEbEEZZNS1_14partition_implILS8_3ELb0ES6_jNS0_17counting_iteratorIjlEEPS9_SE_NS0_5tupleIJPjSE_EEENSF_IJSE_SE_EEES9_SG_JZNS1_25segmented_radix_sort_implINS0_14default_configELb0EPKsPsPKlPlN2at6native12_GLOBAL__N_18offset_tEEE10hipError_tPvRmT1_PNSt15iterator_traitsISY_E10value_typeET2_T3_PNSZ_IS14_E10value_typeET4_jRbjT5_S1A_jjP12ihipStream_tbEUljE_EEESV_SW_SX_S14_S18_S1A_T6_T7_T9_mT8_S1C_bDpT10_ENKUlT_T0_E_clISt17integral_constantIbLb1EES1P_EEDaS1K_S1L_EUlS1K_E_NS1_11comp_targetILNS1_3genE8ELNS1_11target_archE1030ELNS1_3gpuE2ELNS1_3repE0EEENS1_30default_config_static_selectorELNS0_4arch9wavefront6targetE1EEEvSY_
; %bb.0:
	.section	.rodata,"a",@progbits
	.p2align	6, 0x0
	.amdhsa_kernel _ZN7rocprim17ROCPRIM_400000_NS6detail17trampoline_kernelINS0_13select_configILj256ELj13ELNS0_17block_load_methodE3ELS4_3ELS4_3ELNS0_20block_scan_algorithmE0ELj4294967295EEENS1_25partition_config_selectorILNS1_17partition_subalgoE3EjNS0_10empty_typeEbEEZZNS1_14partition_implILS8_3ELb0ES6_jNS0_17counting_iteratorIjlEEPS9_SE_NS0_5tupleIJPjSE_EEENSF_IJSE_SE_EEES9_SG_JZNS1_25segmented_radix_sort_implINS0_14default_configELb0EPKsPsPKlPlN2at6native12_GLOBAL__N_18offset_tEEE10hipError_tPvRmT1_PNSt15iterator_traitsISY_E10value_typeET2_T3_PNSZ_IS14_E10value_typeET4_jRbjT5_S1A_jjP12ihipStream_tbEUljE_EEESV_SW_SX_S14_S18_S1A_T6_T7_T9_mT8_S1C_bDpT10_ENKUlT_T0_E_clISt17integral_constantIbLb1EES1P_EEDaS1K_S1L_EUlS1K_E_NS1_11comp_targetILNS1_3genE8ELNS1_11target_archE1030ELNS1_3gpuE2ELNS1_3repE0EEENS1_30default_config_static_selectorELNS0_4arch9wavefront6targetE1EEEvSY_
		.amdhsa_group_segment_fixed_size 0
		.amdhsa_private_segment_fixed_size 0
		.amdhsa_kernarg_size 152
		.amdhsa_user_sgpr_count 6
		.amdhsa_user_sgpr_private_segment_buffer 1
		.amdhsa_user_sgpr_dispatch_ptr 0
		.amdhsa_user_sgpr_queue_ptr 0
		.amdhsa_user_sgpr_kernarg_segment_ptr 1
		.amdhsa_user_sgpr_dispatch_id 0
		.amdhsa_user_sgpr_flat_scratch_init 0
		.amdhsa_user_sgpr_kernarg_preload_length 0
		.amdhsa_user_sgpr_kernarg_preload_offset 0
		.amdhsa_user_sgpr_private_segment_size 0
		.amdhsa_uses_dynamic_stack 0
		.amdhsa_system_sgpr_private_segment_wavefront_offset 0
		.amdhsa_system_sgpr_workgroup_id_x 1
		.amdhsa_system_sgpr_workgroup_id_y 0
		.amdhsa_system_sgpr_workgroup_id_z 0
		.amdhsa_system_sgpr_workgroup_info 0
		.amdhsa_system_vgpr_workitem_id 0
		.amdhsa_next_free_vgpr 1
		.amdhsa_next_free_sgpr 0
		.amdhsa_accum_offset 4
		.amdhsa_reserve_vcc 0
		.amdhsa_reserve_flat_scratch 0
		.amdhsa_float_round_mode_32 0
		.amdhsa_float_round_mode_16_64 0
		.amdhsa_float_denorm_mode_32 3
		.amdhsa_float_denorm_mode_16_64 3
		.amdhsa_dx10_clamp 1
		.amdhsa_ieee_mode 1
		.amdhsa_fp16_overflow 0
		.amdhsa_tg_split 0
		.amdhsa_exception_fp_ieee_invalid_op 0
		.amdhsa_exception_fp_denorm_src 0
		.amdhsa_exception_fp_ieee_div_zero 0
		.amdhsa_exception_fp_ieee_overflow 0
		.amdhsa_exception_fp_ieee_underflow 0
		.amdhsa_exception_fp_ieee_inexact 0
		.amdhsa_exception_int_div_zero 0
	.end_amdhsa_kernel
	.section	.text._ZN7rocprim17ROCPRIM_400000_NS6detail17trampoline_kernelINS0_13select_configILj256ELj13ELNS0_17block_load_methodE3ELS4_3ELS4_3ELNS0_20block_scan_algorithmE0ELj4294967295EEENS1_25partition_config_selectorILNS1_17partition_subalgoE3EjNS0_10empty_typeEbEEZZNS1_14partition_implILS8_3ELb0ES6_jNS0_17counting_iteratorIjlEEPS9_SE_NS0_5tupleIJPjSE_EEENSF_IJSE_SE_EEES9_SG_JZNS1_25segmented_radix_sort_implINS0_14default_configELb0EPKsPsPKlPlN2at6native12_GLOBAL__N_18offset_tEEE10hipError_tPvRmT1_PNSt15iterator_traitsISY_E10value_typeET2_T3_PNSZ_IS14_E10value_typeET4_jRbjT5_S1A_jjP12ihipStream_tbEUljE_EEESV_SW_SX_S14_S18_S1A_T6_T7_T9_mT8_S1C_bDpT10_ENKUlT_T0_E_clISt17integral_constantIbLb1EES1P_EEDaS1K_S1L_EUlS1K_E_NS1_11comp_targetILNS1_3genE8ELNS1_11target_archE1030ELNS1_3gpuE2ELNS1_3repE0EEENS1_30default_config_static_selectorELNS0_4arch9wavefront6targetE1EEEvSY_,"axG",@progbits,_ZN7rocprim17ROCPRIM_400000_NS6detail17trampoline_kernelINS0_13select_configILj256ELj13ELNS0_17block_load_methodE3ELS4_3ELS4_3ELNS0_20block_scan_algorithmE0ELj4294967295EEENS1_25partition_config_selectorILNS1_17partition_subalgoE3EjNS0_10empty_typeEbEEZZNS1_14partition_implILS8_3ELb0ES6_jNS0_17counting_iteratorIjlEEPS9_SE_NS0_5tupleIJPjSE_EEENSF_IJSE_SE_EEES9_SG_JZNS1_25segmented_radix_sort_implINS0_14default_configELb0EPKsPsPKlPlN2at6native12_GLOBAL__N_18offset_tEEE10hipError_tPvRmT1_PNSt15iterator_traitsISY_E10value_typeET2_T3_PNSZ_IS14_E10value_typeET4_jRbjT5_S1A_jjP12ihipStream_tbEUljE_EEESV_SW_SX_S14_S18_S1A_T6_T7_T9_mT8_S1C_bDpT10_ENKUlT_T0_E_clISt17integral_constantIbLb1EES1P_EEDaS1K_S1L_EUlS1K_E_NS1_11comp_targetILNS1_3genE8ELNS1_11target_archE1030ELNS1_3gpuE2ELNS1_3repE0EEENS1_30default_config_static_selectorELNS0_4arch9wavefront6targetE1EEEvSY_,comdat
.Lfunc_end996:
	.size	_ZN7rocprim17ROCPRIM_400000_NS6detail17trampoline_kernelINS0_13select_configILj256ELj13ELNS0_17block_load_methodE3ELS4_3ELS4_3ELNS0_20block_scan_algorithmE0ELj4294967295EEENS1_25partition_config_selectorILNS1_17partition_subalgoE3EjNS0_10empty_typeEbEEZZNS1_14partition_implILS8_3ELb0ES6_jNS0_17counting_iteratorIjlEEPS9_SE_NS0_5tupleIJPjSE_EEENSF_IJSE_SE_EEES9_SG_JZNS1_25segmented_radix_sort_implINS0_14default_configELb0EPKsPsPKlPlN2at6native12_GLOBAL__N_18offset_tEEE10hipError_tPvRmT1_PNSt15iterator_traitsISY_E10value_typeET2_T3_PNSZ_IS14_E10value_typeET4_jRbjT5_S1A_jjP12ihipStream_tbEUljE_EEESV_SW_SX_S14_S18_S1A_T6_T7_T9_mT8_S1C_bDpT10_ENKUlT_T0_E_clISt17integral_constantIbLb1EES1P_EEDaS1K_S1L_EUlS1K_E_NS1_11comp_targetILNS1_3genE8ELNS1_11target_archE1030ELNS1_3gpuE2ELNS1_3repE0EEENS1_30default_config_static_selectorELNS0_4arch9wavefront6targetE1EEEvSY_, .Lfunc_end996-_ZN7rocprim17ROCPRIM_400000_NS6detail17trampoline_kernelINS0_13select_configILj256ELj13ELNS0_17block_load_methodE3ELS4_3ELS4_3ELNS0_20block_scan_algorithmE0ELj4294967295EEENS1_25partition_config_selectorILNS1_17partition_subalgoE3EjNS0_10empty_typeEbEEZZNS1_14partition_implILS8_3ELb0ES6_jNS0_17counting_iteratorIjlEEPS9_SE_NS0_5tupleIJPjSE_EEENSF_IJSE_SE_EEES9_SG_JZNS1_25segmented_radix_sort_implINS0_14default_configELb0EPKsPsPKlPlN2at6native12_GLOBAL__N_18offset_tEEE10hipError_tPvRmT1_PNSt15iterator_traitsISY_E10value_typeET2_T3_PNSZ_IS14_E10value_typeET4_jRbjT5_S1A_jjP12ihipStream_tbEUljE_EEESV_SW_SX_S14_S18_S1A_T6_T7_T9_mT8_S1C_bDpT10_ENKUlT_T0_E_clISt17integral_constantIbLb1EES1P_EEDaS1K_S1L_EUlS1K_E_NS1_11comp_targetILNS1_3genE8ELNS1_11target_archE1030ELNS1_3gpuE2ELNS1_3repE0EEENS1_30default_config_static_selectorELNS0_4arch9wavefront6targetE1EEEvSY_
                                        ; -- End function
	.section	.AMDGPU.csdata,"",@progbits
; Kernel info:
; codeLenInByte = 0
; NumSgprs: 4
; NumVgprs: 0
; NumAgprs: 0
; TotalNumVgprs: 0
; ScratchSize: 0
; MemoryBound: 0
; FloatMode: 240
; IeeeMode: 1
; LDSByteSize: 0 bytes/workgroup (compile time only)
; SGPRBlocks: 0
; VGPRBlocks: 0
; NumSGPRsForWavesPerEU: 4
; NumVGPRsForWavesPerEU: 1
; AccumOffset: 4
; Occupancy: 8
; WaveLimiterHint : 0
; COMPUTE_PGM_RSRC2:SCRATCH_EN: 0
; COMPUTE_PGM_RSRC2:USER_SGPR: 6
; COMPUTE_PGM_RSRC2:TRAP_HANDLER: 0
; COMPUTE_PGM_RSRC2:TGID_X_EN: 1
; COMPUTE_PGM_RSRC2:TGID_Y_EN: 0
; COMPUTE_PGM_RSRC2:TGID_Z_EN: 0
; COMPUTE_PGM_RSRC2:TIDIG_COMP_CNT: 0
; COMPUTE_PGM_RSRC3_GFX90A:ACCUM_OFFSET: 0
; COMPUTE_PGM_RSRC3_GFX90A:TG_SPLIT: 0
	.section	.text._ZN7rocprim17ROCPRIM_400000_NS6detail17trampoline_kernelINS0_13select_configILj256ELj13ELNS0_17block_load_methodE3ELS4_3ELS4_3ELNS0_20block_scan_algorithmE0ELj4294967295EEENS1_25partition_config_selectorILNS1_17partition_subalgoE3EjNS0_10empty_typeEbEEZZNS1_14partition_implILS8_3ELb0ES6_jNS0_17counting_iteratorIjlEEPS9_SE_NS0_5tupleIJPjSE_EEENSF_IJSE_SE_EEES9_SG_JZNS1_25segmented_radix_sort_implINS0_14default_configELb0EPKsPsPKlPlN2at6native12_GLOBAL__N_18offset_tEEE10hipError_tPvRmT1_PNSt15iterator_traitsISY_E10value_typeET2_T3_PNSZ_IS14_E10value_typeET4_jRbjT5_S1A_jjP12ihipStream_tbEUljE_EEESV_SW_SX_S14_S18_S1A_T6_T7_T9_mT8_S1C_bDpT10_ENKUlT_T0_E_clISt17integral_constantIbLb1EES1O_IbLb0EEEEDaS1K_S1L_EUlS1K_E_NS1_11comp_targetILNS1_3genE0ELNS1_11target_archE4294967295ELNS1_3gpuE0ELNS1_3repE0EEENS1_30default_config_static_selectorELNS0_4arch9wavefront6targetE1EEEvSY_,"axG",@progbits,_ZN7rocprim17ROCPRIM_400000_NS6detail17trampoline_kernelINS0_13select_configILj256ELj13ELNS0_17block_load_methodE3ELS4_3ELS4_3ELNS0_20block_scan_algorithmE0ELj4294967295EEENS1_25partition_config_selectorILNS1_17partition_subalgoE3EjNS0_10empty_typeEbEEZZNS1_14partition_implILS8_3ELb0ES6_jNS0_17counting_iteratorIjlEEPS9_SE_NS0_5tupleIJPjSE_EEENSF_IJSE_SE_EEES9_SG_JZNS1_25segmented_radix_sort_implINS0_14default_configELb0EPKsPsPKlPlN2at6native12_GLOBAL__N_18offset_tEEE10hipError_tPvRmT1_PNSt15iterator_traitsISY_E10value_typeET2_T3_PNSZ_IS14_E10value_typeET4_jRbjT5_S1A_jjP12ihipStream_tbEUljE_EEESV_SW_SX_S14_S18_S1A_T6_T7_T9_mT8_S1C_bDpT10_ENKUlT_T0_E_clISt17integral_constantIbLb1EES1O_IbLb0EEEEDaS1K_S1L_EUlS1K_E_NS1_11comp_targetILNS1_3genE0ELNS1_11target_archE4294967295ELNS1_3gpuE0ELNS1_3repE0EEENS1_30default_config_static_selectorELNS0_4arch9wavefront6targetE1EEEvSY_,comdat
	.globl	_ZN7rocprim17ROCPRIM_400000_NS6detail17trampoline_kernelINS0_13select_configILj256ELj13ELNS0_17block_load_methodE3ELS4_3ELS4_3ELNS0_20block_scan_algorithmE0ELj4294967295EEENS1_25partition_config_selectorILNS1_17partition_subalgoE3EjNS0_10empty_typeEbEEZZNS1_14partition_implILS8_3ELb0ES6_jNS0_17counting_iteratorIjlEEPS9_SE_NS0_5tupleIJPjSE_EEENSF_IJSE_SE_EEES9_SG_JZNS1_25segmented_radix_sort_implINS0_14default_configELb0EPKsPsPKlPlN2at6native12_GLOBAL__N_18offset_tEEE10hipError_tPvRmT1_PNSt15iterator_traitsISY_E10value_typeET2_T3_PNSZ_IS14_E10value_typeET4_jRbjT5_S1A_jjP12ihipStream_tbEUljE_EEESV_SW_SX_S14_S18_S1A_T6_T7_T9_mT8_S1C_bDpT10_ENKUlT_T0_E_clISt17integral_constantIbLb1EES1O_IbLb0EEEEDaS1K_S1L_EUlS1K_E_NS1_11comp_targetILNS1_3genE0ELNS1_11target_archE4294967295ELNS1_3gpuE0ELNS1_3repE0EEENS1_30default_config_static_selectorELNS0_4arch9wavefront6targetE1EEEvSY_ ; -- Begin function _ZN7rocprim17ROCPRIM_400000_NS6detail17trampoline_kernelINS0_13select_configILj256ELj13ELNS0_17block_load_methodE3ELS4_3ELS4_3ELNS0_20block_scan_algorithmE0ELj4294967295EEENS1_25partition_config_selectorILNS1_17partition_subalgoE3EjNS0_10empty_typeEbEEZZNS1_14partition_implILS8_3ELb0ES6_jNS0_17counting_iteratorIjlEEPS9_SE_NS0_5tupleIJPjSE_EEENSF_IJSE_SE_EEES9_SG_JZNS1_25segmented_radix_sort_implINS0_14default_configELb0EPKsPsPKlPlN2at6native12_GLOBAL__N_18offset_tEEE10hipError_tPvRmT1_PNSt15iterator_traitsISY_E10value_typeET2_T3_PNSZ_IS14_E10value_typeET4_jRbjT5_S1A_jjP12ihipStream_tbEUljE_EEESV_SW_SX_S14_S18_S1A_T6_T7_T9_mT8_S1C_bDpT10_ENKUlT_T0_E_clISt17integral_constantIbLb1EES1O_IbLb0EEEEDaS1K_S1L_EUlS1K_E_NS1_11comp_targetILNS1_3genE0ELNS1_11target_archE4294967295ELNS1_3gpuE0ELNS1_3repE0EEENS1_30default_config_static_selectorELNS0_4arch9wavefront6targetE1EEEvSY_
	.p2align	8
	.type	_ZN7rocprim17ROCPRIM_400000_NS6detail17trampoline_kernelINS0_13select_configILj256ELj13ELNS0_17block_load_methodE3ELS4_3ELS4_3ELNS0_20block_scan_algorithmE0ELj4294967295EEENS1_25partition_config_selectorILNS1_17partition_subalgoE3EjNS0_10empty_typeEbEEZZNS1_14partition_implILS8_3ELb0ES6_jNS0_17counting_iteratorIjlEEPS9_SE_NS0_5tupleIJPjSE_EEENSF_IJSE_SE_EEES9_SG_JZNS1_25segmented_radix_sort_implINS0_14default_configELb0EPKsPsPKlPlN2at6native12_GLOBAL__N_18offset_tEEE10hipError_tPvRmT1_PNSt15iterator_traitsISY_E10value_typeET2_T3_PNSZ_IS14_E10value_typeET4_jRbjT5_S1A_jjP12ihipStream_tbEUljE_EEESV_SW_SX_S14_S18_S1A_T6_T7_T9_mT8_S1C_bDpT10_ENKUlT_T0_E_clISt17integral_constantIbLb1EES1O_IbLb0EEEEDaS1K_S1L_EUlS1K_E_NS1_11comp_targetILNS1_3genE0ELNS1_11target_archE4294967295ELNS1_3gpuE0ELNS1_3repE0EEENS1_30default_config_static_selectorELNS0_4arch9wavefront6targetE1EEEvSY_,@function
_ZN7rocprim17ROCPRIM_400000_NS6detail17trampoline_kernelINS0_13select_configILj256ELj13ELNS0_17block_load_methodE3ELS4_3ELS4_3ELNS0_20block_scan_algorithmE0ELj4294967295EEENS1_25partition_config_selectorILNS1_17partition_subalgoE3EjNS0_10empty_typeEbEEZZNS1_14partition_implILS8_3ELb0ES6_jNS0_17counting_iteratorIjlEEPS9_SE_NS0_5tupleIJPjSE_EEENSF_IJSE_SE_EEES9_SG_JZNS1_25segmented_radix_sort_implINS0_14default_configELb0EPKsPsPKlPlN2at6native12_GLOBAL__N_18offset_tEEE10hipError_tPvRmT1_PNSt15iterator_traitsISY_E10value_typeET2_T3_PNSZ_IS14_E10value_typeET4_jRbjT5_S1A_jjP12ihipStream_tbEUljE_EEESV_SW_SX_S14_S18_S1A_T6_T7_T9_mT8_S1C_bDpT10_ENKUlT_T0_E_clISt17integral_constantIbLb1EES1O_IbLb0EEEEDaS1K_S1L_EUlS1K_E_NS1_11comp_targetILNS1_3genE0ELNS1_11target_archE4294967295ELNS1_3gpuE0ELNS1_3repE0EEENS1_30default_config_static_selectorELNS0_4arch9wavefront6targetE1EEEvSY_: ; @_ZN7rocprim17ROCPRIM_400000_NS6detail17trampoline_kernelINS0_13select_configILj256ELj13ELNS0_17block_load_methodE3ELS4_3ELS4_3ELNS0_20block_scan_algorithmE0ELj4294967295EEENS1_25partition_config_selectorILNS1_17partition_subalgoE3EjNS0_10empty_typeEbEEZZNS1_14partition_implILS8_3ELb0ES6_jNS0_17counting_iteratorIjlEEPS9_SE_NS0_5tupleIJPjSE_EEENSF_IJSE_SE_EEES9_SG_JZNS1_25segmented_radix_sort_implINS0_14default_configELb0EPKsPsPKlPlN2at6native12_GLOBAL__N_18offset_tEEE10hipError_tPvRmT1_PNSt15iterator_traitsISY_E10value_typeET2_T3_PNSZ_IS14_E10value_typeET4_jRbjT5_S1A_jjP12ihipStream_tbEUljE_EEESV_SW_SX_S14_S18_S1A_T6_T7_T9_mT8_S1C_bDpT10_ENKUlT_T0_E_clISt17integral_constantIbLb1EES1O_IbLb0EEEEDaS1K_S1L_EUlS1K_E_NS1_11comp_targetILNS1_3genE0ELNS1_11target_archE4294967295ELNS1_3gpuE0ELNS1_3repE0EEENS1_30default_config_static_selectorELNS0_4arch9wavefront6targetE1EEEvSY_
; %bb.0:
	.section	.rodata,"a",@progbits
	.p2align	6, 0x0
	.amdhsa_kernel _ZN7rocprim17ROCPRIM_400000_NS6detail17trampoline_kernelINS0_13select_configILj256ELj13ELNS0_17block_load_methodE3ELS4_3ELS4_3ELNS0_20block_scan_algorithmE0ELj4294967295EEENS1_25partition_config_selectorILNS1_17partition_subalgoE3EjNS0_10empty_typeEbEEZZNS1_14partition_implILS8_3ELb0ES6_jNS0_17counting_iteratorIjlEEPS9_SE_NS0_5tupleIJPjSE_EEENSF_IJSE_SE_EEES9_SG_JZNS1_25segmented_radix_sort_implINS0_14default_configELb0EPKsPsPKlPlN2at6native12_GLOBAL__N_18offset_tEEE10hipError_tPvRmT1_PNSt15iterator_traitsISY_E10value_typeET2_T3_PNSZ_IS14_E10value_typeET4_jRbjT5_S1A_jjP12ihipStream_tbEUljE_EEESV_SW_SX_S14_S18_S1A_T6_T7_T9_mT8_S1C_bDpT10_ENKUlT_T0_E_clISt17integral_constantIbLb1EES1O_IbLb0EEEEDaS1K_S1L_EUlS1K_E_NS1_11comp_targetILNS1_3genE0ELNS1_11target_archE4294967295ELNS1_3gpuE0ELNS1_3repE0EEENS1_30default_config_static_selectorELNS0_4arch9wavefront6targetE1EEEvSY_
		.amdhsa_group_segment_fixed_size 0
		.amdhsa_private_segment_fixed_size 0
		.amdhsa_kernarg_size 144
		.amdhsa_user_sgpr_count 6
		.amdhsa_user_sgpr_private_segment_buffer 1
		.amdhsa_user_sgpr_dispatch_ptr 0
		.amdhsa_user_sgpr_queue_ptr 0
		.amdhsa_user_sgpr_kernarg_segment_ptr 1
		.amdhsa_user_sgpr_dispatch_id 0
		.amdhsa_user_sgpr_flat_scratch_init 0
		.amdhsa_user_sgpr_kernarg_preload_length 0
		.amdhsa_user_sgpr_kernarg_preload_offset 0
		.amdhsa_user_sgpr_private_segment_size 0
		.amdhsa_uses_dynamic_stack 0
		.amdhsa_system_sgpr_private_segment_wavefront_offset 0
		.amdhsa_system_sgpr_workgroup_id_x 1
		.amdhsa_system_sgpr_workgroup_id_y 0
		.amdhsa_system_sgpr_workgroup_id_z 0
		.amdhsa_system_sgpr_workgroup_info 0
		.amdhsa_system_vgpr_workitem_id 0
		.amdhsa_next_free_vgpr 1
		.amdhsa_next_free_sgpr 0
		.amdhsa_accum_offset 4
		.amdhsa_reserve_vcc 0
		.amdhsa_reserve_flat_scratch 0
		.amdhsa_float_round_mode_32 0
		.amdhsa_float_round_mode_16_64 0
		.amdhsa_float_denorm_mode_32 3
		.amdhsa_float_denorm_mode_16_64 3
		.amdhsa_dx10_clamp 1
		.amdhsa_ieee_mode 1
		.amdhsa_fp16_overflow 0
		.amdhsa_tg_split 0
		.amdhsa_exception_fp_ieee_invalid_op 0
		.amdhsa_exception_fp_denorm_src 0
		.amdhsa_exception_fp_ieee_div_zero 0
		.amdhsa_exception_fp_ieee_overflow 0
		.amdhsa_exception_fp_ieee_underflow 0
		.amdhsa_exception_fp_ieee_inexact 0
		.amdhsa_exception_int_div_zero 0
	.end_amdhsa_kernel
	.section	.text._ZN7rocprim17ROCPRIM_400000_NS6detail17trampoline_kernelINS0_13select_configILj256ELj13ELNS0_17block_load_methodE3ELS4_3ELS4_3ELNS0_20block_scan_algorithmE0ELj4294967295EEENS1_25partition_config_selectorILNS1_17partition_subalgoE3EjNS0_10empty_typeEbEEZZNS1_14partition_implILS8_3ELb0ES6_jNS0_17counting_iteratorIjlEEPS9_SE_NS0_5tupleIJPjSE_EEENSF_IJSE_SE_EEES9_SG_JZNS1_25segmented_radix_sort_implINS0_14default_configELb0EPKsPsPKlPlN2at6native12_GLOBAL__N_18offset_tEEE10hipError_tPvRmT1_PNSt15iterator_traitsISY_E10value_typeET2_T3_PNSZ_IS14_E10value_typeET4_jRbjT5_S1A_jjP12ihipStream_tbEUljE_EEESV_SW_SX_S14_S18_S1A_T6_T7_T9_mT8_S1C_bDpT10_ENKUlT_T0_E_clISt17integral_constantIbLb1EES1O_IbLb0EEEEDaS1K_S1L_EUlS1K_E_NS1_11comp_targetILNS1_3genE0ELNS1_11target_archE4294967295ELNS1_3gpuE0ELNS1_3repE0EEENS1_30default_config_static_selectorELNS0_4arch9wavefront6targetE1EEEvSY_,"axG",@progbits,_ZN7rocprim17ROCPRIM_400000_NS6detail17trampoline_kernelINS0_13select_configILj256ELj13ELNS0_17block_load_methodE3ELS4_3ELS4_3ELNS0_20block_scan_algorithmE0ELj4294967295EEENS1_25partition_config_selectorILNS1_17partition_subalgoE3EjNS0_10empty_typeEbEEZZNS1_14partition_implILS8_3ELb0ES6_jNS0_17counting_iteratorIjlEEPS9_SE_NS0_5tupleIJPjSE_EEENSF_IJSE_SE_EEES9_SG_JZNS1_25segmented_radix_sort_implINS0_14default_configELb0EPKsPsPKlPlN2at6native12_GLOBAL__N_18offset_tEEE10hipError_tPvRmT1_PNSt15iterator_traitsISY_E10value_typeET2_T3_PNSZ_IS14_E10value_typeET4_jRbjT5_S1A_jjP12ihipStream_tbEUljE_EEESV_SW_SX_S14_S18_S1A_T6_T7_T9_mT8_S1C_bDpT10_ENKUlT_T0_E_clISt17integral_constantIbLb1EES1O_IbLb0EEEEDaS1K_S1L_EUlS1K_E_NS1_11comp_targetILNS1_3genE0ELNS1_11target_archE4294967295ELNS1_3gpuE0ELNS1_3repE0EEENS1_30default_config_static_selectorELNS0_4arch9wavefront6targetE1EEEvSY_,comdat
.Lfunc_end997:
	.size	_ZN7rocprim17ROCPRIM_400000_NS6detail17trampoline_kernelINS0_13select_configILj256ELj13ELNS0_17block_load_methodE3ELS4_3ELS4_3ELNS0_20block_scan_algorithmE0ELj4294967295EEENS1_25partition_config_selectorILNS1_17partition_subalgoE3EjNS0_10empty_typeEbEEZZNS1_14partition_implILS8_3ELb0ES6_jNS0_17counting_iteratorIjlEEPS9_SE_NS0_5tupleIJPjSE_EEENSF_IJSE_SE_EEES9_SG_JZNS1_25segmented_radix_sort_implINS0_14default_configELb0EPKsPsPKlPlN2at6native12_GLOBAL__N_18offset_tEEE10hipError_tPvRmT1_PNSt15iterator_traitsISY_E10value_typeET2_T3_PNSZ_IS14_E10value_typeET4_jRbjT5_S1A_jjP12ihipStream_tbEUljE_EEESV_SW_SX_S14_S18_S1A_T6_T7_T9_mT8_S1C_bDpT10_ENKUlT_T0_E_clISt17integral_constantIbLb1EES1O_IbLb0EEEEDaS1K_S1L_EUlS1K_E_NS1_11comp_targetILNS1_3genE0ELNS1_11target_archE4294967295ELNS1_3gpuE0ELNS1_3repE0EEENS1_30default_config_static_selectorELNS0_4arch9wavefront6targetE1EEEvSY_, .Lfunc_end997-_ZN7rocprim17ROCPRIM_400000_NS6detail17trampoline_kernelINS0_13select_configILj256ELj13ELNS0_17block_load_methodE3ELS4_3ELS4_3ELNS0_20block_scan_algorithmE0ELj4294967295EEENS1_25partition_config_selectorILNS1_17partition_subalgoE3EjNS0_10empty_typeEbEEZZNS1_14partition_implILS8_3ELb0ES6_jNS0_17counting_iteratorIjlEEPS9_SE_NS0_5tupleIJPjSE_EEENSF_IJSE_SE_EEES9_SG_JZNS1_25segmented_radix_sort_implINS0_14default_configELb0EPKsPsPKlPlN2at6native12_GLOBAL__N_18offset_tEEE10hipError_tPvRmT1_PNSt15iterator_traitsISY_E10value_typeET2_T3_PNSZ_IS14_E10value_typeET4_jRbjT5_S1A_jjP12ihipStream_tbEUljE_EEESV_SW_SX_S14_S18_S1A_T6_T7_T9_mT8_S1C_bDpT10_ENKUlT_T0_E_clISt17integral_constantIbLb1EES1O_IbLb0EEEEDaS1K_S1L_EUlS1K_E_NS1_11comp_targetILNS1_3genE0ELNS1_11target_archE4294967295ELNS1_3gpuE0ELNS1_3repE0EEENS1_30default_config_static_selectorELNS0_4arch9wavefront6targetE1EEEvSY_
                                        ; -- End function
	.section	.AMDGPU.csdata,"",@progbits
; Kernel info:
; codeLenInByte = 0
; NumSgprs: 4
; NumVgprs: 0
; NumAgprs: 0
; TotalNumVgprs: 0
; ScratchSize: 0
; MemoryBound: 0
; FloatMode: 240
; IeeeMode: 1
; LDSByteSize: 0 bytes/workgroup (compile time only)
; SGPRBlocks: 0
; VGPRBlocks: 0
; NumSGPRsForWavesPerEU: 4
; NumVGPRsForWavesPerEU: 1
; AccumOffset: 4
; Occupancy: 8
; WaveLimiterHint : 0
; COMPUTE_PGM_RSRC2:SCRATCH_EN: 0
; COMPUTE_PGM_RSRC2:USER_SGPR: 6
; COMPUTE_PGM_RSRC2:TRAP_HANDLER: 0
; COMPUTE_PGM_RSRC2:TGID_X_EN: 1
; COMPUTE_PGM_RSRC2:TGID_Y_EN: 0
; COMPUTE_PGM_RSRC2:TGID_Z_EN: 0
; COMPUTE_PGM_RSRC2:TIDIG_COMP_CNT: 0
; COMPUTE_PGM_RSRC3_GFX90A:ACCUM_OFFSET: 0
; COMPUTE_PGM_RSRC3_GFX90A:TG_SPLIT: 0
	.section	.text._ZN7rocprim17ROCPRIM_400000_NS6detail17trampoline_kernelINS0_13select_configILj256ELj13ELNS0_17block_load_methodE3ELS4_3ELS4_3ELNS0_20block_scan_algorithmE0ELj4294967295EEENS1_25partition_config_selectorILNS1_17partition_subalgoE3EjNS0_10empty_typeEbEEZZNS1_14partition_implILS8_3ELb0ES6_jNS0_17counting_iteratorIjlEEPS9_SE_NS0_5tupleIJPjSE_EEENSF_IJSE_SE_EEES9_SG_JZNS1_25segmented_radix_sort_implINS0_14default_configELb0EPKsPsPKlPlN2at6native12_GLOBAL__N_18offset_tEEE10hipError_tPvRmT1_PNSt15iterator_traitsISY_E10value_typeET2_T3_PNSZ_IS14_E10value_typeET4_jRbjT5_S1A_jjP12ihipStream_tbEUljE_EEESV_SW_SX_S14_S18_S1A_T6_T7_T9_mT8_S1C_bDpT10_ENKUlT_T0_E_clISt17integral_constantIbLb1EES1O_IbLb0EEEEDaS1K_S1L_EUlS1K_E_NS1_11comp_targetILNS1_3genE5ELNS1_11target_archE942ELNS1_3gpuE9ELNS1_3repE0EEENS1_30default_config_static_selectorELNS0_4arch9wavefront6targetE1EEEvSY_,"axG",@progbits,_ZN7rocprim17ROCPRIM_400000_NS6detail17trampoline_kernelINS0_13select_configILj256ELj13ELNS0_17block_load_methodE3ELS4_3ELS4_3ELNS0_20block_scan_algorithmE0ELj4294967295EEENS1_25partition_config_selectorILNS1_17partition_subalgoE3EjNS0_10empty_typeEbEEZZNS1_14partition_implILS8_3ELb0ES6_jNS0_17counting_iteratorIjlEEPS9_SE_NS0_5tupleIJPjSE_EEENSF_IJSE_SE_EEES9_SG_JZNS1_25segmented_radix_sort_implINS0_14default_configELb0EPKsPsPKlPlN2at6native12_GLOBAL__N_18offset_tEEE10hipError_tPvRmT1_PNSt15iterator_traitsISY_E10value_typeET2_T3_PNSZ_IS14_E10value_typeET4_jRbjT5_S1A_jjP12ihipStream_tbEUljE_EEESV_SW_SX_S14_S18_S1A_T6_T7_T9_mT8_S1C_bDpT10_ENKUlT_T0_E_clISt17integral_constantIbLb1EES1O_IbLb0EEEEDaS1K_S1L_EUlS1K_E_NS1_11comp_targetILNS1_3genE5ELNS1_11target_archE942ELNS1_3gpuE9ELNS1_3repE0EEENS1_30default_config_static_selectorELNS0_4arch9wavefront6targetE1EEEvSY_,comdat
	.globl	_ZN7rocprim17ROCPRIM_400000_NS6detail17trampoline_kernelINS0_13select_configILj256ELj13ELNS0_17block_load_methodE3ELS4_3ELS4_3ELNS0_20block_scan_algorithmE0ELj4294967295EEENS1_25partition_config_selectorILNS1_17partition_subalgoE3EjNS0_10empty_typeEbEEZZNS1_14partition_implILS8_3ELb0ES6_jNS0_17counting_iteratorIjlEEPS9_SE_NS0_5tupleIJPjSE_EEENSF_IJSE_SE_EEES9_SG_JZNS1_25segmented_radix_sort_implINS0_14default_configELb0EPKsPsPKlPlN2at6native12_GLOBAL__N_18offset_tEEE10hipError_tPvRmT1_PNSt15iterator_traitsISY_E10value_typeET2_T3_PNSZ_IS14_E10value_typeET4_jRbjT5_S1A_jjP12ihipStream_tbEUljE_EEESV_SW_SX_S14_S18_S1A_T6_T7_T9_mT8_S1C_bDpT10_ENKUlT_T0_E_clISt17integral_constantIbLb1EES1O_IbLb0EEEEDaS1K_S1L_EUlS1K_E_NS1_11comp_targetILNS1_3genE5ELNS1_11target_archE942ELNS1_3gpuE9ELNS1_3repE0EEENS1_30default_config_static_selectorELNS0_4arch9wavefront6targetE1EEEvSY_ ; -- Begin function _ZN7rocprim17ROCPRIM_400000_NS6detail17trampoline_kernelINS0_13select_configILj256ELj13ELNS0_17block_load_methodE3ELS4_3ELS4_3ELNS0_20block_scan_algorithmE0ELj4294967295EEENS1_25partition_config_selectorILNS1_17partition_subalgoE3EjNS0_10empty_typeEbEEZZNS1_14partition_implILS8_3ELb0ES6_jNS0_17counting_iteratorIjlEEPS9_SE_NS0_5tupleIJPjSE_EEENSF_IJSE_SE_EEES9_SG_JZNS1_25segmented_radix_sort_implINS0_14default_configELb0EPKsPsPKlPlN2at6native12_GLOBAL__N_18offset_tEEE10hipError_tPvRmT1_PNSt15iterator_traitsISY_E10value_typeET2_T3_PNSZ_IS14_E10value_typeET4_jRbjT5_S1A_jjP12ihipStream_tbEUljE_EEESV_SW_SX_S14_S18_S1A_T6_T7_T9_mT8_S1C_bDpT10_ENKUlT_T0_E_clISt17integral_constantIbLb1EES1O_IbLb0EEEEDaS1K_S1L_EUlS1K_E_NS1_11comp_targetILNS1_3genE5ELNS1_11target_archE942ELNS1_3gpuE9ELNS1_3repE0EEENS1_30default_config_static_selectorELNS0_4arch9wavefront6targetE1EEEvSY_
	.p2align	8
	.type	_ZN7rocprim17ROCPRIM_400000_NS6detail17trampoline_kernelINS0_13select_configILj256ELj13ELNS0_17block_load_methodE3ELS4_3ELS4_3ELNS0_20block_scan_algorithmE0ELj4294967295EEENS1_25partition_config_selectorILNS1_17partition_subalgoE3EjNS0_10empty_typeEbEEZZNS1_14partition_implILS8_3ELb0ES6_jNS0_17counting_iteratorIjlEEPS9_SE_NS0_5tupleIJPjSE_EEENSF_IJSE_SE_EEES9_SG_JZNS1_25segmented_radix_sort_implINS0_14default_configELb0EPKsPsPKlPlN2at6native12_GLOBAL__N_18offset_tEEE10hipError_tPvRmT1_PNSt15iterator_traitsISY_E10value_typeET2_T3_PNSZ_IS14_E10value_typeET4_jRbjT5_S1A_jjP12ihipStream_tbEUljE_EEESV_SW_SX_S14_S18_S1A_T6_T7_T9_mT8_S1C_bDpT10_ENKUlT_T0_E_clISt17integral_constantIbLb1EES1O_IbLb0EEEEDaS1K_S1L_EUlS1K_E_NS1_11comp_targetILNS1_3genE5ELNS1_11target_archE942ELNS1_3gpuE9ELNS1_3repE0EEENS1_30default_config_static_selectorELNS0_4arch9wavefront6targetE1EEEvSY_,@function
_ZN7rocprim17ROCPRIM_400000_NS6detail17trampoline_kernelINS0_13select_configILj256ELj13ELNS0_17block_load_methodE3ELS4_3ELS4_3ELNS0_20block_scan_algorithmE0ELj4294967295EEENS1_25partition_config_selectorILNS1_17partition_subalgoE3EjNS0_10empty_typeEbEEZZNS1_14partition_implILS8_3ELb0ES6_jNS0_17counting_iteratorIjlEEPS9_SE_NS0_5tupleIJPjSE_EEENSF_IJSE_SE_EEES9_SG_JZNS1_25segmented_radix_sort_implINS0_14default_configELb0EPKsPsPKlPlN2at6native12_GLOBAL__N_18offset_tEEE10hipError_tPvRmT1_PNSt15iterator_traitsISY_E10value_typeET2_T3_PNSZ_IS14_E10value_typeET4_jRbjT5_S1A_jjP12ihipStream_tbEUljE_EEESV_SW_SX_S14_S18_S1A_T6_T7_T9_mT8_S1C_bDpT10_ENKUlT_T0_E_clISt17integral_constantIbLb1EES1O_IbLb0EEEEDaS1K_S1L_EUlS1K_E_NS1_11comp_targetILNS1_3genE5ELNS1_11target_archE942ELNS1_3gpuE9ELNS1_3repE0EEENS1_30default_config_static_selectorELNS0_4arch9wavefront6targetE1EEEvSY_: ; @_ZN7rocprim17ROCPRIM_400000_NS6detail17trampoline_kernelINS0_13select_configILj256ELj13ELNS0_17block_load_methodE3ELS4_3ELS4_3ELNS0_20block_scan_algorithmE0ELj4294967295EEENS1_25partition_config_selectorILNS1_17partition_subalgoE3EjNS0_10empty_typeEbEEZZNS1_14partition_implILS8_3ELb0ES6_jNS0_17counting_iteratorIjlEEPS9_SE_NS0_5tupleIJPjSE_EEENSF_IJSE_SE_EEES9_SG_JZNS1_25segmented_radix_sort_implINS0_14default_configELb0EPKsPsPKlPlN2at6native12_GLOBAL__N_18offset_tEEE10hipError_tPvRmT1_PNSt15iterator_traitsISY_E10value_typeET2_T3_PNSZ_IS14_E10value_typeET4_jRbjT5_S1A_jjP12ihipStream_tbEUljE_EEESV_SW_SX_S14_S18_S1A_T6_T7_T9_mT8_S1C_bDpT10_ENKUlT_T0_E_clISt17integral_constantIbLb1EES1O_IbLb0EEEEDaS1K_S1L_EUlS1K_E_NS1_11comp_targetILNS1_3genE5ELNS1_11target_archE942ELNS1_3gpuE9ELNS1_3repE0EEENS1_30default_config_static_selectorELNS0_4arch9wavefront6targetE1EEEvSY_
; %bb.0:
	.section	.rodata,"a",@progbits
	.p2align	6, 0x0
	.amdhsa_kernel _ZN7rocprim17ROCPRIM_400000_NS6detail17trampoline_kernelINS0_13select_configILj256ELj13ELNS0_17block_load_methodE3ELS4_3ELS4_3ELNS0_20block_scan_algorithmE0ELj4294967295EEENS1_25partition_config_selectorILNS1_17partition_subalgoE3EjNS0_10empty_typeEbEEZZNS1_14partition_implILS8_3ELb0ES6_jNS0_17counting_iteratorIjlEEPS9_SE_NS0_5tupleIJPjSE_EEENSF_IJSE_SE_EEES9_SG_JZNS1_25segmented_radix_sort_implINS0_14default_configELb0EPKsPsPKlPlN2at6native12_GLOBAL__N_18offset_tEEE10hipError_tPvRmT1_PNSt15iterator_traitsISY_E10value_typeET2_T3_PNSZ_IS14_E10value_typeET4_jRbjT5_S1A_jjP12ihipStream_tbEUljE_EEESV_SW_SX_S14_S18_S1A_T6_T7_T9_mT8_S1C_bDpT10_ENKUlT_T0_E_clISt17integral_constantIbLb1EES1O_IbLb0EEEEDaS1K_S1L_EUlS1K_E_NS1_11comp_targetILNS1_3genE5ELNS1_11target_archE942ELNS1_3gpuE9ELNS1_3repE0EEENS1_30default_config_static_selectorELNS0_4arch9wavefront6targetE1EEEvSY_
		.amdhsa_group_segment_fixed_size 0
		.amdhsa_private_segment_fixed_size 0
		.amdhsa_kernarg_size 144
		.amdhsa_user_sgpr_count 6
		.amdhsa_user_sgpr_private_segment_buffer 1
		.amdhsa_user_sgpr_dispatch_ptr 0
		.amdhsa_user_sgpr_queue_ptr 0
		.amdhsa_user_sgpr_kernarg_segment_ptr 1
		.amdhsa_user_sgpr_dispatch_id 0
		.amdhsa_user_sgpr_flat_scratch_init 0
		.amdhsa_user_sgpr_kernarg_preload_length 0
		.amdhsa_user_sgpr_kernarg_preload_offset 0
		.amdhsa_user_sgpr_private_segment_size 0
		.amdhsa_uses_dynamic_stack 0
		.amdhsa_system_sgpr_private_segment_wavefront_offset 0
		.amdhsa_system_sgpr_workgroup_id_x 1
		.amdhsa_system_sgpr_workgroup_id_y 0
		.amdhsa_system_sgpr_workgroup_id_z 0
		.amdhsa_system_sgpr_workgroup_info 0
		.amdhsa_system_vgpr_workitem_id 0
		.amdhsa_next_free_vgpr 1
		.amdhsa_next_free_sgpr 0
		.amdhsa_accum_offset 4
		.amdhsa_reserve_vcc 0
		.amdhsa_reserve_flat_scratch 0
		.amdhsa_float_round_mode_32 0
		.amdhsa_float_round_mode_16_64 0
		.amdhsa_float_denorm_mode_32 3
		.amdhsa_float_denorm_mode_16_64 3
		.amdhsa_dx10_clamp 1
		.amdhsa_ieee_mode 1
		.amdhsa_fp16_overflow 0
		.amdhsa_tg_split 0
		.amdhsa_exception_fp_ieee_invalid_op 0
		.amdhsa_exception_fp_denorm_src 0
		.amdhsa_exception_fp_ieee_div_zero 0
		.amdhsa_exception_fp_ieee_overflow 0
		.amdhsa_exception_fp_ieee_underflow 0
		.amdhsa_exception_fp_ieee_inexact 0
		.amdhsa_exception_int_div_zero 0
	.end_amdhsa_kernel
	.section	.text._ZN7rocprim17ROCPRIM_400000_NS6detail17trampoline_kernelINS0_13select_configILj256ELj13ELNS0_17block_load_methodE3ELS4_3ELS4_3ELNS0_20block_scan_algorithmE0ELj4294967295EEENS1_25partition_config_selectorILNS1_17partition_subalgoE3EjNS0_10empty_typeEbEEZZNS1_14partition_implILS8_3ELb0ES6_jNS0_17counting_iteratorIjlEEPS9_SE_NS0_5tupleIJPjSE_EEENSF_IJSE_SE_EEES9_SG_JZNS1_25segmented_radix_sort_implINS0_14default_configELb0EPKsPsPKlPlN2at6native12_GLOBAL__N_18offset_tEEE10hipError_tPvRmT1_PNSt15iterator_traitsISY_E10value_typeET2_T3_PNSZ_IS14_E10value_typeET4_jRbjT5_S1A_jjP12ihipStream_tbEUljE_EEESV_SW_SX_S14_S18_S1A_T6_T7_T9_mT8_S1C_bDpT10_ENKUlT_T0_E_clISt17integral_constantIbLb1EES1O_IbLb0EEEEDaS1K_S1L_EUlS1K_E_NS1_11comp_targetILNS1_3genE5ELNS1_11target_archE942ELNS1_3gpuE9ELNS1_3repE0EEENS1_30default_config_static_selectorELNS0_4arch9wavefront6targetE1EEEvSY_,"axG",@progbits,_ZN7rocprim17ROCPRIM_400000_NS6detail17trampoline_kernelINS0_13select_configILj256ELj13ELNS0_17block_load_methodE3ELS4_3ELS4_3ELNS0_20block_scan_algorithmE0ELj4294967295EEENS1_25partition_config_selectorILNS1_17partition_subalgoE3EjNS0_10empty_typeEbEEZZNS1_14partition_implILS8_3ELb0ES6_jNS0_17counting_iteratorIjlEEPS9_SE_NS0_5tupleIJPjSE_EEENSF_IJSE_SE_EEES9_SG_JZNS1_25segmented_radix_sort_implINS0_14default_configELb0EPKsPsPKlPlN2at6native12_GLOBAL__N_18offset_tEEE10hipError_tPvRmT1_PNSt15iterator_traitsISY_E10value_typeET2_T3_PNSZ_IS14_E10value_typeET4_jRbjT5_S1A_jjP12ihipStream_tbEUljE_EEESV_SW_SX_S14_S18_S1A_T6_T7_T9_mT8_S1C_bDpT10_ENKUlT_T0_E_clISt17integral_constantIbLb1EES1O_IbLb0EEEEDaS1K_S1L_EUlS1K_E_NS1_11comp_targetILNS1_3genE5ELNS1_11target_archE942ELNS1_3gpuE9ELNS1_3repE0EEENS1_30default_config_static_selectorELNS0_4arch9wavefront6targetE1EEEvSY_,comdat
.Lfunc_end998:
	.size	_ZN7rocprim17ROCPRIM_400000_NS6detail17trampoline_kernelINS0_13select_configILj256ELj13ELNS0_17block_load_methodE3ELS4_3ELS4_3ELNS0_20block_scan_algorithmE0ELj4294967295EEENS1_25partition_config_selectorILNS1_17partition_subalgoE3EjNS0_10empty_typeEbEEZZNS1_14partition_implILS8_3ELb0ES6_jNS0_17counting_iteratorIjlEEPS9_SE_NS0_5tupleIJPjSE_EEENSF_IJSE_SE_EEES9_SG_JZNS1_25segmented_radix_sort_implINS0_14default_configELb0EPKsPsPKlPlN2at6native12_GLOBAL__N_18offset_tEEE10hipError_tPvRmT1_PNSt15iterator_traitsISY_E10value_typeET2_T3_PNSZ_IS14_E10value_typeET4_jRbjT5_S1A_jjP12ihipStream_tbEUljE_EEESV_SW_SX_S14_S18_S1A_T6_T7_T9_mT8_S1C_bDpT10_ENKUlT_T0_E_clISt17integral_constantIbLb1EES1O_IbLb0EEEEDaS1K_S1L_EUlS1K_E_NS1_11comp_targetILNS1_3genE5ELNS1_11target_archE942ELNS1_3gpuE9ELNS1_3repE0EEENS1_30default_config_static_selectorELNS0_4arch9wavefront6targetE1EEEvSY_, .Lfunc_end998-_ZN7rocprim17ROCPRIM_400000_NS6detail17trampoline_kernelINS0_13select_configILj256ELj13ELNS0_17block_load_methodE3ELS4_3ELS4_3ELNS0_20block_scan_algorithmE0ELj4294967295EEENS1_25partition_config_selectorILNS1_17partition_subalgoE3EjNS0_10empty_typeEbEEZZNS1_14partition_implILS8_3ELb0ES6_jNS0_17counting_iteratorIjlEEPS9_SE_NS0_5tupleIJPjSE_EEENSF_IJSE_SE_EEES9_SG_JZNS1_25segmented_radix_sort_implINS0_14default_configELb0EPKsPsPKlPlN2at6native12_GLOBAL__N_18offset_tEEE10hipError_tPvRmT1_PNSt15iterator_traitsISY_E10value_typeET2_T3_PNSZ_IS14_E10value_typeET4_jRbjT5_S1A_jjP12ihipStream_tbEUljE_EEESV_SW_SX_S14_S18_S1A_T6_T7_T9_mT8_S1C_bDpT10_ENKUlT_T0_E_clISt17integral_constantIbLb1EES1O_IbLb0EEEEDaS1K_S1L_EUlS1K_E_NS1_11comp_targetILNS1_3genE5ELNS1_11target_archE942ELNS1_3gpuE9ELNS1_3repE0EEENS1_30default_config_static_selectorELNS0_4arch9wavefront6targetE1EEEvSY_
                                        ; -- End function
	.section	.AMDGPU.csdata,"",@progbits
; Kernel info:
; codeLenInByte = 0
; NumSgprs: 4
; NumVgprs: 0
; NumAgprs: 0
; TotalNumVgprs: 0
; ScratchSize: 0
; MemoryBound: 0
; FloatMode: 240
; IeeeMode: 1
; LDSByteSize: 0 bytes/workgroup (compile time only)
; SGPRBlocks: 0
; VGPRBlocks: 0
; NumSGPRsForWavesPerEU: 4
; NumVGPRsForWavesPerEU: 1
; AccumOffset: 4
; Occupancy: 8
; WaveLimiterHint : 0
; COMPUTE_PGM_RSRC2:SCRATCH_EN: 0
; COMPUTE_PGM_RSRC2:USER_SGPR: 6
; COMPUTE_PGM_RSRC2:TRAP_HANDLER: 0
; COMPUTE_PGM_RSRC2:TGID_X_EN: 1
; COMPUTE_PGM_RSRC2:TGID_Y_EN: 0
; COMPUTE_PGM_RSRC2:TGID_Z_EN: 0
; COMPUTE_PGM_RSRC2:TIDIG_COMP_CNT: 0
; COMPUTE_PGM_RSRC3_GFX90A:ACCUM_OFFSET: 0
; COMPUTE_PGM_RSRC3_GFX90A:TG_SPLIT: 0
	.section	.text._ZN7rocprim17ROCPRIM_400000_NS6detail17trampoline_kernelINS0_13select_configILj256ELj13ELNS0_17block_load_methodE3ELS4_3ELS4_3ELNS0_20block_scan_algorithmE0ELj4294967295EEENS1_25partition_config_selectorILNS1_17partition_subalgoE3EjNS0_10empty_typeEbEEZZNS1_14partition_implILS8_3ELb0ES6_jNS0_17counting_iteratorIjlEEPS9_SE_NS0_5tupleIJPjSE_EEENSF_IJSE_SE_EEES9_SG_JZNS1_25segmented_radix_sort_implINS0_14default_configELb0EPKsPsPKlPlN2at6native12_GLOBAL__N_18offset_tEEE10hipError_tPvRmT1_PNSt15iterator_traitsISY_E10value_typeET2_T3_PNSZ_IS14_E10value_typeET4_jRbjT5_S1A_jjP12ihipStream_tbEUljE_EEESV_SW_SX_S14_S18_S1A_T6_T7_T9_mT8_S1C_bDpT10_ENKUlT_T0_E_clISt17integral_constantIbLb1EES1O_IbLb0EEEEDaS1K_S1L_EUlS1K_E_NS1_11comp_targetILNS1_3genE4ELNS1_11target_archE910ELNS1_3gpuE8ELNS1_3repE0EEENS1_30default_config_static_selectorELNS0_4arch9wavefront6targetE1EEEvSY_,"axG",@progbits,_ZN7rocprim17ROCPRIM_400000_NS6detail17trampoline_kernelINS0_13select_configILj256ELj13ELNS0_17block_load_methodE3ELS4_3ELS4_3ELNS0_20block_scan_algorithmE0ELj4294967295EEENS1_25partition_config_selectorILNS1_17partition_subalgoE3EjNS0_10empty_typeEbEEZZNS1_14partition_implILS8_3ELb0ES6_jNS0_17counting_iteratorIjlEEPS9_SE_NS0_5tupleIJPjSE_EEENSF_IJSE_SE_EEES9_SG_JZNS1_25segmented_radix_sort_implINS0_14default_configELb0EPKsPsPKlPlN2at6native12_GLOBAL__N_18offset_tEEE10hipError_tPvRmT1_PNSt15iterator_traitsISY_E10value_typeET2_T3_PNSZ_IS14_E10value_typeET4_jRbjT5_S1A_jjP12ihipStream_tbEUljE_EEESV_SW_SX_S14_S18_S1A_T6_T7_T9_mT8_S1C_bDpT10_ENKUlT_T0_E_clISt17integral_constantIbLb1EES1O_IbLb0EEEEDaS1K_S1L_EUlS1K_E_NS1_11comp_targetILNS1_3genE4ELNS1_11target_archE910ELNS1_3gpuE8ELNS1_3repE0EEENS1_30default_config_static_selectorELNS0_4arch9wavefront6targetE1EEEvSY_,comdat
	.globl	_ZN7rocprim17ROCPRIM_400000_NS6detail17trampoline_kernelINS0_13select_configILj256ELj13ELNS0_17block_load_methodE3ELS4_3ELS4_3ELNS0_20block_scan_algorithmE0ELj4294967295EEENS1_25partition_config_selectorILNS1_17partition_subalgoE3EjNS0_10empty_typeEbEEZZNS1_14partition_implILS8_3ELb0ES6_jNS0_17counting_iteratorIjlEEPS9_SE_NS0_5tupleIJPjSE_EEENSF_IJSE_SE_EEES9_SG_JZNS1_25segmented_radix_sort_implINS0_14default_configELb0EPKsPsPKlPlN2at6native12_GLOBAL__N_18offset_tEEE10hipError_tPvRmT1_PNSt15iterator_traitsISY_E10value_typeET2_T3_PNSZ_IS14_E10value_typeET4_jRbjT5_S1A_jjP12ihipStream_tbEUljE_EEESV_SW_SX_S14_S18_S1A_T6_T7_T9_mT8_S1C_bDpT10_ENKUlT_T0_E_clISt17integral_constantIbLb1EES1O_IbLb0EEEEDaS1K_S1L_EUlS1K_E_NS1_11comp_targetILNS1_3genE4ELNS1_11target_archE910ELNS1_3gpuE8ELNS1_3repE0EEENS1_30default_config_static_selectorELNS0_4arch9wavefront6targetE1EEEvSY_ ; -- Begin function _ZN7rocprim17ROCPRIM_400000_NS6detail17trampoline_kernelINS0_13select_configILj256ELj13ELNS0_17block_load_methodE3ELS4_3ELS4_3ELNS0_20block_scan_algorithmE0ELj4294967295EEENS1_25partition_config_selectorILNS1_17partition_subalgoE3EjNS0_10empty_typeEbEEZZNS1_14partition_implILS8_3ELb0ES6_jNS0_17counting_iteratorIjlEEPS9_SE_NS0_5tupleIJPjSE_EEENSF_IJSE_SE_EEES9_SG_JZNS1_25segmented_radix_sort_implINS0_14default_configELb0EPKsPsPKlPlN2at6native12_GLOBAL__N_18offset_tEEE10hipError_tPvRmT1_PNSt15iterator_traitsISY_E10value_typeET2_T3_PNSZ_IS14_E10value_typeET4_jRbjT5_S1A_jjP12ihipStream_tbEUljE_EEESV_SW_SX_S14_S18_S1A_T6_T7_T9_mT8_S1C_bDpT10_ENKUlT_T0_E_clISt17integral_constantIbLb1EES1O_IbLb0EEEEDaS1K_S1L_EUlS1K_E_NS1_11comp_targetILNS1_3genE4ELNS1_11target_archE910ELNS1_3gpuE8ELNS1_3repE0EEENS1_30default_config_static_selectorELNS0_4arch9wavefront6targetE1EEEvSY_
	.p2align	8
	.type	_ZN7rocprim17ROCPRIM_400000_NS6detail17trampoline_kernelINS0_13select_configILj256ELj13ELNS0_17block_load_methodE3ELS4_3ELS4_3ELNS0_20block_scan_algorithmE0ELj4294967295EEENS1_25partition_config_selectorILNS1_17partition_subalgoE3EjNS0_10empty_typeEbEEZZNS1_14partition_implILS8_3ELb0ES6_jNS0_17counting_iteratorIjlEEPS9_SE_NS0_5tupleIJPjSE_EEENSF_IJSE_SE_EEES9_SG_JZNS1_25segmented_radix_sort_implINS0_14default_configELb0EPKsPsPKlPlN2at6native12_GLOBAL__N_18offset_tEEE10hipError_tPvRmT1_PNSt15iterator_traitsISY_E10value_typeET2_T3_PNSZ_IS14_E10value_typeET4_jRbjT5_S1A_jjP12ihipStream_tbEUljE_EEESV_SW_SX_S14_S18_S1A_T6_T7_T9_mT8_S1C_bDpT10_ENKUlT_T0_E_clISt17integral_constantIbLb1EES1O_IbLb0EEEEDaS1K_S1L_EUlS1K_E_NS1_11comp_targetILNS1_3genE4ELNS1_11target_archE910ELNS1_3gpuE8ELNS1_3repE0EEENS1_30default_config_static_selectorELNS0_4arch9wavefront6targetE1EEEvSY_,@function
_ZN7rocprim17ROCPRIM_400000_NS6detail17trampoline_kernelINS0_13select_configILj256ELj13ELNS0_17block_load_methodE3ELS4_3ELS4_3ELNS0_20block_scan_algorithmE0ELj4294967295EEENS1_25partition_config_selectorILNS1_17partition_subalgoE3EjNS0_10empty_typeEbEEZZNS1_14partition_implILS8_3ELb0ES6_jNS0_17counting_iteratorIjlEEPS9_SE_NS0_5tupleIJPjSE_EEENSF_IJSE_SE_EEES9_SG_JZNS1_25segmented_radix_sort_implINS0_14default_configELb0EPKsPsPKlPlN2at6native12_GLOBAL__N_18offset_tEEE10hipError_tPvRmT1_PNSt15iterator_traitsISY_E10value_typeET2_T3_PNSZ_IS14_E10value_typeET4_jRbjT5_S1A_jjP12ihipStream_tbEUljE_EEESV_SW_SX_S14_S18_S1A_T6_T7_T9_mT8_S1C_bDpT10_ENKUlT_T0_E_clISt17integral_constantIbLb1EES1O_IbLb0EEEEDaS1K_S1L_EUlS1K_E_NS1_11comp_targetILNS1_3genE4ELNS1_11target_archE910ELNS1_3gpuE8ELNS1_3repE0EEENS1_30default_config_static_selectorELNS0_4arch9wavefront6targetE1EEEvSY_: ; @_ZN7rocprim17ROCPRIM_400000_NS6detail17trampoline_kernelINS0_13select_configILj256ELj13ELNS0_17block_load_methodE3ELS4_3ELS4_3ELNS0_20block_scan_algorithmE0ELj4294967295EEENS1_25partition_config_selectorILNS1_17partition_subalgoE3EjNS0_10empty_typeEbEEZZNS1_14partition_implILS8_3ELb0ES6_jNS0_17counting_iteratorIjlEEPS9_SE_NS0_5tupleIJPjSE_EEENSF_IJSE_SE_EEES9_SG_JZNS1_25segmented_radix_sort_implINS0_14default_configELb0EPKsPsPKlPlN2at6native12_GLOBAL__N_18offset_tEEE10hipError_tPvRmT1_PNSt15iterator_traitsISY_E10value_typeET2_T3_PNSZ_IS14_E10value_typeET4_jRbjT5_S1A_jjP12ihipStream_tbEUljE_EEESV_SW_SX_S14_S18_S1A_T6_T7_T9_mT8_S1C_bDpT10_ENKUlT_T0_E_clISt17integral_constantIbLb1EES1O_IbLb0EEEEDaS1K_S1L_EUlS1K_E_NS1_11comp_targetILNS1_3genE4ELNS1_11target_archE910ELNS1_3gpuE8ELNS1_3repE0EEENS1_30default_config_static_selectorELNS0_4arch9wavefront6targetE1EEEvSY_
; %bb.0:
	s_load_dwordx2 s[26:27], s[4:5], 0x58
	s_load_dwordx4 s[20:23], s[4:5], 0x48
	s_load_dword s13, s[4:5], 0x8
	s_load_dwordx2 s[28:29], s[4:5], 0x10
	s_load_dword s12, s[4:5], 0x70
	s_load_dword s7, s[4:5], 0x88
	s_load_dwordx4 s[8:11], s[4:5], 0x78
	s_waitcnt lgkmcnt(0)
	s_load_dwordx2 s[30:31], s[22:23], 0x0
	v_pk_mov_b32 v[2:3], s[26:27], s[26:27] op_sel:[0,1]
	s_add_i32 s2, s12, -1
	s_mulk_i32 s12, 0xd00
	s_add_u32 s0, s28, s12
	s_addc_u32 s1, s29, 0
	s_cmp_eq_u32 s6, s2
	s_cselect_b64 s[22:23], -1, 0
	s_cmp_lg_u32 s6, s2
	s_mul_i32 s42, s6, 0xd00
	v_cmp_lt_u64_e32 vcc, s[0:1], v[2:3]
	s_cselect_b64 s[0:1], -1, 0
	s_or_b64 s[2:3], s[0:1], vcc
	s_add_i32 s0, s13, s42
	s_add_i32 s0, s0, s28
	v_add_u32_e32 v2, s0, v0
	s_mov_b64 s[0:1], -1
	s_and_b64 vcc, exec, s[2:3]
	v_lshlrev_b32_e32 v1, 2, v0
	s_cbranch_vccz .LBB999_2
; %bb.1:
	v_add_u32_e32 v3, 0x100, v2
	v_add_u32_e32 v4, 0x200, v2
	;; [unrolled: 1-line block ×12, first 2 shown]
	ds_write2st64_b32 v1, v2, v3 offset1:4
	ds_write2st64_b32 v1, v4, v5 offset0:8 offset1:12
	ds_write2st64_b32 v1, v6, v7 offset0:16 offset1:20
	;; [unrolled: 1-line block ×5, first 2 shown]
	ds_write_b32 v1, v14 offset:12288
	s_waitcnt lgkmcnt(0)
	s_barrier
	s_mov_b64 s[0:1], 0
.LBB999_2:
	s_andn2_b64 vcc, exec, s[0:1]
	s_add_i32 s12, s12, s28
	s_cbranch_vccnz .LBB999_4
; %bb.3:
	v_add_u32_e32 v3, 0x100, v2
	v_add_u32_e32 v4, 0x200, v2
	;; [unrolled: 1-line block ×12, first 2 shown]
	ds_write2st64_b32 v1, v2, v3 offset1:4
	ds_write2st64_b32 v1, v4, v5 offset0:8 offset1:12
	ds_write2st64_b32 v1, v6, v7 offset0:16 offset1:20
	;; [unrolled: 1-line block ×5, first 2 shown]
	ds_write_b32 v1, v14 offset:12288
	s_waitcnt lgkmcnt(0)
	s_barrier
.LBB999_4:
	v_mul_u32_u24_e32 v33, 13, v0
	v_lshlrev_b32_e32 v2, 2, v33
	s_waitcnt lgkmcnt(0)
	ds_read2_b32 v[30:31], v2 offset1:1
	ds_read2_b32 v[28:29], v2 offset0:2 offset1:3
	ds_read2_b32 v[26:27], v2 offset0:4 offset1:5
	;; [unrolled: 1-line block ×5, first 2 shown]
	ds_read_b32 v32, v2 offset:48
	v_cndmask_b32_e64 v2, 0, 1, s[2:3]
	s_sub_i32 s33, s26, s12
	v_cmp_ne_u32_e64 s[0:1], 1, v2
	s_andn2_b64 vcc, exec, s[2:3]
	s_waitcnt lgkmcnt(0)
	s_barrier
	s_cbranch_vccnz .LBB999_6
; %bb.5:
	v_add_u32_e32 v2, s9, v30
	v_add_u32_e32 v3, s11, v30
	v_mul_lo_u32 v2, v2, s8
	v_mul_lo_u32 v3, v3, s10
	v_sub_u32_e32 v2, v2, v3
	v_add_u32_e32 v3, s9, v31
	v_add_u32_e32 v4, s11, v31
	v_mul_lo_u32 v3, v3, s8
	v_mul_lo_u32 v4, v4, s10
	v_sub_u32_e32 v3, v3, v4
	;; [unrolled: 5-line block ×6, first 2 shown]
	v_add_u32_e32 v8, s9, v24
	v_add_u32_e32 v9, s11, v24
	v_mul_lo_u32 v8, v8, s8
	v_mul_lo_u32 v9, v9, s10
	v_cmp_lt_u32_e32 vcc, s7, v2
	v_sub_u32_e32 v8, v8, v9
	v_add_u32_e32 v9, s9, v25
	v_add_u32_e32 v10, s11, v25
	v_cndmask_b32_e64 v2, 0, 1, vcc
	v_cmp_lt_u32_e32 vcc, s7, v3
	v_mul_lo_u32 v9, v9, s8
	v_mul_lo_u32 v10, v10, s10
	v_cndmask_b32_e64 v3, 0, 1, vcc
	v_cmp_lt_u32_e32 vcc, s7, v4
	v_sub_u32_e32 v9, v9, v10
	v_add_u32_e32 v10, s9, v22
	v_add_u32_e32 v11, s11, v22
	v_cndmask_b32_e64 v4, 0, 1, vcc
	v_cmp_lt_u32_e32 vcc, s7, v5
	v_mul_lo_u32 v10, v10, s8
	v_mul_lo_u32 v11, v11, s10
	v_cndmask_b32_e64 v5, 0, 1, vcc
	;; [unrolled: 9-line block ×4, first 2 shown]
	v_cmp_lt_u32_e32 vcc, s7, v10
	v_sub_u32_e32 v12, v12, v13
	v_add_u32_e32 v13, s9, v21
	v_add_u32_e32 v14, s11, v21
	v_lshlrev_b16_e32 v3, 8, v3
	v_cndmask_b32_e64 v10, 0, 1, vcc
	v_cmp_lt_u32_e32 vcc, s7, v11
	v_mul_lo_u32 v13, v13, s8
	v_mul_lo_u32 v14, v14, s10
	v_or_b32_e32 v2, v2, v3
	v_lshlrev_b16_e32 v3, 8, v5
	v_cndmask_b32_e64 v11, 0, 1, vcc
	v_cmp_lt_u32_e32 vcc, s7, v12
	v_sub_u32_e32 v13, v13, v14
	v_or_b32_sdwa v3, v4, v3 dst_sel:WORD_1 dst_unused:UNUSED_PAD src0_sel:DWORD src1_sel:DWORD
	v_cndmask_b32_e64 v12, 0, 1, vcc
	v_cmp_lt_u32_e32 vcc, s7, v13
	v_add_u32_e32 v14, s9, v32
	v_add_u32_e32 v15, s11, v32
	v_or_b32_sdwa v37, v2, v3 dst_sel:DWORD dst_unused:UNUSED_PAD src0_sel:WORD_0 src1_sel:DWORD
	v_lshlrev_b16_e32 v2, 8, v7
	v_lshlrev_b16_e32 v3, 8, v9
	v_cndmask_b32_e64 v13, 0, 1, vcc
	v_mul_lo_u32 v14, v14, s8
	v_mul_lo_u32 v15, v15, s10
	v_or_b32_e32 v2, v6, v2
	v_or_b32_sdwa v3, v8, v3 dst_sel:WORD_1 dst_unused:UNUSED_PAD src0_sel:DWORD src1_sel:DWORD
	v_sub_u32_e32 v14, v14, v15
	v_or_b32_sdwa v36, v2, v3 dst_sel:DWORD dst_unused:UNUSED_PAD src0_sel:WORD_0 src1_sel:DWORD
	v_lshlrev_b16_e32 v2, 8, v11
	v_lshlrev_b16_e32 v3, 8, v13
	v_cmp_lt_u32_e32 vcc, s7, v14
	v_or_b32_e32 v2, v10, v2
	v_or_b32_sdwa v3, v12, v3 dst_sel:WORD_1 dst_unused:UNUSED_PAD src0_sel:DWORD src1_sel:DWORD
	v_cndmask_b32_e64 v34, 0, 1, vcc
	v_or_b32_sdwa v35, v2, v3 dst_sel:DWORD dst_unused:UNUSED_PAD src0_sel:WORD_0 src1_sel:DWORD
	s_mov_b64 s[2:3], 0
	s_branch .LBB999_7
.LBB999_6:
	s_mov_b64 s[2:3], -1
                                        ; implicit-def: $vgpr34
                                        ; implicit-def: $vgpr35
                                        ; implicit-def: $vgpr36
                                        ; implicit-def: $vgpr37
.LBB999_7:
	s_load_dwordx2 s[24:25], s[4:5], 0x28
	s_load_dwordx2 s[34:35], s[4:5], 0x68
	s_andn2_b64 vcc, exec, s[2:3]
	s_addk_i32 s33, 0xd00
	s_cbranch_vccnz .LBB999_35
; %bb.8:
	v_cmp_gt_u32_e32 vcc, s33, v33
	v_mov_b32_e32 v3, 0
	v_mov_b32_e32 v2, 0
	s_and_saveexec_b64 s[2:3], vcc
; %bb.9:
	v_add_u32_e32 v2, s9, v30
	v_add_u32_e32 v4, s11, v30
	v_mul_lo_u32 v2, v2, s8
	v_mul_lo_u32 v4, v4, s10
	v_sub_u32_e32 v2, v2, v4
	v_cmp_lt_u32_e32 vcc, s7, v2
	v_cndmask_b32_e64 v2, 0, 1, vcc
; %bb.10:
	s_or_b64 exec, exec, s[2:3]
	v_add_u32_e32 v4, 1, v33
	v_cmp_gt_u32_e32 vcc, s33, v4
	s_and_saveexec_b64 s[2:3], vcc
; %bb.11:
	v_add_u32_e32 v3, s9, v31
	v_add_u32_e32 v4, s11, v31
	v_mul_lo_u32 v3, v3, s8
	v_mul_lo_u32 v4, v4, s10
	v_sub_u32_e32 v3, v3, v4
	v_cmp_lt_u32_e32 vcc, s7, v3
	v_cndmask_b32_e64 v3, 0, 1, vcc
; %bb.12:
	s_or_b64 exec, exec, s[2:3]
	v_add_u32_e32 v4, 2, v33
	v_cmp_gt_u32_e32 vcc, s33, v4
	v_mov_b32_e32 v5, 0
	v_mov_b32_e32 v4, 0
	s_and_saveexec_b64 s[2:3], vcc
; %bb.13:
	v_add_u32_e32 v4, s9, v28
	v_add_u32_e32 v6, s11, v28
	v_mul_lo_u32 v4, v4, s8
	v_mul_lo_u32 v6, v6, s10
	v_sub_u32_e32 v4, v4, v6
	v_cmp_lt_u32_e32 vcc, s7, v4
	v_cndmask_b32_e64 v4, 0, 1, vcc
; %bb.14:
	s_or_b64 exec, exec, s[2:3]
	v_add_u32_e32 v6, 3, v33
	v_cmp_gt_u32_e32 vcc, s33, v6
	s_and_saveexec_b64 s[2:3], vcc
; %bb.15:
	v_add_u32_e32 v5, s9, v29
	v_add_u32_e32 v6, s11, v29
	v_mul_lo_u32 v5, v5, s8
	v_mul_lo_u32 v6, v6, s10
	v_sub_u32_e32 v5, v5, v6
	v_cmp_lt_u32_e32 vcc, s7, v5
	v_cndmask_b32_e64 v5, 0, 1, vcc
; %bb.16:
	s_or_b64 exec, exec, s[2:3]
	v_add_u32_e32 v6, 4, v33
	;; [unrolled: 28-line block ×6, first 2 shown]
	v_cmp_gt_u32_e32 vcc, s33, v14
	v_mov_b32_e32 v34, 0
	s_and_saveexec_b64 s[2:3], vcc
; %bb.33:
	v_add_u32_e32 v14, s9, v32
	v_add_u32_e32 v15, s11, v32
	v_mul_lo_u32 v14, v14, s8
	v_mul_lo_u32 v15, v15, s10
	v_sub_u32_e32 v14, v14, v15
	v_cmp_lt_u32_e32 vcc, s7, v14
	v_cndmask_b32_e64 v34, 0, 1, vcc
; %bb.34:
	s_or_b64 exec, exec, s[2:3]
	v_lshlrev_b16_e32 v3, 8, v3
	v_or_b32_e32 v2, v2, v3
	v_lshlrev_b16_e32 v3, 8, v5
	v_or_b32_sdwa v3, v4, v3 dst_sel:WORD_1 dst_unused:UNUSED_PAD src0_sel:DWORD src1_sel:DWORD
	v_or_b32_sdwa v37, v2, v3 dst_sel:DWORD dst_unused:UNUSED_PAD src0_sel:WORD_0 src1_sel:DWORD
	v_lshlrev_b16_e32 v2, 8, v7
	v_lshlrev_b16_e32 v3, 8, v9
	v_or_b32_e32 v2, v6, v2
	v_or_b32_sdwa v3, v8, v3 dst_sel:WORD_1 dst_unused:UNUSED_PAD src0_sel:DWORD src1_sel:DWORD
	v_or_b32_sdwa v36, v2, v3 dst_sel:DWORD dst_unused:UNUSED_PAD src0_sel:WORD_0 src1_sel:DWORD
	v_lshlrev_b16_e32 v2, 8, v11
	v_lshlrev_b16_e32 v3, 8, v13
	v_or_b32_e32 v2, v10, v2
	v_or_b32_sdwa v3, v12, v3 dst_sel:WORD_1 dst_unused:UNUSED_PAD src0_sel:DWORD src1_sel:DWORD
	v_or_b32_sdwa v35, v2, v3 dst_sel:DWORD dst_unused:UNUSED_PAD src0_sel:WORD_0 src1_sel:DWORD
.LBB999_35:
	v_and_b32_e32 v41, 0xff, v37
	v_bfe_u32 v42, v37, 8, 8
	v_bfe_u32 v43, v37, 16, 8
	v_lshrrev_b32_e32 v40, 24, v37
	v_and_b32_e32 v44, 0xff, v36
	v_add3_u32 v3, v42, v41, v43
	v_bfe_u32 v45, v36, 8, 8
	v_bfe_u32 v46, v36, 16, 8
	v_add3_u32 v3, v3, v40, v44
	v_lshrrev_b32_e32 v39, 24, v36
	v_and_b32_e32 v47, 0xff, v35
	v_add3_u32 v3, v3, v45, v46
	v_bfe_u32 v48, v35, 8, 8
	v_bfe_u32 v49, v35, 16, 8
	v_add3_u32 v3, v3, v39, v47
	v_lshrrev_b32_e32 v38, 24, v35
	v_and_b32_e32 v2, 0xff, v34
	v_add3_u32 v3, v3, v48, v49
	v_add3_u32 v52, v3, v38, v2
	v_mbcnt_lo_u32_b32 v2, -1, 0
	v_mbcnt_hi_u32_b32 v50, -1, v2
	v_and_b32_e32 v2, 15, v50
	v_cmp_eq_u32_e64 s[14:15], 0, v2
	v_cmp_lt_u32_e64 s[12:13], 1, v2
	v_cmp_lt_u32_e64 s[10:11], 3, v2
	;; [unrolled: 1-line block ×3, first 2 shown]
	v_and_b32_e32 v2, 16, v50
	v_cmp_eq_u32_e64 s[18:19], 0, v2
	v_or_b32_e32 v2, 63, v0
	s_cmp_lg_u32 s6, 0
	v_cmp_lt_u32_e64 s[2:3], 31, v50
	v_lshrrev_b32_e32 v51, 6, v0
	v_cmp_eq_u32_e64 s[4:5], v2, v0
	s_cbranch_scc0 .LBB999_66
; %bb.36:
	v_mov_b32_dpp v2, v52 row_shr:1 row_mask:0xf bank_mask:0xf
	v_cndmask_b32_e64 v2, v2, 0, s[14:15]
	v_add_u32_e32 v2, v2, v52
	s_nop 1
	v_mov_b32_dpp v3, v2 row_shr:2 row_mask:0xf bank_mask:0xf
	v_cndmask_b32_e64 v3, 0, v3, s[12:13]
	v_add_u32_e32 v2, v2, v3
	s_nop 1
	v_mov_b32_dpp v3, v2 row_shr:4 row_mask:0xf bank_mask:0xf
	v_cndmask_b32_e64 v3, 0, v3, s[10:11]
	v_add_u32_e32 v2, v2, v3
	s_nop 1
	v_mov_b32_dpp v3, v2 row_shr:8 row_mask:0xf bank_mask:0xf
	v_cndmask_b32_e64 v3, 0, v3, s[8:9]
	v_add_u32_e32 v2, v2, v3
	s_nop 1
	v_mov_b32_dpp v3, v2 row_bcast:15 row_mask:0xf bank_mask:0xf
	v_cndmask_b32_e64 v3, v3, 0, s[18:19]
	v_add_u32_e32 v2, v2, v3
	s_nop 1
	v_mov_b32_dpp v3, v2 row_bcast:31 row_mask:0xf bank_mask:0xf
	v_cndmask_b32_e64 v3, 0, v3, s[2:3]
	v_add_u32_e32 v2, v2, v3
	s_and_saveexec_b64 s[16:17], s[4:5]
	s_cbranch_execz .LBB999_38
; %bb.37:
	v_lshlrev_b32_e32 v3, 2, v51
	ds_write_b32 v3, v2
.LBB999_38:
	s_or_b64 exec, exec, s[16:17]
	v_cmp_gt_u32_e32 vcc, 4, v0
	s_waitcnt lgkmcnt(0)
	s_barrier
	s_and_saveexec_b64 s[16:17], vcc
	s_cbranch_execz .LBB999_40
; %bb.39:
	ds_read_b32 v3, v1
	v_and_b32_e32 v4, 3, v50
	v_cmp_ne_u32_e32 vcc, 0, v4
	s_waitcnt lgkmcnt(0)
	v_mov_b32_dpp v5, v3 row_shr:1 row_mask:0xf bank_mask:0xf
	v_cndmask_b32_e32 v5, 0, v5, vcc
	v_add_u32_e32 v3, v5, v3
	v_cmp_lt_u32_e32 vcc, 1, v4
	s_nop 0
	v_mov_b32_dpp v5, v3 row_shr:2 row_mask:0xf bank_mask:0xf
	v_cndmask_b32_e32 v4, 0, v5, vcc
	v_add_u32_e32 v3, v3, v4
	ds_write_b32 v1, v3
.LBB999_40:
	s_or_b64 exec, exec, s[16:17]
	v_cmp_gt_u32_e32 vcc, 64, v0
	v_cmp_lt_u32_e64 s[16:17], 63, v0
	s_waitcnt lgkmcnt(0)
	s_barrier
	s_waitcnt lgkmcnt(0)
                                        ; implicit-def: $vgpr12
	s_and_saveexec_b64 s[36:37], s[16:17]
	s_cbranch_execz .LBB999_42
; %bb.41:
	v_lshl_add_u32 v3, v51, 2, -4
	ds_read_b32 v12, v3
	s_waitcnt lgkmcnt(0)
	v_add_u32_e32 v2, v12, v2
.LBB999_42:
	s_or_b64 exec, exec, s[36:37]
	v_add_u32_e32 v3, -1, v50
	v_and_b32_e32 v4, 64, v50
	v_cmp_lt_i32_e64 s[16:17], v3, v4
	v_cndmask_b32_e64 v3, v3, v50, s[16:17]
	v_lshlrev_b32_e32 v3, 2, v3
	ds_bpermute_b32 v13, v3, v2
	v_cmp_eq_u32_e64 s[16:17], 0, v50
	s_and_saveexec_b64 s[36:37], vcc
	s_cbranch_execz .LBB999_65
; %bb.43:
	v_mov_b32_e32 v11, 0
	ds_read_b32 v2, v11 offset:12
	s_and_saveexec_b64 s[38:39], s[16:17]
	s_cbranch_execz .LBB999_45
; %bb.44:
	s_add_i32 s40, s6, 64
	s_mov_b32 s41, 0
	s_lshl_b64 s[40:41], s[40:41], 3
	s_add_u32 s40, s34, s40
	v_mov_b32_e32 v3, 1
	s_addc_u32 s41, s35, s41
	s_waitcnt lgkmcnt(0)
	global_store_dwordx2 v11, v[2:3], s[40:41]
.LBB999_45:
	s_or_b64 exec, exec, s[38:39]
	v_xad_u32 v4, v50, -1, s6
	v_add_u32_e32 v10, 64, v4
	v_lshlrev_b64 v[6:7], 3, v[10:11]
	v_mov_b32_e32 v3, s35
	v_add_co_u32_e32 v6, vcc, s34, v6
	v_addc_co_u32_e32 v7, vcc, v3, v7, vcc
	global_load_dwordx2 v[8:9], v[6:7], off glc
	s_waitcnt vmcnt(0)
	v_cmp_eq_u16_sdwa s[40:41], v9, v11 src0_sel:BYTE_0 src1_sel:DWORD
	s_and_saveexec_b64 s[38:39], s[40:41]
	s_cbranch_execz .LBB999_51
; %bb.46:
	s_mov_b32 s7, 1
	s_mov_b64 s[40:41], 0
	v_mov_b32_e32 v3, 0
.LBB999_47:                             ; =>This Loop Header: Depth=1
                                        ;     Child Loop BB999_48 Depth 2
	s_max_u32 s43, s7, 1
.LBB999_48:                             ;   Parent Loop BB999_47 Depth=1
                                        ; =>  This Inner Loop Header: Depth=2
	s_add_i32 s43, s43, -1
	s_cmp_eq_u32 s43, 0
	s_sleep 1
	s_cbranch_scc0 .LBB999_48
; %bb.49:                               ;   in Loop: Header=BB999_47 Depth=1
	global_load_dwordx2 v[8:9], v[6:7], off glc
	s_cmp_lt_u32 s7, 32
	s_cselect_b64 s[44:45], -1, 0
	s_cmp_lg_u64 s[44:45], 0
	s_addc_u32 s7, s7, 0
	s_waitcnt vmcnt(0)
	v_cmp_ne_u16_sdwa s[44:45], v9, v3 src0_sel:BYTE_0 src1_sel:DWORD
	s_or_b64 s[40:41], s[44:45], s[40:41]
	s_andn2_b64 exec, exec, s[40:41]
	s_cbranch_execnz .LBB999_47
; %bb.50:
	s_or_b64 exec, exec, s[40:41]
.LBB999_51:
	s_or_b64 exec, exec, s[38:39]
	v_and_b32_e32 v14, 63, v50
	v_mov_b32_e32 v3, 2
	v_cmp_ne_u32_e32 vcc, 63, v14
	v_cmp_eq_u16_sdwa s[38:39], v9, v3 src0_sel:BYTE_0 src1_sel:DWORD
	v_lshlrev_b64 v[6:7], v50, -1
	v_addc_co_u32_e32 v11, vcc, 0, v50, vcc
	v_and_b32_e32 v5, s39, v7
	v_lshlrev_b32_e32 v15, 2, v11
	v_or_b32_e32 v5, 0x80000000, v5
	ds_bpermute_b32 v11, v15, v8
	v_and_b32_e32 v10, s38, v6
	v_ffbl_b32_e32 v5, v5
	v_add_u32_e32 v5, 32, v5
	v_ffbl_b32_e32 v10, v10
	v_min_u32_e32 v5, v10, v5
	v_cmp_lt_u32_e32 vcc, v14, v5
	s_waitcnt lgkmcnt(0)
	v_cndmask_b32_e32 v10, 0, v11, vcc
	v_cmp_gt_u32_e32 vcc, 62, v14
	v_add_u32_e32 v8, v10, v8
	v_cndmask_b32_e64 v10, 0, 1, vcc
	v_lshlrev_b32_e32 v10, 1, v10
	v_add_lshl_u32 v16, v10, v50, 2
	ds_bpermute_b32 v10, v16, v8
	v_add_u32_e32 v17, 2, v14
	v_cmp_le_u32_e32 vcc, v17, v5
	v_add_u32_e32 v19, 4, v14
	v_add_u32_e32 v54, 8, v14
	s_waitcnt lgkmcnt(0)
	v_cndmask_b32_e32 v10, 0, v10, vcc
	v_cmp_gt_u32_e32 vcc, 60, v14
	v_add_u32_e32 v8, v8, v10
	v_cndmask_b32_e64 v10, 0, 1, vcc
	v_lshlrev_b32_e32 v10, 2, v10
	v_add_lshl_u32 v18, v10, v50, 2
	ds_bpermute_b32 v10, v18, v8
	v_cmp_le_u32_e32 vcc, v19, v5
	v_add_u32_e32 v57, 16, v14
	v_add_u32_e32 v59, 32, v14
	s_waitcnt lgkmcnt(0)
	v_cndmask_b32_e32 v10, 0, v10, vcc
	v_cmp_gt_u32_e32 vcc, 56, v14
	v_add_u32_e32 v8, v8, v10
	v_cndmask_b32_e64 v10, 0, 1, vcc
	v_lshlrev_b32_e32 v10, 3, v10
	v_add_lshl_u32 v53, v10, v50, 2
	ds_bpermute_b32 v10, v53, v8
	v_cmp_le_u32_e32 vcc, v54, v5
	s_waitcnt lgkmcnt(0)
	v_cndmask_b32_e32 v10, 0, v10, vcc
	v_cmp_gt_u32_e32 vcc, 48, v14
	v_add_u32_e32 v8, v8, v10
	v_cndmask_b32_e64 v10, 0, 1, vcc
	v_lshlrev_b32_e32 v10, 4, v10
	v_add_lshl_u32 v56, v10, v50, 2
	ds_bpermute_b32 v10, v56, v8
	v_cmp_le_u32_e32 vcc, v57, v5
	;; [unrolled: 9-line block ×3, first 2 shown]
	s_waitcnt lgkmcnt(0)
	v_cndmask_b32_e32 v5, 0, v10, vcc
	v_add_u32_e32 v8, v8, v5
	v_mov_b32_e32 v5, 0
	s_branch .LBB999_53
.LBB999_52:                             ;   in Loop: Header=BB999_53 Depth=1
	s_or_b64 exec, exec, s[38:39]
	v_cmp_eq_u16_sdwa s[38:39], v9, v3 src0_sel:BYTE_0 src1_sel:DWORD
	v_and_b32_e32 v10, s39, v7
	v_or_b32_e32 v10, 0x80000000, v10
	ds_bpermute_b32 v60, v15, v8
	v_and_b32_e32 v11, s38, v6
	v_ffbl_b32_e32 v10, v10
	v_add_u32_e32 v10, 32, v10
	v_ffbl_b32_e32 v11, v11
	v_min_u32_e32 v10, v11, v10
	v_cmp_lt_u32_e32 vcc, v14, v10
	s_waitcnt lgkmcnt(0)
	v_cndmask_b32_e32 v11, 0, v60, vcc
	v_add_u32_e32 v8, v11, v8
	ds_bpermute_b32 v11, v16, v8
	v_cmp_le_u32_e32 vcc, v17, v10
	v_subrev_u32_e32 v4, 64, v4
	s_waitcnt lgkmcnt(0)
	v_cndmask_b32_e32 v11, 0, v11, vcc
	v_add_u32_e32 v8, v8, v11
	ds_bpermute_b32 v11, v18, v8
	v_cmp_le_u32_e32 vcc, v19, v10
	s_waitcnt lgkmcnt(0)
	v_cndmask_b32_e32 v11, 0, v11, vcc
	v_add_u32_e32 v8, v8, v11
	ds_bpermute_b32 v11, v53, v8
	v_cmp_le_u32_e32 vcc, v54, v10
	;; [unrolled: 5-line block ×4, first 2 shown]
	s_waitcnt lgkmcnt(0)
	v_cndmask_b32_e32 v10, 0, v11, vcc
	v_add3_u32 v8, v10, v55, v8
.LBB999_53:                             ; =>This Loop Header: Depth=1
                                        ;     Child Loop BB999_56 Depth 2
                                        ;       Child Loop BB999_57 Depth 3
	v_cmp_ne_u16_sdwa s[38:39], v9, v3 src0_sel:BYTE_0 src1_sel:DWORD
	v_cndmask_b32_e64 v9, 0, 1, s[38:39]
	;;#ASMSTART
	;;#ASMEND
	v_cmp_ne_u32_e32 vcc, 0, v9
	s_cmp_lg_u64 vcc, exec
	v_mov_b32_e32 v55, v8
	s_cbranch_scc1 .LBB999_60
; %bb.54:                               ;   in Loop: Header=BB999_53 Depth=1
	v_lshlrev_b64 v[8:9], 3, v[4:5]
	v_mov_b32_e32 v11, s35
	v_add_co_u32_e32 v10, vcc, s34, v8
	v_addc_co_u32_e32 v11, vcc, v11, v9, vcc
	global_load_dwordx2 v[8:9], v[10:11], off glc
	s_waitcnt vmcnt(0)
	v_cmp_eq_u16_sdwa s[40:41], v9, v5 src0_sel:BYTE_0 src1_sel:DWORD
	s_and_saveexec_b64 s[38:39], s[40:41]
	s_cbranch_execz .LBB999_52
; %bb.55:                               ;   in Loop: Header=BB999_53 Depth=1
	s_mov_b32 s7, 1
	s_mov_b64 s[40:41], 0
.LBB999_56:                             ;   Parent Loop BB999_53 Depth=1
                                        ; =>  This Loop Header: Depth=2
                                        ;       Child Loop BB999_57 Depth 3
	s_max_u32 s43, s7, 1
.LBB999_57:                             ;   Parent Loop BB999_53 Depth=1
                                        ;     Parent Loop BB999_56 Depth=2
                                        ; =>    This Inner Loop Header: Depth=3
	s_add_i32 s43, s43, -1
	s_cmp_eq_u32 s43, 0
	s_sleep 1
	s_cbranch_scc0 .LBB999_57
; %bb.58:                               ;   in Loop: Header=BB999_56 Depth=2
	global_load_dwordx2 v[8:9], v[10:11], off glc
	s_cmp_lt_u32 s7, 32
	s_cselect_b64 s[44:45], -1, 0
	s_cmp_lg_u64 s[44:45], 0
	s_addc_u32 s7, s7, 0
	s_waitcnt vmcnt(0)
	v_cmp_ne_u16_sdwa s[44:45], v9, v5 src0_sel:BYTE_0 src1_sel:DWORD
	s_or_b64 s[40:41], s[44:45], s[40:41]
	s_andn2_b64 exec, exec, s[40:41]
	s_cbranch_execnz .LBB999_56
; %bb.59:                               ;   in Loop: Header=BB999_53 Depth=1
	s_or_b64 exec, exec, s[40:41]
	s_branch .LBB999_52
.LBB999_60:                             ;   in Loop: Header=BB999_53 Depth=1
                                        ; implicit-def: $vgpr8
                                        ; implicit-def: $vgpr9
	s_cbranch_execz .LBB999_53
; %bb.61:
	s_and_saveexec_b64 s[38:39], s[16:17]
	s_cbranch_execz .LBB999_63
; %bb.62:
	s_add_i32 s6, s6, 64
	s_mov_b32 s7, 0
	s_lshl_b64 s[6:7], s[6:7], 3
	s_add_u32 s6, s34, s6
	v_add_u32_e32 v4, v55, v2
	v_mov_b32_e32 v5, 2
	s_addc_u32 s7, s35, s7
	v_mov_b32_e32 v3, 0
	global_store_dwordx2 v3, v[4:5], s[6:7]
	s_movk_i32 s6, 0x3400
	v_add_u32_e64 v3, s6, 0
	ds_write2_b32 v3, v2, v55 offset1:2
.LBB999_63:
	s_or_b64 exec, exec, s[38:39]
	v_cmp_eq_u32_e32 vcc, 0, v0
	s_and_b64 exec, exec, vcc
	s_cbranch_execz .LBB999_65
; %bb.64:
	v_mov_b32_e32 v2, 0
	ds_write_b32 v2, v55 offset:12
.LBB999_65:
	s_or_b64 exec, exec, s[36:37]
	v_mov_b32_e32 v2, 0
	s_waitcnt lgkmcnt(0)
	s_barrier
	ds_read_b32 v2, v2 offset:12
	v_cndmask_b32_e64 v3, v13, v12, s[16:17]
	v_cmp_ne_u32_e32 vcc, 0, v0
	v_cndmask_b32_e32 v3, 0, v3, vcc
	s_movk_i32 s6, 0x3400
	s_waitcnt lgkmcnt(0)
	v_add_u32_e32 v2, v2, v3
	v_add_u32_e32 v3, v2, v41
	v_add_u32_e32 v4, v3, v42
	v_add_u32_e32 v5, v4, v43
	v_add_u32_e32 v6, v5, v40
	v_add_u32_e32 v7, v6, v44
	v_add_u32_e32 v8, v7, v45
	v_add_u32_e32 v9, v8, v46
	v_add_u32_e64 v12, s6, 0
	v_add_u32_e32 v10, v9, v39
	s_barrier
	ds_read2_b32 v[18:19], v12 offset1:2
	v_add_u32_e32 v11, v10, v47
	v_add_u32_e32 v12, v11, v48
	v_add_u32_e32 v13, v12, v49
	v_add_u32_e32 v14, v13, v38
	s_branch .LBB999_76
.LBB999_66:
                                        ; implicit-def: $vgpr19
                                        ; implicit-def: $vgpr2_vgpr3_vgpr4_vgpr5_vgpr6_vgpr7_vgpr8_vgpr9_vgpr10_vgpr11_vgpr12_vgpr13_vgpr14_vgpr15_vgpr16_vgpr17
	s_cbranch_execz .LBB999_76
; %bb.67:
	s_nop 0
	v_mov_b32_dpp v2, v52 row_shr:1 row_mask:0xf bank_mask:0xf
	v_cndmask_b32_e64 v2, v2, 0, s[14:15]
	v_add_u32_e32 v2, v2, v52
	s_nop 1
	v_mov_b32_dpp v3, v2 row_shr:2 row_mask:0xf bank_mask:0xf
	v_cndmask_b32_e64 v3, 0, v3, s[12:13]
	v_add_u32_e32 v2, v2, v3
	;; [unrolled: 4-line block ×4, first 2 shown]
	s_nop 1
	v_mov_b32_dpp v3, v2 row_bcast:15 row_mask:0xf bank_mask:0xf
	v_cndmask_b32_e64 v3, v3, 0, s[18:19]
	v_add_u32_e32 v2, v2, v3
	s_nop 1
	v_mov_b32_dpp v3, v2 row_bcast:31 row_mask:0xf bank_mask:0xf
	v_cndmask_b32_e64 v3, 0, v3, s[2:3]
	v_add_u32_e32 v2, v2, v3
	s_and_saveexec_b64 s[2:3], s[4:5]
	s_cbranch_execz .LBB999_69
; %bb.68:
	v_lshlrev_b32_e32 v3, 2, v51
	ds_write_b32 v3, v2
.LBB999_69:
	s_or_b64 exec, exec, s[2:3]
	v_cmp_gt_u32_e32 vcc, 4, v0
	s_waitcnt lgkmcnt(0)
	s_barrier
	s_and_saveexec_b64 s[2:3], vcc
	s_cbranch_execz .LBB999_71
; %bb.70:
	ds_read_b32 v3, v1
	v_and_b32_e32 v4, 3, v50
	v_cmp_ne_u32_e32 vcc, 0, v4
	s_waitcnt lgkmcnt(0)
	v_mov_b32_dpp v5, v3 row_shr:1 row_mask:0xf bank_mask:0xf
	v_cndmask_b32_e32 v5, 0, v5, vcc
	v_add_u32_e32 v3, v5, v3
	v_cmp_lt_u32_e32 vcc, 1, v4
	s_nop 0
	v_mov_b32_dpp v5, v3 row_shr:2 row_mask:0xf bank_mask:0xf
	v_cndmask_b32_e32 v4, 0, v5, vcc
	v_add_u32_e32 v3, v3, v4
	ds_write_b32 v1, v3
.LBB999_71:
	s_or_b64 exec, exec, s[2:3]
	v_cmp_lt_u32_e32 vcc, 63, v0
	v_mov_b32_e32 v4, 0
	v_mov_b32_e32 v3, 0
	s_waitcnt lgkmcnt(0)
	s_barrier
	s_and_saveexec_b64 s[2:3], vcc
	s_cbranch_execz .LBB999_73
; %bb.72:
	v_lshl_add_u32 v3, v51, 2, -4
	ds_read_b32 v3, v3
.LBB999_73:
	s_or_b64 exec, exec, s[2:3]
	v_add_u32_e32 v5, -1, v50
	v_and_b32_e32 v6, 64, v50
	v_cmp_lt_i32_e32 vcc, v5, v6
	v_cndmask_b32_e32 v5, v5, v50, vcc
	s_waitcnt lgkmcnt(0)
	v_add_u32_e32 v2, v3, v2
	v_lshlrev_b32_e32 v5, 2, v5
	ds_bpermute_b32 v2, v5, v2
	ds_read_b32 v18, v4 offset:12
	v_cmp_eq_u32_e32 vcc, 0, v0
	s_and_saveexec_b64 s[2:3], vcc
	s_cbranch_execz .LBB999_75
; %bb.74:
	v_mov_b32_e32 v4, 0
	v_mov_b32_e32 v19, 2
	s_waitcnt lgkmcnt(0)
	global_store_dwordx2 v4, v[18:19], s[34:35] offset:512
.LBB999_75:
	s_or_b64 exec, exec, s[2:3]
	v_cmp_eq_u32_e64 s[2:3], 0, v50
	s_waitcnt lgkmcnt(1)
	v_cndmask_b32_e64 v2, v2, v3, s[2:3]
	v_cndmask_b32_e64 v2, v2, 0, vcc
	v_add_u32_e32 v3, v2, v41
	v_add_u32_e32 v4, v3, v42
	v_add_u32_e32 v5, v4, v43
	v_add_u32_e32 v6, v5, v40
	v_add_u32_e32 v7, v6, v44
	v_add_u32_e32 v8, v7, v45
	v_add_u32_e32 v9, v8, v46
	v_add_u32_e32 v10, v9, v39
	v_add_u32_e32 v11, v10, v47
	v_add_u32_e32 v12, v11, v48
	v_add_u32_e32 v13, v12, v49
	v_mov_b32_e32 v19, 0
	v_add_u32_e32 v14, v13, v38
	s_waitcnt lgkmcnt(0)
	s_barrier
.LBB999_76:
	s_waitcnt lgkmcnt(0)
	v_add_u32_e32 v33, v18, v33
	v_sub_u32_e32 v2, v2, v19
	v_and_b32_e32 v42, 1, v37
	v_sub_u32_e32 v41, v33, v2
	v_cmp_eq_u32_e32 vcc, 1, v42
	v_cndmask_b32_e32 v2, v41, v2, vcc
	v_lshlrev_b32_e32 v2, 2, v2
	v_lshrrev_b32_e32 v17, 8, v37
	ds_write_b32 v2, v30
	v_sub_u32_e32 v2, v3, v19
	v_sub_u32_e32 v3, v33, v2
	v_and_b32_e32 v17, 1, v17
	v_add_u32_e32 v3, 1, v3
	v_cmp_eq_u32_e32 vcc, 1, v17
	v_cndmask_b32_e32 v2, v3, v2, vcc
	v_lshlrev_b32_e32 v2, 2, v2
	ds_write_b32 v2, v31
	v_sub_u32_e32 v2, v4, v19
	v_mov_b32_e32 v4, 1
	v_sub_u32_e32 v3, v33, v2
	v_and_b32_sdwa v17, v4, v37 dst_sel:DWORD dst_unused:UNUSED_PAD src0_sel:DWORD src1_sel:WORD_1
	v_add_u32_e32 v3, 2, v3
	v_cmp_eq_u32_e32 vcc, 1, v17
	v_cndmask_b32_e32 v2, v3, v2, vcc
	v_lshlrev_b32_e32 v2, 2, v2
	ds_write_b32 v2, v28
	v_sub_u32_e32 v2, v5, v19
	v_sub_u32_e32 v3, v33, v2
	v_and_b32_e32 v5, 1, v40
	v_add_u32_e32 v3, 3, v3
	v_cmp_eq_u32_e32 vcc, 1, v5
	v_cndmask_b32_e32 v2, v3, v2, vcc
	v_lshlrev_b32_e32 v2, 2, v2
	ds_write_b32 v2, v29
	v_sub_u32_e32 v2, v6, v19
	v_sub_u32_e32 v3, v33, v2
	v_and_b32_e32 v5, 1, v36
	v_add_u32_e32 v3, 4, v3
	v_cmp_eq_u32_e32 vcc, 1, v5
	v_cndmask_b32_e32 v2, v3, v2, vcc
	v_lshlrev_b32_e32 v2, 2, v2
	v_lshrrev_b32_e32 v16, 8, v36
	ds_write_b32 v2, v26
	v_sub_u32_e32 v2, v7, v19
	v_sub_u32_e32 v3, v33, v2
	v_and_b32_e32 v5, 1, v16
	v_add_u32_e32 v3, 5, v3
	v_cmp_eq_u32_e32 vcc, 1, v5
	v_cndmask_b32_e32 v2, v3, v2, vcc
	v_lshlrev_b32_e32 v2, 2, v2
	ds_write_b32 v2, v27
	v_sub_u32_e32 v2, v8, v19
	v_sub_u32_e32 v3, v33, v2
	v_and_b32_sdwa v5, v4, v36 dst_sel:DWORD dst_unused:UNUSED_PAD src0_sel:DWORD src1_sel:WORD_1
	v_add_u32_e32 v3, 6, v3
	v_cmp_eq_u32_e32 vcc, 1, v5
	v_cndmask_b32_e32 v2, v3, v2, vcc
	v_lshlrev_b32_e32 v2, 2, v2
	ds_write_b32 v2, v24
	v_sub_u32_e32 v2, v9, v19
	v_sub_u32_e32 v3, v33, v2
	v_and_b32_e32 v5, 1, v39
	v_add_u32_e32 v3, 7, v3
	v_cmp_eq_u32_e32 vcc, 1, v5
	v_cndmask_b32_e32 v2, v3, v2, vcc
	v_lshlrev_b32_e32 v2, 2, v2
	ds_write_b32 v2, v25
	v_sub_u32_e32 v2, v10, v19
	v_sub_u32_e32 v3, v33, v2
	v_and_b32_e32 v5, 1, v35
	v_add_u32_e32 v3, 8, v3
	v_cmp_eq_u32_e32 vcc, 1, v5
	v_cndmask_b32_e32 v2, v3, v2, vcc
	v_lshlrev_b32_e32 v2, 2, v2
	v_lshrrev_b32_e32 v15, 8, v35
	ds_write_b32 v2, v22
	v_sub_u32_e32 v2, v11, v19
	v_sub_u32_e32 v3, v33, v2
	v_and_b32_e32 v5, 1, v15
	v_add_u32_e32 v3, 9, v3
	v_cmp_eq_u32_e32 vcc, 1, v5
	v_cndmask_b32_e32 v2, v3, v2, vcc
	v_lshlrev_b32_e32 v2, 2, v2
	ds_write_b32 v2, v23
	v_sub_u32_e32 v2, v12, v19
	v_sub_u32_e32 v3, v33, v2
	v_and_b32_sdwa v4, v4, v35 dst_sel:DWORD dst_unused:UNUSED_PAD src0_sel:DWORD src1_sel:WORD_1
	v_add_u32_e32 v3, 10, v3
	v_cmp_eq_u32_e32 vcc, 1, v4
	v_cndmask_b32_e32 v2, v3, v2, vcc
	v_lshlrev_b32_e32 v2, 2, v2
	ds_write_b32 v2, v20
	v_sub_u32_e32 v2, v13, v19
	v_sub_u32_e32 v3, v33, v2
	v_and_b32_e32 v4, 1, v38
	v_add_u32_e32 v3, 11, v3
	v_cmp_eq_u32_e32 vcc, 1, v4
	v_cndmask_b32_e32 v2, v3, v2, vcc
	v_lshlrev_b32_e32 v2, 2, v2
	ds_write_b32 v2, v21
	v_sub_u32_e32 v2, v14, v19
	v_sub_u32_e32 v3, v33, v2
	v_and_b32_e32 v4, 1, v34
	v_add_u32_e32 v3, 12, v3
	v_cmp_eq_u32_e32 vcc, 1, v4
	v_cndmask_b32_e32 v2, v3, v2, vcc
	s_add_u32 s2, s28, s42
	v_lshlrev_b32_e32 v2, 2, v2
	s_addc_u32 s3, s29, 0
	ds_write_b32 v2, v32
	s_waitcnt lgkmcnt(0)
	s_barrier
	ds_read2st64_b32 v[12:13], v1 offset1:4
	ds_read2st64_b32 v[10:11], v1 offset0:8 offset1:12
	ds_read2st64_b32 v[8:9], v1 offset0:16 offset1:20
	;; [unrolled: 1-line block ×5, first 2 shown]
	ds_read_b32 v17, v1 offset:12288
	v_mov_b32_e32 v14, s31
	v_add_co_u32_e32 v1, vcc, s30, v19
	s_sub_u32 s2, s26, s2
	v_addc_co_u32_e32 v16, vcc, 0, v14, vcc
	s_subb_u32 s3, s27, s3
	v_mov_b32_e32 v14, s3
	v_add_co_u32_e32 v15, vcc, s2, v18
	v_addc_co_u32_e32 v14, vcc, 0, v14, vcc
	s_and_b64 vcc, exec, s[0:1]
	v_add_co_u32_e64 v19, s[0:1], v15, v1
	v_or_b32_e32 v32, 0x100, v0
	v_or_b32_e32 v31, 0x200, v0
	;; [unrolled: 1-line block ×12, first 2 shown]
	v_addc_co_u32_e64 v21, s[0:1], v14, v16, s[0:1]
	s_cbranch_vccnz .LBB999_130
; %bb.77:
	v_cmp_ge_u32_e32 vcc, v0, v18
                                        ; implicit-def: $vgpr14_vgpr15
	s_and_saveexec_b64 s[0:1], vcc
	s_xor_b64 s[0:1], exec, s[0:1]
; %bb.78:
	v_not_b32_e32 v14, v0
	v_ashrrev_i32_e32 v15, 31, v14
	v_add_co_u32_e32 v14, vcc, v19, v14
	v_addc_co_u32_e32 v15, vcc, v21, v15, vcc
; %bb.79:
	s_andn2_saveexec_b64 s[0:1], s[0:1]
; %bb.80:
	v_add_co_u32_e32 v14, vcc, v1, v0
	v_addc_co_u32_e32 v15, vcc, 0, v16, vcc
; %bb.81:
	s_or_b64 exec, exec, s[0:1]
	v_lshlrev_b64 v[14:15], 2, v[14:15]
	v_mov_b32_e32 v33, s25
	v_add_co_u32_e32 v14, vcc, s24, v14
	v_addc_co_u32_e32 v15, vcc, v33, v15, vcc
	v_cmp_ge_u32_e32 vcc, v32, v18
	s_waitcnt lgkmcnt(6)
	global_store_dword v[14:15], v12, off
                                        ; implicit-def: $vgpr14_vgpr15
	s_and_saveexec_b64 s[0:1], vcc
	s_xor_b64 s[0:1], exec, s[0:1]
; %bb.82:
	v_xor_b32_e32 v14, 0xfffffeff, v0
	v_ashrrev_i32_e32 v15, 31, v14
	v_add_co_u32_e32 v14, vcc, v19, v14
	v_addc_co_u32_e32 v15, vcc, v21, v15, vcc
; %bb.83:
	s_andn2_saveexec_b64 s[0:1], s[0:1]
; %bb.84:
	v_add_co_u32_e32 v14, vcc, v1, v32
	v_addc_co_u32_e32 v15, vcc, 0, v16, vcc
; %bb.85:
	s_or_b64 exec, exec, s[0:1]
	v_lshlrev_b64 v[14:15], 2, v[14:15]
	v_mov_b32_e32 v33, s25
	v_add_co_u32_e32 v14, vcc, s24, v14
	v_addc_co_u32_e32 v15, vcc, v33, v15, vcc
	v_cmp_ge_u32_e32 vcc, v31, v18
	global_store_dword v[14:15], v13, off
                                        ; implicit-def: $vgpr14_vgpr15
	s_and_saveexec_b64 s[0:1], vcc
	s_xor_b64 s[0:1], exec, s[0:1]
; %bb.86:
	v_xor_b32_e32 v14, 0xfffffdff, v0
	v_ashrrev_i32_e32 v15, 31, v14
	v_add_co_u32_e32 v14, vcc, v19, v14
	v_addc_co_u32_e32 v15, vcc, v21, v15, vcc
; %bb.87:
	s_andn2_saveexec_b64 s[0:1], s[0:1]
; %bb.88:
	v_add_co_u32_e32 v14, vcc, v1, v31
	v_addc_co_u32_e32 v15, vcc, 0, v16, vcc
; %bb.89:
	s_or_b64 exec, exec, s[0:1]
	v_lshlrev_b64 v[14:15], 2, v[14:15]
	v_mov_b32_e32 v33, s25
	v_add_co_u32_e32 v14, vcc, s24, v14
	v_addc_co_u32_e32 v15, vcc, v33, v15, vcc
	v_cmp_ge_u32_e32 vcc, v30, v18
	s_waitcnt lgkmcnt(5)
	global_store_dword v[14:15], v10, off
                                        ; implicit-def: $vgpr14_vgpr15
	s_and_saveexec_b64 s[0:1], vcc
	s_xor_b64 s[0:1], exec, s[0:1]
; %bb.90:
	v_xor_b32_e32 v14, 0xfffffcff, v0
	v_ashrrev_i32_e32 v15, 31, v14
	v_add_co_u32_e32 v14, vcc, v19, v14
	v_addc_co_u32_e32 v15, vcc, v21, v15, vcc
; %bb.91:
	s_andn2_saveexec_b64 s[0:1], s[0:1]
; %bb.92:
	v_add_co_u32_e32 v14, vcc, v1, v30
	v_addc_co_u32_e32 v15, vcc, 0, v16, vcc
; %bb.93:
	s_or_b64 exec, exec, s[0:1]
	v_lshlrev_b64 v[14:15], 2, v[14:15]
	v_mov_b32_e32 v33, s25
	v_add_co_u32_e32 v14, vcc, s24, v14
	v_addc_co_u32_e32 v15, vcc, v33, v15, vcc
	v_cmp_ge_u32_e32 vcc, v29, v18
	global_store_dword v[14:15], v11, off
                                        ; implicit-def: $vgpr14_vgpr15
	s_and_saveexec_b64 s[0:1], vcc
	s_xor_b64 s[0:1], exec, s[0:1]
; %bb.94:
	v_xor_b32_e32 v14, 0xfffffbff, v0
	;; [unrolled: 43-line block ×6, first 2 shown]
	v_ashrrev_i32_e32 v15, 31, v14
	v_add_co_u32_e32 v14, vcc, v19, v14
	v_addc_co_u32_e32 v15, vcc, v21, v15, vcc
; %bb.127:
	s_andn2_saveexec_b64 s[0:1], s[0:1]
; %bb.128:
	v_add_co_u32_e32 v14, vcc, v1, v20
	v_addc_co_u32_e32 v15, vcc, 0, v16, vcc
; %bb.129:
	s_or_b64 exec, exec, s[0:1]
	s_mov_b64 s[0:1], -1
	s_branch .LBB999_210
.LBB999_130:
	s_mov_b64 s[0:1], 0
                                        ; implicit-def: $vgpr14_vgpr15
	s_cbranch_execz .LBB999_210
; %bb.131:
	v_cmp_gt_u32_e32 vcc, s33, v0
	s_and_saveexec_b64 s[2:3], vcc
	s_cbranch_execz .LBB999_167
; %bb.132:
	v_cmp_ge_u32_e32 vcc, v0, v18
                                        ; implicit-def: $vgpr14_vgpr15
	s_and_saveexec_b64 s[4:5], vcc
	s_xor_b64 s[4:5], exec, s[4:5]
; %bb.133:
	v_not_b32_e32 v14, v0
	v_ashrrev_i32_e32 v15, 31, v14
	v_add_co_u32_e32 v14, vcc, v19, v14
	v_addc_co_u32_e32 v15, vcc, v21, v15, vcc
; %bb.134:
	s_andn2_saveexec_b64 s[4:5], s[4:5]
; %bb.135:
	v_add_co_u32_e32 v14, vcc, v1, v0
	v_addc_co_u32_e32 v15, vcc, 0, v16, vcc
; %bb.136:
	s_or_b64 exec, exec, s[4:5]
	v_lshlrev_b64 v[14:15], 2, v[14:15]
	v_mov_b32_e32 v33, s25
	v_add_co_u32_e32 v14, vcc, s24, v14
	v_addc_co_u32_e32 v15, vcc, v33, v15, vcc
	s_waitcnt lgkmcnt(6)
	global_store_dword v[14:15], v12, off
	s_or_b64 exec, exec, s[2:3]
	v_cmp_gt_u32_e32 vcc, s33, v32
	s_and_saveexec_b64 s[2:3], vcc
	s_cbranch_execnz .LBB999_168
.LBB999_137:
	s_or_b64 exec, exec, s[2:3]
	v_cmp_gt_u32_e32 vcc, s33, v31
	s_and_saveexec_b64 s[2:3], vcc
	s_cbranch_execz .LBB999_173
.LBB999_138:
	v_cmp_ge_u32_e32 vcc, v31, v18
                                        ; implicit-def: $vgpr12_vgpr13
	s_and_saveexec_b64 s[4:5], vcc
	s_xor_b64 s[4:5], exec, s[4:5]
	s_cbranch_execz .LBB999_140
; %bb.139:
	s_waitcnt lgkmcnt(6)
	v_xor_b32_e32 v12, 0xfffffdff, v0
	v_ashrrev_i32_e32 v13, 31, v12
	v_add_co_u32_e32 v12, vcc, v19, v12
	v_addc_co_u32_e32 v13, vcc, v21, v13, vcc
                                        ; implicit-def: $vgpr31
.LBB999_140:
	s_andn2_saveexec_b64 s[4:5], s[4:5]
	s_cbranch_execz .LBB999_142
; %bb.141:
	s_waitcnt lgkmcnt(6)
	v_add_co_u32_e32 v12, vcc, v1, v31
	v_addc_co_u32_e32 v13, vcc, 0, v16, vcc
.LBB999_142:
	s_or_b64 exec, exec, s[4:5]
	s_waitcnt lgkmcnt(6)
	v_lshlrev_b64 v[12:13], 2, v[12:13]
	v_mov_b32_e32 v14, s25
	v_add_co_u32_e32 v12, vcc, s24, v12
	v_addc_co_u32_e32 v13, vcc, v14, v13, vcc
	s_waitcnt lgkmcnt(5)
	global_store_dword v[12:13], v10, off
	s_or_b64 exec, exec, s[2:3]
	v_cmp_gt_u32_e32 vcc, s33, v30
	s_and_saveexec_b64 s[2:3], vcc
	s_cbranch_execnz .LBB999_174
.LBB999_143:
	s_or_b64 exec, exec, s[2:3]
	v_cmp_gt_u32_e32 vcc, s33, v29
	s_and_saveexec_b64 s[2:3], vcc
	s_cbranch_execz .LBB999_179
.LBB999_144:
	v_cmp_ge_u32_e32 vcc, v29, v18
                                        ; implicit-def: $vgpr10_vgpr11
	s_and_saveexec_b64 s[4:5], vcc
	s_xor_b64 s[4:5], exec, s[4:5]
	s_cbranch_execz .LBB999_146
; %bb.145:
	s_waitcnt lgkmcnt(5)
	v_xor_b32_e32 v10, 0xfffffbff, v0
	v_ashrrev_i32_e32 v11, 31, v10
	v_add_co_u32_e32 v10, vcc, v19, v10
	v_addc_co_u32_e32 v11, vcc, v21, v11, vcc
                                        ; implicit-def: $vgpr29
.LBB999_146:
	s_andn2_saveexec_b64 s[4:5], s[4:5]
	s_cbranch_execz .LBB999_148
; %bb.147:
	s_waitcnt lgkmcnt(5)
	v_add_co_u32_e32 v10, vcc, v1, v29
	v_addc_co_u32_e32 v11, vcc, 0, v16, vcc
.LBB999_148:
	s_or_b64 exec, exec, s[4:5]
	s_waitcnt lgkmcnt(5)
	v_lshlrev_b64 v[10:11], 2, v[10:11]
	v_mov_b32_e32 v12, s25
	v_add_co_u32_e32 v10, vcc, s24, v10
	v_addc_co_u32_e32 v11, vcc, v12, v11, vcc
	s_waitcnt lgkmcnt(4)
	global_store_dword v[10:11], v8, off
	s_or_b64 exec, exec, s[2:3]
	v_cmp_gt_u32_e32 vcc, s33, v28
	s_and_saveexec_b64 s[2:3], vcc
	s_cbranch_execnz .LBB999_180
.LBB999_149:
	s_or_b64 exec, exec, s[2:3]
	v_cmp_gt_u32_e32 vcc, s33, v27
	s_and_saveexec_b64 s[2:3], vcc
	s_cbranch_execz .LBB999_185
.LBB999_150:
	v_cmp_ge_u32_e32 vcc, v27, v18
                                        ; implicit-def: $vgpr8_vgpr9
	s_and_saveexec_b64 s[4:5], vcc
	s_xor_b64 s[4:5], exec, s[4:5]
	s_cbranch_execz .LBB999_152
; %bb.151:
	s_waitcnt lgkmcnt(4)
	v_xor_b32_e32 v8, 0xfffff9ff, v0
	v_ashrrev_i32_e32 v9, 31, v8
	v_add_co_u32_e32 v8, vcc, v19, v8
	v_addc_co_u32_e32 v9, vcc, v21, v9, vcc
                                        ; implicit-def: $vgpr27
.LBB999_152:
	s_andn2_saveexec_b64 s[4:5], s[4:5]
	s_cbranch_execz .LBB999_154
; %bb.153:
	s_waitcnt lgkmcnt(4)
	v_add_co_u32_e32 v8, vcc, v1, v27
	v_addc_co_u32_e32 v9, vcc, 0, v16, vcc
.LBB999_154:
	s_or_b64 exec, exec, s[4:5]
	s_waitcnt lgkmcnt(4)
	v_lshlrev_b64 v[8:9], 2, v[8:9]
	v_mov_b32_e32 v10, s25
	v_add_co_u32_e32 v8, vcc, s24, v8
	v_addc_co_u32_e32 v9, vcc, v10, v9, vcc
	s_waitcnt lgkmcnt(3)
	global_store_dword v[8:9], v6, off
	s_or_b64 exec, exec, s[2:3]
	v_cmp_gt_u32_e32 vcc, s33, v26
	s_and_saveexec_b64 s[2:3], vcc
	s_cbranch_execnz .LBB999_186
.LBB999_155:
	s_or_b64 exec, exec, s[2:3]
	v_cmp_gt_u32_e32 vcc, s33, v25
	s_and_saveexec_b64 s[2:3], vcc
	s_cbranch_execz .LBB999_191
.LBB999_156:
	v_cmp_ge_u32_e32 vcc, v25, v18
                                        ; implicit-def: $vgpr6_vgpr7
	s_and_saveexec_b64 s[4:5], vcc
	s_xor_b64 s[4:5], exec, s[4:5]
	s_cbranch_execz .LBB999_158
; %bb.157:
	s_waitcnt lgkmcnt(3)
	v_xor_b32_e32 v6, 0xfffff7ff, v0
	v_ashrrev_i32_e32 v7, 31, v6
	v_add_co_u32_e32 v6, vcc, v19, v6
	v_addc_co_u32_e32 v7, vcc, v21, v7, vcc
                                        ; implicit-def: $vgpr25
.LBB999_158:
	s_andn2_saveexec_b64 s[4:5], s[4:5]
	s_cbranch_execz .LBB999_160
; %bb.159:
	s_waitcnt lgkmcnt(3)
	v_add_co_u32_e32 v6, vcc, v1, v25
	v_addc_co_u32_e32 v7, vcc, 0, v16, vcc
.LBB999_160:
	s_or_b64 exec, exec, s[4:5]
	s_waitcnt lgkmcnt(3)
	v_lshlrev_b64 v[6:7], 2, v[6:7]
	v_mov_b32_e32 v8, s25
	v_add_co_u32_e32 v6, vcc, s24, v6
	v_addc_co_u32_e32 v7, vcc, v8, v7, vcc
	s_waitcnt lgkmcnt(2)
	global_store_dword v[6:7], v4, off
	s_or_b64 exec, exec, s[2:3]
	v_cmp_gt_u32_e32 vcc, s33, v24
	s_and_saveexec_b64 s[2:3], vcc
	s_cbranch_execnz .LBB999_192
.LBB999_161:
	s_or_b64 exec, exec, s[2:3]
	v_cmp_gt_u32_e32 vcc, s33, v23
	s_and_saveexec_b64 s[2:3], vcc
	s_cbranch_execz .LBB999_197
.LBB999_162:
	v_cmp_ge_u32_e32 vcc, v23, v18
                                        ; implicit-def: $vgpr4_vgpr5
	s_and_saveexec_b64 s[4:5], vcc
	s_xor_b64 s[4:5], exec, s[4:5]
	s_cbranch_execz .LBB999_164
; %bb.163:
	s_waitcnt lgkmcnt(2)
	v_xor_b32_e32 v4, 0xfffff5ff, v0
	v_ashrrev_i32_e32 v5, 31, v4
	v_add_co_u32_e32 v4, vcc, v19, v4
	v_addc_co_u32_e32 v5, vcc, v21, v5, vcc
                                        ; implicit-def: $vgpr23
.LBB999_164:
	s_andn2_saveexec_b64 s[4:5], s[4:5]
	s_cbranch_execz .LBB999_166
; %bb.165:
	s_waitcnt lgkmcnt(2)
	v_add_co_u32_e32 v4, vcc, v1, v23
	v_addc_co_u32_e32 v5, vcc, 0, v16, vcc
.LBB999_166:
	s_or_b64 exec, exec, s[4:5]
	s_waitcnt lgkmcnt(2)
	v_lshlrev_b64 v[4:5], 2, v[4:5]
	v_mov_b32_e32 v6, s25
	v_add_co_u32_e32 v4, vcc, s24, v4
	v_addc_co_u32_e32 v5, vcc, v6, v5, vcc
	s_waitcnt lgkmcnt(1)
	global_store_dword v[4:5], v2, off
	s_or_b64 exec, exec, s[2:3]
	v_cmp_gt_u32_e32 vcc, s33, v22
	s_and_saveexec_b64 s[2:3], vcc
	s_cbranch_execz .LBB999_203
	s_branch .LBB999_198
.LBB999_167:
	s_or_b64 exec, exec, s[2:3]
	v_cmp_gt_u32_e32 vcc, s33, v32
	s_and_saveexec_b64 s[2:3], vcc
	s_cbranch_execz .LBB999_137
.LBB999_168:
	v_cmp_ge_u32_e32 vcc, v32, v18
                                        ; implicit-def: $vgpr14_vgpr15
	s_and_saveexec_b64 s[4:5], vcc
	s_xor_b64 s[4:5], exec, s[4:5]
	s_cbranch_execz .LBB999_170
; %bb.169:
	s_waitcnt lgkmcnt(6)
	v_xor_b32_e32 v12, 0xfffffeff, v0
	v_ashrrev_i32_e32 v15, 31, v12
	v_add_co_u32_e32 v14, vcc, v19, v12
	v_addc_co_u32_e32 v15, vcc, v21, v15, vcc
                                        ; implicit-def: $vgpr32
.LBB999_170:
	s_andn2_saveexec_b64 s[4:5], s[4:5]
; %bb.171:
	v_add_co_u32_e32 v14, vcc, v1, v32
	v_addc_co_u32_e32 v15, vcc, 0, v16, vcc
; %bb.172:
	s_or_b64 exec, exec, s[4:5]
	v_lshlrev_b64 v[14:15], 2, v[14:15]
	s_waitcnt lgkmcnt(6)
	v_mov_b32_e32 v12, s25
	v_add_co_u32_e32 v14, vcc, s24, v14
	v_addc_co_u32_e32 v15, vcc, v12, v15, vcc
	global_store_dword v[14:15], v13, off
	s_or_b64 exec, exec, s[2:3]
	v_cmp_gt_u32_e32 vcc, s33, v31
	s_and_saveexec_b64 s[2:3], vcc
	s_cbranch_execnz .LBB999_138
.LBB999_173:
	s_or_b64 exec, exec, s[2:3]
	v_cmp_gt_u32_e32 vcc, s33, v30
	s_and_saveexec_b64 s[2:3], vcc
	s_cbranch_execz .LBB999_143
.LBB999_174:
	v_cmp_ge_u32_e32 vcc, v30, v18
                                        ; implicit-def: $vgpr12_vgpr13
	s_and_saveexec_b64 s[4:5], vcc
	s_xor_b64 s[4:5], exec, s[4:5]
	s_cbranch_execz .LBB999_176
; %bb.175:
	s_waitcnt lgkmcnt(5)
	v_xor_b32_e32 v10, 0xfffffcff, v0
	v_ashrrev_i32_e32 v13, 31, v10
	v_add_co_u32_e32 v12, vcc, v19, v10
	v_addc_co_u32_e32 v13, vcc, v21, v13, vcc
                                        ; implicit-def: $vgpr30
.LBB999_176:
	s_andn2_saveexec_b64 s[4:5], s[4:5]
	s_cbranch_execz .LBB999_178
; %bb.177:
	s_waitcnt lgkmcnt(6)
	v_add_co_u32_e32 v12, vcc, v1, v30
	v_addc_co_u32_e32 v13, vcc, 0, v16, vcc
.LBB999_178:
	s_or_b64 exec, exec, s[4:5]
	s_waitcnt lgkmcnt(6)
	v_lshlrev_b64 v[12:13], 2, v[12:13]
	s_waitcnt lgkmcnt(5)
	v_mov_b32_e32 v10, s25
	v_add_co_u32_e32 v12, vcc, s24, v12
	v_addc_co_u32_e32 v13, vcc, v10, v13, vcc
	global_store_dword v[12:13], v11, off
	s_or_b64 exec, exec, s[2:3]
	v_cmp_gt_u32_e32 vcc, s33, v29
	s_and_saveexec_b64 s[2:3], vcc
	s_cbranch_execnz .LBB999_144
.LBB999_179:
	s_or_b64 exec, exec, s[2:3]
	v_cmp_gt_u32_e32 vcc, s33, v28
	s_and_saveexec_b64 s[2:3], vcc
	s_cbranch_execz .LBB999_149
.LBB999_180:
	v_cmp_ge_u32_e32 vcc, v28, v18
                                        ; implicit-def: $vgpr10_vgpr11
	s_and_saveexec_b64 s[4:5], vcc
	s_xor_b64 s[4:5], exec, s[4:5]
	s_cbranch_execz .LBB999_182
; %bb.181:
	s_waitcnt lgkmcnt(4)
	v_xor_b32_e32 v8, 0xfffffaff, v0
	v_ashrrev_i32_e32 v11, 31, v8
	v_add_co_u32_e32 v10, vcc, v19, v8
	v_addc_co_u32_e32 v11, vcc, v21, v11, vcc
                                        ; implicit-def: $vgpr28
.LBB999_182:
	s_andn2_saveexec_b64 s[4:5], s[4:5]
	s_cbranch_execz .LBB999_184
; %bb.183:
	s_waitcnt lgkmcnt(5)
	v_add_co_u32_e32 v10, vcc, v1, v28
	v_addc_co_u32_e32 v11, vcc, 0, v16, vcc
.LBB999_184:
	s_or_b64 exec, exec, s[4:5]
	s_waitcnt lgkmcnt(5)
	v_lshlrev_b64 v[10:11], 2, v[10:11]
	s_waitcnt lgkmcnt(4)
	v_mov_b32_e32 v8, s25
	v_add_co_u32_e32 v10, vcc, s24, v10
	v_addc_co_u32_e32 v11, vcc, v8, v11, vcc
	global_store_dword v[10:11], v9, off
	s_or_b64 exec, exec, s[2:3]
	v_cmp_gt_u32_e32 vcc, s33, v27
	s_and_saveexec_b64 s[2:3], vcc
	s_cbranch_execnz .LBB999_150
.LBB999_185:
	s_or_b64 exec, exec, s[2:3]
	v_cmp_gt_u32_e32 vcc, s33, v26
	s_and_saveexec_b64 s[2:3], vcc
	s_cbranch_execz .LBB999_155
.LBB999_186:
	v_cmp_ge_u32_e32 vcc, v26, v18
                                        ; implicit-def: $vgpr8_vgpr9
	s_and_saveexec_b64 s[4:5], vcc
	s_xor_b64 s[4:5], exec, s[4:5]
	s_cbranch_execz .LBB999_188
; %bb.187:
	s_waitcnt lgkmcnt(3)
	v_xor_b32_e32 v6, 0xfffff8ff, v0
	v_ashrrev_i32_e32 v9, 31, v6
	v_add_co_u32_e32 v8, vcc, v19, v6
	v_addc_co_u32_e32 v9, vcc, v21, v9, vcc
                                        ; implicit-def: $vgpr26
.LBB999_188:
	s_andn2_saveexec_b64 s[4:5], s[4:5]
	s_cbranch_execz .LBB999_190
; %bb.189:
	s_waitcnt lgkmcnt(4)
	v_add_co_u32_e32 v8, vcc, v1, v26
	v_addc_co_u32_e32 v9, vcc, 0, v16, vcc
.LBB999_190:
	s_or_b64 exec, exec, s[4:5]
	s_waitcnt lgkmcnt(4)
	v_lshlrev_b64 v[8:9], 2, v[8:9]
	s_waitcnt lgkmcnt(3)
	v_mov_b32_e32 v6, s25
	v_add_co_u32_e32 v8, vcc, s24, v8
	v_addc_co_u32_e32 v9, vcc, v6, v9, vcc
	global_store_dword v[8:9], v7, off
	s_or_b64 exec, exec, s[2:3]
	v_cmp_gt_u32_e32 vcc, s33, v25
	s_and_saveexec_b64 s[2:3], vcc
	s_cbranch_execnz .LBB999_156
.LBB999_191:
	s_or_b64 exec, exec, s[2:3]
	v_cmp_gt_u32_e32 vcc, s33, v24
	s_and_saveexec_b64 s[2:3], vcc
	s_cbranch_execz .LBB999_161
.LBB999_192:
	v_cmp_ge_u32_e32 vcc, v24, v18
                                        ; implicit-def: $vgpr6_vgpr7
	s_and_saveexec_b64 s[4:5], vcc
	s_xor_b64 s[4:5], exec, s[4:5]
	s_cbranch_execz .LBB999_194
; %bb.193:
	s_waitcnt lgkmcnt(2)
	v_xor_b32_e32 v4, 0xfffff6ff, v0
	v_ashrrev_i32_e32 v7, 31, v4
	v_add_co_u32_e32 v6, vcc, v19, v4
	v_addc_co_u32_e32 v7, vcc, v21, v7, vcc
                                        ; implicit-def: $vgpr24
.LBB999_194:
	s_andn2_saveexec_b64 s[4:5], s[4:5]
	s_cbranch_execz .LBB999_196
; %bb.195:
	s_waitcnt lgkmcnt(3)
	v_add_co_u32_e32 v6, vcc, v1, v24
	v_addc_co_u32_e32 v7, vcc, 0, v16, vcc
.LBB999_196:
	s_or_b64 exec, exec, s[4:5]
	s_waitcnt lgkmcnt(3)
	v_lshlrev_b64 v[6:7], 2, v[6:7]
	s_waitcnt lgkmcnt(2)
	v_mov_b32_e32 v4, s25
	v_add_co_u32_e32 v6, vcc, s24, v6
	v_addc_co_u32_e32 v7, vcc, v4, v7, vcc
	global_store_dword v[6:7], v5, off
	s_or_b64 exec, exec, s[2:3]
	v_cmp_gt_u32_e32 vcc, s33, v23
	s_and_saveexec_b64 s[2:3], vcc
	s_cbranch_execnz .LBB999_162
.LBB999_197:
	s_or_b64 exec, exec, s[2:3]
	v_cmp_gt_u32_e32 vcc, s33, v22
	s_and_saveexec_b64 s[2:3], vcc
	s_cbranch_execz .LBB999_203
.LBB999_198:
	v_cmp_ge_u32_e32 vcc, v22, v18
                                        ; implicit-def: $vgpr4_vgpr5
	s_and_saveexec_b64 s[4:5], vcc
	s_xor_b64 s[4:5], exec, s[4:5]
	s_cbranch_execz .LBB999_200
; %bb.199:
	s_waitcnt lgkmcnt(1)
	v_xor_b32_e32 v2, 0xfffff4ff, v0
	v_ashrrev_i32_e32 v5, 31, v2
	v_add_co_u32_e32 v4, vcc, v19, v2
	v_addc_co_u32_e32 v5, vcc, v21, v5, vcc
                                        ; implicit-def: $vgpr22
.LBB999_200:
	s_andn2_saveexec_b64 s[4:5], s[4:5]
	s_cbranch_execz .LBB999_202
; %bb.201:
	s_waitcnt lgkmcnt(2)
	v_add_co_u32_e32 v4, vcc, v1, v22
	v_addc_co_u32_e32 v5, vcc, 0, v16, vcc
.LBB999_202:
	s_or_b64 exec, exec, s[4:5]
	s_waitcnt lgkmcnt(2)
	v_lshlrev_b64 v[4:5], 2, v[4:5]
	s_waitcnt lgkmcnt(1)
	v_mov_b32_e32 v2, s25
	v_add_co_u32_e32 v4, vcc, s24, v4
	v_addc_co_u32_e32 v5, vcc, v2, v5, vcc
	global_store_dword v[4:5], v3, off
.LBB999_203:
	s_or_b64 exec, exec, s[2:3]
	v_cmp_gt_u32_e32 vcc, s33, v20
                                        ; implicit-def: $vgpr14_vgpr15
	s_and_saveexec_b64 s[2:3], vcc
	s_cbranch_execz .LBB999_209
; %bb.204:
	v_cmp_ge_u32_e32 vcc, v20, v18
                                        ; implicit-def: $vgpr14_vgpr15
	s_and_saveexec_b64 s[4:5], vcc
	s_xor_b64 s[4:5], exec, s[4:5]
	s_cbranch_execz .LBB999_206
; %bb.205:
	s_waitcnt lgkmcnt(1)
	v_xor_b32_e32 v2, 0xfffff3ff, v0
	v_ashrrev_i32_e32 v3, 31, v2
	v_add_co_u32_e32 v14, vcc, v19, v2
	v_addc_co_u32_e32 v15, vcc, v21, v3, vcc
                                        ; implicit-def: $vgpr20
.LBB999_206:
	s_andn2_saveexec_b64 s[4:5], s[4:5]
; %bb.207:
	v_add_co_u32_e32 v14, vcc, v1, v20
	v_addc_co_u32_e32 v15, vcc, 0, v16, vcc
; %bb.208:
	s_or_b64 exec, exec, s[4:5]
	s_or_b64 s[0:1], s[0:1], exec
.LBB999_209:
	s_or_b64 exec, exec, s[2:3]
.LBB999_210:
	s_and_saveexec_b64 s[2:3], s[0:1]
	s_cbranch_execz .LBB999_212
; %bb.211:
	s_waitcnt lgkmcnt(1)
	v_lshlrev_b64 v[2:3], 2, v[14:15]
	v_mov_b32_e32 v4, s25
	v_add_co_u32_e32 v2, vcc, s24, v2
	v_addc_co_u32_e32 v3, vcc, v4, v3, vcc
	s_waitcnt lgkmcnt(0)
	global_store_dword v[2:3], v17, off
.LBB999_212:
	s_or_b64 exec, exec, s[2:3]
	v_cmp_eq_u32_e32 vcc, 0, v0
	s_and_b64 s[0:1], vcc, s[22:23]
	s_and_saveexec_b64 s[2:3], s[0:1]
	s_cbranch_execz .LBB999_214
; %bb.213:
	v_add_co_u32_e32 v0, vcc, v1, v18
	s_waitcnt lgkmcnt(1)
	v_mov_b32_e32 v2, 0
	v_addc_co_u32_e32 v1, vcc, 0, v16, vcc
	global_store_dwordx2 v2, v[0:1], s[20:21]
.LBB999_214:
	s_endpgm
	.section	.rodata,"a",@progbits
	.p2align	6, 0x0
	.amdhsa_kernel _ZN7rocprim17ROCPRIM_400000_NS6detail17trampoline_kernelINS0_13select_configILj256ELj13ELNS0_17block_load_methodE3ELS4_3ELS4_3ELNS0_20block_scan_algorithmE0ELj4294967295EEENS1_25partition_config_selectorILNS1_17partition_subalgoE3EjNS0_10empty_typeEbEEZZNS1_14partition_implILS8_3ELb0ES6_jNS0_17counting_iteratorIjlEEPS9_SE_NS0_5tupleIJPjSE_EEENSF_IJSE_SE_EEES9_SG_JZNS1_25segmented_radix_sort_implINS0_14default_configELb0EPKsPsPKlPlN2at6native12_GLOBAL__N_18offset_tEEE10hipError_tPvRmT1_PNSt15iterator_traitsISY_E10value_typeET2_T3_PNSZ_IS14_E10value_typeET4_jRbjT5_S1A_jjP12ihipStream_tbEUljE_EEESV_SW_SX_S14_S18_S1A_T6_T7_T9_mT8_S1C_bDpT10_ENKUlT_T0_E_clISt17integral_constantIbLb1EES1O_IbLb0EEEEDaS1K_S1L_EUlS1K_E_NS1_11comp_targetILNS1_3genE4ELNS1_11target_archE910ELNS1_3gpuE8ELNS1_3repE0EEENS1_30default_config_static_selectorELNS0_4arch9wavefront6targetE1EEEvSY_
		.amdhsa_group_segment_fixed_size 13324
		.amdhsa_private_segment_fixed_size 0
		.amdhsa_kernarg_size 144
		.amdhsa_user_sgpr_count 6
		.amdhsa_user_sgpr_private_segment_buffer 1
		.amdhsa_user_sgpr_dispatch_ptr 0
		.amdhsa_user_sgpr_queue_ptr 0
		.amdhsa_user_sgpr_kernarg_segment_ptr 1
		.amdhsa_user_sgpr_dispatch_id 0
		.amdhsa_user_sgpr_flat_scratch_init 0
		.amdhsa_user_sgpr_kernarg_preload_length 0
		.amdhsa_user_sgpr_kernarg_preload_offset 0
		.amdhsa_user_sgpr_private_segment_size 0
		.amdhsa_uses_dynamic_stack 0
		.amdhsa_system_sgpr_private_segment_wavefront_offset 0
		.amdhsa_system_sgpr_workgroup_id_x 1
		.amdhsa_system_sgpr_workgroup_id_y 0
		.amdhsa_system_sgpr_workgroup_id_z 0
		.amdhsa_system_sgpr_workgroup_info 0
		.amdhsa_system_vgpr_workitem_id 0
		.amdhsa_next_free_vgpr 61
		.amdhsa_next_free_sgpr 46
		.amdhsa_accum_offset 64
		.amdhsa_reserve_vcc 1
		.amdhsa_reserve_flat_scratch 0
		.amdhsa_float_round_mode_32 0
		.amdhsa_float_round_mode_16_64 0
		.amdhsa_float_denorm_mode_32 3
		.amdhsa_float_denorm_mode_16_64 3
		.amdhsa_dx10_clamp 1
		.amdhsa_ieee_mode 1
		.amdhsa_fp16_overflow 0
		.amdhsa_tg_split 0
		.amdhsa_exception_fp_ieee_invalid_op 0
		.amdhsa_exception_fp_denorm_src 0
		.amdhsa_exception_fp_ieee_div_zero 0
		.amdhsa_exception_fp_ieee_overflow 0
		.amdhsa_exception_fp_ieee_underflow 0
		.amdhsa_exception_fp_ieee_inexact 0
		.amdhsa_exception_int_div_zero 0
	.end_amdhsa_kernel
	.section	.text._ZN7rocprim17ROCPRIM_400000_NS6detail17trampoline_kernelINS0_13select_configILj256ELj13ELNS0_17block_load_methodE3ELS4_3ELS4_3ELNS0_20block_scan_algorithmE0ELj4294967295EEENS1_25partition_config_selectorILNS1_17partition_subalgoE3EjNS0_10empty_typeEbEEZZNS1_14partition_implILS8_3ELb0ES6_jNS0_17counting_iteratorIjlEEPS9_SE_NS0_5tupleIJPjSE_EEENSF_IJSE_SE_EEES9_SG_JZNS1_25segmented_radix_sort_implINS0_14default_configELb0EPKsPsPKlPlN2at6native12_GLOBAL__N_18offset_tEEE10hipError_tPvRmT1_PNSt15iterator_traitsISY_E10value_typeET2_T3_PNSZ_IS14_E10value_typeET4_jRbjT5_S1A_jjP12ihipStream_tbEUljE_EEESV_SW_SX_S14_S18_S1A_T6_T7_T9_mT8_S1C_bDpT10_ENKUlT_T0_E_clISt17integral_constantIbLb1EES1O_IbLb0EEEEDaS1K_S1L_EUlS1K_E_NS1_11comp_targetILNS1_3genE4ELNS1_11target_archE910ELNS1_3gpuE8ELNS1_3repE0EEENS1_30default_config_static_selectorELNS0_4arch9wavefront6targetE1EEEvSY_,"axG",@progbits,_ZN7rocprim17ROCPRIM_400000_NS6detail17trampoline_kernelINS0_13select_configILj256ELj13ELNS0_17block_load_methodE3ELS4_3ELS4_3ELNS0_20block_scan_algorithmE0ELj4294967295EEENS1_25partition_config_selectorILNS1_17partition_subalgoE3EjNS0_10empty_typeEbEEZZNS1_14partition_implILS8_3ELb0ES6_jNS0_17counting_iteratorIjlEEPS9_SE_NS0_5tupleIJPjSE_EEENSF_IJSE_SE_EEES9_SG_JZNS1_25segmented_radix_sort_implINS0_14default_configELb0EPKsPsPKlPlN2at6native12_GLOBAL__N_18offset_tEEE10hipError_tPvRmT1_PNSt15iterator_traitsISY_E10value_typeET2_T3_PNSZ_IS14_E10value_typeET4_jRbjT5_S1A_jjP12ihipStream_tbEUljE_EEESV_SW_SX_S14_S18_S1A_T6_T7_T9_mT8_S1C_bDpT10_ENKUlT_T0_E_clISt17integral_constantIbLb1EES1O_IbLb0EEEEDaS1K_S1L_EUlS1K_E_NS1_11comp_targetILNS1_3genE4ELNS1_11target_archE910ELNS1_3gpuE8ELNS1_3repE0EEENS1_30default_config_static_selectorELNS0_4arch9wavefront6targetE1EEEvSY_,comdat
.Lfunc_end999:
	.size	_ZN7rocprim17ROCPRIM_400000_NS6detail17trampoline_kernelINS0_13select_configILj256ELj13ELNS0_17block_load_methodE3ELS4_3ELS4_3ELNS0_20block_scan_algorithmE0ELj4294967295EEENS1_25partition_config_selectorILNS1_17partition_subalgoE3EjNS0_10empty_typeEbEEZZNS1_14partition_implILS8_3ELb0ES6_jNS0_17counting_iteratorIjlEEPS9_SE_NS0_5tupleIJPjSE_EEENSF_IJSE_SE_EEES9_SG_JZNS1_25segmented_radix_sort_implINS0_14default_configELb0EPKsPsPKlPlN2at6native12_GLOBAL__N_18offset_tEEE10hipError_tPvRmT1_PNSt15iterator_traitsISY_E10value_typeET2_T3_PNSZ_IS14_E10value_typeET4_jRbjT5_S1A_jjP12ihipStream_tbEUljE_EEESV_SW_SX_S14_S18_S1A_T6_T7_T9_mT8_S1C_bDpT10_ENKUlT_T0_E_clISt17integral_constantIbLb1EES1O_IbLb0EEEEDaS1K_S1L_EUlS1K_E_NS1_11comp_targetILNS1_3genE4ELNS1_11target_archE910ELNS1_3gpuE8ELNS1_3repE0EEENS1_30default_config_static_selectorELNS0_4arch9wavefront6targetE1EEEvSY_, .Lfunc_end999-_ZN7rocprim17ROCPRIM_400000_NS6detail17trampoline_kernelINS0_13select_configILj256ELj13ELNS0_17block_load_methodE3ELS4_3ELS4_3ELNS0_20block_scan_algorithmE0ELj4294967295EEENS1_25partition_config_selectorILNS1_17partition_subalgoE3EjNS0_10empty_typeEbEEZZNS1_14partition_implILS8_3ELb0ES6_jNS0_17counting_iteratorIjlEEPS9_SE_NS0_5tupleIJPjSE_EEENSF_IJSE_SE_EEES9_SG_JZNS1_25segmented_radix_sort_implINS0_14default_configELb0EPKsPsPKlPlN2at6native12_GLOBAL__N_18offset_tEEE10hipError_tPvRmT1_PNSt15iterator_traitsISY_E10value_typeET2_T3_PNSZ_IS14_E10value_typeET4_jRbjT5_S1A_jjP12ihipStream_tbEUljE_EEESV_SW_SX_S14_S18_S1A_T6_T7_T9_mT8_S1C_bDpT10_ENKUlT_T0_E_clISt17integral_constantIbLb1EES1O_IbLb0EEEEDaS1K_S1L_EUlS1K_E_NS1_11comp_targetILNS1_3genE4ELNS1_11target_archE910ELNS1_3gpuE8ELNS1_3repE0EEENS1_30default_config_static_selectorELNS0_4arch9wavefront6targetE1EEEvSY_
                                        ; -- End function
	.section	.AMDGPU.csdata,"",@progbits
; Kernel info:
; codeLenInByte = 7756
; NumSgprs: 50
; NumVgprs: 61
; NumAgprs: 0
; TotalNumVgprs: 61
; ScratchSize: 0
; MemoryBound: 0
; FloatMode: 240
; IeeeMode: 1
; LDSByteSize: 13324 bytes/workgroup (compile time only)
; SGPRBlocks: 6
; VGPRBlocks: 7
; NumSGPRsForWavesPerEU: 50
; NumVGPRsForWavesPerEU: 61
; AccumOffset: 64
; Occupancy: 4
; WaveLimiterHint : 0
; COMPUTE_PGM_RSRC2:SCRATCH_EN: 0
; COMPUTE_PGM_RSRC2:USER_SGPR: 6
; COMPUTE_PGM_RSRC2:TRAP_HANDLER: 0
; COMPUTE_PGM_RSRC2:TGID_X_EN: 1
; COMPUTE_PGM_RSRC2:TGID_Y_EN: 0
; COMPUTE_PGM_RSRC2:TGID_Z_EN: 0
; COMPUTE_PGM_RSRC2:TIDIG_COMP_CNT: 0
; COMPUTE_PGM_RSRC3_GFX90A:ACCUM_OFFSET: 15
; COMPUTE_PGM_RSRC3_GFX90A:TG_SPLIT: 0
	.section	.text._ZN7rocprim17ROCPRIM_400000_NS6detail17trampoline_kernelINS0_13select_configILj256ELj13ELNS0_17block_load_methodE3ELS4_3ELS4_3ELNS0_20block_scan_algorithmE0ELj4294967295EEENS1_25partition_config_selectorILNS1_17partition_subalgoE3EjNS0_10empty_typeEbEEZZNS1_14partition_implILS8_3ELb0ES6_jNS0_17counting_iteratorIjlEEPS9_SE_NS0_5tupleIJPjSE_EEENSF_IJSE_SE_EEES9_SG_JZNS1_25segmented_radix_sort_implINS0_14default_configELb0EPKsPsPKlPlN2at6native12_GLOBAL__N_18offset_tEEE10hipError_tPvRmT1_PNSt15iterator_traitsISY_E10value_typeET2_T3_PNSZ_IS14_E10value_typeET4_jRbjT5_S1A_jjP12ihipStream_tbEUljE_EEESV_SW_SX_S14_S18_S1A_T6_T7_T9_mT8_S1C_bDpT10_ENKUlT_T0_E_clISt17integral_constantIbLb1EES1O_IbLb0EEEEDaS1K_S1L_EUlS1K_E_NS1_11comp_targetILNS1_3genE3ELNS1_11target_archE908ELNS1_3gpuE7ELNS1_3repE0EEENS1_30default_config_static_selectorELNS0_4arch9wavefront6targetE1EEEvSY_,"axG",@progbits,_ZN7rocprim17ROCPRIM_400000_NS6detail17trampoline_kernelINS0_13select_configILj256ELj13ELNS0_17block_load_methodE3ELS4_3ELS4_3ELNS0_20block_scan_algorithmE0ELj4294967295EEENS1_25partition_config_selectorILNS1_17partition_subalgoE3EjNS0_10empty_typeEbEEZZNS1_14partition_implILS8_3ELb0ES6_jNS0_17counting_iteratorIjlEEPS9_SE_NS0_5tupleIJPjSE_EEENSF_IJSE_SE_EEES9_SG_JZNS1_25segmented_radix_sort_implINS0_14default_configELb0EPKsPsPKlPlN2at6native12_GLOBAL__N_18offset_tEEE10hipError_tPvRmT1_PNSt15iterator_traitsISY_E10value_typeET2_T3_PNSZ_IS14_E10value_typeET4_jRbjT5_S1A_jjP12ihipStream_tbEUljE_EEESV_SW_SX_S14_S18_S1A_T6_T7_T9_mT8_S1C_bDpT10_ENKUlT_T0_E_clISt17integral_constantIbLb1EES1O_IbLb0EEEEDaS1K_S1L_EUlS1K_E_NS1_11comp_targetILNS1_3genE3ELNS1_11target_archE908ELNS1_3gpuE7ELNS1_3repE0EEENS1_30default_config_static_selectorELNS0_4arch9wavefront6targetE1EEEvSY_,comdat
	.globl	_ZN7rocprim17ROCPRIM_400000_NS6detail17trampoline_kernelINS0_13select_configILj256ELj13ELNS0_17block_load_methodE3ELS4_3ELS4_3ELNS0_20block_scan_algorithmE0ELj4294967295EEENS1_25partition_config_selectorILNS1_17partition_subalgoE3EjNS0_10empty_typeEbEEZZNS1_14partition_implILS8_3ELb0ES6_jNS0_17counting_iteratorIjlEEPS9_SE_NS0_5tupleIJPjSE_EEENSF_IJSE_SE_EEES9_SG_JZNS1_25segmented_radix_sort_implINS0_14default_configELb0EPKsPsPKlPlN2at6native12_GLOBAL__N_18offset_tEEE10hipError_tPvRmT1_PNSt15iterator_traitsISY_E10value_typeET2_T3_PNSZ_IS14_E10value_typeET4_jRbjT5_S1A_jjP12ihipStream_tbEUljE_EEESV_SW_SX_S14_S18_S1A_T6_T7_T9_mT8_S1C_bDpT10_ENKUlT_T0_E_clISt17integral_constantIbLb1EES1O_IbLb0EEEEDaS1K_S1L_EUlS1K_E_NS1_11comp_targetILNS1_3genE3ELNS1_11target_archE908ELNS1_3gpuE7ELNS1_3repE0EEENS1_30default_config_static_selectorELNS0_4arch9wavefront6targetE1EEEvSY_ ; -- Begin function _ZN7rocprim17ROCPRIM_400000_NS6detail17trampoline_kernelINS0_13select_configILj256ELj13ELNS0_17block_load_methodE3ELS4_3ELS4_3ELNS0_20block_scan_algorithmE0ELj4294967295EEENS1_25partition_config_selectorILNS1_17partition_subalgoE3EjNS0_10empty_typeEbEEZZNS1_14partition_implILS8_3ELb0ES6_jNS0_17counting_iteratorIjlEEPS9_SE_NS0_5tupleIJPjSE_EEENSF_IJSE_SE_EEES9_SG_JZNS1_25segmented_radix_sort_implINS0_14default_configELb0EPKsPsPKlPlN2at6native12_GLOBAL__N_18offset_tEEE10hipError_tPvRmT1_PNSt15iterator_traitsISY_E10value_typeET2_T3_PNSZ_IS14_E10value_typeET4_jRbjT5_S1A_jjP12ihipStream_tbEUljE_EEESV_SW_SX_S14_S18_S1A_T6_T7_T9_mT8_S1C_bDpT10_ENKUlT_T0_E_clISt17integral_constantIbLb1EES1O_IbLb0EEEEDaS1K_S1L_EUlS1K_E_NS1_11comp_targetILNS1_3genE3ELNS1_11target_archE908ELNS1_3gpuE7ELNS1_3repE0EEENS1_30default_config_static_selectorELNS0_4arch9wavefront6targetE1EEEvSY_
	.p2align	8
	.type	_ZN7rocprim17ROCPRIM_400000_NS6detail17trampoline_kernelINS0_13select_configILj256ELj13ELNS0_17block_load_methodE3ELS4_3ELS4_3ELNS0_20block_scan_algorithmE0ELj4294967295EEENS1_25partition_config_selectorILNS1_17partition_subalgoE3EjNS0_10empty_typeEbEEZZNS1_14partition_implILS8_3ELb0ES6_jNS0_17counting_iteratorIjlEEPS9_SE_NS0_5tupleIJPjSE_EEENSF_IJSE_SE_EEES9_SG_JZNS1_25segmented_radix_sort_implINS0_14default_configELb0EPKsPsPKlPlN2at6native12_GLOBAL__N_18offset_tEEE10hipError_tPvRmT1_PNSt15iterator_traitsISY_E10value_typeET2_T3_PNSZ_IS14_E10value_typeET4_jRbjT5_S1A_jjP12ihipStream_tbEUljE_EEESV_SW_SX_S14_S18_S1A_T6_T7_T9_mT8_S1C_bDpT10_ENKUlT_T0_E_clISt17integral_constantIbLb1EES1O_IbLb0EEEEDaS1K_S1L_EUlS1K_E_NS1_11comp_targetILNS1_3genE3ELNS1_11target_archE908ELNS1_3gpuE7ELNS1_3repE0EEENS1_30default_config_static_selectorELNS0_4arch9wavefront6targetE1EEEvSY_,@function
_ZN7rocprim17ROCPRIM_400000_NS6detail17trampoline_kernelINS0_13select_configILj256ELj13ELNS0_17block_load_methodE3ELS4_3ELS4_3ELNS0_20block_scan_algorithmE0ELj4294967295EEENS1_25partition_config_selectorILNS1_17partition_subalgoE3EjNS0_10empty_typeEbEEZZNS1_14partition_implILS8_3ELb0ES6_jNS0_17counting_iteratorIjlEEPS9_SE_NS0_5tupleIJPjSE_EEENSF_IJSE_SE_EEES9_SG_JZNS1_25segmented_radix_sort_implINS0_14default_configELb0EPKsPsPKlPlN2at6native12_GLOBAL__N_18offset_tEEE10hipError_tPvRmT1_PNSt15iterator_traitsISY_E10value_typeET2_T3_PNSZ_IS14_E10value_typeET4_jRbjT5_S1A_jjP12ihipStream_tbEUljE_EEESV_SW_SX_S14_S18_S1A_T6_T7_T9_mT8_S1C_bDpT10_ENKUlT_T0_E_clISt17integral_constantIbLb1EES1O_IbLb0EEEEDaS1K_S1L_EUlS1K_E_NS1_11comp_targetILNS1_3genE3ELNS1_11target_archE908ELNS1_3gpuE7ELNS1_3repE0EEENS1_30default_config_static_selectorELNS0_4arch9wavefront6targetE1EEEvSY_: ; @_ZN7rocprim17ROCPRIM_400000_NS6detail17trampoline_kernelINS0_13select_configILj256ELj13ELNS0_17block_load_methodE3ELS4_3ELS4_3ELNS0_20block_scan_algorithmE0ELj4294967295EEENS1_25partition_config_selectorILNS1_17partition_subalgoE3EjNS0_10empty_typeEbEEZZNS1_14partition_implILS8_3ELb0ES6_jNS0_17counting_iteratorIjlEEPS9_SE_NS0_5tupleIJPjSE_EEENSF_IJSE_SE_EEES9_SG_JZNS1_25segmented_radix_sort_implINS0_14default_configELb0EPKsPsPKlPlN2at6native12_GLOBAL__N_18offset_tEEE10hipError_tPvRmT1_PNSt15iterator_traitsISY_E10value_typeET2_T3_PNSZ_IS14_E10value_typeET4_jRbjT5_S1A_jjP12ihipStream_tbEUljE_EEESV_SW_SX_S14_S18_S1A_T6_T7_T9_mT8_S1C_bDpT10_ENKUlT_T0_E_clISt17integral_constantIbLb1EES1O_IbLb0EEEEDaS1K_S1L_EUlS1K_E_NS1_11comp_targetILNS1_3genE3ELNS1_11target_archE908ELNS1_3gpuE7ELNS1_3repE0EEENS1_30default_config_static_selectorELNS0_4arch9wavefront6targetE1EEEvSY_
; %bb.0:
	.section	.rodata,"a",@progbits
	.p2align	6, 0x0
	.amdhsa_kernel _ZN7rocprim17ROCPRIM_400000_NS6detail17trampoline_kernelINS0_13select_configILj256ELj13ELNS0_17block_load_methodE3ELS4_3ELS4_3ELNS0_20block_scan_algorithmE0ELj4294967295EEENS1_25partition_config_selectorILNS1_17partition_subalgoE3EjNS0_10empty_typeEbEEZZNS1_14partition_implILS8_3ELb0ES6_jNS0_17counting_iteratorIjlEEPS9_SE_NS0_5tupleIJPjSE_EEENSF_IJSE_SE_EEES9_SG_JZNS1_25segmented_radix_sort_implINS0_14default_configELb0EPKsPsPKlPlN2at6native12_GLOBAL__N_18offset_tEEE10hipError_tPvRmT1_PNSt15iterator_traitsISY_E10value_typeET2_T3_PNSZ_IS14_E10value_typeET4_jRbjT5_S1A_jjP12ihipStream_tbEUljE_EEESV_SW_SX_S14_S18_S1A_T6_T7_T9_mT8_S1C_bDpT10_ENKUlT_T0_E_clISt17integral_constantIbLb1EES1O_IbLb0EEEEDaS1K_S1L_EUlS1K_E_NS1_11comp_targetILNS1_3genE3ELNS1_11target_archE908ELNS1_3gpuE7ELNS1_3repE0EEENS1_30default_config_static_selectorELNS0_4arch9wavefront6targetE1EEEvSY_
		.amdhsa_group_segment_fixed_size 0
		.amdhsa_private_segment_fixed_size 0
		.amdhsa_kernarg_size 144
		.amdhsa_user_sgpr_count 6
		.amdhsa_user_sgpr_private_segment_buffer 1
		.amdhsa_user_sgpr_dispatch_ptr 0
		.amdhsa_user_sgpr_queue_ptr 0
		.amdhsa_user_sgpr_kernarg_segment_ptr 1
		.amdhsa_user_sgpr_dispatch_id 0
		.amdhsa_user_sgpr_flat_scratch_init 0
		.amdhsa_user_sgpr_kernarg_preload_length 0
		.amdhsa_user_sgpr_kernarg_preload_offset 0
		.amdhsa_user_sgpr_private_segment_size 0
		.amdhsa_uses_dynamic_stack 0
		.amdhsa_system_sgpr_private_segment_wavefront_offset 0
		.amdhsa_system_sgpr_workgroup_id_x 1
		.amdhsa_system_sgpr_workgroup_id_y 0
		.amdhsa_system_sgpr_workgroup_id_z 0
		.amdhsa_system_sgpr_workgroup_info 0
		.amdhsa_system_vgpr_workitem_id 0
		.amdhsa_next_free_vgpr 1
		.amdhsa_next_free_sgpr 0
		.amdhsa_accum_offset 4
		.amdhsa_reserve_vcc 0
		.amdhsa_reserve_flat_scratch 0
		.amdhsa_float_round_mode_32 0
		.amdhsa_float_round_mode_16_64 0
		.amdhsa_float_denorm_mode_32 3
		.amdhsa_float_denorm_mode_16_64 3
		.amdhsa_dx10_clamp 1
		.amdhsa_ieee_mode 1
		.amdhsa_fp16_overflow 0
		.amdhsa_tg_split 0
		.amdhsa_exception_fp_ieee_invalid_op 0
		.amdhsa_exception_fp_denorm_src 0
		.amdhsa_exception_fp_ieee_div_zero 0
		.amdhsa_exception_fp_ieee_overflow 0
		.amdhsa_exception_fp_ieee_underflow 0
		.amdhsa_exception_fp_ieee_inexact 0
		.amdhsa_exception_int_div_zero 0
	.end_amdhsa_kernel
	.section	.text._ZN7rocprim17ROCPRIM_400000_NS6detail17trampoline_kernelINS0_13select_configILj256ELj13ELNS0_17block_load_methodE3ELS4_3ELS4_3ELNS0_20block_scan_algorithmE0ELj4294967295EEENS1_25partition_config_selectorILNS1_17partition_subalgoE3EjNS0_10empty_typeEbEEZZNS1_14partition_implILS8_3ELb0ES6_jNS0_17counting_iteratorIjlEEPS9_SE_NS0_5tupleIJPjSE_EEENSF_IJSE_SE_EEES9_SG_JZNS1_25segmented_radix_sort_implINS0_14default_configELb0EPKsPsPKlPlN2at6native12_GLOBAL__N_18offset_tEEE10hipError_tPvRmT1_PNSt15iterator_traitsISY_E10value_typeET2_T3_PNSZ_IS14_E10value_typeET4_jRbjT5_S1A_jjP12ihipStream_tbEUljE_EEESV_SW_SX_S14_S18_S1A_T6_T7_T9_mT8_S1C_bDpT10_ENKUlT_T0_E_clISt17integral_constantIbLb1EES1O_IbLb0EEEEDaS1K_S1L_EUlS1K_E_NS1_11comp_targetILNS1_3genE3ELNS1_11target_archE908ELNS1_3gpuE7ELNS1_3repE0EEENS1_30default_config_static_selectorELNS0_4arch9wavefront6targetE1EEEvSY_,"axG",@progbits,_ZN7rocprim17ROCPRIM_400000_NS6detail17trampoline_kernelINS0_13select_configILj256ELj13ELNS0_17block_load_methodE3ELS4_3ELS4_3ELNS0_20block_scan_algorithmE0ELj4294967295EEENS1_25partition_config_selectorILNS1_17partition_subalgoE3EjNS0_10empty_typeEbEEZZNS1_14partition_implILS8_3ELb0ES6_jNS0_17counting_iteratorIjlEEPS9_SE_NS0_5tupleIJPjSE_EEENSF_IJSE_SE_EEES9_SG_JZNS1_25segmented_radix_sort_implINS0_14default_configELb0EPKsPsPKlPlN2at6native12_GLOBAL__N_18offset_tEEE10hipError_tPvRmT1_PNSt15iterator_traitsISY_E10value_typeET2_T3_PNSZ_IS14_E10value_typeET4_jRbjT5_S1A_jjP12ihipStream_tbEUljE_EEESV_SW_SX_S14_S18_S1A_T6_T7_T9_mT8_S1C_bDpT10_ENKUlT_T0_E_clISt17integral_constantIbLb1EES1O_IbLb0EEEEDaS1K_S1L_EUlS1K_E_NS1_11comp_targetILNS1_3genE3ELNS1_11target_archE908ELNS1_3gpuE7ELNS1_3repE0EEENS1_30default_config_static_selectorELNS0_4arch9wavefront6targetE1EEEvSY_,comdat
.Lfunc_end1000:
	.size	_ZN7rocprim17ROCPRIM_400000_NS6detail17trampoline_kernelINS0_13select_configILj256ELj13ELNS0_17block_load_methodE3ELS4_3ELS4_3ELNS0_20block_scan_algorithmE0ELj4294967295EEENS1_25partition_config_selectorILNS1_17partition_subalgoE3EjNS0_10empty_typeEbEEZZNS1_14partition_implILS8_3ELb0ES6_jNS0_17counting_iteratorIjlEEPS9_SE_NS0_5tupleIJPjSE_EEENSF_IJSE_SE_EEES9_SG_JZNS1_25segmented_radix_sort_implINS0_14default_configELb0EPKsPsPKlPlN2at6native12_GLOBAL__N_18offset_tEEE10hipError_tPvRmT1_PNSt15iterator_traitsISY_E10value_typeET2_T3_PNSZ_IS14_E10value_typeET4_jRbjT5_S1A_jjP12ihipStream_tbEUljE_EEESV_SW_SX_S14_S18_S1A_T6_T7_T9_mT8_S1C_bDpT10_ENKUlT_T0_E_clISt17integral_constantIbLb1EES1O_IbLb0EEEEDaS1K_S1L_EUlS1K_E_NS1_11comp_targetILNS1_3genE3ELNS1_11target_archE908ELNS1_3gpuE7ELNS1_3repE0EEENS1_30default_config_static_selectorELNS0_4arch9wavefront6targetE1EEEvSY_, .Lfunc_end1000-_ZN7rocprim17ROCPRIM_400000_NS6detail17trampoline_kernelINS0_13select_configILj256ELj13ELNS0_17block_load_methodE3ELS4_3ELS4_3ELNS0_20block_scan_algorithmE0ELj4294967295EEENS1_25partition_config_selectorILNS1_17partition_subalgoE3EjNS0_10empty_typeEbEEZZNS1_14partition_implILS8_3ELb0ES6_jNS0_17counting_iteratorIjlEEPS9_SE_NS0_5tupleIJPjSE_EEENSF_IJSE_SE_EEES9_SG_JZNS1_25segmented_radix_sort_implINS0_14default_configELb0EPKsPsPKlPlN2at6native12_GLOBAL__N_18offset_tEEE10hipError_tPvRmT1_PNSt15iterator_traitsISY_E10value_typeET2_T3_PNSZ_IS14_E10value_typeET4_jRbjT5_S1A_jjP12ihipStream_tbEUljE_EEESV_SW_SX_S14_S18_S1A_T6_T7_T9_mT8_S1C_bDpT10_ENKUlT_T0_E_clISt17integral_constantIbLb1EES1O_IbLb0EEEEDaS1K_S1L_EUlS1K_E_NS1_11comp_targetILNS1_3genE3ELNS1_11target_archE908ELNS1_3gpuE7ELNS1_3repE0EEENS1_30default_config_static_selectorELNS0_4arch9wavefront6targetE1EEEvSY_
                                        ; -- End function
	.section	.AMDGPU.csdata,"",@progbits
; Kernel info:
; codeLenInByte = 0
; NumSgprs: 4
; NumVgprs: 0
; NumAgprs: 0
; TotalNumVgprs: 0
; ScratchSize: 0
; MemoryBound: 0
; FloatMode: 240
; IeeeMode: 1
; LDSByteSize: 0 bytes/workgroup (compile time only)
; SGPRBlocks: 0
; VGPRBlocks: 0
; NumSGPRsForWavesPerEU: 4
; NumVGPRsForWavesPerEU: 1
; AccumOffset: 4
; Occupancy: 8
; WaveLimiterHint : 0
; COMPUTE_PGM_RSRC2:SCRATCH_EN: 0
; COMPUTE_PGM_RSRC2:USER_SGPR: 6
; COMPUTE_PGM_RSRC2:TRAP_HANDLER: 0
; COMPUTE_PGM_RSRC2:TGID_X_EN: 1
; COMPUTE_PGM_RSRC2:TGID_Y_EN: 0
; COMPUTE_PGM_RSRC2:TGID_Z_EN: 0
; COMPUTE_PGM_RSRC2:TIDIG_COMP_CNT: 0
; COMPUTE_PGM_RSRC3_GFX90A:ACCUM_OFFSET: 0
; COMPUTE_PGM_RSRC3_GFX90A:TG_SPLIT: 0
	.section	.text._ZN7rocprim17ROCPRIM_400000_NS6detail17trampoline_kernelINS0_13select_configILj256ELj13ELNS0_17block_load_methodE3ELS4_3ELS4_3ELNS0_20block_scan_algorithmE0ELj4294967295EEENS1_25partition_config_selectorILNS1_17partition_subalgoE3EjNS0_10empty_typeEbEEZZNS1_14partition_implILS8_3ELb0ES6_jNS0_17counting_iteratorIjlEEPS9_SE_NS0_5tupleIJPjSE_EEENSF_IJSE_SE_EEES9_SG_JZNS1_25segmented_radix_sort_implINS0_14default_configELb0EPKsPsPKlPlN2at6native12_GLOBAL__N_18offset_tEEE10hipError_tPvRmT1_PNSt15iterator_traitsISY_E10value_typeET2_T3_PNSZ_IS14_E10value_typeET4_jRbjT5_S1A_jjP12ihipStream_tbEUljE_EEESV_SW_SX_S14_S18_S1A_T6_T7_T9_mT8_S1C_bDpT10_ENKUlT_T0_E_clISt17integral_constantIbLb1EES1O_IbLb0EEEEDaS1K_S1L_EUlS1K_E_NS1_11comp_targetILNS1_3genE2ELNS1_11target_archE906ELNS1_3gpuE6ELNS1_3repE0EEENS1_30default_config_static_selectorELNS0_4arch9wavefront6targetE1EEEvSY_,"axG",@progbits,_ZN7rocprim17ROCPRIM_400000_NS6detail17trampoline_kernelINS0_13select_configILj256ELj13ELNS0_17block_load_methodE3ELS4_3ELS4_3ELNS0_20block_scan_algorithmE0ELj4294967295EEENS1_25partition_config_selectorILNS1_17partition_subalgoE3EjNS0_10empty_typeEbEEZZNS1_14partition_implILS8_3ELb0ES6_jNS0_17counting_iteratorIjlEEPS9_SE_NS0_5tupleIJPjSE_EEENSF_IJSE_SE_EEES9_SG_JZNS1_25segmented_radix_sort_implINS0_14default_configELb0EPKsPsPKlPlN2at6native12_GLOBAL__N_18offset_tEEE10hipError_tPvRmT1_PNSt15iterator_traitsISY_E10value_typeET2_T3_PNSZ_IS14_E10value_typeET4_jRbjT5_S1A_jjP12ihipStream_tbEUljE_EEESV_SW_SX_S14_S18_S1A_T6_T7_T9_mT8_S1C_bDpT10_ENKUlT_T0_E_clISt17integral_constantIbLb1EES1O_IbLb0EEEEDaS1K_S1L_EUlS1K_E_NS1_11comp_targetILNS1_3genE2ELNS1_11target_archE906ELNS1_3gpuE6ELNS1_3repE0EEENS1_30default_config_static_selectorELNS0_4arch9wavefront6targetE1EEEvSY_,comdat
	.globl	_ZN7rocprim17ROCPRIM_400000_NS6detail17trampoline_kernelINS0_13select_configILj256ELj13ELNS0_17block_load_methodE3ELS4_3ELS4_3ELNS0_20block_scan_algorithmE0ELj4294967295EEENS1_25partition_config_selectorILNS1_17partition_subalgoE3EjNS0_10empty_typeEbEEZZNS1_14partition_implILS8_3ELb0ES6_jNS0_17counting_iteratorIjlEEPS9_SE_NS0_5tupleIJPjSE_EEENSF_IJSE_SE_EEES9_SG_JZNS1_25segmented_radix_sort_implINS0_14default_configELb0EPKsPsPKlPlN2at6native12_GLOBAL__N_18offset_tEEE10hipError_tPvRmT1_PNSt15iterator_traitsISY_E10value_typeET2_T3_PNSZ_IS14_E10value_typeET4_jRbjT5_S1A_jjP12ihipStream_tbEUljE_EEESV_SW_SX_S14_S18_S1A_T6_T7_T9_mT8_S1C_bDpT10_ENKUlT_T0_E_clISt17integral_constantIbLb1EES1O_IbLb0EEEEDaS1K_S1L_EUlS1K_E_NS1_11comp_targetILNS1_3genE2ELNS1_11target_archE906ELNS1_3gpuE6ELNS1_3repE0EEENS1_30default_config_static_selectorELNS0_4arch9wavefront6targetE1EEEvSY_ ; -- Begin function _ZN7rocprim17ROCPRIM_400000_NS6detail17trampoline_kernelINS0_13select_configILj256ELj13ELNS0_17block_load_methodE3ELS4_3ELS4_3ELNS0_20block_scan_algorithmE0ELj4294967295EEENS1_25partition_config_selectorILNS1_17partition_subalgoE3EjNS0_10empty_typeEbEEZZNS1_14partition_implILS8_3ELb0ES6_jNS0_17counting_iteratorIjlEEPS9_SE_NS0_5tupleIJPjSE_EEENSF_IJSE_SE_EEES9_SG_JZNS1_25segmented_radix_sort_implINS0_14default_configELb0EPKsPsPKlPlN2at6native12_GLOBAL__N_18offset_tEEE10hipError_tPvRmT1_PNSt15iterator_traitsISY_E10value_typeET2_T3_PNSZ_IS14_E10value_typeET4_jRbjT5_S1A_jjP12ihipStream_tbEUljE_EEESV_SW_SX_S14_S18_S1A_T6_T7_T9_mT8_S1C_bDpT10_ENKUlT_T0_E_clISt17integral_constantIbLb1EES1O_IbLb0EEEEDaS1K_S1L_EUlS1K_E_NS1_11comp_targetILNS1_3genE2ELNS1_11target_archE906ELNS1_3gpuE6ELNS1_3repE0EEENS1_30default_config_static_selectorELNS0_4arch9wavefront6targetE1EEEvSY_
	.p2align	8
	.type	_ZN7rocprim17ROCPRIM_400000_NS6detail17trampoline_kernelINS0_13select_configILj256ELj13ELNS0_17block_load_methodE3ELS4_3ELS4_3ELNS0_20block_scan_algorithmE0ELj4294967295EEENS1_25partition_config_selectorILNS1_17partition_subalgoE3EjNS0_10empty_typeEbEEZZNS1_14partition_implILS8_3ELb0ES6_jNS0_17counting_iteratorIjlEEPS9_SE_NS0_5tupleIJPjSE_EEENSF_IJSE_SE_EEES9_SG_JZNS1_25segmented_radix_sort_implINS0_14default_configELb0EPKsPsPKlPlN2at6native12_GLOBAL__N_18offset_tEEE10hipError_tPvRmT1_PNSt15iterator_traitsISY_E10value_typeET2_T3_PNSZ_IS14_E10value_typeET4_jRbjT5_S1A_jjP12ihipStream_tbEUljE_EEESV_SW_SX_S14_S18_S1A_T6_T7_T9_mT8_S1C_bDpT10_ENKUlT_T0_E_clISt17integral_constantIbLb1EES1O_IbLb0EEEEDaS1K_S1L_EUlS1K_E_NS1_11comp_targetILNS1_3genE2ELNS1_11target_archE906ELNS1_3gpuE6ELNS1_3repE0EEENS1_30default_config_static_selectorELNS0_4arch9wavefront6targetE1EEEvSY_,@function
_ZN7rocprim17ROCPRIM_400000_NS6detail17trampoline_kernelINS0_13select_configILj256ELj13ELNS0_17block_load_methodE3ELS4_3ELS4_3ELNS0_20block_scan_algorithmE0ELj4294967295EEENS1_25partition_config_selectorILNS1_17partition_subalgoE3EjNS0_10empty_typeEbEEZZNS1_14partition_implILS8_3ELb0ES6_jNS0_17counting_iteratorIjlEEPS9_SE_NS0_5tupleIJPjSE_EEENSF_IJSE_SE_EEES9_SG_JZNS1_25segmented_radix_sort_implINS0_14default_configELb0EPKsPsPKlPlN2at6native12_GLOBAL__N_18offset_tEEE10hipError_tPvRmT1_PNSt15iterator_traitsISY_E10value_typeET2_T3_PNSZ_IS14_E10value_typeET4_jRbjT5_S1A_jjP12ihipStream_tbEUljE_EEESV_SW_SX_S14_S18_S1A_T6_T7_T9_mT8_S1C_bDpT10_ENKUlT_T0_E_clISt17integral_constantIbLb1EES1O_IbLb0EEEEDaS1K_S1L_EUlS1K_E_NS1_11comp_targetILNS1_3genE2ELNS1_11target_archE906ELNS1_3gpuE6ELNS1_3repE0EEENS1_30default_config_static_selectorELNS0_4arch9wavefront6targetE1EEEvSY_: ; @_ZN7rocprim17ROCPRIM_400000_NS6detail17trampoline_kernelINS0_13select_configILj256ELj13ELNS0_17block_load_methodE3ELS4_3ELS4_3ELNS0_20block_scan_algorithmE0ELj4294967295EEENS1_25partition_config_selectorILNS1_17partition_subalgoE3EjNS0_10empty_typeEbEEZZNS1_14partition_implILS8_3ELb0ES6_jNS0_17counting_iteratorIjlEEPS9_SE_NS0_5tupleIJPjSE_EEENSF_IJSE_SE_EEES9_SG_JZNS1_25segmented_radix_sort_implINS0_14default_configELb0EPKsPsPKlPlN2at6native12_GLOBAL__N_18offset_tEEE10hipError_tPvRmT1_PNSt15iterator_traitsISY_E10value_typeET2_T3_PNSZ_IS14_E10value_typeET4_jRbjT5_S1A_jjP12ihipStream_tbEUljE_EEESV_SW_SX_S14_S18_S1A_T6_T7_T9_mT8_S1C_bDpT10_ENKUlT_T0_E_clISt17integral_constantIbLb1EES1O_IbLb0EEEEDaS1K_S1L_EUlS1K_E_NS1_11comp_targetILNS1_3genE2ELNS1_11target_archE906ELNS1_3gpuE6ELNS1_3repE0EEENS1_30default_config_static_selectorELNS0_4arch9wavefront6targetE1EEEvSY_
; %bb.0:
	.section	.rodata,"a",@progbits
	.p2align	6, 0x0
	.amdhsa_kernel _ZN7rocprim17ROCPRIM_400000_NS6detail17trampoline_kernelINS0_13select_configILj256ELj13ELNS0_17block_load_methodE3ELS4_3ELS4_3ELNS0_20block_scan_algorithmE0ELj4294967295EEENS1_25partition_config_selectorILNS1_17partition_subalgoE3EjNS0_10empty_typeEbEEZZNS1_14partition_implILS8_3ELb0ES6_jNS0_17counting_iteratorIjlEEPS9_SE_NS0_5tupleIJPjSE_EEENSF_IJSE_SE_EEES9_SG_JZNS1_25segmented_radix_sort_implINS0_14default_configELb0EPKsPsPKlPlN2at6native12_GLOBAL__N_18offset_tEEE10hipError_tPvRmT1_PNSt15iterator_traitsISY_E10value_typeET2_T3_PNSZ_IS14_E10value_typeET4_jRbjT5_S1A_jjP12ihipStream_tbEUljE_EEESV_SW_SX_S14_S18_S1A_T6_T7_T9_mT8_S1C_bDpT10_ENKUlT_T0_E_clISt17integral_constantIbLb1EES1O_IbLb0EEEEDaS1K_S1L_EUlS1K_E_NS1_11comp_targetILNS1_3genE2ELNS1_11target_archE906ELNS1_3gpuE6ELNS1_3repE0EEENS1_30default_config_static_selectorELNS0_4arch9wavefront6targetE1EEEvSY_
		.amdhsa_group_segment_fixed_size 0
		.amdhsa_private_segment_fixed_size 0
		.amdhsa_kernarg_size 144
		.amdhsa_user_sgpr_count 6
		.amdhsa_user_sgpr_private_segment_buffer 1
		.amdhsa_user_sgpr_dispatch_ptr 0
		.amdhsa_user_sgpr_queue_ptr 0
		.amdhsa_user_sgpr_kernarg_segment_ptr 1
		.amdhsa_user_sgpr_dispatch_id 0
		.amdhsa_user_sgpr_flat_scratch_init 0
		.amdhsa_user_sgpr_kernarg_preload_length 0
		.amdhsa_user_sgpr_kernarg_preload_offset 0
		.amdhsa_user_sgpr_private_segment_size 0
		.amdhsa_uses_dynamic_stack 0
		.amdhsa_system_sgpr_private_segment_wavefront_offset 0
		.amdhsa_system_sgpr_workgroup_id_x 1
		.amdhsa_system_sgpr_workgroup_id_y 0
		.amdhsa_system_sgpr_workgroup_id_z 0
		.amdhsa_system_sgpr_workgroup_info 0
		.amdhsa_system_vgpr_workitem_id 0
		.amdhsa_next_free_vgpr 1
		.amdhsa_next_free_sgpr 0
		.amdhsa_accum_offset 4
		.amdhsa_reserve_vcc 0
		.amdhsa_reserve_flat_scratch 0
		.amdhsa_float_round_mode_32 0
		.amdhsa_float_round_mode_16_64 0
		.amdhsa_float_denorm_mode_32 3
		.amdhsa_float_denorm_mode_16_64 3
		.amdhsa_dx10_clamp 1
		.amdhsa_ieee_mode 1
		.amdhsa_fp16_overflow 0
		.amdhsa_tg_split 0
		.amdhsa_exception_fp_ieee_invalid_op 0
		.amdhsa_exception_fp_denorm_src 0
		.amdhsa_exception_fp_ieee_div_zero 0
		.amdhsa_exception_fp_ieee_overflow 0
		.amdhsa_exception_fp_ieee_underflow 0
		.amdhsa_exception_fp_ieee_inexact 0
		.amdhsa_exception_int_div_zero 0
	.end_amdhsa_kernel
	.section	.text._ZN7rocprim17ROCPRIM_400000_NS6detail17trampoline_kernelINS0_13select_configILj256ELj13ELNS0_17block_load_methodE3ELS4_3ELS4_3ELNS0_20block_scan_algorithmE0ELj4294967295EEENS1_25partition_config_selectorILNS1_17partition_subalgoE3EjNS0_10empty_typeEbEEZZNS1_14partition_implILS8_3ELb0ES6_jNS0_17counting_iteratorIjlEEPS9_SE_NS0_5tupleIJPjSE_EEENSF_IJSE_SE_EEES9_SG_JZNS1_25segmented_radix_sort_implINS0_14default_configELb0EPKsPsPKlPlN2at6native12_GLOBAL__N_18offset_tEEE10hipError_tPvRmT1_PNSt15iterator_traitsISY_E10value_typeET2_T3_PNSZ_IS14_E10value_typeET4_jRbjT5_S1A_jjP12ihipStream_tbEUljE_EEESV_SW_SX_S14_S18_S1A_T6_T7_T9_mT8_S1C_bDpT10_ENKUlT_T0_E_clISt17integral_constantIbLb1EES1O_IbLb0EEEEDaS1K_S1L_EUlS1K_E_NS1_11comp_targetILNS1_3genE2ELNS1_11target_archE906ELNS1_3gpuE6ELNS1_3repE0EEENS1_30default_config_static_selectorELNS0_4arch9wavefront6targetE1EEEvSY_,"axG",@progbits,_ZN7rocprim17ROCPRIM_400000_NS6detail17trampoline_kernelINS0_13select_configILj256ELj13ELNS0_17block_load_methodE3ELS4_3ELS4_3ELNS0_20block_scan_algorithmE0ELj4294967295EEENS1_25partition_config_selectorILNS1_17partition_subalgoE3EjNS0_10empty_typeEbEEZZNS1_14partition_implILS8_3ELb0ES6_jNS0_17counting_iteratorIjlEEPS9_SE_NS0_5tupleIJPjSE_EEENSF_IJSE_SE_EEES9_SG_JZNS1_25segmented_radix_sort_implINS0_14default_configELb0EPKsPsPKlPlN2at6native12_GLOBAL__N_18offset_tEEE10hipError_tPvRmT1_PNSt15iterator_traitsISY_E10value_typeET2_T3_PNSZ_IS14_E10value_typeET4_jRbjT5_S1A_jjP12ihipStream_tbEUljE_EEESV_SW_SX_S14_S18_S1A_T6_T7_T9_mT8_S1C_bDpT10_ENKUlT_T0_E_clISt17integral_constantIbLb1EES1O_IbLb0EEEEDaS1K_S1L_EUlS1K_E_NS1_11comp_targetILNS1_3genE2ELNS1_11target_archE906ELNS1_3gpuE6ELNS1_3repE0EEENS1_30default_config_static_selectorELNS0_4arch9wavefront6targetE1EEEvSY_,comdat
.Lfunc_end1001:
	.size	_ZN7rocprim17ROCPRIM_400000_NS6detail17trampoline_kernelINS0_13select_configILj256ELj13ELNS0_17block_load_methodE3ELS4_3ELS4_3ELNS0_20block_scan_algorithmE0ELj4294967295EEENS1_25partition_config_selectorILNS1_17partition_subalgoE3EjNS0_10empty_typeEbEEZZNS1_14partition_implILS8_3ELb0ES6_jNS0_17counting_iteratorIjlEEPS9_SE_NS0_5tupleIJPjSE_EEENSF_IJSE_SE_EEES9_SG_JZNS1_25segmented_radix_sort_implINS0_14default_configELb0EPKsPsPKlPlN2at6native12_GLOBAL__N_18offset_tEEE10hipError_tPvRmT1_PNSt15iterator_traitsISY_E10value_typeET2_T3_PNSZ_IS14_E10value_typeET4_jRbjT5_S1A_jjP12ihipStream_tbEUljE_EEESV_SW_SX_S14_S18_S1A_T6_T7_T9_mT8_S1C_bDpT10_ENKUlT_T0_E_clISt17integral_constantIbLb1EES1O_IbLb0EEEEDaS1K_S1L_EUlS1K_E_NS1_11comp_targetILNS1_3genE2ELNS1_11target_archE906ELNS1_3gpuE6ELNS1_3repE0EEENS1_30default_config_static_selectorELNS0_4arch9wavefront6targetE1EEEvSY_, .Lfunc_end1001-_ZN7rocprim17ROCPRIM_400000_NS6detail17trampoline_kernelINS0_13select_configILj256ELj13ELNS0_17block_load_methodE3ELS4_3ELS4_3ELNS0_20block_scan_algorithmE0ELj4294967295EEENS1_25partition_config_selectorILNS1_17partition_subalgoE3EjNS0_10empty_typeEbEEZZNS1_14partition_implILS8_3ELb0ES6_jNS0_17counting_iteratorIjlEEPS9_SE_NS0_5tupleIJPjSE_EEENSF_IJSE_SE_EEES9_SG_JZNS1_25segmented_radix_sort_implINS0_14default_configELb0EPKsPsPKlPlN2at6native12_GLOBAL__N_18offset_tEEE10hipError_tPvRmT1_PNSt15iterator_traitsISY_E10value_typeET2_T3_PNSZ_IS14_E10value_typeET4_jRbjT5_S1A_jjP12ihipStream_tbEUljE_EEESV_SW_SX_S14_S18_S1A_T6_T7_T9_mT8_S1C_bDpT10_ENKUlT_T0_E_clISt17integral_constantIbLb1EES1O_IbLb0EEEEDaS1K_S1L_EUlS1K_E_NS1_11comp_targetILNS1_3genE2ELNS1_11target_archE906ELNS1_3gpuE6ELNS1_3repE0EEENS1_30default_config_static_selectorELNS0_4arch9wavefront6targetE1EEEvSY_
                                        ; -- End function
	.section	.AMDGPU.csdata,"",@progbits
; Kernel info:
; codeLenInByte = 0
; NumSgprs: 4
; NumVgprs: 0
; NumAgprs: 0
; TotalNumVgprs: 0
; ScratchSize: 0
; MemoryBound: 0
; FloatMode: 240
; IeeeMode: 1
; LDSByteSize: 0 bytes/workgroup (compile time only)
; SGPRBlocks: 0
; VGPRBlocks: 0
; NumSGPRsForWavesPerEU: 4
; NumVGPRsForWavesPerEU: 1
; AccumOffset: 4
; Occupancy: 8
; WaveLimiterHint : 0
; COMPUTE_PGM_RSRC2:SCRATCH_EN: 0
; COMPUTE_PGM_RSRC2:USER_SGPR: 6
; COMPUTE_PGM_RSRC2:TRAP_HANDLER: 0
; COMPUTE_PGM_RSRC2:TGID_X_EN: 1
; COMPUTE_PGM_RSRC2:TGID_Y_EN: 0
; COMPUTE_PGM_RSRC2:TGID_Z_EN: 0
; COMPUTE_PGM_RSRC2:TIDIG_COMP_CNT: 0
; COMPUTE_PGM_RSRC3_GFX90A:ACCUM_OFFSET: 0
; COMPUTE_PGM_RSRC3_GFX90A:TG_SPLIT: 0
	.section	.text._ZN7rocprim17ROCPRIM_400000_NS6detail17trampoline_kernelINS0_13select_configILj256ELj13ELNS0_17block_load_methodE3ELS4_3ELS4_3ELNS0_20block_scan_algorithmE0ELj4294967295EEENS1_25partition_config_selectorILNS1_17partition_subalgoE3EjNS0_10empty_typeEbEEZZNS1_14partition_implILS8_3ELb0ES6_jNS0_17counting_iteratorIjlEEPS9_SE_NS0_5tupleIJPjSE_EEENSF_IJSE_SE_EEES9_SG_JZNS1_25segmented_radix_sort_implINS0_14default_configELb0EPKsPsPKlPlN2at6native12_GLOBAL__N_18offset_tEEE10hipError_tPvRmT1_PNSt15iterator_traitsISY_E10value_typeET2_T3_PNSZ_IS14_E10value_typeET4_jRbjT5_S1A_jjP12ihipStream_tbEUljE_EEESV_SW_SX_S14_S18_S1A_T6_T7_T9_mT8_S1C_bDpT10_ENKUlT_T0_E_clISt17integral_constantIbLb1EES1O_IbLb0EEEEDaS1K_S1L_EUlS1K_E_NS1_11comp_targetILNS1_3genE10ELNS1_11target_archE1200ELNS1_3gpuE4ELNS1_3repE0EEENS1_30default_config_static_selectorELNS0_4arch9wavefront6targetE1EEEvSY_,"axG",@progbits,_ZN7rocprim17ROCPRIM_400000_NS6detail17trampoline_kernelINS0_13select_configILj256ELj13ELNS0_17block_load_methodE3ELS4_3ELS4_3ELNS0_20block_scan_algorithmE0ELj4294967295EEENS1_25partition_config_selectorILNS1_17partition_subalgoE3EjNS0_10empty_typeEbEEZZNS1_14partition_implILS8_3ELb0ES6_jNS0_17counting_iteratorIjlEEPS9_SE_NS0_5tupleIJPjSE_EEENSF_IJSE_SE_EEES9_SG_JZNS1_25segmented_radix_sort_implINS0_14default_configELb0EPKsPsPKlPlN2at6native12_GLOBAL__N_18offset_tEEE10hipError_tPvRmT1_PNSt15iterator_traitsISY_E10value_typeET2_T3_PNSZ_IS14_E10value_typeET4_jRbjT5_S1A_jjP12ihipStream_tbEUljE_EEESV_SW_SX_S14_S18_S1A_T6_T7_T9_mT8_S1C_bDpT10_ENKUlT_T0_E_clISt17integral_constantIbLb1EES1O_IbLb0EEEEDaS1K_S1L_EUlS1K_E_NS1_11comp_targetILNS1_3genE10ELNS1_11target_archE1200ELNS1_3gpuE4ELNS1_3repE0EEENS1_30default_config_static_selectorELNS0_4arch9wavefront6targetE1EEEvSY_,comdat
	.globl	_ZN7rocprim17ROCPRIM_400000_NS6detail17trampoline_kernelINS0_13select_configILj256ELj13ELNS0_17block_load_methodE3ELS4_3ELS4_3ELNS0_20block_scan_algorithmE0ELj4294967295EEENS1_25partition_config_selectorILNS1_17partition_subalgoE3EjNS0_10empty_typeEbEEZZNS1_14partition_implILS8_3ELb0ES6_jNS0_17counting_iteratorIjlEEPS9_SE_NS0_5tupleIJPjSE_EEENSF_IJSE_SE_EEES9_SG_JZNS1_25segmented_radix_sort_implINS0_14default_configELb0EPKsPsPKlPlN2at6native12_GLOBAL__N_18offset_tEEE10hipError_tPvRmT1_PNSt15iterator_traitsISY_E10value_typeET2_T3_PNSZ_IS14_E10value_typeET4_jRbjT5_S1A_jjP12ihipStream_tbEUljE_EEESV_SW_SX_S14_S18_S1A_T6_T7_T9_mT8_S1C_bDpT10_ENKUlT_T0_E_clISt17integral_constantIbLb1EES1O_IbLb0EEEEDaS1K_S1L_EUlS1K_E_NS1_11comp_targetILNS1_3genE10ELNS1_11target_archE1200ELNS1_3gpuE4ELNS1_3repE0EEENS1_30default_config_static_selectorELNS0_4arch9wavefront6targetE1EEEvSY_ ; -- Begin function _ZN7rocprim17ROCPRIM_400000_NS6detail17trampoline_kernelINS0_13select_configILj256ELj13ELNS0_17block_load_methodE3ELS4_3ELS4_3ELNS0_20block_scan_algorithmE0ELj4294967295EEENS1_25partition_config_selectorILNS1_17partition_subalgoE3EjNS0_10empty_typeEbEEZZNS1_14partition_implILS8_3ELb0ES6_jNS0_17counting_iteratorIjlEEPS9_SE_NS0_5tupleIJPjSE_EEENSF_IJSE_SE_EEES9_SG_JZNS1_25segmented_radix_sort_implINS0_14default_configELb0EPKsPsPKlPlN2at6native12_GLOBAL__N_18offset_tEEE10hipError_tPvRmT1_PNSt15iterator_traitsISY_E10value_typeET2_T3_PNSZ_IS14_E10value_typeET4_jRbjT5_S1A_jjP12ihipStream_tbEUljE_EEESV_SW_SX_S14_S18_S1A_T6_T7_T9_mT8_S1C_bDpT10_ENKUlT_T0_E_clISt17integral_constantIbLb1EES1O_IbLb0EEEEDaS1K_S1L_EUlS1K_E_NS1_11comp_targetILNS1_3genE10ELNS1_11target_archE1200ELNS1_3gpuE4ELNS1_3repE0EEENS1_30default_config_static_selectorELNS0_4arch9wavefront6targetE1EEEvSY_
	.p2align	8
	.type	_ZN7rocprim17ROCPRIM_400000_NS6detail17trampoline_kernelINS0_13select_configILj256ELj13ELNS0_17block_load_methodE3ELS4_3ELS4_3ELNS0_20block_scan_algorithmE0ELj4294967295EEENS1_25partition_config_selectorILNS1_17partition_subalgoE3EjNS0_10empty_typeEbEEZZNS1_14partition_implILS8_3ELb0ES6_jNS0_17counting_iteratorIjlEEPS9_SE_NS0_5tupleIJPjSE_EEENSF_IJSE_SE_EEES9_SG_JZNS1_25segmented_radix_sort_implINS0_14default_configELb0EPKsPsPKlPlN2at6native12_GLOBAL__N_18offset_tEEE10hipError_tPvRmT1_PNSt15iterator_traitsISY_E10value_typeET2_T3_PNSZ_IS14_E10value_typeET4_jRbjT5_S1A_jjP12ihipStream_tbEUljE_EEESV_SW_SX_S14_S18_S1A_T6_T7_T9_mT8_S1C_bDpT10_ENKUlT_T0_E_clISt17integral_constantIbLb1EES1O_IbLb0EEEEDaS1K_S1L_EUlS1K_E_NS1_11comp_targetILNS1_3genE10ELNS1_11target_archE1200ELNS1_3gpuE4ELNS1_3repE0EEENS1_30default_config_static_selectorELNS0_4arch9wavefront6targetE1EEEvSY_,@function
_ZN7rocprim17ROCPRIM_400000_NS6detail17trampoline_kernelINS0_13select_configILj256ELj13ELNS0_17block_load_methodE3ELS4_3ELS4_3ELNS0_20block_scan_algorithmE0ELj4294967295EEENS1_25partition_config_selectorILNS1_17partition_subalgoE3EjNS0_10empty_typeEbEEZZNS1_14partition_implILS8_3ELb0ES6_jNS0_17counting_iteratorIjlEEPS9_SE_NS0_5tupleIJPjSE_EEENSF_IJSE_SE_EEES9_SG_JZNS1_25segmented_radix_sort_implINS0_14default_configELb0EPKsPsPKlPlN2at6native12_GLOBAL__N_18offset_tEEE10hipError_tPvRmT1_PNSt15iterator_traitsISY_E10value_typeET2_T3_PNSZ_IS14_E10value_typeET4_jRbjT5_S1A_jjP12ihipStream_tbEUljE_EEESV_SW_SX_S14_S18_S1A_T6_T7_T9_mT8_S1C_bDpT10_ENKUlT_T0_E_clISt17integral_constantIbLb1EES1O_IbLb0EEEEDaS1K_S1L_EUlS1K_E_NS1_11comp_targetILNS1_3genE10ELNS1_11target_archE1200ELNS1_3gpuE4ELNS1_3repE0EEENS1_30default_config_static_selectorELNS0_4arch9wavefront6targetE1EEEvSY_: ; @_ZN7rocprim17ROCPRIM_400000_NS6detail17trampoline_kernelINS0_13select_configILj256ELj13ELNS0_17block_load_methodE3ELS4_3ELS4_3ELNS0_20block_scan_algorithmE0ELj4294967295EEENS1_25partition_config_selectorILNS1_17partition_subalgoE3EjNS0_10empty_typeEbEEZZNS1_14partition_implILS8_3ELb0ES6_jNS0_17counting_iteratorIjlEEPS9_SE_NS0_5tupleIJPjSE_EEENSF_IJSE_SE_EEES9_SG_JZNS1_25segmented_radix_sort_implINS0_14default_configELb0EPKsPsPKlPlN2at6native12_GLOBAL__N_18offset_tEEE10hipError_tPvRmT1_PNSt15iterator_traitsISY_E10value_typeET2_T3_PNSZ_IS14_E10value_typeET4_jRbjT5_S1A_jjP12ihipStream_tbEUljE_EEESV_SW_SX_S14_S18_S1A_T6_T7_T9_mT8_S1C_bDpT10_ENKUlT_T0_E_clISt17integral_constantIbLb1EES1O_IbLb0EEEEDaS1K_S1L_EUlS1K_E_NS1_11comp_targetILNS1_3genE10ELNS1_11target_archE1200ELNS1_3gpuE4ELNS1_3repE0EEENS1_30default_config_static_selectorELNS0_4arch9wavefront6targetE1EEEvSY_
; %bb.0:
	.section	.rodata,"a",@progbits
	.p2align	6, 0x0
	.amdhsa_kernel _ZN7rocprim17ROCPRIM_400000_NS6detail17trampoline_kernelINS0_13select_configILj256ELj13ELNS0_17block_load_methodE3ELS4_3ELS4_3ELNS0_20block_scan_algorithmE0ELj4294967295EEENS1_25partition_config_selectorILNS1_17partition_subalgoE3EjNS0_10empty_typeEbEEZZNS1_14partition_implILS8_3ELb0ES6_jNS0_17counting_iteratorIjlEEPS9_SE_NS0_5tupleIJPjSE_EEENSF_IJSE_SE_EEES9_SG_JZNS1_25segmented_radix_sort_implINS0_14default_configELb0EPKsPsPKlPlN2at6native12_GLOBAL__N_18offset_tEEE10hipError_tPvRmT1_PNSt15iterator_traitsISY_E10value_typeET2_T3_PNSZ_IS14_E10value_typeET4_jRbjT5_S1A_jjP12ihipStream_tbEUljE_EEESV_SW_SX_S14_S18_S1A_T6_T7_T9_mT8_S1C_bDpT10_ENKUlT_T0_E_clISt17integral_constantIbLb1EES1O_IbLb0EEEEDaS1K_S1L_EUlS1K_E_NS1_11comp_targetILNS1_3genE10ELNS1_11target_archE1200ELNS1_3gpuE4ELNS1_3repE0EEENS1_30default_config_static_selectorELNS0_4arch9wavefront6targetE1EEEvSY_
		.amdhsa_group_segment_fixed_size 0
		.amdhsa_private_segment_fixed_size 0
		.amdhsa_kernarg_size 144
		.amdhsa_user_sgpr_count 6
		.amdhsa_user_sgpr_private_segment_buffer 1
		.amdhsa_user_sgpr_dispatch_ptr 0
		.amdhsa_user_sgpr_queue_ptr 0
		.amdhsa_user_sgpr_kernarg_segment_ptr 1
		.amdhsa_user_sgpr_dispatch_id 0
		.amdhsa_user_sgpr_flat_scratch_init 0
		.amdhsa_user_sgpr_kernarg_preload_length 0
		.amdhsa_user_sgpr_kernarg_preload_offset 0
		.amdhsa_user_sgpr_private_segment_size 0
		.amdhsa_uses_dynamic_stack 0
		.amdhsa_system_sgpr_private_segment_wavefront_offset 0
		.amdhsa_system_sgpr_workgroup_id_x 1
		.amdhsa_system_sgpr_workgroup_id_y 0
		.amdhsa_system_sgpr_workgroup_id_z 0
		.amdhsa_system_sgpr_workgroup_info 0
		.amdhsa_system_vgpr_workitem_id 0
		.amdhsa_next_free_vgpr 1
		.amdhsa_next_free_sgpr 0
		.amdhsa_accum_offset 4
		.amdhsa_reserve_vcc 0
		.amdhsa_reserve_flat_scratch 0
		.amdhsa_float_round_mode_32 0
		.amdhsa_float_round_mode_16_64 0
		.amdhsa_float_denorm_mode_32 3
		.amdhsa_float_denorm_mode_16_64 3
		.amdhsa_dx10_clamp 1
		.amdhsa_ieee_mode 1
		.amdhsa_fp16_overflow 0
		.amdhsa_tg_split 0
		.amdhsa_exception_fp_ieee_invalid_op 0
		.amdhsa_exception_fp_denorm_src 0
		.amdhsa_exception_fp_ieee_div_zero 0
		.amdhsa_exception_fp_ieee_overflow 0
		.amdhsa_exception_fp_ieee_underflow 0
		.amdhsa_exception_fp_ieee_inexact 0
		.amdhsa_exception_int_div_zero 0
	.end_amdhsa_kernel
	.section	.text._ZN7rocprim17ROCPRIM_400000_NS6detail17trampoline_kernelINS0_13select_configILj256ELj13ELNS0_17block_load_methodE3ELS4_3ELS4_3ELNS0_20block_scan_algorithmE0ELj4294967295EEENS1_25partition_config_selectorILNS1_17partition_subalgoE3EjNS0_10empty_typeEbEEZZNS1_14partition_implILS8_3ELb0ES6_jNS0_17counting_iteratorIjlEEPS9_SE_NS0_5tupleIJPjSE_EEENSF_IJSE_SE_EEES9_SG_JZNS1_25segmented_radix_sort_implINS0_14default_configELb0EPKsPsPKlPlN2at6native12_GLOBAL__N_18offset_tEEE10hipError_tPvRmT1_PNSt15iterator_traitsISY_E10value_typeET2_T3_PNSZ_IS14_E10value_typeET4_jRbjT5_S1A_jjP12ihipStream_tbEUljE_EEESV_SW_SX_S14_S18_S1A_T6_T7_T9_mT8_S1C_bDpT10_ENKUlT_T0_E_clISt17integral_constantIbLb1EES1O_IbLb0EEEEDaS1K_S1L_EUlS1K_E_NS1_11comp_targetILNS1_3genE10ELNS1_11target_archE1200ELNS1_3gpuE4ELNS1_3repE0EEENS1_30default_config_static_selectorELNS0_4arch9wavefront6targetE1EEEvSY_,"axG",@progbits,_ZN7rocprim17ROCPRIM_400000_NS6detail17trampoline_kernelINS0_13select_configILj256ELj13ELNS0_17block_load_methodE3ELS4_3ELS4_3ELNS0_20block_scan_algorithmE0ELj4294967295EEENS1_25partition_config_selectorILNS1_17partition_subalgoE3EjNS0_10empty_typeEbEEZZNS1_14partition_implILS8_3ELb0ES6_jNS0_17counting_iteratorIjlEEPS9_SE_NS0_5tupleIJPjSE_EEENSF_IJSE_SE_EEES9_SG_JZNS1_25segmented_radix_sort_implINS0_14default_configELb0EPKsPsPKlPlN2at6native12_GLOBAL__N_18offset_tEEE10hipError_tPvRmT1_PNSt15iterator_traitsISY_E10value_typeET2_T3_PNSZ_IS14_E10value_typeET4_jRbjT5_S1A_jjP12ihipStream_tbEUljE_EEESV_SW_SX_S14_S18_S1A_T6_T7_T9_mT8_S1C_bDpT10_ENKUlT_T0_E_clISt17integral_constantIbLb1EES1O_IbLb0EEEEDaS1K_S1L_EUlS1K_E_NS1_11comp_targetILNS1_3genE10ELNS1_11target_archE1200ELNS1_3gpuE4ELNS1_3repE0EEENS1_30default_config_static_selectorELNS0_4arch9wavefront6targetE1EEEvSY_,comdat
.Lfunc_end1002:
	.size	_ZN7rocprim17ROCPRIM_400000_NS6detail17trampoline_kernelINS0_13select_configILj256ELj13ELNS0_17block_load_methodE3ELS4_3ELS4_3ELNS0_20block_scan_algorithmE0ELj4294967295EEENS1_25partition_config_selectorILNS1_17partition_subalgoE3EjNS0_10empty_typeEbEEZZNS1_14partition_implILS8_3ELb0ES6_jNS0_17counting_iteratorIjlEEPS9_SE_NS0_5tupleIJPjSE_EEENSF_IJSE_SE_EEES9_SG_JZNS1_25segmented_radix_sort_implINS0_14default_configELb0EPKsPsPKlPlN2at6native12_GLOBAL__N_18offset_tEEE10hipError_tPvRmT1_PNSt15iterator_traitsISY_E10value_typeET2_T3_PNSZ_IS14_E10value_typeET4_jRbjT5_S1A_jjP12ihipStream_tbEUljE_EEESV_SW_SX_S14_S18_S1A_T6_T7_T9_mT8_S1C_bDpT10_ENKUlT_T0_E_clISt17integral_constantIbLb1EES1O_IbLb0EEEEDaS1K_S1L_EUlS1K_E_NS1_11comp_targetILNS1_3genE10ELNS1_11target_archE1200ELNS1_3gpuE4ELNS1_3repE0EEENS1_30default_config_static_selectorELNS0_4arch9wavefront6targetE1EEEvSY_, .Lfunc_end1002-_ZN7rocprim17ROCPRIM_400000_NS6detail17trampoline_kernelINS0_13select_configILj256ELj13ELNS0_17block_load_methodE3ELS4_3ELS4_3ELNS0_20block_scan_algorithmE0ELj4294967295EEENS1_25partition_config_selectorILNS1_17partition_subalgoE3EjNS0_10empty_typeEbEEZZNS1_14partition_implILS8_3ELb0ES6_jNS0_17counting_iteratorIjlEEPS9_SE_NS0_5tupleIJPjSE_EEENSF_IJSE_SE_EEES9_SG_JZNS1_25segmented_radix_sort_implINS0_14default_configELb0EPKsPsPKlPlN2at6native12_GLOBAL__N_18offset_tEEE10hipError_tPvRmT1_PNSt15iterator_traitsISY_E10value_typeET2_T3_PNSZ_IS14_E10value_typeET4_jRbjT5_S1A_jjP12ihipStream_tbEUljE_EEESV_SW_SX_S14_S18_S1A_T6_T7_T9_mT8_S1C_bDpT10_ENKUlT_T0_E_clISt17integral_constantIbLb1EES1O_IbLb0EEEEDaS1K_S1L_EUlS1K_E_NS1_11comp_targetILNS1_3genE10ELNS1_11target_archE1200ELNS1_3gpuE4ELNS1_3repE0EEENS1_30default_config_static_selectorELNS0_4arch9wavefront6targetE1EEEvSY_
                                        ; -- End function
	.section	.AMDGPU.csdata,"",@progbits
; Kernel info:
; codeLenInByte = 0
; NumSgprs: 4
; NumVgprs: 0
; NumAgprs: 0
; TotalNumVgprs: 0
; ScratchSize: 0
; MemoryBound: 0
; FloatMode: 240
; IeeeMode: 1
; LDSByteSize: 0 bytes/workgroup (compile time only)
; SGPRBlocks: 0
; VGPRBlocks: 0
; NumSGPRsForWavesPerEU: 4
; NumVGPRsForWavesPerEU: 1
; AccumOffset: 4
; Occupancy: 8
; WaveLimiterHint : 0
; COMPUTE_PGM_RSRC2:SCRATCH_EN: 0
; COMPUTE_PGM_RSRC2:USER_SGPR: 6
; COMPUTE_PGM_RSRC2:TRAP_HANDLER: 0
; COMPUTE_PGM_RSRC2:TGID_X_EN: 1
; COMPUTE_PGM_RSRC2:TGID_Y_EN: 0
; COMPUTE_PGM_RSRC2:TGID_Z_EN: 0
; COMPUTE_PGM_RSRC2:TIDIG_COMP_CNT: 0
; COMPUTE_PGM_RSRC3_GFX90A:ACCUM_OFFSET: 0
; COMPUTE_PGM_RSRC3_GFX90A:TG_SPLIT: 0
	.section	.text._ZN7rocprim17ROCPRIM_400000_NS6detail17trampoline_kernelINS0_13select_configILj256ELj13ELNS0_17block_load_methodE3ELS4_3ELS4_3ELNS0_20block_scan_algorithmE0ELj4294967295EEENS1_25partition_config_selectorILNS1_17partition_subalgoE3EjNS0_10empty_typeEbEEZZNS1_14partition_implILS8_3ELb0ES6_jNS0_17counting_iteratorIjlEEPS9_SE_NS0_5tupleIJPjSE_EEENSF_IJSE_SE_EEES9_SG_JZNS1_25segmented_radix_sort_implINS0_14default_configELb0EPKsPsPKlPlN2at6native12_GLOBAL__N_18offset_tEEE10hipError_tPvRmT1_PNSt15iterator_traitsISY_E10value_typeET2_T3_PNSZ_IS14_E10value_typeET4_jRbjT5_S1A_jjP12ihipStream_tbEUljE_EEESV_SW_SX_S14_S18_S1A_T6_T7_T9_mT8_S1C_bDpT10_ENKUlT_T0_E_clISt17integral_constantIbLb1EES1O_IbLb0EEEEDaS1K_S1L_EUlS1K_E_NS1_11comp_targetILNS1_3genE9ELNS1_11target_archE1100ELNS1_3gpuE3ELNS1_3repE0EEENS1_30default_config_static_selectorELNS0_4arch9wavefront6targetE1EEEvSY_,"axG",@progbits,_ZN7rocprim17ROCPRIM_400000_NS6detail17trampoline_kernelINS0_13select_configILj256ELj13ELNS0_17block_load_methodE3ELS4_3ELS4_3ELNS0_20block_scan_algorithmE0ELj4294967295EEENS1_25partition_config_selectorILNS1_17partition_subalgoE3EjNS0_10empty_typeEbEEZZNS1_14partition_implILS8_3ELb0ES6_jNS0_17counting_iteratorIjlEEPS9_SE_NS0_5tupleIJPjSE_EEENSF_IJSE_SE_EEES9_SG_JZNS1_25segmented_radix_sort_implINS0_14default_configELb0EPKsPsPKlPlN2at6native12_GLOBAL__N_18offset_tEEE10hipError_tPvRmT1_PNSt15iterator_traitsISY_E10value_typeET2_T3_PNSZ_IS14_E10value_typeET4_jRbjT5_S1A_jjP12ihipStream_tbEUljE_EEESV_SW_SX_S14_S18_S1A_T6_T7_T9_mT8_S1C_bDpT10_ENKUlT_T0_E_clISt17integral_constantIbLb1EES1O_IbLb0EEEEDaS1K_S1L_EUlS1K_E_NS1_11comp_targetILNS1_3genE9ELNS1_11target_archE1100ELNS1_3gpuE3ELNS1_3repE0EEENS1_30default_config_static_selectorELNS0_4arch9wavefront6targetE1EEEvSY_,comdat
	.globl	_ZN7rocprim17ROCPRIM_400000_NS6detail17trampoline_kernelINS0_13select_configILj256ELj13ELNS0_17block_load_methodE3ELS4_3ELS4_3ELNS0_20block_scan_algorithmE0ELj4294967295EEENS1_25partition_config_selectorILNS1_17partition_subalgoE3EjNS0_10empty_typeEbEEZZNS1_14partition_implILS8_3ELb0ES6_jNS0_17counting_iteratorIjlEEPS9_SE_NS0_5tupleIJPjSE_EEENSF_IJSE_SE_EEES9_SG_JZNS1_25segmented_radix_sort_implINS0_14default_configELb0EPKsPsPKlPlN2at6native12_GLOBAL__N_18offset_tEEE10hipError_tPvRmT1_PNSt15iterator_traitsISY_E10value_typeET2_T3_PNSZ_IS14_E10value_typeET4_jRbjT5_S1A_jjP12ihipStream_tbEUljE_EEESV_SW_SX_S14_S18_S1A_T6_T7_T9_mT8_S1C_bDpT10_ENKUlT_T0_E_clISt17integral_constantIbLb1EES1O_IbLb0EEEEDaS1K_S1L_EUlS1K_E_NS1_11comp_targetILNS1_3genE9ELNS1_11target_archE1100ELNS1_3gpuE3ELNS1_3repE0EEENS1_30default_config_static_selectorELNS0_4arch9wavefront6targetE1EEEvSY_ ; -- Begin function _ZN7rocprim17ROCPRIM_400000_NS6detail17trampoline_kernelINS0_13select_configILj256ELj13ELNS0_17block_load_methodE3ELS4_3ELS4_3ELNS0_20block_scan_algorithmE0ELj4294967295EEENS1_25partition_config_selectorILNS1_17partition_subalgoE3EjNS0_10empty_typeEbEEZZNS1_14partition_implILS8_3ELb0ES6_jNS0_17counting_iteratorIjlEEPS9_SE_NS0_5tupleIJPjSE_EEENSF_IJSE_SE_EEES9_SG_JZNS1_25segmented_radix_sort_implINS0_14default_configELb0EPKsPsPKlPlN2at6native12_GLOBAL__N_18offset_tEEE10hipError_tPvRmT1_PNSt15iterator_traitsISY_E10value_typeET2_T3_PNSZ_IS14_E10value_typeET4_jRbjT5_S1A_jjP12ihipStream_tbEUljE_EEESV_SW_SX_S14_S18_S1A_T6_T7_T9_mT8_S1C_bDpT10_ENKUlT_T0_E_clISt17integral_constantIbLb1EES1O_IbLb0EEEEDaS1K_S1L_EUlS1K_E_NS1_11comp_targetILNS1_3genE9ELNS1_11target_archE1100ELNS1_3gpuE3ELNS1_3repE0EEENS1_30default_config_static_selectorELNS0_4arch9wavefront6targetE1EEEvSY_
	.p2align	8
	.type	_ZN7rocprim17ROCPRIM_400000_NS6detail17trampoline_kernelINS0_13select_configILj256ELj13ELNS0_17block_load_methodE3ELS4_3ELS4_3ELNS0_20block_scan_algorithmE0ELj4294967295EEENS1_25partition_config_selectorILNS1_17partition_subalgoE3EjNS0_10empty_typeEbEEZZNS1_14partition_implILS8_3ELb0ES6_jNS0_17counting_iteratorIjlEEPS9_SE_NS0_5tupleIJPjSE_EEENSF_IJSE_SE_EEES9_SG_JZNS1_25segmented_radix_sort_implINS0_14default_configELb0EPKsPsPKlPlN2at6native12_GLOBAL__N_18offset_tEEE10hipError_tPvRmT1_PNSt15iterator_traitsISY_E10value_typeET2_T3_PNSZ_IS14_E10value_typeET4_jRbjT5_S1A_jjP12ihipStream_tbEUljE_EEESV_SW_SX_S14_S18_S1A_T6_T7_T9_mT8_S1C_bDpT10_ENKUlT_T0_E_clISt17integral_constantIbLb1EES1O_IbLb0EEEEDaS1K_S1L_EUlS1K_E_NS1_11comp_targetILNS1_3genE9ELNS1_11target_archE1100ELNS1_3gpuE3ELNS1_3repE0EEENS1_30default_config_static_selectorELNS0_4arch9wavefront6targetE1EEEvSY_,@function
_ZN7rocprim17ROCPRIM_400000_NS6detail17trampoline_kernelINS0_13select_configILj256ELj13ELNS0_17block_load_methodE3ELS4_3ELS4_3ELNS0_20block_scan_algorithmE0ELj4294967295EEENS1_25partition_config_selectorILNS1_17partition_subalgoE3EjNS0_10empty_typeEbEEZZNS1_14partition_implILS8_3ELb0ES6_jNS0_17counting_iteratorIjlEEPS9_SE_NS0_5tupleIJPjSE_EEENSF_IJSE_SE_EEES9_SG_JZNS1_25segmented_radix_sort_implINS0_14default_configELb0EPKsPsPKlPlN2at6native12_GLOBAL__N_18offset_tEEE10hipError_tPvRmT1_PNSt15iterator_traitsISY_E10value_typeET2_T3_PNSZ_IS14_E10value_typeET4_jRbjT5_S1A_jjP12ihipStream_tbEUljE_EEESV_SW_SX_S14_S18_S1A_T6_T7_T9_mT8_S1C_bDpT10_ENKUlT_T0_E_clISt17integral_constantIbLb1EES1O_IbLb0EEEEDaS1K_S1L_EUlS1K_E_NS1_11comp_targetILNS1_3genE9ELNS1_11target_archE1100ELNS1_3gpuE3ELNS1_3repE0EEENS1_30default_config_static_selectorELNS0_4arch9wavefront6targetE1EEEvSY_: ; @_ZN7rocprim17ROCPRIM_400000_NS6detail17trampoline_kernelINS0_13select_configILj256ELj13ELNS0_17block_load_methodE3ELS4_3ELS4_3ELNS0_20block_scan_algorithmE0ELj4294967295EEENS1_25partition_config_selectorILNS1_17partition_subalgoE3EjNS0_10empty_typeEbEEZZNS1_14partition_implILS8_3ELb0ES6_jNS0_17counting_iteratorIjlEEPS9_SE_NS0_5tupleIJPjSE_EEENSF_IJSE_SE_EEES9_SG_JZNS1_25segmented_radix_sort_implINS0_14default_configELb0EPKsPsPKlPlN2at6native12_GLOBAL__N_18offset_tEEE10hipError_tPvRmT1_PNSt15iterator_traitsISY_E10value_typeET2_T3_PNSZ_IS14_E10value_typeET4_jRbjT5_S1A_jjP12ihipStream_tbEUljE_EEESV_SW_SX_S14_S18_S1A_T6_T7_T9_mT8_S1C_bDpT10_ENKUlT_T0_E_clISt17integral_constantIbLb1EES1O_IbLb0EEEEDaS1K_S1L_EUlS1K_E_NS1_11comp_targetILNS1_3genE9ELNS1_11target_archE1100ELNS1_3gpuE3ELNS1_3repE0EEENS1_30default_config_static_selectorELNS0_4arch9wavefront6targetE1EEEvSY_
; %bb.0:
	.section	.rodata,"a",@progbits
	.p2align	6, 0x0
	.amdhsa_kernel _ZN7rocprim17ROCPRIM_400000_NS6detail17trampoline_kernelINS0_13select_configILj256ELj13ELNS0_17block_load_methodE3ELS4_3ELS4_3ELNS0_20block_scan_algorithmE0ELj4294967295EEENS1_25partition_config_selectorILNS1_17partition_subalgoE3EjNS0_10empty_typeEbEEZZNS1_14partition_implILS8_3ELb0ES6_jNS0_17counting_iteratorIjlEEPS9_SE_NS0_5tupleIJPjSE_EEENSF_IJSE_SE_EEES9_SG_JZNS1_25segmented_radix_sort_implINS0_14default_configELb0EPKsPsPKlPlN2at6native12_GLOBAL__N_18offset_tEEE10hipError_tPvRmT1_PNSt15iterator_traitsISY_E10value_typeET2_T3_PNSZ_IS14_E10value_typeET4_jRbjT5_S1A_jjP12ihipStream_tbEUljE_EEESV_SW_SX_S14_S18_S1A_T6_T7_T9_mT8_S1C_bDpT10_ENKUlT_T0_E_clISt17integral_constantIbLb1EES1O_IbLb0EEEEDaS1K_S1L_EUlS1K_E_NS1_11comp_targetILNS1_3genE9ELNS1_11target_archE1100ELNS1_3gpuE3ELNS1_3repE0EEENS1_30default_config_static_selectorELNS0_4arch9wavefront6targetE1EEEvSY_
		.amdhsa_group_segment_fixed_size 0
		.amdhsa_private_segment_fixed_size 0
		.amdhsa_kernarg_size 144
		.amdhsa_user_sgpr_count 6
		.amdhsa_user_sgpr_private_segment_buffer 1
		.amdhsa_user_sgpr_dispatch_ptr 0
		.amdhsa_user_sgpr_queue_ptr 0
		.amdhsa_user_sgpr_kernarg_segment_ptr 1
		.amdhsa_user_sgpr_dispatch_id 0
		.amdhsa_user_sgpr_flat_scratch_init 0
		.amdhsa_user_sgpr_kernarg_preload_length 0
		.amdhsa_user_sgpr_kernarg_preload_offset 0
		.amdhsa_user_sgpr_private_segment_size 0
		.amdhsa_uses_dynamic_stack 0
		.amdhsa_system_sgpr_private_segment_wavefront_offset 0
		.amdhsa_system_sgpr_workgroup_id_x 1
		.amdhsa_system_sgpr_workgroup_id_y 0
		.amdhsa_system_sgpr_workgroup_id_z 0
		.amdhsa_system_sgpr_workgroup_info 0
		.amdhsa_system_vgpr_workitem_id 0
		.amdhsa_next_free_vgpr 1
		.amdhsa_next_free_sgpr 0
		.amdhsa_accum_offset 4
		.amdhsa_reserve_vcc 0
		.amdhsa_reserve_flat_scratch 0
		.amdhsa_float_round_mode_32 0
		.amdhsa_float_round_mode_16_64 0
		.amdhsa_float_denorm_mode_32 3
		.amdhsa_float_denorm_mode_16_64 3
		.amdhsa_dx10_clamp 1
		.amdhsa_ieee_mode 1
		.amdhsa_fp16_overflow 0
		.amdhsa_tg_split 0
		.amdhsa_exception_fp_ieee_invalid_op 0
		.amdhsa_exception_fp_denorm_src 0
		.amdhsa_exception_fp_ieee_div_zero 0
		.amdhsa_exception_fp_ieee_overflow 0
		.amdhsa_exception_fp_ieee_underflow 0
		.amdhsa_exception_fp_ieee_inexact 0
		.amdhsa_exception_int_div_zero 0
	.end_amdhsa_kernel
	.section	.text._ZN7rocprim17ROCPRIM_400000_NS6detail17trampoline_kernelINS0_13select_configILj256ELj13ELNS0_17block_load_methodE3ELS4_3ELS4_3ELNS0_20block_scan_algorithmE0ELj4294967295EEENS1_25partition_config_selectorILNS1_17partition_subalgoE3EjNS0_10empty_typeEbEEZZNS1_14partition_implILS8_3ELb0ES6_jNS0_17counting_iteratorIjlEEPS9_SE_NS0_5tupleIJPjSE_EEENSF_IJSE_SE_EEES9_SG_JZNS1_25segmented_radix_sort_implINS0_14default_configELb0EPKsPsPKlPlN2at6native12_GLOBAL__N_18offset_tEEE10hipError_tPvRmT1_PNSt15iterator_traitsISY_E10value_typeET2_T3_PNSZ_IS14_E10value_typeET4_jRbjT5_S1A_jjP12ihipStream_tbEUljE_EEESV_SW_SX_S14_S18_S1A_T6_T7_T9_mT8_S1C_bDpT10_ENKUlT_T0_E_clISt17integral_constantIbLb1EES1O_IbLb0EEEEDaS1K_S1L_EUlS1K_E_NS1_11comp_targetILNS1_3genE9ELNS1_11target_archE1100ELNS1_3gpuE3ELNS1_3repE0EEENS1_30default_config_static_selectorELNS0_4arch9wavefront6targetE1EEEvSY_,"axG",@progbits,_ZN7rocprim17ROCPRIM_400000_NS6detail17trampoline_kernelINS0_13select_configILj256ELj13ELNS0_17block_load_methodE3ELS4_3ELS4_3ELNS0_20block_scan_algorithmE0ELj4294967295EEENS1_25partition_config_selectorILNS1_17partition_subalgoE3EjNS0_10empty_typeEbEEZZNS1_14partition_implILS8_3ELb0ES6_jNS0_17counting_iteratorIjlEEPS9_SE_NS0_5tupleIJPjSE_EEENSF_IJSE_SE_EEES9_SG_JZNS1_25segmented_radix_sort_implINS0_14default_configELb0EPKsPsPKlPlN2at6native12_GLOBAL__N_18offset_tEEE10hipError_tPvRmT1_PNSt15iterator_traitsISY_E10value_typeET2_T3_PNSZ_IS14_E10value_typeET4_jRbjT5_S1A_jjP12ihipStream_tbEUljE_EEESV_SW_SX_S14_S18_S1A_T6_T7_T9_mT8_S1C_bDpT10_ENKUlT_T0_E_clISt17integral_constantIbLb1EES1O_IbLb0EEEEDaS1K_S1L_EUlS1K_E_NS1_11comp_targetILNS1_3genE9ELNS1_11target_archE1100ELNS1_3gpuE3ELNS1_3repE0EEENS1_30default_config_static_selectorELNS0_4arch9wavefront6targetE1EEEvSY_,comdat
.Lfunc_end1003:
	.size	_ZN7rocprim17ROCPRIM_400000_NS6detail17trampoline_kernelINS0_13select_configILj256ELj13ELNS0_17block_load_methodE3ELS4_3ELS4_3ELNS0_20block_scan_algorithmE0ELj4294967295EEENS1_25partition_config_selectorILNS1_17partition_subalgoE3EjNS0_10empty_typeEbEEZZNS1_14partition_implILS8_3ELb0ES6_jNS0_17counting_iteratorIjlEEPS9_SE_NS0_5tupleIJPjSE_EEENSF_IJSE_SE_EEES9_SG_JZNS1_25segmented_radix_sort_implINS0_14default_configELb0EPKsPsPKlPlN2at6native12_GLOBAL__N_18offset_tEEE10hipError_tPvRmT1_PNSt15iterator_traitsISY_E10value_typeET2_T3_PNSZ_IS14_E10value_typeET4_jRbjT5_S1A_jjP12ihipStream_tbEUljE_EEESV_SW_SX_S14_S18_S1A_T6_T7_T9_mT8_S1C_bDpT10_ENKUlT_T0_E_clISt17integral_constantIbLb1EES1O_IbLb0EEEEDaS1K_S1L_EUlS1K_E_NS1_11comp_targetILNS1_3genE9ELNS1_11target_archE1100ELNS1_3gpuE3ELNS1_3repE0EEENS1_30default_config_static_selectorELNS0_4arch9wavefront6targetE1EEEvSY_, .Lfunc_end1003-_ZN7rocprim17ROCPRIM_400000_NS6detail17trampoline_kernelINS0_13select_configILj256ELj13ELNS0_17block_load_methodE3ELS4_3ELS4_3ELNS0_20block_scan_algorithmE0ELj4294967295EEENS1_25partition_config_selectorILNS1_17partition_subalgoE3EjNS0_10empty_typeEbEEZZNS1_14partition_implILS8_3ELb0ES6_jNS0_17counting_iteratorIjlEEPS9_SE_NS0_5tupleIJPjSE_EEENSF_IJSE_SE_EEES9_SG_JZNS1_25segmented_radix_sort_implINS0_14default_configELb0EPKsPsPKlPlN2at6native12_GLOBAL__N_18offset_tEEE10hipError_tPvRmT1_PNSt15iterator_traitsISY_E10value_typeET2_T3_PNSZ_IS14_E10value_typeET4_jRbjT5_S1A_jjP12ihipStream_tbEUljE_EEESV_SW_SX_S14_S18_S1A_T6_T7_T9_mT8_S1C_bDpT10_ENKUlT_T0_E_clISt17integral_constantIbLb1EES1O_IbLb0EEEEDaS1K_S1L_EUlS1K_E_NS1_11comp_targetILNS1_3genE9ELNS1_11target_archE1100ELNS1_3gpuE3ELNS1_3repE0EEENS1_30default_config_static_selectorELNS0_4arch9wavefront6targetE1EEEvSY_
                                        ; -- End function
	.section	.AMDGPU.csdata,"",@progbits
; Kernel info:
; codeLenInByte = 0
; NumSgprs: 4
; NumVgprs: 0
; NumAgprs: 0
; TotalNumVgprs: 0
; ScratchSize: 0
; MemoryBound: 0
; FloatMode: 240
; IeeeMode: 1
; LDSByteSize: 0 bytes/workgroup (compile time only)
; SGPRBlocks: 0
; VGPRBlocks: 0
; NumSGPRsForWavesPerEU: 4
; NumVGPRsForWavesPerEU: 1
; AccumOffset: 4
; Occupancy: 8
; WaveLimiterHint : 0
; COMPUTE_PGM_RSRC2:SCRATCH_EN: 0
; COMPUTE_PGM_RSRC2:USER_SGPR: 6
; COMPUTE_PGM_RSRC2:TRAP_HANDLER: 0
; COMPUTE_PGM_RSRC2:TGID_X_EN: 1
; COMPUTE_PGM_RSRC2:TGID_Y_EN: 0
; COMPUTE_PGM_RSRC2:TGID_Z_EN: 0
; COMPUTE_PGM_RSRC2:TIDIG_COMP_CNT: 0
; COMPUTE_PGM_RSRC3_GFX90A:ACCUM_OFFSET: 0
; COMPUTE_PGM_RSRC3_GFX90A:TG_SPLIT: 0
	.section	.text._ZN7rocprim17ROCPRIM_400000_NS6detail17trampoline_kernelINS0_13select_configILj256ELj13ELNS0_17block_load_methodE3ELS4_3ELS4_3ELNS0_20block_scan_algorithmE0ELj4294967295EEENS1_25partition_config_selectorILNS1_17partition_subalgoE3EjNS0_10empty_typeEbEEZZNS1_14partition_implILS8_3ELb0ES6_jNS0_17counting_iteratorIjlEEPS9_SE_NS0_5tupleIJPjSE_EEENSF_IJSE_SE_EEES9_SG_JZNS1_25segmented_radix_sort_implINS0_14default_configELb0EPKsPsPKlPlN2at6native12_GLOBAL__N_18offset_tEEE10hipError_tPvRmT1_PNSt15iterator_traitsISY_E10value_typeET2_T3_PNSZ_IS14_E10value_typeET4_jRbjT5_S1A_jjP12ihipStream_tbEUljE_EEESV_SW_SX_S14_S18_S1A_T6_T7_T9_mT8_S1C_bDpT10_ENKUlT_T0_E_clISt17integral_constantIbLb1EES1O_IbLb0EEEEDaS1K_S1L_EUlS1K_E_NS1_11comp_targetILNS1_3genE8ELNS1_11target_archE1030ELNS1_3gpuE2ELNS1_3repE0EEENS1_30default_config_static_selectorELNS0_4arch9wavefront6targetE1EEEvSY_,"axG",@progbits,_ZN7rocprim17ROCPRIM_400000_NS6detail17trampoline_kernelINS0_13select_configILj256ELj13ELNS0_17block_load_methodE3ELS4_3ELS4_3ELNS0_20block_scan_algorithmE0ELj4294967295EEENS1_25partition_config_selectorILNS1_17partition_subalgoE3EjNS0_10empty_typeEbEEZZNS1_14partition_implILS8_3ELb0ES6_jNS0_17counting_iteratorIjlEEPS9_SE_NS0_5tupleIJPjSE_EEENSF_IJSE_SE_EEES9_SG_JZNS1_25segmented_radix_sort_implINS0_14default_configELb0EPKsPsPKlPlN2at6native12_GLOBAL__N_18offset_tEEE10hipError_tPvRmT1_PNSt15iterator_traitsISY_E10value_typeET2_T3_PNSZ_IS14_E10value_typeET4_jRbjT5_S1A_jjP12ihipStream_tbEUljE_EEESV_SW_SX_S14_S18_S1A_T6_T7_T9_mT8_S1C_bDpT10_ENKUlT_T0_E_clISt17integral_constantIbLb1EES1O_IbLb0EEEEDaS1K_S1L_EUlS1K_E_NS1_11comp_targetILNS1_3genE8ELNS1_11target_archE1030ELNS1_3gpuE2ELNS1_3repE0EEENS1_30default_config_static_selectorELNS0_4arch9wavefront6targetE1EEEvSY_,comdat
	.globl	_ZN7rocprim17ROCPRIM_400000_NS6detail17trampoline_kernelINS0_13select_configILj256ELj13ELNS0_17block_load_methodE3ELS4_3ELS4_3ELNS0_20block_scan_algorithmE0ELj4294967295EEENS1_25partition_config_selectorILNS1_17partition_subalgoE3EjNS0_10empty_typeEbEEZZNS1_14partition_implILS8_3ELb0ES6_jNS0_17counting_iteratorIjlEEPS9_SE_NS0_5tupleIJPjSE_EEENSF_IJSE_SE_EEES9_SG_JZNS1_25segmented_radix_sort_implINS0_14default_configELb0EPKsPsPKlPlN2at6native12_GLOBAL__N_18offset_tEEE10hipError_tPvRmT1_PNSt15iterator_traitsISY_E10value_typeET2_T3_PNSZ_IS14_E10value_typeET4_jRbjT5_S1A_jjP12ihipStream_tbEUljE_EEESV_SW_SX_S14_S18_S1A_T6_T7_T9_mT8_S1C_bDpT10_ENKUlT_T0_E_clISt17integral_constantIbLb1EES1O_IbLb0EEEEDaS1K_S1L_EUlS1K_E_NS1_11comp_targetILNS1_3genE8ELNS1_11target_archE1030ELNS1_3gpuE2ELNS1_3repE0EEENS1_30default_config_static_selectorELNS0_4arch9wavefront6targetE1EEEvSY_ ; -- Begin function _ZN7rocprim17ROCPRIM_400000_NS6detail17trampoline_kernelINS0_13select_configILj256ELj13ELNS0_17block_load_methodE3ELS4_3ELS4_3ELNS0_20block_scan_algorithmE0ELj4294967295EEENS1_25partition_config_selectorILNS1_17partition_subalgoE3EjNS0_10empty_typeEbEEZZNS1_14partition_implILS8_3ELb0ES6_jNS0_17counting_iteratorIjlEEPS9_SE_NS0_5tupleIJPjSE_EEENSF_IJSE_SE_EEES9_SG_JZNS1_25segmented_radix_sort_implINS0_14default_configELb0EPKsPsPKlPlN2at6native12_GLOBAL__N_18offset_tEEE10hipError_tPvRmT1_PNSt15iterator_traitsISY_E10value_typeET2_T3_PNSZ_IS14_E10value_typeET4_jRbjT5_S1A_jjP12ihipStream_tbEUljE_EEESV_SW_SX_S14_S18_S1A_T6_T7_T9_mT8_S1C_bDpT10_ENKUlT_T0_E_clISt17integral_constantIbLb1EES1O_IbLb0EEEEDaS1K_S1L_EUlS1K_E_NS1_11comp_targetILNS1_3genE8ELNS1_11target_archE1030ELNS1_3gpuE2ELNS1_3repE0EEENS1_30default_config_static_selectorELNS0_4arch9wavefront6targetE1EEEvSY_
	.p2align	8
	.type	_ZN7rocprim17ROCPRIM_400000_NS6detail17trampoline_kernelINS0_13select_configILj256ELj13ELNS0_17block_load_methodE3ELS4_3ELS4_3ELNS0_20block_scan_algorithmE0ELj4294967295EEENS1_25partition_config_selectorILNS1_17partition_subalgoE3EjNS0_10empty_typeEbEEZZNS1_14partition_implILS8_3ELb0ES6_jNS0_17counting_iteratorIjlEEPS9_SE_NS0_5tupleIJPjSE_EEENSF_IJSE_SE_EEES9_SG_JZNS1_25segmented_radix_sort_implINS0_14default_configELb0EPKsPsPKlPlN2at6native12_GLOBAL__N_18offset_tEEE10hipError_tPvRmT1_PNSt15iterator_traitsISY_E10value_typeET2_T3_PNSZ_IS14_E10value_typeET4_jRbjT5_S1A_jjP12ihipStream_tbEUljE_EEESV_SW_SX_S14_S18_S1A_T6_T7_T9_mT8_S1C_bDpT10_ENKUlT_T0_E_clISt17integral_constantIbLb1EES1O_IbLb0EEEEDaS1K_S1L_EUlS1K_E_NS1_11comp_targetILNS1_3genE8ELNS1_11target_archE1030ELNS1_3gpuE2ELNS1_3repE0EEENS1_30default_config_static_selectorELNS0_4arch9wavefront6targetE1EEEvSY_,@function
_ZN7rocprim17ROCPRIM_400000_NS6detail17trampoline_kernelINS0_13select_configILj256ELj13ELNS0_17block_load_methodE3ELS4_3ELS4_3ELNS0_20block_scan_algorithmE0ELj4294967295EEENS1_25partition_config_selectorILNS1_17partition_subalgoE3EjNS0_10empty_typeEbEEZZNS1_14partition_implILS8_3ELb0ES6_jNS0_17counting_iteratorIjlEEPS9_SE_NS0_5tupleIJPjSE_EEENSF_IJSE_SE_EEES9_SG_JZNS1_25segmented_radix_sort_implINS0_14default_configELb0EPKsPsPKlPlN2at6native12_GLOBAL__N_18offset_tEEE10hipError_tPvRmT1_PNSt15iterator_traitsISY_E10value_typeET2_T3_PNSZ_IS14_E10value_typeET4_jRbjT5_S1A_jjP12ihipStream_tbEUljE_EEESV_SW_SX_S14_S18_S1A_T6_T7_T9_mT8_S1C_bDpT10_ENKUlT_T0_E_clISt17integral_constantIbLb1EES1O_IbLb0EEEEDaS1K_S1L_EUlS1K_E_NS1_11comp_targetILNS1_3genE8ELNS1_11target_archE1030ELNS1_3gpuE2ELNS1_3repE0EEENS1_30default_config_static_selectorELNS0_4arch9wavefront6targetE1EEEvSY_: ; @_ZN7rocprim17ROCPRIM_400000_NS6detail17trampoline_kernelINS0_13select_configILj256ELj13ELNS0_17block_load_methodE3ELS4_3ELS4_3ELNS0_20block_scan_algorithmE0ELj4294967295EEENS1_25partition_config_selectorILNS1_17partition_subalgoE3EjNS0_10empty_typeEbEEZZNS1_14partition_implILS8_3ELb0ES6_jNS0_17counting_iteratorIjlEEPS9_SE_NS0_5tupleIJPjSE_EEENSF_IJSE_SE_EEES9_SG_JZNS1_25segmented_radix_sort_implINS0_14default_configELb0EPKsPsPKlPlN2at6native12_GLOBAL__N_18offset_tEEE10hipError_tPvRmT1_PNSt15iterator_traitsISY_E10value_typeET2_T3_PNSZ_IS14_E10value_typeET4_jRbjT5_S1A_jjP12ihipStream_tbEUljE_EEESV_SW_SX_S14_S18_S1A_T6_T7_T9_mT8_S1C_bDpT10_ENKUlT_T0_E_clISt17integral_constantIbLb1EES1O_IbLb0EEEEDaS1K_S1L_EUlS1K_E_NS1_11comp_targetILNS1_3genE8ELNS1_11target_archE1030ELNS1_3gpuE2ELNS1_3repE0EEENS1_30default_config_static_selectorELNS0_4arch9wavefront6targetE1EEEvSY_
; %bb.0:
	.section	.rodata,"a",@progbits
	.p2align	6, 0x0
	.amdhsa_kernel _ZN7rocprim17ROCPRIM_400000_NS6detail17trampoline_kernelINS0_13select_configILj256ELj13ELNS0_17block_load_methodE3ELS4_3ELS4_3ELNS0_20block_scan_algorithmE0ELj4294967295EEENS1_25partition_config_selectorILNS1_17partition_subalgoE3EjNS0_10empty_typeEbEEZZNS1_14partition_implILS8_3ELb0ES6_jNS0_17counting_iteratorIjlEEPS9_SE_NS0_5tupleIJPjSE_EEENSF_IJSE_SE_EEES9_SG_JZNS1_25segmented_radix_sort_implINS0_14default_configELb0EPKsPsPKlPlN2at6native12_GLOBAL__N_18offset_tEEE10hipError_tPvRmT1_PNSt15iterator_traitsISY_E10value_typeET2_T3_PNSZ_IS14_E10value_typeET4_jRbjT5_S1A_jjP12ihipStream_tbEUljE_EEESV_SW_SX_S14_S18_S1A_T6_T7_T9_mT8_S1C_bDpT10_ENKUlT_T0_E_clISt17integral_constantIbLb1EES1O_IbLb0EEEEDaS1K_S1L_EUlS1K_E_NS1_11comp_targetILNS1_3genE8ELNS1_11target_archE1030ELNS1_3gpuE2ELNS1_3repE0EEENS1_30default_config_static_selectorELNS0_4arch9wavefront6targetE1EEEvSY_
		.amdhsa_group_segment_fixed_size 0
		.amdhsa_private_segment_fixed_size 0
		.amdhsa_kernarg_size 144
		.amdhsa_user_sgpr_count 6
		.amdhsa_user_sgpr_private_segment_buffer 1
		.amdhsa_user_sgpr_dispatch_ptr 0
		.amdhsa_user_sgpr_queue_ptr 0
		.amdhsa_user_sgpr_kernarg_segment_ptr 1
		.amdhsa_user_sgpr_dispatch_id 0
		.amdhsa_user_sgpr_flat_scratch_init 0
		.amdhsa_user_sgpr_kernarg_preload_length 0
		.amdhsa_user_sgpr_kernarg_preload_offset 0
		.amdhsa_user_sgpr_private_segment_size 0
		.amdhsa_uses_dynamic_stack 0
		.amdhsa_system_sgpr_private_segment_wavefront_offset 0
		.amdhsa_system_sgpr_workgroup_id_x 1
		.amdhsa_system_sgpr_workgroup_id_y 0
		.amdhsa_system_sgpr_workgroup_id_z 0
		.amdhsa_system_sgpr_workgroup_info 0
		.amdhsa_system_vgpr_workitem_id 0
		.amdhsa_next_free_vgpr 1
		.amdhsa_next_free_sgpr 0
		.amdhsa_accum_offset 4
		.amdhsa_reserve_vcc 0
		.amdhsa_reserve_flat_scratch 0
		.amdhsa_float_round_mode_32 0
		.amdhsa_float_round_mode_16_64 0
		.amdhsa_float_denorm_mode_32 3
		.amdhsa_float_denorm_mode_16_64 3
		.amdhsa_dx10_clamp 1
		.amdhsa_ieee_mode 1
		.amdhsa_fp16_overflow 0
		.amdhsa_tg_split 0
		.amdhsa_exception_fp_ieee_invalid_op 0
		.amdhsa_exception_fp_denorm_src 0
		.amdhsa_exception_fp_ieee_div_zero 0
		.amdhsa_exception_fp_ieee_overflow 0
		.amdhsa_exception_fp_ieee_underflow 0
		.amdhsa_exception_fp_ieee_inexact 0
		.amdhsa_exception_int_div_zero 0
	.end_amdhsa_kernel
	.section	.text._ZN7rocprim17ROCPRIM_400000_NS6detail17trampoline_kernelINS0_13select_configILj256ELj13ELNS0_17block_load_methodE3ELS4_3ELS4_3ELNS0_20block_scan_algorithmE0ELj4294967295EEENS1_25partition_config_selectorILNS1_17partition_subalgoE3EjNS0_10empty_typeEbEEZZNS1_14partition_implILS8_3ELb0ES6_jNS0_17counting_iteratorIjlEEPS9_SE_NS0_5tupleIJPjSE_EEENSF_IJSE_SE_EEES9_SG_JZNS1_25segmented_radix_sort_implINS0_14default_configELb0EPKsPsPKlPlN2at6native12_GLOBAL__N_18offset_tEEE10hipError_tPvRmT1_PNSt15iterator_traitsISY_E10value_typeET2_T3_PNSZ_IS14_E10value_typeET4_jRbjT5_S1A_jjP12ihipStream_tbEUljE_EEESV_SW_SX_S14_S18_S1A_T6_T7_T9_mT8_S1C_bDpT10_ENKUlT_T0_E_clISt17integral_constantIbLb1EES1O_IbLb0EEEEDaS1K_S1L_EUlS1K_E_NS1_11comp_targetILNS1_3genE8ELNS1_11target_archE1030ELNS1_3gpuE2ELNS1_3repE0EEENS1_30default_config_static_selectorELNS0_4arch9wavefront6targetE1EEEvSY_,"axG",@progbits,_ZN7rocprim17ROCPRIM_400000_NS6detail17trampoline_kernelINS0_13select_configILj256ELj13ELNS0_17block_load_methodE3ELS4_3ELS4_3ELNS0_20block_scan_algorithmE0ELj4294967295EEENS1_25partition_config_selectorILNS1_17partition_subalgoE3EjNS0_10empty_typeEbEEZZNS1_14partition_implILS8_3ELb0ES6_jNS0_17counting_iteratorIjlEEPS9_SE_NS0_5tupleIJPjSE_EEENSF_IJSE_SE_EEES9_SG_JZNS1_25segmented_radix_sort_implINS0_14default_configELb0EPKsPsPKlPlN2at6native12_GLOBAL__N_18offset_tEEE10hipError_tPvRmT1_PNSt15iterator_traitsISY_E10value_typeET2_T3_PNSZ_IS14_E10value_typeET4_jRbjT5_S1A_jjP12ihipStream_tbEUljE_EEESV_SW_SX_S14_S18_S1A_T6_T7_T9_mT8_S1C_bDpT10_ENKUlT_T0_E_clISt17integral_constantIbLb1EES1O_IbLb0EEEEDaS1K_S1L_EUlS1K_E_NS1_11comp_targetILNS1_3genE8ELNS1_11target_archE1030ELNS1_3gpuE2ELNS1_3repE0EEENS1_30default_config_static_selectorELNS0_4arch9wavefront6targetE1EEEvSY_,comdat
.Lfunc_end1004:
	.size	_ZN7rocprim17ROCPRIM_400000_NS6detail17trampoline_kernelINS0_13select_configILj256ELj13ELNS0_17block_load_methodE3ELS4_3ELS4_3ELNS0_20block_scan_algorithmE0ELj4294967295EEENS1_25partition_config_selectorILNS1_17partition_subalgoE3EjNS0_10empty_typeEbEEZZNS1_14partition_implILS8_3ELb0ES6_jNS0_17counting_iteratorIjlEEPS9_SE_NS0_5tupleIJPjSE_EEENSF_IJSE_SE_EEES9_SG_JZNS1_25segmented_radix_sort_implINS0_14default_configELb0EPKsPsPKlPlN2at6native12_GLOBAL__N_18offset_tEEE10hipError_tPvRmT1_PNSt15iterator_traitsISY_E10value_typeET2_T3_PNSZ_IS14_E10value_typeET4_jRbjT5_S1A_jjP12ihipStream_tbEUljE_EEESV_SW_SX_S14_S18_S1A_T6_T7_T9_mT8_S1C_bDpT10_ENKUlT_T0_E_clISt17integral_constantIbLb1EES1O_IbLb0EEEEDaS1K_S1L_EUlS1K_E_NS1_11comp_targetILNS1_3genE8ELNS1_11target_archE1030ELNS1_3gpuE2ELNS1_3repE0EEENS1_30default_config_static_selectorELNS0_4arch9wavefront6targetE1EEEvSY_, .Lfunc_end1004-_ZN7rocprim17ROCPRIM_400000_NS6detail17trampoline_kernelINS0_13select_configILj256ELj13ELNS0_17block_load_methodE3ELS4_3ELS4_3ELNS0_20block_scan_algorithmE0ELj4294967295EEENS1_25partition_config_selectorILNS1_17partition_subalgoE3EjNS0_10empty_typeEbEEZZNS1_14partition_implILS8_3ELb0ES6_jNS0_17counting_iteratorIjlEEPS9_SE_NS0_5tupleIJPjSE_EEENSF_IJSE_SE_EEES9_SG_JZNS1_25segmented_radix_sort_implINS0_14default_configELb0EPKsPsPKlPlN2at6native12_GLOBAL__N_18offset_tEEE10hipError_tPvRmT1_PNSt15iterator_traitsISY_E10value_typeET2_T3_PNSZ_IS14_E10value_typeET4_jRbjT5_S1A_jjP12ihipStream_tbEUljE_EEESV_SW_SX_S14_S18_S1A_T6_T7_T9_mT8_S1C_bDpT10_ENKUlT_T0_E_clISt17integral_constantIbLb1EES1O_IbLb0EEEEDaS1K_S1L_EUlS1K_E_NS1_11comp_targetILNS1_3genE8ELNS1_11target_archE1030ELNS1_3gpuE2ELNS1_3repE0EEENS1_30default_config_static_selectorELNS0_4arch9wavefront6targetE1EEEvSY_
                                        ; -- End function
	.section	.AMDGPU.csdata,"",@progbits
; Kernel info:
; codeLenInByte = 0
; NumSgprs: 4
; NumVgprs: 0
; NumAgprs: 0
; TotalNumVgprs: 0
; ScratchSize: 0
; MemoryBound: 0
; FloatMode: 240
; IeeeMode: 1
; LDSByteSize: 0 bytes/workgroup (compile time only)
; SGPRBlocks: 0
; VGPRBlocks: 0
; NumSGPRsForWavesPerEU: 4
; NumVGPRsForWavesPerEU: 1
; AccumOffset: 4
; Occupancy: 8
; WaveLimiterHint : 0
; COMPUTE_PGM_RSRC2:SCRATCH_EN: 0
; COMPUTE_PGM_RSRC2:USER_SGPR: 6
; COMPUTE_PGM_RSRC2:TRAP_HANDLER: 0
; COMPUTE_PGM_RSRC2:TGID_X_EN: 1
; COMPUTE_PGM_RSRC2:TGID_Y_EN: 0
; COMPUTE_PGM_RSRC2:TGID_Z_EN: 0
; COMPUTE_PGM_RSRC2:TIDIG_COMP_CNT: 0
; COMPUTE_PGM_RSRC3_GFX90A:ACCUM_OFFSET: 0
; COMPUTE_PGM_RSRC3_GFX90A:TG_SPLIT: 0
	.section	.text._ZN7rocprim17ROCPRIM_400000_NS6detail17trampoline_kernelINS0_13select_configILj256ELj13ELNS0_17block_load_methodE3ELS4_3ELS4_3ELNS0_20block_scan_algorithmE0ELj4294967295EEENS1_25partition_config_selectorILNS1_17partition_subalgoE3EjNS0_10empty_typeEbEEZZNS1_14partition_implILS8_3ELb0ES6_jNS0_17counting_iteratorIjlEEPS9_SE_NS0_5tupleIJPjSE_EEENSF_IJSE_SE_EEES9_SG_JZNS1_25segmented_radix_sort_implINS0_14default_configELb0EPKsPsPKlPlN2at6native12_GLOBAL__N_18offset_tEEE10hipError_tPvRmT1_PNSt15iterator_traitsISY_E10value_typeET2_T3_PNSZ_IS14_E10value_typeET4_jRbjT5_S1A_jjP12ihipStream_tbEUljE_EEESV_SW_SX_S14_S18_S1A_T6_T7_T9_mT8_S1C_bDpT10_ENKUlT_T0_E_clISt17integral_constantIbLb0EES1O_IbLb1EEEEDaS1K_S1L_EUlS1K_E_NS1_11comp_targetILNS1_3genE0ELNS1_11target_archE4294967295ELNS1_3gpuE0ELNS1_3repE0EEENS1_30default_config_static_selectorELNS0_4arch9wavefront6targetE1EEEvSY_,"axG",@progbits,_ZN7rocprim17ROCPRIM_400000_NS6detail17trampoline_kernelINS0_13select_configILj256ELj13ELNS0_17block_load_methodE3ELS4_3ELS4_3ELNS0_20block_scan_algorithmE0ELj4294967295EEENS1_25partition_config_selectorILNS1_17partition_subalgoE3EjNS0_10empty_typeEbEEZZNS1_14partition_implILS8_3ELb0ES6_jNS0_17counting_iteratorIjlEEPS9_SE_NS0_5tupleIJPjSE_EEENSF_IJSE_SE_EEES9_SG_JZNS1_25segmented_radix_sort_implINS0_14default_configELb0EPKsPsPKlPlN2at6native12_GLOBAL__N_18offset_tEEE10hipError_tPvRmT1_PNSt15iterator_traitsISY_E10value_typeET2_T3_PNSZ_IS14_E10value_typeET4_jRbjT5_S1A_jjP12ihipStream_tbEUljE_EEESV_SW_SX_S14_S18_S1A_T6_T7_T9_mT8_S1C_bDpT10_ENKUlT_T0_E_clISt17integral_constantIbLb0EES1O_IbLb1EEEEDaS1K_S1L_EUlS1K_E_NS1_11comp_targetILNS1_3genE0ELNS1_11target_archE4294967295ELNS1_3gpuE0ELNS1_3repE0EEENS1_30default_config_static_selectorELNS0_4arch9wavefront6targetE1EEEvSY_,comdat
	.globl	_ZN7rocprim17ROCPRIM_400000_NS6detail17trampoline_kernelINS0_13select_configILj256ELj13ELNS0_17block_load_methodE3ELS4_3ELS4_3ELNS0_20block_scan_algorithmE0ELj4294967295EEENS1_25partition_config_selectorILNS1_17partition_subalgoE3EjNS0_10empty_typeEbEEZZNS1_14partition_implILS8_3ELb0ES6_jNS0_17counting_iteratorIjlEEPS9_SE_NS0_5tupleIJPjSE_EEENSF_IJSE_SE_EEES9_SG_JZNS1_25segmented_radix_sort_implINS0_14default_configELb0EPKsPsPKlPlN2at6native12_GLOBAL__N_18offset_tEEE10hipError_tPvRmT1_PNSt15iterator_traitsISY_E10value_typeET2_T3_PNSZ_IS14_E10value_typeET4_jRbjT5_S1A_jjP12ihipStream_tbEUljE_EEESV_SW_SX_S14_S18_S1A_T6_T7_T9_mT8_S1C_bDpT10_ENKUlT_T0_E_clISt17integral_constantIbLb0EES1O_IbLb1EEEEDaS1K_S1L_EUlS1K_E_NS1_11comp_targetILNS1_3genE0ELNS1_11target_archE4294967295ELNS1_3gpuE0ELNS1_3repE0EEENS1_30default_config_static_selectorELNS0_4arch9wavefront6targetE1EEEvSY_ ; -- Begin function _ZN7rocprim17ROCPRIM_400000_NS6detail17trampoline_kernelINS0_13select_configILj256ELj13ELNS0_17block_load_methodE3ELS4_3ELS4_3ELNS0_20block_scan_algorithmE0ELj4294967295EEENS1_25partition_config_selectorILNS1_17partition_subalgoE3EjNS0_10empty_typeEbEEZZNS1_14partition_implILS8_3ELb0ES6_jNS0_17counting_iteratorIjlEEPS9_SE_NS0_5tupleIJPjSE_EEENSF_IJSE_SE_EEES9_SG_JZNS1_25segmented_radix_sort_implINS0_14default_configELb0EPKsPsPKlPlN2at6native12_GLOBAL__N_18offset_tEEE10hipError_tPvRmT1_PNSt15iterator_traitsISY_E10value_typeET2_T3_PNSZ_IS14_E10value_typeET4_jRbjT5_S1A_jjP12ihipStream_tbEUljE_EEESV_SW_SX_S14_S18_S1A_T6_T7_T9_mT8_S1C_bDpT10_ENKUlT_T0_E_clISt17integral_constantIbLb0EES1O_IbLb1EEEEDaS1K_S1L_EUlS1K_E_NS1_11comp_targetILNS1_3genE0ELNS1_11target_archE4294967295ELNS1_3gpuE0ELNS1_3repE0EEENS1_30default_config_static_selectorELNS0_4arch9wavefront6targetE1EEEvSY_
	.p2align	8
	.type	_ZN7rocprim17ROCPRIM_400000_NS6detail17trampoline_kernelINS0_13select_configILj256ELj13ELNS0_17block_load_methodE3ELS4_3ELS4_3ELNS0_20block_scan_algorithmE0ELj4294967295EEENS1_25partition_config_selectorILNS1_17partition_subalgoE3EjNS0_10empty_typeEbEEZZNS1_14partition_implILS8_3ELb0ES6_jNS0_17counting_iteratorIjlEEPS9_SE_NS0_5tupleIJPjSE_EEENSF_IJSE_SE_EEES9_SG_JZNS1_25segmented_radix_sort_implINS0_14default_configELb0EPKsPsPKlPlN2at6native12_GLOBAL__N_18offset_tEEE10hipError_tPvRmT1_PNSt15iterator_traitsISY_E10value_typeET2_T3_PNSZ_IS14_E10value_typeET4_jRbjT5_S1A_jjP12ihipStream_tbEUljE_EEESV_SW_SX_S14_S18_S1A_T6_T7_T9_mT8_S1C_bDpT10_ENKUlT_T0_E_clISt17integral_constantIbLb0EES1O_IbLb1EEEEDaS1K_S1L_EUlS1K_E_NS1_11comp_targetILNS1_3genE0ELNS1_11target_archE4294967295ELNS1_3gpuE0ELNS1_3repE0EEENS1_30default_config_static_selectorELNS0_4arch9wavefront6targetE1EEEvSY_,@function
_ZN7rocprim17ROCPRIM_400000_NS6detail17trampoline_kernelINS0_13select_configILj256ELj13ELNS0_17block_load_methodE3ELS4_3ELS4_3ELNS0_20block_scan_algorithmE0ELj4294967295EEENS1_25partition_config_selectorILNS1_17partition_subalgoE3EjNS0_10empty_typeEbEEZZNS1_14partition_implILS8_3ELb0ES6_jNS0_17counting_iteratorIjlEEPS9_SE_NS0_5tupleIJPjSE_EEENSF_IJSE_SE_EEES9_SG_JZNS1_25segmented_radix_sort_implINS0_14default_configELb0EPKsPsPKlPlN2at6native12_GLOBAL__N_18offset_tEEE10hipError_tPvRmT1_PNSt15iterator_traitsISY_E10value_typeET2_T3_PNSZ_IS14_E10value_typeET4_jRbjT5_S1A_jjP12ihipStream_tbEUljE_EEESV_SW_SX_S14_S18_S1A_T6_T7_T9_mT8_S1C_bDpT10_ENKUlT_T0_E_clISt17integral_constantIbLb0EES1O_IbLb1EEEEDaS1K_S1L_EUlS1K_E_NS1_11comp_targetILNS1_3genE0ELNS1_11target_archE4294967295ELNS1_3gpuE0ELNS1_3repE0EEENS1_30default_config_static_selectorELNS0_4arch9wavefront6targetE1EEEvSY_: ; @_ZN7rocprim17ROCPRIM_400000_NS6detail17trampoline_kernelINS0_13select_configILj256ELj13ELNS0_17block_load_methodE3ELS4_3ELS4_3ELNS0_20block_scan_algorithmE0ELj4294967295EEENS1_25partition_config_selectorILNS1_17partition_subalgoE3EjNS0_10empty_typeEbEEZZNS1_14partition_implILS8_3ELb0ES6_jNS0_17counting_iteratorIjlEEPS9_SE_NS0_5tupleIJPjSE_EEENSF_IJSE_SE_EEES9_SG_JZNS1_25segmented_radix_sort_implINS0_14default_configELb0EPKsPsPKlPlN2at6native12_GLOBAL__N_18offset_tEEE10hipError_tPvRmT1_PNSt15iterator_traitsISY_E10value_typeET2_T3_PNSZ_IS14_E10value_typeET4_jRbjT5_S1A_jjP12ihipStream_tbEUljE_EEESV_SW_SX_S14_S18_S1A_T6_T7_T9_mT8_S1C_bDpT10_ENKUlT_T0_E_clISt17integral_constantIbLb0EES1O_IbLb1EEEEDaS1K_S1L_EUlS1K_E_NS1_11comp_targetILNS1_3genE0ELNS1_11target_archE4294967295ELNS1_3gpuE0ELNS1_3repE0EEENS1_30default_config_static_selectorELNS0_4arch9wavefront6targetE1EEEvSY_
; %bb.0:
	.section	.rodata,"a",@progbits
	.p2align	6, 0x0
	.amdhsa_kernel _ZN7rocprim17ROCPRIM_400000_NS6detail17trampoline_kernelINS0_13select_configILj256ELj13ELNS0_17block_load_methodE3ELS4_3ELS4_3ELNS0_20block_scan_algorithmE0ELj4294967295EEENS1_25partition_config_selectorILNS1_17partition_subalgoE3EjNS0_10empty_typeEbEEZZNS1_14partition_implILS8_3ELb0ES6_jNS0_17counting_iteratorIjlEEPS9_SE_NS0_5tupleIJPjSE_EEENSF_IJSE_SE_EEES9_SG_JZNS1_25segmented_radix_sort_implINS0_14default_configELb0EPKsPsPKlPlN2at6native12_GLOBAL__N_18offset_tEEE10hipError_tPvRmT1_PNSt15iterator_traitsISY_E10value_typeET2_T3_PNSZ_IS14_E10value_typeET4_jRbjT5_S1A_jjP12ihipStream_tbEUljE_EEESV_SW_SX_S14_S18_S1A_T6_T7_T9_mT8_S1C_bDpT10_ENKUlT_T0_E_clISt17integral_constantIbLb0EES1O_IbLb1EEEEDaS1K_S1L_EUlS1K_E_NS1_11comp_targetILNS1_3genE0ELNS1_11target_archE4294967295ELNS1_3gpuE0ELNS1_3repE0EEENS1_30default_config_static_selectorELNS0_4arch9wavefront6targetE1EEEvSY_
		.amdhsa_group_segment_fixed_size 0
		.amdhsa_private_segment_fixed_size 0
		.amdhsa_kernarg_size 152
		.amdhsa_user_sgpr_count 6
		.amdhsa_user_sgpr_private_segment_buffer 1
		.amdhsa_user_sgpr_dispatch_ptr 0
		.amdhsa_user_sgpr_queue_ptr 0
		.amdhsa_user_sgpr_kernarg_segment_ptr 1
		.amdhsa_user_sgpr_dispatch_id 0
		.amdhsa_user_sgpr_flat_scratch_init 0
		.amdhsa_user_sgpr_kernarg_preload_length 0
		.amdhsa_user_sgpr_kernarg_preload_offset 0
		.amdhsa_user_sgpr_private_segment_size 0
		.amdhsa_uses_dynamic_stack 0
		.amdhsa_system_sgpr_private_segment_wavefront_offset 0
		.amdhsa_system_sgpr_workgroup_id_x 1
		.amdhsa_system_sgpr_workgroup_id_y 0
		.amdhsa_system_sgpr_workgroup_id_z 0
		.amdhsa_system_sgpr_workgroup_info 0
		.amdhsa_system_vgpr_workitem_id 0
		.amdhsa_next_free_vgpr 1
		.amdhsa_next_free_sgpr 0
		.amdhsa_accum_offset 4
		.amdhsa_reserve_vcc 0
		.amdhsa_reserve_flat_scratch 0
		.amdhsa_float_round_mode_32 0
		.amdhsa_float_round_mode_16_64 0
		.amdhsa_float_denorm_mode_32 3
		.amdhsa_float_denorm_mode_16_64 3
		.amdhsa_dx10_clamp 1
		.amdhsa_ieee_mode 1
		.amdhsa_fp16_overflow 0
		.amdhsa_tg_split 0
		.amdhsa_exception_fp_ieee_invalid_op 0
		.amdhsa_exception_fp_denorm_src 0
		.amdhsa_exception_fp_ieee_div_zero 0
		.amdhsa_exception_fp_ieee_overflow 0
		.amdhsa_exception_fp_ieee_underflow 0
		.amdhsa_exception_fp_ieee_inexact 0
		.amdhsa_exception_int_div_zero 0
	.end_amdhsa_kernel
	.section	.text._ZN7rocprim17ROCPRIM_400000_NS6detail17trampoline_kernelINS0_13select_configILj256ELj13ELNS0_17block_load_methodE3ELS4_3ELS4_3ELNS0_20block_scan_algorithmE0ELj4294967295EEENS1_25partition_config_selectorILNS1_17partition_subalgoE3EjNS0_10empty_typeEbEEZZNS1_14partition_implILS8_3ELb0ES6_jNS0_17counting_iteratorIjlEEPS9_SE_NS0_5tupleIJPjSE_EEENSF_IJSE_SE_EEES9_SG_JZNS1_25segmented_radix_sort_implINS0_14default_configELb0EPKsPsPKlPlN2at6native12_GLOBAL__N_18offset_tEEE10hipError_tPvRmT1_PNSt15iterator_traitsISY_E10value_typeET2_T3_PNSZ_IS14_E10value_typeET4_jRbjT5_S1A_jjP12ihipStream_tbEUljE_EEESV_SW_SX_S14_S18_S1A_T6_T7_T9_mT8_S1C_bDpT10_ENKUlT_T0_E_clISt17integral_constantIbLb0EES1O_IbLb1EEEEDaS1K_S1L_EUlS1K_E_NS1_11comp_targetILNS1_3genE0ELNS1_11target_archE4294967295ELNS1_3gpuE0ELNS1_3repE0EEENS1_30default_config_static_selectorELNS0_4arch9wavefront6targetE1EEEvSY_,"axG",@progbits,_ZN7rocprim17ROCPRIM_400000_NS6detail17trampoline_kernelINS0_13select_configILj256ELj13ELNS0_17block_load_methodE3ELS4_3ELS4_3ELNS0_20block_scan_algorithmE0ELj4294967295EEENS1_25partition_config_selectorILNS1_17partition_subalgoE3EjNS0_10empty_typeEbEEZZNS1_14partition_implILS8_3ELb0ES6_jNS0_17counting_iteratorIjlEEPS9_SE_NS0_5tupleIJPjSE_EEENSF_IJSE_SE_EEES9_SG_JZNS1_25segmented_radix_sort_implINS0_14default_configELb0EPKsPsPKlPlN2at6native12_GLOBAL__N_18offset_tEEE10hipError_tPvRmT1_PNSt15iterator_traitsISY_E10value_typeET2_T3_PNSZ_IS14_E10value_typeET4_jRbjT5_S1A_jjP12ihipStream_tbEUljE_EEESV_SW_SX_S14_S18_S1A_T6_T7_T9_mT8_S1C_bDpT10_ENKUlT_T0_E_clISt17integral_constantIbLb0EES1O_IbLb1EEEEDaS1K_S1L_EUlS1K_E_NS1_11comp_targetILNS1_3genE0ELNS1_11target_archE4294967295ELNS1_3gpuE0ELNS1_3repE0EEENS1_30default_config_static_selectorELNS0_4arch9wavefront6targetE1EEEvSY_,comdat
.Lfunc_end1005:
	.size	_ZN7rocprim17ROCPRIM_400000_NS6detail17trampoline_kernelINS0_13select_configILj256ELj13ELNS0_17block_load_methodE3ELS4_3ELS4_3ELNS0_20block_scan_algorithmE0ELj4294967295EEENS1_25partition_config_selectorILNS1_17partition_subalgoE3EjNS0_10empty_typeEbEEZZNS1_14partition_implILS8_3ELb0ES6_jNS0_17counting_iteratorIjlEEPS9_SE_NS0_5tupleIJPjSE_EEENSF_IJSE_SE_EEES9_SG_JZNS1_25segmented_radix_sort_implINS0_14default_configELb0EPKsPsPKlPlN2at6native12_GLOBAL__N_18offset_tEEE10hipError_tPvRmT1_PNSt15iterator_traitsISY_E10value_typeET2_T3_PNSZ_IS14_E10value_typeET4_jRbjT5_S1A_jjP12ihipStream_tbEUljE_EEESV_SW_SX_S14_S18_S1A_T6_T7_T9_mT8_S1C_bDpT10_ENKUlT_T0_E_clISt17integral_constantIbLb0EES1O_IbLb1EEEEDaS1K_S1L_EUlS1K_E_NS1_11comp_targetILNS1_3genE0ELNS1_11target_archE4294967295ELNS1_3gpuE0ELNS1_3repE0EEENS1_30default_config_static_selectorELNS0_4arch9wavefront6targetE1EEEvSY_, .Lfunc_end1005-_ZN7rocprim17ROCPRIM_400000_NS6detail17trampoline_kernelINS0_13select_configILj256ELj13ELNS0_17block_load_methodE3ELS4_3ELS4_3ELNS0_20block_scan_algorithmE0ELj4294967295EEENS1_25partition_config_selectorILNS1_17partition_subalgoE3EjNS0_10empty_typeEbEEZZNS1_14partition_implILS8_3ELb0ES6_jNS0_17counting_iteratorIjlEEPS9_SE_NS0_5tupleIJPjSE_EEENSF_IJSE_SE_EEES9_SG_JZNS1_25segmented_radix_sort_implINS0_14default_configELb0EPKsPsPKlPlN2at6native12_GLOBAL__N_18offset_tEEE10hipError_tPvRmT1_PNSt15iterator_traitsISY_E10value_typeET2_T3_PNSZ_IS14_E10value_typeET4_jRbjT5_S1A_jjP12ihipStream_tbEUljE_EEESV_SW_SX_S14_S18_S1A_T6_T7_T9_mT8_S1C_bDpT10_ENKUlT_T0_E_clISt17integral_constantIbLb0EES1O_IbLb1EEEEDaS1K_S1L_EUlS1K_E_NS1_11comp_targetILNS1_3genE0ELNS1_11target_archE4294967295ELNS1_3gpuE0ELNS1_3repE0EEENS1_30default_config_static_selectorELNS0_4arch9wavefront6targetE1EEEvSY_
                                        ; -- End function
	.section	.AMDGPU.csdata,"",@progbits
; Kernel info:
; codeLenInByte = 0
; NumSgprs: 4
; NumVgprs: 0
; NumAgprs: 0
; TotalNumVgprs: 0
; ScratchSize: 0
; MemoryBound: 0
; FloatMode: 240
; IeeeMode: 1
; LDSByteSize: 0 bytes/workgroup (compile time only)
; SGPRBlocks: 0
; VGPRBlocks: 0
; NumSGPRsForWavesPerEU: 4
; NumVGPRsForWavesPerEU: 1
; AccumOffset: 4
; Occupancy: 8
; WaveLimiterHint : 0
; COMPUTE_PGM_RSRC2:SCRATCH_EN: 0
; COMPUTE_PGM_RSRC2:USER_SGPR: 6
; COMPUTE_PGM_RSRC2:TRAP_HANDLER: 0
; COMPUTE_PGM_RSRC2:TGID_X_EN: 1
; COMPUTE_PGM_RSRC2:TGID_Y_EN: 0
; COMPUTE_PGM_RSRC2:TGID_Z_EN: 0
; COMPUTE_PGM_RSRC2:TIDIG_COMP_CNT: 0
; COMPUTE_PGM_RSRC3_GFX90A:ACCUM_OFFSET: 0
; COMPUTE_PGM_RSRC3_GFX90A:TG_SPLIT: 0
	.section	.text._ZN7rocprim17ROCPRIM_400000_NS6detail17trampoline_kernelINS0_13select_configILj256ELj13ELNS0_17block_load_methodE3ELS4_3ELS4_3ELNS0_20block_scan_algorithmE0ELj4294967295EEENS1_25partition_config_selectorILNS1_17partition_subalgoE3EjNS0_10empty_typeEbEEZZNS1_14partition_implILS8_3ELb0ES6_jNS0_17counting_iteratorIjlEEPS9_SE_NS0_5tupleIJPjSE_EEENSF_IJSE_SE_EEES9_SG_JZNS1_25segmented_radix_sort_implINS0_14default_configELb0EPKsPsPKlPlN2at6native12_GLOBAL__N_18offset_tEEE10hipError_tPvRmT1_PNSt15iterator_traitsISY_E10value_typeET2_T3_PNSZ_IS14_E10value_typeET4_jRbjT5_S1A_jjP12ihipStream_tbEUljE_EEESV_SW_SX_S14_S18_S1A_T6_T7_T9_mT8_S1C_bDpT10_ENKUlT_T0_E_clISt17integral_constantIbLb0EES1O_IbLb1EEEEDaS1K_S1L_EUlS1K_E_NS1_11comp_targetILNS1_3genE5ELNS1_11target_archE942ELNS1_3gpuE9ELNS1_3repE0EEENS1_30default_config_static_selectorELNS0_4arch9wavefront6targetE1EEEvSY_,"axG",@progbits,_ZN7rocprim17ROCPRIM_400000_NS6detail17trampoline_kernelINS0_13select_configILj256ELj13ELNS0_17block_load_methodE3ELS4_3ELS4_3ELNS0_20block_scan_algorithmE0ELj4294967295EEENS1_25partition_config_selectorILNS1_17partition_subalgoE3EjNS0_10empty_typeEbEEZZNS1_14partition_implILS8_3ELb0ES6_jNS0_17counting_iteratorIjlEEPS9_SE_NS0_5tupleIJPjSE_EEENSF_IJSE_SE_EEES9_SG_JZNS1_25segmented_radix_sort_implINS0_14default_configELb0EPKsPsPKlPlN2at6native12_GLOBAL__N_18offset_tEEE10hipError_tPvRmT1_PNSt15iterator_traitsISY_E10value_typeET2_T3_PNSZ_IS14_E10value_typeET4_jRbjT5_S1A_jjP12ihipStream_tbEUljE_EEESV_SW_SX_S14_S18_S1A_T6_T7_T9_mT8_S1C_bDpT10_ENKUlT_T0_E_clISt17integral_constantIbLb0EES1O_IbLb1EEEEDaS1K_S1L_EUlS1K_E_NS1_11comp_targetILNS1_3genE5ELNS1_11target_archE942ELNS1_3gpuE9ELNS1_3repE0EEENS1_30default_config_static_selectorELNS0_4arch9wavefront6targetE1EEEvSY_,comdat
	.globl	_ZN7rocprim17ROCPRIM_400000_NS6detail17trampoline_kernelINS0_13select_configILj256ELj13ELNS0_17block_load_methodE3ELS4_3ELS4_3ELNS0_20block_scan_algorithmE0ELj4294967295EEENS1_25partition_config_selectorILNS1_17partition_subalgoE3EjNS0_10empty_typeEbEEZZNS1_14partition_implILS8_3ELb0ES6_jNS0_17counting_iteratorIjlEEPS9_SE_NS0_5tupleIJPjSE_EEENSF_IJSE_SE_EEES9_SG_JZNS1_25segmented_radix_sort_implINS0_14default_configELb0EPKsPsPKlPlN2at6native12_GLOBAL__N_18offset_tEEE10hipError_tPvRmT1_PNSt15iterator_traitsISY_E10value_typeET2_T3_PNSZ_IS14_E10value_typeET4_jRbjT5_S1A_jjP12ihipStream_tbEUljE_EEESV_SW_SX_S14_S18_S1A_T6_T7_T9_mT8_S1C_bDpT10_ENKUlT_T0_E_clISt17integral_constantIbLb0EES1O_IbLb1EEEEDaS1K_S1L_EUlS1K_E_NS1_11comp_targetILNS1_3genE5ELNS1_11target_archE942ELNS1_3gpuE9ELNS1_3repE0EEENS1_30default_config_static_selectorELNS0_4arch9wavefront6targetE1EEEvSY_ ; -- Begin function _ZN7rocprim17ROCPRIM_400000_NS6detail17trampoline_kernelINS0_13select_configILj256ELj13ELNS0_17block_load_methodE3ELS4_3ELS4_3ELNS0_20block_scan_algorithmE0ELj4294967295EEENS1_25partition_config_selectorILNS1_17partition_subalgoE3EjNS0_10empty_typeEbEEZZNS1_14partition_implILS8_3ELb0ES6_jNS0_17counting_iteratorIjlEEPS9_SE_NS0_5tupleIJPjSE_EEENSF_IJSE_SE_EEES9_SG_JZNS1_25segmented_radix_sort_implINS0_14default_configELb0EPKsPsPKlPlN2at6native12_GLOBAL__N_18offset_tEEE10hipError_tPvRmT1_PNSt15iterator_traitsISY_E10value_typeET2_T3_PNSZ_IS14_E10value_typeET4_jRbjT5_S1A_jjP12ihipStream_tbEUljE_EEESV_SW_SX_S14_S18_S1A_T6_T7_T9_mT8_S1C_bDpT10_ENKUlT_T0_E_clISt17integral_constantIbLb0EES1O_IbLb1EEEEDaS1K_S1L_EUlS1K_E_NS1_11comp_targetILNS1_3genE5ELNS1_11target_archE942ELNS1_3gpuE9ELNS1_3repE0EEENS1_30default_config_static_selectorELNS0_4arch9wavefront6targetE1EEEvSY_
	.p2align	8
	.type	_ZN7rocprim17ROCPRIM_400000_NS6detail17trampoline_kernelINS0_13select_configILj256ELj13ELNS0_17block_load_methodE3ELS4_3ELS4_3ELNS0_20block_scan_algorithmE0ELj4294967295EEENS1_25partition_config_selectorILNS1_17partition_subalgoE3EjNS0_10empty_typeEbEEZZNS1_14partition_implILS8_3ELb0ES6_jNS0_17counting_iteratorIjlEEPS9_SE_NS0_5tupleIJPjSE_EEENSF_IJSE_SE_EEES9_SG_JZNS1_25segmented_radix_sort_implINS0_14default_configELb0EPKsPsPKlPlN2at6native12_GLOBAL__N_18offset_tEEE10hipError_tPvRmT1_PNSt15iterator_traitsISY_E10value_typeET2_T3_PNSZ_IS14_E10value_typeET4_jRbjT5_S1A_jjP12ihipStream_tbEUljE_EEESV_SW_SX_S14_S18_S1A_T6_T7_T9_mT8_S1C_bDpT10_ENKUlT_T0_E_clISt17integral_constantIbLb0EES1O_IbLb1EEEEDaS1K_S1L_EUlS1K_E_NS1_11comp_targetILNS1_3genE5ELNS1_11target_archE942ELNS1_3gpuE9ELNS1_3repE0EEENS1_30default_config_static_selectorELNS0_4arch9wavefront6targetE1EEEvSY_,@function
_ZN7rocprim17ROCPRIM_400000_NS6detail17trampoline_kernelINS0_13select_configILj256ELj13ELNS0_17block_load_methodE3ELS4_3ELS4_3ELNS0_20block_scan_algorithmE0ELj4294967295EEENS1_25partition_config_selectorILNS1_17partition_subalgoE3EjNS0_10empty_typeEbEEZZNS1_14partition_implILS8_3ELb0ES6_jNS0_17counting_iteratorIjlEEPS9_SE_NS0_5tupleIJPjSE_EEENSF_IJSE_SE_EEES9_SG_JZNS1_25segmented_radix_sort_implINS0_14default_configELb0EPKsPsPKlPlN2at6native12_GLOBAL__N_18offset_tEEE10hipError_tPvRmT1_PNSt15iterator_traitsISY_E10value_typeET2_T3_PNSZ_IS14_E10value_typeET4_jRbjT5_S1A_jjP12ihipStream_tbEUljE_EEESV_SW_SX_S14_S18_S1A_T6_T7_T9_mT8_S1C_bDpT10_ENKUlT_T0_E_clISt17integral_constantIbLb0EES1O_IbLb1EEEEDaS1K_S1L_EUlS1K_E_NS1_11comp_targetILNS1_3genE5ELNS1_11target_archE942ELNS1_3gpuE9ELNS1_3repE0EEENS1_30default_config_static_selectorELNS0_4arch9wavefront6targetE1EEEvSY_: ; @_ZN7rocprim17ROCPRIM_400000_NS6detail17trampoline_kernelINS0_13select_configILj256ELj13ELNS0_17block_load_methodE3ELS4_3ELS4_3ELNS0_20block_scan_algorithmE0ELj4294967295EEENS1_25partition_config_selectorILNS1_17partition_subalgoE3EjNS0_10empty_typeEbEEZZNS1_14partition_implILS8_3ELb0ES6_jNS0_17counting_iteratorIjlEEPS9_SE_NS0_5tupleIJPjSE_EEENSF_IJSE_SE_EEES9_SG_JZNS1_25segmented_radix_sort_implINS0_14default_configELb0EPKsPsPKlPlN2at6native12_GLOBAL__N_18offset_tEEE10hipError_tPvRmT1_PNSt15iterator_traitsISY_E10value_typeET2_T3_PNSZ_IS14_E10value_typeET4_jRbjT5_S1A_jjP12ihipStream_tbEUljE_EEESV_SW_SX_S14_S18_S1A_T6_T7_T9_mT8_S1C_bDpT10_ENKUlT_T0_E_clISt17integral_constantIbLb0EES1O_IbLb1EEEEDaS1K_S1L_EUlS1K_E_NS1_11comp_targetILNS1_3genE5ELNS1_11target_archE942ELNS1_3gpuE9ELNS1_3repE0EEENS1_30default_config_static_selectorELNS0_4arch9wavefront6targetE1EEEvSY_
; %bb.0:
	.section	.rodata,"a",@progbits
	.p2align	6, 0x0
	.amdhsa_kernel _ZN7rocprim17ROCPRIM_400000_NS6detail17trampoline_kernelINS0_13select_configILj256ELj13ELNS0_17block_load_methodE3ELS4_3ELS4_3ELNS0_20block_scan_algorithmE0ELj4294967295EEENS1_25partition_config_selectorILNS1_17partition_subalgoE3EjNS0_10empty_typeEbEEZZNS1_14partition_implILS8_3ELb0ES6_jNS0_17counting_iteratorIjlEEPS9_SE_NS0_5tupleIJPjSE_EEENSF_IJSE_SE_EEES9_SG_JZNS1_25segmented_radix_sort_implINS0_14default_configELb0EPKsPsPKlPlN2at6native12_GLOBAL__N_18offset_tEEE10hipError_tPvRmT1_PNSt15iterator_traitsISY_E10value_typeET2_T3_PNSZ_IS14_E10value_typeET4_jRbjT5_S1A_jjP12ihipStream_tbEUljE_EEESV_SW_SX_S14_S18_S1A_T6_T7_T9_mT8_S1C_bDpT10_ENKUlT_T0_E_clISt17integral_constantIbLb0EES1O_IbLb1EEEEDaS1K_S1L_EUlS1K_E_NS1_11comp_targetILNS1_3genE5ELNS1_11target_archE942ELNS1_3gpuE9ELNS1_3repE0EEENS1_30default_config_static_selectorELNS0_4arch9wavefront6targetE1EEEvSY_
		.amdhsa_group_segment_fixed_size 0
		.amdhsa_private_segment_fixed_size 0
		.amdhsa_kernarg_size 152
		.amdhsa_user_sgpr_count 6
		.amdhsa_user_sgpr_private_segment_buffer 1
		.amdhsa_user_sgpr_dispatch_ptr 0
		.amdhsa_user_sgpr_queue_ptr 0
		.amdhsa_user_sgpr_kernarg_segment_ptr 1
		.amdhsa_user_sgpr_dispatch_id 0
		.amdhsa_user_sgpr_flat_scratch_init 0
		.amdhsa_user_sgpr_kernarg_preload_length 0
		.amdhsa_user_sgpr_kernarg_preload_offset 0
		.amdhsa_user_sgpr_private_segment_size 0
		.amdhsa_uses_dynamic_stack 0
		.amdhsa_system_sgpr_private_segment_wavefront_offset 0
		.amdhsa_system_sgpr_workgroup_id_x 1
		.amdhsa_system_sgpr_workgroup_id_y 0
		.amdhsa_system_sgpr_workgroup_id_z 0
		.amdhsa_system_sgpr_workgroup_info 0
		.amdhsa_system_vgpr_workitem_id 0
		.amdhsa_next_free_vgpr 1
		.amdhsa_next_free_sgpr 0
		.amdhsa_accum_offset 4
		.amdhsa_reserve_vcc 0
		.amdhsa_reserve_flat_scratch 0
		.amdhsa_float_round_mode_32 0
		.amdhsa_float_round_mode_16_64 0
		.amdhsa_float_denorm_mode_32 3
		.amdhsa_float_denorm_mode_16_64 3
		.amdhsa_dx10_clamp 1
		.amdhsa_ieee_mode 1
		.amdhsa_fp16_overflow 0
		.amdhsa_tg_split 0
		.amdhsa_exception_fp_ieee_invalid_op 0
		.amdhsa_exception_fp_denorm_src 0
		.amdhsa_exception_fp_ieee_div_zero 0
		.amdhsa_exception_fp_ieee_overflow 0
		.amdhsa_exception_fp_ieee_underflow 0
		.amdhsa_exception_fp_ieee_inexact 0
		.amdhsa_exception_int_div_zero 0
	.end_amdhsa_kernel
	.section	.text._ZN7rocprim17ROCPRIM_400000_NS6detail17trampoline_kernelINS0_13select_configILj256ELj13ELNS0_17block_load_methodE3ELS4_3ELS4_3ELNS0_20block_scan_algorithmE0ELj4294967295EEENS1_25partition_config_selectorILNS1_17partition_subalgoE3EjNS0_10empty_typeEbEEZZNS1_14partition_implILS8_3ELb0ES6_jNS0_17counting_iteratorIjlEEPS9_SE_NS0_5tupleIJPjSE_EEENSF_IJSE_SE_EEES9_SG_JZNS1_25segmented_radix_sort_implINS0_14default_configELb0EPKsPsPKlPlN2at6native12_GLOBAL__N_18offset_tEEE10hipError_tPvRmT1_PNSt15iterator_traitsISY_E10value_typeET2_T3_PNSZ_IS14_E10value_typeET4_jRbjT5_S1A_jjP12ihipStream_tbEUljE_EEESV_SW_SX_S14_S18_S1A_T6_T7_T9_mT8_S1C_bDpT10_ENKUlT_T0_E_clISt17integral_constantIbLb0EES1O_IbLb1EEEEDaS1K_S1L_EUlS1K_E_NS1_11comp_targetILNS1_3genE5ELNS1_11target_archE942ELNS1_3gpuE9ELNS1_3repE0EEENS1_30default_config_static_selectorELNS0_4arch9wavefront6targetE1EEEvSY_,"axG",@progbits,_ZN7rocprim17ROCPRIM_400000_NS6detail17trampoline_kernelINS0_13select_configILj256ELj13ELNS0_17block_load_methodE3ELS4_3ELS4_3ELNS0_20block_scan_algorithmE0ELj4294967295EEENS1_25partition_config_selectorILNS1_17partition_subalgoE3EjNS0_10empty_typeEbEEZZNS1_14partition_implILS8_3ELb0ES6_jNS0_17counting_iteratorIjlEEPS9_SE_NS0_5tupleIJPjSE_EEENSF_IJSE_SE_EEES9_SG_JZNS1_25segmented_radix_sort_implINS0_14default_configELb0EPKsPsPKlPlN2at6native12_GLOBAL__N_18offset_tEEE10hipError_tPvRmT1_PNSt15iterator_traitsISY_E10value_typeET2_T3_PNSZ_IS14_E10value_typeET4_jRbjT5_S1A_jjP12ihipStream_tbEUljE_EEESV_SW_SX_S14_S18_S1A_T6_T7_T9_mT8_S1C_bDpT10_ENKUlT_T0_E_clISt17integral_constantIbLb0EES1O_IbLb1EEEEDaS1K_S1L_EUlS1K_E_NS1_11comp_targetILNS1_3genE5ELNS1_11target_archE942ELNS1_3gpuE9ELNS1_3repE0EEENS1_30default_config_static_selectorELNS0_4arch9wavefront6targetE1EEEvSY_,comdat
.Lfunc_end1006:
	.size	_ZN7rocprim17ROCPRIM_400000_NS6detail17trampoline_kernelINS0_13select_configILj256ELj13ELNS0_17block_load_methodE3ELS4_3ELS4_3ELNS0_20block_scan_algorithmE0ELj4294967295EEENS1_25partition_config_selectorILNS1_17partition_subalgoE3EjNS0_10empty_typeEbEEZZNS1_14partition_implILS8_3ELb0ES6_jNS0_17counting_iteratorIjlEEPS9_SE_NS0_5tupleIJPjSE_EEENSF_IJSE_SE_EEES9_SG_JZNS1_25segmented_radix_sort_implINS0_14default_configELb0EPKsPsPKlPlN2at6native12_GLOBAL__N_18offset_tEEE10hipError_tPvRmT1_PNSt15iterator_traitsISY_E10value_typeET2_T3_PNSZ_IS14_E10value_typeET4_jRbjT5_S1A_jjP12ihipStream_tbEUljE_EEESV_SW_SX_S14_S18_S1A_T6_T7_T9_mT8_S1C_bDpT10_ENKUlT_T0_E_clISt17integral_constantIbLb0EES1O_IbLb1EEEEDaS1K_S1L_EUlS1K_E_NS1_11comp_targetILNS1_3genE5ELNS1_11target_archE942ELNS1_3gpuE9ELNS1_3repE0EEENS1_30default_config_static_selectorELNS0_4arch9wavefront6targetE1EEEvSY_, .Lfunc_end1006-_ZN7rocprim17ROCPRIM_400000_NS6detail17trampoline_kernelINS0_13select_configILj256ELj13ELNS0_17block_load_methodE3ELS4_3ELS4_3ELNS0_20block_scan_algorithmE0ELj4294967295EEENS1_25partition_config_selectorILNS1_17partition_subalgoE3EjNS0_10empty_typeEbEEZZNS1_14partition_implILS8_3ELb0ES6_jNS0_17counting_iteratorIjlEEPS9_SE_NS0_5tupleIJPjSE_EEENSF_IJSE_SE_EEES9_SG_JZNS1_25segmented_radix_sort_implINS0_14default_configELb0EPKsPsPKlPlN2at6native12_GLOBAL__N_18offset_tEEE10hipError_tPvRmT1_PNSt15iterator_traitsISY_E10value_typeET2_T3_PNSZ_IS14_E10value_typeET4_jRbjT5_S1A_jjP12ihipStream_tbEUljE_EEESV_SW_SX_S14_S18_S1A_T6_T7_T9_mT8_S1C_bDpT10_ENKUlT_T0_E_clISt17integral_constantIbLb0EES1O_IbLb1EEEEDaS1K_S1L_EUlS1K_E_NS1_11comp_targetILNS1_3genE5ELNS1_11target_archE942ELNS1_3gpuE9ELNS1_3repE0EEENS1_30default_config_static_selectorELNS0_4arch9wavefront6targetE1EEEvSY_
                                        ; -- End function
	.section	.AMDGPU.csdata,"",@progbits
; Kernel info:
; codeLenInByte = 0
; NumSgprs: 4
; NumVgprs: 0
; NumAgprs: 0
; TotalNumVgprs: 0
; ScratchSize: 0
; MemoryBound: 0
; FloatMode: 240
; IeeeMode: 1
; LDSByteSize: 0 bytes/workgroup (compile time only)
; SGPRBlocks: 0
; VGPRBlocks: 0
; NumSGPRsForWavesPerEU: 4
; NumVGPRsForWavesPerEU: 1
; AccumOffset: 4
; Occupancy: 8
; WaveLimiterHint : 0
; COMPUTE_PGM_RSRC2:SCRATCH_EN: 0
; COMPUTE_PGM_RSRC2:USER_SGPR: 6
; COMPUTE_PGM_RSRC2:TRAP_HANDLER: 0
; COMPUTE_PGM_RSRC2:TGID_X_EN: 1
; COMPUTE_PGM_RSRC2:TGID_Y_EN: 0
; COMPUTE_PGM_RSRC2:TGID_Z_EN: 0
; COMPUTE_PGM_RSRC2:TIDIG_COMP_CNT: 0
; COMPUTE_PGM_RSRC3_GFX90A:ACCUM_OFFSET: 0
; COMPUTE_PGM_RSRC3_GFX90A:TG_SPLIT: 0
	.section	.text._ZN7rocprim17ROCPRIM_400000_NS6detail17trampoline_kernelINS0_13select_configILj256ELj13ELNS0_17block_load_methodE3ELS4_3ELS4_3ELNS0_20block_scan_algorithmE0ELj4294967295EEENS1_25partition_config_selectorILNS1_17partition_subalgoE3EjNS0_10empty_typeEbEEZZNS1_14partition_implILS8_3ELb0ES6_jNS0_17counting_iteratorIjlEEPS9_SE_NS0_5tupleIJPjSE_EEENSF_IJSE_SE_EEES9_SG_JZNS1_25segmented_radix_sort_implINS0_14default_configELb0EPKsPsPKlPlN2at6native12_GLOBAL__N_18offset_tEEE10hipError_tPvRmT1_PNSt15iterator_traitsISY_E10value_typeET2_T3_PNSZ_IS14_E10value_typeET4_jRbjT5_S1A_jjP12ihipStream_tbEUljE_EEESV_SW_SX_S14_S18_S1A_T6_T7_T9_mT8_S1C_bDpT10_ENKUlT_T0_E_clISt17integral_constantIbLb0EES1O_IbLb1EEEEDaS1K_S1L_EUlS1K_E_NS1_11comp_targetILNS1_3genE4ELNS1_11target_archE910ELNS1_3gpuE8ELNS1_3repE0EEENS1_30default_config_static_selectorELNS0_4arch9wavefront6targetE1EEEvSY_,"axG",@progbits,_ZN7rocprim17ROCPRIM_400000_NS6detail17trampoline_kernelINS0_13select_configILj256ELj13ELNS0_17block_load_methodE3ELS4_3ELS4_3ELNS0_20block_scan_algorithmE0ELj4294967295EEENS1_25partition_config_selectorILNS1_17partition_subalgoE3EjNS0_10empty_typeEbEEZZNS1_14partition_implILS8_3ELb0ES6_jNS0_17counting_iteratorIjlEEPS9_SE_NS0_5tupleIJPjSE_EEENSF_IJSE_SE_EEES9_SG_JZNS1_25segmented_radix_sort_implINS0_14default_configELb0EPKsPsPKlPlN2at6native12_GLOBAL__N_18offset_tEEE10hipError_tPvRmT1_PNSt15iterator_traitsISY_E10value_typeET2_T3_PNSZ_IS14_E10value_typeET4_jRbjT5_S1A_jjP12ihipStream_tbEUljE_EEESV_SW_SX_S14_S18_S1A_T6_T7_T9_mT8_S1C_bDpT10_ENKUlT_T0_E_clISt17integral_constantIbLb0EES1O_IbLb1EEEEDaS1K_S1L_EUlS1K_E_NS1_11comp_targetILNS1_3genE4ELNS1_11target_archE910ELNS1_3gpuE8ELNS1_3repE0EEENS1_30default_config_static_selectorELNS0_4arch9wavefront6targetE1EEEvSY_,comdat
	.globl	_ZN7rocprim17ROCPRIM_400000_NS6detail17trampoline_kernelINS0_13select_configILj256ELj13ELNS0_17block_load_methodE3ELS4_3ELS4_3ELNS0_20block_scan_algorithmE0ELj4294967295EEENS1_25partition_config_selectorILNS1_17partition_subalgoE3EjNS0_10empty_typeEbEEZZNS1_14partition_implILS8_3ELb0ES6_jNS0_17counting_iteratorIjlEEPS9_SE_NS0_5tupleIJPjSE_EEENSF_IJSE_SE_EEES9_SG_JZNS1_25segmented_radix_sort_implINS0_14default_configELb0EPKsPsPKlPlN2at6native12_GLOBAL__N_18offset_tEEE10hipError_tPvRmT1_PNSt15iterator_traitsISY_E10value_typeET2_T3_PNSZ_IS14_E10value_typeET4_jRbjT5_S1A_jjP12ihipStream_tbEUljE_EEESV_SW_SX_S14_S18_S1A_T6_T7_T9_mT8_S1C_bDpT10_ENKUlT_T0_E_clISt17integral_constantIbLb0EES1O_IbLb1EEEEDaS1K_S1L_EUlS1K_E_NS1_11comp_targetILNS1_3genE4ELNS1_11target_archE910ELNS1_3gpuE8ELNS1_3repE0EEENS1_30default_config_static_selectorELNS0_4arch9wavefront6targetE1EEEvSY_ ; -- Begin function _ZN7rocprim17ROCPRIM_400000_NS6detail17trampoline_kernelINS0_13select_configILj256ELj13ELNS0_17block_load_methodE3ELS4_3ELS4_3ELNS0_20block_scan_algorithmE0ELj4294967295EEENS1_25partition_config_selectorILNS1_17partition_subalgoE3EjNS0_10empty_typeEbEEZZNS1_14partition_implILS8_3ELb0ES6_jNS0_17counting_iteratorIjlEEPS9_SE_NS0_5tupleIJPjSE_EEENSF_IJSE_SE_EEES9_SG_JZNS1_25segmented_radix_sort_implINS0_14default_configELb0EPKsPsPKlPlN2at6native12_GLOBAL__N_18offset_tEEE10hipError_tPvRmT1_PNSt15iterator_traitsISY_E10value_typeET2_T3_PNSZ_IS14_E10value_typeET4_jRbjT5_S1A_jjP12ihipStream_tbEUljE_EEESV_SW_SX_S14_S18_S1A_T6_T7_T9_mT8_S1C_bDpT10_ENKUlT_T0_E_clISt17integral_constantIbLb0EES1O_IbLb1EEEEDaS1K_S1L_EUlS1K_E_NS1_11comp_targetILNS1_3genE4ELNS1_11target_archE910ELNS1_3gpuE8ELNS1_3repE0EEENS1_30default_config_static_selectorELNS0_4arch9wavefront6targetE1EEEvSY_
	.p2align	8
	.type	_ZN7rocprim17ROCPRIM_400000_NS6detail17trampoline_kernelINS0_13select_configILj256ELj13ELNS0_17block_load_methodE3ELS4_3ELS4_3ELNS0_20block_scan_algorithmE0ELj4294967295EEENS1_25partition_config_selectorILNS1_17partition_subalgoE3EjNS0_10empty_typeEbEEZZNS1_14partition_implILS8_3ELb0ES6_jNS0_17counting_iteratorIjlEEPS9_SE_NS0_5tupleIJPjSE_EEENSF_IJSE_SE_EEES9_SG_JZNS1_25segmented_radix_sort_implINS0_14default_configELb0EPKsPsPKlPlN2at6native12_GLOBAL__N_18offset_tEEE10hipError_tPvRmT1_PNSt15iterator_traitsISY_E10value_typeET2_T3_PNSZ_IS14_E10value_typeET4_jRbjT5_S1A_jjP12ihipStream_tbEUljE_EEESV_SW_SX_S14_S18_S1A_T6_T7_T9_mT8_S1C_bDpT10_ENKUlT_T0_E_clISt17integral_constantIbLb0EES1O_IbLb1EEEEDaS1K_S1L_EUlS1K_E_NS1_11comp_targetILNS1_3genE4ELNS1_11target_archE910ELNS1_3gpuE8ELNS1_3repE0EEENS1_30default_config_static_selectorELNS0_4arch9wavefront6targetE1EEEvSY_,@function
_ZN7rocprim17ROCPRIM_400000_NS6detail17trampoline_kernelINS0_13select_configILj256ELj13ELNS0_17block_load_methodE3ELS4_3ELS4_3ELNS0_20block_scan_algorithmE0ELj4294967295EEENS1_25partition_config_selectorILNS1_17partition_subalgoE3EjNS0_10empty_typeEbEEZZNS1_14partition_implILS8_3ELb0ES6_jNS0_17counting_iteratorIjlEEPS9_SE_NS0_5tupleIJPjSE_EEENSF_IJSE_SE_EEES9_SG_JZNS1_25segmented_radix_sort_implINS0_14default_configELb0EPKsPsPKlPlN2at6native12_GLOBAL__N_18offset_tEEE10hipError_tPvRmT1_PNSt15iterator_traitsISY_E10value_typeET2_T3_PNSZ_IS14_E10value_typeET4_jRbjT5_S1A_jjP12ihipStream_tbEUljE_EEESV_SW_SX_S14_S18_S1A_T6_T7_T9_mT8_S1C_bDpT10_ENKUlT_T0_E_clISt17integral_constantIbLb0EES1O_IbLb1EEEEDaS1K_S1L_EUlS1K_E_NS1_11comp_targetILNS1_3genE4ELNS1_11target_archE910ELNS1_3gpuE8ELNS1_3repE0EEENS1_30default_config_static_selectorELNS0_4arch9wavefront6targetE1EEEvSY_: ; @_ZN7rocprim17ROCPRIM_400000_NS6detail17trampoline_kernelINS0_13select_configILj256ELj13ELNS0_17block_load_methodE3ELS4_3ELS4_3ELNS0_20block_scan_algorithmE0ELj4294967295EEENS1_25partition_config_selectorILNS1_17partition_subalgoE3EjNS0_10empty_typeEbEEZZNS1_14partition_implILS8_3ELb0ES6_jNS0_17counting_iteratorIjlEEPS9_SE_NS0_5tupleIJPjSE_EEENSF_IJSE_SE_EEES9_SG_JZNS1_25segmented_radix_sort_implINS0_14default_configELb0EPKsPsPKlPlN2at6native12_GLOBAL__N_18offset_tEEE10hipError_tPvRmT1_PNSt15iterator_traitsISY_E10value_typeET2_T3_PNSZ_IS14_E10value_typeET4_jRbjT5_S1A_jjP12ihipStream_tbEUljE_EEESV_SW_SX_S14_S18_S1A_T6_T7_T9_mT8_S1C_bDpT10_ENKUlT_T0_E_clISt17integral_constantIbLb0EES1O_IbLb1EEEEDaS1K_S1L_EUlS1K_E_NS1_11comp_targetILNS1_3genE4ELNS1_11target_archE910ELNS1_3gpuE8ELNS1_3repE0EEENS1_30default_config_static_selectorELNS0_4arch9wavefront6targetE1EEEvSY_
; %bb.0:
	s_load_dwordx2 s[28:29], s[4:5], 0x10
	s_load_dwordx2 s[24:25], s[4:5], 0x28
	;; [unrolled: 1-line block ×3, first 2 shown]
	s_load_dwordx4 s[20:23], s[4:5], 0x48
	s_load_dword s14, s[4:5], 0x90
	s_load_dwordx2 s[30:31], s[4:5], 0x68
	s_load_dwordx4 s[8:11], s[4:5], 0x80
	v_cmp_eq_u32_e64 s[0:1], 0, v0
	s_and_saveexec_b64 s[2:3], s[0:1]
	s_cbranch_execz .LBB1007_4
; %bb.1:
	s_mov_b64 s[12:13], exec
	v_mbcnt_lo_u32_b32 v1, s12, 0
	v_mbcnt_hi_u32_b32 v1, s13, v1
	v_cmp_eq_u32_e32 vcc, 0, v1
                                        ; implicit-def: $vgpr2
	s_and_saveexec_b64 s[6:7], vcc
	s_cbranch_execz .LBB1007_3
; %bb.2:
	s_load_dwordx2 s[16:17], s[4:5], 0x78
	s_bcnt1_i32_b64 s12, s[12:13]
	v_mov_b32_e32 v2, 0
	v_mov_b32_e32 v3, s12
	s_waitcnt lgkmcnt(0)
	global_atomic_add v2, v2, v3, s[16:17] glc
.LBB1007_3:
	s_or_b64 exec, exec, s[6:7]
	s_waitcnt vmcnt(0)
	v_readfirstlane_b32 s6, v2
	v_add_u32_e32 v1, s6, v1
	v_mov_b32_e32 v2, 0
	ds_write_b32 v2, v1
.LBB1007_4:
	s_or_b64 exec, exec, s[2:3]
	v_mov_b32_e32 v1, 0
	s_load_dword s2, s[4:5], 0x8
	s_load_dword s6, s[4:5], 0x70
	s_waitcnt lgkmcnt(0)
	s_barrier
	ds_read_b32 v2, v1
	s_waitcnt lgkmcnt(0)
	s_barrier
	global_load_dwordx2 v[20:21], v1, s[22:23]
	s_add_i32 s7, s2, s28
	s_movk_i32 s2, 0xd00
	s_add_i32 s4, s6, -1
	s_mulk_i32 s6, 0xd00
	v_mul_lo_u32 v34, v2, s2
	s_add_u32 s2, s28, s6
	v_readfirstlane_b32 s40, v2
	s_addc_u32 s3, s29, 0
	s_cmp_eq_u32 s40, s4
	v_pk_mov_b32 v[2:3], s[26:27], s[26:27] op_sel:[0,1]
	s_cselect_b64 s[22:23], -1, 0
	s_cmp_lg_u32 s40, s4
	v_cmp_lt_u64_e32 vcc, s[2:3], v[2:3]
	s_cselect_b64 s[2:3], -1, 0
	s_or_b64 s[4:5], vcc, s[2:3]
	v_add_u32_e32 v1, s7, v34
	s_mov_b64 s[2:3], -1
	s_and_b64 vcc, exec, s[4:5]
	v_add_u32_e32 v2, v1, v0
	v_lshlrev_b32_e32 v1, 2, v0
	s_cbranch_vccz .LBB1007_6
; %bb.5:
	v_add_u32_e32 v3, 0x100, v2
	v_add_u32_e32 v4, 0x200, v2
	;; [unrolled: 1-line block ×12, first 2 shown]
	ds_write2st64_b32 v1, v2, v3 offset1:4
	ds_write2st64_b32 v1, v4, v5 offset0:8 offset1:12
	ds_write2st64_b32 v1, v6, v7 offset0:16 offset1:20
	;; [unrolled: 1-line block ×5, first 2 shown]
	ds_write_b32 v1, v14 offset:12288
	s_waitcnt lgkmcnt(0)
	s_barrier
	s_mov_b64 s[2:3], 0
.LBB1007_6:
	s_andn2_b64 vcc, exec, s[2:3]
	s_add_i32 s6, s6, s28
	s_cbranch_vccnz .LBB1007_8
; %bb.7:
	v_add_u32_e32 v3, 0x100, v2
	v_add_u32_e32 v4, 0x200, v2
	;; [unrolled: 1-line block ×12, first 2 shown]
	ds_write2st64_b32 v1, v2, v3 offset1:4
	ds_write2st64_b32 v1, v4, v5 offset0:8 offset1:12
	ds_write2st64_b32 v1, v6, v7 offset0:16 offset1:20
	;; [unrolled: 1-line block ×5, first 2 shown]
	ds_write_b32 v1, v14 offset:12288
	s_waitcnt lgkmcnt(0)
	s_barrier
.LBB1007_8:
	v_mul_u32_u24_e32 v36, 13, v0
	v_lshlrev_b32_e32 v2, 2, v36
	ds_read2_b32 v[32:33], v2 offset1:1
	ds_read2_b32 v[30:31], v2 offset0:2 offset1:3
	ds_read2_b32 v[28:29], v2 offset0:4 offset1:5
	;; [unrolled: 1-line block ×5, first 2 shown]
	ds_read_b32 v35, v2 offset:48
	v_cndmask_b32_e64 v2, 0, 1, s[4:5]
	s_sub_i32 s33, s26, s6
	v_cmp_ne_u32_e64 s[2:3], 1, v2
	s_andn2_b64 vcc, exec, s[4:5]
	s_waitcnt lgkmcnt(0)
	s_barrier
	s_cbranch_vccnz .LBB1007_10
; %bb.9:
	v_add_u32_e32 v2, s9, v32
	v_add_u32_e32 v3, s11, v32
	v_mul_lo_u32 v2, v2, s8
	v_mul_lo_u32 v3, v3, s10
	v_sub_u32_e32 v2, v2, v3
	v_add_u32_e32 v3, s9, v33
	v_add_u32_e32 v4, s11, v33
	v_mul_lo_u32 v3, v3, s8
	v_mul_lo_u32 v4, v4, s10
	v_sub_u32_e32 v3, v3, v4
	;; [unrolled: 5-line block ×6, first 2 shown]
	v_add_u32_e32 v8, s9, v26
	v_add_u32_e32 v9, s11, v26
	v_mul_lo_u32 v8, v8, s8
	v_mul_lo_u32 v9, v9, s10
	v_cmp_lt_u32_e32 vcc, s14, v2
	v_sub_u32_e32 v8, v8, v9
	v_add_u32_e32 v9, s9, v27
	v_add_u32_e32 v10, s11, v27
	v_cndmask_b32_e64 v2, 0, 1, vcc
	v_cmp_lt_u32_e32 vcc, s14, v3
	v_mul_lo_u32 v9, v9, s8
	v_mul_lo_u32 v10, v10, s10
	v_cndmask_b32_e64 v3, 0, 1, vcc
	v_cmp_lt_u32_e32 vcc, s14, v4
	v_sub_u32_e32 v9, v9, v10
	v_add_u32_e32 v10, s9, v24
	v_add_u32_e32 v11, s11, v24
	v_cndmask_b32_e64 v4, 0, 1, vcc
	v_cmp_lt_u32_e32 vcc, s14, v5
	v_mul_lo_u32 v10, v10, s8
	v_mul_lo_u32 v11, v11, s10
	v_cndmask_b32_e64 v5, 0, 1, vcc
	;; [unrolled: 9-line block ×4, first 2 shown]
	v_cmp_lt_u32_e32 vcc, s14, v10
	v_sub_u32_e32 v12, v12, v13
	v_add_u32_e32 v13, s9, v23
	v_add_u32_e32 v14, s11, v23
	v_lshlrev_b16_e32 v3, 8, v3
	v_cndmask_b32_e64 v10, 0, 1, vcc
	v_cmp_lt_u32_e32 vcc, s14, v11
	v_mul_lo_u32 v13, v13, s8
	v_mul_lo_u32 v14, v14, s10
	v_or_b32_e32 v2, v2, v3
	v_lshlrev_b16_e32 v3, 8, v5
	v_cndmask_b32_e64 v11, 0, 1, vcc
	v_cmp_lt_u32_e32 vcc, s14, v12
	v_sub_u32_e32 v13, v13, v14
	v_or_b32_sdwa v3, v4, v3 dst_sel:WORD_1 dst_unused:UNUSED_PAD src0_sel:DWORD src1_sel:DWORD
	v_cndmask_b32_e64 v12, 0, 1, vcc
	v_cmp_lt_u32_e32 vcc, s14, v13
	v_add_u32_e32 v14, s9, v35
	v_add_u32_e32 v15, s11, v35
	v_or_b32_sdwa v40, v2, v3 dst_sel:DWORD dst_unused:UNUSED_PAD src0_sel:WORD_0 src1_sel:DWORD
	v_lshlrev_b16_e32 v2, 8, v7
	v_lshlrev_b16_e32 v3, 8, v9
	v_cndmask_b32_e64 v13, 0, 1, vcc
	v_mul_lo_u32 v14, v14, s8
	v_mul_lo_u32 v15, v15, s10
	v_or_b32_e32 v2, v6, v2
	v_or_b32_sdwa v3, v8, v3 dst_sel:WORD_1 dst_unused:UNUSED_PAD src0_sel:DWORD src1_sel:DWORD
	v_sub_u32_e32 v14, v14, v15
	v_or_b32_sdwa v39, v2, v3 dst_sel:DWORD dst_unused:UNUSED_PAD src0_sel:WORD_0 src1_sel:DWORD
	v_lshlrev_b16_e32 v2, 8, v11
	v_lshlrev_b16_e32 v3, 8, v13
	v_cmp_lt_u32_e32 vcc, s14, v14
	v_or_b32_e32 v2, v10, v2
	v_or_b32_sdwa v3, v12, v3 dst_sel:WORD_1 dst_unused:UNUSED_PAD src0_sel:DWORD src1_sel:DWORD
	v_cndmask_b32_e64 v37, 0, 1, vcc
	v_or_b32_sdwa v38, v2, v3 dst_sel:DWORD dst_unused:UNUSED_PAD src0_sel:WORD_0 src1_sel:DWORD
	s_addk_i32 s33, 0xd00
	s_cbranch_execz .LBB1007_11
	s_branch .LBB1007_38
.LBB1007_10:
                                        ; implicit-def: $vgpr37
                                        ; implicit-def: $vgpr38
                                        ; implicit-def: $vgpr39
                                        ; implicit-def: $vgpr40
	s_addk_i32 s33, 0xd00
.LBB1007_11:
	v_cmp_gt_u32_e32 vcc, s33, v36
	v_mov_b32_e32 v3, 0
	v_mov_b32_e32 v2, 0
	s_and_saveexec_b64 s[4:5], vcc
; %bb.12:
	v_add_u32_e32 v2, s9, v32
	v_add_u32_e32 v4, s11, v32
	v_mul_lo_u32 v2, v2, s8
	v_mul_lo_u32 v4, v4, s10
	v_sub_u32_e32 v2, v2, v4
	v_cmp_lt_u32_e32 vcc, s14, v2
	v_cndmask_b32_e64 v2, 0, 1, vcc
; %bb.13:
	s_or_b64 exec, exec, s[4:5]
	v_add_u32_e32 v4, 1, v36
	v_cmp_gt_u32_e32 vcc, s33, v4
	s_and_saveexec_b64 s[4:5], vcc
; %bb.14:
	v_add_u32_e32 v3, s9, v33
	v_add_u32_e32 v4, s11, v33
	v_mul_lo_u32 v3, v3, s8
	v_mul_lo_u32 v4, v4, s10
	v_sub_u32_e32 v3, v3, v4
	v_cmp_lt_u32_e32 vcc, s14, v3
	v_cndmask_b32_e64 v3, 0, 1, vcc
; %bb.15:
	s_or_b64 exec, exec, s[4:5]
	v_add_u32_e32 v4, 2, v36
	v_cmp_gt_u32_e32 vcc, s33, v4
	v_mov_b32_e32 v5, 0
	v_mov_b32_e32 v4, 0
	s_and_saveexec_b64 s[4:5], vcc
; %bb.16:
	v_add_u32_e32 v4, s9, v30
	v_add_u32_e32 v6, s11, v30
	v_mul_lo_u32 v4, v4, s8
	v_mul_lo_u32 v6, v6, s10
	v_sub_u32_e32 v4, v4, v6
	v_cmp_lt_u32_e32 vcc, s14, v4
	v_cndmask_b32_e64 v4, 0, 1, vcc
; %bb.17:
	s_or_b64 exec, exec, s[4:5]
	v_add_u32_e32 v6, 3, v36
	v_cmp_gt_u32_e32 vcc, s33, v6
	s_and_saveexec_b64 s[4:5], vcc
; %bb.18:
	v_add_u32_e32 v5, s9, v31
	v_add_u32_e32 v6, s11, v31
	v_mul_lo_u32 v5, v5, s8
	v_mul_lo_u32 v6, v6, s10
	v_sub_u32_e32 v5, v5, v6
	v_cmp_lt_u32_e32 vcc, s14, v5
	v_cndmask_b32_e64 v5, 0, 1, vcc
; %bb.19:
	s_or_b64 exec, exec, s[4:5]
	v_add_u32_e32 v6, 4, v36
	;; [unrolled: 28-line block ×6, first 2 shown]
	v_cmp_gt_u32_e32 vcc, s33, v14
	v_mov_b32_e32 v37, 0
	s_and_saveexec_b64 s[4:5], vcc
; %bb.36:
	v_add_u32_e32 v14, s9, v35
	v_add_u32_e32 v15, s11, v35
	v_mul_lo_u32 v14, v14, s8
	v_mul_lo_u32 v15, v15, s10
	v_sub_u32_e32 v14, v14, v15
	v_cmp_lt_u32_e32 vcc, s14, v14
	v_cndmask_b32_e64 v37, 0, 1, vcc
; %bb.37:
	s_or_b64 exec, exec, s[4:5]
	v_lshlrev_b16_e32 v3, 8, v3
	v_or_b32_e32 v2, v2, v3
	v_lshlrev_b16_e32 v3, 8, v5
	v_or_b32_sdwa v3, v4, v3 dst_sel:WORD_1 dst_unused:UNUSED_PAD src0_sel:DWORD src1_sel:DWORD
	v_or_b32_sdwa v40, v2, v3 dst_sel:DWORD dst_unused:UNUSED_PAD src0_sel:WORD_0 src1_sel:DWORD
	v_lshlrev_b16_e32 v2, 8, v7
	v_lshlrev_b16_e32 v3, 8, v9
	v_or_b32_e32 v2, v6, v2
	v_or_b32_sdwa v3, v8, v3 dst_sel:WORD_1 dst_unused:UNUSED_PAD src0_sel:DWORD src1_sel:DWORD
	v_or_b32_sdwa v39, v2, v3 dst_sel:DWORD dst_unused:UNUSED_PAD src0_sel:WORD_0 src1_sel:DWORD
	v_lshlrev_b16_e32 v2, 8, v11
	v_lshlrev_b16_e32 v3, 8, v13
	v_or_b32_e32 v2, v10, v2
	v_or_b32_sdwa v3, v12, v3 dst_sel:WORD_1 dst_unused:UNUSED_PAD src0_sel:DWORD src1_sel:DWORD
	v_or_b32_sdwa v38, v2, v3 dst_sel:DWORD dst_unused:UNUSED_PAD src0_sel:WORD_0 src1_sel:DWORD
.LBB1007_38:
	v_and_b32_e32 v44, 0xff, v40
	v_bfe_u32 v45, v40, 8, 8
	v_bfe_u32 v46, v40, 16, 8
	v_lshrrev_b32_e32 v43, 24, v40
	v_and_b32_e32 v47, 0xff, v39
	v_add3_u32 v3, v45, v44, v46
	v_bfe_u32 v48, v39, 8, 8
	v_bfe_u32 v49, v39, 16, 8
	v_add3_u32 v3, v3, v43, v47
	v_lshrrev_b32_e32 v42, 24, v39
	v_and_b32_e32 v50, 0xff, v38
	v_add3_u32 v3, v3, v48, v49
	v_bfe_u32 v51, v38, 8, 8
	v_bfe_u32 v52, v38, 16, 8
	v_add3_u32 v3, v3, v42, v50
	v_lshrrev_b32_e32 v41, 24, v38
	v_and_b32_e32 v2, 0xff, v37
	v_add3_u32 v3, v3, v51, v52
	v_add3_u32 v55, v3, v41, v2
	v_mbcnt_lo_u32_b32 v2, -1, 0
	v_mbcnt_hi_u32_b32 v53, -1, v2
	v_and_b32_e32 v2, 15, v53
	v_cmp_eq_u32_e64 s[16:17], 0, v2
	v_cmp_lt_u32_e64 s[14:15], 1, v2
	v_cmp_lt_u32_e64 s[12:13], 3, v2
	;; [unrolled: 1-line block ×3, first 2 shown]
	v_and_b32_e32 v2, 16, v53
	v_cmp_eq_u32_e64 s[8:9], 0, v2
	v_or_b32_e32 v2, 63, v0
	s_cmp_lg_u32 s40, 0
	v_cmp_lt_u32_e64 s[4:5], 31, v53
	v_lshrrev_b32_e32 v54, 6, v0
	v_cmp_eq_u32_e64 s[6:7], v2, v0
	s_cbranch_scc0 .LBB1007_65
; %bb.39:
	v_mov_b32_dpp v2, v55 row_shr:1 row_mask:0xf bank_mask:0xf
	v_cndmask_b32_e64 v2, v2, 0, s[16:17]
	v_add_u32_e32 v2, v2, v55
	s_nop 1
	v_mov_b32_dpp v3, v2 row_shr:2 row_mask:0xf bank_mask:0xf
	v_cndmask_b32_e64 v3, 0, v3, s[14:15]
	v_add_u32_e32 v2, v2, v3
	s_nop 1
	v_mov_b32_dpp v3, v2 row_shr:4 row_mask:0xf bank_mask:0xf
	v_cndmask_b32_e64 v3, 0, v3, s[12:13]
	v_add_u32_e32 v2, v2, v3
	s_nop 1
	v_mov_b32_dpp v3, v2 row_shr:8 row_mask:0xf bank_mask:0xf
	v_cndmask_b32_e64 v3, 0, v3, s[10:11]
	v_add_u32_e32 v2, v2, v3
	s_nop 1
	v_mov_b32_dpp v3, v2 row_bcast:15 row_mask:0xf bank_mask:0xf
	v_cndmask_b32_e64 v3, v3, 0, s[8:9]
	v_add_u32_e32 v2, v2, v3
	s_nop 1
	v_mov_b32_dpp v3, v2 row_bcast:31 row_mask:0xf bank_mask:0xf
	v_cndmask_b32_e64 v3, 0, v3, s[4:5]
	v_add_u32_e32 v2, v2, v3
	s_and_saveexec_b64 s[18:19], s[6:7]
	s_cbranch_execz .LBB1007_41
; %bb.40:
	v_lshlrev_b32_e32 v3, 2, v54
	ds_write_b32 v3, v2
.LBB1007_41:
	s_or_b64 exec, exec, s[18:19]
	v_cmp_gt_u32_e32 vcc, 4, v0
	s_waitcnt lgkmcnt(0)
	s_barrier
	s_and_saveexec_b64 s[18:19], vcc
	s_cbranch_execz .LBB1007_43
; %bb.42:
	ds_read_b32 v3, v1
	v_and_b32_e32 v4, 3, v53
	v_cmp_ne_u32_e32 vcc, 0, v4
	s_waitcnt lgkmcnt(0)
	v_mov_b32_dpp v5, v3 row_shr:1 row_mask:0xf bank_mask:0xf
	v_cndmask_b32_e32 v5, 0, v5, vcc
	v_add_u32_e32 v3, v5, v3
	v_cmp_lt_u32_e32 vcc, 1, v4
	s_nop 0
	v_mov_b32_dpp v5, v3 row_shr:2 row_mask:0xf bank_mask:0xf
	v_cndmask_b32_e32 v4, 0, v5, vcc
	v_add_u32_e32 v3, v3, v4
	ds_write_b32 v1, v3
.LBB1007_43:
	s_or_b64 exec, exec, s[18:19]
	v_cmp_gt_u32_e32 vcc, 64, v0
	v_cmp_lt_u32_e64 s[18:19], 63, v0
	s_waitcnt lgkmcnt(0)
	s_barrier
	s_waitcnt lgkmcnt(0)
                                        ; implicit-def: $vgpr12
	s_and_saveexec_b64 s[34:35], s[18:19]
	s_cbranch_execz .LBB1007_45
; %bb.44:
	v_lshl_add_u32 v3, v54, 2, -4
	ds_read_b32 v12, v3
	s_waitcnt lgkmcnt(0)
	v_add_u32_e32 v2, v12, v2
.LBB1007_45:
	s_or_b64 exec, exec, s[34:35]
	v_add_u32_e32 v3, -1, v53
	v_and_b32_e32 v4, 64, v53
	v_cmp_lt_i32_e64 s[18:19], v3, v4
	v_cndmask_b32_e64 v3, v3, v53, s[18:19]
	v_lshlrev_b32_e32 v3, 2, v3
	ds_bpermute_b32 v13, v3, v2
	v_cmp_eq_u32_e64 s[18:19], 0, v53
	s_and_saveexec_b64 s[34:35], vcc
	s_cbranch_execz .LBB1007_64
; %bb.46:
	v_mov_b32_e32 v9, 0
	ds_read_b32 v2, v9 offset:12
	s_and_saveexec_b64 s[36:37], s[18:19]
	s_cbranch_execz .LBB1007_48
; %bb.47:
	s_add_i32 s38, s40, 64
	s_mov_b32 s39, 0
	s_lshl_b64 s[38:39], s[38:39], 3
	s_add_u32 s38, s30, s38
	v_mov_b32_e32 v3, 1
	s_addc_u32 s39, s31, s39
	s_waitcnt lgkmcnt(0)
	global_store_dwordx2 v9, v[2:3], s[38:39]
.LBB1007_48:
	s_or_b64 exec, exec, s[36:37]
	v_xad_u32 v4, v53, -1, s40
	v_add_u32_e32 v8, 64, v4
	v_lshlrev_b64 v[6:7], 3, v[8:9]
	v_mov_b32_e32 v3, s31
	v_add_co_u32_e32 v10, vcc, s30, v6
	v_addc_co_u32_e32 v11, vcc, v3, v7, vcc
	global_load_dwordx2 v[6:7], v[10:11], off glc
	s_waitcnt vmcnt(0)
	v_cmp_eq_u16_sdwa s[38:39], v7, v9 src0_sel:BYTE_0 src1_sel:DWORD
	s_and_saveexec_b64 s[36:37], s[38:39]
	s_cbranch_execz .LBB1007_52
; %bb.49:
	s_mov_b64 s[38:39], 0
	v_mov_b32_e32 v3, 0
.LBB1007_50:                            ; =>This Inner Loop Header: Depth=1
	global_load_dwordx2 v[6:7], v[10:11], off glc
	s_waitcnt vmcnt(0)
	v_cmp_ne_u16_sdwa s[42:43], v7, v3 src0_sel:BYTE_0 src1_sel:DWORD
	s_or_b64 s[38:39], s[42:43], s[38:39]
	s_andn2_b64 exec, exec, s[38:39]
	s_cbranch_execnz .LBB1007_50
; %bb.51:
	s_or_b64 exec, exec, s[38:39]
.LBB1007_52:
	s_or_b64 exec, exec, s[36:37]
	v_and_b32_e32 v14, 63, v53
	v_mov_b32_e32 v3, 2
	v_cmp_ne_u32_e32 vcc, 63, v14
	v_cmp_eq_u16_sdwa s[36:37], v7, v3 src0_sel:BYTE_0 src1_sel:DWORD
	v_lshlrev_b64 v[8:9], v53, -1
	v_addc_co_u32_e32 v11, vcc, 0, v53, vcc
	v_and_b32_e32 v5, s37, v9
	v_lshlrev_b32_e32 v15, 2, v11
	v_or_b32_e32 v5, 0x80000000, v5
	ds_bpermute_b32 v11, v15, v6
	v_and_b32_e32 v10, s36, v8
	v_ffbl_b32_e32 v5, v5
	v_add_u32_e32 v5, 32, v5
	v_ffbl_b32_e32 v10, v10
	v_min_u32_e32 v5, v10, v5
	v_cmp_lt_u32_e32 vcc, v14, v5
	s_waitcnt lgkmcnt(0)
	v_cndmask_b32_e32 v10, 0, v11, vcc
	v_cmp_gt_u32_e32 vcc, 62, v14
	v_add_u32_e32 v6, v10, v6
	v_cndmask_b32_e64 v10, 0, 1, vcc
	v_lshlrev_b32_e32 v10, 1, v10
	v_add_lshl_u32 v16, v10, v53, 2
	ds_bpermute_b32 v10, v16, v6
	v_add_u32_e32 v17, 2, v14
	v_cmp_le_u32_e32 vcc, v17, v5
	v_add_u32_e32 v19, 4, v14
	v_add_u32_e32 v57, 8, v14
	s_waitcnt lgkmcnt(0)
	v_cndmask_b32_e32 v10, 0, v10, vcc
	v_cmp_gt_u32_e32 vcc, 60, v14
	v_add_u32_e32 v6, v6, v10
	v_cndmask_b32_e64 v10, 0, 1, vcc
	v_lshlrev_b32_e32 v10, 2, v10
	v_add_lshl_u32 v18, v10, v53, 2
	ds_bpermute_b32 v10, v18, v6
	v_cmp_le_u32_e32 vcc, v19, v5
	v_add_u32_e32 v60, 16, v14
	v_add_u32_e32 v62, 32, v14
	s_waitcnt lgkmcnt(0)
	v_cndmask_b32_e32 v10, 0, v10, vcc
	v_cmp_gt_u32_e32 vcc, 56, v14
	v_add_u32_e32 v6, v6, v10
	v_cndmask_b32_e64 v10, 0, 1, vcc
	v_lshlrev_b32_e32 v10, 3, v10
	v_add_lshl_u32 v56, v10, v53, 2
	ds_bpermute_b32 v10, v56, v6
	v_cmp_le_u32_e32 vcc, v57, v5
	s_waitcnt lgkmcnt(0)
	v_cndmask_b32_e32 v10, 0, v10, vcc
	v_cmp_gt_u32_e32 vcc, 48, v14
	v_add_u32_e32 v6, v6, v10
	v_cndmask_b32_e64 v10, 0, 1, vcc
	v_lshlrev_b32_e32 v10, 4, v10
	v_add_lshl_u32 v59, v10, v53, 2
	ds_bpermute_b32 v10, v59, v6
	v_cmp_le_u32_e32 vcc, v60, v5
	;; [unrolled: 9-line block ×3, first 2 shown]
	s_waitcnt lgkmcnt(0)
	v_cndmask_b32_e32 v5, 0, v10, vcc
	v_add_u32_e32 v6, v6, v5
	v_mov_b32_e32 v5, 0
	s_branch .LBB1007_54
.LBB1007_53:                            ;   in Loop: Header=BB1007_54 Depth=1
	s_or_b64 exec, exec, s[36:37]
	v_cmp_eq_u16_sdwa s[36:37], v7, v3 src0_sel:BYTE_0 src1_sel:DWORD
	v_and_b32_e32 v10, s37, v9
	v_or_b32_e32 v10, 0x80000000, v10
	ds_bpermute_b32 v63, v15, v6
	v_and_b32_e32 v11, s36, v8
	v_ffbl_b32_e32 v10, v10
	v_add_u32_e32 v10, 32, v10
	v_ffbl_b32_e32 v11, v11
	v_min_u32_e32 v10, v11, v10
	v_cmp_lt_u32_e32 vcc, v14, v10
	s_waitcnt lgkmcnt(0)
	v_cndmask_b32_e32 v11, 0, v63, vcc
	v_add_u32_e32 v6, v11, v6
	ds_bpermute_b32 v11, v16, v6
	v_cmp_le_u32_e32 vcc, v17, v10
	v_subrev_u32_e32 v4, 64, v4
	s_waitcnt lgkmcnt(0)
	v_cndmask_b32_e32 v11, 0, v11, vcc
	v_add_u32_e32 v6, v6, v11
	ds_bpermute_b32 v11, v18, v6
	v_cmp_le_u32_e32 vcc, v19, v10
	s_waitcnt lgkmcnt(0)
	v_cndmask_b32_e32 v11, 0, v11, vcc
	v_add_u32_e32 v6, v6, v11
	ds_bpermute_b32 v11, v56, v6
	v_cmp_le_u32_e32 vcc, v57, v10
	;; [unrolled: 5-line block ×4, first 2 shown]
	s_waitcnt lgkmcnt(0)
	v_cndmask_b32_e32 v10, 0, v11, vcc
	v_add3_u32 v6, v10, v58, v6
.LBB1007_54:                            ; =>This Loop Header: Depth=1
                                        ;     Child Loop BB1007_57 Depth 2
	v_cmp_ne_u16_sdwa s[36:37], v7, v3 src0_sel:BYTE_0 src1_sel:DWORD
	v_cndmask_b32_e64 v7, 0, 1, s[36:37]
	;;#ASMSTART
	;;#ASMEND
	v_cmp_ne_u32_e32 vcc, 0, v7
	s_cmp_lg_u64 vcc, exec
	v_mov_b32_e32 v58, v6
	s_cbranch_scc1 .LBB1007_59
; %bb.55:                               ;   in Loop: Header=BB1007_54 Depth=1
	v_lshlrev_b64 v[6:7], 3, v[4:5]
	v_mov_b32_e32 v11, s31
	v_add_co_u32_e32 v10, vcc, s30, v6
	v_addc_co_u32_e32 v11, vcc, v11, v7, vcc
	global_load_dwordx2 v[6:7], v[10:11], off glc
	s_waitcnt vmcnt(0)
	v_cmp_eq_u16_sdwa s[38:39], v7, v5 src0_sel:BYTE_0 src1_sel:DWORD
	s_and_saveexec_b64 s[36:37], s[38:39]
	s_cbranch_execz .LBB1007_53
; %bb.56:                               ;   in Loop: Header=BB1007_54 Depth=1
	s_mov_b64 s[38:39], 0
.LBB1007_57:                            ;   Parent Loop BB1007_54 Depth=1
                                        ; =>  This Inner Loop Header: Depth=2
	global_load_dwordx2 v[6:7], v[10:11], off glc
	s_waitcnt vmcnt(0)
	v_cmp_ne_u16_sdwa s[42:43], v7, v5 src0_sel:BYTE_0 src1_sel:DWORD
	s_or_b64 s[38:39], s[42:43], s[38:39]
	s_andn2_b64 exec, exec, s[38:39]
	s_cbranch_execnz .LBB1007_57
; %bb.58:                               ;   in Loop: Header=BB1007_54 Depth=1
	s_or_b64 exec, exec, s[38:39]
	s_branch .LBB1007_53
.LBB1007_59:                            ;   in Loop: Header=BB1007_54 Depth=1
                                        ; implicit-def: $vgpr6
                                        ; implicit-def: $vgpr7
	s_cbranch_execz .LBB1007_54
; %bb.60:
	s_and_saveexec_b64 s[36:37], s[18:19]
	s_cbranch_execz .LBB1007_62
; %bb.61:
	s_add_i32 s38, s40, 64
	s_mov_b32 s39, 0
	s_lshl_b64 s[38:39], s[38:39], 3
	s_add_u32 s38, s30, s38
	v_add_u32_e32 v4, v58, v2
	v_mov_b32_e32 v5, 2
	s_addc_u32 s39, s31, s39
	v_mov_b32_e32 v3, 0
	global_store_dwordx2 v3, v[4:5], s[38:39]
	s_movk_i32 s38, 0x3400
	v_add_u32_e64 v3, s38, 0
	ds_write2_b32 v3, v2, v58 offset1:2
.LBB1007_62:
	s_or_b64 exec, exec, s[36:37]
	s_and_b64 exec, exec, s[0:1]
	s_cbranch_execz .LBB1007_64
; %bb.63:
	v_mov_b32_e32 v2, 0
	ds_write_b32 v2, v58 offset:12
.LBB1007_64:
	s_or_b64 exec, exec, s[34:35]
	v_mov_b32_e32 v2, 0
	s_waitcnt lgkmcnt(0)
	s_barrier
	ds_read_b32 v2, v2 offset:12
	v_cndmask_b32_e64 v3, v13, v12, s[18:19]
	v_cndmask_b32_e64 v3, v3, 0, s[0:1]
	s_movk_i32 s18, 0x3400
	v_add_u32_e64 v12, s18, 0
	s_waitcnt lgkmcnt(0)
	v_add_u32_e32 v2, v2, v3
	v_add_u32_e32 v3, v2, v44
	;; [unrolled: 1-line block ×9, first 2 shown]
	s_barrier
	ds_read2_b32 v[18:19], v12 offset1:2
	v_add_u32_e32 v11, v10, v50
	v_add_u32_e32 v12, v11, v51
	;; [unrolled: 1-line block ×4, first 2 shown]
	s_branch .LBB1007_75
.LBB1007_65:
                                        ; implicit-def: $vgpr19
                                        ; implicit-def: $vgpr2_vgpr3_vgpr4_vgpr5_vgpr6_vgpr7_vgpr8_vgpr9_vgpr10_vgpr11_vgpr12_vgpr13_vgpr14_vgpr15_vgpr16_vgpr17
	s_cbranch_execz .LBB1007_75
; %bb.66:
	s_nop 0
	v_mov_b32_dpp v2, v55 row_shr:1 row_mask:0xf bank_mask:0xf
	v_cndmask_b32_e64 v2, v2, 0, s[16:17]
	v_add_u32_e32 v2, v2, v55
	s_nop 1
	v_mov_b32_dpp v3, v2 row_shr:2 row_mask:0xf bank_mask:0xf
	v_cndmask_b32_e64 v3, 0, v3, s[14:15]
	v_add_u32_e32 v2, v2, v3
	s_nop 1
	v_mov_b32_dpp v3, v2 row_shr:4 row_mask:0xf bank_mask:0xf
	v_cndmask_b32_e64 v3, 0, v3, s[12:13]
	v_add_u32_e32 v2, v2, v3
	s_nop 1
	v_mov_b32_dpp v3, v2 row_shr:8 row_mask:0xf bank_mask:0xf
	v_cndmask_b32_e64 v3, 0, v3, s[10:11]
	v_add_u32_e32 v2, v2, v3
	s_nop 1
	v_mov_b32_dpp v3, v2 row_bcast:15 row_mask:0xf bank_mask:0xf
	v_cndmask_b32_e64 v3, v3, 0, s[8:9]
	v_add_u32_e32 v2, v2, v3
	s_nop 1
	v_mov_b32_dpp v3, v2 row_bcast:31 row_mask:0xf bank_mask:0xf
	v_cndmask_b32_e64 v3, 0, v3, s[4:5]
	v_add_u32_e32 v2, v2, v3
	s_and_saveexec_b64 s[4:5], s[6:7]
	s_cbranch_execz .LBB1007_68
; %bb.67:
	v_lshlrev_b32_e32 v3, 2, v54
	ds_write_b32 v3, v2
.LBB1007_68:
	s_or_b64 exec, exec, s[4:5]
	v_cmp_gt_u32_e32 vcc, 4, v0
	s_waitcnt lgkmcnt(0)
	s_barrier
	s_and_saveexec_b64 s[4:5], vcc
	s_cbranch_execz .LBB1007_70
; %bb.69:
	ds_read_b32 v3, v1
	v_and_b32_e32 v4, 3, v53
	v_cmp_ne_u32_e32 vcc, 0, v4
	s_waitcnt lgkmcnt(0)
	v_mov_b32_dpp v5, v3 row_shr:1 row_mask:0xf bank_mask:0xf
	v_cndmask_b32_e32 v5, 0, v5, vcc
	v_add_u32_e32 v3, v5, v3
	v_cmp_lt_u32_e32 vcc, 1, v4
	s_nop 0
	v_mov_b32_dpp v5, v3 row_shr:2 row_mask:0xf bank_mask:0xf
	v_cndmask_b32_e32 v4, 0, v5, vcc
	v_add_u32_e32 v3, v3, v4
	ds_write_b32 v1, v3
.LBB1007_70:
	s_or_b64 exec, exec, s[4:5]
	v_cmp_lt_u32_e32 vcc, 63, v0
	v_mov_b32_e32 v4, 0
	v_mov_b32_e32 v3, 0
	s_waitcnt lgkmcnt(0)
	s_barrier
	s_and_saveexec_b64 s[4:5], vcc
	s_cbranch_execz .LBB1007_72
; %bb.71:
	v_lshl_add_u32 v3, v54, 2, -4
	ds_read_b32 v3, v3
.LBB1007_72:
	s_or_b64 exec, exec, s[4:5]
	v_add_u32_e32 v5, -1, v53
	v_and_b32_e32 v6, 64, v53
	v_cmp_lt_i32_e32 vcc, v5, v6
	v_cndmask_b32_e32 v5, v5, v53, vcc
	s_waitcnt lgkmcnt(0)
	v_add_u32_e32 v2, v3, v2
	v_lshlrev_b32_e32 v5, 2, v5
	ds_bpermute_b32 v2, v5, v2
	ds_read_b32 v18, v4 offset:12
	s_and_saveexec_b64 s[4:5], s[0:1]
	s_cbranch_execz .LBB1007_74
; %bb.73:
	v_mov_b32_e32 v4, 0
	v_mov_b32_e32 v19, 2
	s_waitcnt lgkmcnt(0)
	global_store_dwordx2 v4, v[18:19], s[30:31] offset:512
.LBB1007_74:
	s_or_b64 exec, exec, s[4:5]
	v_cmp_eq_u32_e32 vcc, 0, v53
	s_waitcnt lgkmcnt(1)
	v_cndmask_b32_e32 v2, v2, v3, vcc
	v_cndmask_b32_e64 v2, v2, 0, s[0:1]
	v_add_u32_e32 v3, v2, v44
	v_add_u32_e32 v4, v3, v45
	;; [unrolled: 1-line block ×11, first 2 shown]
	v_mov_b32_e32 v19, 0
	v_add_u32_e32 v14, v13, v41
	s_waitcnt lgkmcnt(0)
	s_barrier
.LBB1007_75:
	s_waitcnt lgkmcnt(0)
	v_add_u32_e32 v36, v18, v36
	v_sub_u32_e32 v2, v2, v19
	v_and_b32_e32 v45, 1, v40
	v_sub_u32_e32 v44, v36, v2
	v_cmp_eq_u32_e32 vcc, 1, v45
	v_cndmask_b32_e32 v2, v44, v2, vcc
	v_lshlrev_b32_e32 v2, 2, v2
	v_lshrrev_b32_e32 v17, 8, v40
	ds_write_b32 v2, v32
	v_sub_u32_e32 v2, v3, v19
	v_sub_u32_e32 v3, v36, v2
	v_and_b32_e32 v17, 1, v17
	v_add_u32_e32 v3, 1, v3
	v_cmp_eq_u32_e32 vcc, 1, v17
	v_cndmask_b32_e32 v2, v3, v2, vcc
	v_lshlrev_b32_e32 v2, 2, v2
	ds_write_b32 v2, v33
	v_sub_u32_e32 v2, v4, v19
	v_mov_b32_e32 v4, 1
	v_sub_u32_e32 v3, v36, v2
	v_and_b32_sdwa v17, v4, v40 dst_sel:DWORD dst_unused:UNUSED_PAD src0_sel:DWORD src1_sel:WORD_1
	v_add_u32_e32 v3, 2, v3
	v_cmp_eq_u32_e32 vcc, 1, v17
	v_cndmask_b32_e32 v2, v3, v2, vcc
	v_lshlrev_b32_e32 v2, 2, v2
	ds_write_b32 v2, v30
	v_sub_u32_e32 v2, v5, v19
	v_sub_u32_e32 v3, v36, v2
	v_and_b32_e32 v5, 1, v43
	v_add_u32_e32 v3, 3, v3
	v_cmp_eq_u32_e32 vcc, 1, v5
	v_cndmask_b32_e32 v2, v3, v2, vcc
	v_lshlrev_b32_e32 v2, 2, v2
	ds_write_b32 v2, v31
	v_sub_u32_e32 v2, v6, v19
	v_sub_u32_e32 v3, v36, v2
	v_and_b32_e32 v5, 1, v39
	v_add_u32_e32 v3, 4, v3
	v_cmp_eq_u32_e32 vcc, 1, v5
	v_cndmask_b32_e32 v2, v3, v2, vcc
	v_lshlrev_b32_e32 v2, 2, v2
	v_lshrrev_b32_e32 v16, 8, v39
	ds_write_b32 v2, v28
	v_sub_u32_e32 v2, v7, v19
	v_sub_u32_e32 v3, v36, v2
	v_and_b32_e32 v5, 1, v16
	v_add_u32_e32 v3, 5, v3
	v_cmp_eq_u32_e32 vcc, 1, v5
	v_cndmask_b32_e32 v2, v3, v2, vcc
	v_lshlrev_b32_e32 v2, 2, v2
	ds_write_b32 v2, v29
	v_sub_u32_e32 v2, v8, v19
	v_sub_u32_e32 v3, v36, v2
	v_and_b32_sdwa v5, v4, v39 dst_sel:DWORD dst_unused:UNUSED_PAD src0_sel:DWORD src1_sel:WORD_1
	v_add_u32_e32 v3, 6, v3
	v_cmp_eq_u32_e32 vcc, 1, v5
	v_cndmask_b32_e32 v2, v3, v2, vcc
	v_lshlrev_b32_e32 v2, 2, v2
	ds_write_b32 v2, v26
	v_sub_u32_e32 v2, v9, v19
	v_sub_u32_e32 v3, v36, v2
	v_and_b32_e32 v5, 1, v42
	v_add_u32_e32 v3, 7, v3
	v_cmp_eq_u32_e32 vcc, 1, v5
	v_cndmask_b32_e32 v2, v3, v2, vcc
	v_lshlrev_b32_e32 v2, 2, v2
	ds_write_b32 v2, v27
	v_sub_u32_e32 v2, v10, v19
	v_sub_u32_e32 v3, v36, v2
	v_and_b32_e32 v5, 1, v38
	v_add_u32_e32 v3, 8, v3
	v_cmp_eq_u32_e32 vcc, 1, v5
	v_cndmask_b32_e32 v2, v3, v2, vcc
	v_lshlrev_b32_e32 v2, 2, v2
	v_lshrrev_b32_e32 v15, 8, v38
	ds_write_b32 v2, v24
	v_sub_u32_e32 v2, v11, v19
	v_sub_u32_e32 v3, v36, v2
	v_and_b32_e32 v5, 1, v15
	v_add_u32_e32 v3, 9, v3
	v_cmp_eq_u32_e32 vcc, 1, v5
	v_cndmask_b32_e32 v2, v3, v2, vcc
	v_lshlrev_b32_e32 v2, 2, v2
	ds_write_b32 v2, v25
	v_sub_u32_e32 v2, v12, v19
	v_sub_u32_e32 v3, v36, v2
	v_and_b32_sdwa v4, v4, v38 dst_sel:DWORD dst_unused:UNUSED_PAD src0_sel:DWORD src1_sel:WORD_1
	v_add_u32_e32 v3, 10, v3
	v_cmp_eq_u32_e32 vcc, 1, v4
	v_cndmask_b32_e32 v2, v3, v2, vcc
	v_lshlrev_b32_e32 v2, 2, v2
	ds_write_b32 v2, v22
	v_sub_u32_e32 v2, v13, v19
	v_sub_u32_e32 v3, v36, v2
	v_and_b32_e32 v4, 1, v41
	v_add_u32_e32 v3, 11, v3
	v_cmp_eq_u32_e32 vcc, 1, v4
	v_cndmask_b32_e32 v2, v3, v2, vcc
	v_lshlrev_b32_e32 v2, 2, v2
	ds_write_b32 v2, v23
	v_sub_u32_e32 v2, v14, v19
	v_sub_u32_e32 v3, v36, v2
	v_and_b32_e32 v4, 1, v37
	v_add_u32_e32 v3, 12, v3
	v_cmp_eq_u32_e32 vcc, 1, v4
	v_cndmask_b32_e32 v2, v3, v2, vcc
	v_lshlrev_b32_e32 v2, 2, v2
	ds_write_b32 v2, v35
	s_waitcnt lgkmcnt(0)
	s_barrier
	ds_read2st64_b32 v[12:13], v1 offset1:4
	ds_read2st64_b32 v[10:11], v1 offset0:8 offset1:12
	ds_read2st64_b32 v[8:9], v1 offset0:16 offset1:20
	;; [unrolled: 1-line block ×5, first 2 shown]
	ds_read_b32 v17, v1 offset:12288
	s_waitcnt vmcnt(0)
	v_add_co_u32_e32 v1, vcc, v20, v19
	v_addc_co_u32_e32 v16, vcc, 0, v21, vcc
	v_mov_b32_e32 v14, s29
	v_add_co_u32_e32 v15, vcc, s28, v34
	v_addc_co_u32_e32 v14, vcc, 0, v14, vcc
	v_mov_b32_e32 v19, s27
	v_sub_co_u32_e32 v15, vcc, s26, v15
	v_subb_co_u32_e32 v14, vcc, v19, v14, vcc
	v_add_co_u32_e32 v15, vcc, v15, v18
	v_addc_co_u32_e32 v14, vcc, 0, v14, vcc
	s_and_b64 vcc, exec, s[2:3]
	v_add_co_u32_e64 v19, s[2:3], v15, v1
	v_or_b32_e32 v33, 0x100, v0
	v_or_b32_e32 v32, 0x200, v0
	;; [unrolled: 1-line block ×12, first 2 shown]
	v_addc_co_u32_e64 v20, s[2:3], v14, v16, s[2:3]
	s_cbranch_vccnz .LBB1007_132
; %bb.76:
	v_cmp_ge_u32_e32 vcc, v0, v18
                                        ; implicit-def: $vgpr14_vgpr15
	s_and_saveexec_b64 s[2:3], vcc
	s_xor_b64 s[2:3], exec, s[2:3]
; %bb.77:
	v_not_b32_e32 v14, v0
	v_ashrrev_i32_e32 v15, 31, v14
	v_add_co_u32_e32 v14, vcc, v19, v14
	v_addc_co_u32_e32 v15, vcc, v20, v15, vcc
; %bb.78:
	s_andn2_saveexec_b64 s[2:3], s[2:3]
; %bb.79:
	v_add_co_u32_e32 v14, vcc, v1, v0
	v_addc_co_u32_e32 v15, vcc, 0, v16, vcc
; %bb.80:
	s_or_b64 exec, exec, s[2:3]
	v_lshlrev_b64 v[14:15], 2, v[14:15]
	v_mov_b32_e32 v21, s25
	v_add_co_u32_e32 v14, vcc, s24, v14
	v_addc_co_u32_e32 v15, vcc, v21, v15, vcc
	v_cmp_ge_u32_e32 vcc, v33, v18
	s_waitcnt lgkmcnt(6)
	global_store_dword v[14:15], v12, off
                                        ; implicit-def: $vgpr14_vgpr15
	s_and_saveexec_b64 s[2:3], vcc
	s_xor_b64 s[2:3], exec, s[2:3]
; %bb.81:
	v_xor_b32_e32 v14, 0xfffffeff, v0
	v_ashrrev_i32_e32 v15, 31, v14
	v_add_co_u32_e32 v14, vcc, v19, v14
	v_addc_co_u32_e32 v15, vcc, v20, v15, vcc
; %bb.82:
	s_andn2_saveexec_b64 s[2:3], s[2:3]
; %bb.83:
	v_add_co_u32_e32 v14, vcc, v1, v33
	v_addc_co_u32_e32 v15, vcc, 0, v16, vcc
; %bb.84:
	s_or_b64 exec, exec, s[2:3]
	v_lshlrev_b64 v[14:15], 2, v[14:15]
	v_mov_b32_e32 v21, s25
	v_add_co_u32_e32 v14, vcc, s24, v14
	v_addc_co_u32_e32 v15, vcc, v21, v15, vcc
	v_cmp_ge_u32_e32 vcc, v32, v18
	global_store_dword v[14:15], v13, off
                                        ; implicit-def: $vgpr14_vgpr15
	s_and_saveexec_b64 s[2:3], vcc
	s_xor_b64 s[2:3], exec, s[2:3]
; %bb.85:
	v_xor_b32_e32 v14, 0xfffffdff, v0
	v_ashrrev_i32_e32 v15, 31, v14
	v_add_co_u32_e32 v14, vcc, v19, v14
	v_addc_co_u32_e32 v15, vcc, v20, v15, vcc
; %bb.86:
	s_andn2_saveexec_b64 s[2:3], s[2:3]
; %bb.87:
	v_add_co_u32_e32 v14, vcc, v1, v32
	v_addc_co_u32_e32 v15, vcc, 0, v16, vcc
; %bb.88:
	s_or_b64 exec, exec, s[2:3]
	v_lshlrev_b64 v[14:15], 2, v[14:15]
	v_mov_b32_e32 v21, s25
	v_add_co_u32_e32 v14, vcc, s24, v14
	v_addc_co_u32_e32 v15, vcc, v21, v15, vcc
	v_cmp_ge_u32_e32 vcc, v31, v18
	s_waitcnt lgkmcnt(5)
	global_store_dword v[14:15], v10, off
                                        ; implicit-def: $vgpr14_vgpr15
	s_and_saveexec_b64 s[2:3], vcc
	s_xor_b64 s[2:3], exec, s[2:3]
; %bb.89:
	v_xor_b32_e32 v14, 0xfffffcff, v0
	v_ashrrev_i32_e32 v15, 31, v14
	v_add_co_u32_e32 v14, vcc, v19, v14
	v_addc_co_u32_e32 v15, vcc, v20, v15, vcc
; %bb.90:
	s_andn2_saveexec_b64 s[2:3], s[2:3]
; %bb.91:
	v_add_co_u32_e32 v14, vcc, v1, v31
	v_addc_co_u32_e32 v15, vcc, 0, v16, vcc
; %bb.92:
	s_or_b64 exec, exec, s[2:3]
	v_lshlrev_b64 v[14:15], 2, v[14:15]
	v_mov_b32_e32 v21, s25
	v_add_co_u32_e32 v14, vcc, s24, v14
	v_addc_co_u32_e32 v15, vcc, v21, v15, vcc
	v_cmp_ge_u32_e32 vcc, v30, v18
	global_store_dword v[14:15], v11, off
                                        ; implicit-def: $vgpr14_vgpr15
	s_and_saveexec_b64 s[2:3], vcc
	s_xor_b64 s[2:3], exec, s[2:3]
; %bb.93:
	v_xor_b32_e32 v14, 0xfffffbff, v0
	;; [unrolled: 43-line block ×6, first 2 shown]
	v_ashrrev_i32_e32 v15, 31, v14
	v_add_co_u32_e32 v14, vcc, v19, v14
	v_addc_co_u32_e32 v15, vcc, v20, v15, vcc
; %bb.126:
	s_andn2_saveexec_b64 s[2:3], s[2:3]
; %bb.127:
	v_add_co_u32_e32 v14, vcc, v1, v22
	v_addc_co_u32_e32 v15, vcc, 0, v16, vcc
; %bb.128:
	s_or_b64 exec, exec, s[2:3]
	s_mov_b64 s[2:3], -1
.LBB1007_129:
	s_and_saveexec_b64 s[4:5], s[2:3]
	s_cbranch_execz .LBB1007_212
.LBB1007_130:
	s_waitcnt lgkmcnt(1)
	v_lshlrev_b64 v[2:3], 2, v[14:15]
	v_mov_b32_e32 v0, s25
	v_add_co_u32_e32 v2, vcc, s24, v2
	v_addc_co_u32_e32 v3, vcc, v0, v3, vcc
	s_waitcnt lgkmcnt(0)
	global_store_dword v[2:3], v17, off
	s_or_b64 exec, exec, s[4:5]
	s_and_b64 s[0:1], s[0:1], s[22:23]
	s_and_saveexec_b64 s[2:3], s[0:1]
	s_cbranch_execnz .LBB1007_213
.LBB1007_131:
	s_endpgm
.LBB1007_132:
	s_mov_b64 s[2:3], 0
                                        ; implicit-def: $vgpr14_vgpr15
	s_cbranch_execz .LBB1007_129
; %bb.133:
	v_cmp_gt_u32_e32 vcc, s33, v0
	s_and_saveexec_b64 s[4:5], vcc
	s_cbranch_execz .LBB1007_169
; %bb.134:
	v_cmp_ge_u32_e32 vcc, v0, v18
                                        ; implicit-def: $vgpr14_vgpr15
	s_and_saveexec_b64 s[6:7], vcc
	s_xor_b64 s[6:7], exec, s[6:7]
; %bb.135:
	v_not_b32_e32 v14, v0
	v_ashrrev_i32_e32 v15, 31, v14
	v_add_co_u32_e32 v14, vcc, v19, v14
	v_addc_co_u32_e32 v15, vcc, v20, v15, vcc
; %bb.136:
	s_andn2_saveexec_b64 s[6:7], s[6:7]
; %bb.137:
	v_add_co_u32_e32 v14, vcc, v1, v0
	v_addc_co_u32_e32 v15, vcc, 0, v16, vcc
; %bb.138:
	s_or_b64 exec, exec, s[6:7]
	v_lshlrev_b64 v[14:15], 2, v[14:15]
	v_mov_b32_e32 v21, s25
	v_add_co_u32_e32 v14, vcc, s24, v14
	v_addc_co_u32_e32 v15, vcc, v21, v15, vcc
	s_waitcnt lgkmcnt(6)
	global_store_dword v[14:15], v12, off
	s_or_b64 exec, exec, s[4:5]
	v_cmp_gt_u32_e32 vcc, s33, v33
	s_and_saveexec_b64 s[4:5], vcc
	s_cbranch_execnz .LBB1007_170
.LBB1007_139:
	s_or_b64 exec, exec, s[4:5]
	v_cmp_gt_u32_e32 vcc, s33, v32
	s_and_saveexec_b64 s[4:5], vcc
	s_cbranch_execz .LBB1007_175
.LBB1007_140:
	v_cmp_ge_u32_e32 vcc, v32, v18
                                        ; implicit-def: $vgpr12_vgpr13
	s_and_saveexec_b64 s[6:7], vcc
	s_xor_b64 s[6:7], exec, s[6:7]
	s_cbranch_execz .LBB1007_142
; %bb.141:
	s_waitcnt lgkmcnt(6)
	v_xor_b32_e32 v12, 0xfffffdff, v0
	v_ashrrev_i32_e32 v13, 31, v12
	v_add_co_u32_e32 v12, vcc, v19, v12
	v_addc_co_u32_e32 v13, vcc, v20, v13, vcc
                                        ; implicit-def: $vgpr32
.LBB1007_142:
	s_andn2_saveexec_b64 s[6:7], s[6:7]
	s_cbranch_execz .LBB1007_144
; %bb.143:
	s_waitcnt lgkmcnt(6)
	v_add_co_u32_e32 v12, vcc, v1, v32
	v_addc_co_u32_e32 v13, vcc, 0, v16, vcc
.LBB1007_144:
	s_or_b64 exec, exec, s[6:7]
	s_waitcnt lgkmcnt(6)
	v_lshlrev_b64 v[12:13], 2, v[12:13]
	v_mov_b32_e32 v14, s25
	v_add_co_u32_e32 v12, vcc, s24, v12
	v_addc_co_u32_e32 v13, vcc, v14, v13, vcc
	s_waitcnt lgkmcnt(5)
	global_store_dword v[12:13], v10, off
	s_or_b64 exec, exec, s[4:5]
	v_cmp_gt_u32_e32 vcc, s33, v31
	s_and_saveexec_b64 s[4:5], vcc
	s_cbranch_execnz .LBB1007_176
.LBB1007_145:
	s_or_b64 exec, exec, s[4:5]
	v_cmp_gt_u32_e32 vcc, s33, v30
	s_and_saveexec_b64 s[4:5], vcc
	s_cbranch_execz .LBB1007_181
.LBB1007_146:
	v_cmp_ge_u32_e32 vcc, v30, v18
                                        ; implicit-def: $vgpr10_vgpr11
	s_and_saveexec_b64 s[6:7], vcc
	s_xor_b64 s[6:7], exec, s[6:7]
	s_cbranch_execz .LBB1007_148
; %bb.147:
	s_waitcnt lgkmcnt(5)
	v_xor_b32_e32 v10, 0xfffffbff, v0
	v_ashrrev_i32_e32 v11, 31, v10
	v_add_co_u32_e32 v10, vcc, v19, v10
	v_addc_co_u32_e32 v11, vcc, v20, v11, vcc
                                        ; implicit-def: $vgpr30
.LBB1007_148:
	s_andn2_saveexec_b64 s[6:7], s[6:7]
	s_cbranch_execz .LBB1007_150
; %bb.149:
	s_waitcnt lgkmcnt(5)
	v_add_co_u32_e32 v10, vcc, v1, v30
	v_addc_co_u32_e32 v11, vcc, 0, v16, vcc
.LBB1007_150:
	s_or_b64 exec, exec, s[6:7]
	s_waitcnt lgkmcnt(5)
	v_lshlrev_b64 v[10:11], 2, v[10:11]
	v_mov_b32_e32 v12, s25
	v_add_co_u32_e32 v10, vcc, s24, v10
	v_addc_co_u32_e32 v11, vcc, v12, v11, vcc
	s_waitcnt lgkmcnt(4)
	global_store_dword v[10:11], v8, off
	s_or_b64 exec, exec, s[4:5]
	v_cmp_gt_u32_e32 vcc, s33, v29
	s_and_saveexec_b64 s[4:5], vcc
	s_cbranch_execnz .LBB1007_182
.LBB1007_151:
	s_or_b64 exec, exec, s[4:5]
	v_cmp_gt_u32_e32 vcc, s33, v28
	s_and_saveexec_b64 s[4:5], vcc
	s_cbranch_execz .LBB1007_187
.LBB1007_152:
	v_cmp_ge_u32_e32 vcc, v28, v18
                                        ; implicit-def: $vgpr8_vgpr9
	s_and_saveexec_b64 s[6:7], vcc
	s_xor_b64 s[6:7], exec, s[6:7]
	s_cbranch_execz .LBB1007_154
; %bb.153:
	s_waitcnt lgkmcnt(4)
	v_xor_b32_e32 v8, 0xfffff9ff, v0
	v_ashrrev_i32_e32 v9, 31, v8
	v_add_co_u32_e32 v8, vcc, v19, v8
	v_addc_co_u32_e32 v9, vcc, v20, v9, vcc
                                        ; implicit-def: $vgpr28
.LBB1007_154:
	s_andn2_saveexec_b64 s[6:7], s[6:7]
	s_cbranch_execz .LBB1007_156
; %bb.155:
	s_waitcnt lgkmcnt(4)
	v_add_co_u32_e32 v8, vcc, v1, v28
	v_addc_co_u32_e32 v9, vcc, 0, v16, vcc
.LBB1007_156:
	s_or_b64 exec, exec, s[6:7]
	s_waitcnt lgkmcnt(4)
	v_lshlrev_b64 v[8:9], 2, v[8:9]
	v_mov_b32_e32 v10, s25
	v_add_co_u32_e32 v8, vcc, s24, v8
	v_addc_co_u32_e32 v9, vcc, v10, v9, vcc
	s_waitcnt lgkmcnt(3)
	global_store_dword v[8:9], v6, off
	s_or_b64 exec, exec, s[4:5]
	v_cmp_gt_u32_e32 vcc, s33, v27
	s_and_saveexec_b64 s[4:5], vcc
	s_cbranch_execnz .LBB1007_188
.LBB1007_157:
	s_or_b64 exec, exec, s[4:5]
	v_cmp_gt_u32_e32 vcc, s33, v26
	s_and_saveexec_b64 s[4:5], vcc
	s_cbranch_execz .LBB1007_193
.LBB1007_158:
	v_cmp_ge_u32_e32 vcc, v26, v18
                                        ; implicit-def: $vgpr6_vgpr7
	s_and_saveexec_b64 s[6:7], vcc
	s_xor_b64 s[6:7], exec, s[6:7]
	s_cbranch_execz .LBB1007_160
; %bb.159:
	s_waitcnt lgkmcnt(3)
	v_xor_b32_e32 v6, 0xfffff7ff, v0
	v_ashrrev_i32_e32 v7, 31, v6
	v_add_co_u32_e32 v6, vcc, v19, v6
	v_addc_co_u32_e32 v7, vcc, v20, v7, vcc
                                        ; implicit-def: $vgpr26
.LBB1007_160:
	s_andn2_saveexec_b64 s[6:7], s[6:7]
	s_cbranch_execz .LBB1007_162
; %bb.161:
	s_waitcnt lgkmcnt(3)
	v_add_co_u32_e32 v6, vcc, v1, v26
	v_addc_co_u32_e32 v7, vcc, 0, v16, vcc
.LBB1007_162:
	s_or_b64 exec, exec, s[6:7]
	s_waitcnt lgkmcnt(3)
	v_lshlrev_b64 v[6:7], 2, v[6:7]
	v_mov_b32_e32 v8, s25
	v_add_co_u32_e32 v6, vcc, s24, v6
	v_addc_co_u32_e32 v7, vcc, v8, v7, vcc
	s_waitcnt lgkmcnt(2)
	global_store_dword v[6:7], v4, off
	s_or_b64 exec, exec, s[4:5]
	v_cmp_gt_u32_e32 vcc, s33, v25
	s_and_saveexec_b64 s[4:5], vcc
	s_cbranch_execnz .LBB1007_194
.LBB1007_163:
	s_or_b64 exec, exec, s[4:5]
	v_cmp_gt_u32_e32 vcc, s33, v24
	s_and_saveexec_b64 s[4:5], vcc
	s_cbranch_execz .LBB1007_199
.LBB1007_164:
	v_cmp_ge_u32_e32 vcc, v24, v18
                                        ; implicit-def: $vgpr4_vgpr5
	s_and_saveexec_b64 s[6:7], vcc
	s_xor_b64 s[6:7], exec, s[6:7]
	s_cbranch_execz .LBB1007_166
; %bb.165:
	s_waitcnt lgkmcnt(2)
	v_xor_b32_e32 v4, 0xfffff5ff, v0
	v_ashrrev_i32_e32 v5, 31, v4
	v_add_co_u32_e32 v4, vcc, v19, v4
	v_addc_co_u32_e32 v5, vcc, v20, v5, vcc
                                        ; implicit-def: $vgpr24
.LBB1007_166:
	s_andn2_saveexec_b64 s[6:7], s[6:7]
	s_cbranch_execz .LBB1007_168
; %bb.167:
	s_waitcnt lgkmcnt(2)
	v_add_co_u32_e32 v4, vcc, v1, v24
	v_addc_co_u32_e32 v5, vcc, 0, v16, vcc
.LBB1007_168:
	s_or_b64 exec, exec, s[6:7]
	s_waitcnt lgkmcnt(2)
	v_lshlrev_b64 v[4:5], 2, v[4:5]
	v_mov_b32_e32 v6, s25
	v_add_co_u32_e32 v4, vcc, s24, v4
	v_addc_co_u32_e32 v5, vcc, v6, v5, vcc
	s_waitcnt lgkmcnt(1)
	global_store_dword v[4:5], v2, off
	s_or_b64 exec, exec, s[4:5]
	v_cmp_gt_u32_e32 vcc, s33, v23
	s_and_saveexec_b64 s[4:5], vcc
	s_cbranch_execz .LBB1007_205
	s_branch .LBB1007_200
.LBB1007_169:
	s_or_b64 exec, exec, s[4:5]
	v_cmp_gt_u32_e32 vcc, s33, v33
	s_and_saveexec_b64 s[4:5], vcc
	s_cbranch_execz .LBB1007_139
.LBB1007_170:
	v_cmp_ge_u32_e32 vcc, v33, v18
                                        ; implicit-def: $vgpr14_vgpr15
	s_and_saveexec_b64 s[6:7], vcc
	s_xor_b64 s[6:7], exec, s[6:7]
	s_cbranch_execz .LBB1007_172
; %bb.171:
	s_waitcnt lgkmcnt(6)
	v_xor_b32_e32 v12, 0xfffffeff, v0
	v_ashrrev_i32_e32 v15, 31, v12
	v_add_co_u32_e32 v14, vcc, v19, v12
	v_addc_co_u32_e32 v15, vcc, v20, v15, vcc
                                        ; implicit-def: $vgpr33
.LBB1007_172:
	s_andn2_saveexec_b64 s[6:7], s[6:7]
; %bb.173:
	v_add_co_u32_e32 v14, vcc, v1, v33
	v_addc_co_u32_e32 v15, vcc, 0, v16, vcc
; %bb.174:
	s_or_b64 exec, exec, s[6:7]
	v_lshlrev_b64 v[14:15], 2, v[14:15]
	s_waitcnt lgkmcnt(6)
	v_mov_b32_e32 v12, s25
	v_add_co_u32_e32 v14, vcc, s24, v14
	v_addc_co_u32_e32 v15, vcc, v12, v15, vcc
	global_store_dword v[14:15], v13, off
	s_or_b64 exec, exec, s[4:5]
	v_cmp_gt_u32_e32 vcc, s33, v32
	s_and_saveexec_b64 s[4:5], vcc
	s_cbranch_execnz .LBB1007_140
.LBB1007_175:
	s_or_b64 exec, exec, s[4:5]
	v_cmp_gt_u32_e32 vcc, s33, v31
	s_and_saveexec_b64 s[4:5], vcc
	s_cbranch_execz .LBB1007_145
.LBB1007_176:
	v_cmp_ge_u32_e32 vcc, v31, v18
                                        ; implicit-def: $vgpr12_vgpr13
	s_and_saveexec_b64 s[6:7], vcc
	s_xor_b64 s[6:7], exec, s[6:7]
	s_cbranch_execz .LBB1007_178
; %bb.177:
	s_waitcnt lgkmcnt(5)
	v_xor_b32_e32 v10, 0xfffffcff, v0
	v_ashrrev_i32_e32 v13, 31, v10
	v_add_co_u32_e32 v12, vcc, v19, v10
	v_addc_co_u32_e32 v13, vcc, v20, v13, vcc
                                        ; implicit-def: $vgpr31
.LBB1007_178:
	s_andn2_saveexec_b64 s[6:7], s[6:7]
	s_cbranch_execz .LBB1007_180
; %bb.179:
	s_waitcnt lgkmcnt(6)
	v_add_co_u32_e32 v12, vcc, v1, v31
	v_addc_co_u32_e32 v13, vcc, 0, v16, vcc
.LBB1007_180:
	s_or_b64 exec, exec, s[6:7]
	s_waitcnt lgkmcnt(6)
	v_lshlrev_b64 v[12:13], 2, v[12:13]
	s_waitcnt lgkmcnt(5)
	v_mov_b32_e32 v10, s25
	v_add_co_u32_e32 v12, vcc, s24, v12
	v_addc_co_u32_e32 v13, vcc, v10, v13, vcc
	global_store_dword v[12:13], v11, off
	s_or_b64 exec, exec, s[4:5]
	v_cmp_gt_u32_e32 vcc, s33, v30
	s_and_saveexec_b64 s[4:5], vcc
	s_cbranch_execnz .LBB1007_146
.LBB1007_181:
	s_or_b64 exec, exec, s[4:5]
	v_cmp_gt_u32_e32 vcc, s33, v29
	s_and_saveexec_b64 s[4:5], vcc
	s_cbranch_execz .LBB1007_151
.LBB1007_182:
	v_cmp_ge_u32_e32 vcc, v29, v18
                                        ; implicit-def: $vgpr10_vgpr11
	s_and_saveexec_b64 s[6:7], vcc
	s_xor_b64 s[6:7], exec, s[6:7]
	s_cbranch_execz .LBB1007_184
; %bb.183:
	s_waitcnt lgkmcnt(4)
	v_xor_b32_e32 v8, 0xfffffaff, v0
	v_ashrrev_i32_e32 v11, 31, v8
	v_add_co_u32_e32 v10, vcc, v19, v8
	v_addc_co_u32_e32 v11, vcc, v20, v11, vcc
                                        ; implicit-def: $vgpr29
.LBB1007_184:
	s_andn2_saveexec_b64 s[6:7], s[6:7]
	s_cbranch_execz .LBB1007_186
; %bb.185:
	s_waitcnt lgkmcnt(5)
	v_add_co_u32_e32 v10, vcc, v1, v29
	v_addc_co_u32_e32 v11, vcc, 0, v16, vcc
.LBB1007_186:
	s_or_b64 exec, exec, s[6:7]
	s_waitcnt lgkmcnt(5)
	v_lshlrev_b64 v[10:11], 2, v[10:11]
	s_waitcnt lgkmcnt(4)
	v_mov_b32_e32 v8, s25
	v_add_co_u32_e32 v10, vcc, s24, v10
	v_addc_co_u32_e32 v11, vcc, v8, v11, vcc
	global_store_dword v[10:11], v9, off
	s_or_b64 exec, exec, s[4:5]
	v_cmp_gt_u32_e32 vcc, s33, v28
	s_and_saveexec_b64 s[4:5], vcc
	s_cbranch_execnz .LBB1007_152
.LBB1007_187:
	s_or_b64 exec, exec, s[4:5]
	v_cmp_gt_u32_e32 vcc, s33, v27
	s_and_saveexec_b64 s[4:5], vcc
	s_cbranch_execz .LBB1007_157
.LBB1007_188:
	v_cmp_ge_u32_e32 vcc, v27, v18
                                        ; implicit-def: $vgpr8_vgpr9
	s_and_saveexec_b64 s[6:7], vcc
	s_xor_b64 s[6:7], exec, s[6:7]
	s_cbranch_execz .LBB1007_190
; %bb.189:
	s_waitcnt lgkmcnt(3)
	v_xor_b32_e32 v6, 0xfffff8ff, v0
	v_ashrrev_i32_e32 v9, 31, v6
	v_add_co_u32_e32 v8, vcc, v19, v6
	v_addc_co_u32_e32 v9, vcc, v20, v9, vcc
                                        ; implicit-def: $vgpr27
.LBB1007_190:
	s_andn2_saveexec_b64 s[6:7], s[6:7]
	s_cbranch_execz .LBB1007_192
; %bb.191:
	s_waitcnt lgkmcnt(4)
	v_add_co_u32_e32 v8, vcc, v1, v27
	v_addc_co_u32_e32 v9, vcc, 0, v16, vcc
.LBB1007_192:
	s_or_b64 exec, exec, s[6:7]
	s_waitcnt lgkmcnt(4)
	v_lshlrev_b64 v[8:9], 2, v[8:9]
	s_waitcnt lgkmcnt(3)
	v_mov_b32_e32 v6, s25
	v_add_co_u32_e32 v8, vcc, s24, v8
	v_addc_co_u32_e32 v9, vcc, v6, v9, vcc
	global_store_dword v[8:9], v7, off
	s_or_b64 exec, exec, s[4:5]
	v_cmp_gt_u32_e32 vcc, s33, v26
	s_and_saveexec_b64 s[4:5], vcc
	s_cbranch_execnz .LBB1007_158
.LBB1007_193:
	s_or_b64 exec, exec, s[4:5]
	v_cmp_gt_u32_e32 vcc, s33, v25
	s_and_saveexec_b64 s[4:5], vcc
	s_cbranch_execz .LBB1007_163
.LBB1007_194:
	v_cmp_ge_u32_e32 vcc, v25, v18
                                        ; implicit-def: $vgpr6_vgpr7
	s_and_saveexec_b64 s[6:7], vcc
	s_xor_b64 s[6:7], exec, s[6:7]
	s_cbranch_execz .LBB1007_196
; %bb.195:
	s_waitcnt lgkmcnt(2)
	v_xor_b32_e32 v4, 0xfffff6ff, v0
	v_ashrrev_i32_e32 v7, 31, v4
	v_add_co_u32_e32 v6, vcc, v19, v4
	v_addc_co_u32_e32 v7, vcc, v20, v7, vcc
                                        ; implicit-def: $vgpr25
.LBB1007_196:
	s_andn2_saveexec_b64 s[6:7], s[6:7]
	s_cbranch_execz .LBB1007_198
; %bb.197:
	s_waitcnt lgkmcnt(3)
	v_add_co_u32_e32 v6, vcc, v1, v25
	v_addc_co_u32_e32 v7, vcc, 0, v16, vcc
.LBB1007_198:
	s_or_b64 exec, exec, s[6:7]
	s_waitcnt lgkmcnt(3)
	v_lshlrev_b64 v[6:7], 2, v[6:7]
	s_waitcnt lgkmcnt(2)
	v_mov_b32_e32 v4, s25
	v_add_co_u32_e32 v6, vcc, s24, v6
	v_addc_co_u32_e32 v7, vcc, v4, v7, vcc
	global_store_dword v[6:7], v5, off
	s_or_b64 exec, exec, s[4:5]
	v_cmp_gt_u32_e32 vcc, s33, v24
	s_and_saveexec_b64 s[4:5], vcc
	s_cbranch_execnz .LBB1007_164
.LBB1007_199:
	s_or_b64 exec, exec, s[4:5]
	v_cmp_gt_u32_e32 vcc, s33, v23
	s_and_saveexec_b64 s[4:5], vcc
	s_cbranch_execz .LBB1007_205
.LBB1007_200:
	v_cmp_ge_u32_e32 vcc, v23, v18
                                        ; implicit-def: $vgpr4_vgpr5
	s_and_saveexec_b64 s[6:7], vcc
	s_xor_b64 s[6:7], exec, s[6:7]
	s_cbranch_execz .LBB1007_202
; %bb.201:
	s_waitcnt lgkmcnt(1)
	v_xor_b32_e32 v2, 0xfffff4ff, v0
	v_ashrrev_i32_e32 v5, 31, v2
	v_add_co_u32_e32 v4, vcc, v19, v2
	v_addc_co_u32_e32 v5, vcc, v20, v5, vcc
                                        ; implicit-def: $vgpr23
.LBB1007_202:
	s_andn2_saveexec_b64 s[6:7], s[6:7]
	s_cbranch_execz .LBB1007_204
; %bb.203:
	s_waitcnt lgkmcnt(2)
	v_add_co_u32_e32 v4, vcc, v1, v23
	v_addc_co_u32_e32 v5, vcc, 0, v16, vcc
.LBB1007_204:
	s_or_b64 exec, exec, s[6:7]
	s_waitcnt lgkmcnt(2)
	v_lshlrev_b64 v[4:5], 2, v[4:5]
	s_waitcnt lgkmcnt(1)
	v_mov_b32_e32 v2, s25
	v_add_co_u32_e32 v4, vcc, s24, v4
	v_addc_co_u32_e32 v5, vcc, v2, v5, vcc
	global_store_dword v[4:5], v3, off
.LBB1007_205:
	s_or_b64 exec, exec, s[4:5]
	v_cmp_gt_u32_e32 vcc, s33, v22
                                        ; implicit-def: $vgpr14_vgpr15
	s_and_saveexec_b64 s[4:5], vcc
	s_cbranch_execz .LBB1007_211
; %bb.206:
	v_cmp_ge_u32_e32 vcc, v22, v18
                                        ; implicit-def: $vgpr14_vgpr15
	s_and_saveexec_b64 s[6:7], vcc
	s_xor_b64 s[6:7], exec, s[6:7]
	s_cbranch_execz .LBB1007_208
; %bb.207:
	v_xor_b32_e32 v0, 0xfffff3ff, v0
	s_waitcnt lgkmcnt(1)
	v_ashrrev_i32_e32 v2, 31, v0
	v_add_co_u32_e32 v14, vcc, v19, v0
	v_addc_co_u32_e32 v15, vcc, v20, v2, vcc
                                        ; implicit-def: $vgpr22
.LBB1007_208:
	s_andn2_saveexec_b64 s[6:7], s[6:7]
; %bb.209:
	v_add_co_u32_e32 v14, vcc, v1, v22
	v_addc_co_u32_e32 v15, vcc, 0, v16, vcc
; %bb.210:
	s_or_b64 exec, exec, s[6:7]
	s_or_b64 s[2:3], s[2:3], exec
.LBB1007_211:
	s_or_b64 exec, exec, s[4:5]
	s_and_saveexec_b64 s[4:5], s[2:3]
	s_cbranch_execnz .LBB1007_130
.LBB1007_212:
	s_or_b64 exec, exec, s[4:5]
	s_and_b64 s[0:1], s[0:1], s[22:23]
	s_and_saveexec_b64 s[2:3], s[0:1]
	s_cbranch_execz .LBB1007_131
.LBB1007_213:
	v_add_co_u32_e32 v0, vcc, v1, v18
	s_waitcnt lgkmcnt(1)
	v_mov_b32_e32 v2, 0
	v_addc_co_u32_e32 v1, vcc, 0, v16, vcc
	global_store_dwordx2 v2, v[0:1], s[20:21]
	s_endpgm
	.section	.rodata,"a",@progbits
	.p2align	6, 0x0
	.amdhsa_kernel _ZN7rocprim17ROCPRIM_400000_NS6detail17trampoline_kernelINS0_13select_configILj256ELj13ELNS0_17block_load_methodE3ELS4_3ELS4_3ELNS0_20block_scan_algorithmE0ELj4294967295EEENS1_25partition_config_selectorILNS1_17partition_subalgoE3EjNS0_10empty_typeEbEEZZNS1_14partition_implILS8_3ELb0ES6_jNS0_17counting_iteratorIjlEEPS9_SE_NS0_5tupleIJPjSE_EEENSF_IJSE_SE_EEES9_SG_JZNS1_25segmented_radix_sort_implINS0_14default_configELb0EPKsPsPKlPlN2at6native12_GLOBAL__N_18offset_tEEE10hipError_tPvRmT1_PNSt15iterator_traitsISY_E10value_typeET2_T3_PNSZ_IS14_E10value_typeET4_jRbjT5_S1A_jjP12ihipStream_tbEUljE_EEESV_SW_SX_S14_S18_S1A_T6_T7_T9_mT8_S1C_bDpT10_ENKUlT_T0_E_clISt17integral_constantIbLb0EES1O_IbLb1EEEEDaS1K_S1L_EUlS1K_E_NS1_11comp_targetILNS1_3genE4ELNS1_11target_archE910ELNS1_3gpuE8ELNS1_3repE0EEENS1_30default_config_static_selectorELNS0_4arch9wavefront6targetE1EEEvSY_
		.amdhsa_group_segment_fixed_size 13324
		.amdhsa_private_segment_fixed_size 0
		.amdhsa_kernarg_size 152
		.amdhsa_user_sgpr_count 6
		.amdhsa_user_sgpr_private_segment_buffer 1
		.amdhsa_user_sgpr_dispatch_ptr 0
		.amdhsa_user_sgpr_queue_ptr 0
		.amdhsa_user_sgpr_kernarg_segment_ptr 1
		.amdhsa_user_sgpr_dispatch_id 0
		.amdhsa_user_sgpr_flat_scratch_init 0
		.amdhsa_user_sgpr_kernarg_preload_length 0
		.amdhsa_user_sgpr_kernarg_preload_offset 0
		.amdhsa_user_sgpr_private_segment_size 0
		.amdhsa_uses_dynamic_stack 0
		.amdhsa_system_sgpr_private_segment_wavefront_offset 0
		.amdhsa_system_sgpr_workgroup_id_x 1
		.amdhsa_system_sgpr_workgroup_id_y 0
		.amdhsa_system_sgpr_workgroup_id_z 0
		.amdhsa_system_sgpr_workgroup_info 0
		.amdhsa_system_vgpr_workitem_id 0
		.amdhsa_next_free_vgpr 64
		.amdhsa_next_free_sgpr 44
		.amdhsa_accum_offset 64
		.amdhsa_reserve_vcc 1
		.amdhsa_reserve_flat_scratch 0
		.amdhsa_float_round_mode_32 0
		.amdhsa_float_round_mode_16_64 0
		.amdhsa_float_denorm_mode_32 3
		.amdhsa_float_denorm_mode_16_64 3
		.amdhsa_dx10_clamp 1
		.amdhsa_ieee_mode 1
		.amdhsa_fp16_overflow 0
		.amdhsa_tg_split 0
		.amdhsa_exception_fp_ieee_invalid_op 0
		.amdhsa_exception_fp_denorm_src 0
		.amdhsa_exception_fp_ieee_div_zero 0
		.amdhsa_exception_fp_ieee_overflow 0
		.amdhsa_exception_fp_ieee_underflow 0
		.amdhsa_exception_fp_ieee_inexact 0
		.amdhsa_exception_int_div_zero 0
	.end_amdhsa_kernel
	.section	.text._ZN7rocprim17ROCPRIM_400000_NS6detail17trampoline_kernelINS0_13select_configILj256ELj13ELNS0_17block_load_methodE3ELS4_3ELS4_3ELNS0_20block_scan_algorithmE0ELj4294967295EEENS1_25partition_config_selectorILNS1_17partition_subalgoE3EjNS0_10empty_typeEbEEZZNS1_14partition_implILS8_3ELb0ES6_jNS0_17counting_iteratorIjlEEPS9_SE_NS0_5tupleIJPjSE_EEENSF_IJSE_SE_EEES9_SG_JZNS1_25segmented_radix_sort_implINS0_14default_configELb0EPKsPsPKlPlN2at6native12_GLOBAL__N_18offset_tEEE10hipError_tPvRmT1_PNSt15iterator_traitsISY_E10value_typeET2_T3_PNSZ_IS14_E10value_typeET4_jRbjT5_S1A_jjP12ihipStream_tbEUljE_EEESV_SW_SX_S14_S18_S1A_T6_T7_T9_mT8_S1C_bDpT10_ENKUlT_T0_E_clISt17integral_constantIbLb0EES1O_IbLb1EEEEDaS1K_S1L_EUlS1K_E_NS1_11comp_targetILNS1_3genE4ELNS1_11target_archE910ELNS1_3gpuE8ELNS1_3repE0EEENS1_30default_config_static_selectorELNS0_4arch9wavefront6targetE1EEEvSY_,"axG",@progbits,_ZN7rocprim17ROCPRIM_400000_NS6detail17trampoline_kernelINS0_13select_configILj256ELj13ELNS0_17block_load_methodE3ELS4_3ELS4_3ELNS0_20block_scan_algorithmE0ELj4294967295EEENS1_25partition_config_selectorILNS1_17partition_subalgoE3EjNS0_10empty_typeEbEEZZNS1_14partition_implILS8_3ELb0ES6_jNS0_17counting_iteratorIjlEEPS9_SE_NS0_5tupleIJPjSE_EEENSF_IJSE_SE_EEES9_SG_JZNS1_25segmented_radix_sort_implINS0_14default_configELb0EPKsPsPKlPlN2at6native12_GLOBAL__N_18offset_tEEE10hipError_tPvRmT1_PNSt15iterator_traitsISY_E10value_typeET2_T3_PNSZ_IS14_E10value_typeET4_jRbjT5_S1A_jjP12ihipStream_tbEUljE_EEESV_SW_SX_S14_S18_S1A_T6_T7_T9_mT8_S1C_bDpT10_ENKUlT_T0_E_clISt17integral_constantIbLb0EES1O_IbLb1EEEEDaS1K_S1L_EUlS1K_E_NS1_11comp_targetILNS1_3genE4ELNS1_11target_archE910ELNS1_3gpuE8ELNS1_3repE0EEENS1_30default_config_static_selectorELNS0_4arch9wavefront6targetE1EEEvSY_,comdat
.Lfunc_end1007:
	.size	_ZN7rocprim17ROCPRIM_400000_NS6detail17trampoline_kernelINS0_13select_configILj256ELj13ELNS0_17block_load_methodE3ELS4_3ELS4_3ELNS0_20block_scan_algorithmE0ELj4294967295EEENS1_25partition_config_selectorILNS1_17partition_subalgoE3EjNS0_10empty_typeEbEEZZNS1_14partition_implILS8_3ELb0ES6_jNS0_17counting_iteratorIjlEEPS9_SE_NS0_5tupleIJPjSE_EEENSF_IJSE_SE_EEES9_SG_JZNS1_25segmented_radix_sort_implINS0_14default_configELb0EPKsPsPKlPlN2at6native12_GLOBAL__N_18offset_tEEE10hipError_tPvRmT1_PNSt15iterator_traitsISY_E10value_typeET2_T3_PNSZ_IS14_E10value_typeET4_jRbjT5_S1A_jjP12ihipStream_tbEUljE_EEESV_SW_SX_S14_S18_S1A_T6_T7_T9_mT8_S1C_bDpT10_ENKUlT_T0_E_clISt17integral_constantIbLb0EES1O_IbLb1EEEEDaS1K_S1L_EUlS1K_E_NS1_11comp_targetILNS1_3genE4ELNS1_11target_archE910ELNS1_3gpuE8ELNS1_3repE0EEENS1_30default_config_static_selectorELNS0_4arch9wavefront6targetE1EEEvSY_, .Lfunc_end1007-_ZN7rocprim17ROCPRIM_400000_NS6detail17trampoline_kernelINS0_13select_configILj256ELj13ELNS0_17block_load_methodE3ELS4_3ELS4_3ELNS0_20block_scan_algorithmE0ELj4294967295EEENS1_25partition_config_selectorILNS1_17partition_subalgoE3EjNS0_10empty_typeEbEEZZNS1_14partition_implILS8_3ELb0ES6_jNS0_17counting_iteratorIjlEEPS9_SE_NS0_5tupleIJPjSE_EEENSF_IJSE_SE_EEES9_SG_JZNS1_25segmented_radix_sort_implINS0_14default_configELb0EPKsPsPKlPlN2at6native12_GLOBAL__N_18offset_tEEE10hipError_tPvRmT1_PNSt15iterator_traitsISY_E10value_typeET2_T3_PNSZ_IS14_E10value_typeET4_jRbjT5_S1A_jjP12ihipStream_tbEUljE_EEESV_SW_SX_S14_S18_S1A_T6_T7_T9_mT8_S1C_bDpT10_ENKUlT_T0_E_clISt17integral_constantIbLb0EES1O_IbLb1EEEEDaS1K_S1L_EUlS1K_E_NS1_11comp_targetILNS1_3genE4ELNS1_11target_archE910ELNS1_3gpuE8ELNS1_3repE0EEENS1_30default_config_static_selectorELNS0_4arch9wavefront6targetE1EEEvSY_
                                        ; -- End function
	.section	.AMDGPU.csdata,"",@progbits
; Kernel info:
; codeLenInByte = 7816
; NumSgprs: 48
; NumVgprs: 64
; NumAgprs: 0
; TotalNumVgprs: 64
; ScratchSize: 0
; MemoryBound: 0
; FloatMode: 240
; IeeeMode: 1
; LDSByteSize: 13324 bytes/workgroup (compile time only)
; SGPRBlocks: 5
; VGPRBlocks: 7
; NumSGPRsForWavesPerEU: 48
; NumVGPRsForWavesPerEU: 64
; AccumOffset: 64
; Occupancy: 4
; WaveLimiterHint : 0
; COMPUTE_PGM_RSRC2:SCRATCH_EN: 0
; COMPUTE_PGM_RSRC2:USER_SGPR: 6
; COMPUTE_PGM_RSRC2:TRAP_HANDLER: 0
; COMPUTE_PGM_RSRC2:TGID_X_EN: 1
; COMPUTE_PGM_RSRC2:TGID_Y_EN: 0
; COMPUTE_PGM_RSRC2:TGID_Z_EN: 0
; COMPUTE_PGM_RSRC2:TIDIG_COMP_CNT: 0
; COMPUTE_PGM_RSRC3_GFX90A:ACCUM_OFFSET: 15
; COMPUTE_PGM_RSRC3_GFX90A:TG_SPLIT: 0
	.section	.text._ZN7rocprim17ROCPRIM_400000_NS6detail17trampoline_kernelINS0_13select_configILj256ELj13ELNS0_17block_load_methodE3ELS4_3ELS4_3ELNS0_20block_scan_algorithmE0ELj4294967295EEENS1_25partition_config_selectorILNS1_17partition_subalgoE3EjNS0_10empty_typeEbEEZZNS1_14partition_implILS8_3ELb0ES6_jNS0_17counting_iteratorIjlEEPS9_SE_NS0_5tupleIJPjSE_EEENSF_IJSE_SE_EEES9_SG_JZNS1_25segmented_radix_sort_implINS0_14default_configELb0EPKsPsPKlPlN2at6native12_GLOBAL__N_18offset_tEEE10hipError_tPvRmT1_PNSt15iterator_traitsISY_E10value_typeET2_T3_PNSZ_IS14_E10value_typeET4_jRbjT5_S1A_jjP12ihipStream_tbEUljE_EEESV_SW_SX_S14_S18_S1A_T6_T7_T9_mT8_S1C_bDpT10_ENKUlT_T0_E_clISt17integral_constantIbLb0EES1O_IbLb1EEEEDaS1K_S1L_EUlS1K_E_NS1_11comp_targetILNS1_3genE3ELNS1_11target_archE908ELNS1_3gpuE7ELNS1_3repE0EEENS1_30default_config_static_selectorELNS0_4arch9wavefront6targetE1EEEvSY_,"axG",@progbits,_ZN7rocprim17ROCPRIM_400000_NS6detail17trampoline_kernelINS0_13select_configILj256ELj13ELNS0_17block_load_methodE3ELS4_3ELS4_3ELNS0_20block_scan_algorithmE0ELj4294967295EEENS1_25partition_config_selectorILNS1_17partition_subalgoE3EjNS0_10empty_typeEbEEZZNS1_14partition_implILS8_3ELb0ES6_jNS0_17counting_iteratorIjlEEPS9_SE_NS0_5tupleIJPjSE_EEENSF_IJSE_SE_EEES9_SG_JZNS1_25segmented_radix_sort_implINS0_14default_configELb0EPKsPsPKlPlN2at6native12_GLOBAL__N_18offset_tEEE10hipError_tPvRmT1_PNSt15iterator_traitsISY_E10value_typeET2_T3_PNSZ_IS14_E10value_typeET4_jRbjT5_S1A_jjP12ihipStream_tbEUljE_EEESV_SW_SX_S14_S18_S1A_T6_T7_T9_mT8_S1C_bDpT10_ENKUlT_T0_E_clISt17integral_constantIbLb0EES1O_IbLb1EEEEDaS1K_S1L_EUlS1K_E_NS1_11comp_targetILNS1_3genE3ELNS1_11target_archE908ELNS1_3gpuE7ELNS1_3repE0EEENS1_30default_config_static_selectorELNS0_4arch9wavefront6targetE1EEEvSY_,comdat
	.globl	_ZN7rocprim17ROCPRIM_400000_NS6detail17trampoline_kernelINS0_13select_configILj256ELj13ELNS0_17block_load_methodE3ELS4_3ELS4_3ELNS0_20block_scan_algorithmE0ELj4294967295EEENS1_25partition_config_selectorILNS1_17partition_subalgoE3EjNS0_10empty_typeEbEEZZNS1_14partition_implILS8_3ELb0ES6_jNS0_17counting_iteratorIjlEEPS9_SE_NS0_5tupleIJPjSE_EEENSF_IJSE_SE_EEES9_SG_JZNS1_25segmented_radix_sort_implINS0_14default_configELb0EPKsPsPKlPlN2at6native12_GLOBAL__N_18offset_tEEE10hipError_tPvRmT1_PNSt15iterator_traitsISY_E10value_typeET2_T3_PNSZ_IS14_E10value_typeET4_jRbjT5_S1A_jjP12ihipStream_tbEUljE_EEESV_SW_SX_S14_S18_S1A_T6_T7_T9_mT8_S1C_bDpT10_ENKUlT_T0_E_clISt17integral_constantIbLb0EES1O_IbLb1EEEEDaS1K_S1L_EUlS1K_E_NS1_11comp_targetILNS1_3genE3ELNS1_11target_archE908ELNS1_3gpuE7ELNS1_3repE0EEENS1_30default_config_static_selectorELNS0_4arch9wavefront6targetE1EEEvSY_ ; -- Begin function _ZN7rocprim17ROCPRIM_400000_NS6detail17trampoline_kernelINS0_13select_configILj256ELj13ELNS0_17block_load_methodE3ELS4_3ELS4_3ELNS0_20block_scan_algorithmE0ELj4294967295EEENS1_25partition_config_selectorILNS1_17partition_subalgoE3EjNS0_10empty_typeEbEEZZNS1_14partition_implILS8_3ELb0ES6_jNS0_17counting_iteratorIjlEEPS9_SE_NS0_5tupleIJPjSE_EEENSF_IJSE_SE_EEES9_SG_JZNS1_25segmented_radix_sort_implINS0_14default_configELb0EPKsPsPKlPlN2at6native12_GLOBAL__N_18offset_tEEE10hipError_tPvRmT1_PNSt15iterator_traitsISY_E10value_typeET2_T3_PNSZ_IS14_E10value_typeET4_jRbjT5_S1A_jjP12ihipStream_tbEUljE_EEESV_SW_SX_S14_S18_S1A_T6_T7_T9_mT8_S1C_bDpT10_ENKUlT_T0_E_clISt17integral_constantIbLb0EES1O_IbLb1EEEEDaS1K_S1L_EUlS1K_E_NS1_11comp_targetILNS1_3genE3ELNS1_11target_archE908ELNS1_3gpuE7ELNS1_3repE0EEENS1_30default_config_static_selectorELNS0_4arch9wavefront6targetE1EEEvSY_
	.p2align	8
	.type	_ZN7rocprim17ROCPRIM_400000_NS6detail17trampoline_kernelINS0_13select_configILj256ELj13ELNS0_17block_load_methodE3ELS4_3ELS4_3ELNS0_20block_scan_algorithmE0ELj4294967295EEENS1_25partition_config_selectorILNS1_17partition_subalgoE3EjNS0_10empty_typeEbEEZZNS1_14partition_implILS8_3ELb0ES6_jNS0_17counting_iteratorIjlEEPS9_SE_NS0_5tupleIJPjSE_EEENSF_IJSE_SE_EEES9_SG_JZNS1_25segmented_radix_sort_implINS0_14default_configELb0EPKsPsPKlPlN2at6native12_GLOBAL__N_18offset_tEEE10hipError_tPvRmT1_PNSt15iterator_traitsISY_E10value_typeET2_T3_PNSZ_IS14_E10value_typeET4_jRbjT5_S1A_jjP12ihipStream_tbEUljE_EEESV_SW_SX_S14_S18_S1A_T6_T7_T9_mT8_S1C_bDpT10_ENKUlT_T0_E_clISt17integral_constantIbLb0EES1O_IbLb1EEEEDaS1K_S1L_EUlS1K_E_NS1_11comp_targetILNS1_3genE3ELNS1_11target_archE908ELNS1_3gpuE7ELNS1_3repE0EEENS1_30default_config_static_selectorELNS0_4arch9wavefront6targetE1EEEvSY_,@function
_ZN7rocprim17ROCPRIM_400000_NS6detail17trampoline_kernelINS0_13select_configILj256ELj13ELNS0_17block_load_methodE3ELS4_3ELS4_3ELNS0_20block_scan_algorithmE0ELj4294967295EEENS1_25partition_config_selectorILNS1_17partition_subalgoE3EjNS0_10empty_typeEbEEZZNS1_14partition_implILS8_3ELb0ES6_jNS0_17counting_iteratorIjlEEPS9_SE_NS0_5tupleIJPjSE_EEENSF_IJSE_SE_EEES9_SG_JZNS1_25segmented_radix_sort_implINS0_14default_configELb0EPKsPsPKlPlN2at6native12_GLOBAL__N_18offset_tEEE10hipError_tPvRmT1_PNSt15iterator_traitsISY_E10value_typeET2_T3_PNSZ_IS14_E10value_typeET4_jRbjT5_S1A_jjP12ihipStream_tbEUljE_EEESV_SW_SX_S14_S18_S1A_T6_T7_T9_mT8_S1C_bDpT10_ENKUlT_T0_E_clISt17integral_constantIbLb0EES1O_IbLb1EEEEDaS1K_S1L_EUlS1K_E_NS1_11comp_targetILNS1_3genE3ELNS1_11target_archE908ELNS1_3gpuE7ELNS1_3repE0EEENS1_30default_config_static_selectorELNS0_4arch9wavefront6targetE1EEEvSY_: ; @_ZN7rocprim17ROCPRIM_400000_NS6detail17trampoline_kernelINS0_13select_configILj256ELj13ELNS0_17block_load_methodE3ELS4_3ELS4_3ELNS0_20block_scan_algorithmE0ELj4294967295EEENS1_25partition_config_selectorILNS1_17partition_subalgoE3EjNS0_10empty_typeEbEEZZNS1_14partition_implILS8_3ELb0ES6_jNS0_17counting_iteratorIjlEEPS9_SE_NS0_5tupleIJPjSE_EEENSF_IJSE_SE_EEES9_SG_JZNS1_25segmented_radix_sort_implINS0_14default_configELb0EPKsPsPKlPlN2at6native12_GLOBAL__N_18offset_tEEE10hipError_tPvRmT1_PNSt15iterator_traitsISY_E10value_typeET2_T3_PNSZ_IS14_E10value_typeET4_jRbjT5_S1A_jjP12ihipStream_tbEUljE_EEESV_SW_SX_S14_S18_S1A_T6_T7_T9_mT8_S1C_bDpT10_ENKUlT_T0_E_clISt17integral_constantIbLb0EES1O_IbLb1EEEEDaS1K_S1L_EUlS1K_E_NS1_11comp_targetILNS1_3genE3ELNS1_11target_archE908ELNS1_3gpuE7ELNS1_3repE0EEENS1_30default_config_static_selectorELNS0_4arch9wavefront6targetE1EEEvSY_
; %bb.0:
	.section	.rodata,"a",@progbits
	.p2align	6, 0x0
	.amdhsa_kernel _ZN7rocprim17ROCPRIM_400000_NS6detail17trampoline_kernelINS0_13select_configILj256ELj13ELNS0_17block_load_methodE3ELS4_3ELS4_3ELNS0_20block_scan_algorithmE0ELj4294967295EEENS1_25partition_config_selectorILNS1_17partition_subalgoE3EjNS0_10empty_typeEbEEZZNS1_14partition_implILS8_3ELb0ES6_jNS0_17counting_iteratorIjlEEPS9_SE_NS0_5tupleIJPjSE_EEENSF_IJSE_SE_EEES9_SG_JZNS1_25segmented_radix_sort_implINS0_14default_configELb0EPKsPsPKlPlN2at6native12_GLOBAL__N_18offset_tEEE10hipError_tPvRmT1_PNSt15iterator_traitsISY_E10value_typeET2_T3_PNSZ_IS14_E10value_typeET4_jRbjT5_S1A_jjP12ihipStream_tbEUljE_EEESV_SW_SX_S14_S18_S1A_T6_T7_T9_mT8_S1C_bDpT10_ENKUlT_T0_E_clISt17integral_constantIbLb0EES1O_IbLb1EEEEDaS1K_S1L_EUlS1K_E_NS1_11comp_targetILNS1_3genE3ELNS1_11target_archE908ELNS1_3gpuE7ELNS1_3repE0EEENS1_30default_config_static_selectorELNS0_4arch9wavefront6targetE1EEEvSY_
		.amdhsa_group_segment_fixed_size 0
		.amdhsa_private_segment_fixed_size 0
		.amdhsa_kernarg_size 152
		.amdhsa_user_sgpr_count 6
		.amdhsa_user_sgpr_private_segment_buffer 1
		.amdhsa_user_sgpr_dispatch_ptr 0
		.amdhsa_user_sgpr_queue_ptr 0
		.amdhsa_user_sgpr_kernarg_segment_ptr 1
		.amdhsa_user_sgpr_dispatch_id 0
		.amdhsa_user_sgpr_flat_scratch_init 0
		.amdhsa_user_sgpr_kernarg_preload_length 0
		.amdhsa_user_sgpr_kernarg_preload_offset 0
		.amdhsa_user_sgpr_private_segment_size 0
		.amdhsa_uses_dynamic_stack 0
		.amdhsa_system_sgpr_private_segment_wavefront_offset 0
		.amdhsa_system_sgpr_workgroup_id_x 1
		.amdhsa_system_sgpr_workgroup_id_y 0
		.amdhsa_system_sgpr_workgroup_id_z 0
		.amdhsa_system_sgpr_workgroup_info 0
		.amdhsa_system_vgpr_workitem_id 0
		.amdhsa_next_free_vgpr 1
		.amdhsa_next_free_sgpr 0
		.amdhsa_accum_offset 4
		.amdhsa_reserve_vcc 0
		.amdhsa_reserve_flat_scratch 0
		.amdhsa_float_round_mode_32 0
		.amdhsa_float_round_mode_16_64 0
		.amdhsa_float_denorm_mode_32 3
		.amdhsa_float_denorm_mode_16_64 3
		.amdhsa_dx10_clamp 1
		.amdhsa_ieee_mode 1
		.amdhsa_fp16_overflow 0
		.amdhsa_tg_split 0
		.amdhsa_exception_fp_ieee_invalid_op 0
		.amdhsa_exception_fp_denorm_src 0
		.amdhsa_exception_fp_ieee_div_zero 0
		.amdhsa_exception_fp_ieee_overflow 0
		.amdhsa_exception_fp_ieee_underflow 0
		.amdhsa_exception_fp_ieee_inexact 0
		.amdhsa_exception_int_div_zero 0
	.end_amdhsa_kernel
	.section	.text._ZN7rocprim17ROCPRIM_400000_NS6detail17trampoline_kernelINS0_13select_configILj256ELj13ELNS0_17block_load_methodE3ELS4_3ELS4_3ELNS0_20block_scan_algorithmE0ELj4294967295EEENS1_25partition_config_selectorILNS1_17partition_subalgoE3EjNS0_10empty_typeEbEEZZNS1_14partition_implILS8_3ELb0ES6_jNS0_17counting_iteratorIjlEEPS9_SE_NS0_5tupleIJPjSE_EEENSF_IJSE_SE_EEES9_SG_JZNS1_25segmented_radix_sort_implINS0_14default_configELb0EPKsPsPKlPlN2at6native12_GLOBAL__N_18offset_tEEE10hipError_tPvRmT1_PNSt15iterator_traitsISY_E10value_typeET2_T3_PNSZ_IS14_E10value_typeET4_jRbjT5_S1A_jjP12ihipStream_tbEUljE_EEESV_SW_SX_S14_S18_S1A_T6_T7_T9_mT8_S1C_bDpT10_ENKUlT_T0_E_clISt17integral_constantIbLb0EES1O_IbLb1EEEEDaS1K_S1L_EUlS1K_E_NS1_11comp_targetILNS1_3genE3ELNS1_11target_archE908ELNS1_3gpuE7ELNS1_3repE0EEENS1_30default_config_static_selectorELNS0_4arch9wavefront6targetE1EEEvSY_,"axG",@progbits,_ZN7rocprim17ROCPRIM_400000_NS6detail17trampoline_kernelINS0_13select_configILj256ELj13ELNS0_17block_load_methodE3ELS4_3ELS4_3ELNS0_20block_scan_algorithmE0ELj4294967295EEENS1_25partition_config_selectorILNS1_17partition_subalgoE3EjNS0_10empty_typeEbEEZZNS1_14partition_implILS8_3ELb0ES6_jNS0_17counting_iteratorIjlEEPS9_SE_NS0_5tupleIJPjSE_EEENSF_IJSE_SE_EEES9_SG_JZNS1_25segmented_radix_sort_implINS0_14default_configELb0EPKsPsPKlPlN2at6native12_GLOBAL__N_18offset_tEEE10hipError_tPvRmT1_PNSt15iterator_traitsISY_E10value_typeET2_T3_PNSZ_IS14_E10value_typeET4_jRbjT5_S1A_jjP12ihipStream_tbEUljE_EEESV_SW_SX_S14_S18_S1A_T6_T7_T9_mT8_S1C_bDpT10_ENKUlT_T0_E_clISt17integral_constantIbLb0EES1O_IbLb1EEEEDaS1K_S1L_EUlS1K_E_NS1_11comp_targetILNS1_3genE3ELNS1_11target_archE908ELNS1_3gpuE7ELNS1_3repE0EEENS1_30default_config_static_selectorELNS0_4arch9wavefront6targetE1EEEvSY_,comdat
.Lfunc_end1008:
	.size	_ZN7rocprim17ROCPRIM_400000_NS6detail17trampoline_kernelINS0_13select_configILj256ELj13ELNS0_17block_load_methodE3ELS4_3ELS4_3ELNS0_20block_scan_algorithmE0ELj4294967295EEENS1_25partition_config_selectorILNS1_17partition_subalgoE3EjNS0_10empty_typeEbEEZZNS1_14partition_implILS8_3ELb0ES6_jNS0_17counting_iteratorIjlEEPS9_SE_NS0_5tupleIJPjSE_EEENSF_IJSE_SE_EEES9_SG_JZNS1_25segmented_radix_sort_implINS0_14default_configELb0EPKsPsPKlPlN2at6native12_GLOBAL__N_18offset_tEEE10hipError_tPvRmT1_PNSt15iterator_traitsISY_E10value_typeET2_T3_PNSZ_IS14_E10value_typeET4_jRbjT5_S1A_jjP12ihipStream_tbEUljE_EEESV_SW_SX_S14_S18_S1A_T6_T7_T9_mT8_S1C_bDpT10_ENKUlT_T0_E_clISt17integral_constantIbLb0EES1O_IbLb1EEEEDaS1K_S1L_EUlS1K_E_NS1_11comp_targetILNS1_3genE3ELNS1_11target_archE908ELNS1_3gpuE7ELNS1_3repE0EEENS1_30default_config_static_selectorELNS0_4arch9wavefront6targetE1EEEvSY_, .Lfunc_end1008-_ZN7rocprim17ROCPRIM_400000_NS6detail17trampoline_kernelINS0_13select_configILj256ELj13ELNS0_17block_load_methodE3ELS4_3ELS4_3ELNS0_20block_scan_algorithmE0ELj4294967295EEENS1_25partition_config_selectorILNS1_17partition_subalgoE3EjNS0_10empty_typeEbEEZZNS1_14partition_implILS8_3ELb0ES6_jNS0_17counting_iteratorIjlEEPS9_SE_NS0_5tupleIJPjSE_EEENSF_IJSE_SE_EEES9_SG_JZNS1_25segmented_radix_sort_implINS0_14default_configELb0EPKsPsPKlPlN2at6native12_GLOBAL__N_18offset_tEEE10hipError_tPvRmT1_PNSt15iterator_traitsISY_E10value_typeET2_T3_PNSZ_IS14_E10value_typeET4_jRbjT5_S1A_jjP12ihipStream_tbEUljE_EEESV_SW_SX_S14_S18_S1A_T6_T7_T9_mT8_S1C_bDpT10_ENKUlT_T0_E_clISt17integral_constantIbLb0EES1O_IbLb1EEEEDaS1K_S1L_EUlS1K_E_NS1_11comp_targetILNS1_3genE3ELNS1_11target_archE908ELNS1_3gpuE7ELNS1_3repE0EEENS1_30default_config_static_selectorELNS0_4arch9wavefront6targetE1EEEvSY_
                                        ; -- End function
	.section	.AMDGPU.csdata,"",@progbits
; Kernel info:
; codeLenInByte = 0
; NumSgprs: 4
; NumVgprs: 0
; NumAgprs: 0
; TotalNumVgprs: 0
; ScratchSize: 0
; MemoryBound: 0
; FloatMode: 240
; IeeeMode: 1
; LDSByteSize: 0 bytes/workgroup (compile time only)
; SGPRBlocks: 0
; VGPRBlocks: 0
; NumSGPRsForWavesPerEU: 4
; NumVGPRsForWavesPerEU: 1
; AccumOffset: 4
; Occupancy: 8
; WaveLimiterHint : 0
; COMPUTE_PGM_RSRC2:SCRATCH_EN: 0
; COMPUTE_PGM_RSRC2:USER_SGPR: 6
; COMPUTE_PGM_RSRC2:TRAP_HANDLER: 0
; COMPUTE_PGM_RSRC2:TGID_X_EN: 1
; COMPUTE_PGM_RSRC2:TGID_Y_EN: 0
; COMPUTE_PGM_RSRC2:TGID_Z_EN: 0
; COMPUTE_PGM_RSRC2:TIDIG_COMP_CNT: 0
; COMPUTE_PGM_RSRC3_GFX90A:ACCUM_OFFSET: 0
; COMPUTE_PGM_RSRC3_GFX90A:TG_SPLIT: 0
	.section	.text._ZN7rocprim17ROCPRIM_400000_NS6detail17trampoline_kernelINS0_13select_configILj256ELj13ELNS0_17block_load_methodE3ELS4_3ELS4_3ELNS0_20block_scan_algorithmE0ELj4294967295EEENS1_25partition_config_selectorILNS1_17partition_subalgoE3EjNS0_10empty_typeEbEEZZNS1_14partition_implILS8_3ELb0ES6_jNS0_17counting_iteratorIjlEEPS9_SE_NS0_5tupleIJPjSE_EEENSF_IJSE_SE_EEES9_SG_JZNS1_25segmented_radix_sort_implINS0_14default_configELb0EPKsPsPKlPlN2at6native12_GLOBAL__N_18offset_tEEE10hipError_tPvRmT1_PNSt15iterator_traitsISY_E10value_typeET2_T3_PNSZ_IS14_E10value_typeET4_jRbjT5_S1A_jjP12ihipStream_tbEUljE_EEESV_SW_SX_S14_S18_S1A_T6_T7_T9_mT8_S1C_bDpT10_ENKUlT_T0_E_clISt17integral_constantIbLb0EES1O_IbLb1EEEEDaS1K_S1L_EUlS1K_E_NS1_11comp_targetILNS1_3genE2ELNS1_11target_archE906ELNS1_3gpuE6ELNS1_3repE0EEENS1_30default_config_static_selectorELNS0_4arch9wavefront6targetE1EEEvSY_,"axG",@progbits,_ZN7rocprim17ROCPRIM_400000_NS6detail17trampoline_kernelINS0_13select_configILj256ELj13ELNS0_17block_load_methodE3ELS4_3ELS4_3ELNS0_20block_scan_algorithmE0ELj4294967295EEENS1_25partition_config_selectorILNS1_17partition_subalgoE3EjNS0_10empty_typeEbEEZZNS1_14partition_implILS8_3ELb0ES6_jNS0_17counting_iteratorIjlEEPS9_SE_NS0_5tupleIJPjSE_EEENSF_IJSE_SE_EEES9_SG_JZNS1_25segmented_radix_sort_implINS0_14default_configELb0EPKsPsPKlPlN2at6native12_GLOBAL__N_18offset_tEEE10hipError_tPvRmT1_PNSt15iterator_traitsISY_E10value_typeET2_T3_PNSZ_IS14_E10value_typeET4_jRbjT5_S1A_jjP12ihipStream_tbEUljE_EEESV_SW_SX_S14_S18_S1A_T6_T7_T9_mT8_S1C_bDpT10_ENKUlT_T0_E_clISt17integral_constantIbLb0EES1O_IbLb1EEEEDaS1K_S1L_EUlS1K_E_NS1_11comp_targetILNS1_3genE2ELNS1_11target_archE906ELNS1_3gpuE6ELNS1_3repE0EEENS1_30default_config_static_selectorELNS0_4arch9wavefront6targetE1EEEvSY_,comdat
	.globl	_ZN7rocprim17ROCPRIM_400000_NS6detail17trampoline_kernelINS0_13select_configILj256ELj13ELNS0_17block_load_methodE3ELS4_3ELS4_3ELNS0_20block_scan_algorithmE0ELj4294967295EEENS1_25partition_config_selectorILNS1_17partition_subalgoE3EjNS0_10empty_typeEbEEZZNS1_14partition_implILS8_3ELb0ES6_jNS0_17counting_iteratorIjlEEPS9_SE_NS0_5tupleIJPjSE_EEENSF_IJSE_SE_EEES9_SG_JZNS1_25segmented_radix_sort_implINS0_14default_configELb0EPKsPsPKlPlN2at6native12_GLOBAL__N_18offset_tEEE10hipError_tPvRmT1_PNSt15iterator_traitsISY_E10value_typeET2_T3_PNSZ_IS14_E10value_typeET4_jRbjT5_S1A_jjP12ihipStream_tbEUljE_EEESV_SW_SX_S14_S18_S1A_T6_T7_T9_mT8_S1C_bDpT10_ENKUlT_T0_E_clISt17integral_constantIbLb0EES1O_IbLb1EEEEDaS1K_S1L_EUlS1K_E_NS1_11comp_targetILNS1_3genE2ELNS1_11target_archE906ELNS1_3gpuE6ELNS1_3repE0EEENS1_30default_config_static_selectorELNS0_4arch9wavefront6targetE1EEEvSY_ ; -- Begin function _ZN7rocprim17ROCPRIM_400000_NS6detail17trampoline_kernelINS0_13select_configILj256ELj13ELNS0_17block_load_methodE3ELS4_3ELS4_3ELNS0_20block_scan_algorithmE0ELj4294967295EEENS1_25partition_config_selectorILNS1_17partition_subalgoE3EjNS0_10empty_typeEbEEZZNS1_14partition_implILS8_3ELb0ES6_jNS0_17counting_iteratorIjlEEPS9_SE_NS0_5tupleIJPjSE_EEENSF_IJSE_SE_EEES9_SG_JZNS1_25segmented_radix_sort_implINS0_14default_configELb0EPKsPsPKlPlN2at6native12_GLOBAL__N_18offset_tEEE10hipError_tPvRmT1_PNSt15iterator_traitsISY_E10value_typeET2_T3_PNSZ_IS14_E10value_typeET4_jRbjT5_S1A_jjP12ihipStream_tbEUljE_EEESV_SW_SX_S14_S18_S1A_T6_T7_T9_mT8_S1C_bDpT10_ENKUlT_T0_E_clISt17integral_constantIbLb0EES1O_IbLb1EEEEDaS1K_S1L_EUlS1K_E_NS1_11comp_targetILNS1_3genE2ELNS1_11target_archE906ELNS1_3gpuE6ELNS1_3repE0EEENS1_30default_config_static_selectorELNS0_4arch9wavefront6targetE1EEEvSY_
	.p2align	8
	.type	_ZN7rocprim17ROCPRIM_400000_NS6detail17trampoline_kernelINS0_13select_configILj256ELj13ELNS0_17block_load_methodE3ELS4_3ELS4_3ELNS0_20block_scan_algorithmE0ELj4294967295EEENS1_25partition_config_selectorILNS1_17partition_subalgoE3EjNS0_10empty_typeEbEEZZNS1_14partition_implILS8_3ELb0ES6_jNS0_17counting_iteratorIjlEEPS9_SE_NS0_5tupleIJPjSE_EEENSF_IJSE_SE_EEES9_SG_JZNS1_25segmented_radix_sort_implINS0_14default_configELb0EPKsPsPKlPlN2at6native12_GLOBAL__N_18offset_tEEE10hipError_tPvRmT1_PNSt15iterator_traitsISY_E10value_typeET2_T3_PNSZ_IS14_E10value_typeET4_jRbjT5_S1A_jjP12ihipStream_tbEUljE_EEESV_SW_SX_S14_S18_S1A_T6_T7_T9_mT8_S1C_bDpT10_ENKUlT_T0_E_clISt17integral_constantIbLb0EES1O_IbLb1EEEEDaS1K_S1L_EUlS1K_E_NS1_11comp_targetILNS1_3genE2ELNS1_11target_archE906ELNS1_3gpuE6ELNS1_3repE0EEENS1_30default_config_static_selectorELNS0_4arch9wavefront6targetE1EEEvSY_,@function
_ZN7rocprim17ROCPRIM_400000_NS6detail17trampoline_kernelINS0_13select_configILj256ELj13ELNS0_17block_load_methodE3ELS4_3ELS4_3ELNS0_20block_scan_algorithmE0ELj4294967295EEENS1_25partition_config_selectorILNS1_17partition_subalgoE3EjNS0_10empty_typeEbEEZZNS1_14partition_implILS8_3ELb0ES6_jNS0_17counting_iteratorIjlEEPS9_SE_NS0_5tupleIJPjSE_EEENSF_IJSE_SE_EEES9_SG_JZNS1_25segmented_radix_sort_implINS0_14default_configELb0EPKsPsPKlPlN2at6native12_GLOBAL__N_18offset_tEEE10hipError_tPvRmT1_PNSt15iterator_traitsISY_E10value_typeET2_T3_PNSZ_IS14_E10value_typeET4_jRbjT5_S1A_jjP12ihipStream_tbEUljE_EEESV_SW_SX_S14_S18_S1A_T6_T7_T9_mT8_S1C_bDpT10_ENKUlT_T0_E_clISt17integral_constantIbLb0EES1O_IbLb1EEEEDaS1K_S1L_EUlS1K_E_NS1_11comp_targetILNS1_3genE2ELNS1_11target_archE906ELNS1_3gpuE6ELNS1_3repE0EEENS1_30default_config_static_selectorELNS0_4arch9wavefront6targetE1EEEvSY_: ; @_ZN7rocprim17ROCPRIM_400000_NS6detail17trampoline_kernelINS0_13select_configILj256ELj13ELNS0_17block_load_methodE3ELS4_3ELS4_3ELNS0_20block_scan_algorithmE0ELj4294967295EEENS1_25partition_config_selectorILNS1_17partition_subalgoE3EjNS0_10empty_typeEbEEZZNS1_14partition_implILS8_3ELb0ES6_jNS0_17counting_iteratorIjlEEPS9_SE_NS0_5tupleIJPjSE_EEENSF_IJSE_SE_EEES9_SG_JZNS1_25segmented_radix_sort_implINS0_14default_configELb0EPKsPsPKlPlN2at6native12_GLOBAL__N_18offset_tEEE10hipError_tPvRmT1_PNSt15iterator_traitsISY_E10value_typeET2_T3_PNSZ_IS14_E10value_typeET4_jRbjT5_S1A_jjP12ihipStream_tbEUljE_EEESV_SW_SX_S14_S18_S1A_T6_T7_T9_mT8_S1C_bDpT10_ENKUlT_T0_E_clISt17integral_constantIbLb0EES1O_IbLb1EEEEDaS1K_S1L_EUlS1K_E_NS1_11comp_targetILNS1_3genE2ELNS1_11target_archE906ELNS1_3gpuE6ELNS1_3repE0EEENS1_30default_config_static_selectorELNS0_4arch9wavefront6targetE1EEEvSY_
; %bb.0:
	.section	.rodata,"a",@progbits
	.p2align	6, 0x0
	.amdhsa_kernel _ZN7rocprim17ROCPRIM_400000_NS6detail17trampoline_kernelINS0_13select_configILj256ELj13ELNS0_17block_load_methodE3ELS4_3ELS4_3ELNS0_20block_scan_algorithmE0ELj4294967295EEENS1_25partition_config_selectorILNS1_17partition_subalgoE3EjNS0_10empty_typeEbEEZZNS1_14partition_implILS8_3ELb0ES6_jNS0_17counting_iteratorIjlEEPS9_SE_NS0_5tupleIJPjSE_EEENSF_IJSE_SE_EEES9_SG_JZNS1_25segmented_radix_sort_implINS0_14default_configELb0EPKsPsPKlPlN2at6native12_GLOBAL__N_18offset_tEEE10hipError_tPvRmT1_PNSt15iterator_traitsISY_E10value_typeET2_T3_PNSZ_IS14_E10value_typeET4_jRbjT5_S1A_jjP12ihipStream_tbEUljE_EEESV_SW_SX_S14_S18_S1A_T6_T7_T9_mT8_S1C_bDpT10_ENKUlT_T0_E_clISt17integral_constantIbLb0EES1O_IbLb1EEEEDaS1K_S1L_EUlS1K_E_NS1_11comp_targetILNS1_3genE2ELNS1_11target_archE906ELNS1_3gpuE6ELNS1_3repE0EEENS1_30default_config_static_selectorELNS0_4arch9wavefront6targetE1EEEvSY_
		.amdhsa_group_segment_fixed_size 0
		.amdhsa_private_segment_fixed_size 0
		.amdhsa_kernarg_size 152
		.amdhsa_user_sgpr_count 6
		.amdhsa_user_sgpr_private_segment_buffer 1
		.amdhsa_user_sgpr_dispatch_ptr 0
		.amdhsa_user_sgpr_queue_ptr 0
		.amdhsa_user_sgpr_kernarg_segment_ptr 1
		.amdhsa_user_sgpr_dispatch_id 0
		.amdhsa_user_sgpr_flat_scratch_init 0
		.amdhsa_user_sgpr_kernarg_preload_length 0
		.amdhsa_user_sgpr_kernarg_preload_offset 0
		.amdhsa_user_sgpr_private_segment_size 0
		.amdhsa_uses_dynamic_stack 0
		.amdhsa_system_sgpr_private_segment_wavefront_offset 0
		.amdhsa_system_sgpr_workgroup_id_x 1
		.amdhsa_system_sgpr_workgroup_id_y 0
		.amdhsa_system_sgpr_workgroup_id_z 0
		.amdhsa_system_sgpr_workgroup_info 0
		.amdhsa_system_vgpr_workitem_id 0
		.amdhsa_next_free_vgpr 1
		.amdhsa_next_free_sgpr 0
		.amdhsa_accum_offset 4
		.amdhsa_reserve_vcc 0
		.amdhsa_reserve_flat_scratch 0
		.amdhsa_float_round_mode_32 0
		.amdhsa_float_round_mode_16_64 0
		.amdhsa_float_denorm_mode_32 3
		.amdhsa_float_denorm_mode_16_64 3
		.amdhsa_dx10_clamp 1
		.amdhsa_ieee_mode 1
		.amdhsa_fp16_overflow 0
		.amdhsa_tg_split 0
		.amdhsa_exception_fp_ieee_invalid_op 0
		.amdhsa_exception_fp_denorm_src 0
		.amdhsa_exception_fp_ieee_div_zero 0
		.amdhsa_exception_fp_ieee_overflow 0
		.amdhsa_exception_fp_ieee_underflow 0
		.amdhsa_exception_fp_ieee_inexact 0
		.amdhsa_exception_int_div_zero 0
	.end_amdhsa_kernel
	.section	.text._ZN7rocprim17ROCPRIM_400000_NS6detail17trampoline_kernelINS0_13select_configILj256ELj13ELNS0_17block_load_methodE3ELS4_3ELS4_3ELNS0_20block_scan_algorithmE0ELj4294967295EEENS1_25partition_config_selectorILNS1_17partition_subalgoE3EjNS0_10empty_typeEbEEZZNS1_14partition_implILS8_3ELb0ES6_jNS0_17counting_iteratorIjlEEPS9_SE_NS0_5tupleIJPjSE_EEENSF_IJSE_SE_EEES9_SG_JZNS1_25segmented_radix_sort_implINS0_14default_configELb0EPKsPsPKlPlN2at6native12_GLOBAL__N_18offset_tEEE10hipError_tPvRmT1_PNSt15iterator_traitsISY_E10value_typeET2_T3_PNSZ_IS14_E10value_typeET4_jRbjT5_S1A_jjP12ihipStream_tbEUljE_EEESV_SW_SX_S14_S18_S1A_T6_T7_T9_mT8_S1C_bDpT10_ENKUlT_T0_E_clISt17integral_constantIbLb0EES1O_IbLb1EEEEDaS1K_S1L_EUlS1K_E_NS1_11comp_targetILNS1_3genE2ELNS1_11target_archE906ELNS1_3gpuE6ELNS1_3repE0EEENS1_30default_config_static_selectorELNS0_4arch9wavefront6targetE1EEEvSY_,"axG",@progbits,_ZN7rocprim17ROCPRIM_400000_NS6detail17trampoline_kernelINS0_13select_configILj256ELj13ELNS0_17block_load_methodE3ELS4_3ELS4_3ELNS0_20block_scan_algorithmE0ELj4294967295EEENS1_25partition_config_selectorILNS1_17partition_subalgoE3EjNS0_10empty_typeEbEEZZNS1_14partition_implILS8_3ELb0ES6_jNS0_17counting_iteratorIjlEEPS9_SE_NS0_5tupleIJPjSE_EEENSF_IJSE_SE_EEES9_SG_JZNS1_25segmented_radix_sort_implINS0_14default_configELb0EPKsPsPKlPlN2at6native12_GLOBAL__N_18offset_tEEE10hipError_tPvRmT1_PNSt15iterator_traitsISY_E10value_typeET2_T3_PNSZ_IS14_E10value_typeET4_jRbjT5_S1A_jjP12ihipStream_tbEUljE_EEESV_SW_SX_S14_S18_S1A_T6_T7_T9_mT8_S1C_bDpT10_ENKUlT_T0_E_clISt17integral_constantIbLb0EES1O_IbLb1EEEEDaS1K_S1L_EUlS1K_E_NS1_11comp_targetILNS1_3genE2ELNS1_11target_archE906ELNS1_3gpuE6ELNS1_3repE0EEENS1_30default_config_static_selectorELNS0_4arch9wavefront6targetE1EEEvSY_,comdat
.Lfunc_end1009:
	.size	_ZN7rocprim17ROCPRIM_400000_NS6detail17trampoline_kernelINS0_13select_configILj256ELj13ELNS0_17block_load_methodE3ELS4_3ELS4_3ELNS0_20block_scan_algorithmE0ELj4294967295EEENS1_25partition_config_selectorILNS1_17partition_subalgoE3EjNS0_10empty_typeEbEEZZNS1_14partition_implILS8_3ELb0ES6_jNS0_17counting_iteratorIjlEEPS9_SE_NS0_5tupleIJPjSE_EEENSF_IJSE_SE_EEES9_SG_JZNS1_25segmented_radix_sort_implINS0_14default_configELb0EPKsPsPKlPlN2at6native12_GLOBAL__N_18offset_tEEE10hipError_tPvRmT1_PNSt15iterator_traitsISY_E10value_typeET2_T3_PNSZ_IS14_E10value_typeET4_jRbjT5_S1A_jjP12ihipStream_tbEUljE_EEESV_SW_SX_S14_S18_S1A_T6_T7_T9_mT8_S1C_bDpT10_ENKUlT_T0_E_clISt17integral_constantIbLb0EES1O_IbLb1EEEEDaS1K_S1L_EUlS1K_E_NS1_11comp_targetILNS1_3genE2ELNS1_11target_archE906ELNS1_3gpuE6ELNS1_3repE0EEENS1_30default_config_static_selectorELNS0_4arch9wavefront6targetE1EEEvSY_, .Lfunc_end1009-_ZN7rocprim17ROCPRIM_400000_NS6detail17trampoline_kernelINS0_13select_configILj256ELj13ELNS0_17block_load_methodE3ELS4_3ELS4_3ELNS0_20block_scan_algorithmE0ELj4294967295EEENS1_25partition_config_selectorILNS1_17partition_subalgoE3EjNS0_10empty_typeEbEEZZNS1_14partition_implILS8_3ELb0ES6_jNS0_17counting_iteratorIjlEEPS9_SE_NS0_5tupleIJPjSE_EEENSF_IJSE_SE_EEES9_SG_JZNS1_25segmented_radix_sort_implINS0_14default_configELb0EPKsPsPKlPlN2at6native12_GLOBAL__N_18offset_tEEE10hipError_tPvRmT1_PNSt15iterator_traitsISY_E10value_typeET2_T3_PNSZ_IS14_E10value_typeET4_jRbjT5_S1A_jjP12ihipStream_tbEUljE_EEESV_SW_SX_S14_S18_S1A_T6_T7_T9_mT8_S1C_bDpT10_ENKUlT_T0_E_clISt17integral_constantIbLb0EES1O_IbLb1EEEEDaS1K_S1L_EUlS1K_E_NS1_11comp_targetILNS1_3genE2ELNS1_11target_archE906ELNS1_3gpuE6ELNS1_3repE0EEENS1_30default_config_static_selectorELNS0_4arch9wavefront6targetE1EEEvSY_
                                        ; -- End function
	.section	.AMDGPU.csdata,"",@progbits
; Kernel info:
; codeLenInByte = 0
; NumSgprs: 4
; NumVgprs: 0
; NumAgprs: 0
; TotalNumVgprs: 0
; ScratchSize: 0
; MemoryBound: 0
; FloatMode: 240
; IeeeMode: 1
; LDSByteSize: 0 bytes/workgroup (compile time only)
; SGPRBlocks: 0
; VGPRBlocks: 0
; NumSGPRsForWavesPerEU: 4
; NumVGPRsForWavesPerEU: 1
; AccumOffset: 4
; Occupancy: 8
; WaveLimiterHint : 0
; COMPUTE_PGM_RSRC2:SCRATCH_EN: 0
; COMPUTE_PGM_RSRC2:USER_SGPR: 6
; COMPUTE_PGM_RSRC2:TRAP_HANDLER: 0
; COMPUTE_PGM_RSRC2:TGID_X_EN: 1
; COMPUTE_PGM_RSRC2:TGID_Y_EN: 0
; COMPUTE_PGM_RSRC2:TGID_Z_EN: 0
; COMPUTE_PGM_RSRC2:TIDIG_COMP_CNT: 0
; COMPUTE_PGM_RSRC3_GFX90A:ACCUM_OFFSET: 0
; COMPUTE_PGM_RSRC3_GFX90A:TG_SPLIT: 0
	.section	.text._ZN7rocprim17ROCPRIM_400000_NS6detail17trampoline_kernelINS0_13select_configILj256ELj13ELNS0_17block_load_methodE3ELS4_3ELS4_3ELNS0_20block_scan_algorithmE0ELj4294967295EEENS1_25partition_config_selectorILNS1_17partition_subalgoE3EjNS0_10empty_typeEbEEZZNS1_14partition_implILS8_3ELb0ES6_jNS0_17counting_iteratorIjlEEPS9_SE_NS0_5tupleIJPjSE_EEENSF_IJSE_SE_EEES9_SG_JZNS1_25segmented_radix_sort_implINS0_14default_configELb0EPKsPsPKlPlN2at6native12_GLOBAL__N_18offset_tEEE10hipError_tPvRmT1_PNSt15iterator_traitsISY_E10value_typeET2_T3_PNSZ_IS14_E10value_typeET4_jRbjT5_S1A_jjP12ihipStream_tbEUljE_EEESV_SW_SX_S14_S18_S1A_T6_T7_T9_mT8_S1C_bDpT10_ENKUlT_T0_E_clISt17integral_constantIbLb0EES1O_IbLb1EEEEDaS1K_S1L_EUlS1K_E_NS1_11comp_targetILNS1_3genE10ELNS1_11target_archE1200ELNS1_3gpuE4ELNS1_3repE0EEENS1_30default_config_static_selectorELNS0_4arch9wavefront6targetE1EEEvSY_,"axG",@progbits,_ZN7rocprim17ROCPRIM_400000_NS6detail17trampoline_kernelINS0_13select_configILj256ELj13ELNS0_17block_load_methodE3ELS4_3ELS4_3ELNS0_20block_scan_algorithmE0ELj4294967295EEENS1_25partition_config_selectorILNS1_17partition_subalgoE3EjNS0_10empty_typeEbEEZZNS1_14partition_implILS8_3ELb0ES6_jNS0_17counting_iteratorIjlEEPS9_SE_NS0_5tupleIJPjSE_EEENSF_IJSE_SE_EEES9_SG_JZNS1_25segmented_radix_sort_implINS0_14default_configELb0EPKsPsPKlPlN2at6native12_GLOBAL__N_18offset_tEEE10hipError_tPvRmT1_PNSt15iterator_traitsISY_E10value_typeET2_T3_PNSZ_IS14_E10value_typeET4_jRbjT5_S1A_jjP12ihipStream_tbEUljE_EEESV_SW_SX_S14_S18_S1A_T6_T7_T9_mT8_S1C_bDpT10_ENKUlT_T0_E_clISt17integral_constantIbLb0EES1O_IbLb1EEEEDaS1K_S1L_EUlS1K_E_NS1_11comp_targetILNS1_3genE10ELNS1_11target_archE1200ELNS1_3gpuE4ELNS1_3repE0EEENS1_30default_config_static_selectorELNS0_4arch9wavefront6targetE1EEEvSY_,comdat
	.globl	_ZN7rocprim17ROCPRIM_400000_NS6detail17trampoline_kernelINS0_13select_configILj256ELj13ELNS0_17block_load_methodE3ELS4_3ELS4_3ELNS0_20block_scan_algorithmE0ELj4294967295EEENS1_25partition_config_selectorILNS1_17partition_subalgoE3EjNS0_10empty_typeEbEEZZNS1_14partition_implILS8_3ELb0ES6_jNS0_17counting_iteratorIjlEEPS9_SE_NS0_5tupleIJPjSE_EEENSF_IJSE_SE_EEES9_SG_JZNS1_25segmented_radix_sort_implINS0_14default_configELb0EPKsPsPKlPlN2at6native12_GLOBAL__N_18offset_tEEE10hipError_tPvRmT1_PNSt15iterator_traitsISY_E10value_typeET2_T3_PNSZ_IS14_E10value_typeET4_jRbjT5_S1A_jjP12ihipStream_tbEUljE_EEESV_SW_SX_S14_S18_S1A_T6_T7_T9_mT8_S1C_bDpT10_ENKUlT_T0_E_clISt17integral_constantIbLb0EES1O_IbLb1EEEEDaS1K_S1L_EUlS1K_E_NS1_11comp_targetILNS1_3genE10ELNS1_11target_archE1200ELNS1_3gpuE4ELNS1_3repE0EEENS1_30default_config_static_selectorELNS0_4arch9wavefront6targetE1EEEvSY_ ; -- Begin function _ZN7rocprim17ROCPRIM_400000_NS6detail17trampoline_kernelINS0_13select_configILj256ELj13ELNS0_17block_load_methodE3ELS4_3ELS4_3ELNS0_20block_scan_algorithmE0ELj4294967295EEENS1_25partition_config_selectorILNS1_17partition_subalgoE3EjNS0_10empty_typeEbEEZZNS1_14partition_implILS8_3ELb0ES6_jNS0_17counting_iteratorIjlEEPS9_SE_NS0_5tupleIJPjSE_EEENSF_IJSE_SE_EEES9_SG_JZNS1_25segmented_radix_sort_implINS0_14default_configELb0EPKsPsPKlPlN2at6native12_GLOBAL__N_18offset_tEEE10hipError_tPvRmT1_PNSt15iterator_traitsISY_E10value_typeET2_T3_PNSZ_IS14_E10value_typeET4_jRbjT5_S1A_jjP12ihipStream_tbEUljE_EEESV_SW_SX_S14_S18_S1A_T6_T7_T9_mT8_S1C_bDpT10_ENKUlT_T0_E_clISt17integral_constantIbLb0EES1O_IbLb1EEEEDaS1K_S1L_EUlS1K_E_NS1_11comp_targetILNS1_3genE10ELNS1_11target_archE1200ELNS1_3gpuE4ELNS1_3repE0EEENS1_30default_config_static_selectorELNS0_4arch9wavefront6targetE1EEEvSY_
	.p2align	8
	.type	_ZN7rocprim17ROCPRIM_400000_NS6detail17trampoline_kernelINS0_13select_configILj256ELj13ELNS0_17block_load_methodE3ELS4_3ELS4_3ELNS0_20block_scan_algorithmE0ELj4294967295EEENS1_25partition_config_selectorILNS1_17partition_subalgoE3EjNS0_10empty_typeEbEEZZNS1_14partition_implILS8_3ELb0ES6_jNS0_17counting_iteratorIjlEEPS9_SE_NS0_5tupleIJPjSE_EEENSF_IJSE_SE_EEES9_SG_JZNS1_25segmented_radix_sort_implINS0_14default_configELb0EPKsPsPKlPlN2at6native12_GLOBAL__N_18offset_tEEE10hipError_tPvRmT1_PNSt15iterator_traitsISY_E10value_typeET2_T3_PNSZ_IS14_E10value_typeET4_jRbjT5_S1A_jjP12ihipStream_tbEUljE_EEESV_SW_SX_S14_S18_S1A_T6_T7_T9_mT8_S1C_bDpT10_ENKUlT_T0_E_clISt17integral_constantIbLb0EES1O_IbLb1EEEEDaS1K_S1L_EUlS1K_E_NS1_11comp_targetILNS1_3genE10ELNS1_11target_archE1200ELNS1_3gpuE4ELNS1_3repE0EEENS1_30default_config_static_selectorELNS0_4arch9wavefront6targetE1EEEvSY_,@function
_ZN7rocprim17ROCPRIM_400000_NS6detail17trampoline_kernelINS0_13select_configILj256ELj13ELNS0_17block_load_methodE3ELS4_3ELS4_3ELNS0_20block_scan_algorithmE0ELj4294967295EEENS1_25partition_config_selectorILNS1_17partition_subalgoE3EjNS0_10empty_typeEbEEZZNS1_14partition_implILS8_3ELb0ES6_jNS0_17counting_iteratorIjlEEPS9_SE_NS0_5tupleIJPjSE_EEENSF_IJSE_SE_EEES9_SG_JZNS1_25segmented_radix_sort_implINS0_14default_configELb0EPKsPsPKlPlN2at6native12_GLOBAL__N_18offset_tEEE10hipError_tPvRmT1_PNSt15iterator_traitsISY_E10value_typeET2_T3_PNSZ_IS14_E10value_typeET4_jRbjT5_S1A_jjP12ihipStream_tbEUljE_EEESV_SW_SX_S14_S18_S1A_T6_T7_T9_mT8_S1C_bDpT10_ENKUlT_T0_E_clISt17integral_constantIbLb0EES1O_IbLb1EEEEDaS1K_S1L_EUlS1K_E_NS1_11comp_targetILNS1_3genE10ELNS1_11target_archE1200ELNS1_3gpuE4ELNS1_3repE0EEENS1_30default_config_static_selectorELNS0_4arch9wavefront6targetE1EEEvSY_: ; @_ZN7rocprim17ROCPRIM_400000_NS6detail17trampoline_kernelINS0_13select_configILj256ELj13ELNS0_17block_load_methodE3ELS4_3ELS4_3ELNS0_20block_scan_algorithmE0ELj4294967295EEENS1_25partition_config_selectorILNS1_17partition_subalgoE3EjNS0_10empty_typeEbEEZZNS1_14partition_implILS8_3ELb0ES6_jNS0_17counting_iteratorIjlEEPS9_SE_NS0_5tupleIJPjSE_EEENSF_IJSE_SE_EEES9_SG_JZNS1_25segmented_radix_sort_implINS0_14default_configELb0EPKsPsPKlPlN2at6native12_GLOBAL__N_18offset_tEEE10hipError_tPvRmT1_PNSt15iterator_traitsISY_E10value_typeET2_T3_PNSZ_IS14_E10value_typeET4_jRbjT5_S1A_jjP12ihipStream_tbEUljE_EEESV_SW_SX_S14_S18_S1A_T6_T7_T9_mT8_S1C_bDpT10_ENKUlT_T0_E_clISt17integral_constantIbLb0EES1O_IbLb1EEEEDaS1K_S1L_EUlS1K_E_NS1_11comp_targetILNS1_3genE10ELNS1_11target_archE1200ELNS1_3gpuE4ELNS1_3repE0EEENS1_30default_config_static_selectorELNS0_4arch9wavefront6targetE1EEEvSY_
; %bb.0:
	.section	.rodata,"a",@progbits
	.p2align	6, 0x0
	.amdhsa_kernel _ZN7rocprim17ROCPRIM_400000_NS6detail17trampoline_kernelINS0_13select_configILj256ELj13ELNS0_17block_load_methodE3ELS4_3ELS4_3ELNS0_20block_scan_algorithmE0ELj4294967295EEENS1_25partition_config_selectorILNS1_17partition_subalgoE3EjNS0_10empty_typeEbEEZZNS1_14partition_implILS8_3ELb0ES6_jNS0_17counting_iteratorIjlEEPS9_SE_NS0_5tupleIJPjSE_EEENSF_IJSE_SE_EEES9_SG_JZNS1_25segmented_radix_sort_implINS0_14default_configELb0EPKsPsPKlPlN2at6native12_GLOBAL__N_18offset_tEEE10hipError_tPvRmT1_PNSt15iterator_traitsISY_E10value_typeET2_T3_PNSZ_IS14_E10value_typeET4_jRbjT5_S1A_jjP12ihipStream_tbEUljE_EEESV_SW_SX_S14_S18_S1A_T6_T7_T9_mT8_S1C_bDpT10_ENKUlT_T0_E_clISt17integral_constantIbLb0EES1O_IbLb1EEEEDaS1K_S1L_EUlS1K_E_NS1_11comp_targetILNS1_3genE10ELNS1_11target_archE1200ELNS1_3gpuE4ELNS1_3repE0EEENS1_30default_config_static_selectorELNS0_4arch9wavefront6targetE1EEEvSY_
		.amdhsa_group_segment_fixed_size 0
		.amdhsa_private_segment_fixed_size 0
		.amdhsa_kernarg_size 152
		.amdhsa_user_sgpr_count 6
		.amdhsa_user_sgpr_private_segment_buffer 1
		.amdhsa_user_sgpr_dispatch_ptr 0
		.amdhsa_user_sgpr_queue_ptr 0
		.amdhsa_user_sgpr_kernarg_segment_ptr 1
		.amdhsa_user_sgpr_dispatch_id 0
		.amdhsa_user_sgpr_flat_scratch_init 0
		.amdhsa_user_sgpr_kernarg_preload_length 0
		.amdhsa_user_sgpr_kernarg_preload_offset 0
		.amdhsa_user_sgpr_private_segment_size 0
		.amdhsa_uses_dynamic_stack 0
		.amdhsa_system_sgpr_private_segment_wavefront_offset 0
		.amdhsa_system_sgpr_workgroup_id_x 1
		.amdhsa_system_sgpr_workgroup_id_y 0
		.amdhsa_system_sgpr_workgroup_id_z 0
		.amdhsa_system_sgpr_workgroup_info 0
		.amdhsa_system_vgpr_workitem_id 0
		.amdhsa_next_free_vgpr 1
		.amdhsa_next_free_sgpr 0
		.amdhsa_accum_offset 4
		.amdhsa_reserve_vcc 0
		.amdhsa_reserve_flat_scratch 0
		.amdhsa_float_round_mode_32 0
		.amdhsa_float_round_mode_16_64 0
		.amdhsa_float_denorm_mode_32 3
		.amdhsa_float_denorm_mode_16_64 3
		.amdhsa_dx10_clamp 1
		.amdhsa_ieee_mode 1
		.amdhsa_fp16_overflow 0
		.amdhsa_tg_split 0
		.amdhsa_exception_fp_ieee_invalid_op 0
		.amdhsa_exception_fp_denorm_src 0
		.amdhsa_exception_fp_ieee_div_zero 0
		.amdhsa_exception_fp_ieee_overflow 0
		.amdhsa_exception_fp_ieee_underflow 0
		.amdhsa_exception_fp_ieee_inexact 0
		.amdhsa_exception_int_div_zero 0
	.end_amdhsa_kernel
	.section	.text._ZN7rocprim17ROCPRIM_400000_NS6detail17trampoline_kernelINS0_13select_configILj256ELj13ELNS0_17block_load_methodE3ELS4_3ELS4_3ELNS0_20block_scan_algorithmE0ELj4294967295EEENS1_25partition_config_selectorILNS1_17partition_subalgoE3EjNS0_10empty_typeEbEEZZNS1_14partition_implILS8_3ELb0ES6_jNS0_17counting_iteratorIjlEEPS9_SE_NS0_5tupleIJPjSE_EEENSF_IJSE_SE_EEES9_SG_JZNS1_25segmented_radix_sort_implINS0_14default_configELb0EPKsPsPKlPlN2at6native12_GLOBAL__N_18offset_tEEE10hipError_tPvRmT1_PNSt15iterator_traitsISY_E10value_typeET2_T3_PNSZ_IS14_E10value_typeET4_jRbjT5_S1A_jjP12ihipStream_tbEUljE_EEESV_SW_SX_S14_S18_S1A_T6_T7_T9_mT8_S1C_bDpT10_ENKUlT_T0_E_clISt17integral_constantIbLb0EES1O_IbLb1EEEEDaS1K_S1L_EUlS1K_E_NS1_11comp_targetILNS1_3genE10ELNS1_11target_archE1200ELNS1_3gpuE4ELNS1_3repE0EEENS1_30default_config_static_selectorELNS0_4arch9wavefront6targetE1EEEvSY_,"axG",@progbits,_ZN7rocprim17ROCPRIM_400000_NS6detail17trampoline_kernelINS0_13select_configILj256ELj13ELNS0_17block_load_methodE3ELS4_3ELS4_3ELNS0_20block_scan_algorithmE0ELj4294967295EEENS1_25partition_config_selectorILNS1_17partition_subalgoE3EjNS0_10empty_typeEbEEZZNS1_14partition_implILS8_3ELb0ES6_jNS0_17counting_iteratorIjlEEPS9_SE_NS0_5tupleIJPjSE_EEENSF_IJSE_SE_EEES9_SG_JZNS1_25segmented_radix_sort_implINS0_14default_configELb0EPKsPsPKlPlN2at6native12_GLOBAL__N_18offset_tEEE10hipError_tPvRmT1_PNSt15iterator_traitsISY_E10value_typeET2_T3_PNSZ_IS14_E10value_typeET4_jRbjT5_S1A_jjP12ihipStream_tbEUljE_EEESV_SW_SX_S14_S18_S1A_T6_T7_T9_mT8_S1C_bDpT10_ENKUlT_T0_E_clISt17integral_constantIbLb0EES1O_IbLb1EEEEDaS1K_S1L_EUlS1K_E_NS1_11comp_targetILNS1_3genE10ELNS1_11target_archE1200ELNS1_3gpuE4ELNS1_3repE0EEENS1_30default_config_static_selectorELNS0_4arch9wavefront6targetE1EEEvSY_,comdat
.Lfunc_end1010:
	.size	_ZN7rocprim17ROCPRIM_400000_NS6detail17trampoline_kernelINS0_13select_configILj256ELj13ELNS0_17block_load_methodE3ELS4_3ELS4_3ELNS0_20block_scan_algorithmE0ELj4294967295EEENS1_25partition_config_selectorILNS1_17partition_subalgoE3EjNS0_10empty_typeEbEEZZNS1_14partition_implILS8_3ELb0ES6_jNS0_17counting_iteratorIjlEEPS9_SE_NS0_5tupleIJPjSE_EEENSF_IJSE_SE_EEES9_SG_JZNS1_25segmented_radix_sort_implINS0_14default_configELb0EPKsPsPKlPlN2at6native12_GLOBAL__N_18offset_tEEE10hipError_tPvRmT1_PNSt15iterator_traitsISY_E10value_typeET2_T3_PNSZ_IS14_E10value_typeET4_jRbjT5_S1A_jjP12ihipStream_tbEUljE_EEESV_SW_SX_S14_S18_S1A_T6_T7_T9_mT8_S1C_bDpT10_ENKUlT_T0_E_clISt17integral_constantIbLb0EES1O_IbLb1EEEEDaS1K_S1L_EUlS1K_E_NS1_11comp_targetILNS1_3genE10ELNS1_11target_archE1200ELNS1_3gpuE4ELNS1_3repE0EEENS1_30default_config_static_selectorELNS0_4arch9wavefront6targetE1EEEvSY_, .Lfunc_end1010-_ZN7rocprim17ROCPRIM_400000_NS6detail17trampoline_kernelINS0_13select_configILj256ELj13ELNS0_17block_load_methodE3ELS4_3ELS4_3ELNS0_20block_scan_algorithmE0ELj4294967295EEENS1_25partition_config_selectorILNS1_17partition_subalgoE3EjNS0_10empty_typeEbEEZZNS1_14partition_implILS8_3ELb0ES6_jNS0_17counting_iteratorIjlEEPS9_SE_NS0_5tupleIJPjSE_EEENSF_IJSE_SE_EEES9_SG_JZNS1_25segmented_radix_sort_implINS0_14default_configELb0EPKsPsPKlPlN2at6native12_GLOBAL__N_18offset_tEEE10hipError_tPvRmT1_PNSt15iterator_traitsISY_E10value_typeET2_T3_PNSZ_IS14_E10value_typeET4_jRbjT5_S1A_jjP12ihipStream_tbEUljE_EEESV_SW_SX_S14_S18_S1A_T6_T7_T9_mT8_S1C_bDpT10_ENKUlT_T0_E_clISt17integral_constantIbLb0EES1O_IbLb1EEEEDaS1K_S1L_EUlS1K_E_NS1_11comp_targetILNS1_3genE10ELNS1_11target_archE1200ELNS1_3gpuE4ELNS1_3repE0EEENS1_30default_config_static_selectorELNS0_4arch9wavefront6targetE1EEEvSY_
                                        ; -- End function
	.section	.AMDGPU.csdata,"",@progbits
; Kernel info:
; codeLenInByte = 0
; NumSgprs: 4
; NumVgprs: 0
; NumAgprs: 0
; TotalNumVgprs: 0
; ScratchSize: 0
; MemoryBound: 0
; FloatMode: 240
; IeeeMode: 1
; LDSByteSize: 0 bytes/workgroup (compile time only)
; SGPRBlocks: 0
; VGPRBlocks: 0
; NumSGPRsForWavesPerEU: 4
; NumVGPRsForWavesPerEU: 1
; AccumOffset: 4
; Occupancy: 8
; WaveLimiterHint : 0
; COMPUTE_PGM_RSRC2:SCRATCH_EN: 0
; COMPUTE_PGM_RSRC2:USER_SGPR: 6
; COMPUTE_PGM_RSRC2:TRAP_HANDLER: 0
; COMPUTE_PGM_RSRC2:TGID_X_EN: 1
; COMPUTE_PGM_RSRC2:TGID_Y_EN: 0
; COMPUTE_PGM_RSRC2:TGID_Z_EN: 0
; COMPUTE_PGM_RSRC2:TIDIG_COMP_CNT: 0
; COMPUTE_PGM_RSRC3_GFX90A:ACCUM_OFFSET: 0
; COMPUTE_PGM_RSRC3_GFX90A:TG_SPLIT: 0
	.section	.text._ZN7rocprim17ROCPRIM_400000_NS6detail17trampoline_kernelINS0_13select_configILj256ELj13ELNS0_17block_load_methodE3ELS4_3ELS4_3ELNS0_20block_scan_algorithmE0ELj4294967295EEENS1_25partition_config_selectorILNS1_17partition_subalgoE3EjNS0_10empty_typeEbEEZZNS1_14partition_implILS8_3ELb0ES6_jNS0_17counting_iteratorIjlEEPS9_SE_NS0_5tupleIJPjSE_EEENSF_IJSE_SE_EEES9_SG_JZNS1_25segmented_radix_sort_implINS0_14default_configELb0EPKsPsPKlPlN2at6native12_GLOBAL__N_18offset_tEEE10hipError_tPvRmT1_PNSt15iterator_traitsISY_E10value_typeET2_T3_PNSZ_IS14_E10value_typeET4_jRbjT5_S1A_jjP12ihipStream_tbEUljE_EEESV_SW_SX_S14_S18_S1A_T6_T7_T9_mT8_S1C_bDpT10_ENKUlT_T0_E_clISt17integral_constantIbLb0EES1O_IbLb1EEEEDaS1K_S1L_EUlS1K_E_NS1_11comp_targetILNS1_3genE9ELNS1_11target_archE1100ELNS1_3gpuE3ELNS1_3repE0EEENS1_30default_config_static_selectorELNS0_4arch9wavefront6targetE1EEEvSY_,"axG",@progbits,_ZN7rocprim17ROCPRIM_400000_NS6detail17trampoline_kernelINS0_13select_configILj256ELj13ELNS0_17block_load_methodE3ELS4_3ELS4_3ELNS0_20block_scan_algorithmE0ELj4294967295EEENS1_25partition_config_selectorILNS1_17partition_subalgoE3EjNS0_10empty_typeEbEEZZNS1_14partition_implILS8_3ELb0ES6_jNS0_17counting_iteratorIjlEEPS9_SE_NS0_5tupleIJPjSE_EEENSF_IJSE_SE_EEES9_SG_JZNS1_25segmented_radix_sort_implINS0_14default_configELb0EPKsPsPKlPlN2at6native12_GLOBAL__N_18offset_tEEE10hipError_tPvRmT1_PNSt15iterator_traitsISY_E10value_typeET2_T3_PNSZ_IS14_E10value_typeET4_jRbjT5_S1A_jjP12ihipStream_tbEUljE_EEESV_SW_SX_S14_S18_S1A_T6_T7_T9_mT8_S1C_bDpT10_ENKUlT_T0_E_clISt17integral_constantIbLb0EES1O_IbLb1EEEEDaS1K_S1L_EUlS1K_E_NS1_11comp_targetILNS1_3genE9ELNS1_11target_archE1100ELNS1_3gpuE3ELNS1_3repE0EEENS1_30default_config_static_selectorELNS0_4arch9wavefront6targetE1EEEvSY_,comdat
	.globl	_ZN7rocprim17ROCPRIM_400000_NS6detail17trampoline_kernelINS0_13select_configILj256ELj13ELNS0_17block_load_methodE3ELS4_3ELS4_3ELNS0_20block_scan_algorithmE0ELj4294967295EEENS1_25partition_config_selectorILNS1_17partition_subalgoE3EjNS0_10empty_typeEbEEZZNS1_14partition_implILS8_3ELb0ES6_jNS0_17counting_iteratorIjlEEPS9_SE_NS0_5tupleIJPjSE_EEENSF_IJSE_SE_EEES9_SG_JZNS1_25segmented_radix_sort_implINS0_14default_configELb0EPKsPsPKlPlN2at6native12_GLOBAL__N_18offset_tEEE10hipError_tPvRmT1_PNSt15iterator_traitsISY_E10value_typeET2_T3_PNSZ_IS14_E10value_typeET4_jRbjT5_S1A_jjP12ihipStream_tbEUljE_EEESV_SW_SX_S14_S18_S1A_T6_T7_T9_mT8_S1C_bDpT10_ENKUlT_T0_E_clISt17integral_constantIbLb0EES1O_IbLb1EEEEDaS1K_S1L_EUlS1K_E_NS1_11comp_targetILNS1_3genE9ELNS1_11target_archE1100ELNS1_3gpuE3ELNS1_3repE0EEENS1_30default_config_static_selectorELNS0_4arch9wavefront6targetE1EEEvSY_ ; -- Begin function _ZN7rocprim17ROCPRIM_400000_NS6detail17trampoline_kernelINS0_13select_configILj256ELj13ELNS0_17block_load_methodE3ELS4_3ELS4_3ELNS0_20block_scan_algorithmE0ELj4294967295EEENS1_25partition_config_selectorILNS1_17partition_subalgoE3EjNS0_10empty_typeEbEEZZNS1_14partition_implILS8_3ELb0ES6_jNS0_17counting_iteratorIjlEEPS9_SE_NS0_5tupleIJPjSE_EEENSF_IJSE_SE_EEES9_SG_JZNS1_25segmented_radix_sort_implINS0_14default_configELb0EPKsPsPKlPlN2at6native12_GLOBAL__N_18offset_tEEE10hipError_tPvRmT1_PNSt15iterator_traitsISY_E10value_typeET2_T3_PNSZ_IS14_E10value_typeET4_jRbjT5_S1A_jjP12ihipStream_tbEUljE_EEESV_SW_SX_S14_S18_S1A_T6_T7_T9_mT8_S1C_bDpT10_ENKUlT_T0_E_clISt17integral_constantIbLb0EES1O_IbLb1EEEEDaS1K_S1L_EUlS1K_E_NS1_11comp_targetILNS1_3genE9ELNS1_11target_archE1100ELNS1_3gpuE3ELNS1_3repE0EEENS1_30default_config_static_selectorELNS0_4arch9wavefront6targetE1EEEvSY_
	.p2align	8
	.type	_ZN7rocprim17ROCPRIM_400000_NS6detail17trampoline_kernelINS0_13select_configILj256ELj13ELNS0_17block_load_methodE3ELS4_3ELS4_3ELNS0_20block_scan_algorithmE0ELj4294967295EEENS1_25partition_config_selectorILNS1_17partition_subalgoE3EjNS0_10empty_typeEbEEZZNS1_14partition_implILS8_3ELb0ES6_jNS0_17counting_iteratorIjlEEPS9_SE_NS0_5tupleIJPjSE_EEENSF_IJSE_SE_EEES9_SG_JZNS1_25segmented_radix_sort_implINS0_14default_configELb0EPKsPsPKlPlN2at6native12_GLOBAL__N_18offset_tEEE10hipError_tPvRmT1_PNSt15iterator_traitsISY_E10value_typeET2_T3_PNSZ_IS14_E10value_typeET4_jRbjT5_S1A_jjP12ihipStream_tbEUljE_EEESV_SW_SX_S14_S18_S1A_T6_T7_T9_mT8_S1C_bDpT10_ENKUlT_T0_E_clISt17integral_constantIbLb0EES1O_IbLb1EEEEDaS1K_S1L_EUlS1K_E_NS1_11comp_targetILNS1_3genE9ELNS1_11target_archE1100ELNS1_3gpuE3ELNS1_3repE0EEENS1_30default_config_static_selectorELNS0_4arch9wavefront6targetE1EEEvSY_,@function
_ZN7rocprim17ROCPRIM_400000_NS6detail17trampoline_kernelINS0_13select_configILj256ELj13ELNS0_17block_load_methodE3ELS4_3ELS4_3ELNS0_20block_scan_algorithmE0ELj4294967295EEENS1_25partition_config_selectorILNS1_17partition_subalgoE3EjNS0_10empty_typeEbEEZZNS1_14partition_implILS8_3ELb0ES6_jNS0_17counting_iteratorIjlEEPS9_SE_NS0_5tupleIJPjSE_EEENSF_IJSE_SE_EEES9_SG_JZNS1_25segmented_radix_sort_implINS0_14default_configELb0EPKsPsPKlPlN2at6native12_GLOBAL__N_18offset_tEEE10hipError_tPvRmT1_PNSt15iterator_traitsISY_E10value_typeET2_T3_PNSZ_IS14_E10value_typeET4_jRbjT5_S1A_jjP12ihipStream_tbEUljE_EEESV_SW_SX_S14_S18_S1A_T6_T7_T9_mT8_S1C_bDpT10_ENKUlT_T0_E_clISt17integral_constantIbLb0EES1O_IbLb1EEEEDaS1K_S1L_EUlS1K_E_NS1_11comp_targetILNS1_3genE9ELNS1_11target_archE1100ELNS1_3gpuE3ELNS1_3repE0EEENS1_30default_config_static_selectorELNS0_4arch9wavefront6targetE1EEEvSY_: ; @_ZN7rocprim17ROCPRIM_400000_NS6detail17trampoline_kernelINS0_13select_configILj256ELj13ELNS0_17block_load_methodE3ELS4_3ELS4_3ELNS0_20block_scan_algorithmE0ELj4294967295EEENS1_25partition_config_selectorILNS1_17partition_subalgoE3EjNS0_10empty_typeEbEEZZNS1_14partition_implILS8_3ELb0ES6_jNS0_17counting_iteratorIjlEEPS9_SE_NS0_5tupleIJPjSE_EEENSF_IJSE_SE_EEES9_SG_JZNS1_25segmented_radix_sort_implINS0_14default_configELb0EPKsPsPKlPlN2at6native12_GLOBAL__N_18offset_tEEE10hipError_tPvRmT1_PNSt15iterator_traitsISY_E10value_typeET2_T3_PNSZ_IS14_E10value_typeET4_jRbjT5_S1A_jjP12ihipStream_tbEUljE_EEESV_SW_SX_S14_S18_S1A_T6_T7_T9_mT8_S1C_bDpT10_ENKUlT_T0_E_clISt17integral_constantIbLb0EES1O_IbLb1EEEEDaS1K_S1L_EUlS1K_E_NS1_11comp_targetILNS1_3genE9ELNS1_11target_archE1100ELNS1_3gpuE3ELNS1_3repE0EEENS1_30default_config_static_selectorELNS0_4arch9wavefront6targetE1EEEvSY_
; %bb.0:
	.section	.rodata,"a",@progbits
	.p2align	6, 0x0
	.amdhsa_kernel _ZN7rocprim17ROCPRIM_400000_NS6detail17trampoline_kernelINS0_13select_configILj256ELj13ELNS0_17block_load_methodE3ELS4_3ELS4_3ELNS0_20block_scan_algorithmE0ELj4294967295EEENS1_25partition_config_selectorILNS1_17partition_subalgoE3EjNS0_10empty_typeEbEEZZNS1_14partition_implILS8_3ELb0ES6_jNS0_17counting_iteratorIjlEEPS9_SE_NS0_5tupleIJPjSE_EEENSF_IJSE_SE_EEES9_SG_JZNS1_25segmented_radix_sort_implINS0_14default_configELb0EPKsPsPKlPlN2at6native12_GLOBAL__N_18offset_tEEE10hipError_tPvRmT1_PNSt15iterator_traitsISY_E10value_typeET2_T3_PNSZ_IS14_E10value_typeET4_jRbjT5_S1A_jjP12ihipStream_tbEUljE_EEESV_SW_SX_S14_S18_S1A_T6_T7_T9_mT8_S1C_bDpT10_ENKUlT_T0_E_clISt17integral_constantIbLb0EES1O_IbLb1EEEEDaS1K_S1L_EUlS1K_E_NS1_11comp_targetILNS1_3genE9ELNS1_11target_archE1100ELNS1_3gpuE3ELNS1_3repE0EEENS1_30default_config_static_selectorELNS0_4arch9wavefront6targetE1EEEvSY_
		.amdhsa_group_segment_fixed_size 0
		.amdhsa_private_segment_fixed_size 0
		.amdhsa_kernarg_size 152
		.amdhsa_user_sgpr_count 6
		.amdhsa_user_sgpr_private_segment_buffer 1
		.amdhsa_user_sgpr_dispatch_ptr 0
		.amdhsa_user_sgpr_queue_ptr 0
		.amdhsa_user_sgpr_kernarg_segment_ptr 1
		.amdhsa_user_sgpr_dispatch_id 0
		.amdhsa_user_sgpr_flat_scratch_init 0
		.amdhsa_user_sgpr_kernarg_preload_length 0
		.amdhsa_user_sgpr_kernarg_preload_offset 0
		.amdhsa_user_sgpr_private_segment_size 0
		.amdhsa_uses_dynamic_stack 0
		.amdhsa_system_sgpr_private_segment_wavefront_offset 0
		.amdhsa_system_sgpr_workgroup_id_x 1
		.amdhsa_system_sgpr_workgroup_id_y 0
		.amdhsa_system_sgpr_workgroup_id_z 0
		.amdhsa_system_sgpr_workgroup_info 0
		.amdhsa_system_vgpr_workitem_id 0
		.amdhsa_next_free_vgpr 1
		.amdhsa_next_free_sgpr 0
		.amdhsa_accum_offset 4
		.amdhsa_reserve_vcc 0
		.amdhsa_reserve_flat_scratch 0
		.amdhsa_float_round_mode_32 0
		.amdhsa_float_round_mode_16_64 0
		.amdhsa_float_denorm_mode_32 3
		.amdhsa_float_denorm_mode_16_64 3
		.amdhsa_dx10_clamp 1
		.amdhsa_ieee_mode 1
		.amdhsa_fp16_overflow 0
		.amdhsa_tg_split 0
		.amdhsa_exception_fp_ieee_invalid_op 0
		.amdhsa_exception_fp_denorm_src 0
		.amdhsa_exception_fp_ieee_div_zero 0
		.amdhsa_exception_fp_ieee_overflow 0
		.amdhsa_exception_fp_ieee_underflow 0
		.amdhsa_exception_fp_ieee_inexact 0
		.amdhsa_exception_int_div_zero 0
	.end_amdhsa_kernel
	.section	.text._ZN7rocprim17ROCPRIM_400000_NS6detail17trampoline_kernelINS0_13select_configILj256ELj13ELNS0_17block_load_methodE3ELS4_3ELS4_3ELNS0_20block_scan_algorithmE0ELj4294967295EEENS1_25partition_config_selectorILNS1_17partition_subalgoE3EjNS0_10empty_typeEbEEZZNS1_14partition_implILS8_3ELb0ES6_jNS0_17counting_iteratorIjlEEPS9_SE_NS0_5tupleIJPjSE_EEENSF_IJSE_SE_EEES9_SG_JZNS1_25segmented_radix_sort_implINS0_14default_configELb0EPKsPsPKlPlN2at6native12_GLOBAL__N_18offset_tEEE10hipError_tPvRmT1_PNSt15iterator_traitsISY_E10value_typeET2_T3_PNSZ_IS14_E10value_typeET4_jRbjT5_S1A_jjP12ihipStream_tbEUljE_EEESV_SW_SX_S14_S18_S1A_T6_T7_T9_mT8_S1C_bDpT10_ENKUlT_T0_E_clISt17integral_constantIbLb0EES1O_IbLb1EEEEDaS1K_S1L_EUlS1K_E_NS1_11comp_targetILNS1_3genE9ELNS1_11target_archE1100ELNS1_3gpuE3ELNS1_3repE0EEENS1_30default_config_static_selectorELNS0_4arch9wavefront6targetE1EEEvSY_,"axG",@progbits,_ZN7rocprim17ROCPRIM_400000_NS6detail17trampoline_kernelINS0_13select_configILj256ELj13ELNS0_17block_load_methodE3ELS4_3ELS4_3ELNS0_20block_scan_algorithmE0ELj4294967295EEENS1_25partition_config_selectorILNS1_17partition_subalgoE3EjNS0_10empty_typeEbEEZZNS1_14partition_implILS8_3ELb0ES6_jNS0_17counting_iteratorIjlEEPS9_SE_NS0_5tupleIJPjSE_EEENSF_IJSE_SE_EEES9_SG_JZNS1_25segmented_radix_sort_implINS0_14default_configELb0EPKsPsPKlPlN2at6native12_GLOBAL__N_18offset_tEEE10hipError_tPvRmT1_PNSt15iterator_traitsISY_E10value_typeET2_T3_PNSZ_IS14_E10value_typeET4_jRbjT5_S1A_jjP12ihipStream_tbEUljE_EEESV_SW_SX_S14_S18_S1A_T6_T7_T9_mT8_S1C_bDpT10_ENKUlT_T0_E_clISt17integral_constantIbLb0EES1O_IbLb1EEEEDaS1K_S1L_EUlS1K_E_NS1_11comp_targetILNS1_3genE9ELNS1_11target_archE1100ELNS1_3gpuE3ELNS1_3repE0EEENS1_30default_config_static_selectorELNS0_4arch9wavefront6targetE1EEEvSY_,comdat
.Lfunc_end1011:
	.size	_ZN7rocprim17ROCPRIM_400000_NS6detail17trampoline_kernelINS0_13select_configILj256ELj13ELNS0_17block_load_methodE3ELS4_3ELS4_3ELNS0_20block_scan_algorithmE0ELj4294967295EEENS1_25partition_config_selectorILNS1_17partition_subalgoE3EjNS0_10empty_typeEbEEZZNS1_14partition_implILS8_3ELb0ES6_jNS0_17counting_iteratorIjlEEPS9_SE_NS0_5tupleIJPjSE_EEENSF_IJSE_SE_EEES9_SG_JZNS1_25segmented_radix_sort_implINS0_14default_configELb0EPKsPsPKlPlN2at6native12_GLOBAL__N_18offset_tEEE10hipError_tPvRmT1_PNSt15iterator_traitsISY_E10value_typeET2_T3_PNSZ_IS14_E10value_typeET4_jRbjT5_S1A_jjP12ihipStream_tbEUljE_EEESV_SW_SX_S14_S18_S1A_T6_T7_T9_mT8_S1C_bDpT10_ENKUlT_T0_E_clISt17integral_constantIbLb0EES1O_IbLb1EEEEDaS1K_S1L_EUlS1K_E_NS1_11comp_targetILNS1_3genE9ELNS1_11target_archE1100ELNS1_3gpuE3ELNS1_3repE0EEENS1_30default_config_static_selectorELNS0_4arch9wavefront6targetE1EEEvSY_, .Lfunc_end1011-_ZN7rocprim17ROCPRIM_400000_NS6detail17trampoline_kernelINS0_13select_configILj256ELj13ELNS0_17block_load_methodE3ELS4_3ELS4_3ELNS0_20block_scan_algorithmE0ELj4294967295EEENS1_25partition_config_selectorILNS1_17partition_subalgoE3EjNS0_10empty_typeEbEEZZNS1_14partition_implILS8_3ELb0ES6_jNS0_17counting_iteratorIjlEEPS9_SE_NS0_5tupleIJPjSE_EEENSF_IJSE_SE_EEES9_SG_JZNS1_25segmented_radix_sort_implINS0_14default_configELb0EPKsPsPKlPlN2at6native12_GLOBAL__N_18offset_tEEE10hipError_tPvRmT1_PNSt15iterator_traitsISY_E10value_typeET2_T3_PNSZ_IS14_E10value_typeET4_jRbjT5_S1A_jjP12ihipStream_tbEUljE_EEESV_SW_SX_S14_S18_S1A_T6_T7_T9_mT8_S1C_bDpT10_ENKUlT_T0_E_clISt17integral_constantIbLb0EES1O_IbLb1EEEEDaS1K_S1L_EUlS1K_E_NS1_11comp_targetILNS1_3genE9ELNS1_11target_archE1100ELNS1_3gpuE3ELNS1_3repE0EEENS1_30default_config_static_selectorELNS0_4arch9wavefront6targetE1EEEvSY_
                                        ; -- End function
	.section	.AMDGPU.csdata,"",@progbits
; Kernel info:
; codeLenInByte = 0
; NumSgprs: 4
; NumVgprs: 0
; NumAgprs: 0
; TotalNumVgprs: 0
; ScratchSize: 0
; MemoryBound: 0
; FloatMode: 240
; IeeeMode: 1
; LDSByteSize: 0 bytes/workgroup (compile time only)
; SGPRBlocks: 0
; VGPRBlocks: 0
; NumSGPRsForWavesPerEU: 4
; NumVGPRsForWavesPerEU: 1
; AccumOffset: 4
; Occupancy: 8
; WaveLimiterHint : 0
; COMPUTE_PGM_RSRC2:SCRATCH_EN: 0
; COMPUTE_PGM_RSRC2:USER_SGPR: 6
; COMPUTE_PGM_RSRC2:TRAP_HANDLER: 0
; COMPUTE_PGM_RSRC2:TGID_X_EN: 1
; COMPUTE_PGM_RSRC2:TGID_Y_EN: 0
; COMPUTE_PGM_RSRC2:TGID_Z_EN: 0
; COMPUTE_PGM_RSRC2:TIDIG_COMP_CNT: 0
; COMPUTE_PGM_RSRC3_GFX90A:ACCUM_OFFSET: 0
; COMPUTE_PGM_RSRC3_GFX90A:TG_SPLIT: 0
	.section	.text._ZN7rocprim17ROCPRIM_400000_NS6detail17trampoline_kernelINS0_13select_configILj256ELj13ELNS0_17block_load_methodE3ELS4_3ELS4_3ELNS0_20block_scan_algorithmE0ELj4294967295EEENS1_25partition_config_selectorILNS1_17partition_subalgoE3EjNS0_10empty_typeEbEEZZNS1_14partition_implILS8_3ELb0ES6_jNS0_17counting_iteratorIjlEEPS9_SE_NS0_5tupleIJPjSE_EEENSF_IJSE_SE_EEES9_SG_JZNS1_25segmented_radix_sort_implINS0_14default_configELb0EPKsPsPKlPlN2at6native12_GLOBAL__N_18offset_tEEE10hipError_tPvRmT1_PNSt15iterator_traitsISY_E10value_typeET2_T3_PNSZ_IS14_E10value_typeET4_jRbjT5_S1A_jjP12ihipStream_tbEUljE_EEESV_SW_SX_S14_S18_S1A_T6_T7_T9_mT8_S1C_bDpT10_ENKUlT_T0_E_clISt17integral_constantIbLb0EES1O_IbLb1EEEEDaS1K_S1L_EUlS1K_E_NS1_11comp_targetILNS1_3genE8ELNS1_11target_archE1030ELNS1_3gpuE2ELNS1_3repE0EEENS1_30default_config_static_selectorELNS0_4arch9wavefront6targetE1EEEvSY_,"axG",@progbits,_ZN7rocprim17ROCPRIM_400000_NS6detail17trampoline_kernelINS0_13select_configILj256ELj13ELNS0_17block_load_methodE3ELS4_3ELS4_3ELNS0_20block_scan_algorithmE0ELj4294967295EEENS1_25partition_config_selectorILNS1_17partition_subalgoE3EjNS0_10empty_typeEbEEZZNS1_14partition_implILS8_3ELb0ES6_jNS0_17counting_iteratorIjlEEPS9_SE_NS0_5tupleIJPjSE_EEENSF_IJSE_SE_EEES9_SG_JZNS1_25segmented_radix_sort_implINS0_14default_configELb0EPKsPsPKlPlN2at6native12_GLOBAL__N_18offset_tEEE10hipError_tPvRmT1_PNSt15iterator_traitsISY_E10value_typeET2_T3_PNSZ_IS14_E10value_typeET4_jRbjT5_S1A_jjP12ihipStream_tbEUljE_EEESV_SW_SX_S14_S18_S1A_T6_T7_T9_mT8_S1C_bDpT10_ENKUlT_T0_E_clISt17integral_constantIbLb0EES1O_IbLb1EEEEDaS1K_S1L_EUlS1K_E_NS1_11comp_targetILNS1_3genE8ELNS1_11target_archE1030ELNS1_3gpuE2ELNS1_3repE0EEENS1_30default_config_static_selectorELNS0_4arch9wavefront6targetE1EEEvSY_,comdat
	.globl	_ZN7rocprim17ROCPRIM_400000_NS6detail17trampoline_kernelINS0_13select_configILj256ELj13ELNS0_17block_load_methodE3ELS4_3ELS4_3ELNS0_20block_scan_algorithmE0ELj4294967295EEENS1_25partition_config_selectorILNS1_17partition_subalgoE3EjNS0_10empty_typeEbEEZZNS1_14partition_implILS8_3ELb0ES6_jNS0_17counting_iteratorIjlEEPS9_SE_NS0_5tupleIJPjSE_EEENSF_IJSE_SE_EEES9_SG_JZNS1_25segmented_radix_sort_implINS0_14default_configELb0EPKsPsPKlPlN2at6native12_GLOBAL__N_18offset_tEEE10hipError_tPvRmT1_PNSt15iterator_traitsISY_E10value_typeET2_T3_PNSZ_IS14_E10value_typeET4_jRbjT5_S1A_jjP12ihipStream_tbEUljE_EEESV_SW_SX_S14_S18_S1A_T6_T7_T9_mT8_S1C_bDpT10_ENKUlT_T0_E_clISt17integral_constantIbLb0EES1O_IbLb1EEEEDaS1K_S1L_EUlS1K_E_NS1_11comp_targetILNS1_3genE8ELNS1_11target_archE1030ELNS1_3gpuE2ELNS1_3repE0EEENS1_30default_config_static_selectorELNS0_4arch9wavefront6targetE1EEEvSY_ ; -- Begin function _ZN7rocprim17ROCPRIM_400000_NS6detail17trampoline_kernelINS0_13select_configILj256ELj13ELNS0_17block_load_methodE3ELS4_3ELS4_3ELNS0_20block_scan_algorithmE0ELj4294967295EEENS1_25partition_config_selectorILNS1_17partition_subalgoE3EjNS0_10empty_typeEbEEZZNS1_14partition_implILS8_3ELb0ES6_jNS0_17counting_iteratorIjlEEPS9_SE_NS0_5tupleIJPjSE_EEENSF_IJSE_SE_EEES9_SG_JZNS1_25segmented_radix_sort_implINS0_14default_configELb0EPKsPsPKlPlN2at6native12_GLOBAL__N_18offset_tEEE10hipError_tPvRmT1_PNSt15iterator_traitsISY_E10value_typeET2_T3_PNSZ_IS14_E10value_typeET4_jRbjT5_S1A_jjP12ihipStream_tbEUljE_EEESV_SW_SX_S14_S18_S1A_T6_T7_T9_mT8_S1C_bDpT10_ENKUlT_T0_E_clISt17integral_constantIbLb0EES1O_IbLb1EEEEDaS1K_S1L_EUlS1K_E_NS1_11comp_targetILNS1_3genE8ELNS1_11target_archE1030ELNS1_3gpuE2ELNS1_3repE0EEENS1_30default_config_static_selectorELNS0_4arch9wavefront6targetE1EEEvSY_
	.p2align	8
	.type	_ZN7rocprim17ROCPRIM_400000_NS6detail17trampoline_kernelINS0_13select_configILj256ELj13ELNS0_17block_load_methodE3ELS4_3ELS4_3ELNS0_20block_scan_algorithmE0ELj4294967295EEENS1_25partition_config_selectorILNS1_17partition_subalgoE3EjNS0_10empty_typeEbEEZZNS1_14partition_implILS8_3ELb0ES6_jNS0_17counting_iteratorIjlEEPS9_SE_NS0_5tupleIJPjSE_EEENSF_IJSE_SE_EEES9_SG_JZNS1_25segmented_radix_sort_implINS0_14default_configELb0EPKsPsPKlPlN2at6native12_GLOBAL__N_18offset_tEEE10hipError_tPvRmT1_PNSt15iterator_traitsISY_E10value_typeET2_T3_PNSZ_IS14_E10value_typeET4_jRbjT5_S1A_jjP12ihipStream_tbEUljE_EEESV_SW_SX_S14_S18_S1A_T6_T7_T9_mT8_S1C_bDpT10_ENKUlT_T0_E_clISt17integral_constantIbLb0EES1O_IbLb1EEEEDaS1K_S1L_EUlS1K_E_NS1_11comp_targetILNS1_3genE8ELNS1_11target_archE1030ELNS1_3gpuE2ELNS1_3repE0EEENS1_30default_config_static_selectorELNS0_4arch9wavefront6targetE1EEEvSY_,@function
_ZN7rocprim17ROCPRIM_400000_NS6detail17trampoline_kernelINS0_13select_configILj256ELj13ELNS0_17block_load_methodE3ELS4_3ELS4_3ELNS0_20block_scan_algorithmE0ELj4294967295EEENS1_25partition_config_selectorILNS1_17partition_subalgoE3EjNS0_10empty_typeEbEEZZNS1_14partition_implILS8_3ELb0ES6_jNS0_17counting_iteratorIjlEEPS9_SE_NS0_5tupleIJPjSE_EEENSF_IJSE_SE_EEES9_SG_JZNS1_25segmented_radix_sort_implINS0_14default_configELb0EPKsPsPKlPlN2at6native12_GLOBAL__N_18offset_tEEE10hipError_tPvRmT1_PNSt15iterator_traitsISY_E10value_typeET2_T3_PNSZ_IS14_E10value_typeET4_jRbjT5_S1A_jjP12ihipStream_tbEUljE_EEESV_SW_SX_S14_S18_S1A_T6_T7_T9_mT8_S1C_bDpT10_ENKUlT_T0_E_clISt17integral_constantIbLb0EES1O_IbLb1EEEEDaS1K_S1L_EUlS1K_E_NS1_11comp_targetILNS1_3genE8ELNS1_11target_archE1030ELNS1_3gpuE2ELNS1_3repE0EEENS1_30default_config_static_selectorELNS0_4arch9wavefront6targetE1EEEvSY_: ; @_ZN7rocprim17ROCPRIM_400000_NS6detail17trampoline_kernelINS0_13select_configILj256ELj13ELNS0_17block_load_methodE3ELS4_3ELS4_3ELNS0_20block_scan_algorithmE0ELj4294967295EEENS1_25partition_config_selectorILNS1_17partition_subalgoE3EjNS0_10empty_typeEbEEZZNS1_14partition_implILS8_3ELb0ES6_jNS0_17counting_iteratorIjlEEPS9_SE_NS0_5tupleIJPjSE_EEENSF_IJSE_SE_EEES9_SG_JZNS1_25segmented_radix_sort_implINS0_14default_configELb0EPKsPsPKlPlN2at6native12_GLOBAL__N_18offset_tEEE10hipError_tPvRmT1_PNSt15iterator_traitsISY_E10value_typeET2_T3_PNSZ_IS14_E10value_typeET4_jRbjT5_S1A_jjP12ihipStream_tbEUljE_EEESV_SW_SX_S14_S18_S1A_T6_T7_T9_mT8_S1C_bDpT10_ENKUlT_T0_E_clISt17integral_constantIbLb0EES1O_IbLb1EEEEDaS1K_S1L_EUlS1K_E_NS1_11comp_targetILNS1_3genE8ELNS1_11target_archE1030ELNS1_3gpuE2ELNS1_3repE0EEENS1_30default_config_static_selectorELNS0_4arch9wavefront6targetE1EEEvSY_
; %bb.0:
	.section	.rodata,"a",@progbits
	.p2align	6, 0x0
	.amdhsa_kernel _ZN7rocprim17ROCPRIM_400000_NS6detail17trampoline_kernelINS0_13select_configILj256ELj13ELNS0_17block_load_methodE3ELS4_3ELS4_3ELNS0_20block_scan_algorithmE0ELj4294967295EEENS1_25partition_config_selectorILNS1_17partition_subalgoE3EjNS0_10empty_typeEbEEZZNS1_14partition_implILS8_3ELb0ES6_jNS0_17counting_iteratorIjlEEPS9_SE_NS0_5tupleIJPjSE_EEENSF_IJSE_SE_EEES9_SG_JZNS1_25segmented_radix_sort_implINS0_14default_configELb0EPKsPsPKlPlN2at6native12_GLOBAL__N_18offset_tEEE10hipError_tPvRmT1_PNSt15iterator_traitsISY_E10value_typeET2_T3_PNSZ_IS14_E10value_typeET4_jRbjT5_S1A_jjP12ihipStream_tbEUljE_EEESV_SW_SX_S14_S18_S1A_T6_T7_T9_mT8_S1C_bDpT10_ENKUlT_T0_E_clISt17integral_constantIbLb0EES1O_IbLb1EEEEDaS1K_S1L_EUlS1K_E_NS1_11comp_targetILNS1_3genE8ELNS1_11target_archE1030ELNS1_3gpuE2ELNS1_3repE0EEENS1_30default_config_static_selectorELNS0_4arch9wavefront6targetE1EEEvSY_
		.amdhsa_group_segment_fixed_size 0
		.amdhsa_private_segment_fixed_size 0
		.amdhsa_kernarg_size 152
		.amdhsa_user_sgpr_count 6
		.amdhsa_user_sgpr_private_segment_buffer 1
		.amdhsa_user_sgpr_dispatch_ptr 0
		.amdhsa_user_sgpr_queue_ptr 0
		.amdhsa_user_sgpr_kernarg_segment_ptr 1
		.amdhsa_user_sgpr_dispatch_id 0
		.amdhsa_user_sgpr_flat_scratch_init 0
		.amdhsa_user_sgpr_kernarg_preload_length 0
		.amdhsa_user_sgpr_kernarg_preload_offset 0
		.amdhsa_user_sgpr_private_segment_size 0
		.amdhsa_uses_dynamic_stack 0
		.amdhsa_system_sgpr_private_segment_wavefront_offset 0
		.amdhsa_system_sgpr_workgroup_id_x 1
		.amdhsa_system_sgpr_workgroup_id_y 0
		.amdhsa_system_sgpr_workgroup_id_z 0
		.amdhsa_system_sgpr_workgroup_info 0
		.amdhsa_system_vgpr_workitem_id 0
		.amdhsa_next_free_vgpr 1
		.amdhsa_next_free_sgpr 0
		.amdhsa_accum_offset 4
		.amdhsa_reserve_vcc 0
		.amdhsa_reserve_flat_scratch 0
		.amdhsa_float_round_mode_32 0
		.amdhsa_float_round_mode_16_64 0
		.amdhsa_float_denorm_mode_32 3
		.amdhsa_float_denorm_mode_16_64 3
		.amdhsa_dx10_clamp 1
		.amdhsa_ieee_mode 1
		.amdhsa_fp16_overflow 0
		.amdhsa_tg_split 0
		.amdhsa_exception_fp_ieee_invalid_op 0
		.amdhsa_exception_fp_denorm_src 0
		.amdhsa_exception_fp_ieee_div_zero 0
		.amdhsa_exception_fp_ieee_overflow 0
		.amdhsa_exception_fp_ieee_underflow 0
		.amdhsa_exception_fp_ieee_inexact 0
		.amdhsa_exception_int_div_zero 0
	.end_amdhsa_kernel
	.section	.text._ZN7rocprim17ROCPRIM_400000_NS6detail17trampoline_kernelINS0_13select_configILj256ELj13ELNS0_17block_load_methodE3ELS4_3ELS4_3ELNS0_20block_scan_algorithmE0ELj4294967295EEENS1_25partition_config_selectorILNS1_17partition_subalgoE3EjNS0_10empty_typeEbEEZZNS1_14partition_implILS8_3ELb0ES6_jNS0_17counting_iteratorIjlEEPS9_SE_NS0_5tupleIJPjSE_EEENSF_IJSE_SE_EEES9_SG_JZNS1_25segmented_radix_sort_implINS0_14default_configELb0EPKsPsPKlPlN2at6native12_GLOBAL__N_18offset_tEEE10hipError_tPvRmT1_PNSt15iterator_traitsISY_E10value_typeET2_T3_PNSZ_IS14_E10value_typeET4_jRbjT5_S1A_jjP12ihipStream_tbEUljE_EEESV_SW_SX_S14_S18_S1A_T6_T7_T9_mT8_S1C_bDpT10_ENKUlT_T0_E_clISt17integral_constantIbLb0EES1O_IbLb1EEEEDaS1K_S1L_EUlS1K_E_NS1_11comp_targetILNS1_3genE8ELNS1_11target_archE1030ELNS1_3gpuE2ELNS1_3repE0EEENS1_30default_config_static_selectorELNS0_4arch9wavefront6targetE1EEEvSY_,"axG",@progbits,_ZN7rocprim17ROCPRIM_400000_NS6detail17trampoline_kernelINS0_13select_configILj256ELj13ELNS0_17block_load_methodE3ELS4_3ELS4_3ELNS0_20block_scan_algorithmE0ELj4294967295EEENS1_25partition_config_selectorILNS1_17partition_subalgoE3EjNS0_10empty_typeEbEEZZNS1_14partition_implILS8_3ELb0ES6_jNS0_17counting_iteratorIjlEEPS9_SE_NS0_5tupleIJPjSE_EEENSF_IJSE_SE_EEES9_SG_JZNS1_25segmented_radix_sort_implINS0_14default_configELb0EPKsPsPKlPlN2at6native12_GLOBAL__N_18offset_tEEE10hipError_tPvRmT1_PNSt15iterator_traitsISY_E10value_typeET2_T3_PNSZ_IS14_E10value_typeET4_jRbjT5_S1A_jjP12ihipStream_tbEUljE_EEESV_SW_SX_S14_S18_S1A_T6_T7_T9_mT8_S1C_bDpT10_ENKUlT_T0_E_clISt17integral_constantIbLb0EES1O_IbLb1EEEEDaS1K_S1L_EUlS1K_E_NS1_11comp_targetILNS1_3genE8ELNS1_11target_archE1030ELNS1_3gpuE2ELNS1_3repE0EEENS1_30default_config_static_selectorELNS0_4arch9wavefront6targetE1EEEvSY_,comdat
.Lfunc_end1012:
	.size	_ZN7rocprim17ROCPRIM_400000_NS6detail17trampoline_kernelINS0_13select_configILj256ELj13ELNS0_17block_load_methodE3ELS4_3ELS4_3ELNS0_20block_scan_algorithmE0ELj4294967295EEENS1_25partition_config_selectorILNS1_17partition_subalgoE3EjNS0_10empty_typeEbEEZZNS1_14partition_implILS8_3ELb0ES6_jNS0_17counting_iteratorIjlEEPS9_SE_NS0_5tupleIJPjSE_EEENSF_IJSE_SE_EEES9_SG_JZNS1_25segmented_radix_sort_implINS0_14default_configELb0EPKsPsPKlPlN2at6native12_GLOBAL__N_18offset_tEEE10hipError_tPvRmT1_PNSt15iterator_traitsISY_E10value_typeET2_T3_PNSZ_IS14_E10value_typeET4_jRbjT5_S1A_jjP12ihipStream_tbEUljE_EEESV_SW_SX_S14_S18_S1A_T6_T7_T9_mT8_S1C_bDpT10_ENKUlT_T0_E_clISt17integral_constantIbLb0EES1O_IbLb1EEEEDaS1K_S1L_EUlS1K_E_NS1_11comp_targetILNS1_3genE8ELNS1_11target_archE1030ELNS1_3gpuE2ELNS1_3repE0EEENS1_30default_config_static_selectorELNS0_4arch9wavefront6targetE1EEEvSY_, .Lfunc_end1012-_ZN7rocprim17ROCPRIM_400000_NS6detail17trampoline_kernelINS0_13select_configILj256ELj13ELNS0_17block_load_methodE3ELS4_3ELS4_3ELNS0_20block_scan_algorithmE0ELj4294967295EEENS1_25partition_config_selectorILNS1_17partition_subalgoE3EjNS0_10empty_typeEbEEZZNS1_14partition_implILS8_3ELb0ES6_jNS0_17counting_iteratorIjlEEPS9_SE_NS0_5tupleIJPjSE_EEENSF_IJSE_SE_EEES9_SG_JZNS1_25segmented_radix_sort_implINS0_14default_configELb0EPKsPsPKlPlN2at6native12_GLOBAL__N_18offset_tEEE10hipError_tPvRmT1_PNSt15iterator_traitsISY_E10value_typeET2_T3_PNSZ_IS14_E10value_typeET4_jRbjT5_S1A_jjP12ihipStream_tbEUljE_EEESV_SW_SX_S14_S18_S1A_T6_T7_T9_mT8_S1C_bDpT10_ENKUlT_T0_E_clISt17integral_constantIbLb0EES1O_IbLb1EEEEDaS1K_S1L_EUlS1K_E_NS1_11comp_targetILNS1_3genE8ELNS1_11target_archE1030ELNS1_3gpuE2ELNS1_3repE0EEENS1_30default_config_static_selectorELNS0_4arch9wavefront6targetE1EEEvSY_
                                        ; -- End function
	.section	.AMDGPU.csdata,"",@progbits
; Kernel info:
; codeLenInByte = 0
; NumSgprs: 4
; NumVgprs: 0
; NumAgprs: 0
; TotalNumVgprs: 0
; ScratchSize: 0
; MemoryBound: 0
; FloatMode: 240
; IeeeMode: 1
; LDSByteSize: 0 bytes/workgroup (compile time only)
; SGPRBlocks: 0
; VGPRBlocks: 0
; NumSGPRsForWavesPerEU: 4
; NumVGPRsForWavesPerEU: 1
; AccumOffset: 4
; Occupancy: 8
; WaveLimiterHint : 0
; COMPUTE_PGM_RSRC2:SCRATCH_EN: 0
; COMPUTE_PGM_RSRC2:USER_SGPR: 6
; COMPUTE_PGM_RSRC2:TRAP_HANDLER: 0
; COMPUTE_PGM_RSRC2:TGID_X_EN: 1
; COMPUTE_PGM_RSRC2:TGID_Y_EN: 0
; COMPUTE_PGM_RSRC2:TGID_Z_EN: 0
; COMPUTE_PGM_RSRC2:TIDIG_COMP_CNT: 0
; COMPUTE_PGM_RSRC3_GFX90A:ACCUM_OFFSET: 0
; COMPUTE_PGM_RSRC3_GFX90A:TG_SPLIT: 0
	.section	.text._ZN7rocprim17ROCPRIM_400000_NS6detail17trampoline_kernelINS0_14default_configENS1_36segmented_radix_sort_config_selectorIslEEZNS1_25segmented_radix_sort_implIS3_Lb0EPKsPsPKlPlN2at6native12_GLOBAL__N_18offset_tEEE10hipError_tPvRmT1_PNSt15iterator_traitsISK_E10value_typeET2_T3_PNSL_ISQ_E10value_typeET4_jRbjT5_SW_jjP12ihipStream_tbEUlT_E_NS1_11comp_targetILNS1_3genE0ELNS1_11target_archE4294967295ELNS1_3gpuE0ELNS1_3repE0EEENS1_30default_config_static_selectorELNS0_4arch9wavefront6targetE1EEEvSK_,"axG",@progbits,_ZN7rocprim17ROCPRIM_400000_NS6detail17trampoline_kernelINS0_14default_configENS1_36segmented_radix_sort_config_selectorIslEEZNS1_25segmented_radix_sort_implIS3_Lb0EPKsPsPKlPlN2at6native12_GLOBAL__N_18offset_tEEE10hipError_tPvRmT1_PNSt15iterator_traitsISK_E10value_typeET2_T3_PNSL_ISQ_E10value_typeET4_jRbjT5_SW_jjP12ihipStream_tbEUlT_E_NS1_11comp_targetILNS1_3genE0ELNS1_11target_archE4294967295ELNS1_3gpuE0ELNS1_3repE0EEENS1_30default_config_static_selectorELNS0_4arch9wavefront6targetE1EEEvSK_,comdat
	.globl	_ZN7rocprim17ROCPRIM_400000_NS6detail17trampoline_kernelINS0_14default_configENS1_36segmented_radix_sort_config_selectorIslEEZNS1_25segmented_radix_sort_implIS3_Lb0EPKsPsPKlPlN2at6native12_GLOBAL__N_18offset_tEEE10hipError_tPvRmT1_PNSt15iterator_traitsISK_E10value_typeET2_T3_PNSL_ISQ_E10value_typeET4_jRbjT5_SW_jjP12ihipStream_tbEUlT_E_NS1_11comp_targetILNS1_3genE0ELNS1_11target_archE4294967295ELNS1_3gpuE0ELNS1_3repE0EEENS1_30default_config_static_selectorELNS0_4arch9wavefront6targetE1EEEvSK_ ; -- Begin function _ZN7rocprim17ROCPRIM_400000_NS6detail17trampoline_kernelINS0_14default_configENS1_36segmented_radix_sort_config_selectorIslEEZNS1_25segmented_radix_sort_implIS3_Lb0EPKsPsPKlPlN2at6native12_GLOBAL__N_18offset_tEEE10hipError_tPvRmT1_PNSt15iterator_traitsISK_E10value_typeET2_T3_PNSL_ISQ_E10value_typeET4_jRbjT5_SW_jjP12ihipStream_tbEUlT_E_NS1_11comp_targetILNS1_3genE0ELNS1_11target_archE4294967295ELNS1_3gpuE0ELNS1_3repE0EEENS1_30default_config_static_selectorELNS0_4arch9wavefront6targetE1EEEvSK_
	.p2align	8
	.type	_ZN7rocprim17ROCPRIM_400000_NS6detail17trampoline_kernelINS0_14default_configENS1_36segmented_radix_sort_config_selectorIslEEZNS1_25segmented_radix_sort_implIS3_Lb0EPKsPsPKlPlN2at6native12_GLOBAL__N_18offset_tEEE10hipError_tPvRmT1_PNSt15iterator_traitsISK_E10value_typeET2_T3_PNSL_ISQ_E10value_typeET4_jRbjT5_SW_jjP12ihipStream_tbEUlT_E_NS1_11comp_targetILNS1_3genE0ELNS1_11target_archE4294967295ELNS1_3gpuE0ELNS1_3repE0EEENS1_30default_config_static_selectorELNS0_4arch9wavefront6targetE1EEEvSK_,@function
_ZN7rocprim17ROCPRIM_400000_NS6detail17trampoline_kernelINS0_14default_configENS1_36segmented_radix_sort_config_selectorIslEEZNS1_25segmented_radix_sort_implIS3_Lb0EPKsPsPKlPlN2at6native12_GLOBAL__N_18offset_tEEE10hipError_tPvRmT1_PNSt15iterator_traitsISK_E10value_typeET2_T3_PNSL_ISQ_E10value_typeET4_jRbjT5_SW_jjP12ihipStream_tbEUlT_E_NS1_11comp_targetILNS1_3genE0ELNS1_11target_archE4294967295ELNS1_3gpuE0ELNS1_3repE0EEENS1_30default_config_static_selectorELNS0_4arch9wavefront6targetE1EEEvSK_: ; @_ZN7rocprim17ROCPRIM_400000_NS6detail17trampoline_kernelINS0_14default_configENS1_36segmented_radix_sort_config_selectorIslEEZNS1_25segmented_radix_sort_implIS3_Lb0EPKsPsPKlPlN2at6native12_GLOBAL__N_18offset_tEEE10hipError_tPvRmT1_PNSt15iterator_traitsISK_E10value_typeET2_T3_PNSL_ISQ_E10value_typeET4_jRbjT5_SW_jjP12ihipStream_tbEUlT_E_NS1_11comp_targetILNS1_3genE0ELNS1_11target_archE4294967295ELNS1_3gpuE0ELNS1_3repE0EEENS1_30default_config_static_selectorELNS0_4arch9wavefront6targetE1EEEvSK_
; %bb.0:
	.section	.rodata,"a",@progbits
	.p2align	6, 0x0
	.amdhsa_kernel _ZN7rocprim17ROCPRIM_400000_NS6detail17trampoline_kernelINS0_14default_configENS1_36segmented_radix_sort_config_selectorIslEEZNS1_25segmented_radix_sort_implIS3_Lb0EPKsPsPKlPlN2at6native12_GLOBAL__N_18offset_tEEE10hipError_tPvRmT1_PNSt15iterator_traitsISK_E10value_typeET2_T3_PNSL_ISQ_E10value_typeET4_jRbjT5_SW_jjP12ihipStream_tbEUlT_E_NS1_11comp_targetILNS1_3genE0ELNS1_11target_archE4294967295ELNS1_3gpuE0ELNS1_3repE0EEENS1_30default_config_static_selectorELNS0_4arch9wavefront6targetE1EEEvSK_
		.amdhsa_group_segment_fixed_size 0
		.amdhsa_private_segment_fixed_size 0
		.amdhsa_kernarg_size 96
		.amdhsa_user_sgpr_count 6
		.amdhsa_user_sgpr_private_segment_buffer 1
		.amdhsa_user_sgpr_dispatch_ptr 0
		.amdhsa_user_sgpr_queue_ptr 0
		.amdhsa_user_sgpr_kernarg_segment_ptr 1
		.amdhsa_user_sgpr_dispatch_id 0
		.amdhsa_user_sgpr_flat_scratch_init 0
		.amdhsa_user_sgpr_kernarg_preload_length 0
		.amdhsa_user_sgpr_kernarg_preload_offset 0
		.amdhsa_user_sgpr_private_segment_size 0
		.amdhsa_uses_dynamic_stack 0
		.amdhsa_system_sgpr_private_segment_wavefront_offset 0
		.amdhsa_system_sgpr_workgroup_id_x 1
		.amdhsa_system_sgpr_workgroup_id_y 0
		.amdhsa_system_sgpr_workgroup_id_z 0
		.amdhsa_system_sgpr_workgroup_info 0
		.amdhsa_system_vgpr_workitem_id 0
		.amdhsa_next_free_vgpr 1
		.amdhsa_next_free_sgpr 0
		.amdhsa_accum_offset 4
		.amdhsa_reserve_vcc 0
		.amdhsa_reserve_flat_scratch 0
		.amdhsa_float_round_mode_32 0
		.amdhsa_float_round_mode_16_64 0
		.amdhsa_float_denorm_mode_32 3
		.amdhsa_float_denorm_mode_16_64 3
		.amdhsa_dx10_clamp 1
		.amdhsa_ieee_mode 1
		.amdhsa_fp16_overflow 0
		.amdhsa_tg_split 0
		.amdhsa_exception_fp_ieee_invalid_op 0
		.amdhsa_exception_fp_denorm_src 0
		.amdhsa_exception_fp_ieee_div_zero 0
		.amdhsa_exception_fp_ieee_overflow 0
		.amdhsa_exception_fp_ieee_underflow 0
		.amdhsa_exception_fp_ieee_inexact 0
		.amdhsa_exception_int_div_zero 0
	.end_amdhsa_kernel
	.section	.text._ZN7rocprim17ROCPRIM_400000_NS6detail17trampoline_kernelINS0_14default_configENS1_36segmented_radix_sort_config_selectorIslEEZNS1_25segmented_radix_sort_implIS3_Lb0EPKsPsPKlPlN2at6native12_GLOBAL__N_18offset_tEEE10hipError_tPvRmT1_PNSt15iterator_traitsISK_E10value_typeET2_T3_PNSL_ISQ_E10value_typeET4_jRbjT5_SW_jjP12ihipStream_tbEUlT_E_NS1_11comp_targetILNS1_3genE0ELNS1_11target_archE4294967295ELNS1_3gpuE0ELNS1_3repE0EEENS1_30default_config_static_selectorELNS0_4arch9wavefront6targetE1EEEvSK_,"axG",@progbits,_ZN7rocprim17ROCPRIM_400000_NS6detail17trampoline_kernelINS0_14default_configENS1_36segmented_radix_sort_config_selectorIslEEZNS1_25segmented_radix_sort_implIS3_Lb0EPKsPsPKlPlN2at6native12_GLOBAL__N_18offset_tEEE10hipError_tPvRmT1_PNSt15iterator_traitsISK_E10value_typeET2_T3_PNSL_ISQ_E10value_typeET4_jRbjT5_SW_jjP12ihipStream_tbEUlT_E_NS1_11comp_targetILNS1_3genE0ELNS1_11target_archE4294967295ELNS1_3gpuE0ELNS1_3repE0EEENS1_30default_config_static_selectorELNS0_4arch9wavefront6targetE1EEEvSK_,comdat
.Lfunc_end1013:
	.size	_ZN7rocprim17ROCPRIM_400000_NS6detail17trampoline_kernelINS0_14default_configENS1_36segmented_radix_sort_config_selectorIslEEZNS1_25segmented_radix_sort_implIS3_Lb0EPKsPsPKlPlN2at6native12_GLOBAL__N_18offset_tEEE10hipError_tPvRmT1_PNSt15iterator_traitsISK_E10value_typeET2_T3_PNSL_ISQ_E10value_typeET4_jRbjT5_SW_jjP12ihipStream_tbEUlT_E_NS1_11comp_targetILNS1_3genE0ELNS1_11target_archE4294967295ELNS1_3gpuE0ELNS1_3repE0EEENS1_30default_config_static_selectorELNS0_4arch9wavefront6targetE1EEEvSK_, .Lfunc_end1013-_ZN7rocprim17ROCPRIM_400000_NS6detail17trampoline_kernelINS0_14default_configENS1_36segmented_radix_sort_config_selectorIslEEZNS1_25segmented_radix_sort_implIS3_Lb0EPKsPsPKlPlN2at6native12_GLOBAL__N_18offset_tEEE10hipError_tPvRmT1_PNSt15iterator_traitsISK_E10value_typeET2_T3_PNSL_ISQ_E10value_typeET4_jRbjT5_SW_jjP12ihipStream_tbEUlT_E_NS1_11comp_targetILNS1_3genE0ELNS1_11target_archE4294967295ELNS1_3gpuE0ELNS1_3repE0EEENS1_30default_config_static_selectorELNS0_4arch9wavefront6targetE1EEEvSK_
                                        ; -- End function
	.section	.AMDGPU.csdata,"",@progbits
; Kernel info:
; codeLenInByte = 0
; NumSgprs: 4
; NumVgprs: 0
; NumAgprs: 0
; TotalNumVgprs: 0
; ScratchSize: 0
; MemoryBound: 0
; FloatMode: 240
; IeeeMode: 1
; LDSByteSize: 0 bytes/workgroup (compile time only)
; SGPRBlocks: 0
; VGPRBlocks: 0
; NumSGPRsForWavesPerEU: 4
; NumVGPRsForWavesPerEU: 1
; AccumOffset: 4
; Occupancy: 8
; WaveLimiterHint : 0
; COMPUTE_PGM_RSRC2:SCRATCH_EN: 0
; COMPUTE_PGM_RSRC2:USER_SGPR: 6
; COMPUTE_PGM_RSRC2:TRAP_HANDLER: 0
; COMPUTE_PGM_RSRC2:TGID_X_EN: 1
; COMPUTE_PGM_RSRC2:TGID_Y_EN: 0
; COMPUTE_PGM_RSRC2:TGID_Z_EN: 0
; COMPUTE_PGM_RSRC2:TIDIG_COMP_CNT: 0
; COMPUTE_PGM_RSRC3_GFX90A:ACCUM_OFFSET: 0
; COMPUTE_PGM_RSRC3_GFX90A:TG_SPLIT: 0
	.section	.text._ZN7rocprim17ROCPRIM_400000_NS6detail17trampoline_kernelINS0_14default_configENS1_36segmented_radix_sort_config_selectorIslEEZNS1_25segmented_radix_sort_implIS3_Lb0EPKsPsPKlPlN2at6native12_GLOBAL__N_18offset_tEEE10hipError_tPvRmT1_PNSt15iterator_traitsISK_E10value_typeET2_T3_PNSL_ISQ_E10value_typeET4_jRbjT5_SW_jjP12ihipStream_tbEUlT_E_NS1_11comp_targetILNS1_3genE5ELNS1_11target_archE942ELNS1_3gpuE9ELNS1_3repE0EEENS1_30default_config_static_selectorELNS0_4arch9wavefront6targetE1EEEvSK_,"axG",@progbits,_ZN7rocprim17ROCPRIM_400000_NS6detail17trampoline_kernelINS0_14default_configENS1_36segmented_radix_sort_config_selectorIslEEZNS1_25segmented_radix_sort_implIS3_Lb0EPKsPsPKlPlN2at6native12_GLOBAL__N_18offset_tEEE10hipError_tPvRmT1_PNSt15iterator_traitsISK_E10value_typeET2_T3_PNSL_ISQ_E10value_typeET4_jRbjT5_SW_jjP12ihipStream_tbEUlT_E_NS1_11comp_targetILNS1_3genE5ELNS1_11target_archE942ELNS1_3gpuE9ELNS1_3repE0EEENS1_30default_config_static_selectorELNS0_4arch9wavefront6targetE1EEEvSK_,comdat
	.globl	_ZN7rocprim17ROCPRIM_400000_NS6detail17trampoline_kernelINS0_14default_configENS1_36segmented_radix_sort_config_selectorIslEEZNS1_25segmented_radix_sort_implIS3_Lb0EPKsPsPKlPlN2at6native12_GLOBAL__N_18offset_tEEE10hipError_tPvRmT1_PNSt15iterator_traitsISK_E10value_typeET2_T3_PNSL_ISQ_E10value_typeET4_jRbjT5_SW_jjP12ihipStream_tbEUlT_E_NS1_11comp_targetILNS1_3genE5ELNS1_11target_archE942ELNS1_3gpuE9ELNS1_3repE0EEENS1_30default_config_static_selectorELNS0_4arch9wavefront6targetE1EEEvSK_ ; -- Begin function _ZN7rocprim17ROCPRIM_400000_NS6detail17trampoline_kernelINS0_14default_configENS1_36segmented_radix_sort_config_selectorIslEEZNS1_25segmented_radix_sort_implIS3_Lb0EPKsPsPKlPlN2at6native12_GLOBAL__N_18offset_tEEE10hipError_tPvRmT1_PNSt15iterator_traitsISK_E10value_typeET2_T3_PNSL_ISQ_E10value_typeET4_jRbjT5_SW_jjP12ihipStream_tbEUlT_E_NS1_11comp_targetILNS1_3genE5ELNS1_11target_archE942ELNS1_3gpuE9ELNS1_3repE0EEENS1_30default_config_static_selectorELNS0_4arch9wavefront6targetE1EEEvSK_
	.p2align	8
	.type	_ZN7rocprim17ROCPRIM_400000_NS6detail17trampoline_kernelINS0_14default_configENS1_36segmented_radix_sort_config_selectorIslEEZNS1_25segmented_radix_sort_implIS3_Lb0EPKsPsPKlPlN2at6native12_GLOBAL__N_18offset_tEEE10hipError_tPvRmT1_PNSt15iterator_traitsISK_E10value_typeET2_T3_PNSL_ISQ_E10value_typeET4_jRbjT5_SW_jjP12ihipStream_tbEUlT_E_NS1_11comp_targetILNS1_3genE5ELNS1_11target_archE942ELNS1_3gpuE9ELNS1_3repE0EEENS1_30default_config_static_selectorELNS0_4arch9wavefront6targetE1EEEvSK_,@function
_ZN7rocprim17ROCPRIM_400000_NS6detail17trampoline_kernelINS0_14default_configENS1_36segmented_radix_sort_config_selectorIslEEZNS1_25segmented_radix_sort_implIS3_Lb0EPKsPsPKlPlN2at6native12_GLOBAL__N_18offset_tEEE10hipError_tPvRmT1_PNSt15iterator_traitsISK_E10value_typeET2_T3_PNSL_ISQ_E10value_typeET4_jRbjT5_SW_jjP12ihipStream_tbEUlT_E_NS1_11comp_targetILNS1_3genE5ELNS1_11target_archE942ELNS1_3gpuE9ELNS1_3repE0EEENS1_30default_config_static_selectorELNS0_4arch9wavefront6targetE1EEEvSK_: ; @_ZN7rocprim17ROCPRIM_400000_NS6detail17trampoline_kernelINS0_14default_configENS1_36segmented_radix_sort_config_selectorIslEEZNS1_25segmented_radix_sort_implIS3_Lb0EPKsPsPKlPlN2at6native12_GLOBAL__N_18offset_tEEE10hipError_tPvRmT1_PNSt15iterator_traitsISK_E10value_typeET2_T3_PNSL_ISQ_E10value_typeET4_jRbjT5_SW_jjP12ihipStream_tbEUlT_E_NS1_11comp_targetILNS1_3genE5ELNS1_11target_archE942ELNS1_3gpuE9ELNS1_3repE0EEENS1_30default_config_static_selectorELNS0_4arch9wavefront6targetE1EEEvSK_
; %bb.0:
	.section	.rodata,"a",@progbits
	.p2align	6, 0x0
	.amdhsa_kernel _ZN7rocprim17ROCPRIM_400000_NS6detail17trampoline_kernelINS0_14default_configENS1_36segmented_radix_sort_config_selectorIslEEZNS1_25segmented_radix_sort_implIS3_Lb0EPKsPsPKlPlN2at6native12_GLOBAL__N_18offset_tEEE10hipError_tPvRmT1_PNSt15iterator_traitsISK_E10value_typeET2_T3_PNSL_ISQ_E10value_typeET4_jRbjT5_SW_jjP12ihipStream_tbEUlT_E_NS1_11comp_targetILNS1_3genE5ELNS1_11target_archE942ELNS1_3gpuE9ELNS1_3repE0EEENS1_30default_config_static_selectorELNS0_4arch9wavefront6targetE1EEEvSK_
		.amdhsa_group_segment_fixed_size 0
		.amdhsa_private_segment_fixed_size 0
		.amdhsa_kernarg_size 96
		.amdhsa_user_sgpr_count 6
		.amdhsa_user_sgpr_private_segment_buffer 1
		.amdhsa_user_sgpr_dispatch_ptr 0
		.amdhsa_user_sgpr_queue_ptr 0
		.amdhsa_user_sgpr_kernarg_segment_ptr 1
		.amdhsa_user_sgpr_dispatch_id 0
		.amdhsa_user_sgpr_flat_scratch_init 0
		.amdhsa_user_sgpr_kernarg_preload_length 0
		.amdhsa_user_sgpr_kernarg_preload_offset 0
		.amdhsa_user_sgpr_private_segment_size 0
		.amdhsa_uses_dynamic_stack 0
		.amdhsa_system_sgpr_private_segment_wavefront_offset 0
		.amdhsa_system_sgpr_workgroup_id_x 1
		.amdhsa_system_sgpr_workgroup_id_y 0
		.amdhsa_system_sgpr_workgroup_id_z 0
		.amdhsa_system_sgpr_workgroup_info 0
		.amdhsa_system_vgpr_workitem_id 0
		.amdhsa_next_free_vgpr 1
		.amdhsa_next_free_sgpr 0
		.amdhsa_accum_offset 4
		.amdhsa_reserve_vcc 0
		.amdhsa_reserve_flat_scratch 0
		.amdhsa_float_round_mode_32 0
		.amdhsa_float_round_mode_16_64 0
		.amdhsa_float_denorm_mode_32 3
		.amdhsa_float_denorm_mode_16_64 3
		.amdhsa_dx10_clamp 1
		.amdhsa_ieee_mode 1
		.amdhsa_fp16_overflow 0
		.amdhsa_tg_split 0
		.amdhsa_exception_fp_ieee_invalid_op 0
		.amdhsa_exception_fp_denorm_src 0
		.amdhsa_exception_fp_ieee_div_zero 0
		.amdhsa_exception_fp_ieee_overflow 0
		.amdhsa_exception_fp_ieee_underflow 0
		.amdhsa_exception_fp_ieee_inexact 0
		.amdhsa_exception_int_div_zero 0
	.end_amdhsa_kernel
	.section	.text._ZN7rocprim17ROCPRIM_400000_NS6detail17trampoline_kernelINS0_14default_configENS1_36segmented_radix_sort_config_selectorIslEEZNS1_25segmented_radix_sort_implIS3_Lb0EPKsPsPKlPlN2at6native12_GLOBAL__N_18offset_tEEE10hipError_tPvRmT1_PNSt15iterator_traitsISK_E10value_typeET2_T3_PNSL_ISQ_E10value_typeET4_jRbjT5_SW_jjP12ihipStream_tbEUlT_E_NS1_11comp_targetILNS1_3genE5ELNS1_11target_archE942ELNS1_3gpuE9ELNS1_3repE0EEENS1_30default_config_static_selectorELNS0_4arch9wavefront6targetE1EEEvSK_,"axG",@progbits,_ZN7rocprim17ROCPRIM_400000_NS6detail17trampoline_kernelINS0_14default_configENS1_36segmented_radix_sort_config_selectorIslEEZNS1_25segmented_radix_sort_implIS3_Lb0EPKsPsPKlPlN2at6native12_GLOBAL__N_18offset_tEEE10hipError_tPvRmT1_PNSt15iterator_traitsISK_E10value_typeET2_T3_PNSL_ISQ_E10value_typeET4_jRbjT5_SW_jjP12ihipStream_tbEUlT_E_NS1_11comp_targetILNS1_3genE5ELNS1_11target_archE942ELNS1_3gpuE9ELNS1_3repE0EEENS1_30default_config_static_selectorELNS0_4arch9wavefront6targetE1EEEvSK_,comdat
.Lfunc_end1014:
	.size	_ZN7rocprim17ROCPRIM_400000_NS6detail17trampoline_kernelINS0_14default_configENS1_36segmented_radix_sort_config_selectorIslEEZNS1_25segmented_radix_sort_implIS3_Lb0EPKsPsPKlPlN2at6native12_GLOBAL__N_18offset_tEEE10hipError_tPvRmT1_PNSt15iterator_traitsISK_E10value_typeET2_T3_PNSL_ISQ_E10value_typeET4_jRbjT5_SW_jjP12ihipStream_tbEUlT_E_NS1_11comp_targetILNS1_3genE5ELNS1_11target_archE942ELNS1_3gpuE9ELNS1_3repE0EEENS1_30default_config_static_selectorELNS0_4arch9wavefront6targetE1EEEvSK_, .Lfunc_end1014-_ZN7rocprim17ROCPRIM_400000_NS6detail17trampoline_kernelINS0_14default_configENS1_36segmented_radix_sort_config_selectorIslEEZNS1_25segmented_radix_sort_implIS3_Lb0EPKsPsPKlPlN2at6native12_GLOBAL__N_18offset_tEEE10hipError_tPvRmT1_PNSt15iterator_traitsISK_E10value_typeET2_T3_PNSL_ISQ_E10value_typeET4_jRbjT5_SW_jjP12ihipStream_tbEUlT_E_NS1_11comp_targetILNS1_3genE5ELNS1_11target_archE942ELNS1_3gpuE9ELNS1_3repE0EEENS1_30default_config_static_selectorELNS0_4arch9wavefront6targetE1EEEvSK_
                                        ; -- End function
	.section	.AMDGPU.csdata,"",@progbits
; Kernel info:
; codeLenInByte = 0
; NumSgprs: 4
; NumVgprs: 0
; NumAgprs: 0
; TotalNumVgprs: 0
; ScratchSize: 0
; MemoryBound: 0
; FloatMode: 240
; IeeeMode: 1
; LDSByteSize: 0 bytes/workgroup (compile time only)
; SGPRBlocks: 0
; VGPRBlocks: 0
; NumSGPRsForWavesPerEU: 4
; NumVGPRsForWavesPerEU: 1
; AccumOffset: 4
; Occupancy: 8
; WaveLimiterHint : 0
; COMPUTE_PGM_RSRC2:SCRATCH_EN: 0
; COMPUTE_PGM_RSRC2:USER_SGPR: 6
; COMPUTE_PGM_RSRC2:TRAP_HANDLER: 0
; COMPUTE_PGM_RSRC2:TGID_X_EN: 1
; COMPUTE_PGM_RSRC2:TGID_Y_EN: 0
; COMPUTE_PGM_RSRC2:TGID_Z_EN: 0
; COMPUTE_PGM_RSRC2:TIDIG_COMP_CNT: 0
; COMPUTE_PGM_RSRC3_GFX90A:ACCUM_OFFSET: 0
; COMPUTE_PGM_RSRC3_GFX90A:TG_SPLIT: 0
	.text
	.p2align	2                               ; -- Begin function _ZN7rocprim17ROCPRIM_400000_NS6detail40segmented_radix_sort_single_block_helperIslLj256ELj17ELb0EE4sortIPKsPsPKlPlEEbT_T0_T1_T2_jjjjRNS3_12storage_typeE
	.type	_ZN7rocprim17ROCPRIM_400000_NS6detail40segmented_radix_sort_single_block_helperIslLj256ELj17ELb0EE4sortIPKsPsPKlPlEEbT_T0_T1_T2_jjjjRNS3_12storage_typeE,@function
_ZN7rocprim17ROCPRIM_400000_NS6detail40segmented_radix_sort_single_block_helperIslLj256ELj17ELb0EE4sortIPKsPsPKlPlEEbT_T0_T1_T2_jjjjRNS3_12storage_typeE: ; @_ZN7rocprim17ROCPRIM_400000_NS6detail40segmented_radix_sort_single_block_helperIslLj256ELj17ELb0EE4sortIPKsPsPKlPlEEbT_T0_T1_T2_jjjjRNS3_12storage_typeE
; %bb.0:
	s_waitcnt vmcnt(0) expcnt(0) lgkmcnt(0)
	s_or_saveexec_b64 s[4:5], -1
	buffer_store_dword v184, off, s[0:3], s32 offset:176 ; 4-byte Folded Spill
	s_mov_b64 exec, s[4:5]
	v_accvgpr_write_b32 a4, v40             ;  Reload Reuse
	v_accvgpr_write_b32 a5, v41             ;  Reload Reuse
	;; [unrolled: 1-line block ×6, first 2 shown]
	v_accvgpr_write_b32 a10, v46            ;  Reload Reuse
	v_accvgpr_write_b32 a11, v47            ;  Reload Reuse
	;; [unrolled: 1-line block ×22, first 2 shown]
	buffer_store_dword v92, off, s[0:3], s32 offset:172 ; 4-byte Folded Spill
	buffer_store_dword v93, off, s[0:3], s32 offset:168 ; 4-byte Folded Spill
	;; [unrolled: 1-line block ×43, first 2 shown]
	buffer_store_dword v175, off, s[0:3], s32 ; 4-byte Folded Spill
	v_writelane_b32 v184, s34, 0
	v_writelane_b32 v184, s35, 1
	;; [unrolled: 1-line block ×18, first 2 shown]
	v_sub_u32_e32 v106, v9, v8
	s_movk_i32 s4, 0x1101
	v_cmp_gt_u32_e32 vcc, s4, v106
	s_and_saveexec_b64 s[44:45], vcc
	s_cbranch_execz .LBB1015_382
; %bb.1:
	s_movk_i32 s4, 0x800
	v_cmp_lt_u32_e32 vcc, s4, v106
	v_bfe_u32 v14, v31, 10, 10
	v_bfe_u32 v16, v31, 20, 10
	v_mbcnt_lo_u32_b32 v15, -1, 0
	s_and_saveexec_b64 s[4:5], vcc
	s_xor_b64 s[46:47], exec, s[4:5]
	s_cbranch_execz .LBB1015_151
; %bb.2:
	s_load_dwordx2 s[4:5], s[8:9], 0x0
	v_mov_b32_e32 v9, 0
	v_mbcnt_hi_u32_b32 v24, -1, v15
	v_lshlrev_b64 v[20:21], 1, v[8:9]
	v_and_b32_e32 v25, 63, v24
	s_waitcnt lgkmcnt(0)
	s_cmp_lt_u32 s12, s4
	s_cselect_b32 s6, 12, 18
	s_cmp_lt_u32 s13, s5
	s_cselect_b32 s4, 14, 20
	s_add_u32 s4, s8, s4
	s_addc_u32 s5, s9, 0
	s_add_u32 s6, s8, s6
	global_load_ushort v17, v9, s[4:5]
	s_addc_u32 s7, s9, 0
	global_load_ushort v18, v9, s[6:7]
	v_add_co_u32_e32 v0, vcc, v0, v20
	v_addc_co_u32_e32 v1, vcc, v1, v21, vcc
	v_lshlrev_b32_e32 v19, 1, v25
	v_and_b32_e32 v22, 0x3ff, v31
	v_mov_b32_e32 v23, 0x7fff
	v_add_co_u32_e32 v19, vcc, v0, v19
	v_addc_co_u32_e32 v26, vcc, 0, v1, vcc
	v_mov_b32_e32 v15, v9
	s_waitcnt vmcnt(1)
	v_mad_u32_u24 v0, v16, v17, v14
	s_waitcnt vmcnt(0)
	v_mad_u64_u32 v[0:1], s[4:5], v0, v18, v[22:23]
	v_and_b32_e32 v1, 0xffffffc0, v0
	v_lshl_add_u32 v14, v1, 4, v1
	v_lshlrev_b64 v[16:17], 1, v[14:15]
	v_add_co_u32_e32 v16, vcc, v19, v16
	v_or_b32_e32 v18, v14, v25
	v_addc_co_u32_e32 v17, vcc, v26, v17, vcc
	v_cmp_lt_u32_e32 vcc, v18, v106
	v_mov_b32_e32 v1, 0x7fff
	s_and_saveexec_b64 s[4:5], vcc
	s_cbranch_execz .LBB1015_4
; %bb.3:
	flat_load_ushort v1, v[16:17]
.LBB1015_4:
	s_or_b64 exec, exec, s[4:5]
	v_add_u32_e32 v19, 64, v18
	v_cmp_lt_u32_e64 s[40:41], v19, v106
	s_and_saveexec_b64 s[4:5], s[40:41]
	s_cbranch_execz .LBB1015_6
; %bb.5:
	flat_load_ushort v23, v[16:17] offset:128
.LBB1015_6:
	s_or_b64 exec, exec, s[4:5]
	v_add_u32_e32 v19, 0x80, v18
	v_cmp_lt_u32_e64 s[16:17], v19, v106
	v_mov_b32_e32 v26, 0x7fff
	v_mov_b32_e32 v27, 0x7fff
	s_and_saveexec_b64 s[4:5], s[16:17]
	s_cbranch_execz .LBB1015_8
; %bb.7:
	flat_load_ushort v27, v[16:17] offset:256
.LBB1015_8:
	s_or_b64 exec, exec, s[4:5]
	v_add_u32_e32 v19, 0xc0, v18
	v_cmp_lt_u32_e64 s[20:21], v19, v106
	s_and_saveexec_b64 s[4:5], s[20:21]
	s_cbranch_execz .LBB1015_10
; %bb.9:
	flat_load_ushort v26, v[16:17] offset:384
.LBB1015_10:
	s_or_b64 exec, exec, s[4:5]
	v_add_u32_e32 v19, 0x100, v18
	v_cmp_lt_u32_e64 s[22:23], v19, v106
	v_mov_b32_e32 v28, 0x7fff
	v_mov_b32_e32 v29, 0x7fff
	s_and_saveexec_b64 s[4:5], s[22:23]
	s_cbranch_execz .LBB1015_12
; %bb.11:
	flat_load_ushort v29, v[16:17] offset:512
.LBB1015_12:
	;; [unrolled: 18-line block ×7, first 2 shown]
	s_or_b64 exec, exec, s[4:5]
	v_add_u32_e32 v19, 0x3c0, v18
	v_cmp_lt_u32_e64 s[6:7], v19, v106
	s_and_saveexec_b64 s[4:5], s[6:7]
	s_cbranch_execz .LBB1015_34
; %bb.33:
	flat_load_ushort v38, v[16:17] offset:1920
.LBB1015_34:
	s_or_b64 exec, exec, s[4:5]
	v_add_u32_e32 v18, 0x400, v18
	v_cmp_lt_u32_e64 s[4:5], v18, v106
	v_mov_b32_e32 v48, 0x7fff
	s_and_saveexec_b64 s[42:43], s[4:5]
	s_cbranch_execz .LBB1015_36
; %bb.35:
	flat_load_ushort v48, v[16:17] offset:2048
.LBB1015_36:
	s_or_b64 exec, exec, s[42:43]
	v_lshlrev_b64 v[8:9], 3, v[8:9]
	v_add_co_u32_e64 v4, s[42:43], v4, v8
	v_addc_co_u32_e64 v5, s[42:43], v5, v9, s[42:43]
	v_lshlrev_b32_e32 v16, 3, v25
	v_add_co_u32_e64 v16, s[42:43], v4, v16
	v_addc_co_u32_e64 v17, s[42:43], 0, v5, s[42:43]
	v_lshlrev_b64 v[4:5], 3, v[14:15]
	v_add_co_u32_e64 v4, s[42:43], v16, v4
	v_addc_co_u32_e64 v5, s[42:43], v17, v5, s[42:43]
                                        ; implicit-def: $vgpr16_vgpr17
	s_and_saveexec_b64 s[42:43], vcc
	s_cbranch_execnz .LBB1015_204
; %bb.37:
	s_or_b64 exec, exec, s[42:43]
                                        ; implicit-def: $vgpr18_vgpr19
	s_and_saveexec_b64 vcc, s[40:41]
	s_cbranch_execnz .LBB1015_205
.LBB1015_38:
	s_or_b64 exec, exec, vcc
                                        ; implicit-def: $vgpr134_vgpr135
	s_and_saveexec_b64 vcc, s[16:17]
	s_cbranch_execnz .LBB1015_206
.LBB1015_39:
	s_or_b64 exec, exec, vcc
                                        ; implicit-def: $vgpr144_vgpr145
	s_and_saveexec_b64 s[16:17], s[20:21]
	s_cbranch_execnz .LBB1015_207
.LBB1015_40:
	s_or_b64 exec, exec, s[16:17]
                                        ; implicit-def: $vgpr146_vgpr147
	s_and_saveexec_b64 s[16:17], s[22:23]
	s_cbranch_execnz .LBB1015_208
.LBB1015_41:
	s_or_b64 exec, exec, s[16:17]
                                        ; implicit-def: $vgpr148_vgpr149
	s_and_saveexec_b64 s[16:17], s[26:27]
	s_cbranch_execnz .LBB1015_209
.LBB1015_42:
	s_or_b64 exec, exec, s[16:17]
                                        ; implicit-def: $vgpr150_vgpr151
	s_and_saveexec_b64 s[16:17], s[30:31]
	s_cbranch_execnz .LBB1015_210
.LBB1015_43:
	s_or_b64 exec, exec, s[16:17]
                                        ; implicit-def: $vgpr166_vgpr167
	s_and_saveexec_b64 s[16:17], s[36:37]
	s_cbranch_execnz .LBB1015_211
.LBB1015_44:
	s_or_b64 exec, exec, s[16:17]
                                        ; implicit-def: $vgpr198_vgpr199
	s_and_saveexec_b64 s[16:17], s[38:39]
	s_cbranch_execnz .LBB1015_212
.LBB1015_45:
	s_or_b64 exec, exec, s[16:17]
                                        ; implicit-def: $vgpr228_vgpr229
	s_and_saveexec_b64 s[16:17], s[34:35]
	s_cbranch_execnz .LBB1015_213
.LBB1015_46:
	s_or_b64 exec, exec, s[16:17]
                                        ; implicit-def: $vgpr230_vgpr231
	s_and_saveexec_b64 s[16:17], s[28:29]
	s_cbranch_execnz .LBB1015_214
.LBB1015_47:
	s_or_b64 exec, exec, s[16:17]
                                        ; implicit-def: $vgpr240_vgpr241
	s_and_saveexec_b64 s[16:17], s[24:25]
	s_cbranch_execnz .LBB1015_215
.LBB1015_48:
	s_or_b64 exec, exec, s[16:17]
                                        ; implicit-def: $vgpr242_vgpr243
	s_and_saveexec_b64 s[16:17], s[18:19]
	s_cbranch_execnz .LBB1015_216
.LBB1015_49:
	s_or_b64 exec, exec, s[16:17]
                                        ; implicit-def: $vgpr244_vgpr245
	s_and_saveexec_b64 s[16:17], s[14:15]
	s_cbranch_execnz .LBB1015_217
.LBB1015_50:
	s_or_b64 exec, exec, s[16:17]
                                        ; implicit-def: $vgpr246_vgpr247
	s_and_saveexec_b64 s[14:15], s[10:11]
	s_cbranch_execnz .LBB1015_218
.LBB1015_51:
	s_or_b64 exec, exec, s[14:15]
                                        ; implicit-def: $agpr0_agpr1
	s_and_saveexec_b64 s[10:11], s[6:7]
	s_cbranch_execnz .LBB1015_219
.LBB1015_52:
	s_or_b64 exec, exec, s[10:11]
                                        ; implicit-def: $agpr2_agpr3
	s_and_saveexec_b64 s[6:7], s[4:5]
	s_cbranch_execz .LBB1015_54
.LBB1015_53:
	v_add_co_u32_e32 v4, vcc, 0x2000, v4
	v_addc_co_u32_e32 v5, vcc, 0, v5, vcc
	flat_load_dwordx2 a[2:3], v[4:5]
.LBB1015_54:
	s_or_b64 exec, exec, s[6:7]
	s_waitcnt vmcnt(0) lgkmcnt(0)
	v_xor_b32_e32 v143, 0xffff8000, v1
	v_xor_b32_e32 v154, 0xffff8000, v26
	v_add_co_u32_e32 v1, vcc, 16, v12
	v_and_b32_e32 v26, 0x3c0, v22
	v_xor_b32_e32 v152, 0xffff8000, v23
	v_addc_co_u32_e32 v23, vcc, 0, v13, vcc
	v_lshlrev_b32_e32 v5, 4, v22
	v_min_u32_e32 v14, 0xc0, v26
	v_xor_b32_e32 v168, 0xffff8000, v32
	v_add_co_u32_e32 v32, vcc, v12, v5
	v_or_b32_e32 v14, 63, v14
	v_xor_b32_e32 v153, 0xffff8000, v27
	v_xor_b32_e32 v159, 0xffff8000, v33
	s_getpc_b64 s[4:5]
	s_add_u32 s4, s4, _ZN7rocprim17ROCPRIM_400000_NS16block_radix_sortIsLj256ELj17ElLj1ELj1ELj8ELNS0_26block_radix_rank_algorithmE2ELNS0_18block_padding_hintE2ELNS0_4arch9wavefront6targetE1EE19radix_bits_per_passE@rel32@lo+4
	s_addc_u32 s5, s5, _ZN7rocprim17ROCPRIM_400000_NS16block_radix_sortIsLj256ELj17ElLj1ELj1ELj8ELNS0_26block_radix_rank_algorithmE2ELNS0_18block_padding_hintE2ELNS0_4arch9wavefront6targetE1EE19radix_bits_per_passE@rel32@hi+12
	v_addc_co_u32_e32 v33, vcc, 0, v13, vcc
	v_and_b32_e32 v5, 15, v24
	v_cmp_eq_u32_e64 s[16:17], v14, v22
	v_add_u32_e32 v14, -1, v24
	v_and_b32_e32 v27, 64, v24
	s_load_dword s42, s[4:5], 0x0
	v_cmp_eq_u32_e32 vcc, 0, v5
	v_cmp_lt_u32_e64 s[4:5], 1, v5
	v_cmp_lt_u32_e64 s[6:7], 3, v5
	;; [unrolled: 1-line block ×3, first 2 shown]
	v_and_b32_e32 v5, 16, v24
	v_cmp_lt_i32_e64 s[22:23], v14, v27
	v_cmp_eq_u32_e64 s[34:35], 0, v5
	v_lshrrev_b32_e32 v5, 6, v22
	v_cndmask_b32_e64 v14, v14, v24, s[22:23]
	v_lshlrev_b32_e32 v108, 2, v14
	v_lshlrev_b32_e32 v14, 2, v5
	v_add_co_u32_e64 v52, s[26:27], v12, v14
	v_lshlrev_b32_e32 v4, 2, v22
	v_addc_co_u32_e64 v53, s[26:27], 0, v13, s[26:27]
	v_add_co_u32_e64 v64, s[26:27], v12, v4
	v_mov_b32_e32 v15, 0
	v_addc_co_u32_e64 v65, s[26:27], 0, v13, s[26:27]
	v_and_b32_e32 v4, 3, v24
	v_add_u32_e32 v14, -1, v5
	v_cmp_eq_u32_e64 s[26:27], 0, v4
	v_cmp_lt_u32_e64 s[28:29], 1, v4
	v_lshlrev_b64 v[4:5], 2, v[14:15]
	v_add_co_u32_e64 v80, s[30:31], v12, v4
	v_mul_u32_u24_e32 v4, 17, v26
	v_or_b32_e32 v4, v25, v4
	v_addc_co_u32_e64 v81, s[30:31], v13, v5, s[30:31]
	v_lshlrev_b32_e32 v5, 1, v4
	v_add_co_u32_e64 v84, s[30:31], v12, v5
	v_addc_co_u32_e64 v85, s[30:31], 0, v13, s[30:31]
	v_lshlrev_b32_e32 v4, 3, v4
	v_add_co_u32_e64 v96, s[30:31], v12, v4
	v_addc_co_u32_e64 v97, s[30:31], 0, v13, s[30:31]
	v_add_u32_e32 v5, 0x1000, v4
	v_add_co_u32_e64 v100, s[30:31], v12, v5
	v_addc_co_u32_e64 v101, s[30:31], 0, v13, s[30:31]
	v_add_u32_e32 v5, 0x1200, v4
	;; [unrolled: 3-line block ×9, first 2 shown]
	v_add_co_u32_e64 v132, s[30:31], v12, v4
	v_xor_b32_e32 v155, 0xffff8000, v29
	v_xor_b32_e32 v156, 0xffff8000, v28
	;; [unrolled: 1-line block ×11, first 2 shown]
	v_lshrrev_b32_e32 v107, 6, v0
	v_cmp_lt_u32_e64 s[14:15], 31, v24
	v_cmp_gt_u32_e64 s[18:19], 4, v22
	v_cmp_lt_u32_e64 s[20:21], 63, v22
	v_cmp_eq_u32_e64 s[22:23], 0, v24
	v_cmp_eq_u32_e64 s[24:25], 0, v22
	v_addc_co_u32_e64 v133, s[30:31], 0, v13, s[30:31]
	v_sub_u32_e32 v109, v11, v10
	s_mov_b64 s[38:39], 0
	s_waitcnt lgkmcnt(0)
	s_barrier
	s_branch .LBB1015_56
.LBB1015_55:                            ;   in Loop: Header=BB1015_56 Depth=1
	s_or_b64 exec, exec, s[36:37]
	s_and_b64 s[30:31], exec, s[40:41]
	s_or_b64 s[38:39], s[30:31], s[38:39]
	s_andn2_b64 exec, exec, s[38:39]
	s_cbranch_execz .LBB1015_98
.LBB1015_56:                            ; =>This Inner Loop Header: Depth=1
	s_waitcnt vmcnt(0)
	v_pk_mov_b32 v[98:99], v[16:17], v[16:17] op_sel:[0,1]
	v_pk_mov_b32 v[86:87], v[18:19], v[18:19] op_sel:[0,1]
	v_min_u32_e32 v18, s42, v109
	v_mov_b32_e32 v14, v15
	v_mov_b32_e32 v16, v15
	;; [unrolled: 1-line block ×4, first 2 shown]
	flat_store_dwordx4 v[32:33], v[14:17] offset:16
	v_pk_mov_b32 v[82:83], v[134:135], v[134:135] op_sel:[0,1]
	v_lshlrev_b32_e64 v14, v18, -1
	v_not_b32_e32 v18, v14
	v_lshrrev_b32_sdwa v14, v10, v142 dst_sel:DWORD dst_unused:UNUSED_PAD src0_sel:DWORD src1_sel:WORD_0
	v_and_b32_e32 v14, v14, v18
	v_lshlrev_b32_e32 v16, 2, v14
	v_add_lshl_u32 v16, v16, v107, 2
	v_add_co_u32_e64 v134, s[30:31], v1, v16
	v_addc_co_u32_e64 v135, s[30:31], 0, v23, s[30:31]
	v_and_b32_e32 v16, 1, v14
	v_add_co_u32_e64 v17, s[30:31], -1, v16
	v_addc_co_u32_e64 v19, s[30:31], 0, -1, s[30:31]
	v_cmp_ne_u32_e64 s[30:31], 0, v16
	v_xor_b32_e32 v16, s31, v19
	v_xor_b32_e32 v17, s30, v17
	v_pk_mov_b32 v[70:71], v[144:145], v[144:145] op_sel:[0,1]
	v_and_b32_e32 v19, exec_hi, v16
	v_and_b32_e32 v144, exec_lo, v17
	v_lshlrev_b32_e32 v17, 30, v14
	v_mov_b32_e32 v16, v15
	v_cmp_gt_i64_e64 s[30:31], 0, v[16:17]
	v_not_b32_e32 v16, v17
	v_ashrrev_i32_e32 v16, 31, v16
	v_xor_b32_e32 v17, s31, v16
	v_xor_b32_e32 v16, s30, v16
	v_and_b32_e32 v19, v19, v17
	v_and_b32_e32 v144, v144, v16
	v_lshlrev_b32_e32 v17, 29, v14
	v_mov_b32_e32 v16, v15
	v_cmp_gt_i64_e64 s[30:31], 0, v[16:17]
	v_not_b32_e32 v16, v17
	v_ashrrev_i32_e32 v16, 31, v16
	v_xor_b32_e32 v17, s31, v16
	v_xor_b32_e32 v16, s30, v16
	v_and_b32_e32 v19, v19, v17
	v_and_b32_e32 v144, v144, v16
	;; [unrolled: 9-line block ×5, first 2 shown]
	v_lshlrev_b32_e32 v17, 25, v14
	v_mov_b32_e32 v16, v15
	v_cmp_gt_i64_e64 s[30:31], 0, v[16:17]
	v_not_b32_e32 v16, v17
	v_ashrrev_i32_e32 v16, 31, v16
	v_xor_b32_e32 v17, s31, v16
	v_xor_b32_e32 v16, s30, v16
	v_and_b32_e32 v19, v19, v17
	v_lshlrev_b32_e32 v17, 24, v14
	v_and_b32_e32 v144, v144, v16
	v_mov_b32_e32 v16, v15
	v_not_b32_e32 v14, v17
	v_cmp_gt_i64_e64 s[30:31], 0, v[16:17]
	v_ashrrev_i32_e32 v14, 31, v14
	v_xor_b32_e32 v16, s31, v14
	v_xor_b32_e32 v14, s30, v14
	v_and_b32_e32 v17, v19, v16
	v_and_b32_e32 v16, v144, v14
	v_mbcnt_lo_u32_b32 v14, v16, 0
	v_mbcnt_hi_u32_b32 v14, v17, v14
	v_accvgpr_read_b32 v25, a1
	v_accvgpr_read_b32 v5, a3
	v_cmp_eq_u32_e64 s[30:31], 0, v14
	v_cmp_ne_u64_e64 s[36:37], 0, v[16:17]
	v_pk_mov_b32 v[68:69], v[146:147], v[146:147] op_sel:[0,1]
	v_pk_mov_b32 v[66:67], v[148:149], v[148:149] op_sel:[0,1]
	v_pk_mov_b32 v[54:55], v[150:151], v[150:151] op_sel:[0,1]
	v_pk_mov_b32 v[50:51], v[166:167], v[166:167] op_sel:[0,1]
	v_pk_mov_b32 v[48:49], v[198:199], v[198:199] op_sel:[0,1]
	v_pk_mov_b32 v[38:39], v[228:229], v[228:229] op_sel:[0,1]
	v_pk_mov_b32 v[36:37], v[230:231], v[230:231] op_sel:[0,1]
	v_pk_mov_b32 v[34:35], v[240:241], v[240:241] op_sel:[0,1]
	v_pk_mov_b32 v[30:31], v[242:243], v[242:243] op_sel:[0,1]
	v_pk_mov_b32 v[28:29], v[244:245], v[244:245] op_sel:[0,1]
	v_pk_mov_b32 v[26:27], v[246:247], v[246:247] op_sel:[0,1]
	v_accvgpr_read_b32 v24, a0
	v_accvgpr_read_b32 v4, a2
	v_mov_b32_e32 v141, v152
	v_mov_b32_e32 v140, v153
	;; [unrolled: 1-line block ×16, first 2 shown]
	s_and_b64 s[36:37], s[36:37], s[30:31]
	s_waitcnt lgkmcnt(0)
	s_barrier
	s_waitcnt lgkmcnt(0)
	; wave barrier
	s_and_saveexec_b64 s[30:31], s[36:37]
	s_cbranch_execz .LBB1015_58
; %bb.57:                               ;   in Loop: Header=BB1015_56 Depth=1
	v_bcnt_u32_b32 v16, v16, 0
	v_bcnt_u32_b32 v16, v17, v16
	flat_store_dword v[134:135], v16
.LBB1015_58:                            ;   in Loop: Header=BB1015_56 Depth=1
	s_or_b64 exec, exec, s[30:31]
	v_lshrrev_b32_sdwa v16, v10, v141 dst_sel:DWORD dst_unused:UNUSED_PAD src0_sel:DWORD src1_sel:WORD_0
	v_and_b32_e32 v19, v16, v18
	v_lshlrev_b32_e32 v16, 2, v19
	v_add_lshl_u32 v16, v16, v107, 2
	v_add_co_u32_e64 v144, s[30:31], v1, v16
	v_addc_co_u32_e64 v145, s[30:31], 0, v23, s[30:31]
	; wave barrier
	flat_load_dword v208, v[144:145]
	v_and_b32_e32 v16, 1, v19
	v_add_co_u32_e64 v17, s[30:31], -1, v16
	v_addc_co_u32_e64 v146, s[30:31], 0, -1, s[30:31]
	v_cmp_ne_u32_e64 s[30:31], 0, v16
	v_xor_b32_e32 v16, s31, v146
	v_xor_b32_e32 v17, s30, v17
	v_and_b32_e32 v146, exec_hi, v16
	v_and_b32_e32 v147, exec_lo, v17
	v_lshlrev_b32_e32 v17, 30, v19
	v_mov_b32_e32 v16, v15
	v_cmp_gt_i64_e64 s[30:31], 0, v[16:17]
	v_not_b32_e32 v16, v17
	v_ashrrev_i32_e32 v16, 31, v16
	v_xor_b32_e32 v17, s31, v16
	v_xor_b32_e32 v16, s30, v16
	v_and_b32_e32 v146, v146, v17
	v_and_b32_e32 v147, v147, v16
	v_lshlrev_b32_e32 v17, 29, v19
	v_mov_b32_e32 v16, v15
	v_cmp_gt_i64_e64 s[30:31], 0, v[16:17]
	v_not_b32_e32 v16, v17
	v_ashrrev_i32_e32 v16, 31, v16
	v_xor_b32_e32 v17, s31, v16
	v_xor_b32_e32 v16, s30, v16
	v_and_b32_e32 v146, v146, v17
	v_and_b32_e32 v147, v147, v16
	;; [unrolled: 9-line block ×7, first 2 shown]
	v_mbcnt_lo_u32_b32 v19, v16, 0
	v_mbcnt_hi_u32_b32 v210, v17, v19
	v_cmp_eq_u32_e64 s[30:31], 0, v210
	v_cmp_ne_u64_e64 s[36:37], 0, v[16:17]
	s_and_b64 s[36:37], s[36:37], s[30:31]
	; wave barrier
	s_and_saveexec_b64 s[30:31], s[36:37]
	s_cbranch_execz .LBB1015_60
; %bb.59:                               ;   in Loop: Header=BB1015_56 Depth=1
	v_bcnt_u32_b32 v16, v16, 0
	v_bcnt_u32_b32 v16, v17, v16
	s_waitcnt vmcnt(0) lgkmcnt(0)
	v_add_u32_e32 v16, v208, v16
	flat_store_dword v[144:145], v16
.LBB1015_60:                            ;   in Loop: Header=BB1015_56 Depth=1
	s_or_b64 exec, exec, s[30:31]
	v_lshrrev_b32_sdwa v16, v10, v140 dst_sel:DWORD dst_unused:UNUSED_PAD src0_sel:DWORD src1_sel:WORD_0
	v_and_b32_e32 v19, v16, v18
	v_lshlrev_b32_e32 v16, 2, v19
	v_add_lshl_u32 v16, v16, v107, 2
	v_add_co_u32_e64 v146, s[30:31], v1, v16
	v_addc_co_u32_e64 v147, s[30:31], 0, v23, s[30:31]
	; wave barrier
	flat_load_dword v212, v[146:147]
	v_and_b32_e32 v16, 1, v19
	v_add_co_u32_e64 v17, s[30:31], -1, v16
	v_addc_co_u32_e64 v148, s[30:31], 0, -1, s[30:31]
	v_cmp_ne_u32_e64 s[30:31], 0, v16
	v_xor_b32_e32 v16, s31, v148
	v_xor_b32_e32 v17, s30, v17
	v_and_b32_e32 v148, exec_hi, v16
	v_and_b32_e32 v149, exec_lo, v17
	v_lshlrev_b32_e32 v17, 30, v19
	v_mov_b32_e32 v16, v15
	v_cmp_gt_i64_e64 s[30:31], 0, v[16:17]
	v_not_b32_e32 v16, v17
	v_ashrrev_i32_e32 v16, 31, v16
	v_xor_b32_e32 v17, s31, v16
	v_xor_b32_e32 v16, s30, v16
	v_and_b32_e32 v148, v148, v17
	v_and_b32_e32 v149, v149, v16
	v_lshlrev_b32_e32 v17, 29, v19
	v_mov_b32_e32 v16, v15
	v_cmp_gt_i64_e64 s[30:31], 0, v[16:17]
	v_not_b32_e32 v16, v17
	v_ashrrev_i32_e32 v16, 31, v16
	v_xor_b32_e32 v17, s31, v16
	v_xor_b32_e32 v16, s30, v16
	v_and_b32_e32 v148, v148, v17
	v_and_b32_e32 v149, v149, v16
	v_lshlrev_b32_e32 v17, 28, v19
	v_mov_b32_e32 v16, v15
	v_cmp_gt_i64_e64 s[30:31], 0, v[16:17]
	v_not_b32_e32 v16, v17
	v_ashrrev_i32_e32 v16, 31, v16
	v_xor_b32_e32 v17, s31, v16
	v_xor_b32_e32 v16, s30, v16
	v_and_b32_e32 v148, v148, v17
	v_and_b32_e32 v149, v149, v16
	v_lshlrev_b32_e32 v17, 27, v19
	v_mov_b32_e32 v16, v15
	v_cmp_gt_i64_e64 s[30:31], 0, v[16:17]
	v_not_b32_e32 v16, v17
	v_ashrrev_i32_e32 v16, 31, v16
	v_xor_b32_e32 v17, s31, v16
	v_xor_b32_e32 v16, s30, v16
	v_and_b32_e32 v148, v148, v17
	v_and_b32_e32 v149, v149, v16
	v_lshlrev_b32_e32 v17, 26, v19
	v_mov_b32_e32 v16, v15
	v_cmp_gt_i64_e64 s[30:31], 0, v[16:17]
	v_not_b32_e32 v16, v17
	v_ashrrev_i32_e32 v16, 31, v16
	v_xor_b32_e32 v17, s31, v16
	v_xor_b32_e32 v16, s30, v16
	v_and_b32_e32 v148, v148, v17
	v_and_b32_e32 v149, v149, v16
	v_lshlrev_b32_e32 v17, 25, v19
	v_mov_b32_e32 v16, v15
	v_cmp_gt_i64_e64 s[30:31], 0, v[16:17]
	v_not_b32_e32 v16, v17
	v_ashrrev_i32_e32 v16, 31, v16
	v_xor_b32_e32 v17, s31, v16
	v_xor_b32_e32 v16, s30, v16
	v_and_b32_e32 v148, v148, v17
	v_and_b32_e32 v149, v149, v16
	v_lshlrev_b32_e32 v17, 24, v19
	v_mov_b32_e32 v16, v15
	v_cmp_gt_i64_e64 s[30:31], 0, v[16:17]
	v_not_b32_e32 v16, v17
	v_ashrrev_i32_e32 v16, 31, v16
	v_xor_b32_e32 v17, s31, v16
	v_xor_b32_e32 v16, s30, v16
	v_and_b32_e32 v16, v149, v16
	v_and_b32_e32 v17, v148, v17
	v_mbcnt_lo_u32_b32 v19, v16, 0
	v_mbcnt_hi_u32_b32 v214, v17, v19
	v_cmp_eq_u32_e64 s[30:31], 0, v214
	v_cmp_ne_u64_e64 s[36:37], 0, v[16:17]
	s_and_b64 s[36:37], s[36:37], s[30:31]
	; wave barrier
	s_and_saveexec_b64 s[30:31], s[36:37]
	s_cbranch_execz .LBB1015_62
; %bb.61:                               ;   in Loop: Header=BB1015_56 Depth=1
	v_bcnt_u32_b32 v16, v16, 0
	v_bcnt_u32_b32 v16, v17, v16
	s_waitcnt vmcnt(0) lgkmcnt(0)
	v_add_u32_e32 v16, v212, v16
	flat_store_dword v[146:147], v16
.LBB1015_62:                            ;   in Loop: Header=BB1015_56 Depth=1
	s_or_b64 exec, exec, s[30:31]
	v_lshrrev_b32_sdwa v16, v10, v139 dst_sel:DWORD dst_unused:UNUSED_PAD src0_sel:DWORD src1_sel:WORD_0
	v_and_b32_e32 v19, v16, v18
	v_lshlrev_b32_e32 v16, 2, v19
	v_add_lshl_u32 v16, v16, v107, 2
	v_add_co_u32_e64 v148, s[30:31], v1, v16
	v_addc_co_u32_e64 v149, s[30:31], 0, v23, s[30:31]
	; wave barrier
	flat_load_dword v215, v[148:149]
	v_and_b32_e32 v16, 1, v19
	v_add_co_u32_e64 v17, s[30:31], -1, v16
	v_addc_co_u32_e64 v150, s[30:31], 0, -1, s[30:31]
	v_cmp_ne_u32_e64 s[30:31], 0, v16
	v_xor_b32_e32 v16, s31, v150
	v_xor_b32_e32 v17, s30, v17
	v_and_b32_e32 v150, exec_hi, v16
	v_and_b32_e32 v151, exec_lo, v17
	v_lshlrev_b32_e32 v17, 30, v19
	v_mov_b32_e32 v16, v15
	v_cmp_gt_i64_e64 s[30:31], 0, v[16:17]
	v_not_b32_e32 v16, v17
	v_ashrrev_i32_e32 v16, 31, v16
	v_xor_b32_e32 v17, s31, v16
	v_xor_b32_e32 v16, s30, v16
	v_and_b32_e32 v150, v150, v17
	v_and_b32_e32 v151, v151, v16
	v_lshlrev_b32_e32 v17, 29, v19
	v_mov_b32_e32 v16, v15
	v_cmp_gt_i64_e64 s[30:31], 0, v[16:17]
	v_not_b32_e32 v16, v17
	v_ashrrev_i32_e32 v16, 31, v16
	v_xor_b32_e32 v17, s31, v16
	v_xor_b32_e32 v16, s30, v16
	v_and_b32_e32 v150, v150, v17
	v_and_b32_e32 v151, v151, v16
	;; [unrolled: 9-line block ×7, first 2 shown]
	v_mbcnt_lo_u32_b32 v19, v16, 0
	v_mbcnt_hi_u32_b32 v224, v17, v19
	v_cmp_eq_u32_e64 s[30:31], 0, v224
	v_cmp_ne_u64_e64 s[36:37], 0, v[16:17]
	s_and_b64 s[36:37], s[36:37], s[30:31]
	; wave barrier
	s_and_saveexec_b64 s[30:31], s[36:37]
	s_cbranch_execz .LBB1015_64
; %bb.63:                               ;   in Loop: Header=BB1015_56 Depth=1
	v_bcnt_u32_b32 v16, v16, 0
	v_bcnt_u32_b32 v16, v17, v16
	s_waitcnt vmcnt(0) lgkmcnt(0)
	v_add_u32_e32 v16, v215, v16
	flat_store_dword v[148:149], v16
.LBB1015_64:                            ;   in Loop: Header=BB1015_56 Depth=1
	s_or_b64 exec, exec, s[30:31]
	v_lshrrev_b32_sdwa v16, v10, v138 dst_sel:DWORD dst_unused:UNUSED_PAD src0_sel:DWORD src1_sel:WORD_0
	v_and_b32_e32 v19, v16, v18
	v_lshlrev_b32_e32 v16, 2, v19
	v_add_lshl_u32 v16, v16, v107, 2
	v_add_co_u32_e64 v150, s[30:31], v1, v16
	v_addc_co_u32_e64 v151, s[30:31], 0, v23, s[30:31]
	; wave barrier
	flat_load_dword v226, v[150:151]
	v_and_b32_e32 v16, 1, v19
	v_add_co_u32_e64 v17, s[30:31], -1, v16
	v_addc_co_u32_e64 v160, s[30:31], 0, -1, s[30:31]
	v_cmp_ne_u32_e64 s[30:31], 0, v16
	v_xor_b32_e32 v16, s31, v160
	v_xor_b32_e32 v17, s30, v17
	v_and_b32_e32 v160, exec_hi, v16
	v_and_b32_e32 v161, exec_lo, v17
	v_lshlrev_b32_e32 v17, 30, v19
	v_mov_b32_e32 v16, v15
	v_cmp_gt_i64_e64 s[30:31], 0, v[16:17]
	v_not_b32_e32 v16, v17
	v_ashrrev_i32_e32 v16, 31, v16
	v_xor_b32_e32 v17, s31, v16
	v_xor_b32_e32 v16, s30, v16
	v_and_b32_e32 v160, v160, v17
	v_and_b32_e32 v161, v161, v16
	v_lshlrev_b32_e32 v17, 29, v19
	v_mov_b32_e32 v16, v15
	v_cmp_gt_i64_e64 s[30:31], 0, v[16:17]
	v_not_b32_e32 v16, v17
	v_ashrrev_i32_e32 v16, 31, v16
	v_xor_b32_e32 v17, s31, v16
	v_xor_b32_e32 v16, s30, v16
	v_and_b32_e32 v160, v160, v17
	v_and_b32_e32 v161, v161, v16
	;; [unrolled: 9-line block ×7, first 2 shown]
	v_mbcnt_lo_u32_b32 v19, v16, 0
	v_mbcnt_hi_u32_b32 v227, v17, v19
	v_cmp_eq_u32_e64 s[30:31], 0, v227
	v_cmp_ne_u64_e64 s[36:37], 0, v[16:17]
	s_and_b64 s[36:37], s[36:37], s[30:31]
	; wave barrier
	s_and_saveexec_b64 s[30:31], s[36:37]
	s_cbranch_execz .LBB1015_66
; %bb.65:                               ;   in Loop: Header=BB1015_56 Depth=1
	v_bcnt_u32_b32 v16, v16, 0
	v_bcnt_u32_b32 v16, v17, v16
	s_waitcnt vmcnt(0) lgkmcnt(0)
	v_add_u32_e32 v16, v226, v16
	flat_store_dword v[150:151], v16
.LBB1015_66:                            ;   in Loop: Header=BB1015_56 Depth=1
	s_or_b64 exec, exec, s[30:31]
	v_lshrrev_b32_sdwa v16, v10, v137 dst_sel:DWORD dst_unused:UNUSED_PAD src0_sel:DWORD src1_sel:WORD_0
	v_and_b32_e32 v19, v16, v18
	v_lshlrev_b32_e32 v16, 2, v19
	v_add_lshl_u32 v16, v16, v107, 2
	v_add_co_u32_e64 v160, s[30:31], v1, v16
	v_addc_co_u32_e64 v161, s[30:31], 0, v23, s[30:31]
	; wave barrier
	flat_load_dword v228, v[160:161]
	v_and_b32_e32 v16, 1, v19
	v_add_co_u32_e64 v17, s[30:31], -1, v16
	v_addc_co_u32_e64 v162, s[30:31], 0, -1, s[30:31]
	v_cmp_ne_u32_e64 s[30:31], 0, v16
	v_xor_b32_e32 v16, s31, v162
	v_xor_b32_e32 v17, s30, v17
	v_and_b32_e32 v162, exec_hi, v16
	v_and_b32_e32 v163, exec_lo, v17
	v_lshlrev_b32_e32 v17, 30, v19
	v_mov_b32_e32 v16, v15
	v_cmp_gt_i64_e64 s[30:31], 0, v[16:17]
	v_not_b32_e32 v16, v17
	v_ashrrev_i32_e32 v16, 31, v16
	v_xor_b32_e32 v17, s31, v16
	v_xor_b32_e32 v16, s30, v16
	v_and_b32_e32 v162, v162, v17
	v_and_b32_e32 v163, v163, v16
	v_lshlrev_b32_e32 v17, 29, v19
	v_mov_b32_e32 v16, v15
	v_cmp_gt_i64_e64 s[30:31], 0, v[16:17]
	v_not_b32_e32 v16, v17
	v_ashrrev_i32_e32 v16, 31, v16
	v_xor_b32_e32 v17, s31, v16
	v_xor_b32_e32 v16, s30, v16
	v_and_b32_e32 v162, v162, v17
	v_and_b32_e32 v163, v163, v16
	;; [unrolled: 9-line block ×7, first 2 shown]
	v_mbcnt_lo_u32_b32 v19, v16, 0
	v_mbcnt_hi_u32_b32 v229, v17, v19
	v_cmp_eq_u32_e64 s[30:31], 0, v229
	v_cmp_ne_u64_e64 s[36:37], 0, v[16:17]
	s_and_b64 s[36:37], s[36:37], s[30:31]
	; wave barrier
	s_and_saveexec_b64 s[30:31], s[36:37]
	s_cbranch_execz .LBB1015_68
; %bb.67:                               ;   in Loop: Header=BB1015_56 Depth=1
	v_bcnt_u32_b32 v16, v16, 0
	v_bcnt_u32_b32 v16, v17, v16
	s_waitcnt vmcnt(0) lgkmcnt(0)
	v_add_u32_e32 v16, v228, v16
	flat_store_dword v[160:161], v16
.LBB1015_68:                            ;   in Loop: Header=BB1015_56 Depth=1
	s_or_b64 exec, exec, s[30:31]
	v_lshrrev_b32_sdwa v16, v10, v136 dst_sel:DWORD dst_unused:UNUSED_PAD src0_sel:DWORD src1_sel:WORD_0
	v_and_b32_e32 v19, v16, v18
	v_lshlrev_b32_e32 v16, 2, v19
	v_add_lshl_u32 v16, v16, v107, 2
	v_add_co_u32_e64 v162, s[30:31], v1, v16
	v_addc_co_u32_e64 v163, s[30:31], 0, v23, s[30:31]
	; wave barrier
	flat_load_dword v230, v[162:163]
	v_and_b32_e32 v16, 1, v19
	v_add_co_u32_e64 v17, s[30:31], -1, v16
	v_addc_co_u32_e64 v164, s[30:31], 0, -1, s[30:31]
	v_cmp_ne_u32_e64 s[30:31], 0, v16
	v_xor_b32_e32 v16, s31, v164
	v_xor_b32_e32 v17, s30, v17
	v_and_b32_e32 v164, exec_hi, v16
	v_and_b32_e32 v165, exec_lo, v17
	v_lshlrev_b32_e32 v17, 30, v19
	v_mov_b32_e32 v16, v15
	v_cmp_gt_i64_e64 s[30:31], 0, v[16:17]
	v_not_b32_e32 v16, v17
	v_ashrrev_i32_e32 v16, 31, v16
	v_xor_b32_e32 v17, s31, v16
	v_xor_b32_e32 v16, s30, v16
	v_and_b32_e32 v164, v164, v17
	v_and_b32_e32 v165, v165, v16
	v_lshlrev_b32_e32 v17, 29, v19
	v_mov_b32_e32 v16, v15
	v_cmp_gt_i64_e64 s[30:31], 0, v[16:17]
	v_not_b32_e32 v16, v17
	v_ashrrev_i32_e32 v16, 31, v16
	v_xor_b32_e32 v17, s31, v16
	v_xor_b32_e32 v16, s30, v16
	v_and_b32_e32 v164, v164, v17
	v_and_b32_e32 v165, v165, v16
	;; [unrolled: 9-line block ×7, first 2 shown]
	v_mbcnt_lo_u32_b32 v19, v16, 0
	v_mbcnt_hi_u32_b32 v231, v17, v19
	v_cmp_eq_u32_e64 s[30:31], 0, v231
	v_cmp_ne_u64_e64 s[36:37], 0, v[16:17]
	s_and_b64 s[36:37], s[36:37], s[30:31]
	; wave barrier
	s_and_saveexec_b64 s[30:31], s[36:37]
	s_cbranch_execz .LBB1015_70
; %bb.69:                               ;   in Loop: Header=BB1015_56 Depth=1
	v_bcnt_u32_b32 v16, v16, 0
	v_bcnt_u32_b32 v16, v17, v16
	s_waitcnt vmcnt(0) lgkmcnt(0)
	v_add_u32_e32 v16, v230, v16
	flat_store_dword v[162:163], v16
.LBB1015_70:                            ;   in Loop: Header=BB1015_56 Depth=1
	s_or_b64 exec, exec, s[30:31]
	v_lshrrev_b32_sdwa v16, v10, v127 dst_sel:DWORD dst_unused:UNUSED_PAD src0_sel:DWORD src1_sel:WORD_0
	v_and_b32_e32 v19, v16, v18
	v_lshlrev_b32_e32 v16, 2, v19
	v_add_lshl_u32 v16, v16, v107, 2
	v_add_co_u32_e64 v164, s[30:31], v1, v16
	v_addc_co_u32_e64 v165, s[30:31], 0, v23, s[30:31]
	; wave barrier
	flat_load_dword v240, v[164:165]
	v_and_b32_e32 v16, 1, v19
	v_add_co_u32_e64 v17, s[30:31], -1, v16
	v_addc_co_u32_e64 v166, s[30:31], 0, -1, s[30:31]
	v_cmp_ne_u32_e64 s[30:31], 0, v16
	v_xor_b32_e32 v16, s31, v166
	v_xor_b32_e32 v17, s30, v17
	v_and_b32_e32 v166, exec_hi, v16
	v_and_b32_e32 v167, exec_lo, v17
	v_lshlrev_b32_e32 v17, 30, v19
	v_mov_b32_e32 v16, v15
	v_cmp_gt_i64_e64 s[30:31], 0, v[16:17]
	v_not_b32_e32 v16, v17
	v_ashrrev_i32_e32 v16, 31, v16
	v_xor_b32_e32 v17, s31, v16
	v_xor_b32_e32 v16, s30, v16
	v_and_b32_e32 v166, v166, v17
	v_and_b32_e32 v167, v167, v16
	v_lshlrev_b32_e32 v17, 29, v19
	v_mov_b32_e32 v16, v15
	v_cmp_gt_i64_e64 s[30:31], 0, v[16:17]
	v_not_b32_e32 v16, v17
	v_ashrrev_i32_e32 v16, 31, v16
	v_xor_b32_e32 v17, s31, v16
	v_xor_b32_e32 v16, s30, v16
	v_and_b32_e32 v166, v166, v17
	v_and_b32_e32 v167, v167, v16
	;; [unrolled: 9-line block ×7, first 2 shown]
	v_mbcnt_lo_u32_b32 v19, v16, 0
	v_mbcnt_hi_u32_b32 v241, v17, v19
	v_cmp_eq_u32_e64 s[30:31], 0, v241
	v_cmp_ne_u64_e64 s[36:37], 0, v[16:17]
	s_and_b64 s[36:37], s[36:37], s[30:31]
	; wave barrier
	s_and_saveexec_b64 s[30:31], s[36:37]
	s_cbranch_execz .LBB1015_72
; %bb.71:                               ;   in Loop: Header=BB1015_56 Depth=1
	v_bcnt_u32_b32 v16, v16, 0
	v_bcnt_u32_b32 v16, v17, v16
	s_waitcnt vmcnt(0) lgkmcnt(0)
	v_add_u32_e32 v16, v240, v16
	flat_store_dword v[164:165], v16
.LBB1015_72:                            ;   in Loop: Header=BB1015_56 Depth=1
	s_or_b64 exec, exec, s[30:31]
	v_lshrrev_b32_sdwa v16, v10, v126 dst_sel:DWORD dst_unused:UNUSED_PAD src0_sel:DWORD src1_sel:WORD_0
	v_and_b32_e32 v19, v16, v18
	v_lshlrev_b32_e32 v16, 2, v19
	v_add_lshl_u32 v16, v16, v107, 2
	v_add_co_u32_e64 v166, s[30:31], v1, v16
	v_addc_co_u32_e64 v167, s[30:31], 0, v23, s[30:31]
	; wave barrier
	flat_load_dword v242, v[166:167]
	v_and_b32_e32 v16, 1, v19
	v_add_co_u32_e64 v17, s[30:31], -1, v16
	v_addc_co_u32_e64 v176, s[30:31], 0, -1, s[30:31]
	v_cmp_ne_u32_e64 s[30:31], 0, v16
	v_xor_b32_e32 v16, s31, v176
	v_xor_b32_e32 v17, s30, v17
	v_and_b32_e32 v176, exec_hi, v16
	v_and_b32_e32 v177, exec_lo, v17
	v_lshlrev_b32_e32 v17, 30, v19
	v_mov_b32_e32 v16, v15
	v_cmp_gt_i64_e64 s[30:31], 0, v[16:17]
	v_not_b32_e32 v16, v17
	v_ashrrev_i32_e32 v16, 31, v16
	v_xor_b32_e32 v17, s31, v16
	v_xor_b32_e32 v16, s30, v16
	v_and_b32_e32 v176, v176, v17
	v_and_b32_e32 v177, v177, v16
	v_lshlrev_b32_e32 v17, 29, v19
	v_mov_b32_e32 v16, v15
	v_cmp_gt_i64_e64 s[30:31], 0, v[16:17]
	v_not_b32_e32 v16, v17
	v_ashrrev_i32_e32 v16, 31, v16
	v_xor_b32_e32 v17, s31, v16
	v_xor_b32_e32 v16, s30, v16
	v_and_b32_e32 v176, v176, v17
	v_and_b32_e32 v177, v177, v16
	;; [unrolled: 9-line block ×7, first 2 shown]
	v_mbcnt_lo_u32_b32 v19, v16, 0
	v_mbcnt_hi_u32_b32 v243, v17, v19
	v_cmp_eq_u32_e64 s[30:31], 0, v243
	v_cmp_ne_u64_e64 s[36:37], 0, v[16:17]
	s_and_b64 s[36:37], s[36:37], s[30:31]
	; wave barrier
	s_and_saveexec_b64 s[30:31], s[36:37]
	s_cbranch_execz .LBB1015_74
; %bb.73:                               ;   in Loop: Header=BB1015_56 Depth=1
	v_bcnt_u32_b32 v16, v16, 0
	v_bcnt_u32_b32 v16, v17, v16
	s_waitcnt vmcnt(0) lgkmcnt(0)
	v_add_u32_e32 v16, v242, v16
	flat_store_dword v[166:167], v16
.LBB1015_74:                            ;   in Loop: Header=BB1015_56 Depth=1
	s_or_b64 exec, exec, s[30:31]
	v_lshrrev_b32_sdwa v16, v10, v125 dst_sel:DWORD dst_unused:UNUSED_PAD src0_sel:DWORD src1_sel:WORD_0
	v_and_b32_e32 v19, v16, v18
	v_lshlrev_b32_e32 v16, 2, v19
	v_add_lshl_u32 v16, v16, v107, 2
	v_add_co_u32_e64 v176, s[30:31], v1, v16
	v_addc_co_u32_e64 v177, s[30:31], 0, v23, s[30:31]
	; wave barrier
	flat_load_dword v244, v[176:177]
	v_and_b32_e32 v16, 1, v19
	v_add_co_u32_e64 v17, s[30:31], -1, v16
	v_addc_co_u32_e64 v178, s[30:31], 0, -1, s[30:31]
	v_cmp_ne_u32_e64 s[30:31], 0, v16
	v_xor_b32_e32 v16, s31, v178
	v_xor_b32_e32 v17, s30, v17
	v_and_b32_e32 v178, exec_hi, v16
	v_and_b32_e32 v179, exec_lo, v17
	v_lshlrev_b32_e32 v17, 30, v19
	v_mov_b32_e32 v16, v15
	v_cmp_gt_i64_e64 s[30:31], 0, v[16:17]
	v_not_b32_e32 v16, v17
	v_ashrrev_i32_e32 v16, 31, v16
	v_xor_b32_e32 v17, s31, v16
	v_xor_b32_e32 v16, s30, v16
	v_and_b32_e32 v178, v178, v17
	v_and_b32_e32 v179, v179, v16
	v_lshlrev_b32_e32 v17, 29, v19
	v_mov_b32_e32 v16, v15
	v_cmp_gt_i64_e64 s[30:31], 0, v[16:17]
	v_not_b32_e32 v16, v17
	v_ashrrev_i32_e32 v16, 31, v16
	v_xor_b32_e32 v17, s31, v16
	v_xor_b32_e32 v16, s30, v16
	v_and_b32_e32 v178, v178, v17
	v_and_b32_e32 v179, v179, v16
	;; [unrolled: 9-line block ×7, first 2 shown]
	v_mbcnt_lo_u32_b32 v19, v16, 0
	v_mbcnt_hi_u32_b32 v245, v17, v19
	v_cmp_eq_u32_e64 s[30:31], 0, v245
	v_cmp_ne_u64_e64 s[36:37], 0, v[16:17]
	s_and_b64 s[36:37], s[36:37], s[30:31]
	; wave barrier
	s_and_saveexec_b64 s[30:31], s[36:37]
	s_cbranch_execz .LBB1015_76
; %bb.75:                               ;   in Loop: Header=BB1015_56 Depth=1
	v_bcnt_u32_b32 v16, v16, 0
	v_bcnt_u32_b32 v16, v17, v16
	s_waitcnt vmcnt(0) lgkmcnt(0)
	v_add_u32_e32 v16, v244, v16
	flat_store_dword v[176:177], v16
.LBB1015_76:                            ;   in Loop: Header=BB1015_56 Depth=1
	s_or_b64 exec, exec, s[30:31]
	v_lshrrev_b32_sdwa v16, v10, v124 dst_sel:DWORD dst_unused:UNUSED_PAD src0_sel:DWORD src1_sel:WORD_0
	v_and_b32_e32 v19, v16, v18
	v_lshlrev_b32_e32 v16, 2, v19
	v_add_lshl_u32 v16, v16, v107, 2
	v_add_co_u32_e64 v178, s[30:31], v1, v16
	v_addc_co_u32_e64 v179, s[30:31], 0, v23, s[30:31]
	; wave barrier
	flat_load_dword v246, v[178:179]
	v_and_b32_e32 v16, 1, v19
	v_add_co_u32_e64 v17, s[30:31], -1, v16
	v_addc_co_u32_e64 v180, s[30:31], 0, -1, s[30:31]
	v_cmp_ne_u32_e64 s[30:31], 0, v16
	v_xor_b32_e32 v16, s31, v180
	v_xor_b32_e32 v17, s30, v17
	v_and_b32_e32 v180, exec_hi, v16
	v_and_b32_e32 v181, exec_lo, v17
	v_lshlrev_b32_e32 v17, 30, v19
	v_mov_b32_e32 v16, v15
	v_cmp_gt_i64_e64 s[30:31], 0, v[16:17]
	v_not_b32_e32 v16, v17
	v_ashrrev_i32_e32 v16, 31, v16
	v_xor_b32_e32 v17, s31, v16
	v_xor_b32_e32 v16, s30, v16
	v_and_b32_e32 v180, v180, v17
	v_and_b32_e32 v181, v181, v16
	v_lshlrev_b32_e32 v17, 29, v19
	v_mov_b32_e32 v16, v15
	v_cmp_gt_i64_e64 s[30:31], 0, v[16:17]
	v_not_b32_e32 v16, v17
	v_ashrrev_i32_e32 v16, 31, v16
	v_xor_b32_e32 v17, s31, v16
	v_xor_b32_e32 v16, s30, v16
	v_and_b32_e32 v180, v180, v17
	v_and_b32_e32 v181, v181, v16
	;; [unrolled: 9-line block ×7, first 2 shown]
	v_mbcnt_lo_u32_b32 v19, v16, 0
	v_mbcnt_hi_u32_b32 v247, v17, v19
	v_cmp_eq_u32_e64 s[30:31], 0, v247
	v_cmp_ne_u64_e64 s[36:37], 0, v[16:17]
	s_and_b64 s[36:37], s[36:37], s[30:31]
	; wave barrier
	s_and_saveexec_b64 s[30:31], s[36:37]
	s_cbranch_execz .LBB1015_78
; %bb.77:                               ;   in Loop: Header=BB1015_56 Depth=1
	v_bcnt_u32_b32 v16, v16, 0
	v_bcnt_u32_b32 v16, v17, v16
	s_waitcnt vmcnt(0) lgkmcnt(0)
	v_add_u32_e32 v16, v246, v16
	flat_store_dword v[178:179], v16
.LBB1015_78:                            ;   in Loop: Header=BB1015_56 Depth=1
	s_or_b64 exec, exec, s[30:31]
	v_lshrrev_b32_sdwa v16, v10, v123 dst_sel:DWORD dst_unused:UNUSED_PAD src0_sel:DWORD src1_sel:WORD_0
	v_and_b32_e32 v19, v16, v18
	v_lshlrev_b32_e32 v16, 2, v19
	v_add_lshl_u32 v16, v16, v107, 2
	v_add_co_u32_e64 v180, s[30:31], v1, v16
	v_addc_co_u32_e64 v181, s[30:31], 0, v23, s[30:31]
	; wave barrier
	flat_load_dword v40, v[180:181]
	v_and_b32_e32 v16, 1, v19
	v_add_co_u32_e64 v17, s[30:31], -1, v16
	v_addc_co_u32_e64 v182, s[30:31], 0, -1, s[30:31]
	v_cmp_ne_u32_e64 s[30:31], 0, v16
	v_xor_b32_e32 v16, s31, v182
	v_xor_b32_e32 v17, s30, v17
	v_and_b32_e32 v182, exec_hi, v16
	v_and_b32_e32 v183, exec_lo, v17
	v_lshlrev_b32_e32 v17, 30, v19
	v_mov_b32_e32 v16, v15
	v_cmp_gt_i64_e64 s[30:31], 0, v[16:17]
	v_not_b32_e32 v16, v17
	v_ashrrev_i32_e32 v16, 31, v16
	v_xor_b32_e32 v17, s31, v16
	v_xor_b32_e32 v16, s30, v16
	v_and_b32_e32 v182, v182, v17
	v_and_b32_e32 v183, v183, v16
	v_lshlrev_b32_e32 v17, 29, v19
	v_mov_b32_e32 v16, v15
	v_cmp_gt_i64_e64 s[30:31], 0, v[16:17]
	v_not_b32_e32 v16, v17
	v_ashrrev_i32_e32 v16, 31, v16
	v_xor_b32_e32 v17, s31, v16
	v_xor_b32_e32 v16, s30, v16
	v_and_b32_e32 v182, v182, v17
	v_and_b32_e32 v183, v183, v16
	;; [unrolled: 9-line block ×7, first 2 shown]
	v_mbcnt_lo_u32_b32 v19, v16, 0
	v_mbcnt_hi_u32_b32 v41, v17, v19
	v_cmp_eq_u32_e64 s[30:31], 0, v41
	v_cmp_ne_u64_e64 s[36:37], 0, v[16:17]
	s_and_b64 s[36:37], s[36:37], s[30:31]
	; wave barrier
	s_and_saveexec_b64 s[30:31], s[36:37]
	s_cbranch_execz .LBB1015_80
; %bb.79:                               ;   in Loop: Header=BB1015_56 Depth=1
	v_bcnt_u32_b32 v16, v16, 0
	v_bcnt_u32_b32 v16, v17, v16
	s_waitcnt vmcnt(0) lgkmcnt(0)
	v_add_u32_e32 v16, v40, v16
	flat_store_dword v[180:181], v16
.LBB1015_80:                            ;   in Loop: Header=BB1015_56 Depth=1
	s_or_b64 exec, exec, s[30:31]
	v_lshrrev_b32_sdwa v16, v10, v122 dst_sel:DWORD dst_unused:UNUSED_PAD src0_sel:DWORD src1_sel:WORD_0
	v_and_b32_e32 v19, v16, v18
	v_lshlrev_b32_e32 v16, 2, v19
	v_add_lshl_u32 v16, v16, v107, 2
	v_add_co_u32_e64 v182, s[30:31], v1, v16
	v_addc_co_u32_e64 v183, s[30:31], 0, v23, s[30:31]
	; wave barrier
	flat_load_dword v42, v[182:183]
	v_and_b32_e32 v16, 1, v19
	v_add_co_u32_e64 v17, s[30:31], -1, v16
	v_addc_co_u32_e64 v192, s[30:31], 0, -1, s[30:31]
	v_cmp_ne_u32_e64 s[30:31], 0, v16
	v_xor_b32_e32 v16, s31, v192
	v_xor_b32_e32 v17, s30, v17
	v_and_b32_e32 v192, exec_hi, v16
	v_and_b32_e32 v193, exec_lo, v17
	v_lshlrev_b32_e32 v17, 30, v19
	v_mov_b32_e32 v16, v15
	v_cmp_gt_i64_e64 s[30:31], 0, v[16:17]
	v_not_b32_e32 v16, v17
	v_ashrrev_i32_e32 v16, 31, v16
	v_xor_b32_e32 v17, s31, v16
	v_xor_b32_e32 v16, s30, v16
	v_and_b32_e32 v192, v192, v17
	v_and_b32_e32 v193, v193, v16
	v_lshlrev_b32_e32 v17, 29, v19
	v_mov_b32_e32 v16, v15
	v_cmp_gt_i64_e64 s[30:31], 0, v[16:17]
	v_not_b32_e32 v16, v17
	v_ashrrev_i32_e32 v16, 31, v16
	v_xor_b32_e32 v17, s31, v16
	v_xor_b32_e32 v16, s30, v16
	v_and_b32_e32 v192, v192, v17
	v_and_b32_e32 v193, v193, v16
	v_lshlrev_b32_e32 v17, 28, v19
	v_mov_b32_e32 v16, v15
	v_cmp_gt_i64_e64 s[30:31], 0, v[16:17]
	v_not_b32_e32 v16, v17
	v_ashrrev_i32_e32 v16, 31, v16
	v_xor_b32_e32 v17, s31, v16
	v_xor_b32_e32 v16, s30, v16
	v_and_b32_e32 v192, v192, v17
	v_and_b32_e32 v193, v193, v16
	v_lshlrev_b32_e32 v17, 27, v19
	v_mov_b32_e32 v16, v15
	v_cmp_gt_i64_e64 s[30:31], 0, v[16:17]
	v_not_b32_e32 v16, v17
	v_ashrrev_i32_e32 v16, 31, v16
	v_xor_b32_e32 v17, s31, v16
	v_xor_b32_e32 v16, s30, v16
	v_and_b32_e32 v192, v192, v17
	v_and_b32_e32 v193, v193, v16
	v_lshlrev_b32_e32 v17, 26, v19
	v_mov_b32_e32 v16, v15
	v_cmp_gt_i64_e64 s[30:31], 0, v[16:17]
	v_not_b32_e32 v16, v17
	v_ashrrev_i32_e32 v16, 31, v16
	v_xor_b32_e32 v17, s31, v16
	v_xor_b32_e32 v16, s30, v16
	v_and_b32_e32 v192, v192, v17
	v_and_b32_e32 v193, v193, v16
	v_lshlrev_b32_e32 v17, 25, v19
	v_mov_b32_e32 v16, v15
	v_cmp_gt_i64_e64 s[30:31], 0, v[16:17]
	v_not_b32_e32 v16, v17
	v_ashrrev_i32_e32 v16, 31, v16
	v_xor_b32_e32 v17, s31, v16
	v_xor_b32_e32 v16, s30, v16
	v_and_b32_e32 v192, v192, v17
	v_and_b32_e32 v193, v193, v16
	v_lshlrev_b32_e32 v17, 24, v19
	v_mov_b32_e32 v16, v15
	v_cmp_gt_i64_e64 s[30:31], 0, v[16:17]
	v_not_b32_e32 v16, v17
	v_ashrrev_i32_e32 v16, 31, v16
	v_xor_b32_e32 v17, s31, v16
	v_xor_b32_e32 v16, s30, v16
	v_and_b32_e32 v16, v193, v16
	v_and_b32_e32 v17, v192, v17
	v_mbcnt_lo_u32_b32 v19, v16, 0
	v_mbcnt_hi_u32_b32 v43, v17, v19
	v_cmp_eq_u32_e64 s[30:31], 0, v43
	v_cmp_ne_u64_e64 s[36:37], 0, v[16:17]
	s_and_b64 s[36:37], s[36:37], s[30:31]
	; wave barrier
	s_and_saveexec_b64 s[30:31], s[36:37]
	s_cbranch_execz .LBB1015_82
; %bb.81:                               ;   in Loop: Header=BB1015_56 Depth=1
	v_bcnt_u32_b32 v16, v16, 0
	v_bcnt_u32_b32 v16, v17, v16
	s_waitcnt vmcnt(0) lgkmcnt(0)
	v_add_u32_e32 v16, v42, v16
	flat_store_dword v[182:183], v16
.LBB1015_82:                            ;   in Loop: Header=BB1015_56 Depth=1
	s_or_b64 exec, exec, s[30:31]
	v_lshrrev_b32_sdwa v16, v10, v121 dst_sel:DWORD dst_unused:UNUSED_PAD src0_sel:DWORD src1_sel:WORD_0
	v_and_b32_e32 v19, v16, v18
	v_lshlrev_b32_e32 v16, 2, v19
	v_add_lshl_u32 v16, v16, v107, 2
	v_add_co_u32_e64 v192, s[30:31], v1, v16
	v_addc_co_u32_e64 v193, s[30:31], 0, v23, s[30:31]
	; wave barrier
	flat_load_dword v44, v[192:193]
	v_and_b32_e32 v16, 1, v19
	v_add_co_u32_e64 v17, s[30:31], -1, v16
	v_addc_co_u32_e64 v194, s[30:31], 0, -1, s[30:31]
	v_cmp_ne_u32_e64 s[30:31], 0, v16
	v_xor_b32_e32 v16, s31, v194
	v_xor_b32_e32 v17, s30, v17
	v_and_b32_e32 v194, exec_hi, v16
	v_and_b32_e32 v195, exec_lo, v17
	v_lshlrev_b32_e32 v17, 30, v19
	v_mov_b32_e32 v16, v15
	v_cmp_gt_i64_e64 s[30:31], 0, v[16:17]
	v_not_b32_e32 v16, v17
	v_ashrrev_i32_e32 v16, 31, v16
	v_xor_b32_e32 v17, s31, v16
	v_xor_b32_e32 v16, s30, v16
	v_and_b32_e32 v194, v194, v17
	v_and_b32_e32 v195, v195, v16
	v_lshlrev_b32_e32 v17, 29, v19
	v_mov_b32_e32 v16, v15
	v_cmp_gt_i64_e64 s[30:31], 0, v[16:17]
	v_not_b32_e32 v16, v17
	v_ashrrev_i32_e32 v16, 31, v16
	v_xor_b32_e32 v17, s31, v16
	v_xor_b32_e32 v16, s30, v16
	v_and_b32_e32 v194, v194, v17
	v_and_b32_e32 v195, v195, v16
	;; [unrolled: 9-line block ×7, first 2 shown]
	v_mbcnt_lo_u32_b32 v19, v16, 0
	v_mbcnt_hi_u32_b32 v45, v17, v19
	v_cmp_eq_u32_e64 s[30:31], 0, v45
	v_cmp_ne_u64_e64 s[36:37], 0, v[16:17]
	s_and_b64 s[36:37], s[36:37], s[30:31]
	; wave barrier
	s_and_saveexec_b64 s[30:31], s[36:37]
	s_cbranch_execz .LBB1015_84
; %bb.83:                               ;   in Loop: Header=BB1015_56 Depth=1
	v_bcnt_u32_b32 v16, v16, 0
	v_bcnt_u32_b32 v16, v17, v16
	s_waitcnt vmcnt(0) lgkmcnt(0)
	v_add_u32_e32 v16, v44, v16
	flat_store_dword v[192:193], v16
.LBB1015_84:                            ;   in Loop: Header=BB1015_56 Depth=1
	s_or_b64 exec, exec, s[30:31]
	v_lshrrev_b32_sdwa v16, v10, v120 dst_sel:DWORD dst_unused:UNUSED_PAD src0_sel:DWORD src1_sel:WORD_0
	v_and_b32_e32 v19, v16, v18
	v_lshlrev_b32_e32 v16, 2, v19
	v_add_lshl_u32 v16, v16, v107, 2
	v_add_co_u32_e64 v194, s[30:31], v1, v16
	v_addc_co_u32_e64 v195, s[30:31], 0, v23, s[30:31]
	; wave barrier
	flat_load_dword v46, v[194:195]
	v_and_b32_e32 v16, 1, v19
	v_add_co_u32_e64 v17, s[30:31], -1, v16
	v_addc_co_u32_e64 v196, s[30:31], 0, -1, s[30:31]
	v_cmp_ne_u32_e64 s[30:31], 0, v16
	v_xor_b32_e32 v16, s31, v196
	v_xor_b32_e32 v17, s30, v17
	v_and_b32_e32 v196, exec_hi, v16
	v_and_b32_e32 v197, exec_lo, v17
	v_lshlrev_b32_e32 v17, 30, v19
	v_mov_b32_e32 v16, v15
	v_cmp_gt_i64_e64 s[30:31], 0, v[16:17]
	v_not_b32_e32 v16, v17
	v_ashrrev_i32_e32 v16, 31, v16
	v_xor_b32_e32 v17, s31, v16
	v_xor_b32_e32 v16, s30, v16
	v_and_b32_e32 v196, v196, v17
	v_and_b32_e32 v197, v197, v16
	v_lshlrev_b32_e32 v17, 29, v19
	v_mov_b32_e32 v16, v15
	v_cmp_gt_i64_e64 s[30:31], 0, v[16:17]
	v_not_b32_e32 v16, v17
	v_ashrrev_i32_e32 v16, 31, v16
	v_xor_b32_e32 v17, s31, v16
	v_xor_b32_e32 v16, s30, v16
	v_and_b32_e32 v196, v196, v17
	v_and_b32_e32 v197, v197, v16
	;; [unrolled: 9-line block ×7, first 2 shown]
	v_mbcnt_lo_u32_b32 v19, v16, 0
	v_mbcnt_hi_u32_b32 v47, v17, v19
	v_cmp_eq_u32_e64 s[30:31], 0, v47
	v_cmp_ne_u64_e64 s[36:37], 0, v[16:17]
	s_and_b64 s[36:37], s[36:37], s[30:31]
	; wave barrier
	s_and_saveexec_b64 s[30:31], s[36:37]
	s_cbranch_execz .LBB1015_86
; %bb.85:                               ;   in Loop: Header=BB1015_56 Depth=1
	v_bcnt_u32_b32 v16, v16, 0
	v_bcnt_u32_b32 v16, v17, v16
	s_waitcnt vmcnt(0) lgkmcnt(0)
	v_add_u32_e32 v16, v46, v16
	flat_store_dword v[194:195], v16
.LBB1015_86:                            ;   in Loop: Header=BB1015_56 Depth=1
	s_or_b64 exec, exec, s[30:31]
	v_lshrrev_b32_sdwa v16, v10, v111 dst_sel:DWORD dst_unused:UNUSED_PAD src0_sel:DWORD src1_sel:WORD_0
	v_and_b32_e32 v19, v16, v18
	v_lshlrev_b32_e32 v16, 2, v19
	v_add_lshl_u32 v16, v16, v107, 2
	v_add_co_u32_e64 v196, s[30:31], v1, v16
	v_addc_co_u32_e64 v197, s[30:31], 0, v23, s[30:31]
	; wave barrier
	flat_load_dword v56, v[196:197]
	v_and_b32_e32 v16, 1, v19
	v_add_co_u32_e64 v17, s[30:31], -1, v16
	v_addc_co_u32_e64 v198, s[30:31], 0, -1, s[30:31]
	v_cmp_ne_u32_e64 s[30:31], 0, v16
	v_xor_b32_e32 v16, s31, v198
	v_xor_b32_e32 v17, s30, v17
	v_and_b32_e32 v198, exec_hi, v16
	v_and_b32_e32 v199, exec_lo, v17
	v_lshlrev_b32_e32 v17, 30, v19
	v_mov_b32_e32 v16, v15
	v_cmp_gt_i64_e64 s[30:31], 0, v[16:17]
	v_not_b32_e32 v16, v17
	v_ashrrev_i32_e32 v16, 31, v16
	v_xor_b32_e32 v17, s31, v16
	v_xor_b32_e32 v16, s30, v16
	v_and_b32_e32 v198, v198, v17
	v_and_b32_e32 v199, v199, v16
	v_lshlrev_b32_e32 v17, 29, v19
	v_mov_b32_e32 v16, v15
	v_cmp_gt_i64_e64 s[30:31], 0, v[16:17]
	v_not_b32_e32 v16, v17
	v_ashrrev_i32_e32 v16, 31, v16
	v_xor_b32_e32 v17, s31, v16
	v_xor_b32_e32 v16, s30, v16
	v_and_b32_e32 v198, v198, v17
	v_and_b32_e32 v199, v199, v16
	;; [unrolled: 9-line block ×7, first 2 shown]
	v_mbcnt_lo_u32_b32 v19, v16, 0
	v_mbcnt_hi_u32_b32 v57, v17, v19
	v_cmp_eq_u32_e64 s[30:31], 0, v57
	v_cmp_ne_u64_e64 s[36:37], 0, v[16:17]
	s_and_b64 s[36:37], s[36:37], s[30:31]
	; wave barrier
	s_and_saveexec_b64 s[30:31], s[36:37]
	s_cbranch_execz .LBB1015_88
; %bb.87:                               ;   in Loop: Header=BB1015_56 Depth=1
	v_bcnt_u32_b32 v16, v16, 0
	v_bcnt_u32_b32 v16, v17, v16
	s_waitcnt vmcnt(0) lgkmcnt(0)
	v_add_u32_e32 v16, v56, v16
	flat_store_dword v[196:197], v16
.LBB1015_88:                            ;   in Loop: Header=BB1015_56 Depth=1
	s_or_b64 exec, exec, s[30:31]
	v_lshrrev_b32_sdwa v16, v10, v110 dst_sel:DWORD dst_unused:UNUSED_PAD src0_sel:DWORD src1_sel:WORD_0
	v_and_b32_e32 v18, v16, v18
	v_lshlrev_b32_e32 v16, 2, v18
	v_add_lshl_u32 v16, v16, v107, 2
	v_add_co_u32_e64 v198, s[30:31], v1, v16
	v_addc_co_u32_e64 v199, s[30:31], 0, v23, s[30:31]
	; wave barrier
	flat_load_dword v58, v[198:199]
	v_and_b32_e32 v16, 1, v18
	v_add_co_u32_e64 v17, s[30:31], -1, v16
	v_addc_co_u32_e64 v19, s[30:31], 0, -1, s[30:31]
	v_cmp_ne_u32_e64 s[30:31], 0, v16
	v_xor_b32_e32 v16, s31, v19
	v_xor_b32_e32 v17, s30, v17
	v_and_b32_e32 v19, exec_hi, v16
	v_and_b32_e32 v209, exec_lo, v17
	v_lshlrev_b32_e32 v17, 30, v18
	v_mov_b32_e32 v16, v15
	v_cmp_gt_i64_e64 s[30:31], 0, v[16:17]
	v_not_b32_e32 v16, v17
	v_ashrrev_i32_e32 v16, 31, v16
	v_xor_b32_e32 v17, s31, v16
	v_xor_b32_e32 v16, s30, v16
	v_and_b32_e32 v19, v19, v17
	v_and_b32_e32 v209, v209, v16
	v_lshlrev_b32_e32 v17, 29, v18
	v_mov_b32_e32 v16, v15
	v_cmp_gt_i64_e64 s[30:31], 0, v[16:17]
	v_not_b32_e32 v16, v17
	v_ashrrev_i32_e32 v16, 31, v16
	v_xor_b32_e32 v17, s31, v16
	v_xor_b32_e32 v16, s30, v16
	v_and_b32_e32 v19, v19, v17
	v_and_b32_e32 v209, v209, v16
	;; [unrolled: 9-line block ×7, first 2 shown]
	v_mbcnt_lo_u32_b32 v18, v16, 0
	v_mbcnt_hi_u32_b32 v59, v17, v18
	v_cmp_eq_u32_e64 s[30:31], 0, v59
	v_cmp_ne_u64_e64 s[36:37], 0, v[16:17]
	s_and_b64 s[36:37], s[36:37], s[30:31]
	; wave barrier
	s_and_saveexec_b64 s[30:31], s[36:37]
	s_cbranch_execz .LBB1015_90
; %bb.89:                               ;   in Loop: Header=BB1015_56 Depth=1
	v_bcnt_u32_b32 v16, v16, 0
	v_bcnt_u32_b32 v16, v17, v16
	s_waitcnt vmcnt(0) lgkmcnt(0)
	v_add_u32_e32 v16, v58, v16
	flat_store_dword v[198:199], v16
.LBB1015_90:                            ;   in Loop: Header=BB1015_56 Depth=1
	s_or_b64 exec, exec, s[30:31]
	; wave barrier
	s_waitcnt lgkmcnt(0)
	s_barrier
	flat_load_dwordx4 v[16:19], v[32:33] offset:16
	s_waitcnt vmcnt(0) lgkmcnt(0)
	v_add_u32_e32 v209, v17, v16
	v_add3_u32 v19, v209, v18, v19
	s_nop 1
	v_mov_b32_dpp v209, v19 row_shr:1 row_mask:0xf bank_mask:0xf
	v_cndmask_b32_e64 v209, v209, 0, vcc
	v_add_u32_e32 v19, v209, v19
	s_nop 1
	v_mov_b32_dpp v209, v19 row_shr:2 row_mask:0xf bank_mask:0xf
	v_cndmask_b32_e64 v209, 0, v209, s[4:5]
	v_add_u32_e32 v19, v19, v209
	s_nop 1
	v_mov_b32_dpp v209, v19 row_shr:4 row_mask:0xf bank_mask:0xf
	v_cndmask_b32_e64 v209, 0, v209, s[6:7]
	;; [unrolled: 4-line block ×3, first 2 shown]
	v_add_u32_e32 v19, v19, v209
	s_nop 1
	v_mov_b32_dpp v209, v19 row_bcast:15 row_mask:0xf bank_mask:0xf
	v_cndmask_b32_e64 v209, v209, 0, s[34:35]
	v_add_u32_e32 v19, v19, v209
	s_nop 1
	v_mov_b32_dpp v209, v19 row_bcast:31 row_mask:0xf bank_mask:0xf
	v_cndmask_b32_e64 v209, 0, v209, s[14:15]
	v_add_u32_e32 v19, v19, v209
	s_and_saveexec_b64 s[30:31], s[16:17]
	s_cbranch_execz .LBB1015_92
; %bb.91:                               ;   in Loop: Header=BB1015_56 Depth=1
	flat_store_dword v[52:53], v19
.LBB1015_92:                            ;   in Loop: Header=BB1015_56 Depth=1
	s_or_b64 exec, exec, s[30:31]
	s_waitcnt lgkmcnt(0)
	s_barrier
	s_and_saveexec_b64 s[30:31], s[18:19]
	s_cbranch_execz .LBB1015_94
; %bb.93:                               ;   in Loop: Header=BB1015_56 Depth=1
	flat_load_dword v209, v[64:65]
	s_waitcnt vmcnt(0) lgkmcnt(0)
	s_nop 0
	v_mov_b32_dpp v211, v209 row_shr:1 row_mask:0xf bank_mask:0xf
	v_cndmask_b32_e64 v211, v211, 0, s[26:27]
	v_add_u32_e32 v209, v211, v209
	s_nop 1
	v_mov_b32_dpp v211, v209 row_shr:2 row_mask:0xf bank_mask:0xf
	v_cndmask_b32_e64 v211, 0, v211, s[28:29]
	v_add_u32_e32 v209, v209, v211
	flat_store_dword v[64:65], v209
.LBB1015_94:                            ;   in Loop: Header=BB1015_56 Depth=1
	s_or_b64 exec, exec, s[30:31]
	v_mov_b32_e32 v209, 0
	s_waitcnt lgkmcnt(0)
	s_barrier
	s_and_saveexec_b64 s[30:31], s[20:21]
	s_cbranch_execz .LBB1015_96
; %bb.95:                               ;   in Loop: Header=BB1015_56 Depth=1
	flat_load_dword v209, v[80:81]
.LBB1015_96:                            ;   in Loop: Header=BB1015_56 Depth=1
	s_or_b64 exec, exec, s[30:31]
	s_waitcnt vmcnt(0) lgkmcnt(0)
	v_add_u32_e32 v19, v209, v19
	ds_bpermute_b32 v19, v108, v19
	v_mov_b32_e32 v211, v15
	v_mov_b32_e32 v213, v15
	;; [unrolled: 1-line block ×3, first 2 shown]
	v_add_u32_e32 v10, 8, v10
	s_waitcnt lgkmcnt(0)
	v_cndmask_b32_e64 v19, v19, v209, s[22:23]
	v_cndmask_b32_e64 v60, v19, 0, s[24:25]
	v_add_u32_e32 v61, v60, v16
	v_add_u32_e32 v62, v61, v17
	;; [unrolled: 1-line block ×3, first 2 shown]
	flat_store_dwordx4 v[32:33], v[60:63] offset:16
	s_waitcnt lgkmcnt(0)
	s_barrier
	flat_load_dword v16, v[134:135]
	flat_load_dword v17, v[144:145]
	flat_load_dword v18, v[146:147]
	flat_load_dword v19, v[148:149]
	s_nop 0
	flat_load_dword v134, v[150:151]
	flat_load_dword v135, v[160:161]
	;; [unrolled: 1-line block ×8, first 2 shown]
	s_nop 0
	flat_load_dword v150, v[182:183]
	flat_load_dword v151, v[192:193]
	;; [unrolled: 1-line block ×5, first 2 shown]
	v_mov_b32_e32 v183, v15
	v_mov_b32_e32 v195, v15
	;; [unrolled: 1-line block ×9, first 2 shown]
	v_cmp_lt_u32_e64 s[30:31], v10, v11
	s_mov_b64 s[40:41], -1
	s_waitcnt lgkmcnt(0)
                                        ; implicit-def: $vgpr198_vgpr199
                                        ; implicit-def: $agpr0_agpr1
                                        ; implicit-def: $agpr2_agpr3
                                        ; implicit-def: $vgpr143
                                        ; implicit-def: $vgpr152
                                        ; implicit-def: $vgpr153
                                        ; implicit-def: $vgpr154
                                        ; implicit-def: $vgpr155
                                        ; implicit-def: $vgpr156
                                        ; implicit-def: $vgpr157
                                        ; implicit-def: $vgpr158
                                        ; implicit-def: $vgpr159
                                        ; implicit-def: $vgpr168
                                        ; implicit-def: $vgpr169
                                        ; implicit-def: $vgpr170
                                        ; implicit-def: $vgpr171
                                        ; implicit-def: $vgpr172
                                        ; implicit-def: $vgpr173
                                        ; implicit-def: $vgpr174
                                        ; implicit-def: $vgpr175
	s_waitcnt vmcnt(0) lgkmcnt(0)
	v_add_u32_e32 v14, v16, v14
	v_add3_u32 v182, v210, v208, v17
	v_lshlrev_b64 v[16:17], 1, v[14:15]
	v_add3_u32 v194, v214, v212, v18
	v_add3_u32 v196, v224, v215, v19
	v_lshlrev_b64 v[18:19], 1, v[182:183]
	v_add3_u32 v208, v227, v226, v134
	;; [unrolled: 3-line block ×3, first 2 shown]
	v_add3_u32 v224, v241, v240, v145
	v_add3_u32 v180, v41, v40, v149
	v_add_co_u32_e64 v40, s[36:37], v12, v16
	v_addc_co_u32_e64 v41, s[36:37], v13, v17, s[36:37]
	v_add3_u32 v178, v43, v42, v150
	v_add_co_u32_e64 v42, s[36:37], v12, v18
	v_addc_co_u32_e64 v43, s[36:37], v13, v19, s[36:37]
	v_add3_u32 v176, v45, v44, v151
	v_add_co_u32_e64 v44, s[36:37], v12, v134
	v_lshlrev_b64 v[144:145], 1, v[196:197]
	v_addc_co_u32_e64 v45, s[36:37], v13, v135, s[36:37]
	v_add3_u32 v164, v47, v46, v160
	v_add_co_u32_e64 v46, s[36:37], v12, v144
	v_add3_u32 v226, v243, v242, v146
	v_add3_u32 v214, v245, v244, v147
	v_lshlrev_b64 v[146:147], 1, v[208:209]
	v_addc_co_u32_e64 v47, s[36:37], v13, v145, s[36:37]
	v_add3_u32 v162, v57, v56, v161
	v_add_co_u32_e64 v56, s[36:37], v12, v146
	v_add3_u32 v192, v247, v246, v148
	v_lshlrev_b64 v[148:149], 1, v[210:211]
	v_addc_co_u32_e64 v57, s[36:37], v13, v147, s[36:37]
	v_add3_u32 v160, v59, v58, v163
	v_add_co_u32_e64 v58, s[36:37], v12, v148
	v_lshlrev_b64 v[150:151], 1, v[212:213]
	v_addc_co_u32_e64 v59, s[36:37], v13, v149, s[36:37]
	v_add_co_u32_e64 v60, s[36:37], v12, v150
	v_lshlrev_b64 v[166:167], 1, v[224:225]
	v_addc_co_u32_e64 v61, s[36:37], v13, v151, s[36:37]
	v_add_co_u32_e64 v62, s[36:37], v12, v166
	v_mov_b32_e32 v227, v15
	v_addc_co_u32_e64 v63, s[36:37], v13, v167, s[36:37]
	v_lshlrev_b64 v[16:17], 1, v[226:227]
	v_add_co_u32_e64 v72, s[36:37], v12, v16
	v_mov_b32_e32 v215, v15
	v_addc_co_u32_e64 v73, s[36:37], v13, v17, s[36:37]
	v_lshlrev_b64 v[16:17], 1, v[214:215]
	v_add_co_u32_e64 v74, s[36:37], v12, v16
	v_addc_co_u32_e64 v75, s[36:37], v13, v17, s[36:37]
	v_lshlrev_b64 v[16:17], 1, v[192:193]
	v_add_co_u32_e64 v76, s[36:37], v12, v16
	;; [unrolled: 3-line block ×6, first 2 shown]
	v_mov_b32_e32 v163, v15
	v_addc_co_u32_e64 v93, s[36:37], v13, v17, s[36:37]
	v_lshlrev_b64 v[16:17], 1, v[162:163]
	v_add_co_u32_e64 v94, s[36:37], v12, v16
	v_mov_b32_e32 v161, v15
	v_addc_co_u32_e64 v95, s[36:37], v13, v17, s[36:37]
	v_lshlrev_b64 v[16:17], 1, v[160:161]
	v_add_co_u32_e64 v104, s[36:37], v12, v16
	v_addc_co_u32_e64 v105, s[36:37], v13, v17, s[36:37]
                                        ; implicit-def: $vgpr16_vgpr17
                                        ; implicit-def: $vgpr18_vgpr19
                                        ; implicit-def: $vgpr134_vgpr135
                                        ; implicit-def: $vgpr144_vgpr145
                                        ; implicit-def: $vgpr146_vgpr147
                                        ; implicit-def: $vgpr148_vgpr149
                                        ; implicit-def: $vgpr150_vgpr151
                                        ; implicit-def: $vgpr166_vgpr167
                                        ; implicit-def: $vgpr228_vgpr229
                                        ; implicit-def: $vgpr230_vgpr231
                                        ; implicit-def: $vgpr240_vgpr241
                                        ; implicit-def: $vgpr242_vgpr243
                                        ; implicit-def: $vgpr244_vgpr245
                                        ; implicit-def: $vgpr246_vgpr247
	s_and_saveexec_b64 s[36:37], s[30:31]
	s_cbranch_execz .LBB1015_55
; %bb.97:                               ;   in Loop: Header=BB1015_56 Depth=1
	v_mad_u64_u32 v[16:17], s[30:31], v14, 6, v[40:41]
	s_barrier
	flat_store_short v[40:41], v142
	flat_store_short v[42:43], v141
	;; [unrolled: 1-line block ×17, first 2 shown]
	s_waitcnt lgkmcnt(0)
	s_barrier
	flat_load_ushort v143, v[84:85]
	flat_load_ushort v152, v[84:85] offset:128
	flat_load_ushort v153, v[84:85] offset:256
	;; [unrolled: 1-line block ×16, first 2 shown]
	s_waitcnt lgkmcnt(0)
	s_barrier
	flat_store_dwordx2 v[16:17], v[98:99]
	v_mad_u64_u32 v[16:17], s[30:31], v182, 6, v[42:43]
	flat_store_dwordx2 v[16:17], v[86:87]
	v_mad_u64_u32 v[16:17], s[30:31], v194, 6, v[44:45]
	;; [unrolled: 2-line block ×16, first 2 shown]
	flat_store_dwordx2 v[16:17], v[4:5]
	s_waitcnt lgkmcnt(0)
	s_barrier
	flat_load_dwordx2 v[16:17], v[96:97]
	flat_load_dwordx2 v[18:19], v[96:97] offset:512
	flat_load_dwordx2 v[134:135], v[96:97] offset:1024
	;; [unrolled: 1-line block ×7, first 2 shown]
	flat_load_dwordx2 v[198:199], v[100:101]
	flat_load_dwordx2 v[228:229], v[102:103]
	flat_load_dwordx2 v[230:231], v[112:113]
	flat_load_dwordx2 v[240:241], v[114:115]
	flat_load_dwordx2 v[242:243], v[116:117]
	flat_load_dwordx2 v[244:245], v[118:119]
	flat_load_dwordx2 v[246:247], v[128:129]
	flat_load_dwordx2 a[0:1], v[130:131]
	flat_load_dwordx2 a[2:3], v[132:133]
	v_add_u32_e32 v109, -8, v109
	s_xor_b64 s[40:41], exec, -1
	s_waitcnt lgkmcnt(0)
	s_barrier
	s_branch .LBB1015_55
.LBB1015_98:
	s_or_b64 exec, exec, s[38:39]
	v_lshlrev_b32_e32 v1, 1, v22
	v_add_co_u32_e32 v10, vcc, v12, v1
	v_or_b32_e32 v1, 0x800, v22
	v_addc_co_u32_e32 v11, vcc, 0, v13, vcc
	s_waitcnt vmcnt(0)
	v_lshlrev_b32_e32 v16, 1, v1
	v_add_co_u32_e32 v16, vcc, v12, v16
	v_addc_co_u32_e32 v17, vcc, 0, v13, vcc
	s_movk_i32 s4, 0x1000
	s_barrier
	flat_store_short v[40:41], v142
	flat_store_short v[42:43], v141
	;; [unrolled: 1-line block ×17, first 2 shown]
	s_waitcnt lgkmcnt(0)
	s_barrier
	flat_load_ushort v116, v[10:11]
	flat_load_ushort v115, v[10:11] offset:512
	flat_load_ushort v114, v[10:11] offset:1024
	;; [unrolled: 1-line block ×7, first 2 shown]
	v_add_co_u32_e32 v10, vcc, s4, v10
	v_or_b32_e32 v23, 0xc00, v22
	v_addc_co_u32_e32 v11, vcc, 0, v11, vcc
	v_lshlrev_b32_e32 v18, 1, v23
	v_add_co_u32_e32 v18, vcc, v12, v18
	v_or_b32_e32 v117, 0x1000, v22
	v_addc_co_u32_e32 v19, vcc, 0, v13, vcc
	flat_load_ushort v101, v[16:17]
	flat_load_ushort v97, v[10:11] offset:512
	flat_load_ushort v96, v[10:11] offset:1024
	;; [unrolled: 1-line block ×5, first 2 shown]
	flat_load_ushort v84, v[18:19]
	flat_load_ushort v65, v[10:11] offset:3584
	v_lshlrev_b32_e32 v10, 1, v117
	v_add_co_u32_e32 v10, vcc, v12, v10
	v_addc_co_u32_e32 v11, vcc, 0, v13, vcc
	flat_load_ushort v64, v[10:11]
	v_lshlrev_b64 v[10:11], 3, v[14:15]
	v_add_co_u32_e32 v10, vcc, v12, v10
	v_addc_co_u32_e32 v11, vcc, v13, v11, vcc
	s_waitcnt lgkmcnt(0)
	s_barrier
	flat_store_dwordx2 v[10:11], v[98:99]
	v_lshlrev_b64 v[10:11], 3, v[182:183]
	v_add_co_u32_e32 v10, vcc, v12, v10
	v_addc_co_u32_e32 v11, vcc, v13, v11, vcc
	flat_store_dwordx2 v[10:11], v[86:87]
	v_lshlrev_b64 v[10:11], 3, v[194:195]
	v_add_co_u32_e32 v10, vcc, v12, v10
	v_addc_co_u32_e32 v11, vcc, v13, v11, vcc
	;; [unrolled: 4-line block ×16, first 2 shown]
	flat_store_dwordx2 v[10:11], v[4:5]
	v_lshlrev_b32_e32 v4, 3, v22
	v_add_co_u32_e32 v4, vcc, v12, v4
	v_addc_co_u32_e32 v5, vcc, 0, v13, vcc
	v_add_co_u32_e32 v10, vcc, s4, v4
	s_waitcnt lgkmcnt(0)
	s_barrier
	v_addc_co_u32_e32 v11, vcc, 0, v5, vcc
	flat_load_dwordx2 v[52:53], v[4:5]
	flat_load_dwordx2 v[50:51], v[4:5] offset:2048
	flat_load_dwordx2 v[48:49], v[10:11]
	flat_load_dwordx2 v[36:37], v[10:11] offset:2048
	v_mov_b32_e32 v10, 0x2000
	v_lshl_or_b32 v10, v22, 3, v10
	v_add_co_u32_e32 v10, vcc, v12, v10
	s_movk_i32 s4, 0x2000
	v_addc_co_u32_e32 v11, vcc, 0, v13, vcc
	v_add_co_u32_e32 v14, vcc, s4, v4
	v_addc_co_u32_e32 v15, vcc, 0, v5, vcc
	s_movk_i32 s4, 0x3000
	v_add_co_u32_e32 v16, vcc, s4, v4
	v_addc_co_u32_e32 v17, vcc, 0, v5, vcc
	v_lshlrev_b32_e32 v1, 3, v1
	flat_load_dwordx2 v[38:39], v[10:11]
	flat_load_dwordx2 v[34:35], v[14:15] offset:2048
	flat_load_dwordx2 v[32:33], v[16:17]
	flat_load_dwordx2 v[28:29], v[16:17] offset:2048
	v_add_co_u32_e32 v10, vcc, v12, v1
	v_addc_co_u32_e32 v11, vcc, 0, v13, vcc
	s_movk_i32 s4, 0x4000
	v_add_co_u32_e32 v14, vcc, s4, v4
	v_addc_co_u32_e32 v15, vcc, 0, v5, vcc
	s_movk_i32 s4, 0x5000
	v_add_co_u32_e32 v16, vcc, s4, v4
	v_addc_co_u32_e32 v17, vcc, 0, v5, vcc
	v_lshlrev_b32_e32 v1, 3, v23
	v_add_co_u32_e32 v54, vcc, v12, v1
	v_addc_co_u32_e32 v55, vcc, 0, v13, vcc
	s_movk_i32 s4, 0x6000
	v_add_co_u32_e32 v66, vcc, s4, v4
	v_addc_co_u32_e32 v67, vcc, 0, v5, vcc
	s_movk_i32 s4, 0x7000
	v_add_co_u32_e32 v4, vcc, s4, v4
	v_addc_co_u32_e32 v5, vcc, 0, v5, vcc
	v_lshlrev_b32_e32 v1, 3, v117
	flat_load_dwordx2 v[30:31], v[10:11]
	flat_load_dwordx2 v[26:27], v[14:15] offset:2048
	flat_load_dwordx2 v[24:25], v[16:17]
	flat_load_dwordx2 v[18:19], v[16:17] offset:2048
	flat_load_dwordx2 v[22:23], v[54:55]
	s_nop 0
	flat_load_dwordx2 v[16:17], v[66:67] offset:2048
	flat_load_dwordx2 v[14:15], v[4:5]
	flat_load_dwordx2 v[10:11], v[4:5] offset:2048
	v_add_co_u32_e32 v4, vcc, v12, v1
	v_addc_co_u32_e32 v5, vcc, 0, v13, vcc
	flat_load_dwordx2 v[4:5], v[4:5]
	v_mov_b32_e32 v1, 0
	v_add_co_u32_e32 v12, vcc, v2, v20
	v_addc_co_u32_e32 v13, vcc, v3, v21, vcc
	v_lshlrev_b64 v[2:3], 1, v[0:1]
	v_add_co_u32_e32 v2, vcc, v12, v2
	v_addc_co_u32_e32 v3, vcc, v13, v3, vcc
	v_cmp_lt_u32_e64 s[20:21], v0, v106
	s_waitcnt lgkmcnt(0)
	s_barrier
	s_and_saveexec_b64 s[4:5], s[20:21]
	s_cbranch_execz .LBB1015_100
; %bb.99:
	s_waitcnt vmcnt(0)
	v_xor_b32_e32 v12, 0xffff8000, v116
	flat_store_short v[2:3], v12
.LBB1015_100:
	s_or_b64 exec, exec, s[4:5]
	v_add_u32_e32 v12, 0x100, v0
	v_cmp_lt_u32_e64 s[26:27], v12, v106
	s_and_saveexec_b64 s[4:5], s[26:27]
	s_cbranch_execz .LBB1015_102
; %bb.101:
	s_waitcnt vmcnt(0)
	v_xor_b32_e32 v12, 0xffff8000, v115
	flat_store_short v[2:3], v12 offset:512
.LBB1015_102:
	s_or_b64 exec, exec, s[4:5]
	v_add_u32_e32 v12, 0x200, v0
	v_cmp_lt_u32_e64 s[34:35], v12, v106
	s_and_saveexec_b64 s[4:5], s[34:35]
	s_cbranch_execz .LBB1015_104
; %bb.103:
	s_waitcnt vmcnt(0)
	v_xor_b32_e32 v12, 0xffff8000, v114
	flat_store_short v[2:3], v12 offset:1024
.LBB1015_104:
	;; [unrolled: 10-line block ×7, first 2 shown]
	s_or_b64 exec, exec, s[4:5]
	v_add_u32_e32 v12, 0x800, v0
	v_cmp_lt_u32_e64 s[4:5], v12, v106
	s_and_saveexec_b64 s[10:11], s[4:5]
	s_cbranch_execz .LBB1015_116
; %bb.115:
	v_add_co_u32_e32 v12, vcc, 0x1000, v2
	s_waitcnt vmcnt(0)
	v_xor_b32_e32 v20, 0xffff8000, v101
	v_addc_co_u32_e32 v13, vcc, 0, v3, vcc
	flat_store_short v[12:13], v20
.LBB1015_116:
	s_or_b64 exec, exec, s[10:11]
	v_add_u32_e32 v12, 0x900, v0
	v_cmp_lt_u32_e64 s[10:11], v12, v106
	s_and_saveexec_b64 s[14:15], s[10:11]
	s_cbranch_execz .LBB1015_118
; %bb.117:
	v_add_co_u32_e32 v12, vcc, 0x1000, v2
	s_waitcnt vmcnt(0)
	v_xor_b32_e32 v20, 0xffff8000, v97
	v_addc_co_u32_e32 v13, vcc, 0, v3, vcc
	flat_store_short v[12:13], v20 offset:512
.LBB1015_118:
	s_or_b64 exec, exec, s[14:15]
	v_add_u32_e32 v12, 0xa00, v0
	v_cmp_lt_u32_e64 s[14:15], v12, v106
	s_and_saveexec_b64 s[18:19], s[14:15]
	s_cbranch_execz .LBB1015_120
; %bb.119:
	v_add_co_u32_e32 v12, vcc, 0x1000, v2
	s_waitcnt vmcnt(0)
	v_xor_b32_e32 v20, 0xffff8000, v96
	v_addc_co_u32_e32 v13, vcc, 0, v3, vcc
	flat_store_short v[12:13], v20 offset:1024
.LBB1015_120:
	;; [unrolled: 12-line block ×7, first 2 shown]
	s_or_b64 exec, exec, s[40:41]
	v_add_u32_e32 v12, 0x1000, v0
	v_cmp_lt_u32_e64 s[40:41], v12, v106
	s_and_saveexec_b64 s[48:49], s[40:41]
	s_cbranch_execz .LBB1015_132
; %bb.131:
	v_add_co_u32_e32 v2, vcc, 0x2000, v2
	s_waitcnt vmcnt(0)
	v_xor_b32_e32 v12, 0xffff8000, v64
	v_addc_co_u32_e32 v3, vcc, 0, v3, vcc
	flat_store_short v[2:3], v12
.LBB1015_132:
	s_or_b64 exec, exec, s[48:49]
	v_add_co_u32_e32 v2, vcc, v6, v8
	v_addc_co_u32_e32 v3, vcc, v7, v9, vcc
	v_lshlrev_b64 v[0:1], 3, v[0:1]
	v_add_co_u32_e32 v0, vcc, v2, v0
	v_addc_co_u32_e32 v1, vcc, v3, v1, vcc
	s_and_saveexec_b64 vcc, s[20:21]
	s_cbranch_execnz .LBB1015_220
; %bb.133:
	s_or_b64 exec, exec, vcc
	s_and_saveexec_b64 s[20:21], s[26:27]
	s_cbranch_execnz .LBB1015_221
.LBB1015_134:
	s_or_b64 exec, exec, s[20:21]
	s_and_saveexec_b64 s[20:21], s[34:35]
	s_cbranch_execnz .LBB1015_222
.LBB1015_135:
	s_or_b64 exec, exec, s[20:21]
	s_and_saveexec_b64 s[20:21], s[28:29]
	s_cbranch_execnz .LBB1015_223
.LBB1015_136:
	s_or_b64 exec, exec, s[20:21]
	s_and_saveexec_b64 s[20:21], s[22:23]
	s_cbranch_execnz .LBB1015_224
.LBB1015_137:
	s_or_b64 exec, exec, s[20:21]
	s_and_saveexec_b64 s[20:21], s[16:17]
	s_cbranch_execnz .LBB1015_225
.LBB1015_138:
	s_or_b64 exec, exec, s[20:21]
	s_and_saveexec_b64 s[16:17], s[42:43]
	s_cbranch_execnz .LBB1015_226
.LBB1015_139:
	s_or_b64 exec, exec, s[16:17]
	s_and_saveexec_b64 s[16:17], s[6:7]
	s_cbranch_execnz .LBB1015_227
.LBB1015_140:
	s_or_b64 exec, exec, s[16:17]
	s_and_saveexec_b64 s[6:7], s[4:5]
	s_cbranch_execnz .LBB1015_228
.LBB1015_141:
	s_or_b64 exec, exec, s[6:7]
	s_and_saveexec_b64 s[4:5], s[10:11]
	s_cbranch_execnz .LBB1015_229
.LBB1015_142:
	s_or_b64 exec, exec, s[4:5]
	s_and_saveexec_b64 s[4:5], s[14:15]
	s_cbranch_execnz .LBB1015_230
.LBB1015_143:
	s_or_b64 exec, exec, s[4:5]
	s_and_saveexec_b64 s[4:5], s[18:19]
	s_cbranch_execnz .LBB1015_231
.LBB1015_144:
	s_or_b64 exec, exec, s[4:5]
	s_and_saveexec_b64 s[4:5], s[24:25]
	s_cbranch_execnz .LBB1015_232
.LBB1015_145:
	s_or_b64 exec, exec, s[4:5]
	s_and_saveexec_b64 s[4:5], s[30:31]
	s_cbranch_execnz .LBB1015_233
.LBB1015_146:
	s_or_b64 exec, exec, s[4:5]
	s_and_saveexec_b64 s[4:5], s[36:37]
	s_cbranch_execnz .LBB1015_234
.LBB1015_147:
	s_or_b64 exec, exec, s[4:5]
	s_and_saveexec_b64 s[4:5], s[38:39]
	s_cbranch_execnz .LBB1015_235
.LBB1015_148:
	s_or_b64 exec, exec, s[4:5]
	s_and_saveexec_b64 s[4:5], s[40:41]
	s_cbranch_execz .LBB1015_150
.LBB1015_149:
	v_add_co_u32_e32 v0, vcc, 0x8000, v0
	v_addc_co_u32_e32 v1, vcc, 0, v1, vcc
	s_waitcnt vmcnt(0)
	flat_store_dwordx2 v[0:1], v[4:5]
.LBB1015_150:
	s_or_b64 exec, exec, s[4:5]
                                        ; implicit-def: $vgpr106
                                        ; implicit-def: $vgpr0
                                        ; implicit-def: $vgpr1
                                        ; implicit-def: $vgpr2
                                        ; implicit-def: $vgpr3
                                        ; implicit-def: $vgpr4
                                        ; implicit-def: $vgpr5
                                        ; implicit-def: $vgpr6
                                        ; implicit-def: $vgpr7
                                        ; implicit-def: $vgpr8
                                        ; implicit-def: $vgpr10
                                        ; implicit-def: $vgpr11
                                        ; implicit-def: $vgpr12
                                        ; implicit-def: $vgpr13
                                        ; implicit-def: $vgpr31
                                        ; implicit-def: $vgpr14
                                        ; implicit-def: $vgpr16
                                        ; implicit-def: $vgpr15
.LBB1015_151:
	s_andn2_saveexec_b64 s[4:5], s[46:47]
	s_cbranch_execz .LBB1015_382
; %bb.152:
	s_movk_i32 s4, 0x400
	v_cmp_lt_u32_e32 vcc, s4, v106
	s_and_saveexec_b64 s[4:5], vcc
	s_xor_b64 s[38:39], exec, s[4:5]
	s_cbranch_execz .LBB1015_262
; %bb.153:
	s_load_dwordx2 s[4:5], s[8:9], 0x0
	v_mov_b32_e32 v9, 0
	s_waitcnt vmcnt(0)
	v_mbcnt_hi_u32_b32 v32, -1, v15
	v_lshlrev_b64 v[22:23], 1, v[8:9]
	v_and_b32_e32 v34, 63, v32
	s_waitcnt lgkmcnt(0)
	s_cmp_lt_u32 s12, s4
	s_cselect_b32 s6, 12, 18
	s_cmp_lt_u32 s13, s5
	s_cselect_b32 s4, 14, 20
	s_add_u32 s4, s8, s4
	s_addc_u32 s5, s9, 0
	s_add_u32 s6, s8, s6
	global_load_ushort v17, v9, s[4:5]
	s_addc_u32 s7, s9, 0
	global_load_ushort v18, v9, s[6:7]
	v_add_co_u32_e32 v0, vcc, v0, v22
	v_addc_co_u32_e32 v1, vcc, v1, v23, vcc
	v_lshlrev_b32_e32 v15, 1, v34
	v_and_b32_e32 v24, 0x3ff, v31
	v_add_co_u32_e32 v20, vcc, v0, v15
	v_addc_co_u32_e32 v21, vcc, 0, v1, vcc
	v_mov_b32_e32 v19, v9
	s_mov_b32 s4, 0x7fff7fff
	s_mov_b32 s6, s4
	;; [unrolled: 1-line block ×4, first 2 shown]
	s_waitcnt vmcnt(1)
	v_mad_u32_u24 v0, v16, v17, v14
	s_waitcnt vmcnt(0)
	v_mad_u64_u32 v[0:1], s[10:11], v0, v18, v[24:25]
	v_lshlrev_b32_e32 v1, 3, v0
	v_and_b32_e32 v18, 0xfffffe00, v1
	v_lshlrev_b64 v[14:15], 1, v[18:19]
	v_add_co_u32_e32 v20, vcc, v20, v14
	v_or_b32_e32 v1, v18, v34
	v_addc_co_u32_e32 v21, vcc, v21, v15, vcc
	v_pk_mov_b32 v[16:17], s[6:7], s[6:7] op_sel:[0,1]
	v_cmp_lt_u32_e32 vcc, v1, v106
	v_pk_mov_b32 v[14:15], s[4:5], s[4:5] op_sel:[0,1]
	s_and_saveexec_b64 s[4:5], vcc
	s_cbranch_execz .LBB1015_155
; %bb.154:
	flat_load_ushort v14, v[20:21]
	s_movk_i32 s6, 0x7fff
	v_mov_b32_e32 v17, 0x5040100
	v_mov_b32_e32 v15, 0x7fff7fff
	;; [unrolled: 1-line block ×3, first 2 shown]
	s_waitcnt vmcnt(0) lgkmcnt(0)
	v_perm_b32 v14, s6, v14, v17
	v_mov_b32_e32 v17, v15
.LBB1015_155:
	s_or_b64 exec, exec, s[4:5]
	v_or_b32_e32 v25, 64, v1
	v_cmp_lt_u32_e64 s[4:5], v25, v106
	s_and_saveexec_b64 s[6:7], s[4:5]
	s_cbranch_execz .LBB1015_157
; %bb.156:
	flat_load_ushort v25, v[20:21] offset:128
	s_mov_b32 s10, 0x5040100
	s_waitcnt vmcnt(0) lgkmcnt(0)
	v_perm_b32 v14, v25, v14, s10
.LBB1015_157:
	s_or_b64 exec, exec, s[6:7]
	v_or_b32_e32 v25, 0x80, v1
	v_cmp_lt_u32_e64 s[6:7], v25, v106
	s_and_saveexec_b64 s[10:11], s[6:7]
	s_cbranch_execz .LBB1015_159
; %bb.158:
	flat_load_ushort v25, v[20:21] offset:256
	s_mov_b32 s14, 0xffff
	s_waitcnt vmcnt(0) lgkmcnt(0)
	v_bfi_b32 v15, s14, v25, v15
.LBB1015_159:
	s_or_b64 exec, exec, s[10:11]
	v_or_b32_e32 v25, 0xc0, v1
	v_cmp_lt_u32_e64 s[10:11], v25, v106
	s_and_saveexec_b64 s[14:15], s[10:11]
	s_cbranch_execz .LBB1015_161
; %bb.160:
	flat_load_ushort v25, v[20:21] offset:384
	s_mov_b32 s16, 0x5040100
	s_waitcnt vmcnt(0) lgkmcnt(0)
	v_perm_b32 v15, v25, v15, s16
.LBB1015_161:
	s_or_b64 exec, exec, s[14:15]
	v_or_b32_e32 v25, 0x100, v1
	v_cmp_lt_u32_e64 s[20:21], v25, v106
	s_and_saveexec_b64 s[14:15], s[20:21]
	s_cbranch_execz .LBB1015_163
; %bb.162:
	flat_load_ushort v25, v[20:21] offset:512
	s_mov_b32 s16, 0xffff
	s_waitcnt vmcnt(0) lgkmcnt(0)
	v_bfi_b32 v16, s16, v25, v16
.LBB1015_163:
	;; [unrolled: 22-line block ×3, first 2 shown]
	s_or_b64 exec, exec, s[18:19]
	v_or_b32_e32 v1, 0x1c0, v1
	v_cmp_lt_u32_e64 s[18:19], v1, v106
	s_and_saveexec_b64 s[22:23], s[18:19]
	s_cbranch_execz .LBB1015_169
; %bb.168:
	flat_load_ushort v1, v[20:21] offset:896
	s_mov_b32 s24, 0x5040100
	s_waitcnt vmcnt(0) lgkmcnt(0)
	v_perm_b32 v17, v1, v17, s24
.LBB1015_169:
	s_or_b64 exec, exec, s[22:23]
	v_lshlrev_b64 v[8:9], 3, v[8:9]
	v_add_co_u32_e64 v1, s[22:23], v4, v8
	v_addc_co_u32_e64 v4, s[22:23], v5, v9, s[22:23]
	v_lshlrev_b32_e32 v5, 3, v34
	v_add_co_u32_e64 v1, s[22:23], v1, v5
	v_addc_co_u32_e64 v20, s[22:23], 0, v4, s[22:23]
	v_lshlrev_b64 v[4:5], 3, v[18:19]
	v_add_co_u32_e64 v4, s[22:23], v1, v4
	v_addc_co_u32_e64 v5, s[22:23], v20, v5, s[22:23]
                                        ; implicit-def: $vgpr18_vgpr19
	s_and_saveexec_b64 s[22:23], vcc
	s_cbranch_execnz .LBB1015_295
; %bb.170:
	s_or_b64 exec, exec, s[22:23]
                                        ; implicit-def: $vgpr20_vgpr21
	s_and_saveexec_b64 s[22:23], s[4:5]
	s_cbranch_execnz .LBB1015_296
.LBB1015_171:
	s_or_b64 exec, exec, s[22:23]
                                        ; implicit-def: $vgpr70_vgpr71
	s_and_saveexec_b64 s[4:5], s[6:7]
	s_cbranch_execnz .LBB1015_297
.LBB1015_172:
	s_or_b64 exec, exec, s[4:5]
                                        ; implicit-def: $vgpr84_vgpr85
	s_and_saveexec_b64 s[4:5], s[10:11]
	s_cbranch_execnz .LBB1015_298
.LBB1015_173:
	s_or_b64 exec, exec, s[4:5]
                                        ; implicit-def: $vgpr100_vgpr101
	s_and_saveexec_b64 s[4:5], s[20:21]
	s_cbranch_execnz .LBB1015_299
.LBB1015_174:
	s_or_b64 exec, exec, s[4:5]
                                        ; implicit-def: $vgpr114_vgpr115
	s_and_saveexec_b64 s[4:5], s[14:15]
	s_cbranch_execnz .LBB1015_300
.LBB1015_175:
	s_or_b64 exec, exec, s[4:5]
                                        ; implicit-def: $vgpr116_vgpr117
	s_and_saveexec_b64 s[4:5], s[16:17]
	s_cbranch_execnz .LBB1015_301
.LBB1015_176:
	s_or_b64 exec, exec, s[4:5]
                                        ; implicit-def: $vgpr118_vgpr119
	s_and_saveexec_b64 s[4:5], s[18:19]
	s_cbranch_execz .LBB1015_178
.LBB1015_177:
	flat_load_dwordx2 v[118:119], v[4:5] offset:3584
.LBB1015_178:
	s_or_b64 exec, exec, s[4:5]
	v_xor_b32_e32 v83, 0x80008000, v16
	v_add_co_u32_e32 v1, vcc, 16, v12
	v_and_b32_e32 v16, 0x3c0, v24
	v_xor_b32_e32 v81, 0x80008000, v15
	v_addc_co_u32_e32 v25, vcc, 0, v13, vcc
	v_lshlrev_b32_e32 v15, 4, v24
	v_min_u32_e32 v16, 0xc0, v16
	v_add_co_u32_e32 v26, vcc, v12, v15
	v_or_b32_e32 v16, 63, v16
	v_xor_b32_e32 v87, 0x80008000, v17
	s_getpc_b64 s[4:5]
	s_add_u32 s4, s4, _ZN7rocprim17ROCPRIM_400000_NS16block_radix_sortIsLj256ELj8ElLj1ELj1ELj8ELNS0_26block_radix_rank_algorithmE2ELNS0_18block_padding_hintE2ELNS0_4arch9wavefront6targetE1EE19radix_bits_per_passE@rel32@lo+4
	s_addc_u32 s5, s5, _ZN7rocprim17ROCPRIM_400000_NS16block_radix_sortIsLj256ELj8ElLj1ELj1ELj8ELNS0_26block_radix_rank_algorithmE2ELNS0_18block_padding_hintE2ELNS0_4arch9wavefront6targetE1EE19radix_bits_per_passE@rel32@hi+12
	v_addc_co_u32_e32 v27, vcc, 0, v13, vcc
	v_and_b32_e32 v15, 15, v32
	v_cmp_eq_u32_e64 s[16:17], v16, v24
	v_add_u32_e32 v16, -1, v32
	v_and_b32_e32 v17, 64, v32
	s_load_dword s46, s[4:5], 0x0
	v_cmp_eq_u32_e32 vcc, 0, v15
	v_cmp_lt_u32_e64 s[4:5], 1, v15
	v_cmp_lt_u32_e64 s[6:7], 3, v15
	;; [unrolled: 1-line block ×3, first 2 shown]
	v_and_b32_e32 v15, 16, v32
	v_cmp_lt_i32_e64 s[22:23], v16, v17
	v_cmp_eq_u32_e64 s[30:31], 0, v15
	v_lshrrev_b32_e32 v15, 6, v24
	v_cndmask_b32_e64 v16, v16, v32, s[22:23]
	v_lshlrev_b32_e32 v161, 2, v16
	v_lshlrev_b32_e32 v16, 2, v15
	v_add_co_u32_e64 v28, s[26:27], v12, v16
	v_lshlrev_b32_e32 v4, 2, v24
	v_addc_co_u32_e64 v29, s[26:27], 0, v13, s[26:27]
	v_add_co_u32_e64 v30, s[26:27], v12, v4
	v_addc_co_u32_e64 v31, s[26:27], 0, v13, s[26:27]
	v_and_b32_e32 v4, 3, v32
	v_mov_b32_e32 v5, 0
	v_cmp_eq_u32_e64 s[26:27], 0, v4
	v_cmp_lt_u32_e64 s[28:29], 1, v4
	v_add_u32_e32 v4, -1, v15
	v_lshlrev_b64 v[16:17], 2, v[4:5]
	v_cmp_lt_u32_e64 s[14:15], 31, v32
	v_cmp_eq_u32_e64 s[22:23], 0, v32
	v_add_co_u32_e64 v32, s[34:35], v12, v16
	v_addc_co_u32_e64 v33, s[34:35], v13, v17, s[34:35]
	v_lshlrev_b32_e32 v4, 3, v24
	s_movk_i32 s34, 0x1e00
	v_and_or_b32 v4, v4, s34, v34
	v_lshlrev_b32_e32 v15, 1, v4
	v_add_co_u32_e64 v64, s[34:35], v12, v15
	v_addc_co_u32_e64 v65, s[34:35], 0, v13, s[34:35]
	v_lshrrev_b32_e32 v160, 6, v0
	v_cmp_gt_u32_e64 s[18:19], 4, v24
	v_cmp_lt_u32_e64 s[20:21], 63, v24
	v_cmp_eq_u32_e64 s[24:25], 0, v24
	v_mad_u64_u32 v[68:69], s[34:35], v4, 6, v[64:65]
	v_xor_b32_e32 v166, 0x80008000, v14
	v_sub_u32_e32 v162, v11, v10
	s_mov_b64 s[40:41], 0
	s_mov_b32 s47, 0x5040100
	v_mov_b32_e32 v14, v5
	v_mov_b32_e32 v15, v5
	;; [unrolled: 1-line block ×4, first 2 shown]
	s_waitcnt lgkmcnt(0)
	s_barrier
	s_branch .LBB1015_180
.LBB1015_179:                           ;   in Loop: Header=BB1015_180 Depth=1
	s_or_b64 exec, exec, s[36:37]
	s_and_b64 s[34:35], exec, s[42:43]
	s_or_b64 s[40:41], s[34:35], s[40:41]
	s_andn2_b64 exec, exec, s[40:41]
	s_cbranch_execz .LBB1015_236
.LBB1015_180:                           ; =>This Inner Loop Header: Depth=1
	v_min_u32_e32 v4, s46, v162
	v_lshlrev_b32_e64 v4, v4, -1
	s_waitcnt vmcnt(0)
	v_pk_mov_b32 v[54:55], v[20:21], v[20:21] op_sel:[0,1]
	v_not_b32_e32 v20, v4
	v_lshrrev_b32_sdwa v4, v10, v166 dst_sel:DWORD dst_unused:UNUSED_PAD src0_sel:DWORD src1_sel:WORD_0
	v_and_b32_e32 v4, v4, v20
	v_pk_mov_b32 v[66:67], v[18:19], v[18:19] op_sel:[0,1]
	v_lshlrev_b32_e32 v18, 2, v4
	v_add_lshl_u32 v18, v18, v160, 2
	v_pk_mov_b32 v[52:53], v[70:71], v[70:71] op_sel:[0,1]
	v_add_co_u32_e64 v70, s[34:35], v1, v18
	v_addc_co_u32_e64 v71, s[34:35], 0, v25, s[34:35]
	v_and_b32_e32 v18, 1, v4
	v_add_co_u32_e64 v19, s[34:35], -1, v18
	v_addc_co_u32_e64 v21, s[34:35], 0, -1, s[34:35]
	v_cmp_ne_u32_e64 s[34:35], 0, v18
	v_xor_b32_e32 v18, s35, v21
	v_xor_b32_e32 v19, s34, v19
	v_and_b32_e32 v21, exec_hi, v18
	v_and_b32_e32 v80, exec_lo, v19
	v_lshlrev_b32_e32 v19, 30, v4
	v_mov_b32_e32 v18, v5
	v_cmp_gt_i64_e64 s[34:35], 0, v[18:19]
	v_not_b32_e32 v18, v19
	v_ashrrev_i32_e32 v18, 31, v18
	v_xor_b32_e32 v19, s35, v18
	v_xor_b32_e32 v18, s34, v18
	v_and_b32_e32 v21, v21, v19
	v_and_b32_e32 v80, v80, v18
	v_lshlrev_b32_e32 v19, 29, v4
	v_mov_b32_e32 v18, v5
	v_cmp_gt_i64_e64 s[34:35], 0, v[18:19]
	v_not_b32_e32 v18, v19
	v_ashrrev_i32_e32 v18, 31, v18
	v_xor_b32_e32 v19, s35, v18
	v_xor_b32_e32 v18, s34, v18
	v_and_b32_e32 v21, v21, v19
	v_and_b32_e32 v80, v80, v18
	;; [unrolled: 9-line block ×5, first 2 shown]
	v_lshlrev_b32_e32 v19, 25, v4
	v_mov_b32_e32 v18, v5
	v_cmp_gt_i64_e64 s[34:35], 0, v[18:19]
	v_not_b32_e32 v18, v19
	v_ashrrev_i32_e32 v18, 31, v18
	v_xor_b32_e32 v19, s35, v18
	v_xor_b32_e32 v18, s34, v18
	v_and_b32_e32 v21, v21, v19
	v_lshlrev_b32_e32 v19, 24, v4
	v_and_b32_e32 v80, v80, v18
	v_mov_b32_e32 v18, v5
	v_not_b32_e32 v4, v19
	v_cmp_gt_i64_e64 s[34:35], 0, v[18:19]
	v_ashrrev_i32_e32 v4, 31, v4
	v_xor_b32_e32 v18, s35, v4
	v_xor_b32_e32 v4, s34, v4
	v_and_b32_e32 v19, v21, v18
	v_and_b32_e32 v18, v80, v4
	v_mbcnt_lo_u32_b32 v4, v18, 0
	v_mbcnt_hi_u32_b32 v4, v19, v4
	v_cmp_eq_u32_e64 s[34:35], 0, v4
	v_cmp_ne_u64_e64 s[36:37], 0, v[18:19]
	v_mov_b32_e32 v163, v87
	v_mov_b32_e32 v164, v83
	;; [unrolled: 1-line block ×3, first 2 shown]
	v_pk_mov_b32 v[50:51], v[84:85], v[84:85] op_sel:[0,1]
	v_pk_mov_b32 v[48:49], v[100:101], v[100:101] op_sel:[0,1]
	;; [unrolled: 1-line block ×5, first 2 shown]
	s_and_b64 s[36:37], s[36:37], s[34:35]
	flat_store_dwordx4 v[26:27], v[14:17] offset:16
	s_waitcnt lgkmcnt(0)
	s_barrier
	s_waitcnt lgkmcnt(0)
	; wave barrier
	s_and_saveexec_b64 s[34:35], s[36:37]
	s_cbranch_execz .LBB1015_182
; %bb.181:                              ;   in Loop: Header=BB1015_180 Depth=1
	v_bcnt_u32_b32 v18, v18, 0
	v_bcnt_u32_b32 v18, v19, v18
	flat_store_dword v[70:71], v18
.LBB1015_182:                           ;   in Loop: Header=BB1015_180 Depth=1
	s_or_b64 exec, exec, s[34:35]
	v_lshrrev_b32_e32 v167, 16, v166
	v_lshrrev_b32_e32 v18, v10, v167
	v_and_b32_e32 v21, v18, v20
	v_lshlrev_b32_e32 v18, 2, v21
	v_add_lshl_u32 v18, v18, v160, 2
	v_add_co_u32_e64 v80, s[34:35], v1, v18
	v_addc_co_u32_e64 v81, s[34:35], 0, v25, s[34:35]
	; wave barrier
	flat_load_dword v102, v[80:81]
	v_and_b32_e32 v18, 1, v21
	v_add_co_u32_e64 v19, s[34:35], -1, v18
	v_addc_co_u32_e64 v82, s[34:35], 0, -1, s[34:35]
	v_cmp_ne_u32_e64 s[34:35], 0, v18
	v_xor_b32_e32 v18, s35, v82
	v_xor_b32_e32 v19, s34, v19
	v_and_b32_e32 v82, exec_hi, v18
	v_and_b32_e32 v83, exec_lo, v19
	v_lshlrev_b32_e32 v19, 30, v21
	v_mov_b32_e32 v18, v5
	v_cmp_gt_i64_e64 s[34:35], 0, v[18:19]
	v_not_b32_e32 v18, v19
	v_ashrrev_i32_e32 v18, 31, v18
	v_xor_b32_e32 v19, s35, v18
	v_xor_b32_e32 v18, s34, v18
	v_and_b32_e32 v82, v82, v19
	v_and_b32_e32 v83, v83, v18
	v_lshlrev_b32_e32 v19, 29, v21
	v_mov_b32_e32 v18, v5
	v_cmp_gt_i64_e64 s[34:35], 0, v[18:19]
	v_not_b32_e32 v18, v19
	v_ashrrev_i32_e32 v18, 31, v18
	v_xor_b32_e32 v19, s35, v18
	v_xor_b32_e32 v18, s34, v18
	v_and_b32_e32 v82, v82, v19
	v_and_b32_e32 v83, v83, v18
	;; [unrolled: 9-line block ×7, first 2 shown]
	v_mbcnt_lo_u32_b32 v21, v18, 0
	v_mbcnt_hi_u32_b32 v112, v19, v21
	v_cmp_eq_u32_e64 s[34:35], 0, v112
	v_cmp_ne_u64_e64 s[36:37], 0, v[18:19]
	s_and_b64 s[36:37], s[36:37], s[34:35]
	; wave barrier
	s_and_saveexec_b64 s[34:35], s[36:37]
	s_cbranch_execz .LBB1015_184
; %bb.183:                              ;   in Loop: Header=BB1015_180 Depth=1
	v_bcnt_u32_b32 v18, v18, 0
	v_bcnt_u32_b32 v18, v19, v18
	s_waitcnt vmcnt(0) lgkmcnt(0)
	v_add_u32_e32 v18, v102, v18
	flat_store_dword v[80:81], v18
.LBB1015_184:                           ;   in Loop: Header=BB1015_180 Depth=1
	s_or_b64 exec, exec, s[34:35]
	v_lshrrev_b32_sdwa v18, v10, v165 dst_sel:DWORD dst_unused:UNUSED_PAD src0_sel:DWORD src1_sel:WORD_0
	v_and_b32_e32 v21, v18, v20
	v_lshlrev_b32_e32 v18, 2, v21
	v_add_lshl_u32 v18, v18, v160, 2
	v_add_co_u32_e64 v82, s[34:35], v1, v18
	v_addc_co_u32_e64 v83, s[34:35], 0, v25, s[34:35]
	; wave barrier
	flat_load_dword v114, v[82:83]
	v_and_b32_e32 v18, 1, v21
	v_add_co_u32_e64 v19, s[34:35], -1, v18
	v_addc_co_u32_e64 v84, s[34:35], 0, -1, s[34:35]
	v_cmp_ne_u32_e64 s[34:35], 0, v18
	v_xor_b32_e32 v18, s35, v84
	v_xor_b32_e32 v19, s34, v19
	v_and_b32_e32 v84, exec_hi, v18
	v_and_b32_e32 v85, exec_lo, v19
	v_lshlrev_b32_e32 v19, 30, v21
	v_mov_b32_e32 v18, v5
	v_cmp_gt_i64_e64 s[34:35], 0, v[18:19]
	v_not_b32_e32 v18, v19
	v_ashrrev_i32_e32 v18, 31, v18
	v_xor_b32_e32 v19, s35, v18
	v_xor_b32_e32 v18, s34, v18
	v_and_b32_e32 v84, v84, v19
	v_and_b32_e32 v85, v85, v18
	v_lshlrev_b32_e32 v19, 29, v21
	v_mov_b32_e32 v18, v5
	v_cmp_gt_i64_e64 s[34:35], 0, v[18:19]
	v_not_b32_e32 v18, v19
	v_ashrrev_i32_e32 v18, 31, v18
	v_xor_b32_e32 v19, s35, v18
	v_xor_b32_e32 v18, s34, v18
	v_and_b32_e32 v84, v84, v19
	v_and_b32_e32 v85, v85, v18
	;; [unrolled: 9-line block ×7, first 2 shown]
	v_mbcnt_lo_u32_b32 v21, v18, 0
	v_mbcnt_hi_u32_b32 v115, v19, v21
	v_cmp_eq_u32_e64 s[34:35], 0, v115
	v_cmp_ne_u64_e64 s[36:37], 0, v[18:19]
	s_and_b64 s[36:37], s[36:37], s[34:35]
	; wave barrier
	s_and_saveexec_b64 s[34:35], s[36:37]
	s_cbranch_execz .LBB1015_186
; %bb.185:                              ;   in Loop: Header=BB1015_180 Depth=1
	v_bcnt_u32_b32 v18, v18, 0
	v_bcnt_u32_b32 v18, v19, v18
	s_waitcnt vmcnt(0) lgkmcnt(0)
	v_add_u32_e32 v18, v114, v18
	flat_store_dword v[82:83], v18
.LBB1015_186:                           ;   in Loop: Header=BB1015_180 Depth=1
	s_or_b64 exec, exec, s[34:35]
	v_lshrrev_b32_e32 v176, 16, v165
	v_lshrrev_b32_e32 v18, v10, v176
	v_and_b32_e32 v21, v18, v20
	v_lshlrev_b32_e32 v18, 2, v21
	v_add_lshl_u32 v18, v18, v160, 2
	v_add_co_u32_e64 v84, s[34:35], v1, v18
	v_addc_co_u32_e64 v85, s[34:35], 0, v25, s[34:35]
	; wave barrier
	flat_load_dword v116, v[84:85]
	v_and_b32_e32 v18, 1, v21
	v_add_co_u32_e64 v19, s[34:35], -1, v18
	v_addc_co_u32_e64 v86, s[34:35], 0, -1, s[34:35]
	v_cmp_ne_u32_e64 s[34:35], 0, v18
	v_xor_b32_e32 v18, s35, v86
	v_xor_b32_e32 v19, s34, v19
	v_and_b32_e32 v86, exec_hi, v18
	v_and_b32_e32 v87, exec_lo, v19
	v_lshlrev_b32_e32 v19, 30, v21
	v_mov_b32_e32 v18, v5
	v_cmp_gt_i64_e64 s[34:35], 0, v[18:19]
	v_not_b32_e32 v18, v19
	v_ashrrev_i32_e32 v18, 31, v18
	v_xor_b32_e32 v19, s35, v18
	v_xor_b32_e32 v18, s34, v18
	v_and_b32_e32 v86, v86, v19
	v_and_b32_e32 v87, v87, v18
	v_lshlrev_b32_e32 v19, 29, v21
	v_mov_b32_e32 v18, v5
	v_cmp_gt_i64_e64 s[34:35], 0, v[18:19]
	v_not_b32_e32 v18, v19
	v_ashrrev_i32_e32 v18, 31, v18
	v_xor_b32_e32 v19, s35, v18
	v_xor_b32_e32 v18, s34, v18
	v_and_b32_e32 v86, v86, v19
	v_and_b32_e32 v87, v87, v18
	;; [unrolled: 9-line block ×7, first 2 shown]
	v_mbcnt_lo_u32_b32 v21, v18, 0
	v_mbcnt_hi_u32_b32 v117, v19, v21
	v_cmp_eq_u32_e64 s[34:35], 0, v117
	v_cmp_ne_u64_e64 s[36:37], 0, v[18:19]
	s_and_b64 s[36:37], s[36:37], s[34:35]
	; wave barrier
	s_and_saveexec_b64 s[34:35], s[36:37]
	s_cbranch_execz .LBB1015_188
; %bb.187:                              ;   in Loop: Header=BB1015_180 Depth=1
	v_bcnt_u32_b32 v18, v18, 0
	v_bcnt_u32_b32 v18, v19, v18
	s_waitcnt vmcnt(0) lgkmcnt(0)
	v_add_u32_e32 v18, v116, v18
	flat_store_dword v[84:85], v18
.LBB1015_188:                           ;   in Loop: Header=BB1015_180 Depth=1
	s_or_b64 exec, exec, s[34:35]
	v_lshrrev_b32_sdwa v18, v10, v164 dst_sel:DWORD dst_unused:UNUSED_PAD src0_sel:DWORD src1_sel:WORD_0
	v_and_b32_e32 v21, v18, v20
	v_lshlrev_b32_e32 v18, 2, v21
	v_add_lshl_u32 v18, v18, v160, 2
	v_add_co_u32_e64 v86, s[34:35], v1, v18
	v_addc_co_u32_e64 v87, s[34:35], 0, v25, s[34:35]
	; wave barrier
	flat_load_dword v118, v[86:87]
	v_and_b32_e32 v18, 1, v21
	v_add_co_u32_e64 v19, s[34:35], -1, v18
	v_addc_co_u32_e64 v96, s[34:35], 0, -1, s[34:35]
	v_cmp_ne_u32_e64 s[34:35], 0, v18
	v_xor_b32_e32 v18, s35, v96
	v_xor_b32_e32 v19, s34, v19
	v_and_b32_e32 v96, exec_hi, v18
	v_and_b32_e32 v97, exec_lo, v19
	v_lshlrev_b32_e32 v19, 30, v21
	v_mov_b32_e32 v18, v5
	v_cmp_gt_i64_e64 s[34:35], 0, v[18:19]
	v_not_b32_e32 v18, v19
	v_ashrrev_i32_e32 v18, 31, v18
	v_xor_b32_e32 v19, s35, v18
	v_xor_b32_e32 v18, s34, v18
	v_and_b32_e32 v96, v96, v19
	v_and_b32_e32 v97, v97, v18
	v_lshlrev_b32_e32 v19, 29, v21
	v_mov_b32_e32 v18, v5
	v_cmp_gt_i64_e64 s[34:35], 0, v[18:19]
	v_not_b32_e32 v18, v19
	v_ashrrev_i32_e32 v18, 31, v18
	v_xor_b32_e32 v19, s35, v18
	v_xor_b32_e32 v18, s34, v18
	v_and_b32_e32 v96, v96, v19
	v_and_b32_e32 v97, v97, v18
	;; [unrolled: 9-line block ×7, first 2 shown]
	v_mbcnt_lo_u32_b32 v21, v18, 0
	v_mbcnt_hi_u32_b32 v119, v19, v21
	v_cmp_eq_u32_e64 s[34:35], 0, v119
	v_cmp_ne_u64_e64 s[36:37], 0, v[18:19]
	s_and_b64 s[36:37], s[36:37], s[34:35]
	; wave barrier
	s_and_saveexec_b64 s[34:35], s[36:37]
	s_cbranch_execz .LBB1015_190
; %bb.189:                              ;   in Loop: Header=BB1015_180 Depth=1
	v_bcnt_u32_b32 v18, v18, 0
	v_bcnt_u32_b32 v18, v19, v18
	s_waitcnt vmcnt(0) lgkmcnt(0)
	v_add_u32_e32 v18, v118, v18
	flat_store_dword v[86:87], v18
.LBB1015_190:                           ;   in Loop: Header=BB1015_180 Depth=1
	s_or_b64 exec, exec, s[34:35]
	v_lshrrev_b32_e32 v177, 16, v164
	v_lshrrev_b32_e32 v18, v10, v177
	v_and_b32_e32 v21, v18, v20
	v_lshlrev_b32_e32 v18, 2, v21
	v_add_lshl_u32 v18, v18, v160, 2
	v_add_co_u32_e64 v96, s[34:35], v1, v18
	v_addc_co_u32_e64 v97, s[34:35], 0, v25, s[34:35]
	; wave barrier
	flat_load_dword v128, v[96:97]
	v_and_b32_e32 v18, 1, v21
	v_add_co_u32_e64 v19, s[34:35], -1, v18
	v_addc_co_u32_e64 v98, s[34:35], 0, -1, s[34:35]
	v_cmp_ne_u32_e64 s[34:35], 0, v18
	v_xor_b32_e32 v18, s35, v98
	v_xor_b32_e32 v19, s34, v19
	v_and_b32_e32 v98, exec_hi, v18
	v_and_b32_e32 v99, exec_lo, v19
	v_lshlrev_b32_e32 v19, 30, v21
	v_mov_b32_e32 v18, v5
	v_cmp_gt_i64_e64 s[34:35], 0, v[18:19]
	v_not_b32_e32 v18, v19
	v_ashrrev_i32_e32 v18, 31, v18
	v_xor_b32_e32 v19, s35, v18
	v_xor_b32_e32 v18, s34, v18
	v_and_b32_e32 v98, v98, v19
	v_and_b32_e32 v99, v99, v18
	v_lshlrev_b32_e32 v19, 29, v21
	v_mov_b32_e32 v18, v5
	v_cmp_gt_i64_e64 s[34:35], 0, v[18:19]
	v_not_b32_e32 v18, v19
	v_ashrrev_i32_e32 v18, 31, v18
	v_xor_b32_e32 v19, s35, v18
	v_xor_b32_e32 v18, s34, v18
	v_and_b32_e32 v98, v98, v19
	v_and_b32_e32 v99, v99, v18
	;; [unrolled: 9-line block ×7, first 2 shown]
	v_mbcnt_lo_u32_b32 v21, v18, 0
	v_mbcnt_hi_u32_b32 v129, v19, v21
	v_cmp_eq_u32_e64 s[34:35], 0, v129
	v_cmp_ne_u64_e64 s[36:37], 0, v[18:19]
	s_and_b64 s[36:37], s[36:37], s[34:35]
	; wave barrier
	s_and_saveexec_b64 s[34:35], s[36:37]
	s_cbranch_execz .LBB1015_192
; %bb.191:                              ;   in Loop: Header=BB1015_180 Depth=1
	v_bcnt_u32_b32 v18, v18, 0
	v_bcnt_u32_b32 v18, v19, v18
	s_waitcnt vmcnt(0) lgkmcnt(0)
	v_add_u32_e32 v18, v128, v18
	flat_store_dword v[96:97], v18
.LBB1015_192:                           ;   in Loop: Header=BB1015_180 Depth=1
	s_or_b64 exec, exec, s[34:35]
	v_lshrrev_b32_sdwa v18, v10, v163 dst_sel:DWORD dst_unused:UNUSED_PAD src0_sel:DWORD src1_sel:WORD_0
	v_and_b32_e32 v21, v18, v20
	v_lshlrev_b32_e32 v18, 2, v21
	v_add_lshl_u32 v18, v18, v160, 2
	v_add_co_u32_e64 v98, s[34:35], v1, v18
	v_addc_co_u32_e64 v99, s[34:35], 0, v25, s[34:35]
	; wave barrier
	flat_load_dword v130, v[98:99]
	v_and_b32_e32 v18, 1, v21
	v_add_co_u32_e64 v19, s[34:35], -1, v18
	v_addc_co_u32_e64 v100, s[34:35], 0, -1, s[34:35]
	v_cmp_ne_u32_e64 s[34:35], 0, v18
	v_xor_b32_e32 v18, s35, v100
	v_xor_b32_e32 v19, s34, v19
	v_and_b32_e32 v100, exec_hi, v18
	v_and_b32_e32 v101, exec_lo, v19
	v_lshlrev_b32_e32 v19, 30, v21
	v_mov_b32_e32 v18, v5
	v_cmp_gt_i64_e64 s[34:35], 0, v[18:19]
	v_not_b32_e32 v18, v19
	v_ashrrev_i32_e32 v18, 31, v18
	v_xor_b32_e32 v19, s35, v18
	v_xor_b32_e32 v18, s34, v18
	v_and_b32_e32 v100, v100, v19
	v_and_b32_e32 v101, v101, v18
	v_lshlrev_b32_e32 v19, 29, v21
	v_mov_b32_e32 v18, v5
	v_cmp_gt_i64_e64 s[34:35], 0, v[18:19]
	v_not_b32_e32 v18, v19
	v_ashrrev_i32_e32 v18, 31, v18
	v_xor_b32_e32 v19, s35, v18
	v_xor_b32_e32 v18, s34, v18
	v_and_b32_e32 v100, v100, v19
	v_and_b32_e32 v101, v101, v18
	;; [unrolled: 9-line block ×7, first 2 shown]
	v_mbcnt_lo_u32_b32 v21, v18, 0
	v_mbcnt_hi_u32_b32 v131, v19, v21
	v_cmp_eq_u32_e64 s[34:35], 0, v131
	v_cmp_ne_u64_e64 s[36:37], 0, v[18:19]
	s_and_b64 s[36:37], s[36:37], s[34:35]
	; wave barrier
	s_and_saveexec_b64 s[34:35], s[36:37]
	s_cbranch_execz .LBB1015_194
; %bb.193:                              ;   in Loop: Header=BB1015_180 Depth=1
	v_bcnt_u32_b32 v18, v18, 0
	v_bcnt_u32_b32 v18, v19, v18
	s_waitcnt vmcnt(0) lgkmcnt(0)
	v_add_u32_e32 v18, v130, v18
	flat_store_dword v[98:99], v18
.LBB1015_194:                           ;   in Loop: Header=BB1015_180 Depth=1
	s_or_b64 exec, exec, s[34:35]
	v_lshrrev_b32_e32 v178, 16, v163
	v_lshrrev_b32_e32 v18, v10, v178
	v_and_b32_e32 v20, v18, v20
	v_lshlrev_b32_e32 v18, 2, v20
	v_add_lshl_u32 v18, v18, v160, 2
	v_add_co_u32_e64 v100, s[34:35], v1, v18
	v_addc_co_u32_e64 v101, s[34:35], 0, v25, s[34:35]
	; wave barrier
	flat_load_dword v132, v[100:101]
	v_and_b32_e32 v18, 1, v20
	v_add_co_u32_e64 v19, s[34:35], -1, v18
	v_addc_co_u32_e64 v21, s[34:35], 0, -1, s[34:35]
	v_cmp_ne_u32_e64 s[34:35], 0, v18
	v_xor_b32_e32 v18, s35, v21
	v_xor_b32_e32 v19, s34, v19
	v_and_b32_e32 v21, exec_hi, v18
	v_and_b32_e32 v103, exec_lo, v19
	v_lshlrev_b32_e32 v19, 30, v20
	v_mov_b32_e32 v18, v5
	v_cmp_gt_i64_e64 s[34:35], 0, v[18:19]
	v_not_b32_e32 v18, v19
	v_ashrrev_i32_e32 v18, 31, v18
	v_xor_b32_e32 v19, s35, v18
	v_xor_b32_e32 v18, s34, v18
	v_and_b32_e32 v21, v21, v19
	v_and_b32_e32 v103, v103, v18
	v_lshlrev_b32_e32 v19, 29, v20
	v_mov_b32_e32 v18, v5
	v_cmp_gt_i64_e64 s[34:35], 0, v[18:19]
	v_not_b32_e32 v18, v19
	v_ashrrev_i32_e32 v18, 31, v18
	v_xor_b32_e32 v19, s35, v18
	v_xor_b32_e32 v18, s34, v18
	v_and_b32_e32 v21, v21, v19
	v_and_b32_e32 v103, v103, v18
	v_lshlrev_b32_e32 v19, 28, v20
	v_mov_b32_e32 v18, v5
	v_cmp_gt_i64_e64 s[34:35], 0, v[18:19]
	v_not_b32_e32 v18, v19
	v_ashrrev_i32_e32 v18, 31, v18
	v_xor_b32_e32 v19, s35, v18
	v_xor_b32_e32 v18, s34, v18
	v_and_b32_e32 v21, v21, v19
	v_and_b32_e32 v103, v103, v18
	v_lshlrev_b32_e32 v19, 27, v20
	v_mov_b32_e32 v18, v5
	v_cmp_gt_i64_e64 s[34:35], 0, v[18:19]
	v_not_b32_e32 v18, v19
	v_ashrrev_i32_e32 v18, 31, v18
	v_xor_b32_e32 v19, s35, v18
	v_xor_b32_e32 v18, s34, v18
	v_and_b32_e32 v21, v21, v19
	v_and_b32_e32 v103, v103, v18
	v_lshlrev_b32_e32 v19, 26, v20
	v_mov_b32_e32 v18, v5
	v_cmp_gt_i64_e64 s[34:35], 0, v[18:19]
	v_not_b32_e32 v18, v19
	v_ashrrev_i32_e32 v18, 31, v18
	v_xor_b32_e32 v19, s35, v18
	v_xor_b32_e32 v18, s34, v18
	v_and_b32_e32 v21, v21, v19
	v_and_b32_e32 v103, v103, v18
	v_lshlrev_b32_e32 v19, 25, v20
	v_mov_b32_e32 v18, v5
	v_cmp_gt_i64_e64 s[34:35], 0, v[18:19]
	v_not_b32_e32 v18, v19
	v_ashrrev_i32_e32 v18, 31, v18
	v_xor_b32_e32 v19, s35, v18
	v_xor_b32_e32 v18, s34, v18
	v_and_b32_e32 v21, v21, v19
	v_and_b32_e32 v103, v103, v18
	v_lshlrev_b32_e32 v19, 24, v20
	v_mov_b32_e32 v18, v5
	v_cmp_gt_i64_e64 s[34:35], 0, v[18:19]
	v_not_b32_e32 v18, v19
	v_ashrrev_i32_e32 v18, 31, v18
	v_xor_b32_e32 v19, s35, v18
	v_xor_b32_e32 v18, s34, v18
	v_and_b32_e32 v18, v103, v18
	v_and_b32_e32 v19, v21, v19
	v_mbcnt_lo_u32_b32 v20, v18, 0
	v_mbcnt_hi_u32_b32 v133, v19, v20
	v_cmp_eq_u32_e64 s[34:35], 0, v133
	v_cmp_ne_u64_e64 s[36:37], 0, v[18:19]
	s_and_b64 s[36:37], s[36:37], s[34:35]
	; wave barrier
	s_and_saveexec_b64 s[34:35], s[36:37]
	s_cbranch_execz .LBB1015_196
; %bb.195:                              ;   in Loop: Header=BB1015_180 Depth=1
	v_bcnt_u32_b32 v18, v18, 0
	v_bcnt_u32_b32 v18, v19, v18
	s_waitcnt vmcnt(0) lgkmcnt(0)
	v_add_u32_e32 v18, v132, v18
	flat_store_dword v[100:101], v18
.LBB1015_196:                           ;   in Loop: Header=BB1015_180 Depth=1
	s_or_b64 exec, exec, s[34:35]
	; wave barrier
	s_waitcnt lgkmcnt(0)
	s_barrier
	flat_load_dwordx4 v[18:21], v[26:27] offset:16
	s_waitcnt vmcnt(0) lgkmcnt(0)
	v_add_u32_e32 v103, v19, v18
	v_add3_u32 v21, v103, v20, v21
	s_nop 1
	v_mov_b32_dpp v103, v21 row_shr:1 row_mask:0xf bank_mask:0xf
	v_cndmask_b32_e64 v103, v103, 0, vcc
	v_add_u32_e32 v21, v103, v21
	s_nop 1
	v_mov_b32_dpp v103, v21 row_shr:2 row_mask:0xf bank_mask:0xf
	v_cndmask_b32_e64 v103, 0, v103, s[4:5]
	v_add_u32_e32 v21, v21, v103
	s_nop 1
	v_mov_b32_dpp v103, v21 row_shr:4 row_mask:0xf bank_mask:0xf
	v_cndmask_b32_e64 v103, 0, v103, s[6:7]
	;; [unrolled: 4-line block ×3, first 2 shown]
	v_add_u32_e32 v21, v21, v103
	s_nop 1
	v_mov_b32_dpp v103, v21 row_bcast:15 row_mask:0xf bank_mask:0xf
	v_cndmask_b32_e64 v103, v103, 0, s[30:31]
	v_add_u32_e32 v21, v21, v103
	s_nop 1
	v_mov_b32_dpp v103, v21 row_bcast:31 row_mask:0xf bank_mask:0xf
	v_cndmask_b32_e64 v103, 0, v103, s[14:15]
	v_add_u32_e32 v21, v21, v103
	s_and_saveexec_b64 s[34:35], s[16:17]
	s_cbranch_execz .LBB1015_198
; %bb.197:                              ;   in Loop: Header=BB1015_180 Depth=1
	flat_store_dword v[28:29], v21
.LBB1015_198:                           ;   in Loop: Header=BB1015_180 Depth=1
	s_or_b64 exec, exec, s[34:35]
	s_waitcnt lgkmcnt(0)
	s_barrier
	s_and_saveexec_b64 s[34:35], s[18:19]
	s_cbranch_execz .LBB1015_200
; %bb.199:                              ;   in Loop: Header=BB1015_180 Depth=1
	flat_load_dword v103, v[30:31]
	s_waitcnt vmcnt(0) lgkmcnt(0)
	s_nop 0
	v_mov_b32_dpp v113, v103 row_shr:1 row_mask:0xf bank_mask:0xf
	v_cndmask_b32_e64 v113, v113, 0, s[26:27]
	v_add_u32_e32 v103, v113, v103
	s_nop 1
	v_mov_b32_dpp v113, v103 row_shr:2 row_mask:0xf bank_mask:0xf
	v_cndmask_b32_e64 v113, 0, v113, s[28:29]
	v_add_u32_e32 v103, v103, v113
	flat_store_dword v[30:31], v103
.LBB1015_200:                           ;   in Loop: Header=BB1015_180 Depth=1
	s_or_b64 exec, exec, s[34:35]
	v_mov_b32_e32 v103, 0
	s_waitcnt lgkmcnt(0)
	s_barrier
	s_and_saveexec_b64 s[34:35], s[20:21]
	s_cbranch_execz .LBB1015_202
; %bb.201:                              ;   in Loop: Header=BB1015_180 Depth=1
	flat_load_dword v103, v[32:33]
.LBB1015_202:                           ;   in Loop: Header=BB1015_180 Depth=1
	s_or_b64 exec, exec, s[34:35]
	s_waitcnt vmcnt(0) lgkmcnt(0)
	v_add_u32_e32 v21, v103, v21
	ds_bpermute_b32 v21, v161, v21
	v_mov_b32_e32 v113, v5
	v_add_u32_e32 v10, 8, v10
	v_mov_b32_e32 v179, v166
	v_cmp_lt_u32_e64 s[34:35], v10, v11
	s_waitcnt lgkmcnt(0)
	v_cndmask_b32_e64 v21, v21, v103, s[22:23]
	v_cndmask_b32_e64 v144, v21, 0, s[24:25]
	v_add_u32_e32 v145, v144, v18
	v_add_u32_e32 v146, v145, v19
	v_add_u32_e32 v147, v146, v20
	flat_store_dwordx4 v[26:27], v[144:147] offset:16
	s_waitcnt lgkmcnt(0)
	s_barrier
	flat_load_dword v18, v[70:71]
	flat_load_dword v19, v[80:81]
	;; [unrolled: 1-line block ×8, first 2 shown]
	v_mov_b32_e32 v81, v5
	v_mov_b32_e32 v83, v5
	;; [unrolled: 1-line block ×6, first 2 shown]
	s_mov_b64 s[42:43], -1
	s_waitcnt vmcnt(0) lgkmcnt(0)
	v_add_u32_e32 v4, v18, v4
	v_add3_u32 v80, v112, v102, v19
	v_lshlrev_b64 v[18:19], 1, v[4:5]
	v_add3_u32 v82, v115, v114, v20
	v_add3_u32 v86, v117, v116, v21
	;; [unrolled: 1-line block ×3, first 2 shown]
	v_add_co_u32_e64 v128, s[36:37], v12, v18
	v_lshlrev_b64 v[20:21], 1, v[80:81]
	v_addc_co_u32_e64 v129, s[36:37], v13, v19, s[36:37]
	v_add3_u32 v102, v131, v130, v144
	v_add_co_u32_e64 v130, s[36:37], v12, v20
	v_lshlrev_b64 v[70:71], 1, v[82:83]
	v_addc_co_u32_e64 v131, s[36:37], v13, v21, s[36:37]
	v_add3_u32 v112, v133, v132, v145
	;; [unrolled: 4-line block ×3, first 2 shown]
	v_add_co_u32_e64 v134, s[36:37], v12, v84
	v_lshlrev_b64 v[100:101], 1, v[96:97]
	v_addc_co_u32_e64 v135, s[36:37], v13, v85, s[36:37]
	v_add_co_u32_e64 v144, s[36:37], v12, v100
	v_lshlrev_b64 v[114:115], 1, v[98:99]
	v_addc_co_u32_e64 v145, s[36:37], v13, v101, s[36:37]
	;; [unrolled: 3-line block ×4, first 2 shown]
	v_add_co_u32_e64 v150, s[36:37], v12, v118
	v_addc_co_u32_e64 v151, s[36:37], v13, v119, s[36:37]
                                        ; implicit-def: $vgpr87
                                        ; implicit-def: $vgpr83
                                        ; implicit-def: $vgpr81
                                        ; implicit-def: $vgpr18_vgpr19
                                        ; implicit-def: $vgpr20_vgpr21
                                        ; implicit-def: $vgpr70_vgpr71
                                        ; implicit-def: $vgpr84_vgpr85
                                        ; implicit-def: $vgpr100_vgpr101
                                        ; implicit-def: $vgpr114_vgpr115
                                        ; implicit-def: $vgpr116_vgpr117
                                        ; implicit-def: $vgpr118_vgpr119
	s_and_saveexec_b64 s[36:37], s[34:35]
	s_cbranch_execz .LBB1015_179
; %bb.203:                              ;   in Loop: Header=BB1015_180 Depth=1
	v_mad_u64_u32 v[18:19], s[34:35], v4, 6, v[128:129]
	s_barrier
	flat_store_short v[128:129], v166
	flat_store_short v[130:131], v167
	flat_store_short v[132:133], v165
	flat_store_short v[134:135], v176
	flat_store_short v[144:145], v164
	flat_store_short v[146:147], v177
	flat_store_short v[148:149], v163
	flat_store_short v[150:151], v178
	s_waitcnt lgkmcnt(0)
	s_barrier
	flat_load_ushort v81, v[64:65]
	flat_load_ushort v83, v[64:65] offset:128
	flat_load_ushort v87, v[64:65] offset:256
	;; [unrolled: 1-line block ×7, first 2 shown]
	s_waitcnt lgkmcnt(0)
	s_barrier
	flat_store_dwordx2 v[18:19], v[66:67]
	v_mad_u64_u32 v[18:19], s[34:35], v80, 6, v[130:131]
	flat_store_dwordx2 v[18:19], v[54:55]
	v_mad_u64_u32 v[18:19], s[34:35], v82, 6, v[132:133]
	flat_store_dwordx2 v[18:19], v[52:53]
	v_mad_u64_u32 v[18:19], s[34:35], v86, 6, v[134:135]
	flat_store_dwordx2 v[18:19], v[50:51]
	v_mad_u64_u32 v[18:19], s[34:35], v96, 6, v[144:145]
	flat_store_dwordx2 v[18:19], v[48:49]
	v_mad_u64_u32 v[18:19], s[34:35], v98, 6, v[146:147]
	flat_store_dwordx2 v[18:19], v[38:39]
	v_mad_u64_u32 v[18:19], s[34:35], v102, 6, v[148:149]
	flat_store_dwordx2 v[18:19], v[36:37]
	v_mad_u64_u32 v[18:19], s[34:35], v112, 6, v[150:151]
	flat_store_dwordx2 v[18:19], v[34:35]
	s_waitcnt lgkmcnt(0)
	s_barrier
	flat_load_dwordx2 v[18:19], v[68:69]
	flat_load_dwordx2 v[20:21], v[68:69] offset:512
	flat_load_dwordx2 v[70:71], v[68:69] offset:1024
	;; [unrolled: 1-line block ×7, first 2 shown]
	v_add_u32_e32 v162, -8, v162
	s_xor_b64 s[42:43], exec, -1
	s_waitcnt lgkmcnt(0)
	s_barrier
	s_waitcnt vmcnt(0)
	v_perm_b32 v166, v83, v81, s47
	v_perm_b32 v81, v97, v87, s47
	;; [unrolled: 1-line block ×4, first 2 shown]
	s_branch .LBB1015_179
.LBB1015_204:
	flat_load_dwordx2 v[16:17], v[4:5]
	s_or_b64 exec, exec, s[42:43]
                                        ; implicit-def: $vgpr18_vgpr19
	s_and_saveexec_b64 vcc, s[40:41]
	s_cbranch_execz .LBB1015_38
.LBB1015_205:
	flat_load_dwordx2 v[18:19], v[4:5] offset:512
	s_or_b64 exec, exec, vcc
                                        ; implicit-def: $vgpr134_vgpr135
	s_and_saveexec_b64 vcc, s[16:17]
	s_cbranch_execz .LBB1015_39
.LBB1015_206:
	flat_load_dwordx2 v[134:135], v[4:5] offset:1024
	s_or_b64 exec, exec, vcc
                                        ; implicit-def: $vgpr144_vgpr145
	s_and_saveexec_b64 s[16:17], s[20:21]
	s_cbranch_execz .LBB1015_40
.LBB1015_207:
	flat_load_dwordx2 v[144:145], v[4:5] offset:1536
	s_or_b64 exec, exec, s[16:17]
                                        ; implicit-def: $vgpr146_vgpr147
	s_and_saveexec_b64 s[16:17], s[22:23]
	s_cbranch_execz .LBB1015_41
.LBB1015_208:
	flat_load_dwordx2 v[146:147], v[4:5] offset:2048
	s_or_b64 exec, exec, s[16:17]
                                        ; implicit-def: $vgpr148_vgpr149
	s_and_saveexec_b64 s[16:17], s[26:27]
	s_cbranch_execz .LBB1015_42
.LBB1015_209:
	flat_load_dwordx2 v[148:149], v[4:5] offset:2560
	s_or_b64 exec, exec, s[16:17]
                                        ; implicit-def: $vgpr150_vgpr151
	s_and_saveexec_b64 s[16:17], s[30:31]
	s_cbranch_execz .LBB1015_43
.LBB1015_210:
	flat_load_dwordx2 v[150:151], v[4:5] offset:3072
	s_or_b64 exec, exec, s[16:17]
                                        ; implicit-def: $vgpr166_vgpr167
	s_and_saveexec_b64 s[16:17], s[36:37]
	s_cbranch_execz .LBB1015_44
.LBB1015_211:
	flat_load_dwordx2 v[166:167], v[4:5] offset:3584
	s_or_b64 exec, exec, s[16:17]
                                        ; implicit-def: $vgpr198_vgpr199
	s_and_saveexec_b64 s[16:17], s[38:39]
	s_cbranch_execz .LBB1015_45
.LBB1015_212:
	v_add_co_u32_e32 v14, vcc, 0x1000, v4
	v_addc_co_u32_e32 v15, vcc, 0, v5, vcc
	flat_load_dwordx2 v[198:199], v[14:15]
	s_or_b64 exec, exec, s[16:17]
                                        ; implicit-def: $vgpr228_vgpr229
	s_and_saveexec_b64 s[16:17], s[34:35]
	s_cbranch_execz .LBB1015_46
.LBB1015_213:
	v_add_co_u32_e32 v14, vcc, 0x1000, v4
	v_addc_co_u32_e32 v15, vcc, 0, v5, vcc
	flat_load_dwordx2 v[228:229], v[14:15] offset:512
	s_or_b64 exec, exec, s[16:17]
                                        ; implicit-def: $vgpr230_vgpr231
	s_and_saveexec_b64 s[16:17], s[28:29]
	s_cbranch_execz .LBB1015_47
.LBB1015_214:
	v_add_co_u32_e32 v14, vcc, 0x1000, v4
	v_addc_co_u32_e32 v15, vcc, 0, v5, vcc
	flat_load_dwordx2 v[230:231], v[14:15] offset:1024
	s_or_b64 exec, exec, s[16:17]
                                        ; implicit-def: $vgpr240_vgpr241
	s_and_saveexec_b64 s[16:17], s[24:25]
	s_cbranch_execz .LBB1015_48
.LBB1015_215:
	v_add_co_u32_e32 v14, vcc, 0x1000, v4
	v_addc_co_u32_e32 v15, vcc, 0, v5, vcc
	flat_load_dwordx2 v[240:241], v[14:15] offset:1536
	s_or_b64 exec, exec, s[16:17]
                                        ; implicit-def: $vgpr242_vgpr243
	s_and_saveexec_b64 s[16:17], s[18:19]
	s_cbranch_execz .LBB1015_49
.LBB1015_216:
	v_add_co_u32_e32 v14, vcc, 0x1000, v4
	v_addc_co_u32_e32 v15, vcc, 0, v5, vcc
	flat_load_dwordx2 v[242:243], v[14:15] offset:2048
	s_or_b64 exec, exec, s[16:17]
                                        ; implicit-def: $vgpr244_vgpr245
	s_and_saveexec_b64 s[16:17], s[14:15]
	s_cbranch_execz .LBB1015_50
.LBB1015_217:
	v_add_co_u32_e32 v14, vcc, 0x1000, v4
	v_addc_co_u32_e32 v15, vcc, 0, v5, vcc
	flat_load_dwordx2 v[244:245], v[14:15] offset:2560
	s_or_b64 exec, exec, s[16:17]
                                        ; implicit-def: $vgpr246_vgpr247
	s_and_saveexec_b64 s[14:15], s[10:11]
	s_cbranch_execz .LBB1015_51
.LBB1015_218:
	v_add_co_u32_e32 v14, vcc, 0x1000, v4
	v_addc_co_u32_e32 v15, vcc, 0, v5, vcc
	flat_load_dwordx2 v[246:247], v[14:15] offset:3072
	s_or_b64 exec, exec, s[14:15]
                                        ; implicit-def: $agpr0_agpr1
	s_and_saveexec_b64 s[10:11], s[6:7]
	s_cbranch_execz .LBB1015_52
.LBB1015_219:
	v_add_co_u32_e32 v14, vcc, 0x1000, v4
	v_addc_co_u32_e32 v15, vcc, 0, v5, vcc
	flat_load_dwordx2 a[0:1], v[14:15] offset:3584
	s_or_b64 exec, exec, s[10:11]
                                        ; implicit-def: $agpr2_agpr3
	s_and_saveexec_b64 s[6:7], s[4:5]
	s_cbranch_execnz .LBB1015_53
	s_branch .LBB1015_54
.LBB1015_220:
	s_waitcnt vmcnt(0)
	flat_store_dwordx2 v[0:1], v[52:53]
	s_or_b64 exec, exec, vcc
	s_and_saveexec_b64 s[20:21], s[26:27]
	s_cbranch_execz .LBB1015_134
.LBB1015_221:
	s_waitcnt vmcnt(0)
	flat_store_dwordx2 v[0:1], v[50:51] offset:2048
	s_or_b64 exec, exec, s[20:21]
	s_and_saveexec_b64 s[20:21], s[34:35]
	s_cbranch_execz .LBB1015_135
.LBB1015_222:
	v_add_co_u32_e32 v2, vcc, 0x1000, v0
	v_addc_co_u32_e32 v3, vcc, 0, v1, vcc
	s_waitcnt vmcnt(0)
	flat_store_dwordx2 v[2:3], v[48:49]
	s_or_b64 exec, exec, s[20:21]
	s_and_saveexec_b64 s[20:21], s[28:29]
	s_cbranch_execz .LBB1015_136
.LBB1015_223:
	v_add_co_u32_e32 v2, vcc, 0x1000, v0
	v_addc_co_u32_e32 v3, vcc, 0, v1, vcc
	s_waitcnt vmcnt(0)
	flat_store_dwordx2 v[2:3], v[36:37] offset:2048
	s_or_b64 exec, exec, s[20:21]
	s_and_saveexec_b64 s[20:21], s[22:23]
	s_cbranch_execz .LBB1015_137
.LBB1015_224:
	v_add_co_u32_e32 v2, vcc, 0x2000, v0
	v_addc_co_u32_e32 v3, vcc, 0, v1, vcc
	s_waitcnt vmcnt(0)
	flat_store_dwordx2 v[2:3], v[38:39]
	s_or_b64 exec, exec, s[20:21]
	s_and_saveexec_b64 s[20:21], s[16:17]
	s_cbranch_execz .LBB1015_138
.LBB1015_225:
	v_add_co_u32_e32 v2, vcc, 0x2000, v0
	v_addc_co_u32_e32 v3, vcc, 0, v1, vcc
	s_waitcnt vmcnt(0)
	flat_store_dwordx2 v[2:3], v[34:35] offset:2048
	s_or_b64 exec, exec, s[20:21]
	s_and_saveexec_b64 s[16:17], s[42:43]
	s_cbranch_execz .LBB1015_139
.LBB1015_226:
	v_add_co_u32_e32 v2, vcc, 0x3000, v0
	v_addc_co_u32_e32 v3, vcc, 0, v1, vcc
	s_waitcnt vmcnt(0)
	flat_store_dwordx2 v[2:3], v[32:33]
	s_or_b64 exec, exec, s[16:17]
	s_and_saveexec_b64 s[16:17], s[6:7]
	s_cbranch_execz .LBB1015_140
.LBB1015_227:
	v_add_co_u32_e32 v2, vcc, 0x3000, v0
	v_addc_co_u32_e32 v3, vcc, 0, v1, vcc
	s_waitcnt vmcnt(0)
	flat_store_dwordx2 v[2:3], v[28:29] offset:2048
	s_or_b64 exec, exec, s[16:17]
	s_and_saveexec_b64 s[6:7], s[4:5]
	s_cbranch_execz .LBB1015_141
.LBB1015_228:
	v_add_co_u32_e32 v2, vcc, 0x4000, v0
	v_addc_co_u32_e32 v3, vcc, 0, v1, vcc
	s_waitcnt vmcnt(0)
	flat_store_dwordx2 v[2:3], v[30:31]
	s_or_b64 exec, exec, s[6:7]
	s_and_saveexec_b64 s[4:5], s[10:11]
	s_cbranch_execz .LBB1015_142
.LBB1015_229:
	v_add_co_u32_e32 v2, vcc, 0x4000, v0
	v_addc_co_u32_e32 v3, vcc, 0, v1, vcc
	s_waitcnt vmcnt(0)
	flat_store_dwordx2 v[2:3], v[26:27] offset:2048
	s_or_b64 exec, exec, s[4:5]
	s_and_saveexec_b64 s[4:5], s[14:15]
	s_cbranch_execz .LBB1015_143
.LBB1015_230:
	v_add_co_u32_e32 v2, vcc, 0x5000, v0
	v_addc_co_u32_e32 v3, vcc, 0, v1, vcc
	s_waitcnt vmcnt(0)
	flat_store_dwordx2 v[2:3], v[24:25]
	s_or_b64 exec, exec, s[4:5]
	s_and_saveexec_b64 s[4:5], s[18:19]
	s_cbranch_execz .LBB1015_144
.LBB1015_231:
	v_add_co_u32_e32 v2, vcc, 0x5000, v0
	v_addc_co_u32_e32 v3, vcc, 0, v1, vcc
	s_waitcnt vmcnt(0)
	flat_store_dwordx2 v[2:3], v[18:19] offset:2048
	s_or_b64 exec, exec, s[4:5]
	s_and_saveexec_b64 s[4:5], s[24:25]
	s_cbranch_execz .LBB1015_145
.LBB1015_232:
	v_add_co_u32_e32 v2, vcc, 0x6000, v0
	v_addc_co_u32_e32 v3, vcc, 0, v1, vcc
	s_waitcnt vmcnt(0)
	flat_store_dwordx2 v[2:3], v[22:23]
	s_or_b64 exec, exec, s[4:5]
	s_and_saveexec_b64 s[4:5], s[30:31]
	s_cbranch_execz .LBB1015_146
.LBB1015_233:
	v_add_co_u32_e32 v2, vcc, 0x6000, v0
	v_addc_co_u32_e32 v3, vcc, 0, v1, vcc
	s_waitcnt vmcnt(0)
	flat_store_dwordx2 v[2:3], v[16:17] offset:2048
	s_or_b64 exec, exec, s[4:5]
	s_and_saveexec_b64 s[4:5], s[36:37]
	s_cbranch_execz .LBB1015_147
.LBB1015_234:
	v_add_co_u32_e32 v2, vcc, 0x7000, v0
	v_addc_co_u32_e32 v3, vcc, 0, v1, vcc
	s_waitcnt vmcnt(0)
	flat_store_dwordx2 v[2:3], v[14:15]
	s_or_b64 exec, exec, s[4:5]
	s_and_saveexec_b64 s[4:5], s[38:39]
	s_cbranch_execz .LBB1015_148
.LBB1015_235:
	v_add_co_u32_e32 v2, vcc, 0x7000, v0
	v_addc_co_u32_e32 v3, vcc, 0, v1, vcc
	s_waitcnt vmcnt(0)
	flat_store_dwordx2 v[2:3], v[10:11] offset:2048
	s_or_b64 exec, exec, s[4:5]
	s_and_saveexec_b64 s[4:5], s[40:41]
	s_cbranch_execnz .LBB1015_149
	s_branch .LBB1015_150
.LBB1015_236:
	s_or_b64 exec, exec, s[40:41]
	v_lshlrev_b32_e32 v1, 1, v24
	v_add_co_u32_e32 v10, vcc, v12, v1
	v_addc_co_u32_e32 v11, vcc, 0, v13, vcc
	v_mad_u64_u32 v[4:5], s[4:5], v4, 6, v[128:129]
	s_barrier
	flat_store_short v[128:129], v179
	flat_store_short v[130:131], v167
	;; [unrolled: 1-line block ×8, first 2 shown]
	s_waitcnt lgkmcnt(0)
	s_barrier
	flat_load_ushort v64, v[10:11]
	flat_load_ushort v33, v[10:11] offset:512
	flat_load_ushort v32, v[10:11] offset:1024
	;; [unrolled: 1-line block ×7, first 2 shown]
	s_waitcnt lgkmcnt(0)
	s_barrier
	flat_store_dwordx2 v[4:5], v[66:67]
	v_mad_u64_u32 v[4:5], s[4:5], v80, 6, v[130:131]
	flat_store_dwordx2 v[4:5], v[54:55]
	v_mad_u64_u32 v[4:5], s[4:5], v82, 6, v[132:133]
	;; [unrolled: 2-line block ×8, first 2 shown]
	s_movk_i32 s4, 0x1000
	v_add_co_u32_e32 v10, vcc, s4, v4
	v_mov_b32_e32 v1, 0x2000
	v_addc_co_u32_e32 v11, vcc, 0, v5, vcc
	v_lshl_or_b32 v1, v24, 3, v1
	v_add_co_u32_e32 v34, vcc, v12, v1
	s_movk_i32 s4, 0x2000
	v_addc_co_u32_e32 v35, vcc, 0, v13, vcc
	v_add_co_u32_e32 v36, vcc, s4, v4
	v_addc_co_u32_e32 v37, vcc, 0, v5, vcc
	s_movk_i32 s4, 0x3000
	v_add_co_u32_e32 v38, vcc, s4, v4
	s_waitcnt lgkmcnt(0)
	s_barrier
	flat_load_dwordx2 v[26:27], v[4:5]
	flat_load_dwordx2 v[20:21], v[4:5] offset:2048
	flat_load_dwordx2 v[18:19], v[10:11]
	flat_load_dwordx2 v[14:15], v[10:11] offset:2048
	v_addc_co_u32_e32 v39, vcc, 0, v5, vcc
	flat_load_dwordx2 v[16:17], v[34:35]
	flat_load_dwordx2 v[12:13], v[36:37] offset:2048
	flat_load_dwordx2 v[10:11], v[38:39]
	flat_load_dwordx2 v[4:5], v[38:39] offset:2048
	v_mov_b32_e32 v1, 0
	v_add_co_u32_e32 v22, vcc, v2, v22
	v_addc_co_u32_e32 v23, vcc, v3, v23, vcc
	v_lshlrev_b64 v[2:3], 1, v[0:1]
	v_add_co_u32_e32 v2, vcc, v22, v2
	v_addc_co_u32_e32 v3, vcc, v23, v3, vcc
	v_cmp_lt_u32_e32 vcc, v0, v106
	s_waitcnt lgkmcnt(0)
	s_barrier
	s_and_saveexec_b64 s[4:5], vcc
	s_cbranch_execz .LBB1015_238
; %bb.237:
	s_waitcnt vmcnt(0)
	v_xor_b32_e32 v22, 0xffff8000, v64
	flat_store_short v[2:3], v22
.LBB1015_238:
	s_or_b64 exec, exec, s[4:5]
	v_add_u32_e32 v22, 0x100, v0
	v_cmp_lt_u32_e64 s[14:15], v22, v106
	s_and_saveexec_b64 s[4:5], s[14:15]
	s_cbranch_execz .LBB1015_240
; %bb.239:
	s_waitcnt vmcnt(0)
	v_xor_b32_e32 v22, 0xffff8000, v33
	flat_store_short v[2:3], v22 offset:512
.LBB1015_240:
	s_or_b64 exec, exec, s[4:5]
	v_add_u32_e32 v22, 0x200, v0
	v_cmp_lt_u32_e64 s[18:19], v22, v106
	s_and_saveexec_b64 s[4:5], s[18:19]
	s_cbranch_execz .LBB1015_242
; %bb.241:
	s_waitcnt vmcnt(0)
	v_xor_b32_e32 v22, 0xffff8000, v32
	flat_store_short v[2:3], v22 offset:1024
.LBB1015_242:
	;; [unrolled: 10-line block ×7, first 2 shown]
	s_or_b64 exec, exec, s[22:23]
	v_add_co_u32_e64 v2, s[22:23], v6, v8
	v_addc_co_u32_e64 v3, s[22:23], v7, v9, s[22:23]
	v_lshlrev_b64 v[0:1], 3, v[0:1]
	v_add_co_u32_e64 v0, s[22:23], v2, v0
	v_addc_co_u32_e64 v1, s[22:23], v3, v1, s[22:23]
	s_and_saveexec_b64 s[22:23], vcc
	s_cbranch_execnz .LBB1015_302
; %bb.253:
	s_or_b64 exec, exec, s[22:23]
	s_and_saveexec_b64 s[22:23], s[14:15]
	s_cbranch_execnz .LBB1015_303
.LBB1015_254:
	s_or_b64 exec, exec, s[22:23]
	s_and_saveexec_b64 s[14:15], s[18:19]
	s_cbranch_execnz .LBB1015_304
.LBB1015_255:
	s_or_b64 exec, exec, s[14:15]
	s_and_saveexec_b64 s[14:15], s[16:17]
	s_cbranch_execnz .LBB1015_305
.LBB1015_256:
	s_or_b64 exec, exec, s[14:15]
	s_and_saveexec_b64 s[14:15], s[20:21]
	s_cbranch_execnz .LBB1015_306
.LBB1015_257:
	s_or_b64 exec, exec, s[14:15]
	s_and_saveexec_b64 s[14:15], s[10:11]
	s_cbranch_execnz .LBB1015_307
.LBB1015_258:
	s_or_b64 exec, exec, s[14:15]
	s_and_saveexec_b64 s[10:11], s[6:7]
	s_cbranch_execnz .LBB1015_308
.LBB1015_259:
	s_or_b64 exec, exec, s[10:11]
	s_and_saveexec_b64 s[6:7], s[4:5]
	s_cbranch_execz .LBB1015_261
.LBB1015_260:
	v_add_co_u32_e32 v0, vcc, 0x3000, v0
	v_addc_co_u32_e32 v1, vcc, 0, v1, vcc
	s_waitcnt vmcnt(0)
	flat_store_dwordx2 v[0:1], v[4:5] offset:2048
.LBB1015_261:
	s_or_b64 exec, exec, s[6:7]
                                        ; implicit-def: $vgpr106
                                        ; implicit-def: $vgpr0
                                        ; implicit-def: $vgpr1
                                        ; implicit-def: $vgpr2
                                        ; implicit-def: $vgpr3
                                        ; implicit-def: $vgpr4
                                        ; implicit-def: $vgpr5
                                        ; implicit-def: $vgpr6
                                        ; implicit-def: $vgpr7
                                        ; implicit-def: $vgpr8
                                        ; implicit-def: $vgpr10
                                        ; implicit-def: $vgpr11
                                        ; implicit-def: $vgpr12
                                        ; implicit-def: $vgpr13
                                        ; implicit-def: $vgpr31
                                        ; implicit-def: $vgpr14
                                        ; implicit-def: $vgpr16
                                        ; implicit-def: $vgpr15
.LBB1015_262:
	s_andn2_saveexec_b64 s[4:5], s[38:39]
	s_cbranch_execz .LBB1015_382
; %bb.263:
	s_movk_i32 s4, 0x200
	v_cmp_lt_u32_e32 vcc, s4, v106
	s_and_saveexec_b64 s[4:5], vcc
	s_xor_b64 s[38:39], exec, s[4:5]
	s_cbranch_execz .LBB1015_323
; %bb.264:
	s_load_dwordx2 s[4:5], s[8:9], 0x0
	v_mov_b32_e32 v9, 0
	s_waitcnt vmcnt(0)
	v_mbcnt_hi_u32_b32 v32, -1, v15
	v_lshlrev_b64 v[24:25], 1, v[8:9]
	v_and_b32_e32 v34, 63, v32
	s_waitcnt lgkmcnt(0)
	s_cmp_lt_u32 s12, s4
	s_cselect_b32 s6, 12, 18
	s_cmp_lt_u32 s13, s5
	s_cselect_b32 s4, 14, 20
	s_add_u32 s4, s8, s4
	s_addc_u32 s5, s9, 0
	s_add_u32 s6, s8, s6
	global_load_ushort v18, v9, s[4:5]
	s_addc_u32 s7, s9, 0
	global_load_ushort v19, v9, s[6:7]
	v_add_co_u32_e32 v0, vcc, v0, v24
	v_addc_co_u32_e32 v1, vcc, v1, v25, vcc
	v_lshlrev_b32_e32 v15, 1, v34
	v_and_b32_e32 v22, 0x3ff, v31
	v_add_co_u32_e32 v20, vcc, v0, v15
	v_addc_co_u32_e32 v21, vcc, 0, v1, vcc
	v_mov_b32_e32 v17, v9
	s_mov_b32 s4, 0x7fff7fff
	s_mov_b32 s5, s4
	s_waitcnt vmcnt(1)
	v_mad_u32_u24 v0, v16, v18, v14
	s_waitcnt vmcnt(0)
	v_mad_u64_u32 v[0:1], s[6:7], v0, v19, v[22:23]
	v_lshlrev_b32_e32 v1, 2, v0
	v_and_b32_e32 v16, 0xffffff00, v1
	v_lshlrev_b64 v[14:15], 1, v[16:17]
	v_add_co_u32_e32 v18, vcc, v20, v14
	v_or_b32_e32 v1, v16, v34
	v_addc_co_u32_e32 v19, vcc, v21, v15, vcc
	v_cmp_lt_u32_e32 vcc, v1, v106
	v_pk_mov_b32 v[14:15], s[4:5], s[4:5] op_sel:[0,1]
	s_and_saveexec_b64 s[4:5], vcc
	s_cbranch_execz .LBB1015_266
; %bb.265:
	flat_load_ushort v14, v[18:19]
	s_movk_i32 s6, 0x7fff
	v_mov_b32_e32 v15, 0x5040100
	s_waitcnt vmcnt(0) lgkmcnt(0)
	v_perm_b32 v14, s6, v14, v15
	v_mov_b32_e32 v15, 0x7fff7fff
.LBB1015_266:
	s_or_b64 exec, exec, s[4:5]
	v_or_b32_e32 v20, 64, v1
	v_cmp_lt_u32_e64 s[4:5], v20, v106
	s_and_saveexec_b64 s[6:7], s[4:5]
	s_cbranch_execz .LBB1015_268
; %bb.267:
	flat_load_ushort v20, v[18:19] offset:128
	s_mov_b32 s10, 0x5040100
	s_waitcnt vmcnt(0) lgkmcnt(0)
	v_perm_b32 v14, v20, v14, s10
.LBB1015_268:
	s_or_b64 exec, exec, s[6:7]
	v_or_b32_e32 v20, 0x80, v1
	v_cmp_lt_u32_e64 s[6:7], v20, v106
	s_and_saveexec_b64 s[10:11], s[6:7]
	s_cbranch_execz .LBB1015_270
; %bb.269:
	flat_load_ushort v20, v[18:19] offset:256
	s_mov_b32 s14, 0xffff
	s_waitcnt vmcnt(0) lgkmcnt(0)
	v_bfi_b32 v15, s14, v20, v15
.LBB1015_270:
	s_or_b64 exec, exec, s[10:11]
	v_or_b32_e32 v1, 0xc0, v1
	v_cmp_lt_u32_e64 s[10:11], v1, v106
	s_and_saveexec_b64 s[14:15], s[10:11]
	s_cbranch_execz .LBB1015_272
; %bb.271:
	flat_load_ushort v1, v[18:19] offset:384
	s_mov_b32 s16, 0x5040100
	s_waitcnt vmcnt(0) lgkmcnt(0)
	v_perm_b32 v15, v1, v15, s16
.LBB1015_272:
	s_or_b64 exec, exec, s[14:15]
	v_lshlrev_b64 v[8:9], 3, v[8:9]
	v_add_co_u32_e64 v1, s[14:15], v4, v8
	v_addc_co_u32_e64 v4, s[14:15], v5, v9, s[14:15]
	v_lshlrev_b32_e32 v5, 3, v34
	v_add_co_u32_e64 v1, s[14:15], v1, v5
	v_addc_co_u32_e64 v18, s[14:15], 0, v4, s[14:15]
	v_lshlrev_b64 v[4:5], 3, v[16:17]
	v_add_co_u32_e64 v4, s[14:15], v1, v4
	v_addc_co_u32_e64 v5, s[14:15], v18, v5, s[14:15]
                                        ; implicit-def: $vgpr18_vgpr19
	s_and_saveexec_b64 s[14:15], vcc
	s_cbranch_execnz .LBB1015_347
; %bb.273:
	s_or_b64 exec, exec, s[14:15]
                                        ; implicit-def: $vgpr20_vgpr21
	s_and_saveexec_b64 s[14:15], s[4:5]
	s_cbranch_execnz .LBB1015_348
.LBB1015_274:
	s_or_b64 exec, exec, s[14:15]
                                        ; implicit-def: $vgpr54_vgpr55
	s_and_saveexec_b64 s[4:5], s[6:7]
	s_cbranch_execnz .LBB1015_349
.LBB1015_275:
	s_or_b64 exec, exec, s[4:5]
                                        ; implicit-def: $vgpr64_vgpr65
	s_and_saveexec_b64 s[4:5], s[10:11]
	s_cbranch_execz .LBB1015_277
.LBB1015_276:
	flat_load_dwordx2 v[64:65], v[4:5] offset:1536
.LBB1015_277:
	s_or_b64 exec, exec, s[4:5]
	v_add_co_u32_e32 v1, vcc, 16, v12
	v_and_b32_e32 v16, 0x3c0, v22
	v_addc_co_u32_e32 v23, vcc, 0, v13, vcc
	v_lshlrev_b32_e32 v4, 4, v22
	v_min_u32_e32 v16, 0xc0, v16
	v_add_co_u32_e32 v26, vcc, v12, v4
	v_or_b32_e32 v16, 63, v16
	s_getpc_b64 s[4:5]
	s_add_u32 s4, s4, _ZN7rocprim17ROCPRIM_400000_NS16block_radix_sortIsLj256ELj4ElLj1ELj1ELj8ELNS0_26block_radix_rank_algorithmE2ELNS0_18block_padding_hintE2ELNS0_4arch9wavefront6targetE1EE19radix_bits_per_passE@rel32@lo+4
	s_addc_u32 s5, s5, _ZN7rocprim17ROCPRIM_400000_NS16block_radix_sortIsLj256ELj4ElLj1ELj1ELj8ELNS0_26block_radix_rank_algorithmE2ELNS0_18block_padding_hintE2ELNS0_4arch9wavefront6targetE1EE19radix_bits_per_passE@rel32@hi+12
	v_addc_co_u32_e32 v27, vcc, 0, v13, vcc
	v_and_b32_e32 v4, 15, v32
	v_cmp_eq_u32_e64 s[16:17], v16, v22
	v_add_u32_e32 v16, -1, v32
	v_and_b32_e32 v17, 64, v32
	s_load_dword s46, s[4:5], 0x0
	v_cmp_eq_u32_e32 vcc, 0, v4
	v_cmp_lt_u32_e64 s[4:5], 1, v4
	v_cmp_lt_u32_e64 s[6:7], 3, v4
	;; [unrolled: 1-line block ×3, first 2 shown]
	v_and_b32_e32 v4, 16, v32
	v_cmp_lt_i32_e64 s[22:23], v16, v17
	v_cmp_eq_u32_e64 s[30:31], 0, v4
	v_lshrrev_b32_e32 v4, 6, v22
	v_cndmask_b32_e64 v16, v16, v32, s[22:23]
	v_lshlrev_b32_e32 v97, 2, v16
	v_lshlrev_b32_e32 v16, 2, v4
	v_add_co_u32_e64 v28, s[26:27], v12, v16
	v_xor_b32_e32 v67, 0x80008000, v15
	v_lshlrev_b32_e32 v15, 2, v22
	v_addc_co_u32_e64 v29, s[26:27], 0, v13, s[26:27]
	v_add_co_u32_e64 v30, s[26:27], v12, v15
	v_mov_b32_e32 v5, 0
	v_addc_co_u32_e64 v31, s[26:27], 0, v13, s[26:27]
	v_and_b32_e32 v16, 3, v32
	v_add_u32_e32 v4, -1, v4
	v_cmp_eq_u32_e64 s[26:27], 0, v16
	v_cmp_lt_u32_e64 s[28:29], 1, v16
	v_lshlrev_b64 v[16:17], 2, v[4:5]
	v_cmp_lt_u32_e64 s[14:15], 31, v32
	v_cmp_eq_u32_e64 s[22:23], 0, v32
	v_add_co_u32_e64 v32, s[34:35], v12, v16
	v_addc_co_u32_e64 v33, s[34:35], v13, v17, s[34:35]
	s_movk_i32 s34, 0xf00
	v_and_or_b32 v4, v15, s34, v34
	v_lshlrev_b32_e32 v15, 1, v4
	v_add_co_u32_e64 v48, s[34:35], v12, v15
	v_addc_co_u32_e64 v49, s[34:35], 0, v13, s[34:35]
	v_lshrrev_b32_e32 v96, 6, v0
	v_cmp_gt_u32_e64 s[18:19], 4, v22
	v_cmp_lt_u32_e64 s[20:21], 63, v22
	v_cmp_eq_u32_e64 s[24:25], 0, v22
	v_mad_u64_u32 v[52:53], s[34:35], v4, 6, v[48:49]
	v_xor_b32_e32 v100, 0x80008000, v14
	v_sub_u32_e32 v98, v11, v10
	s_mov_b64 s[40:41], 0
	s_mov_b32 s47, 0x5040100
	v_mov_b32_e32 v14, v5
	v_mov_b32_e32 v15, v5
	;; [unrolled: 1-line block ×4, first 2 shown]
	s_waitcnt lgkmcnt(0)
	s_barrier
	s_branch .LBB1015_279
.LBB1015_278:                           ;   in Loop: Header=BB1015_279 Depth=1
	s_or_b64 exec, exec, s[36:37]
	s_and_b64 s[34:35], exec, s[42:43]
	s_or_b64 s[40:41], s[34:35], s[40:41]
	s_andn2_b64 exec, exec, s[40:41]
	s_cbranch_execz .LBB1015_309
.LBB1015_279:                           ; =>This Inner Loop Header: Depth=1
	v_min_u32_e32 v4, s46, v98
	v_lshlrev_b32_e64 v4, v4, -1
	s_waitcnt vmcnt(0)
	v_pk_mov_b32 v[38:39], v[20:21], v[20:21] op_sel:[0,1]
	v_not_b32_e32 v20, v4
	v_lshrrev_b32_sdwa v4, v10, v100 dst_sel:DWORD dst_unused:UNUSED_PAD src0_sel:DWORD src1_sel:WORD_0
	v_and_b32_e32 v4, v4, v20
	v_pk_mov_b32 v[50:51], v[18:19], v[18:19] op_sel:[0,1]
	v_lshlrev_b32_e32 v18, 2, v4
	v_add_lshl_u32 v18, v18, v96, 2
	v_pk_mov_b32 v[36:37], v[54:55], v[54:55] op_sel:[0,1]
	v_add_co_u32_e64 v54, s[34:35], v1, v18
	v_addc_co_u32_e64 v55, s[34:35], 0, v23, s[34:35]
	v_and_b32_e32 v18, 1, v4
	v_add_co_u32_e64 v19, s[34:35], -1, v18
	v_addc_co_u32_e64 v21, s[34:35], 0, -1, s[34:35]
	v_cmp_ne_u32_e64 s[34:35], 0, v18
	v_xor_b32_e32 v18, s35, v21
	v_xor_b32_e32 v19, s34, v19
	v_pk_mov_b32 v[34:35], v[64:65], v[64:65] op_sel:[0,1]
	v_and_b32_e32 v21, exec_hi, v18
	v_and_b32_e32 v64, exec_lo, v19
	v_lshlrev_b32_e32 v19, 30, v4
	v_mov_b32_e32 v18, v5
	v_cmp_gt_i64_e64 s[34:35], 0, v[18:19]
	v_not_b32_e32 v18, v19
	v_ashrrev_i32_e32 v18, 31, v18
	v_xor_b32_e32 v19, s35, v18
	v_xor_b32_e32 v18, s34, v18
	v_and_b32_e32 v21, v21, v19
	v_and_b32_e32 v64, v64, v18
	v_lshlrev_b32_e32 v19, 29, v4
	v_mov_b32_e32 v18, v5
	v_cmp_gt_i64_e64 s[34:35], 0, v[18:19]
	v_not_b32_e32 v18, v19
	v_ashrrev_i32_e32 v18, 31, v18
	v_xor_b32_e32 v19, s35, v18
	v_xor_b32_e32 v18, s34, v18
	v_and_b32_e32 v21, v21, v19
	v_and_b32_e32 v64, v64, v18
	;; [unrolled: 9-line block ×5, first 2 shown]
	v_lshlrev_b32_e32 v19, 25, v4
	v_mov_b32_e32 v18, v5
	v_cmp_gt_i64_e64 s[34:35], 0, v[18:19]
	v_not_b32_e32 v18, v19
	v_ashrrev_i32_e32 v18, 31, v18
	v_xor_b32_e32 v19, s35, v18
	v_xor_b32_e32 v18, s34, v18
	v_and_b32_e32 v21, v21, v19
	v_lshlrev_b32_e32 v19, 24, v4
	v_and_b32_e32 v64, v64, v18
	v_mov_b32_e32 v18, v5
	v_not_b32_e32 v4, v19
	v_cmp_gt_i64_e64 s[34:35], 0, v[18:19]
	v_ashrrev_i32_e32 v4, 31, v4
	v_xor_b32_e32 v18, s35, v4
	v_xor_b32_e32 v4, s34, v4
	v_and_b32_e32 v19, v21, v18
	v_and_b32_e32 v18, v64, v4
	v_mbcnt_lo_u32_b32 v4, v18, 0
	v_mbcnt_hi_u32_b32 v4, v19, v4
	v_cmp_eq_u32_e64 s[34:35], 0, v4
	v_cmp_ne_u64_e64 s[36:37], 0, v[18:19]
	v_mov_b32_e32 v99, v67
	s_and_b64 s[36:37], s[36:37], s[34:35]
	flat_store_dwordx4 v[26:27], v[14:17] offset:16
	s_waitcnt lgkmcnt(0)
	s_barrier
	s_waitcnt lgkmcnt(0)
	; wave barrier
	s_and_saveexec_b64 s[34:35], s[36:37]
	s_cbranch_execz .LBB1015_281
; %bb.280:                              ;   in Loop: Header=BB1015_279 Depth=1
	v_bcnt_u32_b32 v18, v18, 0
	v_bcnt_u32_b32 v18, v19, v18
	flat_store_dword v[54:55], v18
.LBB1015_281:                           ;   in Loop: Header=BB1015_279 Depth=1
	s_or_b64 exec, exec, s[34:35]
	v_lshrrev_b32_e32 v101, 16, v100
	v_lshrrev_b32_e32 v18, v10, v101
	v_and_b32_e32 v21, v18, v20
	v_lshlrev_b32_e32 v18, 2, v21
	v_add_lshl_u32 v18, v18, v96, 2
	v_add_co_u32_e64 v64, s[34:35], v1, v18
	v_addc_co_u32_e64 v65, s[34:35], 0, v23, s[34:35]
	; wave barrier
	flat_load_dword v70, v[64:65]
	v_and_b32_e32 v18, 1, v21
	v_add_co_u32_e64 v19, s[34:35], -1, v18
	v_addc_co_u32_e64 v66, s[34:35], 0, -1, s[34:35]
	v_cmp_ne_u32_e64 s[34:35], 0, v18
	v_xor_b32_e32 v18, s35, v66
	v_xor_b32_e32 v19, s34, v19
	v_and_b32_e32 v66, exec_hi, v18
	v_and_b32_e32 v67, exec_lo, v19
	v_lshlrev_b32_e32 v19, 30, v21
	v_mov_b32_e32 v18, v5
	v_cmp_gt_i64_e64 s[34:35], 0, v[18:19]
	v_not_b32_e32 v18, v19
	v_ashrrev_i32_e32 v18, 31, v18
	v_xor_b32_e32 v19, s35, v18
	v_xor_b32_e32 v18, s34, v18
	v_and_b32_e32 v66, v66, v19
	v_and_b32_e32 v67, v67, v18
	v_lshlrev_b32_e32 v19, 29, v21
	v_mov_b32_e32 v18, v5
	v_cmp_gt_i64_e64 s[34:35], 0, v[18:19]
	v_not_b32_e32 v18, v19
	v_ashrrev_i32_e32 v18, 31, v18
	v_xor_b32_e32 v19, s35, v18
	v_xor_b32_e32 v18, s34, v18
	v_and_b32_e32 v66, v66, v19
	v_and_b32_e32 v67, v67, v18
	;; [unrolled: 9-line block ×7, first 2 shown]
	v_mbcnt_lo_u32_b32 v21, v18, 0
	v_mbcnt_hi_u32_b32 v80, v19, v21
	v_cmp_eq_u32_e64 s[34:35], 0, v80
	v_cmp_ne_u64_e64 s[36:37], 0, v[18:19]
	s_and_b64 s[36:37], s[36:37], s[34:35]
	; wave barrier
	s_and_saveexec_b64 s[34:35], s[36:37]
	s_cbranch_execz .LBB1015_283
; %bb.282:                              ;   in Loop: Header=BB1015_279 Depth=1
	v_bcnt_u32_b32 v18, v18, 0
	v_bcnt_u32_b32 v18, v19, v18
	s_waitcnt vmcnt(0) lgkmcnt(0)
	v_add_u32_e32 v18, v70, v18
	flat_store_dword v[64:65], v18
.LBB1015_283:                           ;   in Loop: Header=BB1015_279 Depth=1
	s_or_b64 exec, exec, s[34:35]
	v_lshrrev_b32_sdwa v18, v10, v99 dst_sel:DWORD dst_unused:UNUSED_PAD src0_sel:DWORD src1_sel:WORD_0
	v_and_b32_e32 v21, v18, v20
	v_lshlrev_b32_e32 v18, 2, v21
	v_add_lshl_u32 v18, v18, v96, 2
	v_add_co_u32_e64 v66, s[34:35], v1, v18
	v_addc_co_u32_e64 v67, s[34:35], 0, v23, s[34:35]
	; wave barrier
	flat_load_dword v81, v[66:67]
	v_and_b32_e32 v18, 1, v21
	v_add_co_u32_e64 v19, s[34:35], -1, v18
	v_addc_co_u32_e64 v68, s[34:35], 0, -1, s[34:35]
	v_cmp_ne_u32_e64 s[34:35], 0, v18
	v_xor_b32_e32 v18, s35, v68
	v_xor_b32_e32 v19, s34, v19
	v_and_b32_e32 v68, exec_hi, v18
	v_and_b32_e32 v69, exec_lo, v19
	v_lshlrev_b32_e32 v19, 30, v21
	v_mov_b32_e32 v18, v5
	v_cmp_gt_i64_e64 s[34:35], 0, v[18:19]
	v_not_b32_e32 v18, v19
	v_ashrrev_i32_e32 v18, 31, v18
	v_xor_b32_e32 v19, s35, v18
	v_xor_b32_e32 v18, s34, v18
	v_and_b32_e32 v68, v68, v19
	v_and_b32_e32 v69, v69, v18
	v_lshlrev_b32_e32 v19, 29, v21
	v_mov_b32_e32 v18, v5
	v_cmp_gt_i64_e64 s[34:35], 0, v[18:19]
	v_not_b32_e32 v18, v19
	v_ashrrev_i32_e32 v18, 31, v18
	v_xor_b32_e32 v19, s35, v18
	v_xor_b32_e32 v18, s34, v18
	v_and_b32_e32 v68, v68, v19
	v_and_b32_e32 v69, v69, v18
	;; [unrolled: 9-line block ×7, first 2 shown]
	v_mbcnt_lo_u32_b32 v21, v18, 0
	v_mbcnt_hi_u32_b32 v82, v19, v21
	v_cmp_eq_u32_e64 s[34:35], 0, v82
	v_cmp_ne_u64_e64 s[36:37], 0, v[18:19]
	s_and_b64 s[36:37], s[36:37], s[34:35]
	; wave barrier
	s_and_saveexec_b64 s[34:35], s[36:37]
	s_cbranch_execz .LBB1015_285
; %bb.284:                              ;   in Loop: Header=BB1015_279 Depth=1
	v_bcnt_u32_b32 v18, v18, 0
	v_bcnt_u32_b32 v18, v19, v18
	s_waitcnt vmcnt(0) lgkmcnt(0)
	v_add_u32_e32 v18, v81, v18
	flat_store_dword v[66:67], v18
.LBB1015_285:                           ;   in Loop: Header=BB1015_279 Depth=1
	s_or_b64 exec, exec, s[34:35]
	v_lshrrev_b32_e32 v102, 16, v99
	v_lshrrev_b32_e32 v18, v10, v102
	v_and_b32_e32 v20, v18, v20
	v_lshlrev_b32_e32 v18, 2, v20
	v_add_lshl_u32 v18, v18, v96, 2
	v_add_co_u32_e64 v68, s[34:35], v1, v18
	v_addc_co_u32_e64 v69, s[34:35], 0, v23, s[34:35]
	; wave barrier
	flat_load_dword v83, v[68:69]
	v_and_b32_e32 v18, 1, v20
	v_add_co_u32_e64 v19, s[34:35], -1, v18
	v_addc_co_u32_e64 v21, s[34:35], 0, -1, s[34:35]
	v_cmp_ne_u32_e64 s[34:35], 0, v18
	v_xor_b32_e32 v18, s35, v21
	v_xor_b32_e32 v19, s34, v19
	v_and_b32_e32 v21, exec_hi, v18
	v_and_b32_e32 v71, exec_lo, v19
	v_lshlrev_b32_e32 v19, 30, v20
	v_mov_b32_e32 v18, v5
	v_cmp_gt_i64_e64 s[34:35], 0, v[18:19]
	v_not_b32_e32 v18, v19
	v_ashrrev_i32_e32 v18, 31, v18
	v_xor_b32_e32 v19, s35, v18
	v_xor_b32_e32 v18, s34, v18
	v_and_b32_e32 v21, v21, v19
	v_and_b32_e32 v71, v71, v18
	v_lshlrev_b32_e32 v19, 29, v20
	v_mov_b32_e32 v18, v5
	v_cmp_gt_i64_e64 s[34:35], 0, v[18:19]
	v_not_b32_e32 v18, v19
	v_ashrrev_i32_e32 v18, 31, v18
	v_xor_b32_e32 v19, s35, v18
	v_xor_b32_e32 v18, s34, v18
	v_and_b32_e32 v21, v21, v19
	v_and_b32_e32 v71, v71, v18
	;; [unrolled: 9-line block ×7, first 2 shown]
	v_mbcnt_lo_u32_b32 v20, v18, 0
	v_mbcnt_hi_u32_b32 v84, v19, v20
	v_cmp_eq_u32_e64 s[34:35], 0, v84
	v_cmp_ne_u64_e64 s[36:37], 0, v[18:19]
	s_and_b64 s[36:37], s[36:37], s[34:35]
	; wave barrier
	s_and_saveexec_b64 s[34:35], s[36:37]
	s_cbranch_execz .LBB1015_287
; %bb.286:                              ;   in Loop: Header=BB1015_279 Depth=1
	v_bcnt_u32_b32 v18, v18, 0
	v_bcnt_u32_b32 v18, v19, v18
	s_waitcnt vmcnt(0) lgkmcnt(0)
	v_add_u32_e32 v18, v83, v18
	flat_store_dword v[68:69], v18
.LBB1015_287:                           ;   in Loop: Header=BB1015_279 Depth=1
	s_or_b64 exec, exec, s[34:35]
	; wave barrier
	s_waitcnt lgkmcnt(0)
	s_barrier
	flat_load_dwordx4 v[18:21], v[26:27] offset:16
	s_waitcnt vmcnt(0) lgkmcnt(0)
	v_add_u32_e32 v71, v19, v18
	v_add3_u32 v21, v71, v20, v21
	s_nop 1
	v_mov_b32_dpp v71, v21 row_shr:1 row_mask:0xf bank_mask:0xf
	v_cndmask_b32_e64 v71, v71, 0, vcc
	v_add_u32_e32 v21, v71, v21
	s_nop 1
	v_mov_b32_dpp v71, v21 row_shr:2 row_mask:0xf bank_mask:0xf
	v_cndmask_b32_e64 v71, 0, v71, s[4:5]
	v_add_u32_e32 v21, v21, v71
	s_nop 1
	v_mov_b32_dpp v71, v21 row_shr:4 row_mask:0xf bank_mask:0xf
	v_cndmask_b32_e64 v71, 0, v71, s[6:7]
	;; [unrolled: 4-line block ×3, first 2 shown]
	v_add_u32_e32 v21, v21, v71
	s_nop 1
	v_mov_b32_dpp v71, v21 row_bcast:15 row_mask:0xf bank_mask:0xf
	v_cndmask_b32_e64 v71, v71, 0, s[30:31]
	v_add_u32_e32 v21, v21, v71
	s_nop 1
	v_mov_b32_dpp v71, v21 row_bcast:31 row_mask:0xf bank_mask:0xf
	v_cndmask_b32_e64 v71, 0, v71, s[14:15]
	v_add_u32_e32 v21, v21, v71
	s_and_saveexec_b64 s[34:35], s[16:17]
	s_cbranch_execz .LBB1015_289
; %bb.288:                              ;   in Loop: Header=BB1015_279 Depth=1
	flat_store_dword v[28:29], v21
.LBB1015_289:                           ;   in Loop: Header=BB1015_279 Depth=1
	s_or_b64 exec, exec, s[34:35]
	s_waitcnt lgkmcnt(0)
	s_barrier
	s_and_saveexec_b64 s[34:35], s[18:19]
	s_cbranch_execz .LBB1015_291
; %bb.290:                              ;   in Loop: Header=BB1015_279 Depth=1
	flat_load_dword v71, v[30:31]
	s_waitcnt vmcnt(0) lgkmcnt(0)
	s_nop 0
	v_mov_b32_dpp v85, v71 row_shr:1 row_mask:0xf bank_mask:0xf
	v_cndmask_b32_e64 v85, v85, 0, s[26:27]
	v_add_u32_e32 v71, v85, v71
	s_nop 1
	v_mov_b32_dpp v85, v71 row_shr:2 row_mask:0xf bank_mask:0xf
	v_cndmask_b32_e64 v85, 0, v85, s[28:29]
	v_add_u32_e32 v71, v71, v85
	flat_store_dword v[30:31], v71
.LBB1015_291:                           ;   in Loop: Header=BB1015_279 Depth=1
	s_or_b64 exec, exec, s[34:35]
	v_mov_b32_e32 v71, 0
	s_waitcnt lgkmcnt(0)
	s_barrier
	s_and_saveexec_b64 s[34:35], s[20:21]
	s_cbranch_execz .LBB1015_293
; %bb.292:                              ;   in Loop: Header=BB1015_279 Depth=1
	flat_load_dword v71, v[32:33]
.LBB1015_293:                           ;   in Loop: Header=BB1015_279 Depth=1
	s_or_b64 exec, exec, s[34:35]
	s_waitcnt vmcnt(0) lgkmcnt(0)
	v_add_u32_e32 v21, v71, v21
	ds_bpermute_b32 v21, v97, v21
	v_add_u32_e32 v10, 8, v10
	v_mov_b32_e32 v103, v100
	v_cmp_lt_u32_e64 s[34:35], v10, v11
	s_mov_b64 s[42:43], -1
	s_waitcnt lgkmcnt(0)
	v_cndmask_b32_e64 v21, v21, v71, s[22:23]
	v_cndmask_b32_e64 v112, v21, 0, s[24:25]
	v_add_u32_e32 v113, v112, v18
	v_add_u32_e32 v114, v113, v19
	;; [unrolled: 1-line block ×3, first 2 shown]
	flat_store_dwordx4 v[26:27], v[112:115] offset:16
	s_waitcnt lgkmcnt(0)
	s_barrier
	flat_load_dword v18, v[54:55]
	flat_load_dword v19, v[64:65]
	;; [unrolled: 1-line block ×4, first 2 shown]
	v_mov_b32_e32 v67, v5
	v_mov_b32_e32 v69, v5
	;; [unrolled: 1-line block ×3, first 2 shown]
	s_waitcnt vmcnt(0) lgkmcnt(0)
	v_add_u32_e32 v4, v18, v4
	v_add3_u32 v66, v80, v70, v19
	v_lshlrev_b64 v[18:19], 1, v[4:5]
	v_add_co_u32_e64 v80, s[36:37], v12, v18
	v_add3_u32 v68, v82, v81, v20
	v_add3_u32 v70, v84, v83, v21
	v_lshlrev_b64 v[20:21], 1, v[66:67]
	v_addc_co_u32_e64 v81, s[36:37], v13, v19, s[36:37]
	v_add_co_u32_e64 v82, s[36:37], v12, v20
	v_lshlrev_b64 v[54:55], 1, v[68:69]
	v_addc_co_u32_e64 v83, s[36:37], v13, v21, s[36:37]
	v_add_co_u32_e64 v84, s[36:37], v12, v54
	;; [unrolled: 3-line block ×3, first 2 shown]
	v_addc_co_u32_e64 v87, s[36:37], v13, v65, s[36:37]
                                        ; implicit-def: $vgpr67
                                        ; implicit-def: $vgpr18_vgpr19
                                        ; implicit-def: $vgpr20_vgpr21
                                        ; implicit-def: $vgpr54_vgpr55
                                        ; implicit-def: $vgpr64_vgpr65
	s_and_saveexec_b64 s[36:37], s[34:35]
	s_cbranch_execz .LBB1015_278
; %bb.294:                              ;   in Loop: Header=BB1015_279 Depth=1
	v_mad_u64_u32 v[18:19], s[34:35], v4, 6, v[80:81]
	s_barrier
	flat_store_short v[80:81], v100
	flat_store_short v[82:83], v101
	;; [unrolled: 1-line block ×4, first 2 shown]
	s_waitcnt lgkmcnt(0)
	s_barrier
	flat_load_ushort v67, v[48:49]
	flat_load_ushort v69, v[48:49] offset:128
	flat_load_ushort v71, v[48:49] offset:256
	;; [unrolled: 1-line block ×3, first 2 shown]
	s_waitcnt lgkmcnt(0)
	s_barrier
	flat_store_dwordx2 v[18:19], v[50:51]
	v_mad_u64_u32 v[18:19], s[34:35], v66, 6, v[82:83]
	flat_store_dwordx2 v[18:19], v[38:39]
	v_mad_u64_u32 v[18:19], s[34:35], v68, 6, v[84:85]
	;; [unrolled: 2-line block ×3, first 2 shown]
	flat_store_dwordx2 v[18:19], v[34:35]
	s_waitcnt lgkmcnt(0)
	s_barrier
	flat_load_dwordx2 v[18:19], v[52:53]
	flat_load_dwordx2 v[20:21], v[52:53] offset:512
	flat_load_dwordx2 v[54:55], v[52:53] offset:1024
	;; [unrolled: 1-line block ×3, first 2 shown]
	v_add_u32_e32 v98, -8, v98
	s_xor_b64 s[42:43], exec, -1
	s_waitcnt lgkmcnt(0)
	s_barrier
	s_waitcnt vmcnt(0)
	v_perm_b32 v100, v69, v67, s47
	v_perm_b32 v67, v112, v71, s47
	s_branch .LBB1015_278
.LBB1015_295:
	flat_load_dwordx2 v[18:19], v[4:5]
	s_or_b64 exec, exec, s[22:23]
                                        ; implicit-def: $vgpr20_vgpr21
	s_and_saveexec_b64 s[22:23], s[4:5]
	s_cbranch_execz .LBB1015_171
.LBB1015_296:
	flat_load_dwordx2 v[20:21], v[4:5] offset:512
	s_or_b64 exec, exec, s[22:23]
                                        ; implicit-def: $vgpr70_vgpr71
	s_and_saveexec_b64 s[4:5], s[6:7]
	s_cbranch_execz .LBB1015_172
.LBB1015_297:
	flat_load_dwordx2 v[70:71], v[4:5] offset:1024
	s_or_b64 exec, exec, s[4:5]
                                        ; implicit-def: $vgpr84_vgpr85
	s_and_saveexec_b64 s[4:5], s[10:11]
	s_cbranch_execz .LBB1015_173
.LBB1015_298:
	flat_load_dwordx2 v[84:85], v[4:5] offset:1536
	s_or_b64 exec, exec, s[4:5]
                                        ; implicit-def: $vgpr100_vgpr101
	s_and_saveexec_b64 s[4:5], s[20:21]
	s_cbranch_execz .LBB1015_174
.LBB1015_299:
	flat_load_dwordx2 v[100:101], v[4:5] offset:2048
	s_or_b64 exec, exec, s[4:5]
                                        ; implicit-def: $vgpr114_vgpr115
	s_and_saveexec_b64 s[4:5], s[14:15]
	s_cbranch_execz .LBB1015_175
.LBB1015_300:
	flat_load_dwordx2 v[114:115], v[4:5] offset:2560
	s_or_b64 exec, exec, s[4:5]
                                        ; implicit-def: $vgpr116_vgpr117
	s_and_saveexec_b64 s[4:5], s[16:17]
	s_cbranch_execz .LBB1015_176
.LBB1015_301:
	flat_load_dwordx2 v[116:117], v[4:5] offset:3072
	s_or_b64 exec, exec, s[4:5]
                                        ; implicit-def: $vgpr118_vgpr119
	s_and_saveexec_b64 s[4:5], s[18:19]
	s_cbranch_execnz .LBB1015_177
	s_branch .LBB1015_178
.LBB1015_302:
	s_waitcnt vmcnt(0)
	flat_store_dwordx2 v[0:1], v[26:27]
	s_or_b64 exec, exec, s[22:23]
	s_and_saveexec_b64 s[22:23], s[14:15]
	s_cbranch_execz .LBB1015_254
.LBB1015_303:
	s_waitcnt vmcnt(0)
	flat_store_dwordx2 v[0:1], v[20:21] offset:2048
	s_or_b64 exec, exec, s[22:23]
	s_and_saveexec_b64 s[14:15], s[18:19]
	s_cbranch_execz .LBB1015_255
.LBB1015_304:
	v_add_co_u32_e32 v2, vcc, 0x1000, v0
	v_addc_co_u32_e32 v3, vcc, 0, v1, vcc
	s_waitcnt vmcnt(0)
	flat_store_dwordx2 v[2:3], v[18:19]
	s_or_b64 exec, exec, s[14:15]
	s_and_saveexec_b64 s[14:15], s[16:17]
	s_cbranch_execz .LBB1015_256
.LBB1015_305:
	v_add_co_u32_e32 v2, vcc, 0x1000, v0
	v_addc_co_u32_e32 v3, vcc, 0, v1, vcc
	s_waitcnt vmcnt(0)
	flat_store_dwordx2 v[2:3], v[14:15] offset:2048
	s_or_b64 exec, exec, s[14:15]
	s_and_saveexec_b64 s[14:15], s[20:21]
	s_cbranch_execz .LBB1015_257
.LBB1015_306:
	v_add_co_u32_e32 v2, vcc, 0x2000, v0
	v_addc_co_u32_e32 v3, vcc, 0, v1, vcc
	s_waitcnt vmcnt(0)
	flat_store_dwordx2 v[2:3], v[16:17]
	s_or_b64 exec, exec, s[14:15]
	s_and_saveexec_b64 s[14:15], s[10:11]
	s_cbranch_execz .LBB1015_258
.LBB1015_307:
	v_add_co_u32_e32 v2, vcc, 0x2000, v0
	v_addc_co_u32_e32 v3, vcc, 0, v1, vcc
	s_waitcnt vmcnt(0)
	flat_store_dwordx2 v[2:3], v[12:13] offset:2048
	s_or_b64 exec, exec, s[14:15]
	s_and_saveexec_b64 s[10:11], s[6:7]
	s_cbranch_execz .LBB1015_259
.LBB1015_308:
	v_add_co_u32_e32 v2, vcc, 0x3000, v0
	v_addc_co_u32_e32 v3, vcc, 0, v1, vcc
	s_waitcnt vmcnt(0)
	flat_store_dwordx2 v[2:3], v[10:11]
	s_or_b64 exec, exec, s[10:11]
	s_and_saveexec_b64 s[6:7], s[4:5]
	s_cbranch_execnz .LBB1015_260
	s_branch .LBB1015_261
.LBB1015_309:
	s_or_b64 exec, exec, s[40:41]
	v_lshlrev_b32_e32 v1, 1, v22
	v_add_co_u32_e32 v10, vcc, v12, v1
	v_addc_co_u32_e32 v11, vcc, 0, v13, vcc
	v_mad_u64_u32 v[4:5], s[4:5], v4, 6, v[80:81]
	s_barrier
	flat_store_short v[80:81], v103
	flat_store_short v[82:83], v101
	;; [unrolled: 1-line block ×4, first 2 shown]
	s_waitcnt lgkmcnt(0)
	s_barrier
	flat_load_ushort v19, v[10:11]
	flat_load_ushort v18, v[10:11] offset:512
	flat_load_ushort v17, v[10:11] offset:1024
	;; [unrolled: 1-line block ×3, first 2 shown]
	s_waitcnt lgkmcnt(0)
	s_barrier
	flat_store_dwordx2 v[4:5], v[50:51]
	v_mad_u64_u32 v[4:5], s[4:5], v66, 6, v[82:83]
	flat_store_dwordx2 v[4:5], v[38:39]
	v_mad_u64_u32 v[4:5], s[4:5], v68, 6, v[84:85]
	;; [unrolled: 2-line block ×3, first 2 shown]
	v_mad_u64_u32 v[20:21], s[4:5], v22, 6, v[10:11]
	s_movk_i32 s4, 0x1000
	v_add_co_u32_e32 v22, vcc, s4, v20
	flat_store_dwordx2 v[4:5], v[34:35]
	s_waitcnt lgkmcnt(0)
	s_barrier
	v_addc_co_u32_e32 v23, vcc, 0, v21, vcc
	flat_load_dwordx2 v[14:15], v[20:21]
	flat_load_dwordx2 v[12:13], v[20:21] offset:2048
	flat_load_dwordx2 v[10:11], v[22:23]
	flat_load_dwordx2 v[4:5], v[22:23] offset:2048
	v_mov_b32_e32 v1, 0
	v_add_co_u32_e32 v20, vcc, v2, v24
	v_addc_co_u32_e32 v21, vcc, v3, v25, vcc
	v_lshlrev_b64 v[2:3], 1, v[0:1]
	v_add_co_u32_e32 v2, vcc, v20, v2
	v_addc_co_u32_e32 v3, vcc, v21, v3, vcc
	v_cmp_lt_u32_e32 vcc, v0, v106
	s_waitcnt lgkmcnt(0)
	s_barrier
	s_and_saveexec_b64 s[4:5], vcc
	s_cbranch_execz .LBB1015_311
; %bb.310:
	s_waitcnt vmcnt(0)
	v_xor_b32_e32 v19, 0xffff8000, v19
	flat_store_short v[2:3], v19
.LBB1015_311:
	s_or_b64 exec, exec, s[4:5]
	s_waitcnt vmcnt(0)
	v_add_u32_e32 v19, 0x100, v0
	v_cmp_lt_u32_e64 s[4:5], v19, v106
	s_and_saveexec_b64 s[6:7], s[4:5]
	s_cbranch_execz .LBB1015_313
; %bb.312:
	v_xor_b32_e32 v18, 0xffff8000, v18
	flat_store_short v[2:3], v18 offset:512
.LBB1015_313:
	s_or_b64 exec, exec, s[6:7]
	v_add_u32_e32 v18, 0x200, v0
	v_cmp_lt_u32_e64 s[10:11], v18, v106
	s_and_saveexec_b64 s[6:7], s[10:11]
	s_cbranch_execz .LBB1015_315
; %bb.314:
	v_xor_b32_e32 v17, 0xffff8000, v17
	flat_store_short v[2:3], v17 offset:1024
.LBB1015_315:
	s_or_b64 exec, exec, s[6:7]
	;; [unrolled: 9-line block ×3, first 2 shown]
	v_add_co_u32_e64 v2, s[14:15], v6, v8
	v_addc_co_u32_e64 v3, s[14:15], v7, v9, s[14:15]
	v_lshlrev_b64 v[0:1], 3, v[0:1]
	v_add_co_u32_e64 v0, s[14:15], v2, v0
	v_addc_co_u32_e64 v1, s[14:15], v3, v1, s[14:15]
	s_and_saveexec_b64 s[14:15], vcc
	s_cbranch_execnz .LBB1015_350
; %bb.318:
	s_or_b64 exec, exec, s[14:15]
	s_and_saveexec_b64 s[14:15], s[4:5]
	s_cbranch_execnz .LBB1015_351
.LBB1015_319:
	s_or_b64 exec, exec, s[14:15]
	s_and_saveexec_b64 s[4:5], s[10:11]
	s_cbranch_execnz .LBB1015_352
.LBB1015_320:
	s_or_b64 exec, exec, s[4:5]
	s_and_saveexec_b64 s[4:5], s[6:7]
	s_cbranch_execz .LBB1015_322
.LBB1015_321:
	v_add_co_u32_e32 v0, vcc, 0x1000, v0
	v_addc_co_u32_e32 v1, vcc, 0, v1, vcc
	flat_store_dwordx2 v[0:1], v[4:5] offset:2048
.LBB1015_322:
	s_or_b64 exec, exec, s[4:5]
                                        ; implicit-def: $vgpr106
                                        ; implicit-def: $vgpr0
                                        ; implicit-def: $vgpr1
                                        ; implicit-def: $vgpr2
                                        ; implicit-def: $vgpr3
                                        ; implicit-def: $vgpr4
                                        ; implicit-def: $vgpr5
                                        ; implicit-def: $vgpr6
                                        ; implicit-def: $vgpr7
                                        ; implicit-def: $vgpr8
                                        ; implicit-def: $vgpr10
                                        ; implicit-def: $vgpr11
                                        ; implicit-def: $vgpr12
                                        ; implicit-def: $vgpr13
                                        ; implicit-def: $vgpr31
                                        ; implicit-def: $vgpr14
                                        ; implicit-def: $vgpr16
                                        ; implicit-def: $vgpr15
.LBB1015_323:
	s_andn2_saveexec_b64 s[4:5], s[38:39]
	s_cbranch_execz .LBB1015_382
; %bb.324:
	s_load_dwordx2 s[4:5], s[8:9], 0x0
	v_mov_b32_e32 v9, 0
	s_waitcnt vmcnt(0)
	v_and_b32_e32 v26, 0x3ff, v31
	v_lshlrev_b64 v[24:25], 1, v[8:9]
	s_waitcnt lgkmcnt(0)
	s_cmp_lt_u32 s12, s4
	s_cselect_b32 s6, 12, 18
	s_cmp_lt_u32 s13, s5
	s_cselect_b32 s4, 14, 20
	s_add_u32 s4, s8, s4
	s_addc_u32 s5, s9, 0
	s_add_u32 s6, s8, s6
	global_load_ushort v17, v9, s[4:5]
	s_addc_u32 s7, s9, 0
	global_load_ushort v18, v9, s[6:7]
	s_movk_i32 s4, 0x100
	v_cmp_lt_u32_e32 vcc, s4, v106
	s_waitcnt vmcnt(1)
	v_mad_u32_u24 v14, v16, v17, v14
	s_waitcnt vmcnt(0)
	v_mad_u64_u32 v[22:23], s[4:5], v14, v18, v[26:27]
	s_and_saveexec_b64 s[4:5], vcc
	s_xor_b64 s[34:35], exec, s[4:5]
	s_cbranch_execz .LBB1015_362
; %bb.325:
	v_mbcnt_hi_u32_b32 v17, -1, v15
	v_add_co_u32_e32 v0, vcc, v0, v24
	v_and_b32_e32 v16, 63, v17
	v_addc_co_u32_e32 v1, vcc, v1, v25, vcc
	v_lshlrev_b32_e32 v14, 1, v22
	v_lshlrev_b32_e32 v15, 1, v16
	v_and_b32_e32 v14, 0xffffff80, v14
	v_add_co_u32_e32 v18, vcc, v0, v15
	v_mov_b32_e32 v15, v9
	v_addc_co_u32_e32 v19, vcc, 0, v1, vcc
	v_lshlrev_b64 v[0:1], 1, v[14:15]
	v_add_co_u32_e32 v0, vcc, v18, v0
	v_addc_co_u32_e32 v1, vcc, v19, v1, vcc
	v_or_b32_e32 v18, v16, v14
	v_cmp_lt_u32_e32 vcc, v18, v106
	v_mov_b32_e32 v23, 0x7fff7fff
	s_and_saveexec_b64 s[4:5], vcc
	s_cbranch_execz .LBB1015_327
; %bb.326:
	flat_load_ushort v19, v[0:1]
	s_movk_i32 s6, 0x7fff
	v_mov_b32_e32 v20, 0x5040100
	s_waitcnt vmcnt(0) lgkmcnt(0)
	v_perm_b32 v23, s6, v19, v20
.LBB1015_327:
	s_or_b64 exec, exec, s[4:5]
	v_or_b32_e32 v18, 64, v18
	v_cmp_lt_u32_e64 s[4:5], v18, v106
	s_and_saveexec_b64 s[6:7], s[4:5]
	s_cbranch_execz .LBB1015_329
; %bb.328:
	flat_load_ushort v0, v[0:1] offset:128
	s_mov_b32 s8, 0x5040100
	s_waitcnt vmcnt(0) lgkmcnt(0)
	v_perm_b32 v23, v0, v23, s8
.LBB1015_329:
	s_or_b64 exec, exec, s[6:7]
	v_lshlrev_b64 v[0:1], 3, v[8:9]
	v_add_co_u32_e64 v4, s[6:7], v4, v0
	v_addc_co_u32_e64 v5, s[6:7], v5, v1, s[6:7]
	v_lshlrev_b32_e32 v8, 3, v16
	v_add_co_u32_e64 v8, s[6:7], v4, v8
	v_addc_co_u32_e64 v9, s[6:7], 0, v5, s[6:7]
	v_lshlrev_b64 v[4:5], 3, v[14:15]
	v_add_co_u32_e64 v4, s[6:7], v8, v4
	v_addc_co_u32_e64 v5, s[6:7], v9, v5, s[6:7]
                                        ; implicit-def: $vgpr18_vgpr19
	s_and_saveexec_b64 s[6:7], vcc
	s_cbranch_execz .LBB1015_331
; %bb.330:
	flat_load_dwordx2 v[18:19], v[4:5]
.LBB1015_331:
	s_or_b64 exec, exec, s[6:7]
                                        ; implicit-def: $vgpr20_vgpr21
	s_and_saveexec_b64 s[6:7], s[4:5]
	s_cbranch_execz .LBB1015_333
; %bb.332:
	flat_load_dwordx2 v[20:21], v[4:5] offset:512
.LBB1015_333:
	s_or_b64 exec, exec, s[6:7]
	v_xor_b32_e32 v65, 0x80008000, v23
	v_add_co_u32_e32 v23, vcc, 16, v12
	v_and_b32_e32 v15, 0x3c0, v26
	v_addc_co_u32_e32 v27, vcc, 0, v13, vcc
	v_lshlrev_b32_e32 v8, 4, v26
	v_min_u32_e32 v15, 0xc0, v15
	v_add_co_u32_e32 v8, vcc, v12, v8
	v_or_b32_e32 v15, 63, v15
	s_getpc_b64 s[4:5]
	s_add_u32 s4, s4, _ZN7rocprim17ROCPRIM_400000_NS16block_radix_sortIsLj256ELj2ElLj1ELj1ELj8ELNS0_26block_radix_rank_algorithmE2ELNS0_18block_padding_hintE2ELNS0_4arch9wavefront6targetE1EE19radix_bits_per_passE@rel32@lo+4
	s_addc_u32 s5, s5, _ZN7rocprim17ROCPRIM_400000_NS16block_radix_sortIsLj256ELj2ElLj1ELj1ELj8ELNS0_26block_radix_rank_algorithmE2ELNS0_18block_padding_hintE2ELNS0_4arch9wavefront6targetE1EE19radix_bits_per_passE@rel32@hi+12
	v_addc_co_u32_e32 v9, vcc, 0, v13, vcc
	v_and_b32_e32 v14, 15, v17
	v_cmp_eq_u32_e64 s[14:15], v15, v26
	v_add_u32_e32 v15, -1, v17
	v_and_b32_e32 v28, 64, v17
	s_load_dword s40, s[4:5], 0x0
	v_cmp_eq_u32_e32 vcc, 0, v14
	v_cmp_lt_u32_e64 s[4:5], 1, v14
	v_cmp_lt_u32_e64 s[6:7], 3, v14
	;; [unrolled: 1-line block ×3, first 2 shown]
	v_and_b32_e32 v14, 16, v17
	v_cmp_lt_i32_e64 s[20:21], v15, v28
	v_cmp_eq_u32_e64 s[10:11], 0, v14
	v_lshrrev_b32_e32 v14, 6, v26
	v_cndmask_b32_e64 v15, v15, v17, s[20:21]
	v_lshlrev_b32_e32 v66, 2, v15
	v_lshlrev_b32_e32 v15, 2, v14
	v_add_co_u32_e64 v28, s[24:25], v12, v15
	v_lshlrev_b32_e32 v4, 2, v26
	v_addc_co_u32_e64 v29, s[24:25], 0, v13, s[24:25]
	v_add_co_u32_e64 v30, s[24:25], v12, v4
	v_addc_co_u32_e64 v31, s[24:25], 0, v13, s[24:25]
	v_and_b32_e32 v4, 3, v17
	v_mov_b32_e32 v5, 0
	v_cmp_eq_u32_e64 s[24:25], 0, v4
	v_cmp_lt_u32_e64 s[26:27], 1, v4
	v_add_u32_e32 v4, -1, v14
	v_lshlrev_b64 v[14:15], 2, v[4:5]
	v_add_co_u32_e64 v32, s[28:29], v12, v14
	v_addc_co_u32_e64 v33, s[28:29], v13, v15, s[28:29]
	v_lshlrev_b32_e32 v4, 1, v26
	s_movk_i32 s28, 0x780
	v_and_or_b32 v4, v4, s28, v16
	v_lshlrev_b32_e32 v14, 1, v4
	v_add_co_u32_e64 v38, s[28:29], v12, v14
	v_addc_co_u32_e64 v39, s[28:29], 0, v13, s[28:29]
	v_lshrrev_b32_e32 v64, 6, v22
	v_cmp_lt_u32_e64 s[12:13], 31, v17
	v_cmp_gt_u32_e64 s[16:17], 4, v26
	v_cmp_lt_u32_e64 s[18:19], 63, v26
	v_cmp_eq_u32_e64 s[20:21], 0, v17
	v_cmp_eq_u32_e64 s[22:23], 0, v26
	v_mad_u64_u32 v[48:49], s[28:29], v4, 6, v[38:39]
	v_sub_u32_e32 v67, v11, v10
	s_mov_b64 s[36:37], 0
	v_mov_b32_e32 v14, v5
	v_mov_b32_e32 v15, v5
	v_mov_b32_e32 v16, v5
	v_mov_b32_e32 v17, v5
	s_mov_b32 s41, 0x5040100
	s_waitcnt lgkmcnt(0)
	s_barrier
	s_branch .LBB1015_335
.LBB1015_334:                           ;   in Loop: Header=BB1015_335 Depth=1
	s_or_b64 exec, exec, s[30:31]
	s_and_b64 s[28:29], exec, s[38:39]
	s_or_b64 s[36:37], s[28:29], s[36:37]
	s_andn2_b64 exec, exec, s[36:37]
	s_cbranch_execz .LBB1015_353
.LBB1015_335:                           ; =>This Inner Loop Header: Depth=1
	v_min_u32_e32 v4, s40, v67
	v_lshlrev_b32_e64 v4, v4, -1
	s_waitcnt vmcnt(0)
	v_pk_mov_b32 v[34:35], v[20:21], v[20:21] op_sel:[0,1]
	v_not_b32_e32 v20, v4
	v_lshrrev_b32_sdwa v4, v10, v65 dst_sel:DWORD dst_unused:UNUSED_PAD src0_sel:DWORD src1_sel:WORD_0
	v_and_b32_e32 v4, v4, v20
	v_pk_mov_b32 v[36:37], v[18:19], v[18:19] op_sel:[0,1]
	v_lshlrev_b32_e32 v18, 2, v4
	v_add_lshl_u32 v18, v18, v64, 2
	v_add_co_u32_e64 v50, s[28:29], v23, v18
	v_addc_co_u32_e64 v51, s[28:29], 0, v27, s[28:29]
	v_and_b32_e32 v18, 1, v4
	v_add_co_u32_e64 v19, s[28:29], -1, v18
	v_addc_co_u32_e64 v21, s[28:29], 0, -1, s[28:29]
	v_cmp_ne_u32_e64 s[28:29], 0, v18
	v_xor_b32_e32 v18, s29, v21
	v_xor_b32_e32 v19, s28, v19
	v_and_b32_e32 v21, exec_hi, v18
	v_and_b32_e32 v52, exec_lo, v19
	v_lshlrev_b32_e32 v19, 30, v4
	v_mov_b32_e32 v18, v5
	v_cmp_gt_i64_e64 s[28:29], 0, v[18:19]
	v_not_b32_e32 v18, v19
	v_ashrrev_i32_e32 v18, 31, v18
	v_xor_b32_e32 v19, s29, v18
	v_xor_b32_e32 v18, s28, v18
	v_and_b32_e32 v21, v21, v19
	v_and_b32_e32 v52, v52, v18
	v_lshlrev_b32_e32 v19, 29, v4
	v_mov_b32_e32 v18, v5
	v_cmp_gt_i64_e64 s[28:29], 0, v[18:19]
	v_not_b32_e32 v18, v19
	v_ashrrev_i32_e32 v18, 31, v18
	v_xor_b32_e32 v19, s29, v18
	v_xor_b32_e32 v18, s28, v18
	v_and_b32_e32 v21, v21, v19
	v_and_b32_e32 v52, v52, v18
	;; [unrolled: 9-line block ×5, first 2 shown]
	v_lshlrev_b32_e32 v19, 25, v4
	v_mov_b32_e32 v18, v5
	v_cmp_gt_i64_e64 s[28:29], 0, v[18:19]
	v_not_b32_e32 v18, v19
	v_ashrrev_i32_e32 v18, 31, v18
	v_xor_b32_e32 v19, s29, v18
	v_xor_b32_e32 v18, s28, v18
	v_and_b32_e32 v21, v21, v19
	v_lshlrev_b32_e32 v19, 24, v4
	v_and_b32_e32 v52, v52, v18
	v_mov_b32_e32 v18, v5
	v_not_b32_e32 v4, v19
	v_cmp_gt_i64_e64 s[28:29], 0, v[18:19]
	v_ashrrev_i32_e32 v4, 31, v4
	v_xor_b32_e32 v18, s29, v4
	v_xor_b32_e32 v4, s28, v4
	v_and_b32_e32 v19, v21, v18
	v_and_b32_e32 v18, v52, v4
	v_mbcnt_lo_u32_b32 v4, v18, 0
	v_mbcnt_hi_u32_b32 v4, v19, v4
	v_cmp_eq_u32_e64 s[28:29], 0, v4
	v_cmp_ne_u64_e64 s[30:31], 0, v[18:19]
	s_and_b64 s[30:31], s[30:31], s[28:29]
	flat_store_dwordx4 v[8:9], v[14:17] offset:16
	s_waitcnt lgkmcnt(0)
	s_barrier
	s_waitcnt lgkmcnt(0)
	; wave barrier
	s_and_saveexec_b64 s[28:29], s[30:31]
	s_cbranch_execz .LBB1015_337
; %bb.336:                              ;   in Loop: Header=BB1015_335 Depth=1
	v_bcnt_u32_b32 v18, v18, 0
	v_bcnt_u32_b32 v18, v19, v18
	flat_store_dword v[50:51], v18
.LBB1015_337:                           ;   in Loop: Header=BB1015_335 Depth=1
	s_or_b64 exec, exec, s[28:29]
	v_lshrrev_b32_e32 v68, 16, v65
	v_lshrrev_b32_e32 v18, v10, v68
	v_and_b32_e32 v20, v18, v20
	v_lshlrev_b32_e32 v18, 2, v20
	v_add_lshl_u32 v18, v18, v64, 2
	v_add_co_u32_e64 v52, s[28:29], v23, v18
	v_addc_co_u32_e64 v53, s[28:29], 0, v27, s[28:29]
	; wave barrier
	flat_load_dword v54, v[52:53]
	v_and_b32_e32 v18, 1, v20
	v_add_co_u32_e64 v19, s[28:29], -1, v18
	v_addc_co_u32_e64 v21, s[28:29], 0, -1, s[28:29]
	v_cmp_ne_u32_e64 s[28:29], 0, v18
	v_xor_b32_e32 v18, s29, v21
	v_xor_b32_e32 v19, s28, v19
	v_and_b32_e32 v21, exec_hi, v18
	v_and_b32_e32 v55, exec_lo, v19
	v_lshlrev_b32_e32 v19, 30, v20
	v_mov_b32_e32 v18, v5
	v_cmp_gt_i64_e64 s[28:29], 0, v[18:19]
	v_not_b32_e32 v18, v19
	v_ashrrev_i32_e32 v18, 31, v18
	v_xor_b32_e32 v19, s29, v18
	v_xor_b32_e32 v18, s28, v18
	v_and_b32_e32 v21, v21, v19
	v_and_b32_e32 v55, v55, v18
	v_lshlrev_b32_e32 v19, 29, v20
	v_mov_b32_e32 v18, v5
	v_cmp_gt_i64_e64 s[28:29], 0, v[18:19]
	v_not_b32_e32 v18, v19
	v_ashrrev_i32_e32 v18, 31, v18
	v_xor_b32_e32 v19, s29, v18
	v_xor_b32_e32 v18, s28, v18
	v_and_b32_e32 v21, v21, v19
	v_and_b32_e32 v55, v55, v18
	;; [unrolled: 9-line block ×7, first 2 shown]
	v_mbcnt_lo_u32_b32 v20, v18, 0
	v_mbcnt_hi_u32_b32 v55, v19, v20
	v_cmp_eq_u32_e64 s[28:29], 0, v55
	v_cmp_ne_u64_e64 s[30:31], 0, v[18:19]
	s_and_b64 s[30:31], s[30:31], s[28:29]
	; wave barrier
	s_and_saveexec_b64 s[28:29], s[30:31]
	s_cbranch_execz .LBB1015_339
; %bb.338:                              ;   in Loop: Header=BB1015_335 Depth=1
	v_bcnt_u32_b32 v18, v18, 0
	v_bcnt_u32_b32 v18, v19, v18
	s_waitcnt vmcnt(0) lgkmcnt(0)
	v_add_u32_e32 v18, v54, v18
	flat_store_dword v[52:53], v18
.LBB1015_339:                           ;   in Loop: Header=BB1015_335 Depth=1
	s_or_b64 exec, exec, s[28:29]
	; wave barrier
	s_waitcnt lgkmcnt(0)
	s_barrier
	flat_load_dwordx4 v[18:21], v[8:9] offset:16
	s_waitcnt vmcnt(0) lgkmcnt(0)
	v_add_u32_e32 v69, v19, v18
	v_add3_u32 v21, v69, v20, v21
	s_nop 1
	v_mov_b32_dpp v69, v21 row_shr:1 row_mask:0xf bank_mask:0xf
	v_cndmask_b32_e64 v69, v69, 0, vcc
	v_add_u32_e32 v21, v69, v21
	s_nop 1
	v_mov_b32_dpp v69, v21 row_shr:2 row_mask:0xf bank_mask:0xf
	v_cndmask_b32_e64 v69, 0, v69, s[4:5]
	v_add_u32_e32 v21, v21, v69
	s_nop 1
	v_mov_b32_dpp v69, v21 row_shr:4 row_mask:0xf bank_mask:0xf
	v_cndmask_b32_e64 v69, 0, v69, s[6:7]
	v_add_u32_e32 v21, v21, v69
	s_nop 1
	v_mov_b32_dpp v69, v21 row_shr:8 row_mask:0xf bank_mask:0xf
	v_cndmask_b32_e64 v69, 0, v69, s[8:9]
	v_add_u32_e32 v21, v21, v69
	s_nop 1
	v_mov_b32_dpp v69, v21 row_bcast:15 row_mask:0xf bank_mask:0xf
	v_cndmask_b32_e64 v69, v69, 0, s[10:11]
	v_add_u32_e32 v21, v21, v69
	s_nop 1
	v_mov_b32_dpp v69, v21 row_bcast:31 row_mask:0xf bank_mask:0xf
	v_cndmask_b32_e64 v69, 0, v69, s[12:13]
	v_add_u32_e32 v21, v21, v69
	s_and_saveexec_b64 s[28:29], s[14:15]
	s_cbranch_execz .LBB1015_341
; %bb.340:                              ;   in Loop: Header=BB1015_335 Depth=1
	flat_store_dword v[28:29], v21
.LBB1015_341:                           ;   in Loop: Header=BB1015_335 Depth=1
	s_or_b64 exec, exec, s[28:29]
	s_waitcnt lgkmcnt(0)
	s_barrier
	s_and_saveexec_b64 s[28:29], s[16:17]
	s_cbranch_execz .LBB1015_343
; %bb.342:                              ;   in Loop: Header=BB1015_335 Depth=1
	flat_load_dword v69, v[30:31]
	s_waitcnt vmcnt(0) lgkmcnt(0)
	s_nop 0
	v_mov_b32_dpp v70, v69 row_shr:1 row_mask:0xf bank_mask:0xf
	v_cndmask_b32_e64 v70, v70, 0, s[24:25]
	v_add_u32_e32 v69, v70, v69
	s_nop 1
	v_mov_b32_dpp v70, v69 row_shr:2 row_mask:0xf bank_mask:0xf
	v_cndmask_b32_e64 v70, 0, v70, s[26:27]
	v_add_u32_e32 v69, v69, v70
	flat_store_dword v[30:31], v69
.LBB1015_343:                           ;   in Loop: Header=BB1015_335 Depth=1
	s_or_b64 exec, exec, s[28:29]
	v_mov_b32_e32 v69, 0
	s_waitcnt lgkmcnt(0)
	s_barrier
	s_and_saveexec_b64 s[28:29], s[18:19]
	s_cbranch_execz .LBB1015_345
; %bb.344:                              ;   in Loop: Header=BB1015_335 Depth=1
	flat_load_dword v69, v[32:33]
.LBB1015_345:                           ;   in Loop: Header=BB1015_335 Depth=1
	s_or_b64 exec, exec, s[28:29]
	s_waitcnt vmcnt(0) lgkmcnt(0)
	v_add_u32_e32 v21, v69, v21
	ds_bpermute_b32 v21, v66, v21
	v_add_u32_e32 v10, 8, v10
	v_cmp_lt_u32_e64 s[28:29], v10, v11
	s_mov_b64 s[38:39], -1
	s_waitcnt lgkmcnt(0)
	v_cndmask_b32_e64 v21, v21, v69, s[20:21]
	v_cndmask_b32_e64 v80, v21, 0, s[22:23]
	v_add_u32_e32 v81, v80, v18
	v_add_u32_e32 v82, v81, v19
	;; [unrolled: 1-line block ×3, first 2 shown]
	flat_store_dwordx4 v[8:9], v[80:83] offset:16
	s_waitcnt lgkmcnt(0)
	s_barrier
	flat_load_dword v18, v[50:51]
	flat_load_dword v19, v[52:53]
	v_mov_b32_e32 v51, v5
	v_mov_b32_e32 v69, v65
	s_waitcnt vmcnt(0) lgkmcnt(0)
	v_add_u32_e32 v4, v18, v4
	v_add3_u32 v50, v55, v54, v19
	v_lshlrev_b64 v[18:19], 1, v[4:5]
	v_add_co_u32_e64 v52, s[30:31], v12, v18
	v_lshlrev_b64 v[20:21], 1, v[50:51]
	v_addc_co_u32_e64 v53, s[30:31], v13, v19, s[30:31]
	v_add_co_u32_e64 v54, s[30:31], v12, v20
	v_addc_co_u32_e64 v55, s[30:31], v13, v21, s[30:31]
                                        ; implicit-def: $vgpr20_vgpr21
                                        ; implicit-def: $vgpr18_vgpr19
	s_and_saveexec_b64 s[30:31], s[28:29]
	s_cbranch_execz .LBB1015_334
; %bb.346:                              ;   in Loop: Header=BB1015_335 Depth=1
	v_mad_u64_u32 v[18:19], s[28:29], v4, 6, v[52:53]
	s_barrier
	flat_store_short v[52:53], v65
	flat_store_short v[54:55], v68
	s_waitcnt lgkmcnt(0)
	s_barrier
	flat_load_ushort v51, v[38:39]
	flat_load_ushort v65, v[38:39] offset:128
	s_waitcnt lgkmcnt(0)
	s_barrier
	flat_store_dwordx2 v[18:19], v[36:37]
	v_mad_u64_u32 v[18:19], s[28:29], v50, 6, v[54:55]
	flat_store_dwordx2 v[18:19], v[34:35]
	s_waitcnt lgkmcnt(0)
	s_barrier
	flat_load_dwordx2 v[18:19], v[48:49]
	flat_load_dwordx2 v[20:21], v[48:49] offset:512
	v_add_u32_e32 v67, -8, v67
	s_xor_b64 s[38:39], exec, -1
	s_waitcnt lgkmcnt(0)
	s_barrier
	s_waitcnt vmcnt(0)
	v_perm_b32 v65, v65, v51, s41
	s_branch .LBB1015_334
.LBB1015_347:
	flat_load_dwordx2 v[18:19], v[4:5]
	s_or_b64 exec, exec, s[14:15]
                                        ; implicit-def: $vgpr20_vgpr21
	s_and_saveexec_b64 s[14:15], s[4:5]
	s_cbranch_execz .LBB1015_274
.LBB1015_348:
	flat_load_dwordx2 v[20:21], v[4:5] offset:512
	s_or_b64 exec, exec, s[14:15]
                                        ; implicit-def: $vgpr54_vgpr55
	s_and_saveexec_b64 s[4:5], s[6:7]
	s_cbranch_execz .LBB1015_275
.LBB1015_349:
	flat_load_dwordx2 v[54:55], v[4:5] offset:1024
	s_or_b64 exec, exec, s[4:5]
                                        ; implicit-def: $vgpr64_vgpr65
	s_and_saveexec_b64 s[4:5], s[10:11]
	s_cbranch_execnz .LBB1015_276
	s_branch .LBB1015_277
.LBB1015_350:
	flat_store_dwordx2 v[0:1], v[14:15]
	s_or_b64 exec, exec, s[14:15]
	s_and_saveexec_b64 s[14:15], s[4:5]
	s_cbranch_execz .LBB1015_319
.LBB1015_351:
	flat_store_dwordx2 v[0:1], v[12:13] offset:2048
	s_or_b64 exec, exec, s[14:15]
	s_and_saveexec_b64 s[4:5], s[10:11]
	s_cbranch_execz .LBB1015_320
.LBB1015_352:
	v_add_co_u32_e32 v2, vcc, 0x1000, v0
	v_addc_co_u32_e32 v3, vcc, 0, v1, vcc
	flat_store_dwordx2 v[2:3], v[10:11]
	s_or_b64 exec, exec, s[4:5]
	s_and_saveexec_b64 s[4:5], s[6:7]
	s_cbranch_execnz .LBB1015_321
	s_branch .LBB1015_322
.LBB1015_353:
	s_or_b64 exec, exec, s[36:37]
	v_lshlrev_b32_e32 v5, 1, v26
	v_add_co_u32_e32 v8, vcc, v12, v5
	v_addc_co_u32_e32 v9, vcc, 0, v13, vcc
	v_mad_u64_u32 v[4:5], s[4:5], v4, 6, v[52:53]
	s_barrier
	flat_store_short v[52:53], v69
	flat_store_short v[54:55], v68
	s_waitcnt lgkmcnt(0)
	s_barrier
	flat_load_ushort v11, v[8:9]
	flat_load_ushort v10, v[8:9] offset:512
	s_waitcnt lgkmcnt(0)
	s_barrier
	flat_store_dwordx2 v[4:5], v[36:37]
	v_mad_u64_u32 v[4:5], s[4:5], v50, 6, v[54:55]
	v_mad_u64_u32 v[12:13], s[4:5], v26, 6, v[8:9]
	flat_store_dwordx2 v[4:5], v[34:35]
	s_waitcnt lgkmcnt(0)
	s_barrier
	flat_load_dwordx2 v[8:9], v[12:13]
	flat_load_dwordx2 v[4:5], v[12:13] offset:2048
	v_mov_b32_e32 v23, 0
	v_add_co_u32_e32 v12, vcc, v2, v24
	v_addc_co_u32_e32 v13, vcc, v3, v25, vcc
	v_lshlrev_b64 v[2:3], 1, v[22:23]
	v_add_co_u32_e32 v2, vcc, v12, v2
	v_addc_co_u32_e32 v3, vcc, v13, v3, vcc
	v_cmp_lt_u32_e32 vcc, v22, v106
	s_waitcnt lgkmcnt(0)
	s_barrier
	s_and_saveexec_b64 s[4:5], vcc
	s_cbranch_execz .LBB1015_355
; %bb.354:
	s_waitcnt vmcnt(0)
	v_xor_b32_e32 v11, 0xffff8000, v11
	flat_store_short v[2:3], v11
.LBB1015_355:
	s_or_b64 exec, exec, s[4:5]
	s_waitcnt vmcnt(0)
	v_add_u32_e32 v11, 0x100, v22
	v_cmp_lt_u32_e64 s[4:5], v11, v106
	s_and_saveexec_b64 s[6:7], s[4:5]
	s_cbranch_execz .LBB1015_357
; %bb.356:
	v_xor_b32_e32 v10, 0xffff8000, v10
	flat_store_short v[2:3], v10 offset:512
.LBB1015_357:
	s_or_b64 exec, exec, s[6:7]
	v_add_co_u32_e64 v2, s[6:7], v6, v0
	v_addc_co_u32_e64 v3, s[6:7], v7, v1, s[6:7]
	v_lshlrev_b64 v[0:1], 3, v[22:23]
	v_add_co_u32_e64 v0, s[6:7], v2, v0
	v_addc_co_u32_e64 v1, s[6:7], v3, v1, s[6:7]
	s_and_saveexec_b64 s[6:7], vcc
	s_cbranch_execz .LBB1015_359
; %bb.358:
	flat_store_dwordx2 v[0:1], v[8:9]
.LBB1015_359:
	s_or_b64 exec, exec, s[6:7]
	s_and_saveexec_b64 s[6:7], s[4:5]
	s_cbranch_execz .LBB1015_361
; %bb.360:
	flat_store_dwordx2 v[0:1], v[4:5] offset:2048
.LBB1015_361:
	s_or_b64 exec, exec, s[6:7]
                                        ; implicit-def: $vgpr26
                                        ; implicit-def: $vgpr22_vgpr23
                                        ; implicit-def: $vgpr8_vgpr9
                                        ; implicit-def: $vgpr24_vgpr25
                                        ; implicit-def: $vgpr106
                                        ; implicit-def: $vgpr0
                                        ; implicit-def: $vgpr1
                                        ; implicit-def: $vgpr2
                                        ; implicit-def: $vgpr3
                                        ; implicit-def: $vgpr4
                                        ; implicit-def: $vgpr5
                                        ; implicit-def: $vgpr6
                                        ; implicit-def: $vgpr7
                                        ; implicit-def: $vgpr10
                                        ; implicit-def: $vgpr11
                                        ; implicit-def: $vgpr12
                                        ; implicit-def: $vgpr13
                                        ; implicit-def: $vgpr15
.LBB1015_362:
	s_andn2_saveexec_b64 s[4:5], s[34:35]
	s_cbranch_execz .LBB1015_382
; %bb.363:
	v_mbcnt_hi_u32_b32 v17, -1, v15
	v_bfi_b32 v15, 63, v17, v22
	v_and_b32_e32 v16, 63, v17
	v_and_b32_e32 v14, 0xffffffc0, v22
	v_cmp_lt_u32_e32 vcc, v15, v106
	v_mov_b32_e32 v48, -1
	s_and_saveexec_b64 s[6:7], vcc
	s_cbranch_execz .LBB1015_365
; %bb.364:
	v_add_co_u32_e64 v0, s[4:5], v0, v24
	v_addc_co_u32_e64 v1, s[4:5], v1, v25, s[4:5]
	v_lshlrev_b32_e32 v18, 1, v16
	v_mov_b32_e32 v15, 0
	v_add_co_u32_e64 v18, s[4:5], v0, v18
	v_addc_co_u32_e64 v19, s[4:5], 0, v1, s[4:5]
	v_lshlrev_b64 v[0:1], 1, v[14:15]
	v_add_co_u32_e64 v0, s[4:5], v18, v0
	v_addc_co_u32_e64 v1, s[4:5], v19, v1, s[4:5]
	flat_load_ushort v0, v[0:1]
	s_waitcnt vmcnt(0) lgkmcnt(0)
	v_xor_b32_e32 v48, 0xffff8000, v0
.LBB1015_365:
	s_or_b64 exec, exec, s[6:7]
	v_lshlrev_b64 v[0:1], 3, v[8:9]
                                        ; implicit-def: $vgpr18_vgpr19
	s_and_saveexec_b64 s[4:5], vcc
	s_cbranch_execz .LBB1015_367
; %bb.366:
	v_add_co_u32_e32 v4, vcc, v4, v0
	v_addc_co_u32_e32 v5, vcc, v5, v1, vcc
	v_lshlrev_b32_e32 v8, 3, v16
	v_mov_b32_e32 v15, 0
	v_add_co_u32_e32 v8, vcc, v4, v8
	v_addc_co_u32_e32 v9, vcc, 0, v5, vcc
	v_lshlrev_b64 v[4:5], 3, v[14:15]
	v_add_co_u32_e32 v4, vcc, v8, v4
	v_addc_co_u32_e32 v5, vcc, v9, v5, vcc
	flat_load_dwordx2 v[18:19], v[4:5]
.LBB1015_367:
	s_or_b64 exec, exec, s[4:5]
	v_add_co_u32_e32 v23, vcc, 16, v12
	v_and_b32_e32 v20, 0x3c0, v26
	v_addc_co_u32_e32 v27, vcc, 0, v13, vcc
	v_lshlrev_b32_e32 v8, 4, v26
	v_min_u32_e32 v15, 0xc0, v20
	v_add_co_u32_e32 v8, vcc, v12, v8
	v_or_b32_e32 v15, 63, v15
	s_getpc_b64 s[4:5]
	s_add_u32 s4, s4, _ZN7rocprim17ROCPRIM_400000_NS16block_radix_sortIsLj256ELj1ElLj1ELj1ELj8ELNS0_26block_radix_rank_algorithmE2ELNS0_18block_padding_hintE2ELNS0_4arch9wavefront6targetE1EE19radix_bits_per_passE@rel32@lo+4
	s_addc_u32 s5, s5, _ZN7rocprim17ROCPRIM_400000_NS16block_radix_sortIsLj256ELj1ElLj1ELj1ELj8ELNS0_26block_radix_rank_algorithmE2ELNS0_18block_padding_hintE2ELNS0_4arch9wavefront6targetE1EE19radix_bits_per_passE@rel32@hi+12
	v_addc_co_u32_e32 v9, vcc, 0, v13, vcc
	v_and_b32_e32 v14, 15, v17
	v_cmp_eq_u32_e64 s[14:15], v15, v26
	v_add_u32_e32 v15, -1, v17
	v_and_b32_e32 v21, 64, v17
	s_load_dword s38, s[4:5], 0x0
	v_cmp_eq_u32_e32 vcc, 0, v14
	v_cmp_lt_u32_e64 s[4:5], 1, v14
	v_cmp_lt_u32_e64 s[6:7], 3, v14
	;; [unrolled: 1-line block ×3, first 2 shown]
	v_and_b32_e32 v14, 16, v17
	v_cmp_lt_i32_e64 s[20:21], v15, v21
	v_cmp_eq_u32_e64 s[10:11], 0, v14
	v_lshrrev_b32_e32 v14, 6, v26
	v_cndmask_b32_e64 v15, v15, v17, s[20:21]
	v_lshlrev_b32_e32 v51, 2, v15
	v_lshlrev_b32_e32 v15, 2, v14
	v_add_co_u32_e64 v28, s[24:25], v12, v15
	v_lshlrev_b32_e32 v4, 2, v26
	v_addc_co_u32_e64 v29, s[24:25], 0, v13, s[24:25]
	v_add_co_u32_e64 v30, s[24:25], v12, v4
	v_addc_co_u32_e64 v31, s[24:25], 0, v13, s[24:25]
	v_and_b32_e32 v4, 3, v17
	v_mov_b32_e32 v5, 0
	v_cmp_eq_u32_e64 s[24:25], 0, v4
	v_cmp_lt_u32_e64 s[26:27], 1, v4
	v_add_u32_e32 v4, -1, v14
	v_lshlrev_b64 v[14:15], 2, v[4:5]
	v_add_co_u32_e64 v32, s[28:29], v12, v14
	v_or_b32_e32 v4, v16, v20
	v_addc_co_u32_e64 v33, s[28:29], v13, v15, s[28:29]
	v_lshlrev_b32_e32 v14, 1, v4
	v_add_co_u32_e64 v36, s[28:29], v12, v14
	v_addc_co_u32_e64 v37, s[28:29], 0, v13, s[28:29]
	v_lshrrev_b32_e32 v50, 6, v22
	v_cmp_lt_u32_e64 s[12:13], 31, v17
	v_cmp_gt_u32_e64 s[16:17], 4, v26
	v_cmp_lt_u32_e64 s[18:19], 63, v26
	v_cmp_eq_u32_e64 s[20:21], 0, v17
	v_cmp_eq_u32_e64 s[22:23], 0, v26
	v_mad_u64_u32 v[38:39], s[28:29], v4, 6, v[36:37]
	v_sub_u32_e32 v52, v11, v10
	s_mov_b64 s[34:35], 0
	v_mov_b32_e32 v14, v5
	v_mov_b32_e32 v15, v5
	;; [unrolled: 1-line block ×4, first 2 shown]
	s_waitcnt lgkmcnt(0)
	s_barrier
	s_branch .LBB1015_369
.LBB1015_368:                           ;   in Loop: Header=BB1015_369 Depth=1
	s_or_b64 exec, exec, s[30:31]
	s_and_b64 s[28:29], exec, s[36:37]
	s_or_b64 s[34:35], s[28:29], s[34:35]
	s_andn2_b64 exec, exec, s[34:35]
	s_cbranch_execz .LBB1015_379
.LBB1015_369:                           ; =>This Inner Loop Header: Depth=1
	s_waitcnt vmcnt(0)
	v_mov_b32_e32 v53, v48
	s_waitcnt vmcnt(0)
	v_pk_mov_b32 v[34:35], v[18:19], v[18:19] op_sel:[0,1]
	v_min_u32_e32 v4, s38, v52
	v_lshrrev_b32_sdwa v18, v10, v53 dst_sel:DWORD dst_unused:UNUSED_PAD src0_sel:DWORD src1_sel:WORD_0
	v_bfe_u32 v4, v18, 0, v4
	v_lshlrev_b32_e32 v18, 2, v4
	v_add_lshl_u32 v18, v18, v50, 2
	v_add_co_u32_e64 v48, s[28:29], v23, v18
	v_addc_co_u32_e64 v49, s[28:29], 0, v27, s[28:29]
	v_and_b32_e32 v18, 1, v4
	v_add_co_u32_e64 v19, s[28:29], -1, v18
	v_addc_co_u32_e64 v20, s[28:29], 0, -1, s[28:29]
	v_cmp_ne_u32_e64 s[28:29], 0, v18
	v_xor_b32_e32 v18, s29, v20
	v_xor_b32_e32 v19, s28, v19
	v_and_b32_e32 v20, exec_hi, v18
	v_and_b32_e32 v21, exec_lo, v19
	v_lshlrev_b32_e32 v19, 30, v4
	v_mov_b32_e32 v18, v5
	v_cmp_gt_i64_e64 s[28:29], 0, v[18:19]
	v_not_b32_e32 v18, v19
	v_ashrrev_i32_e32 v18, 31, v18
	v_xor_b32_e32 v19, s29, v18
	v_xor_b32_e32 v18, s28, v18
	v_and_b32_e32 v20, v20, v19
	v_and_b32_e32 v21, v21, v18
	v_lshlrev_b32_e32 v19, 29, v4
	v_mov_b32_e32 v18, v5
	v_cmp_gt_i64_e64 s[28:29], 0, v[18:19]
	v_not_b32_e32 v18, v19
	v_ashrrev_i32_e32 v18, 31, v18
	v_xor_b32_e32 v19, s29, v18
	v_xor_b32_e32 v18, s28, v18
	v_and_b32_e32 v20, v20, v19
	v_and_b32_e32 v21, v21, v18
	;; [unrolled: 9-line block ×5, first 2 shown]
	v_lshlrev_b32_e32 v19, 25, v4
	v_mov_b32_e32 v18, v5
	v_cmp_gt_i64_e64 s[28:29], 0, v[18:19]
	v_not_b32_e32 v18, v19
	v_ashrrev_i32_e32 v18, 31, v18
	v_xor_b32_e32 v19, s29, v18
	v_xor_b32_e32 v18, s28, v18
	v_and_b32_e32 v20, v20, v19
	v_lshlrev_b32_e32 v19, 24, v4
	v_and_b32_e32 v21, v21, v18
	v_mov_b32_e32 v18, v5
	v_not_b32_e32 v4, v19
	v_cmp_gt_i64_e64 s[28:29], 0, v[18:19]
	v_ashrrev_i32_e32 v4, 31, v4
	v_xor_b32_e32 v18, s29, v4
	v_xor_b32_e32 v4, s28, v4
	v_and_b32_e32 v19, v20, v18
	v_and_b32_e32 v18, v21, v4
	v_mbcnt_lo_u32_b32 v4, v18, 0
	v_mbcnt_hi_u32_b32 v4, v19, v4
	v_cmp_eq_u32_e64 s[28:29], 0, v4
	v_cmp_ne_u64_e64 s[30:31], 0, v[18:19]
	s_and_b64 s[30:31], s[30:31], s[28:29]
	flat_store_dwordx4 v[8:9], v[14:17] offset:16
	s_waitcnt lgkmcnt(0)
	s_barrier
	s_waitcnt lgkmcnt(0)
	; wave barrier
	s_and_saveexec_b64 s[28:29], s[30:31]
	s_cbranch_execz .LBB1015_371
; %bb.370:                              ;   in Loop: Header=BB1015_369 Depth=1
	v_bcnt_u32_b32 v18, v18, 0
	v_bcnt_u32_b32 v18, v19, v18
	flat_store_dword v[48:49], v18
.LBB1015_371:                           ;   in Loop: Header=BB1015_369 Depth=1
	s_or_b64 exec, exec, s[28:29]
	; wave barrier
	s_waitcnt lgkmcnt(0)
	s_barrier
	flat_load_dwordx4 v[18:21], v[8:9] offset:16
	s_waitcnt vmcnt(0) lgkmcnt(0)
	v_add_u32_e32 v54, v19, v18
	v_add3_u32 v21, v54, v20, v21
	s_nop 1
	v_mov_b32_dpp v54, v21 row_shr:1 row_mask:0xf bank_mask:0xf
	v_cndmask_b32_e64 v54, v54, 0, vcc
	v_add_u32_e32 v21, v54, v21
	s_nop 1
	v_mov_b32_dpp v54, v21 row_shr:2 row_mask:0xf bank_mask:0xf
	v_cndmask_b32_e64 v54, 0, v54, s[4:5]
	v_add_u32_e32 v21, v21, v54
	s_nop 1
	v_mov_b32_dpp v54, v21 row_shr:4 row_mask:0xf bank_mask:0xf
	v_cndmask_b32_e64 v54, 0, v54, s[6:7]
	;; [unrolled: 4-line block ×3, first 2 shown]
	v_add_u32_e32 v21, v21, v54
	s_nop 1
	v_mov_b32_dpp v54, v21 row_bcast:15 row_mask:0xf bank_mask:0xf
	v_cndmask_b32_e64 v54, v54, 0, s[10:11]
	v_add_u32_e32 v21, v21, v54
	s_nop 1
	v_mov_b32_dpp v54, v21 row_bcast:31 row_mask:0xf bank_mask:0xf
	v_cndmask_b32_e64 v54, 0, v54, s[12:13]
	v_add_u32_e32 v21, v21, v54
	s_and_saveexec_b64 s[28:29], s[14:15]
	s_cbranch_execz .LBB1015_373
; %bb.372:                              ;   in Loop: Header=BB1015_369 Depth=1
	flat_store_dword v[28:29], v21
.LBB1015_373:                           ;   in Loop: Header=BB1015_369 Depth=1
	s_or_b64 exec, exec, s[28:29]
	s_waitcnt lgkmcnt(0)
	s_barrier
	s_and_saveexec_b64 s[28:29], s[16:17]
	s_cbranch_execz .LBB1015_375
; %bb.374:                              ;   in Loop: Header=BB1015_369 Depth=1
	flat_load_dword v54, v[30:31]
	s_waitcnt vmcnt(0) lgkmcnt(0)
	s_nop 0
	v_mov_b32_dpp v55, v54 row_shr:1 row_mask:0xf bank_mask:0xf
	v_cndmask_b32_e64 v55, v55, 0, s[24:25]
	v_add_u32_e32 v54, v55, v54
	s_nop 1
	v_mov_b32_dpp v55, v54 row_shr:2 row_mask:0xf bank_mask:0xf
	v_cndmask_b32_e64 v55, 0, v55, s[26:27]
	v_add_u32_e32 v54, v54, v55
	flat_store_dword v[30:31], v54
.LBB1015_375:                           ;   in Loop: Header=BB1015_369 Depth=1
	s_or_b64 exec, exec, s[28:29]
	v_mov_b32_e32 v54, 0
	s_waitcnt lgkmcnt(0)
	s_barrier
	s_and_saveexec_b64 s[28:29], s[18:19]
	s_cbranch_execz .LBB1015_377
; %bb.376:                              ;   in Loop: Header=BB1015_369 Depth=1
	flat_load_dword v54, v[32:33]
.LBB1015_377:                           ;   in Loop: Header=BB1015_369 Depth=1
	s_or_b64 exec, exec, s[28:29]
	s_waitcnt vmcnt(0) lgkmcnt(0)
	v_add_u32_e32 v21, v54, v21
	ds_bpermute_b32 v21, v51, v21
	v_add_u32_e32 v10, 8, v10
	v_cmp_lt_u32_e64 s[28:29], v10, v11
	s_mov_b64 s[36:37], -1
	s_waitcnt lgkmcnt(0)
	v_cndmask_b32_e64 v21, v21, v54, s[20:21]
	v_cndmask_b32_e64 v64, v21, 0, s[22:23]
	v_add_u32_e32 v65, v64, v18
	v_add_u32_e32 v66, v65, v19
	;; [unrolled: 1-line block ×3, first 2 shown]
	flat_store_dwordx4 v[8:9], v[64:67] offset:16
	s_waitcnt lgkmcnt(0)
	s_barrier
	flat_load_dword v18, v[48:49]
	s_waitcnt lgkmcnt(0)
                                        ; implicit-def: $vgpr48
	s_waitcnt vmcnt(0) lgkmcnt(0)
	v_add_u32_e32 v4, v18, v4
	v_lshlrev_b64 v[18:19], 1, v[4:5]
	v_add_co_u32_e64 v20, s[30:31], v12, v18
	v_addc_co_u32_e64 v21, s[30:31], v13, v19, s[30:31]
                                        ; implicit-def: $vgpr18_vgpr19
	s_and_saveexec_b64 s[30:31], s[28:29]
	s_cbranch_execz .LBB1015_368
; %bb.378:                              ;   in Loop: Header=BB1015_369 Depth=1
	v_mad_u64_u32 v[18:19], s[28:29], v4, 6, v[20:21]
	s_barrier
	flat_store_short v[20:21], v53
	s_waitcnt lgkmcnt(0)
	s_barrier
	flat_load_ushort v48, v[36:37]
	s_waitcnt lgkmcnt(0)
	s_barrier
	flat_store_dwordx2 v[18:19], v[34:35]
	s_waitcnt lgkmcnt(0)
	s_barrier
	flat_load_dwordx2 v[18:19], v[38:39]
	v_add_u32_e32 v52, -8, v52
	s_xor_b64 s[36:37], exec, -1
	s_waitcnt lgkmcnt(0)
	s_barrier
	s_branch .LBB1015_368
.LBB1015_379:
	s_or_b64 exec, exec, s[34:35]
	v_lshlrev_b32_e32 v5, 1, v26
	v_add_co_u32_e32 v10, vcc, v12, v5
	v_addc_co_u32_e32 v11, vcc, 0, v13, vcc
	v_mad_u64_u32 v[4:5], s[4:5], v4, 6, v[20:21]
	s_barrier
	flat_store_short v[20:21], v53
	s_waitcnt lgkmcnt(0)
	s_barrier
	flat_load_ushort v8, v[10:11]
	s_waitcnt lgkmcnt(0)
	s_barrier
	flat_store_dwordx2 v[4:5], v[34:35]
	v_mad_u64_u32 v[4:5], s[4:5], v26, 6, v[10:11]
	s_waitcnt lgkmcnt(0)
	s_barrier
	flat_load_dwordx2 v[4:5], v[4:5]
	v_mov_b32_e32 v23, 0
	v_cmp_lt_u32_e32 vcc, v22, v106
	s_waitcnt lgkmcnt(0)
	s_barrier
	s_and_saveexec_b64 s[4:5], vcc
	s_cbranch_execz .LBB1015_381
; %bb.380:
	v_add_co_u32_e32 v9, vcc, v2, v24
	v_addc_co_u32_e32 v10, vcc, v3, v25, vcc
	v_lshlrev_b64 v[2:3], 1, v[22:23]
	v_add_co_u32_e32 v2, vcc, v9, v2
	v_addc_co_u32_e32 v3, vcc, v10, v3, vcc
	v_add_co_u32_e32 v6, vcc, v6, v0
	v_addc_co_u32_e32 v7, vcc, v7, v1, vcc
	v_lshlrev_b64 v[0:1], 3, v[22:23]
	s_waitcnt vmcnt(0)
	v_xor_b32_e32 v8, 0xffff8000, v8
	v_add_co_u32_e32 v0, vcc, v6, v0
	v_addc_co_u32_e32 v1, vcc, v7, v1, vcc
	flat_store_short v[2:3], v8
	flat_store_dwordx2 v[0:1], v[4:5]
.LBB1015_381:
	s_or_b64 exec, exec, s[4:5]
.LBB1015_382:
	s_or_b64 exec, exec, s[44:45]
	buffer_load_dword v175, off, s[0:3], s32 ; 4-byte Folded Reload
	buffer_load_dword v174, off, s[0:3], s32 offset:4 ; 4-byte Folded Reload
	buffer_load_dword v173, off, s[0:3], s32 offset:8 ; 4-byte Folded Reload
	;; [unrolled: 1-line block ×43, first 2 shown]
	v_readlane_b32 s30, v184, 16
	v_readlane_b32 s31, v184, 17
	;; [unrolled: 1-line block ×18, first 2 shown]
	v_accvgpr_read_b32 v91, a31             ;  Reload Reuse
	v_accvgpr_read_b32 v90, a30             ;  Reload Reuse
	v_accvgpr_read_b32 v89, a29             ;  Reload Reuse
	v_accvgpr_read_b32 v88, a28             ;  Reload Reuse
	v_accvgpr_read_b32 v79, a27             ;  Reload Reuse
	v_accvgpr_read_b32 v78, a26             ;  Reload Reuse
	v_accvgpr_read_b32 v77, a25             ;  Reload Reuse
	v_accvgpr_read_b32 v76, a24             ;  Reload Reuse
	v_accvgpr_read_b32 v75, a23             ;  Reload Reuse
	v_accvgpr_read_b32 v74, a22             ;  Reload Reuse
	v_accvgpr_read_b32 v73, a21             ;  Reload Reuse
	v_accvgpr_read_b32 v72, a20             ;  Reload Reuse
	v_accvgpr_read_b32 v63, a19             ;  Reload Reuse
	v_accvgpr_read_b32 v62, a18             ;  Reload Reuse
	v_accvgpr_read_b32 v61, a17             ;  Reload Reuse
	v_accvgpr_read_b32 v60, a16             ;  Reload Reuse
	v_accvgpr_read_b32 v59, a15             ;  Reload Reuse
	v_accvgpr_read_b32 v58, a14             ;  Reload Reuse
	v_accvgpr_read_b32 v57, a13             ;  Reload Reuse
	v_accvgpr_read_b32 v56, a12             ;  Reload Reuse
	v_accvgpr_read_b32 v47, a11             ;  Reload Reuse
	v_accvgpr_read_b32 v46, a10             ;  Reload Reuse
	v_accvgpr_read_b32 v45, a9              ;  Reload Reuse
	v_accvgpr_read_b32 v44, a8              ;  Reload Reuse
	;; [unrolled: 1-line block ×6, first 2 shown]
	s_or_saveexec_b64 s[4:5], -1
	buffer_load_dword v184, off, s[0:3], s32 offset:176 ; 4-byte Folded Reload
	s_mov_b64 exec, s[4:5]
	s_waitcnt vmcnt(0) lgkmcnt(0)
	s_setpc_b64 s[30:31]
.Lfunc_end1015:
	.size	_ZN7rocprim17ROCPRIM_400000_NS6detail40segmented_radix_sort_single_block_helperIslLj256ELj17ELb0EE4sortIPKsPsPKlPlEEbT_T0_T1_T2_jjjjRNS3_12storage_typeE, .Lfunc_end1015-_ZN7rocprim17ROCPRIM_400000_NS6detail40segmented_radix_sort_single_block_helperIslLj256ELj17ELb0EE4sortIPKsPsPKlPlEEbT_T0_T1_T2_jjjjRNS3_12storage_typeE
                                        ; -- End function
	.section	.AMDGPU.csdata,"",@progbits
; Function info:
; codeLenInByte = 32992
; NumSgprs: 54
; NumVgprs: 248
; NumAgprs: 32
; TotalNumVgprs: 280
; ScratchSize: 184
; MemoryBound: 1
	.section	.text._ZN7rocprim17ROCPRIM_400000_NS6detail17trampoline_kernelINS0_14default_configENS1_36segmented_radix_sort_config_selectorIslEEZNS1_25segmented_radix_sort_implIS3_Lb0EPKsPsPKlPlN2at6native12_GLOBAL__N_18offset_tEEE10hipError_tPvRmT1_PNSt15iterator_traitsISK_E10value_typeET2_T3_PNSL_ISQ_E10value_typeET4_jRbjT5_SW_jjP12ihipStream_tbEUlT_E_NS1_11comp_targetILNS1_3genE4ELNS1_11target_archE910ELNS1_3gpuE8ELNS1_3repE0EEENS1_30default_config_static_selectorELNS0_4arch9wavefront6targetE1EEEvSK_,"axG",@progbits,_ZN7rocprim17ROCPRIM_400000_NS6detail17trampoline_kernelINS0_14default_configENS1_36segmented_radix_sort_config_selectorIslEEZNS1_25segmented_radix_sort_implIS3_Lb0EPKsPsPKlPlN2at6native12_GLOBAL__N_18offset_tEEE10hipError_tPvRmT1_PNSt15iterator_traitsISK_E10value_typeET2_T3_PNSL_ISQ_E10value_typeET4_jRbjT5_SW_jjP12ihipStream_tbEUlT_E_NS1_11comp_targetILNS1_3genE4ELNS1_11target_archE910ELNS1_3gpuE8ELNS1_3repE0EEENS1_30default_config_static_selectorELNS0_4arch9wavefront6targetE1EEEvSK_,comdat
	.globl	_ZN7rocprim17ROCPRIM_400000_NS6detail17trampoline_kernelINS0_14default_configENS1_36segmented_radix_sort_config_selectorIslEEZNS1_25segmented_radix_sort_implIS3_Lb0EPKsPsPKlPlN2at6native12_GLOBAL__N_18offset_tEEE10hipError_tPvRmT1_PNSt15iterator_traitsISK_E10value_typeET2_T3_PNSL_ISQ_E10value_typeET4_jRbjT5_SW_jjP12ihipStream_tbEUlT_E_NS1_11comp_targetILNS1_3genE4ELNS1_11target_archE910ELNS1_3gpuE8ELNS1_3repE0EEENS1_30default_config_static_selectorELNS0_4arch9wavefront6targetE1EEEvSK_ ; -- Begin function _ZN7rocprim17ROCPRIM_400000_NS6detail17trampoline_kernelINS0_14default_configENS1_36segmented_radix_sort_config_selectorIslEEZNS1_25segmented_radix_sort_implIS3_Lb0EPKsPsPKlPlN2at6native12_GLOBAL__N_18offset_tEEE10hipError_tPvRmT1_PNSt15iterator_traitsISK_E10value_typeET2_T3_PNSL_ISQ_E10value_typeET4_jRbjT5_SW_jjP12ihipStream_tbEUlT_E_NS1_11comp_targetILNS1_3genE4ELNS1_11target_archE910ELNS1_3gpuE8ELNS1_3repE0EEENS1_30default_config_static_selectorELNS0_4arch9wavefront6targetE1EEEvSK_
	.p2align	8
	.type	_ZN7rocprim17ROCPRIM_400000_NS6detail17trampoline_kernelINS0_14default_configENS1_36segmented_radix_sort_config_selectorIslEEZNS1_25segmented_radix_sort_implIS3_Lb0EPKsPsPKlPlN2at6native12_GLOBAL__N_18offset_tEEE10hipError_tPvRmT1_PNSt15iterator_traitsISK_E10value_typeET2_T3_PNSL_ISQ_E10value_typeET4_jRbjT5_SW_jjP12ihipStream_tbEUlT_E_NS1_11comp_targetILNS1_3genE4ELNS1_11target_archE910ELNS1_3gpuE8ELNS1_3repE0EEENS1_30default_config_static_selectorELNS0_4arch9wavefront6targetE1EEEvSK_,@function
_ZN7rocprim17ROCPRIM_400000_NS6detail17trampoline_kernelINS0_14default_configENS1_36segmented_radix_sort_config_selectorIslEEZNS1_25segmented_radix_sort_implIS3_Lb0EPKsPsPKlPlN2at6native12_GLOBAL__N_18offset_tEEE10hipError_tPvRmT1_PNSt15iterator_traitsISK_E10value_typeET2_T3_PNSL_ISQ_E10value_typeET4_jRbjT5_SW_jjP12ihipStream_tbEUlT_E_NS1_11comp_targetILNS1_3genE4ELNS1_11target_archE910ELNS1_3gpuE8ELNS1_3repE0EEENS1_30default_config_static_selectorELNS0_4arch9wavefront6targetE1EEEvSK_: ; @_ZN7rocprim17ROCPRIM_400000_NS6detail17trampoline_kernelINS0_14default_configENS1_36segmented_radix_sort_config_selectorIslEEZNS1_25segmented_radix_sort_implIS3_Lb0EPKsPsPKlPlN2at6native12_GLOBAL__N_18offset_tEEE10hipError_tPvRmT1_PNSt15iterator_traitsISK_E10value_typeET2_T3_PNSL_ISQ_E10value_typeET4_jRbjT5_SW_jjP12ihipStream_tbEUlT_E_NS1_11comp_targetILNS1_3genE4ELNS1_11target_archE910ELNS1_3gpuE8ELNS1_3repE0EEENS1_30default_config_static_selectorELNS0_4arch9wavefront6targetE1EEEvSK_
; %bb.0:
	s_add_u32 flat_scratch_lo, s6, s10
	s_addc_u32 flat_scratch_hi, s7, 0
	s_mov_b32 s33, s9
	s_mov_b64 s[50:51], s[4:5]
	s_mov_b32 s74, s8
	s_load_dwordx2 s[8:9], s[4:5], 0x38
	s_nop 0
	s_load_dwordx4 s[4:7], s[4:5], 0x40
	s_add_u32 s0, s0, s10
	s_mov_b32 s11, 0
	s_mov_b32 s10, s74
	s_addc_u32 s1, s1, 0
	s_lshl_b64 s[10:11], s[10:11], 2
	s_waitcnt lgkmcnt(0)
	s_add_u32 s8, s8, s10
	s_addc_u32 s9, s9, s11
	s_load_dword s8, s[8:9], 0x0
	s_mov_b32 s32, 0
	s_waitcnt lgkmcnt(0)
	s_add_i32 s75, s8, s5
	s_add_i32 s98, s8, s7
	s_mul_i32 s75, s75, s4
	s_mul_i32 s98, s98, s6
	s_cmp_le_u32 s98, s75
	s_cbranch_scc1 .LBB1016_1262
; %bb.1:
	s_load_dword s4, s[50:51], 0x30
	s_load_dwordx4 s[84:87], s[50:51], 0x20
	s_load_dwordx4 s[88:91], s[50:51], 0x50
	s_load_dwordx8 s[76:83], s[50:51], 0x0
	s_waitcnt lgkmcnt(0)
	s_bitcmp1_b32 s4, 0
	s_cselect_b64 s[92:93], -1, 0
	s_sub_i32 s91, s98, s75
	s_cmpk_lt_u32 s91, 0x1101
	s_mov_b64 s[4:5], -1
	s_cbranch_scc0 .LBB1016_7
; %bb.2:
	s_and_b32 s4, s88, 1
	v_cndmask_b32_e64 v1, 0, 1, s[92:93]
	v_cmp_ne_u32_e32 vcc, s4, v1
	s_mov_b64 s[4:5], -1
	s_cbranch_vccnz .LBB1016_4
; %bb.3:
	s_add_u32 s8, s50, 0x60
	s_mov_b64 s[4:5], src_shared_base
	s_addc_u32 s9, s51, 0
	s_mov_b32 s12, s74
	s_mov_b32 s13, s33
	v_mov_b32_e32 v31, v0
	v_mov_b32_e32 v40, v0
	;; [unrolled: 1-line block ×16, first 2 shown]
	s_getpc_b64 s[6:7]
	s_add_u32 s6, s6, _ZN7rocprim17ROCPRIM_400000_NS6detail40segmented_radix_sort_single_block_helperIslLj256ELj17ELb0EE4sortIPKsPsPKlPlEEbT_T0_T1_T2_jjjjRNS3_12storage_typeE@rel32@lo+4
	s_addc_u32 s7, s7, _ZN7rocprim17ROCPRIM_400000_NS6detail40segmented_radix_sort_single_block_helperIslLj256ELj17ELb0EE4sortIPKsPsPKlPlEEbT_T0_T1_T2_jjjjRNS3_12storage_typeE@rel32@hi+12
	s_swappc_b64 s[30:31], s[6:7]
	v_mov_b32_e32 v0, v40
	s_mov_b64 s[4:5], 0
.LBB1016_4:
	s_andn2_b64 vcc, exec, s[4:5]
	s_cbranch_vccnz .LBB1016_6
; %bb.5:
	s_add_u32 s8, s50, 0x60
	s_mov_b64 s[4:5], src_shared_base
	s_addc_u32 s9, s51, 0
	s_mov_b32 s12, s74
	s_mov_b32 s13, s33
	v_mov_b32_e32 v31, v0
	v_mov_b32_e32 v40, v0
	;; [unrolled: 1-line block ×16, first 2 shown]
	s_getpc_b64 s[6:7]
	s_add_u32 s6, s6, _ZN7rocprim17ROCPRIM_400000_NS6detail40segmented_radix_sort_single_block_helperIslLj256ELj17ELb0EE4sortIPKsPsPKlPlEEbT_T0_T1_T2_jjjjRNS3_12storage_typeE@rel32@lo+4
	s_addc_u32 s7, s7, _ZN7rocprim17ROCPRIM_400000_NS6detail40segmented_radix_sort_single_block_helperIslLj256ELj17ELb0EE4sortIPKsPsPKlPlEEbT_T0_T1_T2_jjjjRNS3_12storage_typeE@rel32@hi+12
	s_swappc_b64 s[30:31], s[6:7]
	v_mov_b32_e32 v0, v40
.LBB1016_6:
	s_mov_b64 s[4:5], 0
.LBB1016_7:
	s_andn2_b64 vcc, exec, s[4:5]
	s_cbranch_vccnz .LBB1016_1262
; %bb.8:
	s_cmp_ge_u32 s89, s90
	s_cbranch_scc1 .LBB1016_1262
; %bb.9:
	v_and_b32_e32 v2, 0x3ff, v0
	v_and_b32_e32 v24, 0xc0, v2
	v_min_u32_e32 v25, 64, v24
	v_or_b32_e32 v25, 63, v25
	v_lshlrev_b32_e32 v5, 1, v2
	v_cmp_eq_u32_e64 s[6:7], v25, v2
	v_lshrrev_b32_e32 v25, 4, v2
	v_bfe_u32 v64, v0, 20, 10
	v_bfe_u32 v65, v0, 10, 10
	v_mul_u32_u24_e32 v0, 3, v2
	v_mov_b32_e32 v66, 0x210
	v_mov_b32_e32 v6, s81
	v_add_co_u32_e32 v9, vcc, s80, v5
	v_and_b32_e32 v60, 12, v25
	v_mul_u32_u24_e32 v25, 17, v24
	v_lshl_add_u32 v67, v0, 2, v66
	v_or_b32_e32 v0, 63, v24
	v_addc_co_u32_e32 v11, vcc, 0, v6, vcc
	v_cmp_eq_u32_e64 s[12:13], v0, v2
	v_lshlrev_b32_e32 v0, 3, v25
	v_mov_b32_e32 v24, s87
	v_add_co_u32_e32 v71, vcc, s86, v0
	v_addc_co_u32_e32 v72, vcc, 0, v24, vcc
	v_lshlrev_b32_e32 v24, 1, v25
	v_mov_b32_e32 v26, s81
	v_add_co_u32_e32 v73, vcc, s80, v24
	v_addc_co_u32_e32 v74, vcc, 0, v26, vcc
	v_mov_b32_e32 v26, s79
	v_add_co_u32_e32 v78, vcc, s78, v5
	v_addc_co_u32_e32 v79, vcc, 0, v26, vcc
	;; [unrolled: 3-line block ×5, first 2 shown]
	v_add_u32_e32 v76, 0x200, v5
	v_mov_b32_e32 v5, s83
	v_add_co_u32_e32 v86, vcc, s82, v0
	v_addc_co_u32_e32 v87, vcc, 0, v5, vcc
                                        ; implicit-def: $vgpr232 : SGPR spill to VGPR lane
	v_mov_b32_e32 v0, s77
	v_add_co_u32_e32 v88, vcc, s76, v24
	v_writelane_b32 v232, s6, 0
	v_addc_co_u32_e32 v89, vcc, 0, v0, vcc
	v_mbcnt_lo_u32_b32 v0, -1, 0
	v_writelane_b32 v232, s7, 1
	v_cmp_gt_u32_e64 s[6:7], 2, v2
	v_mbcnt_hi_u32_b32 v102, -1, v0
	v_mul_u32_u24_e32 v58, 12, v2
	v_writelane_b32 v232, s6, 2
	v_lshlrev_b32_e32 v68, 3, v2
	v_and_b32_e32 v0, 63, v102
	v_lshlrev_b32_e32 v3, 2, v2
	v_and_b32_e32 v1, 3, v2
	v_or_b32_e32 v6, 0x800, v2
	v_or_b32_e32 v8, 0x900, v2
	;; [unrolled: 1-line block ×9, first 2 shown]
	s_movk_i32 s4, 0x80
	v_writelane_b32 v232, s7, 3
	s_add_u32 s96, s50, 0x60
	v_sub_u32_e32 v69, v58, v68
	s_movk_i32 s6, 0x7f
	v_or_b32_e32 v111, v0, v25
	s_mov_b32 s95, 0
	v_mov_b32_e32 v4, 0
	v_or_b32_e32 v7, 0x100, v2
	v_or_b32_e32 v13, 0x200, v2
	;; [unrolled: 1-line block ×7, first 2 shown]
	s_movk_i32 s88, 0x1000
	v_cmp_gt_u32_e64 s[4:5], s4, v2
	v_mad_u32_u24 v59, v2, 12, v3
	v_or_b32_e32 v61, 0x8a00, v60
	v_add_u32_e32 v62, 0x8a00, v3
	v_cmp_lt_u32_e64 s[10:11], 63, v2
	v_add_u32_e32 v63, 0x89fc, v60
	s_addc_u32 s97, s51, 0
	v_cmp_gt_u32_e64 s[14:15], 4, v2
	v_cmp_eq_u32_e64 s[16:17], 0, v2
	v_lshl_add_u32 v70, v2, 4, v69
	v_cmp_ne_u32_e64 s[18:19], s6, v2
	v_mul_i32_i24_e32 v75, 0xffffffee, v2
	v_mul_u32_u24_e32 v77, 6, v2
	v_lshlrev_b32_e32 v90, 2, v1
	v_mov_b32_e32 v91, 1
	v_lshlrev_b32_e32 v92, 1, v2
	v_lshlrev_b32_e32 v93, 1, v6
	;; [unrolled: 1-line block ×10, first 2 shown]
	v_and_b32_e32 v103, 15, v102
	v_bfe_i32 v104, v102, 4, 1
	v_and_b32_e32 v105, 16, v102
	v_bfe_i32 v106, v102, 0, 1
	v_add_u32_e32 v107, -1, v102
	v_and_b32_e32 v108, 64, v102
	v_and_b32_e32 v109, 3, v102
	v_lshlrev_b32_e32 v110, 3, v0
	v_add_u32_e32 v112, 64, v111
	v_add_u32_e32 v113, 0x80, v111
	;; [unrolled: 1-line block ×16, first 2 shown]
	v_lshlrev_b32_e32 v128, 1, v0
	s_mov_b32 s99, s89
	s_branch .LBB1016_12
.LBB1016_10:                            ;   in Loop: Header=BB1016_12 Depth=1
	s_waitcnt lgkmcnt(0)
	s_barrier
.LBB1016_11:                            ;   in Loop: Header=BB1016_12 Depth=1
	s_add_i32 s99, s99, 7
	s_cmp_ge_u32 s99, s90
	s_cbranch_scc1 .LBB1016_1262
.LBB1016_12:                            ; =>This Loop Header: Depth=1
                                        ;     Child Loop BB1016_16 Depth 2
                                        ;     Child Loop BB1016_102 Depth 2
	;; [unrolled: 1-line block ×8, first 2 shown]
	s_sub_i32 s6, s90, s99
	s_min_u32 s6, s6, 7
	s_lshl_b32 s6, -1, s6
	s_xor_b64 s[92:93], s[92:93], -1
	s_not_b32 s6, s6
	s_cmp_lg_u32 s99, s89
	s_mov_b64 s[20:21], -1
	ds_write2st64_b32 v3, v4, v4 offset1:4
	s_waitcnt lgkmcnt(0)
	s_cbranch_scc0 .LBB1016_638
; %bb.13:                               ;   in Loop: Header=BB1016_12 Depth=1
	s_and_b64 vcc, exec, s[92:93]
	s_cbranch_vccz .LBB1016_325
; %bb.14:                               ;   in Loop: Header=BB1016_12 Depth=1
	s_mov_b32 s7, s91
	s_mov_b32 s94, s75
	s_barrier
	s_waitcnt lgkmcnt(0)
                                        ; implicit-def: $vgpr39
                                        ; implicit-def: $vgpr5
                                        ; implicit-def: $vgpr24
                                        ; implicit-def: $vgpr25
                                        ; implicit-def: $vgpr26
                                        ; implicit-def: $vgpr27
                                        ; implicit-def: $vgpr28
                                        ; implicit-def: $vgpr29
                                        ; implicit-def: $vgpr30
                                        ; implicit-def: $vgpr31
                                        ; implicit-def: $vgpr32
                                        ; implicit-def: $vgpr33
                                        ; implicit-def: $vgpr34
                                        ; implicit-def: $vgpr35
                                        ; implicit-def: $vgpr36
                                        ; implicit-def: $vgpr37
                                        ; implicit-def: $vgpr38
	s_branch .LBB1016_16
.LBB1016_15:                            ;   in Loop: Header=BB1016_16 Depth=2
	s_or_b64 exec, exec, s[20:21]
	s_addk_i32 s7, 0xef00
	s_cmp_ge_u32 s8, s98
	s_mov_b32 s94, s8
	s_cbranch_scc1 .LBB1016_90
.LBB1016_16:                            ;   Parent Loop BB1016_12 Depth=1
                                        ; =>  This Inner Loop Header: Depth=2
	s_add_i32 s8, s94, 0x1100
	s_cmp_gt_u32 s8, s98
	s_cbranch_scc1 .LBB1016_19
; %bb.17:                               ;   in Loop: Header=BB1016_16 Depth=2
	s_lshl_b64 s[20:21], s[94:95], 1
	v_mov_b32_e32 v1, s21
	v_add_co_u32_e32 v0, vcc, s20, v9
	v_addc_co_u32_e32 v1, vcc, v11, v1, vcc
	s_waitcnt vmcnt(0)
	v_add_co_u32_e32 v56, vcc, s88, v0
	v_addc_co_u32_e32 v57, vcc, 0, v1, vcc
	global_load_ushort v41, v[0:1], off
	global_load_ushort v42, v[0:1], off offset:512
	global_load_ushort v43, v[0:1], off offset:1024
	;; [unrolled: 1-line block ×7, first 2 shown]
	global_load_ushort v49, v[56:57], off
	global_load_ushort v50, v[56:57], off offset:512
	global_load_ushort v51, v[56:57], off offset:1024
	;; [unrolled: 1-line block ×6, first 2 shown]
	s_nop 0
	global_load_ushort v56, v[56:57], off offset:3584
	v_add_co_u32_e32 v0, vcc, 0x2000, v0
	v_addc_co_u32_e32 v1, vcc, 0, v1, vcc
	s_mov_b64 s[20:21], -1
	s_movk_i32 s9, 0x1100
	s_cbranch_execz .LBB1016_20
; %bb.18:                               ;   in Loop: Header=BB1016_16 Depth=2
                                        ; implicit-def: $vgpr38
                                        ; implicit-def: $vgpr37
                                        ; implicit-def: $vgpr36
                                        ; implicit-def: $vgpr35
                                        ; implicit-def: $vgpr34
                                        ; implicit-def: $vgpr33
                                        ; implicit-def: $vgpr32
                                        ; implicit-def: $vgpr31
                                        ; implicit-def: $vgpr30
                                        ; implicit-def: $vgpr29
                                        ; implicit-def: $vgpr28
                                        ; implicit-def: $vgpr27
                                        ; implicit-def: $vgpr26
                                        ; implicit-def: $vgpr25
                                        ; implicit-def: $vgpr24
                                        ; implicit-def: $vgpr5
                                        ; implicit-def: $vgpr39
	v_mov_b32_e32 v40, s7
	s_and_saveexec_b64 s[22:23], s[20:21]
	s_cbranch_execnz .LBB1016_55
	s_branch .LBB1016_56
.LBB1016_19:                            ;   in Loop: Header=BB1016_16 Depth=2
	s_mov_b64 s[20:21], 0
                                        ; implicit-def: $sgpr9
                                        ; implicit-def: $vgpr41
                                        ; implicit-def: $vgpr42
                                        ; implicit-def: $vgpr43
                                        ; implicit-def: $vgpr44
                                        ; implicit-def: $vgpr45
                                        ; implicit-def: $vgpr46
                                        ; implicit-def: $vgpr47
                                        ; implicit-def: $vgpr48
                                        ; implicit-def: $vgpr49
                                        ; implicit-def: $vgpr50
                                        ; implicit-def: $vgpr51
                                        ; implicit-def: $vgpr52
                                        ; implicit-def: $vgpr53
                                        ; implicit-def: $vgpr54
                                        ; implicit-def: $vgpr55
                                        ; implicit-def: $vgpr56
                                        ; implicit-def: $vgpr0_vgpr1
.LBB1016_20:                            ;   in Loop: Header=BB1016_16 Depth=2
	s_lshl_b64 s[22:23], s[94:95], 1
	s_add_u32 s22, s80, s22
	s_addc_u32 s23, s81, s23
	v_cmp_gt_u32_e32 vcc, s7, v2
	s_and_saveexec_b64 s[24:25], vcc
	s_cbranch_execz .LBB1016_36
; %bb.21:                               ;   in Loop: Header=BB1016_16 Depth=2
	global_load_ushort v38, v92, s[22:23]
	s_or_b64 exec, exec, s[24:25]
	v_cmp_gt_u32_e32 vcc, s7, v7
	s_and_saveexec_b64 s[24:25], vcc
	s_cbranch_execnz .LBB1016_37
.LBB1016_22:                            ;   in Loop: Header=BB1016_16 Depth=2
	s_or_b64 exec, exec, s[24:25]
	v_cmp_gt_u32_e32 vcc, s7, v13
	s_and_saveexec_b64 s[24:25], vcc
	s_cbranch_execz .LBB1016_38
.LBB1016_23:                            ;   in Loop: Header=BB1016_16 Depth=2
	global_load_ushort v36, v92, s[22:23] offset:1024
	s_or_b64 exec, exec, s[24:25]
	v_cmp_gt_u32_e32 vcc, s7, v15
	s_and_saveexec_b64 s[24:25], vcc
	s_cbranch_execnz .LBB1016_39
.LBB1016_24:                            ;   in Loop: Header=BB1016_16 Depth=2
	s_or_b64 exec, exec, s[24:25]
	v_cmp_gt_u32_e32 vcc, s7, v17
	s_and_saveexec_b64 s[24:25], vcc
	s_cbranch_execz .LBB1016_40
.LBB1016_25:                            ;   in Loop: Header=BB1016_16 Depth=2
	global_load_ushort v34, v92, s[22:23] offset:2048
	s_or_b64 exec, exec, s[24:25]
	v_cmp_gt_u32_e32 vcc, s7, v19
	s_and_saveexec_b64 s[24:25], vcc
	s_cbranch_execnz .LBB1016_41
.LBB1016_26:                            ;   in Loop: Header=BB1016_16 Depth=2
	s_or_b64 exec, exec, s[24:25]
	v_cmp_gt_u32_e32 vcc, s7, v21
	s_and_saveexec_b64 s[24:25], vcc
	s_cbranch_execz .LBB1016_42
.LBB1016_27:                            ;   in Loop: Header=BB1016_16 Depth=2
	global_load_ushort v32, v92, s[22:23] offset:3072
	s_or_b64 exec, exec, s[24:25]
	v_cmp_gt_u32_e32 vcc, s7, v23
	s_and_saveexec_b64 s[24:25], vcc
	s_cbranch_execnz .LBB1016_43
.LBB1016_28:                            ;   in Loop: Header=BB1016_16 Depth=2
	s_or_b64 exec, exec, s[24:25]
	v_cmp_gt_u32_e32 vcc, s7, v6
	s_and_saveexec_b64 s[24:25], vcc
	s_cbranch_execz .LBB1016_44
.LBB1016_29:                            ;   in Loop: Header=BB1016_16 Depth=2
	global_load_ushort v30, v93, s[22:23]
	s_or_b64 exec, exec, s[24:25]
	v_cmp_gt_u32_e32 vcc, s7, v8
	s_and_saveexec_b64 s[24:25], vcc
	s_cbranch_execnz .LBB1016_45
.LBB1016_30:                            ;   in Loop: Header=BB1016_16 Depth=2
	s_or_b64 exec, exec, s[24:25]
	v_cmp_gt_u32_e32 vcc, s7, v10
	s_and_saveexec_b64 s[24:25], vcc
	s_cbranch_execz .LBB1016_46
.LBB1016_31:                            ;   in Loop: Header=BB1016_16 Depth=2
	global_load_ushort v28, v95, s[22:23]
	s_or_b64 exec, exec, s[24:25]
	v_cmp_gt_u32_e32 vcc, s7, v12
	s_and_saveexec_b64 s[24:25], vcc
	s_cbranch_execnz .LBB1016_47
.LBB1016_32:                            ;   in Loop: Header=BB1016_16 Depth=2
	s_or_b64 exec, exec, s[24:25]
	v_cmp_gt_u32_e32 vcc, s7, v14
	s_and_saveexec_b64 s[24:25], vcc
	s_cbranch_execz .LBB1016_48
.LBB1016_33:                            ;   in Loop: Header=BB1016_16 Depth=2
	global_load_ushort v26, v97, s[22:23]
	s_or_b64 exec, exec, s[24:25]
	v_cmp_gt_u32_e32 vcc, s7, v16
	s_and_saveexec_b64 s[24:25], vcc
	s_cbranch_execnz .LBB1016_49
.LBB1016_34:                            ;   in Loop: Header=BB1016_16 Depth=2
	s_or_b64 exec, exec, s[24:25]
	v_cmp_gt_u32_e32 vcc, s7, v18
	s_and_saveexec_b64 s[24:25], vcc
	s_cbranch_execz .LBB1016_50
.LBB1016_35:                            ;   in Loop: Header=BB1016_16 Depth=2
	global_load_ushort v24, v99, s[22:23]
	s_or_b64 exec, exec, s[24:25]
	v_cmp_gt_u32_e32 vcc, s7, v20
	s_and_saveexec_b64 s[24:25], vcc
	s_cbranch_execz .LBB1016_52
	s_branch .LBB1016_51
.LBB1016_36:                            ;   in Loop: Header=BB1016_16 Depth=2
	s_or_b64 exec, exec, s[24:25]
	v_cmp_gt_u32_e32 vcc, s7, v7
	s_and_saveexec_b64 s[24:25], vcc
	s_cbranch_execz .LBB1016_22
.LBB1016_37:                            ;   in Loop: Header=BB1016_16 Depth=2
	global_load_ushort v37, v92, s[22:23] offset:512
	s_or_b64 exec, exec, s[24:25]
	v_cmp_gt_u32_e32 vcc, s7, v13
	s_and_saveexec_b64 s[24:25], vcc
	s_cbranch_execnz .LBB1016_23
.LBB1016_38:                            ;   in Loop: Header=BB1016_16 Depth=2
	s_or_b64 exec, exec, s[24:25]
	v_cmp_gt_u32_e32 vcc, s7, v15
	s_and_saveexec_b64 s[24:25], vcc
	s_cbranch_execz .LBB1016_24
.LBB1016_39:                            ;   in Loop: Header=BB1016_16 Depth=2
	global_load_ushort v35, v92, s[22:23] offset:1536
	s_or_b64 exec, exec, s[24:25]
	v_cmp_gt_u32_e32 vcc, s7, v17
	s_and_saveexec_b64 s[24:25], vcc
	s_cbranch_execnz .LBB1016_25
.LBB1016_40:                            ;   in Loop: Header=BB1016_16 Depth=2
	s_or_b64 exec, exec, s[24:25]
	v_cmp_gt_u32_e32 vcc, s7, v19
	s_and_saveexec_b64 s[24:25], vcc
	s_cbranch_execz .LBB1016_26
.LBB1016_41:                            ;   in Loop: Header=BB1016_16 Depth=2
	global_load_ushort v33, v92, s[22:23] offset:2560
	s_or_b64 exec, exec, s[24:25]
	v_cmp_gt_u32_e32 vcc, s7, v21
	s_and_saveexec_b64 s[24:25], vcc
	s_cbranch_execnz .LBB1016_27
.LBB1016_42:                            ;   in Loop: Header=BB1016_16 Depth=2
	s_or_b64 exec, exec, s[24:25]
	v_cmp_gt_u32_e32 vcc, s7, v23
	s_and_saveexec_b64 s[24:25], vcc
	s_cbranch_execz .LBB1016_28
.LBB1016_43:                            ;   in Loop: Header=BB1016_16 Depth=2
	global_load_ushort v31, v92, s[22:23] offset:3584
	s_or_b64 exec, exec, s[24:25]
	v_cmp_gt_u32_e32 vcc, s7, v6
	s_and_saveexec_b64 s[24:25], vcc
	s_cbranch_execnz .LBB1016_29
.LBB1016_44:                            ;   in Loop: Header=BB1016_16 Depth=2
	s_or_b64 exec, exec, s[24:25]
	v_cmp_gt_u32_e32 vcc, s7, v8
	s_and_saveexec_b64 s[24:25], vcc
	s_cbranch_execz .LBB1016_30
.LBB1016_45:                            ;   in Loop: Header=BB1016_16 Depth=2
	global_load_ushort v29, v94, s[22:23]
	s_or_b64 exec, exec, s[24:25]
	v_cmp_gt_u32_e32 vcc, s7, v10
	s_and_saveexec_b64 s[24:25], vcc
	s_cbranch_execnz .LBB1016_31
.LBB1016_46:                            ;   in Loop: Header=BB1016_16 Depth=2
	s_or_b64 exec, exec, s[24:25]
	v_cmp_gt_u32_e32 vcc, s7, v12
	s_and_saveexec_b64 s[24:25], vcc
	s_cbranch_execz .LBB1016_32
.LBB1016_47:                            ;   in Loop: Header=BB1016_16 Depth=2
	global_load_ushort v27, v96, s[22:23]
	s_or_b64 exec, exec, s[24:25]
	v_cmp_gt_u32_e32 vcc, s7, v14
	s_and_saveexec_b64 s[24:25], vcc
	s_cbranch_execnz .LBB1016_33
.LBB1016_48:                            ;   in Loop: Header=BB1016_16 Depth=2
	s_or_b64 exec, exec, s[24:25]
	v_cmp_gt_u32_e32 vcc, s7, v16
	s_and_saveexec_b64 s[24:25], vcc
	s_cbranch_execz .LBB1016_34
.LBB1016_49:                            ;   in Loop: Header=BB1016_16 Depth=2
	global_load_ushort v25, v98, s[22:23]
	s_or_b64 exec, exec, s[24:25]
	v_cmp_gt_u32_e32 vcc, s7, v18
	s_and_saveexec_b64 s[24:25], vcc
	s_cbranch_execnz .LBB1016_35
.LBB1016_50:                            ;   in Loop: Header=BB1016_16 Depth=2
	s_or_b64 exec, exec, s[24:25]
	v_cmp_gt_u32_e32 vcc, s7, v20
	s_and_saveexec_b64 s[24:25], vcc
	s_cbranch_execz .LBB1016_52
.LBB1016_51:                            ;   in Loop: Header=BB1016_16 Depth=2
	global_load_ushort v5, v100, s[22:23]
.LBB1016_52:                            ;   in Loop: Header=BB1016_16 Depth=2
	s_or_b64 exec, exec, s[24:25]
	v_cmp_gt_u32_e32 vcc, s7, v22
                                        ; implicit-def: $sgpr9
                                        ; implicit-def: $vgpr0_vgpr1
	s_and_saveexec_b64 s[24:25], vcc
; %bb.53:                               ;   in Loop: Header=BB1016_16 Depth=2
	v_mov_b32_e32 v1, s23
	v_add_co_u32_e32 v0, vcc, s22, v101
	s_sub_i32 s9, s98, s94
	v_addc_co_u32_e32 v1, vcc, 0, v1, vcc
	s_or_b64 s[20:21], s[20:21], exec
                                        ; implicit-def: $vgpr39
; %bb.54:                               ;   in Loop: Header=BB1016_16 Depth=2
	s_or_b64 exec, exec, s[24:25]
	s_waitcnt vmcnt(0)
	v_mov_b32_e32 v41, v38
	v_mov_b32_e32 v42, v37
	;; [unrolled: 1-line block ×17, first 2 shown]
	s_and_saveexec_b64 s[22:23], s[20:21]
	s_cbranch_execz .LBB1016_56
.LBB1016_55:                            ;   in Loop: Header=BB1016_16 Depth=2
	global_load_ushort v39, v[0:1], off
	v_mov_b32_e32 v40, s9
	s_waitcnt vmcnt(1)
	v_mov_b32_e32 v5, v56
	v_mov_b32_e32 v24, v55
	;; [unrolled: 1-line block ×16, first 2 shown]
.LBB1016_56:                            ;   in Loop: Header=BB1016_16 Depth=2
	s_or_b64 exec, exec, s[22:23]
	v_cmp_lt_u32_e32 vcc, v2, v40
	s_and_saveexec_b64 s[20:21], vcc
	s_cbranch_execz .LBB1016_73
; %bb.57:                               ;   in Loop: Header=BB1016_16 Depth=2
	v_xor_b32_e32 v0, 0xffff8000, v38
	v_lshrrev_b32_sdwa v0, s99, v0 dst_sel:DWORD dst_unused:UNUSED_PAD src0_sel:DWORD src1_sel:WORD_0
	v_and_b32_e32 v0, s6, v0
	v_lshl_or_b32 v0, v0, 4, v90
	ds_add_u32 v0, v91
	s_or_b64 exec, exec, s[20:21]
	v_cmp_lt_u32_e32 vcc, v7, v40
	s_and_saveexec_b64 s[20:21], vcc
	s_cbranch_execnz .LBB1016_74
.LBB1016_58:                            ;   in Loop: Header=BB1016_16 Depth=2
	s_or_b64 exec, exec, s[20:21]
	v_cmp_lt_u32_e32 vcc, v13, v40
	s_and_saveexec_b64 s[20:21], vcc
	s_cbranch_execz .LBB1016_75
.LBB1016_59:                            ;   in Loop: Header=BB1016_16 Depth=2
	v_xor_b32_e32 v0, 0xffff8000, v36
	v_lshrrev_b32_sdwa v0, s99, v0 dst_sel:DWORD dst_unused:UNUSED_PAD src0_sel:DWORD src1_sel:WORD_0
	v_and_b32_e32 v0, s6, v0
	v_lshl_or_b32 v0, v0, 4, v90
	ds_add_u32 v0, v91
	s_or_b64 exec, exec, s[20:21]
	v_cmp_lt_u32_e32 vcc, v15, v40
	s_and_saveexec_b64 s[20:21], vcc
	s_cbranch_execnz .LBB1016_76
.LBB1016_60:                            ;   in Loop: Header=BB1016_16 Depth=2
	s_or_b64 exec, exec, s[20:21]
	v_cmp_lt_u32_e32 vcc, v17, v40
	s_and_saveexec_b64 s[20:21], vcc
	s_cbranch_execz .LBB1016_77
.LBB1016_61:                            ;   in Loop: Header=BB1016_16 Depth=2
	v_xor_b32_e32 v0, 0xffff8000, v34
	v_lshrrev_b32_sdwa v0, s99, v0 dst_sel:DWORD dst_unused:UNUSED_PAD src0_sel:DWORD src1_sel:WORD_0
	v_and_b32_e32 v0, s6, v0
	v_lshl_or_b32 v0, v0, 4, v90
	ds_add_u32 v0, v91
	s_or_b64 exec, exec, s[20:21]
	v_cmp_lt_u32_e32 vcc, v19, v40
	s_and_saveexec_b64 s[20:21], vcc
	s_cbranch_execnz .LBB1016_78
.LBB1016_62:                            ;   in Loop: Header=BB1016_16 Depth=2
	s_or_b64 exec, exec, s[20:21]
	v_cmp_lt_u32_e32 vcc, v21, v40
	s_and_saveexec_b64 s[20:21], vcc
	s_cbranch_execz .LBB1016_79
.LBB1016_63:                            ;   in Loop: Header=BB1016_16 Depth=2
	v_xor_b32_e32 v0, 0xffff8000, v32
	v_lshrrev_b32_sdwa v0, s99, v0 dst_sel:DWORD dst_unused:UNUSED_PAD src0_sel:DWORD src1_sel:WORD_0
	v_and_b32_e32 v0, s6, v0
	v_lshl_or_b32 v0, v0, 4, v90
	ds_add_u32 v0, v91
	s_or_b64 exec, exec, s[20:21]
	v_cmp_lt_u32_e32 vcc, v23, v40
	s_and_saveexec_b64 s[20:21], vcc
	s_cbranch_execnz .LBB1016_80
.LBB1016_64:                            ;   in Loop: Header=BB1016_16 Depth=2
	s_or_b64 exec, exec, s[20:21]
	v_cmp_lt_u32_e32 vcc, v6, v40
	s_and_saveexec_b64 s[20:21], vcc
	s_cbranch_execz .LBB1016_81
.LBB1016_65:                            ;   in Loop: Header=BB1016_16 Depth=2
	v_xor_b32_e32 v0, 0xffff8000, v30
	v_lshrrev_b32_sdwa v0, s99, v0 dst_sel:DWORD dst_unused:UNUSED_PAD src0_sel:DWORD src1_sel:WORD_0
	v_and_b32_e32 v0, s6, v0
	v_lshl_or_b32 v0, v0, 4, v90
	ds_add_u32 v0, v91
	s_or_b64 exec, exec, s[20:21]
	v_cmp_lt_u32_e32 vcc, v8, v40
	s_and_saveexec_b64 s[20:21], vcc
	s_cbranch_execnz .LBB1016_82
.LBB1016_66:                            ;   in Loop: Header=BB1016_16 Depth=2
	s_or_b64 exec, exec, s[20:21]
	v_cmp_lt_u32_e32 vcc, v10, v40
	s_and_saveexec_b64 s[20:21], vcc
	s_cbranch_execz .LBB1016_83
.LBB1016_67:                            ;   in Loop: Header=BB1016_16 Depth=2
	v_xor_b32_e32 v0, 0xffff8000, v28
	v_lshrrev_b32_sdwa v0, s99, v0 dst_sel:DWORD dst_unused:UNUSED_PAD src0_sel:DWORD src1_sel:WORD_0
	v_and_b32_e32 v0, s6, v0
	v_lshl_or_b32 v0, v0, 4, v90
	ds_add_u32 v0, v91
	s_or_b64 exec, exec, s[20:21]
	v_cmp_lt_u32_e32 vcc, v12, v40
	s_and_saveexec_b64 s[20:21], vcc
	s_cbranch_execnz .LBB1016_84
.LBB1016_68:                            ;   in Loop: Header=BB1016_16 Depth=2
	s_or_b64 exec, exec, s[20:21]
	v_cmp_lt_u32_e32 vcc, v14, v40
	s_and_saveexec_b64 s[20:21], vcc
	s_cbranch_execz .LBB1016_85
.LBB1016_69:                            ;   in Loop: Header=BB1016_16 Depth=2
	v_xor_b32_e32 v0, 0xffff8000, v26
	v_lshrrev_b32_sdwa v0, s99, v0 dst_sel:DWORD dst_unused:UNUSED_PAD src0_sel:DWORD src1_sel:WORD_0
	v_and_b32_e32 v0, s6, v0
	v_lshl_or_b32 v0, v0, 4, v90
	ds_add_u32 v0, v91
	s_or_b64 exec, exec, s[20:21]
	v_cmp_lt_u32_e32 vcc, v16, v40
	s_and_saveexec_b64 s[20:21], vcc
	s_cbranch_execnz .LBB1016_86
.LBB1016_70:                            ;   in Loop: Header=BB1016_16 Depth=2
	s_or_b64 exec, exec, s[20:21]
	v_cmp_lt_u32_e32 vcc, v18, v40
	s_and_saveexec_b64 s[20:21], vcc
	s_cbranch_execz .LBB1016_87
.LBB1016_71:                            ;   in Loop: Header=BB1016_16 Depth=2
	v_xor_b32_e32 v0, 0xffff8000, v24
	v_lshrrev_b32_sdwa v0, s99, v0 dst_sel:DWORD dst_unused:UNUSED_PAD src0_sel:DWORD src1_sel:WORD_0
	v_and_b32_e32 v0, s6, v0
	v_lshl_or_b32 v0, v0, 4, v90
	ds_add_u32 v0, v91
	s_or_b64 exec, exec, s[20:21]
	v_cmp_lt_u32_e32 vcc, v20, v40
	s_and_saveexec_b64 s[20:21], vcc
	s_cbranch_execnz .LBB1016_88
.LBB1016_72:                            ;   in Loop: Header=BB1016_16 Depth=2
	s_or_b64 exec, exec, s[20:21]
	v_cmp_lt_u32_e32 vcc, v22, v40
	s_and_saveexec_b64 s[20:21], vcc
	s_cbranch_execz .LBB1016_15
	s_branch .LBB1016_89
.LBB1016_73:                            ;   in Loop: Header=BB1016_16 Depth=2
	s_or_b64 exec, exec, s[20:21]
	v_cmp_lt_u32_e32 vcc, v7, v40
	s_and_saveexec_b64 s[20:21], vcc
	s_cbranch_execz .LBB1016_58
.LBB1016_74:                            ;   in Loop: Header=BB1016_16 Depth=2
	v_xor_b32_e32 v0, 0xffff8000, v37
	v_lshrrev_b32_sdwa v0, s99, v0 dst_sel:DWORD dst_unused:UNUSED_PAD src0_sel:DWORD src1_sel:WORD_0
	v_and_b32_e32 v0, s6, v0
	v_lshl_or_b32 v0, v0, 4, v90
	ds_add_u32 v0, v91
	s_or_b64 exec, exec, s[20:21]
	v_cmp_lt_u32_e32 vcc, v13, v40
	s_and_saveexec_b64 s[20:21], vcc
	s_cbranch_execnz .LBB1016_59
.LBB1016_75:                            ;   in Loop: Header=BB1016_16 Depth=2
	s_or_b64 exec, exec, s[20:21]
	v_cmp_lt_u32_e32 vcc, v15, v40
	s_and_saveexec_b64 s[20:21], vcc
	s_cbranch_execz .LBB1016_60
.LBB1016_76:                            ;   in Loop: Header=BB1016_16 Depth=2
	v_xor_b32_e32 v0, 0xffff8000, v35
	v_lshrrev_b32_sdwa v0, s99, v0 dst_sel:DWORD dst_unused:UNUSED_PAD src0_sel:DWORD src1_sel:WORD_0
	v_and_b32_e32 v0, s6, v0
	v_lshl_or_b32 v0, v0, 4, v90
	ds_add_u32 v0, v91
	s_or_b64 exec, exec, s[20:21]
	v_cmp_lt_u32_e32 vcc, v17, v40
	s_and_saveexec_b64 s[20:21], vcc
	s_cbranch_execnz .LBB1016_61
.LBB1016_77:                            ;   in Loop: Header=BB1016_16 Depth=2
	s_or_b64 exec, exec, s[20:21]
	v_cmp_lt_u32_e32 vcc, v19, v40
	s_and_saveexec_b64 s[20:21], vcc
	s_cbranch_execz .LBB1016_62
.LBB1016_78:                            ;   in Loop: Header=BB1016_16 Depth=2
	v_xor_b32_e32 v0, 0xffff8000, v33
	v_lshrrev_b32_sdwa v0, s99, v0 dst_sel:DWORD dst_unused:UNUSED_PAD src0_sel:DWORD src1_sel:WORD_0
	v_and_b32_e32 v0, s6, v0
	v_lshl_or_b32 v0, v0, 4, v90
	ds_add_u32 v0, v91
	s_or_b64 exec, exec, s[20:21]
	v_cmp_lt_u32_e32 vcc, v21, v40
	s_and_saveexec_b64 s[20:21], vcc
	s_cbranch_execnz .LBB1016_63
.LBB1016_79:                            ;   in Loop: Header=BB1016_16 Depth=2
	s_or_b64 exec, exec, s[20:21]
	v_cmp_lt_u32_e32 vcc, v23, v40
	s_and_saveexec_b64 s[20:21], vcc
	s_cbranch_execz .LBB1016_64
.LBB1016_80:                            ;   in Loop: Header=BB1016_16 Depth=2
	v_xor_b32_e32 v0, 0xffff8000, v31
	v_lshrrev_b32_sdwa v0, s99, v0 dst_sel:DWORD dst_unused:UNUSED_PAD src0_sel:DWORD src1_sel:WORD_0
	v_and_b32_e32 v0, s6, v0
	v_lshl_or_b32 v0, v0, 4, v90
	ds_add_u32 v0, v91
	s_or_b64 exec, exec, s[20:21]
	v_cmp_lt_u32_e32 vcc, v6, v40
	s_and_saveexec_b64 s[20:21], vcc
	s_cbranch_execnz .LBB1016_65
.LBB1016_81:                            ;   in Loop: Header=BB1016_16 Depth=2
	s_or_b64 exec, exec, s[20:21]
	v_cmp_lt_u32_e32 vcc, v8, v40
	s_and_saveexec_b64 s[20:21], vcc
	s_cbranch_execz .LBB1016_66
.LBB1016_82:                            ;   in Loop: Header=BB1016_16 Depth=2
	v_xor_b32_e32 v0, 0xffff8000, v29
	v_lshrrev_b32_sdwa v0, s99, v0 dst_sel:DWORD dst_unused:UNUSED_PAD src0_sel:DWORD src1_sel:WORD_0
	v_and_b32_e32 v0, s6, v0
	v_lshl_or_b32 v0, v0, 4, v90
	ds_add_u32 v0, v91
	s_or_b64 exec, exec, s[20:21]
	v_cmp_lt_u32_e32 vcc, v10, v40
	s_and_saveexec_b64 s[20:21], vcc
	s_cbranch_execnz .LBB1016_67
.LBB1016_83:                            ;   in Loop: Header=BB1016_16 Depth=2
	s_or_b64 exec, exec, s[20:21]
	v_cmp_lt_u32_e32 vcc, v12, v40
	s_and_saveexec_b64 s[20:21], vcc
	s_cbranch_execz .LBB1016_68
.LBB1016_84:                            ;   in Loop: Header=BB1016_16 Depth=2
	v_xor_b32_e32 v0, 0xffff8000, v27
	v_lshrrev_b32_sdwa v0, s99, v0 dst_sel:DWORD dst_unused:UNUSED_PAD src0_sel:DWORD src1_sel:WORD_0
	v_and_b32_e32 v0, s6, v0
	v_lshl_or_b32 v0, v0, 4, v90
	ds_add_u32 v0, v91
	s_or_b64 exec, exec, s[20:21]
	v_cmp_lt_u32_e32 vcc, v14, v40
	s_and_saveexec_b64 s[20:21], vcc
	s_cbranch_execnz .LBB1016_69
.LBB1016_85:                            ;   in Loop: Header=BB1016_16 Depth=2
	s_or_b64 exec, exec, s[20:21]
	v_cmp_lt_u32_e32 vcc, v16, v40
	s_and_saveexec_b64 s[20:21], vcc
	s_cbranch_execz .LBB1016_70
.LBB1016_86:                            ;   in Loop: Header=BB1016_16 Depth=2
	v_xor_b32_e32 v0, 0xffff8000, v25
	v_lshrrev_b32_sdwa v0, s99, v0 dst_sel:DWORD dst_unused:UNUSED_PAD src0_sel:DWORD src1_sel:WORD_0
	v_and_b32_e32 v0, s6, v0
	v_lshl_or_b32 v0, v0, 4, v90
	ds_add_u32 v0, v91
	s_or_b64 exec, exec, s[20:21]
	v_cmp_lt_u32_e32 vcc, v18, v40
	s_and_saveexec_b64 s[20:21], vcc
	s_cbranch_execnz .LBB1016_71
.LBB1016_87:                            ;   in Loop: Header=BB1016_16 Depth=2
	s_or_b64 exec, exec, s[20:21]
	v_cmp_lt_u32_e32 vcc, v20, v40
	s_and_saveexec_b64 s[20:21], vcc
	s_cbranch_execz .LBB1016_72
.LBB1016_88:                            ;   in Loop: Header=BB1016_16 Depth=2
	v_xor_b32_e32 v0, 0xffff8000, v5
	v_lshrrev_b32_sdwa v0, s99, v0 dst_sel:DWORD dst_unused:UNUSED_PAD src0_sel:DWORD src1_sel:WORD_0
	v_and_b32_e32 v0, s6, v0
	v_lshl_or_b32 v0, v0, 4, v90
	ds_add_u32 v0, v91
	s_or_b64 exec, exec, s[20:21]
	v_cmp_lt_u32_e32 vcc, v22, v40
	s_and_saveexec_b64 s[20:21], vcc
	s_cbranch_execz .LBB1016_15
.LBB1016_89:                            ;   in Loop: Header=BB1016_16 Depth=2
	s_waitcnt vmcnt(0)
	v_xor_b32_e32 v0, 0xffff8000, v39
	v_lshrrev_b32_sdwa v0, s99, v0 dst_sel:DWORD dst_unused:UNUSED_PAD src0_sel:DWORD src1_sel:WORD_0
	v_and_b32_e32 v0, s6, v0
	v_lshl_or_b32 v0, v0, 4, v90
	ds_add_u32 v0, v91
	s_branch .LBB1016_15
.LBB1016_90:                            ;   in Loop: Header=BB1016_12 Depth=1
	v_mov_b32_e32 v0, 0
	s_waitcnt lgkmcnt(0)
	s_barrier
	s_and_saveexec_b64 s[20:21], s[4:5]
	s_cbranch_execz .LBB1016_92
; %bb.91:                               ;   in Loop: Header=BB1016_12 Depth=1
	ds_read2_b64 v[24:27], v59 offset1:1
	s_waitcnt lgkmcnt(0)
	v_add_u32_e32 v0, v25, v24
	v_add3_u32 v0, v0, v26, v27
.LBB1016_92:                            ;   in Loop: Header=BB1016_12 Depth=1
	s_or_b64 exec, exec, s[20:21]
	s_nop 0
	v_mov_b32_dpp v1, v0 row_shr:1 row_mask:0xf bank_mask:0xf
	v_cmp_eq_u32_e64 s[20:21], 0, v103
	v_cndmask_b32_e64 v1, v1, 0, s[20:21]
	v_add_u32_e32 v0, v1, v0
	v_cmp_lt_u32_e64 s[22:23], 1, v103
	v_cmp_lt_u32_e64 s[24:25], 3, v103
	v_mov_b32_dpp v1, v0 row_shr:2 row_mask:0xf bank_mask:0xf
	v_cndmask_b32_e64 v1, 0, v1, s[22:23]
	v_add_u32_e32 v0, v0, v1
	v_cmp_lt_u32_e64 s[26:27], 7, v103
	v_cmp_lt_u32_e64 s[30:31], 31, v102
	v_mov_b32_dpp v1, v0 row_shr:4 row_mask:0xf bank_mask:0xf
	v_cndmask_b32_e64 v1, 0, v1, s[24:25]
	v_add_u32_e32 v0, v0, v1
	v_cmp_eq_u32_e64 s[28:29], 0, v105
	s_nop 0
	v_mov_b32_dpp v1, v0 row_shr:8 row_mask:0xf bank_mask:0xf
	v_cndmask_b32_e64 v1, 0, v1, s[26:27]
	v_add_u32_e32 v0, v0, v1
	s_nop 1
	v_mov_b32_dpp v1, v0 row_bcast:15 row_mask:0xf bank_mask:0xf
	v_and_b32_e32 v1, v104, v1
	v_add_u32_e32 v0, v0, v1
	s_nop 1
	v_mov_b32_dpp v1, v0 row_bcast:31 row_mask:0xf bank_mask:0xf
	v_cndmask_b32_e64 v1, 0, v1, s[30:31]
	v_add_u32_e32 v0, v0, v1
	s_mov_b64 s[34:35], exec
	v_readlane_b32 s8, v232, 0
	v_readlane_b32 s9, v232, 1
	s_and_b64 s[8:9], s[34:35], s[8:9]
	s_mov_b64 exec, s[8:9]
	s_cbranch_execz .LBB1016_94
; %bb.93:                               ;   in Loop: Header=BB1016_12 Depth=1
	ds_write_b32 v61, v0
.LBB1016_94:                            ;   in Loop: Header=BB1016_12 Depth=1
	s_or_b64 exec, exec, s[34:35]
	s_waitcnt lgkmcnt(0)
	s_barrier
	s_mov_b64 s[34:35], exec
	v_readlane_b32 s8, v232, 2
	v_readlane_b32 s9, v232, 3
	s_and_b64 s[8:9], s[34:35], s[8:9]
	s_mov_b64 exec, s[8:9]
	s_cbranch_execz .LBB1016_96
; %bb.95:                               ;   in Loop: Header=BB1016_12 Depth=1
	ds_read_b32 v1, v62
	s_waitcnt lgkmcnt(0)
	s_nop 0
	v_mov_b32_dpp v5, v1 row_shr:1 row_mask:0xf bank_mask:0xf
	v_and_b32_e32 v5, v106, v5
	v_add_u32_e32 v1, v5, v1
	ds_write_b32 v62, v1
.LBB1016_96:                            ;   in Loop: Header=BB1016_12 Depth=1
	s_or_b64 exec, exec, s[34:35]
	v_mov_b32_e32 v1, 0
	s_waitcnt lgkmcnt(0)
	s_barrier
	s_and_saveexec_b64 s[34:35], s[10:11]
	s_cbranch_execz .LBB1016_98
; %bb.97:                               ;   in Loop: Header=BB1016_12 Depth=1
	ds_read_b32 v1, v63
.LBB1016_98:                            ;   in Loop: Header=BB1016_12 Depth=1
	s_or_b64 exec, exec, s[34:35]
	v_cmp_lt_i32_e32 vcc, v107, v108
	v_cndmask_b32_e32 v5, v107, v102, vcc
	s_waitcnt lgkmcnt(0)
	v_add_u32_e32 v0, v1, v0
	v_lshlrev_b32_e32 v129, 2, v5
	ds_bpermute_b32 v0, v129, v0
	v_cmp_eq_u32_e64 s[34:35], 0, v102
	s_waitcnt lgkmcnt(0)
	s_barrier
	s_and_saveexec_b64 s[36:37], s[4:5]
	s_cbranch_execz .LBB1016_100
; %bb.99:                               ;   in Loop: Header=BB1016_12 Depth=1
	v_cndmask_b32_e64 v0, v0, v1, s[34:35]
	v_add_u32_e32 v0, s75, v0
	ds_write_b32 v3, v0
.LBB1016_100:                           ;   in Loop: Header=BB1016_12 Depth=1
	s_or_b64 exec, exec, s[36:37]
	s_load_dword s7, s[96:97], 0x4
	s_load_dword s40, s[96:97], 0xc
	v_add_co_u32_e32 v130, vcc, v71, v110
	v_addc_co_u32_e32 v131, vcc, 0, v72, vcc
	s_waitcnt lgkmcnt(0)
	s_cmp_lt_u32 s33, s7
	s_cselect_b32 s7, 14, 20
	s_add_u32 s8, s96, s7
	s_addc_u32 s9, s97, 0
	global_load_ushort v5, v4, s[8:9]
	v_add_co_u32_e32 v132, vcc, v73, v128
	v_addc_co_u32_e32 v133, vcc, 0, v74, vcc
	s_and_b32 s8, s40, 0xffff
	v_add_co_u32_e32 v148, vcc, 0x800, v132
	v_cmp_eq_u32_e64 s[36:37], 0, v109
	v_cmp_lt_u32_e64 s[38:39], 1, v109
	s_mov_b32 s7, s91
	v_addc_co_u32_e32 v151, vcc, 0, v133, vcc
	s_mov_b32 s94, s75
                                        ; implicit-def: $vgpr0_vgpr1
                                        ; implicit-def: $vgpr24_vgpr25
                                        ; implicit-def: $vgpr26_vgpr27
                                        ; implicit-def: $vgpr28_vgpr29
                                        ; implicit-def: $vgpr32_vgpr33
                                        ; implicit-def: $vgpr36_vgpr37
                                        ; implicit-def: $vgpr40_vgpr41
                                        ; implicit-def: $vgpr44_vgpr45
                                        ; implicit-def: $vgpr48_vgpr49
                                        ; implicit-def: $vgpr30_vgpr31
                                        ; implicit-def: $vgpr34_vgpr35
                                        ; implicit-def: $vgpr38_vgpr39
                                        ; implicit-def: $vgpr42_vgpr43
                                        ; implicit-def: $vgpr46_vgpr47
                                        ; implicit-def: $vgpr50_vgpr51
                                        ; implicit-def: $vgpr52_vgpr53
                                        ; implicit-def: $vgpr54_vgpr55
                                        ; implicit-def: $vgpr134
                                        ; implicit-def: $vgpr135
                                        ; implicit-def: $vgpr136
                                        ; implicit-def: $vgpr137
                                        ; implicit-def: $vgpr138
                                        ; implicit-def: $vgpr139
                                        ; implicit-def: $vgpr140
                                        ; implicit-def: $vgpr141
                                        ; implicit-def: $vgpr142
                                        ; implicit-def: $vgpr143
                                        ; implicit-def: $vgpr144
                                        ; implicit-def: $vgpr145
                                        ; implicit-def: $vgpr146
                                        ; implicit-def: $vgpr147
                                        ; implicit-def: $vgpr149
                                        ; implicit-def: $vgpr150
                                        ; implicit-def: $vgpr152
                                        ; implicit-def: $vgpr154
                                        ; implicit-def: $vgpr155
	s_waitcnt vmcnt(0)
	v_mad_u32_u24 v5, v64, v5, v65
	v_mad_u64_u32 v[56:57], s[8:9], v5, s8, v[2:3]
	v_lshrrev_b32_e32 v153, 6, v56
	s_branch .LBB1016_102
.LBB1016_101:                           ;   in Loop: Header=BB1016_102 Depth=2
	s_or_b64 exec, exec, s[40:41]
	s_addk_i32 s7, 0xef00
	s_cmp_lt_u32 s8, s98
	s_mov_b32 s94, s8
	s_cbranch_scc0 .LBB1016_324
.LBB1016_102:                           ;   Parent Loop BB1016_12 Depth=1
                                        ; =>  This Inner Loop Header: Depth=2
	s_add_i32 s8, s94, 0x1100
	s_cmp_gt_u32 s8, s98
	s_cbranch_scc1 .LBB1016_105
; %bb.103:                              ;   in Loop: Header=BB1016_102 Depth=2
	s_lshl_b64 s[40:41], s[94:95], 1
	v_mov_b32_e32 v5, s41
	v_add_co_u32_e32 v56, vcc, s40, v132
	v_addc_co_u32_e32 v57, vcc, v133, v5, vcc
	global_load_ushort v5, v[56:57], off
	global_load_ushort v160, v[56:57], off offset:128
	global_load_ushort v165, v[56:57], off offset:256
	;; [unrolled: 1-line block ×15, first 2 shown]
	s_mov_b64 s[40:41], -1
	s_movk_i32 s9, 0x1100
	s_cbranch_execz .LBB1016_106
; %bb.104:                              ;   in Loop: Header=BB1016_102 Depth=2
                                        ; implicit-def: $sgpr42
	v_mov_b32_e32 v166, s42
	v_mov_b32_e32 v156, s7
	s_and_saveexec_b64 s[42:43], s[40:41]
	s_cbranch_execnz .LBB1016_139
	s_branch .LBB1016_140
.LBB1016_105:                           ;   in Loop: Header=BB1016_102 Depth=2
	s_mov_b64 s[40:41], 0
                                        ; implicit-def: $sgpr9
                                        ; implicit-def: $vgpr5
                                        ; implicit-def: $vgpr160
                                        ; implicit-def: $vgpr165
                                        ; implicit-def: $vgpr171
                                        ; implicit-def: $vgpr176
                                        ; implicit-def: $vgpr181
                                        ; implicit-def: $vgpr186
                                        ; implicit-def: $vgpr191
                                        ; implicit-def: $vgpr193
                                        ; implicit-def: $vgpr188
                                        ; implicit-def: $vgpr184
                                        ; implicit-def: $vgpr179
                                        ; implicit-def: $vgpr174
                                        ; implicit-def: $vgpr169
                                        ; implicit-def: $vgpr164
                                        ; implicit-def: $vgpr159
.LBB1016_106:                           ;   in Loop: Header=BB1016_102 Depth=2
	s_lshl_b64 s[40:41], s[94:95], 1
	s_waitcnt vmcnt(15)
	v_mov_b32_e32 v5, s41
	v_add_co_u32_e32 v56, vcc, s40, v132
	v_addc_co_u32_e32 v57, vcc, v133, v5, vcc
	v_cmp_gt_u32_e32 vcc, s7, v111
	s_waitcnt vmcnt(14)
	v_mov_b32_e32 v160, 0x7fff
	v_mov_b32_e32 v5, 0x7fff
	s_and_saveexec_b64 s[40:41], vcc
	s_cbranch_execz .LBB1016_108
; %bb.107:                              ;   in Loop: Header=BB1016_102 Depth=2
	global_load_ushort v5, v[56:57], off
.LBB1016_108:                           ;   in Loop: Header=BB1016_102 Depth=2
	s_or_b64 exec, exec, s[40:41]
	v_cmp_gt_u32_e32 vcc, s7, v112
	s_and_saveexec_b64 s[40:41], vcc
	s_cbranch_execz .LBB1016_110
; %bb.109:                              ;   in Loop: Header=BB1016_102 Depth=2
	global_load_ushort v160, v[56:57], off offset:128
.LBB1016_110:                           ;   in Loop: Header=BB1016_102 Depth=2
	s_or_b64 exec, exec, s[40:41]
	v_cmp_gt_u32_e32 vcc, s7, v113
	s_waitcnt vmcnt(12)
	v_mov_b32_e32 v171, 0x7fff
	v_mov_b32_e32 v165, 0x7fff
	s_and_saveexec_b64 s[40:41], vcc
	s_cbranch_execz .LBB1016_112
; %bb.111:                              ;   in Loop: Header=BB1016_102 Depth=2
	global_load_ushort v165, v[56:57], off offset:256
.LBB1016_112:                           ;   in Loop: Header=BB1016_102 Depth=2
	s_or_b64 exec, exec, s[40:41]
	v_cmp_gt_u32_e32 vcc, s7, v114
	s_and_saveexec_b64 s[40:41], vcc
	s_cbranch_execz .LBB1016_114
; %bb.113:                              ;   in Loop: Header=BB1016_102 Depth=2
	global_load_ushort v171, v[56:57], off offset:384
.LBB1016_114:                           ;   in Loop: Header=BB1016_102 Depth=2
	s_or_b64 exec, exec, s[40:41]
	v_cmp_gt_u32_e32 vcc, s7, v115
	s_waitcnt vmcnt(10)
	v_mov_b32_e32 v181, 0x7fff
	v_mov_b32_e32 v176, 0x7fff
	s_and_saveexec_b64 s[40:41], vcc
	s_cbranch_execz .LBB1016_116
; %bb.115:                              ;   in Loop: Header=BB1016_102 Depth=2
	global_load_ushort v176, v[56:57], off offset:512
.LBB1016_116:                           ;   in Loop: Header=BB1016_102 Depth=2
	;; [unrolled: 17-line block ×7, first 2 shown]
	s_or_b64 exec, exec, s[40:41]
	v_cmp_gt_u32_e32 vcc, s7, v126
	s_and_saveexec_b64 s[40:41], vcc
	s_cbranch_execz .LBB1016_138
; %bb.137:                              ;   in Loop: Header=BB1016_102 Depth=2
	global_load_ushort v159, v[56:57], off offset:1920
.LBB1016_138:                           ;   in Loop: Header=BB1016_102 Depth=2
	s_or_b64 exec, exec, s[40:41]
	s_sub_i32 s9, s98, s94
	v_cmp_gt_u32_e64 s[40:41], s7, v127
	s_movk_i32 s42, 0x7fff
	v_mov_b32_e32 v166, s42
	v_mov_b32_e32 v156, s7
	s_and_saveexec_b64 s[42:43], s[40:41]
	s_cbranch_execz .LBB1016_140
.LBB1016_139:                           ;   in Loop: Header=BB1016_102 Depth=2
	s_lshl_b64 s[40:41], s[94:95], 1
	v_mov_b32_e32 v57, s41
	v_add_co_u32_e32 v56, vcc, s40, v148
	v_addc_co_u32_e32 v57, vcc, v151, v57, vcc
	global_load_ushort v166, v[56:57], off
	v_mov_b32_e32 v156, s9
.LBB1016_140:                           ;   in Loop: Header=BB1016_102 Depth=2
	s_or_b64 exec, exec, s[42:43]
	s_waitcnt vmcnt(15)
	v_xor_b32_e32 v157, 0xffff8000, v5
	v_lshrrev_b32_sdwa v5, s99, v157 dst_sel:DWORD dst_unused:UNUSED_PAD src0_sel:DWORD src1_sel:WORD_0
	v_and_b32_e32 v56, s6, v5
	v_mad_u32_u24 v5, v56, 5, v153
	v_lshl_add_u32 v158, v5, 2, v66
	v_and_b32_e32 v5, 1, v56
	v_add_co_u32_e32 v57, vcc, -1, v5
	v_addc_co_u32_e64 v161, s[40:41], 0, -1, vcc
	v_cmp_ne_u32_e32 vcc, 0, v5
	v_xor_b32_e32 v5, vcc_hi, v161
	v_and_b32_e32 v161, exec_hi, v5
	v_lshlrev_b32_e32 v5, 30, v56
	v_xor_b32_e32 v57, vcc_lo, v57
	v_cmp_gt_i64_e32 vcc, 0, v[4:5]
	v_not_b32_e32 v5, v5
	v_ashrrev_i32_e32 v5, 31, v5
	v_and_b32_e32 v57, exec_lo, v57
	v_xor_b32_e32 v162, vcc_hi, v5
	v_xor_b32_e32 v5, vcc_lo, v5
	v_and_b32_e32 v57, v57, v5
	v_lshlrev_b32_e32 v5, 29, v56
	v_cmp_gt_i64_e32 vcc, 0, v[4:5]
	v_not_b32_e32 v5, v5
	v_ashrrev_i32_e32 v5, 31, v5
	v_and_b32_e32 v161, v161, v162
	v_xor_b32_e32 v162, vcc_hi, v5
	v_xor_b32_e32 v5, vcc_lo, v5
	v_and_b32_e32 v57, v57, v5
	v_lshlrev_b32_e32 v5, 28, v56
	v_cmp_gt_i64_e32 vcc, 0, v[4:5]
	v_not_b32_e32 v5, v5
	v_ashrrev_i32_e32 v5, 31, v5
	v_and_b32_e32 v161, v161, v162
	;; [unrolled: 8-line block ×4, first 2 shown]
	v_xor_b32_e32 v162, vcc_hi, v5
	v_xor_b32_e32 v5, vcc_lo, v5
	v_and_b32_e32 v161, v161, v162
	v_and_b32_e32 v162, v57, v5
	v_lshlrev_b32_e32 v5, 25, v56
	v_cmp_gt_i64_e32 vcc, 0, v[4:5]
	v_not_b32_e32 v5, v5
	v_ashrrev_i32_e32 v5, 31, v5
	v_xor_b32_e32 v56, vcc_hi, v5
	v_xor_b32_e32 v5, vcc_lo, v5
	v_and_b32_e32 v57, v161, v56
	v_and_b32_e32 v56, v162, v5
	v_mbcnt_lo_u32_b32 v5, v56, 0
	v_mbcnt_hi_u32_b32 v161, v57, v5
	v_cmp_eq_u32_e32 vcc, 0, v161
	v_cmp_ne_u64_e64 s[40:41], 0, v[56:57]
	s_and_b64 s[42:43], s[40:41], vcc
	ds_write2_b32 v58, v4, v4 offset0:132 offset1:133
	ds_write_b32 v67, v4 offset:8
	s_waitcnt lgkmcnt(0)
	s_barrier
	s_waitcnt lgkmcnt(0)
	; wave barrier
	s_and_saveexec_b64 s[40:41], s[42:43]
	s_cbranch_execz .LBB1016_142
; %bb.141:                              ;   in Loop: Header=BB1016_102 Depth=2
	v_bcnt_u32_b32 v5, v56, 0
	v_bcnt_u32_b32 v5, v57, v5
	ds_write_b32 v158, v5
.LBB1016_142:                           ;   in Loop: Header=BB1016_102 Depth=2
	s_or_b64 exec, exec, s[40:41]
	s_waitcnt vmcnt(14)
	v_xor_b32_e32 v160, 0xffff8000, v160
	v_lshrrev_b32_sdwa v5, s99, v160 dst_sel:DWORD dst_unused:UNUSED_PAD src0_sel:DWORD src1_sel:WORD_0
	v_and_b32_e32 v56, s6, v5
	v_mul_u32_u24_e32 v5, 5, v56
	v_add_lshl_u32 v5, v5, v153, 2
	; wave barrier
	v_add_u32_e32 v163, 0x210, v5
	ds_read_b32 v162, v5 offset:528
	v_and_b32_e32 v5, 1, v56
	v_add_co_u32_e32 v57, vcc, -1, v5
	v_addc_co_u32_e64 v167, s[40:41], 0, -1, vcc
	v_cmp_ne_u32_e32 vcc, 0, v5
	v_xor_b32_e32 v5, vcc_hi, v167
	v_and_b32_e32 v167, exec_hi, v5
	v_lshlrev_b32_e32 v5, 30, v56
	v_xor_b32_e32 v57, vcc_lo, v57
	v_cmp_gt_i64_e32 vcc, 0, v[4:5]
	v_not_b32_e32 v5, v5
	v_ashrrev_i32_e32 v5, 31, v5
	v_and_b32_e32 v57, exec_lo, v57
	v_xor_b32_e32 v168, vcc_hi, v5
	v_xor_b32_e32 v5, vcc_lo, v5
	v_and_b32_e32 v57, v57, v5
	v_lshlrev_b32_e32 v5, 29, v56
	v_cmp_gt_i64_e32 vcc, 0, v[4:5]
	v_not_b32_e32 v5, v5
	v_ashrrev_i32_e32 v5, 31, v5
	v_and_b32_e32 v167, v167, v168
	v_xor_b32_e32 v168, vcc_hi, v5
	v_xor_b32_e32 v5, vcc_lo, v5
	v_and_b32_e32 v57, v57, v5
	v_lshlrev_b32_e32 v5, 28, v56
	v_cmp_gt_i64_e32 vcc, 0, v[4:5]
	v_not_b32_e32 v5, v5
	v_ashrrev_i32_e32 v5, 31, v5
	v_and_b32_e32 v167, v167, v168
	v_xor_b32_e32 v168, vcc_hi, v5
	v_xor_b32_e32 v5, vcc_lo, v5
	v_and_b32_e32 v57, v57, v5
	v_lshlrev_b32_e32 v5, 27, v56
	v_cmp_gt_i64_e32 vcc, 0, v[4:5]
	v_not_b32_e32 v5, v5
	v_ashrrev_i32_e32 v5, 31, v5
	v_and_b32_e32 v167, v167, v168
	v_xor_b32_e32 v168, vcc_hi, v5
	v_xor_b32_e32 v5, vcc_lo, v5
	v_and_b32_e32 v57, v57, v5
	v_lshlrev_b32_e32 v5, 26, v56
	v_cmp_gt_i64_e32 vcc, 0, v[4:5]
	v_not_b32_e32 v5, v5
	v_ashrrev_i32_e32 v5, 31, v5
	v_and_b32_e32 v167, v167, v168
	v_xor_b32_e32 v168, vcc_hi, v5
	v_xor_b32_e32 v5, vcc_lo, v5
	v_and_b32_e32 v167, v167, v168
	v_and_b32_e32 v168, v57, v5
	v_lshlrev_b32_e32 v5, 25, v56
	v_cmp_gt_i64_e32 vcc, 0, v[4:5]
	v_not_b32_e32 v5, v5
	v_ashrrev_i32_e32 v5, 31, v5
	v_xor_b32_e32 v56, vcc_hi, v5
	v_xor_b32_e32 v5, vcc_lo, v5
	v_and_b32_e32 v57, v167, v56
	v_and_b32_e32 v56, v168, v5
	v_mbcnt_lo_u32_b32 v5, v56, 0
	v_mbcnt_hi_u32_b32 v167, v57, v5
	v_cmp_eq_u32_e32 vcc, 0, v167
	v_cmp_ne_u64_e64 s[40:41], 0, v[56:57]
	s_and_b64 s[42:43], s[40:41], vcc
	; wave barrier
	s_and_saveexec_b64 s[40:41], s[42:43]
	s_cbranch_execz .LBB1016_144
; %bb.143:                              ;   in Loop: Header=BB1016_102 Depth=2
	v_bcnt_u32_b32 v5, v56, 0
	v_bcnt_u32_b32 v5, v57, v5
	s_waitcnt lgkmcnt(0)
	v_add_u32_e32 v5, v162, v5
	ds_write_b32 v163, v5
.LBB1016_144:                           ;   in Loop: Header=BB1016_102 Depth=2
	s_or_b64 exec, exec, s[40:41]
	s_waitcnt vmcnt(13)
	v_xor_b32_e32 v165, 0xffff8000, v165
	v_lshrrev_b32_sdwa v5, s99, v165 dst_sel:DWORD dst_unused:UNUSED_PAD src0_sel:DWORD src1_sel:WORD_0
	v_and_b32_e32 v56, s6, v5
	v_mul_u32_u24_e32 v5, 5, v56
	v_add_lshl_u32 v5, v5, v153, 2
	; wave barrier
	v_add_u32_e32 v170, 0x210, v5
	ds_read_b32 v168, v5 offset:528
	v_and_b32_e32 v5, 1, v56
	v_add_co_u32_e32 v57, vcc, -1, v5
	v_addc_co_u32_e64 v172, s[40:41], 0, -1, vcc
	v_cmp_ne_u32_e32 vcc, 0, v5
	v_xor_b32_e32 v5, vcc_hi, v172
	v_and_b32_e32 v172, exec_hi, v5
	v_lshlrev_b32_e32 v5, 30, v56
	v_xor_b32_e32 v57, vcc_lo, v57
	v_cmp_gt_i64_e32 vcc, 0, v[4:5]
	v_not_b32_e32 v5, v5
	v_ashrrev_i32_e32 v5, 31, v5
	v_and_b32_e32 v57, exec_lo, v57
	v_xor_b32_e32 v173, vcc_hi, v5
	v_xor_b32_e32 v5, vcc_lo, v5
	v_and_b32_e32 v57, v57, v5
	v_lshlrev_b32_e32 v5, 29, v56
	v_cmp_gt_i64_e32 vcc, 0, v[4:5]
	v_not_b32_e32 v5, v5
	v_ashrrev_i32_e32 v5, 31, v5
	v_and_b32_e32 v172, v172, v173
	v_xor_b32_e32 v173, vcc_hi, v5
	v_xor_b32_e32 v5, vcc_lo, v5
	v_and_b32_e32 v57, v57, v5
	v_lshlrev_b32_e32 v5, 28, v56
	v_cmp_gt_i64_e32 vcc, 0, v[4:5]
	v_not_b32_e32 v5, v5
	v_ashrrev_i32_e32 v5, 31, v5
	v_and_b32_e32 v172, v172, v173
	;; [unrolled: 8-line block ×4, first 2 shown]
	v_xor_b32_e32 v173, vcc_hi, v5
	v_xor_b32_e32 v5, vcc_lo, v5
	v_and_b32_e32 v172, v172, v173
	v_and_b32_e32 v173, v57, v5
	v_lshlrev_b32_e32 v5, 25, v56
	v_cmp_gt_i64_e32 vcc, 0, v[4:5]
	v_not_b32_e32 v5, v5
	v_ashrrev_i32_e32 v5, 31, v5
	v_xor_b32_e32 v56, vcc_hi, v5
	v_xor_b32_e32 v5, vcc_lo, v5
	v_and_b32_e32 v57, v172, v56
	v_and_b32_e32 v56, v173, v5
	v_mbcnt_lo_u32_b32 v5, v56, 0
	v_mbcnt_hi_u32_b32 v172, v57, v5
	v_cmp_eq_u32_e32 vcc, 0, v172
	v_cmp_ne_u64_e64 s[40:41], 0, v[56:57]
	s_and_b64 s[42:43], s[40:41], vcc
	; wave barrier
	s_and_saveexec_b64 s[40:41], s[42:43]
	s_cbranch_execz .LBB1016_146
; %bb.145:                              ;   in Loop: Header=BB1016_102 Depth=2
	v_bcnt_u32_b32 v5, v56, 0
	v_bcnt_u32_b32 v5, v57, v5
	s_waitcnt lgkmcnt(0)
	v_add_u32_e32 v5, v168, v5
	ds_write_b32 v170, v5
.LBB1016_146:                           ;   in Loop: Header=BB1016_102 Depth=2
	s_or_b64 exec, exec, s[40:41]
	s_waitcnt vmcnt(12)
	v_xor_b32_e32 v171, 0xffff8000, v171
	v_lshrrev_b32_sdwa v5, s99, v171 dst_sel:DWORD dst_unused:UNUSED_PAD src0_sel:DWORD src1_sel:WORD_0
	v_and_b32_e32 v56, s6, v5
	v_mul_u32_u24_e32 v5, 5, v56
	v_add_lshl_u32 v5, v5, v153, 2
	; wave barrier
	v_add_u32_e32 v175, 0x210, v5
	ds_read_b32 v173, v5 offset:528
	v_and_b32_e32 v5, 1, v56
	v_add_co_u32_e32 v57, vcc, -1, v5
	v_addc_co_u32_e64 v177, s[40:41], 0, -1, vcc
	v_cmp_ne_u32_e32 vcc, 0, v5
	v_xor_b32_e32 v5, vcc_hi, v177
	v_and_b32_e32 v177, exec_hi, v5
	v_lshlrev_b32_e32 v5, 30, v56
	v_xor_b32_e32 v57, vcc_lo, v57
	v_cmp_gt_i64_e32 vcc, 0, v[4:5]
	v_not_b32_e32 v5, v5
	v_ashrrev_i32_e32 v5, 31, v5
	v_and_b32_e32 v57, exec_lo, v57
	v_xor_b32_e32 v178, vcc_hi, v5
	v_xor_b32_e32 v5, vcc_lo, v5
	v_and_b32_e32 v57, v57, v5
	v_lshlrev_b32_e32 v5, 29, v56
	v_cmp_gt_i64_e32 vcc, 0, v[4:5]
	v_not_b32_e32 v5, v5
	v_ashrrev_i32_e32 v5, 31, v5
	v_and_b32_e32 v177, v177, v178
	v_xor_b32_e32 v178, vcc_hi, v5
	v_xor_b32_e32 v5, vcc_lo, v5
	v_and_b32_e32 v57, v57, v5
	v_lshlrev_b32_e32 v5, 28, v56
	v_cmp_gt_i64_e32 vcc, 0, v[4:5]
	v_not_b32_e32 v5, v5
	v_ashrrev_i32_e32 v5, 31, v5
	v_and_b32_e32 v177, v177, v178
	v_xor_b32_e32 v178, vcc_hi, v5
	v_xor_b32_e32 v5, vcc_lo, v5
	v_and_b32_e32 v57, v57, v5
	v_lshlrev_b32_e32 v5, 27, v56
	v_cmp_gt_i64_e32 vcc, 0, v[4:5]
	v_not_b32_e32 v5, v5
	v_ashrrev_i32_e32 v5, 31, v5
	v_and_b32_e32 v177, v177, v178
	v_xor_b32_e32 v178, vcc_hi, v5
	v_xor_b32_e32 v5, vcc_lo, v5
	v_and_b32_e32 v57, v57, v5
	v_lshlrev_b32_e32 v5, 26, v56
	v_cmp_gt_i64_e32 vcc, 0, v[4:5]
	v_not_b32_e32 v5, v5
	v_ashrrev_i32_e32 v5, 31, v5
	v_and_b32_e32 v177, v177, v178
	v_xor_b32_e32 v178, vcc_hi, v5
	v_xor_b32_e32 v5, vcc_lo, v5
	v_and_b32_e32 v177, v177, v178
	v_and_b32_e32 v178, v57, v5
	v_lshlrev_b32_e32 v5, 25, v56
	v_cmp_gt_i64_e32 vcc, 0, v[4:5]
	v_not_b32_e32 v5, v5
	v_ashrrev_i32_e32 v5, 31, v5
	v_xor_b32_e32 v56, vcc_hi, v5
	v_xor_b32_e32 v5, vcc_lo, v5
	v_and_b32_e32 v57, v177, v56
	v_and_b32_e32 v56, v178, v5
	v_mbcnt_lo_u32_b32 v5, v56, 0
	v_mbcnt_hi_u32_b32 v177, v57, v5
	v_cmp_eq_u32_e32 vcc, 0, v177
	v_cmp_ne_u64_e64 s[40:41], 0, v[56:57]
	s_and_b64 s[42:43], s[40:41], vcc
	; wave barrier
	s_and_saveexec_b64 s[40:41], s[42:43]
	s_cbranch_execz .LBB1016_148
; %bb.147:                              ;   in Loop: Header=BB1016_102 Depth=2
	v_bcnt_u32_b32 v5, v56, 0
	v_bcnt_u32_b32 v5, v57, v5
	s_waitcnt lgkmcnt(0)
	v_add_u32_e32 v5, v173, v5
	ds_write_b32 v175, v5
.LBB1016_148:                           ;   in Loop: Header=BB1016_102 Depth=2
	s_or_b64 exec, exec, s[40:41]
	s_waitcnt vmcnt(11)
	v_xor_b32_e32 v176, 0xffff8000, v176
	v_lshrrev_b32_sdwa v5, s99, v176 dst_sel:DWORD dst_unused:UNUSED_PAD src0_sel:DWORD src1_sel:WORD_0
	v_and_b32_e32 v56, s6, v5
	v_mul_u32_u24_e32 v5, 5, v56
	v_add_lshl_u32 v5, v5, v153, 2
	; wave barrier
	v_add_u32_e32 v180, 0x210, v5
	ds_read_b32 v178, v5 offset:528
	v_and_b32_e32 v5, 1, v56
	v_add_co_u32_e32 v57, vcc, -1, v5
	v_addc_co_u32_e64 v182, s[40:41], 0, -1, vcc
	v_cmp_ne_u32_e32 vcc, 0, v5
	v_xor_b32_e32 v5, vcc_hi, v182
	v_and_b32_e32 v182, exec_hi, v5
	v_lshlrev_b32_e32 v5, 30, v56
	v_xor_b32_e32 v57, vcc_lo, v57
	v_cmp_gt_i64_e32 vcc, 0, v[4:5]
	v_not_b32_e32 v5, v5
	v_ashrrev_i32_e32 v5, 31, v5
	v_and_b32_e32 v57, exec_lo, v57
	v_xor_b32_e32 v183, vcc_hi, v5
	v_xor_b32_e32 v5, vcc_lo, v5
	v_and_b32_e32 v57, v57, v5
	v_lshlrev_b32_e32 v5, 29, v56
	v_cmp_gt_i64_e32 vcc, 0, v[4:5]
	v_not_b32_e32 v5, v5
	v_ashrrev_i32_e32 v5, 31, v5
	v_and_b32_e32 v182, v182, v183
	v_xor_b32_e32 v183, vcc_hi, v5
	v_xor_b32_e32 v5, vcc_lo, v5
	v_and_b32_e32 v57, v57, v5
	v_lshlrev_b32_e32 v5, 28, v56
	v_cmp_gt_i64_e32 vcc, 0, v[4:5]
	v_not_b32_e32 v5, v5
	v_ashrrev_i32_e32 v5, 31, v5
	v_and_b32_e32 v182, v182, v183
	;; [unrolled: 8-line block ×4, first 2 shown]
	v_xor_b32_e32 v183, vcc_hi, v5
	v_xor_b32_e32 v5, vcc_lo, v5
	v_and_b32_e32 v182, v182, v183
	v_and_b32_e32 v183, v57, v5
	v_lshlrev_b32_e32 v5, 25, v56
	v_cmp_gt_i64_e32 vcc, 0, v[4:5]
	v_not_b32_e32 v5, v5
	v_ashrrev_i32_e32 v5, 31, v5
	v_xor_b32_e32 v56, vcc_hi, v5
	v_xor_b32_e32 v5, vcc_lo, v5
	v_and_b32_e32 v57, v182, v56
	v_and_b32_e32 v56, v183, v5
	v_mbcnt_lo_u32_b32 v5, v56, 0
	v_mbcnt_hi_u32_b32 v182, v57, v5
	v_cmp_eq_u32_e32 vcc, 0, v182
	v_cmp_ne_u64_e64 s[40:41], 0, v[56:57]
	s_and_b64 s[42:43], s[40:41], vcc
	; wave barrier
	s_and_saveexec_b64 s[40:41], s[42:43]
	s_cbranch_execz .LBB1016_150
; %bb.149:                              ;   in Loop: Header=BB1016_102 Depth=2
	v_bcnt_u32_b32 v5, v56, 0
	v_bcnt_u32_b32 v5, v57, v5
	s_waitcnt lgkmcnt(0)
	v_add_u32_e32 v5, v178, v5
	ds_write_b32 v180, v5
.LBB1016_150:                           ;   in Loop: Header=BB1016_102 Depth=2
	s_or_b64 exec, exec, s[40:41]
	s_waitcnt vmcnt(10)
	v_xor_b32_e32 v181, 0xffff8000, v181
	v_lshrrev_b32_sdwa v5, s99, v181 dst_sel:DWORD dst_unused:UNUSED_PAD src0_sel:DWORD src1_sel:WORD_0
	v_and_b32_e32 v56, s6, v5
	v_mul_u32_u24_e32 v5, 5, v56
	v_add_lshl_u32 v5, v5, v153, 2
	; wave barrier
	v_add_u32_e32 v185, 0x210, v5
	ds_read_b32 v183, v5 offset:528
	v_and_b32_e32 v5, 1, v56
	v_add_co_u32_e32 v57, vcc, -1, v5
	v_addc_co_u32_e64 v187, s[40:41], 0, -1, vcc
	v_cmp_ne_u32_e32 vcc, 0, v5
	v_xor_b32_e32 v5, vcc_hi, v187
	v_and_b32_e32 v187, exec_hi, v5
	v_lshlrev_b32_e32 v5, 30, v56
	v_xor_b32_e32 v57, vcc_lo, v57
	v_cmp_gt_i64_e32 vcc, 0, v[4:5]
	v_not_b32_e32 v5, v5
	v_ashrrev_i32_e32 v5, 31, v5
	v_and_b32_e32 v57, exec_lo, v57
	v_xor_b32_e32 v189, vcc_hi, v5
	v_xor_b32_e32 v5, vcc_lo, v5
	v_and_b32_e32 v57, v57, v5
	v_lshlrev_b32_e32 v5, 29, v56
	v_cmp_gt_i64_e32 vcc, 0, v[4:5]
	v_not_b32_e32 v5, v5
	v_ashrrev_i32_e32 v5, 31, v5
	v_and_b32_e32 v187, v187, v189
	v_xor_b32_e32 v189, vcc_hi, v5
	v_xor_b32_e32 v5, vcc_lo, v5
	v_and_b32_e32 v57, v57, v5
	v_lshlrev_b32_e32 v5, 28, v56
	v_cmp_gt_i64_e32 vcc, 0, v[4:5]
	v_not_b32_e32 v5, v5
	v_ashrrev_i32_e32 v5, 31, v5
	v_and_b32_e32 v187, v187, v189
	;; [unrolled: 8-line block ×4, first 2 shown]
	v_xor_b32_e32 v189, vcc_hi, v5
	v_xor_b32_e32 v5, vcc_lo, v5
	v_and_b32_e32 v187, v187, v189
	v_and_b32_e32 v189, v57, v5
	v_lshlrev_b32_e32 v5, 25, v56
	v_cmp_gt_i64_e32 vcc, 0, v[4:5]
	v_not_b32_e32 v5, v5
	v_ashrrev_i32_e32 v5, 31, v5
	v_xor_b32_e32 v56, vcc_hi, v5
	v_xor_b32_e32 v5, vcc_lo, v5
	v_and_b32_e32 v57, v187, v56
	v_and_b32_e32 v56, v189, v5
	v_mbcnt_lo_u32_b32 v5, v56, 0
	v_mbcnt_hi_u32_b32 v187, v57, v5
	v_cmp_eq_u32_e32 vcc, 0, v187
	v_cmp_ne_u64_e64 s[40:41], 0, v[56:57]
	s_and_b64 s[42:43], s[40:41], vcc
	; wave barrier
	s_and_saveexec_b64 s[40:41], s[42:43]
	s_cbranch_execz .LBB1016_152
; %bb.151:                              ;   in Loop: Header=BB1016_102 Depth=2
	v_bcnt_u32_b32 v5, v56, 0
	v_bcnt_u32_b32 v5, v57, v5
	s_waitcnt lgkmcnt(0)
	v_add_u32_e32 v5, v183, v5
	ds_write_b32 v185, v5
.LBB1016_152:                           ;   in Loop: Header=BB1016_102 Depth=2
	s_or_b64 exec, exec, s[40:41]
	s_waitcnt vmcnt(9)
	v_xor_b32_e32 v186, 0xffff8000, v186
	v_lshrrev_b32_sdwa v5, s99, v186 dst_sel:DWORD dst_unused:UNUSED_PAD src0_sel:DWORD src1_sel:WORD_0
	v_and_b32_e32 v56, s6, v5
	v_mul_u32_u24_e32 v5, 5, v56
	v_add_lshl_u32 v5, v5, v153, 2
	; wave barrier
	v_add_u32_e32 v190, 0x210, v5
	ds_read_b32 v189, v5 offset:528
	v_and_b32_e32 v5, 1, v56
	v_add_co_u32_e32 v57, vcc, -1, v5
	v_addc_co_u32_e64 v192, s[40:41], 0, -1, vcc
	v_cmp_ne_u32_e32 vcc, 0, v5
	v_xor_b32_e32 v5, vcc_hi, v192
	v_and_b32_e32 v192, exec_hi, v5
	v_lshlrev_b32_e32 v5, 30, v56
	v_xor_b32_e32 v57, vcc_lo, v57
	v_cmp_gt_i64_e32 vcc, 0, v[4:5]
	v_not_b32_e32 v5, v5
	v_ashrrev_i32_e32 v5, 31, v5
	v_and_b32_e32 v57, exec_lo, v57
	v_xor_b32_e32 v194, vcc_hi, v5
	v_xor_b32_e32 v5, vcc_lo, v5
	v_and_b32_e32 v57, v57, v5
	v_lshlrev_b32_e32 v5, 29, v56
	v_cmp_gt_i64_e32 vcc, 0, v[4:5]
	v_not_b32_e32 v5, v5
	v_ashrrev_i32_e32 v5, 31, v5
	v_and_b32_e32 v192, v192, v194
	v_xor_b32_e32 v194, vcc_hi, v5
	v_xor_b32_e32 v5, vcc_lo, v5
	v_and_b32_e32 v57, v57, v5
	v_lshlrev_b32_e32 v5, 28, v56
	v_cmp_gt_i64_e32 vcc, 0, v[4:5]
	v_not_b32_e32 v5, v5
	v_ashrrev_i32_e32 v5, 31, v5
	v_and_b32_e32 v192, v192, v194
	;; [unrolled: 8-line block ×4, first 2 shown]
	v_xor_b32_e32 v194, vcc_hi, v5
	v_xor_b32_e32 v5, vcc_lo, v5
	v_and_b32_e32 v192, v192, v194
	v_and_b32_e32 v194, v57, v5
	v_lshlrev_b32_e32 v5, 25, v56
	v_cmp_gt_i64_e32 vcc, 0, v[4:5]
	v_not_b32_e32 v5, v5
	v_ashrrev_i32_e32 v5, 31, v5
	v_xor_b32_e32 v56, vcc_hi, v5
	v_xor_b32_e32 v5, vcc_lo, v5
	v_and_b32_e32 v57, v192, v56
	v_and_b32_e32 v56, v194, v5
	v_mbcnt_lo_u32_b32 v5, v56, 0
	v_mbcnt_hi_u32_b32 v192, v57, v5
	v_cmp_eq_u32_e32 vcc, 0, v192
	v_cmp_ne_u64_e64 s[40:41], 0, v[56:57]
	s_and_b64 s[42:43], s[40:41], vcc
	; wave barrier
	s_and_saveexec_b64 s[40:41], s[42:43]
	s_cbranch_execz .LBB1016_154
; %bb.153:                              ;   in Loop: Header=BB1016_102 Depth=2
	v_bcnt_u32_b32 v5, v56, 0
	v_bcnt_u32_b32 v5, v57, v5
	s_waitcnt lgkmcnt(0)
	v_add_u32_e32 v5, v189, v5
	ds_write_b32 v190, v5
.LBB1016_154:                           ;   in Loop: Header=BB1016_102 Depth=2
	s_or_b64 exec, exec, s[40:41]
	s_waitcnt vmcnt(8)
	v_xor_b32_e32 v191, 0xffff8000, v191
	v_lshrrev_b32_sdwa v5, s99, v191 dst_sel:DWORD dst_unused:UNUSED_PAD src0_sel:DWORD src1_sel:WORD_0
	v_and_b32_e32 v56, s6, v5
	v_mul_u32_u24_e32 v5, 5, v56
	v_add_lshl_u32 v5, v5, v153, 2
	; wave barrier
	v_add_u32_e32 v195, 0x210, v5
	ds_read_b32 v194, v5 offset:528
	v_and_b32_e32 v5, 1, v56
	v_add_co_u32_e32 v57, vcc, -1, v5
	v_addc_co_u32_e64 v196, s[40:41], 0, -1, vcc
	v_cmp_ne_u32_e32 vcc, 0, v5
	v_xor_b32_e32 v5, vcc_hi, v196
	v_and_b32_e32 v196, exec_hi, v5
	v_lshlrev_b32_e32 v5, 30, v56
	v_xor_b32_e32 v57, vcc_lo, v57
	v_cmp_gt_i64_e32 vcc, 0, v[4:5]
	v_not_b32_e32 v5, v5
	v_ashrrev_i32_e32 v5, 31, v5
	v_and_b32_e32 v57, exec_lo, v57
	v_xor_b32_e32 v197, vcc_hi, v5
	v_xor_b32_e32 v5, vcc_lo, v5
	v_and_b32_e32 v57, v57, v5
	v_lshlrev_b32_e32 v5, 29, v56
	v_cmp_gt_i64_e32 vcc, 0, v[4:5]
	v_not_b32_e32 v5, v5
	v_ashrrev_i32_e32 v5, 31, v5
	v_and_b32_e32 v196, v196, v197
	v_xor_b32_e32 v197, vcc_hi, v5
	v_xor_b32_e32 v5, vcc_lo, v5
	v_and_b32_e32 v57, v57, v5
	v_lshlrev_b32_e32 v5, 28, v56
	v_cmp_gt_i64_e32 vcc, 0, v[4:5]
	v_not_b32_e32 v5, v5
	v_ashrrev_i32_e32 v5, 31, v5
	v_and_b32_e32 v196, v196, v197
	;; [unrolled: 8-line block ×4, first 2 shown]
	v_xor_b32_e32 v197, vcc_hi, v5
	v_xor_b32_e32 v5, vcc_lo, v5
	v_and_b32_e32 v196, v196, v197
	v_and_b32_e32 v197, v57, v5
	v_lshlrev_b32_e32 v5, 25, v56
	v_cmp_gt_i64_e32 vcc, 0, v[4:5]
	v_not_b32_e32 v5, v5
	v_ashrrev_i32_e32 v5, 31, v5
	v_xor_b32_e32 v56, vcc_hi, v5
	v_xor_b32_e32 v5, vcc_lo, v5
	v_and_b32_e32 v57, v196, v56
	v_and_b32_e32 v56, v197, v5
	v_mbcnt_lo_u32_b32 v5, v56, 0
	v_mbcnt_hi_u32_b32 v196, v57, v5
	v_cmp_eq_u32_e32 vcc, 0, v196
	v_cmp_ne_u64_e64 s[40:41], 0, v[56:57]
	s_and_b64 s[42:43], s[40:41], vcc
	; wave barrier
	s_and_saveexec_b64 s[40:41], s[42:43]
	s_cbranch_execz .LBB1016_156
; %bb.155:                              ;   in Loop: Header=BB1016_102 Depth=2
	v_bcnt_u32_b32 v5, v56, 0
	v_bcnt_u32_b32 v5, v57, v5
	s_waitcnt lgkmcnt(0)
	v_add_u32_e32 v5, v194, v5
	ds_write_b32 v195, v5
.LBB1016_156:                           ;   in Loop: Header=BB1016_102 Depth=2
	s_or_b64 exec, exec, s[40:41]
	s_waitcnt vmcnt(7)
	v_xor_b32_e32 v193, 0xffff8000, v193
	v_lshrrev_b32_sdwa v5, s99, v193 dst_sel:DWORD dst_unused:UNUSED_PAD src0_sel:DWORD src1_sel:WORD_0
	v_and_b32_e32 v56, s6, v5
	v_mul_u32_u24_e32 v5, 5, v56
	v_add_lshl_u32 v5, v5, v153, 2
	; wave barrier
	v_add_u32_e32 v198, 0x210, v5
	ds_read_b32 v197, v5 offset:528
	v_and_b32_e32 v5, 1, v56
	v_add_co_u32_e32 v57, vcc, -1, v5
	v_addc_co_u32_e64 v199, s[40:41], 0, -1, vcc
	v_cmp_ne_u32_e32 vcc, 0, v5
	v_xor_b32_e32 v5, vcc_hi, v199
	v_and_b32_e32 v199, exec_hi, v5
	v_lshlrev_b32_e32 v5, 30, v56
	v_xor_b32_e32 v57, vcc_lo, v57
	v_cmp_gt_i64_e32 vcc, 0, v[4:5]
	v_not_b32_e32 v5, v5
	v_ashrrev_i32_e32 v5, 31, v5
	v_and_b32_e32 v57, exec_lo, v57
	v_xor_b32_e32 v200, vcc_hi, v5
	v_xor_b32_e32 v5, vcc_lo, v5
	v_and_b32_e32 v57, v57, v5
	v_lshlrev_b32_e32 v5, 29, v56
	v_cmp_gt_i64_e32 vcc, 0, v[4:5]
	v_not_b32_e32 v5, v5
	v_ashrrev_i32_e32 v5, 31, v5
	v_and_b32_e32 v199, v199, v200
	v_xor_b32_e32 v200, vcc_hi, v5
	v_xor_b32_e32 v5, vcc_lo, v5
	v_and_b32_e32 v57, v57, v5
	v_lshlrev_b32_e32 v5, 28, v56
	v_cmp_gt_i64_e32 vcc, 0, v[4:5]
	v_not_b32_e32 v5, v5
	v_ashrrev_i32_e32 v5, 31, v5
	v_and_b32_e32 v199, v199, v200
	;; [unrolled: 8-line block ×4, first 2 shown]
	v_xor_b32_e32 v200, vcc_hi, v5
	v_xor_b32_e32 v5, vcc_lo, v5
	v_and_b32_e32 v199, v199, v200
	v_and_b32_e32 v200, v57, v5
	v_lshlrev_b32_e32 v5, 25, v56
	v_cmp_gt_i64_e32 vcc, 0, v[4:5]
	v_not_b32_e32 v5, v5
	v_ashrrev_i32_e32 v5, 31, v5
	v_xor_b32_e32 v56, vcc_hi, v5
	v_xor_b32_e32 v5, vcc_lo, v5
	v_and_b32_e32 v57, v199, v56
	v_and_b32_e32 v56, v200, v5
	v_mbcnt_lo_u32_b32 v5, v56, 0
	v_mbcnt_hi_u32_b32 v199, v57, v5
	v_cmp_eq_u32_e32 vcc, 0, v199
	v_cmp_ne_u64_e64 s[40:41], 0, v[56:57]
	s_and_b64 s[42:43], s[40:41], vcc
	; wave barrier
	s_and_saveexec_b64 s[40:41], s[42:43]
	s_cbranch_execz .LBB1016_158
; %bb.157:                              ;   in Loop: Header=BB1016_102 Depth=2
	v_bcnt_u32_b32 v5, v56, 0
	v_bcnt_u32_b32 v5, v57, v5
	s_waitcnt lgkmcnt(0)
	v_add_u32_e32 v5, v197, v5
	ds_write_b32 v198, v5
.LBB1016_158:                           ;   in Loop: Header=BB1016_102 Depth=2
	s_or_b64 exec, exec, s[40:41]
	s_waitcnt vmcnt(6)
	v_xor_b32_e32 v188, 0xffff8000, v188
	v_lshrrev_b32_sdwa v5, s99, v188 dst_sel:DWORD dst_unused:UNUSED_PAD src0_sel:DWORD src1_sel:WORD_0
	v_and_b32_e32 v56, s6, v5
	v_mul_u32_u24_e32 v5, 5, v56
	v_add_lshl_u32 v5, v5, v153, 2
	; wave barrier
	v_add_u32_e32 v201, 0x210, v5
	ds_read_b32 v200, v5 offset:528
	v_and_b32_e32 v5, 1, v56
	v_add_co_u32_e32 v57, vcc, -1, v5
	v_addc_co_u32_e64 v202, s[40:41], 0, -1, vcc
	v_cmp_ne_u32_e32 vcc, 0, v5
	v_xor_b32_e32 v5, vcc_hi, v202
	v_and_b32_e32 v202, exec_hi, v5
	v_lshlrev_b32_e32 v5, 30, v56
	v_xor_b32_e32 v57, vcc_lo, v57
	v_cmp_gt_i64_e32 vcc, 0, v[4:5]
	v_not_b32_e32 v5, v5
	v_ashrrev_i32_e32 v5, 31, v5
	v_and_b32_e32 v57, exec_lo, v57
	v_xor_b32_e32 v203, vcc_hi, v5
	v_xor_b32_e32 v5, vcc_lo, v5
	v_and_b32_e32 v57, v57, v5
	v_lshlrev_b32_e32 v5, 29, v56
	v_cmp_gt_i64_e32 vcc, 0, v[4:5]
	v_not_b32_e32 v5, v5
	v_ashrrev_i32_e32 v5, 31, v5
	v_and_b32_e32 v202, v202, v203
	v_xor_b32_e32 v203, vcc_hi, v5
	v_xor_b32_e32 v5, vcc_lo, v5
	v_and_b32_e32 v57, v57, v5
	v_lshlrev_b32_e32 v5, 28, v56
	v_cmp_gt_i64_e32 vcc, 0, v[4:5]
	v_not_b32_e32 v5, v5
	v_ashrrev_i32_e32 v5, 31, v5
	v_and_b32_e32 v202, v202, v203
	v_xor_b32_e32 v203, vcc_hi, v5
	v_xor_b32_e32 v5, vcc_lo, v5
	v_and_b32_e32 v57, v57, v5
	v_lshlrev_b32_e32 v5, 27, v56
	v_cmp_gt_i64_e32 vcc, 0, v[4:5]
	v_not_b32_e32 v5, v5
	v_ashrrev_i32_e32 v5, 31, v5
	v_and_b32_e32 v202, v202, v203
	v_xor_b32_e32 v203, vcc_hi, v5
	v_xor_b32_e32 v5, vcc_lo, v5
	v_and_b32_e32 v57, v57, v5
	v_lshlrev_b32_e32 v5, 26, v56
	v_cmp_gt_i64_e32 vcc, 0, v[4:5]
	v_not_b32_e32 v5, v5
	v_ashrrev_i32_e32 v5, 31, v5
	v_and_b32_e32 v202, v202, v203
	v_xor_b32_e32 v203, vcc_hi, v5
	v_xor_b32_e32 v5, vcc_lo, v5
	v_and_b32_e32 v202, v202, v203
	v_and_b32_e32 v203, v57, v5
	v_lshlrev_b32_e32 v5, 25, v56
	v_cmp_gt_i64_e32 vcc, 0, v[4:5]
	v_not_b32_e32 v5, v5
	v_ashrrev_i32_e32 v5, 31, v5
	v_xor_b32_e32 v56, vcc_hi, v5
	v_xor_b32_e32 v5, vcc_lo, v5
	v_and_b32_e32 v57, v202, v56
	v_and_b32_e32 v56, v203, v5
	v_mbcnt_lo_u32_b32 v5, v56, 0
	v_mbcnt_hi_u32_b32 v202, v57, v5
	v_cmp_eq_u32_e32 vcc, 0, v202
	v_cmp_ne_u64_e64 s[40:41], 0, v[56:57]
	s_and_b64 s[42:43], s[40:41], vcc
	; wave barrier
	s_and_saveexec_b64 s[40:41], s[42:43]
	s_cbranch_execz .LBB1016_160
; %bb.159:                              ;   in Loop: Header=BB1016_102 Depth=2
	v_bcnt_u32_b32 v5, v56, 0
	v_bcnt_u32_b32 v5, v57, v5
	s_waitcnt lgkmcnt(0)
	v_add_u32_e32 v5, v200, v5
	ds_write_b32 v201, v5
.LBB1016_160:                           ;   in Loop: Header=BB1016_102 Depth=2
	s_or_b64 exec, exec, s[40:41]
	s_waitcnt vmcnt(5)
	v_xor_b32_e32 v184, 0xffff8000, v184
	v_lshrrev_b32_sdwa v5, s99, v184 dst_sel:DWORD dst_unused:UNUSED_PAD src0_sel:DWORD src1_sel:WORD_0
	v_and_b32_e32 v56, s6, v5
	v_mul_u32_u24_e32 v5, 5, v56
	v_add_lshl_u32 v5, v5, v153, 2
	; wave barrier
	v_add_u32_e32 v205, 0x210, v5
	ds_read_b32 v203, v5 offset:528
	v_and_b32_e32 v5, 1, v56
	v_add_co_u32_e32 v57, vcc, -1, v5
	v_addc_co_u32_e64 v204, s[40:41], 0, -1, vcc
	v_cmp_ne_u32_e32 vcc, 0, v5
	v_xor_b32_e32 v5, vcc_hi, v204
	v_and_b32_e32 v204, exec_hi, v5
	v_lshlrev_b32_e32 v5, 30, v56
	v_xor_b32_e32 v57, vcc_lo, v57
	v_cmp_gt_i64_e32 vcc, 0, v[4:5]
	v_not_b32_e32 v5, v5
	v_ashrrev_i32_e32 v5, 31, v5
	v_and_b32_e32 v57, exec_lo, v57
	v_xor_b32_e32 v206, vcc_hi, v5
	v_xor_b32_e32 v5, vcc_lo, v5
	v_and_b32_e32 v57, v57, v5
	v_lshlrev_b32_e32 v5, 29, v56
	v_cmp_gt_i64_e32 vcc, 0, v[4:5]
	v_not_b32_e32 v5, v5
	v_ashrrev_i32_e32 v5, 31, v5
	v_and_b32_e32 v204, v204, v206
	v_xor_b32_e32 v206, vcc_hi, v5
	v_xor_b32_e32 v5, vcc_lo, v5
	v_and_b32_e32 v57, v57, v5
	v_lshlrev_b32_e32 v5, 28, v56
	v_cmp_gt_i64_e32 vcc, 0, v[4:5]
	v_not_b32_e32 v5, v5
	v_ashrrev_i32_e32 v5, 31, v5
	v_and_b32_e32 v204, v204, v206
	;; [unrolled: 8-line block ×4, first 2 shown]
	v_xor_b32_e32 v206, vcc_hi, v5
	v_xor_b32_e32 v5, vcc_lo, v5
	v_and_b32_e32 v204, v204, v206
	v_and_b32_e32 v206, v57, v5
	v_lshlrev_b32_e32 v5, 25, v56
	v_cmp_gt_i64_e32 vcc, 0, v[4:5]
	v_not_b32_e32 v5, v5
	v_ashrrev_i32_e32 v5, 31, v5
	v_xor_b32_e32 v56, vcc_hi, v5
	v_xor_b32_e32 v5, vcc_lo, v5
	v_and_b32_e32 v57, v204, v56
	v_and_b32_e32 v56, v206, v5
	v_mbcnt_lo_u32_b32 v5, v56, 0
	v_mbcnt_hi_u32_b32 v206, v57, v5
	v_cmp_eq_u32_e32 vcc, 0, v206
	v_cmp_ne_u64_e64 s[40:41], 0, v[56:57]
	s_and_b64 s[42:43], s[40:41], vcc
	; wave barrier
	s_and_saveexec_b64 s[40:41], s[42:43]
	s_cbranch_execz .LBB1016_162
; %bb.161:                              ;   in Loop: Header=BB1016_102 Depth=2
	v_bcnt_u32_b32 v5, v56, 0
	v_bcnt_u32_b32 v5, v57, v5
	s_waitcnt lgkmcnt(0)
	v_add_u32_e32 v5, v203, v5
	ds_write_b32 v205, v5
.LBB1016_162:                           ;   in Loop: Header=BB1016_102 Depth=2
	s_or_b64 exec, exec, s[40:41]
	s_waitcnt vmcnt(4)
	v_xor_b32_e32 v204, 0xffff8000, v179
	v_lshrrev_b32_sdwa v5, s99, v204 dst_sel:DWORD dst_unused:UNUSED_PAD src0_sel:DWORD src1_sel:WORD_0
	v_and_b32_e32 v56, s6, v5
	v_mul_u32_u24_e32 v5, 5, v56
	v_add_lshl_u32 v5, v5, v153, 2
	; wave barrier
	v_add_u32_e32 v179, 0x210, v5
	ds_read_b32 v207, v5 offset:528
	v_and_b32_e32 v5, 1, v56
	v_add_co_u32_e32 v57, vcc, -1, v5
	v_addc_co_u32_e64 v208, s[40:41], 0, -1, vcc
	v_cmp_ne_u32_e32 vcc, 0, v5
	v_xor_b32_e32 v5, vcc_hi, v208
	v_and_b32_e32 v208, exec_hi, v5
	v_lshlrev_b32_e32 v5, 30, v56
	v_xor_b32_e32 v57, vcc_lo, v57
	v_cmp_gt_i64_e32 vcc, 0, v[4:5]
	v_not_b32_e32 v5, v5
	v_ashrrev_i32_e32 v5, 31, v5
	v_and_b32_e32 v57, exec_lo, v57
	v_xor_b32_e32 v209, vcc_hi, v5
	v_xor_b32_e32 v5, vcc_lo, v5
	v_and_b32_e32 v57, v57, v5
	v_lshlrev_b32_e32 v5, 29, v56
	v_cmp_gt_i64_e32 vcc, 0, v[4:5]
	v_not_b32_e32 v5, v5
	v_ashrrev_i32_e32 v5, 31, v5
	v_and_b32_e32 v208, v208, v209
	v_xor_b32_e32 v209, vcc_hi, v5
	v_xor_b32_e32 v5, vcc_lo, v5
	v_and_b32_e32 v57, v57, v5
	v_lshlrev_b32_e32 v5, 28, v56
	v_cmp_gt_i64_e32 vcc, 0, v[4:5]
	v_not_b32_e32 v5, v5
	v_ashrrev_i32_e32 v5, 31, v5
	v_and_b32_e32 v208, v208, v209
	;; [unrolled: 8-line block ×4, first 2 shown]
	v_xor_b32_e32 v209, vcc_hi, v5
	v_xor_b32_e32 v5, vcc_lo, v5
	v_and_b32_e32 v208, v208, v209
	v_and_b32_e32 v209, v57, v5
	v_lshlrev_b32_e32 v5, 25, v56
	v_cmp_gt_i64_e32 vcc, 0, v[4:5]
	v_not_b32_e32 v5, v5
	v_ashrrev_i32_e32 v5, 31, v5
	v_xor_b32_e32 v56, vcc_hi, v5
	v_xor_b32_e32 v5, vcc_lo, v5
	v_and_b32_e32 v57, v208, v56
	v_and_b32_e32 v56, v209, v5
	v_mbcnt_lo_u32_b32 v5, v56, 0
	v_mbcnt_hi_u32_b32 v209, v57, v5
	v_cmp_eq_u32_e32 vcc, 0, v209
	v_cmp_ne_u64_e64 s[40:41], 0, v[56:57]
	s_and_b64 s[42:43], s[40:41], vcc
	; wave barrier
	s_and_saveexec_b64 s[40:41], s[42:43]
	s_cbranch_execz .LBB1016_164
; %bb.163:                              ;   in Loop: Header=BB1016_102 Depth=2
	v_bcnt_u32_b32 v5, v56, 0
	v_bcnt_u32_b32 v5, v57, v5
	s_waitcnt lgkmcnt(0)
	v_add_u32_e32 v5, v207, v5
	ds_write_b32 v179, v5
.LBB1016_164:                           ;   in Loop: Header=BB1016_102 Depth=2
	s_or_b64 exec, exec, s[40:41]
	s_waitcnt vmcnt(3)
	v_xor_b32_e32 v208, 0xffff8000, v174
	v_lshrrev_b32_sdwa v5, s99, v208 dst_sel:DWORD dst_unused:UNUSED_PAD src0_sel:DWORD src1_sel:WORD_0
	v_and_b32_e32 v56, s6, v5
	v_mul_u32_u24_e32 v5, 5, v56
	v_add_lshl_u32 v5, v5, v153, 2
	; wave barrier
	v_add_u32_e32 v174, 0x210, v5
	ds_read_b32 v210, v5 offset:528
	v_and_b32_e32 v5, 1, v56
	v_add_co_u32_e32 v57, vcc, -1, v5
	v_addc_co_u32_e64 v211, s[40:41], 0, -1, vcc
	v_cmp_ne_u32_e32 vcc, 0, v5
	v_xor_b32_e32 v5, vcc_hi, v211
	v_and_b32_e32 v211, exec_hi, v5
	v_lshlrev_b32_e32 v5, 30, v56
	v_xor_b32_e32 v57, vcc_lo, v57
	v_cmp_gt_i64_e32 vcc, 0, v[4:5]
	v_not_b32_e32 v5, v5
	v_ashrrev_i32_e32 v5, 31, v5
	v_and_b32_e32 v57, exec_lo, v57
	v_xor_b32_e32 v212, vcc_hi, v5
	v_xor_b32_e32 v5, vcc_lo, v5
	v_and_b32_e32 v57, v57, v5
	v_lshlrev_b32_e32 v5, 29, v56
	v_cmp_gt_i64_e32 vcc, 0, v[4:5]
	v_not_b32_e32 v5, v5
	v_ashrrev_i32_e32 v5, 31, v5
	v_and_b32_e32 v211, v211, v212
	v_xor_b32_e32 v212, vcc_hi, v5
	v_xor_b32_e32 v5, vcc_lo, v5
	v_and_b32_e32 v57, v57, v5
	v_lshlrev_b32_e32 v5, 28, v56
	v_cmp_gt_i64_e32 vcc, 0, v[4:5]
	v_not_b32_e32 v5, v5
	v_ashrrev_i32_e32 v5, 31, v5
	v_and_b32_e32 v211, v211, v212
	;; [unrolled: 8-line block ×4, first 2 shown]
	v_xor_b32_e32 v212, vcc_hi, v5
	v_xor_b32_e32 v5, vcc_lo, v5
	v_and_b32_e32 v211, v211, v212
	v_and_b32_e32 v212, v57, v5
	v_lshlrev_b32_e32 v5, 25, v56
	v_cmp_gt_i64_e32 vcc, 0, v[4:5]
	v_not_b32_e32 v5, v5
	v_ashrrev_i32_e32 v5, 31, v5
	v_xor_b32_e32 v56, vcc_hi, v5
	v_xor_b32_e32 v5, vcc_lo, v5
	v_and_b32_e32 v57, v211, v56
	v_and_b32_e32 v56, v212, v5
	v_mbcnt_lo_u32_b32 v5, v56, 0
	v_mbcnt_hi_u32_b32 v212, v57, v5
	v_cmp_eq_u32_e32 vcc, 0, v212
	v_cmp_ne_u64_e64 s[40:41], 0, v[56:57]
	s_and_b64 s[42:43], s[40:41], vcc
	; wave barrier
	s_and_saveexec_b64 s[40:41], s[42:43]
	s_cbranch_execz .LBB1016_166
; %bb.165:                              ;   in Loop: Header=BB1016_102 Depth=2
	v_bcnt_u32_b32 v5, v56, 0
	v_bcnt_u32_b32 v5, v57, v5
	s_waitcnt lgkmcnt(0)
	v_add_u32_e32 v5, v210, v5
	ds_write_b32 v174, v5
.LBB1016_166:                           ;   in Loop: Header=BB1016_102 Depth=2
	s_or_b64 exec, exec, s[40:41]
	s_waitcnt vmcnt(2)
	v_xor_b32_e32 v211, 0xffff8000, v169
	v_lshrrev_b32_sdwa v5, s99, v211 dst_sel:DWORD dst_unused:UNUSED_PAD src0_sel:DWORD src1_sel:WORD_0
	v_and_b32_e32 v56, s6, v5
	v_mul_u32_u24_e32 v5, 5, v56
	v_add_lshl_u32 v5, v5, v153, 2
	; wave barrier
	v_add_u32_e32 v169, 0x210, v5
	ds_read_b32 v213, v5 offset:528
	v_and_b32_e32 v5, 1, v56
	v_add_co_u32_e32 v57, vcc, -1, v5
	v_addc_co_u32_e64 v214, s[40:41], 0, -1, vcc
	v_cmp_ne_u32_e32 vcc, 0, v5
	v_xor_b32_e32 v5, vcc_hi, v214
	v_and_b32_e32 v214, exec_hi, v5
	v_lshlrev_b32_e32 v5, 30, v56
	v_xor_b32_e32 v57, vcc_lo, v57
	v_cmp_gt_i64_e32 vcc, 0, v[4:5]
	v_not_b32_e32 v5, v5
	v_ashrrev_i32_e32 v5, 31, v5
	v_and_b32_e32 v57, exec_lo, v57
	v_xor_b32_e32 v215, vcc_hi, v5
	v_xor_b32_e32 v5, vcc_lo, v5
	v_and_b32_e32 v57, v57, v5
	v_lshlrev_b32_e32 v5, 29, v56
	v_cmp_gt_i64_e32 vcc, 0, v[4:5]
	v_not_b32_e32 v5, v5
	v_ashrrev_i32_e32 v5, 31, v5
	v_and_b32_e32 v214, v214, v215
	v_xor_b32_e32 v215, vcc_hi, v5
	v_xor_b32_e32 v5, vcc_lo, v5
	v_and_b32_e32 v57, v57, v5
	v_lshlrev_b32_e32 v5, 28, v56
	v_cmp_gt_i64_e32 vcc, 0, v[4:5]
	v_not_b32_e32 v5, v5
	v_ashrrev_i32_e32 v5, 31, v5
	v_and_b32_e32 v214, v214, v215
	;; [unrolled: 8-line block ×4, first 2 shown]
	v_xor_b32_e32 v215, vcc_hi, v5
	v_xor_b32_e32 v5, vcc_lo, v5
	v_and_b32_e32 v214, v214, v215
	v_and_b32_e32 v215, v57, v5
	v_lshlrev_b32_e32 v5, 25, v56
	v_cmp_gt_i64_e32 vcc, 0, v[4:5]
	v_not_b32_e32 v5, v5
	v_ashrrev_i32_e32 v5, 31, v5
	v_xor_b32_e32 v56, vcc_hi, v5
	v_xor_b32_e32 v5, vcc_lo, v5
	v_and_b32_e32 v57, v214, v56
	v_and_b32_e32 v56, v215, v5
	v_mbcnt_lo_u32_b32 v5, v56, 0
	v_mbcnt_hi_u32_b32 v215, v57, v5
	v_cmp_eq_u32_e32 vcc, 0, v215
	v_cmp_ne_u64_e64 s[40:41], 0, v[56:57]
	s_and_b64 s[42:43], s[40:41], vcc
	; wave barrier
	s_and_saveexec_b64 s[40:41], s[42:43]
	s_cbranch_execz .LBB1016_168
; %bb.167:                              ;   in Loop: Header=BB1016_102 Depth=2
	v_bcnt_u32_b32 v5, v56, 0
	v_bcnt_u32_b32 v5, v57, v5
	s_waitcnt lgkmcnt(0)
	v_add_u32_e32 v5, v213, v5
	ds_write_b32 v169, v5
.LBB1016_168:                           ;   in Loop: Header=BB1016_102 Depth=2
	s_or_b64 exec, exec, s[40:41]
	s_waitcnt vmcnt(0)
	v_xor_b32_e32 v214, 0xffff8000, v164
	v_lshrrev_b32_sdwa v5, s99, v214 dst_sel:DWORD dst_unused:UNUSED_PAD src0_sel:DWORD src1_sel:WORD_0
	v_and_b32_e32 v56, s6, v5
	v_mul_u32_u24_e32 v5, 5, v56
	v_add_lshl_u32 v5, v5, v153, 2
	; wave barrier
	v_add_u32_e32 v164, 0x210, v5
	ds_read_b32 v216, v5 offset:528
	v_and_b32_e32 v5, 1, v56
	v_add_co_u32_e32 v57, vcc, -1, v5
	v_addc_co_u32_e64 v217, s[40:41], 0, -1, vcc
	v_cmp_ne_u32_e32 vcc, 0, v5
	v_xor_b32_e32 v5, vcc_hi, v217
	v_and_b32_e32 v217, exec_hi, v5
	v_lshlrev_b32_e32 v5, 30, v56
	v_xor_b32_e32 v57, vcc_lo, v57
	v_cmp_gt_i64_e32 vcc, 0, v[4:5]
	v_not_b32_e32 v5, v5
	v_ashrrev_i32_e32 v5, 31, v5
	v_and_b32_e32 v57, exec_lo, v57
	v_xor_b32_e32 v218, vcc_hi, v5
	v_xor_b32_e32 v5, vcc_lo, v5
	v_and_b32_e32 v57, v57, v5
	v_lshlrev_b32_e32 v5, 29, v56
	v_cmp_gt_i64_e32 vcc, 0, v[4:5]
	v_not_b32_e32 v5, v5
	v_ashrrev_i32_e32 v5, 31, v5
	v_and_b32_e32 v217, v217, v218
	v_xor_b32_e32 v218, vcc_hi, v5
	v_xor_b32_e32 v5, vcc_lo, v5
	v_and_b32_e32 v57, v57, v5
	v_lshlrev_b32_e32 v5, 28, v56
	v_cmp_gt_i64_e32 vcc, 0, v[4:5]
	v_not_b32_e32 v5, v5
	v_ashrrev_i32_e32 v5, 31, v5
	v_and_b32_e32 v217, v217, v218
	;; [unrolled: 8-line block ×4, first 2 shown]
	v_xor_b32_e32 v218, vcc_hi, v5
	v_xor_b32_e32 v5, vcc_lo, v5
	v_and_b32_e32 v217, v217, v218
	v_and_b32_e32 v218, v57, v5
	v_lshlrev_b32_e32 v5, 25, v56
	v_cmp_gt_i64_e32 vcc, 0, v[4:5]
	v_not_b32_e32 v5, v5
	v_ashrrev_i32_e32 v5, 31, v5
	v_xor_b32_e32 v56, vcc_hi, v5
	v_xor_b32_e32 v5, vcc_lo, v5
	v_and_b32_e32 v57, v217, v56
	v_and_b32_e32 v56, v218, v5
	v_mbcnt_lo_u32_b32 v5, v56, 0
	v_mbcnt_hi_u32_b32 v218, v57, v5
	v_cmp_eq_u32_e32 vcc, 0, v218
	v_cmp_ne_u64_e64 s[40:41], 0, v[56:57]
	s_and_b64 s[42:43], s[40:41], vcc
	; wave barrier
	s_and_saveexec_b64 s[40:41], s[42:43]
	s_cbranch_execz .LBB1016_170
; %bb.169:                              ;   in Loop: Header=BB1016_102 Depth=2
	v_bcnt_u32_b32 v5, v56, 0
	v_bcnt_u32_b32 v5, v57, v5
	s_waitcnt lgkmcnt(0)
	v_add_u32_e32 v5, v216, v5
	ds_write_b32 v164, v5
.LBB1016_170:                           ;   in Loop: Header=BB1016_102 Depth=2
	s_or_b64 exec, exec, s[40:41]
	v_xor_b32_e32 v217, 0xffff8000, v159
	v_lshrrev_b32_sdwa v5, s99, v217 dst_sel:DWORD dst_unused:UNUSED_PAD src0_sel:DWORD src1_sel:WORD_0
	v_and_b32_e32 v56, s6, v5
	v_mul_u32_u24_e32 v5, 5, v56
	v_add_lshl_u32 v5, v5, v153, 2
	; wave barrier
	v_add_u32_e32 v159, 0x210, v5
	ds_read_b32 v219, v5 offset:528
	v_and_b32_e32 v5, 1, v56
	v_add_co_u32_e32 v57, vcc, -1, v5
	v_addc_co_u32_e64 v220, s[40:41], 0, -1, vcc
	v_cmp_ne_u32_e32 vcc, 0, v5
	v_xor_b32_e32 v5, vcc_hi, v220
	v_and_b32_e32 v220, exec_hi, v5
	v_lshlrev_b32_e32 v5, 30, v56
	v_xor_b32_e32 v57, vcc_lo, v57
	v_cmp_gt_i64_e32 vcc, 0, v[4:5]
	v_not_b32_e32 v5, v5
	v_ashrrev_i32_e32 v5, 31, v5
	v_and_b32_e32 v57, exec_lo, v57
	v_xor_b32_e32 v221, vcc_hi, v5
	v_xor_b32_e32 v5, vcc_lo, v5
	v_and_b32_e32 v57, v57, v5
	v_lshlrev_b32_e32 v5, 29, v56
	v_cmp_gt_i64_e32 vcc, 0, v[4:5]
	v_not_b32_e32 v5, v5
	v_ashrrev_i32_e32 v5, 31, v5
	v_and_b32_e32 v220, v220, v221
	v_xor_b32_e32 v221, vcc_hi, v5
	v_xor_b32_e32 v5, vcc_lo, v5
	v_and_b32_e32 v57, v57, v5
	v_lshlrev_b32_e32 v5, 28, v56
	v_cmp_gt_i64_e32 vcc, 0, v[4:5]
	v_not_b32_e32 v5, v5
	v_ashrrev_i32_e32 v5, 31, v5
	v_and_b32_e32 v220, v220, v221
	;; [unrolled: 8-line block ×4, first 2 shown]
	v_xor_b32_e32 v221, vcc_hi, v5
	v_xor_b32_e32 v5, vcc_lo, v5
	v_and_b32_e32 v220, v220, v221
	v_and_b32_e32 v221, v57, v5
	v_lshlrev_b32_e32 v5, 25, v56
	v_cmp_gt_i64_e32 vcc, 0, v[4:5]
	v_not_b32_e32 v5, v5
	v_ashrrev_i32_e32 v5, 31, v5
	v_xor_b32_e32 v56, vcc_hi, v5
	v_xor_b32_e32 v5, vcc_lo, v5
	v_and_b32_e32 v57, v220, v56
	v_and_b32_e32 v56, v221, v5
	v_mbcnt_lo_u32_b32 v5, v56, 0
	v_mbcnt_hi_u32_b32 v221, v57, v5
	v_cmp_eq_u32_e32 vcc, 0, v221
	v_cmp_ne_u64_e64 s[40:41], 0, v[56:57]
	s_and_b64 s[42:43], s[40:41], vcc
	; wave barrier
	s_and_saveexec_b64 s[40:41], s[42:43]
	s_cbranch_execz .LBB1016_172
; %bb.171:                              ;   in Loop: Header=BB1016_102 Depth=2
	v_bcnt_u32_b32 v5, v56, 0
	v_bcnt_u32_b32 v5, v57, v5
	s_waitcnt lgkmcnt(0)
	v_add_u32_e32 v5, v219, v5
	ds_write_b32 v159, v5
.LBB1016_172:                           ;   in Loop: Header=BB1016_102 Depth=2
	s_or_b64 exec, exec, s[40:41]
	v_xor_b32_e32 v220, 0xffff8000, v166
	v_lshrrev_b32_sdwa v5, s99, v220 dst_sel:DWORD dst_unused:UNUSED_PAD src0_sel:DWORD src1_sel:WORD_0
	v_and_b32_e32 v56, s6, v5
	v_mul_u32_u24_e32 v5, 5, v56
	v_add_lshl_u32 v5, v5, v153, 2
	; wave barrier
	v_add_u32_e32 v166, 0x210, v5
	ds_read_b32 v222, v5 offset:528
	v_and_b32_e32 v5, 1, v56
	v_add_co_u32_e32 v57, vcc, -1, v5
	v_addc_co_u32_e64 v223, s[40:41], 0, -1, vcc
	v_cmp_ne_u32_e32 vcc, 0, v5
	v_xor_b32_e32 v5, vcc_hi, v223
	v_and_b32_e32 v223, exec_hi, v5
	v_lshlrev_b32_e32 v5, 30, v56
	v_xor_b32_e32 v57, vcc_lo, v57
	v_cmp_gt_i64_e32 vcc, 0, v[4:5]
	v_not_b32_e32 v5, v5
	v_ashrrev_i32_e32 v5, 31, v5
	v_and_b32_e32 v57, exec_lo, v57
	v_xor_b32_e32 v224, vcc_hi, v5
	v_xor_b32_e32 v5, vcc_lo, v5
	v_and_b32_e32 v57, v57, v5
	v_lshlrev_b32_e32 v5, 29, v56
	v_cmp_gt_i64_e32 vcc, 0, v[4:5]
	v_not_b32_e32 v5, v5
	v_ashrrev_i32_e32 v5, 31, v5
	v_and_b32_e32 v223, v223, v224
	v_xor_b32_e32 v224, vcc_hi, v5
	v_xor_b32_e32 v5, vcc_lo, v5
	v_and_b32_e32 v57, v57, v5
	v_lshlrev_b32_e32 v5, 28, v56
	v_cmp_gt_i64_e32 vcc, 0, v[4:5]
	v_not_b32_e32 v5, v5
	v_ashrrev_i32_e32 v5, 31, v5
	v_and_b32_e32 v223, v223, v224
	v_xor_b32_e32 v224, vcc_hi, v5
	v_xor_b32_e32 v5, vcc_lo, v5
	v_and_b32_e32 v57, v57, v5
	v_lshlrev_b32_e32 v5, 27, v56
	v_cmp_gt_i64_e32 vcc, 0, v[4:5]
	v_not_b32_e32 v5, v5
	v_ashrrev_i32_e32 v5, 31, v5
	v_and_b32_e32 v223, v223, v224
	v_xor_b32_e32 v224, vcc_hi, v5
	v_xor_b32_e32 v5, vcc_lo, v5
	v_and_b32_e32 v57, v57, v5
	v_lshlrev_b32_e32 v5, 26, v56
	v_cmp_gt_i64_e32 vcc, 0, v[4:5]
	v_not_b32_e32 v5, v5
	v_ashrrev_i32_e32 v5, 31, v5
	v_and_b32_e32 v223, v223, v224
	v_xor_b32_e32 v224, vcc_hi, v5
	v_xor_b32_e32 v5, vcc_lo, v5
	v_and_b32_e32 v223, v223, v224
	v_and_b32_e32 v224, v57, v5
	v_lshlrev_b32_e32 v5, 25, v56
	v_cmp_gt_i64_e32 vcc, 0, v[4:5]
	v_not_b32_e32 v5, v5
	v_ashrrev_i32_e32 v5, 31, v5
	v_xor_b32_e32 v56, vcc_hi, v5
	v_xor_b32_e32 v5, vcc_lo, v5
	v_and_b32_e32 v57, v223, v56
	v_and_b32_e32 v56, v224, v5
	v_mbcnt_lo_u32_b32 v5, v56, 0
	v_mbcnt_hi_u32_b32 v5, v57, v5
	v_cmp_eq_u32_e32 vcc, 0, v5
	v_cmp_ne_u64_e64 s[40:41], 0, v[56:57]
	s_and_b64 s[42:43], s[40:41], vcc
	; wave barrier
	s_and_saveexec_b64 s[40:41], s[42:43]
	s_cbranch_execz .LBB1016_174
; %bb.173:                              ;   in Loop: Header=BB1016_102 Depth=2
	v_bcnt_u32_b32 v56, v56, 0
	v_bcnt_u32_b32 v56, v57, v56
	s_waitcnt lgkmcnt(0)
	v_add_u32_e32 v56, v222, v56
	ds_write_b32 v166, v56
.LBB1016_174:                           ;   in Loop: Header=BB1016_102 Depth=2
	s_or_b64 exec, exec, s[40:41]
	; wave barrier
	s_waitcnt lgkmcnt(0)
	s_barrier
	ds_read_b32 v223, v58 offset:528
	ds_read2_b32 v[56:57], v67 offset0:1 offset1:2
	s_waitcnt lgkmcnt(0)
	v_add3_u32 v57, v56, v223, v57
	s_nop 1
	v_mov_b32_dpp v224, v57 row_shr:1 row_mask:0xf bank_mask:0xf
	v_cndmask_b32_e64 v224, v224, 0, s[20:21]
	v_add_u32_e32 v57, v224, v57
	s_nop 1
	v_mov_b32_dpp v224, v57 row_shr:2 row_mask:0xf bank_mask:0xf
	v_cndmask_b32_e64 v224, 0, v224, s[22:23]
	v_add_u32_e32 v57, v57, v224
	;; [unrolled: 4-line block ×4, first 2 shown]
	s_nop 1
	v_mov_b32_dpp v224, v57 row_bcast:15 row_mask:0xf bank_mask:0xf
	v_cndmask_b32_e64 v224, v224, 0, s[28:29]
	v_add_u32_e32 v57, v57, v224
	s_nop 1
	v_mov_b32_dpp v224, v57 row_bcast:31 row_mask:0xf bank_mask:0xf
	v_cndmask_b32_e64 v224, 0, v224, s[30:31]
	v_add_u32_e32 v57, v57, v224
	s_and_saveexec_b64 s[40:41], s[12:13]
	s_cbranch_execz .LBB1016_176
; %bb.175:                              ;   in Loop: Header=BB1016_102 Depth=2
	ds_write_b32 v60, v57 offset:512
.LBB1016_176:                           ;   in Loop: Header=BB1016_102 Depth=2
	s_or_b64 exec, exec, s[40:41]
	s_waitcnt lgkmcnt(0)
	s_barrier
	s_and_saveexec_b64 s[40:41], s[14:15]
	s_cbranch_execz .LBB1016_178
; %bb.177:                              ;   in Loop: Header=BB1016_102 Depth=2
	ds_read_b32 v224, v69 offset:512
	s_waitcnt lgkmcnt(0)
	s_nop 0
	v_mov_b32_dpp v225, v224 row_shr:1 row_mask:0xf bank_mask:0xf
	v_cndmask_b32_e64 v225, v225, 0, s[36:37]
	v_add_u32_e32 v224, v225, v224
	s_nop 1
	v_mov_b32_dpp v225, v224 row_shr:2 row_mask:0xf bank_mask:0xf
	v_cndmask_b32_e64 v225, 0, v225, s[38:39]
	v_add_u32_e32 v224, v224, v225
	ds_write_b32 v69, v224 offset:512
.LBB1016_178:                           ;   in Loop: Header=BB1016_102 Depth=2
	s_or_b64 exec, exec, s[40:41]
	v_mov_b32_e32 v224, 0
	s_waitcnt lgkmcnt(0)
	s_barrier
	s_and_saveexec_b64 s[40:41], s[10:11]
	s_cbranch_execz .LBB1016_180
; %bb.179:                              ;   in Loop: Header=BB1016_102 Depth=2
	ds_read_b32 v224, v60 offset:508
.LBB1016_180:                           ;   in Loop: Header=BB1016_102 Depth=2
	s_or_b64 exec, exec, s[40:41]
	s_waitcnt lgkmcnt(0)
	v_add_u32_e32 v57, v224, v57
	ds_bpermute_b32 v57, v129, v57
	s_waitcnt lgkmcnt(0)
	v_cndmask_b32_e64 v57, v57, v224, s[34:35]
	v_cndmask_b32_e64 v57, v57, 0, s[16:17]
	v_add_u32_e32 v223, v57, v223
	v_add_u32_e32 v56, v223, v56
	ds_write_b32 v58, v57 offset:528
	ds_write2_b32 v67, v223, v56 offset0:1 offset1:2
	s_waitcnt lgkmcnt(0)
	s_barrier
	ds_read_b32 v56, v158
	ds_read_b32 v57, v163
	;; [unrolled: 1-line block ×17, first 2 shown]
	s_and_saveexec_b64 s[40:41], s[4:5]
	s_cbranch_execz .LBB1016_184
; %bb.181:                              ;   in Loop: Header=BB1016_102 Depth=2
	ds_read_b32 v154, v70 offset:528
	v_mov_b32_e32 v155, 0x1100
	s_and_saveexec_b64 s[42:43], s[18:19]
	s_cbranch_execz .LBB1016_183
; %bb.182:                              ;   in Loop: Header=BB1016_102 Depth=2
	ds_read_b32 v155, v70 offset:548
.LBB1016_183:                           ;   in Loop: Header=BB1016_102 Depth=2
	s_or_b64 exec, exec, s[42:43]
	s_waitcnt lgkmcnt(0)
	v_sub_u32_e32 v155, v155, v154
.LBB1016_184:                           ;   in Loop: Header=BB1016_102 Depth=2
	s_or_b64 exec, exec, s[40:41]
	s_waitcnt lgkmcnt(0)
	s_barrier
	s_and_saveexec_b64 s[40:41], s[4:5]
	s_cbranch_execz .LBB1016_186
; %bb.185:                              ;   in Loop: Header=BB1016_102 Depth=2
	ds_read_b32 v159, v3
	s_waitcnt lgkmcnt(0)
	v_sub_u32_e32 v159, v159, v154
	ds_write_b32 v3, v159
.LBB1016_186:                           ;   in Loop: Header=BB1016_102 Depth=2
	s_or_b64 exec, exec, s[40:41]
	v_add_u32_e32 v179, v56, v161
	v_add3_u32 v175, v167, v162, v57
	v_lshlrev_b32_e32 v56, 1, v179
	v_add3_u32 v174, v172, v168, v158
	ds_write_b16 v56, v157 offset:512
	v_lshlrev_b32_e32 v56, 1, v175
	v_add3_u32 v173, v177, v173, v163
	ds_write_b16 v56, v160 offset:512
	;; [unrolled: 3-line block ×15, first 2 shown]
	v_lshlrev_b32_e32 v56, 1, v158
	ds_write_b16 v56, v217 offset:512
	v_lshlrev_b32_e32 v56, 1, v5
	v_cmp_lt_u32_e64 s[40:41], v2, v156
	ds_write_b16 v56, v220 offset:512
	s_waitcnt lgkmcnt(0)
	s_barrier
	s_and_saveexec_b64 s[42:43], s[40:41]
	s_cbranch_execz .LBB1016_238
; %bb.187:                              ;   in Loop: Header=BB1016_102 Depth=2
	v_add_u32_e32 v56, v70, v75
	ds_read_u16 v56, v56 offset:512
	v_mov_b32_e32 v160, s79
	s_waitcnt lgkmcnt(0)
	v_lshrrev_b32_sdwa v57, s99, v56 dst_sel:DWORD dst_unused:UNUSED_PAD src0_sel:DWORD src1_sel:WORD_0
	v_and_b32_e32 v57, s6, v57
	v_lshlrev_b32_e32 v57, 2, v57
	ds_read_b32 v157, v57
	v_mov_b32_e32 v57, v4
	v_xor_b32_e32 v165, 0xffff8000, v56
	s_waitcnt lgkmcnt(0)
	v_add_u32_e32 v56, v157, v2
	v_lshlrev_b64 v[56:57], 1, v[56:57]
	v_add_co_u32_e32 v56, vcc, s78, v56
	v_addc_co_u32_e32 v57, vcc, v160, v57, vcc
	global_store_short v[56:57], v165, off
	s_or_b64 exec, exec, s[42:43]
	v_cmp_lt_u32_e64 s[42:43], v7, v156
	s_and_saveexec_b64 s[44:45], s[42:43]
	s_cbranch_execnz .LBB1016_239
.LBB1016_188:                           ;   in Loop: Header=BB1016_102 Depth=2
	s_or_b64 exec, exec, s[44:45]
	v_cmp_lt_u32_e64 s[44:45], v13, v156
	s_and_saveexec_b64 s[46:47], s[44:45]
	s_cbranch_execz .LBB1016_240
.LBB1016_189:                           ;   in Loop: Header=BB1016_102 Depth=2
	ds_read_u16 v56, v76 offset:1024
	v_mov_b32_e32 v160, s79
	s_waitcnt lgkmcnt(0)
	v_lshrrev_b32_sdwa v57, s99, v56 dst_sel:DWORD dst_unused:UNUSED_PAD src0_sel:DWORD src1_sel:WORD_0
	v_and_b32_e32 v57, s6, v57
	v_lshlrev_b32_e32 v57, 2, v57
	ds_read_b32 v157, v57
	v_mov_b32_e32 v57, v4
	v_xor_b32_e32 v165, 0xffff8000, v56
	s_waitcnt lgkmcnt(0)
	v_add_u32_e32 v56, v157, v13
	v_lshlrev_b64 v[56:57], 1, v[56:57]
	v_add_co_u32_e32 v56, vcc, s78, v56
	v_addc_co_u32_e32 v57, vcc, v160, v57, vcc
	global_store_short v[56:57], v165, off
	s_or_b64 exec, exec, s[46:47]
	v_cmp_lt_u32_e64 s[46:47], v15, v156
	s_and_saveexec_b64 s[48:49], s[46:47]
	s_cbranch_execnz .LBB1016_241
.LBB1016_190:                           ;   in Loop: Header=BB1016_102 Depth=2
	s_or_b64 exec, exec, s[48:49]
	v_cmp_lt_u32_e64 s[48:49], v17, v156
	s_and_saveexec_b64 s[50:51], s[48:49]
	s_cbranch_execz .LBB1016_242
.LBB1016_191:                           ;   in Loop: Header=BB1016_102 Depth=2
	ds_read_u16 v56, v76 offset:2048
	v_mov_b32_e32 v160, s79
	s_waitcnt lgkmcnt(0)
	v_lshrrev_b32_sdwa v57, s99, v56 dst_sel:DWORD dst_unused:UNUSED_PAD src0_sel:DWORD src1_sel:WORD_0
	v_and_b32_e32 v57, s6, v57
	v_lshlrev_b32_e32 v57, 2, v57
	ds_read_b32 v157, v57
	v_mov_b32_e32 v57, v4
	v_xor_b32_e32 v165, 0xffff8000, v56
	s_waitcnt lgkmcnt(0)
	v_add_u32_e32 v56, v157, v17
	v_lshlrev_b64 v[56:57], 1, v[56:57]
	v_add_co_u32_e32 v56, vcc, s78, v56
	v_addc_co_u32_e32 v57, vcc, v160, v57, vcc
	global_store_short v[56:57], v165, off
	s_or_b64 exec, exec, s[50:51]
	v_cmp_lt_u32_e64 s[50:51], v19, v156
	s_and_saveexec_b64 s[52:53], s[50:51]
	s_cbranch_execnz .LBB1016_243
.LBB1016_192:                           ;   in Loop: Header=BB1016_102 Depth=2
	s_or_b64 exec, exec, s[52:53]
	v_cmp_lt_u32_e64 s[52:53], v21, v156
	s_and_saveexec_b64 s[54:55], s[52:53]
	s_cbranch_execz .LBB1016_244
.LBB1016_193:                           ;   in Loop: Header=BB1016_102 Depth=2
	ds_read_u16 v56, v76 offset:3072
	v_mov_b32_e32 v160, s79
	s_waitcnt lgkmcnt(0)
	v_lshrrev_b32_sdwa v57, s99, v56 dst_sel:DWORD dst_unused:UNUSED_PAD src0_sel:DWORD src1_sel:WORD_0
	v_and_b32_e32 v57, s6, v57
	v_lshlrev_b32_e32 v57, 2, v57
	ds_read_b32 v157, v57
	v_mov_b32_e32 v57, v4
	v_xor_b32_e32 v165, 0xffff8000, v56
	s_waitcnt lgkmcnt(0)
	v_add_u32_e32 v56, v157, v21
	v_lshlrev_b64 v[56:57], 1, v[56:57]
	v_add_co_u32_e32 v56, vcc, s78, v56
	v_addc_co_u32_e32 v57, vcc, v160, v57, vcc
	global_store_short v[56:57], v165, off
	s_or_b64 exec, exec, s[54:55]
	v_cmp_lt_u32_e64 s[54:55], v23, v156
	s_and_saveexec_b64 s[56:57], s[54:55]
	s_cbranch_execnz .LBB1016_245
.LBB1016_194:                           ;   in Loop: Header=BB1016_102 Depth=2
	s_or_b64 exec, exec, s[56:57]
	v_cmp_lt_u32_e64 s[56:57], v6, v156
	s_and_saveexec_b64 s[58:59], s[56:57]
	s_cbranch_execz .LBB1016_246
.LBB1016_195:                           ;   in Loop: Header=BB1016_102 Depth=2
	ds_read_u16 v56, v76 offset:4096
	v_mov_b32_e32 v160, s79
	s_waitcnt lgkmcnt(0)
	v_lshrrev_b32_sdwa v57, s99, v56 dst_sel:DWORD dst_unused:UNUSED_PAD src0_sel:DWORD src1_sel:WORD_0
	v_and_b32_e32 v57, s6, v57
	v_lshlrev_b32_e32 v57, 2, v57
	ds_read_b32 v157, v57
	v_mov_b32_e32 v57, v4
	v_xor_b32_e32 v165, 0xffff8000, v56
	s_waitcnt lgkmcnt(0)
	v_add_u32_e32 v56, v157, v6
	v_lshlrev_b64 v[56:57], 1, v[56:57]
	v_add_co_u32_e32 v56, vcc, s78, v56
	v_addc_co_u32_e32 v57, vcc, v160, v57, vcc
	global_store_short v[56:57], v165, off
	s_or_b64 exec, exec, s[58:59]
	v_cmp_lt_u32_e64 s[58:59], v8, v156
	s_and_saveexec_b64 s[60:61], s[58:59]
	s_cbranch_execnz .LBB1016_247
.LBB1016_196:                           ;   in Loop: Header=BB1016_102 Depth=2
	s_or_b64 exec, exec, s[60:61]
	v_cmp_lt_u32_e64 s[60:61], v10, v156
	s_and_saveexec_b64 s[62:63], s[60:61]
	s_cbranch_execz .LBB1016_248
.LBB1016_197:                           ;   in Loop: Header=BB1016_102 Depth=2
	ds_read_u16 v56, v76 offset:5120
	v_mov_b32_e32 v160, s79
	s_waitcnt lgkmcnt(0)
	v_lshrrev_b32_sdwa v57, s99, v56 dst_sel:DWORD dst_unused:UNUSED_PAD src0_sel:DWORD src1_sel:WORD_0
	v_and_b32_e32 v57, s6, v57
	v_lshlrev_b32_e32 v57, 2, v57
	ds_read_b32 v157, v57
	v_mov_b32_e32 v57, v4
	v_xor_b32_e32 v165, 0xffff8000, v56
	s_waitcnt lgkmcnt(0)
	v_add_u32_e32 v56, v157, v10
	v_lshlrev_b64 v[56:57], 1, v[56:57]
	v_add_co_u32_e32 v56, vcc, s78, v56
	v_addc_co_u32_e32 v57, vcc, v160, v57, vcc
	global_store_short v[56:57], v165, off
	s_or_b64 exec, exec, s[62:63]
	v_cmp_lt_u32_e64 s[62:63], v12, v156
	s_and_saveexec_b64 s[64:65], s[62:63]
	s_cbranch_execnz .LBB1016_249
.LBB1016_198:                           ;   in Loop: Header=BB1016_102 Depth=2
	s_or_b64 exec, exec, s[64:65]
	v_cmp_lt_u32_e64 s[64:65], v14, v156
	s_and_saveexec_b64 s[66:67], s[64:65]
	s_cbranch_execz .LBB1016_250
.LBB1016_199:                           ;   in Loop: Header=BB1016_102 Depth=2
	ds_read_u16 v56, v76 offset:6144
	v_mov_b32_e32 v160, s79
	s_waitcnt lgkmcnt(0)
	v_lshrrev_b32_sdwa v57, s99, v56 dst_sel:DWORD dst_unused:UNUSED_PAD src0_sel:DWORD src1_sel:WORD_0
	v_and_b32_e32 v57, s6, v57
	v_lshlrev_b32_e32 v57, 2, v57
	ds_read_b32 v157, v57
	v_mov_b32_e32 v57, v4
	v_xor_b32_e32 v165, 0xffff8000, v56
	s_waitcnt lgkmcnt(0)
	v_add_u32_e32 v56, v157, v14
	v_lshlrev_b64 v[56:57], 1, v[56:57]
	v_add_co_u32_e32 v56, vcc, s78, v56
	v_addc_co_u32_e32 v57, vcc, v160, v57, vcc
	global_store_short v[56:57], v165, off
	s_or_b64 exec, exec, s[66:67]
	v_cmp_lt_u32_e64 s[66:67], v16, v156
	s_and_saveexec_b64 s[68:69], s[66:67]
	s_cbranch_execnz .LBB1016_251
.LBB1016_200:                           ;   in Loop: Header=BB1016_102 Depth=2
	s_or_b64 exec, exec, s[68:69]
	v_cmp_lt_u32_e64 s[68:69], v18, v156
	s_and_saveexec_b64 s[70:71], s[68:69]
	s_cbranch_execz .LBB1016_252
.LBB1016_201:                           ;   in Loop: Header=BB1016_102 Depth=2
	ds_read_u16 v56, v76 offset:7168
	v_mov_b32_e32 v160, s79
	s_waitcnt lgkmcnt(0)
	v_lshrrev_b32_sdwa v57, s99, v56 dst_sel:DWORD dst_unused:UNUSED_PAD src0_sel:DWORD src1_sel:WORD_0
	v_and_b32_e32 v57, s6, v57
	v_lshlrev_b32_e32 v57, 2, v57
	ds_read_b32 v157, v57
	v_mov_b32_e32 v57, v4
	v_xor_b32_e32 v165, 0xffff8000, v56
	s_waitcnt lgkmcnt(0)
	v_add_u32_e32 v56, v157, v18
	v_lshlrev_b64 v[56:57], 1, v[56:57]
	v_add_co_u32_e32 v56, vcc, s78, v56
	v_addc_co_u32_e32 v57, vcc, v160, v57, vcc
	global_store_short v[56:57], v165, off
	s_or_b64 exec, exec, s[70:71]
	v_cmp_lt_u32_e64 s[70:71], v20, v156
	s_and_saveexec_b64 s[72:73], s[70:71]
	s_cbranch_execnz .LBB1016_253
.LBB1016_202:                           ;   in Loop: Header=BB1016_102 Depth=2
	s_or_b64 exec, exec, s[72:73]
	v_cmp_lt_u32_e64 s[72:73], v22, v156
	s_and_saveexec_b64 s[82:83], s[72:73]
	s_cbranch_execz .LBB1016_204
.LBB1016_203:                           ;   in Loop: Header=BB1016_102 Depth=2
	ds_read_u16 v56, v76 offset:8192
	v_mov_b32_e32 v160, s79
	s_waitcnt lgkmcnt(0)
	v_lshrrev_b32_sdwa v57, s99, v56 dst_sel:DWORD dst_unused:UNUSED_PAD src0_sel:DWORD src1_sel:WORD_0
	v_and_b32_e32 v57, s6, v57
	v_lshlrev_b32_e32 v57, 2, v57
	ds_read_b32 v157, v57
	v_mov_b32_e32 v57, v4
	v_xor_b32_e32 v165, 0xffff8000, v56
	s_waitcnt lgkmcnt(0)
	v_add_u32_e32 v56, v157, v22
	v_lshlrev_b64 v[56:57], 1, v[56:57]
	v_add_co_u32_e32 v56, vcc, s78, v56
	v_addc_co_u32_e32 v57, vcc, v160, v57, vcc
	global_store_short v[56:57], v165, off
.LBB1016_204:                           ;   in Loop: Header=BB1016_102 Depth=2
	s_or_b64 exec, exec, s[82:83]
	s_lshl_b64 s[82:83], s[94:95], 3
	v_mov_b32_e32 v57, s83
	v_add_co_u32_e32 v56, vcc, s82, v130
	v_addc_co_u32_e32 v57, vcc, v131, v57, vcc
	v_cmp_lt_u32_e32 vcc, v111, v156
	s_and_saveexec_b64 s[82:83], vcc
	s_xor_b64 s[82:83], exec, s[82:83]
	s_cbranch_execz .LBB1016_254
; %bb.205:                              ;   in Loop: Header=BB1016_102 Depth=2
	global_load_dwordx2 v[54:55], v[56:57], off
	s_or_b64 exec, exec, s[82:83]
	v_cmp_lt_u32_e32 vcc, v112, v156
	s_and_saveexec_b64 s[82:83], vcc
	s_cbranch_execnz .LBB1016_255
.LBB1016_206:                           ;   in Loop: Header=BB1016_102 Depth=2
	s_or_b64 exec, exec, s[82:83]
	v_cmp_lt_u32_e32 vcc, v113, v156
	s_and_saveexec_b64 s[82:83], vcc
	s_cbranch_execz .LBB1016_256
.LBB1016_207:                           ;   in Loop: Header=BB1016_102 Depth=2
	global_load_dwordx2 v[50:51], v[56:57], off offset:1024
	s_or_b64 exec, exec, s[82:83]
	v_cmp_lt_u32_e32 vcc, v114, v156
	s_and_saveexec_b64 s[82:83], vcc
	s_cbranch_execnz .LBB1016_257
.LBB1016_208:                           ;   in Loop: Header=BB1016_102 Depth=2
	s_or_b64 exec, exec, s[82:83]
	v_cmp_lt_u32_e32 vcc, v115, v156
	s_and_saveexec_b64 s[82:83], vcc
	s_cbranch_execz .LBB1016_258
.LBB1016_209:                           ;   in Loop: Header=BB1016_102 Depth=2
	global_load_dwordx2 v[42:43], v[56:57], off offset:2048
	s_or_b64 exec, exec, s[82:83]
	v_cmp_lt_u32_e32 vcc, v116, v156
	s_and_saveexec_b64 s[82:83], vcc
	s_cbranch_execnz .LBB1016_259
.LBB1016_210:                           ;   in Loop: Header=BB1016_102 Depth=2
	s_or_b64 exec, exec, s[82:83]
	v_cmp_lt_u32_e32 vcc, v117, v156
	s_and_saveexec_b64 s[82:83], vcc
	s_cbranch_execz .LBB1016_260
.LBB1016_211:                           ;   in Loop: Header=BB1016_102 Depth=2
	global_load_dwordx2 v[34:35], v[56:57], off offset:3072
	s_or_b64 exec, exec, s[82:83]
	v_cmp_lt_u32_e32 vcc, v118, v156
	s_and_saveexec_b64 s[82:83], vcc
	s_cbranch_execnz .LBB1016_261
.LBB1016_212:                           ;   in Loop: Header=BB1016_102 Depth=2
	s_or_b64 exec, exec, s[82:83]
	v_cmp_lt_u32_e32 vcc, v119, v156
	s_and_saveexec_b64 s[82:83], vcc
	s_cbranch_execz .LBB1016_262
.LBB1016_213:                           ;   in Loop: Header=BB1016_102 Depth=2
	v_add_co_u32_e32 v48, vcc, 0x1000, v56
	v_addc_co_u32_e32 v49, vcc, 0, v57, vcc
	global_load_dwordx2 v[48:49], v[48:49], off
	s_or_b64 exec, exec, s[82:83]
	v_cmp_lt_u32_e32 vcc, v120, v156
	s_and_saveexec_b64 s[82:83], vcc
	s_cbranch_execnz .LBB1016_263
.LBB1016_214:                           ;   in Loop: Header=BB1016_102 Depth=2
	s_or_b64 exec, exec, s[82:83]
	v_cmp_lt_u32_e32 vcc, v121, v156
	s_and_saveexec_b64 s[82:83], vcc
	s_cbranch_execz .LBB1016_264
.LBB1016_215:                           ;   in Loop: Header=BB1016_102 Depth=2
	v_add_co_u32_e32 v40, vcc, 0x1000, v56
	v_addc_co_u32_e32 v41, vcc, 0, v57, vcc
	global_load_dwordx2 v[40:41], v[40:41], off offset:1024
	s_or_b64 exec, exec, s[82:83]
	v_cmp_lt_u32_e32 vcc, v122, v156
	s_and_saveexec_b64 s[82:83], vcc
	s_cbranch_execnz .LBB1016_265
.LBB1016_216:                           ;   in Loop: Header=BB1016_102 Depth=2
	s_or_b64 exec, exec, s[82:83]
	v_cmp_lt_u32_e32 vcc, v123, v156
	s_and_saveexec_b64 s[82:83], vcc
	s_cbranch_execz .LBB1016_266
.LBB1016_217:                           ;   in Loop: Header=BB1016_102 Depth=2
	v_add_co_u32_e32 v32, vcc, 0x1000, v56
	v_addc_co_u32_e32 v33, vcc, 0, v57, vcc
	global_load_dwordx2 v[32:33], v[32:33], off offset:2048
	s_or_b64 exec, exec, s[82:83]
	v_cmp_lt_u32_e32 vcc, v124, v156
	s_and_saveexec_b64 s[82:83], vcc
	s_cbranch_execnz .LBB1016_267
.LBB1016_218:                           ;   in Loop: Header=BB1016_102 Depth=2
	s_or_b64 exec, exec, s[82:83]
	v_cmp_lt_u32_e32 vcc, v125, v156
	s_and_saveexec_b64 s[82:83], vcc
	s_cbranch_execz .LBB1016_268
.LBB1016_219:                           ;   in Loop: Header=BB1016_102 Depth=2
	v_add_co_u32_e32 v26, vcc, 0x1000, v56
	v_addc_co_u32_e32 v27, vcc, 0, v57, vcc
	global_load_dwordx2 v[26:27], v[26:27], off offset:3072
	s_or_b64 exec, exec, s[82:83]
	v_cmp_lt_u32_e32 vcc, v126, v156
	s_and_saveexec_b64 s[82:83], vcc
	s_cbranch_execnz .LBB1016_269
.LBB1016_220:                           ;   in Loop: Header=BB1016_102 Depth=2
	s_or_b64 exec, exec, s[82:83]
	v_cmp_lt_u32_e32 vcc, v127, v156
	s_and_saveexec_b64 s[82:83], vcc
	s_cbranch_execz .LBB1016_270
.LBB1016_221:                           ;   in Loop: Header=BB1016_102 Depth=2
	v_add_co_u32_e32 v0, vcc, 0x2000, v56
	v_addc_co_u32_e32 v1, vcc, 0, v57, vcc
	global_load_dwordx2 v[0:1], v[0:1], off
	s_or_b64 exec, exec, s[82:83]
	s_and_saveexec_b64 s[82:83], s[40:41]
	s_cbranch_execnz .LBB1016_271
.LBB1016_222:                           ;   in Loop: Header=BB1016_102 Depth=2
	s_or_b64 exec, exec, s[82:83]
	s_and_saveexec_b64 s[82:83], s[42:43]
	s_cbranch_execz .LBB1016_272
.LBB1016_223:                           ;   in Loop: Header=BB1016_102 Depth=2
	ds_read_u16 v56, v76 offset:512
	s_waitcnt lgkmcnt(0)
	v_lshrrev_b32_e32 v56, s99, v56
	v_and_b32_e32 v150, s6, v56
	s_or_b64 exec, exec, s[82:83]
	s_and_saveexec_b64 s[82:83], s[44:45]
	s_cbranch_execnz .LBB1016_273
.LBB1016_224:                           ;   in Loop: Header=BB1016_102 Depth=2
	s_or_b64 exec, exec, s[82:83]
	s_and_saveexec_b64 s[82:83], s[46:47]
	s_cbranch_execz .LBB1016_274
.LBB1016_225:                           ;   in Loop: Header=BB1016_102 Depth=2
	ds_read_u16 v56, v76 offset:1536
	s_waitcnt lgkmcnt(0)
	v_lshrrev_b32_e32 v56, s99, v56
	v_and_b32_e32 v147, s6, v56
	s_or_b64 exec, exec, s[82:83]
	s_and_saveexec_b64 s[82:83], s[48:49]
	s_cbranch_execnz .LBB1016_275
.LBB1016_226:                           ;   in Loop: Header=BB1016_102 Depth=2
	s_or_b64 exec, exec, s[82:83]
	s_and_saveexec_b64 s[82:83], s[50:51]
	s_cbranch_execz .LBB1016_276
.LBB1016_227:                           ;   in Loop: Header=BB1016_102 Depth=2
	ds_read_u16 v56, v76 offset:2560
	s_waitcnt lgkmcnt(0)
	v_lshrrev_b32_e32 v56, s99, v56
	v_and_b32_e32 v145, s6, v56
	s_or_b64 exec, exec, s[82:83]
	s_and_saveexec_b64 s[82:83], s[52:53]
	s_cbranch_execnz .LBB1016_277
.LBB1016_228:                           ;   in Loop: Header=BB1016_102 Depth=2
	s_or_b64 exec, exec, s[82:83]
	s_and_saveexec_b64 s[82:83], s[54:55]
	s_cbranch_execz .LBB1016_278
.LBB1016_229:                           ;   in Loop: Header=BB1016_102 Depth=2
	ds_read_u16 v56, v76 offset:3584
	s_waitcnt lgkmcnt(0)
	v_lshrrev_b32_e32 v56, s99, v56
	v_and_b32_e32 v143, s6, v56
	s_or_b64 exec, exec, s[82:83]
	s_and_saveexec_b64 s[82:83], s[56:57]
	s_cbranch_execnz .LBB1016_279
.LBB1016_230:                           ;   in Loop: Header=BB1016_102 Depth=2
	s_or_b64 exec, exec, s[82:83]
	s_and_saveexec_b64 s[82:83], s[58:59]
	s_cbranch_execz .LBB1016_280
.LBB1016_231:                           ;   in Loop: Header=BB1016_102 Depth=2
	ds_read_u16 v56, v76 offset:4608
	s_waitcnt lgkmcnt(0)
	v_lshrrev_b32_e32 v56, s99, v56
	v_and_b32_e32 v141, s6, v56
	s_or_b64 exec, exec, s[82:83]
	s_and_saveexec_b64 s[82:83], s[60:61]
	s_cbranch_execnz .LBB1016_281
.LBB1016_232:                           ;   in Loop: Header=BB1016_102 Depth=2
	s_or_b64 exec, exec, s[82:83]
	s_and_saveexec_b64 s[82:83], s[62:63]
	s_cbranch_execz .LBB1016_282
.LBB1016_233:                           ;   in Loop: Header=BB1016_102 Depth=2
	ds_read_u16 v56, v76 offset:5632
	s_waitcnt lgkmcnt(0)
	v_lshrrev_b32_e32 v56, s99, v56
	v_and_b32_e32 v139, s6, v56
	s_or_b64 exec, exec, s[82:83]
	s_and_saveexec_b64 s[82:83], s[64:65]
	s_cbranch_execnz .LBB1016_283
.LBB1016_234:                           ;   in Loop: Header=BB1016_102 Depth=2
	s_or_b64 exec, exec, s[82:83]
	s_and_saveexec_b64 s[82:83], s[66:67]
	s_cbranch_execz .LBB1016_284
.LBB1016_235:                           ;   in Loop: Header=BB1016_102 Depth=2
	ds_read_u16 v56, v76 offset:6656
	s_waitcnt lgkmcnt(0)
	v_lshrrev_b32_e32 v56, s99, v56
	v_and_b32_e32 v137, s6, v56
	s_or_b64 exec, exec, s[82:83]
	s_and_saveexec_b64 s[82:83], s[68:69]
	s_cbranch_execnz .LBB1016_285
.LBB1016_236:                           ;   in Loop: Header=BB1016_102 Depth=2
	s_or_b64 exec, exec, s[82:83]
	s_and_saveexec_b64 s[82:83], s[70:71]
	s_cbranch_execz .LBB1016_286
.LBB1016_237:                           ;   in Loop: Header=BB1016_102 Depth=2
	ds_read_u16 v56, v76 offset:7680
	s_waitcnt lgkmcnt(0)
	v_lshrrev_b32_e32 v56, s99, v56
	v_and_b32_e32 v135, s6, v56
	s_or_b64 exec, exec, s[82:83]
	s_and_saveexec_b64 s[82:83], s[72:73]
	s_cbranch_execnz .LBB1016_287
	s_branch .LBB1016_288
.LBB1016_238:                           ;   in Loop: Header=BB1016_102 Depth=2
	s_or_b64 exec, exec, s[42:43]
	v_cmp_lt_u32_e64 s[42:43], v7, v156
	s_and_saveexec_b64 s[44:45], s[42:43]
	s_cbranch_execz .LBB1016_188
.LBB1016_239:                           ;   in Loop: Header=BB1016_102 Depth=2
	ds_read_u16 v56, v76 offset:512
	v_mov_b32_e32 v160, s79
	s_waitcnt lgkmcnt(0)
	v_lshrrev_b32_sdwa v57, s99, v56 dst_sel:DWORD dst_unused:UNUSED_PAD src0_sel:DWORD src1_sel:WORD_0
	v_and_b32_e32 v57, s6, v57
	v_lshlrev_b32_e32 v57, 2, v57
	ds_read_b32 v157, v57
	v_mov_b32_e32 v57, v4
	v_xor_b32_e32 v165, 0xffff8000, v56
	s_waitcnt lgkmcnt(0)
	v_add_u32_e32 v56, v157, v7
	v_lshlrev_b64 v[56:57], 1, v[56:57]
	v_add_co_u32_e32 v56, vcc, s78, v56
	v_addc_co_u32_e32 v57, vcc, v160, v57, vcc
	global_store_short v[56:57], v165, off
	s_or_b64 exec, exec, s[44:45]
	v_cmp_lt_u32_e64 s[44:45], v13, v156
	s_and_saveexec_b64 s[46:47], s[44:45]
	s_cbranch_execnz .LBB1016_189
.LBB1016_240:                           ;   in Loop: Header=BB1016_102 Depth=2
	s_or_b64 exec, exec, s[46:47]
	v_cmp_lt_u32_e64 s[46:47], v15, v156
	s_and_saveexec_b64 s[48:49], s[46:47]
	s_cbranch_execz .LBB1016_190
.LBB1016_241:                           ;   in Loop: Header=BB1016_102 Depth=2
	ds_read_u16 v56, v76 offset:1536
	v_mov_b32_e32 v160, s79
	s_waitcnt lgkmcnt(0)
	v_lshrrev_b32_sdwa v57, s99, v56 dst_sel:DWORD dst_unused:UNUSED_PAD src0_sel:DWORD src1_sel:WORD_0
	v_and_b32_e32 v57, s6, v57
	v_lshlrev_b32_e32 v57, 2, v57
	ds_read_b32 v157, v57
	v_mov_b32_e32 v57, v4
	v_xor_b32_e32 v165, 0xffff8000, v56
	s_waitcnt lgkmcnt(0)
	v_add_u32_e32 v56, v157, v15
	v_lshlrev_b64 v[56:57], 1, v[56:57]
	v_add_co_u32_e32 v56, vcc, s78, v56
	v_addc_co_u32_e32 v57, vcc, v160, v57, vcc
	global_store_short v[56:57], v165, off
	s_or_b64 exec, exec, s[48:49]
	v_cmp_lt_u32_e64 s[48:49], v17, v156
	s_and_saveexec_b64 s[50:51], s[48:49]
	s_cbranch_execnz .LBB1016_191
.LBB1016_242:                           ;   in Loop: Header=BB1016_102 Depth=2
	s_or_b64 exec, exec, s[50:51]
	v_cmp_lt_u32_e64 s[50:51], v19, v156
	s_and_saveexec_b64 s[52:53], s[50:51]
	s_cbranch_execz .LBB1016_192
.LBB1016_243:                           ;   in Loop: Header=BB1016_102 Depth=2
	ds_read_u16 v56, v76 offset:2560
	v_mov_b32_e32 v160, s79
	s_waitcnt lgkmcnt(0)
	v_lshrrev_b32_sdwa v57, s99, v56 dst_sel:DWORD dst_unused:UNUSED_PAD src0_sel:DWORD src1_sel:WORD_0
	v_and_b32_e32 v57, s6, v57
	v_lshlrev_b32_e32 v57, 2, v57
	ds_read_b32 v157, v57
	v_mov_b32_e32 v57, v4
	v_xor_b32_e32 v165, 0xffff8000, v56
	s_waitcnt lgkmcnt(0)
	v_add_u32_e32 v56, v157, v19
	v_lshlrev_b64 v[56:57], 1, v[56:57]
	v_add_co_u32_e32 v56, vcc, s78, v56
	v_addc_co_u32_e32 v57, vcc, v160, v57, vcc
	global_store_short v[56:57], v165, off
	s_or_b64 exec, exec, s[52:53]
	v_cmp_lt_u32_e64 s[52:53], v21, v156
	s_and_saveexec_b64 s[54:55], s[52:53]
	s_cbranch_execnz .LBB1016_193
.LBB1016_244:                           ;   in Loop: Header=BB1016_102 Depth=2
	s_or_b64 exec, exec, s[54:55]
	v_cmp_lt_u32_e64 s[54:55], v23, v156
	s_and_saveexec_b64 s[56:57], s[54:55]
	s_cbranch_execz .LBB1016_194
.LBB1016_245:                           ;   in Loop: Header=BB1016_102 Depth=2
	ds_read_u16 v56, v76 offset:3584
	v_mov_b32_e32 v160, s79
	s_waitcnt lgkmcnt(0)
	v_lshrrev_b32_sdwa v57, s99, v56 dst_sel:DWORD dst_unused:UNUSED_PAD src0_sel:DWORD src1_sel:WORD_0
	v_and_b32_e32 v57, s6, v57
	v_lshlrev_b32_e32 v57, 2, v57
	ds_read_b32 v157, v57
	v_mov_b32_e32 v57, v4
	v_xor_b32_e32 v165, 0xffff8000, v56
	s_waitcnt lgkmcnt(0)
	v_add_u32_e32 v56, v157, v23
	v_lshlrev_b64 v[56:57], 1, v[56:57]
	v_add_co_u32_e32 v56, vcc, s78, v56
	v_addc_co_u32_e32 v57, vcc, v160, v57, vcc
	global_store_short v[56:57], v165, off
	s_or_b64 exec, exec, s[56:57]
	v_cmp_lt_u32_e64 s[56:57], v6, v156
	s_and_saveexec_b64 s[58:59], s[56:57]
	s_cbranch_execnz .LBB1016_195
.LBB1016_246:                           ;   in Loop: Header=BB1016_102 Depth=2
	s_or_b64 exec, exec, s[58:59]
	v_cmp_lt_u32_e64 s[58:59], v8, v156
	s_and_saveexec_b64 s[60:61], s[58:59]
	s_cbranch_execz .LBB1016_196
.LBB1016_247:                           ;   in Loop: Header=BB1016_102 Depth=2
	ds_read_u16 v56, v76 offset:4608
	v_mov_b32_e32 v160, s79
	s_waitcnt lgkmcnt(0)
	v_lshrrev_b32_sdwa v57, s99, v56 dst_sel:DWORD dst_unused:UNUSED_PAD src0_sel:DWORD src1_sel:WORD_0
	v_and_b32_e32 v57, s6, v57
	v_lshlrev_b32_e32 v57, 2, v57
	ds_read_b32 v157, v57
	v_mov_b32_e32 v57, v4
	v_xor_b32_e32 v165, 0xffff8000, v56
	s_waitcnt lgkmcnt(0)
	v_add_u32_e32 v56, v157, v8
	v_lshlrev_b64 v[56:57], 1, v[56:57]
	v_add_co_u32_e32 v56, vcc, s78, v56
	v_addc_co_u32_e32 v57, vcc, v160, v57, vcc
	global_store_short v[56:57], v165, off
	s_or_b64 exec, exec, s[60:61]
	v_cmp_lt_u32_e64 s[60:61], v10, v156
	s_and_saveexec_b64 s[62:63], s[60:61]
	s_cbranch_execnz .LBB1016_197
.LBB1016_248:                           ;   in Loop: Header=BB1016_102 Depth=2
	s_or_b64 exec, exec, s[62:63]
	v_cmp_lt_u32_e64 s[62:63], v12, v156
	s_and_saveexec_b64 s[64:65], s[62:63]
	s_cbranch_execz .LBB1016_198
.LBB1016_249:                           ;   in Loop: Header=BB1016_102 Depth=2
	ds_read_u16 v56, v76 offset:5632
	v_mov_b32_e32 v160, s79
	s_waitcnt lgkmcnt(0)
	v_lshrrev_b32_sdwa v57, s99, v56 dst_sel:DWORD dst_unused:UNUSED_PAD src0_sel:DWORD src1_sel:WORD_0
	v_and_b32_e32 v57, s6, v57
	v_lshlrev_b32_e32 v57, 2, v57
	ds_read_b32 v157, v57
	v_mov_b32_e32 v57, v4
	v_xor_b32_e32 v165, 0xffff8000, v56
	s_waitcnt lgkmcnt(0)
	v_add_u32_e32 v56, v157, v12
	v_lshlrev_b64 v[56:57], 1, v[56:57]
	v_add_co_u32_e32 v56, vcc, s78, v56
	v_addc_co_u32_e32 v57, vcc, v160, v57, vcc
	global_store_short v[56:57], v165, off
	s_or_b64 exec, exec, s[64:65]
	v_cmp_lt_u32_e64 s[64:65], v14, v156
	s_and_saveexec_b64 s[66:67], s[64:65]
	s_cbranch_execnz .LBB1016_199
.LBB1016_250:                           ;   in Loop: Header=BB1016_102 Depth=2
	s_or_b64 exec, exec, s[66:67]
	v_cmp_lt_u32_e64 s[66:67], v16, v156
	s_and_saveexec_b64 s[68:69], s[66:67]
	s_cbranch_execz .LBB1016_200
.LBB1016_251:                           ;   in Loop: Header=BB1016_102 Depth=2
	ds_read_u16 v56, v76 offset:6656
	v_mov_b32_e32 v160, s79
	s_waitcnt lgkmcnt(0)
	v_lshrrev_b32_sdwa v57, s99, v56 dst_sel:DWORD dst_unused:UNUSED_PAD src0_sel:DWORD src1_sel:WORD_0
	v_and_b32_e32 v57, s6, v57
	v_lshlrev_b32_e32 v57, 2, v57
	ds_read_b32 v157, v57
	v_mov_b32_e32 v57, v4
	v_xor_b32_e32 v165, 0xffff8000, v56
	s_waitcnt lgkmcnt(0)
	v_add_u32_e32 v56, v157, v16
	v_lshlrev_b64 v[56:57], 1, v[56:57]
	v_add_co_u32_e32 v56, vcc, s78, v56
	v_addc_co_u32_e32 v57, vcc, v160, v57, vcc
	global_store_short v[56:57], v165, off
	s_or_b64 exec, exec, s[68:69]
	v_cmp_lt_u32_e64 s[68:69], v18, v156
	s_and_saveexec_b64 s[70:71], s[68:69]
	s_cbranch_execnz .LBB1016_201
.LBB1016_252:                           ;   in Loop: Header=BB1016_102 Depth=2
	s_or_b64 exec, exec, s[70:71]
	v_cmp_lt_u32_e64 s[70:71], v20, v156
	s_and_saveexec_b64 s[72:73], s[70:71]
	s_cbranch_execz .LBB1016_202
.LBB1016_253:                           ;   in Loop: Header=BB1016_102 Depth=2
	ds_read_u16 v56, v76 offset:7680
	v_mov_b32_e32 v160, s79
	s_waitcnt lgkmcnt(0)
	v_lshrrev_b32_sdwa v57, s99, v56 dst_sel:DWORD dst_unused:UNUSED_PAD src0_sel:DWORD src1_sel:WORD_0
	v_and_b32_e32 v57, s6, v57
	v_lshlrev_b32_e32 v57, 2, v57
	ds_read_b32 v157, v57
	v_mov_b32_e32 v57, v4
	v_xor_b32_e32 v165, 0xffff8000, v56
	s_waitcnt lgkmcnt(0)
	v_add_u32_e32 v56, v157, v20
	v_lshlrev_b64 v[56:57], 1, v[56:57]
	v_add_co_u32_e32 v56, vcc, s78, v56
	v_addc_co_u32_e32 v57, vcc, v160, v57, vcc
	global_store_short v[56:57], v165, off
	s_or_b64 exec, exec, s[72:73]
	v_cmp_lt_u32_e64 s[72:73], v22, v156
	s_and_saveexec_b64 s[82:83], s[72:73]
	s_cbranch_execnz .LBB1016_203
	s_branch .LBB1016_204
.LBB1016_254:                           ;   in Loop: Header=BB1016_102 Depth=2
	s_or_b64 exec, exec, s[82:83]
	v_cmp_lt_u32_e32 vcc, v112, v156
	s_and_saveexec_b64 s[82:83], vcc
	s_cbranch_execz .LBB1016_206
.LBB1016_255:                           ;   in Loop: Header=BB1016_102 Depth=2
	global_load_dwordx2 v[52:53], v[56:57], off offset:512
	s_or_b64 exec, exec, s[82:83]
	v_cmp_lt_u32_e32 vcc, v113, v156
	s_and_saveexec_b64 s[82:83], vcc
	s_cbranch_execnz .LBB1016_207
.LBB1016_256:                           ;   in Loop: Header=BB1016_102 Depth=2
	s_or_b64 exec, exec, s[82:83]
	v_cmp_lt_u32_e32 vcc, v114, v156
	s_and_saveexec_b64 s[82:83], vcc
	s_cbranch_execz .LBB1016_208
.LBB1016_257:                           ;   in Loop: Header=BB1016_102 Depth=2
	global_load_dwordx2 v[46:47], v[56:57], off offset:1536
	s_or_b64 exec, exec, s[82:83]
	v_cmp_lt_u32_e32 vcc, v115, v156
	s_and_saveexec_b64 s[82:83], vcc
	s_cbranch_execnz .LBB1016_209
.LBB1016_258:                           ;   in Loop: Header=BB1016_102 Depth=2
	s_or_b64 exec, exec, s[82:83]
	v_cmp_lt_u32_e32 vcc, v116, v156
	s_and_saveexec_b64 s[82:83], vcc
	s_cbranch_execz .LBB1016_210
.LBB1016_259:                           ;   in Loop: Header=BB1016_102 Depth=2
	global_load_dwordx2 v[38:39], v[56:57], off offset:2560
	s_or_b64 exec, exec, s[82:83]
	v_cmp_lt_u32_e32 vcc, v117, v156
	s_and_saveexec_b64 s[82:83], vcc
	s_cbranch_execnz .LBB1016_211
.LBB1016_260:                           ;   in Loop: Header=BB1016_102 Depth=2
	s_or_b64 exec, exec, s[82:83]
	v_cmp_lt_u32_e32 vcc, v118, v156
	s_and_saveexec_b64 s[82:83], vcc
	s_cbranch_execz .LBB1016_212
.LBB1016_261:                           ;   in Loop: Header=BB1016_102 Depth=2
	global_load_dwordx2 v[30:31], v[56:57], off offset:3584
	s_or_b64 exec, exec, s[82:83]
	v_cmp_lt_u32_e32 vcc, v119, v156
	s_and_saveexec_b64 s[82:83], vcc
	s_cbranch_execnz .LBB1016_213
.LBB1016_262:                           ;   in Loop: Header=BB1016_102 Depth=2
	s_or_b64 exec, exec, s[82:83]
	v_cmp_lt_u32_e32 vcc, v120, v156
	s_and_saveexec_b64 s[82:83], vcc
	s_cbranch_execz .LBB1016_214
.LBB1016_263:                           ;   in Loop: Header=BB1016_102 Depth=2
	v_add_co_u32_e32 v44, vcc, 0x1000, v56
	v_addc_co_u32_e32 v45, vcc, 0, v57, vcc
	global_load_dwordx2 v[44:45], v[44:45], off offset:512
	s_or_b64 exec, exec, s[82:83]
	v_cmp_lt_u32_e32 vcc, v121, v156
	s_and_saveexec_b64 s[82:83], vcc
	s_cbranch_execnz .LBB1016_215
.LBB1016_264:                           ;   in Loop: Header=BB1016_102 Depth=2
	s_or_b64 exec, exec, s[82:83]
	v_cmp_lt_u32_e32 vcc, v122, v156
	s_and_saveexec_b64 s[82:83], vcc
	s_cbranch_execz .LBB1016_216
.LBB1016_265:                           ;   in Loop: Header=BB1016_102 Depth=2
	v_add_co_u32_e32 v36, vcc, 0x1000, v56
	v_addc_co_u32_e32 v37, vcc, 0, v57, vcc
	global_load_dwordx2 v[36:37], v[36:37], off offset:1536
	s_or_b64 exec, exec, s[82:83]
	v_cmp_lt_u32_e32 vcc, v123, v156
	s_and_saveexec_b64 s[82:83], vcc
	s_cbranch_execnz .LBB1016_217
.LBB1016_266:                           ;   in Loop: Header=BB1016_102 Depth=2
	s_or_b64 exec, exec, s[82:83]
	v_cmp_lt_u32_e32 vcc, v124, v156
	s_and_saveexec_b64 s[82:83], vcc
	s_cbranch_execz .LBB1016_218
.LBB1016_267:                           ;   in Loop: Header=BB1016_102 Depth=2
	v_add_co_u32_e32 v28, vcc, 0x1000, v56
	v_addc_co_u32_e32 v29, vcc, 0, v57, vcc
	global_load_dwordx2 v[28:29], v[28:29], off offset:2560
	s_or_b64 exec, exec, s[82:83]
	v_cmp_lt_u32_e32 vcc, v125, v156
	s_and_saveexec_b64 s[82:83], vcc
	s_cbranch_execnz .LBB1016_219
.LBB1016_268:                           ;   in Loop: Header=BB1016_102 Depth=2
	s_or_b64 exec, exec, s[82:83]
	v_cmp_lt_u32_e32 vcc, v126, v156
	s_and_saveexec_b64 s[82:83], vcc
	s_cbranch_execz .LBB1016_220
.LBB1016_269:                           ;   in Loop: Header=BB1016_102 Depth=2
	v_add_co_u32_e32 v24, vcc, 0x1000, v56
	v_addc_co_u32_e32 v25, vcc, 0, v57, vcc
	global_load_dwordx2 v[24:25], v[24:25], off offset:3584
	s_or_b64 exec, exec, s[82:83]
	v_cmp_lt_u32_e32 vcc, v127, v156
	s_and_saveexec_b64 s[82:83], vcc
	s_cbranch_execnz .LBB1016_221
.LBB1016_270:                           ;   in Loop: Header=BB1016_102 Depth=2
	s_or_b64 exec, exec, s[82:83]
	s_and_saveexec_b64 s[82:83], s[40:41]
	s_cbranch_execz .LBB1016_222
.LBB1016_271:                           ;   in Loop: Header=BB1016_102 Depth=2
	v_add_u32_e32 v56, v70, v75
	ds_read_u16 v56, v56 offset:512
	s_waitcnt lgkmcnt(0)
	v_lshrrev_b32_e32 v56, s99, v56
	v_and_b32_e32 v152, s6, v56
	s_or_b64 exec, exec, s[82:83]
	s_and_saveexec_b64 s[82:83], s[42:43]
	s_cbranch_execnz .LBB1016_223
.LBB1016_272:                           ;   in Loop: Header=BB1016_102 Depth=2
	s_or_b64 exec, exec, s[82:83]
	s_and_saveexec_b64 s[82:83], s[44:45]
	s_cbranch_execz .LBB1016_224
.LBB1016_273:                           ;   in Loop: Header=BB1016_102 Depth=2
	ds_read_u16 v56, v76 offset:1024
	s_waitcnt lgkmcnt(0)
	v_lshrrev_b32_e32 v56, s99, v56
	v_and_b32_e32 v149, s6, v56
	s_or_b64 exec, exec, s[82:83]
	s_and_saveexec_b64 s[82:83], s[46:47]
	s_cbranch_execnz .LBB1016_225
.LBB1016_274:                           ;   in Loop: Header=BB1016_102 Depth=2
	s_or_b64 exec, exec, s[82:83]
	s_and_saveexec_b64 s[82:83], s[48:49]
	s_cbranch_execz .LBB1016_226
.LBB1016_275:                           ;   in Loop: Header=BB1016_102 Depth=2
	ds_read_u16 v56, v76 offset:2048
	s_waitcnt lgkmcnt(0)
	v_lshrrev_b32_e32 v56, s99, v56
	v_and_b32_e32 v146, s6, v56
	s_or_b64 exec, exec, s[82:83]
	s_and_saveexec_b64 s[82:83], s[50:51]
	s_cbranch_execnz .LBB1016_227
.LBB1016_276:                           ;   in Loop: Header=BB1016_102 Depth=2
	s_or_b64 exec, exec, s[82:83]
	s_and_saveexec_b64 s[82:83], s[52:53]
	s_cbranch_execz .LBB1016_228
.LBB1016_277:                           ;   in Loop: Header=BB1016_102 Depth=2
	ds_read_u16 v56, v76 offset:3072
	s_waitcnt lgkmcnt(0)
	v_lshrrev_b32_e32 v56, s99, v56
	v_and_b32_e32 v144, s6, v56
	s_or_b64 exec, exec, s[82:83]
	s_and_saveexec_b64 s[82:83], s[54:55]
	s_cbranch_execnz .LBB1016_229
.LBB1016_278:                           ;   in Loop: Header=BB1016_102 Depth=2
	s_or_b64 exec, exec, s[82:83]
	s_and_saveexec_b64 s[82:83], s[56:57]
	s_cbranch_execz .LBB1016_230
.LBB1016_279:                           ;   in Loop: Header=BB1016_102 Depth=2
	ds_read_u16 v56, v76 offset:4096
	s_waitcnt lgkmcnt(0)
	v_lshrrev_b32_e32 v56, s99, v56
	v_and_b32_e32 v142, s6, v56
	s_or_b64 exec, exec, s[82:83]
	s_and_saveexec_b64 s[82:83], s[58:59]
	s_cbranch_execnz .LBB1016_231
.LBB1016_280:                           ;   in Loop: Header=BB1016_102 Depth=2
	s_or_b64 exec, exec, s[82:83]
	s_and_saveexec_b64 s[82:83], s[60:61]
	s_cbranch_execz .LBB1016_232
.LBB1016_281:                           ;   in Loop: Header=BB1016_102 Depth=2
	ds_read_u16 v56, v76 offset:5120
	s_waitcnt lgkmcnt(0)
	v_lshrrev_b32_e32 v56, s99, v56
	v_and_b32_e32 v140, s6, v56
	s_or_b64 exec, exec, s[82:83]
	s_and_saveexec_b64 s[82:83], s[62:63]
	s_cbranch_execnz .LBB1016_233
.LBB1016_282:                           ;   in Loop: Header=BB1016_102 Depth=2
	s_or_b64 exec, exec, s[82:83]
	s_and_saveexec_b64 s[82:83], s[64:65]
	s_cbranch_execz .LBB1016_234
.LBB1016_283:                           ;   in Loop: Header=BB1016_102 Depth=2
	ds_read_u16 v56, v76 offset:6144
	s_waitcnt lgkmcnt(0)
	v_lshrrev_b32_e32 v56, s99, v56
	v_and_b32_e32 v138, s6, v56
	s_or_b64 exec, exec, s[82:83]
	s_and_saveexec_b64 s[82:83], s[66:67]
	s_cbranch_execnz .LBB1016_235
.LBB1016_284:                           ;   in Loop: Header=BB1016_102 Depth=2
	s_or_b64 exec, exec, s[82:83]
	s_and_saveexec_b64 s[82:83], s[68:69]
	s_cbranch_execz .LBB1016_236
.LBB1016_285:                           ;   in Loop: Header=BB1016_102 Depth=2
	ds_read_u16 v56, v76 offset:7168
	s_waitcnt lgkmcnt(0)
	v_lshrrev_b32_e32 v56, s99, v56
	v_and_b32_e32 v136, s6, v56
	s_or_b64 exec, exec, s[82:83]
	s_and_saveexec_b64 s[82:83], s[70:71]
	s_cbranch_execnz .LBB1016_237
.LBB1016_286:                           ;   in Loop: Header=BB1016_102 Depth=2
	s_or_b64 exec, exec, s[82:83]
	s_and_saveexec_b64 s[82:83], s[72:73]
	s_cbranch_execz .LBB1016_288
.LBB1016_287:                           ;   in Loop: Header=BB1016_102 Depth=2
	ds_read_u16 v56, v76 offset:8192
	s_waitcnt lgkmcnt(0)
	v_lshrrev_b32_e32 v56, s99, v56
	v_and_b32_e32 v134, s6, v56
.LBB1016_288:                           ;   in Loop: Header=BB1016_102 Depth=2
	s_or_b64 exec, exec, s[82:83]
	v_lshlrev_b32_e32 v56, 3, v179
	s_barrier
	s_waitcnt vmcnt(0)
	ds_write_b64 v56, v[54:55] offset:512
	v_lshlrev_b32_e32 v56, 3, v175
	ds_write_b64 v56, v[52:53] offset:512
	v_lshlrev_b32_e32 v56, 3, v174
	;; [unrolled: 2-line block ×15, first 2 shown]
	v_lshlrev_b32_e32 v5, 3, v5
	ds_write_b64 v56, v[24:25] offset:512
	ds_write_b64 v5, v[0:1] offset:512
	s_waitcnt lgkmcnt(0)
	s_barrier
	s_and_saveexec_b64 s[82:83], s[40:41]
	s_cbranch_execz .LBB1016_308
; %bb.289:                              ;   in Loop: Header=BB1016_102 Depth=2
	v_lshlrev_b32_e32 v5, 2, v152
	ds_read_b32 v5, v5
	ds_read_b64 v[56:57], v68 offset:512
	v_mov_b32_e32 v157, v4
	v_mov_b32_e32 v158, s85
	s_waitcnt lgkmcnt(1)
	v_add_u32_e32 v156, v5, v2
	v_lshlrev_b64 v[156:157], 3, v[156:157]
	v_add_co_u32_e32 v156, vcc, s84, v156
	v_addc_co_u32_e32 v157, vcc, v158, v157, vcc
	s_waitcnt lgkmcnt(0)
	global_store_dwordx2 v[156:157], v[56:57], off
	s_or_b64 exec, exec, s[82:83]
	s_and_saveexec_b64 s[40:41], s[42:43]
	s_cbranch_execnz .LBB1016_309
.LBB1016_290:                           ;   in Loop: Header=BB1016_102 Depth=2
	s_or_b64 exec, exec, s[40:41]
	s_and_saveexec_b64 s[40:41], s[44:45]
	s_cbranch_execz .LBB1016_310
.LBB1016_291:                           ;   in Loop: Header=BB1016_102 Depth=2
	v_lshlrev_b32_e32 v5, 2, v149
	ds_read_b32 v5, v5
	v_add_u32_e32 v56, v76, v77
	ds_read_b64 v[56:57], v56 offset:4096
	v_mov_b32_e32 v157, v4
	v_mov_b32_e32 v158, s85
	s_waitcnt lgkmcnt(1)
	v_add_u32_e32 v156, v5, v13
	v_lshlrev_b64 v[156:157], 3, v[156:157]
	v_add_co_u32_e32 v156, vcc, s84, v156
	v_addc_co_u32_e32 v157, vcc, v158, v157, vcc
	s_waitcnt lgkmcnt(0)
	global_store_dwordx2 v[156:157], v[56:57], off
	s_or_b64 exec, exec, s[40:41]
	s_and_saveexec_b64 s[40:41], s[46:47]
	s_cbranch_execnz .LBB1016_311
.LBB1016_292:                           ;   in Loop: Header=BB1016_102 Depth=2
	s_or_b64 exec, exec, s[40:41]
	s_and_saveexec_b64 s[40:41], s[48:49]
	s_cbranch_execz .LBB1016_312
.LBB1016_293:                           ;   in Loop: Header=BB1016_102 Depth=2
	v_lshlrev_b32_e32 v5, 2, v146
	ds_read_b32 v5, v5
	v_add_u32_e32 v56, v76, v77
	ds_read_b64 v[56:57], v56 offset:8192
	v_mov_b32_e32 v157, v4
	v_mov_b32_e32 v158, s85
	s_waitcnt lgkmcnt(1)
	v_add_u32_e32 v156, v5, v17
	v_lshlrev_b64 v[156:157], 3, v[156:157]
	v_add_co_u32_e32 v156, vcc, s84, v156
	v_addc_co_u32_e32 v157, vcc, v158, v157, vcc
	s_waitcnt lgkmcnt(0)
	global_store_dwordx2 v[156:157], v[56:57], off
	s_or_b64 exec, exec, s[40:41]
	s_and_saveexec_b64 s[40:41], s[50:51]
	s_cbranch_execnz .LBB1016_313
.LBB1016_294:                           ;   in Loop: Header=BB1016_102 Depth=2
	s_or_b64 exec, exec, s[40:41]
	s_and_saveexec_b64 s[40:41], s[52:53]
	s_cbranch_execz .LBB1016_314
.LBB1016_295:                           ;   in Loop: Header=BB1016_102 Depth=2
	v_lshlrev_b32_e32 v5, 2, v144
	ds_read_b32 v5, v5
	v_add_u32_e32 v56, v76, v77
	ds_read_b64 v[56:57], v56 offset:12288
	v_mov_b32_e32 v157, v4
	v_mov_b32_e32 v158, s85
	s_waitcnt lgkmcnt(1)
	v_add_u32_e32 v156, v5, v21
	v_lshlrev_b64 v[156:157], 3, v[156:157]
	v_add_co_u32_e32 v156, vcc, s84, v156
	v_addc_co_u32_e32 v157, vcc, v158, v157, vcc
	s_waitcnt lgkmcnt(0)
	global_store_dwordx2 v[156:157], v[56:57], off
	s_or_b64 exec, exec, s[40:41]
	s_and_saveexec_b64 s[40:41], s[54:55]
	s_cbranch_execnz .LBB1016_315
.LBB1016_296:                           ;   in Loop: Header=BB1016_102 Depth=2
	s_or_b64 exec, exec, s[40:41]
	s_and_saveexec_b64 s[40:41], s[56:57]
	s_cbranch_execz .LBB1016_316
.LBB1016_297:                           ;   in Loop: Header=BB1016_102 Depth=2
	v_lshlrev_b32_e32 v5, 2, v142
	ds_read_b32 v5, v5
	v_add_u32_e32 v56, v76, v77
	ds_read_b64 v[56:57], v56 offset:16384
	v_mov_b32_e32 v157, v4
	v_mov_b32_e32 v158, s85
	s_waitcnt lgkmcnt(1)
	v_add_u32_e32 v156, v5, v6
	v_lshlrev_b64 v[156:157], 3, v[156:157]
	v_add_co_u32_e32 v156, vcc, s84, v156
	v_addc_co_u32_e32 v157, vcc, v158, v157, vcc
	s_waitcnt lgkmcnt(0)
	global_store_dwordx2 v[156:157], v[56:57], off
	s_or_b64 exec, exec, s[40:41]
	s_and_saveexec_b64 s[40:41], s[58:59]
	s_cbranch_execnz .LBB1016_317
.LBB1016_298:                           ;   in Loop: Header=BB1016_102 Depth=2
	s_or_b64 exec, exec, s[40:41]
	s_and_saveexec_b64 s[40:41], s[60:61]
	s_cbranch_execz .LBB1016_318
.LBB1016_299:                           ;   in Loop: Header=BB1016_102 Depth=2
	v_lshlrev_b32_e32 v5, 2, v140
	ds_read_b32 v5, v5
	v_add_u32_e32 v56, v76, v77
	ds_read_b64 v[56:57], v56 offset:20480
	v_mov_b32_e32 v157, v4
	v_mov_b32_e32 v158, s85
	s_waitcnt lgkmcnt(1)
	v_add_u32_e32 v156, v5, v10
	v_lshlrev_b64 v[156:157], 3, v[156:157]
	v_add_co_u32_e32 v156, vcc, s84, v156
	v_addc_co_u32_e32 v157, vcc, v158, v157, vcc
	s_waitcnt lgkmcnt(0)
	global_store_dwordx2 v[156:157], v[56:57], off
	s_or_b64 exec, exec, s[40:41]
	s_and_saveexec_b64 s[40:41], s[62:63]
	s_cbranch_execnz .LBB1016_319
.LBB1016_300:                           ;   in Loop: Header=BB1016_102 Depth=2
	s_or_b64 exec, exec, s[40:41]
	s_and_saveexec_b64 s[40:41], s[64:65]
	s_cbranch_execz .LBB1016_320
.LBB1016_301:                           ;   in Loop: Header=BB1016_102 Depth=2
	v_lshlrev_b32_e32 v5, 2, v138
	ds_read_b32 v5, v5
	v_add_u32_e32 v56, v76, v77
	ds_read_b64 v[56:57], v56 offset:24576
	v_mov_b32_e32 v157, v4
	v_mov_b32_e32 v158, s85
	s_waitcnt lgkmcnt(1)
	v_add_u32_e32 v156, v5, v14
	v_lshlrev_b64 v[156:157], 3, v[156:157]
	v_add_co_u32_e32 v156, vcc, s84, v156
	v_addc_co_u32_e32 v157, vcc, v158, v157, vcc
	s_waitcnt lgkmcnt(0)
	global_store_dwordx2 v[156:157], v[56:57], off
	s_or_b64 exec, exec, s[40:41]
	s_and_saveexec_b64 s[40:41], s[66:67]
	s_cbranch_execnz .LBB1016_321
.LBB1016_302:                           ;   in Loop: Header=BB1016_102 Depth=2
	s_or_b64 exec, exec, s[40:41]
	s_and_saveexec_b64 s[40:41], s[68:69]
	s_cbranch_execz .LBB1016_322
.LBB1016_303:                           ;   in Loop: Header=BB1016_102 Depth=2
	v_lshlrev_b32_e32 v5, 2, v136
	ds_read_b32 v5, v5
	v_add_u32_e32 v56, v76, v77
	ds_read_b64 v[56:57], v56 offset:28672
	v_mov_b32_e32 v157, v4
	v_mov_b32_e32 v158, s85
	s_waitcnt lgkmcnt(1)
	v_add_u32_e32 v156, v5, v18
	v_lshlrev_b64 v[156:157], 3, v[156:157]
	v_add_co_u32_e32 v156, vcc, s84, v156
	v_addc_co_u32_e32 v157, vcc, v158, v157, vcc
	s_waitcnt lgkmcnt(0)
	global_store_dwordx2 v[156:157], v[56:57], off
	s_or_b64 exec, exec, s[40:41]
	s_and_saveexec_b64 s[40:41], s[70:71]
	s_cbranch_execnz .LBB1016_323
.LBB1016_304:                           ;   in Loop: Header=BB1016_102 Depth=2
	s_or_b64 exec, exec, s[40:41]
	s_and_saveexec_b64 s[40:41], s[72:73]
	s_cbranch_execz .LBB1016_306
.LBB1016_305:                           ;   in Loop: Header=BB1016_102 Depth=2
	v_lshlrev_b32_e32 v5, 2, v134
	ds_read_b32 v5, v5
	v_add_u32_e32 v56, v76, v77
	ds_read_b64 v[56:57], v56 offset:32768
	v_mov_b32_e32 v157, v4
	v_mov_b32_e32 v158, s85
	s_waitcnt lgkmcnt(1)
	v_add_u32_e32 v156, v5, v22
	v_lshlrev_b64 v[156:157], 3, v[156:157]
	v_add_co_u32_e32 v156, vcc, s84, v156
	v_addc_co_u32_e32 v157, vcc, v158, v157, vcc
	s_waitcnt lgkmcnt(0)
	global_store_dwordx2 v[156:157], v[56:57], off
.LBB1016_306:                           ;   in Loop: Header=BB1016_102 Depth=2
	s_or_b64 exec, exec, s[40:41]
	s_barrier
	s_and_saveexec_b64 s[40:41], s[4:5]
	s_cbranch_execz .LBB1016_101
; %bb.307:                              ;   in Loop: Header=BB1016_102 Depth=2
	ds_read_b32 v5, v3
	s_waitcnt lgkmcnt(0)
	v_add3_u32 v5, v154, v155, v5
	ds_write_b32 v3, v5
	s_branch .LBB1016_101
.LBB1016_308:                           ;   in Loop: Header=BB1016_102 Depth=2
	s_or_b64 exec, exec, s[82:83]
	s_and_saveexec_b64 s[40:41], s[42:43]
	s_cbranch_execz .LBB1016_290
.LBB1016_309:                           ;   in Loop: Header=BB1016_102 Depth=2
	v_lshlrev_b32_e32 v5, 2, v150
	ds_read_b32 v5, v5
	v_add_u32_e32 v56, v76, v77
	ds_read_b64 v[56:57], v56 offset:2048
	v_mov_b32_e32 v157, v4
	v_mov_b32_e32 v158, s85
	s_waitcnt lgkmcnt(1)
	v_add_u32_e32 v156, v5, v7
	v_lshlrev_b64 v[156:157], 3, v[156:157]
	v_add_co_u32_e32 v156, vcc, s84, v156
	v_addc_co_u32_e32 v157, vcc, v158, v157, vcc
	s_waitcnt lgkmcnt(0)
	global_store_dwordx2 v[156:157], v[56:57], off
	s_or_b64 exec, exec, s[40:41]
	s_and_saveexec_b64 s[40:41], s[44:45]
	s_cbranch_execnz .LBB1016_291
.LBB1016_310:                           ;   in Loop: Header=BB1016_102 Depth=2
	s_or_b64 exec, exec, s[40:41]
	s_and_saveexec_b64 s[40:41], s[46:47]
	s_cbranch_execz .LBB1016_292
.LBB1016_311:                           ;   in Loop: Header=BB1016_102 Depth=2
	v_lshlrev_b32_e32 v5, 2, v147
	ds_read_b32 v5, v5
	v_add_u32_e32 v56, v76, v77
	ds_read_b64 v[56:57], v56 offset:6144
	v_mov_b32_e32 v157, v4
	v_mov_b32_e32 v158, s85
	s_waitcnt lgkmcnt(1)
	v_add_u32_e32 v156, v5, v15
	v_lshlrev_b64 v[156:157], 3, v[156:157]
	v_add_co_u32_e32 v156, vcc, s84, v156
	v_addc_co_u32_e32 v157, vcc, v158, v157, vcc
	s_waitcnt lgkmcnt(0)
	global_store_dwordx2 v[156:157], v[56:57], off
	s_or_b64 exec, exec, s[40:41]
	s_and_saveexec_b64 s[40:41], s[48:49]
	s_cbranch_execnz .LBB1016_293
.LBB1016_312:                           ;   in Loop: Header=BB1016_102 Depth=2
	s_or_b64 exec, exec, s[40:41]
	s_and_saveexec_b64 s[40:41], s[50:51]
	s_cbranch_execz .LBB1016_294
.LBB1016_313:                           ;   in Loop: Header=BB1016_102 Depth=2
	v_lshlrev_b32_e32 v5, 2, v145
	ds_read_b32 v5, v5
	v_add_u32_e32 v56, v76, v77
	ds_read_b64 v[56:57], v56 offset:10240
	v_mov_b32_e32 v157, v4
	v_mov_b32_e32 v158, s85
	s_waitcnt lgkmcnt(1)
	v_add_u32_e32 v156, v5, v19
	v_lshlrev_b64 v[156:157], 3, v[156:157]
	v_add_co_u32_e32 v156, vcc, s84, v156
	v_addc_co_u32_e32 v157, vcc, v158, v157, vcc
	s_waitcnt lgkmcnt(0)
	global_store_dwordx2 v[156:157], v[56:57], off
	s_or_b64 exec, exec, s[40:41]
	s_and_saveexec_b64 s[40:41], s[52:53]
	s_cbranch_execnz .LBB1016_295
.LBB1016_314:                           ;   in Loop: Header=BB1016_102 Depth=2
	s_or_b64 exec, exec, s[40:41]
	s_and_saveexec_b64 s[40:41], s[54:55]
	s_cbranch_execz .LBB1016_296
.LBB1016_315:                           ;   in Loop: Header=BB1016_102 Depth=2
	v_lshlrev_b32_e32 v5, 2, v143
	ds_read_b32 v5, v5
	v_add_u32_e32 v56, v76, v77
	ds_read_b64 v[56:57], v56 offset:14336
	v_mov_b32_e32 v157, v4
	v_mov_b32_e32 v158, s85
	s_waitcnt lgkmcnt(1)
	v_add_u32_e32 v156, v5, v23
	v_lshlrev_b64 v[156:157], 3, v[156:157]
	v_add_co_u32_e32 v156, vcc, s84, v156
	v_addc_co_u32_e32 v157, vcc, v158, v157, vcc
	s_waitcnt lgkmcnt(0)
	global_store_dwordx2 v[156:157], v[56:57], off
	s_or_b64 exec, exec, s[40:41]
	s_and_saveexec_b64 s[40:41], s[56:57]
	s_cbranch_execnz .LBB1016_297
.LBB1016_316:                           ;   in Loop: Header=BB1016_102 Depth=2
	s_or_b64 exec, exec, s[40:41]
	s_and_saveexec_b64 s[40:41], s[58:59]
	s_cbranch_execz .LBB1016_298
.LBB1016_317:                           ;   in Loop: Header=BB1016_102 Depth=2
	v_lshlrev_b32_e32 v5, 2, v141
	ds_read_b32 v5, v5
	v_add_u32_e32 v56, v76, v77
	ds_read_b64 v[56:57], v56 offset:18432
	v_mov_b32_e32 v157, v4
	v_mov_b32_e32 v158, s85
	s_waitcnt lgkmcnt(1)
	v_add_u32_e32 v156, v5, v8
	v_lshlrev_b64 v[156:157], 3, v[156:157]
	v_add_co_u32_e32 v156, vcc, s84, v156
	v_addc_co_u32_e32 v157, vcc, v158, v157, vcc
	s_waitcnt lgkmcnt(0)
	global_store_dwordx2 v[156:157], v[56:57], off
	s_or_b64 exec, exec, s[40:41]
	s_and_saveexec_b64 s[40:41], s[60:61]
	s_cbranch_execnz .LBB1016_299
.LBB1016_318:                           ;   in Loop: Header=BB1016_102 Depth=2
	s_or_b64 exec, exec, s[40:41]
	s_and_saveexec_b64 s[40:41], s[62:63]
	s_cbranch_execz .LBB1016_300
.LBB1016_319:                           ;   in Loop: Header=BB1016_102 Depth=2
	v_lshlrev_b32_e32 v5, 2, v139
	ds_read_b32 v5, v5
	v_add_u32_e32 v56, v76, v77
	ds_read_b64 v[56:57], v56 offset:22528
	v_mov_b32_e32 v157, v4
	v_mov_b32_e32 v158, s85
	s_waitcnt lgkmcnt(1)
	v_add_u32_e32 v156, v5, v12
	v_lshlrev_b64 v[156:157], 3, v[156:157]
	v_add_co_u32_e32 v156, vcc, s84, v156
	v_addc_co_u32_e32 v157, vcc, v158, v157, vcc
	s_waitcnt lgkmcnt(0)
	global_store_dwordx2 v[156:157], v[56:57], off
	s_or_b64 exec, exec, s[40:41]
	s_and_saveexec_b64 s[40:41], s[64:65]
	s_cbranch_execnz .LBB1016_301
.LBB1016_320:                           ;   in Loop: Header=BB1016_102 Depth=2
	s_or_b64 exec, exec, s[40:41]
	s_and_saveexec_b64 s[40:41], s[66:67]
	s_cbranch_execz .LBB1016_302
.LBB1016_321:                           ;   in Loop: Header=BB1016_102 Depth=2
	v_lshlrev_b32_e32 v5, 2, v137
	ds_read_b32 v5, v5
	v_add_u32_e32 v56, v76, v77
	ds_read_b64 v[56:57], v56 offset:26624
	v_mov_b32_e32 v157, v4
	v_mov_b32_e32 v158, s85
	s_waitcnt lgkmcnt(1)
	v_add_u32_e32 v156, v5, v16
	v_lshlrev_b64 v[156:157], 3, v[156:157]
	v_add_co_u32_e32 v156, vcc, s84, v156
	v_addc_co_u32_e32 v157, vcc, v158, v157, vcc
	s_waitcnt lgkmcnt(0)
	global_store_dwordx2 v[156:157], v[56:57], off
	s_or_b64 exec, exec, s[40:41]
	s_and_saveexec_b64 s[40:41], s[68:69]
	s_cbranch_execnz .LBB1016_303
.LBB1016_322:                           ;   in Loop: Header=BB1016_102 Depth=2
	s_or_b64 exec, exec, s[40:41]
	s_and_saveexec_b64 s[40:41], s[70:71]
	s_cbranch_execz .LBB1016_304
.LBB1016_323:                           ;   in Loop: Header=BB1016_102 Depth=2
	v_lshlrev_b32_e32 v5, 2, v135
	ds_read_b32 v5, v5
	v_add_u32_e32 v56, v76, v77
	ds_read_b64 v[56:57], v56 offset:30720
	v_mov_b32_e32 v157, v4
	v_mov_b32_e32 v158, s85
	s_waitcnt lgkmcnt(1)
	v_add_u32_e32 v156, v5, v20
	v_lshlrev_b64 v[156:157], 3, v[156:157]
	v_add_co_u32_e32 v156, vcc, s84, v156
	v_addc_co_u32_e32 v157, vcc, v158, v157, vcc
	s_waitcnt lgkmcnt(0)
	global_store_dwordx2 v[156:157], v[56:57], off
	s_or_b64 exec, exec, s[40:41]
	s_and_saveexec_b64 s[40:41], s[72:73]
	s_cbranch_execnz .LBB1016_305
	s_branch .LBB1016_306
.LBB1016_324:                           ;   in Loop: Header=BB1016_12 Depth=1
	s_waitcnt lgkmcnt(0)
	s_barrier
	s_mov_b64 s[20:21], 0
.LBB1016_325:                           ;   in Loop: Header=BB1016_12 Depth=1
	s_and_b64 vcc, exec, s[20:21]
	s_cbranch_vccz .LBB1016_637
; %bb.326:                              ;   in Loop: Header=BB1016_12 Depth=1
	s_mov_b32 s7, s91
	s_mov_b32 s94, s75
	s_barrier
	s_waitcnt lgkmcnt(0)
                                        ; implicit-def: $vgpr39
                                        ; implicit-def: $vgpr5
                                        ; implicit-def: $vgpr24
                                        ; implicit-def: $vgpr25
                                        ; implicit-def: $vgpr26
                                        ; implicit-def: $vgpr27
                                        ; implicit-def: $vgpr28
                                        ; implicit-def: $vgpr29
                                        ; implicit-def: $vgpr30
                                        ; implicit-def: $vgpr31
                                        ; implicit-def: $vgpr32
                                        ; implicit-def: $vgpr33
                                        ; implicit-def: $vgpr34
                                        ; implicit-def: $vgpr35
                                        ; implicit-def: $vgpr36
                                        ; implicit-def: $vgpr37
                                        ; implicit-def: $vgpr38
	s_branch .LBB1016_328
.LBB1016_327:                           ;   in Loop: Header=BB1016_328 Depth=2
	s_or_b64 exec, exec, s[20:21]
	s_addk_i32 s7, 0xef00
	s_cmp_ge_u32 s8, s98
	s_mov_b32 s94, s8
	s_cbranch_scc1 .LBB1016_402
.LBB1016_328:                           ;   Parent Loop BB1016_12 Depth=1
                                        ; =>  This Inner Loop Header: Depth=2
	s_add_i32 s8, s94, 0x1100
	s_cmp_gt_u32 s8, s98
	s_cbranch_scc1 .LBB1016_331
; %bb.329:                              ;   in Loop: Header=BB1016_328 Depth=2
	s_lshl_b64 s[20:21], s[94:95], 1
	v_mov_b32_e32 v1, s21
	v_add_co_u32_e32 v0, vcc, s20, v78
	v_addc_co_u32_e32 v1, vcc, v79, v1, vcc
	s_waitcnt vmcnt(0)
	v_add_co_u32_e32 v56, vcc, s88, v0
	v_addc_co_u32_e32 v57, vcc, 0, v1, vcc
	global_load_ushort v41, v[0:1], off
	global_load_ushort v42, v[0:1], off offset:512
	global_load_ushort v43, v[0:1], off offset:1024
	;; [unrolled: 1-line block ×7, first 2 shown]
	global_load_ushort v49, v[56:57], off
	global_load_ushort v50, v[56:57], off offset:512
	global_load_ushort v51, v[56:57], off offset:1024
	global_load_ushort v52, v[56:57], off offset:1536
	global_load_ushort v53, v[56:57], off offset:2048
	global_load_ushort v54, v[56:57], off offset:2560
	global_load_ushort v55, v[56:57], off offset:3072
	s_nop 0
	global_load_ushort v56, v[56:57], off offset:3584
	v_add_co_u32_e32 v0, vcc, 0x2000, v0
	v_addc_co_u32_e32 v1, vcc, 0, v1, vcc
	s_mov_b64 s[20:21], -1
	s_movk_i32 s9, 0x1100
	s_cbranch_execz .LBB1016_332
; %bb.330:                              ;   in Loop: Header=BB1016_328 Depth=2
                                        ; implicit-def: $vgpr38
                                        ; implicit-def: $vgpr37
                                        ; implicit-def: $vgpr36
                                        ; implicit-def: $vgpr35
                                        ; implicit-def: $vgpr34
                                        ; implicit-def: $vgpr33
                                        ; implicit-def: $vgpr32
                                        ; implicit-def: $vgpr31
                                        ; implicit-def: $vgpr30
                                        ; implicit-def: $vgpr29
                                        ; implicit-def: $vgpr28
                                        ; implicit-def: $vgpr27
                                        ; implicit-def: $vgpr26
                                        ; implicit-def: $vgpr25
                                        ; implicit-def: $vgpr24
                                        ; implicit-def: $vgpr5
                                        ; implicit-def: $vgpr39
	v_mov_b32_e32 v40, s7
	s_and_saveexec_b64 s[22:23], s[20:21]
	s_cbranch_execnz .LBB1016_367
	s_branch .LBB1016_368
.LBB1016_331:                           ;   in Loop: Header=BB1016_328 Depth=2
	s_mov_b64 s[20:21], 0
                                        ; implicit-def: $sgpr9
                                        ; implicit-def: $vgpr41
                                        ; implicit-def: $vgpr42
                                        ; implicit-def: $vgpr43
                                        ; implicit-def: $vgpr44
                                        ; implicit-def: $vgpr45
                                        ; implicit-def: $vgpr46
                                        ; implicit-def: $vgpr47
                                        ; implicit-def: $vgpr48
                                        ; implicit-def: $vgpr49
                                        ; implicit-def: $vgpr50
                                        ; implicit-def: $vgpr51
                                        ; implicit-def: $vgpr52
                                        ; implicit-def: $vgpr53
                                        ; implicit-def: $vgpr54
                                        ; implicit-def: $vgpr55
                                        ; implicit-def: $vgpr56
                                        ; implicit-def: $vgpr0_vgpr1
.LBB1016_332:                           ;   in Loop: Header=BB1016_328 Depth=2
	s_lshl_b64 s[22:23], s[94:95], 1
	s_add_u32 s22, s78, s22
	s_addc_u32 s23, s79, s23
	v_cmp_gt_u32_e32 vcc, s7, v2
	s_and_saveexec_b64 s[24:25], vcc
	s_cbranch_execz .LBB1016_348
; %bb.333:                              ;   in Loop: Header=BB1016_328 Depth=2
	global_load_ushort v38, v92, s[22:23]
	s_or_b64 exec, exec, s[24:25]
	v_cmp_gt_u32_e32 vcc, s7, v7
	s_and_saveexec_b64 s[24:25], vcc
	s_cbranch_execnz .LBB1016_349
.LBB1016_334:                           ;   in Loop: Header=BB1016_328 Depth=2
	s_or_b64 exec, exec, s[24:25]
	v_cmp_gt_u32_e32 vcc, s7, v13
	s_and_saveexec_b64 s[24:25], vcc
	s_cbranch_execz .LBB1016_350
.LBB1016_335:                           ;   in Loop: Header=BB1016_328 Depth=2
	global_load_ushort v36, v92, s[22:23] offset:1024
	s_or_b64 exec, exec, s[24:25]
	v_cmp_gt_u32_e32 vcc, s7, v15
	s_and_saveexec_b64 s[24:25], vcc
	s_cbranch_execnz .LBB1016_351
.LBB1016_336:                           ;   in Loop: Header=BB1016_328 Depth=2
	s_or_b64 exec, exec, s[24:25]
	v_cmp_gt_u32_e32 vcc, s7, v17
	s_and_saveexec_b64 s[24:25], vcc
	s_cbranch_execz .LBB1016_352
.LBB1016_337:                           ;   in Loop: Header=BB1016_328 Depth=2
	global_load_ushort v34, v92, s[22:23] offset:2048
	s_or_b64 exec, exec, s[24:25]
	v_cmp_gt_u32_e32 vcc, s7, v19
	s_and_saveexec_b64 s[24:25], vcc
	s_cbranch_execnz .LBB1016_353
.LBB1016_338:                           ;   in Loop: Header=BB1016_328 Depth=2
	s_or_b64 exec, exec, s[24:25]
	v_cmp_gt_u32_e32 vcc, s7, v21
	s_and_saveexec_b64 s[24:25], vcc
	s_cbranch_execz .LBB1016_354
.LBB1016_339:                           ;   in Loop: Header=BB1016_328 Depth=2
	global_load_ushort v32, v92, s[22:23] offset:3072
	s_or_b64 exec, exec, s[24:25]
	v_cmp_gt_u32_e32 vcc, s7, v23
	s_and_saveexec_b64 s[24:25], vcc
	s_cbranch_execnz .LBB1016_355
.LBB1016_340:                           ;   in Loop: Header=BB1016_328 Depth=2
	s_or_b64 exec, exec, s[24:25]
	v_cmp_gt_u32_e32 vcc, s7, v6
	s_and_saveexec_b64 s[24:25], vcc
	s_cbranch_execz .LBB1016_356
.LBB1016_341:                           ;   in Loop: Header=BB1016_328 Depth=2
	global_load_ushort v30, v93, s[22:23]
	s_or_b64 exec, exec, s[24:25]
	v_cmp_gt_u32_e32 vcc, s7, v8
	s_and_saveexec_b64 s[24:25], vcc
	s_cbranch_execnz .LBB1016_357
.LBB1016_342:                           ;   in Loop: Header=BB1016_328 Depth=2
	s_or_b64 exec, exec, s[24:25]
	v_cmp_gt_u32_e32 vcc, s7, v10
	s_and_saveexec_b64 s[24:25], vcc
	s_cbranch_execz .LBB1016_358
.LBB1016_343:                           ;   in Loop: Header=BB1016_328 Depth=2
	global_load_ushort v28, v95, s[22:23]
	s_or_b64 exec, exec, s[24:25]
	v_cmp_gt_u32_e32 vcc, s7, v12
	s_and_saveexec_b64 s[24:25], vcc
	s_cbranch_execnz .LBB1016_359
.LBB1016_344:                           ;   in Loop: Header=BB1016_328 Depth=2
	s_or_b64 exec, exec, s[24:25]
	v_cmp_gt_u32_e32 vcc, s7, v14
	s_and_saveexec_b64 s[24:25], vcc
	s_cbranch_execz .LBB1016_360
.LBB1016_345:                           ;   in Loop: Header=BB1016_328 Depth=2
	global_load_ushort v26, v97, s[22:23]
	s_or_b64 exec, exec, s[24:25]
	v_cmp_gt_u32_e32 vcc, s7, v16
	s_and_saveexec_b64 s[24:25], vcc
	s_cbranch_execnz .LBB1016_361
.LBB1016_346:                           ;   in Loop: Header=BB1016_328 Depth=2
	s_or_b64 exec, exec, s[24:25]
	v_cmp_gt_u32_e32 vcc, s7, v18
	s_and_saveexec_b64 s[24:25], vcc
	s_cbranch_execz .LBB1016_362
.LBB1016_347:                           ;   in Loop: Header=BB1016_328 Depth=2
	global_load_ushort v24, v99, s[22:23]
	s_or_b64 exec, exec, s[24:25]
	v_cmp_gt_u32_e32 vcc, s7, v20
	s_and_saveexec_b64 s[24:25], vcc
	s_cbranch_execz .LBB1016_364
	s_branch .LBB1016_363
.LBB1016_348:                           ;   in Loop: Header=BB1016_328 Depth=2
	s_or_b64 exec, exec, s[24:25]
	v_cmp_gt_u32_e32 vcc, s7, v7
	s_and_saveexec_b64 s[24:25], vcc
	s_cbranch_execz .LBB1016_334
.LBB1016_349:                           ;   in Loop: Header=BB1016_328 Depth=2
	global_load_ushort v37, v92, s[22:23] offset:512
	s_or_b64 exec, exec, s[24:25]
	v_cmp_gt_u32_e32 vcc, s7, v13
	s_and_saveexec_b64 s[24:25], vcc
	s_cbranch_execnz .LBB1016_335
.LBB1016_350:                           ;   in Loop: Header=BB1016_328 Depth=2
	s_or_b64 exec, exec, s[24:25]
	v_cmp_gt_u32_e32 vcc, s7, v15
	s_and_saveexec_b64 s[24:25], vcc
	s_cbranch_execz .LBB1016_336
.LBB1016_351:                           ;   in Loop: Header=BB1016_328 Depth=2
	global_load_ushort v35, v92, s[22:23] offset:1536
	s_or_b64 exec, exec, s[24:25]
	v_cmp_gt_u32_e32 vcc, s7, v17
	s_and_saveexec_b64 s[24:25], vcc
	s_cbranch_execnz .LBB1016_337
.LBB1016_352:                           ;   in Loop: Header=BB1016_328 Depth=2
	s_or_b64 exec, exec, s[24:25]
	v_cmp_gt_u32_e32 vcc, s7, v19
	s_and_saveexec_b64 s[24:25], vcc
	s_cbranch_execz .LBB1016_338
.LBB1016_353:                           ;   in Loop: Header=BB1016_328 Depth=2
	global_load_ushort v33, v92, s[22:23] offset:2560
	s_or_b64 exec, exec, s[24:25]
	v_cmp_gt_u32_e32 vcc, s7, v21
	s_and_saveexec_b64 s[24:25], vcc
	s_cbranch_execnz .LBB1016_339
.LBB1016_354:                           ;   in Loop: Header=BB1016_328 Depth=2
	s_or_b64 exec, exec, s[24:25]
	v_cmp_gt_u32_e32 vcc, s7, v23
	s_and_saveexec_b64 s[24:25], vcc
	s_cbranch_execz .LBB1016_340
.LBB1016_355:                           ;   in Loop: Header=BB1016_328 Depth=2
	global_load_ushort v31, v92, s[22:23] offset:3584
	s_or_b64 exec, exec, s[24:25]
	v_cmp_gt_u32_e32 vcc, s7, v6
	s_and_saveexec_b64 s[24:25], vcc
	s_cbranch_execnz .LBB1016_341
.LBB1016_356:                           ;   in Loop: Header=BB1016_328 Depth=2
	s_or_b64 exec, exec, s[24:25]
	v_cmp_gt_u32_e32 vcc, s7, v8
	s_and_saveexec_b64 s[24:25], vcc
	s_cbranch_execz .LBB1016_342
.LBB1016_357:                           ;   in Loop: Header=BB1016_328 Depth=2
	global_load_ushort v29, v94, s[22:23]
	s_or_b64 exec, exec, s[24:25]
	v_cmp_gt_u32_e32 vcc, s7, v10
	s_and_saveexec_b64 s[24:25], vcc
	s_cbranch_execnz .LBB1016_343
.LBB1016_358:                           ;   in Loop: Header=BB1016_328 Depth=2
	s_or_b64 exec, exec, s[24:25]
	v_cmp_gt_u32_e32 vcc, s7, v12
	s_and_saveexec_b64 s[24:25], vcc
	s_cbranch_execz .LBB1016_344
.LBB1016_359:                           ;   in Loop: Header=BB1016_328 Depth=2
	global_load_ushort v27, v96, s[22:23]
	s_or_b64 exec, exec, s[24:25]
	v_cmp_gt_u32_e32 vcc, s7, v14
	s_and_saveexec_b64 s[24:25], vcc
	s_cbranch_execnz .LBB1016_345
.LBB1016_360:                           ;   in Loop: Header=BB1016_328 Depth=2
	s_or_b64 exec, exec, s[24:25]
	v_cmp_gt_u32_e32 vcc, s7, v16
	s_and_saveexec_b64 s[24:25], vcc
	s_cbranch_execz .LBB1016_346
.LBB1016_361:                           ;   in Loop: Header=BB1016_328 Depth=2
	global_load_ushort v25, v98, s[22:23]
	s_or_b64 exec, exec, s[24:25]
	v_cmp_gt_u32_e32 vcc, s7, v18
	s_and_saveexec_b64 s[24:25], vcc
	s_cbranch_execnz .LBB1016_347
.LBB1016_362:                           ;   in Loop: Header=BB1016_328 Depth=2
	s_or_b64 exec, exec, s[24:25]
	v_cmp_gt_u32_e32 vcc, s7, v20
	s_and_saveexec_b64 s[24:25], vcc
	s_cbranch_execz .LBB1016_364
.LBB1016_363:                           ;   in Loop: Header=BB1016_328 Depth=2
	global_load_ushort v5, v100, s[22:23]
.LBB1016_364:                           ;   in Loop: Header=BB1016_328 Depth=2
	s_or_b64 exec, exec, s[24:25]
	v_cmp_gt_u32_e32 vcc, s7, v22
                                        ; implicit-def: $sgpr9
                                        ; implicit-def: $vgpr0_vgpr1
	s_and_saveexec_b64 s[24:25], vcc
; %bb.365:                              ;   in Loop: Header=BB1016_328 Depth=2
	v_mov_b32_e32 v1, s23
	v_add_co_u32_e32 v0, vcc, s22, v101
	s_sub_i32 s9, s98, s94
	v_addc_co_u32_e32 v1, vcc, 0, v1, vcc
	s_or_b64 s[20:21], s[20:21], exec
                                        ; implicit-def: $vgpr39
; %bb.366:                              ;   in Loop: Header=BB1016_328 Depth=2
	s_or_b64 exec, exec, s[24:25]
	s_waitcnt vmcnt(0)
	v_mov_b32_e32 v41, v38
	v_mov_b32_e32 v42, v37
	v_mov_b32_e32 v43, v36
	v_mov_b32_e32 v44, v35
	v_mov_b32_e32 v45, v34
	v_mov_b32_e32 v46, v33
	v_mov_b32_e32 v47, v32
	v_mov_b32_e32 v48, v31
	v_mov_b32_e32 v49, v30
	v_mov_b32_e32 v50, v29
	v_mov_b32_e32 v51, v28
	v_mov_b32_e32 v52, v27
	v_mov_b32_e32 v53, v26
	v_mov_b32_e32 v54, v25
	v_mov_b32_e32 v55, v24
	v_mov_b32_e32 v56, v5
	v_mov_b32_e32 v40, s7
	s_and_saveexec_b64 s[22:23], s[20:21]
	s_cbranch_execz .LBB1016_368
.LBB1016_367:                           ;   in Loop: Header=BB1016_328 Depth=2
	global_load_ushort v39, v[0:1], off
	v_mov_b32_e32 v40, s9
	s_waitcnt vmcnt(1)
	v_mov_b32_e32 v5, v56
	v_mov_b32_e32 v24, v55
	;; [unrolled: 1-line block ×16, first 2 shown]
.LBB1016_368:                           ;   in Loop: Header=BB1016_328 Depth=2
	s_or_b64 exec, exec, s[22:23]
	v_cmp_lt_u32_e32 vcc, v2, v40
	s_and_saveexec_b64 s[20:21], vcc
	s_cbranch_execz .LBB1016_385
; %bb.369:                              ;   in Loop: Header=BB1016_328 Depth=2
	v_xor_b32_e32 v0, 0xffff8000, v38
	v_lshrrev_b32_sdwa v0, s99, v0 dst_sel:DWORD dst_unused:UNUSED_PAD src0_sel:DWORD src1_sel:WORD_0
	v_and_b32_e32 v0, s6, v0
	v_lshl_or_b32 v0, v0, 4, v90
	ds_add_u32 v0, v91
	s_or_b64 exec, exec, s[20:21]
	v_cmp_lt_u32_e32 vcc, v7, v40
	s_and_saveexec_b64 s[20:21], vcc
	s_cbranch_execnz .LBB1016_386
.LBB1016_370:                           ;   in Loop: Header=BB1016_328 Depth=2
	s_or_b64 exec, exec, s[20:21]
	v_cmp_lt_u32_e32 vcc, v13, v40
	s_and_saveexec_b64 s[20:21], vcc
	s_cbranch_execz .LBB1016_387
.LBB1016_371:                           ;   in Loop: Header=BB1016_328 Depth=2
	v_xor_b32_e32 v0, 0xffff8000, v36
	v_lshrrev_b32_sdwa v0, s99, v0 dst_sel:DWORD dst_unused:UNUSED_PAD src0_sel:DWORD src1_sel:WORD_0
	v_and_b32_e32 v0, s6, v0
	v_lshl_or_b32 v0, v0, 4, v90
	ds_add_u32 v0, v91
	s_or_b64 exec, exec, s[20:21]
	v_cmp_lt_u32_e32 vcc, v15, v40
	s_and_saveexec_b64 s[20:21], vcc
	s_cbranch_execnz .LBB1016_388
.LBB1016_372:                           ;   in Loop: Header=BB1016_328 Depth=2
	s_or_b64 exec, exec, s[20:21]
	v_cmp_lt_u32_e32 vcc, v17, v40
	s_and_saveexec_b64 s[20:21], vcc
	s_cbranch_execz .LBB1016_389
.LBB1016_373:                           ;   in Loop: Header=BB1016_328 Depth=2
	v_xor_b32_e32 v0, 0xffff8000, v34
	v_lshrrev_b32_sdwa v0, s99, v0 dst_sel:DWORD dst_unused:UNUSED_PAD src0_sel:DWORD src1_sel:WORD_0
	v_and_b32_e32 v0, s6, v0
	v_lshl_or_b32 v0, v0, 4, v90
	ds_add_u32 v0, v91
	s_or_b64 exec, exec, s[20:21]
	v_cmp_lt_u32_e32 vcc, v19, v40
	s_and_saveexec_b64 s[20:21], vcc
	s_cbranch_execnz .LBB1016_390
.LBB1016_374:                           ;   in Loop: Header=BB1016_328 Depth=2
	s_or_b64 exec, exec, s[20:21]
	v_cmp_lt_u32_e32 vcc, v21, v40
	s_and_saveexec_b64 s[20:21], vcc
	s_cbranch_execz .LBB1016_391
.LBB1016_375:                           ;   in Loop: Header=BB1016_328 Depth=2
	v_xor_b32_e32 v0, 0xffff8000, v32
	v_lshrrev_b32_sdwa v0, s99, v0 dst_sel:DWORD dst_unused:UNUSED_PAD src0_sel:DWORD src1_sel:WORD_0
	v_and_b32_e32 v0, s6, v0
	v_lshl_or_b32 v0, v0, 4, v90
	ds_add_u32 v0, v91
	s_or_b64 exec, exec, s[20:21]
	v_cmp_lt_u32_e32 vcc, v23, v40
	s_and_saveexec_b64 s[20:21], vcc
	s_cbranch_execnz .LBB1016_392
.LBB1016_376:                           ;   in Loop: Header=BB1016_328 Depth=2
	s_or_b64 exec, exec, s[20:21]
	v_cmp_lt_u32_e32 vcc, v6, v40
	s_and_saveexec_b64 s[20:21], vcc
	s_cbranch_execz .LBB1016_393
.LBB1016_377:                           ;   in Loop: Header=BB1016_328 Depth=2
	v_xor_b32_e32 v0, 0xffff8000, v30
	v_lshrrev_b32_sdwa v0, s99, v0 dst_sel:DWORD dst_unused:UNUSED_PAD src0_sel:DWORD src1_sel:WORD_0
	v_and_b32_e32 v0, s6, v0
	v_lshl_or_b32 v0, v0, 4, v90
	ds_add_u32 v0, v91
	s_or_b64 exec, exec, s[20:21]
	v_cmp_lt_u32_e32 vcc, v8, v40
	s_and_saveexec_b64 s[20:21], vcc
	s_cbranch_execnz .LBB1016_394
.LBB1016_378:                           ;   in Loop: Header=BB1016_328 Depth=2
	s_or_b64 exec, exec, s[20:21]
	v_cmp_lt_u32_e32 vcc, v10, v40
	s_and_saveexec_b64 s[20:21], vcc
	s_cbranch_execz .LBB1016_395
.LBB1016_379:                           ;   in Loop: Header=BB1016_328 Depth=2
	v_xor_b32_e32 v0, 0xffff8000, v28
	v_lshrrev_b32_sdwa v0, s99, v0 dst_sel:DWORD dst_unused:UNUSED_PAD src0_sel:DWORD src1_sel:WORD_0
	v_and_b32_e32 v0, s6, v0
	v_lshl_or_b32 v0, v0, 4, v90
	ds_add_u32 v0, v91
	s_or_b64 exec, exec, s[20:21]
	v_cmp_lt_u32_e32 vcc, v12, v40
	s_and_saveexec_b64 s[20:21], vcc
	s_cbranch_execnz .LBB1016_396
.LBB1016_380:                           ;   in Loop: Header=BB1016_328 Depth=2
	s_or_b64 exec, exec, s[20:21]
	v_cmp_lt_u32_e32 vcc, v14, v40
	s_and_saveexec_b64 s[20:21], vcc
	s_cbranch_execz .LBB1016_397
.LBB1016_381:                           ;   in Loop: Header=BB1016_328 Depth=2
	v_xor_b32_e32 v0, 0xffff8000, v26
	v_lshrrev_b32_sdwa v0, s99, v0 dst_sel:DWORD dst_unused:UNUSED_PAD src0_sel:DWORD src1_sel:WORD_0
	v_and_b32_e32 v0, s6, v0
	v_lshl_or_b32 v0, v0, 4, v90
	ds_add_u32 v0, v91
	s_or_b64 exec, exec, s[20:21]
	v_cmp_lt_u32_e32 vcc, v16, v40
	s_and_saveexec_b64 s[20:21], vcc
	s_cbranch_execnz .LBB1016_398
.LBB1016_382:                           ;   in Loop: Header=BB1016_328 Depth=2
	s_or_b64 exec, exec, s[20:21]
	v_cmp_lt_u32_e32 vcc, v18, v40
	s_and_saveexec_b64 s[20:21], vcc
	s_cbranch_execz .LBB1016_399
.LBB1016_383:                           ;   in Loop: Header=BB1016_328 Depth=2
	v_xor_b32_e32 v0, 0xffff8000, v24
	v_lshrrev_b32_sdwa v0, s99, v0 dst_sel:DWORD dst_unused:UNUSED_PAD src0_sel:DWORD src1_sel:WORD_0
	v_and_b32_e32 v0, s6, v0
	v_lshl_or_b32 v0, v0, 4, v90
	ds_add_u32 v0, v91
	s_or_b64 exec, exec, s[20:21]
	v_cmp_lt_u32_e32 vcc, v20, v40
	s_and_saveexec_b64 s[20:21], vcc
	s_cbranch_execnz .LBB1016_400
.LBB1016_384:                           ;   in Loop: Header=BB1016_328 Depth=2
	s_or_b64 exec, exec, s[20:21]
	v_cmp_lt_u32_e32 vcc, v22, v40
	s_and_saveexec_b64 s[20:21], vcc
	s_cbranch_execz .LBB1016_327
	s_branch .LBB1016_401
.LBB1016_385:                           ;   in Loop: Header=BB1016_328 Depth=2
	s_or_b64 exec, exec, s[20:21]
	v_cmp_lt_u32_e32 vcc, v7, v40
	s_and_saveexec_b64 s[20:21], vcc
	s_cbranch_execz .LBB1016_370
.LBB1016_386:                           ;   in Loop: Header=BB1016_328 Depth=2
	v_xor_b32_e32 v0, 0xffff8000, v37
	v_lshrrev_b32_sdwa v0, s99, v0 dst_sel:DWORD dst_unused:UNUSED_PAD src0_sel:DWORD src1_sel:WORD_0
	v_and_b32_e32 v0, s6, v0
	v_lshl_or_b32 v0, v0, 4, v90
	ds_add_u32 v0, v91
	s_or_b64 exec, exec, s[20:21]
	v_cmp_lt_u32_e32 vcc, v13, v40
	s_and_saveexec_b64 s[20:21], vcc
	s_cbranch_execnz .LBB1016_371
.LBB1016_387:                           ;   in Loop: Header=BB1016_328 Depth=2
	s_or_b64 exec, exec, s[20:21]
	v_cmp_lt_u32_e32 vcc, v15, v40
	s_and_saveexec_b64 s[20:21], vcc
	s_cbranch_execz .LBB1016_372
.LBB1016_388:                           ;   in Loop: Header=BB1016_328 Depth=2
	v_xor_b32_e32 v0, 0xffff8000, v35
	v_lshrrev_b32_sdwa v0, s99, v0 dst_sel:DWORD dst_unused:UNUSED_PAD src0_sel:DWORD src1_sel:WORD_0
	v_and_b32_e32 v0, s6, v0
	v_lshl_or_b32 v0, v0, 4, v90
	ds_add_u32 v0, v91
	s_or_b64 exec, exec, s[20:21]
	v_cmp_lt_u32_e32 vcc, v17, v40
	s_and_saveexec_b64 s[20:21], vcc
	s_cbranch_execnz .LBB1016_373
.LBB1016_389:                           ;   in Loop: Header=BB1016_328 Depth=2
	s_or_b64 exec, exec, s[20:21]
	v_cmp_lt_u32_e32 vcc, v19, v40
	s_and_saveexec_b64 s[20:21], vcc
	s_cbranch_execz .LBB1016_374
.LBB1016_390:                           ;   in Loop: Header=BB1016_328 Depth=2
	v_xor_b32_e32 v0, 0xffff8000, v33
	v_lshrrev_b32_sdwa v0, s99, v0 dst_sel:DWORD dst_unused:UNUSED_PAD src0_sel:DWORD src1_sel:WORD_0
	v_and_b32_e32 v0, s6, v0
	v_lshl_or_b32 v0, v0, 4, v90
	ds_add_u32 v0, v91
	s_or_b64 exec, exec, s[20:21]
	v_cmp_lt_u32_e32 vcc, v21, v40
	s_and_saveexec_b64 s[20:21], vcc
	s_cbranch_execnz .LBB1016_375
.LBB1016_391:                           ;   in Loop: Header=BB1016_328 Depth=2
	s_or_b64 exec, exec, s[20:21]
	v_cmp_lt_u32_e32 vcc, v23, v40
	s_and_saveexec_b64 s[20:21], vcc
	s_cbranch_execz .LBB1016_376
.LBB1016_392:                           ;   in Loop: Header=BB1016_328 Depth=2
	v_xor_b32_e32 v0, 0xffff8000, v31
	v_lshrrev_b32_sdwa v0, s99, v0 dst_sel:DWORD dst_unused:UNUSED_PAD src0_sel:DWORD src1_sel:WORD_0
	v_and_b32_e32 v0, s6, v0
	v_lshl_or_b32 v0, v0, 4, v90
	ds_add_u32 v0, v91
	s_or_b64 exec, exec, s[20:21]
	v_cmp_lt_u32_e32 vcc, v6, v40
	s_and_saveexec_b64 s[20:21], vcc
	s_cbranch_execnz .LBB1016_377
.LBB1016_393:                           ;   in Loop: Header=BB1016_328 Depth=2
	s_or_b64 exec, exec, s[20:21]
	v_cmp_lt_u32_e32 vcc, v8, v40
	s_and_saveexec_b64 s[20:21], vcc
	s_cbranch_execz .LBB1016_378
.LBB1016_394:                           ;   in Loop: Header=BB1016_328 Depth=2
	v_xor_b32_e32 v0, 0xffff8000, v29
	v_lshrrev_b32_sdwa v0, s99, v0 dst_sel:DWORD dst_unused:UNUSED_PAD src0_sel:DWORD src1_sel:WORD_0
	v_and_b32_e32 v0, s6, v0
	v_lshl_or_b32 v0, v0, 4, v90
	ds_add_u32 v0, v91
	s_or_b64 exec, exec, s[20:21]
	v_cmp_lt_u32_e32 vcc, v10, v40
	s_and_saveexec_b64 s[20:21], vcc
	s_cbranch_execnz .LBB1016_379
.LBB1016_395:                           ;   in Loop: Header=BB1016_328 Depth=2
	s_or_b64 exec, exec, s[20:21]
	v_cmp_lt_u32_e32 vcc, v12, v40
	s_and_saveexec_b64 s[20:21], vcc
	s_cbranch_execz .LBB1016_380
.LBB1016_396:                           ;   in Loop: Header=BB1016_328 Depth=2
	v_xor_b32_e32 v0, 0xffff8000, v27
	v_lshrrev_b32_sdwa v0, s99, v0 dst_sel:DWORD dst_unused:UNUSED_PAD src0_sel:DWORD src1_sel:WORD_0
	v_and_b32_e32 v0, s6, v0
	v_lshl_or_b32 v0, v0, 4, v90
	ds_add_u32 v0, v91
	s_or_b64 exec, exec, s[20:21]
	v_cmp_lt_u32_e32 vcc, v14, v40
	s_and_saveexec_b64 s[20:21], vcc
	s_cbranch_execnz .LBB1016_381
.LBB1016_397:                           ;   in Loop: Header=BB1016_328 Depth=2
	s_or_b64 exec, exec, s[20:21]
	v_cmp_lt_u32_e32 vcc, v16, v40
	s_and_saveexec_b64 s[20:21], vcc
	s_cbranch_execz .LBB1016_382
.LBB1016_398:                           ;   in Loop: Header=BB1016_328 Depth=2
	v_xor_b32_e32 v0, 0xffff8000, v25
	v_lshrrev_b32_sdwa v0, s99, v0 dst_sel:DWORD dst_unused:UNUSED_PAD src0_sel:DWORD src1_sel:WORD_0
	v_and_b32_e32 v0, s6, v0
	v_lshl_or_b32 v0, v0, 4, v90
	ds_add_u32 v0, v91
	s_or_b64 exec, exec, s[20:21]
	v_cmp_lt_u32_e32 vcc, v18, v40
	s_and_saveexec_b64 s[20:21], vcc
	s_cbranch_execnz .LBB1016_383
.LBB1016_399:                           ;   in Loop: Header=BB1016_328 Depth=2
	s_or_b64 exec, exec, s[20:21]
	v_cmp_lt_u32_e32 vcc, v20, v40
	s_and_saveexec_b64 s[20:21], vcc
	s_cbranch_execz .LBB1016_384
.LBB1016_400:                           ;   in Loop: Header=BB1016_328 Depth=2
	v_xor_b32_e32 v0, 0xffff8000, v5
	v_lshrrev_b32_sdwa v0, s99, v0 dst_sel:DWORD dst_unused:UNUSED_PAD src0_sel:DWORD src1_sel:WORD_0
	v_and_b32_e32 v0, s6, v0
	v_lshl_or_b32 v0, v0, 4, v90
	ds_add_u32 v0, v91
	s_or_b64 exec, exec, s[20:21]
	v_cmp_lt_u32_e32 vcc, v22, v40
	s_and_saveexec_b64 s[20:21], vcc
	s_cbranch_execz .LBB1016_327
.LBB1016_401:                           ;   in Loop: Header=BB1016_328 Depth=2
	s_waitcnt vmcnt(0)
	v_xor_b32_e32 v0, 0xffff8000, v39
	v_lshrrev_b32_sdwa v0, s99, v0 dst_sel:DWORD dst_unused:UNUSED_PAD src0_sel:DWORD src1_sel:WORD_0
	v_and_b32_e32 v0, s6, v0
	v_lshl_or_b32 v0, v0, 4, v90
	ds_add_u32 v0, v91
	s_branch .LBB1016_327
.LBB1016_402:                           ;   in Loop: Header=BB1016_12 Depth=1
	v_mov_b32_e32 v0, 0
	s_waitcnt lgkmcnt(0)
	s_barrier
	s_and_saveexec_b64 s[20:21], s[4:5]
	s_cbranch_execz .LBB1016_404
; %bb.403:                              ;   in Loop: Header=BB1016_12 Depth=1
	ds_read2_b64 v[24:27], v59 offset1:1
	s_waitcnt lgkmcnt(0)
	v_add_u32_e32 v0, v25, v24
	v_add3_u32 v0, v0, v26, v27
.LBB1016_404:                           ;   in Loop: Header=BB1016_12 Depth=1
	s_or_b64 exec, exec, s[20:21]
	s_nop 0
	v_mov_b32_dpp v1, v0 row_shr:1 row_mask:0xf bank_mask:0xf
	v_cmp_eq_u32_e64 s[20:21], 0, v103
	v_cndmask_b32_e64 v1, v1, 0, s[20:21]
	v_add_u32_e32 v0, v1, v0
	v_cmp_lt_u32_e64 s[22:23], 1, v103
	v_cmp_lt_u32_e64 s[24:25], 3, v103
	v_mov_b32_dpp v1, v0 row_shr:2 row_mask:0xf bank_mask:0xf
	v_cndmask_b32_e64 v1, 0, v1, s[22:23]
	v_add_u32_e32 v0, v0, v1
	v_cmp_lt_u32_e64 s[26:27], 7, v103
	v_cmp_lt_u32_e64 s[30:31], 31, v102
	v_mov_b32_dpp v1, v0 row_shr:4 row_mask:0xf bank_mask:0xf
	v_cndmask_b32_e64 v1, 0, v1, s[24:25]
	v_add_u32_e32 v0, v0, v1
	v_cmp_eq_u32_e64 s[28:29], 0, v105
	s_nop 0
	v_mov_b32_dpp v1, v0 row_shr:8 row_mask:0xf bank_mask:0xf
	v_cndmask_b32_e64 v1, 0, v1, s[26:27]
	v_add_u32_e32 v0, v0, v1
	s_nop 1
	v_mov_b32_dpp v1, v0 row_bcast:15 row_mask:0xf bank_mask:0xf
	v_and_b32_e32 v1, v104, v1
	v_add_u32_e32 v0, v0, v1
	s_nop 1
	v_mov_b32_dpp v1, v0 row_bcast:31 row_mask:0xf bank_mask:0xf
	v_cndmask_b32_e64 v1, 0, v1, s[30:31]
	v_add_u32_e32 v0, v0, v1
	s_mov_b64 s[34:35], exec
	v_readlane_b32 s8, v232, 0
	v_readlane_b32 s9, v232, 1
	s_and_b64 s[8:9], s[34:35], s[8:9]
	s_mov_b64 exec, s[8:9]
	s_cbranch_execz .LBB1016_406
; %bb.405:                              ;   in Loop: Header=BB1016_12 Depth=1
	ds_write_b32 v61, v0
.LBB1016_406:                           ;   in Loop: Header=BB1016_12 Depth=1
	s_or_b64 exec, exec, s[34:35]
	s_waitcnt lgkmcnt(0)
	s_barrier
	s_mov_b64 s[34:35], exec
	v_readlane_b32 s8, v232, 2
	v_readlane_b32 s9, v232, 3
	s_and_b64 s[8:9], s[34:35], s[8:9]
	s_mov_b64 exec, s[8:9]
	s_cbranch_execz .LBB1016_408
; %bb.407:                              ;   in Loop: Header=BB1016_12 Depth=1
	ds_read_b32 v1, v62
	s_waitcnt lgkmcnt(0)
	s_nop 0
	v_mov_b32_dpp v5, v1 row_shr:1 row_mask:0xf bank_mask:0xf
	v_and_b32_e32 v5, v106, v5
	v_add_u32_e32 v1, v5, v1
	ds_write_b32 v62, v1
.LBB1016_408:                           ;   in Loop: Header=BB1016_12 Depth=1
	s_or_b64 exec, exec, s[34:35]
	v_mov_b32_e32 v1, 0
	s_waitcnt lgkmcnt(0)
	s_barrier
	s_and_saveexec_b64 s[34:35], s[10:11]
	s_cbranch_execz .LBB1016_410
; %bb.409:                              ;   in Loop: Header=BB1016_12 Depth=1
	ds_read_b32 v1, v63
.LBB1016_410:                           ;   in Loop: Header=BB1016_12 Depth=1
	s_or_b64 exec, exec, s[34:35]
	v_cmp_lt_i32_e32 vcc, v107, v108
	v_cndmask_b32_e32 v5, v107, v102, vcc
	s_waitcnt lgkmcnt(0)
	v_add_u32_e32 v0, v1, v0
	v_lshlrev_b32_e32 v129, 2, v5
	ds_bpermute_b32 v0, v129, v0
	v_cmp_eq_u32_e64 s[34:35], 0, v102
	s_waitcnt lgkmcnt(0)
	s_barrier
	s_and_saveexec_b64 s[36:37], s[4:5]
	s_cbranch_execz .LBB1016_412
; %bb.411:                              ;   in Loop: Header=BB1016_12 Depth=1
	v_cndmask_b32_e64 v0, v0, v1, s[34:35]
	v_add_u32_e32 v0, s75, v0
	ds_write_b32 v3, v0
.LBB1016_412:                           ;   in Loop: Header=BB1016_12 Depth=1
	s_or_b64 exec, exec, s[36:37]
	s_load_dwordx2 s[8:9], s[96:97], 0x0
	v_add_co_u32_e32 v130, vcc, v80, v110
	v_addc_co_u32_e32 v131, vcc, 0, v81, vcc
	s_waitcnt lgkmcnt(0)
	s_cmp_lt_u32 s74, s8
	s_cselect_b32 s7, 12, 18
	s_cmp_lt_u32 s33, s9
	s_cselect_b32 s8, 14, 20
	s_add_u32 s8, s96, s8
	s_addc_u32 s9, s97, 0
	s_add_u32 s36, s96, s7
	global_load_ushort v5, v4, s[8:9]
	s_addc_u32 s37, s97, 0
	global_load_ushort v56, v4, s[36:37]
	v_add_co_u32_e32 v132, vcc, v82, v128
	v_addc_co_u32_e32 v133, vcc, 0, v83, vcc
	v_add_co_u32_e32 v148, vcc, 0x800, v132
	v_cmp_eq_u32_e64 s[36:37], 0, v109
	v_cmp_lt_u32_e64 s[38:39], 1, v109
	s_mov_b32 s7, s91
	v_addc_co_u32_e32 v151, vcc, 0, v133, vcc
	s_mov_b32 s94, s75
                                        ; implicit-def: $vgpr0_vgpr1
                                        ; implicit-def: $vgpr24_vgpr25
                                        ; implicit-def: $vgpr26_vgpr27
                                        ; implicit-def: $vgpr28_vgpr29
                                        ; implicit-def: $vgpr32_vgpr33
                                        ; implicit-def: $vgpr36_vgpr37
                                        ; implicit-def: $vgpr40_vgpr41
                                        ; implicit-def: $vgpr44_vgpr45
                                        ; implicit-def: $vgpr48_vgpr49
                                        ; implicit-def: $vgpr30_vgpr31
                                        ; implicit-def: $vgpr34_vgpr35
                                        ; implicit-def: $vgpr38_vgpr39
                                        ; implicit-def: $vgpr42_vgpr43
                                        ; implicit-def: $vgpr46_vgpr47
                                        ; implicit-def: $vgpr50_vgpr51
                                        ; implicit-def: $vgpr52_vgpr53
                                        ; implicit-def: $vgpr54_vgpr55
                                        ; implicit-def: $vgpr134
                                        ; implicit-def: $vgpr135
                                        ; implicit-def: $vgpr136
                                        ; implicit-def: $vgpr137
                                        ; implicit-def: $vgpr138
                                        ; implicit-def: $vgpr139
                                        ; implicit-def: $vgpr140
                                        ; implicit-def: $vgpr141
                                        ; implicit-def: $vgpr142
                                        ; implicit-def: $vgpr143
                                        ; implicit-def: $vgpr144
                                        ; implicit-def: $vgpr145
                                        ; implicit-def: $vgpr146
                                        ; implicit-def: $vgpr147
                                        ; implicit-def: $vgpr149
                                        ; implicit-def: $vgpr150
                                        ; implicit-def: $vgpr152
                                        ; implicit-def: $vgpr154
                                        ; implicit-def: $vgpr155
	s_waitcnt vmcnt(1)
	v_mad_u32_u24 v5, v64, v5, v65
	s_waitcnt vmcnt(0)
	v_mad_u64_u32 v[56:57], s[8:9], v5, v56, v[2:3]
	v_lshrrev_b32_e32 v153, 6, v56
	s_branch .LBB1016_414
.LBB1016_413:                           ;   in Loop: Header=BB1016_414 Depth=2
	s_or_b64 exec, exec, s[40:41]
	s_addk_i32 s7, 0xef00
	s_cmp_lt_u32 s8, s98
	s_mov_b32 s94, s8
	s_cbranch_scc0 .LBB1016_636
.LBB1016_414:                           ;   Parent Loop BB1016_12 Depth=1
                                        ; =>  This Inner Loop Header: Depth=2
	s_add_i32 s8, s94, 0x1100
	s_cmp_gt_u32 s8, s98
	s_cbranch_scc1 .LBB1016_417
; %bb.415:                              ;   in Loop: Header=BB1016_414 Depth=2
	s_lshl_b64 s[40:41], s[94:95], 1
	v_mov_b32_e32 v5, s41
	v_add_co_u32_e32 v56, vcc, s40, v132
	v_addc_co_u32_e32 v57, vcc, v133, v5, vcc
	global_load_ushort v5, v[56:57], off
	global_load_ushort v160, v[56:57], off offset:128
	global_load_ushort v165, v[56:57], off offset:256
	;; [unrolled: 1-line block ×15, first 2 shown]
	s_mov_b64 s[40:41], -1
	s_movk_i32 s9, 0x1100
	s_cbranch_execz .LBB1016_418
; %bb.416:                              ;   in Loop: Header=BB1016_414 Depth=2
                                        ; implicit-def: $sgpr42
	v_mov_b32_e32 v166, s42
	v_mov_b32_e32 v156, s7
	s_and_saveexec_b64 s[42:43], s[40:41]
	s_cbranch_execnz .LBB1016_451
	s_branch .LBB1016_452
.LBB1016_417:                           ;   in Loop: Header=BB1016_414 Depth=2
	s_mov_b64 s[40:41], 0
                                        ; implicit-def: $sgpr9
                                        ; implicit-def: $vgpr5
                                        ; implicit-def: $vgpr160
                                        ; implicit-def: $vgpr165
                                        ; implicit-def: $vgpr171
                                        ; implicit-def: $vgpr176
                                        ; implicit-def: $vgpr181
                                        ; implicit-def: $vgpr186
                                        ; implicit-def: $vgpr191
                                        ; implicit-def: $vgpr193
                                        ; implicit-def: $vgpr188
                                        ; implicit-def: $vgpr184
                                        ; implicit-def: $vgpr179
                                        ; implicit-def: $vgpr174
                                        ; implicit-def: $vgpr169
                                        ; implicit-def: $vgpr164
                                        ; implicit-def: $vgpr159
.LBB1016_418:                           ;   in Loop: Header=BB1016_414 Depth=2
	s_lshl_b64 s[40:41], s[94:95], 1
	s_waitcnt vmcnt(15)
	v_mov_b32_e32 v5, s41
	v_add_co_u32_e32 v56, vcc, s40, v132
	v_addc_co_u32_e32 v57, vcc, v133, v5, vcc
	v_cmp_gt_u32_e32 vcc, s7, v111
	s_waitcnt vmcnt(14)
	v_mov_b32_e32 v160, 0x7fff
	v_mov_b32_e32 v5, 0x7fff
	s_and_saveexec_b64 s[40:41], vcc
	s_cbranch_execz .LBB1016_420
; %bb.419:                              ;   in Loop: Header=BB1016_414 Depth=2
	global_load_ushort v5, v[56:57], off
.LBB1016_420:                           ;   in Loop: Header=BB1016_414 Depth=2
	s_or_b64 exec, exec, s[40:41]
	v_cmp_gt_u32_e32 vcc, s7, v112
	s_and_saveexec_b64 s[40:41], vcc
	s_cbranch_execz .LBB1016_422
; %bb.421:                              ;   in Loop: Header=BB1016_414 Depth=2
	global_load_ushort v160, v[56:57], off offset:128
.LBB1016_422:                           ;   in Loop: Header=BB1016_414 Depth=2
	s_or_b64 exec, exec, s[40:41]
	v_cmp_gt_u32_e32 vcc, s7, v113
	s_waitcnt vmcnt(12)
	v_mov_b32_e32 v171, 0x7fff
	v_mov_b32_e32 v165, 0x7fff
	s_and_saveexec_b64 s[40:41], vcc
	s_cbranch_execz .LBB1016_424
; %bb.423:                              ;   in Loop: Header=BB1016_414 Depth=2
	global_load_ushort v165, v[56:57], off offset:256
.LBB1016_424:                           ;   in Loop: Header=BB1016_414 Depth=2
	s_or_b64 exec, exec, s[40:41]
	v_cmp_gt_u32_e32 vcc, s7, v114
	s_and_saveexec_b64 s[40:41], vcc
	s_cbranch_execz .LBB1016_426
; %bb.425:                              ;   in Loop: Header=BB1016_414 Depth=2
	global_load_ushort v171, v[56:57], off offset:384
.LBB1016_426:                           ;   in Loop: Header=BB1016_414 Depth=2
	s_or_b64 exec, exec, s[40:41]
	v_cmp_gt_u32_e32 vcc, s7, v115
	s_waitcnt vmcnt(10)
	v_mov_b32_e32 v181, 0x7fff
	v_mov_b32_e32 v176, 0x7fff
	s_and_saveexec_b64 s[40:41], vcc
	s_cbranch_execz .LBB1016_428
; %bb.427:                              ;   in Loop: Header=BB1016_414 Depth=2
	global_load_ushort v176, v[56:57], off offset:512
.LBB1016_428:                           ;   in Loop: Header=BB1016_414 Depth=2
	;; [unrolled: 17-line block ×7, first 2 shown]
	s_or_b64 exec, exec, s[40:41]
	v_cmp_gt_u32_e32 vcc, s7, v126
	s_and_saveexec_b64 s[40:41], vcc
	s_cbranch_execz .LBB1016_450
; %bb.449:                              ;   in Loop: Header=BB1016_414 Depth=2
	global_load_ushort v159, v[56:57], off offset:1920
.LBB1016_450:                           ;   in Loop: Header=BB1016_414 Depth=2
	s_or_b64 exec, exec, s[40:41]
	s_sub_i32 s9, s98, s94
	v_cmp_gt_u32_e64 s[40:41], s7, v127
	s_movk_i32 s42, 0x7fff
	v_mov_b32_e32 v166, s42
	v_mov_b32_e32 v156, s7
	s_and_saveexec_b64 s[42:43], s[40:41]
	s_cbranch_execz .LBB1016_452
.LBB1016_451:                           ;   in Loop: Header=BB1016_414 Depth=2
	s_lshl_b64 s[40:41], s[94:95], 1
	v_mov_b32_e32 v57, s41
	v_add_co_u32_e32 v56, vcc, s40, v148
	v_addc_co_u32_e32 v57, vcc, v151, v57, vcc
	global_load_ushort v166, v[56:57], off
	v_mov_b32_e32 v156, s9
.LBB1016_452:                           ;   in Loop: Header=BB1016_414 Depth=2
	s_or_b64 exec, exec, s[42:43]
	s_waitcnt vmcnt(15)
	v_xor_b32_e32 v157, 0xffff8000, v5
	v_lshrrev_b32_sdwa v5, s99, v157 dst_sel:DWORD dst_unused:UNUSED_PAD src0_sel:DWORD src1_sel:WORD_0
	v_and_b32_e32 v56, s6, v5
	v_mad_u32_u24 v5, v56, 5, v153
	v_lshl_add_u32 v158, v5, 2, v66
	v_and_b32_e32 v5, 1, v56
	v_add_co_u32_e32 v57, vcc, -1, v5
	v_addc_co_u32_e64 v161, s[40:41], 0, -1, vcc
	v_cmp_ne_u32_e32 vcc, 0, v5
	v_xor_b32_e32 v5, vcc_hi, v161
	v_and_b32_e32 v161, exec_hi, v5
	v_lshlrev_b32_e32 v5, 30, v56
	v_xor_b32_e32 v57, vcc_lo, v57
	v_cmp_gt_i64_e32 vcc, 0, v[4:5]
	v_not_b32_e32 v5, v5
	v_ashrrev_i32_e32 v5, 31, v5
	v_and_b32_e32 v57, exec_lo, v57
	v_xor_b32_e32 v162, vcc_hi, v5
	v_xor_b32_e32 v5, vcc_lo, v5
	v_and_b32_e32 v57, v57, v5
	v_lshlrev_b32_e32 v5, 29, v56
	v_cmp_gt_i64_e32 vcc, 0, v[4:5]
	v_not_b32_e32 v5, v5
	v_ashrrev_i32_e32 v5, 31, v5
	v_and_b32_e32 v161, v161, v162
	v_xor_b32_e32 v162, vcc_hi, v5
	v_xor_b32_e32 v5, vcc_lo, v5
	v_and_b32_e32 v57, v57, v5
	v_lshlrev_b32_e32 v5, 28, v56
	v_cmp_gt_i64_e32 vcc, 0, v[4:5]
	v_not_b32_e32 v5, v5
	v_ashrrev_i32_e32 v5, 31, v5
	v_and_b32_e32 v161, v161, v162
	;; [unrolled: 8-line block ×4, first 2 shown]
	v_xor_b32_e32 v162, vcc_hi, v5
	v_xor_b32_e32 v5, vcc_lo, v5
	v_and_b32_e32 v161, v161, v162
	v_and_b32_e32 v162, v57, v5
	v_lshlrev_b32_e32 v5, 25, v56
	v_cmp_gt_i64_e32 vcc, 0, v[4:5]
	v_not_b32_e32 v5, v5
	v_ashrrev_i32_e32 v5, 31, v5
	v_xor_b32_e32 v56, vcc_hi, v5
	v_xor_b32_e32 v5, vcc_lo, v5
	v_and_b32_e32 v57, v161, v56
	v_and_b32_e32 v56, v162, v5
	v_mbcnt_lo_u32_b32 v5, v56, 0
	v_mbcnt_hi_u32_b32 v161, v57, v5
	v_cmp_eq_u32_e32 vcc, 0, v161
	v_cmp_ne_u64_e64 s[40:41], 0, v[56:57]
	s_and_b64 s[42:43], s[40:41], vcc
	ds_write2_b32 v58, v4, v4 offset0:132 offset1:133
	ds_write_b32 v67, v4 offset:8
	s_waitcnt lgkmcnt(0)
	s_barrier
	s_waitcnt lgkmcnt(0)
	; wave barrier
	s_and_saveexec_b64 s[40:41], s[42:43]
	s_cbranch_execz .LBB1016_454
; %bb.453:                              ;   in Loop: Header=BB1016_414 Depth=2
	v_bcnt_u32_b32 v5, v56, 0
	v_bcnt_u32_b32 v5, v57, v5
	ds_write_b32 v158, v5
.LBB1016_454:                           ;   in Loop: Header=BB1016_414 Depth=2
	s_or_b64 exec, exec, s[40:41]
	s_waitcnt vmcnt(14)
	v_xor_b32_e32 v160, 0xffff8000, v160
	v_lshrrev_b32_sdwa v5, s99, v160 dst_sel:DWORD dst_unused:UNUSED_PAD src0_sel:DWORD src1_sel:WORD_0
	v_and_b32_e32 v56, s6, v5
	v_mul_u32_u24_e32 v5, 5, v56
	v_add_lshl_u32 v5, v5, v153, 2
	; wave barrier
	v_add_u32_e32 v163, 0x210, v5
	ds_read_b32 v162, v5 offset:528
	v_and_b32_e32 v5, 1, v56
	v_add_co_u32_e32 v57, vcc, -1, v5
	v_addc_co_u32_e64 v167, s[40:41], 0, -1, vcc
	v_cmp_ne_u32_e32 vcc, 0, v5
	v_xor_b32_e32 v5, vcc_hi, v167
	v_and_b32_e32 v167, exec_hi, v5
	v_lshlrev_b32_e32 v5, 30, v56
	v_xor_b32_e32 v57, vcc_lo, v57
	v_cmp_gt_i64_e32 vcc, 0, v[4:5]
	v_not_b32_e32 v5, v5
	v_ashrrev_i32_e32 v5, 31, v5
	v_and_b32_e32 v57, exec_lo, v57
	v_xor_b32_e32 v168, vcc_hi, v5
	v_xor_b32_e32 v5, vcc_lo, v5
	v_and_b32_e32 v57, v57, v5
	v_lshlrev_b32_e32 v5, 29, v56
	v_cmp_gt_i64_e32 vcc, 0, v[4:5]
	v_not_b32_e32 v5, v5
	v_ashrrev_i32_e32 v5, 31, v5
	v_and_b32_e32 v167, v167, v168
	v_xor_b32_e32 v168, vcc_hi, v5
	v_xor_b32_e32 v5, vcc_lo, v5
	v_and_b32_e32 v57, v57, v5
	v_lshlrev_b32_e32 v5, 28, v56
	v_cmp_gt_i64_e32 vcc, 0, v[4:5]
	v_not_b32_e32 v5, v5
	v_ashrrev_i32_e32 v5, 31, v5
	v_and_b32_e32 v167, v167, v168
	;; [unrolled: 8-line block ×4, first 2 shown]
	v_xor_b32_e32 v168, vcc_hi, v5
	v_xor_b32_e32 v5, vcc_lo, v5
	v_and_b32_e32 v167, v167, v168
	v_and_b32_e32 v168, v57, v5
	v_lshlrev_b32_e32 v5, 25, v56
	v_cmp_gt_i64_e32 vcc, 0, v[4:5]
	v_not_b32_e32 v5, v5
	v_ashrrev_i32_e32 v5, 31, v5
	v_xor_b32_e32 v56, vcc_hi, v5
	v_xor_b32_e32 v5, vcc_lo, v5
	v_and_b32_e32 v57, v167, v56
	v_and_b32_e32 v56, v168, v5
	v_mbcnt_lo_u32_b32 v5, v56, 0
	v_mbcnt_hi_u32_b32 v167, v57, v5
	v_cmp_eq_u32_e32 vcc, 0, v167
	v_cmp_ne_u64_e64 s[40:41], 0, v[56:57]
	s_and_b64 s[42:43], s[40:41], vcc
	; wave barrier
	s_and_saveexec_b64 s[40:41], s[42:43]
	s_cbranch_execz .LBB1016_456
; %bb.455:                              ;   in Loop: Header=BB1016_414 Depth=2
	v_bcnt_u32_b32 v5, v56, 0
	v_bcnt_u32_b32 v5, v57, v5
	s_waitcnt lgkmcnt(0)
	v_add_u32_e32 v5, v162, v5
	ds_write_b32 v163, v5
.LBB1016_456:                           ;   in Loop: Header=BB1016_414 Depth=2
	s_or_b64 exec, exec, s[40:41]
	s_waitcnt vmcnt(13)
	v_xor_b32_e32 v165, 0xffff8000, v165
	v_lshrrev_b32_sdwa v5, s99, v165 dst_sel:DWORD dst_unused:UNUSED_PAD src0_sel:DWORD src1_sel:WORD_0
	v_and_b32_e32 v56, s6, v5
	v_mul_u32_u24_e32 v5, 5, v56
	v_add_lshl_u32 v5, v5, v153, 2
	; wave barrier
	v_add_u32_e32 v170, 0x210, v5
	ds_read_b32 v168, v5 offset:528
	v_and_b32_e32 v5, 1, v56
	v_add_co_u32_e32 v57, vcc, -1, v5
	v_addc_co_u32_e64 v172, s[40:41], 0, -1, vcc
	v_cmp_ne_u32_e32 vcc, 0, v5
	v_xor_b32_e32 v5, vcc_hi, v172
	v_and_b32_e32 v172, exec_hi, v5
	v_lshlrev_b32_e32 v5, 30, v56
	v_xor_b32_e32 v57, vcc_lo, v57
	v_cmp_gt_i64_e32 vcc, 0, v[4:5]
	v_not_b32_e32 v5, v5
	v_ashrrev_i32_e32 v5, 31, v5
	v_and_b32_e32 v57, exec_lo, v57
	v_xor_b32_e32 v173, vcc_hi, v5
	v_xor_b32_e32 v5, vcc_lo, v5
	v_and_b32_e32 v57, v57, v5
	v_lshlrev_b32_e32 v5, 29, v56
	v_cmp_gt_i64_e32 vcc, 0, v[4:5]
	v_not_b32_e32 v5, v5
	v_ashrrev_i32_e32 v5, 31, v5
	v_and_b32_e32 v172, v172, v173
	v_xor_b32_e32 v173, vcc_hi, v5
	v_xor_b32_e32 v5, vcc_lo, v5
	v_and_b32_e32 v57, v57, v5
	v_lshlrev_b32_e32 v5, 28, v56
	v_cmp_gt_i64_e32 vcc, 0, v[4:5]
	v_not_b32_e32 v5, v5
	v_ashrrev_i32_e32 v5, 31, v5
	v_and_b32_e32 v172, v172, v173
	;; [unrolled: 8-line block ×4, first 2 shown]
	v_xor_b32_e32 v173, vcc_hi, v5
	v_xor_b32_e32 v5, vcc_lo, v5
	v_and_b32_e32 v172, v172, v173
	v_and_b32_e32 v173, v57, v5
	v_lshlrev_b32_e32 v5, 25, v56
	v_cmp_gt_i64_e32 vcc, 0, v[4:5]
	v_not_b32_e32 v5, v5
	v_ashrrev_i32_e32 v5, 31, v5
	v_xor_b32_e32 v56, vcc_hi, v5
	v_xor_b32_e32 v5, vcc_lo, v5
	v_and_b32_e32 v57, v172, v56
	v_and_b32_e32 v56, v173, v5
	v_mbcnt_lo_u32_b32 v5, v56, 0
	v_mbcnt_hi_u32_b32 v172, v57, v5
	v_cmp_eq_u32_e32 vcc, 0, v172
	v_cmp_ne_u64_e64 s[40:41], 0, v[56:57]
	s_and_b64 s[42:43], s[40:41], vcc
	; wave barrier
	s_and_saveexec_b64 s[40:41], s[42:43]
	s_cbranch_execz .LBB1016_458
; %bb.457:                              ;   in Loop: Header=BB1016_414 Depth=2
	v_bcnt_u32_b32 v5, v56, 0
	v_bcnt_u32_b32 v5, v57, v5
	s_waitcnt lgkmcnt(0)
	v_add_u32_e32 v5, v168, v5
	ds_write_b32 v170, v5
.LBB1016_458:                           ;   in Loop: Header=BB1016_414 Depth=2
	s_or_b64 exec, exec, s[40:41]
	s_waitcnt vmcnt(12)
	v_xor_b32_e32 v171, 0xffff8000, v171
	v_lshrrev_b32_sdwa v5, s99, v171 dst_sel:DWORD dst_unused:UNUSED_PAD src0_sel:DWORD src1_sel:WORD_0
	v_and_b32_e32 v56, s6, v5
	v_mul_u32_u24_e32 v5, 5, v56
	v_add_lshl_u32 v5, v5, v153, 2
	; wave barrier
	v_add_u32_e32 v175, 0x210, v5
	ds_read_b32 v173, v5 offset:528
	v_and_b32_e32 v5, 1, v56
	v_add_co_u32_e32 v57, vcc, -1, v5
	v_addc_co_u32_e64 v177, s[40:41], 0, -1, vcc
	v_cmp_ne_u32_e32 vcc, 0, v5
	v_xor_b32_e32 v5, vcc_hi, v177
	v_and_b32_e32 v177, exec_hi, v5
	v_lshlrev_b32_e32 v5, 30, v56
	v_xor_b32_e32 v57, vcc_lo, v57
	v_cmp_gt_i64_e32 vcc, 0, v[4:5]
	v_not_b32_e32 v5, v5
	v_ashrrev_i32_e32 v5, 31, v5
	v_and_b32_e32 v57, exec_lo, v57
	v_xor_b32_e32 v178, vcc_hi, v5
	v_xor_b32_e32 v5, vcc_lo, v5
	v_and_b32_e32 v57, v57, v5
	v_lshlrev_b32_e32 v5, 29, v56
	v_cmp_gt_i64_e32 vcc, 0, v[4:5]
	v_not_b32_e32 v5, v5
	v_ashrrev_i32_e32 v5, 31, v5
	v_and_b32_e32 v177, v177, v178
	v_xor_b32_e32 v178, vcc_hi, v5
	v_xor_b32_e32 v5, vcc_lo, v5
	v_and_b32_e32 v57, v57, v5
	v_lshlrev_b32_e32 v5, 28, v56
	v_cmp_gt_i64_e32 vcc, 0, v[4:5]
	v_not_b32_e32 v5, v5
	v_ashrrev_i32_e32 v5, 31, v5
	v_and_b32_e32 v177, v177, v178
	;; [unrolled: 8-line block ×4, first 2 shown]
	v_xor_b32_e32 v178, vcc_hi, v5
	v_xor_b32_e32 v5, vcc_lo, v5
	v_and_b32_e32 v177, v177, v178
	v_and_b32_e32 v178, v57, v5
	v_lshlrev_b32_e32 v5, 25, v56
	v_cmp_gt_i64_e32 vcc, 0, v[4:5]
	v_not_b32_e32 v5, v5
	v_ashrrev_i32_e32 v5, 31, v5
	v_xor_b32_e32 v56, vcc_hi, v5
	v_xor_b32_e32 v5, vcc_lo, v5
	v_and_b32_e32 v57, v177, v56
	v_and_b32_e32 v56, v178, v5
	v_mbcnt_lo_u32_b32 v5, v56, 0
	v_mbcnt_hi_u32_b32 v177, v57, v5
	v_cmp_eq_u32_e32 vcc, 0, v177
	v_cmp_ne_u64_e64 s[40:41], 0, v[56:57]
	s_and_b64 s[42:43], s[40:41], vcc
	; wave barrier
	s_and_saveexec_b64 s[40:41], s[42:43]
	s_cbranch_execz .LBB1016_460
; %bb.459:                              ;   in Loop: Header=BB1016_414 Depth=2
	v_bcnt_u32_b32 v5, v56, 0
	v_bcnt_u32_b32 v5, v57, v5
	s_waitcnt lgkmcnt(0)
	v_add_u32_e32 v5, v173, v5
	ds_write_b32 v175, v5
.LBB1016_460:                           ;   in Loop: Header=BB1016_414 Depth=2
	s_or_b64 exec, exec, s[40:41]
	s_waitcnt vmcnt(11)
	v_xor_b32_e32 v176, 0xffff8000, v176
	v_lshrrev_b32_sdwa v5, s99, v176 dst_sel:DWORD dst_unused:UNUSED_PAD src0_sel:DWORD src1_sel:WORD_0
	v_and_b32_e32 v56, s6, v5
	v_mul_u32_u24_e32 v5, 5, v56
	v_add_lshl_u32 v5, v5, v153, 2
	; wave barrier
	v_add_u32_e32 v180, 0x210, v5
	ds_read_b32 v178, v5 offset:528
	v_and_b32_e32 v5, 1, v56
	v_add_co_u32_e32 v57, vcc, -1, v5
	v_addc_co_u32_e64 v182, s[40:41], 0, -1, vcc
	v_cmp_ne_u32_e32 vcc, 0, v5
	v_xor_b32_e32 v5, vcc_hi, v182
	v_and_b32_e32 v182, exec_hi, v5
	v_lshlrev_b32_e32 v5, 30, v56
	v_xor_b32_e32 v57, vcc_lo, v57
	v_cmp_gt_i64_e32 vcc, 0, v[4:5]
	v_not_b32_e32 v5, v5
	v_ashrrev_i32_e32 v5, 31, v5
	v_and_b32_e32 v57, exec_lo, v57
	v_xor_b32_e32 v183, vcc_hi, v5
	v_xor_b32_e32 v5, vcc_lo, v5
	v_and_b32_e32 v57, v57, v5
	v_lshlrev_b32_e32 v5, 29, v56
	v_cmp_gt_i64_e32 vcc, 0, v[4:5]
	v_not_b32_e32 v5, v5
	v_ashrrev_i32_e32 v5, 31, v5
	v_and_b32_e32 v182, v182, v183
	v_xor_b32_e32 v183, vcc_hi, v5
	v_xor_b32_e32 v5, vcc_lo, v5
	v_and_b32_e32 v57, v57, v5
	v_lshlrev_b32_e32 v5, 28, v56
	v_cmp_gt_i64_e32 vcc, 0, v[4:5]
	v_not_b32_e32 v5, v5
	v_ashrrev_i32_e32 v5, 31, v5
	v_and_b32_e32 v182, v182, v183
	;; [unrolled: 8-line block ×4, first 2 shown]
	v_xor_b32_e32 v183, vcc_hi, v5
	v_xor_b32_e32 v5, vcc_lo, v5
	v_and_b32_e32 v182, v182, v183
	v_and_b32_e32 v183, v57, v5
	v_lshlrev_b32_e32 v5, 25, v56
	v_cmp_gt_i64_e32 vcc, 0, v[4:5]
	v_not_b32_e32 v5, v5
	v_ashrrev_i32_e32 v5, 31, v5
	v_xor_b32_e32 v56, vcc_hi, v5
	v_xor_b32_e32 v5, vcc_lo, v5
	v_and_b32_e32 v57, v182, v56
	v_and_b32_e32 v56, v183, v5
	v_mbcnt_lo_u32_b32 v5, v56, 0
	v_mbcnt_hi_u32_b32 v182, v57, v5
	v_cmp_eq_u32_e32 vcc, 0, v182
	v_cmp_ne_u64_e64 s[40:41], 0, v[56:57]
	s_and_b64 s[42:43], s[40:41], vcc
	; wave barrier
	s_and_saveexec_b64 s[40:41], s[42:43]
	s_cbranch_execz .LBB1016_462
; %bb.461:                              ;   in Loop: Header=BB1016_414 Depth=2
	v_bcnt_u32_b32 v5, v56, 0
	v_bcnt_u32_b32 v5, v57, v5
	s_waitcnt lgkmcnt(0)
	v_add_u32_e32 v5, v178, v5
	ds_write_b32 v180, v5
.LBB1016_462:                           ;   in Loop: Header=BB1016_414 Depth=2
	s_or_b64 exec, exec, s[40:41]
	s_waitcnt vmcnt(10)
	v_xor_b32_e32 v181, 0xffff8000, v181
	v_lshrrev_b32_sdwa v5, s99, v181 dst_sel:DWORD dst_unused:UNUSED_PAD src0_sel:DWORD src1_sel:WORD_0
	v_and_b32_e32 v56, s6, v5
	v_mul_u32_u24_e32 v5, 5, v56
	v_add_lshl_u32 v5, v5, v153, 2
	; wave barrier
	v_add_u32_e32 v185, 0x210, v5
	ds_read_b32 v183, v5 offset:528
	v_and_b32_e32 v5, 1, v56
	v_add_co_u32_e32 v57, vcc, -1, v5
	v_addc_co_u32_e64 v187, s[40:41], 0, -1, vcc
	v_cmp_ne_u32_e32 vcc, 0, v5
	v_xor_b32_e32 v5, vcc_hi, v187
	v_and_b32_e32 v187, exec_hi, v5
	v_lshlrev_b32_e32 v5, 30, v56
	v_xor_b32_e32 v57, vcc_lo, v57
	v_cmp_gt_i64_e32 vcc, 0, v[4:5]
	v_not_b32_e32 v5, v5
	v_ashrrev_i32_e32 v5, 31, v5
	v_and_b32_e32 v57, exec_lo, v57
	v_xor_b32_e32 v189, vcc_hi, v5
	v_xor_b32_e32 v5, vcc_lo, v5
	v_and_b32_e32 v57, v57, v5
	v_lshlrev_b32_e32 v5, 29, v56
	v_cmp_gt_i64_e32 vcc, 0, v[4:5]
	v_not_b32_e32 v5, v5
	v_ashrrev_i32_e32 v5, 31, v5
	v_and_b32_e32 v187, v187, v189
	v_xor_b32_e32 v189, vcc_hi, v5
	v_xor_b32_e32 v5, vcc_lo, v5
	v_and_b32_e32 v57, v57, v5
	v_lshlrev_b32_e32 v5, 28, v56
	v_cmp_gt_i64_e32 vcc, 0, v[4:5]
	v_not_b32_e32 v5, v5
	v_ashrrev_i32_e32 v5, 31, v5
	v_and_b32_e32 v187, v187, v189
	;; [unrolled: 8-line block ×4, first 2 shown]
	v_xor_b32_e32 v189, vcc_hi, v5
	v_xor_b32_e32 v5, vcc_lo, v5
	v_and_b32_e32 v187, v187, v189
	v_and_b32_e32 v189, v57, v5
	v_lshlrev_b32_e32 v5, 25, v56
	v_cmp_gt_i64_e32 vcc, 0, v[4:5]
	v_not_b32_e32 v5, v5
	v_ashrrev_i32_e32 v5, 31, v5
	v_xor_b32_e32 v56, vcc_hi, v5
	v_xor_b32_e32 v5, vcc_lo, v5
	v_and_b32_e32 v57, v187, v56
	v_and_b32_e32 v56, v189, v5
	v_mbcnt_lo_u32_b32 v5, v56, 0
	v_mbcnt_hi_u32_b32 v187, v57, v5
	v_cmp_eq_u32_e32 vcc, 0, v187
	v_cmp_ne_u64_e64 s[40:41], 0, v[56:57]
	s_and_b64 s[42:43], s[40:41], vcc
	; wave barrier
	s_and_saveexec_b64 s[40:41], s[42:43]
	s_cbranch_execz .LBB1016_464
; %bb.463:                              ;   in Loop: Header=BB1016_414 Depth=2
	v_bcnt_u32_b32 v5, v56, 0
	v_bcnt_u32_b32 v5, v57, v5
	s_waitcnt lgkmcnt(0)
	v_add_u32_e32 v5, v183, v5
	ds_write_b32 v185, v5
.LBB1016_464:                           ;   in Loop: Header=BB1016_414 Depth=2
	s_or_b64 exec, exec, s[40:41]
	s_waitcnt vmcnt(9)
	v_xor_b32_e32 v186, 0xffff8000, v186
	v_lshrrev_b32_sdwa v5, s99, v186 dst_sel:DWORD dst_unused:UNUSED_PAD src0_sel:DWORD src1_sel:WORD_0
	v_and_b32_e32 v56, s6, v5
	v_mul_u32_u24_e32 v5, 5, v56
	v_add_lshl_u32 v5, v5, v153, 2
	; wave barrier
	v_add_u32_e32 v190, 0x210, v5
	ds_read_b32 v189, v5 offset:528
	v_and_b32_e32 v5, 1, v56
	v_add_co_u32_e32 v57, vcc, -1, v5
	v_addc_co_u32_e64 v192, s[40:41], 0, -1, vcc
	v_cmp_ne_u32_e32 vcc, 0, v5
	v_xor_b32_e32 v5, vcc_hi, v192
	v_and_b32_e32 v192, exec_hi, v5
	v_lshlrev_b32_e32 v5, 30, v56
	v_xor_b32_e32 v57, vcc_lo, v57
	v_cmp_gt_i64_e32 vcc, 0, v[4:5]
	v_not_b32_e32 v5, v5
	v_ashrrev_i32_e32 v5, 31, v5
	v_and_b32_e32 v57, exec_lo, v57
	v_xor_b32_e32 v194, vcc_hi, v5
	v_xor_b32_e32 v5, vcc_lo, v5
	v_and_b32_e32 v57, v57, v5
	v_lshlrev_b32_e32 v5, 29, v56
	v_cmp_gt_i64_e32 vcc, 0, v[4:5]
	v_not_b32_e32 v5, v5
	v_ashrrev_i32_e32 v5, 31, v5
	v_and_b32_e32 v192, v192, v194
	v_xor_b32_e32 v194, vcc_hi, v5
	v_xor_b32_e32 v5, vcc_lo, v5
	v_and_b32_e32 v57, v57, v5
	v_lshlrev_b32_e32 v5, 28, v56
	v_cmp_gt_i64_e32 vcc, 0, v[4:5]
	v_not_b32_e32 v5, v5
	v_ashrrev_i32_e32 v5, 31, v5
	v_and_b32_e32 v192, v192, v194
	;; [unrolled: 8-line block ×4, first 2 shown]
	v_xor_b32_e32 v194, vcc_hi, v5
	v_xor_b32_e32 v5, vcc_lo, v5
	v_and_b32_e32 v192, v192, v194
	v_and_b32_e32 v194, v57, v5
	v_lshlrev_b32_e32 v5, 25, v56
	v_cmp_gt_i64_e32 vcc, 0, v[4:5]
	v_not_b32_e32 v5, v5
	v_ashrrev_i32_e32 v5, 31, v5
	v_xor_b32_e32 v56, vcc_hi, v5
	v_xor_b32_e32 v5, vcc_lo, v5
	v_and_b32_e32 v57, v192, v56
	v_and_b32_e32 v56, v194, v5
	v_mbcnt_lo_u32_b32 v5, v56, 0
	v_mbcnt_hi_u32_b32 v192, v57, v5
	v_cmp_eq_u32_e32 vcc, 0, v192
	v_cmp_ne_u64_e64 s[40:41], 0, v[56:57]
	s_and_b64 s[42:43], s[40:41], vcc
	; wave barrier
	s_and_saveexec_b64 s[40:41], s[42:43]
	s_cbranch_execz .LBB1016_466
; %bb.465:                              ;   in Loop: Header=BB1016_414 Depth=2
	v_bcnt_u32_b32 v5, v56, 0
	v_bcnt_u32_b32 v5, v57, v5
	s_waitcnt lgkmcnt(0)
	v_add_u32_e32 v5, v189, v5
	ds_write_b32 v190, v5
.LBB1016_466:                           ;   in Loop: Header=BB1016_414 Depth=2
	s_or_b64 exec, exec, s[40:41]
	s_waitcnt vmcnt(8)
	v_xor_b32_e32 v191, 0xffff8000, v191
	v_lshrrev_b32_sdwa v5, s99, v191 dst_sel:DWORD dst_unused:UNUSED_PAD src0_sel:DWORD src1_sel:WORD_0
	v_and_b32_e32 v56, s6, v5
	v_mul_u32_u24_e32 v5, 5, v56
	v_add_lshl_u32 v5, v5, v153, 2
	; wave barrier
	v_add_u32_e32 v195, 0x210, v5
	ds_read_b32 v194, v5 offset:528
	v_and_b32_e32 v5, 1, v56
	v_add_co_u32_e32 v57, vcc, -1, v5
	v_addc_co_u32_e64 v196, s[40:41], 0, -1, vcc
	v_cmp_ne_u32_e32 vcc, 0, v5
	v_xor_b32_e32 v5, vcc_hi, v196
	v_and_b32_e32 v196, exec_hi, v5
	v_lshlrev_b32_e32 v5, 30, v56
	v_xor_b32_e32 v57, vcc_lo, v57
	v_cmp_gt_i64_e32 vcc, 0, v[4:5]
	v_not_b32_e32 v5, v5
	v_ashrrev_i32_e32 v5, 31, v5
	v_and_b32_e32 v57, exec_lo, v57
	v_xor_b32_e32 v197, vcc_hi, v5
	v_xor_b32_e32 v5, vcc_lo, v5
	v_and_b32_e32 v57, v57, v5
	v_lshlrev_b32_e32 v5, 29, v56
	v_cmp_gt_i64_e32 vcc, 0, v[4:5]
	v_not_b32_e32 v5, v5
	v_ashrrev_i32_e32 v5, 31, v5
	v_and_b32_e32 v196, v196, v197
	v_xor_b32_e32 v197, vcc_hi, v5
	v_xor_b32_e32 v5, vcc_lo, v5
	v_and_b32_e32 v57, v57, v5
	v_lshlrev_b32_e32 v5, 28, v56
	v_cmp_gt_i64_e32 vcc, 0, v[4:5]
	v_not_b32_e32 v5, v5
	v_ashrrev_i32_e32 v5, 31, v5
	v_and_b32_e32 v196, v196, v197
	;; [unrolled: 8-line block ×4, first 2 shown]
	v_xor_b32_e32 v197, vcc_hi, v5
	v_xor_b32_e32 v5, vcc_lo, v5
	v_and_b32_e32 v196, v196, v197
	v_and_b32_e32 v197, v57, v5
	v_lshlrev_b32_e32 v5, 25, v56
	v_cmp_gt_i64_e32 vcc, 0, v[4:5]
	v_not_b32_e32 v5, v5
	v_ashrrev_i32_e32 v5, 31, v5
	v_xor_b32_e32 v56, vcc_hi, v5
	v_xor_b32_e32 v5, vcc_lo, v5
	v_and_b32_e32 v57, v196, v56
	v_and_b32_e32 v56, v197, v5
	v_mbcnt_lo_u32_b32 v5, v56, 0
	v_mbcnt_hi_u32_b32 v196, v57, v5
	v_cmp_eq_u32_e32 vcc, 0, v196
	v_cmp_ne_u64_e64 s[40:41], 0, v[56:57]
	s_and_b64 s[42:43], s[40:41], vcc
	; wave barrier
	s_and_saveexec_b64 s[40:41], s[42:43]
	s_cbranch_execz .LBB1016_468
; %bb.467:                              ;   in Loop: Header=BB1016_414 Depth=2
	v_bcnt_u32_b32 v5, v56, 0
	v_bcnt_u32_b32 v5, v57, v5
	s_waitcnt lgkmcnt(0)
	v_add_u32_e32 v5, v194, v5
	ds_write_b32 v195, v5
.LBB1016_468:                           ;   in Loop: Header=BB1016_414 Depth=2
	s_or_b64 exec, exec, s[40:41]
	s_waitcnt vmcnt(7)
	v_xor_b32_e32 v193, 0xffff8000, v193
	v_lshrrev_b32_sdwa v5, s99, v193 dst_sel:DWORD dst_unused:UNUSED_PAD src0_sel:DWORD src1_sel:WORD_0
	v_and_b32_e32 v56, s6, v5
	v_mul_u32_u24_e32 v5, 5, v56
	v_add_lshl_u32 v5, v5, v153, 2
	; wave barrier
	v_add_u32_e32 v198, 0x210, v5
	ds_read_b32 v197, v5 offset:528
	v_and_b32_e32 v5, 1, v56
	v_add_co_u32_e32 v57, vcc, -1, v5
	v_addc_co_u32_e64 v199, s[40:41], 0, -1, vcc
	v_cmp_ne_u32_e32 vcc, 0, v5
	v_xor_b32_e32 v5, vcc_hi, v199
	v_and_b32_e32 v199, exec_hi, v5
	v_lshlrev_b32_e32 v5, 30, v56
	v_xor_b32_e32 v57, vcc_lo, v57
	v_cmp_gt_i64_e32 vcc, 0, v[4:5]
	v_not_b32_e32 v5, v5
	v_ashrrev_i32_e32 v5, 31, v5
	v_and_b32_e32 v57, exec_lo, v57
	v_xor_b32_e32 v200, vcc_hi, v5
	v_xor_b32_e32 v5, vcc_lo, v5
	v_and_b32_e32 v57, v57, v5
	v_lshlrev_b32_e32 v5, 29, v56
	v_cmp_gt_i64_e32 vcc, 0, v[4:5]
	v_not_b32_e32 v5, v5
	v_ashrrev_i32_e32 v5, 31, v5
	v_and_b32_e32 v199, v199, v200
	v_xor_b32_e32 v200, vcc_hi, v5
	v_xor_b32_e32 v5, vcc_lo, v5
	v_and_b32_e32 v57, v57, v5
	v_lshlrev_b32_e32 v5, 28, v56
	v_cmp_gt_i64_e32 vcc, 0, v[4:5]
	v_not_b32_e32 v5, v5
	v_ashrrev_i32_e32 v5, 31, v5
	v_and_b32_e32 v199, v199, v200
	;; [unrolled: 8-line block ×4, first 2 shown]
	v_xor_b32_e32 v200, vcc_hi, v5
	v_xor_b32_e32 v5, vcc_lo, v5
	v_and_b32_e32 v199, v199, v200
	v_and_b32_e32 v200, v57, v5
	v_lshlrev_b32_e32 v5, 25, v56
	v_cmp_gt_i64_e32 vcc, 0, v[4:5]
	v_not_b32_e32 v5, v5
	v_ashrrev_i32_e32 v5, 31, v5
	v_xor_b32_e32 v56, vcc_hi, v5
	v_xor_b32_e32 v5, vcc_lo, v5
	v_and_b32_e32 v57, v199, v56
	v_and_b32_e32 v56, v200, v5
	v_mbcnt_lo_u32_b32 v5, v56, 0
	v_mbcnt_hi_u32_b32 v199, v57, v5
	v_cmp_eq_u32_e32 vcc, 0, v199
	v_cmp_ne_u64_e64 s[40:41], 0, v[56:57]
	s_and_b64 s[42:43], s[40:41], vcc
	; wave barrier
	s_and_saveexec_b64 s[40:41], s[42:43]
	s_cbranch_execz .LBB1016_470
; %bb.469:                              ;   in Loop: Header=BB1016_414 Depth=2
	v_bcnt_u32_b32 v5, v56, 0
	v_bcnt_u32_b32 v5, v57, v5
	s_waitcnt lgkmcnt(0)
	v_add_u32_e32 v5, v197, v5
	ds_write_b32 v198, v5
.LBB1016_470:                           ;   in Loop: Header=BB1016_414 Depth=2
	s_or_b64 exec, exec, s[40:41]
	s_waitcnt vmcnt(6)
	v_xor_b32_e32 v188, 0xffff8000, v188
	v_lshrrev_b32_sdwa v5, s99, v188 dst_sel:DWORD dst_unused:UNUSED_PAD src0_sel:DWORD src1_sel:WORD_0
	v_and_b32_e32 v56, s6, v5
	v_mul_u32_u24_e32 v5, 5, v56
	v_add_lshl_u32 v5, v5, v153, 2
	; wave barrier
	v_add_u32_e32 v201, 0x210, v5
	ds_read_b32 v200, v5 offset:528
	v_and_b32_e32 v5, 1, v56
	v_add_co_u32_e32 v57, vcc, -1, v5
	v_addc_co_u32_e64 v202, s[40:41], 0, -1, vcc
	v_cmp_ne_u32_e32 vcc, 0, v5
	v_xor_b32_e32 v5, vcc_hi, v202
	v_and_b32_e32 v202, exec_hi, v5
	v_lshlrev_b32_e32 v5, 30, v56
	v_xor_b32_e32 v57, vcc_lo, v57
	v_cmp_gt_i64_e32 vcc, 0, v[4:5]
	v_not_b32_e32 v5, v5
	v_ashrrev_i32_e32 v5, 31, v5
	v_and_b32_e32 v57, exec_lo, v57
	v_xor_b32_e32 v203, vcc_hi, v5
	v_xor_b32_e32 v5, vcc_lo, v5
	v_and_b32_e32 v57, v57, v5
	v_lshlrev_b32_e32 v5, 29, v56
	v_cmp_gt_i64_e32 vcc, 0, v[4:5]
	v_not_b32_e32 v5, v5
	v_ashrrev_i32_e32 v5, 31, v5
	v_and_b32_e32 v202, v202, v203
	v_xor_b32_e32 v203, vcc_hi, v5
	v_xor_b32_e32 v5, vcc_lo, v5
	v_and_b32_e32 v57, v57, v5
	v_lshlrev_b32_e32 v5, 28, v56
	v_cmp_gt_i64_e32 vcc, 0, v[4:5]
	v_not_b32_e32 v5, v5
	v_ashrrev_i32_e32 v5, 31, v5
	v_and_b32_e32 v202, v202, v203
	v_xor_b32_e32 v203, vcc_hi, v5
	v_xor_b32_e32 v5, vcc_lo, v5
	v_and_b32_e32 v57, v57, v5
	v_lshlrev_b32_e32 v5, 27, v56
	v_cmp_gt_i64_e32 vcc, 0, v[4:5]
	v_not_b32_e32 v5, v5
	v_ashrrev_i32_e32 v5, 31, v5
	v_and_b32_e32 v202, v202, v203
	v_xor_b32_e32 v203, vcc_hi, v5
	v_xor_b32_e32 v5, vcc_lo, v5
	v_and_b32_e32 v57, v57, v5
	v_lshlrev_b32_e32 v5, 26, v56
	v_cmp_gt_i64_e32 vcc, 0, v[4:5]
	v_not_b32_e32 v5, v5
	v_ashrrev_i32_e32 v5, 31, v5
	v_and_b32_e32 v202, v202, v203
	v_xor_b32_e32 v203, vcc_hi, v5
	v_xor_b32_e32 v5, vcc_lo, v5
	v_and_b32_e32 v202, v202, v203
	v_and_b32_e32 v203, v57, v5
	v_lshlrev_b32_e32 v5, 25, v56
	v_cmp_gt_i64_e32 vcc, 0, v[4:5]
	v_not_b32_e32 v5, v5
	v_ashrrev_i32_e32 v5, 31, v5
	v_xor_b32_e32 v56, vcc_hi, v5
	v_xor_b32_e32 v5, vcc_lo, v5
	v_and_b32_e32 v57, v202, v56
	v_and_b32_e32 v56, v203, v5
	v_mbcnt_lo_u32_b32 v5, v56, 0
	v_mbcnt_hi_u32_b32 v202, v57, v5
	v_cmp_eq_u32_e32 vcc, 0, v202
	v_cmp_ne_u64_e64 s[40:41], 0, v[56:57]
	s_and_b64 s[42:43], s[40:41], vcc
	; wave barrier
	s_and_saveexec_b64 s[40:41], s[42:43]
	s_cbranch_execz .LBB1016_472
; %bb.471:                              ;   in Loop: Header=BB1016_414 Depth=2
	v_bcnt_u32_b32 v5, v56, 0
	v_bcnt_u32_b32 v5, v57, v5
	s_waitcnt lgkmcnt(0)
	v_add_u32_e32 v5, v200, v5
	ds_write_b32 v201, v5
.LBB1016_472:                           ;   in Loop: Header=BB1016_414 Depth=2
	s_or_b64 exec, exec, s[40:41]
	s_waitcnt vmcnt(5)
	v_xor_b32_e32 v184, 0xffff8000, v184
	v_lshrrev_b32_sdwa v5, s99, v184 dst_sel:DWORD dst_unused:UNUSED_PAD src0_sel:DWORD src1_sel:WORD_0
	v_and_b32_e32 v56, s6, v5
	v_mul_u32_u24_e32 v5, 5, v56
	v_add_lshl_u32 v5, v5, v153, 2
	; wave barrier
	v_add_u32_e32 v205, 0x210, v5
	ds_read_b32 v203, v5 offset:528
	v_and_b32_e32 v5, 1, v56
	v_add_co_u32_e32 v57, vcc, -1, v5
	v_addc_co_u32_e64 v204, s[40:41], 0, -1, vcc
	v_cmp_ne_u32_e32 vcc, 0, v5
	v_xor_b32_e32 v5, vcc_hi, v204
	v_and_b32_e32 v204, exec_hi, v5
	v_lshlrev_b32_e32 v5, 30, v56
	v_xor_b32_e32 v57, vcc_lo, v57
	v_cmp_gt_i64_e32 vcc, 0, v[4:5]
	v_not_b32_e32 v5, v5
	v_ashrrev_i32_e32 v5, 31, v5
	v_and_b32_e32 v57, exec_lo, v57
	v_xor_b32_e32 v206, vcc_hi, v5
	v_xor_b32_e32 v5, vcc_lo, v5
	v_and_b32_e32 v57, v57, v5
	v_lshlrev_b32_e32 v5, 29, v56
	v_cmp_gt_i64_e32 vcc, 0, v[4:5]
	v_not_b32_e32 v5, v5
	v_ashrrev_i32_e32 v5, 31, v5
	v_and_b32_e32 v204, v204, v206
	v_xor_b32_e32 v206, vcc_hi, v5
	v_xor_b32_e32 v5, vcc_lo, v5
	v_and_b32_e32 v57, v57, v5
	v_lshlrev_b32_e32 v5, 28, v56
	v_cmp_gt_i64_e32 vcc, 0, v[4:5]
	v_not_b32_e32 v5, v5
	v_ashrrev_i32_e32 v5, 31, v5
	v_and_b32_e32 v204, v204, v206
	;; [unrolled: 8-line block ×4, first 2 shown]
	v_xor_b32_e32 v206, vcc_hi, v5
	v_xor_b32_e32 v5, vcc_lo, v5
	v_and_b32_e32 v204, v204, v206
	v_and_b32_e32 v206, v57, v5
	v_lshlrev_b32_e32 v5, 25, v56
	v_cmp_gt_i64_e32 vcc, 0, v[4:5]
	v_not_b32_e32 v5, v5
	v_ashrrev_i32_e32 v5, 31, v5
	v_xor_b32_e32 v56, vcc_hi, v5
	v_xor_b32_e32 v5, vcc_lo, v5
	v_and_b32_e32 v57, v204, v56
	v_and_b32_e32 v56, v206, v5
	v_mbcnt_lo_u32_b32 v5, v56, 0
	v_mbcnt_hi_u32_b32 v206, v57, v5
	v_cmp_eq_u32_e32 vcc, 0, v206
	v_cmp_ne_u64_e64 s[40:41], 0, v[56:57]
	s_and_b64 s[42:43], s[40:41], vcc
	; wave barrier
	s_and_saveexec_b64 s[40:41], s[42:43]
	s_cbranch_execz .LBB1016_474
; %bb.473:                              ;   in Loop: Header=BB1016_414 Depth=2
	v_bcnt_u32_b32 v5, v56, 0
	v_bcnt_u32_b32 v5, v57, v5
	s_waitcnt lgkmcnt(0)
	v_add_u32_e32 v5, v203, v5
	ds_write_b32 v205, v5
.LBB1016_474:                           ;   in Loop: Header=BB1016_414 Depth=2
	s_or_b64 exec, exec, s[40:41]
	s_waitcnt vmcnt(4)
	v_xor_b32_e32 v204, 0xffff8000, v179
	v_lshrrev_b32_sdwa v5, s99, v204 dst_sel:DWORD dst_unused:UNUSED_PAD src0_sel:DWORD src1_sel:WORD_0
	v_and_b32_e32 v56, s6, v5
	v_mul_u32_u24_e32 v5, 5, v56
	v_add_lshl_u32 v5, v5, v153, 2
	; wave barrier
	v_add_u32_e32 v179, 0x210, v5
	ds_read_b32 v207, v5 offset:528
	v_and_b32_e32 v5, 1, v56
	v_add_co_u32_e32 v57, vcc, -1, v5
	v_addc_co_u32_e64 v208, s[40:41], 0, -1, vcc
	v_cmp_ne_u32_e32 vcc, 0, v5
	v_xor_b32_e32 v5, vcc_hi, v208
	v_and_b32_e32 v208, exec_hi, v5
	v_lshlrev_b32_e32 v5, 30, v56
	v_xor_b32_e32 v57, vcc_lo, v57
	v_cmp_gt_i64_e32 vcc, 0, v[4:5]
	v_not_b32_e32 v5, v5
	v_ashrrev_i32_e32 v5, 31, v5
	v_and_b32_e32 v57, exec_lo, v57
	v_xor_b32_e32 v209, vcc_hi, v5
	v_xor_b32_e32 v5, vcc_lo, v5
	v_and_b32_e32 v57, v57, v5
	v_lshlrev_b32_e32 v5, 29, v56
	v_cmp_gt_i64_e32 vcc, 0, v[4:5]
	v_not_b32_e32 v5, v5
	v_ashrrev_i32_e32 v5, 31, v5
	v_and_b32_e32 v208, v208, v209
	v_xor_b32_e32 v209, vcc_hi, v5
	v_xor_b32_e32 v5, vcc_lo, v5
	v_and_b32_e32 v57, v57, v5
	v_lshlrev_b32_e32 v5, 28, v56
	v_cmp_gt_i64_e32 vcc, 0, v[4:5]
	v_not_b32_e32 v5, v5
	v_ashrrev_i32_e32 v5, 31, v5
	v_and_b32_e32 v208, v208, v209
	;; [unrolled: 8-line block ×4, first 2 shown]
	v_xor_b32_e32 v209, vcc_hi, v5
	v_xor_b32_e32 v5, vcc_lo, v5
	v_and_b32_e32 v208, v208, v209
	v_and_b32_e32 v209, v57, v5
	v_lshlrev_b32_e32 v5, 25, v56
	v_cmp_gt_i64_e32 vcc, 0, v[4:5]
	v_not_b32_e32 v5, v5
	v_ashrrev_i32_e32 v5, 31, v5
	v_xor_b32_e32 v56, vcc_hi, v5
	v_xor_b32_e32 v5, vcc_lo, v5
	v_and_b32_e32 v57, v208, v56
	v_and_b32_e32 v56, v209, v5
	v_mbcnt_lo_u32_b32 v5, v56, 0
	v_mbcnt_hi_u32_b32 v209, v57, v5
	v_cmp_eq_u32_e32 vcc, 0, v209
	v_cmp_ne_u64_e64 s[40:41], 0, v[56:57]
	s_and_b64 s[42:43], s[40:41], vcc
	; wave barrier
	s_and_saveexec_b64 s[40:41], s[42:43]
	s_cbranch_execz .LBB1016_476
; %bb.475:                              ;   in Loop: Header=BB1016_414 Depth=2
	v_bcnt_u32_b32 v5, v56, 0
	v_bcnt_u32_b32 v5, v57, v5
	s_waitcnt lgkmcnt(0)
	v_add_u32_e32 v5, v207, v5
	ds_write_b32 v179, v5
.LBB1016_476:                           ;   in Loop: Header=BB1016_414 Depth=2
	s_or_b64 exec, exec, s[40:41]
	s_waitcnt vmcnt(3)
	v_xor_b32_e32 v208, 0xffff8000, v174
	v_lshrrev_b32_sdwa v5, s99, v208 dst_sel:DWORD dst_unused:UNUSED_PAD src0_sel:DWORD src1_sel:WORD_0
	v_and_b32_e32 v56, s6, v5
	v_mul_u32_u24_e32 v5, 5, v56
	v_add_lshl_u32 v5, v5, v153, 2
	; wave barrier
	v_add_u32_e32 v174, 0x210, v5
	ds_read_b32 v210, v5 offset:528
	v_and_b32_e32 v5, 1, v56
	v_add_co_u32_e32 v57, vcc, -1, v5
	v_addc_co_u32_e64 v211, s[40:41], 0, -1, vcc
	v_cmp_ne_u32_e32 vcc, 0, v5
	v_xor_b32_e32 v5, vcc_hi, v211
	v_and_b32_e32 v211, exec_hi, v5
	v_lshlrev_b32_e32 v5, 30, v56
	v_xor_b32_e32 v57, vcc_lo, v57
	v_cmp_gt_i64_e32 vcc, 0, v[4:5]
	v_not_b32_e32 v5, v5
	v_ashrrev_i32_e32 v5, 31, v5
	v_and_b32_e32 v57, exec_lo, v57
	v_xor_b32_e32 v212, vcc_hi, v5
	v_xor_b32_e32 v5, vcc_lo, v5
	v_and_b32_e32 v57, v57, v5
	v_lshlrev_b32_e32 v5, 29, v56
	v_cmp_gt_i64_e32 vcc, 0, v[4:5]
	v_not_b32_e32 v5, v5
	v_ashrrev_i32_e32 v5, 31, v5
	v_and_b32_e32 v211, v211, v212
	v_xor_b32_e32 v212, vcc_hi, v5
	v_xor_b32_e32 v5, vcc_lo, v5
	v_and_b32_e32 v57, v57, v5
	v_lshlrev_b32_e32 v5, 28, v56
	v_cmp_gt_i64_e32 vcc, 0, v[4:5]
	v_not_b32_e32 v5, v5
	v_ashrrev_i32_e32 v5, 31, v5
	v_and_b32_e32 v211, v211, v212
	v_xor_b32_e32 v212, vcc_hi, v5
	v_xor_b32_e32 v5, vcc_lo, v5
	v_and_b32_e32 v57, v57, v5
	v_lshlrev_b32_e32 v5, 27, v56
	v_cmp_gt_i64_e32 vcc, 0, v[4:5]
	v_not_b32_e32 v5, v5
	v_ashrrev_i32_e32 v5, 31, v5
	v_and_b32_e32 v211, v211, v212
	v_xor_b32_e32 v212, vcc_hi, v5
	v_xor_b32_e32 v5, vcc_lo, v5
	v_and_b32_e32 v57, v57, v5
	v_lshlrev_b32_e32 v5, 26, v56
	v_cmp_gt_i64_e32 vcc, 0, v[4:5]
	v_not_b32_e32 v5, v5
	v_ashrrev_i32_e32 v5, 31, v5
	v_and_b32_e32 v211, v211, v212
	v_xor_b32_e32 v212, vcc_hi, v5
	v_xor_b32_e32 v5, vcc_lo, v5
	v_and_b32_e32 v211, v211, v212
	v_and_b32_e32 v212, v57, v5
	v_lshlrev_b32_e32 v5, 25, v56
	v_cmp_gt_i64_e32 vcc, 0, v[4:5]
	v_not_b32_e32 v5, v5
	v_ashrrev_i32_e32 v5, 31, v5
	v_xor_b32_e32 v56, vcc_hi, v5
	v_xor_b32_e32 v5, vcc_lo, v5
	v_and_b32_e32 v57, v211, v56
	v_and_b32_e32 v56, v212, v5
	v_mbcnt_lo_u32_b32 v5, v56, 0
	v_mbcnt_hi_u32_b32 v212, v57, v5
	v_cmp_eq_u32_e32 vcc, 0, v212
	v_cmp_ne_u64_e64 s[40:41], 0, v[56:57]
	s_and_b64 s[42:43], s[40:41], vcc
	; wave barrier
	s_and_saveexec_b64 s[40:41], s[42:43]
	s_cbranch_execz .LBB1016_478
; %bb.477:                              ;   in Loop: Header=BB1016_414 Depth=2
	v_bcnt_u32_b32 v5, v56, 0
	v_bcnt_u32_b32 v5, v57, v5
	s_waitcnt lgkmcnt(0)
	v_add_u32_e32 v5, v210, v5
	ds_write_b32 v174, v5
.LBB1016_478:                           ;   in Loop: Header=BB1016_414 Depth=2
	s_or_b64 exec, exec, s[40:41]
	s_waitcnt vmcnt(2)
	v_xor_b32_e32 v211, 0xffff8000, v169
	v_lshrrev_b32_sdwa v5, s99, v211 dst_sel:DWORD dst_unused:UNUSED_PAD src0_sel:DWORD src1_sel:WORD_0
	v_and_b32_e32 v56, s6, v5
	v_mul_u32_u24_e32 v5, 5, v56
	v_add_lshl_u32 v5, v5, v153, 2
	; wave barrier
	v_add_u32_e32 v169, 0x210, v5
	ds_read_b32 v213, v5 offset:528
	v_and_b32_e32 v5, 1, v56
	v_add_co_u32_e32 v57, vcc, -1, v5
	v_addc_co_u32_e64 v214, s[40:41], 0, -1, vcc
	v_cmp_ne_u32_e32 vcc, 0, v5
	v_xor_b32_e32 v5, vcc_hi, v214
	v_and_b32_e32 v214, exec_hi, v5
	v_lshlrev_b32_e32 v5, 30, v56
	v_xor_b32_e32 v57, vcc_lo, v57
	v_cmp_gt_i64_e32 vcc, 0, v[4:5]
	v_not_b32_e32 v5, v5
	v_ashrrev_i32_e32 v5, 31, v5
	v_and_b32_e32 v57, exec_lo, v57
	v_xor_b32_e32 v215, vcc_hi, v5
	v_xor_b32_e32 v5, vcc_lo, v5
	v_and_b32_e32 v57, v57, v5
	v_lshlrev_b32_e32 v5, 29, v56
	v_cmp_gt_i64_e32 vcc, 0, v[4:5]
	v_not_b32_e32 v5, v5
	v_ashrrev_i32_e32 v5, 31, v5
	v_and_b32_e32 v214, v214, v215
	v_xor_b32_e32 v215, vcc_hi, v5
	v_xor_b32_e32 v5, vcc_lo, v5
	v_and_b32_e32 v57, v57, v5
	v_lshlrev_b32_e32 v5, 28, v56
	v_cmp_gt_i64_e32 vcc, 0, v[4:5]
	v_not_b32_e32 v5, v5
	v_ashrrev_i32_e32 v5, 31, v5
	v_and_b32_e32 v214, v214, v215
	;; [unrolled: 8-line block ×4, first 2 shown]
	v_xor_b32_e32 v215, vcc_hi, v5
	v_xor_b32_e32 v5, vcc_lo, v5
	v_and_b32_e32 v214, v214, v215
	v_and_b32_e32 v215, v57, v5
	v_lshlrev_b32_e32 v5, 25, v56
	v_cmp_gt_i64_e32 vcc, 0, v[4:5]
	v_not_b32_e32 v5, v5
	v_ashrrev_i32_e32 v5, 31, v5
	v_xor_b32_e32 v56, vcc_hi, v5
	v_xor_b32_e32 v5, vcc_lo, v5
	v_and_b32_e32 v57, v214, v56
	v_and_b32_e32 v56, v215, v5
	v_mbcnt_lo_u32_b32 v5, v56, 0
	v_mbcnt_hi_u32_b32 v215, v57, v5
	v_cmp_eq_u32_e32 vcc, 0, v215
	v_cmp_ne_u64_e64 s[40:41], 0, v[56:57]
	s_and_b64 s[42:43], s[40:41], vcc
	; wave barrier
	s_and_saveexec_b64 s[40:41], s[42:43]
	s_cbranch_execz .LBB1016_480
; %bb.479:                              ;   in Loop: Header=BB1016_414 Depth=2
	v_bcnt_u32_b32 v5, v56, 0
	v_bcnt_u32_b32 v5, v57, v5
	s_waitcnt lgkmcnt(0)
	v_add_u32_e32 v5, v213, v5
	ds_write_b32 v169, v5
.LBB1016_480:                           ;   in Loop: Header=BB1016_414 Depth=2
	s_or_b64 exec, exec, s[40:41]
	s_waitcnt vmcnt(0)
	v_xor_b32_e32 v214, 0xffff8000, v164
	v_lshrrev_b32_sdwa v5, s99, v214 dst_sel:DWORD dst_unused:UNUSED_PAD src0_sel:DWORD src1_sel:WORD_0
	v_and_b32_e32 v56, s6, v5
	v_mul_u32_u24_e32 v5, 5, v56
	v_add_lshl_u32 v5, v5, v153, 2
	; wave barrier
	v_add_u32_e32 v164, 0x210, v5
	ds_read_b32 v216, v5 offset:528
	v_and_b32_e32 v5, 1, v56
	v_add_co_u32_e32 v57, vcc, -1, v5
	v_addc_co_u32_e64 v217, s[40:41], 0, -1, vcc
	v_cmp_ne_u32_e32 vcc, 0, v5
	v_xor_b32_e32 v5, vcc_hi, v217
	v_and_b32_e32 v217, exec_hi, v5
	v_lshlrev_b32_e32 v5, 30, v56
	v_xor_b32_e32 v57, vcc_lo, v57
	v_cmp_gt_i64_e32 vcc, 0, v[4:5]
	v_not_b32_e32 v5, v5
	v_ashrrev_i32_e32 v5, 31, v5
	v_and_b32_e32 v57, exec_lo, v57
	v_xor_b32_e32 v218, vcc_hi, v5
	v_xor_b32_e32 v5, vcc_lo, v5
	v_and_b32_e32 v57, v57, v5
	v_lshlrev_b32_e32 v5, 29, v56
	v_cmp_gt_i64_e32 vcc, 0, v[4:5]
	v_not_b32_e32 v5, v5
	v_ashrrev_i32_e32 v5, 31, v5
	v_and_b32_e32 v217, v217, v218
	v_xor_b32_e32 v218, vcc_hi, v5
	v_xor_b32_e32 v5, vcc_lo, v5
	v_and_b32_e32 v57, v57, v5
	v_lshlrev_b32_e32 v5, 28, v56
	v_cmp_gt_i64_e32 vcc, 0, v[4:5]
	v_not_b32_e32 v5, v5
	v_ashrrev_i32_e32 v5, 31, v5
	v_and_b32_e32 v217, v217, v218
	;; [unrolled: 8-line block ×4, first 2 shown]
	v_xor_b32_e32 v218, vcc_hi, v5
	v_xor_b32_e32 v5, vcc_lo, v5
	v_and_b32_e32 v217, v217, v218
	v_and_b32_e32 v218, v57, v5
	v_lshlrev_b32_e32 v5, 25, v56
	v_cmp_gt_i64_e32 vcc, 0, v[4:5]
	v_not_b32_e32 v5, v5
	v_ashrrev_i32_e32 v5, 31, v5
	v_xor_b32_e32 v56, vcc_hi, v5
	v_xor_b32_e32 v5, vcc_lo, v5
	v_and_b32_e32 v57, v217, v56
	v_and_b32_e32 v56, v218, v5
	v_mbcnt_lo_u32_b32 v5, v56, 0
	v_mbcnt_hi_u32_b32 v218, v57, v5
	v_cmp_eq_u32_e32 vcc, 0, v218
	v_cmp_ne_u64_e64 s[40:41], 0, v[56:57]
	s_and_b64 s[42:43], s[40:41], vcc
	; wave barrier
	s_and_saveexec_b64 s[40:41], s[42:43]
	s_cbranch_execz .LBB1016_482
; %bb.481:                              ;   in Loop: Header=BB1016_414 Depth=2
	v_bcnt_u32_b32 v5, v56, 0
	v_bcnt_u32_b32 v5, v57, v5
	s_waitcnt lgkmcnt(0)
	v_add_u32_e32 v5, v216, v5
	ds_write_b32 v164, v5
.LBB1016_482:                           ;   in Loop: Header=BB1016_414 Depth=2
	s_or_b64 exec, exec, s[40:41]
	v_xor_b32_e32 v217, 0xffff8000, v159
	v_lshrrev_b32_sdwa v5, s99, v217 dst_sel:DWORD dst_unused:UNUSED_PAD src0_sel:DWORD src1_sel:WORD_0
	v_and_b32_e32 v56, s6, v5
	v_mul_u32_u24_e32 v5, 5, v56
	v_add_lshl_u32 v5, v5, v153, 2
	; wave barrier
	v_add_u32_e32 v159, 0x210, v5
	ds_read_b32 v219, v5 offset:528
	v_and_b32_e32 v5, 1, v56
	v_add_co_u32_e32 v57, vcc, -1, v5
	v_addc_co_u32_e64 v220, s[40:41], 0, -1, vcc
	v_cmp_ne_u32_e32 vcc, 0, v5
	v_xor_b32_e32 v5, vcc_hi, v220
	v_and_b32_e32 v220, exec_hi, v5
	v_lshlrev_b32_e32 v5, 30, v56
	v_xor_b32_e32 v57, vcc_lo, v57
	v_cmp_gt_i64_e32 vcc, 0, v[4:5]
	v_not_b32_e32 v5, v5
	v_ashrrev_i32_e32 v5, 31, v5
	v_and_b32_e32 v57, exec_lo, v57
	v_xor_b32_e32 v221, vcc_hi, v5
	v_xor_b32_e32 v5, vcc_lo, v5
	v_and_b32_e32 v57, v57, v5
	v_lshlrev_b32_e32 v5, 29, v56
	v_cmp_gt_i64_e32 vcc, 0, v[4:5]
	v_not_b32_e32 v5, v5
	v_ashrrev_i32_e32 v5, 31, v5
	v_and_b32_e32 v220, v220, v221
	v_xor_b32_e32 v221, vcc_hi, v5
	v_xor_b32_e32 v5, vcc_lo, v5
	v_and_b32_e32 v57, v57, v5
	v_lshlrev_b32_e32 v5, 28, v56
	v_cmp_gt_i64_e32 vcc, 0, v[4:5]
	v_not_b32_e32 v5, v5
	v_ashrrev_i32_e32 v5, 31, v5
	v_and_b32_e32 v220, v220, v221
	;; [unrolled: 8-line block ×4, first 2 shown]
	v_xor_b32_e32 v221, vcc_hi, v5
	v_xor_b32_e32 v5, vcc_lo, v5
	v_and_b32_e32 v220, v220, v221
	v_and_b32_e32 v221, v57, v5
	v_lshlrev_b32_e32 v5, 25, v56
	v_cmp_gt_i64_e32 vcc, 0, v[4:5]
	v_not_b32_e32 v5, v5
	v_ashrrev_i32_e32 v5, 31, v5
	v_xor_b32_e32 v56, vcc_hi, v5
	v_xor_b32_e32 v5, vcc_lo, v5
	v_and_b32_e32 v57, v220, v56
	v_and_b32_e32 v56, v221, v5
	v_mbcnt_lo_u32_b32 v5, v56, 0
	v_mbcnt_hi_u32_b32 v221, v57, v5
	v_cmp_eq_u32_e32 vcc, 0, v221
	v_cmp_ne_u64_e64 s[40:41], 0, v[56:57]
	s_and_b64 s[42:43], s[40:41], vcc
	; wave barrier
	s_and_saveexec_b64 s[40:41], s[42:43]
	s_cbranch_execz .LBB1016_484
; %bb.483:                              ;   in Loop: Header=BB1016_414 Depth=2
	v_bcnt_u32_b32 v5, v56, 0
	v_bcnt_u32_b32 v5, v57, v5
	s_waitcnt lgkmcnt(0)
	v_add_u32_e32 v5, v219, v5
	ds_write_b32 v159, v5
.LBB1016_484:                           ;   in Loop: Header=BB1016_414 Depth=2
	s_or_b64 exec, exec, s[40:41]
	v_xor_b32_e32 v220, 0xffff8000, v166
	v_lshrrev_b32_sdwa v5, s99, v220 dst_sel:DWORD dst_unused:UNUSED_PAD src0_sel:DWORD src1_sel:WORD_0
	v_and_b32_e32 v56, s6, v5
	v_mul_u32_u24_e32 v5, 5, v56
	v_add_lshl_u32 v5, v5, v153, 2
	; wave barrier
	v_add_u32_e32 v166, 0x210, v5
	ds_read_b32 v222, v5 offset:528
	v_and_b32_e32 v5, 1, v56
	v_add_co_u32_e32 v57, vcc, -1, v5
	v_addc_co_u32_e64 v223, s[40:41], 0, -1, vcc
	v_cmp_ne_u32_e32 vcc, 0, v5
	v_xor_b32_e32 v5, vcc_hi, v223
	v_and_b32_e32 v223, exec_hi, v5
	v_lshlrev_b32_e32 v5, 30, v56
	v_xor_b32_e32 v57, vcc_lo, v57
	v_cmp_gt_i64_e32 vcc, 0, v[4:5]
	v_not_b32_e32 v5, v5
	v_ashrrev_i32_e32 v5, 31, v5
	v_and_b32_e32 v57, exec_lo, v57
	v_xor_b32_e32 v224, vcc_hi, v5
	v_xor_b32_e32 v5, vcc_lo, v5
	v_and_b32_e32 v57, v57, v5
	v_lshlrev_b32_e32 v5, 29, v56
	v_cmp_gt_i64_e32 vcc, 0, v[4:5]
	v_not_b32_e32 v5, v5
	v_ashrrev_i32_e32 v5, 31, v5
	v_and_b32_e32 v223, v223, v224
	v_xor_b32_e32 v224, vcc_hi, v5
	v_xor_b32_e32 v5, vcc_lo, v5
	v_and_b32_e32 v57, v57, v5
	v_lshlrev_b32_e32 v5, 28, v56
	v_cmp_gt_i64_e32 vcc, 0, v[4:5]
	v_not_b32_e32 v5, v5
	v_ashrrev_i32_e32 v5, 31, v5
	v_and_b32_e32 v223, v223, v224
	;; [unrolled: 8-line block ×4, first 2 shown]
	v_xor_b32_e32 v224, vcc_hi, v5
	v_xor_b32_e32 v5, vcc_lo, v5
	v_and_b32_e32 v223, v223, v224
	v_and_b32_e32 v224, v57, v5
	v_lshlrev_b32_e32 v5, 25, v56
	v_cmp_gt_i64_e32 vcc, 0, v[4:5]
	v_not_b32_e32 v5, v5
	v_ashrrev_i32_e32 v5, 31, v5
	v_xor_b32_e32 v56, vcc_hi, v5
	v_xor_b32_e32 v5, vcc_lo, v5
	v_and_b32_e32 v57, v223, v56
	v_and_b32_e32 v56, v224, v5
	v_mbcnt_lo_u32_b32 v5, v56, 0
	v_mbcnt_hi_u32_b32 v5, v57, v5
	v_cmp_eq_u32_e32 vcc, 0, v5
	v_cmp_ne_u64_e64 s[40:41], 0, v[56:57]
	s_and_b64 s[42:43], s[40:41], vcc
	; wave barrier
	s_and_saveexec_b64 s[40:41], s[42:43]
	s_cbranch_execz .LBB1016_486
; %bb.485:                              ;   in Loop: Header=BB1016_414 Depth=2
	v_bcnt_u32_b32 v56, v56, 0
	v_bcnt_u32_b32 v56, v57, v56
	s_waitcnt lgkmcnt(0)
	v_add_u32_e32 v56, v222, v56
	ds_write_b32 v166, v56
.LBB1016_486:                           ;   in Loop: Header=BB1016_414 Depth=2
	s_or_b64 exec, exec, s[40:41]
	; wave barrier
	s_waitcnt lgkmcnt(0)
	s_barrier
	ds_read_b32 v223, v58 offset:528
	ds_read2_b32 v[56:57], v67 offset0:1 offset1:2
	s_waitcnt lgkmcnt(0)
	v_add3_u32 v57, v56, v223, v57
	s_nop 1
	v_mov_b32_dpp v224, v57 row_shr:1 row_mask:0xf bank_mask:0xf
	v_cndmask_b32_e64 v224, v224, 0, s[20:21]
	v_add_u32_e32 v57, v224, v57
	s_nop 1
	v_mov_b32_dpp v224, v57 row_shr:2 row_mask:0xf bank_mask:0xf
	v_cndmask_b32_e64 v224, 0, v224, s[22:23]
	v_add_u32_e32 v57, v57, v224
	;; [unrolled: 4-line block ×4, first 2 shown]
	s_nop 1
	v_mov_b32_dpp v224, v57 row_bcast:15 row_mask:0xf bank_mask:0xf
	v_cndmask_b32_e64 v224, v224, 0, s[28:29]
	v_add_u32_e32 v57, v57, v224
	s_nop 1
	v_mov_b32_dpp v224, v57 row_bcast:31 row_mask:0xf bank_mask:0xf
	v_cndmask_b32_e64 v224, 0, v224, s[30:31]
	v_add_u32_e32 v57, v57, v224
	s_and_saveexec_b64 s[40:41], s[12:13]
	s_cbranch_execz .LBB1016_488
; %bb.487:                              ;   in Loop: Header=BB1016_414 Depth=2
	ds_write_b32 v60, v57 offset:512
.LBB1016_488:                           ;   in Loop: Header=BB1016_414 Depth=2
	s_or_b64 exec, exec, s[40:41]
	s_waitcnt lgkmcnt(0)
	s_barrier
	s_and_saveexec_b64 s[40:41], s[14:15]
	s_cbranch_execz .LBB1016_490
; %bb.489:                              ;   in Loop: Header=BB1016_414 Depth=2
	ds_read_b32 v224, v69 offset:512
	s_waitcnt lgkmcnt(0)
	s_nop 0
	v_mov_b32_dpp v225, v224 row_shr:1 row_mask:0xf bank_mask:0xf
	v_cndmask_b32_e64 v225, v225, 0, s[36:37]
	v_add_u32_e32 v224, v225, v224
	s_nop 1
	v_mov_b32_dpp v225, v224 row_shr:2 row_mask:0xf bank_mask:0xf
	v_cndmask_b32_e64 v225, 0, v225, s[38:39]
	v_add_u32_e32 v224, v224, v225
	ds_write_b32 v69, v224 offset:512
.LBB1016_490:                           ;   in Loop: Header=BB1016_414 Depth=2
	s_or_b64 exec, exec, s[40:41]
	v_mov_b32_e32 v224, 0
	s_waitcnt lgkmcnt(0)
	s_barrier
	s_and_saveexec_b64 s[40:41], s[10:11]
	s_cbranch_execz .LBB1016_492
; %bb.491:                              ;   in Loop: Header=BB1016_414 Depth=2
	ds_read_b32 v224, v60 offset:508
.LBB1016_492:                           ;   in Loop: Header=BB1016_414 Depth=2
	s_or_b64 exec, exec, s[40:41]
	s_waitcnt lgkmcnt(0)
	v_add_u32_e32 v57, v224, v57
	ds_bpermute_b32 v57, v129, v57
	s_waitcnt lgkmcnt(0)
	v_cndmask_b32_e64 v57, v57, v224, s[34:35]
	v_cndmask_b32_e64 v57, v57, 0, s[16:17]
	v_add_u32_e32 v223, v57, v223
	v_add_u32_e32 v56, v223, v56
	ds_write_b32 v58, v57 offset:528
	ds_write2_b32 v67, v223, v56 offset0:1 offset1:2
	s_waitcnt lgkmcnt(0)
	s_barrier
	ds_read_b32 v56, v158
	ds_read_b32 v57, v163
	;; [unrolled: 1-line block ×17, first 2 shown]
	s_and_saveexec_b64 s[40:41], s[4:5]
	s_cbranch_execz .LBB1016_496
; %bb.493:                              ;   in Loop: Header=BB1016_414 Depth=2
	ds_read_b32 v154, v70 offset:528
	v_mov_b32_e32 v155, 0x1100
	s_and_saveexec_b64 s[42:43], s[18:19]
	s_cbranch_execz .LBB1016_495
; %bb.494:                              ;   in Loop: Header=BB1016_414 Depth=2
	ds_read_b32 v155, v70 offset:548
.LBB1016_495:                           ;   in Loop: Header=BB1016_414 Depth=2
	s_or_b64 exec, exec, s[42:43]
	s_waitcnt lgkmcnt(0)
	v_sub_u32_e32 v155, v155, v154
.LBB1016_496:                           ;   in Loop: Header=BB1016_414 Depth=2
	s_or_b64 exec, exec, s[40:41]
	s_waitcnt lgkmcnt(0)
	s_barrier
	s_and_saveexec_b64 s[40:41], s[4:5]
	s_cbranch_execz .LBB1016_498
; %bb.497:                              ;   in Loop: Header=BB1016_414 Depth=2
	ds_read_b32 v159, v3
	s_waitcnt lgkmcnt(0)
	v_sub_u32_e32 v159, v159, v154
	ds_write_b32 v3, v159
.LBB1016_498:                           ;   in Loop: Header=BB1016_414 Depth=2
	s_or_b64 exec, exec, s[40:41]
	v_add_u32_e32 v179, v56, v161
	v_add3_u32 v175, v167, v162, v57
	v_lshlrev_b32_e32 v56, 1, v179
	v_add3_u32 v174, v172, v168, v158
	ds_write_b16 v56, v157 offset:512
	v_lshlrev_b32_e32 v56, 1, v175
	v_add3_u32 v173, v177, v173, v163
	ds_write_b16 v56, v160 offset:512
	;; [unrolled: 3-line block ×15, first 2 shown]
	v_lshlrev_b32_e32 v56, 1, v158
	ds_write_b16 v56, v217 offset:512
	v_lshlrev_b32_e32 v56, 1, v5
	v_cmp_lt_u32_e64 s[40:41], v2, v156
	ds_write_b16 v56, v220 offset:512
	s_waitcnt lgkmcnt(0)
	s_barrier
	s_and_saveexec_b64 s[42:43], s[40:41]
	s_cbranch_execz .LBB1016_550
; %bb.499:                              ;   in Loop: Header=BB1016_414 Depth=2
	v_add_u32_e32 v56, v70, v75
	ds_read_u16 v56, v56 offset:512
	v_mov_b32_e32 v160, s81
	s_waitcnt lgkmcnt(0)
	v_lshrrev_b32_sdwa v57, s99, v56 dst_sel:DWORD dst_unused:UNUSED_PAD src0_sel:DWORD src1_sel:WORD_0
	v_and_b32_e32 v57, s6, v57
	v_lshlrev_b32_e32 v57, 2, v57
	ds_read_b32 v157, v57
	v_mov_b32_e32 v57, v4
	v_xor_b32_e32 v165, 0xffff8000, v56
	s_waitcnt lgkmcnt(0)
	v_add_u32_e32 v56, v157, v2
	v_lshlrev_b64 v[56:57], 1, v[56:57]
	v_add_co_u32_e32 v56, vcc, s80, v56
	v_addc_co_u32_e32 v57, vcc, v160, v57, vcc
	global_store_short v[56:57], v165, off
	s_or_b64 exec, exec, s[42:43]
	v_cmp_lt_u32_e64 s[42:43], v7, v156
	s_and_saveexec_b64 s[44:45], s[42:43]
	s_cbranch_execnz .LBB1016_551
.LBB1016_500:                           ;   in Loop: Header=BB1016_414 Depth=2
	s_or_b64 exec, exec, s[44:45]
	v_cmp_lt_u32_e64 s[44:45], v13, v156
	s_and_saveexec_b64 s[46:47], s[44:45]
	s_cbranch_execz .LBB1016_552
.LBB1016_501:                           ;   in Loop: Header=BB1016_414 Depth=2
	ds_read_u16 v56, v76 offset:1024
	v_mov_b32_e32 v160, s81
	s_waitcnt lgkmcnt(0)
	v_lshrrev_b32_sdwa v57, s99, v56 dst_sel:DWORD dst_unused:UNUSED_PAD src0_sel:DWORD src1_sel:WORD_0
	v_and_b32_e32 v57, s6, v57
	v_lshlrev_b32_e32 v57, 2, v57
	ds_read_b32 v157, v57
	v_mov_b32_e32 v57, v4
	v_xor_b32_e32 v165, 0xffff8000, v56
	s_waitcnt lgkmcnt(0)
	v_add_u32_e32 v56, v157, v13
	v_lshlrev_b64 v[56:57], 1, v[56:57]
	v_add_co_u32_e32 v56, vcc, s80, v56
	v_addc_co_u32_e32 v57, vcc, v160, v57, vcc
	global_store_short v[56:57], v165, off
	s_or_b64 exec, exec, s[46:47]
	v_cmp_lt_u32_e64 s[46:47], v15, v156
	s_and_saveexec_b64 s[48:49], s[46:47]
	s_cbranch_execnz .LBB1016_553
.LBB1016_502:                           ;   in Loop: Header=BB1016_414 Depth=2
	s_or_b64 exec, exec, s[48:49]
	v_cmp_lt_u32_e64 s[48:49], v17, v156
	s_and_saveexec_b64 s[50:51], s[48:49]
	s_cbranch_execz .LBB1016_554
.LBB1016_503:                           ;   in Loop: Header=BB1016_414 Depth=2
	ds_read_u16 v56, v76 offset:2048
	v_mov_b32_e32 v160, s81
	s_waitcnt lgkmcnt(0)
	v_lshrrev_b32_sdwa v57, s99, v56 dst_sel:DWORD dst_unused:UNUSED_PAD src0_sel:DWORD src1_sel:WORD_0
	v_and_b32_e32 v57, s6, v57
	v_lshlrev_b32_e32 v57, 2, v57
	ds_read_b32 v157, v57
	v_mov_b32_e32 v57, v4
	v_xor_b32_e32 v165, 0xffff8000, v56
	s_waitcnt lgkmcnt(0)
	v_add_u32_e32 v56, v157, v17
	v_lshlrev_b64 v[56:57], 1, v[56:57]
	v_add_co_u32_e32 v56, vcc, s80, v56
	v_addc_co_u32_e32 v57, vcc, v160, v57, vcc
	global_store_short v[56:57], v165, off
	s_or_b64 exec, exec, s[50:51]
	v_cmp_lt_u32_e64 s[50:51], v19, v156
	s_and_saveexec_b64 s[52:53], s[50:51]
	s_cbranch_execnz .LBB1016_555
.LBB1016_504:                           ;   in Loop: Header=BB1016_414 Depth=2
	s_or_b64 exec, exec, s[52:53]
	v_cmp_lt_u32_e64 s[52:53], v21, v156
	s_and_saveexec_b64 s[54:55], s[52:53]
	s_cbranch_execz .LBB1016_556
.LBB1016_505:                           ;   in Loop: Header=BB1016_414 Depth=2
	ds_read_u16 v56, v76 offset:3072
	v_mov_b32_e32 v160, s81
	s_waitcnt lgkmcnt(0)
	v_lshrrev_b32_sdwa v57, s99, v56 dst_sel:DWORD dst_unused:UNUSED_PAD src0_sel:DWORD src1_sel:WORD_0
	v_and_b32_e32 v57, s6, v57
	v_lshlrev_b32_e32 v57, 2, v57
	ds_read_b32 v157, v57
	v_mov_b32_e32 v57, v4
	v_xor_b32_e32 v165, 0xffff8000, v56
	s_waitcnt lgkmcnt(0)
	v_add_u32_e32 v56, v157, v21
	v_lshlrev_b64 v[56:57], 1, v[56:57]
	v_add_co_u32_e32 v56, vcc, s80, v56
	v_addc_co_u32_e32 v57, vcc, v160, v57, vcc
	global_store_short v[56:57], v165, off
	s_or_b64 exec, exec, s[54:55]
	v_cmp_lt_u32_e64 s[54:55], v23, v156
	s_and_saveexec_b64 s[56:57], s[54:55]
	s_cbranch_execnz .LBB1016_557
.LBB1016_506:                           ;   in Loop: Header=BB1016_414 Depth=2
	s_or_b64 exec, exec, s[56:57]
	v_cmp_lt_u32_e64 s[56:57], v6, v156
	s_and_saveexec_b64 s[58:59], s[56:57]
	s_cbranch_execz .LBB1016_558
.LBB1016_507:                           ;   in Loop: Header=BB1016_414 Depth=2
	ds_read_u16 v56, v76 offset:4096
	v_mov_b32_e32 v160, s81
	s_waitcnt lgkmcnt(0)
	v_lshrrev_b32_sdwa v57, s99, v56 dst_sel:DWORD dst_unused:UNUSED_PAD src0_sel:DWORD src1_sel:WORD_0
	v_and_b32_e32 v57, s6, v57
	v_lshlrev_b32_e32 v57, 2, v57
	ds_read_b32 v157, v57
	v_mov_b32_e32 v57, v4
	v_xor_b32_e32 v165, 0xffff8000, v56
	s_waitcnt lgkmcnt(0)
	v_add_u32_e32 v56, v157, v6
	v_lshlrev_b64 v[56:57], 1, v[56:57]
	v_add_co_u32_e32 v56, vcc, s80, v56
	v_addc_co_u32_e32 v57, vcc, v160, v57, vcc
	global_store_short v[56:57], v165, off
	s_or_b64 exec, exec, s[58:59]
	v_cmp_lt_u32_e64 s[58:59], v8, v156
	s_and_saveexec_b64 s[60:61], s[58:59]
	s_cbranch_execnz .LBB1016_559
.LBB1016_508:                           ;   in Loop: Header=BB1016_414 Depth=2
	s_or_b64 exec, exec, s[60:61]
	v_cmp_lt_u32_e64 s[60:61], v10, v156
	s_and_saveexec_b64 s[62:63], s[60:61]
	s_cbranch_execz .LBB1016_560
.LBB1016_509:                           ;   in Loop: Header=BB1016_414 Depth=2
	ds_read_u16 v56, v76 offset:5120
	v_mov_b32_e32 v160, s81
	s_waitcnt lgkmcnt(0)
	v_lshrrev_b32_sdwa v57, s99, v56 dst_sel:DWORD dst_unused:UNUSED_PAD src0_sel:DWORD src1_sel:WORD_0
	v_and_b32_e32 v57, s6, v57
	v_lshlrev_b32_e32 v57, 2, v57
	ds_read_b32 v157, v57
	v_mov_b32_e32 v57, v4
	v_xor_b32_e32 v165, 0xffff8000, v56
	s_waitcnt lgkmcnt(0)
	v_add_u32_e32 v56, v157, v10
	v_lshlrev_b64 v[56:57], 1, v[56:57]
	v_add_co_u32_e32 v56, vcc, s80, v56
	v_addc_co_u32_e32 v57, vcc, v160, v57, vcc
	global_store_short v[56:57], v165, off
	s_or_b64 exec, exec, s[62:63]
	v_cmp_lt_u32_e64 s[62:63], v12, v156
	s_and_saveexec_b64 s[64:65], s[62:63]
	s_cbranch_execnz .LBB1016_561
.LBB1016_510:                           ;   in Loop: Header=BB1016_414 Depth=2
	s_or_b64 exec, exec, s[64:65]
	v_cmp_lt_u32_e64 s[64:65], v14, v156
	s_and_saveexec_b64 s[66:67], s[64:65]
	s_cbranch_execz .LBB1016_562
.LBB1016_511:                           ;   in Loop: Header=BB1016_414 Depth=2
	ds_read_u16 v56, v76 offset:6144
	v_mov_b32_e32 v160, s81
	s_waitcnt lgkmcnt(0)
	v_lshrrev_b32_sdwa v57, s99, v56 dst_sel:DWORD dst_unused:UNUSED_PAD src0_sel:DWORD src1_sel:WORD_0
	v_and_b32_e32 v57, s6, v57
	v_lshlrev_b32_e32 v57, 2, v57
	ds_read_b32 v157, v57
	v_mov_b32_e32 v57, v4
	v_xor_b32_e32 v165, 0xffff8000, v56
	s_waitcnt lgkmcnt(0)
	v_add_u32_e32 v56, v157, v14
	v_lshlrev_b64 v[56:57], 1, v[56:57]
	v_add_co_u32_e32 v56, vcc, s80, v56
	v_addc_co_u32_e32 v57, vcc, v160, v57, vcc
	global_store_short v[56:57], v165, off
	s_or_b64 exec, exec, s[66:67]
	v_cmp_lt_u32_e64 s[66:67], v16, v156
	s_and_saveexec_b64 s[68:69], s[66:67]
	s_cbranch_execnz .LBB1016_563
.LBB1016_512:                           ;   in Loop: Header=BB1016_414 Depth=2
	s_or_b64 exec, exec, s[68:69]
	v_cmp_lt_u32_e64 s[68:69], v18, v156
	s_and_saveexec_b64 s[70:71], s[68:69]
	s_cbranch_execz .LBB1016_564
.LBB1016_513:                           ;   in Loop: Header=BB1016_414 Depth=2
	ds_read_u16 v56, v76 offset:7168
	v_mov_b32_e32 v160, s81
	s_waitcnt lgkmcnt(0)
	v_lshrrev_b32_sdwa v57, s99, v56 dst_sel:DWORD dst_unused:UNUSED_PAD src0_sel:DWORD src1_sel:WORD_0
	v_and_b32_e32 v57, s6, v57
	v_lshlrev_b32_e32 v57, 2, v57
	ds_read_b32 v157, v57
	v_mov_b32_e32 v57, v4
	v_xor_b32_e32 v165, 0xffff8000, v56
	s_waitcnt lgkmcnt(0)
	v_add_u32_e32 v56, v157, v18
	v_lshlrev_b64 v[56:57], 1, v[56:57]
	v_add_co_u32_e32 v56, vcc, s80, v56
	v_addc_co_u32_e32 v57, vcc, v160, v57, vcc
	global_store_short v[56:57], v165, off
	s_or_b64 exec, exec, s[70:71]
	v_cmp_lt_u32_e64 s[70:71], v20, v156
	s_and_saveexec_b64 s[72:73], s[70:71]
	s_cbranch_execnz .LBB1016_565
.LBB1016_514:                           ;   in Loop: Header=BB1016_414 Depth=2
	s_or_b64 exec, exec, s[72:73]
	v_cmp_lt_u32_e64 s[72:73], v22, v156
	s_and_saveexec_b64 s[82:83], s[72:73]
	s_cbranch_execz .LBB1016_516
.LBB1016_515:                           ;   in Loop: Header=BB1016_414 Depth=2
	ds_read_u16 v56, v76 offset:8192
	v_mov_b32_e32 v160, s81
	s_waitcnt lgkmcnt(0)
	v_lshrrev_b32_sdwa v57, s99, v56 dst_sel:DWORD dst_unused:UNUSED_PAD src0_sel:DWORD src1_sel:WORD_0
	v_and_b32_e32 v57, s6, v57
	v_lshlrev_b32_e32 v57, 2, v57
	ds_read_b32 v157, v57
	v_mov_b32_e32 v57, v4
	v_xor_b32_e32 v165, 0xffff8000, v56
	s_waitcnt lgkmcnt(0)
	v_add_u32_e32 v56, v157, v22
	v_lshlrev_b64 v[56:57], 1, v[56:57]
	v_add_co_u32_e32 v56, vcc, s80, v56
	v_addc_co_u32_e32 v57, vcc, v160, v57, vcc
	global_store_short v[56:57], v165, off
.LBB1016_516:                           ;   in Loop: Header=BB1016_414 Depth=2
	s_or_b64 exec, exec, s[82:83]
	s_lshl_b64 s[82:83], s[94:95], 3
	v_mov_b32_e32 v57, s83
	v_add_co_u32_e32 v56, vcc, s82, v130
	v_addc_co_u32_e32 v57, vcc, v131, v57, vcc
	v_cmp_lt_u32_e32 vcc, v111, v156
	s_and_saveexec_b64 s[82:83], vcc
	s_xor_b64 s[82:83], exec, s[82:83]
	s_cbranch_execz .LBB1016_566
; %bb.517:                              ;   in Loop: Header=BB1016_414 Depth=2
	global_load_dwordx2 v[54:55], v[56:57], off
	s_or_b64 exec, exec, s[82:83]
	v_cmp_lt_u32_e32 vcc, v112, v156
	s_and_saveexec_b64 s[82:83], vcc
	s_cbranch_execnz .LBB1016_567
.LBB1016_518:                           ;   in Loop: Header=BB1016_414 Depth=2
	s_or_b64 exec, exec, s[82:83]
	v_cmp_lt_u32_e32 vcc, v113, v156
	s_and_saveexec_b64 s[82:83], vcc
	s_cbranch_execz .LBB1016_568
.LBB1016_519:                           ;   in Loop: Header=BB1016_414 Depth=2
	global_load_dwordx2 v[50:51], v[56:57], off offset:1024
	s_or_b64 exec, exec, s[82:83]
	v_cmp_lt_u32_e32 vcc, v114, v156
	s_and_saveexec_b64 s[82:83], vcc
	s_cbranch_execnz .LBB1016_569
.LBB1016_520:                           ;   in Loop: Header=BB1016_414 Depth=2
	s_or_b64 exec, exec, s[82:83]
	v_cmp_lt_u32_e32 vcc, v115, v156
	s_and_saveexec_b64 s[82:83], vcc
	s_cbranch_execz .LBB1016_570
.LBB1016_521:                           ;   in Loop: Header=BB1016_414 Depth=2
	global_load_dwordx2 v[42:43], v[56:57], off offset:2048
	s_or_b64 exec, exec, s[82:83]
	v_cmp_lt_u32_e32 vcc, v116, v156
	s_and_saveexec_b64 s[82:83], vcc
	s_cbranch_execnz .LBB1016_571
.LBB1016_522:                           ;   in Loop: Header=BB1016_414 Depth=2
	s_or_b64 exec, exec, s[82:83]
	v_cmp_lt_u32_e32 vcc, v117, v156
	s_and_saveexec_b64 s[82:83], vcc
	s_cbranch_execz .LBB1016_572
.LBB1016_523:                           ;   in Loop: Header=BB1016_414 Depth=2
	global_load_dwordx2 v[34:35], v[56:57], off offset:3072
	s_or_b64 exec, exec, s[82:83]
	v_cmp_lt_u32_e32 vcc, v118, v156
	s_and_saveexec_b64 s[82:83], vcc
	s_cbranch_execnz .LBB1016_573
.LBB1016_524:                           ;   in Loop: Header=BB1016_414 Depth=2
	s_or_b64 exec, exec, s[82:83]
	v_cmp_lt_u32_e32 vcc, v119, v156
	s_and_saveexec_b64 s[82:83], vcc
	s_cbranch_execz .LBB1016_574
.LBB1016_525:                           ;   in Loop: Header=BB1016_414 Depth=2
	v_add_co_u32_e32 v48, vcc, 0x1000, v56
	v_addc_co_u32_e32 v49, vcc, 0, v57, vcc
	global_load_dwordx2 v[48:49], v[48:49], off
	s_or_b64 exec, exec, s[82:83]
	v_cmp_lt_u32_e32 vcc, v120, v156
	s_and_saveexec_b64 s[82:83], vcc
	s_cbranch_execnz .LBB1016_575
.LBB1016_526:                           ;   in Loop: Header=BB1016_414 Depth=2
	s_or_b64 exec, exec, s[82:83]
	v_cmp_lt_u32_e32 vcc, v121, v156
	s_and_saveexec_b64 s[82:83], vcc
	s_cbranch_execz .LBB1016_576
.LBB1016_527:                           ;   in Loop: Header=BB1016_414 Depth=2
	v_add_co_u32_e32 v40, vcc, 0x1000, v56
	v_addc_co_u32_e32 v41, vcc, 0, v57, vcc
	global_load_dwordx2 v[40:41], v[40:41], off offset:1024
	s_or_b64 exec, exec, s[82:83]
	v_cmp_lt_u32_e32 vcc, v122, v156
	s_and_saveexec_b64 s[82:83], vcc
	s_cbranch_execnz .LBB1016_577
.LBB1016_528:                           ;   in Loop: Header=BB1016_414 Depth=2
	s_or_b64 exec, exec, s[82:83]
	v_cmp_lt_u32_e32 vcc, v123, v156
	s_and_saveexec_b64 s[82:83], vcc
	s_cbranch_execz .LBB1016_578
.LBB1016_529:                           ;   in Loop: Header=BB1016_414 Depth=2
	v_add_co_u32_e32 v32, vcc, 0x1000, v56
	v_addc_co_u32_e32 v33, vcc, 0, v57, vcc
	global_load_dwordx2 v[32:33], v[32:33], off offset:2048
	s_or_b64 exec, exec, s[82:83]
	v_cmp_lt_u32_e32 vcc, v124, v156
	s_and_saveexec_b64 s[82:83], vcc
	s_cbranch_execnz .LBB1016_579
.LBB1016_530:                           ;   in Loop: Header=BB1016_414 Depth=2
	s_or_b64 exec, exec, s[82:83]
	v_cmp_lt_u32_e32 vcc, v125, v156
	s_and_saveexec_b64 s[82:83], vcc
	s_cbranch_execz .LBB1016_580
.LBB1016_531:                           ;   in Loop: Header=BB1016_414 Depth=2
	v_add_co_u32_e32 v26, vcc, 0x1000, v56
	v_addc_co_u32_e32 v27, vcc, 0, v57, vcc
	global_load_dwordx2 v[26:27], v[26:27], off offset:3072
	s_or_b64 exec, exec, s[82:83]
	v_cmp_lt_u32_e32 vcc, v126, v156
	s_and_saveexec_b64 s[82:83], vcc
	s_cbranch_execnz .LBB1016_581
.LBB1016_532:                           ;   in Loop: Header=BB1016_414 Depth=2
	s_or_b64 exec, exec, s[82:83]
	v_cmp_lt_u32_e32 vcc, v127, v156
	s_and_saveexec_b64 s[82:83], vcc
	s_cbranch_execz .LBB1016_582
.LBB1016_533:                           ;   in Loop: Header=BB1016_414 Depth=2
	v_add_co_u32_e32 v0, vcc, 0x2000, v56
	v_addc_co_u32_e32 v1, vcc, 0, v57, vcc
	global_load_dwordx2 v[0:1], v[0:1], off
	s_or_b64 exec, exec, s[82:83]
	s_and_saveexec_b64 s[82:83], s[40:41]
	s_cbranch_execnz .LBB1016_583
.LBB1016_534:                           ;   in Loop: Header=BB1016_414 Depth=2
	s_or_b64 exec, exec, s[82:83]
	s_and_saveexec_b64 s[82:83], s[42:43]
	s_cbranch_execz .LBB1016_584
.LBB1016_535:                           ;   in Loop: Header=BB1016_414 Depth=2
	ds_read_u16 v56, v76 offset:512
	s_waitcnt lgkmcnt(0)
	v_lshrrev_b32_e32 v56, s99, v56
	v_and_b32_e32 v150, s6, v56
	s_or_b64 exec, exec, s[82:83]
	s_and_saveexec_b64 s[82:83], s[44:45]
	s_cbranch_execnz .LBB1016_585
.LBB1016_536:                           ;   in Loop: Header=BB1016_414 Depth=2
	s_or_b64 exec, exec, s[82:83]
	s_and_saveexec_b64 s[82:83], s[46:47]
	s_cbranch_execz .LBB1016_586
.LBB1016_537:                           ;   in Loop: Header=BB1016_414 Depth=2
	ds_read_u16 v56, v76 offset:1536
	s_waitcnt lgkmcnt(0)
	v_lshrrev_b32_e32 v56, s99, v56
	v_and_b32_e32 v147, s6, v56
	s_or_b64 exec, exec, s[82:83]
	s_and_saveexec_b64 s[82:83], s[48:49]
	s_cbranch_execnz .LBB1016_587
.LBB1016_538:                           ;   in Loop: Header=BB1016_414 Depth=2
	s_or_b64 exec, exec, s[82:83]
	s_and_saveexec_b64 s[82:83], s[50:51]
	s_cbranch_execz .LBB1016_588
.LBB1016_539:                           ;   in Loop: Header=BB1016_414 Depth=2
	ds_read_u16 v56, v76 offset:2560
	s_waitcnt lgkmcnt(0)
	v_lshrrev_b32_e32 v56, s99, v56
	v_and_b32_e32 v145, s6, v56
	s_or_b64 exec, exec, s[82:83]
	s_and_saveexec_b64 s[82:83], s[52:53]
	s_cbranch_execnz .LBB1016_589
.LBB1016_540:                           ;   in Loop: Header=BB1016_414 Depth=2
	s_or_b64 exec, exec, s[82:83]
	s_and_saveexec_b64 s[82:83], s[54:55]
	s_cbranch_execz .LBB1016_590
.LBB1016_541:                           ;   in Loop: Header=BB1016_414 Depth=2
	ds_read_u16 v56, v76 offset:3584
	s_waitcnt lgkmcnt(0)
	v_lshrrev_b32_e32 v56, s99, v56
	v_and_b32_e32 v143, s6, v56
	s_or_b64 exec, exec, s[82:83]
	s_and_saveexec_b64 s[82:83], s[56:57]
	s_cbranch_execnz .LBB1016_591
.LBB1016_542:                           ;   in Loop: Header=BB1016_414 Depth=2
	s_or_b64 exec, exec, s[82:83]
	s_and_saveexec_b64 s[82:83], s[58:59]
	s_cbranch_execz .LBB1016_592
.LBB1016_543:                           ;   in Loop: Header=BB1016_414 Depth=2
	ds_read_u16 v56, v76 offset:4608
	s_waitcnt lgkmcnt(0)
	v_lshrrev_b32_e32 v56, s99, v56
	v_and_b32_e32 v141, s6, v56
	s_or_b64 exec, exec, s[82:83]
	s_and_saveexec_b64 s[82:83], s[60:61]
	s_cbranch_execnz .LBB1016_593
.LBB1016_544:                           ;   in Loop: Header=BB1016_414 Depth=2
	s_or_b64 exec, exec, s[82:83]
	s_and_saveexec_b64 s[82:83], s[62:63]
	s_cbranch_execz .LBB1016_594
.LBB1016_545:                           ;   in Loop: Header=BB1016_414 Depth=2
	ds_read_u16 v56, v76 offset:5632
	s_waitcnt lgkmcnt(0)
	v_lshrrev_b32_e32 v56, s99, v56
	v_and_b32_e32 v139, s6, v56
	s_or_b64 exec, exec, s[82:83]
	s_and_saveexec_b64 s[82:83], s[64:65]
	s_cbranch_execnz .LBB1016_595
.LBB1016_546:                           ;   in Loop: Header=BB1016_414 Depth=2
	s_or_b64 exec, exec, s[82:83]
	s_and_saveexec_b64 s[82:83], s[66:67]
	s_cbranch_execz .LBB1016_596
.LBB1016_547:                           ;   in Loop: Header=BB1016_414 Depth=2
	ds_read_u16 v56, v76 offset:6656
	s_waitcnt lgkmcnt(0)
	v_lshrrev_b32_e32 v56, s99, v56
	v_and_b32_e32 v137, s6, v56
	s_or_b64 exec, exec, s[82:83]
	s_and_saveexec_b64 s[82:83], s[68:69]
	s_cbranch_execnz .LBB1016_597
.LBB1016_548:                           ;   in Loop: Header=BB1016_414 Depth=2
	s_or_b64 exec, exec, s[82:83]
	s_and_saveexec_b64 s[82:83], s[70:71]
	s_cbranch_execz .LBB1016_598
.LBB1016_549:                           ;   in Loop: Header=BB1016_414 Depth=2
	ds_read_u16 v56, v76 offset:7680
	s_waitcnt lgkmcnt(0)
	v_lshrrev_b32_e32 v56, s99, v56
	v_and_b32_e32 v135, s6, v56
	s_or_b64 exec, exec, s[82:83]
	s_and_saveexec_b64 s[82:83], s[72:73]
	s_cbranch_execnz .LBB1016_599
	s_branch .LBB1016_600
.LBB1016_550:                           ;   in Loop: Header=BB1016_414 Depth=2
	s_or_b64 exec, exec, s[42:43]
	v_cmp_lt_u32_e64 s[42:43], v7, v156
	s_and_saveexec_b64 s[44:45], s[42:43]
	s_cbranch_execz .LBB1016_500
.LBB1016_551:                           ;   in Loop: Header=BB1016_414 Depth=2
	ds_read_u16 v56, v76 offset:512
	v_mov_b32_e32 v160, s81
	s_waitcnt lgkmcnt(0)
	v_lshrrev_b32_sdwa v57, s99, v56 dst_sel:DWORD dst_unused:UNUSED_PAD src0_sel:DWORD src1_sel:WORD_0
	v_and_b32_e32 v57, s6, v57
	v_lshlrev_b32_e32 v57, 2, v57
	ds_read_b32 v157, v57
	v_mov_b32_e32 v57, v4
	v_xor_b32_e32 v165, 0xffff8000, v56
	s_waitcnt lgkmcnt(0)
	v_add_u32_e32 v56, v157, v7
	v_lshlrev_b64 v[56:57], 1, v[56:57]
	v_add_co_u32_e32 v56, vcc, s80, v56
	v_addc_co_u32_e32 v57, vcc, v160, v57, vcc
	global_store_short v[56:57], v165, off
	s_or_b64 exec, exec, s[44:45]
	v_cmp_lt_u32_e64 s[44:45], v13, v156
	s_and_saveexec_b64 s[46:47], s[44:45]
	s_cbranch_execnz .LBB1016_501
.LBB1016_552:                           ;   in Loop: Header=BB1016_414 Depth=2
	s_or_b64 exec, exec, s[46:47]
	v_cmp_lt_u32_e64 s[46:47], v15, v156
	s_and_saveexec_b64 s[48:49], s[46:47]
	s_cbranch_execz .LBB1016_502
.LBB1016_553:                           ;   in Loop: Header=BB1016_414 Depth=2
	ds_read_u16 v56, v76 offset:1536
	v_mov_b32_e32 v160, s81
	s_waitcnt lgkmcnt(0)
	v_lshrrev_b32_sdwa v57, s99, v56 dst_sel:DWORD dst_unused:UNUSED_PAD src0_sel:DWORD src1_sel:WORD_0
	v_and_b32_e32 v57, s6, v57
	v_lshlrev_b32_e32 v57, 2, v57
	ds_read_b32 v157, v57
	v_mov_b32_e32 v57, v4
	v_xor_b32_e32 v165, 0xffff8000, v56
	s_waitcnt lgkmcnt(0)
	v_add_u32_e32 v56, v157, v15
	v_lshlrev_b64 v[56:57], 1, v[56:57]
	v_add_co_u32_e32 v56, vcc, s80, v56
	v_addc_co_u32_e32 v57, vcc, v160, v57, vcc
	global_store_short v[56:57], v165, off
	s_or_b64 exec, exec, s[48:49]
	v_cmp_lt_u32_e64 s[48:49], v17, v156
	s_and_saveexec_b64 s[50:51], s[48:49]
	s_cbranch_execnz .LBB1016_503
.LBB1016_554:                           ;   in Loop: Header=BB1016_414 Depth=2
	s_or_b64 exec, exec, s[50:51]
	v_cmp_lt_u32_e64 s[50:51], v19, v156
	s_and_saveexec_b64 s[52:53], s[50:51]
	s_cbranch_execz .LBB1016_504
.LBB1016_555:                           ;   in Loop: Header=BB1016_414 Depth=2
	ds_read_u16 v56, v76 offset:2560
	v_mov_b32_e32 v160, s81
	s_waitcnt lgkmcnt(0)
	v_lshrrev_b32_sdwa v57, s99, v56 dst_sel:DWORD dst_unused:UNUSED_PAD src0_sel:DWORD src1_sel:WORD_0
	v_and_b32_e32 v57, s6, v57
	v_lshlrev_b32_e32 v57, 2, v57
	ds_read_b32 v157, v57
	v_mov_b32_e32 v57, v4
	v_xor_b32_e32 v165, 0xffff8000, v56
	s_waitcnt lgkmcnt(0)
	v_add_u32_e32 v56, v157, v19
	v_lshlrev_b64 v[56:57], 1, v[56:57]
	v_add_co_u32_e32 v56, vcc, s80, v56
	v_addc_co_u32_e32 v57, vcc, v160, v57, vcc
	global_store_short v[56:57], v165, off
	s_or_b64 exec, exec, s[52:53]
	v_cmp_lt_u32_e64 s[52:53], v21, v156
	s_and_saveexec_b64 s[54:55], s[52:53]
	s_cbranch_execnz .LBB1016_505
.LBB1016_556:                           ;   in Loop: Header=BB1016_414 Depth=2
	s_or_b64 exec, exec, s[54:55]
	v_cmp_lt_u32_e64 s[54:55], v23, v156
	s_and_saveexec_b64 s[56:57], s[54:55]
	s_cbranch_execz .LBB1016_506
.LBB1016_557:                           ;   in Loop: Header=BB1016_414 Depth=2
	ds_read_u16 v56, v76 offset:3584
	v_mov_b32_e32 v160, s81
	s_waitcnt lgkmcnt(0)
	v_lshrrev_b32_sdwa v57, s99, v56 dst_sel:DWORD dst_unused:UNUSED_PAD src0_sel:DWORD src1_sel:WORD_0
	v_and_b32_e32 v57, s6, v57
	v_lshlrev_b32_e32 v57, 2, v57
	ds_read_b32 v157, v57
	v_mov_b32_e32 v57, v4
	v_xor_b32_e32 v165, 0xffff8000, v56
	s_waitcnt lgkmcnt(0)
	v_add_u32_e32 v56, v157, v23
	v_lshlrev_b64 v[56:57], 1, v[56:57]
	v_add_co_u32_e32 v56, vcc, s80, v56
	v_addc_co_u32_e32 v57, vcc, v160, v57, vcc
	global_store_short v[56:57], v165, off
	s_or_b64 exec, exec, s[56:57]
	v_cmp_lt_u32_e64 s[56:57], v6, v156
	s_and_saveexec_b64 s[58:59], s[56:57]
	s_cbranch_execnz .LBB1016_507
.LBB1016_558:                           ;   in Loop: Header=BB1016_414 Depth=2
	s_or_b64 exec, exec, s[58:59]
	v_cmp_lt_u32_e64 s[58:59], v8, v156
	s_and_saveexec_b64 s[60:61], s[58:59]
	s_cbranch_execz .LBB1016_508
.LBB1016_559:                           ;   in Loop: Header=BB1016_414 Depth=2
	ds_read_u16 v56, v76 offset:4608
	v_mov_b32_e32 v160, s81
	s_waitcnt lgkmcnt(0)
	v_lshrrev_b32_sdwa v57, s99, v56 dst_sel:DWORD dst_unused:UNUSED_PAD src0_sel:DWORD src1_sel:WORD_0
	v_and_b32_e32 v57, s6, v57
	v_lshlrev_b32_e32 v57, 2, v57
	ds_read_b32 v157, v57
	v_mov_b32_e32 v57, v4
	v_xor_b32_e32 v165, 0xffff8000, v56
	s_waitcnt lgkmcnt(0)
	v_add_u32_e32 v56, v157, v8
	v_lshlrev_b64 v[56:57], 1, v[56:57]
	v_add_co_u32_e32 v56, vcc, s80, v56
	v_addc_co_u32_e32 v57, vcc, v160, v57, vcc
	global_store_short v[56:57], v165, off
	s_or_b64 exec, exec, s[60:61]
	v_cmp_lt_u32_e64 s[60:61], v10, v156
	s_and_saveexec_b64 s[62:63], s[60:61]
	s_cbranch_execnz .LBB1016_509
.LBB1016_560:                           ;   in Loop: Header=BB1016_414 Depth=2
	s_or_b64 exec, exec, s[62:63]
	v_cmp_lt_u32_e64 s[62:63], v12, v156
	s_and_saveexec_b64 s[64:65], s[62:63]
	s_cbranch_execz .LBB1016_510
.LBB1016_561:                           ;   in Loop: Header=BB1016_414 Depth=2
	ds_read_u16 v56, v76 offset:5632
	v_mov_b32_e32 v160, s81
	s_waitcnt lgkmcnt(0)
	v_lshrrev_b32_sdwa v57, s99, v56 dst_sel:DWORD dst_unused:UNUSED_PAD src0_sel:DWORD src1_sel:WORD_0
	v_and_b32_e32 v57, s6, v57
	v_lshlrev_b32_e32 v57, 2, v57
	ds_read_b32 v157, v57
	v_mov_b32_e32 v57, v4
	v_xor_b32_e32 v165, 0xffff8000, v56
	s_waitcnt lgkmcnt(0)
	v_add_u32_e32 v56, v157, v12
	v_lshlrev_b64 v[56:57], 1, v[56:57]
	v_add_co_u32_e32 v56, vcc, s80, v56
	v_addc_co_u32_e32 v57, vcc, v160, v57, vcc
	global_store_short v[56:57], v165, off
	s_or_b64 exec, exec, s[64:65]
	v_cmp_lt_u32_e64 s[64:65], v14, v156
	s_and_saveexec_b64 s[66:67], s[64:65]
	s_cbranch_execnz .LBB1016_511
.LBB1016_562:                           ;   in Loop: Header=BB1016_414 Depth=2
	s_or_b64 exec, exec, s[66:67]
	v_cmp_lt_u32_e64 s[66:67], v16, v156
	s_and_saveexec_b64 s[68:69], s[66:67]
	s_cbranch_execz .LBB1016_512
.LBB1016_563:                           ;   in Loop: Header=BB1016_414 Depth=2
	ds_read_u16 v56, v76 offset:6656
	v_mov_b32_e32 v160, s81
	s_waitcnt lgkmcnt(0)
	v_lshrrev_b32_sdwa v57, s99, v56 dst_sel:DWORD dst_unused:UNUSED_PAD src0_sel:DWORD src1_sel:WORD_0
	v_and_b32_e32 v57, s6, v57
	v_lshlrev_b32_e32 v57, 2, v57
	ds_read_b32 v157, v57
	v_mov_b32_e32 v57, v4
	v_xor_b32_e32 v165, 0xffff8000, v56
	s_waitcnt lgkmcnt(0)
	v_add_u32_e32 v56, v157, v16
	v_lshlrev_b64 v[56:57], 1, v[56:57]
	v_add_co_u32_e32 v56, vcc, s80, v56
	v_addc_co_u32_e32 v57, vcc, v160, v57, vcc
	global_store_short v[56:57], v165, off
	s_or_b64 exec, exec, s[68:69]
	v_cmp_lt_u32_e64 s[68:69], v18, v156
	s_and_saveexec_b64 s[70:71], s[68:69]
	s_cbranch_execnz .LBB1016_513
.LBB1016_564:                           ;   in Loop: Header=BB1016_414 Depth=2
	s_or_b64 exec, exec, s[70:71]
	v_cmp_lt_u32_e64 s[70:71], v20, v156
	s_and_saveexec_b64 s[72:73], s[70:71]
	s_cbranch_execz .LBB1016_514
.LBB1016_565:                           ;   in Loop: Header=BB1016_414 Depth=2
	ds_read_u16 v56, v76 offset:7680
	v_mov_b32_e32 v160, s81
	s_waitcnt lgkmcnt(0)
	v_lshrrev_b32_sdwa v57, s99, v56 dst_sel:DWORD dst_unused:UNUSED_PAD src0_sel:DWORD src1_sel:WORD_0
	v_and_b32_e32 v57, s6, v57
	v_lshlrev_b32_e32 v57, 2, v57
	ds_read_b32 v157, v57
	v_mov_b32_e32 v57, v4
	v_xor_b32_e32 v165, 0xffff8000, v56
	s_waitcnt lgkmcnt(0)
	v_add_u32_e32 v56, v157, v20
	v_lshlrev_b64 v[56:57], 1, v[56:57]
	v_add_co_u32_e32 v56, vcc, s80, v56
	v_addc_co_u32_e32 v57, vcc, v160, v57, vcc
	global_store_short v[56:57], v165, off
	s_or_b64 exec, exec, s[72:73]
	v_cmp_lt_u32_e64 s[72:73], v22, v156
	s_and_saveexec_b64 s[82:83], s[72:73]
	s_cbranch_execnz .LBB1016_515
	s_branch .LBB1016_516
.LBB1016_566:                           ;   in Loop: Header=BB1016_414 Depth=2
	s_or_b64 exec, exec, s[82:83]
	v_cmp_lt_u32_e32 vcc, v112, v156
	s_and_saveexec_b64 s[82:83], vcc
	s_cbranch_execz .LBB1016_518
.LBB1016_567:                           ;   in Loop: Header=BB1016_414 Depth=2
	global_load_dwordx2 v[52:53], v[56:57], off offset:512
	s_or_b64 exec, exec, s[82:83]
	v_cmp_lt_u32_e32 vcc, v113, v156
	s_and_saveexec_b64 s[82:83], vcc
	s_cbranch_execnz .LBB1016_519
.LBB1016_568:                           ;   in Loop: Header=BB1016_414 Depth=2
	s_or_b64 exec, exec, s[82:83]
	v_cmp_lt_u32_e32 vcc, v114, v156
	s_and_saveexec_b64 s[82:83], vcc
	s_cbranch_execz .LBB1016_520
.LBB1016_569:                           ;   in Loop: Header=BB1016_414 Depth=2
	global_load_dwordx2 v[46:47], v[56:57], off offset:1536
	s_or_b64 exec, exec, s[82:83]
	v_cmp_lt_u32_e32 vcc, v115, v156
	s_and_saveexec_b64 s[82:83], vcc
	s_cbranch_execnz .LBB1016_521
.LBB1016_570:                           ;   in Loop: Header=BB1016_414 Depth=2
	s_or_b64 exec, exec, s[82:83]
	v_cmp_lt_u32_e32 vcc, v116, v156
	s_and_saveexec_b64 s[82:83], vcc
	s_cbranch_execz .LBB1016_522
.LBB1016_571:                           ;   in Loop: Header=BB1016_414 Depth=2
	global_load_dwordx2 v[38:39], v[56:57], off offset:2560
	s_or_b64 exec, exec, s[82:83]
	v_cmp_lt_u32_e32 vcc, v117, v156
	s_and_saveexec_b64 s[82:83], vcc
	s_cbranch_execnz .LBB1016_523
.LBB1016_572:                           ;   in Loop: Header=BB1016_414 Depth=2
	s_or_b64 exec, exec, s[82:83]
	v_cmp_lt_u32_e32 vcc, v118, v156
	s_and_saveexec_b64 s[82:83], vcc
	s_cbranch_execz .LBB1016_524
.LBB1016_573:                           ;   in Loop: Header=BB1016_414 Depth=2
	global_load_dwordx2 v[30:31], v[56:57], off offset:3584
	s_or_b64 exec, exec, s[82:83]
	v_cmp_lt_u32_e32 vcc, v119, v156
	s_and_saveexec_b64 s[82:83], vcc
	s_cbranch_execnz .LBB1016_525
.LBB1016_574:                           ;   in Loop: Header=BB1016_414 Depth=2
	s_or_b64 exec, exec, s[82:83]
	v_cmp_lt_u32_e32 vcc, v120, v156
	s_and_saveexec_b64 s[82:83], vcc
	s_cbranch_execz .LBB1016_526
.LBB1016_575:                           ;   in Loop: Header=BB1016_414 Depth=2
	v_add_co_u32_e32 v44, vcc, 0x1000, v56
	v_addc_co_u32_e32 v45, vcc, 0, v57, vcc
	global_load_dwordx2 v[44:45], v[44:45], off offset:512
	s_or_b64 exec, exec, s[82:83]
	v_cmp_lt_u32_e32 vcc, v121, v156
	s_and_saveexec_b64 s[82:83], vcc
	s_cbranch_execnz .LBB1016_527
.LBB1016_576:                           ;   in Loop: Header=BB1016_414 Depth=2
	s_or_b64 exec, exec, s[82:83]
	v_cmp_lt_u32_e32 vcc, v122, v156
	s_and_saveexec_b64 s[82:83], vcc
	s_cbranch_execz .LBB1016_528
.LBB1016_577:                           ;   in Loop: Header=BB1016_414 Depth=2
	v_add_co_u32_e32 v36, vcc, 0x1000, v56
	v_addc_co_u32_e32 v37, vcc, 0, v57, vcc
	global_load_dwordx2 v[36:37], v[36:37], off offset:1536
	s_or_b64 exec, exec, s[82:83]
	v_cmp_lt_u32_e32 vcc, v123, v156
	s_and_saveexec_b64 s[82:83], vcc
	s_cbranch_execnz .LBB1016_529
.LBB1016_578:                           ;   in Loop: Header=BB1016_414 Depth=2
	s_or_b64 exec, exec, s[82:83]
	v_cmp_lt_u32_e32 vcc, v124, v156
	s_and_saveexec_b64 s[82:83], vcc
	s_cbranch_execz .LBB1016_530
.LBB1016_579:                           ;   in Loop: Header=BB1016_414 Depth=2
	v_add_co_u32_e32 v28, vcc, 0x1000, v56
	v_addc_co_u32_e32 v29, vcc, 0, v57, vcc
	global_load_dwordx2 v[28:29], v[28:29], off offset:2560
	s_or_b64 exec, exec, s[82:83]
	v_cmp_lt_u32_e32 vcc, v125, v156
	s_and_saveexec_b64 s[82:83], vcc
	s_cbranch_execnz .LBB1016_531
.LBB1016_580:                           ;   in Loop: Header=BB1016_414 Depth=2
	s_or_b64 exec, exec, s[82:83]
	v_cmp_lt_u32_e32 vcc, v126, v156
	s_and_saveexec_b64 s[82:83], vcc
	s_cbranch_execz .LBB1016_532
.LBB1016_581:                           ;   in Loop: Header=BB1016_414 Depth=2
	v_add_co_u32_e32 v24, vcc, 0x1000, v56
	v_addc_co_u32_e32 v25, vcc, 0, v57, vcc
	global_load_dwordx2 v[24:25], v[24:25], off offset:3584
	s_or_b64 exec, exec, s[82:83]
	v_cmp_lt_u32_e32 vcc, v127, v156
	s_and_saveexec_b64 s[82:83], vcc
	s_cbranch_execnz .LBB1016_533
.LBB1016_582:                           ;   in Loop: Header=BB1016_414 Depth=2
	s_or_b64 exec, exec, s[82:83]
	s_and_saveexec_b64 s[82:83], s[40:41]
	s_cbranch_execz .LBB1016_534
.LBB1016_583:                           ;   in Loop: Header=BB1016_414 Depth=2
	v_add_u32_e32 v56, v70, v75
	ds_read_u16 v56, v56 offset:512
	s_waitcnt lgkmcnt(0)
	v_lshrrev_b32_e32 v56, s99, v56
	v_and_b32_e32 v152, s6, v56
	s_or_b64 exec, exec, s[82:83]
	s_and_saveexec_b64 s[82:83], s[42:43]
	s_cbranch_execnz .LBB1016_535
.LBB1016_584:                           ;   in Loop: Header=BB1016_414 Depth=2
	s_or_b64 exec, exec, s[82:83]
	s_and_saveexec_b64 s[82:83], s[44:45]
	s_cbranch_execz .LBB1016_536
.LBB1016_585:                           ;   in Loop: Header=BB1016_414 Depth=2
	ds_read_u16 v56, v76 offset:1024
	s_waitcnt lgkmcnt(0)
	v_lshrrev_b32_e32 v56, s99, v56
	v_and_b32_e32 v149, s6, v56
	s_or_b64 exec, exec, s[82:83]
	s_and_saveexec_b64 s[82:83], s[46:47]
	s_cbranch_execnz .LBB1016_537
.LBB1016_586:                           ;   in Loop: Header=BB1016_414 Depth=2
	s_or_b64 exec, exec, s[82:83]
	s_and_saveexec_b64 s[82:83], s[48:49]
	s_cbranch_execz .LBB1016_538
.LBB1016_587:                           ;   in Loop: Header=BB1016_414 Depth=2
	ds_read_u16 v56, v76 offset:2048
	s_waitcnt lgkmcnt(0)
	v_lshrrev_b32_e32 v56, s99, v56
	v_and_b32_e32 v146, s6, v56
	s_or_b64 exec, exec, s[82:83]
	s_and_saveexec_b64 s[82:83], s[50:51]
	s_cbranch_execnz .LBB1016_539
.LBB1016_588:                           ;   in Loop: Header=BB1016_414 Depth=2
	s_or_b64 exec, exec, s[82:83]
	s_and_saveexec_b64 s[82:83], s[52:53]
	s_cbranch_execz .LBB1016_540
.LBB1016_589:                           ;   in Loop: Header=BB1016_414 Depth=2
	ds_read_u16 v56, v76 offset:3072
	s_waitcnt lgkmcnt(0)
	v_lshrrev_b32_e32 v56, s99, v56
	v_and_b32_e32 v144, s6, v56
	s_or_b64 exec, exec, s[82:83]
	s_and_saveexec_b64 s[82:83], s[54:55]
	s_cbranch_execnz .LBB1016_541
.LBB1016_590:                           ;   in Loop: Header=BB1016_414 Depth=2
	s_or_b64 exec, exec, s[82:83]
	s_and_saveexec_b64 s[82:83], s[56:57]
	s_cbranch_execz .LBB1016_542
.LBB1016_591:                           ;   in Loop: Header=BB1016_414 Depth=2
	ds_read_u16 v56, v76 offset:4096
	s_waitcnt lgkmcnt(0)
	v_lshrrev_b32_e32 v56, s99, v56
	v_and_b32_e32 v142, s6, v56
	s_or_b64 exec, exec, s[82:83]
	s_and_saveexec_b64 s[82:83], s[58:59]
	s_cbranch_execnz .LBB1016_543
.LBB1016_592:                           ;   in Loop: Header=BB1016_414 Depth=2
	s_or_b64 exec, exec, s[82:83]
	s_and_saveexec_b64 s[82:83], s[60:61]
	s_cbranch_execz .LBB1016_544
.LBB1016_593:                           ;   in Loop: Header=BB1016_414 Depth=2
	ds_read_u16 v56, v76 offset:5120
	s_waitcnt lgkmcnt(0)
	v_lshrrev_b32_e32 v56, s99, v56
	v_and_b32_e32 v140, s6, v56
	s_or_b64 exec, exec, s[82:83]
	s_and_saveexec_b64 s[82:83], s[62:63]
	s_cbranch_execnz .LBB1016_545
.LBB1016_594:                           ;   in Loop: Header=BB1016_414 Depth=2
	s_or_b64 exec, exec, s[82:83]
	s_and_saveexec_b64 s[82:83], s[64:65]
	s_cbranch_execz .LBB1016_546
.LBB1016_595:                           ;   in Loop: Header=BB1016_414 Depth=2
	ds_read_u16 v56, v76 offset:6144
	s_waitcnt lgkmcnt(0)
	v_lshrrev_b32_e32 v56, s99, v56
	v_and_b32_e32 v138, s6, v56
	s_or_b64 exec, exec, s[82:83]
	s_and_saveexec_b64 s[82:83], s[66:67]
	s_cbranch_execnz .LBB1016_547
.LBB1016_596:                           ;   in Loop: Header=BB1016_414 Depth=2
	s_or_b64 exec, exec, s[82:83]
	s_and_saveexec_b64 s[82:83], s[68:69]
	s_cbranch_execz .LBB1016_548
.LBB1016_597:                           ;   in Loop: Header=BB1016_414 Depth=2
	ds_read_u16 v56, v76 offset:7168
	s_waitcnt lgkmcnt(0)
	v_lshrrev_b32_e32 v56, s99, v56
	v_and_b32_e32 v136, s6, v56
	s_or_b64 exec, exec, s[82:83]
	s_and_saveexec_b64 s[82:83], s[70:71]
	s_cbranch_execnz .LBB1016_549
.LBB1016_598:                           ;   in Loop: Header=BB1016_414 Depth=2
	s_or_b64 exec, exec, s[82:83]
	s_and_saveexec_b64 s[82:83], s[72:73]
	s_cbranch_execz .LBB1016_600
.LBB1016_599:                           ;   in Loop: Header=BB1016_414 Depth=2
	ds_read_u16 v56, v76 offset:8192
	s_waitcnt lgkmcnt(0)
	v_lshrrev_b32_e32 v56, s99, v56
	v_and_b32_e32 v134, s6, v56
.LBB1016_600:                           ;   in Loop: Header=BB1016_414 Depth=2
	s_or_b64 exec, exec, s[82:83]
	v_lshlrev_b32_e32 v56, 3, v179
	s_barrier
	s_waitcnt vmcnt(0)
	ds_write_b64 v56, v[54:55] offset:512
	v_lshlrev_b32_e32 v56, 3, v175
	ds_write_b64 v56, v[52:53] offset:512
	v_lshlrev_b32_e32 v56, 3, v174
	ds_write_b64 v56, v[50:51] offset:512
	v_lshlrev_b32_e32 v56, 3, v173
	ds_write_b64 v56, v[46:47] offset:512
	v_lshlrev_b32_e32 v56, 3, v172
	ds_write_b64 v56, v[42:43] offset:512
	v_lshlrev_b32_e32 v56, 3, v170
	ds_write_b64 v56, v[38:39] offset:512
	v_lshlrev_b32_e32 v56, 3, v169
	ds_write_b64 v56, v[34:35] offset:512
	v_lshlrev_b32_e32 v56, 3, v168
	ds_write_b64 v56, v[30:31] offset:512
	v_lshlrev_b32_e32 v56, 3, v167
	ds_write_b64 v56, v[48:49] offset:512
	v_lshlrev_b32_e32 v56, 3, v166
	ds_write_b64 v56, v[44:45] offset:512
	v_lshlrev_b32_e32 v56, 3, v164
	ds_write_b64 v56, v[40:41] offset:512
	v_lshlrev_b32_e32 v56, 3, v163
	ds_write_b64 v56, v[36:37] offset:512
	v_lshlrev_b32_e32 v56, 3, v162
	ds_write_b64 v56, v[32:33] offset:512
	v_lshlrev_b32_e32 v56, 3, v161
	ds_write_b64 v56, v[28:29] offset:512
	v_lshlrev_b32_e32 v56, 3, v159
	ds_write_b64 v56, v[26:27] offset:512
	v_lshlrev_b32_e32 v56, 3, v158
	v_lshlrev_b32_e32 v5, 3, v5
	ds_write_b64 v56, v[24:25] offset:512
	ds_write_b64 v5, v[0:1] offset:512
	s_waitcnt lgkmcnt(0)
	s_barrier
	s_and_saveexec_b64 s[82:83], s[40:41]
	s_cbranch_execz .LBB1016_620
; %bb.601:                              ;   in Loop: Header=BB1016_414 Depth=2
	v_lshlrev_b32_e32 v5, 2, v152
	ds_read_b32 v5, v5
	ds_read_b64 v[56:57], v68 offset:512
	v_mov_b32_e32 v157, v4
	v_mov_b32_e32 v158, s87
	s_waitcnt lgkmcnt(1)
	v_add_u32_e32 v156, v5, v2
	v_lshlrev_b64 v[156:157], 3, v[156:157]
	v_add_co_u32_e32 v156, vcc, s86, v156
	v_addc_co_u32_e32 v157, vcc, v158, v157, vcc
	s_waitcnt lgkmcnt(0)
	global_store_dwordx2 v[156:157], v[56:57], off
	s_or_b64 exec, exec, s[82:83]
	s_and_saveexec_b64 s[40:41], s[42:43]
	s_cbranch_execnz .LBB1016_621
.LBB1016_602:                           ;   in Loop: Header=BB1016_414 Depth=2
	s_or_b64 exec, exec, s[40:41]
	s_and_saveexec_b64 s[40:41], s[44:45]
	s_cbranch_execz .LBB1016_622
.LBB1016_603:                           ;   in Loop: Header=BB1016_414 Depth=2
	v_lshlrev_b32_e32 v5, 2, v149
	ds_read_b32 v5, v5
	v_add_u32_e32 v56, v76, v77
	ds_read_b64 v[56:57], v56 offset:4096
	v_mov_b32_e32 v157, v4
	v_mov_b32_e32 v158, s87
	s_waitcnt lgkmcnt(1)
	v_add_u32_e32 v156, v5, v13
	v_lshlrev_b64 v[156:157], 3, v[156:157]
	v_add_co_u32_e32 v156, vcc, s86, v156
	v_addc_co_u32_e32 v157, vcc, v158, v157, vcc
	s_waitcnt lgkmcnt(0)
	global_store_dwordx2 v[156:157], v[56:57], off
	s_or_b64 exec, exec, s[40:41]
	s_and_saveexec_b64 s[40:41], s[46:47]
	s_cbranch_execnz .LBB1016_623
.LBB1016_604:                           ;   in Loop: Header=BB1016_414 Depth=2
	s_or_b64 exec, exec, s[40:41]
	s_and_saveexec_b64 s[40:41], s[48:49]
	s_cbranch_execz .LBB1016_624
.LBB1016_605:                           ;   in Loop: Header=BB1016_414 Depth=2
	v_lshlrev_b32_e32 v5, 2, v146
	ds_read_b32 v5, v5
	v_add_u32_e32 v56, v76, v77
	ds_read_b64 v[56:57], v56 offset:8192
	v_mov_b32_e32 v157, v4
	v_mov_b32_e32 v158, s87
	s_waitcnt lgkmcnt(1)
	v_add_u32_e32 v156, v5, v17
	v_lshlrev_b64 v[156:157], 3, v[156:157]
	v_add_co_u32_e32 v156, vcc, s86, v156
	v_addc_co_u32_e32 v157, vcc, v158, v157, vcc
	s_waitcnt lgkmcnt(0)
	global_store_dwordx2 v[156:157], v[56:57], off
	s_or_b64 exec, exec, s[40:41]
	s_and_saveexec_b64 s[40:41], s[50:51]
	s_cbranch_execnz .LBB1016_625
.LBB1016_606:                           ;   in Loop: Header=BB1016_414 Depth=2
	s_or_b64 exec, exec, s[40:41]
	s_and_saveexec_b64 s[40:41], s[52:53]
	s_cbranch_execz .LBB1016_626
.LBB1016_607:                           ;   in Loop: Header=BB1016_414 Depth=2
	v_lshlrev_b32_e32 v5, 2, v144
	ds_read_b32 v5, v5
	v_add_u32_e32 v56, v76, v77
	ds_read_b64 v[56:57], v56 offset:12288
	v_mov_b32_e32 v157, v4
	v_mov_b32_e32 v158, s87
	s_waitcnt lgkmcnt(1)
	v_add_u32_e32 v156, v5, v21
	v_lshlrev_b64 v[156:157], 3, v[156:157]
	v_add_co_u32_e32 v156, vcc, s86, v156
	v_addc_co_u32_e32 v157, vcc, v158, v157, vcc
	s_waitcnt lgkmcnt(0)
	global_store_dwordx2 v[156:157], v[56:57], off
	s_or_b64 exec, exec, s[40:41]
	s_and_saveexec_b64 s[40:41], s[54:55]
	s_cbranch_execnz .LBB1016_627
.LBB1016_608:                           ;   in Loop: Header=BB1016_414 Depth=2
	s_or_b64 exec, exec, s[40:41]
	s_and_saveexec_b64 s[40:41], s[56:57]
	s_cbranch_execz .LBB1016_628
.LBB1016_609:                           ;   in Loop: Header=BB1016_414 Depth=2
	v_lshlrev_b32_e32 v5, 2, v142
	ds_read_b32 v5, v5
	v_add_u32_e32 v56, v76, v77
	ds_read_b64 v[56:57], v56 offset:16384
	v_mov_b32_e32 v157, v4
	v_mov_b32_e32 v158, s87
	s_waitcnt lgkmcnt(1)
	v_add_u32_e32 v156, v5, v6
	v_lshlrev_b64 v[156:157], 3, v[156:157]
	v_add_co_u32_e32 v156, vcc, s86, v156
	v_addc_co_u32_e32 v157, vcc, v158, v157, vcc
	s_waitcnt lgkmcnt(0)
	global_store_dwordx2 v[156:157], v[56:57], off
	s_or_b64 exec, exec, s[40:41]
	s_and_saveexec_b64 s[40:41], s[58:59]
	s_cbranch_execnz .LBB1016_629
.LBB1016_610:                           ;   in Loop: Header=BB1016_414 Depth=2
	s_or_b64 exec, exec, s[40:41]
	s_and_saveexec_b64 s[40:41], s[60:61]
	s_cbranch_execz .LBB1016_630
.LBB1016_611:                           ;   in Loop: Header=BB1016_414 Depth=2
	v_lshlrev_b32_e32 v5, 2, v140
	ds_read_b32 v5, v5
	v_add_u32_e32 v56, v76, v77
	ds_read_b64 v[56:57], v56 offset:20480
	v_mov_b32_e32 v157, v4
	v_mov_b32_e32 v158, s87
	s_waitcnt lgkmcnt(1)
	v_add_u32_e32 v156, v5, v10
	v_lshlrev_b64 v[156:157], 3, v[156:157]
	v_add_co_u32_e32 v156, vcc, s86, v156
	v_addc_co_u32_e32 v157, vcc, v158, v157, vcc
	s_waitcnt lgkmcnt(0)
	global_store_dwordx2 v[156:157], v[56:57], off
	s_or_b64 exec, exec, s[40:41]
	s_and_saveexec_b64 s[40:41], s[62:63]
	s_cbranch_execnz .LBB1016_631
.LBB1016_612:                           ;   in Loop: Header=BB1016_414 Depth=2
	s_or_b64 exec, exec, s[40:41]
	s_and_saveexec_b64 s[40:41], s[64:65]
	s_cbranch_execz .LBB1016_632
.LBB1016_613:                           ;   in Loop: Header=BB1016_414 Depth=2
	v_lshlrev_b32_e32 v5, 2, v138
	ds_read_b32 v5, v5
	v_add_u32_e32 v56, v76, v77
	ds_read_b64 v[56:57], v56 offset:24576
	v_mov_b32_e32 v157, v4
	v_mov_b32_e32 v158, s87
	s_waitcnt lgkmcnt(1)
	v_add_u32_e32 v156, v5, v14
	v_lshlrev_b64 v[156:157], 3, v[156:157]
	v_add_co_u32_e32 v156, vcc, s86, v156
	v_addc_co_u32_e32 v157, vcc, v158, v157, vcc
	s_waitcnt lgkmcnt(0)
	global_store_dwordx2 v[156:157], v[56:57], off
	s_or_b64 exec, exec, s[40:41]
	s_and_saveexec_b64 s[40:41], s[66:67]
	s_cbranch_execnz .LBB1016_633
.LBB1016_614:                           ;   in Loop: Header=BB1016_414 Depth=2
	s_or_b64 exec, exec, s[40:41]
	s_and_saveexec_b64 s[40:41], s[68:69]
	s_cbranch_execz .LBB1016_634
.LBB1016_615:                           ;   in Loop: Header=BB1016_414 Depth=2
	v_lshlrev_b32_e32 v5, 2, v136
	ds_read_b32 v5, v5
	v_add_u32_e32 v56, v76, v77
	ds_read_b64 v[56:57], v56 offset:28672
	v_mov_b32_e32 v157, v4
	v_mov_b32_e32 v158, s87
	s_waitcnt lgkmcnt(1)
	v_add_u32_e32 v156, v5, v18
	v_lshlrev_b64 v[156:157], 3, v[156:157]
	v_add_co_u32_e32 v156, vcc, s86, v156
	v_addc_co_u32_e32 v157, vcc, v158, v157, vcc
	s_waitcnt lgkmcnt(0)
	global_store_dwordx2 v[156:157], v[56:57], off
	s_or_b64 exec, exec, s[40:41]
	s_and_saveexec_b64 s[40:41], s[70:71]
	s_cbranch_execnz .LBB1016_635
.LBB1016_616:                           ;   in Loop: Header=BB1016_414 Depth=2
	s_or_b64 exec, exec, s[40:41]
	s_and_saveexec_b64 s[40:41], s[72:73]
	s_cbranch_execz .LBB1016_618
.LBB1016_617:                           ;   in Loop: Header=BB1016_414 Depth=2
	v_lshlrev_b32_e32 v5, 2, v134
	ds_read_b32 v5, v5
	v_add_u32_e32 v56, v76, v77
	ds_read_b64 v[56:57], v56 offset:32768
	v_mov_b32_e32 v157, v4
	v_mov_b32_e32 v158, s87
	s_waitcnt lgkmcnt(1)
	v_add_u32_e32 v156, v5, v22
	v_lshlrev_b64 v[156:157], 3, v[156:157]
	v_add_co_u32_e32 v156, vcc, s86, v156
	v_addc_co_u32_e32 v157, vcc, v158, v157, vcc
	s_waitcnt lgkmcnt(0)
	global_store_dwordx2 v[156:157], v[56:57], off
.LBB1016_618:                           ;   in Loop: Header=BB1016_414 Depth=2
	s_or_b64 exec, exec, s[40:41]
	s_barrier
	s_and_saveexec_b64 s[40:41], s[4:5]
	s_cbranch_execz .LBB1016_413
; %bb.619:                              ;   in Loop: Header=BB1016_414 Depth=2
	ds_read_b32 v5, v3
	s_waitcnt lgkmcnt(0)
	v_add3_u32 v5, v154, v155, v5
	ds_write_b32 v3, v5
	s_branch .LBB1016_413
.LBB1016_620:                           ;   in Loop: Header=BB1016_414 Depth=2
	s_or_b64 exec, exec, s[82:83]
	s_and_saveexec_b64 s[40:41], s[42:43]
	s_cbranch_execz .LBB1016_602
.LBB1016_621:                           ;   in Loop: Header=BB1016_414 Depth=2
	v_lshlrev_b32_e32 v5, 2, v150
	ds_read_b32 v5, v5
	v_add_u32_e32 v56, v76, v77
	ds_read_b64 v[56:57], v56 offset:2048
	v_mov_b32_e32 v157, v4
	v_mov_b32_e32 v158, s87
	s_waitcnt lgkmcnt(1)
	v_add_u32_e32 v156, v5, v7
	v_lshlrev_b64 v[156:157], 3, v[156:157]
	v_add_co_u32_e32 v156, vcc, s86, v156
	v_addc_co_u32_e32 v157, vcc, v158, v157, vcc
	s_waitcnt lgkmcnt(0)
	global_store_dwordx2 v[156:157], v[56:57], off
	s_or_b64 exec, exec, s[40:41]
	s_and_saveexec_b64 s[40:41], s[44:45]
	s_cbranch_execnz .LBB1016_603
.LBB1016_622:                           ;   in Loop: Header=BB1016_414 Depth=2
	s_or_b64 exec, exec, s[40:41]
	s_and_saveexec_b64 s[40:41], s[46:47]
	s_cbranch_execz .LBB1016_604
.LBB1016_623:                           ;   in Loop: Header=BB1016_414 Depth=2
	v_lshlrev_b32_e32 v5, 2, v147
	ds_read_b32 v5, v5
	v_add_u32_e32 v56, v76, v77
	ds_read_b64 v[56:57], v56 offset:6144
	v_mov_b32_e32 v157, v4
	v_mov_b32_e32 v158, s87
	s_waitcnt lgkmcnt(1)
	v_add_u32_e32 v156, v5, v15
	v_lshlrev_b64 v[156:157], 3, v[156:157]
	v_add_co_u32_e32 v156, vcc, s86, v156
	v_addc_co_u32_e32 v157, vcc, v158, v157, vcc
	s_waitcnt lgkmcnt(0)
	global_store_dwordx2 v[156:157], v[56:57], off
	s_or_b64 exec, exec, s[40:41]
	s_and_saveexec_b64 s[40:41], s[48:49]
	s_cbranch_execnz .LBB1016_605
.LBB1016_624:                           ;   in Loop: Header=BB1016_414 Depth=2
	s_or_b64 exec, exec, s[40:41]
	s_and_saveexec_b64 s[40:41], s[50:51]
	s_cbranch_execz .LBB1016_606
.LBB1016_625:                           ;   in Loop: Header=BB1016_414 Depth=2
	v_lshlrev_b32_e32 v5, 2, v145
	ds_read_b32 v5, v5
	v_add_u32_e32 v56, v76, v77
	ds_read_b64 v[56:57], v56 offset:10240
	v_mov_b32_e32 v157, v4
	v_mov_b32_e32 v158, s87
	s_waitcnt lgkmcnt(1)
	v_add_u32_e32 v156, v5, v19
	v_lshlrev_b64 v[156:157], 3, v[156:157]
	v_add_co_u32_e32 v156, vcc, s86, v156
	v_addc_co_u32_e32 v157, vcc, v158, v157, vcc
	s_waitcnt lgkmcnt(0)
	global_store_dwordx2 v[156:157], v[56:57], off
	s_or_b64 exec, exec, s[40:41]
	s_and_saveexec_b64 s[40:41], s[52:53]
	s_cbranch_execnz .LBB1016_607
.LBB1016_626:                           ;   in Loop: Header=BB1016_414 Depth=2
	s_or_b64 exec, exec, s[40:41]
	s_and_saveexec_b64 s[40:41], s[54:55]
	s_cbranch_execz .LBB1016_608
.LBB1016_627:                           ;   in Loop: Header=BB1016_414 Depth=2
	v_lshlrev_b32_e32 v5, 2, v143
	ds_read_b32 v5, v5
	v_add_u32_e32 v56, v76, v77
	ds_read_b64 v[56:57], v56 offset:14336
	v_mov_b32_e32 v157, v4
	v_mov_b32_e32 v158, s87
	s_waitcnt lgkmcnt(1)
	v_add_u32_e32 v156, v5, v23
	v_lshlrev_b64 v[156:157], 3, v[156:157]
	v_add_co_u32_e32 v156, vcc, s86, v156
	v_addc_co_u32_e32 v157, vcc, v158, v157, vcc
	s_waitcnt lgkmcnt(0)
	global_store_dwordx2 v[156:157], v[56:57], off
	s_or_b64 exec, exec, s[40:41]
	s_and_saveexec_b64 s[40:41], s[56:57]
	s_cbranch_execnz .LBB1016_609
.LBB1016_628:                           ;   in Loop: Header=BB1016_414 Depth=2
	s_or_b64 exec, exec, s[40:41]
	s_and_saveexec_b64 s[40:41], s[58:59]
	s_cbranch_execz .LBB1016_610
.LBB1016_629:                           ;   in Loop: Header=BB1016_414 Depth=2
	v_lshlrev_b32_e32 v5, 2, v141
	ds_read_b32 v5, v5
	v_add_u32_e32 v56, v76, v77
	ds_read_b64 v[56:57], v56 offset:18432
	v_mov_b32_e32 v157, v4
	v_mov_b32_e32 v158, s87
	s_waitcnt lgkmcnt(1)
	v_add_u32_e32 v156, v5, v8
	v_lshlrev_b64 v[156:157], 3, v[156:157]
	v_add_co_u32_e32 v156, vcc, s86, v156
	v_addc_co_u32_e32 v157, vcc, v158, v157, vcc
	s_waitcnt lgkmcnt(0)
	global_store_dwordx2 v[156:157], v[56:57], off
	s_or_b64 exec, exec, s[40:41]
	s_and_saveexec_b64 s[40:41], s[60:61]
	s_cbranch_execnz .LBB1016_611
.LBB1016_630:                           ;   in Loop: Header=BB1016_414 Depth=2
	s_or_b64 exec, exec, s[40:41]
	s_and_saveexec_b64 s[40:41], s[62:63]
	s_cbranch_execz .LBB1016_612
.LBB1016_631:                           ;   in Loop: Header=BB1016_414 Depth=2
	v_lshlrev_b32_e32 v5, 2, v139
	ds_read_b32 v5, v5
	v_add_u32_e32 v56, v76, v77
	ds_read_b64 v[56:57], v56 offset:22528
	v_mov_b32_e32 v157, v4
	v_mov_b32_e32 v158, s87
	s_waitcnt lgkmcnt(1)
	v_add_u32_e32 v156, v5, v12
	v_lshlrev_b64 v[156:157], 3, v[156:157]
	v_add_co_u32_e32 v156, vcc, s86, v156
	v_addc_co_u32_e32 v157, vcc, v158, v157, vcc
	s_waitcnt lgkmcnt(0)
	global_store_dwordx2 v[156:157], v[56:57], off
	s_or_b64 exec, exec, s[40:41]
	s_and_saveexec_b64 s[40:41], s[64:65]
	s_cbranch_execnz .LBB1016_613
.LBB1016_632:                           ;   in Loop: Header=BB1016_414 Depth=2
	s_or_b64 exec, exec, s[40:41]
	s_and_saveexec_b64 s[40:41], s[66:67]
	s_cbranch_execz .LBB1016_614
.LBB1016_633:                           ;   in Loop: Header=BB1016_414 Depth=2
	v_lshlrev_b32_e32 v5, 2, v137
	ds_read_b32 v5, v5
	v_add_u32_e32 v56, v76, v77
	ds_read_b64 v[56:57], v56 offset:26624
	v_mov_b32_e32 v157, v4
	v_mov_b32_e32 v158, s87
	s_waitcnt lgkmcnt(1)
	v_add_u32_e32 v156, v5, v16
	v_lshlrev_b64 v[156:157], 3, v[156:157]
	v_add_co_u32_e32 v156, vcc, s86, v156
	v_addc_co_u32_e32 v157, vcc, v158, v157, vcc
	s_waitcnt lgkmcnt(0)
	global_store_dwordx2 v[156:157], v[56:57], off
	s_or_b64 exec, exec, s[40:41]
	s_and_saveexec_b64 s[40:41], s[68:69]
	s_cbranch_execnz .LBB1016_615
.LBB1016_634:                           ;   in Loop: Header=BB1016_414 Depth=2
	s_or_b64 exec, exec, s[40:41]
	s_and_saveexec_b64 s[40:41], s[70:71]
	s_cbranch_execz .LBB1016_616
.LBB1016_635:                           ;   in Loop: Header=BB1016_414 Depth=2
	v_lshlrev_b32_e32 v5, 2, v135
	ds_read_b32 v5, v5
	v_add_u32_e32 v56, v76, v77
	ds_read_b64 v[56:57], v56 offset:30720
	v_mov_b32_e32 v157, v4
	v_mov_b32_e32 v158, s87
	s_waitcnt lgkmcnt(1)
	v_add_u32_e32 v156, v5, v20
	v_lshlrev_b64 v[156:157], 3, v[156:157]
	v_add_co_u32_e32 v156, vcc, s86, v156
	v_addc_co_u32_e32 v157, vcc, v158, v157, vcc
	s_waitcnt lgkmcnt(0)
	global_store_dwordx2 v[156:157], v[56:57], off
	s_or_b64 exec, exec, s[40:41]
	s_and_saveexec_b64 s[40:41], s[72:73]
	s_cbranch_execnz .LBB1016_617
	s_branch .LBB1016_618
.LBB1016_636:                           ;   in Loop: Header=BB1016_12 Depth=1
	s_waitcnt lgkmcnt(0)
	s_barrier
.LBB1016_637:                           ;   in Loop: Header=BB1016_12 Depth=1
	s_mov_b64 s[20:21], 0
.LBB1016_638:                           ;   in Loop: Header=BB1016_12 Depth=1
	s_andn2_b64 vcc, exec, s[20:21]
	s_cbranch_vccnz .LBB1016_11
; %bb.639:                              ;   in Loop: Header=BB1016_12 Depth=1
	s_mov_b64 s[20:21], -1
	s_and_b64 vcc, exec, s[92:93]
	s_cbranch_vccz .LBB1016_951
; %bb.640:                              ;   in Loop: Header=BB1016_12 Depth=1
	s_mov_b32 s7, s91
	s_mov_b32 s94, s75
	s_barrier
	s_waitcnt lgkmcnt(0)
                                        ; implicit-def: $vgpr39
                                        ; implicit-def: $vgpr5
                                        ; implicit-def: $vgpr24
                                        ; implicit-def: $vgpr25
                                        ; implicit-def: $vgpr26
                                        ; implicit-def: $vgpr27
                                        ; implicit-def: $vgpr28
                                        ; implicit-def: $vgpr29
                                        ; implicit-def: $vgpr30
                                        ; implicit-def: $vgpr31
                                        ; implicit-def: $vgpr32
                                        ; implicit-def: $vgpr33
                                        ; implicit-def: $vgpr34
                                        ; implicit-def: $vgpr35
                                        ; implicit-def: $vgpr36
                                        ; implicit-def: $vgpr37
                                        ; implicit-def: $vgpr38
	s_branch .LBB1016_642
.LBB1016_641:                           ;   in Loop: Header=BB1016_642 Depth=2
	s_or_b64 exec, exec, s[20:21]
	s_addk_i32 s7, 0xef00
	s_cmp_ge_u32 s8, s98
	s_mov_b32 s94, s8
	s_cbranch_scc1 .LBB1016_716
.LBB1016_642:                           ;   Parent Loop BB1016_12 Depth=1
                                        ; =>  This Inner Loop Header: Depth=2
	s_add_i32 s8, s94, 0x1100
	s_cmp_gt_u32 s8, s98
	s_cbranch_scc1 .LBB1016_645
; %bb.643:                              ;   in Loop: Header=BB1016_642 Depth=2
	s_lshl_b64 s[20:21], s[94:95], 1
	v_mov_b32_e32 v1, s21
	v_add_co_u32_e32 v0, vcc, s20, v84
	v_addc_co_u32_e32 v1, vcc, v85, v1, vcc
	s_waitcnt vmcnt(0)
	v_add_co_u32_e32 v56, vcc, s88, v0
	v_addc_co_u32_e32 v57, vcc, 0, v1, vcc
	global_load_ushort v41, v[0:1], off
	global_load_ushort v42, v[0:1], off offset:512
	global_load_ushort v43, v[0:1], off offset:1024
	;; [unrolled: 1-line block ×7, first 2 shown]
	global_load_ushort v49, v[56:57], off
	global_load_ushort v50, v[56:57], off offset:512
	global_load_ushort v51, v[56:57], off offset:1024
	;; [unrolled: 1-line block ×6, first 2 shown]
	s_nop 0
	global_load_ushort v56, v[56:57], off offset:3584
	v_add_co_u32_e32 v0, vcc, 0x2000, v0
	v_addc_co_u32_e32 v1, vcc, 0, v1, vcc
	s_mov_b64 s[20:21], -1
	s_movk_i32 s9, 0x1100
	s_cbranch_execz .LBB1016_646
; %bb.644:                              ;   in Loop: Header=BB1016_642 Depth=2
                                        ; implicit-def: $vgpr38
                                        ; implicit-def: $vgpr37
                                        ; implicit-def: $vgpr36
                                        ; implicit-def: $vgpr35
                                        ; implicit-def: $vgpr34
                                        ; implicit-def: $vgpr33
                                        ; implicit-def: $vgpr32
                                        ; implicit-def: $vgpr31
                                        ; implicit-def: $vgpr30
                                        ; implicit-def: $vgpr29
                                        ; implicit-def: $vgpr28
                                        ; implicit-def: $vgpr27
                                        ; implicit-def: $vgpr26
                                        ; implicit-def: $vgpr25
                                        ; implicit-def: $vgpr24
                                        ; implicit-def: $vgpr5
                                        ; implicit-def: $vgpr39
	v_mov_b32_e32 v40, s7
	s_and_saveexec_b64 s[22:23], s[20:21]
	s_cbranch_execnz .LBB1016_681
	s_branch .LBB1016_682
.LBB1016_645:                           ;   in Loop: Header=BB1016_642 Depth=2
	s_mov_b64 s[20:21], 0
                                        ; implicit-def: $sgpr9
                                        ; implicit-def: $vgpr41
                                        ; implicit-def: $vgpr42
                                        ; implicit-def: $vgpr43
                                        ; implicit-def: $vgpr44
                                        ; implicit-def: $vgpr45
                                        ; implicit-def: $vgpr46
                                        ; implicit-def: $vgpr47
                                        ; implicit-def: $vgpr48
                                        ; implicit-def: $vgpr49
                                        ; implicit-def: $vgpr50
                                        ; implicit-def: $vgpr51
                                        ; implicit-def: $vgpr52
                                        ; implicit-def: $vgpr53
                                        ; implicit-def: $vgpr54
                                        ; implicit-def: $vgpr55
                                        ; implicit-def: $vgpr56
                                        ; implicit-def: $vgpr0_vgpr1
.LBB1016_646:                           ;   in Loop: Header=BB1016_642 Depth=2
	s_lshl_b64 s[22:23], s[94:95], 1
	s_add_u32 s22, s76, s22
	s_addc_u32 s23, s77, s23
	v_cmp_gt_u32_e32 vcc, s7, v2
	s_and_saveexec_b64 s[24:25], vcc
	s_cbranch_execz .LBB1016_662
; %bb.647:                              ;   in Loop: Header=BB1016_642 Depth=2
	global_load_ushort v38, v92, s[22:23]
	s_or_b64 exec, exec, s[24:25]
	v_cmp_gt_u32_e32 vcc, s7, v7
	s_and_saveexec_b64 s[24:25], vcc
	s_cbranch_execnz .LBB1016_663
.LBB1016_648:                           ;   in Loop: Header=BB1016_642 Depth=2
	s_or_b64 exec, exec, s[24:25]
	v_cmp_gt_u32_e32 vcc, s7, v13
	s_and_saveexec_b64 s[24:25], vcc
	s_cbranch_execz .LBB1016_664
.LBB1016_649:                           ;   in Loop: Header=BB1016_642 Depth=2
	global_load_ushort v36, v92, s[22:23] offset:1024
	s_or_b64 exec, exec, s[24:25]
	v_cmp_gt_u32_e32 vcc, s7, v15
	s_and_saveexec_b64 s[24:25], vcc
	s_cbranch_execnz .LBB1016_665
.LBB1016_650:                           ;   in Loop: Header=BB1016_642 Depth=2
	s_or_b64 exec, exec, s[24:25]
	v_cmp_gt_u32_e32 vcc, s7, v17
	s_and_saveexec_b64 s[24:25], vcc
	s_cbranch_execz .LBB1016_666
.LBB1016_651:                           ;   in Loop: Header=BB1016_642 Depth=2
	global_load_ushort v34, v92, s[22:23] offset:2048
	s_or_b64 exec, exec, s[24:25]
	v_cmp_gt_u32_e32 vcc, s7, v19
	s_and_saveexec_b64 s[24:25], vcc
	s_cbranch_execnz .LBB1016_667
.LBB1016_652:                           ;   in Loop: Header=BB1016_642 Depth=2
	s_or_b64 exec, exec, s[24:25]
	v_cmp_gt_u32_e32 vcc, s7, v21
	s_and_saveexec_b64 s[24:25], vcc
	s_cbranch_execz .LBB1016_668
.LBB1016_653:                           ;   in Loop: Header=BB1016_642 Depth=2
	global_load_ushort v32, v92, s[22:23] offset:3072
	s_or_b64 exec, exec, s[24:25]
	v_cmp_gt_u32_e32 vcc, s7, v23
	s_and_saveexec_b64 s[24:25], vcc
	s_cbranch_execnz .LBB1016_669
.LBB1016_654:                           ;   in Loop: Header=BB1016_642 Depth=2
	s_or_b64 exec, exec, s[24:25]
	v_cmp_gt_u32_e32 vcc, s7, v6
	s_and_saveexec_b64 s[24:25], vcc
	s_cbranch_execz .LBB1016_670
.LBB1016_655:                           ;   in Loop: Header=BB1016_642 Depth=2
	global_load_ushort v30, v93, s[22:23]
	s_or_b64 exec, exec, s[24:25]
	v_cmp_gt_u32_e32 vcc, s7, v8
	s_and_saveexec_b64 s[24:25], vcc
	s_cbranch_execnz .LBB1016_671
.LBB1016_656:                           ;   in Loop: Header=BB1016_642 Depth=2
	s_or_b64 exec, exec, s[24:25]
	v_cmp_gt_u32_e32 vcc, s7, v10
	s_and_saveexec_b64 s[24:25], vcc
	s_cbranch_execz .LBB1016_672
.LBB1016_657:                           ;   in Loop: Header=BB1016_642 Depth=2
	global_load_ushort v28, v95, s[22:23]
	s_or_b64 exec, exec, s[24:25]
	v_cmp_gt_u32_e32 vcc, s7, v12
	s_and_saveexec_b64 s[24:25], vcc
	s_cbranch_execnz .LBB1016_673
.LBB1016_658:                           ;   in Loop: Header=BB1016_642 Depth=2
	s_or_b64 exec, exec, s[24:25]
	v_cmp_gt_u32_e32 vcc, s7, v14
	s_and_saveexec_b64 s[24:25], vcc
	s_cbranch_execz .LBB1016_674
.LBB1016_659:                           ;   in Loop: Header=BB1016_642 Depth=2
	global_load_ushort v26, v97, s[22:23]
	s_or_b64 exec, exec, s[24:25]
	v_cmp_gt_u32_e32 vcc, s7, v16
	s_and_saveexec_b64 s[24:25], vcc
	s_cbranch_execnz .LBB1016_675
.LBB1016_660:                           ;   in Loop: Header=BB1016_642 Depth=2
	s_or_b64 exec, exec, s[24:25]
	v_cmp_gt_u32_e32 vcc, s7, v18
	s_and_saveexec_b64 s[24:25], vcc
	s_cbranch_execz .LBB1016_676
.LBB1016_661:                           ;   in Loop: Header=BB1016_642 Depth=2
	global_load_ushort v24, v99, s[22:23]
	s_or_b64 exec, exec, s[24:25]
	v_cmp_gt_u32_e32 vcc, s7, v20
	s_and_saveexec_b64 s[24:25], vcc
	s_cbranch_execz .LBB1016_678
	s_branch .LBB1016_677
.LBB1016_662:                           ;   in Loop: Header=BB1016_642 Depth=2
	s_or_b64 exec, exec, s[24:25]
	v_cmp_gt_u32_e32 vcc, s7, v7
	s_and_saveexec_b64 s[24:25], vcc
	s_cbranch_execz .LBB1016_648
.LBB1016_663:                           ;   in Loop: Header=BB1016_642 Depth=2
	global_load_ushort v37, v92, s[22:23] offset:512
	s_or_b64 exec, exec, s[24:25]
	v_cmp_gt_u32_e32 vcc, s7, v13
	s_and_saveexec_b64 s[24:25], vcc
	s_cbranch_execnz .LBB1016_649
.LBB1016_664:                           ;   in Loop: Header=BB1016_642 Depth=2
	s_or_b64 exec, exec, s[24:25]
	v_cmp_gt_u32_e32 vcc, s7, v15
	s_and_saveexec_b64 s[24:25], vcc
	s_cbranch_execz .LBB1016_650
.LBB1016_665:                           ;   in Loop: Header=BB1016_642 Depth=2
	global_load_ushort v35, v92, s[22:23] offset:1536
	s_or_b64 exec, exec, s[24:25]
	v_cmp_gt_u32_e32 vcc, s7, v17
	s_and_saveexec_b64 s[24:25], vcc
	s_cbranch_execnz .LBB1016_651
.LBB1016_666:                           ;   in Loop: Header=BB1016_642 Depth=2
	s_or_b64 exec, exec, s[24:25]
	v_cmp_gt_u32_e32 vcc, s7, v19
	s_and_saveexec_b64 s[24:25], vcc
	s_cbranch_execz .LBB1016_652
.LBB1016_667:                           ;   in Loop: Header=BB1016_642 Depth=2
	global_load_ushort v33, v92, s[22:23] offset:2560
	s_or_b64 exec, exec, s[24:25]
	v_cmp_gt_u32_e32 vcc, s7, v21
	s_and_saveexec_b64 s[24:25], vcc
	s_cbranch_execnz .LBB1016_653
.LBB1016_668:                           ;   in Loop: Header=BB1016_642 Depth=2
	s_or_b64 exec, exec, s[24:25]
	v_cmp_gt_u32_e32 vcc, s7, v23
	s_and_saveexec_b64 s[24:25], vcc
	s_cbranch_execz .LBB1016_654
.LBB1016_669:                           ;   in Loop: Header=BB1016_642 Depth=2
	global_load_ushort v31, v92, s[22:23] offset:3584
	s_or_b64 exec, exec, s[24:25]
	v_cmp_gt_u32_e32 vcc, s7, v6
	s_and_saveexec_b64 s[24:25], vcc
	s_cbranch_execnz .LBB1016_655
.LBB1016_670:                           ;   in Loop: Header=BB1016_642 Depth=2
	s_or_b64 exec, exec, s[24:25]
	v_cmp_gt_u32_e32 vcc, s7, v8
	s_and_saveexec_b64 s[24:25], vcc
	s_cbranch_execz .LBB1016_656
.LBB1016_671:                           ;   in Loop: Header=BB1016_642 Depth=2
	global_load_ushort v29, v94, s[22:23]
	s_or_b64 exec, exec, s[24:25]
	v_cmp_gt_u32_e32 vcc, s7, v10
	s_and_saveexec_b64 s[24:25], vcc
	s_cbranch_execnz .LBB1016_657
.LBB1016_672:                           ;   in Loop: Header=BB1016_642 Depth=2
	s_or_b64 exec, exec, s[24:25]
	v_cmp_gt_u32_e32 vcc, s7, v12
	s_and_saveexec_b64 s[24:25], vcc
	s_cbranch_execz .LBB1016_658
.LBB1016_673:                           ;   in Loop: Header=BB1016_642 Depth=2
	global_load_ushort v27, v96, s[22:23]
	s_or_b64 exec, exec, s[24:25]
	v_cmp_gt_u32_e32 vcc, s7, v14
	s_and_saveexec_b64 s[24:25], vcc
	s_cbranch_execnz .LBB1016_659
.LBB1016_674:                           ;   in Loop: Header=BB1016_642 Depth=2
	s_or_b64 exec, exec, s[24:25]
	v_cmp_gt_u32_e32 vcc, s7, v16
	s_and_saveexec_b64 s[24:25], vcc
	s_cbranch_execz .LBB1016_660
.LBB1016_675:                           ;   in Loop: Header=BB1016_642 Depth=2
	global_load_ushort v25, v98, s[22:23]
	s_or_b64 exec, exec, s[24:25]
	v_cmp_gt_u32_e32 vcc, s7, v18
	s_and_saveexec_b64 s[24:25], vcc
	s_cbranch_execnz .LBB1016_661
.LBB1016_676:                           ;   in Loop: Header=BB1016_642 Depth=2
	s_or_b64 exec, exec, s[24:25]
	v_cmp_gt_u32_e32 vcc, s7, v20
	s_and_saveexec_b64 s[24:25], vcc
	s_cbranch_execz .LBB1016_678
.LBB1016_677:                           ;   in Loop: Header=BB1016_642 Depth=2
	global_load_ushort v5, v100, s[22:23]
.LBB1016_678:                           ;   in Loop: Header=BB1016_642 Depth=2
	s_or_b64 exec, exec, s[24:25]
	v_cmp_gt_u32_e32 vcc, s7, v22
                                        ; implicit-def: $sgpr9
                                        ; implicit-def: $vgpr0_vgpr1
	s_and_saveexec_b64 s[24:25], vcc
; %bb.679:                              ;   in Loop: Header=BB1016_642 Depth=2
	v_mov_b32_e32 v1, s23
	v_add_co_u32_e32 v0, vcc, s22, v101
	s_sub_i32 s9, s98, s94
	v_addc_co_u32_e32 v1, vcc, 0, v1, vcc
	s_or_b64 s[20:21], s[20:21], exec
                                        ; implicit-def: $vgpr39
; %bb.680:                              ;   in Loop: Header=BB1016_642 Depth=2
	s_or_b64 exec, exec, s[24:25]
	s_waitcnt vmcnt(0)
	v_mov_b32_e32 v41, v38
	v_mov_b32_e32 v42, v37
	;; [unrolled: 1-line block ×17, first 2 shown]
	s_and_saveexec_b64 s[22:23], s[20:21]
	s_cbranch_execz .LBB1016_682
.LBB1016_681:                           ;   in Loop: Header=BB1016_642 Depth=2
	global_load_ushort v39, v[0:1], off
	v_mov_b32_e32 v40, s9
	s_waitcnt vmcnt(1)
	v_mov_b32_e32 v5, v56
	v_mov_b32_e32 v24, v55
	;; [unrolled: 1-line block ×16, first 2 shown]
.LBB1016_682:                           ;   in Loop: Header=BB1016_642 Depth=2
	s_or_b64 exec, exec, s[22:23]
	v_cmp_lt_u32_e32 vcc, v2, v40
	s_and_saveexec_b64 s[20:21], vcc
	s_cbranch_execz .LBB1016_699
; %bb.683:                              ;   in Loop: Header=BB1016_642 Depth=2
	v_xor_b32_e32 v0, 0xffff8000, v38
	v_lshrrev_b32_sdwa v0, s89, v0 dst_sel:DWORD dst_unused:UNUSED_PAD src0_sel:DWORD src1_sel:WORD_0
	v_and_b32_e32 v0, s6, v0
	v_lshl_or_b32 v0, v0, 4, v90
	ds_add_u32 v0, v91
	s_or_b64 exec, exec, s[20:21]
	v_cmp_lt_u32_e32 vcc, v7, v40
	s_and_saveexec_b64 s[20:21], vcc
	s_cbranch_execnz .LBB1016_700
.LBB1016_684:                           ;   in Loop: Header=BB1016_642 Depth=2
	s_or_b64 exec, exec, s[20:21]
	v_cmp_lt_u32_e32 vcc, v13, v40
	s_and_saveexec_b64 s[20:21], vcc
	s_cbranch_execz .LBB1016_701
.LBB1016_685:                           ;   in Loop: Header=BB1016_642 Depth=2
	v_xor_b32_e32 v0, 0xffff8000, v36
	v_lshrrev_b32_sdwa v0, s89, v0 dst_sel:DWORD dst_unused:UNUSED_PAD src0_sel:DWORD src1_sel:WORD_0
	v_and_b32_e32 v0, s6, v0
	v_lshl_or_b32 v0, v0, 4, v90
	ds_add_u32 v0, v91
	s_or_b64 exec, exec, s[20:21]
	v_cmp_lt_u32_e32 vcc, v15, v40
	s_and_saveexec_b64 s[20:21], vcc
	s_cbranch_execnz .LBB1016_702
.LBB1016_686:                           ;   in Loop: Header=BB1016_642 Depth=2
	s_or_b64 exec, exec, s[20:21]
	v_cmp_lt_u32_e32 vcc, v17, v40
	s_and_saveexec_b64 s[20:21], vcc
	s_cbranch_execz .LBB1016_703
.LBB1016_687:                           ;   in Loop: Header=BB1016_642 Depth=2
	v_xor_b32_e32 v0, 0xffff8000, v34
	v_lshrrev_b32_sdwa v0, s89, v0 dst_sel:DWORD dst_unused:UNUSED_PAD src0_sel:DWORD src1_sel:WORD_0
	v_and_b32_e32 v0, s6, v0
	v_lshl_or_b32 v0, v0, 4, v90
	ds_add_u32 v0, v91
	s_or_b64 exec, exec, s[20:21]
	v_cmp_lt_u32_e32 vcc, v19, v40
	s_and_saveexec_b64 s[20:21], vcc
	s_cbranch_execnz .LBB1016_704
.LBB1016_688:                           ;   in Loop: Header=BB1016_642 Depth=2
	s_or_b64 exec, exec, s[20:21]
	v_cmp_lt_u32_e32 vcc, v21, v40
	s_and_saveexec_b64 s[20:21], vcc
	s_cbranch_execz .LBB1016_705
.LBB1016_689:                           ;   in Loop: Header=BB1016_642 Depth=2
	v_xor_b32_e32 v0, 0xffff8000, v32
	v_lshrrev_b32_sdwa v0, s89, v0 dst_sel:DWORD dst_unused:UNUSED_PAD src0_sel:DWORD src1_sel:WORD_0
	v_and_b32_e32 v0, s6, v0
	v_lshl_or_b32 v0, v0, 4, v90
	ds_add_u32 v0, v91
	s_or_b64 exec, exec, s[20:21]
	v_cmp_lt_u32_e32 vcc, v23, v40
	s_and_saveexec_b64 s[20:21], vcc
	s_cbranch_execnz .LBB1016_706
.LBB1016_690:                           ;   in Loop: Header=BB1016_642 Depth=2
	s_or_b64 exec, exec, s[20:21]
	v_cmp_lt_u32_e32 vcc, v6, v40
	s_and_saveexec_b64 s[20:21], vcc
	s_cbranch_execz .LBB1016_707
.LBB1016_691:                           ;   in Loop: Header=BB1016_642 Depth=2
	v_xor_b32_e32 v0, 0xffff8000, v30
	v_lshrrev_b32_sdwa v0, s89, v0 dst_sel:DWORD dst_unused:UNUSED_PAD src0_sel:DWORD src1_sel:WORD_0
	v_and_b32_e32 v0, s6, v0
	v_lshl_or_b32 v0, v0, 4, v90
	ds_add_u32 v0, v91
	s_or_b64 exec, exec, s[20:21]
	v_cmp_lt_u32_e32 vcc, v8, v40
	s_and_saveexec_b64 s[20:21], vcc
	s_cbranch_execnz .LBB1016_708
.LBB1016_692:                           ;   in Loop: Header=BB1016_642 Depth=2
	s_or_b64 exec, exec, s[20:21]
	v_cmp_lt_u32_e32 vcc, v10, v40
	s_and_saveexec_b64 s[20:21], vcc
	s_cbranch_execz .LBB1016_709
.LBB1016_693:                           ;   in Loop: Header=BB1016_642 Depth=2
	v_xor_b32_e32 v0, 0xffff8000, v28
	v_lshrrev_b32_sdwa v0, s89, v0 dst_sel:DWORD dst_unused:UNUSED_PAD src0_sel:DWORD src1_sel:WORD_0
	v_and_b32_e32 v0, s6, v0
	v_lshl_or_b32 v0, v0, 4, v90
	ds_add_u32 v0, v91
	s_or_b64 exec, exec, s[20:21]
	v_cmp_lt_u32_e32 vcc, v12, v40
	s_and_saveexec_b64 s[20:21], vcc
	s_cbranch_execnz .LBB1016_710
.LBB1016_694:                           ;   in Loop: Header=BB1016_642 Depth=2
	s_or_b64 exec, exec, s[20:21]
	v_cmp_lt_u32_e32 vcc, v14, v40
	s_and_saveexec_b64 s[20:21], vcc
	s_cbranch_execz .LBB1016_711
.LBB1016_695:                           ;   in Loop: Header=BB1016_642 Depth=2
	v_xor_b32_e32 v0, 0xffff8000, v26
	v_lshrrev_b32_sdwa v0, s89, v0 dst_sel:DWORD dst_unused:UNUSED_PAD src0_sel:DWORD src1_sel:WORD_0
	v_and_b32_e32 v0, s6, v0
	v_lshl_or_b32 v0, v0, 4, v90
	ds_add_u32 v0, v91
	s_or_b64 exec, exec, s[20:21]
	v_cmp_lt_u32_e32 vcc, v16, v40
	s_and_saveexec_b64 s[20:21], vcc
	s_cbranch_execnz .LBB1016_712
.LBB1016_696:                           ;   in Loop: Header=BB1016_642 Depth=2
	s_or_b64 exec, exec, s[20:21]
	v_cmp_lt_u32_e32 vcc, v18, v40
	s_and_saveexec_b64 s[20:21], vcc
	s_cbranch_execz .LBB1016_713
.LBB1016_697:                           ;   in Loop: Header=BB1016_642 Depth=2
	v_xor_b32_e32 v0, 0xffff8000, v24
	v_lshrrev_b32_sdwa v0, s89, v0 dst_sel:DWORD dst_unused:UNUSED_PAD src0_sel:DWORD src1_sel:WORD_0
	v_and_b32_e32 v0, s6, v0
	v_lshl_or_b32 v0, v0, 4, v90
	ds_add_u32 v0, v91
	s_or_b64 exec, exec, s[20:21]
	v_cmp_lt_u32_e32 vcc, v20, v40
	s_and_saveexec_b64 s[20:21], vcc
	s_cbranch_execnz .LBB1016_714
.LBB1016_698:                           ;   in Loop: Header=BB1016_642 Depth=2
	s_or_b64 exec, exec, s[20:21]
	v_cmp_lt_u32_e32 vcc, v22, v40
	s_and_saveexec_b64 s[20:21], vcc
	s_cbranch_execz .LBB1016_641
	s_branch .LBB1016_715
.LBB1016_699:                           ;   in Loop: Header=BB1016_642 Depth=2
	s_or_b64 exec, exec, s[20:21]
	v_cmp_lt_u32_e32 vcc, v7, v40
	s_and_saveexec_b64 s[20:21], vcc
	s_cbranch_execz .LBB1016_684
.LBB1016_700:                           ;   in Loop: Header=BB1016_642 Depth=2
	v_xor_b32_e32 v0, 0xffff8000, v37
	v_lshrrev_b32_sdwa v0, s89, v0 dst_sel:DWORD dst_unused:UNUSED_PAD src0_sel:DWORD src1_sel:WORD_0
	v_and_b32_e32 v0, s6, v0
	v_lshl_or_b32 v0, v0, 4, v90
	ds_add_u32 v0, v91
	s_or_b64 exec, exec, s[20:21]
	v_cmp_lt_u32_e32 vcc, v13, v40
	s_and_saveexec_b64 s[20:21], vcc
	s_cbranch_execnz .LBB1016_685
.LBB1016_701:                           ;   in Loop: Header=BB1016_642 Depth=2
	s_or_b64 exec, exec, s[20:21]
	v_cmp_lt_u32_e32 vcc, v15, v40
	s_and_saveexec_b64 s[20:21], vcc
	s_cbranch_execz .LBB1016_686
.LBB1016_702:                           ;   in Loop: Header=BB1016_642 Depth=2
	v_xor_b32_e32 v0, 0xffff8000, v35
	v_lshrrev_b32_sdwa v0, s89, v0 dst_sel:DWORD dst_unused:UNUSED_PAD src0_sel:DWORD src1_sel:WORD_0
	v_and_b32_e32 v0, s6, v0
	v_lshl_or_b32 v0, v0, 4, v90
	ds_add_u32 v0, v91
	s_or_b64 exec, exec, s[20:21]
	v_cmp_lt_u32_e32 vcc, v17, v40
	s_and_saveexec_b64 s[20:21], vcc
	s_cbranch_execnz .LBB1016_687
.LBB1016_703:                           ;   in Loop: Header=BB1016_642 Depth=2
	s_or_b64 exec, exec, s[20:21]
	v_cmp_lt_u32_e32 vcc, v19, v40
	s_and_saveexec_b64 s[20:21], vcc
	s_cbranch_execz .LBB1016_688
.LBB1016_704:                           ;   in Loop: Header=BB1016_642 Depth=2
	v_xor_b32_e32 v0, 0xffff8000, v33
	v_lshrrev_b32_sdwa v0, s89, v0 dst_sel:DWORD dst_unused:UNUSED_PAD src0_sel:DWORD src1_sel:WORD_0
	v_and_b32_e32 v0, s6, v0
	v_lshl_or_b32 v0, v0, 4, v90
	ds_add_u32 v0, v91
	s_or_b64 exec, exec, s[20:21]
	v_cmp_lt_u32_e32 vcc, v21, v40
	s_and_saveexec_b64 s[20:21], vcc
	s_cbranch_execnz .LBB1016_689
.LBB1016_705:                           ;   in Loop: Header=BB1016_642 Depth=2
	s_or_b64 exec, exec, s[20:21]
	v_cmp_lt_u32_e32 vcc, v23, v40
	s_and_saveexec_b64 s[20:21], vcc
	s_cbranch_execz .LBB1016_690
.LBB1016_706:                           ;   in Loop: Header=BB1016_642 Depth=2
	v_xor_b32_e32 v0, 0xffff8000, v31
	v_lshrrev_b32_sdwa v0, s89, v0 dst_sel:DWORD dst_unused:UNUSED_PAD src0_sel:DWORD src1_sel:WORD_0
	v_and_b32_e32 v0, s6, v0
	v_lshl_or_b32 v0, v0, 4, v90
	ds_add_u32 v0, v91
	s_or_b64 exec, exec, s[20:21]
	v_cmp_lt_u32_e32 vcc, v6, v40
	s_and_saveexec_b64 s[20:21], vcc
	s_cbranch_execnz .LBB1016_691
.LBB1016_707:                           ;   in Loop: Header=BB1016_642 Depth=2
	s_or_b64 exec, exec, s[20:21]
	v_cmp_lt_u32_e32 vcc, v8, v40
	s_and_saveexec_b64 s[20:21], vcc
	s_cbranch_execz .LBB1016_692
.LBB1016_708:                           ;   in Loop: Header=BB1016_642 Depth=2
	v_xor_b32_e32 v0, 0xffff8000, v29
	v_lshrrev_b32_sdwa v0, s89, v0 dst_sel:DWORD dst_unused:UNUSED_PAD src0_sel:DWORD src1_sel:WORD_0
	v_and_b32_e32 v0, s6, v0
	v_lshl_or_b32 v0, v0, 4, v90
	ds_add_u32 v0, v91
	s_or_b64 exec, exec, s[20:21]
	v_cmp_lt_u32_e32 vcc, v10, v40
	s_and_saveexec_b64 s[20:21], vcc
	s_cbranch_execnz .LBB1016_693
.LBB1016_709:                           ;   in Loop: Header=BB1016_642 Depth=2
	s_or_b64 exec, exec, s[20:21]
	v_cmp_lt_u32_e32 vcc, v12, v40
	s_and_saveexec_b64 s[20:21], vcc
	s_cbranch_execz .LBB1016_694
.LBB1016_710:                           ;   in Loop: Header=BB1016_642 Depth=2
	v_xor_b32_e32 v0, 0xffff8000, v27
	v_lshrrev_b32_sdwa v0, s89, v0 dst_sel:DWORD dst_unused:UNUSED_PAD src0_sel:DWORD src1_sel:WORD_0
	v_and_b32_e32 v0, s6, v0
	v_lshl_or_b32 v0, v0, 4, v90
	ds_add_u32 v0, v91
	s_or_b64 exec, exec, s[20:21]
	v_cmp_lt_u32_e32 vcc, v14, v40
	s_and_saveexec_b64 s[20:21], vcc
	s_cbranch_execnz .LBB1016_695
.LBB1016_711:                           ;   in Loop: Header=BB1016_642 Depth=2
	s_or_b64 exec, exec, s[20:21]
	v_cmp_lt_u32_e32 vcc, v16, v40
	s_and_saveexec_b64 s[20:21], vcc
	s_cbranch_execz .LBB1016_696
.LBB1016_712:                           ;   in Loop: Header=BB1016_642 Depth=2
	v_xor_b32_e32 v0, 0xffff8000, v25
	v_lshrrev_b32_sdwa v0, s89, v0 dst_sel:DWORD dst_unused:UNUSED_PAD src0_sel:DWORD src1_sel:WORD_0
	v_and_b32_e32 v0, s6, v0
	v_lshl_or_b32 v0, v0, 4, v90
	ds_add_u32 v0, v91
	s_or_b64 exec, exec, s[20:21]
	v_cmp_lt_u32_e32 vcc, v18, v40
	s_and_saveexec_b64 s[20:21], vcc
	s_cbranch_execnz .LBB1016_697
.LBB1016_713:                           ;   in Loop: Header=BB1016_642 Depth=2
	s_or_b64 exec, exec, s[20:21]
	v_cmp_lt_u32_e32 vcc, v20, v40
	s_and_saveexec_b64 s[20:21], vcc
	s_cbranch_execz .LBB1016_698
.LBB1016_714:                           ;   in Loop: Header=BB1016_642 Depth=2
	v_xor_b32_e32 v0, 0xffff8000, v5
	v_lshrrev_b32_sdwa v0, s89, v0 dst_sel:DWORD dst_unused:UNUSED_PAD src0_sel:DWORD src1_sel:WORD_0
	v_and_b32_e32 v0, s6, v0
	v_lshl_or_b32 v0, v0, 4, v90
	ds_add_u32 v0, v91
	s_or_b64 exec, exec, s[20:21]
	v_cmp_lt_u32_e32 vcc, v22, v40
	s_and_saveexec_b64 s[20:21], vcc
	s_cbranch_execz .LBB1016_641
.LBB1016_715:                           ;   in Loop: Header=BB1016_642 Depth=2
	s_waitcnt vmcnt(0)
	v_xor_b32_e32 v0, 0xffff8000, v39
	v_lshrrev_b32_sdwa v0, s89, v0 dst_sel:DWORD dst_unused:UNUSED_PAD src0_sel:DWORD src1_sel:WORD_0
	v_and_b32_e32 v0, s6, v0
	v_lshl_or_b32 v0, v0, 4, v90
	ds_add_u32 v0, v91
	s_branch .LBB1016_641
.LBB1016_716:                           ;   in Loop: Header=BB1016_12 Depth=1
	v_mov_b32_e32 v0, 0
	s_waitcnt lgkmcnt(0)
	s_barrier
	s_and_saveexec_b64 s[20:21], s[4:5]
	s_cbranch_execz .LBB1016_718
; %bb.717:                              ;   in Loop: Header=BB1016_12 Depth=1
	ds_read2_b64 v[24:27], v59 offset1:1
	s_waitcnt lgkmcnt(0)
	v_add_u32_e32 v0, v25, v24
	v_add3_u32 v0, v0, v26, v27
.LBB1016_718:                           ;   in Loop: Header=BB1016_12 Depth=1
	s_or_b64 exec, exec, s[20:21]
	s_nop 0
	v_mov_b32_dpp v1, v0 row_shr:1 row_mask:0xf bank_mask:0xf
	v_cmp_eq_u32_e64 s[20:21], 0, v103
	v_cndmask_b32_e64 v1, v1, 0, s[20:21]
	v_add_u32_e32 v0, v1, v0
	v_cmp_lt_u32_e64 s[22:23], 1, v103
	v_cmp_lt_u32_e64 s[24:25], 3, v103
	v_mov_b32_dpp v1, v0 row_shr:2 row_mask:0xf bank_mask:0xf
	v_cndmask_b32_e64 v1, 0, v1, s[22:23]
	v_add_u32_e32 v0, v0, v1
	v_cmp_lt_u32_e64 s[26:27], 7, v103
	v_cmp_lt_u32_e64 s[30:31], 31, v102
	v_mov_b32_dpp v1, v0 row_shr:4 row_mask:0xf bank_mask:0xf
	v_cndmask_b32_e64 v1, 0, v1, s[24:25]
	v_add_u32_e32 v0, v0, v1
	v_cmp_eq_u32_e64 s[28:29], 0, v105
	s_nop 0
	v_mov_b32_dpp v1, v0 row_shr:8 row_mask:0xf bank_mask:0xf
	v_cndmask_b32_e64 v1, 0, v1, s[26:27]
	v_add_u32_e32 v0, v0, v1
	s_nop 1
	v_mov_b32_dpp v1, v0 row_bcast:15 row_mask:0xf bank_mask:0xf
	v_and_b32_e32 v1, v104, v1
	v_add_u32_e32 v0, v0, v1
	s_nop 1
	v_mov_b32_dpp v1, v0 row_bcast:31 row_mask:0xf bank_mask:0xf
	v_cndmask_b32_e64 v1, 0, v1, s[30:31]
	v_add_u32_e32 v0, v0, v1
	s_mov_b64 s[34:35], exec
	v_readlane_b32 s8, v232, 0
	v_readlane_b32 s9, v232, 1
	s_and_b64 s[8:9], s[34:35], s[8:9]
	s_mov_b64 exec, s[8:9]
	s_cbranch_execz .LBB1016_720
; %bb.719:                              ;   in Loop: Header=BB1016_12 Depth=1
	ds_write_b32 v61, v0
.LBB1016_720:                           ;   in Loop: Header=BB1016_12 Depth=1
	s_or_b64 exec, exec, s[34:35]
	s_waitcnt lgkmcnt(0)
	s_barrier
	s_mov_b64 s[34:35], exec
	v_readlane_b32 s8, v232, 2
	v_readlane_b32 s9, v232, 3
	s_and_b64 s[8:9], s[34:35], s[8:9]
	s_mov_b64 exec, s[8:9]
	s_cbranch_execz .LBB1016_722
; %bb.721:                              ;   in Loop: Header=BB1016_12 Depth=1
	ds_read_b32 v1, v62
	s_waitcnt lgkmcnt(0)
	s_nop 0
	v_mov_b32_dpp v5, v1 row_shr:1 row_mask:0xf bank_mask:0xf
	v_and_b32_e32 v5, v106, v5
	v_add_u32_e32 v1, v5, v1
	ds_write_b32 v62, v1
.LBB1016_722:                           ;   in Loop: Header=BB1016_12 Depth=1
	s_or_b64 exec, exec, s[34:35]
	v_mov_b32_e32 v1, 0
	s_waitcnt lgkmcnt(0)
	s_barrier
	s_and_saveexec_b64 s[34:35], s[10:11]
	s_cbranch_execz .LBB1016_724
; %bb.723:                              ;   in Loop: Header=BB1016_12 Depth=1
	ds_read_b32 v1, v63
.LBB1016_724:                           ;   in Loop: Header=BB1016_12 Depth=1
	s_or_b64 exec, exec, s[34:35]
	v_cmp_lt_i32_e32 vcc, v107, v108
	v_cndmask_b32_e32 v5, v107, v102, vcc
	s_waitcnt lgkmcnt(0)
	v_add_u32_e32 v0, v1, v0
	v_lshlrev_b32_e32 v129, 2, v5
	ds_bpermute_b32 v0, v129, v0
	v_cmp_eq_u32_e64 s[34:35], 0, v102
	s_waitcnt lgkmcnt(0)
	s_barrier
	s_and_saveexec_b64 s[36:37], s[4:5]
	s_cbranch_execz .LBB1016_726
; %bb.725:                              ;   in Loop: Header=BB1016_12 Depth=1
	v_cndmask_b32_e64 v0, v0, v1, s[34:35]
	v_add_u32_e32 v0, s75, v0
	ds_write_b32 v3, v0
.LBB1016_726:                           ;   in Loop: Header=BB1016_12 Depth=1
	s_or_b64 exec, exec, s[36:37]
	s_load_dwordx2 s[8:9], s[96:97], 0x0
	v_add_co_u32_e32 v130, vcc, v86, v110
	v_addc_co_u32_e32 v131, vcc, 0, v87, vcc
	s_waitcnt lgkmcnt(0)
	s_cmp_lt_u32 s74, s8
	s_cselect_b32 s7, 12, 18
	s_cmp_lt_u32 s33, s9
	s_cselect_b32 s8, 14, 20
	s_add_u32 s8, s96, s8
	s_addc_u32 s9, s97, 0
	s_add_u32 s36, s96, s7
	global_load_ushort v5, v4, s[8:9]
	s_addc_u32 s37, s97, 0
	global_load_ushort v56, v4, s[36:37]
	v_add_co_u32_e32 v132, vcc, v88, v128
	v_addc_co_u32_e32 v133, vcc, 0, v89, vcc
	v_add_co_u32_e32 v148, vcc, 0x800, v132
	v_cmp_eq_u32_e64 s[36:37], 0, v109
	v_cmp_lt_u32_e64 s[38:39], 1, v109
	s_mov_b32 s7, s91
	v_addc_co_u32_e32 v151, vcc, 0, v133, vcc
	s_mov_b32 s94, s75
                                        ; implicit-def: $vgpr0_vgpr1
                                        ; implicit-def: $vgpr24_vgpr25
                                        ; implicit-def: $vgpr26_vgpr27
                                        ; implicit-def: $vgpr28_vgpr29
                                        ; implicit-def: $vgpr32_vgpr33
                                        ; implicit-def: $vgpr36_vgpr37
                                        ; implicit-def: $vgpr40_vgpr41
                                        ; implicit-def: $vgpr44_vgpr45
                                        ; implicit-def: $vgpr48_vgpr49
                                        ; implicit-def: $vgpr30_vgpr31
                                        ; implicit-def: $vgpr34_vgpr35
                                        ; implicit-def: $vgpr38_vgpr39
                                        ; implicit-def: $vgpr42_vgpr43
                                        ; implicit-def: $vgpr46_vgpr47
                                        ; implicit-def: $vgpr50_vgpr51
                                        ; implicit-def: $vgpr52_vgpr53
                                        ; implicit-def: $vgpr54_vgpr55
                                        ; implicit-def: $vgpr134
                                        ; implicit-def: $vgpr135
                                        ; implicit-def: $vgpr136
                                        ; implicit-def: $vgpr137
                                        ; implicit-def: $vgpr138
                                        ; implicit-def: $vgpr139
                                        ; implicit-def: $vgpr140
                                        ; implicit-def: $vgpr141
                                        ; implicit-def: $vgpr142
                                        ; implicit-def: $vgpr143
                                        ; implicit-def: $vgpr144
                                        ; implicit-def: $vgpr145
                                        ; implicit-def: $vgpr146
                                        ; implicit-def: $vgpr147
                                        ; implicit-def: $vgpr149
                                        ; implicit-def: $vgpr150
                                        ; implicit-def: $vgpr152
                                        ; implicit-def: $vgpr154
                                        ; implicit-def: $vgpr155
	s_waitcnt vmcnt(1)
	v_mad_u32_u24 v5, v64, v5, v65
	s_waitcnt vmcnt(0)
	v_mad_u64_u32 v[56:57], s[8:9], v5, v56, v[2:3]
	v_lshrrev_b32_e32 v153, 6, v56
	s_branch .LBB1016_728
.LBB1016_727:                           ;   in Loop: Header=BB1016_728 Depth=2
	s_or_b64 exec, exec, s[40:41]
	s_addk_i32 s7, 0xef00
	s_cmp_lt_u32 s8, s98
	s_mov_b32 s94, s8
	s_cbranch_scc0 .LBB1016_950
.LBB1016_728:                           ;   Parent Loop BB1016_12 Depth=1
                                        ; =>  This Inner Loop Header: Depth=2
	s_add_i32 s8, s94, 0x1100
	s_cmp_gt_u32 s8, s98
	s_cbranch_scc1 .LBB1016_731
; %bb.729:                              ;   in Loop: Header=BB1016_728 Depth=2
	s_lshl_b64 s[40:41], s[94:95], 1
	v_mov_b32_e32 v5, s41
	v_add_co_u32_e32 v56, vcc, s40, v132
	v_addc_co_u32_e32 v57, vcc, v133, v5, vcc
	global_load_ushort v5, v[56:57], off
	global_load_ushort v160, v[56:57], off offset:128
	global_load_ushort v165, v[56:57], off offset:256
	;; [unrolled: 1-line block ×15, first 2 shown]
	s_mov_b64 s[40:41], -1
	s_movk_i32 s9, 0x1100
	s_cbranch_execz .LBB1016_732
; %bb.730:                              ;   in Loop: Header=BB1016_728 Depth=2
                                        ; implicit-def: $sgpr42
	v_mov_b32_e32 v166, s42
	v_mov_b32_e32 v156, s7
	s_and_saveexec_b64 s[42:43], s[40:41]
	s_cbranch_execnz .LBB1016_765
	s_branch .LBB1016_766
.LBB1016_731:                           ;   in Loop: Header=BB1016_728 Depth=2
	s_mov_b64 s[40:41], 0
                                        ; implicit-def: $sgpr9
                                        ; implicit-def: $vgpr5
                                        ; implicit-def: $vgpr160
                                        ; implicit-def: $vgpr165
                                        ; implicit-def: $vgpr171
                                        ; implicit-def: $vgpr176
                                        ; implicit-def: $vgpr181
                                        ; implicit-def: $vgpr186
                                        ; implicit-def: $vgpr191
                                        ; implicit-def: $vgpr193
                                        ; implicit-def: $vgpr188
                                        ; implicit-def: $vgpr184
                                        ; implicit-def: $vgpr179
                                        ; implicit-def: $vgpr174
                                        ; implicit-def: $vgpr169
                                        ; implicit-def: $vgpr164
                                        ; implicit-def: $vgpr159
.LBB1016_732:                           ;   in Loop: Header=BB1016_728 Depth=2
	s_lshl_b64 s[40:41], s[94:95], 1
	s_waitcnt vmcnt(15)
	v_mov_b32_e32 v5, s41
	v_add_co_u32_e32 v56, vcc, s40, v132
	v_addc_co_u32_e32 v57, vcc, v133, v5, vcc
	v_cmp_gt_u32_e32 vcc, s7, v111
	s_waitcnt vmcnt(14)
	v_mov_b32_e32 v160, 0x7fff
	v_mov_b32_e32 v5, 0x7fff
	s_and_saveexec_b64 s[40:41], vcc
	s_cbranch_execz .LBB1016_734
; %bb.733:                              ;   in Loop: Header=BB1016_728 Depth=2
	global_load_ushort v5, v[56:57], off
.LBB1016_734:                           ;   in Loop: Header=BB1016_728 Depth=2
	s_or_b64 exec, exec, s[40:41]
	v_cmp_gt_u32_e32 vcc, s7, v112
	s_and_saveexec_b64 s[40:41], vcc
	s_cbranch_execz .LBB1016_736
; %bb.735:                              ;   in Loop: Header=BB1016_728 Depth=2
	global_load_ushort v160, v[56:57], off offset:128
.LBB1016_736:                           ;   in Loop: Header=BB1016_728 Depth=2
	s_or_b64 exec, exec, s[40:41]
	v_cmp_gt_u32_e32 vcc, s7, v113
	s_waitcnt vmcnt(12)
	v_mov_b32_e32 v171, 0x7fff
	v_mov_b32_e32 v165, 0x7fff
	s_and_saveexec_b64 s[40:41], vcc
	s_cbranch_execz .LBB1016_738
; %bb.737:                              ;   in Loop: Header=BB1016_728 Depth=2
	global_load_ushort v165, v[56:57], off offset:256
.LBB1016_738:                           ;   in Loop: Header=BB1016_728 Depth=2
	s_or_b64 exec, exec, s[40:41]
	v_cmp_gt_u32_e32 vcc, s7, v114
	s_and_saveexec_b64 s[40:41], vcc
	s_cbranch_execz .LBB1016_740
; %bb.739:                              ;   in Loop: Header=BB1016_728 Depth=2
	global_load_ushort v171, v[56:57], off offset:384
.LBB1016_740:                           ;   in Loop: Header=BB1016_728 Depth=2
	s_or_b64 exec, exec, s[40:41]
	v_cmp_gt_u32_e32 vcc, s7, v115
	s_waitcnt vmcnt(10)
	v_mov_b32_e32 v181, 0x7fff
	v_mov_b32_e32 v176, 0x7fff
	s_and_saveexec_b64 s[40:41], vcc
	s_cbranch_execz .LBB1016_742
; %bb.741:                              ;   in Loop: Header=BB1016_728 Depth=2
	global_load_ushort v176, v[56:57], off offset:512
.LBB1016_742:                           ;   in Loop: Header=BB1016_728 Depth=2
	;; [unrolled: 17-line block ×7, first 2 shown]
	s_or_b64 exec, exec, s[40:41]
	v_cmp_gt_u32_e32 vcc, s7, v126
	s_and_saveexec_b64 s[40:41], vcc
	s_cbranch_execz .LBB1016_764
; %bb.763:                              ;   in Loop: Header=BB1016_728 Depth=2
	global_load_ushort v159, v[56:57], off offset:1920
.LBB1016_764:                           ;   in Loop: Header=BB1016_728 Depth=2
	s_or_b64 exec, exec, s[40:41]
	s_sub_i32 s9, s98, s94
	v_cmp_gt_u32_e64 s[40:41], s7, v127
	s_movk_i32 s42, 0x7fff
	v_mov_b32_e32 v166, s42
	v_mov_b32_e32 v156, s7
	s_and_saveexec_b64 s[42:43], s[40:41]
	s_cbranch_execz .LBB1016_766
.LBB1016_765:                           ;   in Loop: Header=BB1016_728 Depth=2
	s_lshl_b64 s[40:41], s[94:95], 1
	v_mov_b32_e32 v57, s41
	v_add_co_u32_e32 v56, vcc, s40, v148
	v_addc_co_u32_e32 v57, vcc, v151, v57, vcc
	global_load_ushort v166, v[56:57], off
	v_mov_b32_e32 v156, s9
.LBB1016_766:                           ;   in Loop: Header=BB1016_728 Depth=2
	s_or_b64 exec, exec, s[42:43]
	s_waitcnt vmcnt(15)
	v_xor_b32_e32 v157, 0xffff8000, v5
	v_lshrrev_b32_sdwa v5, s89, v157 dst_sel:DWORD dst_unused:UNUSED_PAD src0_sel:DWORD src1_sel:WORD_0
	v_and_b32_e32 v56, s6, v5
	v_mad_u32_u24 v5, v56, 5, v153
	v_lshl_add_u32 v158, v5, 2, v66
	v_and_b32_e32 v5, 1, v56
	v_add_co_u32_e32 v57, vcc, -1, v5
	v_addc_co_u32_e64 v161, s[40:41], 0, -1, vcc
	v_cmp_ne_u32_e32 vcc, 0, v5
	v_xor_b32_e32 v5, vcc_hi, v161
	v_and_b32_e32 v161, exec_hi, v5
	v_lshlrev_b32_e32 v5, 30, v56
	v_xor_b32_e32 v57, vcc_lo, v57
	v_cmp_gt_i64_e32 vcc, 0, v[4:5]
	v_not_b32_e32 v5, v5
	v_ashrrev_i32_e32 v5, 31, v5
	v_and_b32_e32 v57, exec_lo, v57
	v_xor_b32_e32 v162, vcc_hi, v5
	v_xor_b32_e32 v5, vcc_lo, v5
	v_and_b32_e32 v57, v57, v5
	v_lshlrev_b32_e32 v5, 29, v56
	v_cmp_gt_i64_e32 vcc, 0, v[4:5]
	v_not_b32_e32 v5, v5
	v_ashrrev_i32_e32 v5, 31, v5
	v_and_b32_e32 v161, v161, v162
	v_xor_b32_e32 v162, vcc_hi, v5
	v_xor_b32_e32 v5, vcc_lo, v5
	v_and_b32_e32 v57, v57, v5
	v_lshlrev_b32_e32 v5, 28, v56
	v_cmp_gt_i64_e32 vcc, 0, v[4:5]
	v_not_b32_e32 v5, v5
	v_ashrrev_i32_e32 v5, 31, v5
	v_and_b32_e32 v161, v161, v162
	v_xor_b32_e32 v162, vcc_hi, v5
	v_xor_b32_e32 v5, vcc_lo, v5
	v_and_b32_e32 v57, v57, v5
	v_lshlrev_b32_e32 v5, 27, v56
	v_cmp_gt_i64_e32 vcc, 0, v[4:5]
	v_not_b32_e32 v5, v5
	v_ashrrev_i32_e32 v5, 31, v5
	v_and_b32_e32 v161, v161, v162
	v_xor_b32_e32 v162, vcc_hi, v5
	v_xor_b32_e32 v5, vcc_lo, v5
	v_and_b32_e32 v57, v57, v5
	v_lshlrev_b32_e32 v5, 26, v56
	v_cmp_gt_i64_e32 vcc, 0, v[4:5]
	v_not_b32_e32 v5, v5
	v_ashrrev_i32_e32 v5, 31, v5
	v_and_b32_e32 v161, v161, v162
	v_xor_b32_e32 v162, vcc_hi, v5
	v_xor_b32_e32 v5, vcc_lo, v5
	v_and_b32_e32 v161, v161, v162
	v_and_b32_e32 v162, v57, v5
	v_lshlrev_b32_e32 v5, 25, v56
	v_cmp_gt_i64_e32 vcc, 0, v[4:5]
	v_not_b32_e32 v5, v5
	v_ashrrev_i32_e32 v5, 31, v5
	v_xor_b32_e32 v56, vcc_hi, v5
	v_xor_b32_e32 v5, vcc_lo, v5
	v_and_b32_e32 v57, v161, v56
	v_and_b32_e32 v56, v162, v5
	v_mbcnt_lo_u32_b32 v5, v56, 0
	v_mbcnt_hi_u32_b32 v161, v57, v5
	v_cmp_eq_u32_e32 vcc, 0, v161
	v_cmp_ne_u64_e64 s[40:41], 0, v[56:57]
	s_and_b64 s[42:43], s[40:41], vcc
	ds_write2_b32 v58, v4, v4 offset0:132 offset1:133
	ds_write_b32 v67, v4 offset:8
	s_waitcnt lgkmcnt(0)
	s_barrier
	s_waitcnt lgkmcnt(0)
	; wave barrier
	s_and_saveexec_b64 s[40:41], s[42:43]
	s_cbranch_execz .LBB1016_768
; %bb.767:                              ;   in Loop: Header=BB1016_728 Depth=2
	v_bcnt_u32_b32 v5, v56, 0
	v_bcnt_u32_b32 v5, v57, v5
	ds_write_b32 v158, v5
.LBB1016_768:                           ;   in Loop: Header=BB1016_728 Depth=2
	s_or_b64 exec, exec, s[40:41]
	s_waitcnt vmcnt(14)
	v_xor_b32_e32 v160, 0xffff8000, v160
	v_lshrrev_b32_sdwa v5, s89, v160 dst_sel:DWORD dst_unused:UNUSED_PAD src0_sel:DWORD src1_sel:WORD_0
	v_and_b32_e32 v56, s6, v5
	v_mul_u32_u24_e32 v5, 5, v56
	v_add_lshl_u32 v5, v5, v153, 2
	; wave barrier
	v_add_u32_e32 v163, 0x210, v5
	ds_read_b32 v162, v5 offset:528
	v_and_b32_e32 v5, 1, v56
	v_add_co_u32_e32 v57, vcc, -1, v5
	v_addc_co_u32_e64 v167, s[40:41], 0, -1, vcc
	v_cmp_ne_u32_e32 vcc, 0, v5
	v_xor_b32_e32 v5, vcc_hi, v167
	v_and_b32_e32 v167, exec_hi, v5
	v_lshlrev_b32_e32 v5, 30, v56
	v_xor_b32_e32 v57, vcc_lo, v57
	v_cmp_gt_i64_e32 vcc, 0, v[4:5]
	v_not_b32_e32 v5, v5
	v_ashrrev_i32_e32 v5, 31, v5
	v_and_b32_e32 v57, exec_lo, v57
	v_xor_b32_e32 v168, vcc_hi, v5
	v_xor_b32_e32 v5, vcc_lo, v5
	v_and_b32_e32 v57, v57, v5
	v_lshlrev_b32_e32 v5, 29, v56
	v_cmp_gt_i64_e32 vcc, 0, v[4:5]
	v_not_b32_e32 v5, v5
	v_ashrrev_i32_e32 v5, 31, v5
	v_and_b32_e32 v167, v167, v168
	v_xor_b32_e32 v168, vcc_hi, v5
	v_xor_b32_e32 v5, vcc_lo, v5
	v_and_b32_e32 v57, v57, v5
	v_lshlrev_b32_e32 v5, 28, v56
	v_cmp_gt_i64_e32 vcc, 0, v[4:5]
	v_not_b32_e32 v5, v5
	v_ashrrev_i32_e32 v5, 31, v5
	v_and_b32_e32 v167, v167, v168
	v_xor_b32_e32 v168, vcc_hi, v5
	v_xor_b32_e32 v5, vcc_lo, v5
	v_and_b32_e32 v57, v57, v5
	v_lshlrev_b32_e32 v5, 27, v56
	v_cmp_gt_i64_e32 vcc, 0, v[4:5]
	v_not_b32_e32 v5, v5
	v_ashrrev_i32_e32 v5, 31, v5
	v_and_b32_e32 v167, v167, v168
	v_xor_b32_e32 v168, vcc_hi, v5
	v_xor_b32_e32 v5, vcc_lo, v5
	v_and_b32_e32 v57, v57, v5
	v_lshlrev_b32_e32 v5, 26, v56
	v_cmp_gt_i64_e32 vcc, 0, v[4:5]
	v_not_b32_e32 v5, v5
	v_ashrrev_i32_e32 v5, 31, v5
	v_and_b32_e32 v167, v167, v168
	v_xor_b32_e32 v168, vcc_hi, v5
	v_xor_b32_e32 v5, vcc_lo, v5
	v_and_b32_e32 v167, v167, v168
	v_and_b32_e32 v168, v57, v5
	v_lshlrev_b32_e32 v5, 25, v56
	v_cmp_gt_i64_e32 vcc, 0, v[4:5]
	v_not_b32_e32 v5, v5
	v_ashrrev_i32_e32 v5, 31, v5
	v_xor_b32_e32 v56, vcc_hi, v5
	v_xor_b32_e32 v5, vcc_lo, v5
	v_and_b32_e32 v57, v167, v56
	v_and_b32_e32 v56, v168, v5
	v_mbcnt_lo_u32_b32 v5, v56, 0
	v_mbcnt_hi_u32_b32 v167, v57, v5
	v_cmp_eq_u32_e32 vcc, 0, v167
	v_cmp_ne_u64_e64 s[40:41], 0, v[56:57]
	s_and_b64 s[42:43], s[40:41], vcc
	; wave barrier
	s_and_saveexec_b64 s[40:41], s[42:43]
	s_cbranch_execz .LBB1016_770
; %bb.769:                              ;   in Loop: Header=BB1016_728 Depth=2
	v_bcnt_u32_b32 v5, v56, 0
	v_bcnt_u32_b32 v5, v57, v5
	s_waitcnt lgkmcnt(0)
	v_add_u32_e32 v5, v162, v5
	ds_write_b32 v163, v5
.LBB1016_770:                           ;   in Loop: Header=BB1016_728 Depth=2
	s_or_b64 exec, exec, s[40:41]
	s_waitcnt vmcnt(13)
	v_xor_b32_e32 v165, 0xffff8000, v165
	v_lshrrev_b32_sdwa v5, s89, v165 dst_sel:DWORD dst_unused:UNUSED_PAD src0_sel:DWORD src1_sel:WORD_0
	v_and_b32_e32 v56, s6, v5
	v_mul_u32_u24_e32 v5, 5, v56
	v_add_lshl_u32 v5, v5, v153, 2
	; wave barrier
	v_add_u32_e32 v170, 0x210, v5
	ds_read_b32 v168, v5 offset:528
	v_and_b32_e32 v5, 1, v56
	v_add_co_u32_e32 v57, vcc, -1, v5
	v_addc_co_u32_e64 v172, s[40:41], 0, -1, vcc
	v_cmp_ne_u32_e32 vcc, 0, v5
	v_xor_b32_e32 v5, vcc_hi, v172
	v_and_b32_e32 v172, exec_hi, v5
	v_lshlrev_b32_e32 v5, 30, v56
	v_xor_b32_e32 v57, vcc_lo, v57
	v_cmp_gt_i64_e32 vcc, 0, v[4:5]
	v_not_b32_e32 v5, v5
	v_ashrrev_i32_e32 v5, 31, v5
	v_and_b32_e32 v57, exec_lo, v57
	v_xor_b32_e32 v173, vcc_hi, v5
	v_xor_b32_e32 v5, vcc_lo, v5
	v_and_b32_e32 v57, v57, v5
	v_lshlrev_b32_e32 v5, 29, v56
	v_cmp_gt_i64_e32 vcc, 0, v[4:5]
	v_not_b32_e32 v5, v5
	v_ashrrev_i32_e32 v5, 31, v5
	v_and_b32_e32 v172, v172, v173
	v_xor_b32_e32 v173, vcc_hi, v5
	v_xor_b32_e32 v5, vcc_lo, v5
	v_and_b32_e32 v57, v57, v5
	v_lshlrev_b32_e32 v5, 28, v56
	v_cmp_gt_i64_e32 vcc, 0, v[4:5]
	v_not_b32_e32 v5, v5
	v_ashrrev_i32_e32 v5, 31, v5
	v_and_b32_e32 v172, v172, v173
	;; [unrolled: 8-line block ×4, first 2 shown]
	v_xor_b32_e32 v173, vcc_hi, v5
	v_xor_b32_e32 v5, vcc_lo, v5
	v_and_b32_e32 v172, v172, v173
	v_and_b32_e32 v173, v57, v5
	v_lshlrev_b32_e32 v5, 25, v56
	v_cmp_gt_i64_e32 vcc, 0, v[4:5]
	v_not_b32_e32 v5, v5
	v_ashrrev_i32_e32 v5, 31, v5
	v_xor_b32_e32 v56, vcc_hi, v5
	v_xor_b32_e32 v5, vcc_lo, v5
	v_and_b32_e32 v57, v172, v56
	v_and_b32_e32 v56, v173, v5
	v_mbcnt_lo_u32_b32 v5, v56, 0
	v_mbcnt_hi_u32_b32 v172, v57, v5
	v_cmp_eq_u32_e32 vcc, 0, v172
	v_cmp_ne_u64_e64 s[40:41], 0, v[56:57]
	s_and_b64 s[42:43], s[40:41], vcc
	; wave barrier
	s_and_saveexec_b64 s[40:41], s[42:43]
	s_cbranch_execz .LBB1016_772
; %bb.771:                              ;   in Loop: Header=BB1016_728 Depth=2
	v_bcnt_u32_b32 v5, v56, 0
	v_bcnt_u32_b32 v5, v57, v5
	s_waitcnt lgkmcnt(0)
	v_add_u32_e32 v5, v168, v5
	ds_write_b32 v170, v5
.LBB1016_772:                           ;   in Loop: Header=BB1016_728 Depth=2
	s_or_b64 exec, exec, s[40:41]
	s_waitcnt vmcnt(12)
	v_xor_b32_e32 v171, 0xffff8000, v171
	v_lshrrev_b32_sdwa v5, s89, v171 dst_sel:DWORD dst_unused:UNUSED_PAD src0_sel:DWORD src1_sel:WORD_0
	v_and_b32_e32 v56, s6, v5
	v_mul_u32_u24_e32 v5, 5, v56
	v_add_lshl_u32 v5, v5, v153, 2
	; wave barrier
	v_add_u32_e32 v175, 0x210, v5
	ds_read_b32 v173, v5 offset:528
	v_and_b32_e32 v5, 1, v56
	v_add_co_u32_e32 v57, vcc, -1, v5
	v_addc_co_u32_e64 v177, s[40:41], 0, -1, vcc
	v_cmp_ne_u32_e32 vcc, 0, v5
	v_xor_b32_e32 v5, vcc_hi, v177
	v_and_b32_e32 v177, exec_hi, v5
	v_lshlrev_b32_e32 v5, 30, v56
	v_xor_b32_e32 v57, vcc_lo, v57
	v_cmp_gt_i64_e32 vcc, 0, v[4:5]
	v_not_b32_e32 v5, v5
	v_ashrrev_i32_e32 v5, 31, v5
	v_and_b32_e32 v57, exec_lo, v57
	v_xor_b32_e32 v178, vcc_hi, v5
	v_xor_b32_e32 v5, vcc_lo, v5
	v_and_b32_e32 v57, v57, v5
	v_lshlrev_b32_e32 v5, 29, v56
	v_cmp_gt_i64_e32 vcc, 0, v[4:5]
	v_not_b32_e32 v5, v5
	v_ashrrev_i32_e32 v5, 31, v5
	v_and_b32_e32 v177, v177, v178
	v_xor_b32_e32 v178, vcc_hi, v5
	v_xor_b32_e32 v5, vcc_lo, v5
	v_and_b32_e32 v57, v57, v5
	v_lshlrev_b32_e32 v5, 28, v56
	v_cmp_gt_i64_e32 vcc, 0, v[4:5]
	v_not_b32_e32 v5, v5
	v_ashrrev_i32_e32 v5, 31, v5
	v_and_b32_e32 v177, v177, v178
	;; [unrolled: 8-line block ×4, first 2 shown]
	v_xor_b32_e32 v178, vcc_hi, v5
	v_xor_b32_e32 v5, vcc_lo, v5
	v_and_b32_e32 v177, v177, v178
	v_and_b32_e32 v178, v57, v5
	v_lshlrev_b32_e32 v5, 25, v56
	v_cmp_gt_i64_e32 vcc, 0, v[4:5]
	v_not_b32_e32 v5, v5
	v_ashrrev_i32_e32 v5, 31, v5
	v_xor_b32_e32 v56, vcc_hi, v5
	v_xor_b32_e32 v5, vcc_lo, v5
	v_and_b32_e32 v57, v177, v56
	v_and_b32_e32 v56, v178, v5
	v_mbcnt_lo_u32_b32 v5, v56, 0
	v_mbcnt_hi_u32_b32 v177, v57, v5
	v_cmp_eq_u32_e32 vcc, 0, v177
	v_cmp_ne_u64_e64 s[40:41], 0, v[56:57]
	s_and_b64 s[42:43], s[40:41], vcc
	; wave barrier
	s_and_saveexec_b64 s[40:41], s[42:43]
	s_cbranch_execz .LBB1016_774
; %bb.773:                              ;   in Loop: Header=BB1016_728 Depth=2
	v_bcnt_u32_b32 v5, v56, 0
	v_bcnt_u32_b32 v5, v57, v5
	s_waitcnt lgkmcnt(0)
	v_add_u32_e32 v5, v173, v5
	ds_write_b32 v175, v5
.LBB1016_774:                           ;   in Loop: Header=BB1016_728 Depth=2
	s_or_b64 exec, exec, s[40:41]
	s_waitcnt vmcnt(11)
	v_xor_b32_e32 v176, 0xffff8000, v176
	v_lshrrev_b32_sdwa v5, s89, v176 dst_sel:DWORD dst_unused:UNUSED_PAD src0_sel:DWORD src1_sel:WORD_0
	v_and_b32_e32 v56, s6, v5
	v_mul_u32_u24_e32 v5, 5, v56
	v_add_lshl_u32 v5, v5, v153, 2
	; wave barrier
	v_add_u32_e32 v180, 0x210, v5
	ds_read_b32 v178, v5 offset:528
	v_and_b32_e32 v5, 1, v56
	v_add_co_u32_e32 v57, vcc, -1, v5
	v_addc_co_u32_e64 v182, s[40:41], 0, -1, vcc
	v_cmp_ne_u32_e32 vcc, 0, v5
	v_xor_b32_e32 v5, vcc_hi, v182
	v_and_b32_e32 v182, exec_hi, v5
	v_lshlrev_b32_e32 v5, 30, v56
	v_xor_b32_e32 v57, vcc_lo, v57
	v_cmp_gt_i64_e32 vcc, 0, v[4:5]
	v_not_b32_e32 v5, v5
	v_ashrrev_i32_e32 v5, 31, v5
	v_and_b32_e32 v57, exec_lo, v57
	v_xor_b32_e32 v183, vcc_hi, v5
	v_xor_b32_e32 v5, vcc_lo, v5
	v_and_b32_e32 v57, v57, v5
	v_lshlrev_b32_e32 v5, 29, v56
	v_cmp_gt_i64_e32 vcc, 0, v[4:5]
	v_not_b32_e32 v5, v5
	v_ashrrev_i32_e32 v5, 31, v5
	v_and_b32_e32 v182, v182, v183
	v_xor_b32_e32 v183, vcc_hi, v5
	v_xor_b32_e32 v5, vcc_lo, v5
	v_and_b32_e32 v57, v57, v5
	v_lshlrev_b32_e32 v5, 28, v56
	v_cmp_gt_i64_e32 vcc, 0, v[4:5]
	v_not_b32_e32 v5, v5
	v_ashrrev_i32_e32 v5, 31, v5
	v_and_b32_e32 v182, v182, v183
	;; [unrolled: 8-line block ×4, first 2 shown]
	v_xor_b32_e32 v183, vcc_hi, v5
	v_xor_b32_e32 v5, vcc_lo, v5
	v_and_b32_e32 v182, v182, v183
	v_and_b32_e32 v183, v57, v5
	v_lshlrev_b32_e32 v5, 25, v56
	v_cmp_gt_i64_e32 vcc, 0, v[4:5]
	v_not_b32_e32 v5, v5
	v_ashrrev_i32_e32 v5, 31, v5
	v_xor_b32_e32 v56, vcc_hi, v5
	v_xor_b32_e32 v5, vcc_lo, v5
	v_and_b32_e32 v57, v182, v56
	v_and_b32_e32 v56, v183, v5
	v_mbcnt_lo_u32_b32 v5, v56, 0
	v_mbcnt_hi_u32_b32 v182, v57, v5
	v_cmp_eq_u32_e32 vcc, 0, v182
	v_cmp_ne_u64_e64 s[40:41], 0, v[56:57]
	s_and_b64 s[42:43], s[40:41], vcc
	; wave barrier
	s_and_saveexec_b64 s[40:41], s[42:43]
	s_cbranch_execz .LBB1016_776
; %bb.775:                              ;   in Loop: Header=BB1016_728 Depth=2
	v_bcnt_u32_b32 v5, v56, 0
	v_bcnt_u32_b32 v5, v57, v5
	s_waitcnt lgkmcnt(0)
	v_add_u32_e32 v5, v178, v5
	ds_write_b32 v180, v5
.LBB1016_776:                           ;   in Loop: Header=BB1016_728 Depth=2
	s_or_b64 exec, exec, s[40:41]
	s_waitcnt vmcnt(10)
	v_xor_b32_e32 v181, 0xffff8000, v181
	v_lshrrev_b32_sdwa v5, s89, v181 dst_sel:DWORD dst_unused:UNUSED_PAD src0_sel:DWORD src1_sel:WORD_0
	v_and_b32_e32 v56, s6, v5
	v_mul_u32_u24_e32 v5, 5, v56
	v_add_lshl_u32 v5, v5, v153, 2
	; wave barrier
	v_add_u32_e32 v185, 0x210, v5
	ds_read_b32 v183, v5 offset:528
	v_and_b32_e32 v5, 1, v56
	v_add_co_u32_e32 v57, vcc, -1, v5
	v_addc_co_u32_e64 v187, s[40:41], 0, -1, vcc
	v_cmp_ne_u32_e32 vcc, 0, v5
	v_xor_b32_e32 v5, vcc_hi, v187
	v_and_b32_e32 v187, exec_hi, v5
	v_lshlrev_b32_e32 v5, 30, v56
	v_xor_b32_e32 v57, vcc_lo, v57
	v_cmp_gt_i64_e32 vcc, 0, v[4:5]
	v_not_b32_e32 v5, v5
	v_ashrrev_i32_e32 v5, 31, v5
	v_and_b32_e32 v57, exec_lo, v57
	v_xor_b32_e32 v189, vcc_hi, v5
	v_xor_b32_e32 v5, vcc_lo, v5
	v_and_b32_e32 v57, v57, v5
	v_lshlrev_b32_e32 v5, 29, v56
	v_cmp_gt_i64_e32 vcc, 0, v[4:5]
	v_not_b32_e32 v5, v5
	v_ashrrev_i32_e32 v5, 31, v5
	v_and_b32_e32 v187, v187, v189
	v_xor_b32_e32 v189, vcc_hi, v5
	v_xor_b32_e32 v5, vcc_lo, v5
	v_and_b32_e32 v57, v57, v5
	v_lshlrev_b32_e32 v5, 28, v56
	v_cmp_gt_i64_e32 vcc, 0, v[4:5]
	v_not_b32_e32 v5, v5
	v_ashrrev_i32_e32 v5, 31, v5
	v_and_b32_e32 v187, v187, v189
	;; [unrolled: 8-line block ×4, first 2 shown]
	v_xor_b32_e32 v189, vcc_hi, v5
	v_xor_b32_e32 v5, vcc_lo, v5
	v_and_b32_e32 v187, v187, v189
	v_and_b32_e32 v189, v57, v5
	v_lshlrev_b32_e32 v5, 25, v56
	v_cmp_gt_i64_e32 vcc, 0, v[4:5]
	v_not_b32_e32 v5, v5
	v_ashrrev_i32_e32 v5, 31, v5
	v_xor_b32_e32 v56, vcc_hi, v5
	v_xor_b32_e32 v5, vcc_lo, v5
	v_and_b32_e32 v57, v187, v56
	v_and_b32_e32 v56, v189, v5
	v_mbcnt_lo_u32_b32 v5, v56, 0
	v_mbcnt_hi_u32_b32 v187, v57, v5
	v_cmp_eq_u32_e32 vcc, 0, v187
	v_cmp_ne_u64_e64 s[40:41], 0, v[56:57]
	s_and_b64 s[42:43], s[40:41], vcc
	; wave barrier
	s_and_saveexec_b64 s[40:41], s[42:43]
	s_cbranch_execz .LBB1016_778
; %bb.777:                              ;   in Loop: Header=BB1016_728 Depth=2
	v_bcnt_u32_b32 v5, v56, 0
	v_bcnt_u32_b32 v5, v57, v5
	s_waitcnt lgkmcnt(0)
	v_add_u32_e32 v5, v183, v5
	ds_write_b32 v185, v5
.LBB1016_778:                           ;   in Loop: Header=BB1016_728 Depth=2
	s_or_b64 exec, exec, s[40:41]
	s_waitcnt vmcnt(9)
	v_xor_b32_e32 v186, 0xffff8000, v186
	v_lshrrev_b32_sdwa v5, s89, v186 dst_sel:DWORD dst_unused:UNUSED_PAD src0_sel:DWORD src1_sel:WORD_0
	v_and_b32_e32 v56, s6, v5
	v_mul_u32_u24_e32 v5, 5, v56
	v_add_lshl_u32 v5, v5, v153, 2
	; wave barrier
	v_add_u32_e32 v190, 0x210, v5
	ds_read_b32 v189, v5 offset:528
	v_and_b32_e32 v5, 1, v56
	v_add_co_u32_e32 v57, vcc, -1, v5
	v_addc_co_u32_e64 v192, s[40:41], 0, -1, vcc
	v_cmp_ne_u32_e32 vcc, 0, v5
	v_xor_b32_e32 v5, vcc_hi, v192
	v_and_b32_e32 v192, exec_hi, v5
	v_lshlrev_b32_e32 v5, 30, v56
	v_xor_b32_e32 v57, vcc_lo, v57
	v_cmp_gt_i64_e32 vcc, 0, v[4:5]
	v_not_b32_e32 v5, v5
	v_ashrrev_i32_e32 v5, 31, v5
	v_and_b32_e32 v57, exec_lo, v57
	v_xor_b32_e32 v194, vcc_hi, v5
	v_xor_b32_e32 v5, vcc_lo, v5
	v_and_b32_e32 v57, v57, v5
	v_lshlrev_b32_e32 v5, 29, v56
	v_cmp_gt_i64_e32 vcc, 0, v[4:5]
	v_not_b32_e32 v5, v5
	v_ashrrev_i32_e32 v5, 31, v5
	v_and_b32_e32 v192, v192, v194
	v_xor_b32_e32 v194, vcc_hi, v5
	v_xor_b32_e32 v5, vcc_lo, v5
	v_and_b32_e32 v57, v57, v5
	v_lshlrev_b32_e32 v5, 28, v56
	v_cmp_gt_i64_e32 vcc, 0, v[4:5]
	v_not_b32_e32 v5, v5
	v_ashrrev_i32_e32 v5, 31, v5
	v_and_b32_e32 v192, v192, v194
	;; [unrolled: 8-line block ×4, first 2 shown]
	v_xor_b32_e32 v194, vcc_hi, v5
	v_xor_b32_e32 v5, vcc_lo, v5
	v_and_b32_e32 v192, v192, v194
	v_and_b32_e32 v194, v57, v5
	v_lshlrev_b32_e32 v5, 25, v56
	v_cmp_gt_i64_e32 vcc, 0, v[4:5]
	v_not_b32_e32 v5, v5
	v_ashrrev_i32_e32 v5, 31, v5
	v_xor_b32_e32 v56, vcc_hi, v5
	v_xor_b32_e32 v5, vcc_lo, v5
	v_and_b32_e32 v57, v192, v56
	v_and_b32_e32 v56, v194, v5
	v_mbcnt_lo_u32_b32 v5, v56, 0
	v_mbcnt_hi_u32_b32 v192, v57, v5
	v_cmp_eq_u32_e32 vcc, 0, v192
	v_cmp_ne_u64_e64 s[40:41], 0, v[56:57]
	s_and_b64 s[42:43], s[40:41], vcc
	; wave barrier
	s_and_saveexec_b64 s[40:41], s[42:43]
	s_cbranch_execz .LBB1016_780
; %bb.779:                              ;   in Loop: Header=BB1016_728 Depth=2
	v_bcnt_u32_b32 v5, v56, 0
	v_bcnt_u32_b32 v5, v57, v5
	s_waitcnt lgkmcnt(0)
	v_add_u32_e32 v5, v189, v5
	ds_write_b32 v190, v5
.LBB1016_780:                           ;   in Loop: Header=BB1016_728 Depth=2
	s_or_b64 exec, exec, s[40:41]
	s_waitcnt vmcnt(8)
	v_xor_b32_e32 v191, 0xffff8000, v191
	v_lshrrev_b32_sdwa v5, s89, v191 dst_sel:DWORD dst_unused:UNUSED_PAD src0_sel:DWORD src1_sel:WORD_0
	v_and_b32_e32 v56, s6, v5
	v_mul_u32_u24_e32 v5, 5, v56
	v_add_lshl_u32 v5, v5, v153, 2
	; wave barrier
	v_add_u32_e32 v195, 0x210, v5
	ds_read_b32 v194, v5 offset:528
	v_and_b32_e32 v5, 1, v56
	v_add_co_u32_e32 v57, vcc, -1, v5
	v_addc_co_u32_e64 v196, s[40:41], 0, -1, vcc
	v_cmp_ne_u32_e32 vcc, 0, v5
	v_xor_b32_e32 v5, vcc_hi, v196
	v_and_b32_e32 v196, exec_hi, v5
	v_lshlrev_b32_e32 v5, 30, v56
	v_xor_b32_e32 v57, vcc_lo, v57
	v_cmp_gt_i64_e32 vcc, 0, v[4:5]
	v_not_b32_e32 v5, v5
	v_ashrrev_i32_e32 v5, 31, v5
	v_and_b32_e32 v57, exec_lo, v57
	v_xor_b32_e32 v197, vcc_hi, v5
	v_xor_b32_e32 v5, vcc_lo, v5
	v_and_b32_e32 v57, v57, v5
	v_lshlrev_b32_e32 v5, 29, v56
	v_cmp_gt_i64_e32 vcc, 0, v[4:5]
	v_not_b32_e32 v5, v5
	v_ashrrev_i32_e32 v5, 31, v5
	v_and_b32_e32 v196, v196, v197
	v_xor_b32_e32 v197, vcc_hi, v5
	v_xor_b32_e32 v5, vcc_lo, v5
	v_and_b32_e32 v57, v57, v5
	v_lshlrev_b32_e32 v5, 28, v56
	v_cmp_gt_i64_e32 vcc, 0, v[4:5]
	v_not_b32_e32 v5, v5
	v_ashrrev_i32_e32 v5, 31, v5
	v_and_b32_e32 v196, v196, v197
	;; [unrolled: 8-line block ×4, first 2 shown]
	v_xor_b32_e32 v197, vcc_hi, v5
	v_xor_b32_e32 v5, vcc_lo, v5
	v_and_b32_e32 v196, v196, v197
	v_and_b32_e32 v197, v57, v5
	v_lshlrev_b32_e32 v5, 25, v56
	v_cmp_gt_i64_e32 vcc, 0, v[4:5]
	v_not_b32_e32 v5, v5
	v_ashrrev_i32_e32 v5, 31, v5
	v_xor_b32_e32 v56, vcc_hi, v5
	v_xor_b32_e32 v5, vcc_lo, v5
	v_and_b32_e32 v57, v196, v56
	v_and_b32_e32 v56, v197, v5
	v_mbcnt_lo_u32_b32 v5, v56, 0
	v_mbcnt_hi_u32_b32 v196, v57, v5
	v_cmp_eq_u32_e32 vcc, 0, v196
	v_cmp_ne_u64_e64 s[40:41], 0, v[56:57]
	s_and_b64 s[42:43], s[40:41], vcc
	; wave barrier
	s_and_saveexec_b64 s[40:41], s[42:43]
	s_cbranch_execz .LBB1016_782
; %bb.781:                              ;   in Loop: Header=BB1016_728 Depth=2
	v_bcnt_u32_b32 v5, v56, 0
	v_bcnt_u32_b32 v5, v57, v5
	s_waitcnt lgkmcnt(0)
	v_add_u32_e32 v5, v194, v5
	ds_write_b32 v195, v5
.LBB1016_782:                           ;   in Loop: Header=BB1016_728 Depth=2
	s_or_b64 exec, exec, s[40:41]
	s_waitcnt vmcnt(7)
	v_xor_b32_e32 v193, 0xffff8000, v193
	v_lshrrev_b32_sdwa v5, s89, v193 dst_sel:DWORD dst_unused:UNUSED_PAD src0_sel:DWORD src1_sel:WORD_0
	v_and_b32_e32 v56, s6, v5
	v_mul_u32_u24_e32 v5, 5, v56
	v_add_lshl_u32 v5, v5, v153, 2
	; wave barrier
	v_add_u32_e32 v198, 0x210, v5
	ds_read_b32 v197, v5 offset:528
	v_and_b32_e32 v5, 1, v56
	v_add_co_u32_e32 v57, vcc, -1, v5
	v_addc_co_u32_e64 v199, s[40:41], 0, -1, vcc
	v_cmp_ne_u32_e32 vcc, 0, v5
	v_xor_b32_e32 v5, vcc_hi, v199
	v_and_b32_e32 v199, exec_hi, v5
	v_lshlrev_b32_e32 v5, 30, v56
	v_xor_b32_e32 v57, vcc_lo, v57
	v_cmp_gt_i64_e32 vcc, 0, v[4:5]
	v_not_b32_e32 v5, v5
	v_ashrrev_i32_e32 v5, 31, v5
	v_and_b32_e32 v57, exec_lo, v57
	v_xor_b32_e32 v200, vcc_hi, v5
	v_xor_b32_e32 v5, vcc_lo, v5
	v_and_b32_e32 v57, v57, v5
	v_lshlrev_b32_e32 v5, 29, v56
	v_cmp_gt_i64_e32 vcc, 0, v[4:5]
	v_not_b32_e32 v5, v5
	v_ashrrev_i32_e32 v5, 31, v5
	v_and_b32_e32 v199, v199, v200
	v_xor_b32_e32 v200, vcc_hi, v5
	v_xor_b32_e32 v5, vcc_lo, v5
	v_and_b32_e32 v57, v57, v5
	v_lshlrev_b32_e32 v5, 28, v56
	v_cmp_gt_i64_e32 vcc, 0, v[4:5]
	v_not_b32_e32 v5, v5
	v_ashrrev_i32_e32 v5, 31, v5
	v_and_b32_e32 v199, v199, v200
	;; [unrolled: 8-line block ×4, first 2 shown]
	v_xor_b32_e32 v200, vcc_hi, v5
	v_xor_b32_e32 v5, vcc_lo, v5
	v_and_b32_e32 v199, v199, v200
	v_and_b32_e32 v200, v57, v5
	v_lshlrev_b32_e32 v5, 25, v56
	v_cmp_gt_i64_e32 vcc, 0, v[4:5]
	v_not_b32_e32 v5, v5
	v_ashrrev_i32_e32 v5, 31, v5
	v_xor_b32_e32 v56, vcc_hi, v5
	v_xor_b32_e32 v5, vcc_lo, v5
	v_and_b32_e32 v57, v199, v56
	v_and_b32_e32 v56, v200, v5
	v_mbcnt_lo_u32_b32 v5, v56, 0
	v_mbcnt_hi_u32_b32 v199, v57, v5
	v_cmp_eq_u32_e32 vcc, 0, v199
	v_cmp_ne_u64_e64 s[40:41], 0, v[56:57]
	s_and_b64 s[42:43], s[40:41], vcc
	; wave barrier
	s_and_saveexec_b64 s[40:41], s[42:43]
	s_cbranch_execz .LBB1016_784
; %bb.783:                              ;   in Loop: Header=BB1016_728 Depth=2
	v_bcnt_u32_b32 v5, v56, 0
	v_bcnt_u32_b32 v5, v57, v5
	s_waitcnt lgkmcnt(0)
	v_add_u32_e32 v5, v197, v5
	ds_write_b32 v198, v5
.LBB1016_784:                           ;   in Loop: Header=BB1016_728 Depth=2
	s_or_b64 exec, exec, s[40:41]
	s_waitcnt vmcnt(6)
	v_xor_b32_e32 v188, 0xffff8000, v188
	v_lshrrev_b32_sdwa v5, s89, v188 dst_sel:DWORD dst_unused:UNUSED_PAD src0_sel:DWORD src1_sel:WORD_0
	v_and_b32_e32 v56, s6, v5
	v_mul_u32_u24_e32 v5, 5, v56
	v_add_lshl_u32 v5, v5, v153, 2
	; wave barrier
	v_add_u32_e32 v201, 0x210, v5
	ds_read_b32 v200, v5 offset:528
	v_and_b32_e32 v5, 1, v56
	v_add_co_u32_e32 v57, vcc, -1, v5
	v_addc_co_u32_e64 v202, s[40:41], 0, -1, vcc
	v_cmp_ne_u32_e32 vcc, 0, v5
	v_xor_b32_e32 v5, vcc_hi, v202
	v_and_b32_e32 v202, exec_hi, v5
	v_lshlrev_b32_e32 v5, 30, v56
	v_xor_b32_e32 v57, vcc_lo, v57
	v_cmp_gt_i64_e32 vcc, 0, v[4:5]
	v_not_b32_e32 v5, v5
	v_ashrrev_i32_e32 v5, 31, v5
	v_and_b32_e32 v57, exec_lo, v57
	v_xor_b32_e32 v203, vcc_hi, v5
	v_xor_b32_e32 v5, vcc_lo, v5
	v_and_b32_e32 v57, v57, v5
	v_lshlrev_b32_e32 v5, 29, v56
	v_cmp_gt_i64_e32 vcc, 0, v[4:5]
	v_not_b32_e32 v5, v5
	v_ashrrev_i32_e32 v5, 31, v5
	v_and_b32_e32 v202, v202, v203
	v_xor_b32_e32 v203, vcc_hi, v5
	v_xor_b32_e32 v5, vcc_lo, v5
	v_and_b32_e32 v57, v57, v5
	v_lshlrev_b32_e32 v5, 28, v56
	v_cmp_gt_i64_e32 vcc, 0, v[4:5]
	v_not_b32_e32 v5, v5
	v_ashrrev_i32_e32 v5, 31, v5
	v_and_b32_e32 v202, v202, v203
	v_xor_b32_e32 v203, vcc_hi, v5
	v_xor_b32_e32 v5, vcc_lo, v5
	v_and_b32_e32 v57, v57, v5
	v_lshlrev_b32_e32 v5, 27, v56
	v_cmp_gt_i64_e32 vcc, 0, v[4:5]
	v_not_b32_e32 v5, v5
	v_ashrrev_i32_e32 v5, 31, v5
	v_and_b32_e32 v202, v202, v203
	v_xor_b32_e32 v203, vcc_hi, v5
	v_xor_b32_e32 v5, vcc_lo, v5
	v_and_b32_e32 v57, v57, v5
	v_lshlrev_b32_e32 v5, 26, v56
	v_cmp_gt_i64_e32 vcc, 0, v[4:5]
	v_not_b32_e32 v5, v5
	v_ashrrev_i32_e32 v5, 31, v5
	v_and_b32_e32 v202, v202, v203
	v_xor_b32_e32 v203, vcc_hi, v5
	v_xor_b32_e32 v5, vcc_lo, v5
	v_and_b32_e32 v202, v202, v203
	v_and_b32_e32 v203, v57, v5
	v_lshlrev_b32_e32 v5, 25, v56
	v_cmp_gt_i64_e32 vcc, 0, v[4:5]
	v_not_b32_e32 v5, v5
	v_ashrrev_i32_e32 v5, 31, v5
	v_xor_b32_e32 v56, vcc_hi, v5
	v_xor_b32_e32 v5, vcc_lo, v5
	v_and_b32_e32 v57, v202, v56
	v_and_b32_e32 v56, v203, v5
	v_mbcnt_lo_u32_b32 v5, v56, 0
	v_mbcnt_hi_u32_b32 v202, v57, v5
	v_cmp_eq_u32_e32 vcc, 0, v202
	v_cmp_ne_u64_e64 s[40:41], 0, v[56:57]
	s_and_b64 s[42:43], s[40:41], vcc
	; wave barrier
	s_and_saveexec_b64 s[40:41], s[42:43]
	s_cbranch_execz .LBB1016_786
; %bb.785:                              ;   in Loop: Header=BB1016_728 Depth=2
	v_bcnt_u32_b32 v5, v56, 0
	v_bcnt_u32_b32 v5, v57, v5
	s_waitcnt lgkmcnt(0)
	v_add_u32_e32 v5, v200, v5
	ds_write_b32 v201, v5
.LBB1016_786:                           ;   in Loop: Header=BB1016_728 Depth=2
	s_or_b64 exec, exec, s[40:41]
	s_waitcnt vmcnt(5)
	v_xor_b32_e32 v184, 0xffff8000, v184
	v_lshrrev_b32_sdwa v5, s89, v184 dst_sel:DWORD dst_unused:UNUSED_PAD src0_sel:DWORD src1_sel:WORD_0
	v_and_b32_e32 v56, s6, v5
	v_mul_u32_u24_e32 v5, 5, v56
	v_add_lshl_u32 v5, v5, v153, 2
	; wave barrier
	v_add_u32_e32 v205, 0x210, v5
	ds_read_b32 v203, v5 offset:528
	v_and_b32_e32 v5, 1, v56
	v_add_co_u32_e32 v57, vcc, -1, v5
	v_addc_co_u32_e64 v204, s[40:41], 0, -1, vcc
	v_cmp_ne_u32_e32 vcc, 0, v5
	v_xor_b32_e32 v5, vcc_hi, v204
	v_and_b32_e32 v204, exec_hi, v5
	v_lshlrev_b32_e32 v5, 30, v56
	v_xor_b32_e32 v57, vcc_lo, v57
	v_cmp_gt_i64_e32 vcc, 0, v[4:5]
	v_not_b32_e32 v5, v5
	v_ashrrev_i32_e32 v5, 31, v5
	v_and_b32_e32 v57, exec_lo, v57
	v_xor_b32_e32 v206, vcc_hi, v5
	v_xor_b32_e32 v5, vcc_lo, v5
	v_and_b32_e32 v57, v57, v5
	v_lshlrev_b32_e32 v5, 29, v56
	v_cmp_gt_i64_e32 vcc, 0, v[4:5]
	v_not_b32_e32 v5, v5
	v_ashrrev_i32_e32 v5, 31, v5
	v_and_b32_e32 v204, v204, v206
	v_xor_b32_e32 v206, vcc_hi, v5
	v_xor_b32_e32 v5, vcc_lo, v5
	v_and_b32_e32 v57, v57, v5
	v_lshlrev_b32_e32 v5, 28, v56
	v_cmp_gt_i64_e32 vcc, 0, v[4:5]
	v_not_b32_e32 v5, v5
	v_ashrrev_i32_e32 v5, 31, v5
	v_and_b32_e32 v204, v204, v206
	;; [unrolled: 8-line block ×4, first 2 shown]
	v_xor_b32_e32 v206, vcc_hi, v5
	v_xor_b32_e32 v5, vcc_lo, v5
	v_and_b32_e32 v204, v204, v206
	v_and_b32_e32 v206, v57, v5
	v_lshlrev_b32_e32 v5, 25, v56
	v_cmp_gt_i64_e32 vcc, 0, v[4:5]
	v_not_b32_e32 v5, v5
	v_ashrrev_i32_e32 v5, 31, v5
	v_xor_b32_e32 v56, vcc_hi, v5
	v_xor_b32_e32 v5, vcc_lo, v5
	v_and_b32_e32 v57, v204, v56
	v_and_b32_e32 v56, v206, v5
	v_mbcnt_lo_u32_b32 v5, v56, 0
	v_mbcnt_hi_u32_b32 v206, v57, v5
	v_cmp_eq_u32_e32 vcc, 0, v206
	v_cmp_ne_u64_e64 s[40:41], 0, v[56:57]
	s_and_b64 s[42:43], s[40:41], vcc
	; wave barrier
	s_and_saveexec_b64 s[40:41], s[42:43]
	s_cbranch_execz .LBB1016_788
; %bb.787:                              ;   in Loop: Header=BB1016_728 Depth=2
	v_bcnt_u32_b32 v5, v56, 0
	v_bcnt_u32_b32 v5, v57, v5
	s_waitcnt lgkmcnt(0)
	v_add_u32_e32 v5, v203, v5
	ds_write_b32 v205, v5
.LBB1016_788:                           ;   in Loop: Header=BB1016_728 Depth=2
	s_or_b64 exec, exec, s[40:41]
	s_waitcnt vmcnt(4)
	v_xor_b32_e32 v204, 0xffff8000, v179
	v_lshrrev_b32_sdwa v5, s89, v204 dst_sel:DWORD dst_unused:UNUSED_PAD src0_sel:DWORD src1_sel:WORD_0
	v_and_b32_e32 v56, s6, v5
	v_mul_u32_u24_e32 v5, 5, v56
	v_add_lshl_u32 v5, v5, v153, 2
	; wave barrier
	v_add_u32_e32 v179, 0x210, v5
	ds_read_b32 v207, v5 offset:528
	v_and_b32_e32 v5, 1, v56
	v_add_co_u32_e32 v57, vcc, -1, v5
	v_addc_co_u32_e64 v208, s[40:41], 0, -1, vcc
	v_cmp_ne_u32_e32 vcc, 0, v5
	v_xor_b32_e32 v5, vcc_hi, v208
	v_and_b32_e32 v208, exec_hi, v5
	v_lshlrev_b32_e32 v5, 30, v56
	v_xor_b32_e32 v57, vcc_lo, v57
	v_cmp_gt_i64_e32 vcc, 0, v[4:5]
	v_not_b32_e32 v5, v5
	v_ashrrev_i32_e32 v5, 31, v5
	v_and_b32_e32 v57, exec_lo, v57
	v_xor_b32_e32 v209, vcc_hi, v5
	v_xor_b32_e32 v5, vcc_lo, v5
	v_and_b32_e32 v57, v57, v5
	v_lshlrev_b32_e32 v5, 29, v56
	v_cmp_gt_i64_e32 vcc, 0, v[4:5]
	v_not_b32_e32 v5, v5
	v_ashrrev_i32_e32 v5, 31, v5
	v_and_b32_e32 v208, v208, v209
	v_xor_b32_e32 v209, vcc_hi, v5
	v_xor_b32_e32 v5, vcc_lo, v5
	v_and_b32_e32 v57, v57, v5
	v_lshlrev_b32_e32 v5, 28, v56
	v_cmp_gt_i64_e32 vcc, 0, v[4:5]
	v_not_b32_e32 v5, v5
	v_ashrrev_i32_e32 v5, 31, v5
	v_and_b32_e32 v208, v208, v209
	;; [unrolled: 8-line block ×4, first 2 shown]
	v_xor_b32_e32 v209, vcc_hi, v5
	v_xor_b32_e32 v5, vcc_lo, v5
	v_and_b32_e32 v208, v208, v209
	v_and_b32_e32 v209, v57, v5
	v_lshlrev_b32_e32 v5, 25, v56
	v_cmp_gt_i64_e32 vcc, 0, v[4:5]
	v_not_b32_e32 v5, v5
	v_ashrrev_i32_e32 v5, 31, v5
	v_xor_b32_e32 v56, vcc_hi, v5
	v_xor_b32_e32 v5, vcc_lo, v5
	v_and_b32_e32 v57, v208, v56
	v_and_b32_e32 v56, v209, v5
	v_mbcnt_lo_u32_b32 v5, v56, 0
	v_mbcnt_hi_u32_b32 v209, v57, v5
	v_cmp_eq_u32_e32 vcc, 0, v209
	v_cmp_ne_u64_e64 s[40:41], 0, v[56:57]
	s_and_b64 s[42:43], s[40:41], vcc
	; wave barrier
	s_and_saveexec_b64 s[40:41], s[42:43]
	s_cbranch_execz .LBB1016_790
; %bb.789:                              ;   in Loop: Header=BB1016_728 Depth=2
	v_bcnt_u32_b32 v5, v56, 0
	v_bcnt_u32_b32 v5, v57, v5
	s_waitcnt lgkmcnt(0)
	v_add_u32_e32 v5, v207, v5
	ds_write_b32 v179, v5
.LBB1016_790:                           ;   in Loop: Header=BB1016_728 Depth=2
	s_or_b64 exec, exec, s[40:41]
	s_waitcnt vmcnt(3)
	v_xor_b32_e32 v208, 0xffff8000, v174
	v_lshrrev_b32_sdwa v5, s89, v208 dst_sel:DWORD dst_unused:UNUSED_PAD src0_sel:DWORD src1_sel:WORD_0
	v_and_b32_e32 v56, s6, v5
	v_mul_u32_u24_e32 v5, 5, v56
	v_add_lshl_u32 v5, v5, v153, 2
	; wave barrier
	v_add_u32_e32 v174, 0x210, v5
	ds_read_b32 v210, v5 offset:528
	v_and_b32_e32 v5, 1, v56
	v_add_co_u32_e32 v57, vcc, -1, v5
	v_addc_co_u32_e64 v211, s[40:41], 0, -1, vcc
	v_cmp_ne_u32_e32 vcc, 0, v5
	v_xor_b32_e32 v5, vcc_hi, v211
	v_and_b32_e32 v211, exec_hi, v5
	v_lshlrev_b32_e32 v5, 30, v56
	v_xor_b32_e32 v57, vcc_lo, v57
	v_cmp_gt_i64_e32 vcc, 0, v[4:5]
	v_not_b32_e32 v5, v5
	v_ashrrev_i32_e32 v5, 31, v5
	v_and_b32_e32 v57, exec_lo, v57
	v_xor_b32_e32 v212, vcc_hi, v5
	v_xor_b32_e32 v5, vcc_lo, v5
	v_and_b32_e32 v57, v57, v5
	v_lshlrev_b32_e32 v5, 29, v56
	v_cmp_gt_i64_e32 vcc, 0, v[4:5]
	v_not_b32_e32 v5, v5
	v_ashrrev_i32_e32 v5, 31, v5
	v_and_b32_e32 v211, v211, v212
	v_xor_b32_e32 v212, vcc_hi, v5
	v_xor_b32_e32 v5, vcc_lo, v5
	v_and_b32_e32 v57, v57, v5
	v_lshlrev_b32_e32 v5, 28, v56
	v_cmp_gt_i64_e32 vcc, 0, v[4:5]
	v_not_b32_e32 v5, v5
	v_ashrrev_i32_e32 v5, 31, v5
	v_and_b32_e32 v211, v211, v212
	;; [unrolled: 8-line block ×4, first 2 shown]
	v_xor_b32_e32 v212, vcc_hi, v5
	v_xor_b32_e32 v5, vcc_lo, v5
	v_and_b32_e32 v211, v211, v212
	v_and_b32_e32 v212, v57, v5
	v_lshlrev_b32_e32 v5, 25, v56
	v_cmp_gt_i64_e32 vcc, 0, v[4:5]
	v_not_b32_e32 v5, v5
	v_ashrrev_i32_e32 v5, 31, v5
	v_xor_b32_e32 v56, vcc_hi, v5
	v_xor_b32_e32 v5, vcc_lo, v5
	v_and_b32_e32 v57, v211, v56
	v_and_b32_e32 v56, v212, v5
	v_mbcnt_lo_u32_b32 v5, v56, 0
	v_mbcnt_hi_u32_b32 v212, v57, v5
	v_cmp_eq_u32_e32 vcc, 0, v212
	v_cmp_ne_u64_e64 s[40:41], 0, v[56:57]
	s_and_b64 s[42:43], s[40:41], vcc
	; wave barrier
	s_and_saveexec_b64 s[40:41], s[42:43]
	s_cbranch_execz .LBB1016_792
; %bb.791:                              ;   in Loop: Header=BB1016_728 Depth=2
	v_bcnt_u32_b32 v5, v56, 0
	v_bcnt_u32_b32 v5, v57, v5
	s_waitcnt lgkmcnt(0)
	v_add_u32_e32 v5, v210, v5
	ds_write_b32 v174, v5
.LBB1016_792:                           ;   in Loop: Header=BB1016_728 Depth=2
	s_or_b64 exec, exec, s[40:41]
	s_waitcnt vmcnt(2)
	v_xor_b32_e32 v211, 0xffff8000, v169
	v_lshrrev_b32_sdwa v5, s89, v211 dst_sel:DWORD dst_unused:UNUSED_PAD src0_sel:DWORD src1_sel:WORD_0
	v_and_b32_e32 v56, s6, v5
	v_mul_u32_u24_e32 v5, 5, v56
	v_add_lshl_u32 v5, v5, v153, 2
	; wave barrier
	v_add_u32_e32 v169, 0x210, v5
	ds_read_b32 v213, v5 offset:528
	v_and_b32_e32 v5, 1, v56
	v_add_co_u32_e32 v57, vcc, -1, v5
	v_addc_co_u32_e64 v214, s[40:41], 0, -1, vcc
	v_cmp_ne_u32_e32 vcc, 0, v5
	v_xor_b32_e32 v5, vcc_hi, v214
	v_and_b32_e32 v214, exec_hi, v5
	v_lshlrev_b32_e32 v5, 30, v56
	v_xor_b32_e32 v57, vcc_lo, v57
	v_cmp_gt_i64_e32 vcc, 0, v[4:5]
	v_not_b32_e32 v5, v5
	v_ashrrev_i32_e32 v5, 31, v5
	v_and_b32_e32 v57, exec_lo, v57
	v_xor_b32_e32 v215, vcc_hi, v5
	v_xor_b32_e32 v5, vcc_lo, v5
	v_and_b32_e32 v57, v57, v5
	v_lshlrev_b32_e32 v5, 29, v56
	v_cmp_gt_i64_e32 vcc, 0, v[4:5]
	v_not_b32_e32 v5, v5
	v_ashrrev_i32_e32 v5, 31, v5
	v_and_b32_e32 v214, v214, v215
	v_xor_b32_e32 v215, vcc_hi, v5
	v_xor_b32_e32 v5, vcc_lo, v5
	v_and_b32_e32 v57, v57, v5
	v_lshlrev_b32_e32 v5, 28, v56
	v_cmp_gt_i64_e32 vcc, 0, v[4:5]
	v_not_b32_e32 v5, v5
	v_ashrrev_i32_e32 v5, 31, v5
	v_and_b32_e32 v214, v214, v215
	;; [unrolled: 8-line block ×4, first 2 shown]
	v_xor_b32_e32 v215, vcc_hi, v5
	v_xor_b32_e32 v5, vcc_lo, v5
	v_and_b32_e32 v214, v214, v215
	v_and_b32_e32 v215, v57, v5
	v_lshlrev_b32_e32 v5, 25, v56
	v_cmp_gt_i64_e32 vcc, 0, v[4:5]
	v_not_b32_e32 v5, v5
	v_ashrrev_i32_e32 v5, 31, v5
	v_xor_b32_e32 v56, vcc_hi, v5
	v_xor_b32_e32 v5, vcc_lo, v5
	v_and_b32_e32 v57, v214, v56
	v_and_b32_e32 v56, v215, v5
	v_mbcnt_lo_u32_b32 v5, v56, 0
	v_mbcnt_hi_u32_b32 v215, v57, v5
	v_cmp_eq_u32_e32 vcc, 0, v215
	v_cmp_ne_u64_e64 s[40:41], 0, v[56:57]
	s_and_b64 s[42:43], s[40:41], vcc
	; wave barrier
	s_and_saveexec_b64 s[40:41], s[42:43]
	s_cbranch_execz .LBB1016_794
; %bb.793:                              ;   in Loop: Header=BB1016_728 Depth=2
	v_bcnt_u32_b32 v5, v56, 0
	v_bcnt_u32_b32 v5, v57, v5
	s_waitcnt lgkmcnt(0)
	v_add_u32_e32 v5, v213, v5
	ds_write_b32 v169, v5
.LBB1016_794:                           ;   in Loop: Header=BB1016_728 Depth=2
	s_or_b64 exec, exec, s[40:41]
	s_waitcnt vmcnt(0)
	v_xor_b32_e32 v214, 0xffff8000, v164
	v_lshrrev_b32_sdwa v5, s89, v214 dst_sel:DWORD dst_unused:UNUSED_PAD src0_sel:DWORD src1_sel:WORD_0
	v_and_b32_e32 v56, s6, v5
	v_mul_u32_u24_e32 v5, 5, v56
	v_add_lshl_u32 v5, v5, v153, 2
	; wave barrier
	v_add_u32_e32 v164, 0x210, v5
	ds_read_b32 v216, v5 offset:528
	v_and_b32_e32 v5, 1, v56
	v_add_co_u32_e32 v57, vcc, -1, v5
	v_addc_co_u32_e64 v217, s[40:41], 0, -1, vcc
	v_cmp_ne_u32_e32 vcc, 0, v5
	v_xor_b32_e32 v5, vcc_hi, v217
	v_and_b32_e32 v217, exec_hi, v5
	v_lshlrev_b32_e32 v5, 30, v56
	v_xor_b32_e32 v57, vcc_lo, v57
	v_cmp_gt_i64_e32 vcc, 0, v[4:5]
	v_not_b32_e32 v5, v5
	v_ashrrev_i32_e32 v5, 31, v5
	v_and_b32_e32 v57, exec_lo, v57
	v_xor_b32_e32 v218, vcc_hi, v5
	v_xor_b32_e32 v5, vcc_lo, v5
	v_and_b32_e32 v57, v57, v5
	v_lshlrev_b32_e32 v5, 29, v56
	v_cmp_gt_i64_e32 vcc, 0, v[4:5]
	v_not_b32_e32 v5, v5
	v_ashrrev_i32_e32 v5, 31, v5
	v_and_b32_e32 v217, v217, v218
	v_xor_b32_e32 v218, vcc_hi, v5
	v_xor_b32_e32 v5, vcc_lo, v5
	v_and_b32_e32 v57, v57, v5
	v_lshlrev_b32_e32 v5, 28, v56
	v_cmp_gt_i64_e32 vcc, 0, v[4:5]
	v_not_b32_e32 v5, v5
	v_ashrrev_i32_e32 v5, 31, v5
	v_and_b32_e32 v217, v217, v218
	;; [unrolled: 8-line block ×4, first 2 shown]
	v_xor_b32_e32 v218, vcc_hi, v5
	v_xor_b32_e32 v5, vcc_lo, v5
	v_and_b32_e32 v217, v217, v218
	v_and_b32_e32 v218, v57, v5
	v_lshlrev_b32_e32 v5, 25, v56
	v_cmp_gt_i64_e32 vcc, 0, v[4:5]
	v_not_b32_e32 v5, v5
	v_ashrrev_i32_e32 v5, 31, v5
	v_xor_b32_e32 v56, vcc_hi, v5
	v_xor_b32_e32 v5, vcc_lo, v5
	v_and_b32_e32 v57, v217, v56
	v_and_b32_e32 v56, v218, v5
	v_mbcnt_lo_u32_b32 v5, v56, 0
	v_mbcnt_hi_u32_b32 v218, v57, v5
	v_cmp_eq_u32_e32 vcc, 0, v218
	v_cmp_ne_u64_e64 s[40:41], 0, v[56:57]
	s_and_b64 s[42:43], s[40:41], vcc
	; wave barrier
	s_and_saveexec_b64 s[40:41], s[42:43]
	s_cbranch_execz .LBB1016_796
; %bb.795:                              ;   in Loop: Header=BB1016_728 Depth=2
	v_bcnt_u32_b32 v5, v56, 0
	v_bcnt_u32_b32 v5, v57, v5
	s_waitcnt lgkmcnt(0)
	v_add_u32_e32 v5, v216, v5
	ds_write_b32 v164, v5
.LBB1016_796:                           ;   in Loop: Header=BB1016_728 Depth=2
	s_or_b64 exec, exec, s[40:41]
	v_xor_b32_e32 v217, 0xffff8000, v159
	v_lshrrev_b32_sdwa v5, s89, v217 dst_sel:DWORD dst_unused:UNUSED_PAD src0_sel:DWORD src1_sel:WORD_0
	v_and_b32_e32 v56, s6, v5
	v_mul_u32_u24_e32 v5, 5, v56
	v_add_lshl_u32 v5, v5, v153, 2
	; wave barrier
	v_add_u32_e32 v159, 0x210, v5
	ds_read_b32 v219, v5 offset:528
	v_and_b32_e32 v5, 1, v56
	v_add_co_u32_e32 v57, vcc, -1, v5
	v_addc_co_u32_e64 v220, s[40:41], 0, -1, vcc
	v_cmp_ne_u32_e32 vcc, 0, v5
	v_xor_b32_e32 v5, vcc_hi, v220
	v_and_b32_e32 v220, exec_hi, v5
	v_lshlrev_b32_e32 v5, 30, v56
	v_xor_b32_e32 v57, vcc_lo, v57
	v_cmp_gt_i64_e32 vcc, 0, v[4:5]
	v_not_b32_e32 v5, v5
	v_ashrrev_i32_e32 v5, 31, v5
	v_and_b32_e32 v57, exec_lo, v57
	v_xor_b32_e32 v221, vcc_hi, v5
	v_xor_b32_e32 v5, vcc_lo, v5
	v_and_b32_e32 v57, v57, v5
	v_lshlrev_b32_e32 v5, 29, v56
	v_cmp_gt_i64_e32 vcc, 0, v[4:5]
	v_not_b32_e32 v5, v5
	v_ashrrev_i32_e32 v5, 31, v5
	v_and_b32_e32 v220, v220, v221
	v_xor_b32_e32 v221, vcc_hi, v5
	v_xor_b32_e32 v5, vcc_lo, v5
	v_and_b32_e32 v57, v57, v5
	v_lshlrev_b32_e32 v5, 28, v56
	v_cmp_gt_i64_e32 vcc, 0, v[4:5]
	v_not_b32_e32 v5, v5
	v_ashrrev_i32_e32 v5, 31, v5
	v_and_b32_e32 v220, v220, v221
	v_xor_b32_e32 v221, vcc_hi, v5
	v_xor_b32_e32 v5, vcc_lo, v5
	v_and_b32_e32 v57, v57, v5
	v_lshlrev_b32_e32 v5, 27, v56
	v_cmp_gt_i64_e32 vcc, 0, v[4:5]
	v_not_b32_e32 v5, v5
	v_ashrrev_i32_e32 v5, 31, v5
	v_and_b32_e32 v220, v220, v221
	v_xor_b32_e32 v221, vcc_hi, v5
	v_xor_b32_e32 v5, vcc_lo, v5
	v_and_b32_e32 v57, v57, v5
	v_lshlrev_b32_e32 v5, 26, v56
	v_cmp_gt_i64_e32 vcc, 0, v[4:5]
	v_not_b32_e32 v5, v5
	v_ashrrev_i32_e32 v5, 31, v5
	v_and_b32_e32 v220, v220, v221
	v_xor_b32_e32 v221, vcc_hi, v5
	v_xor_b32_e32 v5, vcc_lo, v5
	v_and_b32_e32 v220, v220, v221
	v_and_b32_e32 v221, v57, v5
	v_lshlrev_b32_e32 v5, 25, v56
	v_cmp_gt_i64_e32 vcc, 0, v[4:5]
	v_not_b32_e32 v5, v5
	v_ashrrev_i32_e32 v5, 31, v5
	v_xor_b32_e32 v56, vcc_hi, v5
	v_xor_b32_e32 v5, vcc_lo, v5
	v_and_b32_e32 v57, v220, v56
	v_and_b32_e32 v56, v221, v5
	v_mbcnt_lo_u32_b32 v5, v56, 0
	v_mbcnt_hi_u32_b32 v221, v57, v5
	v_cmp_eq_u32_e32 vcc, 0, v221
	v_cmp_ne_u64_e64 s[40:41], 0, v[56:57]
	s_and_b64 s[42:43], s[40:41], vcc
	; wave barrier
	s_and_saveexec_b64 s[40:41], s[42:43]
	s_cbranch_execz .LBB1016_798
; %bb.797:                              ;   in Loop: Header=BB1016_728 Depth=2
	v_bcnt_u32_b32 v5, v56, 0
	v_bcnt_u32_b32 v5, v57, v5
	s_waitcnt lgkmcnt(0)
	v_add_u32_e32 v5, v219, v5
	ds_write_b32 v159, v5
.LBB1016_798:                           ;   in Loop: Header=BB1016_728 Depth=2
	s_or_b64 exec, exec, s[40:41]
	v_xor_b32_e32 v220, 0xffff8000, v166
	v_lshrrev_b32_sdwa v5, s89, v220 dst_sel:DWORD dst_unused:UNUSED_PAD src0_sel:DWORD src1_sel:WORD_0
	v_and_b32_e32 v56, s6, v5
	v_mul_u32_u24_e32 v5, 5, v56
	v_add_lshl_u32 v5, v5, v153, 2
	; wave barrier
	v_add_u32_e32 v166, 0x210, v5
	ds_read_b32 v222, v5 offset:528
	v_and_b32_e32 v5, 1, v56
	v_add_co_u32_e32 v57, vcc, -1, v5
	v_addc_co_u32_e64 v223, s[40:41], 0, -1, vcc
	v_cmp_ne_u32_e32 vcc, 0, v5
	v_xor_b32_e32 v5, vcc_hi, v223
	v_and_b32_e32 v223, exec_hi, v5
	v_lshlrev_b32_e32 v5, 30, v56
	v_xor_b32_e32 v57, vcc_lo, v57
	v_cmp_gt_i64_e32 vcc, 0, v[4:5]
	v_not_b32_e32 v5, v5
	v_ashrrev_i32_e32 v5, 31, v5
	v_and_b32_e32 v57, exec_lo, v57
	v_xor_b32_e32 v224, vcc_hi, v5
	v_xor_b32_e32 v5, vcc_lo, v5
	v_and_b32_e32 v57, v57, v5
	v_lshlrev_b32_e32 v5, 29, v56
	v_cmp_gt_i64_e32 vcc, 0, v[4:5]
	v_not_b32_e32 v5, v5
	v_ashrrev_i32_e32 v5, 31, v5
	v_and_b32_e32 v223, v223, v224
	v_xor_b32_e32 v224, vcc_hi, v5
	v_xor_b32_e32 v5, vcc_lo, v5
	v_and_b32_e32 v57, v57, v5
	v_lshlrev_b32_e32 v5, 28, v56
	v_cmp_gt_i64_e32 vcc, 0, v[4:5]
	v_not_b32_e32 v5, v5
	v_ashrrev_i32_e32 v5, 31, v5
	v_and_b32_e32 v223, v223, v224
	;; [unrolled: 8-line block ×4, first 2 shown]
	v_xor_b32_e32 v224, vcc_hi, v5
	v_xor_b32_e32 v5, vcc_lo, v5
	v_and_b32_e32 v223, v223, v224
	v_and_b32_e32 v224, v57, v5
	v_lshlrev_b32_e32 v5, 25, v56
	v_cmp_gt_i64_e32 vcc, 0, v[4:5]
	v_not_b32_e32 v5, v5
	v_ashrrev_i32_e32 v5, 31, v5
	v_xor_b32_e32 v56, vcc_hi, v5
	v_xor_b32_e32 v5, vcc_lo, v5
	v_and_b32_e32 v57, v223, v56
	v_and_b32_e32 v56, v224, v5
	v_mbcnt_lo_u32_b32 v5, v56, 0
	v_mbcnt_hi_u32_b32 v5, v57, v5
	v_cmp_eq_u32_e32 vcc, 0, v5
	v_cmp_ne_u64_e64 s[40:41], 0, v[56:57]
	s_and_b64 s[42:43], s[40:41], vcc
	; wave barrier
	s_and_saveexec_b64 s[40:41], s[42:43]
	s_cbranch_execz .LBB1016_800
; %bb.799:                              ;   in Loop: Header=BB1016_728 Depth=2
	v_bcnt_u32_b32 v56, v56, 0
	v_bcnt_u32_b32 v56, v57, v56
	s_waitcnt lgkmcnt(0)
	v_add_u32_e32 v56, v222, v56
	ds_write_b32 v166, v56
.LBB1016_800:                           ;   in Loop: Header=BB1016_728 Depth=2
	s_or_b64 exec, exec, s[40:41]
	; wave barrier
	s_waitcnt lgkmcnt(0)
	s_barrier
	ds_read_b32 v223, v58 offset:528
	ds_read2_b32 v[56:57], v67 offset0:1 offset1:2
	s_waitcnt lgkmcnt(0)
	v_add3_u32 v57, v56, v223, v57
	s_nop 1
	v_mov_b32_dpp v224, v57 row_shr:1 row_mask:0xf bank_mask:0xf
	v_cndmask_b32_e64 v224, v224, 0, s[20:21]
	v_add_u32_e32 v57, v224, v57
	s_nop 1
	v_mov_b32_dpp v224, v57 row_shr:2 row_mask:0xf bank_mask:0xf
	v_cndmask_b32_e64 v224, 0, v224, s[22:23]
	v_add_u32_e32 v57, v57, v224
	;; [unrolled: 4-line block ×4, first 2 shown]
	s_nop 1
	v_mov_b32_dpp v224, v57 row_bcast:15 row_mask:0xf bank_mask:0xf
	v_cndmask_b32_e64 v224, v224, 0, s[28:29]
	v_add_u32_e32 v57, v57, v224
	s_nop 1
	v_mov_b32_dpp v224, v57 row_bcast:31 row_mask:0xf bank_mask:0xf
	v_cndmask_b32_e64 v224, 0, v224, s[30:31]
	v_add_u32_e32 v57, v57, v224
	s_and_saveexec_b64 s[40:41], s[12:13]
	s_cbranch_execz .LBB1016_802
; %bb.801:                              ;   in Loop: Header=BB1016_728 Depth=2
	ds_write_b32 v60, v57 offset:512
.LBB1016_802:                           ;   in Loop: Header=BB1016_728 Depth=2
	s_or_b64 exec, exec, s[40:41]
	s_waitcnt lgkmcnt(0)
	s_barrier
	s_and_saveexec_b64 s[40:41], s[14:15]
	s_cbranch_execz .LBB1016_804
; %bb.803:                              ;   in Loop: Header=BB1016_728 Depth=2
	ds_read_b32 v224, v69 offset:512
	s_waitcnt lgkmcnt(0)
	s_nop 0
	v_mov_b32_dpp v225, v224 row_shr:1 row_mask:0xf bank_mask:0xf
	v_cndmask_b32_e64 v225, v225, 0, s[36:37]
	v_add_u32_e32 v224, v225, v224
	s_nop 1
	v_mov_b32_dpp v225, v224 row_shr:2 row_mask:0xf bank_mask:0xf
	v_cndmask_b32_e64 v225, 0, v225, s[38:39]
	v_add_u32_e32 v224, v224, v225
	ds_write_b32 v69, v224 offset:512
.LBB1016_804:                           ;   in Loop: Header=BB1016_728 Depth=2
	s_or_b64 exec, exec, s[40:41]
	v_mov_b32_e32 v224, 0
	s_waitcnt lgkmcnt(0)
	s_barrier
	s_and_saveexec_b64 s[40:41], s[10:11]
	s_cbranch_execz .LBB1016_806
; %bb.805:                              ;   in Loop: Header=BB1016_728 Depth=2
	ds_read_b32 v224, v60 offset:508
.LBB1016_806:                           ;   in Loop: Header=BB1016_728 Depth=2
	s_or_b64 exec, exec, s[40:41]
	s_waitcnt lgkmcnt(0)
	v_add_u32_e32 v57, v224, v57
	ds_bpermute_b32 v57, v129, v57
	s_waitcnt lgkmcnt(0)
	v_cndmask_b32_e64 v57, v57, v224, s[34:35]
	v_cndmask_b32_e64 v57, v57, 0, s[16:17]
	v_add_u32_e32 v223, v57, v223
	v_add_u32_e32 v56, v223, v56
	ds_write_b32 v58, v57 offset:528
	ds_write2_b32 v67, v223, v56 offset0:1 offset1:2
	s_waitcnt lgkmcnt(0)
	s_barrier
	ds_read_b32 v56, v158
	ds_read_b32 v57, v163
	;; [unrolled: 1-line block ×17, first 2 shown]
	s_and_saveexec_b64 s[40:41], s[4:5]
	s_cbranch_execz .LBB1016_810
; %bb.807:                              ;   in Loop: Header=BB1016_728 Depth=2
	ds_read_b32 v154, v70 offset:528
	v_mov_b32_e32 v155, 0x1100
	s_and_saveexec_b64 s[42:43], s[18:19]
	s_cbranch_execz .LBB1016_809
; %bb.808:                              ;   in Loop: Header=BB1016_728 Depth=2
	ds_read_b32 v155, v70 offset:548
.LBB1016_809:                           ;   in Loop: Header=BB1016_728 Depth=2
	s_or_b64 exec, exec, s[42:43]
	s_waitcnt lgkmcnt(0)
	v_sub_u32_e32 v155, v155, v154
.LBB1016_810:                           ;   in Loop: Header=BB1016_728 Depth=2
	s_or_b64 exec, exec, s[40:41]
	s_waitcnt lgkmcnt(0)
	s_barrier
	s_and_saveexec_b64 s[40:41], s[4:5]
	s_cbranch_execz .LBB1016_812
; %bb.811:                              ;   in Loop: Header=BB1016_728 Depth=2
	ds_read_b32 v159, v3
	s_waitcnt lgkmcnt(0)
	v_sub_u32_e32 v159, v159, v154
	ds_write_b32 v3, v159
.LBB1016_812:                           ;   in Loop: Header=BB1016_728 Depth=2
	s_or_b64 exec, exec, s[40:41]
	v_add_u32_e32 v179, v56, v161
	v_add3_u32 v175, v167, v162, v57
	v_lshlrev_b32_e32 v56, 1, v179
	v_add3_u32 v174, v172, v168, v158
	ds_write_b16 v56, v157 offset:512
	v_lshlrev_b32_e32 v56, 1, v175
	v_add3_u32 v173, v177, v173, v163
	ds_write_b16 v56, v160 offset:512
	;; [unrolled: 3-line block ×15, first 2 shown]
	v_lshlrev_b32_e32 v56, 1, v158
	ds_write_b16 v56, v217 offset:512
	v_lshlrev_b32_e32 v56, 1, v5
	v_cmp_lt_u32_e64 s[40:41], v2, v156
	ds_write_b16 v56, v220 offset:512
	s_waitcnt lgkmcnt(0)
	s_barrier
	s_and_saveexec_b64 s[42:43], s[40:41]
	s_cbranch_execz .LBB1016_864
; %bb.813:                              ;   in Loop: Header=BB1016_728 Depth=2
	v_add_u32_e32 v56, v70, v75
	ds_read_u16 v56, v56 offset:512
	v_mov_b32_e32 v160, s79
	s_waitcnt lgkmcnt(0)
	v_lshrrev_b32_sdwa v57, s89, v56 dst_sel:DWORD dst_unused:UNUSED_PAD src0_sel:DWORD src1_sel:WORD_0
	v_and_b32_e32 v57, s6, v57
	v_lshlrev_b32_e32 v57, 2, v57
	ds_read_b32 v157, v57
	v_mov_b32_e32 v57, v4
	v_xor_b32_e32 v165, 0xffff8000, v56
	s_waitcnt lgkmcnt(0)
	v_add_u32_e32 v56, v157, v2
	v_lshlrev_b64 v[56:57], 1, v[56:57]
	v_add_co_u32_e32 v56, vcc, s78, v56
	v_addc_co_u32_e32 v57, vcc, v160, v57, vcc
	global_store_short v[56:57], v165, off
	s_or_b64 exec, exec, s[42:43]
	v_cmp_lt_u32_e64 s[42:43], v7, v156
	s_and_saveexec_b64 s[44:45], s[42:43]
	s_cbranch_execnz .LBB1016_865
.LBB1016_814:                           ;   in Loop: Header=BB1016_728 Depth=2
	s_or_b64 exec, exec, s[44:45]
	v_cmp_lt_u32_e64 s[44:45], v13, v156
	s_and_saveexec_b64 s[46:47], s[44:45]
	s_cbranch_execz .LBB1016_866
.LBB1016_815:                           ;   in Loop: Header=BB1016_728 Depth=2
	ds_read_u16 v56, v76 offset:1024
	v_mov_b32_e32 v160, s79
	s_waitcnt lgkmcnt(0)
	v_lshrrev_b32_sdwa v57, s89, v56 dst_sel:DWORD dst_unused:UNUSED_PAD src0_sel:DWORD src1_sel:WORD_0
	v_and_b32_e32 v57, s6, v57
	v_lshlrev_b32_e32 v57, 2, v57
	ds_read_b32 v157, v57
	v_mov_b32_e32 v57, v4
	v_xor_b32_e32 v165, 0xffff8000, v56
	s_waitcnt lgkmcnt(0)
	v_add_u32_e32 v56, v157, v13
	v_lshlrev_b64 v[56:57], 1, v[56:57]
	v_add_co_u32_e32 v56, vcc, s78, v56
	v_addc_co_u32_e32 v57, vcc, v160, v57, vcc
	global_store_short v[56:57], v165, off
	s_or_b64 exec, exec, s[46:47]
	v_cmp_lt_u32_e64 s[46:47], v15, v156
	s_and_saveexec_b64 s[48:49], s[46:47]
	s_cbranch_execnz .LBB1016_867
.LBB1016_816:                           ;   in Loop: Header=BB1016_728 Depth=2
	s_or_b64 exec, exec, s[48:49]
	v_cmp_lt_u32_e64 s[48:49], v17, v156
	s_and_saveexec_b64 s[50:51], s[48:49]
	s_cbranch_execz .LBB1016_868
.LBB1016_817:                           ;   in Loop: Header=BB1016_728 Depth=2
	ds_read_u16 v56, v76 offset:2048
	v_mov_b32_e32 v160, s79
	s_waitcnt lgkmcnt(0)
	v_lshrrev_b32_sdwa v57, s89, v56 dst_sel:DWORD dst_unused:UNUSED_PAD src0_sel:DWORD src1_sel:WORD_0
	v_and_b32_e32 v57, s6, v57
	v_lshlrev_b32_e32 v57, 2, v57
	ds_read_b32 v157, v57
	v_mov_b32_e32 v57, v4
	v_xor_b32_e32 v165, 0xffff8000, v56
	s_waitcnt lgkmcnt(0)
	v_add_u32_e32 v56, v157, v17
	v_lshlrev_b64 v[56:57], 1, v[56:57]
	v_add_co_u32_e32 v56, vcc, s78, v56
	v_addc_co_u32_e32 v57, vcc, v160, v57, vcc
	global_store_short v[56:57], v165, off
	s_or_b64 exec, exec, s[50:51]
	v_cmp_lt_u32_e64 s[50:51], v19, v156
	s_and_saveexec_b64 s[52:53], s[50:51]
	s_cbranch_execnz .LBB1016_869
.LBB1016_818:                           ;   in Loop: Header=BB1016_728 Depth=2
	s_or_b64 exec, exec, s[52:53]
	v_cmp_lt_u32_e64 s[52:53], v21, v156
	s_and_saveexec_b64 s[54:55], s[52:53]
	s_cbranch_execz .LBB1016_870
.LBB1016_819:                           ;   in Loop: Header=BB1016_728 Depth=2
	ds_read_u16 v56, v76 offset:3072
	v_mov_b32_e32 v160, s79
	s_waitcnt lgkmcnt(0)
	v_lshrrev_b32_sdwa v57, s89, v56 dst_sel:DWORD dst_unused:UNUSED_PAD src0_sel:DWORD src1_sel:WORD_0
	v_and_b32_e32 v57, s6, v57
	v_lshlrev_b32_e32 v57, 2, v57
	ds_read_b32 v157, v57
	v_mov_b32_e32 v57, v4
	v_xor_b32_e32 v165, 0xffff8000, v56
	s_waitcnt lgkmcnt(0)
	v_add_u32_e32 v56, v157, v21
	v_lshlrev_b64 v[56:57], 1, v[56:57]
	v_add_co_u32_e32 v56, vcc, s78, v56
	v_addc_co_u32_e32 v57, vcc, v160, v57, vcc
	global_store_short v[56:57], v165, off
	s_or_b64 exec, exec, s[54:55]
	v_cmp_lt_u32_e64 s[54:55], v23, v156
	s_and_saveexec_b64 s[56:57], s[54:55]
	s_cbranch_execnz .LBB1016_871
.LBB1016_820:                           ;   in Loop: Header=BB1016_728 Depth=2
	s_or_b64 exec, exec, s[56:57]
	v_cmp_lt_u32_e64 s[56:57], v6, v156
	s_and_saveexec_b64 s[58:59], s[56:57]
	s_cbranch_execz .LBB1016_872
.LBB1016_821:                           ;   in Loop: Header=BB1016_728 Depth=2
	ds_read_u16 v56, v76 offset:4096
	v_mov_b32_e32 v160, s79
	s_waitcnt lgkmcnt(0)
	v_lshrrev_b32_sdwa v57, s89, v56 dst_sel:DWORD dst_unused:UNUSED_PAD src0_sel:DWORD src1_sel:WORD_0
	v_and_b32_e32 v57, s6, v57
	v_lshlrev_b32_e32 v57, 2, v57
	ds_read_b32 v157, v57
	v_mov_b32_e32 v57, v4
	v_xor_b32_e32 v165, 0xffff8000, v56
	s_waitcnt lgkmcnt(0)
	v_add_u32_e32 v56, v157, v6
	v_lshlrev_b64 v[56:57], 1, v[56:57]
	v_add_co_u32_e32 v56, vcc, s78, v56
	v_addc_co_u32_e32 v57, vcc, v160, v57, vcc
	global_store_short v[56:57], v165, off
	s_or_b64 exec, exec, s[58:59]
	v_cmp_lt_u32_e64 s[58:59], v8, v156
	s_and_saveexec_b64 s[60:61], s[58:59]
	s_cbranch_execnz .LBB1016_873
.LBB1016_822:                           ;   in Loop: Header=BB1016_728 Depth=2
	s_or_b64 exec, exec, s[60:61]
	v_cmp_lt_u32_e64 s[60:61], v10, v156
	s_and_saveexec_b64 s[62:63], s[60:61]
	s_cbranch_execz .LBB1016_874
.LBB1016_823:                           ;   in Loop: Header=BB1016_728 Depth=2
	ds_read_u16 v56, v76 offset:5120
	v_mov_b32_e32 v160, s79
	s_waitcnt lgkmcnt(0)
	v_lshrrev_b32_sdwa v57, s89, v56 dst_sel:DWORD dst_unused:UNUSED_PAD src0_sel:DWORD src1_sel:WORD_0
	v_and_b32_e32 v57, s6, v57
	v_lshlrev_b32_e32 v57, 2, v57
	ds_read_b32 v157, v57
	v_mov_b32_e32 v57, v4
	v_xor_b32_e32 v165, 0xffff8000, v56
	s_waitcnt lgkmcnt(0)
	v_add_u32_e32 v56, v157, v10
	v_lshlrev_b64 v[56:57], 1, v[56:57]
	v_add_co_u32_e32 v56, vcc, s78, v56
	v_addc_co_u32_e32 v57, vcc, v160, v57, vcc
	global_store_short v[56:57], v165, off
	s_or_b64 exec, exec, s[62:63]
	v_cmp_lt_u32_e64 s[62:63], v12, v156
	s_and_saveexec_b64 s[64:65], s[62:63]
	s_cbranch_execnz .LBB1016_875
.LBB1016_824:                           ;   in Loop: Header=BB1016_728 Depth=2
	s_or_b64 exec, exec, s[64:65]
	v_cmp_lt_u32_e64 s[64:65], v14, v156
	s_and_saveexec_b64 s[66:67], s[64:65]
	s_cbranch_execz .LBB1016_876
.LBB1016_825:                           ;   in Loop: Header=BB1016_728 Depth=2
	ds_read_u16 v56, v76 offset:6144
	v_mov_b32_e32 v160, s79
	s_waitcnt lgkmcnt(0)
	v_lshrrev_b32_sdwa v57, s89, v56 dst_sel:DWORD dst_unused:UNUSED_PAD src0_sel:DWORD src1_sel:WORD_0
	v_and_b32_e32 v57, s6, v57
	v_lshlrev_b32_e32 v57, 2, v57
	ds_read_b32 v157, v57
	v_mov_b32_e32 v57, v4
	v_xor_b32_e32 v165, 0xffff8000, v56
	s_waitcnt lgkmcnt(0)
	v_add_u32_e32 v56, v157, v14
	v_lshlrev_b64 v[56:57], 1, v[56:57]
	v_add_co_u32_e32 v56, vcc, s78, v56
	v_addc_co_u32_e32 v57, vcc, v160, v57, vcc
	global_store_short v[56:57], v165, off
	s_or_b64 exec, exec, s[66:67]
	v_cmp_lt_u32_e64 s[66:67], v16, v156
	s_and_saveexec_b64 s[68:69], s[66:67]
	s_cbranch_execnz .LBB1016_877
.LBB1016_826:                           ;   in Loop: Header=BB1016_728 Depth=2
	s_or_b64 exec, exec, s[68:69]
	v_cmp_lt_u32_e64 s[68:69], v18, v156
	s_and_saveexec_b64 s[70:71], s[68:69]
	s_cbranch_execz .LBB1016_878
.LBB1016_827:                           ;   in Loop: Header=BB1016_728 Depth=2
	ds_read_u16 v56, v76 offset:7168
	v_mov_b32_e32 v160, s79
	s_waitcnt lgkmcnt(0)
	v_lshrrev_b32_sdwa v57, s89, v56 dst_sel:DWORD dst_unused:UNUSED_PAD src0_sel:DWORD src1_sel:WORD_0
	v_and_b32_e32 v57, s6, v57
	v_lshlrev_b32_e32 v57, 2, v57
	ds_read_b32 v157, v57
	v_mov_b32_e32 v57, v4
	v_xor_b32_e32 v165, 0xffff8000, v56
	s_waitcnt lgkmcnt(0)
	v_add_u32_e32 v56, v157, v18
	v_lshlrev_b64 v[56:57], 1, v[56:57]
	v_add_co_u32_e32 v56, vcc, s78, v56
	v_addc_co_u32_e32 v57, vcc, v160, v57, vcc
	global_store_short v[56:57], v165, off
	s_or_b64 exec, exec, s[70:71]
	v_cmp_lt_u32_e64 s[70:71], v20, v156
	s_and_saveexec_b64 s[72:73], s[70:71]
	s_cbranch_execnz .LBB1016_879
.LBB1016_828:                           ;   in Loop: Header=BB1016_728 Depth=2
	s_or_b64 exec, exec, s[72:73]
	v_cmp_lt_u32_e64 s[72:73], v22, v156
	s_and_saveexec_b64 s[82:83], s[72:73]
	s_cbranch_execz .LBB1016_830
.LBB1016_829:                           ;   in Loop: Header=BB1016_728 Depth=2
	ds_read_u16 v56, v76 offset:8192
	v_mov_b32_e32 v160, s79
	s_waitcnt lgkmcnt(0)
	v_lshrrev_b32_sdwa v57, s89, v56 dst_sel:DWORD dst_unused:UNUSED_PAD src0_sel:DWORD src1_sel:WORD_0
	v_and_b32_e32 v57, s6, v57
	v_lshlrev_b32_e32 v57, 2, v57
	ds_read_b32 v157, v57
	v_mov_b32_e32 v57, v4
	v_xor_b32_e32 v165, 0xffff8000, v56
	s_waitcnt lgkmcnt(0)
	v_add_u32_e32 v56, v157, v22
	v_lshlrev_b64 v[56:57], 1, v[56:57]
	v_add_co_u32_e32 v56, vcc, s78, v56
	v_addc_co_u32_e32 v57, vcc, v160, v57, vcc
	global_store_short v[56:57], v165, off
.LBB1016_830:                           ;   in Loop: Header=BB1016_728 Depth=2
	s_or_b64 exec, exec, s[82:83]
	s_lshl_b64 s[82:83], s[94:95], 3
	v_mov_b32_e32 v57, s83
	v_add_co_u32_e32 v56, vcc, s82, v130
	v_addc_co_u32_e32 v57, vcc, v131, v57, vcc
	v_cmp_lt_u32_e32 vcc, v111, v156
	s_and_saveexec_b64 s[82:83], vcc
	s_xor_b64 s[82:83], exec, s[82:83]
	s_cbranch_execz .LBB1016_880
; %bb.831:                              ;   in Loop: Header=BB1016_728 Depth=2
	global_load_dwordx2 v[54:55], v[56:57], off
	s_or_b64 exec, exec, s[82:83]
	v_cmp_lt_u32_e32 vcc, v112, v156
	s_and_saveexec_b64 s[82:83], vcc
	s_cbranch_execnz .LBB1016_881
.LBB1016_832:                           ;   in Loop: Header=BB1016_728 Depth=2
	s_or_b64 exec, exec, s[82:83]
	v_cmp_lt_u32_e32 vcc, v113, v156
	s_and_saveexec_b64 s[82:83], vcc
	s_cbranch_execz .LBB1016_882
.LBB1016_833:                           ;   in Loop: Header=BB1016_728 Depth=2
	global_load_dwordx2 v[50:51], v[56:57], off offset:1024
	s_or_b64 exec, exec, s[82:83]
	v_cmp_lt_u32_e32 vcc, v114, v156
	s_and_saveexec_b64 s[82:83], vcc
	s_cbranch_execnz .LBB1016_883
.LBB1016_834:                           ;   in Loop: Header=BB1016_728 Depth=2
	s_or_b64 exec, exec, s[82:83]
	v_cmp_lt_u32_e32 vcc, v115, v156
	s_and_saveexec_b64 s[82:83], vcc
	s_cbranch_execz .LBB1016_884
.LBB1016_835:                           ;   in Loop: Header=BB1016_728 Depth=2
	global_load_dwordx2 v[42:43], v[56:57], off offset:2048
	s_or_b64 exec, exec, s[82:83]
	v_cmp_lt_u32_e32 vcc, v116, v156
	s_and_saveexec_b64 s[82:83], vcc
	s_cbranch_execnz .LBB1016_885
.LBB1016_836:                           ;   in Loop: Header=BB1016_728 Depth=2
	s_or_b64 exec, exec, s[82:83]
	v_cmp_lt_u32_e32 vcc, v117, v156
	s_and_saveexec_b64 s[82:83], vcc
	s_cbranch_execz .LBB1016_886
.LBB1016_837:                           ;   in Loop: Header=BB1016_728 Depth=2
	global_load_dwordx2 v[34:35], v[56:57], off offset:3072
	s_or_b64 exec, exec, s[82:83]
	v_cmp_lt_u32_e32 vcc, v118, v156
	s_and_saveexec_b64 s[82:83], vcc
	s_cbranch_execnz .LBB1016_887
.LBB1016_838:                           ;   in Loop: Header=BB1016_728 Depth=2
	s_or_b64 exec, exec, s[82:83]
	v_cmp_lt_u32_e32 vcc, v119, v156
	s_and_saveexec_b64 s[82:83], vcc
	s_cbranch_execz .LBB1016_888
.LBB1016_839:                           ;   in Loop: Header=BB1016_728 Depth=2
	v_add_co_u32_e32 v48, vcc, 0x1000, v56
	v_addc_co_u32_e32 v49, vcc, 0, v57, vcc
	global_load_dwordx2 v[48:49], v[48:49], off
	s_or_b64 exec, exec, s[82:83]
	v_cmp_lt_u32_e32 vcc, v120, v156
	s_and_saveexec_b64 s[82:83], vcc
	s_cbranch_execnz .LBB1016_889
.LBB1016_840:                           ;   in Loop: Header=BB1016_728 Depth=2
	s_or_b64 exec, exec, s[82:83]
	v_cmp_lt_u32_e32 vcc, v121, v156
	s_and_saveexec_b64 s[82:83], vcc
	s_cbranch_execz .LBB1016_890
.LBB1016_841:                           ;   in Loop: Header=BB1016_728 Depth=2
	v_add_co_u32_e32 v40, vcc, 0x1000, v56
	v_addc_co_u32_e32 v41, vcc, 0, v57, vcc
	global_load_dwordx2 v[40:41], v[40:41], off offset:1024
	s_or_b64 exec, exec, s[82:83]
	v_cmp_lt_u32_e32 vcc, v122, v156
	s_and_saveexec_b64 s[82:83], vcc
	s_cbranch_execnz .LBB1016_891
.LBB1016_842:                           ;   in Loop: Header=BB1016_728 Depth=2
	s_or_b64 exec, exec, s[82:83]
	v_cmp_lt_u32_e32 vcc, v123, v156
	s_and_saveexec_b64 s[82:83], vcc
	s_cbranch_execz .LBB1016_892
.LBB1016_843:                           ;   in Loop: Header=BB1016_728 Depth=2
	v_add_co_u32_e32 v32, vcc, 0x1000, v56
	v_addc_co_u32_e32 v33, vcc, 0, v57, vcc
	global_load_dwordx2 v[32:33], v[32:33], off offset:2048
	s_or_b64 exec, exec, s[82:83]
	v_cmp_lt_u32_e32 vcc, v124, v156
	s_and_saveexec_b64 s[82:83], vcc
	s_cbranch_execnz .LBB1016_893
.LBB1016_844:                           ;   in Loop: Header=BB1016_728 Depth=2
	s_or_b64 exec, exec, s[82:83]
	v_cmp_lt_u32_e32 vcc, v125, v156
	s_and_saveexec_b64 s[82:83], vcc
	s_cbranch_execz .LBB1016_894
.LBB1016_845:                           ;   in Loop: Header=BB1016_728 Depth=2
	v_add_co_u32_e32 v26, vcc, 0x1000, v56
	v_addc_co_u32_e32 v27, vcc, 0, v57, vcc
	global_load_dwordx2 v[26:27], v[26:27], off offset:3072
	s_or_b64 exec, exec, s[82:83]
	v_cmp_lt_u32_e32 vcc, v126, v156
	s_and_saveexec_b64 s[82:83], vcc
	s_cbranch_execnz .LBB1016_895
.LBB1016_846:                           ;   in Loop: Header=BB1016_728 Depth=2
	s_or_b64 exec, exec, s[82:83]
	v_cmp_lt_u32_e32 vcc, v127, v156
	s_and_saveexec_b64 s[82:83], vcc
	s_cbranch_execz .LBB1016_896
.LBB1016_847:                           ;   in Loop: Header=BB1016_728 Depth=2
	v_add_co_u32_e32 v0, vcc, 0x2000, v56
	v_addc_co_u32_e32 v1, vcc, 0, v57, vcc
	global_load_dwordx2 v[0:1], v[0:1], off
	s_or_b64 exec, exec, s[82:83]
	s_and_saveexec_b64 s[82:83], s[40:41]
	s_cbranch_execnz .LBB1016_897
.LBB1016_848:                           ;   in Loop: Header=BB1016_728 Depth=2
	s_or_b64 exec, exec, s[82:83]
	s_and_saveexec_b64 s[82:83], s[42:43]
	s_cbranch_execz .LBB1016_898
.LBB1016_849:                           ;   in Loop: Header=BB1016_728 Depth=2
	ds_read_u16 v56, v76 offset:512
	s_waitcnt lgkmcnt(0)
	v_lshrrev_b32_e32 v56, s89, v56
	v_and_b32_e32 v150, s6, v56
	s_or_b64 exec, exec, s[82:83]
	s_and_saveexec_b64 s[82:83], s[44:45]
	s_cbranch_execnz .LBB1016_899
.LBB1016_850:                           ;   in Loop: Header=BB1016_728 Depth=2
	s_or_b64 exec, exec, s[82:83]
	s_and_saveexec_b64 s[82:83], s[46:47]
	s_cbranch_execz .LBB1016_900
.LBB1016_851:                           ;   in Loop: Header=BB1016_728 Depth=2
	ds_read_u16 v56, v76 offset:1536
	s_waitcnt lgkmcnt(0)
	v_lshrrev_b32_e32 v56, s89, v56
	v_and_b32_e32 v147, s6, v56
	s_or_b64 exec, exec, s[82:83]
	s_and_saveexec_b64 s[82:83], s[48:49]
	s_cbranch_execnz .LBB1016_901
.LBB1016_852:                           ;   in Loop: Header=BB1016_728 Depth=2
	s_or_b64 exec, exec, s[82:83]
	s_and_saveexec_b64 s[82:83], s[50:51]
	s_cbranch_execz .LBB1016_902
.LBB1016_853:                           ;   in Loop: Header=BB1016_728 Depth=2
	ds_read_u16 v56, v76 offset:2560
	s_waitcnt lgkmcnt(0)
	v_lshrrev_b32_e32 v56, s89, v56
	v_and_b32_e32 v145, s6, v56
	s_or_b64 exec, exec, s[82:83]
	s_and_saveexec_b64 s[82:83], s[52:53]
	s_cbranch_execnz .LBB1016_903
.LBB1016_854:                           ;   in Loop: Header=BB1016_728 Depth=2
	s_or_b64 exec, exec, s[82:83]
	s_and_saveexec_b64 s[82:83], s[54:55]
	s_cbranch_execz .LBB1016_904
.LBB1016_855:                           ;   in Loop: Header=BB1016_728 Depth=2
	ds_read_u16 v56, v76 offset:3584
	s_waitcnt lgkmcnt(0)
	v_lshrrev_b32_e32 v56, s89, v56
	v_and_b32_e32 v143, s6, v56
	s_or_b64 exec, exec, s[82:83]
	s_and_saveexec_b64 s[82:83], s[56:57]
	s_cbranch_execnz .LBB1016_905
.LBB1016_856:                           ;   in Loop: Header=BB1016_728 Depth=2
	s_or_b64 exec, exec, s[82:83]
	s_and_saveexec_b64 s[82:83], s[58:59]
	s_cbranch_execz .LBB1016_906
.LBB1016_857:                           ;   in Loop: Header=BB1016_728 Depth=2
	ds_read_u16 v56, v76 offset:4608
	s_waitcnt lgkmcnt(0)
	v_lshrrev_b32_e32 v56, s89, v56
	v_and_b32_e32 v141, s6, v56
	s_or_b64 exec, exec, s[82:83]
	s_and_saveexec_b64 s[82:83], s[60:61]
	s_cbranch_execnz .LBB1016_907
.LBB1016_858:                           ;   in Loop: Header=BB1016_728 Depth=2
	s_or_b64 exec, exec, s[82:83]
	s_and_saveexec_b64 s[82:83], s[62:63]
	s_cbranch_execz .LBB1016_908
.LBB1016_859:                           ;   in Loop: Header=BB1016_728 Depth=2
	ds_read_u16 v56, v76 offset:5632
	s_waitcnt lgkmcnt(0)
	v_lshrrev_b32_e32 v56, s89, v56
	v_and_b32_e32 v139, s6, v56
	s_or_b64 exec, exec, s[82:83]
	s_and_saveexec_b64 s[82:83], s[64:65]
	s_cbranch_execnz .LBB1016_909
.LBB1016_860:                           ;   in Loop: Header=BB1016_728 Depth=2
	s_or_b64 exec, exec, s[82:83]
	s_and_saveexec_b64 s[82:83], s[66:67]
	s_cbranch_execz .LBB1016_910
.LBB1016_861:                           ;   in Loop: Header=BB1016_728 Depth=2
	ds_read_u16 v56, v76 offset:6656
	s_waitcnt lgkmcnt(0)
	v_lshrrev_b32_e32 v56, s89, v56
	v_and_b32_e32 v137, s6, v56
	s_or_b64 exec, exec, s[82:83]
	s_and_saveexec_b64 s[82:83], s[68:69]
	s_cbranch_execnz .LBB1016_911
.LBB1016_862:                           ;   in Loop: Header=BB1016_728 Depth=2
	s_or_b64 exec, exec, s[82:83]
	s_and_saveexec_b64 s[82:83], s[70:71]
	s_cbranch_execz .LBB1016_912
.LBB1016_863:                           ;   in Loop: Header=BB1016_728 Depth=2
	ds_read_u16 v56, v76 offset:7680
	s_waitcnt lgkmcnt(0)
	v_lshrrev_b32_e32 v56, s89, v56
	v_and_b32_e32 v135, s6, v56
	s_or_b64 exec, exec, s[82:83]
	s_and_saveexec_b64 s[82:83], s[72:73]
	s_cbranch_execnz .LBB1016_913
	s_branch .LBB1016_914
.LBB1016_864:                           ;   in Loop: Header=BB1016_728 Depth=2
	s_or_b64 exec, exec, s[42:43]
	v_cmp_lt_u32_e64 s[42:43], v7, v156
	s_and_saveexec_b64 s[44:45], s[42:43]
	s_cbranch_execz .LBB1016_814
.LBB1016_865:                           ;   in Loop: Header=BB1016_728 Depth=2
	ds_read_u16 v56, v76 offset:512
	v_mov_b32_e32 v160, s79
	s_waitcnt lgkmcnt(0)
	v_lshrrev_b32_sdwa v57, s89, v56 dst_sel:DWORD dst_unused:UNUSED_PAD src0_sel:DWORD src1_sel:WORD_0
	v_and_b32_e32 v57, s6, v57
	v_lshlrev_b32_e32 v57, 2, v57
	ds_read_b32 v157, v57
	v_mov_b32_e32 v57, v4
	v_xor_b32_e32 v165, 0xffff8000, v56
	s_waitcnt lgkmcnt(0)
	v_add_u32_e32 v56, v157, v7
	v_lshlrev_b64 v[56:57], 1, v[56:57]
	v_add_co_u32_e32 v56, vcc, s78, v56
	v_addc_co_u32_e32 v57, vcc, v160, v57, vcc
	global_store_short v[56:57], v165, off
	s_or_b64 exec, exec, s[44:45]
	v_cmp_lt_u32_e64 s[44:45], v13, v156
	s_and_saveexec_b64 s[46:47], s[44:45]
	s_cbranch_execnz .LBB1016_815
.LBB1016_866:                           ;   in Loop: Header=BB1016_728 Depth=2
	s_or_b64 exec, exec, s[46:47]
	v_cmp_lt_u32_e64 s[46:47], v15, v156
	s_and_saveexec_b64 s[48:49], s[46:47]
	s_cbranch_execz .LBB1016_816
.LBB1016_867:                           ;   in Loop: Header=BB1016_728 Depth=2
	ds_read_u16 v56, v76 offset:1536
	v_mov_b32_e32 v160, s79
	s_waitcnt lgkmcnt(0)
	v_lshrrev_b32_sdwa v57, s89, v56 dst_sel:DWORD dst_unused:UNUSED_PAD src0_sel:DWORD src1_sel:WORD_0
	v_and_b32_e32 v57, s6, v57
	v_lshlrev_b32_e32 v57, 2, v57
	ds_read_b32 v157, v57
	v_mov_b32_e32 v57, v4
	v_xor_b32_e32 v165, 0xffff8000, v56
	s_waitcnt lgkmcnt(0)
	v_add_u32_e32 v56, v157, v15
	v_lshlrev_b64 v[56:57], 1, v[56:57]
	v_add_co_u32_e32 v56, vcc, s78, v56
	v_addc_co_u32_e32 v57, vcc, v160, v57, vcc
	global_store_short v[56:57], v165, off
	s_or_b64 exec, exec, s[48:49]
	v_cmp_lt_u32_e64 s[48:49], v17, v156
	s_and_saveexec_b64 s[50:51], s[48:49]
	s_cbranch_execnz .LBB1016_817
.LBB1016_868:                           ;   in Loop: Header=BB1016_728 Depth=2
	s_or_b64 exec, exec, s[50:51]
	v_cmp_lt_u32_e64 s[50:51], v19, v156
	s_and_saveexec_b64 s[52:53], s[50:51]
	s_cbranch_execz .LBB1016_818
.LBB1016_869:                           ;   in Loop: Header=BB1016_728 Depth=2
	ds_read_u16 v56, v76 offset:2560
	v_mov_b32_e32 v160, s79
	s_waitcnt lgkmcnt(0)
	v_lshrrev_b32_sdwa v57, s89, v56 dst_sel:DWORD dst_unused:UNUSED_PAD src0_sel:DWORD src1_sel:WORD_0
	v_and_b32_e32 v57, s6, v57
	v_lshlrev_b32_e32 v57, 2, v57
	ds_read_b32 v157, v57
	v_mov_b32_e32 v57, v4
	v_xor_b32_e32 v165, 0xffff8000, v56
	s_waitcnt lgkmcnt(0)
	v_add_u32_e32 v56, v157, v19
	v_lshlrev_b64 v[56:57], 1, v[56:57]
	v_add_co_u32_e32 v56, vcc, s78, v56
	v_addc_co_u32_e32 v57, vcc, v160, v57, vcc
	global_store_short v[56:57], v165, off
	s_or_b64 exec, exec, s[52:53]
	v_cmp_lt_u32_e64 s[52:53], v21, v156
	s_and_saveexec_b64 s[54:55], s[52:53]
	s_cbranch_execnz .LBB1016_819
.LBB1016_870:                           ;   in Loop: Header=BB1016_728 Depth=2
	s_or_b64 exec, exec, s[54:55]
	v_cmp_lt_u32_e64 s[54:55], v23, v156
	s_and_saveexec_b64 s[56:57], s[54:55]
	s_cbranch_execz .LBB1016_820
.LBB1016_871:                           ;   in Loop: Header=BB1016_728 Depth=2
	ds_read_u16 v56, v76 offset:3584
	v_mov_b32_e32 v160, s79
	s_waitcnt lgkmcnt(0)
	v_lshrrev_b32_sdwa v57, s89, v56 dst_sel:DWORD dst_unused:UNUSED_PAD src0_sel:DWORD src1_sel:WORD_0
	v_and_b32_e32 v57, s6, v57
	v_lshlrev_b32_e32 v57, 2, v57
	ds_read_b32 v157, v57
	v_mov_b32_e32 v57, v4
	v_xor_b32_e32 v165, 0xffff8000, v56
	s_waitcnt lgkmcnt(0)
	v_add_u32_e32 v56, v157, v23
	v_lshlrev_b64 v[56:57], 1, v[56:57]
	v_add_co_u32_e32 v56, vcc, s78, v56
	v_addc_co_u32_e32 v57, vcc, v160, v57, vcc
	global_store_short v[56:57], v165, off
	s_or_b64 exec, exec, s[56:57]
	v_cmp_lt_u32_e64 s[56:57], v6, v156
	s_and_saveexec_b64 s[58:59], s[56:57]
	s_cbranch_execnz .LBB1016_821
.LBB1016_872:                           ;   in Loop: Header=BB1016_728 Depth=2
	s_or_b64 exec, exec, s[58:59]
	v_cmp_lt_u32_e64 s[58:59], v8, v156
	s_and_saveexec_b64 s[60:61], s[58:59]
	s_cbranch_execz .LBB1016_822
.LBB1016_873:                           ;   in Loop: Header=BB1016_728 Depth=2
	ds_read_u16 v56, v76 offset:4608
	v_mov_b32_e32 v160, s79
	s_waitcnt lgkmcnt(0)
	v_lshrrev_b32_sdwa v57, s89, v56 dst_sel:DWORD dst_unused:UNUSED_PAD src0_sel:DWORD src1_sel:WORD_0
	v_and_b32_e32 v57, s6, v57
	v_lshlrev_b32_e32 v57, 2, v57
	ds_read_b32 v157, v57
	v_mov_b32_e32 v57, v4
	v_xor_b32_e32 v165, 0xffff8000, v56
	s_waitcnt lgkmcnt(0)
	v_add_u32_e32 v56, v157, v8
	v_lshlrev_b64 v[56:57], 1, v[56:57]
	v_add_co_u32_e32 v56, vcc, s78, v56
	v_addc_co_u32_e32 v57, vcc, v160, v57, vcc
	global_store_short v[56:57], v165, off
	s_or_b64 exec, exec, s[60:61]
	v_cmp_lt_u32_e64 s[60:61], v10, v156
	s_and_saveexec_b64 s[62:63], s[60:61]
	s_cbranch_execnz .LBB1016_823
.LBB1016_874:                           ;   in Loop: Header=BB1016_728 Depth=2
	s_or_b64 exec, exec, s[62:63]
	v_cmp_lt_u32_e64 s[62:63], v12, v156
	s_and_saveexec_b64 s[64:65], s[62:63]
	s_cbranch_execz .LBB1016_824
.LBB1016_875:                           ;   in Loop: Header=BB1016_728 Depth=2
	ds_read_u16 v56, v76 offset:5632
	v_mov_b32_e32 v160, s79
	s_waitcnt lgkmcnt(0)
	v_lshrrev_b32_sdwa v57, s89, v56 dst_sel:DWORD dst_unused:UNUSED_PAD src0_sel:DWORD src1_sel:WORD_0
	v_and_b32_e32 v57, s6, v57
	v_lshlrev_b32_e32 v57, 2, v57
	ds_read_b32 v157, v57
	v_mov_b32_e32 v57, v4
	v_xor_b32_e32 v165, 0xffff8000, v56
	s_waitcnt lgkmcnt(0)
	v_add_u32_e32 v56, v157, v12
	v_lshlrev_b64 v[56:57], 1, v[56:57]
	v_add_co_u32_e32 v56, vcc, s78, v56
	v_addc_co_u32_e32 v57, vcc, v160, v57, vcc
	global_store_short v[56:57], v165, off
	s_or_b64 exec, exec, s[64:65]
	v_cmp_lt_u32_e64 s[64:65], v14, v156
	s_and_saveexec_b64 s[66:67], s[64:65]
	s_cbranch_execnz .LBB1016_825
.LBB1016_876:                           ;   in Loop: Header=BB1016_728 Depth=2
	s_or_b64 exec, exec, s[66:67]
	v_cmp_lt_u32_e64 s[66:67], v16, v156
	s_and_saveexec_b64 s[68:69], s[66:67]
	s_cbranch_execz .LBB1016_826
.LBB1016_877:                           ;   in Loop: Header=BB1016_728 Depth=2
	ds_read_u16 v56, v76 offset:6656
	v_mov_b32_e32 v160, s79
	s_waitcnt lgkmcnt(0)
	v_lshrrev_b32_sdwa v57, s89, v56 dst_sel:DWORD dst_unused:UNUSED_PAD src0_sel:DWORD src1_sel:WORD_0
	v_and_b32_e32 v57, s6, v57
	v_lshlrev_b32_e32 v57, 2, v57
	ds_read_b32 v157, v57
	v_mov_b32_e32 v57, v4
	v_xor_b32_e32 v165, 0xffff8000, v56
	s_waitcnt lgkmcnt(0)
	v_add_u32_e32 v56, v157, v16
	v_lshlrev_b64 v[56:57], 1, v[56:57]
	v_add_co_u32_e32 v56, vcc, s78, v56
	v_addc_co_u32_e32 v57, vcc, v160, v57, vcc
	global_store_short v[56:57], v165, off
	s_or_b64 exec, exec, s[68:69]
	v_cmp_lt_u32_e64 s[68:69], v18, v156
	s_and_saveexec_b64 s[70:71], s[68:69]
	s_cbranch_execnz .LBB1016_827
.LBB1016_878:                           ;   in Loop: Header=BB1016_728 Depth=2
	s_or_b64 exec, exec, s[70:71]
	v_cmp_lt_u32_e64 s[70:71], v20, v156
	s_and_saveexec_b64 s[72:73], s[70:71]
	s_cbranch_execz .LBB1016_828
.LBB1016_879:                           ;   in Loop: Header=BB1016_728 Depth=2
	ds_read_u16 v56, v76 offset:7680
	v_mov_b32_e32 v160, s79
	s_waitcnt lgkmcnt(0)
	v_lshrrev_b32_sdwa v57, s89, v56 dst_sel:DWORD dst_unused:UNUSED_PAD src0_sel:DWORD src1_sel:WORD_0
	v_and_b32_e32 v57, s6, v57
	v_lshlrev_b32_e32 v57, 2, v57
	ds_read_b32 v157, v57
	v_mov_b32_e32 v57, v4
	v_xor_b32_e32 v165, 0xffff8000, v56
	s_waitcnt lgkmcnt(0)
	v_add_u32_e32 v56, v157, v20
	v_lshlrev_b64 v[56:57], 1, v[56:57]
	v_add_co_u32_e32 v56, vcc, s78, v56
	v_addc_co_u32_e32 v57, vcc, v160, v57, vcc
	global_store_short v[56:57], v165, off
	s_or_b64 exec, exec, s[72:73]
	v_cmp_lt_u32_e64 s[72:73], v22, v156
	s_and_saveexec_b64 s[82:83], s[72:73]
	s_cbranch_execnz .LBB1016_829
	s_branch .LBB1016_830
.LBB1016_880:                           ;   in Loop: Header=BB1016_728 Depth=2
	s_or_b64 exec, exec, s[82:83]
	v_cmp_lt_u32_e32 vcc, v112, v156
	s_and_saveexec_b64 s[82:83], vcc
	s_cbranch_execz .LBB1016_832
.LBB1016_881:                           ;   in Loop: Header=BB1016_728 Depth=2
	global_load_dwordx2 v[52:53], v[56:57], off offset:512
	s_or_b64 exec, exec, s[82:83]
	v_cmp_lt_u32_e32 vcc, v113, v156
	s_and_saveexec_b64 s[82:83], vcc
	s_cbranch_execnz .LBB1016_833
.LBB1016_882:                           ;   in Loop: Header=BB1016_728 Depth=2
	s_or_b64 exec, exec, s[82:83]
	v_cmp_lt_u32_e32 vcc, v114, v156
	s_and_saveexec_b64 s[82:83], vcc
	s_cbranch_execz .LBB1016_834
.LBB1016_883:                           ;   in Loop: Header=BB1016_728 Depth=2
	global_load_dwordx2 v[46:47], v[56:57], off offset:1536
	s_or_b64 exec, exec, s[82:83]
	v_cmp_lt_u32_e32 vcc, v115, v156
	s_and_saveexec_b64 s[82:83], vcc
	s_cbranch_execnz .LBB1016_835
.LBB1016_884:                           ;   in Loop: Header=BB1016_728 Depth=2
	s_or_b64 exec, exec, s[82:83]
	v_cmp_lt_u32_e32 vcc, v116, v156
	s_and_saveexec_b64 s[82:83], vcc
	s_cbranch_execz .LBB1016_836
.LBB1016_885:                           ;   in Loop: Header=BB1016_728 Depth=2
	global_load_dwordx2 v[38:39], v[56:57], off offset:2560
	s_or_b64 exec, exec, s[82:83]
	v_cmp_lt_u32_e32 vcc, v117, v156
	s_and_saveexec_b64 s[82:83], vcc
	s_cbranch_execnz .LBB1016_837
.LBB1016_886:                           ;   in Loop: Header=BB1016_728 Depth=2
	s_or_b64 exec, exec, s[82:83]
	v_cmp_lt_u32_e32 vcc, v118, v156
	s_and_saveexec_b64 s[82:83], vcc
	s_cbranch_execz .LBB1016_838
.LBB1016_887:                           ;   in Loop: Header=BB1016_728 Depth=2
	global_load_dwordx2 v[30:31], v[56:57], off offset:3584
	s_or_b64 exec, exec, s[82:83]
	v_cmp_lt_u32_e32 vcc, v119, v156
	s_and_saveexec_b64 s[82:83], vcc
	s_cbranch_execnz .LBB1016_839
.LBB1016_888:                           ;   in Loop: Header=BB1016_728 Depth=2
	s_or_b64 exec, exec, s[82:83]
	v_cmp_lt_u32_e32 vcc, v120, v156
	s_and_saveexec_b64 s[82:83], vcc
	s_cbranch_execz .LBB1016_840
.LBB1016_889:                           ;   in Loop: Header=BB1016_728 Depth=2
	v_add_co_u32_e32 v44, vcc, 0x1000, v56
	v_addc_co_u32_e32 v45, vcc, 0, v57, vcc
	global_load_dwordx2 v[44:45], v[44:45], off offset:512
	s_or_b64 exec, exec, s[82:83]
	v_cmp_lt_u32_e32 vcc, v121, v156
	s_and_saveexec_b64 s[82:83], vcc
	s_cbranch_execnz .LBB1016_841
.LBB1016_890:                           ;   in Loop: Header=BB1016_728 Depth=2
	s_or_b64 exec, exec, s[82:83]
	v_cmp_lt_u32_e32 vcc, v122, v156
	s_and_saveexec_b64 s[82:83], vcc
	s_cbranch_execz .LBB1016_842
.LBB1016_891:                           ;   in Loop: Header=BB1016_728 Depth=2
	v_add_co_u32_e32 v36, vcc, 0x1000, v56
	v_addc_co_u32_e32 v37, vcc, 0, v57, vcc
	global_load_dwordx2 v[36:37], v[36:37], off offset:1536
	s_or_b64 exec, exec, s[82:83]
	v_cmp_lt_u32_e32 vcc, v123, v156
	s_and_saveexec_b64 s[82:83], vcc
	s_cbranch_execnz .LBB1016_843
.LBB1016_892:                           ;   in Loop: Header=BB1016_728 Depth=2
	s_or_b64 exec, exec, s[82:83]
	v_cmp_lt_u32_e32 vcc, v124, v156
	s_and_saveexec_b64 s[82:83], vcc
	s_cbranch_execz .LBB1016_844
.LBB1016_893:                           ;   in Loop: Header=BB1016_728 Depth=2
	v_add_co_u32_e32 v28, vcc, 0x1000, v56
	v_addc_co_u32_e32 v29, vcc, 0, v57, vcc
	global_load_dwordx2 v[28:29], v[28:29], off offset:2560
	s_or_b64 exec, exec, s[82:83]
	v_cmp_lt_u32_e32 vcc, v125, v156
	s_and_saveexec_b64 s[82:83], vcc
	s_cbranch_execnz .LBB1016_845
.LBB1016_894:                           ;   in Loop: Header=BB1016_728 Depth=2
	s_or_b64 exec, exec, s[82:83]
	v_cmp_lt_u32_e32 vcc, v126, v156
	s_and_saveexec_b64 s[82:83], vcc
	s_cbranch_execz .LBB1016_846
.LBB1016_895:                           ;   in Loop: Header=BB1016_728 Depth=2
	v_add_co_u32_e32 v24, vcc, 0x1000, v56
	v_addc_co_u32_e32 v25, vcc, 0, v57, vcc
	global_load_dwordx2 v[24:25], v[24:25], off offset:3584
	s_or_b64 exec, exec, s[82:83]
	v_cmp_lt_u32_e32 vcc, v127, v156
	s_and_saveexec_b64 s[82:83], vcc
	s_cbranch_execnz .LBB1016_847
.LBB1016_896:                           ;   in Loop: Header=BB1016_728 Depth=2
	s_or_b64 exec, exec, s[82:83]
	s_and_saveexec_b64 s[82:83], s[40:41]
	s_cbranch_execz .LBB1016_848
.LBB1016_897:                           ;   in Loop: Header=BB1016_728 Depth=2
	v_add_u32_e32 v56, v70, v75
	ds_read_u16 v56, v56 offset:512
	s_waitcnt lgkmcnt(0)
	v_lshrrev_b32_e32 v56, s89, v56
	v_and_b32_e32 v152, s6, v56
	s_or_b64 exec, exec, s[82:83]
	s_and_saveexec_b64 s[82:83], s[42:43]
	s_cbranch_execnz .LBB1016_849
.LBB1016_898:                           ;   in Loop: Header=BB1016_728 Depth=2
	s_or_b64 exec, exec, s[82:83]
	s_and_saveexec_b64 s[82:83], s[44:45]
	s_cbranch_execz .LBB1016_850
.LBB1016_899:                           ;   in Loop: Header=BB1016_728 Depth=2
	ds_read_u16 v56, v76 offset:1024
	s_waitcnt lgkmcnt(0)
	v_lshrrev_b32_e32 v56, s89, v56
	v_and_b32_e32 v149, s6, v56
	s_or_b64 exec, exec, s[82:83]
	s_and_saveexec_b64 s[82:83], s[46:47]
	s_cbranch_execnz .LBB1016_851
.LBB1016_900:                           ;   in Loop: Header=BB1016_728 Depth=2
	s_or_b64 exec, exec, s[82:83]
	s_and_saveexec_b64 s[82:83], s[48:49]
	s_cbranch_execz .LBB1016_852
.LBB1016_901:                           ;   in Loop: Header=BB1016_728 Depth=2
	ds_read_u16 v56, v76 offset:2048
	s_waitcnt lgkmcnt(0)
	v_lshrrev_b32_e32 v56, s89, v56
	v_and_b32_e32 v146, s6, v56
	s_or_b64 exec, exec, s[82:83]
	s_and_saveexec_b64 s[82:83], s[50:51]
	s_cbranch_execnz .LBB1016_853
.LBB1016_902:                           ;   in Loop: Header=BB1016_728 Depth=2
	s_or_b64 exec, exec, s[82:83]
	s_and_saveexec_b64 s[82:83], s[52:53]
	s_cbranch_execz .LBB1016_854
.LBB1016_903:                           ;   in Loop: Header=BB1016_728 Depth=2
	ds_read_u16 v56, v76 offset:3072
	s_waitcnt lgkmcnt(0)
	v_lshrrev_b32_e32 v56, s89, v56
	v_and_b32_e32 v144, s6, v56
	s_or_b64 exec, exec, s[82:83]
	s_and_saveexec_b64 s[82:83], s[54:55]
	s_cbranch_execnz .LBB1016_855
.LBB1016_904:                           ;   in Loop: Header=BB1016_728 Depth=2
	s_or_b64 exec, exec, s[82:83]
	s_and_saveexec_b64 s[82:83], s[56:57]
	s_cbranch_execz .LBB1016_856
.LBB1016_905:                           ;   in Loop: Header=BB1016_728 Depth=2
	ds_read_u16 v56, v76 offset:4096
	s_waitcnt lgkmcnt(0)
	v_lshrrev_b32_e32 v56, s89, v56
	v_and_b32_e32 v142, s6, v56
	s_or_b64 exec, exec, s[82:83]
	s_and_saveexec_b64 s[82:83], s[58:59]
	s_cbranch_execnz .LBB1016_857
.LBB1016_906:                           ;   in Loop: Header=BB1016_728 Depth=2
	s_or_b64 exec, exec, s[82:83]
	s_and_saveexec_b64 s[82:83], s[60:61]
	s_cbranch_execz .LBB1016_858
.LBB1016_907:                           ;   in Loop: Header=BB1016_728 Depth=2
	ds_read_u16 v56, v76 offset:5120
	s_waitcnt lgkmcnt(0)
	v_lshrrev_b32_e32 v56, s89, v56
	v_and_b32_e32 v140, s6, v56
	s_or_b64 exec, exec, s[82:83]
	s_and_saveexec_b64 s[82:83], s[62:63]
	s_cbranch_execnz .LBB1016_859
.LBB1016_908:                           ;   in Loop: Header=BB1016_728 Depth=2
	s_or_b64 exec, exec, s[82:83]
	s_and_saveexec_b64 s[82:83], s[64:65]
	s_cbranch_execz .LBB1016_860
.LBB1016_909:                           ;   in Loop: Header=BB1016_728 Depth=2
	ds_read_u16 v56, v76 offset:6144
	s_waitcnt lgkmcnt(0)
	v_lshrrev_b32_e32 v56, s89, v56
	v_and_b32_e32 v138, s6, v56
	s_or_b64 exec, exec, s[82:83]
	s_and_saveexec_b64 s[82:83], s[66:67]
	s_cbranch_execnz .LBB1016_861
.LBB1016_910:                           ;   in Loop: Header=BB1016_728 Depth=2
	s_or_b64 exec, exec, s[82:83]
	s_and_saveexec_b64 s[82:83], s[68:69]
	s_cbranch_execz .LBB1016_862
.LBB1016_911:                           ;   in Loop: Header=BB1016_728 Depth=2
	ds_read_u16 v56, v76 offset:7168
	s_waitcnt lgkmcnt(0)
	v_lshrrev_b32_e32 v56, s89, v56
	v_and_b32_e32 v136, s6, v56
	s_or_b64 exec, exec, s[82:83]
	s_and_saveexec_b64 s[82:83], s[70:71]
	s_cbranch_execnz .LBB1016_863
.LBB1016_912:                           ;   in Loop: Header=BB1016_728 Depth=2
	s_or_b64 exec, exec, s[82:83]
	s_and_saveexec_b64 s[82:83], s[72:73]
	s_cbranch_execz .LBB1016_914
.LBB1016_913:                           ;   in Loop: Header=BB1016_728 Depth=2
	ds_read_u16 v56, v76 offset:8192
	s_waitcnt lgkmcnt(0)
	v_lshrrev_b32_e32 v56, s89, v56
	v_and_b32_e32 v134, s6, v56
.LBB1016_914:                           ;   in Loop: Header=BB1016_728 Depth=2
	s_or_b64 exec, exec, s[82:83]
	v_lshlrev_b32_e32 v56, 3, v179
	s_barrier
	s_waitcnt vmcnt(0)
	ds_write_b64 v56, v[54:55] offset:512
	v_lshlrev_b32_e32 v56, 3, v175
	ds_write_b64 v56, v[52:53] offset:512
	v_lshlrev_b32_e32 v56, 3, v174
	;; [unrolled: 2-line block ×15, first 2 shown]
	v_lshlrev_b32_e32 v5, 3, v5
	ds_write_b64 v56, v[24:25] offset:512
	ds_write_b64 v5, v[0:1] offset:512
	s_waitcnt lgkmcnt(0)
	s_barrier
	s_and_saveexec_b64 s[82:83], s[40:41]
	s_cbranch_execz .LBB1016_934
; %bb.915:                              ;   in Loop: Header=BB1016_728 Depth=2
	v_lshlrev_b32_e32 v5, 2, v152
	ds_read_b32 v5, v5
	ds_read_b64 v[56:57], v68 offset:512
	v_mov_b32_e32 v157, v4
	v_mov_b32_e32 v158, s85
	s_waitcnt lgkmcnt(1)
	v_add_u32_e32 v156, v5, v2
	v_lshlrev_b64 v[156:157], 3, v[156:157]
	v_add_co_u32_e32 v156, vcc, s84, v156
	v_addc_co_u32_e32 v157, vcc, v158, v157, vcc
	s_waitcnt lgkmcnt(0)
	global_store_dwordx2 v[156:157], v[56:57], off
	s_or_b64 exec, exec, s[82:83]
	s_and_saveexec_b64 s[40:41], s[42:43]
	s_cbranch_execnz .LBB1016_935
.LBB1016_916:                           ;   in Loop: Header=BB1016_728 Depth=2
	s_or_b64 exec, exec, s[40:41]
	s_and_saveexec_b64 s[40:41], s[44:45]
	s_cbranch_execz .LBB1016_936
.LBB1016_917:                           ;   in Loop: Header=BB1016_728 Depth=2
	v_lshlrev_b32_e32 v5, 2, v149
	ds_read_b32 v5, v5
	v_add_u32_e32 v56, v76, v77
	ds_read_b64 v[56:57], v56 offset:4096
	v_mov_b32_e32 v157, v4
	v_mov_b32_e32 v158, s85
	s_waitcnt lgkmcnt(1)
	v_add_u32_e32 v156, v5, v13
	v_lshlrev_b64 v[156:157], 3, v[156:157]
	v_add_co_u32_e32 v156, vcc, s84, v156
	v_addc_co_u32_e32 v157, vcc, v158, v157, vcc
	s_waitcnt lgkmcnt(0)
	global_store_dwordx2 v[156:157], v[56:57], off
	s_or_b64 exec, exec, s[40:41]
	s_and_saveexec_b64 s[40:41], s[46:47]
	s_cbranch_execnz .LBB1016_937
.LBB1016_918:                           ;   in Loop: Header=BB1016_728 Depth=2
	s_or_b64 exec, exec, s[40:41]
	s_and_saveexec_b64 s[40:41], s[48:49]
	s_cbranch_execz .LBB1016_938
.LBB1016_919:                           ;   in Loop: Header=BB1016_728 Depth=2
	v_lshlrev_b32_e32 v5, 2, v146
	ds_read_b32 v5, v5
	v_add_u32_e32 v56, v76, v77
	ds_read_b64 v[56:57], v56 offset:8192
	v_mov_b32_e32 v157, v4
	v_mov_b32_e32 v158, s85
	s_waitcnt lgkmcnt(1)
	v_add_u32_e32 v156, v5, v17
	v_lshlrev_b64 v[156:157], 3, v[156:157]
	v_add_co_u32_e32 v156, vcc, s84, v156
	v_addc_co_u32_e32 v157, vcc, v158, v157, vcc
	s_waitcnt lgkmcnt(0)
	global_store_dwordx2 v[156:157], v[56:57], off
	s_or_b64 exec, exec, s[40:41]
	s_and_saveexec_b64 s[40:41], s[50:51]
	s_cbranch_execnz .LBB1016_939
.LBB1016_920:                           ;   in Loop: Header=BB1016_728 Depth=2
	s_or_b64 exec, exec, s[40:41]
	s_and_saveexec_b64 s[40:41], s[52:53]
	s_cbranch_execz .LBB1016_940
.LBB1016_921:                           ;   in Loop: Header=BB1016_728 Depth=2
	v_lshlrev_b32_e32 v5, 2, v144
	ds_read_b32 v5, v5
	v_add_u32_e32 v56, v76, v77
	ds_read_b64 v[56:57], v56 offset:12288
	v_mov_b32_e32 v157, v4
	v_mov_b32_e32 v158, s85
	s_waitcnt lgkmcnt(1)
	v_add_u32_e32 v156, v5, v21
	v_lshlrev_b64 v[156:157], 3, v[156:157]
	v_add_co_u32_e32 v156, vcc, s84, v156
	v_addc_co_u32_e32 v157, vcc, v158, v157, vcc
	s_waitcnt lgkmcnt(0)
	global_store_dwordx2 v[156:157], v[56:57], off
	s_or_b64 exec, exec, s[40:41]
	s_and_saveexec_b64 s[40:41], s[54:55]
	s_cbranch_execnz .LBB1016_941
.LBB1016_922:                           ;   in Loop: Header=BB1016_728 Depth=2
	s_or_b64 exec, exec, s[40:41]
	s_and_saveexec_b64 s[40:41], s[56:57]
	s_cbranch_execz .LBB1016_942
.LBB1016_923:                           ;   in Loop: Header=BB1016_728 Depth=2
	v_lshlrev_b32_e32 v5, 2, v142
	ds_read_b32 v5, v5
	v_add_u32_e32 v56, v76, v77
	ds_read_b64 v[56:57], v56 offset:16384
	v_mov_b32_e32 v157, v4
	v_mov_b32_e32 v158, s85
	s_waitcnt lgkmcnt(1)
	v_add_u32_e32 v156, v5, v6
	v_lshlrev_b64 v[156:157], 3, v[156:157]
	v_add_co_u32_e32 v156, vcc, s84, v156
	v_addc_co_u32_e32 v157, vcc, v158, v157, vcc
	s_waitcnt lgkmcnt(0)
	global_store_dwordx2 v[156:157], v[56:57], off
	s_or_b64 exec, exec, s[40:41]
	s_and_saveexec_b64 s[40:41], s[58:59]
	s_cbranch_execnz .LBB1016_943
.LBB1016_924:                           ;   in Loop: Header=BB1016_728 Depth=2
	s_or_b64 exec, exec, s[40:41]
	s_and_saveexec_b64 s[40:41], s[60:61]
	s_cbranch_execz .LBB1016_944
.LBB1016_925:                           ;   in Loop: Header=BB1016_728 Depth=2
	v_lshlrev_b32_e32 v5, 2, v140
	ds_read_b32 v5, v5
	v_add_u32_e32 v56, v76, v77
	ds_read_b64 v[56:57], v56 offset:20480
	v_mov_b32_e32 v157, v4
	v_mov_b32_e32 v158, s85
	s_waitcnt lgkmcnt(1)
	v_add_u32_e32 v156, v5, v10
	v_lshlrev_b64 v[156:157], 3, v[156:157]
	v_add_co_u32_e32 v156, vcc, s84, v156
	v_addc_co_u32_e32 v157, vcc, v158, v157, vcc
	s_waitcnt lgkmcnt(0)
	global_store_dwordx2 v[156:157], v[56:57], off
	s_or_b64 exec, exec, s[40:41]
	s_and_saveexec_b64 s[40:41], s[62:63]
	s_cbranch_execnz .LBB1016_945
.LBB1016_926:                           ;   in Loop: Header=BB1016_728 Depth=2
	s_or_b64 exec, exec, s[40:41]
	s_and_saveexec_b64 s[40:41], s[64:65]
	s_cbranch_execz .LBB1016_946
.LBB1016_927:                           ;   in Loop: Header=BB1016_728 Depth=2
	v_lshlrev_b32_e32 v5, 2, v138
	ds_read_b32 v5, v5
	v_add_u32_e32 v56, v76, v77
	ds_read_b64 v[56:57], v56 offset:24576
	v_mov_b32_e32 v157, v4
	v_mov_b32_e32 v158, s85
	s_waitcnt lgkmcnt(1)
	v_add_u32_e32 v156, v5, v14
	v_lshlrev_b64 v[156:157], 3, v[156:157]
	v_add_co_u32_e32 v156, vcc, s84, v156
	v_addc_co_u32_e32 v157, vcc, v158, v157, vcc
	s_waitcnt lgkmcnt(0)
	global_store_dwordx2 v[156:157], v[56:57], off
	s_or_b64 exec, exec, s[40:41]
	s_and_saveexec_b64 s[40:41], s[66:67]
	s_cbranch_execnz .LBB1016_947
.LBB1016_928:                           ;   in Loop: Header=BB1016_728 Depth=2
	s_or_b64 exec, exec, s[40:41]
	s_and_saveexec_b64 s[40:41], s[68:69]
	s_cbranch_execz .LBB1016_948
.LBB1016_929:                           ;   in Loop: Header=BB1016_728 Depth=2
	v_lshlrev_b32_e32 v5, 2, v136
	ds_read_b32 v5, v5
	v_add_u32_e32 v56, v76, v77
	ds_read_b64 v[56:57], v56 offset:28672
	v_mov_b32_e32 v157, v4
	v_mov_b32_e32 v158, s85
	s_waitcnt lgkmcnt(1)
	v_add_u32_e32 v156, v5, v18
	v_lshlrev_b64 v[156:157], 3, v[156:157]
	v_add_co_u32_e32 v156, vcc, s84, v156
	v_addc_co_u32_e32 v157, vcc, v158, v157, vcc
	s_waitcnt lgkmcnt(0)
	global_store_dwordx2 v[156:157], v[56:57], off
	s_or_b64 exec, exec, s[40:41]
	s_and_saveexec_b64 s[40:41], s[70:71]
	s_cbranch_execnz .LBB1016_949
.LBB1016_930:                           ;   in Loop: Header=BB1016_728 Depth=2
	s_or_b64 exec, exec, s[40:41]
	s_and_saveexec_b64 s[40:41], s[72:73]
	s_cbranch_execz .LBB1016_932
.LBB1016_931:                           ;   in Loop: Header=BB1016_728 Depth=2
	v_lshlrev_b32_e32 v5, 2, v134
	ds_read_b32 v5, v5
	v_add_u32_e32 v56, v76, v77
	ds_read_b64 v[56:57], v56 offset:32768
	v_mov_b32_e32 v157, v4
	v_mov_b32_e32 v158, s85
	s_waitcnt lgkmcnt(1)
	v_add_u32_e32 v156, v5, v22
	v_lshlrev_b64 v[156:157], 3, v[156:157]
	v_add_co_u32_e32 v156, vcc, s84, v156
	v_addc_co_u32_e32 v157, vcc, v158, v157, vcc
	s_waitcnt lgkmcnt(0)
	global_store_dwordx2 v[156:157], v[56:57], off
.LBB1016_932:                           ;   in Loop: Header=BB1016_728 Depth=2
	s_or_b64 exec, exec, s[40:41]
	s_barrier
	s_and_saveexec_b64 s[40:41], s[4:5]
	s_cbranch_execz .LBB1016_727
; %bb.933:                              ;   in Loop: Header=BB1016_728 Depth=2
	ds_read_b32 v5, v3
	s_waitcnt lgkmcnt(0)
	v_add3_u32 v5, v154, v155, v5
	ds_write_b32 v3, v5
	s_branch .LBB1016_727
.LBB1016_934:                           ;   in Loop: Header=BB1016_728 Depth=2
	s_or_b64 exec, exec, s[82:83]
	s_and_saveexec_b64 s[40:41], s[42:43]
	s_cbranch_execz .LBB1016_916
.LBB1016_935:                           ;   in Loop: Header=BB1016_728 Depth=2
	v_lshlrev_b32_e32 v5, 2, v150
	ds_read_b32 v5, v5
	v_add_u32_e32 v56, v76, v77
	ds_read_b64 v[56:57], v56 offset:2048
	v_mov_b32_e32 v157, v4
	v_mov_b32_e32 v158, s85
	s_waitcnt lgkmcnt(1)
	v_add_u32_e32 v156, v5, v7
	v_lshlrev_b64 v[156:157], 3, v[156:157]
	v_add_co_u32_e32 v156, vcc, s84, v156
	v_addc_co_u32_e32 v157, vcc, v158, v157, vcc
	s_waitcnt lgkmcnt(0)
	global_store_dwordx2 v[156:157], v[56:57], off
	s_or_b64 exec, exec, s[40:41]
	s_and_saveexec_b64 s[40:41], s[44:45]
	s_cbranch_execnz .LBB1016_917
.LBB1016_936:                           ;   in Loop: Header=BB1016_728 Depth=2
	s_or_b64 exec, exec, s[40:41]
	s_and_saveexec_b64 s[40:41], s[46:47]
	s_cbranch_execz .LBB1016_918
.LBB1016_937:                           ;   in Loop: Header=BB1016_728 Depth=2
	v_lshlrev_b32_e32 v5, 2, v147
	ds_read_b32 v5, v5
	v_add_u32_e32 v56, v76, v77
	ds_read_b64 v[56:57], v56 offset:6144
	v_mov_b32_e32 v157, v4
	v_mov_b32_e32 v158, s85
	s_waitcnt lgkmcnt(1)
	v_add_u32_e32 v156, v5, v15
	v_lshlrev_b64 v[156:157], 3, v[156:157]
	v_add_co_u32_e32 v156, vcc, s84, v156
	v_addc_co_u32_e32 v157, vcc, v158, v157, vcc
	s_waitcnt lgkmcnt(0)
	global_store_dwordx2 v[156:157], v[56:57], off
	s_or_b64 exec, exec, s[40:41]
	s_and_saveexec_b64 s[40:41], s[48:49]
	s_cbranch_execnz .LBB1016_919
.LBB1016_938:                           ;   in Loop: Header=BB1016_728 Depth=2
	s_or_b64 exec, exec, s[40:41]
	s_and_saveexec_b64 s[40:41], s[50:51]
	s_cbranch_execz .LBB1016_920
.LBB1016_939:                           ;   in Loop: Header=BB1016_728 Depth=2
	v_lshlrev_b32_e32 v5, 2, v145
	ds_read_b32 v5, v5
	v_add_u32_e32 v56, v76, v77
	ds_read_b64 v[56:57], v56 offset:10240
	v_mov_b32_e32 v157, v4
	v_mov_b32_e32 v158, s85
	s_waitcnt lgkmcnt(1)
	v_add_u32_e32 v156, v5, v19
	v_lshlrev_b64 v[156:157], 3, v[156:157]
	v_add_co_u32_e32 v156, vcc, s84, v156
	v_addc_co_u32_e32 v157, vcc, v158, v157, vcc
	s_waitcnt lgkmcnt(0)
	global_store_dwordx2 v[156:157], v[56:57], off
	s_or_b64 exec, exec, s[40:41]
	s_and_saveexec_b64 s[40:41], s[52:53]
	s_cbranch_execnz .LBB1016_921
.LBB1016_940:                           ;   in Loop: Header=BB1016_728 Depth=2
	s_or_b64 exec, exec, s[40:41]
	s_and_saveexec_b64 s[40:41], s[54:55]
	s_cbranch_execz .LBB1016_922
.LBB1016_941:                           ;   in Loop: Header=BB1016_728 Depth=2
	v_lshlrev_b32_e32 v5, 2, v143
	ds_read_b32 v5, v5
	v_add_u32_e32 v56, v76, v77
	ds_read_b64 v[56:57], v56 offset:14336
	v_mov_b32_e32 v157, v4
	v_mov_b32_e32 v158, s85
	s_waitcnt lgkmcnt(1)
	v_add_u32_e32 v156, v5, v23
	v_lshlrev_b64 v[156:157], 3, v[156:157]
	v_add_co_u32_e32 v156, vcc, s84, v156
	v_addc_co_u32_e32 v157, vcc, v158, v157, vcc
	s_waitcnt lgkmcnt(0)
	global_store_dwordx2 v[156:157], v[56:57], off
	s_or_b64 exec, exec, s[40:41]
	s_and_saveexec_b64 s[40:41], s[56:57]
	s_cbranch_execnz .LBB1016_923
.LBB1016_942:                           ;   in Loop: Header=BB1016_728 Depth=2
	s_or_b64 exec, exec, s[40:41]
	s_and_saveexec_b64 s[40:41], s[58:59]
	s_cbranch_execz .LBB1016_924
.LBB1016_943:                           ;   in Loop: Header=BB1016_728 Depth=2
	v_lshlrev_b32_e32 v5, 2, v141
	ds_read_b32 v5, v5
	v_add_u32_e32 v56, v76, v77
	ds_read_b64 v[56:57], v56 offset:18432
	v_mov_b32_e32 v157, v4
	v_mov_b32_e32 v158, s85
	s_waitcnt lgkmcnt(1)
	v_add_u32_e32 v156, v5, v8
	v_lshlrev_b64 v[156:157], 3, v[156:157]
	v_add_co_u32_e32 v156, vcc, s84, v156
	v_addc_co_u32_e32 v157, vcc, v158, v157, vcc
	s_waitcnt lgkmcnt(0)
	global_store_dwordx2 v[156:157], v[56:57], off
	s_or_b64 exec, exec, s[40:41]
	s_and_saveexec_b64 s[40:41], s[60:61]
	s_cbranch_execnz .LBB1016_925
.LBB1016_944:                           ;   in Loop: Header=BB1016_728 Depth=2
	s_or_b64 exec, exec, s[40:41]
	s_and_saveexec_b64 s[40:41], s[62:63]
	s_cbranch_execz .LBB1016_926
.LBB1016_945:                           ;   in Loop: Header=BB1016_728 Depth=2
	v_lshlrev_b32_e32 v5, 2, v139
	ds_read_b32 v5, v5
	v_add_u32_e32 v56, v76, v77
	ds_read_b64 v[56:57], v56 offset:22528
	v_mov_b32_e32 v157, v4
	v_mov_b32_e32 v158, s85
	s_waitcnt lgkmcnt(1)
	v_add_u32_e32 v156, v5, v12
	v_lshlrev_b64 v[156:157], 3, v[156:157]
	v_add_co_u32_e32 v156, vcc, s84, v156
	v_addc_co_u32_e32 v157, vcc, v158, v157, vcc
	s_waitcnt lgkmcnt(0)
	global_store_dwordx2 v[156:157], v[56:57], off
	s_or_b64 exec, exec, s[40:41]
	s_and_saveexec_b64 s[40:41], s[64:65]
	s_cbranch_execnz .LBB1016_927
.LBB1016_946:                           ;   in Loop: Header=BB1016_728 Depth=2
	s_or_b64 exec, exec, s[40:41]
	s_and_saveexec_b64 s[40:41], s[66:67]
	s_cbranch_execz .LBB1016_928
.LBB1016_947:                           ;   in Loop: Header=BB1016_728 Depth=2
	v_lshlrev_b32_e32 v5, 2, v137
	ds_read_b32 v5, v5
	v_add_u32_e32 v56, v76, v77
	ds_read_b64 v[56:57], v56 offset:26624
	v_mov_b32_e32 v157, v4
	v_mov_b32_e32 v158, s85
	s_waitcnt lgkmcnt(1)
	v_add_u32_e32 v156, v5, v16
	v_lshlrev_b64 v[156:157], 3, v[156:157]
	v_add_co_u32_e32 v156, vcc, s84, v156
	v_addc_co_u32_e32 v157, vcc, v158, v157, vcc
	s_waitcnt lgkmcnt(0)
	global_store_dwordx2 v[156:157], v[56:57], off
	s_or_b64 exec, exec, s[40:41]
	s_and_saveexec_b64 s[40:41], s[68:69]
	s_cbranch_execnz .LBB1016_929
.LBB1016_948:                           ;   in Loop: Header=BB1016_728 Depth=2
	s_or_b64 exec, exec, s[40:41]
	s_and_saveexec_b64 s[40:41], s[70:71]
	s_cbranch_execz .LBB1016_930
.LBB1016_949:                           ;   in Loop: Header=BB1016_728 Depth=2
	v_lshlrev_b32_e32 v5, 2, v135
	ds_read_b32 v5, v5
	v_add_u32_e32 v56, v76, v77
	ds_read_b64 v[56:57], v56 offset:30720
	v_mov_b32_e32 v157, v4
	v_mov_b32_e32 v158, s85
	s_waitcnt lgkmcnt(1)
	v_add_u32_e32 v156, v5, v20
	v_lshlrev_b64 v[156:157], 3, v[156:157]
	v_add_co_u32_e32 v156, vcc, s84, v156
	v_addc_co_u32_e32 v157, vcc, v158, v157, vcc
	s_waitcnt lgkmcnt(0)
	global_store_dwordx2 v[156:157], v[56:57], off
	s_or_b64 exec, exec, s[40:41]
	s_and_saveexec_b64 s[40:41], s[72:73]
	s_cbranch_execnz .LBB1016_931
	s_branch .LBB1016_932
.LBB1016_950:                           ;   in Loop: Header=BB1016_12 Depth=1
	s_waitcnt lgkmcnt(0)
	s_barrier
	s_mov_b64 s[20:21], 0
.LBB1016_951:                           ;   in Loop: Header=BB1016_12 Depth=1
	s_and_b64 vcc, exec, s[20:21]
	s_cbranch_vccz .LBB1016_11
; %bb.952:                              ;   in Loop: Header=BB1016_12 Depth=1
	s_mov_b32 s7, s91
	s_mov_b32 s94, s75
	s_barrier
	s_waitcnt lgkmcnt(0)
                                        ; implicit-def: $vgpr39
                                        ; implicit-def: $vgpr5
                                        ; implicit-def: $vgpr24
                                        ; implicit-def: $vgpr25
                                        ; implicit-def: $vgpr26
                                        ; implicit-def: $vgpr27
                                        ; implicit-def: $vgpr28
                                        ; implicit-def: $vgpr29
                                        ; implicit-def: $vgpr30
                                        ; implicit-def: $vgpr31
                                        ; implicit-def: $vgpr32
                                        ; implicit-def: $vgpr33
                                        ; implicit-def: $vgpr34
                                        ; implicit-def: $vgpr35
                                        ; implicit-def: $vgpr36
                                        ; implicit-def: $vgpr37
                                        ; implicit-def: $vgpr38
	s_branch .LBB1016_954
.LBB1016_953:                           ;   in Loop: Header=BB1016_954 Depth=2
	s_or_b64 exec, exec, s[20:21]
	s_addk_i32 s7, 0xef00
	s_cmp_ge_u32 s8, s98
	s_mov_b32 s94, s8
	s_cbranch_scc1 .LBB1016_1028
.LBB1016_954:                           ;   Parent Loop BB1016_12 Depth=1
                                        ; =>  This Inner Loop Header: Depth=2
	s_add_i32 s8, s94, 0x1100
	s_cmp_gt_u32 s8, s98
	s_cbranch_scc1 .LBB1016_957
; %bb.955:                              ;   in Loop: Header=BB1016_954 Depth=2
	s_lshl_b64 s[20:21], s[94:95], 1
	v_mov_b32_e32 v1, s21
	v_add_co_u32_e32 v0, vcc, s20, v84
	v_addc_co_u32_e32 v1, vcc, v85, v1, vcc
	s_waitcnt vmcnt(0)
	v_add_co_u32_e32 v56, vcc, s88, v0
	v_addc_co_u32_e32 v57, vcc, 0, v1, vcc
	global_load_ushort v41, v[0:1], off
	global_load_ushort v42, v[0:1], off offset:512
	global_load_ushort v43, v[0:1], off offset:1024
	;; [unrolled: 1-line block ×7, first 2 shown]
	global_load_ushort v49, v[56:57], off
	global_load_ushort v50, v[56:57], off offset:512
	global_load_ushort v51, v[56:57], off offset:1024
	;; [unrolled: 1-line block ×6, first 2 shown]
	s_nop 0
	global_load_ushort v56, v[56:57], off offset:3584
	v_add_co_u32_e32 v0, vcc, 0x2000, v0
	v_addc_co_u32_e32 v1, vcc, 0, v1, vcc
	s_mov_b64 s[20:21], -1
	s_movk_i32 s9, 0x1100
	s_cbranch_execz .LBB1016_958
; %bb.956:                              ;   in Loop: Header=BB1016_954 Depth=2
                                        ; implicit-def: $vgpr38
                                        ; implicit-def: $vgpr37
                                        ; implicit-def: $vgpr36
                                        ; implicit-def: $vgpr35
                                        ; implicit-def: $vgpr34
                                        ; implicit-def: $vgpr33
                                        ; implicit-def: $vgpr32
                                        ; implicit-def: $vgpr31
                                        ; implicit-def: $vgpr30
                                        ; implicit-def: $vgpr29
                                        ; implicit-def: $vgpr28
                                        ; implicit-def: $vgpr27
                                        ; implicit-def: $vgpr26
                                        ; implicit-def: $vgpr25
                                        ; implicit-def: $vgpr24
                                        ; implicit-def: $vgpr5
                                        ; implicit-def: $vgpr39
	v_mov_b32_e32 v40, s7
	s_and_saveexec_b64 s[22:23], s[20:21]
	s_cbranch_execnz .LBB1016_993
	s_branch .LBB1016_994
.LBB1016_957:                           ;   in Loop: Header=BB1016_954 Depth=2
	s_mov_b64 s[20:21], 0
                                        ; implicit-def: $sgpr9
                                        ; implicit-def: $vgpr41
                                        ; implicit-def: $vgpr42
                                        ; implicit-def: $vgpr43
                                        ; implicit-def: $vgpr44
                                        ; implicit-def: $vgpr45
                                        ; implicit-def: $vgpr46
                                        ; implicit-def: $vgpr47
                                        ; implicit-def: $vgpr48
                                        ; implicit-def: $vgpr49
                                        ; implicit-def: $vgpr50
                                        ; implicit-def: $vgpr51
                                        ; implicit-def: $vgpr52
                                        ; implicit-def: $vgpr53
                                        ; implicit-def: $vgpr54
                                        ; implicit-def: $vgpr55
                                        ; implicit-def: $vgpr56
                                        ; implicit-def: $vgpr0_vgpr1
.LBB1016_958:                           ;   in Loop: Header=BB1016_954 Depth=2
	s_lshl_b64 s[22:23], s[94:95], 1
	s_add_u32 s22, s76, s22
	s_addc_u32 s23, s77, s23
	v_cmp_gt_u32_e32 vcc, s7, v2
	s_and_saveexec_b64 s[24:25], vcc
	s_cbranch_execz .LBB1016_974
; %bb.959:                              ;   in Loop: Header=BB1016_954 Depth=2
	global_load_ushort v38, v92, s[22:23]
	s_or_b64 exec, exec, s[24:25]
	v_cmp_gt_u32_e32 vcc, s7, v7
	s_and_saveexec_b64 s[24:25], vcc
	s_cbranch_execnz .LBB1016_975
.LBB1016_960:                           ;   in Loop: Header=BB1016_954 Depth=2
	s_or_b64 exec, exec, s[24:25]
	v_cmp_gt_u32_e32 vcc, s7, v13
	s_and_saveexec_b64 s[24:25], vcc
	s_cbranch_execz .LBB1016_976
.LBB1016_961:                           ;   in Loop: Header=BB1016_954 Depth=2
	global_load_ushort v36, v92, s[22:23] offset:1024
	s_or_b64 exec, exec, s[24:25]
	v_cmp_gt_u32_e32 vcc, s7, v15
	s_and_saveexec_b64 s[24:25], vcc
	s_cbranch_execnz .LBB1016_977
.LBB1016_962:                           ;   in Loop: Header=BB1016_954 Depth=2
	s_or_b64 exec, exec, s[24:25]
	v_cmp_gt_u32_e32 vcc, s7, v17
	s_and_saveexec_b64 s[24:25], vcc
	s_cbranch_execz .LBB1016_978
.LBB1016_963:                           ;   in Loop: Header=BB1016_954 Depth=2
	global_load_ushort v34, v92, s[22:23] offset:2048
	s_or_b64 exec, exec, s[24:25]
	v_cmp_gt_u32_e32 vcc, s7, v19
	s_and_saveexec_b64 s[24:25], vcc
	s_cbranch_execnz .LBB1016_979
.LBB1016_964:                           ;   in Loop: Header=BB1016_954 Depth=2
	s_or_b64 exec, exec, s[24:25]
	v_cmp_gt_u32_e32 vcc, s7, v21
	s_and_saveexec_b64 s[24:25], vcc
	s_cbranch_execz .LBB1016_980
.LBB1016_965:                           ;   in Loop: Header=BB1016_954 Depth=2
	global_load_ushort v32, v92, s[22:23] offset:3072
	s_or_b64 exec, exec, s[24:25]
	v_cmp_gt_u32_e32 vcc, s7, v23
	s_and_saveexec_b64 s[24:25], vcc
	s_cbranch_execnz .LBB1016_981
.LBB1016_966:                           ;   in Loop: Header=BB1016_954 Depth=2
	s_or_b64 exec, exec, s[24:25]
	v_cmp_gt_u32_e32 vcc, s7, v6
	s_and_saveexec_b64 s[24:25], vcc
	s_cbranch_execz .LBB1016_982
.LBB1016_967:                           ;   in Loop: Header=BB1016_954 Depth=2
	global_load_ushort v30, v93, s[22:23]
	s_or_b64 exec, exec, s[24:25]
	v_cmp_gt_u32_e32 vcc, s7, v8
	s_and_saveexec_b64 s[24:25], vcc
	s_cbranch_execnz .LBB1016_983
.LBB1016_968:                           ;   in Loop: Header=BB1016_954 Depth=2
	s_or_b64 exec, exec, s[24:25]
	v_cmp_gt_u32_e32 vcc, s7, v10
	s_and_saveexec_b64 s[24:25], vcc
	s_cbranch_execz .LBB1016_984
.LBB1016_969:                           ;   in Loop: Header=BB1016_954 Depth=2
	global_load_ushort v28, v95, s[22:23]
	s_or_b64 exec, exec, s[24:25]
	v_cmp_gt_u32_e32 vcc, s7, v12
	s_and_saveexec_b64 s[24:25], vcc
	s_cbranch_execnz .LBB1016_985
.LBB1016_970:                           ;   in Loop: Header=BB1016_954 Depth=2
	s_or_b64 exec, exec, s[24:25]
	v_cmp_gt_u32_e32 vcc, s7, v14
	s_and_saveexec_b64 s[24:25], vcc
	s_cbranch_execz .LBB1016_986
.LBB1016_971:                           ;   in Loop: Header=BB1016_954 Depth=2
	global_load_ushort v26, v97, s[22:23]
	s_or_b64 exec, exec, s[24:25]
	v_cmp_gt_u32_e32 vcc, s7, v16
	s_and_saveexec_b64 s[24:25], vcc
	s_cbranch_execnz .LBB1016_987
.LBB1016_972:                           ;   in Loop: Header=BB1016_954 Depth=2
	s_or_b64 exec, exec, s[24:25]
	v_cmp_gt_u32_e32 vcc, s7, v18
	s_and_saveexec_b64 s[24:25], vcc
	s_cbranch_execz .LBB1016_988
.LBB1016_973:                           ;   in Loop: Header=BB1016_954 Depth=2
	global_load_ushort v24, v99, s[22:23]
	s_or_b64 exec, exec, s[24:25]
	v_cmp_gt_u32_e32 vcc, s7, v20
	s_and_saveexec_b64 s[24:25], vcc
	s_cbranch_execz .LBB1016_990
	s_branch .LBB1016_989
.LBB1016_974:                           ;   in Loop: Header=BB1016_954 Depth=2
	s_or_b64 exec, exec, s[24:25]
	v_cmp_gt_u32_e32 vcc, s7, v7
	s_and_saveexec_b64 s[24:25], vcc
	s_cbranch_execz .LBB1016_960
.LBB1016_975:                           ;   in Loop: Header=BB1016_954 Depth=2
	global_load_ushort v37, v92, s[22:23] offset:512
	s_or_b64 exec, exec, s[24:25]
	v_cmp_gt_u32_e32 vcc, s7, v13
	s_and_saveexec_b64 s[24:25], vcc
	s_cbranch_execnz .LBB1016_961
.LBB1016_976:                           ;   in Loop: Header=BB1016_954 Depth=2
	s_or_b64 exec, exec, s[24:25]
	v_cmp_gt_u32_e32 vcc, s7, v15
	s_and_saveexec_b64 s[24:25], vcc
	s_cbranch_execz .LBB1016_962
.LBB1016_977:                           ;   in Loop: Header=BB1016_954 Depth=2
	global_load_ushort v35, v92, s[22:23] offset:1536
	s_or_b64 exec, exec, s[24:25]
	v_cmp_gt_u32_e32 vcc, s7, v17
	s_and_saveexec_b64 s[24:25], vcc
	s_cbranch_execnz .LBB1016_963
.LBB1016_978:                           ;   in Loop: Header=BB1016_954 Depth=2
	s_or_b64 exec, exec, s[24:25]
	v_cmp_gt_u32_e32 vcc, s7, v19
	s_and_saveexec_b64 s[24:25], vcc
	s_cbranch_execz .LBB1016_964
.LBB1016_979:                           ;   in Loop: Header=BB1016_954 Depth=2
	global_load_ushort v33, v92, s[22:23] offset:2560
	s_or_b64 exec, exec, s[24:25]
	v_cmp_gt_u32_e32 vcc, s7, v21
	s_and_saveexec_b64 s[24:25], vcc
	s_cbranch_execnz .LBB1016_965
.LBB1016_980:                           ;   in Loop: Header=BB1016_954 Depth=2
	s_or_b64 exec, exec, s[24:25]
	v_cmp_gt_u32_e32 vcc, s7, v23
	s_and_saveexec_b64 s[24:25], vcc
	s_cbranch_execz .LBB1016_966
.LBB1016_981:                           ;   in Loop: Header=BB1016_954 Depth=2
	global_load_ushort v31, v92, s[22:23] offset:3584
	s_or_b64 exec, exec, s[24:25]
	v_cmp_gt_u32_e32 vcc, s7, v6
	s_and_saveexec_b64 s[24:25], vcc
	s_cbranch_execnz .LBB1016_967
.LBB1016_982:                           ;   in Loop: Header=BB1016_954 Depth=2
	s_or_b64 exec, exec, s[24:25]
	v_cmp_gt_u32_e32 vcc, s7, v8
	s_and_saveexec_b64 s[24:25], vcc
	s_cbranch_execz .LBB1016_968
.LBB1016_983:                           ;   in Loop: Header=BB1016_954 Depth=2
	global_load_ushort v29, v94, s[22:23]
	s_or_b64 exec, exec, s[24:25]
	v_cmp_gt_u32_e32 vcc, s7, v10
	s_and_saveexec_b64 s[24:25], vcc
	s_cbranch_execnz .LBB1016_969
.LBB1016_984:                           ;   in Loop: Header=BB1016_954 Depth=2
	s_or_b64 exec, exec, s[24:25]
	v_cmp_gt_u32_e32 vcc, s7, v12
	s_and_saveexec_b64 s[24:25], vcc
	s_cbranch_execz .LBB1016_970
.LBB1016_985:                           ;   in Loop: Header=BB1016_954 Depth=2
	global_load_ushort v27, v96, s[22:23]
	s_or_b64 exec, exec, s[24:25]
	v_cmp_gt_u32_e32 vcc, s7, v14
	s_and_saveexec_b64 s[24:25], vcc
	s_cbranch_execnz .LBB1016_971
.LBB1016_986:                           ;   in Loop: Header=BB1016_954 Depth=2
	s_or_b64 exec, exec, s[24:25]
	v_cmp_gt_u32_e32 vcc, s7, v16
	s_and_saveexec_b64 s[24:25], vcc
	s_cbranch_execz .LBB1016_972
.LBB1016_987:                           ;   in Loop: Header=BB1016_954 Depth=2
	global_load_ushort v25, v98, s[22:23]
	s_or_b64 exec, exec, s[24:25]
	v_cmp_gt_u32_e32 vcc, s7, v18
	s_and_saveexec_b64 s[24:25], vcc
	s_cbranch_execnz .LBB1016_973
.LBB1016_988:                           ;   in Loop: Header=BB1016_954 Depth=2
	s_or_b64 exec, exec, s[24:25]
	v_cmp_gt_u32_e32 vcc, s7, v20
	s_and_saveexec_b64 s[24:25], vcc
	s_cbranch_execz .LBB1016_990
.LBB1016_989:                           ;   in Loop: Header=BB1016_954 Depth=2
	global_load_ushort v5, v100, s[22:23]
.LBB1016_990:                           ;   in Loop: Header=BB1016_954 Depth=2
	s_or_b64 exec, exec, s[24:25]
	v_cmp_gt_u32_e32 vcc, s7, v22
                                        ; implicit-def: $sgpr9
                                        ; implicit-def: $vgpr0_vgpr1
	s_and_saveexec_b64 s[24:25], vcc
; %bb.991:                              ;   in Loop: Header=BB1016_954 Depth=2
	v_mov_b32_e32 v1, s23
	v_add_co_u32_e32 v0, vcc, s22, v101
	s_sub_i32 s9, s98, s94
	v_addc_co_u32_e32 v1, vcc, 0, v1, vcc
	s_or_b64 s[20:21], s[20:21], exec
                                        ; implicit-def: $vgpr39
; %bb.992:                              ;   in Loop: Header=BB1016_954 Depth=2
	s_or_b64 exec, exec, s[24:25]
	s_waitcnt vmcnt(0)
	v_mov_b32_e32 v41, v38
	v_mov_b32_e32 v42, v37
	v_mov_b32_e32 v43, v36
	v_mov_b32_e32 v44, v35
	v_mov_b32_e32 v45, v34
	v_mov_b32_e32 v46, v33
	v_mov_b32_e32 v47, v32
	v_mov_b32_e32 v48, v31
	v_mov_b32_e32 v49, v30
	v_mov_b32_e32 v50, v29
	v_mov_b32_e32 v51, v28
	v_mov_b32_e32 v52, v27
	v_mov_b32_e32 v53, v26
	v_mov_b32_e32 v54, v25
	v_mov_b32_e32 v55, v24
	v_mov_b32_e32 v56, v5
	v_mov_b32_e32 v40, s7
	s_and_saveexec_b64 s[22:23], s[20:21]
	s_cbranch_execz .LBB1016_994
.LBB1016_993:                           ;   in Loop: Header=BB1016_954 Depth=2
	global_load_ushort v39, v[0:1], off
	v_mov_b32_e32 v40, s9
	s_waitcnt vmcnt(1)
	v_mov_b32_e32 v5, v56
	v_mov_b32_e32 v24, v55
	;; [unrolled: 1-line block ×16, first 2 shown]
.LBB1016_994:                           ;   in Loop: Header=BB1016_954 Depth=2
	s_or_b64 exec, exec, s[22:23]
	v_cmp_lt_u32_e32 vcc, v2, v40
	s_and_saveexec_b64 s[20:21], vcc
	s_cbranch_execz .LBB1016_1011
; %bb.995:                              ;   in Loop: Header=BB1016_954 Depth=2
	v_xor_b32_e32 v0, 0xffff8000, v38
	v_lshrrev_b32_sdwa v0, s89, v0 dst_sel:DWORD dst_unused:UNUSED_PAD src0_sel:DWORD src1_sel:WORD_0
	v_and_b32_e32 v0, s6, v0
	v_lshl_or_b32 v0, v0, 4, v90
	ds_add_u32 v0, v91
	s_or_b64 exec, exec, s[20:21]
	v_cmp_lt_u32_e32 vcc, v7, v40
	s_and_saveexec_b64 s[20:21], vcc
	s_cbranch_execnz .LBB1016_1012
.LBB1016_996:                           ;   in Loop: Header=BB1016_954 Depth=2
	s_or_b64 exec, exec, s[20:21]
	v_cmp_lt_u32_e32 vcc, v13, v40
	s_and_saveexec_b64 s[20:21], vcc
	s_cbranch_execz .LBB1016_1013
.LBB1016_997:                           ;   in Loop: Header=BB1016_954 Depth=2
	v_xor_b32_e32 v0, 0xffff8000, v36
	v_lshrrev_b32_sdwa v0, s89, v0 dst_sel:DWORD dst_unused:UNUSED_PAD src0_sel:DWORD src1_sel:WORD_0
	v_and_b32_e32 v0, s6, v0
	v_lshl_or_b32 v0, v0, 4, v90
	ds_add_u32 v0, v91
	s_or_b64 exec, exec, s[20:21]
	v_cmp_lt_u32_e32 vcc, v15, v40
	s_and_saveexec_b64 s[20:21], vcc
	s_cbranch_execnz .LBB1016_1014
.LBB1016_998:                           ;   in Loop: Header=BB1016_954 Depth=2
	s_or_b64 exec, exec, s[20:21]
	v_cmp_lt_u32_e32 vcc, v17, v40
	s_and_saveexec_b64 s[20:21], vcc
	s_cbranch_execz .LBB1016_1015
.LBB1016_999:                           ;   in Loop: Header=BB1016_954 Depth=2
	v_xor_b32_e32 v0, 0xffff8000, v34
	v_lshrrev_b32_sdwa v0, s89, v0 dst_sel:DWORD dst_unused:UNUSED_PAD src0_sel:DWORD src1_sel:WORD_0
	v_and_b32_e32 v0, s6, v0
	v_lshl_or_b32 v0, v0, 4, v90
	ds_add_u32 v0, v91
	s_or_b64 exec, exec, s[20:21]
	v_cmp_lt_u32_e32 vcc, v19, v40
	s_and_saveexec_b64 s[20:21], vcc
	s_cbranch_execnz .LBB1016_1016
.LBB1016_1000:                          ;   in Loop: Header=BB1016_954 Depth=2
	s_or_b64 exec, exec, s[20:21]
	v_cmp_lt_u32_e32 vcc, v21, v40
	s_and_saveexec_b64 s[20:21], vcc
	s_cbranch_execz .LBB1016_1017
.LBB1016_1001:                          ;   in Loop: Header=BB1016_954 Depth=2
	v_xor_b32_e32 v0, 0xffff8000, v32
	v_lshrrev_b32_sdwa v0, s89, v0 dst_sel:DWORD dst_unused:UNUSED_PAD src0_sel:DWORD src1_sel:WORD_0
	v_and_b32_e32 v0, s6, v0
	v_lshl_or_b32 v0, v0, 4, v90
	ds_add_u32 v0, v91
	s_or_b64 exec, exec, s[20:21]
	v_cmp_lt_u32_e32 vcc, v23, v40
	s_and_saveexec_b64 s[20:21], vcc
	s_cbranch_execnz .LBB1016_1018
.LBB1016_1002:                          ;   in Loop: Header=BB1016_954 Depth=2
	s_or_b64 exec, exec, s[20:21]
	v_cmp_lt_u32_e32 vcc, v6, v40
	s_and_saveexec_b64 s[20:21], vcc
	s_cbranch_execz .LBB1016_1019
.LBB1016_1003:                          ;   in Loop: Header=BB1016_954 Depth=2
	v_xor_b32_e32 v0, 0xffff8000, v30
	v_lshrrev_b32_sdwa v0, s89, v0 dst_sel:DWORD dst_unused:UNUSED_PAD src0_sel:DWORD src1_sel:WORD_0
	v_and_b32_e32 v0, s6, v0
	v_lshl_or_b32 v0, v0, 4, v90
	ds_add_u32 v0, v91
	s_or_b64 exec, exec, s[20:21]
	v_cmp_lt_u32_e32 vcc, v8, v40
	s_and_saveexec_b64 s[20:21], vcc
	s_cbranch_execnz .LBB1016_1020
.LBB1016_1004:                          ;   in Loop: Header=BB1016_954 Depth=2
	s_or_b64 exec, exec, s[20:21]
	v_cmp_lt_u32_e32 vcc, v10, v40
	s_and_saveexec_b64 s[20:21], vcc
	s_cbranch_execz .LBB1016_1021
.LBB1016_1005:                          ;   in Loop: Header=BB1016_954 Depth=2
	v_xor_b32_e32 v0, 0xffff8000, v28
	v_lshrrev_b32_sdwa v0, s89, v0 dst_sel:DWORD dst_unused:UNUSED_PAD src0_sel:DWORD src1_sel:WORD_0
	v_and_b32_e32 v0, s6, v0
	v_lshl_or_b32 v0, v0, 4, v90
	ds_add_u32 v0, v91
	s_or_b64 exec, exec, s[20:21]
	v_cmp_lt_u32_e32 vcc, v12, v40
	s_and_saveexec_b64 s[20:21], vcc
	s_cbranch_execnz .LBB1016_1022
.LBB1016_1006:                          ;   in Loop: Header=BB1016_954 Depth=2
	s_or_b64 exec, exec, s[20:21]
	v_cmp_lt_u32_e32 vcc, v14, v40
	s_and_saveexec_b64 s[20:21], vcc
	s_cbranch_execz .LBB1016_1023
.LBB1016_1007:                          ;   in Loop: Header=BB1016_954 Depth=2
	v_xor_b32_e32 v0, 0xffff8000, v26
	v_lshrrev_b32_sdwa v0, s89, v0 dst_sel:DWORD dst_unused:UNUSED_PAD src0_sel:DWORD src1_sel:WORD_0
	v_and_b32_e32 v0, s6, v0
	v_lshl_or_b32 v0, v0, 4, v90
	ds_add_u32 v0, v91
	s_or_b64 exec, exec, s[20:21]
	v_cmp_lt_u32_e32 vcc, v16, v40
	s_and_saveexec_b64 s[20:21], vcc
	s_cbranch_execnz .LBB1016_1024
.LBB1016_1008:                          ;   in Loop: Header=BB1016_954 Depth=2
	s_or_b64 exec, exec, s[20:21]
	v_cmp_lt_u32_e32 vcc, v18, v40
	s_and_saveexec_b64 s[20:21], vcc
	s_cbranch_execz .LBB1016_1025
.LBB1016_1009:                          ;   in Loop: Header=BB1016_954 Depth=2
	v_xor_b32_e32 v0, 0xffff8000, v24
	v_lshrrev_b32_sdwa v0, s89, v0 dst_sel:DWORD dst_unused:UNUSED_PAD src0_sel:DWORD src1_sel:WORD_0
	v_and_b32_e32 v0, s6, v0
	v_lshl_or_b32 v0, v0, 4, v90
	ds_add_u32 v0, v91
	s_or_b64 exec, exec, s[20:21]
	v_cmp_lt_u32_e32 vcc, v20, v40
	s_and_saveexec_b64 s[20:21], vcc
	s_cbranch_execnz .LBB1016_1026
.LBB1016_1010:                          ;   in Loop: Header=BB1016_954 Depth=2
	s_or_b64 exec, exec, s[20:21]
	v_cmp_lt_u32_e32 vcc, v22, v40
	s_and_saveexec_b64 s[20:21], vcc
	s_cbranch_execz .LBB1016_953
	s_branch .LBB1016_1027
.LBB1016_1011:                          ;   in Loop: Header=BB1016_954 Depth=2
	s_or_b64 exec, exec, s[20:21]
	v_cmp_lt_u32_e32 vcc, v7, v40
	s_and_saveexec_b64 s[20:21], vcc
	s_cbranch_execz .LBB1016_996
.LBB1016_1012:                          ;   in Loop: Header=BB1016_954 Depth=2
	v_xor_b32_e32 v0, 0xffff8000, v37
	v_lshrrev_b32_sdwa v0, s89, v0 dst_sel:DWORD dst_unused:UNUSED_PAD src0_sel:DWORD src1_sel:WORD_0
	v_and_b32_e32 v0, s6, v0
	v_lshl_or_b32 v0, v0, 4, v90
	ds_add_u32 v0, v91
	s_or_b64 exec, exec, s[20:21]
	v_cmp_lt_u32_e32 vcc, v13, v40
	s_and_saveexec_b64 s[20:21], vcc
	s_cbranch_execnz .LBB1016_997
.LBB1016_1013:                          ;   in Loop: Header=BB1016_954 Depth=2
	s_or_b64 exec, exec, s[20:21]
	v_cmp_lt_u32_e32 vcc, v15, v40
	s_and_saveexec_b64 s[20:21], vcc
	s_cbranch_execz .LBB1016_998
.LBB1016_1014:                          ;   in Loop: Header=BB1016_954 Depth=2
	v_xor_b32_e32 v0, 0xffff8000, v35
	v_lshrrev_b32_sdwa v0, s89, v0 dst_sel:DWORD dst_unused:UNUSED_PAD src0_sel:DWORD src1_sel:WORD_0
	v_and_b32_e32 v0, s6, v0
	v_lshl_or_b32 v0, v0, 4, v90
	ds_add_u32 v0, v91
	s_or_b64 exec, exec, s[20:21]
	v_cmp_lt_u32_e32 vcc, v17, v40
	s_and_saveexec_b64 s[20:21], vcc
	s_cbranch_execnz .LBB1016_999
.LBB1016_1015:                          ;   in Loop: Header=BB1016_954 Depth=2
	s_or_b64 exec, exec, s[20:21]
	v_cmp_lt_u32_e32 vcc, v19, v40
	s_and_saveexec_b64 s[20:21], vcc
	s_cbranch_execz .LBB1016_1000
.LBB1016_1016:                          ;   in Loop: Header=BB1016_954 Depth=2
	v_xor_b32_e32 v0, 0xffff8000, v33
	v_lshrrev_b32_sdwa v0, s89, v0 dst_sel:DWORD dst_unused:UNUSED_PAD src0_sel:DWORD src1_sel:WORD_0
	v_and_b32_e32 v0, s6, v0
	v_lshl_or_b32 v0, v0, 4, v90
	ds_add_u32 v0, v91
	s_or_b64 exec, exec, s[20:21]
	v_cmp_lt_u32_e32 vcc, v21, v40
	s_and_saveexec_b64 s[20:21], vcc
	s_cbranch_execnz .LBB1016_1001
.LBB1016_1017:                          ;   in Loop: Header=BB1016_954 Depth=2
	s_or_b64 exec, exec, s[20:21]
	v_cmp_lt_u32_e32 vcc, v23, v40
	s_and_saveexec_b64 s[20:21], vcc
	s_cbranch_execz .LBB1016_1002
.LBB1016_1018:                          ;   in Loop: Header=BB1016_954 Depth=2
	v_xor_b32_e32 v0, 0xffff8000, v31
	v_lshrrev_b32_sdwa v0, s89, v0 dst_sel:DWORD dst_unused:UNUSED_PAD src0_sel:DWORD src1_sel:WORD_0
	v_and_b32_e32 v0, s6, v0
	v_lshl_or_b32 v0, v0, 4, v90
	ds_add_u32 v0, v91
	s_or_b64 exec, exec, s[20:21]
	v_cmp_lt_u32_e32 vcc, v6, v40
	s_and_saveexec_b64 s[20:21], vcc
	s_cbranch_execnz .LBB1016_1003
.LBB1016_1019:                          ;   in Loop: Header=BB1016_954 Depth=2
	s_or_b64 exec, exec, s[20:21]
	v_cmp_lt_u32_e32 vcc, v8, v40
	s_and_saveexec_b64 s[20:21], vcc
	s_cbranch_execz .LBB1016_1004
.LBB1016_1020:                          ;   in Loop: Header=BB1016_954 Depth=2
	v_xor_b32_e32 v0, 0xffff8000, v29
	v_lshrrev_b32_sdwa v0, s89, v0 dst_sel:DWORD dst_unused:UNUSED_PAD src0_sel:DWORD src1_sel:WORD_0
	v_and_b32_e32 v0, s6, v0
	v_lshl_or_b32 v0, v0, 4, v90
	ds_add_u32 v0, v91
	s_or_b64 exec, exec, s[20:21]
	v_cmp_lt_u32_e32 vcc, v10, v40
	s_and_saveexec_b64 s[20:21], vcc
	s_cbranch_execnz .LBB1016_1005
.LBB1016_1021:                          ;   in Loop: Header=BB1016_954 Depth=2
	s_or_b64 exec, exec, s[20:21]
	v_cmp_lt_u32_e32 vcc, v12, v40
	s_and_saveexec_b64 s[20:21], vcc
	s_cbranch_execz .LBB1016_1006
.LBB1016_1022:                          ;   in Loop: Header=BB1016_954 Depth=2
	v_xor_b32_e32 v0, 0xffff8000, v27
	v_lshrrev_b32_sdwa v0, s89, v0 dst_sel:DWORD dst_unused:UNUSED_PAD src0_sel:DWORD src1_sel:WORD_0
	v_and_b32_e32 v0, s6, v0
	v_lshl_or_b32 v0, v0, 4, v90
	ds_add_u32 v0, v91
	s_or_b64 exec, exec, s[20:21]
	v_cmp_lt_u32_e32 vcc, v14, v40
	s_and_saveexec_b64 s[20:21], vcc
	s_cbranch_execnz .LBB1016_1007
.LBB1016_1023:                          ;   in Loop: Header=BB1016_954 Depth=2
	s_or_b64 exec, exec, s[20:21]
	v_cmp_lt_u32_e32 vcc, v16, v40
	s_and_saveexec_b64 s[20:21], vcc
	s_cbranch_execz .LBB1016_1008
.LBB1016_1024:                          ;   in Loop: Header=BB1016_954 Depth=2
	v_xor_b32_e32 v0, 0xffff8000, v25
	v_lshrrev_b32_sdwa v0, s89, v0 dst_sel:DWORD dst_unused:UNUSED_PAD src0_sel:DWORD src1_sel:WORD_0
	v_and_b32_e32 v0, s6, v0
	v_lshl_or_b32 v0, v0, 4, v90
	ds_add_u32 v0, v91
	s_or_b64 exec, exec, s[20:21]
	v_cmp_lt_u32_e32 vcc, v18, v40
	s_and_saveexec_b64 s[20:21], vcc
	s_cbranch_execnz .LBB1016_1009
.LBB1016_1025:                          ;   in Loop: Header=BB1016_954 Depth=2
	s_or_b64 exec, exec, s[20:21]
	v_cmp_lt_u32_e32 vcc, v20, v40
	s_and_saveexec_b64 s[20:21], vcc
	s_cbranch_execz .LBB1016_1010
.LBB1016_1026:                          ;   in Loop: Header=BB1016_954 Depth=2
	v_xor_b32_e32 v0, 0xffff8000, v5
	v_lshrrev_b32_sdwa v0, s89, v0 dst_sel:DWORD dst_unused:UNUSED_PAD src0_sel:DWORD src1_sel:WORD_0
	v_and_b32_e32 v0, s6, v0
	v_lshl_or_b32 v0, v0, 4, v90
	ds_add_u32 v0, v91
	s_or_b64 exec, exec, s[20:21]
	v_cmp_lt_u32_e32 vcc, v22, v40
	s_and_saveexec_b64 s[20:21], vcc
	s_cbranch_execz .LBB1016_953
.LBB1016_1027:                          ;   in Loop: Header=BB1016_954 Depth=2
	s_waitcnt vmcnt(0)
	v_xor_b32_e32 v0, 0xffff8000, v39
	v_lshrrev_b32_sdwa v0, s89, v0 dst_sel:DWORD dst_unused:UNUSED_PAD src0_sel:DWORD src1_sel:WORD_0
	v_and_b32_e32 v0, s6, v0
	v_lshl_or_b32 v0, v0, 4, v90
	ds_add_u32 v0, v91
	s_branch .LBB1016_953
.LBB1016_1028:                          ;   in Loop: Header=BB1016_12 Depth=1
	v_mov_b32_e32 v0, 0
	s_waitcnt lgkmcnt(0)
	s_barrier
	s_and_saveexec_b64 s[20:21], s[4:5]
	s_cbranch_execz .LBB1016_1030
; %bb.1029:                             ;   in Loop: Header=BB1016_12 Depth=1
	ds_read2_b64 v[24:27], v59 offset1:1
	s_waitcnt lgkmcnt(0)
	v_add_u32_e32 v0, v25, v24
	v_add3_u32 v0, v0, v26, v27
.LBB1016_1030:                          ;   in Loop: Header=BB1016_12 Depth=1
	s_or_b64 exec, exec, s[20:21]
	s_nop 0
	v_mov_b32_dpp v1, v0 row_shr:1 row_mask:0xf bank_mask:0xf
	v_cmp_eq_u32_e64 s[20:21], 0, v103
	v_cndmask_b32_e64 v1, v1, 0, s[20:21]
	v_add_u32_e32 v0, v1, v0
	v_cmp_lt_u32_e64 s[22:23], 1, v103
	v_cmp_lt_u32_e64 s[24:25], 3, v103
	v_mov_b32_dpp v1, v0 row_shr:2 row_mask:0xf bank_mask:0xf
	v_cndmask_b32_e64 v1, 0, v1, s[22:23]
	v_add_u32_e32 v0, v0, v1
	v_cmp_lt_u32_e64 s[26:27], 7, v103
	v_cmp_lt_u32_e64 s[30:31], 31, v102
	v_mov_b32_dpp v1, v0 row_shr:4 row_mask:0xf bank_mask:0xf
	v_cndmask_b32_e64 v1, 0, v1, s[24:25]
	v_add_u32_e32 v0, v0, v1
	v_cmp_eq_u32_e64 s[28:29], 0, v105
	s_nop 0
	v_mov_b32_dpp v1, v0 row_shr:8 row_mask:0xf bank_mask:0xf
	v_cndmask_b32_e64 v1, 0, v1, s[26:27]
	v_add_u32_e32 v0, v0, v1
	s_nop 1
	v_mov_b32_dpp v1, v0 row_bcast:15 row_mask:0xf bank_mask:0xf
	v_and_b32_e32 v1, v104, v1
	v_add_u32_e32 v0, v0, v1
	s_nop 1
	v_mov_b32_dpp v1, v0 row_bcast:31 row_mask:0xf bank_mask:0xf
	v_cndmask_b32_e64 v1, 0, v1, s[30:31]
	v_add_u32_e32 v0, v0, v1
	s_mov_b64 s[34:35], exec
	v_readlane_b32 s8, v232, 0
	v_readlane_b32 s9, v232, 1
	s_and_b64 s[8:9], s[34:35], s[8:9]
	s_mov_b64 exec, s[8:9]
	s_cbranch_execz .LBB1016_1032
; %bb.1031:                             ;   in Loop: Header=BB1016_12 Depth=1
	ds_write_b32 v61, v0
.LBB1016_1032:                          ;   in Loop: Header=BB1016_12 Depth=1
	s_or_b64 exec, exec, s[34:35]
	s_waitcnt lgkmcnt(0)
	s_barrier
	s_mov_b64 s[34:35], exec
	v_readlane_b32 s8, v232, 2
	v_readlane_b32 s9, v232, 3
	s_and_b64 s[8:9], s[34:35], s[8:9]
	s_mov_b64 exec, s[8:9]
	s_cbranch_execz .LBB1016_1034
; %bb.1033:                             ;   in Loop: Header=BB1016_12 Depth=1
	ds_read_b32 v1, v62
	s_waitcnt lgkmcnt(0)
	s_nop 0
	v_mov_b32_dpp v5, v1 row_shr:1 row_mask:0xf bank_mask:0xf
	v_and_b32_e32 v5, v106, v5
	v_add_u32_e32 v1, v5, v1
	ds_write_b32 v62, v1
.LBB1016_1034:                          ;   in Loop: Header=BB1016_12 Depth=1
	s_or_b64 exec, exec, s[34:35]
	v_mov_b32_e32 v1, 0
	s_waitcnt lgkmcnt(0)
	s_barrier
	s_and_saveexec_b64 s[34:35], s[10:11]
	s_cbranch_execz .LBB1016_1036
; %bb.1035:                             ;   in Loop: Header=BB1016_12 Depth=1
	ds_read_b32 v1, v63
.LBB1016_1036:                          ;   in Loop: Header=BB1016_12 Depth=1
	s_or_b64 exec, exec, s[34:35]
	v_cmp_lt_i32_e32 vcc, v107, v108
	v_cndmask_b32_e32 v5, v107, v102, vcc
	s_waitcnt lgkmcnt(0)
	v_add_u32_e32 v0, v1, v0
	v_lshlrev_b32_e32 v129, 2, v5
	ds_bpermute_b32 v0, v129, v0
	v_cmp_eq_u32_e64 s[34:35], 0, v102
	s_waitcnt lgkmcnt(0)
	s_barrier
	s_and_saveexec_b64 s[36:37], s[4:5]
	s_cbranch_execz .LBB1016_1038
; %bb.1037:                             ;   in Loop: Header=BB1016_12 Depth=1
	v_cndmask_b32_e64 v0, v0, v1, s[34:35]
	v_add_u32_e32 v0, s75, v0
	ds_write_b32 v3, v0
.LBB1016_1038:                          ;   in Loop: Header=BB1016_12 Depth=1
	s_or_b64 exec, exec, s[36:37]
	s_load_dwordx2 s[8:9], s[96:97], 0x0
	v_add_co_u32_e32 v130, vcc, v86, v110
	v_addc_co_u32_e32 v131, vcc, 0, v87, vcc
	s_waitcnt lgkmcnt(0)
	s_cmp_lt_u32 s74, s8
	s_cselect_b32 s7, 12, 18
	s_cmp_lt_u32 s33, s9
	s_cselect_b32 s8, 14, 20
	s_add_u32 s8, s96, s8
	s_addc_u32 s9, s97, 0
	s_add_u32 s36, s96, s7
	global_load_ushort v5, v4, s[8:9]
	s_addc_u32 s37, s97, 0
	global_load_ushort v56, v4, s[36:37]
	v_add_co_u32_e32 v132, vcc, v88, v128
	v_addc_co_u32_e32 v133, vcc, 0, v89, vcc
	v_add_co_u32_e32 v148, vcc, 0x800, v132
	v_cmp_eq_u32_e64 s[36:37], 0, v109
	v_cmp_lt_u32_e64 s[38:39], 1, v109
	s_mov_b32 s7, s91
	v_addc_co_u32_e32 v151, vcc, 0, v133, vcc
	s_mov_b32 s94, s75
                                        ; implicit-def: $vgpr0_vgpr1
                                        ; implicit-def: $vgpr24_vgpr25
                                        ; implicit-def: $vgpr26_vgpr27
                                        ; implicit-def: $vgpr28_vgpr29
                                        ; implicit-def: $vgpr32_vgpr33
                                        ; implicit-def: $vgpr36_vgpr37
                                        ; implicit-def: $vgpr40_vgpr41
                                        ; implicit-def: $vgpr44_vgpr45
                                        ; implicit-def: $vgpr48_vgpr49
                                        ; implicit-def: $vgpr30_vgpr31
                                        ; implicit-def: $vgpr34_vgpr35
                                        ; implicit-def: $vgpr38_vgpr39
                                        ; implicit-def: $vgpr42_vgpr43
                                        ; implicit-def: $vgpr46_vgpr47
                                        ; implicit-def: $vgpr50_vgpr51
                                        ; implicit-def: $vgpr52_vgpr53
                                        ; implicit-def: $vgpr54_vgpr55
                                        ; implicit-def: $vgpr134
                                        ; implicit-def: $vgpr135
                                        ; implicit-def: $vgpr136
                                        ; implicit-def: $vgpr137
                                        ; implicit-def: $vgpr138
                                        ; implicit-def: $vgpr139
                                        ; implicit-def: $vgpr140
                                        ; implicit-def: $vgpr141
                                        ; implicit-def: $vgpr142
                                        ; implicit-def: $vgpr143
                                        ; implicit-def: $vgpr144
                                        ; implicit-def: $vgpr145
                                        ; implicit-def: $vgpr146
                                        ; implicit-def: $vgpr147
                                        ; implicit-def: $vgpr149
                                        ; implicit-def: $vgpr150
                                        ; implicit-def: $vgpr152
                                        ; implicit-def: $vgpr154
                                        ; implicit-def: $vgpr155
	s_waitcnt vmcnt(1)
	v_mad_u32_u24 v5, v64, v5, v65
	s_waitcnt vmcnt(0)
	v_mad_u64_u32 v[56:57], s[8:9], v5, v56, v[2:3]
	v_lshrrev_b32_e32 v153, 6, v56
	s_branch .LBB1016_1040
.LBB1016_1039:                          ;   in Loop: Header=BB1016_1040 Depth=2
	s_or_b64 exec, exec, s[40:41]
	s_addk_i32 s7, 0xef00
	s_cmp_lt_u32 s8, s98
	s_mov_b32 s94, s8
	s_cbranch_scc0 .LBB1016_10
.LBB1016_1040:                          ;   Parent Loop BB1016_12 Depth=1
                                        ; =>  This Inner Loop Header: Depth=2
	s_add_i32 s8, s94, 0x1100
	s_cmp_gt_u32 s8, s98
	s_cbranch_scc1 .LBB1016_1043
; %bb.1041:                             ;   in Loop: Header=BB1016_1040 Depth=2
	s_lshl_b64 s[40:41], s[94:95], 1
	v_mov_b32_e32 v5, s41
	v_add_co_u32_e32 v56, vcc, s40, v132
	v_addc_co_u32_e32 v57, vcc, v133, v5, vcc
	global_load_ushort v5, v[56:57], off
	global_load_ushort v160, v[56:57], off offset:128
	global_load_ushort v165, v[56:57], off offset:256
	;; [unrolled: 1-line block ×15, first 2 shown]
	s_mov_b64 s[40:41], -1
	s_movk_i32 s9, 0x1100
	s_cbranch_execz .LBB1016_1044
; %bb.1042:                             ;   in Loop: Header=BB1016_1040 Depth=2
                                        ; implicit-def: $sgpr42
	v_mov_b32_e32 v166, s42
	v_mov_b32_e32 v156, s7
	s_and_saveexec_b64 s[42:43], s[40:41]
	s_cbranch_execnz .LBB1016_1077
	s_branch .LBB1016_1078
.LBB1016_1043:                          ;   in Loop: Header=BB1016_1040 Depth=2
	s_mov_b64 s[40:41], 0
                                        ; implicit-def: $sgpr9
                                        ; implicit-def: $vgpr5
                                        ; implicit-def: $vgpr160
                                        ; implicit-def: $vgpr165
                                        ; implicit-def: $vgpr171
                                        ; implicit-def: $vgpr176
                                        ; implicit-def: $vgpr181
                                        ; implicit-def: $vgpr186
                                        ; implicit-def: $vgpr191
                                        ; implicit-def: $vgpr193
                                        ; implicit-def: $vgpr188
                                        ; implicit-def: $vgpr184
                                        ; implicit-def: $vgpr179
                                        ; implicit-def: $vgpr174
                                        ; implicit-def: $vgpr169
                                        ; implicit-def: $vgpr164
                                        ; implicit-def: $vgpr159
.LBB1016_1044:                          ;   in Loop: Header=BB1016_1040 Depth=2
	s_lshl_b64 s[40:41], s[94:95], 1
	s_waitcnt vmcnt(15)
	v_mov_b32_e32 v5, s41
	v_add_co_u32_e32 v56, vcc, s40, v132
	v_addc_co_u32_e32 v57, vcc, v133, v5, vcc
	v_cmp_gt_u32_e32 vcc, s7, v111
	s_waitcnt vmcnt(14)
	v_mov_b32_e32 v160, 0x7fff
	v_mov_b32_e32 v5, 0x7fff
	s_and_saveexec_b64 s[40:41], vcc
	s_cbranch_execz .LBB1016_1046
; %bb.1045:                             ;   in Loop: Header=BB1016_1040 Depth=2
	global_load_ushort v5, v[56:57], off
.LBB1016_1046:                          ;   in Loop: Header=BB1016_1040 Depth=2
	s_or_b64 exec, exec, s[40:41]
	v_cmp_gt_u32_e32 vcc, s7, v112
	s_and_saveexec_b64 s[40:41], vcc
	s_cbranch_execz .LBB1016_1048
; %bb.1047:                             ;   in Loop: Header=BB1016_1040 Depth=2
	global_load_ushort v160, v[56:57], off offset:128
.LBB1016_1048:                          ;   in Loop: Header=BB1016_1040 Depth=2
	s_or_b64 exec, exec, s[40:41]
	v_cmp_gt_u32_e32 vcc, s7, v113
	s_waitcnt vmcnt(12)
	v_mov_b32_e32 v171, 0x7fff
	v_mov_b32_e32 v165, 0x7fff
	s_and_saveexec_b64 s[40:41], vcc
	s_cbranch_execz .LBB1016_1050
; %bb.1049:                             ;   in Loop: Header=BB1016_1040 Depth=2
	global_load_ushort v165, v[56:57], off offset:256
.LBB1016_1050:                          ;   in Loop: Header=BB1016_1040 Depth=2
	s_or_b64 exec, exec, s[40:41]
	v_cmp_gt_u32_e32 vcc, s7, v114
	s_and_saveexec_b64 s[40:41], vcc
	s_cbranch_execz .LBB1016_1052
; %bb.1051:                             ;   in Loop: Header=BB1016_1040 Depth=2
	global_load_ushort v171, v[56:57], off offset:384
.LBB1016_1052:                          ;   in Loop: Header=BB1016_1040 Depth=2
	s_or_b64 exec, exec, s[40:41]
	v_cmp_gt_u32_e32 vcc, s7, v115
	s_waitcnt vmcnt(10)
	v_mov_b32_e32 v181, 0x7fff
	v_mov_b32_e32 v176, 0x7fff
	s_and_saveexec_b64 s[40:41], vcc
	s_cbranch_execz .LBB1016_1054
; %bb.1053:                             ;   in Loop: Header=BB1016_1040 Depth=2
	global_load_ushort v176, v[56:57], off offset:512
.LBB1016_1054:                          ;   in Loop: Header=BB1016_1040 Depth=2
	;; [unrolled: 17-line block ×7, first 2 shown]
	s_or_b64 exec, exec, s[40:41]
	v_cmp_gt_u32_e32 vcc, s7, v126
	s_and_saveexec_b64 s[40:41], vcc
	s_cbranch_execz .LBB1016_1076
; %bb.1075:                             ;   in Loop: Header=BB1016_1040 Depth=2
	global_load_ushort v159, v[56:57], off offset:1920
.LBB1016_1076:                          ;   in Loop: Header=BB1016_1040 Depth=2
	s_or_b64 exec, exec, s[40:41]
	s_sub_i32 s9, s98, s94
	v_cmp_gt_u32_e64 s[40:41], s7, v127
	s_movk_i32 s42, 0x7fff
	v_mov_b32_e32 v166, s42
	v_mov_b32_e32 v156, s7
	s_and_saveexec_b64 s[42:43], s[40:41]
	s_cbranch_execz .LBB1016_1078
.LBB1016_1077:                          ;   in Loop: Header=BB1016_1040 Depth=2
	s_lshl_b64 s[40:41], s[94:95], 1
	v_mov_b32_e32 v57, s41
	v_add_co_u32_e32 v56, vcc, s40, v148
	v_addc_co_u32_e32 v57, vcc, v151, v57, vcc
	global_load_ushort v166, v[56:57], off
	v_mov_b32_e32 v156, s9
.LBB1016_1078:                          ;   in Loop: Header=BB1016_1040 Depth=2
	s_or_b64 exec, exec, s[42:43]
	s_waitcnt vmcnt(15)
	v_xor_b32_e32 v157, 0xffff8000, v5
	v_lshrrev_b32_sdwa v5, s89, v157 dst_sel:DWORD dst_unused:UNUSED_PAD src0_sel:DWORD src1_sel:WORD_0
	v_and_b32_e32 v56, s6, v5
	v_mad_u32_u24 v5, v56, 5, v153
	v_lshl_add_u32 v158, v5, 2, v66
	v_and_b32_e32 v5, 1, v56
	v_add_co_u32_e32 v57, vcc, -1, v5
	v_addc_co_u32_e64 v161, s[40:41], 0, -1, vcc
	v_cmp_ne_u32_e32 vcc, 0, v5
	v_xor_b32_e32 v5, vcc_hi, v161
	v_and_b32_e32 v161, exec_hi, v5
	v_lshlrev_b32_e32 v5, 30, v56
	v_xor_b32_e32 v57, vcc_lo, v57
	v_cmp_gt_i64_e32 vcc, 0, v[4:5]
	v_not_b32_e32 v5, v5
	v_ashrrev_i32_e32 v5, 31, v5
	v_and_b32_e32 v57, exec_lo, v57
	v_xor_b32_e32 v162, vcc_hi, v5
	v_xor_b32_e32 v5, vcc_lo, v5
	v_and_b32_e32 v57, v57, v5
	v_lshlrev_b32_e32 v5, 29, v56
	v_cmp_gt_i64_e32 vcc, 0, v[4:5]
	v_not_b32_e32 v5, v5
	v_ashrrev_i32_e32 v5, 31, v5
	v_and_b32_e32 v161, v161, v162
	v_xor_b32_e32 v162, vcc_hi, v5
	v_xor_b32_e32 v5, vcc_lo, v5
	v_and_b32_e32 v57, v57, v5
	v_lshlrev_b32_e32 v5, 28, v56
	v_cmp_gt_i64_e32 vcc, 0, v[4:5]
	v_not_b32_e32 v5, v5
	v_ashrrev_i32_e32 v5, 31, v5
	v_and_b32_e32 v161, v161, v162
	;; [unrolled: 8-line block ×4, first 2 shown]
	v_xor_b32_e32 v162, vcc_hi, v5
	v_xor_b32_e32 v5, vcc_lo, v5
	v_and_b32_e32 v161, v161, v162
	v_and_b32_e32 v162, v57, v5
	v_lshlrev_b32_e32 v5, 25, v56
	v_cmp_gt_i64_e32 vcc, 0, v[4:5]
	v_not_b32_e32 v5, v5
	v_ashrrev_i32_e32 v5, 31, v5
	v_xor_b32_e32 v56, vcc_hi, v5
	v_xor_b32_e32 v5, vcc_lo, v5
	v_and_b32_e32 v57, v161, v56
	v_and_b32_e32 v56, v162, v5
	v_mbcnt_lo_u32_b32 v5, v56, 0
	v_mbcnt_hi_u32_b32 v161, v57, v5
	v_cmp_eq_u32_e32 vcc, 0, v161
	v_cmp_ne_u64_e64 s[40:41], 0, v[56:57]
	s_and_b64 s[42:43], s[40:41], vcc
	ds_write2_b32 v58, v4, v4 offset0:132 offset1:133
	ds_write_b32 v67, v4 offset:8
	s_waitcnt lgkmcnt(0)
	s_barrier
	s_waitcnt lgkmcnt(0)
	; wave barrier
	s_and_saveexec_b64 s[40:41], s[42:43]
	s_cbranch_execz .LBB1016_1080
; %bb.1079:                             ;   in Loop: Header=BB1016_1040 Depth=2
	v_bcnt_u32_b32 v5, v56, 0
	v_bcnt_u32_b32 v5, v57, v5
	ds_write_b32 v158, v5
.LBB1016_1080:                          ;   in Loop: Header=BB1016_1040 Depth=2
	s_or_b64 exec, exec, s[40:41]
	s_waitcnt vmcnt(14)
	v_xor_b32_e32 v160, 0xffff8000, v160
	v_lshrrev_b32_sdwa v5, s89, v160 dst_sel:DWORD dst_unused:UNUSED_PAD src0_sel:DWORD src1_sel:WORD_0
	v_and_b32_e32 v56, s6, v5
	v_mul_u32_u24_e32 v5, 5, v56
	v_add_lshl_u32 v5, v5, v153, 2
	; wave barrier
	v_add_u32_e32 v163, 0x210, v5
	ds_read_b32 v162, v5 offset:528
	v_and_b32_e32 v5, 1, v56
	v_add_co_u32_e32 v57, vcc, -1, v5
	v_addc_co_u32_e64 v167, s[40:41], 0, -1, vcc
	v_cmp_ne_u32_e32 vcc, 0, v5
	v_xor_b32_e32 v5, vcc_hi, v167
	v_and_b32_e32 v167, exec_hi, v5
	v_lshlrev_b32_e32 v5, 30, v56
	v_xor_b32_e32 v57, vcc_lo, v57
	v_cmp_gt_i64_e32 vcc, 0, v[4:5]
	v_not_b32_e32 v5, v5
	v_ashrrev_i32_e32 v5, 31, v5
	v_and_b32_e32 v57, exec_lo, v57
	v_xor_b32_e32 v168, vcc_hi, v5
	v_xor_b32_e32 v5, vcc_lo, v5
	v_and_b32_e32 v57, v57, v5
	v_lshlrev_b32_e32 v5, 29, v56
	v_cmp_gt_i64_e32 vcc, 0, v[4:5]
	v_not_b32_e32 v5, v5
	v_ashrrev_i32_e32 v5, 31, v5
	v_and_b32_e32 v167, v167, v168
	v_xor_b32_e32 v168, vcc_hi, v5
	v_xor_b32_e32 v5, vcc_lo, v5
	v_and_b32_e32 v57, v57, v5
	v_lshlrev_b32_e32 v5, 28, v56
	v_cmp_gt_i64_e32 vcc, 0, v[4:5]
	v_not_b32_e32 v5, v5
	v_ashrrev_i32_e32 v5, 31, v5
	v_and_b32_e32 v167, v167, v168
	;; [unrolled: 8-line block ×4, first 2 shown]
	v_xor_b32_e32 v168, vcc_hi, v5
	v_xor_b32_e32 v5, vcc_lo, v5
	v_and_b32_e32 v167, v167, v168
	v_and_b32_e32 v168, v57, v5
	v_lshlrev_b32_e32 v5, 25, v56
	v_cmp_gt_i64_e32 vcc, 0, v[4:5]
	v_not_b32_e32 v5, v5
	v_ashrrev_i32_e32 v5, 31, v5
	v_xor_b32_e32 v56, vcc_hi, v5
	v_xor_b32_e32 v5, vcc_lo, v5
	v_and_b32_e32 v57, v167, v56
	v_and_b32_e32 v56, v168, v5
	v_mbcnt_lo_u32_b32 v5, v56, 0
	v_mbcnt_hi_u32_b32 v167, v57, v5
	v_cmp_eq_u32_e32 vcc, 0, v167
	v_cmp_ne_u64_e64 s[40:41], 0, v[56:57]
	s_and_b64 s[42:43], s[40:41], vcc
	; wave barrier
	s_and_saveexec_b64 s[40:41], s[42:43]
	s_cbranch_execz .LBB1016_1082
; %bb.1081:                             ;   in Loop: Header=BB1016_1040 Depth=2
	v_bcnt_u32_b32 v5, v56, 0
	v_bcnt_u32_b32 v5, v57, v5
	s_waitcnt lgkmcnt(0)
	v_add_u32_e32 v5, v162, v5
	ds_write_b32 v163, v5
.LBB1016_1082:                          ;   in Loop: Header=BB1016_1040 Depth=2
	s_or_b64 exec, exec, s[40:41]
	s_waitcnt vmcnt(13)
	v_xor_b32_e32 v165, 0xffff8000, v165
	v_lshrrev_b32_sdwa v5, s89, v165 dst_sel:DWORD dst_unused:UNUSED_PAD src0_sel:DWORD src1_sel:WORD_0
	v_and_b32_e32 v56, s6, v5
	v_mul_u32_u24_e32 v5, 5, v56
	v_add_lshl_u32 v5, v5, v153, 2
	; wave barrier
	v_add_u32_e32 v170, 0x210, v5
	ds_read_b32 v168, v5 offset:528
	v_and_b32_e32 v5, 1, v56
	v_add_co_u32_e32 v57, vcc, -1, v5
	v_addc_co_u32_e64 v172, s[40:41], 0, -1, vcc
	v_cmp_ne_u32_e32 vcc, 0, v5
	v_xor_b32_e32 v5, vcc_hi, v172
	v_and_b32_e32 v172, exec_hi, v5
	v_lshlrev_b32_e32 v5, 30, v56
	v_xor_b32_e32 v57, vcc_lo, v57
	v_cmp_gt_i64_e32 vcc, 0, v[4:5]
	v_not_b32_e32 v5, v5
	v_ashrrev_i32_e32 v5, 31, v5
	v_and_b32_e32 v57, exec_lo, v57
	v_xor_b32_e32 v173, vcc_hi, v5
	v_xor_b32_e32 v5, vcc_lo, v5
	v_and_b32_e32 v57, v57, v5
	v_lshlrev_b32_e32 v5, 29, v56
	v_cmp_gt_i64_e32 vcc, 0, v[4:5]
	v_not_b32_e32 v5, v5
	v_ashrrev_i32_e32 v5, 31, v5
	v_and_b32_e32 v172, v172, v173
	v_xor_b32_e32 v173, vcc_hi, v5
	v_xor_b32_e32 v5, vcc_lo, v5
	v_and_b32_e32 v57, v57, v5
	v_lshlrev_b32_e32 v5, 28, v56
	v_cmp_gt_i64_e32 vcc, 0, v[4:5]
	v_not_b32_e32 v5, v5
	v_ashrrev_i32_e32 v5, 31, v5
	v_and_b32_e32 v172, v172, v173
	;; [unrolled: 8-line block ×4, first 2 shown]
	v_xor_b32_e32 v173, vcc_hi, v5
	v_xor_b32_e32 v5, vcc_lo, v5
	v_and_b32_e32 v172, v172, v173
	v_and_b32_e32 v173, v57, v5
	v_lshlrev_b32_e32 v5, 25, v56
	v_cmp_gt_i64_e32 vcc, 0, v[4:5]
	v_not_b32_e32 v5, v5
	v_ashrrev_i32_e32 v5, 31, v5
	v_xor_b32_e32 v56, vcc_hi, v5
	v_xor_b32_e32 v5, vcc_lo, v5
	v_and_b32_e32 v57, v172, v56
	v_and_b32_e32 v56, v173, v5
	v_mbcnt_lo_u32_b32 v5, v56, 0
	v_mbcnt_hi_u32_b32 v172, v57, v5
	v_cmp_eq_u32_e32 vcc, 0, v172
	v_cmp_ne_u64_e64 s[40:41], 0, v[56:57]
	s_and_b64 s[42:43], s[40:41], vcc
	; wave barrier
	s_and_saveexec_b64 s[40:41], s[42:43]
	s_cbranch_execz .LBB1016_1084
; %bb.1083:                             ;   in Loop: Header=BB1016_1040 Depth=2
	v_bcnt_u32_b32 v5, v56, 0
	v_bcnt_u32_b32 v5, v57, v5
	s_waitcnt lgkmcnt(0)
	v_add_u32_e32 v5, v168, v5
	ds_write_b32 v170, v5
.LBB1016_1084:                          ;   in Loop: Header=BB1016_1040 Depth=2
	s_or_b64 exec, exec, s[40:41]
	s_waitcnt vmcnt(12)
	v_xor_b32_e32 v171, 0xffff8000, v171
	v_lshrrev_b32_sdwa v5, s89, v171 dst_sel:DWORD dst_unused:UNUSED_PAD src0_sel:DWORD src1_sel:WORD_0
	v_and_b32_e32 v56, s6, v5
	v_mul_u32_u24_e32 v5, 5, v56
	v_add_lshl_u32 v5, v5, v153, 2
	; wave barrier
	v_add_u32_e32 v175, 0x210, v5
	ds_read_b32 v173, v5 offset:528
	v_and_b32_e32 v5, 1, v56
	v_add_co_u32_e32 v57, vcc, -1, v5
	v_addc_co_u32_e64 v177, s[40:41], 0, -1, vcc
	v_cmp_ne_u32_e32 vcc, 0, v5
	v_xor_b32_e32 v5, vcc_hi, v177
	v_and_b32_e32 v177, exec_hi, v5
	v_lshlrev_b32_e32 v5, 30, v56
	v_xor_b32_e32 v57, vcc_lo, v57
	v_cmp_gt_i64_e32 vcc, 0, v[4:5]
	v_not_b32_e32 v5, v5
	v_ashrrev_i32_e32 v5, 31, v5
	v_and_b32_e32 v57, exec_lo, v57
	v_xor_b32_e32 v178, vcc_hi, v5
	v_xor_b32_e32 v5, vcc_lo, v5
	v_and_b32_e32 v57, v57, v5
	v_lshlrev_b32_e32 v5, 29, v56
	v_cmp_gt_i64_e32 vcc, 0, v[4:5]
	v_not_b32_e32 v5, v5
	v_ashrrev_i32_e32 v5, 31, v5
	v_and_b32_e32 v177, v177, v178
	v_xor_b32_e32 v178, vcc_hi, v5
	v_xor_b32_e32 v5, vcc_lo, v5
	v_and_b32_e32 v57, v57, v5
	v_lshlrev_b32_e32 v5, 28, v56
	v_cmp_gt_i64_e32 vcc, 0, v[4:5]
	v_not_b32_e32 v5, v5
	v_ashrrev_i32_e32 v5, 31, v5
	v_and_b32_e32 v177, v177, v178
	;; [unrolled: 8-line block ×4, first 2 shown]
	v_xor_b32_e32 v178, vcc_hi, v5
	v_xor_b32_e32 v5, vcc_lo, v5
	v_and_b32_e32 v177, v177, v178
	v_and_b32_e32 v178, v57, v5
	v_lshlrev_b32_e32 v5, 25, v56
	v_cmp_gt_i64_e32 vcc, 0, v[4:5]
	v_not_b32_e32 v5, v5
	v_ashrrev_i32_e32 v5, 31, v5
	v_xor_b32_e32 v56, vcc_hi, v5
	v_xor_b32_e32 v5, vcc_lo, v5
	v_and_b32_e32 v57, v177, v56
	v_and_b32_e32 v56, v178, v5
	v_mbcnt_lo_u32_b32 v5, v56, 0
	v_mbcnt_hi_u32_b32 v177, v57, v5
	v_cmp_eq_u32_e32 vcc, 0, v177
	v_cmp_ne_u64_e64 s[40:41], 0, v[56:57]
	s_and_b64 s[42:43], s[40:41], vcc
	; wave barrier
	s_and_saveexec_b64 s[40:41], s[42:43]
	s_cbranch_execz .LBB1016_1086
; %bb.1085:                             ;   in Loop: Header=BB1016_1040 Depth=2
	v_bcnt_u32_b32 v5, v56, 0
	v_bcnt_u32_b32 v5, v57, v5
	s_waitcnt lgkmcnt(0)
	v_add_u32_e32 v5, v173, v5
	ds_write_b32 v175, v5
.LBB1016_1086:                          ;   in Loop: Header=BB1016_1040 Depth=2
	s_or_b64 exec, exec, s[40:41]
	s_waitcnt vmcnt(11)
	v_xor_b32_e32 v176, 0xffff8000, v176
	v_lshrrev_b32_sdwa v5, s89, v176 dst_sel:DWORD dst_unused:UNUSED_PAD src0_sel:DWORD src1_sel:WORD_0
	v_and_b32_e32 v56, s6, v5
	v_mul_u32_u24_e32 v5, 5, v56
	v_add_lshl_u32 v5, v5, v153, 2
	; wave barrier
	v_add_u32_e32 v180, 0x210, v5
	ds_read_b32 v178, v5 offset:528
	v_and_b32_e32 v5, 1, v56
	v_add_co_u32_e32 v57, vcc, -1, v5
	v_addc_co_u32_e64 v182, s[40:41], 0, -1, vcc
	v_cmp_ne_u32_e32 vcc, 0, v5
	v_xor_b32_e32 v5, vcc_hi, v182
	v_and_b32_e32 v182, exec_hi, v5
	v_lshlrev_b32_e32 v5, 30, v56
	v_xor_b32_e32 v57, vcc_lo, v57
	v_cmp_gt_i64_e32 vcc, 0, v[4:5]
	v_not_b32_e32 v5, v5
	v_ashrrev_i32_e32 v5, 31, v5
	v_and_b32_e32 v57, exec_lo, v57
	v_xor_b32_e32 v183, vcc_hi, v5
	v_xor_b32_e32 v5, vcc_lo, v5
	v_and_b32_e32 v57, v57, v5
	v_lshlrev_b32_e32 v5, 29, v56
	v_cmp_gt_i64_e32 vcc, 0, v[4:5]
	v_not_b32_e32 v5, v5
	v_ashrrev_i32_e32 v5, 31, v5
	v_and_b32_e32 v182, v182, v183
	v_xor_b32_e32 v183, vcc_hi, v5
	v_xor_b32_e32 v5, vcc_lo, v5
	v_and_b32_e32 v57, v57, v5
	v_lshlrev_b32_e32 v5, 28, v56
	v_cmp_gt_i64_e32 vcc, 0, v[4:5]
	v_not_b32_e32 v5, v5
	v_ashrrev_i32_e32 v5, 31, v5
	v_and_b32_e32 v182, v182, v183
	;; [unrolled: 8-line block ×4, first 2 shown]
	v_xor_b32_e32 v183, vcc_hi, v5
	v_xor_b32_e32 v5, vcc_lo, v5
	v_and_b32_e32 v182, v182, v183
	v_and_b32_e32 v183, v57, v5
	v_lshlrev_b32_e32 v5, 25, v56
	v_cmp_gt_i64_e32 vcc, 0, v[4:5]
	v_not_b32_e32 v5, v5
	v_ashrrev_i32_e32 v5, 31, v5
	v_xor_b32_e32 v56, vcc_hi, v5
	v_xor_b32_e32 v5, vcc_lo, v5
	v_and_b32_e32 v57, v182, v56
	v_and_b32_e32 v56, v183, v5
	v_mbcnt_lo_u32_b32 v5, v56, 0
	v_mbcnt_hi_u32_b32 v182, v57, v5
	v_cmp_eq_u32_e32 vcc, 0, v182
	v_cmp_ne_u64_e64 s[40:41], 0, v[56:57]
	s_and_b64 s[42:43], s[40:41], vcc
	; wave barrier
	s_and_saveexec_b64 s[40:41], s[42:43]
	s_cbranch_execz .LBB1016_1088
; %bb.1087:                             ;   in Loop: Header=BB1016_1040 Depth=2
	v_bcnt_u32_b32 v5, v56, 0
	v_bcnt_u32_b32 v5, v57, v5
	s_waitcnt lgkmcnt(0)
	v_add_u32_e32 v5, v178, v5
	ds_write_b32 v180, v5
.LBB1016_1088:                          ;   in Loop: Header=BB1016_1040 Depth=2
	s_or_b64 exec, exec, s[40:41]
	s_waitcnt vmcnt(10)
	v_xor_b32_e32 v181, 0xffff8000, v181
	v_lshrrev_b32_sdwa v5, s89, v181 dst_sel:DWORD dst_unused:UNUSED_PAD src0_sel:DWORD src1_sel:WORD_0
	v_and_b32_e32 v56, s6, v5
	v_mul_u32_u24_e32 v5, 5, v56
	v_add_lshl_u32 v5, v5, v153, 2
	; wave barrier
	v_add_u32_e32 v185, 0x210, v5
	ds_read_b32 v183, v5 offset:528
	v_and_b32_e32 v5, 1, v56
	v_add_co_u32_e32 v57, vcc, -1, v5
	v_addc_co_u32_e64 v187, s[40:41], 0, -1, vcc
	v_cmp_ne_u32_e32 vcc, 0, v5
	v_xor_b32_e32 v5, vcc_hi, v187
	v_and_b32_e32 v187, exec_hi, v5
	v_lshlrev_b32_e32 v5, 30, v56
	v_xor_b32_e32 v57, vcc_lo, v57
	v_cmp_gt_i64_e32 vcc, 0, v[4:5]
	v_not_b32_e32 v5, v5
	v_ashrrev_i32_e32 v5, 31, v5
	v_and_b32_e32 v57, exec_lo, v57
	v_xor_b32_e32 v189, vcc_hi, v5
	v_xor_b32_e32 v5, vcc_lo, v5
	v_and_b32_e32 v57, v57, v5
	v_lshlrev_b32_e32 v5, 29, v56
	v_cmp_gt_i64_e32 vcc, 0, v[4:5]
	v_not_b32_e32 v5, v5
	v_ashrrev_i32_e32 v5, 31, v5
	v_and_b32_e32 v187, v187, v189
	v_xor_b32_e32 v189, vcc_hi, v5
	v_xor_b32_e32 v5, vcc_lo, v5
	v_and_b32_e32 v57, v57, v5
	v_lshlrev_b32_e32 v5, 28, v56
	v_cmp_gt_i64_e32 vcc, 0, v[4:5]
	v_not_b32_e32 v5, v5
	v_ashrrev_i32_e32 v5, 31, v5
	v_and_b32_e32 v187, v187, v189
	;; [unrolled: 8-line block ×4, first 2 shown]
	v_xor_b32_e32 v189, vcc_hi, v5
	v_xor_b32_e32 v5, vcc_lo, v5
	v_and_b32_e32 v187, v187, v189
	v_and_b32_e32 v189, v57, v5
	v_lshlrev_b32_e32 v5, 25, v56
	v_cmp_gt_i64_e32 vcc, 0, v[4:5]
	v_not_b32_e32 v5, v5
	v_ashrrev_i32_e32 v5, 31, v5
	v_xor_b32_e32 v56, vcc_hi, v5
	v_xor_b32_e32 v5, vcc_lo, v5
	v_and_b32_e32 v57, v187, v56
	v_and_b32_e32 v56, v189, v5
	v_mbcnt_lo_u32_b32 v5, v56, 0
	v_mbcnt_hi_u32_b32 v187, v57, v5
	v_cmp_eq_u32_e32 vcc, 0, v187
	v_cmp_ne_u64_e64 s[40:41], 0, v[56:57]
	s_and_b64 s[42:43], s[40:41], vcc
	; wave barrier
	s_and_saveexec_b64 s[40:41], s[42:43]
	s_cbranch_execz .LBB1016_1090
; %bb.1089:                             ;   in Loop: Header=BB1016_1040 Depth=2
	v_bcnt_u32_b32 v5, v56, 0
	v_bcnt_u32_b32 v5, v57, v5
	s_waitcnt lgkmcnt(0)
	v_add_u32_e32 v5, v183, v5
	ds_write_b32 v185, v5
.LBB1016_1090:                          ;   in Loop: Header=BB1016_1040 Depth=2
	s_or_b64 exec, exec, s[40:41]
	s_waitcnt vmcnt(9)
	v_xor_b32_e32 v186, 0xffff8000, v186
	v_lshrrev_b32_sdwa v5, s89, v186 dst_sel:DWORD dst_unused:UNUSED_PAD src0_sel:DWORD src1_sel:WORD_0
	v_and_b32_e32 v56, s6, v5
	v_mul_u32_u24_e32 v5, 5, v56
	v_add_lshl_u32 v5, v5, v153, 2
	; wave barrier
	v_add_u32_e32 v190, 0x210, v5
	ds_read_b32 v189, v5 offset:528
	v_and_b32_e32 v5, 1, v56
	v_add_co_u32_e32 v57, vcc, -1, v5
	v_addc_co_u32_e64 v192, s[40:41], 0, -1, vcc
	v_cmp_ne_u32_e32 vcc, 0, v5
	v_xor_b32_e32 v5, vcc_hi, v192
	v_and_b32_e32 v192, exec_hi, v5
	v_lshlrev_b32_e32 v5, 30, v56
	v_xor_b32_e32 v57, vcc_lo, v57
	v_cmp_gt_i64_e32 vcc, 0, v[4:5]
	v_not_b32_e32 v5, v5
	v_ashrrev_i32_e32 v5, 31, v5
	v_and_b32_e32 v57, exec_lo, v57
	v_xor_b32_e32 v194, vcc_hi, v5
	v_xor_b32_e32 v5, vcc_lo, v5
	v_and_b32_e32 v57, v57, v5
	v_lshlrev_b32_e32 v5, 29, v56
	v_cmp_gt_i64_e32 vcc, 0, v[4:5]
	v_not_b32_e32 v5, v5
	v_ashrrev_i32_e32 v5, 31, v5
	v_and_b32_e32 v192, v192, v194
	v_xor_b32_e32 v194, vcc_hi, v5
	v_xor_b32_e32 v5, vcc_lo, v5
	v_and_b32_e32 v57, v57, v5
	v_lshlrev_b32_e32 v5, 28, v56
	v_cmp_gt_i64_e32 vcc, 0, v[4:5]
	v_not_b32_e32 v5, v5
	v_ashrrev_i32_e32 v5, 31, v5
	v_and_b32_e32 v192, v192, v194
	;; [unrolled: 8-line block ×4, first 2 shown]
	v_xor_b32_e32 v194, vcc_hi, v5
	v_xor_b32_e32 v5, vcc_lo, v5
	v_and_b32_e32 v192, v192, v194
	v_and_b32_e32 v194, v57, v5
	v_lshlrev_b32_e32 v5, 25, v56
	v_cmp_gt_i64_e32 vcc, 0, v[4:5]
	v_not_b32_e32 v5, v5
	v_ashrrev_i32_e32 v5, 31, v5
	v_xor_b32_e32 v56, vcc_hi, v5
	v_xor_b32_e32 v5, vcc_lo, v5
	v_and_b32_e32 v57, v192, v56
	v_and_b32_e32 v56, v194, v5
	v_mbcnt_lo_u32_b32 v5, v56, 0
	v_mbcnt_hi_u32_b32 v192, v57, v5
	v_cmp_eq_u32_e32 vcc, 0, v192
	v_cmp_ne_u64_e64 s[40:41], 0, v[56:57]
	s_and_b64 s[42:43], s[40:41], vcc
	; wave barrier
	s_and_saveexec_b64 s[40:41], s[42:43]
	s_cbranch_execz .LBB1016_1092
; %bb.1091:                             ;   in Loop: Header=BB1016_1040 Depth=2
	v_bcnt_u32_b32 v5, v56, 0
	v_bcnt_u32_b32 v5, v57, v5
	s_waitcnt lgkmcnt(0)
	v_add_u32_e32 v5, v189, v5
	ds_write_b32 v190, v5
.LBB1016_1092:                          ;   in Loop: Header=BB1016_1040 Depth=2
	s_or_b64 exec, exec, s[40:41]
	s_waitcnt vmcnt(8)
	v_xor_b32_e32 v191, 0xffff8000, v191
	v_lshrrev_b32_sdwa v5, s89, v191 dst_sel:DWORD dst_unused:UNUSED_PAD src0_sel:DWORD src1_sel:WORD_0
	v_and_b32_e32 v56, s6, v5
	v_mul_u32_u24_e32 v5, 5, v56
	v_add_lshl_u32 v5, v5, v153, 2
	; wave barrier
	v_add_u32_e32 v195, 0x210, v5
	ds_read_b32 v194, v5 offset:528
	v_and_b32_e32 v5, 1, v56
	v_add_co_u32_e32 v57, vcc, -1, v5
	v_addc_co_u32_e64 v196, s[40:41], 0, -1, vcc
	v_cmp_ne_u32_e32 vcc, 0, v5
	v_xor_b32_e32 v5, vcc_hi, v196
	v_and_b32_e32 v196, exec_hi, v5
	v_lshlrev_b32_e32 v5, 30, v56
	v_xor_b32_e32 v57, vcc_lo, v57
	v_cmp_gt_i64_e32 vcc, 0, v[4:5]
	v_not_b32_e32 v5, v5
	v_ashrrev_i32_e32 v5, 31, v5
	v_and_b32_e32 v57, exec_lo, v57
	v_xor_b32_e32 v197, vcc_hi, v5
	v_xor_b32_e32 v5, vcc_lo, v5
	v_and_b32_e32 v57, v57, v5
	v_lshlrev_b32_e32 v5, 29, v56
	v_cmp_gt_i64_e32 vcc, 0, v[4:5]
	v_not_b32_e32 v5, v5
	v_ashrrev_i32_e32 v5, 31, v5
	v_and_b32_e32 v196, v196, v197
	v_xor_b32_e32 v197, vcc_hi, v5
	v_xor_b32_e32 v5, vcc_lo, v5
	v_and_b32_e32 v57, v57, v5
	v_lshlrev_b32_e32 v5, 28, v56
	v_cmp_gt_i64_e32 vcc, 0, v[4:5]
	v_not_b32_e32 v5, v5
	v_ashrrev_i32_e32 v5, 31, v5
	v_and_b32_e32 v196, v196, v197
	;; [unrolled: 8-line block ×4, first 2 shown]
	v_xor_b32_e32 v197, vcc_hi, v5
	v_xor_b32_e32 v5, vcc_lo, v5
	v_and_b32_e32 v196, v196, v197
	v_and_b32_e32 v197, v57, v5
	v_lshlrev_b32_e32 v5, 25, v56
	v_cmp_gt_i64_e32 vcc, 0, v[4:5]
	v_not_b32_e32 v5, v5
	v_ashrrev_i32_e32 v5, 31, v5
	v_xor_b32_e32 v56, vcc_hi, v5
	v_xor_b32_e32 v5, vcc_lo, v5
	v_and_b32_e32 v57, v196, v56
	v_and_b32_e32 v56, v197, v5
	v_mbcnt_lo_u32_b32 v5, v56, 0
	v_mbcnt_hi_u32_b32 v196, v57, v5
	v_cmp_eq_u32_e32 vcc, 0, v196
	v_cmp_ne_u64_e64 s[40:41], 0, v[56:57]
	s_and_b64 s[42:43], s[40:41], vcc
	; wave barrier
	s_and_saveexec_b64 s[40:41], s[42:43]
	s_cbranch_execz .LBB1016_1094
; %bb.1093:                             ;   in Loop: Header=BB1016_1040 Depth=2
	v_bcnt_u32_b32 v5, v56, 0
	v_bcnt_u32_b32 v5, v57, v5
	s_waitcnt lgkmcnt(0)
	v_add_u32_e32 v5, v194, v5
	ds_write_b32 v195, v5
.LBB1016_1094:                          ;   in Loop: Header=BB1016_1040 Depth=2
	s_or_b64 exec, exec, s[40:41]
	s_waitcnt vmcnt(7)
	v_xor_b32_e32 v193, 0xffff8000, v193
	v_lshrrev_b32_sdwa v5, s89, v193 dst_sel:DWORD dst_unused:UNUSED_PAD src0_sel:DWORD src1_sel:WORD_0
	v_and_b32_e32 v56, s6, v5
	v_mul_u32_u24_e32 v5, 5, v56
	v_add_lshl_u32 v5, v5, v153, 2
	; wave barrier
	v_add_u32_e32 v198, 0x210, v5
	ds_read_b32 v197, v5 offset:528
	v_and_b32_e32 v5, 1, v56
	v_add_co_u32_e32 v57, vcc, -1, v5
	v_addc_co_u32_e64 v199, s[40:41], 0, -1, vcc
	v_cmp_ne_u32_e32 vcc, 0, v5
	v_xor_b32_e32 v5, vcc_hi, v199
	v_and_b32_e32 v199, exec_hi, v5
	v_lshlrev_b32_e32 v5, 30, v56
	v_xor_b32_e32 v57, vcc_lo, v57
	v_cmp_gt_i64_e32 vcc, 0, v[4:5]
	v_not_b32_e32 v5, v5
	v_ashrrev_i32_e32 v5, 31, v5
	v_and_b32_e32 v57, exec_lo, v57
	v_xor_b32_e32 v200, vcc_hi, v5
	v_xor_b32_e32 v5, vcc_lo, v5
	v_and_b32_e32 v57, v57, v5
	v_lshlrev_b32_e32 v5, 29, v56
	v_cmp_gt_i64_e32 vcc, 0, v[4:5]
	v_not_b32_e32 v5, v5
	v_ashrrev_i32_e32 v5, 31, v5
	v_and_b32_e32 v199, v199, v200
	v_xor_b32_e32 v200, vcc_hi, v5
	v_xor_b32_e32 v5, vcc_lo, v5
	v_and_b32_e32 v57, v57, v5
	v_lshlrev_b32_e32 v5, 28, v56
	v_cmp_gt_i64_e32 vcc, 0, v[4:5]
	v_not_b32_e32 v5, v5
	v_ashrrev_i32_e32 v5, 31, v5
	v_and_b32_e32 v199, v199, v200
	;; [unrolled: 8-line block ×4, first 2 shown]
	v_xor_b32_e32 v200, vcc_hi, v5
	v_xor_b32_e32 v5, vcc_lo, v5
	v_and_b32_e32 v199, v199, v200
	v_and_b32_e32 v200, v57, v5
	v_lshlrev_b32_e32 v5, 25, v56
	v_cmp_gt_i64_e32 vcc, 0, v[4:5]
	v_not_b32_e32 v5, v5
	v_ashrrev_i32_e32 v5, 31, v5
	v_xor_b32_e32 v56, vcc_hi, v5
	v_xor_b32_e32 v5, vcc_lo, v5
	v_and_b32_e32 v57, v199, v56
	v_and_b32_e32 v56, v200, v5
	v_mbcnt_lo_u32_b32 v5, v56, 0
	v_mbcnt_hi_u32_b32 v199, v57, v5
	v_cmp_eq_u32_e32 vcc, 0, v199
	v_cmp_ne_u64_e64 s[40:41], 0, v[56:57]
	s_and_b64 s[42:43], s[40:41], vcc
	; wave barrier
	s_and_saveexec_b64 s[40:41], s[42:43]
	s_cbranch_execz .LBB1016_1096
; %bb.1095:                             ;   in Loop: Header=BB1016_1040 Depth=2
	v_bcnt_u32_b32 v5, v56, 0
	v_bcnt_u32_b32 v5, v57, v5
	s_waitcnt lgkmcnt(0)
	v_add_u32_e32 v5, v197, v5
	ds_write_b32 v198, v5
.LBB1016_1096:                          ;   in Loop: Header=BB1016_1040 Depth=2
	s_or_b64 exec, exec, s[40:41]
	s_waitcnt vmcnt(6)
	v_xor_b32_e32 v188, 0xffff8000, v188
	v_lshrrev_b32_sdwa v5, s89, v188 dst_sel:DWORD dst_unused:UNUSED_PAD src0_sel:DWORD src1_sel:WORD_0
	v_and_b32_e32 v56, s6, v5
	v_mul_u32_u24_e32 v5, 5, v56
	v_add_lshl_u32 v5, v5, v153, 2
	; wave barrier
	v_add_u32_e32 v201, 0x210, v5
	ds_read_b32 v200, v5 offset:528
	v_and_b32_e32 v5, 1, v56
	v_add_co_u32_e32 v57, vcc, -1, v5
	v_addc_co_u32_e64 v202, s[40:41], 0, -1, vcc
	v_cmp_ne_u32_e32 vcc, 0, v5
	v_xor_b32_e32 v5, vcc_hi, v202
	v_and_b32_e32 v202, exec_hi, v5
	v_lshlrev_b32_e32 v5, 30, v56
	v_xor_b32_e32 v57, vcc_lo, v57
	v_cmp_gt_i64_e32 vcc, 0, v[4:5]
	v_not_b32_e32 v5, v5
	v_ashrrev_i32_e32 v5, 31, v5
	v_and_b32_e32 v57, exec_lo, v57
	v_xor_b32_e32 v203, vcc_hi, v5
	v_xor_b32_e32 v5, vcc_lo, v5
	v_and_b32_e32 v57, v57, v5
	v_lshlrev_b32_e32 v5, 29, v56
	v_cmp_gt_i64_e32 vcc, 0, v[4:5]
	v_not_b32_e32 v5, v5
	v_ashrrev_i32_e32 v5, 31, v5
	v_and_b32_e32 v202, v202, v203
	v_xor_b32_e32 v203, vcc_hi, v5
	v_xor_b32_e32 v5, vcc_lo, v5
	v_and_b32_e32 v57, v57, v5
	v_lshlrev_b32_e32 v5, 28, v56
	v_cmp_gt_i64_e32 vcc, 0, v[4:5]
	v_not_b32_e32 v5, v5
	v_ashrrev_i32_e32 v5, 31, v5
	v_and_b32_e32 v202, v202, v203
	;; [unrolled: 8-line block ×4, first 2 shown]
	v_xor_b32_e32 v203, vcc_hi, v5
	v_xor_b32_e32 v5, vcc_lo, v5
	v_and_b32_e32 v202, v202, v203
	v_and_b32_e32 v203, v57, v5
	v_lshlrev_b32_e32 v5, 25, v56
	v_cmp_gt_i64_e32 vcc, 0, v[4:5]
	v_not_b32_e32 v5, v5
	v_ashrrev_i32_e32 v5, 31, v5
	v_xor_b32_e32 v56, vcc_hi, v5
	v_xor_b32_e32 v5, vcc_lo, v5
	v_and_b32_e32 v57, v202, v56
	v_and_b32_e32 v56, v203, v5
	v_mbcnt_lo_u32_b32 v5, v56, 0
	v_mbcnt_hi_u32_b32 v202, v57, v5
	v_cmp_eq_u32_e32 vcc, 0, v202
	v_cmp_ne_u64_e64 s[40:41], 0, v[56:57]
	s_and_b64 s[42:43], s[40:41], vcc
	; wave barrier
	s_and_saveexec_b64 s[40:41], s[42:43]
	s_cbranch_execz .LBB1016_1098
; %bb.1097:                             ;   in Loop: Header=BB1016_1040 Depth=2
	v_bcnt_u32_b32 v5, v56, 0
	v_bcnt_u32_b32 v5, v57, v5
	s_waitcnt lgkmcnt(0)
	v_add_u32_e32 v5, v200, v5
	ds_write_b32 v201, v5
.LBB1016_1098:                          ;   in Loop: Header=BB1016_1040 Depth=2
	s_or_b64 exec, exec, s[40:41]
	s_waitcnt vmcnt(5)
	v_xor_b32_e32 v184, 0xffff8000, v184
	v_lshrrev_b32_sdwa v5, s89, v184 dst_sel:DWORD dst_unused:UNUSED_PAD src0_sel:DWORD src1_sel:WORD_0
	v_and_b32_e32 v56, s6, v5
	v_mul_u32_u24_e32 v5, 5, v56
	v_add_lshl_u32 v5, v5, v153, 2
	; wave barrier
	v_add_u32_e32 v205, 0x210, v5
	ds_read_b32 v203, v5 offset:528
	v_and_b32_e32 v5, 1, v56
	v_add_co_u32_e32 v57, vcc, -1, v5
	v_addc_co_u32_e64 v204, s[40:41], 0, -1, vcc
	v_cmp_ne_u32_e32 vcc, 0, v5
	v_xor_b32_e32 v5, vcc_hi, v204
	v_and_b32_e32 v204, exec_hi, v5
	v_lshlrev_b32_e32 v5, 30, v56
	v_xor_b32_e32 v57, vcc_lo, v57
	v_cmp_gt_i64_e32 vcc, 0, v[4:5]
	v_not_b32_e32 v5, v5
	v_ashrrev_i32_e32 v5, 31, v5
	v_and_b32_e32 v57, exec_lo, v57
	v_xor_b32_e32 v206, vcc_hi, v5
	v_xor_b32_e32 v5, vcc_lo, v5
	v_and_b32_e32 v57, v57, v5
	v_lshlrev_b32_e32 v5, 29, v56
	v_cmp_gt_i64_e32 vcc, 0, v[4:5]
	v_not_b32_e32 v5, v5
	v_ashrrev_i32_e32 v5, 31, v5
	v_and_b32_e32 v204, v204, v206
	v_xor_b32_e32 v206, vcc_hi, v5
	v_xor_b32_e32 v5, vcc_lo, v5
	v_and_b32_e32 v57, v57, v5
	v_lshlrev_b32_e32 v5, 28, v56
	v_cmp_gt_i64_e32 vcc, 0, v[4:5]
	v_not_b32_e32 v5, v5
	v_ashrrev_i32_e32 v5, 31, v5
	v_and_b32_e32 v204, v204, v206
	;; [unrolled: 8-line block ×4, first 2 shown]
	v_xor_b32_e32 v206, vcc_hi, v5
	v_xor_b32_e32 v5, vcc_lo, v5
	v_and_b32_e32 v204, v204, v206
	v_and_b32_e32 v206, v57, v5
	v_lshlrev_b32_e32 v5, 25, v56
	v_cmp_gt_i64_e32 vcc, 0, v[4:5]
	v_not_b32_e32 v5, v5
	v_ashrrev_i32_e32 v5, 31, v5
	v_xor_b32_e32 v56, vcc_hi, v5
	v_xor_b32_e32 v5, vcc_lo, v5
	v_and_b32_e32 v57, v204, v56
	v_and_b32_e32 v56, v206, v5
	v_mbcnt_lo_u32_b32 v5, v56, 0
	v_mbcnt_hi_u32_b32 v206, v57, v5
	v_cmp_eq_u32_e32 vcc, 0, v206
	v_cmp_ne_u64_e64 s[40:41], 0, v[56:57]
	s_and_b64 s[42:43], s[40:41], vcc
	; wave barrier
	s_and_saveexec_b64 s[40:41], s[42:43]
	s_cbranch_execz .LBB1016_1100
; %bb.1099:                             ;   in Loop: Header=BB1016_1040 Depth=2
	v_bcnt_u32_b32 v5, v56, 0
	v_bcnt_u32_b32 v5, v57, v5
	s_waitcnt lgkmcnt(0)
	v_add_u32_e32 v5, v203, v5
	ds_write_b32 v205, v5
.LBB1016_1100:                          ;   in Loop: Header=BB1016_1040 Depth=2
	s_or_b64 exec, exec, s[40:41]
	s_waitcnt vmcnt(4)
	v_xor_b32_e32 v204, 0xffff8000, v179
	v_lshrrev_b32_sdwa v5, s89, v204 dst_sel:DWORD dst_unused:UNUSED_PAD src0_sel:DWORD src1_sel:WORD_0
	v_and_b32_e32 v56, s6, v5
	v_mul_u32_u24_e32 v5, 5, v56
	v_add_lshl_u32 v5, v5, v153, 2
	; wave barrier
	v_add_u32_e32 v179, 0x210, v5
	ds_read_b32 v207, v5 offset:528
	v_and_b32_e32 v5, 1, v56
	v_add_co_u32_e32 v57, vcc, -1, v5
	v_addc_co_u32_e64 v208, s[40:41], 0, -1, vcc
	v_cmp_ne_u32_e32 vcc, 0, v5
	v_xor_b32_e32 v5, vcc_hi, v208
	v_and_b32_e32 v208, exec_hi, v5
	v_lshlrev_b32_e32 v5, 30, v56
	v_xor_b32_e32 v57, vcc_lo, v57
	v_cmp_gt_i64_e32 vcc, 0, v[4:5]
	v_not_b32_e32 v5, v5
	v_ashrrev_i32_e32 v5, 31, v5
	v_and_b32_e32 v57, exec_lo, v57
	v_xor_b32_e32 v209, vcc_hi, v5
	v_xor_b32_e32 v5, vcc_lo, v5
	v_and_b32_e32 v57, v57, v5
	v_lshlrev_b32_e32 v5, 29, v56
	v_cmp_gt_i64_e32 vcc, 0, v[4:5]
	v_not_b32_e32 v5, v5
	v_ashrrev_i32_e32 v5, 31, v5
	v_and_b32_e32 v208, v208, v209
	v_xor_b32_e32 v209, vcc_hi, v5
	v_xor_b32_e32 v5, vcc_lo, v5
	v_and_b32_e32 v57, v57, v5
	v_lshlrev_b32_e32 v5, 28, v56
	v_cmp_gt_i64_e32 vcc, 0, v[4:5]
	v_not_b32_e32 v5, v5
	v_ashrrev_i32_e32 v5, 31, v5
	v_and_b32_e32 v208, v208, v209
	;; [unrolled: 8-line block ×4, first 2 shown]
	v_xor_b32_e32 v209, vcc_hi, v5
	v_xor_b32_e32 v5, vcc_lo, v5
	v_and_b32_e32 v208, v208, v209
	v_and_b32_e32 v209, v57, v5
	v_lshlrev_b32_e32 v5, 25, v56
	v_cmp_gt_i64_e32 vcc, 0, v[4:5]
	v_not_b32_e32 v5, v5
	v_ashrrev_i32_e32 v5, 31, v5
	v_xor_b32_e32 v56, vcc_hi, v5
	v_xor_b32_e32 v5, vcc_lo, v5
	v_and_b32_e32 v57, v208, v56
	v_and_b32_e32 v56, v209, v5
	v_mbcnt_lo_u32_b32 v5, v56, 0
	v_mbcnt_hi_u32_b32 v209, v57, v5
	v_cmp_eq_u32_e32 vcc, 0, v209
	v_cmp_ne_u64_e64 s[40:41], 0, v[56:57]
	s_and_b64 s[42:43], s[40:41], vcc
	; wave barrier
	s_and_saveexec_b64 s[40:41], s[42:43]
	s_cbranch_execz .LBB1016_1102
; %bb.1101:                             ;   in Loop: Header=BB1016_1040 Depth=2
	v_bcnt_u32_b32 v5, v56, 0
	v_bcnt_u32_b32 v5, v57, v5
	s_waitcnt lgkmcnt(0)
	v_add_u32_e32 v5, v207, v5
	ds_write_b32 v179, v5
.LBB1016_1102:                          ;   in Loop: Header=BB1016_1040 Depth=2
	s_or_b64 exec, exec, s[40:41]
	s_waitcnt vmcnt(3)
	v_xor_b32_e32 v208, 0xffff8000, v174
	v_lshrrev_b32_sdwa v5, s89, v208 dst_sel:DWORD dst_unused:UNUSED_PAD src0_sel:DWORD src1_sel:WORD_0
	v_and_b32_e32 v56, s6, v5
	v_mul_u32_u24_e32 v5, 5, v56
	v_add_lshl_u32 v5, v5, v153, 2
	; wave barrier
	v_add_u32_e32 v174, 0x210, v5
	ds_read_b32 v210, v5 offset:528
	v_and_b32_e32 v5, 1, v56
	v_add_co_u32_e32 v57, vcc, -1, v5
	v_addc_co_u32_e64 v211, s[40:41], 0, -1, vcc
	v_cmp_ne_u32_e32 vcc, 0, v5
	v_xor_b32_e32 v5, vcc_hi, v211
	v_and_b32_e32 v211, exec_hi, v5
	v_lshlrev_b32_e32 v5, 30, v56
	v_xor_b32_e32 v57, vcc_lo, v57
	v_cmp_gt_i64_e32 vcc, 0, v[4:5]
	v_not_b32_e32 v5, v5
	v_ashrrev_i32_e32 v5, 31, v5
	v_and_b32_e32 v57, exec_lo, v57
	v_xor_b32_e32 v212, vcc_hi, v5
	v_xor_b32_e32 v5, vcc_lo, v5
	v_and_b32_e32 v57, v57, v5
	v_lshlrev_b32_e32 v5, 29, v56
	v_cmp_gt_i64_e32 vcc, 0, v[4:5]
	v_not_b32_e32 v5, v5
	v_ashrrev_i32_e32 v5, 31, v5
	v_and_b32_e32 v211, v211, v212
	v_xor_b32_e32 v212, vcc_hi, v5
	v_xor_b32_e32 v5, vcc_lo, v5
	v_and_b32_e32 v57, v57, v5
	v_lshlrev_b32_e32 v5, 28, v56
	v_cmp_gt_i64_e32 vcc, 0, v[4:5]
	v_not_b32_e32 v5, v5
	v_ashrrev_i32_e32 v5, 31, v5
	v_and_b32_e32 v211, v211, v212
	;; [unrolled: 8-line block ×4, first 2 shown]
	v_xor_b32_e32 v212, vcc_hi, v5
	v_xor_b32_e32 v5, vcc_lo, v5
	v_and_b32_e32 v211, v211, v212
	v_and_b32_e32 v212, v57, v5
	v_lshlrev_b32_e32 v5, 25, v56
	v_cmp_gt_i64_e32 vcc, 0, v[4:5]
	v_not_b32_e32 v5, v5
	v_ashrrev_i32_e32 v5, 31, v5
	v_xor_b32_e32 v56, vcc_hi, v5
	v_xor_b32_e32 v5, vcc_lo, v5
	v_and_b32_e32 v57, v211, v56
	v_and_b32_e32 v56, v212, v5
	v_mbcnt_lo_u32_b32 v5, v56, 0
	v_mbcnt_hi_u32_b32 v212, v57, v5
	v_cmp_eq_u32_e32 vcc, 0, v212
	v_cmp_ne_u64_e64 s[40:41], 0, v[56:57]
	s_and_b64 s[42:43], s[40:41], vcc
	; wave barrier
	s_and_saveexec_b64 s[40:41], s[42:43]
	s_cbranch_execz .LBB1016_1104
; %bb.1103:                             ;   in Loop: Header=BB1016_1040 Depth=2
	v_bcnt_u32_b32 v5, v56, 0
	v_bcnt_u32_b32 v5, v57, v5
	s_waitcnt lgkmcnt(0)
	v_add_u32_e32 v5, v210, v5
	ds_write_b32 v174, v5
.LBB1016_1104:                          ;   in Loop: Header=BB1016_1040 Depth=2
	s_or_b64 exec, exec, s[40:41]
	s_waitcnt vmcnt(2)
	v_xor_b32_e32 v211, 0xffff8000, v169
	v_lshrrev_b32_sdwa v5, s89, v211 dst_sel:DWORD dst_unused:UNUSED_PAD src0_sel:DWORD src1_sel:WORD_0
	v_and_b32_e32 v56, s6, v5
	v_mul_u32_u24_e32 v5, 5, v56
	v_add_lshl_u32 v5, v5, v153, 2
	; wave barrier
	v_add_u32_e32 v169, 0x210, v5
	ds_read_b32 v213, v5 offset:528
	v_and_b32_e32 v5, 1, v56
	v_add_co_u32_e32 v57, vcc, -1, v5
	v_addc_co_u32_e64 v214, s[40:41], 0, -1, vcc
	v_cmp_ne_u32_e32 vcc, 0, v5
	v_xor_b32_e32 v5, vcc_hi, v214
	v_and_b32_e32 v214, exec_hi, v5
	v_lshlrev_b32_e32 v5, 30, v56
	v_xor_b32_e32 v57, vcc_lo, v57
	v_cmp_gt_i64_e32 vcc, 0, v[4:5]
	v_not_b32_e32 v5, v5
	v_ashrrev_i32_e32 v5, 31, v5
	v_and_b32_e32 v57, exec_lo, v57
	v_xor_b32_e32 v215, vcc_hi, v5
	v_xor_b32_e32 v5, vcc_lo, v5
	v_and_b32_e32 v57, v57, v5
	v_lshlrev_b32_e32 v5, 29, v56
	v_cmp_gt_i64_e32 vcc, 0, v[4:5]
	v_not_b32_e32 v5, v5
	v_ashrrev_i32_e32 v5, 31, v5
	v_and_b32_e32 v214, v214, v215
	v_xor_b32_e32 v215, vcc_hi, v5
	v_xor_b32_e32 v5, vcc_lo, v5
	v_and_b32_e32 v57, v57, v5
	v_lshlrev_b32_e32 v5, 28, v56
	v_cmp_gt_i64_e32 vcc, 0, v[4:5]
	v_not_b32_e32 v5, v5
	v_ashrrev_i32_e32 v5, 31, v5
	v_and_b32_e32 v214, v214, v215
	;; [unrolled: 8-line block ×4, first 2 shown]
	v_xor_b32_e32 v215, vcc_hi, v5
	v_xor_b32_e32 v5, vcc_lo, v5
	v_and_b32_e32 v214, v214, v215
	v_and_b32_e32 v215, v57, v5
	v_lshlrev_b32_e32 v5, 25, v56
	v_cmp_gt_i64_e32 vcc, 0, v[4:5]
	v_not_b32_e32 v5, v5
	v_ashrrev_i32_e32 v5, 31, v5
	v_xor_b32_e32 v56, vcc_hi, v5
	v_xor_b32_e32 v5, vcc_lo, v5
	v_and_b32_e32 v57, v214, v56
	v_and_b32_e32 v56, v215, v5
	v_mbcnt_lo_u32_b32 v5, v56, 0
	v_mbcnt_hi_u32_b32 v215, v57, v5
	v_cmp_eq_u32_e32 vcc, 0, v215
	v_cmp_ne_u64_e64 s[40:41], 0, v[56:57]
	s_and_b64 s[42:43], s[40:41], vcc
	; wave barrier
	s_and_saveexec_b64 s[40:41], s[42:43]
	s_cbranch_execz .LBB1016_1106
; %bb.1105:                             ;   in Loop: Header=BB1016_1040 Depth=2
	v_bcnt_u32_b32 v5, v56, 0
	v_bcnt_u32_b32 v5, v57, v5
	s_waitcnt lgkmcnt(0)
	v_add_u32_e32 v5, v213, v5
	ds_write_b32 v169, v5
.LBB1016_1106:                          ;   in Loop: Header=BB1016_1040 Depth=2
	s_or_b64 exec, exec, s[40:41]
	s_waitcnt vmcnt(0)
	v_xor_b32_e32 v214, 0xffff8000, v164
	v_lshrrev_b32_sdwa v5, s89, v214 dst_sel:DWORD dst_unused:UNUSED_PAD src0_sel:DWORD src1_sel:WORD_0
	v_and_b32_e32 v56, s6, v5
	v_mul_u32_u24_e32 v5, 5, v56
	v_add_lshl_u32 v5, v5, v153, 2
	; wave barrier
	v_add_u32_e32 v164, 0x210, v5
	ds_read_b32 v216, v5 offset:528
	v_and_b32_e32 v5, 1, v56
	v_add_co_u32_e32 v57, vcc, -1, v5
	v_addc_co_u32_e64 v217, s[40:41], 0, -1, vcc
	v_cmp_ne_u32_e32 vcc, 0, v5
	v_xor_b32_e32 v5, vcc_hi, v217
	v_and_b32_e32 v217, exec_hi, v5
	v_lshlrev_b32_e32 v5, 30, v56
	v_xor_b32_e32 v57, vcc_lo, v57
	v_cmp_gt_i64_e32 vcc, 0, v[4:5]
	v_not_b32_e32 v5, v5
	v_ashrrev_i32_e32 v5, 31, v5
	v_and_b32_e32 v57, exec_lo, v57
	v_xor_b32_e32 v218, vcc_hi, v5
	v_xor_b32_e32 v5, vcc_lo, v5
	v_and_b32_e32 v57, v57, v5
	v_lshlrev_b32_e32 v5, 29, v56
	v_cmp_gt_i64_e32 vcc, 0, v[4:5]
	v_not_b32_e32 v5, v5
	v_ashrrev_i32_e32 v5, 31, v5
	v_and_b32_e32 v217, v217, v218
	v_xor_b32_e32 v218, vcc_hi, v5
	v_xor_b32_e32 v5, vcc_lo, v5
	v_and_b32_e32 v57, v57, v5
	v_lshlrev_b32_e32 v5, 28, v56
	v_cmp_gt_i64_e32 vcc, 0, v[4:5]
	v_not_b32_e32 v5, v5
	v_ashrrev_i32_e32 v5, 31, v5
	v_and_b32_e32 v217, v217, v218
	;; [unrolled: 8-line block ×4, first 2 shown]
	v_xor_b32_e32 v218, vcc_hi, v5
	v_xor_b32_e32 v5, vcc_lo, v5
	v_and_b32_e32 v217, v217, v218
	v_and_b32_e32 v218, v57, v5
	v_lshlrev_b32_e32 v5, 25, v56
	v_cmp_gt_i64_e32 vcc, 0, v[4:5]
	v_not_b32_e32 v5, v5
	v_ashrrev_i32_e32 v5, 31, v5
	v_xor_b32_e32 v56, vcc_hi, v5
	v_xor_b32_e32 v5, vcc_lo, v5
	v_and_b32_e32 v57, v217, v56
	v_and_b32_e32 v56, v218, v5
	v_mbcnt_lo_u32_b32 v5, v56, 0
	v_mbcnt_hi_u32_b32 v218, v57, v5
	v_cmp_eq_u32_e32 vcc, 0, v218
	v_cmp_ne_u64_e64 s[40:41], 0, v[56:57]
	s_and_b64 s[42:43], s[40:41], vcc
	; wave barrier
	s_and_saveexec_b64 s[40:41], s[42:43]
	s_cbranch_execz .LBB1016_1108
; %bb.1107:                             ;   in Loop: Header=BB1016_1040 Depth=2
	v_bcnt_u32_b32 v5, v56, 0
	v_bcnt_u32_b32 v5, v57, v5
	s_waitcnt lgkmcnt(0)
	v_add_u32_e32 v5, v216, v5
	ds_write_b32 v164, v5
.LBB1016_1108:                          ;   in Loop: Header=BB1016_1040 Depth=2
	s_or_b64 exec, exec, s[40:41]
	v_xor_b32_e32 v217, 0xffff8000, v159
	v_lshrrev_b32_sdwa v5, s89, v217 dst_sel:DWORD dst_unused:UNUSED_PAD src0_sel:DWORD src1_sel:WORD_0
	v_and_b32_e32 v56, s6, v5
	v_mul_u32_u24_e32 v5, 5, v56
	v_add_lshl_u32 v5, v5, v153, 2
	; wave barrier
	v_add_u32_e32 v159, 0x210, v5
	ds_read_b32 v219, v5 offset:528
	v_and_b32_e32 v5, 1, v56
	v_add_co_u32_e32 v57, vcc, -1, v5
	v_addc_co_u32_e64 v220, s[40:41], 0, -1, vcc
	v_cmp_ne_u32_e32 vcc, 0, v5
	v_xor_b32_e32 v5, vcc_hi, v220
	v_and_b32_e32 v220, exec_hi, v5
	v_lshlrev_b32_e32 v5, 30, v56
	v_xor_b32_e32 v57, vcc_lo, v57
	v_cmp_gt_i64_e32 vcc, 0, v[4:5]
	v_not_b32_e32 v5, v5
	v_ashrrev_i32_e32 v5, 31, v5
	v_and_b32_e32 v57, exec_lo, v57
	v_xor_b32_e32 v221, vcc_hi, v5
	v_xor_b32_e32 v5, vcc_lo, v5
	v_and_b32_e32 v57, v57, v5
	v_lshlrev_b32_e32 v5, 29, v56
	v_cmp_gt_i64_e32 vcc, 0, v[4:5]
	v_not_b32_e32 v5, v5
	v_ashrrev_i32_e32 v5, 31, v5
	v_and_b32_e32 v220, v220, v221
	v_xor_b32_e32 v221, vcc_hi, v5
	v_xor_b32_e32 v5, vcc_lo, v5
	v_and_b32_e32 v57, v57, v5
	v_lshlrev_b32_e32 v5, 28, v56
	v_cmp_gt_i64_e32 vcc, 0, v[4:5]
	v_not_b32_e32 v5, v5
	v_ashrrev_i32_e32 v5, 31, v5
	v_and_b32_e32 v220, v220, v221
	;; [unrolled: 8-line block ×4, first 2 shown]
	v_xor_b32_e32 v221, vcc_hi, v5
	v_xor_b32_e32 v5, vcc_lo, v5
	v_and_b32_e32 v220, v220, v221
	v_and_b32_e32 v221, v57, v5
	v_lshlrev_b32_e32 v5, 25, v56
	v_cmp_gt_i64_e32 vcc, 0, v[4:5]
	v_not_b32_e32 v5, v5
	v_ashrrev_i32_e32 v5, 31, v5
	v_xor_b32_e32 v56, vcc_hi, v5
	v_xor_b32_e32 v5, vcc_lo, v5
	v_and_b32_e32 v57, v220, v56
	v_and_b32_e32 v56, v221, v5
	v_mbcnt_lo_u32_b32 v5, v56, 0
	v_mbcnt_hi_u32_b32 v221, v57, v5
	v_cmp_eq_u32_e32 vcc, 0, v221
	v_cmp_ne_u64_e64 s[40:41], 0, v[56:57]
	s_and_b64 s[42:43], s[40:41], vcc
	; wave barrier
	s_and_saveexec_b64 s[40:41], s[42:43]
	s_cbranch_execz .LBB1016_1110
; %bb.1109:                             ;   in Loop: Header=BB1016_1040 Depth=2
	v_bcnt_u32_b32 v5, v56, 0
	v_bcnt_u32_b32 v5, v57, v5
	s_waitcnt lgkmcnt(0)
	v_add_u32_e32 v5, v219, v5
	ds_write_b32 v159, v5
.LBB1016_1110:                          ;   in Loop: Header=BB1016_1040 Depth=2
	s_or_b64 exec, exec, s[40:41]
	v_xor_b32_e32 v220, 0xffff8000, v166
	v_lshrrev_b32_sdwa v5, s89, v220 dst_sel:DWORD dst_unused:UNUSED_PAD src0_sel:DWORD src1_sel:WORD_0
	v_and_b32_e32 v56, s6, v5
	v_mul_u32_u24_e32 v5, 5, v56
	v_add_lshl_u32 v5, v5, v153, 2
	; wave barrier
	v_add_u32_e32 v166, 0x210, v5
	ds_read_b32 v222, v5 offset:528
	v_and_b32_e32 v5, 1, v56
	v_add_co_u32_e32 v57, vcc, -1, v5
	v_addc_co_u32_e64 v223, s[40:41], 0, -1, vcc
	v_cmp_ne_u32_e32 vcc, 0, v5
	v_xor_b32_e32 v5, vcc_hi, v223
	v_and_b32_e32 v223, exec_hi, v5
	v_lshlrev_b32_e32 v5, 30, v56
	v_xor_b32_e32 v57, vcc_lo, v57
	v_cmp_gt_i64_e32 vcc, 0, v[4:5]
	v_not_b32_e32 v5, v5
	v_ashrrev_i32_e32 v5, 31, v5
	v_and_b32_e32 v57, exec_lo, v57
	v_xor_b32_e32 v224, vcc_hi, v5
	v_xor_b32_e32 v5, vcc_lo, v5
	v_and_b32_e32 v57, v57, v5
	v_lshlrev_b32_e32 v5, 29, v56
	v_cmp_gt_i64_e32 vcc, 0, v[4:5]
	v_not_b32_e32 v5, v5
	v_ashrrev_i32_e32 v5, 31, v5
	v_and_b32_e32 v223, v223, v224
	v_xor_b32_e32 v224, vcc_hi, v5
	v_xor_b32_e32 v5, vcc_lo, v5
	v_and_b32_e32 v57, v57, v5
	v_lshlrev_b32_e32 v5, 28, v56
	v_cmp_gt_i64_e32 vcc, 0, v[4:5]
	v_not_b32_e32 v5, v5
	v_ashrrev_i32_e32 v5, 31, v5
	v_and_b32_e32 v223, v223, v224
	;; [unrolled: 8-line block ×4, first 2 shown]
	v_xor_b32_e32 v224, vcc_hi, v5
	v_xor_b32_e32 v5, vcc_lo, v5
	v_and_b32_e32 v223, v223, v224
	v_and_b32_e32 v224, v57, v5
	v_lshlrev_b32_e32 v5, 25, v56
	v_cmp_gt_i64_e32 vcc, 0, v[4:5]
	v_not_b32_e32 v5, v5
	v_ashrrev_i32_e32 v5, 31, v5
	v_xor_b32_e32 v56, vcc_hi, v5
	v_xor_b32_e32 v5, vcc_lo, v5
	v_and_b32_e32 v57, v223, v56
	v_and_b32_e32 v56, v224, v5
	v_mbcnt_lo_u32_b32 v5, v56, 0
	v_mbcnt_hi_u32_b32 v5, v57, v5
	v_cmp_eq_u32_e32 vcc, 0, v5
	v_cmp_ne_u64_e64 s[40:41], 0, v[56:57]
	s_and_b64 s[42:43], s[40:41], vcc
	; wave barrier
	s_and_saveexec_b64 s[40:41], s[42:43]
	s_cbranch_execz .LBB1016_1112
; %bb.1111:                             ;   in Loop: Header=BB1016_1040 Depth=2
	v_bcnt_u32_b32 v56, v56, 0
	v_bcnt_u32_b32 v56, v57, v56
	s_waitcnt lgkmcnt(0)
	v_add_u32_e32 v56, v222, v56
	ds_write_b32 v166, v56
.LBB1016_1112:                          ;   in Loop: Header=BB1016_1040 Depth=2
	s_or_b64 exec, exec, s[40:41]
	; wave barrier
	s_waitcnt lgkmcnt(0)
	s_barrier
	ds_read_b32 v223, v58 offset:528
	ds_read2_b32 v[56:57], v67 offset0:1 offset1:2
	s_waitcnt lgkmcnt(0)
	v_add3_u32 v57, v56, v223, v57
	s_nop 1
	v_mov_b32_dpp v224, v57 row_shr:1 row_mask:0xf bank_mask:0xf
	v_cndmask_b32_e64 v224, v224, 0, s[20:21]
	v_add_u32_e32 v57, v224, v57
	s_nop 1
	v_mov_b32_dpp v224, v57 row_shr:2 row_mask:0xf bank_mask:0xf
	v_cndmask_b32_e64 v224, 0, v224, s[22:23]
	v_add_u32_e32 v57, v57, v224
	;; [unrolled: 4-line block ×4, first 2 shown]
	s_nop 1
	v_mov_b32_dpp v224, v57 row_bcast:15 row_mask:0xf bank_mask:0xf
	v_cndmask_b32_e64 v224, v224, 0, s[28:29]
	v_add_u32_e32 v57, v57, v224
	s_nop 1
	v_mov_b32_dpp v224, v57 row_bcast:31 row_mask:0xf bank_mask:0xf
	v_cndmask_b32_e64 v224, 0, v224, s[30:31]
	v_add_u32_e32 v57, v57, v224
	s_and_saveexec_b64 s[40:41], s[12:13]
	s_cbranch_execz .LBB1016_1114
; %bb.1113:                             ;   in Loop: Header=BB1016_1040 Depth=2
	ds_write_b32 v60, v57 offset:512
.LBB1016_1114:                          ;   in Loop: Header=BB1016_1040 Depth=2
	s_or_b64 exec, exec, s[40:41]
	s_waitcnt lgkmcnt(0)
	s_barrier
	s_and_saveexec_b64 s[40:41], s[14:15]
	s_cbranch_execz .LBB1016_1116
; %bb.1115:                             ;   in Loop: Header=BB1016_1040 Depth=2
	ds_read_b32 v224, v69 offset:512
	s_waitcnt lgkmcnt(0)
	s_nop 0
	v_mov_b32_dpp v225, v224 row_shr:1 row_mask:0xf bank_mask:0xf
	v_cndmask_b32_e64 v225, v225, 0, s[36:37]
	v_add_u32_e32 v224, v225, v224
	s_nop 1
	v_mov_b32_dpp v225, v224 row_shr:2 row_mask:0xf bank_mask:0xf
	v_cndmask_b32_e64 v225, 0, v225, s[38:39]
	v_add_u32_e32 v224, v224, v225
	ds_write_b32 v69, v224 offset:512
.LBB1016_1116:                          ;   in Loop: Header=BB1016_1040 Depth=2
	s_or_b64 exec, exec, s[40:41]
	v_mov_b32_e32 v224, 0
	s_waitcnt lgkmcnt(0)
	s_barrier
	s_and_saveexec_b64 s[40:41], s[10:11]
	s_cbranch_execz .LBB1016_1118
; %bb.1117:                             ;   in Loop: Header=BB1016_1040 Depth=2
	ds_read_b32 v224, v60 offset:508
.LBB1016_1118:                          ;   in Loop: Header=BB1016_1040 Depth=2
	s_or_b64 exec, exec, s[40:41]
	s_waitcnt lgkmcnt(0)
	v_add_u32_e32 v57, v224, v57
	ds_bpermute_b32 v57, v129, v57
	s_waitcnt lgkmcnt(0)
	v_cndmask_b32_e64 v57, v57, v224, s[34:35]
	v_cndmask_b32_e64 v57, v57, 0, s[16:17]
	v_add_u32_e32 v223, v57, v223
	v_add_u32_e32 v56, v223, v56
	ds_write_b32 v58, v57 offset:528
	ds_write2_b32 v67, v223, v56 offset0:1 offset1:2
	s_waitcnt lgkmcnt(0)
	s_barrier
	ds_read_b32 v56, v158
	ds_read_b32 v57, v163
	;; [unrolled: 1-line block ×17, first 2 shown]
	s_and_saveexec_b64 s[40:41], s[4:5]
	s_cbranch_execz .LBB1016_1122
; %bb.1119:                             ;   in Loop: Header=BB1016_1040 Depth=2
	ds_read_b32 v154, v70 offset:528
	v_mov_b32_e32 v155, 0x1100
	s_and_saveexec_b64 s[42:43], s[18:19]
	s_cbranch_execz .LBB1016_1121
; %bb.1120:                             ;   in Loop: Header=BB1016_1040 Depth=2
	ds_read_b32 v155, v70 offset:548
.LBB1016_1121:                          ;   in Loop: Header=BB1016_1040 Depth=2
	s_or_b64 exec, exec, s[42:43]
	s_waitcnt lgkmcnt(0)
	v_sub_u32_e32 v155, v155, v154
.LBB1016_1122:                          ;   in Loop: Header=BB1016_1040 Depth=2
	s_or_b64 exec, exec, s[40:41]
	s_waitcnt lgkmcnt(0)
	s_barrier
	s_and_saveexec_b64 s[40:41], s[4:5]
	s_cbranch_execz .LBB1016_1124
; %bb.1123:                             ;   in Loop: Header=BB1016_1040 Depth=2
	ds_read_b32 v159, v3
	s_waitcnt lgkmcnt(0)
	v_sub_u32_e32 v159, v159, v154
	ds_write_b32 v3, v159
.LBB1016_1124:                          ;   in Loop: Header=BB1016_1040 Depth=2
	s_or_b64 exec, exec, s[40:41]
	v_add_u32_e32 v179, v56, v161
	v_add3_u32 v175, v167, v162, v57
	v_lshlrev_b32_e32 v56, 1, v179
	v_add3_u32 v174, v172, v168, v158
	ds_write_b16 v56, v157 offset:512
	v_lshlrev_b32_e32 v56, 1, v175
	v_add3_u32 v173, v177, v173, v163
	ds_write_b16 v56, v160 offset:512
	;; [unrolled: 3-line block ×15, first 2 shown]
	v_lshlrev_b32_e32 v56, 1, v158
	ds_write_b16 v56, v217 offset:512
	v_lshlrev_b32_e32 v56, 1, v5
	v_cmp_lt_u32_e64 s[40:41], v2, v156
	v_add_u32_e32 v157, v70, v75
	ds_write_b16 v56, v220 offset:512
	s_waitcnt lgkmcnt(0)
	s_barrier
	s_and_saveexec_b64 s[42:43], s[40:41]
	s_cbranch_execz .LBB1016_1176
; %bb.1125:                             ;   in Loop: Header=BB1016_1040 Depth=2
	ds_read_u16 v56, v157 offset:512
	v_mov_b32_e32 v165, s81
	s_waitcnt lgkmcnt(0)
	v_lshrrev_b32_sdwa v57, s89, v56 dst_sel:DWORD dst_unused:UNUSED_PAD src0_sel:DWORD src1_sel:WORD_0
	v_and_b32_e32 v57, s6, v57
	v_lshlrev_b32_e32 v57, 2, v57
	ds_read_b32 v160, v57
	v_mov_b32_e32 v57, v4
	v_xor_b32_e32 v171, 0xffff8000, v56
	s_waitcnt lgkmcnt(0)
	v_add_u32_e32 v56, v160, v2
	v_lshlrev_b64 v[56:57], 1, v[56:57]
	v_add_co_u32_e32 v56, vcc, s80, v56
	v_addc_co_u32_e32 v57, vcc, v165, v57, vcc
	global_store_short v[56:57], v171, off
	s_or_b64 exec, exec, s[42:43]
	v_cmp_lt_u32_e64 s[42:43], v7, v156
	s_and_saveexec_b64 s[44:45], s[42:43]
	s_cbranch_execnz .LBB1016_1177
.LBB1016_1126:                          ;   in Loop: Header=BB1016_1040 Depth=2
	s_or_b64 exec, exec, s[44:45]
	v_cmp_lt_u32_e64 s[44:45], v13, v156
	s_and_saveexec_b64 s[46:47], s[44:45]
	s_cbranch_execz .LBB1016_1178
.LBB1016_1127:                          ;   in Loop: Header=BB1016_1040 Depth=2
	ds_read_u16 v56, v76 offset:1024
	v_mov_b32_e32 v165, s81
	s_waitcnt lgkmcnt(0)
	v_lshrrev_b32_sdwa v57, s89, v56 dst_sel:DWORD dst_unused:UNUSED_PAD src0_sel:DWORD src1_sel:WORD_0
	v_and_b32_e32 v57, s6, v57
	v_lshlrev_b32_e32 v57, 2, v57
	ds_read_b32 v160, v57
	v_mov_b32_e32 v57, v4
	v_xor_b32_e32 v171, 0xffff8000, v56
	s_waitcnt lgkmcnt(0)
	v_add_u32_e32 v56, v160, v13
	v_lshlrev_b64 v[56:57], 1, v[56:57]
	v_add_co_u32_e32 v56, vcc, s80, v56
	v_addc_co_u32_e32 v57, vcc, v165, v57, vcc
	global_store_short v[56:57], v171, off
	s_or_b64 exec, exec, s[46:47]
	v_cmp_lt_u32_e64 s[46:47], v15, v156
	s_and_saveexec_b64 s[48:49], s[46:47]
	s_cbranch_execnz .LBB1016_1179
.LBB1016_1128:                          ;   in Loop: Header=BB1016_1040 Depth=2
	s_or_b64 exec, exec, s[48:49]
	v_cmp_lt_u32_e64 s[48:49], v17, v156
	s_and_saveexec_b64 s[50:51], s[48:49]
	s_cbranch_execz .LBB1016_1180
.LBB1016_1129:                          ;   in Loop: Header=BB1016_1040 Depth=2
	ds_read_u16 v56, v76 offset:2048
	v_mov_b32_e32 v165, s81
	s_waitcnt lgkmcnt(0)
	v_lshrrev_b32_sdwa v57, s89, v56 dst_sel:DWORD dst_unused:UNUSED_PAD src0_sel:DWORD src1_sel:WORD_0
	v_and_b32_e32 v57, s6, v57
	v_lshlrev_b32_e32 v57, 2, v57
	ds_read_b32 v160, v57
	v_mov_b32_e32 v57, v4
	v_xor_b32_e32 v171, 0xffff8000, v56
	s_waitcnt lgkmcnt(0)
	v_add_u32_e32 v56, v160, v17
	v_lshlrev_b64 v[56:57], 1, v[56:57]
	v_add_co_u32_e32 v56, vcc, s80, v56
	v_addc_co_u32_e32 v57, vcc, v165, v57, vcc
	global_store_short v[56:57], v171, off
	s_or_b64 exec, exec, s[50:51]
	v_cmp_lt_u32_e64 s[50:51], v19, v156
	s_and_saveexec_b64 s[52:53], s[50:51]
	s_cbranch_execnz .LBB1016_1181
.LBB1016_1130:                          ;   in Loop: Header=BB1016_1040 Depth=2
	s_or_b64 exec, exec, s[52:53]
	v_cmp_lt_u32_e64 s[52:53], v21, v156
	s_and_saveexec_b64 s[54:55], s[52:53]
	s_cbranch_execz .LBB1016_1182
.LBB1016_1131:                          ;   in Loop: Header=BB1016_1040 Depth=2
	ds_read_u16 v56, v76 offset:3072
	v_mov_b32_e32 v165, s81
	s_waitcnt lgkmcnt(0)
	v_lshrrev_b32_sdwa v57, s89, v56 dst_sel:DWORD dst_unused:UNUSED_PAD src0_sel:DWORD src1_sel:WORD_0
	v_and_b32_e32 v57, s6, v57
	v_lshlrev_b32_e32 v57, 2, v57
	ds_read_b32 v160, v57
	v_mov_b32_e32 v57, v4
	v_xor_b32_e32 v171, 0xffff8000, v56
	s_waitcnt lgkmcnt(0)
	v_add_u32_e32 v56, v160, v21
	v_lshlrev_b64 v[56:57], 1, v[56:57]
	v_add_co_u32_e32 v56, vcc, s80, v56
	v_addc_co_u32_e32 v57, vcc, v165, v57, vcc
	global_store_short v[56:57], v171, off
	s_or_b64 exec, exec, s[54:55]
	v_cmp_lt_u32_e64 s[54:55], v23, v156
	s_and_saveexec_b64 s[56:57], s[54:55]
	s_cbranch_execnz .LBB1016_1183
.LBB1016_1132:                          ;   in Loop: Header=BB1016_1040 Depth=2
	s_or_b64 exec, exec, s[56:57]
	v_cmp_lt_u32_e64 s[56:57], v6, v156
	s_and_saveexec_b64 s[58:59], s[56:57]
	s_cbranch_execz .LBB1016_1184
.LBB1016_1133:                          ;   in Loop: Header=BB1016_1040 Depth=2
	ds_read_u16 v56, v76 offset:4096
	v_mov_b32_e32 v165, s81
	s_waitcnt lgkmcnt(0)
	v_lshrrev_b32_sdwa v57, s89, v56 dst_sel:DWORD dst_unused:UNUSED_PAD src0_sel:DWORD src1_sel:WORD_0
	v_and_b32_e32 v57, s6, v57
	v_lshlrev_b32_e32 v57, 2, v57
	ds_read_b32 v160, v57
	v_mov_b32_e32 v57, v4
	v_xor_b32_e32 v171, 0xffff8000, v56
	s_waitcnt lgkmcnt(0)
	v_add_u32_e32 v56, v160, v6
	v_lshlrev_b64 v[56:57], 1, v[56:57]
	v_add_co_u32_e32 v56, vcc, s80, v56
	v_addc_co_u32_e32 v57, vcc, v165, v57, vcc
	global_store_short v[56:57], v171, off
	s_or_b64 exec, exec, s[58:59]
	v_cmp_lt_u32_e64 s[58:59], v8, v156
	s_and_saveexec_b64 s[60:61], s[58:59]
	s_cbranch_execnz .LBB1016_1185
.LBB1016_1134:                          ;   in Loop: Header=BB1016_1040 Depth=2
	s_or_b64 exec, exec, s[60:61]
	v_cmp_lt_u32_e64 s[60:61], v10, v156
	s_and_saveexec_b64 s[62:63], s[60:61]
	s_cbranch_execz .LBB1016_1186
.LBB1016_1135:                          ;   in Loop: Header=BB1016_1040 Depth=2
	ds_read_u16 v56, v76 offset:5120
	v_mov_b32_e32 v165, s81
	s_waitcnt lgkmcnt(0)
	v_lshrrev_b32_sdwa v57, s89, v56 dst_sel:DWORD dst_unused:UNUSED_PAD src0_sel:DWORD src1_sel:WORD_0
	v_and_b32_e32 v57, s6, v57
	v_lshlrev_b32_e32 v57, 2, v57
	ds_read_b32 v160, v57
	v_mov_b32_e32 v57, v4
	v_xor_b32_e32 v171, 0xffff8000, v56
	s_waitcnt lgkmcnt(0)
	v_add_u32_e32 v56, v160, v10
	v_lshlrev_b64 v[56:57], 1, v[56:57]
	v_add_co_u32_e32 v56, vcc, s80, v56
	v_addc_co_u32_e32 v57, vcc, v165, v57, vcc
	global_store_short v[56:57], v171, off
	s_or_b64 exec, exec, s[62:63]
	v_cmp_lt_u32_e64 s[62:63], v12, v156
	s_and_saveexec_b64 s[64:65], s[62:63]
	s_cbranch_execnz .LBB1016_1187
.LBB1016_1136:                          ;   in Loop: Header=BB1016_1040 Depth=2
	s_or_b64 exec, exec, s[64:65]
	v_cmp_lt_u32_e64 s[64:65], v14, v156
	s_and_saveexec_b64 s[66:67], s[64:65]
	s_cbranch_execz .LBB1016_1188
.LBB1016_1137:                          ;   in Loop: Header=BB1016_1040 Depth=2
	ds_read_u16 v56, v76 offset:6144
	v_mov_b32_e32 v165, s81
	s_waitcnt lgkmcnt(0)
	v_lshrrev_b32_sdwa v57, s89, v56 dst_sel:DWORD dst_unused:UNUSED_PAD src0_sel:DWORD src1_sel:WORD_0
	v_and_b32_e32 v57, s6, v57
	v_lshlrev_b32_e32 v57, 2, v57
	ds_read_b32 v160, v57
	v_mov_b32_e32 v57, v4
	v_xor_b32_e32 v171, 0xffff8000, v56
	s_waitcnt lgkmcnt(0)
	v_add_u32_e32 v56, v160, v14
	v_lshlrev_b64 v[56:57], 1, v[56:57]
	v_add_co_u32_e32 v56, vcc, s80, v56
	v_addc_co_u32_e32 v57, vcc, v165, v57, vcc
	global_store_short v[56:57], v171, off
	s_or_b64 exec, exec, s[66:67]
	v_cmp_lt_u32_e64 s[66:67], v16, v156
	s_and_saveexec_b64 s[68:69], s[66:67]
	s_cbranch_execnz .LBB1016_1189
.LBB1016_1138:                          ;   in Loop: Header=BB1016_1040 Depth=2
	s_or_b64 exec, exec, s[68:69]
	v_cmp_lt_u32_e64 s[68:69], v18, v156
	s_and_saveexec_b64 s[70:71], s[68:69]
	s_cbranch_execz .LBB1016_1190
.LBB1016_1139:                          ;   in Loop: Header=BB1016_1040 Depth=2
	ds_read_u16 v56, v76 offset:7168
	v_mov_b32_e32 v165, s81
	s_waitcnt lgkmcnt(0)
	v_lshrrev_b32_sdwa v57, s89, v56 dst_sel:DWORD dst_unused:UNUSED_PAD src0_sel:DWORD src1_sel:WORD_0
	v_and_b32_e32 v57, s6, v57
	v_lshlrev_b32_e32 v57, 2, v57
	ds_read_b32 v160, v57
	v_mov_b32_e32 v57, v4
	v_xor_b32_e32 v171, 0xffff8000, v56
	s_waitcnt lgkmcnt(0)
	v_add_u32_e32 v56, v160, v18
	v_lshlrev_b64 v[56:57], 1, v[56:57]
	v_add_co_u32_e32 v56, vcc, s80, v56
	v_addc_co_u32_e32 v57, vcc, v165, v57, vcc
	global_store_short v[56:57], v171, off
	s_or_b64 exec, exec, s[70:71]
	v_cmp_lt_u32_e64 s[70:71], v20, v156
	s_and_saveexec_b64 s[72:73], s[70:71]
	s_cbranch_execnz .LBB1016_1191
.LBB1016_1140:                          ;   in Loop: Header=BB1016_1040 Depth=2
	s_or_b64 exec, exec, s[72:73]
	v_cmp_lt_u32_e64 s[72:73], v22, v156
	s_and_saveexec_b64 s[82:83], s[72:73]
	s_cbranch_execz .LBB1016_1142
.LBB1016_1141:                          ;   in Loop: Header=BB1016_1040 Depth=2
	ds_read_u16 v56, v76 offset:8192
	v_mov_b32_e32 v165, s81
	s_waitcnt lgkmcnt(0)
	v_lshrrev_b32_sdwa v57, s89, v56 dst_sel:DWORD dst_unused:UNUSED_PAD src0_sel:DWORD src1_sel:WORD_0
	v_and_b32_e32 v57, s6, v57
	v_lshlrev_b32_e32 v57, 2, v57
	ds_read_b32 v160, v57
	v_mov_b32_e32 v57, v4
	v_xor_b32_e32 v171, 0xffff8000, v56
	s_waitcnt lgkmcnt(0)
	v_add_u32_e32 v56, v160, v22
	v_lshlrev_b64 v[56:57], 1, v[56:57]
	v_add_co_u32_e32 v56, vcc, s80, v56
	v_addc_co_u32_e32 v57, vcc, v165, v57, vcc
	global_store_short v[56:57], v171, off
.LBB1016_1142:                          ;   in Loop: Header=BB1016_1040 Depth=2
	s_or_b64 exec, exec, s[82:83]
	s_lshl_b64 s[82:83], s[94:95], 3
	v_mov_b32_e32 v57, s83
	v_add_co_u32_e32 v56, vcc, s82, v130
	v_addc_co_u32_e32 v57, vcc, v131, v57, vcc
	v_cmp_lt_u32_e32 vcc, v111, v156
	s_and_saveexec_b64 s[82:83], vcc
	s_xor_b64 s[82:83], exec, s[82:83]
	s_cbranch_execz .LBB1016_1192
; %bb.1143:                             ;   in Loop: Header=BB1016_1040 Depth=2
	global_load_dwordx2 v[54:55], v[56:57], off
	s_or_b64 exec, exec, s[82:83]
	v_cmp_lt_u32_e32 vcc, v112, v156
	s_and_saveexec_b64 s[82:83], vcc
	s_cbranch_execnz .LBB1016_1193
.LBB1016_1144:                          ;   in Loop: Header=BB1016_1040 Depth=2
	s_or_b64 exec, exec, s[82:83]
	v_cmp_lt_u32_e32 vcc, v113, v156
	s_and_saveexec_b64 s[82:83], vcc
	s_cbranch_execz .LBB1016_1194
.LBB1016_1145:                          ;   in Loop: Header=BB1016_1040 Depth=2
	global_load_dwordx2 v[50:51], v[56:57], off offset:1024
	s_or_b64 exec, exec, s[82:83]
	v_cmp_lt_u32_e32 vcc, v114, v156
	s_and_saveexec_b64 s[82:83], vcc
	s_cbranch_execnz .LBB1016_1195
.LBB1016_1146:                          ;   in Loop: Header=BB1016_1040 Depth=2
	s_or_b64 exec, exec, s[82:83]
	v_cmp_lt_u32_e32 vcc, v115, v156
	s_and_saveexec_b64 s[82:83], vcc
	s_cbranch_execz .LBB1016_1196
.LBB1016_1147:                          ;   in Loop: Header=BB1016_1040 Depth=2
	global_load_dwordx2 v[42:43], v[56:57], off offset:2048
	s_or_b64 exec, exec, s[82:83]
	v_cmp_lt_u32_e32 vcc, v116, v156
	s_and_saveexec_b64 s[82:83], vcc
	s_cbranch_execnz .LBB1016_1197
.LBB1016_1148:                          ;   in Loop: Header=BB1016_1040 Depth=2
	s_or_b64 exec, exec, s[82:83]
	v_cmp_lt_u32_e32 vcc, v117, v156
	s_and_saveexec_b64 s[82:83], vcc
	s_cbranch_execz .LBB1016_1198
.LBB1016_1149:                          ;   in Loop: Header=BB1016_1040 Depth=2
	global_load_dwordx2 v[34:35], v[56:57], off offset:3072
	s_or_b64 exec, exec, s[82:83]
	v_cmp_lt_u32_e32 vcc, v118, v156
	s_and_saveexec_b64 s[82:83], vcc
	s_cbranch_execnz .LBB1016_1199
.LBB1016_1150:                          ;   in Loop: Header=BB1016_1040 Depth=2
	s_or_b64 exec, exec, s[82:83]
	v_cmp_lt_u32_e32 vcc, v119, v156
	s_and_saveexec_b64 s[82:83], vcc
	s_cbranch_execz .LBB1016_1200
.LBB1016_1151:                          ;   in Loop: Header=BB1016_1040 Depth=2
	v_add_co_u32_e32 v48, vcc, 0x1000, v56
	v_addc_co_u32_e32 v49, vcc, 0, v57, vcc
	global_load_dwordx2 v[48:49], v[48:49], off
	s_or_b64 exec, exec, s[82:83]
	v_cmp_lt_u32_e32 vcc, v120, v156
	s_and_saveexec_b64 s[82:83], vcc
	s_cbranch_execnz .LBB1016_1201
.LBB1016_1152:                          ;   in Loop: Header=BB1016_1040 Depth=2
	s_or_b64 exec, exec, s[82:83]
	v_cmp_lt_u32_e32 vcc, v121, v156
	s_and_saveexec_b64 s[82:83], vcc
	s_cbranch_execz .LBB1016_1202
.LBB1016_1153:                          ;   in Loop: Header=BB1016_1040 Depth=2
	v_add_co_u32_e32 v40, vcc, 0x1000, v56
	v_addc_co_u32_e32 v41, vcc, 0, v57, vcc
	global_load_dwordx2 v[40:41], v[40:41], off offset:1024
	s_or_b64 exec, exec, s[82:83]
	v_cmp_lt_u32_e32 vcc, v122, v156
	s_and_saveexec_b64 s[82:83], vcc
	s_cbranch_execnz .LBB1016_1203
.LBB1016_1154:                          ;   in Loop: Header=BB1016_1040 Depth=2
	s_or_b64 exec, exec, s[82:83]
	v_cmp_lt_u32_e32 vcc, v123, v156
	s_and_saveexec_b64 s[82:83], vcc
	s_cbranch_execz .LBB1016_1204
.LBB1016_1155:                          ;   in Loop: Header=BB1016_1040 Depth=2
	v_add_co_u32_e32 v32, vcc, 0x1000, v56
	v_addc_co_u32_e32 v33, vcc, 0, v57, vcc
	global_load_dwordx2 v[32:33], v[32:33], off offset:2048
	s_or_b64 exec, exec, s[82:83]
	v_cmp_lt_u32_e32 vcc, v124, v156
	s_and_saveexec_b64 s[82:83], vcc
	s_cbranch_execnz .LBB1016_1205
.LBB1016_1156:                          ;   in Loop: Header=BB1016_1040 Depth=2
	s_or_b64 exec, exec, s[82:83]
	v_cmp_lt_u32_e32 vcc, v125, v156
	s_and_saveexec_b64 s[82:83], vcc
	s_cbranch_execz .LBB1016_1206
.LBB1016_1157:                          ;   in Loop: Header=BB1016_1040 Depth=2
	v_add_co_u32_e32 v26, vcc, 0x1000, v56
	v_addc_co_u32_e32 v27, vcc, 0, v57, vcc
	global_load_dwordx2 v[26:27], v[26:27], off offset:3072
	s_or_b64 exec, exec, s[82:83]
	v_cmp_lt_u32_e32 vcc, v126, v156
	s_and_saveexec_b64 s[82:83], vcc
	s_cbranch_execnz .LBB1016_1207
.LBB1016_1158:                          ;   in Loop: Header=BB1016_1040 Depth=2
	s_or_b64 exec, exec, s[82:83]
	v_cmp_lt_u32_e32 vcc, v127, v156
	s_and_saveexec_b64 s[82:83], vcc
	s_cbranch_execz .LBB1016_1208
.LBB1016_1159:                          ;   in Loop: Header=BB1016_1040 Depth=2
	v_add_co_u32_e32 v0, vcc, 0x2000, v56
	v_addc_co_u32_e32 v1, vcc, 0, v57, vcc
	global_load_dwordx2 v[0:1], v[0:1], off
	s_or_b64 exec, exec, s[82:83]
	s_and_saveexec_b64 s[82:83], s[40:41]
	s_cbranch_execnz .LBB1016_1209
.LBB1016_1160:                          ;   in Loop: Header=BB1016_1040 Depth=2
	s_or_b64 exec, exec, s[82:83]
	s_and_saveexec_b64 s[82:83], s[42:43]
	s_cbranch_execz .LBB1016_1210
.LBB1016_1161:                          ;   in Loop: Header=BB1016_1040 Depth=2
	ds_read_u16 v56, v76 offset:512
	s_waitcnt lgkmcnt(0)
	v_lshrrev_b32_e32 v56, s89, v56
	v_and_b32_e32 v150, s6, v56
	s_or_b64 exec, exec, s[82:83]
	s_and_saveexec_b64 s[82:83], s[44:45]
	s_cbranch_execnz .LBB1016_1211
.LBB1016_1162:                          ;   in Loop: Header=BB1016_1040 Depth=2
	s_or_b64 exec, exec, s[82:83]
	s_and_saveexec_b64 s[82:83], s[46:47]
	s_cbranch_execz .LBB1016_1212
.LBB1016_1163:                          ;   in Loop: Header=BB1016_1040 Depth=2
	ds_read_u16 v56, v76 offset:1536
	s_waitcnt lgkmcnt(0)
	v_lshrrev_b32_e32 v56, s89, v56
	v_and_b32_e32 v147, s6, v56
	s_or_b64 exec, exec, s[82:83]
	s_and_saveexec_b64 s[82:83], s[48:49]
	s_cbranch_execnz .LBB1016_1213
.LBB1016_1164:                          ;   in Loop: Header=BB1016_1040 Depth=2
	s_or_b64 exec, exec, s[82:83]
	s_and_saveexec_b64 s[82:83], s[50:51]
	s_cbranch_execz .LBB1016_1214
.LBB1016_1165:                          ;   in Loop: Header=BB1016_1040 Depth=2
	ds_read_u16 v56, v76 offset:2560
	s_waitcnt lgkmcnt(0)
	v_lshrrev_b32_e32 v56, s89, v56
	v_and_b32_e32 v145, s6, v56
	s_or_b64 exec, exec, s[82:83]
	s_and_saveexec_b64 s[82:83], s[52:53]
	s_cbranch_execnz .LBB1016_1215
.LBB1016_1166:                          ;   in Loop: Header=BB1016_1040 Depth=2
	s_or_b64 exec, exec, s[82:83]
	s_and_saveexec_b64 s[82:83], s[54:55]
	s_cbranch_execz .LBB1016_1216
.LBB1016_1167:                          ;   in Loop: Header=BB1016_1040 Depth=2
	ds_read_u16 v56, v76 offset:3584
	s_waitcnt lgkmcnt(0)
	v_lshrrev_b32_e32 v56, s89, v56
	v_and_b32_e32 v143, s6, v56
	s_or_b64 exec, exec, s[82:83]
	s_and_saveexec_b64 s[82:83], s[56:57]
	s_cbranch_execnz .LBB1016_1217
.LBB1016_1168:                          ;   in Loop: Header=BB1016_1040 Depth=2
	s_or_b64 exec, exec, s[82:83]
	s_and_saveexec_b64 s[82:83], s[58:59]
	s_cbranch_execz .LBB1016_1218
.LBB1016_1169:                          ;   in Loop: Header=BB1016_1040 Depth=2
	ds_read_u16 v56, v76 offset:4608
	s_waitcnt lgkmcnt(0)
	v_lshrrev_b32_e32 v56, s89, v56
	v_and_b32_e32 v141, s6, v56
	s_or_b64 exec, exec, s[82:83]
	s_and_saveexec_b64 s[82:83], s[60:61]
	s_cbranch_execnz .LBB1016_1219
.LBB1016_1170:                          ;   in Loop: Header=BB1016_1040 Depth=2
	s_or_b64 exec, exec, s[82:83]
	s_and_saveexec_b64 s[82:83], s[62:63]
	s_cbranch_execz .LBB1016_1220
.LBB1016_1171:                          ;   in Loop: Header=BB1016_1040 Depth=2
	ds_read_u16 v56, v76 offset:5632
	s_waitcnt lgkmcnt(0)
	v_lshrrev_b32_e32 v56, s89, v56
	v_and_b32_e32 v139, s6, v56
	s_or_b64 exec, exec, s[82:83]
	s_and_saveexec_b64 s[82:83], s[64:65]
	s_cbranch_execnz .LBB1016_1221
.LBB1016_1172:                          ;   in Loop: Header=BB1016_1040 Depth=2
	s_or_b64 exec, exec, s[82:83]
	s_and_saveexec_b64 s[82:83], s[66:67]
	s_cbranch_execz .LBB1016_1222
.LBB1016_1173:                          ;   in Loop: Header=BB1016_1040 Depth=2
	ds_read_u16 v56, v76 offset:6656
	s_waitcnt lgkmcnt(0)
	v_lshrrev_b32_e32 v56, s89, v56
	v_and_b32_e32 v137, s6, v56
	s_or_b64 exec, exec, s[82:83]
	s_and_saveexec_b64 s[82:83], s[68:69]
	s_cbranch_execnz .LBB1016_1223
.LBB1016_1174:                          ;   in Loop: Header=BB1016_1040 Depth=2
	s_or_b64 exec, exec, s[82:83]
	s_and_saveexec_b64 s[82:83], s[70:71]
	s_cbranch_execz .LBB1016_1224
.LBB1016_1175:                          ;   in Loop: Header=BB1016_1040 Depth=2
	ds_read_u16 v56, v76 offset:7680
	s_waitcnt lgkmcnt(0)
	v_lshrrev_b32_e32 v56, s89, v56
	v_and_b32_e32 v135, s6, v56
	s_or_b64 exec, exec, s[82:83]
	s_and_saveexec_b64 s[82:83], s[72:73]
	s_cbranch_execnz .LBB1016_1225
	s_branch .LBB1016_1226
.LBB1016_1176:                          ;   in Loop: Header=BB1016_1040 Depth=2
	s_or_b64 exec, exec, s[42:43]
	v_cmp_lt_u32_e64 s[42:43], v7, v156
	s_and_saveexec_b64 s[44:45], s[42:43]
	s_cbranch_execz .LBB1016_1126
.LBB1016_1177:                          ;   in Loop: Header=BB1016_1040 Depth=2
	ds_read_u16 v56, v76 offset:512
	v_mov_b32_e32 v165, s81
	s_waitcnt lgkmcnt(0)
	v_lshrrev_b32_sdwa v57, s89, v56 dst_sel:DWORD dst_unused:UNUSED_PAD src0_sel:DWORD src1_sel:WORD_0
	v_and_b32_e32 v57, s6, v57
	v_lshlrev_b32_e32 v57, 2, v57
	ds_read_b32 v160, v57
	v_mov_b32_e32 v57, v4
	v_xor_b32_e32 v171, 0xffff8000, v56
	s_waitcnt lgkmcnt(0)
	v_add_u32_e32 v56, v160, v7
	v_lshlrev_b64 v[56:57], 1, v[56:57]
	v_add_co_u32_e32 v56, vcc, s80, v56
	v_addc_co_u32_e32 v57, vcc, v165, v57, vcc
	global_store_short v[56:57], v171, off
	s_or_b64 exec, exec, s[44:45]
	v_cmp_lt_u32_e64 s[44:45], v13, v156
	s_and_saveexec_b64 s[46:47], s[44:45]
	s_cbranch_execnz .LBB1016_1127
.LBB1016_1178:                          ;   in Loop: Header=BB1016_1040 Depth=2
	s_or_b64 exec, exec, s[46:47]
	v_cmp_lt_u32_e64 s[46:47], v15, v156
	s_and_saveexec_b64 s[48:49], s[46:47]
	s_cbranch_execz .LBB1016_1128
.LBB1016_1179:                          ;   in Loop: Header=BB1016_1040 Depth=2
	ds_read_u16 v56, v76 offset:1536
	v_mov_b32_e32 v165, s81
	s_waitcnt lgkmcnt(0)
	v_lshrrev_b32_sdwa v57, s89, v56 dst_sel:DWORD dst_unused:UNUSED_PAD src0_sel:DWORD src1_sel:WORD_0
	v_and_b32_e32 v57, s6, v57
	v_lshlrev_b32_e32 v57, 2, v57
	ds_read_b32 v160, v57
	v_mov_b32_e32 v57, v4
	v_xor_b32_e32 v171, 0xffff8000, v56
	s_waitcnt lgkmcnt(0)
	v_add_u32_e32 v56, v160, v15
	v_lshlrev_b64 v[56:57], 1, v[56:57]
	v_add_co_u32_e32 v56, vcc, s80, v56
	v_addc_co_u32_e32 v57, vcc, v165, v57, vcc
	global_store_short v[56:57], v171, off
	s_or_b64 exec, exec, s[48:49]
	v_cmp_lt_u32_e64 s[48:49], v17, v156
	s_and_saveexec_b64 s[50:51], s[48:49]
	s_cbranch_execnz .LBB1016_1129
.LBB1016_1180:                          ;   in Loop: Header=BB1016_1040 Depth=2
	s_or_b64 exec, exec, s[50:51]
	v_cmp_lt_u32_e64 s[50:51], v19, v156
	s_and_saveexec_b64 s[52:53], s[50:51]
	s_cbranch_execz .LBB1016_1130
.LBB1016_1181:                          ;   in Loop: Header=BB1016_1040 Depth=2
	ds_read_u16 v56, v76 offset:2560
	v_mov_b32_e32 v165, s81
	s_waitcnt lgkmcnt(0)
	v_lshrrev_b32_sdwa v57, s89, v56 dst_sel:DWORD dst_unused:UNUSED_PAD src0_sel:DWORD src1_sel:WORD_0
	v_and_b32_e32 v57, s6, v57
	v_lshlrev_b32_e32 v57, 2, v57
	ds_read_b32 v160, v57
	v_mov_b32_e32 v57, v4
	v_xor_b32_e32 v171, 0xffff8000, v56
	s_waitcnt lgkmcnt(0)
	v_add_u32_e32 v56, v160, v19
	v_lshlrev_b64 v[56:57], 1, v[56:57]
	v_add_co_u32_e32 v56, vcc, s80, v56
	v_addc_co_u32_e32 v57, vcc, v165, v57, vcc
	global_store_short v[56:57], v171, off
	s_or_b64 exec, exec, s[52:53]
	v_cmp_lt_u32_e64 s[52:53], v21, v156
	s_and_saveexec_b64 s[54:55], s[52:53]
	s_cbranch_execnz .LBB1016_1131
.LBB1016_1182:                          ;   in Loop: Header=BB1016_1040 Depth=2
	s_or_b64 exec, exec, s[54:55]
	v_cmp_lt_u32_e64 s[54:55], v23, v156
	s_and_saveexec_b64 s[56:57], s[54:55]
	s_cbranch_execz .LBB1016_1132
.LBB1016_1183:                          ;   in Loop: Header=BB1016_1040 Depth=2
	ds_read_u16 v56, v76 offset:3584
	v_mov_b32_e32 v165, s81
	s_waitcnt lgkmcnt(0)
	v_lshrrev_b32_sdwa v57, s89, v56 dst_sel:DWORD dst_unused:UNUSED_PAD src0_sel:DWORD src1_sel:WORD_0
	v_and_b32_e32 v57, s6, v57
	v_lshlrev_b32_e32 v57, 2, v57
	ds_read_b32 v160, v57
	v_mov_b32_e32 v57, v4
	v_xor_b32_e32 v171, 0xffff8000, v56
	s_waitcnt lgkmcnt(0)
	v_add_u32_e32 v56, v160, v23
	v_lshlrev_b64 v[56:57], 1, v[56:57]
	v_add_co_u32_e32 v56, vcc, s80, v56
	v_addc_co_u32_e32 v57, vcc, v165, v57, vcc
	global_store_short v[56:57], v171, off
	s_or_b64 exec, exec, s[56:57]
	v_cmp_lt_u32_e64 s[56:57], v6, v156
	s_and_saveexec_b64 s[58:59], s[56:57]
	s_cbranch_execnz .LBB1016_1133
.LBB1016_1184:                          ;   in Loop: Header=BB1016_1040 Depth=2
	s_or_b64 exec, exec, s[58:59]
	v_cmp_lt_u32_e64 s[58:59], v8, v156
	s_and_saveexec_b64 s[60:61], s[58:59]
	s_cbranch_execz .LBB1016_1134
.LBB1016_1185:                          ;   in Loop: Header=BB1016_1040 Depth=2
	ds_read_u16 v56, v76 offset:4608
	v_mov_b32_e32 v165, s81
	s_waitcnt lgkmcnt(0)
	v_lshrrev_b32_sdwa v57, s89, v56 dst_sel:DWORD dst_unused:UNUSED_PAD src0_sel:DWORD src1_sel:WORD_0
	v_and_b32_e32 v57, s6, v57
	v_lshlrev_b32_e32 v57, 2, v57
	ds_read_b32 v160, v57
	v_mov_b32_e32 v57, v4
	v_xor_b32_e32 v171, 0xffff8000, v56
	s_waitcnt lgkmcnt(0)
	v_add_u32_e32 v56, v160, v8
	v_lshlrev_b64 v[56:57], 1, v[56:57]
	v_add_co_u32_e32 v56, vcc, s80, v56
	v_addc_co_u32_e32 v57, vcc, v165, v57, vcc
	global_store_short v[56:57], v171, off
	s_or_b64 exec, exec, s[60:61]
	v_cmp_lt_u32_e64 s[60:61], v10, v156
	s_and_saveexec_b64 s[62:63], s[60:61]
	s_cbranch_execnz .LBB1016_1135
.LBB1016_1186:                          ;   in Loop: Header=BB1016_1040 Depth=2
	s_or_b64 exec, exec, s[62:63]
	v_cmp_lt_u32_e64 s[62:63], v12, v156
	s_and_saveexec_b64 s[64:65], s[62:63]
	s_cbranch_execz .LBB1016_1136
.LBB1016_1187:                          ;   in Loop: Header=BB1016_1040 Depth=2
	ds_read_u16 v56, v76 offset:5632
	v_mov_b32_e32 v165, s81
	s_waitcnt lgkmcnt(0)
	v_lshrrev_b32_sdwa v57, s89, v56 dst_sel:DWORD dst_unused:UNUSED_PAD src0_sel:DWORD src1_sel:WORD_0
	v_and_b32_e32 v57, s6, v57
	v_lshlrev_b32_e32 v57, 2, v57
	ds_read_b32 v160, v57
	v_mov_b32_e32 v57, v4
	v_xor_b32_e32 v171, 0xffff8000, v56
	s_waitcnt lgkmcnt(0)
	v_add_u32_e32 v56, v160, v12
	v_lshlrev_b64 v[56:57], 1, v[56:57]
	v_add_co_u32_e32 v56, vcc, s80, v56
	v_addc_co_u32_e32 v57, vcc, v165, v57, vcc
	global_store_short v[56:57], v171, off
	s_or_b64 exec, exec, s[64:65]
	v_cmp_lt_u32_e64 s[64:65], v14, v156
	s_and_saveexec_b64 s[66:67], s[64:65]
	s_cbranch_execnz .LBB1016_1137
.LBB1016_1188:                          ;   in Loop: Header=BB1016_1040 Depth=2
	s_or_b64 exec, exec, s[66:67]
	v_cmp_lt_u32_e64 s[66:67], v16, v156
	s_and_saveexec_b64 s[68:69], s[66:67]
	s_cbranch_execz .LBB1016_1138
.LBB1016_1189:                          ;   in Loop: Header=BB1016_1040 Depth=2
	ds_read_u16 v56, v76 offset:6656
	v_mov_b32_e32 v165, s81
	s_waitcnt lgkmcnt(0)
	v_lshrrev_b32_sdwa v57, s89, v56 dst_sel:DWORD dst_unused:UNUSED_PAD src0_sel:DWORD src1_sel:WORD_0
	v_and_b32_e32 v57, s6, v57
	v_lshlrev_b32_e32 v57, 2, v57
	ds_read_b32 v160, v57
	v_mov_b32_e32 v57, v4
	v_xor_b32_e32 v171, 0xffff8000, v56
	s_waitcnt lgkmcnt(0)
	v_add_u32_e32 v56, v160, v16
	v_lshlrev_b64 v[56:57], 1, v[56:57]
	v_add_co_u32_e32 v56, vcc, s80, v56
	v_addc_co_u32_e32 v57, vcc, v165, v57, vcc
	global_store_short v[56:57], v171, off
	s_or_b64 exec, exec, s[68:69]
	v_cmp_lt_u32_e64 s[68:69], v18, v156
	s_and_saveexec_b64 s[70:71], s[68:69]
	s_cbranch_execnz .LBB1016_1139
.LBB1016_1190:                          ;   in Loop: Header=BB1016_1040 Depth=2
	s_or_b64 exec, exec, s[70:71]
	v_cmp_lt_u32_e64 s[70:71], v20, v156
	s_and_saveexec_b64 s[72:73], s[70:71]
	s_cbranch_execz .LBB1016_1140
.LBB1016_1191:                          ;   in Loop: Header=BB1016_1040 Depth=2
	ds_read_u16 v56, v76 offset:7680
	v_mov_b32_e32 v165, s81
	s_waitcnt lgkmcnt(0)
	v_lshrrev_b32_sdwa v57, s89, v56 dst_sel:DWORD dst_unused:UNUSED_PAD src0_sel:DWORD src1_sel:WORD_0
	v_and_b32_e32 v57, s6, v57
	v_lshlrev_b32_e32 v57, 2, v57
	ds_read_b32 v160, v57
	v_mov_b32_e32 v57, v4
	v_xor_b32_e32 v171, 0xffff8000, v56
	s_waitcnt lgkmcnt(0)
	v_add_u32_e32 v56, v160, v20
	v_lshlrev_b64 v[56:57], 1, v[56:57]
	v_add_co_u32_e32 v56, vcc, s80, v56
	v_addc_co_u32_e32 v57, vcc, v165, v57, vcc
	global_store_short v[56:57], v171, off
	s_or_b64 exec, exec, s[72:73]
	v_cmp_lt_u32_e64 s[72:73], v22, v156
	s_and_saveexec_b64 s[82:83], s[72:73]
	s_cbranch_execnz .LBB1016_1141
	s_branch .LBB1016_1142
.LBB1016_1192:                          ;   in Loop: Header=BB1016_1040 Depth=2
	s_or_b64 exec, exec, s[82:83]
	v_cmp_lt_u32_e32 vcc, v112, v156
	s_and_saveexec_b64 s[82:83], vcc
	s_cbranch_execz .LBB1016_1144
.LBB1016_1193:                          ;   in Loop: Header=BB1016_1040 Depth=2
	global_load_dwordx2 v[52:53], v[56:57], off offset:512
	s_or_b64 exec, exec, s[82:83]
	v_cmp_lt_u32_e32 vcc, v113, v156
	s_and_saveexec_b64 s[82:83], vcc
	s_cbranch_execnz .LBB1016_1145
.LBB1016_1194:                          ;   in Loop: Header=BB1016_1040 Depth=2
	s_or_b64 exec, exec, s[82:83]
	v_cmp_lt_u32_e32 vcc, v114, v156
	s_and_saveexec_b64 s[82:83], vcc
	s_cbranch_execz .LBB1016_1146
.LBB1016_1195:                          ;   in Loop: Header=BB1016_1040 Depth=2
	global_load_dwordx2 v[46:47], v[56:57], off offset:1536
	s_or_b64 exec, exec, s[82:83]
	v_cmp_lt_u32_e32 vcc, v115, v156
	s_and_saveexec_b64 s[82:83], vcc
	s_cbranch_execnz .LBB1016_1147
.LBB1016_1196:                          ;   in Loop: Header=BB1016_1040 Depth=2
	s_or_b64 exec, exec, s[82:83]
	v_cmp_lt_u32_e32 vcc, v116, v156
	s_and_saveexec_b64 s[82:83], vcc
	s_cbranch_execz .LBB1016_1148
.LBB1016_1197:                          ;   in Loop: Header=BB1016_1040 Depth=2
	global_load_dwordx2 v[38:39], v[56:57], off offset:2560
	s_or_b64 exec, exec, s[82:83]
	v_cmp_lt_u32_e32 vcc, v117, v156
	s_and_saveexec_b64 s[82:83], vcc
	s_cbranch_execnz .LBB1016_1149
.LBB1016_1198:                          ;   in Loop: Header=BB1016_1040 Depth=2
	s_or_b64 exec, exec, s[82:83]
	v_cmp_lt_u32_e32 vcc, v118, v156
	s_and_saveexec_b64 s[82:83], vcc
	s_cbranch_execz .LBB1016_1150
.LBB1016_1199:                          ;   in Loop: Header=BB1016_1040 Depth=2
	global_load_dwordx2 v[30:31], v[56:57], off offset:3584
	s_or_b64 exec, exec, s[82:83]
	v_cmp_lt_u32_e32 vcc, v119, v156
	s_and_saveexec_b64 s[82:83], vcc
	s_cbranch_execnz .LBB1016_1151
.LBB1016_1200:                          ;   in Loop: Header=BB1016_1040 Depth=2
	s_or_b64 exec, exec, s[82:83]
	v_cmp_lt_u32_e32 vcc, v120, v156
	s_and_saveexec_b64 s[82:83], vcc
	s_cbranch_execz .LBB1016_1152
.LBB1016_1201:                          ;   in Loop: Header=BB1016_1040 Depth=2
	v_add_co_u32_e32 v44, vcc, 0x1000, v56
	v_addc_co_u32_e32 v45, vcc, 0, v57, vcc
	global_load_dwordx2 v[44:45], v[44:45], off offset:512
	s_or_b64 exec, exec, s[82:83]
	v_cmp_lt_u32_e32 vcc, v121, v156
	s_and_saveexec_b64 s[82:83], vcc
	s_cbranch_execnz .LBB1016_1153
.LBB1016_1202:                          ;   in Loop: Header=BB1016_1040 Depth=2
	s_or_b64 exec, exec, s[82:83]
	v_cmp_lt_u32_e32 vcc, v122, v156
	s_and_saveexec_b64 s[82:83], vcc
	s_cbranch_execz .LBB1016_1154
.LBB1016_1203:                          ;   in Loop: Header=BB1016_1040 Depth=2
	v_add_co_u32_e32 v36, vcc, 0x1000, v56
	v_addc_co_u32_e32 v37, vcc, 0, v57, vcc
	global_load_dwordx2 v[36:37], v[36:37], off offset:1536
	s_or_b64 exec, exec, s[82:83]
	v_cmp_lt_u32_e32 vcc, v123, v156
	s_and_saveexec_b64 s[82:83], vcc
	s_cbranch_execnz .LBB1016_1155
.LBB1016_1204:                          ;   in Loop: Header=BB1016_1040 Depth=2
	s_or_b64 exec, exec, s[82:83]
	v_cmp_lt_u32_e32 vcc, v124, v156
	s_and_saveexec_b64 s[82:83], vcc
	s_cbranch_execz .LBB1016_1156
.LBB1016_1205:                          ;   in Loop: Header=BB1016_1040 Depth=2
	v_add_co_u32_e32 v28, vcc, 0x1000, v56
	v_addc_co_u32_e32 v29, vcc, 0, v57, vcc
	global_load_dwordx2 v[28:29], v[28:29], off offset:2560
	s_or_b64 exec, exec, s[82:83]
	v_cmp_lt_u32_e32 vcc, v125, v156
	s_and_saveexec_b64 s[82:83], vcc
	s_cbranch_execnz .LBB1016_1157
.LBB1016_1206:                          ;   in Loop: Header=BB1016_1040 Depth=2
	s_or_b64 exec, exec, s[82:83]
	v_cmp_lt_u32_e32 vcc, v126, v156
	s_and_saveexec_b64 s[82:83], vcc
	s_cbranch_execz .LBB1016_1158
.LBB1016_1207:                          ;   in Loop: Header=BB1016_1040 Depth=2
	v_add_co_u32_e32 v24, vcc, 0x1000, v56
	v_addc_co_u32_e32 v25, vcc, 0, v57, vcc
	global_load_dwordx2 v[24:25], v[24:25], off offset:3584
	s_or_b64 exec, exec, s[82:83]
	v_cmp_lt_u32_e32 vcc, v127, v156
	s_and_saveexec_b64 s[82:83], vcc
	s_cbranch_execnz .LBB1016_1159
.LBB1016_1208:                          ;   in Loop: Header=BB1016_1040 Depth=2
	s_or_b64 exec, exec, s[82:83]
	s_and_saveexec_b64 s[82:83], s[40:41]
	s_cbranch_execz .LBB1016_1160
.LBB1016_1209:                          ;   in Loop: Header=BB1016_1040 Depth=2
	ds_read_u16 v56, v157 offset:512
	s_waitcnt lgkmcnt(0)
	v_lshrrev_b32_e32 v56, s89, v56
	v_and_b32_e32 v152, s6, v56
	s_or_b64 exec, exec, s[82:83]
	s_and_saveexec_b64 s[82:83], s[42:43]
	s_cbranch_execnz .LBB1016_1161
.LBB1016_1210:                          ;   in Loop: Header=BB1016_1040 Depth=2
	s_or_b64 exec, exec, s[82:83]
	s_and_saveexec_b64 s[82:83], s[44:45]
	s_cbranch_execz .LBB1016_1162
.LBB1016_1211:                          ;   in Loop: Header=BB1016_1040 Depth=2
	ds_read_u16 v56, v76 offset:1024
	s_waitcnt lgkmcnt(0)
	v_lshrrev_b32_e32 v56, s89, v56
	v_and_b32_e32 v149, s6, v56
	s_or_b64 exec, exec, s[82:83]
	s_and_saveexec_b64 s[82:83], s[46:47]
	s_cbranch_execnz .LBB1016_1163
.LBB1016_1212:                          ;   in Loop: Header=BB1016_1040 Depth=2
	s_or_b64 exec, exec, s[82:83]
	s_and_saveexec_b64 s[82:83], s[48:49]
	s_cbranch_execz .LBB1016_1164
.LBB1016_1213:                          ;   in Loop: Header=BB1016_1040 Depth=2
	ds_read_u16 v56, v76 offset:2048
	s_waitcnt lgkmcnt(0)
	v_lshrrev_b32_e32 v56, s89, v56
	v_and_b32_e32 v146, s6, v56
	s_or_b64 exec, exec, s[82:83]
	s_and_saveexec_b64 s[82:83], s[50:51]
	s_cbranch_execnz .LBB1016_1165
.LBB1016_1214:                          ;   in Loop: Header=BB1016_1040 Depth=2
	s_or_b64 exec, exec, s[82:83]
	s_and_saveexec_b64 s[82:83], s[52:53]
	s_cbranch_execz .LBB1016_1166
.LBB1016_1215:                          ;   in Loop: Header=BB1016_1040 Depth=2
	ds_read_u16 v56, v76 offset:3072
	s_waitcnt lgkmcnt(0)
	v_lshrrev_b32_e32 v56, s89, v56
	v_and_b32_e32 v144, s6, v56
	s_or_b64 exec, exec, s[82:83]
	s_and_saveexec_b64 s[82:83], s[54:55]
	s_cbranch_execnz .LBB1016_1167
.LBB1016_1216:                          ;   in Loop: Header=BB1016_1040 Depth=2
	s_or_b64 exec, exec, s[82:83]
	s_and_saveexec_b64 s[82:83], s[56:57]
	s_cbranch_execz .LBB1016_1168
.LBB1016_1217:                          ;   in Loop: Header=BB1016_1040 Depth=2
	ds_read_u16 v56, v76 offset:4096
	s_waitcnt lgkmcnt(0)
	v_lshrrev_b32_e32 v56, s89, v56
	v_and_b32_e32 v142, s6, v56
	s_or_b64 exec, exec, s[82:83]
	s_and_saveexec_b64 s[82:83], s[58:59]
	s_cbranch_execnz .LBB1016_1169
.LBB1016_1218:                          ;   in Loop: Header=BB1016_1040 Depth=2
	s_or_b64 exec, exec, s[82:83]
	s_and_saveexec_b64 s[82:83], s[60:61]
	s_cbranch_execz .LBB1016_1170
.LBB1016_1219:                          ;   in Loop: Header=BB1016_1040 Depth=2
	ds_read_u16 v56, v76 offset:5120
	s_waitcnt lgkmcnt(0)
	v_lshrrev_b32_e32 v56, s89, v56
	v_and_b32_e32 v140, s6, v56
	s_or_b64 exec, exec, s[82:83]
	s_and_saveexec_b64 s[82:83], s[62:63]
	s_cbranch_execnz .LBB1016_1171
.LBB1016_1220:                          ;   in Loop: Header=BB1016_1040 Depth=2
	s_or_b64 exec, exec, s[82:83]
	s_and_saveexec_b64 s[82:83], s[64:65]
	s_cbranch_execz .LBB1016_1172
.LBB1016_1221:                          ;   in Loop: Header=BB1016_1040 Depth=2
	ds_read_u16 v56, v76 offset:6144
	s_waitcnt lgkmcnt(0)
	v_lshrrev_b32_e32 v56, s89, v56
	v_and_b32_e32 v138, s6, v56
	s_or_b64 exec, exec, s[82:83]
	s_and_saveexec_b64 s[82:83], s[66:67]
	s_cbranch_execnz .LBB1016_1173
.LBB1016_1222:                          ;   in Loop: Header=BB1016_1040 Depth=2
	s_or_b64 exec, exec, s[82:83]
	s_and_saveexec_b64 s[82:83], s[68:69]
	s_cbranch_execz .LBB1016_1174
.LBB1016_1223:                          ;   in Loop: Header=BB1016_1040 Depth=2
	ds_read_u16 v56, v76 offset:7168
	s_waitcnt lgkmcnt(0)
	v_lshrrev_b32_e32 v56, s89, v56
	v_and_b32_e32 v136, s6, v56
	s_or_b64 exec, exec, s[82:83]
	s_and_saveexec_b64 s[82:83], s[70:71]
	s_cbranch_execnz .LBB1016_1175
.LBB1016_1224:                          ;   in Loop: Header=BB1016_1040 Depth=2
	s_or_b64 exec, exec, s[82:83]
	s_and_saveexec_b64 s[82:83], s[72:73]
	s_cbranch_execz .LBB1016_1226
.LBB1016_1225:                          ;   in Loop: Header=BB1016_1040 Depth=2
	ds_read_u16 v56, v76 offset:8192
	s_waitcnt lgkmcnt(0)
	v_lshrrev_b32_e32 v56, s89, v56
	v_and_b32_e32 v134, s6, v56
.LBB1016_1226:                          ;   in Loop: Header=BB1016_1040 Depth=2
	s_or_b64 exec, exec, s[82:83]
	v_lshlrev_b32_e32 v56, 3, v179
	s_barrier
	s_waitcnt vmcnt(0)
	ds_write_b64 v56, v[54:55] offset:512
	v_lshlrev_b32_e32 v56, 3, v175
	ds_write_b64 v56, v[52:53] offset:512
	v_lshlrev_b32_e32 v56, 3, v174
	;; [unrolled: 2-line block ×15, first 2 shown]
	v_lshlrev_b32_e32 v5, 3, v5
	ds_write_b64 v56, v[24:25] offset:512
	ds_write_b64 v5, v[0:1] offset:512
	s_waitcnt lgkmcnt(0)
	s_barrier
	s_and_saveexec_b64 s[82:83], s[40:41]
	s_cbranch_execz .LBB1016_1246
; %bb.1227:                             ;   in Loop: Header=BB1016_1040 Depth=2
	v_lshlrev_b32_e32 v5, 2, v152
	ds_read_b32 v5, v5
	ds_read_b64 v[56:57], v68 offset:512
	v_mov_b32_e32 v157, v4
	v_mov_b32_e32 v158, s87
	s_waitcnt lgkmcnt(1)
	v_add_u32_e32 v156, v5, v2
	v_lshlrev_b64 v[156:157], 3, v[156:157]
	v_add_co_u32_e32 v156, vcc, s86, v156
	v_addc_co_u32_e32 v157, vcc, v158, v157, vcc
	s_waitcnt lgkmcnt(0)
	global_store_dwordx2 v[156:157], v[56:57], off
	s_or_b64 exec, exec, s[82:83]
	v_add_u32_e32 v5, v76, v77
	s_and_saveexec_b64 s[40:41], s[42:43]
	s_cbranch_execnz .LBB1016_1247
.LBB1016_1228:                          ;   in Loop: Header=BB1016_1040 Depth=2
	s_or_b64 exec, exec, s[40:41]
	s_and_saveexec_b64 s[40:41], s[44:45]
	s_cbranch_execz .LBB1016_1248
.LBB1016_1229:                          ;   in Loop: Header=BB1016_1040 Depth=2
	v_lshlrev_b32_e32 v56, 2, v149
	ds_read_b32 v156, v56
	ds_read_b64 v[56:57], v5 offset:4096
	v_mov_b32_e32 v157, v4
	v_mov_b32_e32 v158, s87
	s_waitcnt lgkmcnt(1)
	v_add_u32_e32 v156, v156, v13
	v_lshlrev_b64 v[156:157], 3, v[156:157]
	v_add_co_u32_e32 v156, vcc, s86, v156
	v_addc_co_u32_e32 v157, vcc, v158, v157, vcc
	s_waitcnt lgkmcnt(0)
	global_store_dwordx2 v[156:157], v[56:57], off
	s_or_b64 exec, exec, s[40:41]
	s_and_saveexec_b64 s[40:41], s[46:47]
	s_cbranch_execnz .LBB1016_1249
.LBB1016_1230:                          ;   in Loop: Header=BB1016_1040 Depth=2
	s_or_b64 exec, exec, s[40:41]
	s_and_saveexec_b64 s[40:41], s[48:49]
	s_cbranch_execz .LBB1016_1250
.LBB1016_1231:                          ;   in Loop: Header=BB1016_1040 Depth=2
	v_lshlrev_b32_e32 v56, 2, v146
	ds_read_b32 v156, v56
	ds_read_b64 v[56:57], v5 offset:8192
	v_mov_b32_e32 v157, v4
	v_mov_b32_e32 v158, s87
	s_waitcnt lgkmcnt(1)
	v_add_u32_e32 v156, v156, v17
	v_lshlrev_b64 v[156:157], 3, v[156:157]
	v_add_co_u32_e32 v156, vcc, s86, v156
	v_addc_co_u32_e32 v157, vcc, v158, v157, vcc
	s_waitcnt lgkmcnt(0)
	global_store_dwordx2 v[156:157], v[56:57], off
	s_or_b64 exec, exec, s[40:41]
	s_and_saveexec_b64 s[40:41], s[50:51]
	s_cbranch_execnz .LBB1016_1251
.LBB1016_1232:                          ;   in Loop: Header=BB1016_1040 Depth=2
	s_or_b64 exec, exec, s[40:41]
	s_and_saveexec_b64 s[40:41], s[52:53]
	s_cbranch_execz .LBB1016_1252
.LBB1016_1233:                          ;   in Loop: Header=BB1016_1040 Depth=2
	v_lshlrev_b32_e32 v56, 2, v144
	ds_read_b32 v156, v56
	ds_read_b64 v[56:57], v5 offset:12288
	v_mov_b32_e32 v157, v4
	v_mov_b32_e32 v158, s87
	s_waitcnt lgkmcnt(1)
	v_add_u32_e32 v156, v156, v21
	v_lshlrev_b64 v[156:157], 3, v[156:157]
	v_add_co_u32_e32 v156, vcc, s86, v156
	v_addc_co_u32_e32 v157, vcc, v158, v157, vcc
	s_waitcnt lgkmcnt(0)
	global_store_dwordx2 v[156:157], v[56:57], off
	s_or_b64 exec, exec, s[40:41]
	s_and_saveexec_b64 s[40:41], s[54:55]
	s_cbranch_execnz .LBB1016_1253
.LBB1016_1234:                          ;   in Loop: Header=BB1016_1040 Depth=2
	s_or_b64 exec, exec, s[40:41]
	s_and_saveexec_b64 s[40:41], s[56:57]
	s_cbranch_execz .LBB1016_1254
.LBB1016_1235:                          ;   in Loop: Header=BB1016_1040 Depth=2
	v_lshlrev_b32_e32 v56, 2, v142
	ds_read_b32 v156, v56
	ds_read_b64 v[56:57], v5 offset:16384
	v_mov_b32_e32 v157, v4
	v_mov_b32_e32 v158, s87
	s_waitcnt lgkmcnt(1)
	v_add_u32_e32 v156, v156, v6
	v_lshlrev_b64 v[156:157], 3, v[156:157]
	v_add_co_u32_e32 v156, vcc, s86, v156
	v_addc_co_u32_e32 v157, vcc, v158, v157, vcc
	s_waitcnt lgkmcnt(0)
	global_store_dwordx2 v[156:157], v[56:57], off
	s_or_b64 exec, exec, s[40:41]
	s_and_saveexec_b64 s[40:41], s[58:59]
	s_cbranch_execnz .LBB1016_1255
.LBB1016_1236:                          ;   in Loop: Header=BB1016_1040 Depth=2
	s_or_b64 exec, exec, s[40:41]
	s_and_saveexec_b64 s[40:41], s[60:61]
	s_cbranch_execz .LBB1016_1256
.LBB1016_1237:                          ;   in Loop: Header=BB1016_1040 Depth=2
	v_lshlrev_b32_e32 v56, 2, v140
	ds_read_b32 v156, v56
	ds_read_b64 v[56:57], v5 offset:20480
	v_mov_b32_e32 v157, v4
	v_mov_b32_e32 v158, s87
	s_waitcnt lgkmcnt(1)
	v_add_u32_e32 v156, v156, v10
	v_lshlrev_b64 v[156:157], 3, v[156:157]
	v_add_co_u32_e32 v156, vcc, s86, v156
	v_addc_co_u32_e32 v157, vcc, v158, v157, vcc
	s_waitcnt lgkmcnt(0)
	global_store_dwordx2 v[156:157], v[56:57], off
	s_or_b64 exec, exec, s[40:41]
	s_and_saveexec_b64 s[40:41], s[62:63]
	s_cbranch_execnz .LBB1016_1257
.LBB1016_1238:                          ;   in Loop: Header=BB1016_1040 Depth=2
	s_or_b64 exec, exec, s[40:41]
	s_and_saveexec_b64 s[40:41], s[64:65]
	s_cbranch_execz .LBB1016_1258
.LBB1016_1239:                          ;   in Loop: Header=BB1016_1040 Depth=2
	v_lshlrev_b32_e32 v56, 2, v138
	ds_read_b32 v156, v56
	ds_read_b64 v[56:57], v5 offset:24576
	v_mov_b32_e32 v157, v4
	v_mov_b32_e32 v158, s87
	s_waitcnt lgkmcnt(1)
	v_add_u32_e32 v156, v156, v14
	v_lshlrev_b64 v[156:157], 3, v[156:157]
	v_add_co_u32_e32 v156, vcc, s86, v156
	v_addc_co_u32_e32 v157, vcc, v158, v157, vcc
	s_waitcnt lgkmcnt(0)
	global_store_dwordx2 v[156:157], v[56:57], off
	s_or_b64 exec, exec, s[40:41]
	s_and_saveexec_b64 s[40:41], s[66:67]
	s_cbranch_execnz .LBB1016_1259
.LBB1016_1240:                          ;   in Loop: Header=BB1016_1040 Depth=2
	s_or_b64 exec, exec, s[40:41]
	s_and_saveexec_b64 s[40:41], s[68:69]
	s_cbranch_execz .LBB1016_1260
.LBB1016_1241:                          ;   in Loop: Header=BB1016_1040 Depth=2
	v_lshlrev_b32_e32 v56, 2, v136
	ds_read_b32 v156, v56
	ds_read_b64 v[56:57], v5 offset:28672
	v_mov_b32_e32 v157, v4
	v_mov_b32_e32 v158, s87
	s_waitcnt lgkmcnt(1)
	v_add_u32_e32 v156, v156, v18
	v_lshlrev_b64 v[156:157], 3, v[156:157]
	v_add_co_u32_e32 v156, vcc, s86, v156
	v_addc_co_u32_e32 v157, vcc, v158, v157, vcc
	s_waitcnt lgkmcnt(0)
	global_store_dwordx2 v[156:157], v[56:57], off
	s_or_b64 exec, exec, s[40:41]
	s_and_saveexec_b64 s[40:41], s[70:71]
	s_cbranch_execnz .LBB1016_1261
.LBB1016_1242:                          ;   in Loop: Header=BB1016_1040 Depth=2
	s_or_b64 exec, exec, s[40:41]
	s_and_saveexec_b64 s[40:41], s[72:73]
	s_cbranch_execz .LBB1016_1244
.LBB1016_1243:                          ;   in Loop: Header=BB1016_1040 Depth=2
	v_lshlrev_b32_e32 v56, 2, v134
	ds_read_b32 v156, v56
	ds_read_b64 v[56:57], v5 offset:32768
	v_mov_b32_e32 v157, v4
	v_mov_b32_e32 v5, s87
	s_waitcnt lgkmcnt(1)
	v_add_u32_e32 v156, v156, v22
	v_lshlrev_b64 v[156:157], 3, v[156:157]
	v_add_co_u32_e32 v156, vcc, s86, v156
	v_addc_co_u32_e32 v157, vcc, v5, v157, vcc
	s_waitcnt lgkmcnt(0)
	global_store_dwordx2 v[156:157], v[56:57], off
.LBB1016_1244:                          ;   in Loop: Header=BB1016_1040 Depth=2
	s_or_b64 exec, exec, s[40:41]
	s_barrier
	s_and_saveexec_b64 s[40:41], s[4:5]
	s_cbranch_execz .LBB1016_1039
; %bb.1245:                             ;   in Loop: Header=BB1016_1040 Depth=2
	ds_read_b32 v5, v3
	s_waitcnt lgkmcnt(0)
	v_add3_u32 v5, v154, v155, v5
	ds_write_b32 v3, v5
	s_branch .LBB1016_1039
.LBB1016_1246:                          ;   in Loop: Header=BB1016_1040 Depth=2
	s_or_b64 exec, exec, s[82:83]
	v_add_u32_e32 v5, v76, v77
	s_and_saveexec_b64 s[40:41], s[42:43]
	s_cbranch_execz .LBB1016_1228
.LBB1016_1247:                          ;   in Loop: Header=BB1016_1040 Depth=2
	v_lshlrev_b32_e32 v56, 2, v150
	ds_read_b32 v156, v56
	ds_read_b64 v[56:57], v5 offset:2048
	v_mov_b32_e32 v157, v4
	v_mov_b32_e32 v158, s87
	s_waitcnt lgkmcnt(1)
	v_add_u32_e32 v156, v156, v7
	v_lshlrev_b64 v[156:157], 3, v[156:157]
	v_add_co_u32_e32 v156, vcc, s86, v156
	v_addc_co_u32_e32 v157, vcc, v158, v157, vcc
	s_waitcnt lgkmcnt(0)
	global_store_dwordx2 v[156:157], v[56:57], off
	s_or_b64 exec, exec, s[40:41]
	s_and_saveexec_b64 s[40:41], s[44:45]
	s_cbranch_execnz .LBB1016_1229
.LBB1016_1248:                          ;   in Loop: Header=BB1016_1040 Depth=2
	s_or_b64 exec, exec, s[40:41]
	s_and_saveexec_b64 s[40:41], s[46:47]
	s_cbranch_execz .LBB1016_1230
.LBB1016_1249:                          ;   in Loop: Header=BB1016_1040 Depth=2
	v_lshlrev_b32_e32 v56, 2, v147
	ds_read_b32 v156, v56
	ds_read_b64 v[56:57], v5 offset:6144
	v_mov_b32_e32 v157, v4
	v_mov_b32_e32 v158, s87
	s_waitcnt lgkmcnt(1)
	v_add_u32_e32 v156, v156, v15
	v_lshlrev_b64 v[156:157], 3, v[156:157]
	v_add_co_u32_e32 v156, vcc, s86, v156
	v_addc_co_u32_e32 v157, vcc, v158, v157, vcc
	s_waitcnt lgkmcnt(0)
	global_store_dwordx2 v[156:157], v[56:57], off
	s_or_b64 exec, exec, s[40:41]
	s_and_saveexec_b64 s[40:41], s[48:49]
	s_cbranch_execnz .LBB1016_1231
.LBB1016_1250:                          ;   in Loop: Header=BB1016_1040 Depth=2
	s_or_b64 exec, exec, s[40:41]
	s_and_saveexec_b64 s[40:41], s[50:51]
	s_cbranch_execz .LBB1016_1232
.LBB1016_1251:                          ;   in Loop: Header=BB1016_1040 Depth=2
	v_lshlrev_b32_e32 v56, 2, v145
	ds_read_b32 v156, v56
	ds_read_b64 v[56:57], v5 offset:10240
	v_mov_b32_e32 v157, v4
	v_mov_b32_e32 v158, s87
	s_waitcnt lgkmcnt(1)
	v_add_u32_e32 v156, v156, v19
	v_lshlrev_b64 v[156:157], 3, v[156:157]
	v_add_co_u32_e32 v156, vcc, s86, v156
	v_addc_co_u32_e32 v157, vcc, v158, v157, vcc
	s_waitcnt lgkmcnt(0)
	global_store_dwordx2 v[156:157], v[56:57], off
	s_or_b64 exec, exec, s[40:41]
	s_and_saveexec_b64 s[40:41], s[52:53]
	s_cbranch_execnz .LBB1016_1233
.LBB1016_1252:                          ;   in Loop: Header=BB1016_1040 Depth=2
	s_or_b64 exec, exec, s[40:41]
	s_and_saveexec_b64 s[40:41], s[54:55]
	s_cbranch_execz .LBB1016_1234
.LBB1016_1253:                          ;   in Loop: Header=BB1016_1040 Depth=2
	v_lshlrev_b32_e32 v56, 2, v143
	ds_read_b32 v156, v56
	ds_read_b64 v[56:57], v5 offset:14336
	v_mov_b32_e32 v157, v4
	v_mov_b32_e32 v158, s87
	s_waitcnt lgkmcnt(1)
	v_add_u32_e32 v156, v156, v23
	v_lshlrev_b64 v[156:157], 3, v[156:157]
	v_add_co_u32_e32 v156, vcc, s86, v156
	v_addc_co_u32_e32 v157, vcc, v158, v157, vcc
	s_waitcnt lgkmcnt(0)
	global_store_dwordx2 v[156:157], v[56:57], off
	s_or_b64 exec, exec, s[40:41]
	s_and_saveexec_b64 s[40:41], s[56:57]
	s_cbranch_execnz .LBB1016_1235
.LBB1016_1254:                          ;   in Loop: Header=BB1016_1040 Depth=2
	s_or_b64 exec, exec, s[40:41]
	s_and_saveexec_b64 s[40:41], s[58:59]
	s_cbranch_execz .LBB1016_1236
.LBB1016_1255:                          ;   in Loop: Header=BB1016_1040 Depth=2
	v_lshlrev_b32_e32 v56, 2, v141
	ds_read_b32 v156, v56
	ds_read_b64 v[56:57], v5 offset:18432
	v_mov_b32_e32 v157, v4
	v_mov_b32_e32 v158, s87
	s_waitcnt lgkmcnt(1)
	v_add_u32_e32 v156, v156, v8
	v_lshlrev_b64 v[156:157], 3, v[156:157]
	v_add_co_u32_e32 v156, vcc, s86, v156
	v_addc_co_u32_e32 v157, vcc, v158, v157, vcc
	s_waitcnt lgkmcnt(0)
	global_store_dwordx2 v[156:157], v[56:57], off
	s_or_b64 exec, exec, s[40:41]
	s_and_saveexec_b64 s[40:41], s[60:61]
	s_cbranch_execnz .LBB1016_1237
.LBB1016_1256:                          ;   in Loop: Header=BB1016_1040 Depth=2
	s_or_b64 exec, exec, s[40:41]
	s_and_saveexec_b64 s[40:41], s[62:63]
	s_cbranch_execz .LBB1016_1238
.LBB1016_1257:                          ;   in Loop: Header=BB1016_1040 Depth=2
	v_lshlrev_b32_e32 v56, 2, v139
	ds_read_b32 v156, v56
	ds_read_b64 v[56:57], v5 offset:22528
	v_mov_b32_e32 v157, v4
	v_mov_b32_e32 v158, s87
	s_waitcnt lgkmcnt(1)
	v_add_u32_e32 v156, v156, v12
	v_lshlrev_b64 v[156:157], 3, v[156:157]
	v_add_co_u32_e32 v156, vcc, s86, v156
	v_addc_co_u32_e32 v157, vcc, v158, v157, vcc
	s_waitcnt lgkmcnt(0)
	global_store_dwordx2 v[156:157], v[56:57], off
	s_or_b64 exec, exec, s[40:41]
	s_and_saveexec_b64 s[40:41], s[64:65]
	s_cbranch_execnz .LBB1016_1239
.LBB1016_1258:                          ;   in Loop: Header=BB1016_1040 Depth=2
	s_or_b64 exec, exec, s[40:41]
	s_and_saveexec_b64 s[40:41], s[66:67]
	s_cbranch_execz .LBB1016_1240
.LBB1016_1259:                          ;   in Loop: Header=BB1016_1040 Depth=2
	v_lshlrev_b32_e32 v56, 2, v137
	ds_read_b32 v156, v56
	ds_read_b64 v[56:57], v5 offset:26624
	v_mov_b32_e32 v157, v4
	v_mov_b32_e32 v158, s87
	s_waitcnt lgkmcnt(1)
	v_add_u32_e32 v156, v156, v16
	v_lshlrev_b64 v[156:157], 3, v[156:157]
	v_add_co_u32_e32 v156, vcc, s86, v156
	v_addc_co_u32_e32 v157, vcc, v158, v157, vcc
	s_waitcnt lgkmcnt(0)
	global_store_dwordx2 v[156:157], v[56:57], off
	s_or_b64 exec, exec, s[40:41]
	s_and_saveexec_b64 s[40:41], s[68:69]
	s_cbranch_execnz .LBB1016_1241
.LBB1016_1260:                          ;   in Loop: Header=BB1016_1040 Depth=2
	s_or_b64 exec, exec, s[40:41]
	s_and_saveexec_b64 s[40:41], s[70:71]
	s_cbranch_execz .LBB1016_1242
.LBB1016_1261:                          ;   in Loop: Header=BB1016_1040 Depth=2
	v_lshlrev_b32_e32 v56, 2, v135
	ds_read_b32 v156, v56
	ds_read_b64 v[56:57], v5 offset:30720
	v_mov_b32_e32 v157, v4
	v_mov_b32_e32 v158, s87
	s_waitcnt lgkmcnt(1)
	v_add_u32_e32 v156, v156, v20
	v_lshlrev_b64 v[156:157], 3, v[156:157]
	v_add_co_u32_e32 v156, vcc, s86, v156
	v_addc_co_u32_e32 v157, vcc, v158, v157, vcc
	s_waitcnt lgkmcnt(0)
	global_store_dwordx2 v[156:157], v[56:57], off
	s_or_b64 exec, exec, s[40:41]
	s_and_saveexec_b64 s[40:41], s[72:73]
	s_cbranch_execnz .LBB1016_1243
	s_branch .LBB1016_1244
.LBB1016_1262:
	s_endpgm
	.section	.rodata,"a",@progbits
	.p2align	6, 0x0
	.amdhsa_kernel _ZN7rocprim17ROCPRIM_400000_NS6detail17trampoline_kernelINS0_14default_configENS1_36segmented_radix_sort_config_selectorIslEEZNS1_25segmented_radix_sort_implIS3_Lb0EPKsPsPKlPlN2at6native12_GLOBAL__N_18offset_tEEE10hipError_tPvRmT1_PNSt15iterator_traitsISK_E10value_typeET2_T3_PNSL_ISQ_E10value_typeET4_jRbjT5_SW_jjP12ihipStream_tbEUlT_E_NS1_11comp_targetILNS1_3genE4ELNS1_11target_archE910ELNS1_3gpuE8ELNS1_3repE0EEENS1_30default_config_static_selectorELNS0_4arch9wavefront6targetE1EEEvSK_
		.amdhsa_group_segment_fixed_size 35336
		.amdhsa_private_segment_fixed_size 184
		.amdhsa_kernarg_size 352
		.amdhsa_user_sgpr_count 8
		.amdhsa_user_sgpr_private_segment_buffer 1
		.amdhsa_user_sgpr_dispatch_ptr 0
		.amdhsa_user_sgpr_queue_ptr 0
		.amdhsa_user_sgpr_kernarg_segment_ptr 1
		.amdhsa_user_sgpr_dispatch_id 0
		.amdhsa_user_sgpr_flat_scratch_init 1
		.amdhsa_user_sgpr_kernarg_preload_length 0
		.amdhsa_user_sgpr_kernarg_preload_offset 0
		.amdhsa_user_sgpr_private_segment_size 0
		.amdhsa_uses_dynamic_stack 0
		.amdhsa_system_sgpr_private_segment_wavefront_offset 1
		.amdhsa_system_sgpr_workgroup_id_x 1
		.amdhsa_system_sgpr_workgroup_id_y 1
		.amdhsa_system_sgpr_workgroup_id_z 0
		.amdhsa_system_sgpr_workgroup_info 0
		.amdhsa_system_vgpr_workitem_id 2
		.amdhsa_next_free_vgpr 280
		.amdhsa_next_free_sgpr 100
		.amdhsa_accum_offset 248
		.amdhsa_reserve_vcc 1
		.amdhsa_reserve_flat_scratch 1
		.amdhsa_float_round_mode_32 0
		.amdhsa_float_round_mode_16_64 0
		.amdhsa_float_denorm_mode_32 3
		.amdhsa_float_denorm_mode_16_64 3
		.amdhsa_dx10_clamp 1
		.amdhsa_ieee_mode 1
		.amdhsa_fp16_overflow 0
		.amdhsa_tg_split 0
		.amdhsa_exception_fp_ieee_invalid_op 0
		.amdhsa_exception_fp_denorm_src 0
		.amdhsa_exception_fp_ieee_div_zero 0
		.amdhsa_exception_fp_ieee_overflow 0
		.amdhsa_exception_fp_ieee_underflow 0
		.amdhsa_exception_fp_ieee_inexact 0
		.amdhsa_exception_int_div_zero 0
	.end_amdhsa_kernel
	.section	.text._ZN7rocprim17ROCPRIM_400000_NS6detail17trampoline_kernelINS0_14default_configENS1_36segmented_radix_sort_config_selectorIslEEZNS1_25segmented_radix_sort_implIS3_Lb0EPKsPsPKlPlN2at6native12_GLOBAL__N_18offset_tEEE10hipError_tPvRmT1_PNSt15iterator_traitsISK_E10value_typeET2_T3_PNSL_ISQ_E10value_typeET4_jRbjT5_SW_jjP12ihipStream_tbEUlT_E_NS1_11comp_targetILNS1_3genE4ELNS1_11target_archE910ELNS1_3gpuE8ELNS1_3repE0EEENS1_30default_config_static_selectorELNS0_4arch9wavefront6targetE1EEEvSK_,"axG",@progbits,_ZN7rocprim17ROCPRIM_400000_NS6detail17trampoline_kernelINS0_14default_configENS1_36segmented_radix_sort_config_selectorIslEEZNS1_25segmented_radix_sort_implIS3_Lb0EPKsPsPKlPlN2at6native12_GLOBAL__N_18offset_tEEE10hipError_tPvRmT1_PNSt15iterator_traitsISK_E10value_typeET2_T3_PNSL_ISQ_E10value_typeET4_jRbjT5_SW_jjP12ihipStream_tbEUlT_E_NS1_11comp_targetILNS1_3genE4ELNS1_11target_archE910ELNS1_3gpuE8ELNS1_3repE0EEENS1_30default_config_static_selectorELNS0_4arch9wavefront6targetE1EEEvSK_,comdat
.Lfunc_end1016:
	.size	_ZN7rocprim17ROCPRIM_400000_NS6detail17trampoline_kernelINS0_14default_configENS1_36segmented_radix_sort_config_selectorIslEEZNS1_25segmented_radix_sort_implIS3_Lb0EPKsPsPKlPlN2at6native12_GLOBAL__N_18offset_tEEE10hipError_tPvRmT1_PNSt15iterator_traitsISK_E10value_typeET2_T3_PNSL_ISQ_E10value_typeET4_jRbjT5_SW_jjP12ihipStream_tbEUlT_E_NS1_11comp_targetILNS1_3genE4ELNS1_11target_archE910ELNS1_3gpuE8ELNS1_3repE0EEENS1_30default_config_static_selectorELNS0_4arch9wavefront6targetE1EEEvSK_, .Lfunc_end1016-_ZN7rocprim17ROCPRIM_400000_NS6detail17trampoline_kernelINS0_14default_configENS1_36segmented_radix_sort_config_selectorIslEEZNS1_25segmented_radix_sort_implIS3_Lb0EPKsPsPKlPlN2at6native12_GLOBAL__N_18offset_tEEE10hipError_tPvRmT1_PNSt15iterator_traitsISK_E10value_typeET2_T3_PNSL_ISQ_E10value_typeET4_jRbjT5_SW_jjP12ihipStream_tbEUlT_E_NS1_11comp_targetILNS1_3genE4ELNS1_11target_archE910ELNS1_3gpuE8ELNS1_3repE0EEENS1_30default_config_static_selectorELNS0_4arch9wavefront6targetE1EEEvSK_
                                        ; -- End function
	.section	.AMDGPU.csdata,"",@progbits
; Kernel info:
; codeLenInByte = 66020
; NumSgprs: 106
; NumVgprs: 248
; NumAgprs: 32
; TotalNumVgprs: 280
; ScratchSize: 184
; MemoryBound: 0
; FloatMode: 240
; IeeeMode: 1
; LDSByteSize: 35336 bytes/workgroup (compile time only)
; SGPRBlocks: 13
; VGPRBlocks: 34
; NumSGPRsForWavesPerEU: 106
; NumVGPRsForWavesPerEU: 280
; AccumOffset: 248
; Occupancy: 1
; WaveLimiterHint : 1
; COMPUTE_PGM_RSRC2:SCRATCH_EN: 1
; COMPUTE_PGM_RSRC2:USER_SGPR: 8
; COMPUTE_PGM_RSRC2:TRAP_HANDLER: 0
; COMPUTE_PGM_RSRC2:TGID_X_EN: 1
; COMPUTE_PGM_RSRC2:TGID_Y_EN: 1
; COMPUTE_PGM_RSRC2:TGID_Z_EN: 0
; COMPUTE_PGM_RSRC2:TIDIG_COMP_CNT: 2
; COMPUTE_PGM_RSRC3_GFX90A:ACCUM_OFFSET: 61
; COMPUTE_PGM_RSRC3_GFX90A:TG_SPLIT: 0
	.section	.text._ZN7rocprim17ROCPRIM_400000_NS6detail17trampoline_kernelINS0_14default_configENS1_36segmented_radix_sort_config_selectorIslEEZNS1_25segmented_radix_sort_implIS3_Lb0EPKsPsPKlPlN2at6native12_GLOBAL__N_18offset_tEEE10hipError_tPvRmT1_PNSt15iterator_traitsISK_E10value_typeET2_T3_PNSL_ISQ_E10value_typeET4_jRbjT5_SW_jjP12ihipStream_tbEUlT_E_NS1_11comp_targetILNS1_3genE3ELNS1_11target_archE908ELNS1_3gpuE7ELNS1_3repE0EEENS1_30default_config_static_selectorELNS0_4arch9wavefront6targetE1EEEvSK_,"axG",@progbits,_ZN7rocprim17ROCPRIM_400000_NS6detail17trampoline_kernelINS0_14default_configENS1_36segmented_radix_sort_config_selectorIslEEZNS1_25segmented_radix_sort_implIS3_Lb0EPKsPsPKlPlN2at6native12_GLOBAL__N_18offset_tEEE10hipError_tPvRmT1_PNSt15iterator_traitsISK_E10value_typeET2_T3_PNSL_ISQ_E10value_typeET4_jRbjT5_SW_jjP12ihipStream_tbEUlT_E_NS1_11comp_targetILNS1_3genE3ELNS1_11target_archE908ELNS1_3gpuE7ELNS1_3repE0EEENS1_30default_config_static_selectorELNS0_4arch9wavefront6targetE1EEEvSK_,comdat
	.globl	_ZN7rocprim17ROCPRIM_400000_NS6detail17trampoline_kernelINS0_14default_configENS1_36segmented_radix_sort_config_selectorIslEEZNS1_25segmented_radix_sort_implIS3_Lb0EPKsPsPKlPlN2at6native12_GLOBAL__N_18offset_tEEE10hipError_tPvRmT1_PNSt15iterator_traitsISK_E10value_typeET2_T3_PNSL_ISQ_E10value_typeET4_jRbjT5_SW_jjP12ihipStream_tbEUlT_E_NS1_11comp_targetILNS1_3genE3ELNS1_11target_archE908ELNS1_3gpuE7ELNS1_3repE0EEENS1_30default_config_static_selectorELNS0_4arch9wavefront6targetE1EEEvSK_ ; -- Begin function _ZN7rocprim17ROCPRIM_400000_NS6detail17trampoline_kernelINS0_14default_configENS1_36segmented_radix_sort_config_selectorIslEEZNS1_25segmented_radix_sort_implIS3_Lb0EPKsPsPKlPlN2at6native12_GLOBAL__N_18offset_tEEE10hipError_tPvRmT1_PNSt15iterator_traitsISK_E10value_typeET2_T3_PNSL_ISQ_E10value_typeET4_jRbjT5_SW_jjP12ihipStream_tbEUlT_E_NS1_11comp_targetILNS1_3genE3ELNS1_11target_archE908ELNS1_3gpuE7ELNS1_3repE0EEENS1_30default_config_static_selectorELNS0_4arch9wavefront6targetE1EEEvSK_
	.p2align	8
	.type	_ZN7rocprim17ROCPRIM_400000_NS6detail17trampoline_kernelINS0_14default_configENS1_36segmented_radix_sort_config_selectorIslEEZNS1_25segmented_radix_sort_implIS3_Lb0EPKsPsPKlPlN2at6native12_GLOBAL__N_18offset_tEEE10hipError_tPvRmT1_PNSt15iterator_traitsISK_E10value_typeET2_T3_PNSL_ISQ_E10value_typeET4_jRbjT5_SW_jjP12ihipStream_tbEUlT_E_NS1_11comp_targetILNS1_3genE3ELNS1_11target_archE908ELNS1_3gpuE7ELNS1_3repE0EEENS1_30default_config_static_selectorELNS0_4arch9wavefront6targetE1EEEvSK_,@function
_ZN7rocprim17ROCPRIM_400000_NS6detail17trampoline_kernelINS0_14default_configENS1_36segmented_radix_sort_config_selectorIslEEZNS1_25segmented_radix_sort_implIS3_Lb0EPKsPsPKlPlN2at6native12_GLOBAL__N_18offset_tEEE10hipError_tPvRmT1_PNSt15iterator_traitsISK_E10value_typeET2_T3_PNSL_ISQ_E10value_typeET4_jRbjT5_SW_jjP12ihipStream_tbEUlT_E_NS1_11comp_targetILNS1_3genE3ELNS1_11target_archE908ELNS1_3gpuE7ELNS1_3repE0EEENS1_30default_config_static_selectorELNS0_4arch9wavefront6targetE1EEEvSK_: ; @_ZN7rocprim17ROCPRIM_400000_NS6detail17trampoline_kernelINS0_14default_configENS1_36segmented_radix_sort_config_selectorIslEEZNS1_25segmented_radix_sort_implIS3_Lb0EPKsPsPKlPlN2at6native12_GLOBAL__N_18offset_tEEE10hipError_tPvRmT1_PNSt15iterator_traitsISK_E10value_typeET2_T3_PNSL_ISQ_E10value_typeET4_jRbjT5_SW_jjP12ihipStream_tbEUlT_E_NS1_11comp_targetILNS1_3genE3ELNS1_11target_archE908ELNS1_3gpuE7ELNS1_3repE0EEENS1_30default_config_static_selectorELNS0_4arch9wavefront6targetE1EEEvSK_
; %bb.0:
	.section	.rodata,"a",@progbits
	.p2align	6, 0x0
	.amdhsa_kernel _ZN7rocprim17ROCPRIM_400000_NS6detail17trampoline_kernelINS0_14default_configENS1_36segmented_radix_sort_config_selectorIslEEZNS1_25segmented_radix_sort_implIS3_Lb0EPKsPsPKlPlN2at6native12_GLOBAL__N_18offset_tEEE10hipError_tPvRmT1_PNSt15iterator_traitsISK_E10value_typeET2_T3_PNSL_ISQ_E10value_typeET4_jRbjT5_SW_jjP12ihipStream_tbEUlT_E_NS1_11comp_targetILNS1_3genE3ELNS1_11target_archE908ELNS1_3gpuE7ELNS1_3repE0EEENS1_30default_config_static_selectorELNS0_4arch9wavefront6targetE1EEEvSK_
		.amdhsa_group_segment_fixed_size 0
		.amdhsa_private_segment_fixed_size 0
		.amdhsa_kernarg_size 96
		.amdhsa_user_sgpr_count 6
		.amdhsa_user_sgpr_private_segment_buffer 1
		.amdhsa_user_sgpr_dispatch_ptr 0
		.amdhsa_user_sgpr_queue_ptr 0
		.amdhsa_user_sgpr_kernarg_segment_ptr 1
		.amdhsa_user_sgpr_dispatch_id 0
		.amdhsa_user_sgpr_flat_scratch_init 0
		.amdhsa_user_sgpr_kernarg_preload_length 0
		.amdhsa_user_sgpr_kernarg_preload_offset 0
		.amdhsa_user_sgpr_private_segment_size 0
		.amdhsa_uses_dynamic_stack 0
		.amdhsa_system_sgpr_private_segment_wavefront_offset 0
		.amdhsa_system_sgpr_workgroup_id_x 1
		.amdhsa_system_sgpr_workgroup_id_y 0
		.amdhsa_system_sgpr_workgroup_id_z 0
		.amdhsa_system_sgpr_workgroup_info 0
		.amdhsa_system_vgpr_workitem_id 0
		.amdhsa_next_free_vgpr 1
		.amdhsa_next_free_sgpr 0
		.amdhsa_accum_offset 4
		.amdhsa_reserve_vcc 0
		.amdhsa_reserve_flat_scratch 0
		.amdhsa_float_round_mode_32 0
		.amdhsa_float_round_mode_16_64 0
		.amdhsa_float_denorm_mode_32 3
		.amdhsa_float_denorm_mode_16_64 3
		.amdhsa_dx10_clamp 1
		.amdhsa_ieee_mode 1
		.amdhsa_fp16_overflow 0
		.amdhsa_tg_split 0
		.amdhsa_exception_fp_ieee_invalid_op 0
		.amdhsa_exception_fp_denorm_src 0
		.amdhsa_exception_fp_ieee_div_zero 0
		.amdhsa_exception_fp_ieee_overflow 0
		.amdhsa_exception_fp_ieee_underflow 0
		.amdhsa_exception_fp_ieee_inexact 0
		.amdhsa_exception_int_div_zero 0
	.end_amdhsa_kernel
	.section	.text._ZN7rocprim17ROCPRIM_400000_NS6detail17trampoline_kernelINS0_14default_configENS1_36segmented_radix_sort_config_selectorIslEEZNS1_25segmented_radix_sort_implIS3_Lb0EPKsPsPKlPlN2at6native12_GLOBAL__N_18offset_tEEE10hipError_tPvRmT1_PNSt15iterator_traitsISK_E10value_typeET2_T3_PNSL_ISQ_E10value_typeET4_jRbjT5_SW_jjP12ihipStream_tbEUlT_E_NS1_11comp_targetILNS1_3genE3ELNS1_11target_archE908ELNS1_3gpuE7ELNS1_3repE0EEENS1_30default_config_static_selectorELNS0_4arch9wavefront6targetE1EEEvSK_,"axG",@progbits,_ZN7rocprim17ROCPRIM_400000_NS6detail17trampoline_kernelINS0_14default_configENS1_36segmented_radix_sort_config_selectorIslEEZNS1_25segmented_radix_sort_implIS3_Lb0EPKsPsPKlPlN2at6native12_GLOBAL__N_18offset_tEEE10hipError_tPvRmT1_PNSt15iterator_traitsISK_E10value_typeET2_T3_PNSL_ISQ_E10value_typeET4_jRbjT5_SW_jjP12ihipStream_tbEUlT_E_NS1_11comp_targetILNS1_3genE3ELNS1_11target_archE908ELNS1_3gpuE7ELNS1_3repE0EEENS1_30default_config_static_selectorELNS0_4arch9wavefront6targetE1EEEvSK_,comdat
.Lfunc_end1017:
	.size	_ZN7rocprim17ROCPRIM_400000_NS6detail17trampoline_kernelINS0_14default_configENS1_36segmented_radix_sort_config_selectorIslEEZNS1_25segmented_radix_sort_implIS3_Lb0EPKsPsPKlPlN2at6native12_GLOBAL__N_18offset_tEEE10hipError_tPvRmT1_PNSt15iterator_traitsISK_E10value_typeET2_T3_PNSL_ISQ_E10value_typeET4_jRbjT5_SW_jjP12ihipStream_tbEUlT_E_NS1_11comp_targetILNS1_3genE3ELNS1_11target_archE908ELNS1_3gpuE7ELNS1_3repE0EEENS1_30default_config_static_selectorELNS0_4arch9wavefront6targetE1EEEvSK_, .Lfunc_end1017-_ZN7rocprim17ROCPRIM_400000_NS6detail17trampoline_kernelINS0_14default_configENS1_36segmented_radix_sort_config_selectorIslEEZNS1_25segmented_radix_sort_implIS3_Lb0EPKsPsPKlPlN2at6native12_GLOBAL__N_18offset_tEEE10hipError_tPvRmT1_PNSt15iterator_traitsISK_E10value_typeET2_T3_PNSL_ISQ_E10value_typeET4_jRbjT5_SW_jjP12ihipStream_tbEUlT_E_NS1_11comp_targetILNS1_3genE3ELNS1_11target_archE908ELNS1_3gpuE7ELNS1_3repE0EEENS1_30default_config_static_selectorELNS0_4arch9wavefront6targetE1EEEvSK_
                                        ; -- End function
	.section	.AMDGPU.csdata,"",@progbits
; Kernel info:
; codeLenInByte = 0
; NumSgprs: 4
; NumVgprs: 0
; NumAgprs: 0
; TotalNumVgprs: 0
; ScratchSize: 0
; MemoryBound: 0
; FloatMode: 240
; IeeeMode: 1
; LDSByteSize: 0 bytes/workgroup (compile time only)
; SGPRBlocks: 0
; VGPRBlocks: 0
; NumSGPRsForWavesPerEU: 4
; NumVGPRsForWavesPerEU: 1
; AccumOffset: 4
; Occupancy: 8
; WaveLimiterHint : 0
; COMPUTE_PGM_RSRC2:SCRATCH_EN: 0
; COMPUTE_PGM_RSRC2:USER_SGPR: 6
; COMPUTE_PGM_RSRC2:TRAP_HANDLER: 0
; COMPUTE_PGM_RSRC2:TGID_X_EN: 1
; COMPUTE_PGM_RSRC2:TGID_Y_EN: 0
; COMPUTE_PGM_RSRC2:TGID_Z_EN: 0
; COMPUTE_PGM_RSRC2:TIDIG_COMP_CNT: 0
; COMPUTE_PGM_RSRC3_GFX90A:ACCUM_OFFSET: 0
; COMPUTE_PGM_RSRC3_GFX90A:TG_SPLIT: 0
	.section	.text._ZN7rocprim17ROCPRIM_400000_NS6detail17trampoline_kernelINS0_14default_configENS1_36segmented_radix_sort_config_selectorIslEEZNS1_25segmented_radix_sort_implIS3_Lb0EPKsPsPKlPlN2at6native12_GLOBAL__N_18offset_tEEE10hipError_tPvRmT1_PNSt15iterator_traitsISK_E10value_typeET2_T3_PNSL_ISQ_E10value_typeET4_jRbjT5_SW_jjP12ihipStream_tbEUlT_E_NS1_11comp_targetILNS1_3genE2ELNS1_11target_archE906ELNS1_3gpuE6ELNS1_3repE0EEENS1_30default_config_static_selectorELNS0_4arch9wavefront6targetE1EEEvSK_,"axG",@progbits,_ZN7rocprim17ROCPRIM_400000_NS6detail17trampoline_kernelINS0_14default_configENS1_36segmented_radix_sort_config_selectorIslEEZNS1_25segmented_radix_sort_implIS3_Lb0EPKsPsPKlPlN2at6native12_GLOBAL__N_18offset_tEEE10hipError_tPvRmT1_PNSt15iterator_traitsISK_E10value_typeET2_T3_PNSL_ISQ_E10value_typeET4_jRbjT5_SW_jjP12ihipStream_tbEUlT_E_NS1_11comp_targetILNS1_3genE2ELNS1_11target_archE906ELNS1_3gpuE6ELNS1_3repE0EEENS1_30default_config_static_selectorELNS0_4arch9wavefront6targetE1EEEvSK_,comdat
	.globl	_ZN7rocprim17ROCPRIM_400000_NS6detail17trampoline_kernelINS0_14default_configENS1_36segmented_radix_sort_config_selectorIslEEZNS1_25segmented_radix_sort_implIS3_Lb0EPKsPsPKlPlN2at6native12_GLOBAL__N_18offset_tEEE10hipError_tPvRmT1_PNSt15iterator_traitsISK_E10value_typeET2_T3_PNSL_ISQ_E10value_typeET4_jRbjT5_SW_jjP12ihipStream_tbEUlT_E_NS1_11comp_targetILNS1_3genE2ELNS1_11target_archE906ELNS1_3gpuE6ELNS1_3repE0EEENS1_30default_config_static_selectorELNS0_4arch9wavefront6targetE1EEEvSK_ ; -- Begin function _ZN7rocprim17ROCPRIM_400000_NS6detail17trampoline_kernelINS0_14default_configENS1_36segmented_radix_sort_config_selectorIslEEZNS1_25segmented_radix_sort_implIS3_Lb0EPKsPsPKlPlN2at6native12_GLOBAL__N_18offset_tEEE10hipError_tPvRmT1_PNSt15iterator_traitsISK_E10value_typeET2_T3_PNSL_ISQ_E10value_typeET4_jRbjT5_SW_jjP12ihipStream_tbEUlT_E_NS1_11comp_targetILNS1_3genE2ELNS1_11target_archE906ELNS1_3gpuE6ELNS1_3repE0EEENS1_30default_config_static_selectorELNS0_4arch9wavefront6targetE1EEEvSK_
	.p2align	8
	.type	_ZN7rocprim17ROCPRIM_400000_NS6detail17trampoline_kernelINS0_14default_configENS1_36segmented_radix_sort_config_selectorIslEEZNS1_25segmented_radix_sort_implIS3_Lb0EPKsPsPKlPlN2at6native12_GLOBAL__N_18offset_tEEE10hipError_tPvRmT1_PNSt15iterator_traitsISK_E10value_typeET2_T3_PNSL_ISQ_E10value_typeET4_jRbjT5_SW_jjP12ihipStream_tbEUlT_E_NS1_11comp_targetILNS1_3genE2ELNS1_11target_archE906ELNS1_3gpuE6ELNS1_3repE0EEENS1_30default_config_static_selectorELNS0_4arch9wavefront6targetE1EEEvSK_,@function
_ZN7rocprim17ROCPRIM_400000_NS6detail17trampoline_kernelINS0_14default_configENS1_36segmented_radix_sort_config_selectorIslEEZNS1_25segmented_radix_sort_implIS3_Lb0EPKsPsPKlPlN2at6native12_GLOBAL__N_18offset_tEEE10hipError_tPvRmT1_PNSt15iterator_traitsISK_E10value_typeET2_T3_PNSL_ISQ_E10value_typeET4_jRbjT5_SW_jjP12ihipStream_tbEUlT_E_NS1_11comp_targetILNS1_3genE2ELNS1_11target_archE906ELNS1_3gpuE6ELNS1_3repE0EEENS1_30default_config_static_selectorELNS0_4arch9wavefront6targetE1EEEvSK_: ; @_ZN7rocprim17ROCPRIM_400000_NS6detail17trampoline_kernelINS0_14default_configENS1_36segmented_radix_sort_config_selectorIslEEZNS1_25segmented_radix_sort_implIS3_Lb0EPKsPsPKlPlN2at6native12_GLOBAL__N_18offset_tEEE10hipError_tPvRmT1_PNSt15iterator_traitsISK_E10value_typeET2_T3_PNSL_ISQ_E10value_typeET4_jRbjT5_SW_jjP12ihipStream_tbEUlT_E_NS1_11comp_targetILNS1_3genE2ELNS1_11target_archE906ELNS1_3gpuE6ELNS1_3repE0EEENS1_30default_config_static_selectorELNS0_4arch9wavefront6targetE1EEEvSK_
; %bb.0:
	.section	.rodata,"a",@progbits
	.p2align	6, 0x0
	.amdhsa_kernel _ZN7rocprim17ROCPRIM_400000_NS6detail17trampoline_kernelINS0_14default_configENS1_36segmented_radix_sort_config_selectorIslEEZNS1_25segmented_radix_sort_implIS3_Lb0EPKsPsPKlPlN2at6native12_GLOBAL__N_18offset_tEEE10hipError_tPvRmT1_PNSt15iterator_traitsISK_E10value_typeET2_T3_PNSL_ISQ_E10value_typeET4_jRbjT5_SW_jjP12ihipStream_tbEUlT_E_NS1_11comp_targetILNS1_3genE2ELNS1_11target_archE906ELNS1_3gpuE6ELNS1_3repE0EEENS1_30default_config_static_selectorELNS0_4arch9wavefront6targetE1EEEvSK_
		.amdhsa_group_segment_fixed_size 0
		.amdhsa_private_segment_fixed_size 0
		.amdhsa_kernarg_size 96
		.amdhsa_user_sgpr_count 6
		.amdhsa_user_sgpr_private_segment_buffer 1
		.amdhsa_user_sgpr_dispatch_ptr 0
		.amdhsa_user_sgpr_queue_ptr 0
		.amdhsa_user_sgpr_kernarg_segment_ptr 1
		.amdhsa_user_sgpr_dispatch_id 0
		.amdhsa_user_sgpr_flat_scratch_init 0
		.amdhsa_user_sgpr_kernarg_preload_length 0
		.amdhsa_user_sgpr_kernarg_preload_offset 0
		.amdhsa_user_sgpr_private_segment_size 0
		.amdhsa_uses_dynamic_stack 0
		.amdhsa_system_sgpr_private_segment_wavefront_offset 0
		.amdhsa_system_sgpr_workgroup_id_x 1
		.amdhsa_system_sgpr_workgroup_id_y 0
		.amdhsa_system_sgpr_workgroup_id_z 0
		.amdhsa_system_sgpr_workgroup_info 0
		.amdhsa_system_vgpr_workitem_id 0
		.amdhsa_next_free_vgpr 1
		.amdhsa_next_free_sgpr 0
		.amdhsa_accum_offset 4
		.amdhsa_reserve_vcc 0
		.amdhsa_reserve_flat_scratch 0
		.amdhsa_float_round_mode_32 0
		.amdhsa_float_round_mode_16_64 0
		.amdhsa_float_denorm_mode_32 3
		.amdhsa_float_denorm_mode_16_64 3
		.amdhsa_dx10_clamp 1
		.amdhsa_ieee_mode 1
		.amdhsa_fp16_overflow 0
		.amdhsa_tg_split 0
		.amdhsa_exception_fp_ieee_invalid_op 0
		.amdhsa_exception_fp_denorm_src 0
		.amdhsa_exception_fp_ieee_div_zero 0
		.amdhsa_exception_fp_ieee_overflow 0
		.amdhsa_exception_fp_ieee_underflow 0
		.amdhsa_exception_fp_ieee_inexact 0
		.amdhsa_exception_int_div_zero 0
	.end_amdhsa_kernel
	.section	.text._ZN7rocprim17ROCPRIM_400000_NS6detail17trampoline_kernelINS0_14default_configENS1_36segmented_radix_sort_config_selectorIslEEZNS1_25segmented_radix_sort_implIS3_Lb0EPKsPsPKlPlN2at6native12_GLOBAL__N_18offset_tEEE10hipError_tPvRmT1_PNSt15iterator_traitsISK_E10value_typeET2_T3_PNSL_ISQ_E10value_typeET4_jRbjT5_SW_jjP12ihipStream_tbEUlT_E_NS1_11comp_targetILNS1_3genE2ELNS1_11target_archE906ELNS1_3gpuE6ELNS1_3repE0EEENS1_30default_config_static_selectorELNS0_4arch9wavefront6targetE1EEEvSK_,"axG",@progbits,_ZN7rocprim17ROCPRIM_400000_NS6detail17trampoline_kernelINS0_14default_configENS1_36segmented_radix_sort_config_selectorIslEEZNS1_25segmented_radix_sort_implIS3_Lb0EPKsPsPKlPlN2at6native12_GLOBAL__N_18offset_tEEE10hipError_tPvRmT1_PNSt15iterator_traitsISK_E10value_typeET2_T3_PNSL_ISQ_E10value_typeET4_jRbjT5_SW_jjP12ihipStream_tbEUlT_E_NS1_11comp_targetILNS1_3genE2ELNS1_11target_archE906ELNS1_3gpuE6ELNS1_3repE0EEENS1_30default_config_static_selectorELNS0_4arch9wavefront6targetE1EEEvSK_,comdat
.Lfunc_end1018:
	.size	_ZN7rocprim17ROCPRIM_400000_NS6detail17trampoline_kernelINS0_14default_configENS1_36segmented_radix_sort_config_selectorIslEEZNS1_25segmented_radix_sort_implIS3_Lb0EPKsPsPKlPlN2at6native12_GLOBAL__N_18offset_tEEE10hipError_tPvRmT1_PNSt15iterator_traitsISK_E10value_typeET2_T3_PNSL_ISQ_E10value_typeET4_jRbjT5_SW_jjP12ihipStream_tbEUlT_E_NS1_11comp_targetILNS1_3genE2ELNS1_11target_archE906ELNS1_3gpuE6ELNS1_3repE0EEENS1_30default_config_static_selectorELNS0_4arch9wavefront6targetE1EEEvSK_, .Lfunc_end1018-_ZN7rocprim17ROCPRIM_400000_NS6detail17trampoline_kernelINS0_14default_configENS1_36segmented_radix_sort_config_selectorIslEEZNS1_25segmented_radix_sort_implIS3_Lb0EPKsPsPKlPlN2at6native12_GLOBAL__N_18offset_tEEE10hipError_tPvRmT1_PNSt15iterator_traitsISK_E10value_typeET2_T3_PNSL_ISQ_E10value_typeET4_jRbjT5_SW_jjP12ihipStream_tbEUlT_E_NS1_11comp_targetILNS1_3genE2ELNS1_11target_archE906ELNS1_3gpuE6ELNS1_3repE0EEENS1_30default_config_static_selectorELNS0_4arch9wavefront6targetE1EEEvSK_
                                        ; -- End function
	.section	.AMDGPU.csdata,"",@progbits
; Kernel info:
; codeLenInByte = 0
; NumSgprs: 4
; NumVgprs: 0
; NumAgprs: 0
; TotalNumVgprs: 0
; ScratchSize: 0
; MemoryBound: 0
; FloatMode: 240
; IeeeMode: 1
; LDSByteSize: 0 bytes/workgroup (compile time only)
; SGPRBlocks: 0
; VGPRBlocks: 0
; NumSGPRsForWavesPerEU: 4
; NumVGPRsForWavesPerEU: 1
; AccumOffset: 4
; Occupancy: 8
; WaveLimiterHint : 0
; COMPUTE_PGM_RSRC2:SCRATCH_EN: 0
; COMPUTE_PGM_RSRC2:USER_SGPR: 6
; COMPUTE_PGM_RSRC2:TRAP_HANDLER: 0
; COMPUTE_PGM_RSRC2:TGID_X_EN: 1
; COMPUTE_PGM_RSRC2:TGID_Y_EN: 0
; COMPUTE_PGM_RSRC2:TGID_Z_EN: 0
; COMPUTE_PGM_RSRC2:TIDIG_COMP_CNT: 0
; COMPUTE_PGM_RSRC3_GFX90A:ACCUM_OFFSET: 0
; COMPUTE_PGM_RSRC3_GFX90A:TG_SPLIT: 0
	.section	.text._ZN7rocprim17ROCPRIM_400000_NS6detail17trampoline_kernelINS0_14default_configENS1_36segmented_radix_sort_config_selectorIslEEZNS1_25segmented_radix_sort_implIS3_Lb0EPKsPsPKlPlN2at6native12_GLOBAL__N_18offset_tEEE10hipError_tPvRmT1_PNSt15iterator_traitsISK_E10value_typeET2_T3_PNSL_ISQ_E10value_typeET4_jRbjT5_SW_jjP12ihipStream_tbEUlT_E_NS1_11comp_targetILNS1_3genE10ELNS1_11target_archE1201ELNS1_3gpuE5ELNS1_3repE0EEENS1_30default_config_static_selectorELNS0_4arch9wavefront6targetE1EEEvSK_,"axG",@progbits,_ZN7rocprim17ROCPRIM_400000_NS6detail17trampoline_kernelINS0_14default_configENS1_36segmented_radix_sort_config_selectorIslEEZNS1_25segmented_radix_sort_implIS3_Lb0EPKsPsPKlPlN2at6native12_GLOBAL__N_18offset_tEEE10hipError_tPvRmT1_PNSt15iterator_traitsISK_E10value_typeET2_T3_PNSL_ISQ_E10value_typeET4_jRbjT5_SW_jjP12ihipStream_tbEUlT_E_NS1_11comp_targetILNS1_3genE10ELNS1_11target_archE1201ELNS1_3gpuE5ELNS1_3repE0EEENS1_30default_config_static_selectorELNS0_4arch9wavefront6targetE1EEEvSK_,comdat
	.globl	_ZN7rocprim17ROCPRIM_400000_NS6detail17trampoline_kernelINS0_14default_configENS1_36segmented_radix_sort_config_selectorIslEEZNS1_25segmented_radix_sort_implIS3_Lb0EPKsPsPKlPlN2at6native12_GLOBAL__N_18offset_tEEE10hipError_tPvRmT1_PNSt15iterator_traitsISK_E10value_typeET2_T3_PNSL_ISQ_E10value_typeET4_jRbjT5_SW_jjP12ihipStream_tbEUlT_E_NS1_11comp_targetILNS1_3genE10ELNS1_11target_archE1201ELNS1_3gpuE5ELNS1_3repE0EEENS1_30default_config_static_selectorELNS0_4arch9wavefront6targetE1EEEvSK_ ; -- Begin function _ZN7rocprim17ROCPRIM_400000_NS6detail17trampoline_kernelINS0_14default_configENS1_36segmented_radix_sort_config_selectorIslEEZNS1_25segmented_radix_sort_implIS3_Lb0EPKsPsPKlPlN2at6native12_GLOBAL__N_18offset_tEEE10hipError_tPvRmT1_PNSt15iterator_traitsISK_E10value_typeET2_T3_PNSL_ISQ_E10value_typeET4_jRbjT5_SW_jjP12ihipStream_tbEUlT_E_NS1_11comp_targetILNS1_3genE10ELNS1_11target_archE1201ELNS1_3gpuE5ELNS1_3repE0EEENS1_30default_config_static_selectorELNS0_4arch9wavefront6targetE1EEEvSK_
	.p2align	8
	.type	_ZN7rocprim17ROCPRIM_400000_NS6detail17trampoline_kernelINS0_14default_configENS1_36segmented_radix_sort_config_selectorIslEEZNS1_25segmented_radix_sort_implIS3_Lb0EPKsPsPKlPlN2at6native12_GLOBAL__N_18offset_tEEE10hipError_tPvRmT1_PNSt15iterator_traitsISK_E10value_typeET2_T3_PNSL_ISQ_E10value_typeET4_jRbjT5_SW_jjP12ihipStream_tbEUlT_E_NS1_11comp_targetILNS1_3genE10ELNS1_11target_archE1201ELNS1_3gpuE5ELNS1_3repE0EEENS1_30default_config_static_selectorELNS0_4arch9wavefront6targetE1EEEvSK_,@function
_ZN7rocprim17ROCPRIM_400000_NS6detail17trampoline_kernelINS0_14default_configENS1_36segmented_radix_sort_config_selectorIslEEZNS1_25segmented_radix_sort_implIS3_Lb0EPKsPsPKlPlN2at6native12_GLOBAL__N_18offset_tEEE10hipError_tPvRmT1_PNSt15iterator_traitsISK_E10value_typeET2_T3_PNSL_ISQ_E10value_typeET4_jRbjT5_SW_jjP12ihipStream_tbEUlT_E_NS1_11comp_targetILNS1_3genE10ELNS1_11target_archE1201ELNS1_3gpuE5ELNS1_3repE0EEENS1_30default_config_static_selectorELNS0_4arch9wavefront6targetE1EEEvSK_: ; @_ZN7rocprim17ROCPRIM_400000_NS6detail17trampoline_kernelINS0_14default_configENS1_36segmented_radix_sort_config_selectorIslEEZNS1_25segmented_radix_sort_implIS3_Lb0EPKsPsPKlPlN2at6native12_GLOBAL__N_18offset_tEEE10hipError_tPvRmT1_PNSt15iterator_traitsISK_E10value_typeET2_T3_PNSL_ISQ_E10value_typeET4_jRbjT5_SW_jjP12ihipStream_tbEUlT_E_NS1_11comp_targetILNS1_3genE10ELNS1_11target_archE1201ELNS1_3gpuE5ELNS1_3repE0EEENS1_30default_config_static_selectorELNS0_4arch9wavefront6targetE1EEEvSK_
; %bb.0:
	.section	.rodata,"a",@progbits
	.p2align	6, 0x0
	.amdhsa_kernel _ZN7rocprim17ROCPRIM_400000_NS6detail17trampoline_kernelINS0_14default_configENS1_36segmented_radix_sort_config_selectorIslEEZNS1_25segmented_radix_sort_implIS3_Lb0EPKsPsPKlPlN2at6native12_GLOBAL__N_18offset_tEEE10hipError_tPvRmT1_PNSt15iterator_traitsISK_E10value_typeET2_T3_PNSL_ISQ_E10value_typeET4_jRbjT5_SW_jjP12ihipStream_tbEUlT_E_NS1_11comp_targetILNS1_3genE10ELNS1_11target_archE1201ELNS1_3gpuE5ELNS1_3repE0EEENS1_30default_config_static_selectorELNS0_4arch9wavefront6targetE1EEEvSK_
		.amdhsa_group_segment_fixed_size 0
		.amdhsa_private_segment_fixed_size 0
		.amdhsa_kernarg_size 96
		.amdhsa_user_sgpr_count 6
		.amdhsa_user_sgpr_private_segment_buffer 1
		.amdhsa_user_sgpr_dispatch_ptr 0
		.amdhsa_user_sgpr_queue_ptr 0
		.amdhsa_user_sgpr_kernarg_segment_ptr 1
		.amdhsa_user_sgpr_dispatch_id 0
		.amdhsa_user_sgpr_flat_scratch_init 0
		.amdhsa_user_sgpr_kernarg_preload_length 0
		.amdhsa_user_sgpr_kernarg_preload_offset 0
		.amdhsa_user_sgpr_private_segment_size 0
		.amdhsa_uses_dynamic_stack 0
		.amdhsa_system_sgpr_private_segment_wavefront_offset 0
		.amdhsa_system_sgpr_workgroup_id_x 1
		.amdhsa_system_sgpr_workgroup_id_y 0
		.amdhsa_system_sgpr_workgroup_id_z 0
		.amdhsa_system_sgpr_workgroup_info 0
		.amdhsa_system_vgpr_workitem_id 0
		.amdhsa_next_free_vgpr 1
		.amdhsa_next_free_sgpr 0
		.amdhsa_accum_offset 4
		.amdhsa_reserve_vcc 0
		.amdhsa_reserve_flat_scratch 0
		.amdhsa_float_round_mode_32 0
		.amdhsa_float_round_mode_16_64 0
		.amdhsa_float_denorm_mode_32 3
		.amdhsa_float_denorm_mode_16_64 3
		.amdhsa_dx10_clamp 1
		.amdhsa_ieee_mode 1
		.amdhsa_fp16_overflow 0
		.amdhsa_tg_split 0
		.amdhsa_exception_fp_ieee_invalid_op 0
		.amdhsa_exception_fp_denorm_src 0
		.amdhsa_exception_fp_ieee_div_zero 0
		.amdhsa_exception_fp_ieee_overflow 0
		.amdhsa_exception_fp_ieee_underflow 0
		.amdhsa_exception_fp_ieee_inexact 0
		.amdhsa_exception_int_div_zero 0
	.end_amdhsa_kernel
	.section	.text._ZN7rocprim17ROCPRIM_400000_NS6detail17trampoline_kernelINS0_14default_configENS1_36segmented_radix_sort_config_selectorIslEEZNS1_25segmented_radix_sort_implIS3_Lb0EPKsPsPKlPlN2at6native12_GLOBAL__N_18offset_tEEE10hipError_tPvRmT1_PNSt15iterator_traitsISK_E10value_typeET2_T3_PNSL_ISQ_E10value_typeET4_jRbjT5_SW_jjP12ihipStream_tbEUlT_E_NS1_11comp_targetILNS1_3genE10ELNS1_11target_archE1201ELNS1_3gpuE5ELNS1_3repE0EEENS1_30default_config_static_selectorELNS0_4arch9wavefront6targetE1EEEvSK_,"axG",@progbits,_ZN7rocprim17ROCPRIM_400000_NS6detail17trampoline_kernelINS0_14default_configENS1_36segmented_radix_sort_config_selectorIslEEZNS1_25segmented_radix_sort_implIS3_Lb0EPKsPsPKlPlN2at6native12_GLOBAL__N_18offset_tEEE10hipError_tPvRmT1_PNSt15iterator_traitsISK_E10value_typeET2_T3_PNSL_ISQ_E10value_typeET4_jRbjT5_SW_jjP12ihipStream_tbEUlT_E_NS1_11comp_targetILNS1_3genE10ELNS1_11target_archE1201ELNS1_3gpuE5ELNS1_3repE0EEENS1_30default_config_static_selectorELNS0_4arch9wavefront6targetE1EEEvSK_,comdat
.Lfunc_end1019:
	.size	_ZN7rocprim17ROCPRIM_400000_NS6detail17trampoline_kernelINS0_14default_configENS1_36segmented_radix_sort_config_selectorIslEEZNS1_25segmented_radix_sort_implIS3_Lb0EPKsPsPKlPlN2at6native12_GLOBAL__N_18offset_tEEE10hipError_tPvRmT1_PNSt15iterator_traitsISK_E10value_typeET2_T3_PNSL_ISQ_E10value_typeET4_jRbjT5_SW_jjP12ihipStream_tbEUlT_E_NS1_11comp_targetILNS1_3genE10ELNS1_11target_archE1201ELNS1_3gpuE5ELNS1_3repE0EEENS1_30default_config_static_selectorELNS0_4arch9wavefront6targetE1EEEvSK_, .Lfunc_end1019-_ZN7rocprim17ROCPRIM_400000_NS6detail17trampoline_kernelINS0_14default_configENS1_36segmented_radix_sort_config_selectorIslEEZNS1_25segmented_radix_sort_implIS3_Lb0EPKsPsPKlPlN2at6native12_GLOBAL__N_18offset_tEEE10hipError_tPvRmT1_PNSt15iterator_traitsISK_E10value_typeET2_T3_PNSL_ISQ_E10value_typeET4_jRbjT5_SW_jjP12ihipStream_tbEUlT_E_NS1_11comp_targetILNS1_3genE10ELNS1_11target_archE1201ELNS1_3gpuE5ELNS1_3repE0EEENS1_30default_config_static_selectorELNS0_4arch9wavefront6targetE1EEEvSK_
                                        ; -- End function
	.section	.AMDGPU.csdata,"",@progbits
; Kernel info:
; codeLenInByte = 0
; NumSgprs: 4
; NumVgprs: 0
; NumAgprs: 0
; TotalNumVgprs: 0
; ScratchSize: 0
; MemoryBound: 0
; FloatMode: 240
; IeeeMode: 1
; LDSByteSize: 0 bytes/workgroup (compile time only)
; SGPRBlocks: 0
; VGPRBlocks: 0
; NumSGPRsForWavesPerEU: 4
; NumVGPRsForWavesPerEU: 1
; AccumOffset: 4
; Occupancy: 8
; WaveLimiterHint : 0
; COMPUTE_PGM_RSRC2:SCRATCH_EN: 0
; COMPUTE_PGM_RSRC2:USER_SGPR: 6
; COMPUTE_PGM_RSRC2:TRAP_HANDLER: 0
; COMPUTE_PGM_RSRC2:TGID_X_EN: 1
; COMPUTE_PGM_RSRC2:TGID_Y_EN: 0
; COMPUTE_PGM_RSRC2:TGID_Z_EN: 0
; COMPUTE_PGM_RSRC2:TIDIG_COMP_CNT: 0
; COMPUTE_PGM_RSRC3_GFX90A:ACCUM_OFFSET: 0
; COMPUTE_PGM_RSRC3_GFX90A:TG_SPLIT: 0
	.section	.text._ZN7rocprim17ROCPRIM_400000_NS6detail17trampoline_kernelINS0_14default_configENS1_36segmented_radix_sort_config_selectorIslEEZNS1_25segmented_radix_sort_implIS3_Lb0EPKsPsPKlPlN2at6native12_GLOBAL__N_18offset_tEEE10hipError_tPvRmT1_PNSt15iterator_traitsISK_E10value_typeET2_T3_PNSL_ISQ_E10value_typeET4_jRbjT5_SW_jjP12ihipStream_tbEUlT_E_NS1_11comp_targetILNS1_3genE10ELNS1_11target_archE1200ELNS1_3gpuE4ELNS1_3repE0EEENS1_30default_config_static_selectorELNS0_4arch9wavefront6targetE1EEEvSK_,"axG",@progbits,_ZN7rocprim17ROCPRIM_400000_NS6detail17trampoline_kernelINS0_14default_configENS1_36segmented_radix_sort_config_selectorIslEEZNS1_25segmented_radix_sort_implIS3_Lb0EPKsPsPKlPlN2at6native12_GLOBAL__N_18offset_tEEE10hipError_tPvRmT1_PNSt15iterator_traitsISK_E10value_typeET2_T3_PNSL_ISQ_E10value_typeET4_jRbjT5_SW_jjP12ihipStream_tbEUlT_E_NS1_11comp_targetILNS1_3genE10ELNS1_11target_archE1200ELNS1_3gpuE4ELNS1_3repE0EEENS1_30default_config_static_selectorELNS0_4arch9wavefront6targetE1EEEvSK_,comdat
	.globl	_ZN7rocprim17ROCPRIM_400000_NS6detail17trampoline_kernelINS0_14default_configENS1_36segmented_radix_sort_config_selectorIslEEZNS1_25segmented_radix_sort_implIS3_Lb0EPKsPsPKlPlN2at6native12_GLOBAL__N_18offset_tEEE10hipError_tPvRmT1_PNSt15iterator_traitsISK_E10value_typeET2_T3_PNSL_ISQ_E10value_typeET4_jRbjT5_SW_jjP12ihipStream_tbEUlT_E_NS1_11comp_targetILNS1_3genE10ELNS1_11target_archE1200ELNS1_3gpuE4ELNS1_3repE0EEENS1_30default_config_static_selectorELNS0_4arch9wavefront6targetE1EEEvSK_ ; -- Begin function _ZN7rocprim17ROCPRIM_400000_NS6detail17trampoline_kernelINS0_14default_configENS1_36segmented_radix_sort_config_selectorIslEEZNS1_25segmented_radix_sort_implIS3_Lb0EPKsPsPKlPlN2at6native12_GLOBAL__N_18offset_tEEE10hipError_tPvRmT1_PNSt15iterator_traitsISK_E10value_typeET2_T3_PNSL_ISQ_E10value_typeET4_jRbjT5_SW_jjP12ihipStream_tbEUlT_E_NS1_11comp_targetILNS1_3genE10ELNS1_11target_archE1200ELNS1_3gpuE4ELNS1_3repE0EEENS1_30default_config_static_selectorELNS0_4arch9wavefront6targetE1EEEvSK_
	.p2align	8
	.type	_ZN7rocprim17ROCPRIM_400000_NS6detail17trampoline_kernelINS0_14default_configENS1_36segmented_radix_sort_config_selectorIslEEZNS1_25segmented_radix_sort_implIS3_Lb0EPKsPsPKlPlN2at6native12_GLOBAL__N_18offset_tEEE10hipError_tPvRmT1_PNSt15iterator_traitsISK_E10value_typeET2_T3_PNSL_ISQ_E10value_typeET4_jRbjT5_SW_jjP12ihipStream_tbEUlT_E_NS1_11comp_targetILNS1_3genE10ELNS1_11target_archE1200ELNS1_3gpuE4ELNS1_3repE0EEENS1_30default_config_static_selectorELNS0_4arch9wavefront6targetE1EEEvSK_,@function
_ZN7rocprim17ROCPRIM_400000_NS6detail17trampoline_kernelINS0_14default_configENS1_36segmented_radix_sort_config_selectorIslEEZNS1_25segmented_radix_sort_implIS3_Lb0EPKsPsPKlPlN2at6native12_GLOBAL__N_18offset_tEEE10hipError_tPvRmT1_PNSt15iterator_traitsISK_E10value_typeET2_T3_PNSL_ISQ_E10value_typeET4_jRbjT5_SW_jjP12ihipStream_tbEUlT_E_NS1_11comp_targetILNS1_3genE10ELNS1_11target_archE1200ELNS1_3gpuE4ELNS1_3repE0EEENS1_30default_config_static_selectorELNS0_4arch9wavefront6targetE1EEEvSK_: ; @_ZN7rocprim17ROCPRIM_400000_NS6detail17trampoline_kernelINS0_14default_configENS1_36segmented_radix_sort_config_selectorIslEEZNS1_25segmented_radix_sort_implIS3_Lb0EPKsPsPKlPlN2at6native12_GLOBAL__N_18offset_tEEE10hipError_tPvRmT1_PNSt15iterator_traitsISK_E10value_typeET2_T3_PNSL_ISQ_E10value_typeET4_jRbjT5_SW_jjP12ihipStream_tbEUlT_E_NS1_11comp_targetILNS1_3genE10ELNS1_11target_archE1200ELNS1_3gpuE4ELNS1_3repE0EEENS1_30default_config_static_selectorELNS0_4arch9wavefront6targetE1EEEvSK_
; %bb.0:
	.section	.rodata,"a",@progbits
	.p2align	6, 0x0
	.amdhsa_kernel _ZN7rocprim17ROCPRIM_400000_NS6detail17trampoline_kernelINS0_14default_configENS1_36segmented_radix_sort_config_selectorIslEEZNS1_25segmented_radix_sort_implIS3_Lb0EPKsPsPKlPlN2at6native12_GLOBAL__N_18offset_tEEE10hipError_tPvRmT1_PNSt15iterator_traitsISK_E10value_typeET2_T3_PNSL_ISQ_E10value_typeET4_jRbjT5_SW_jjP12ihipStream_tbEUlT_E_NS1_11comp_targetILNS1_3genE10ELNS1_11target_archE1200ELNS1_3gpuE4ELNS1_3repE0EEENS1_30default_config_static_selectorELNS0_4arch9wavefront6targetE1EEEvSK_
		.amdhsa_group_segment_fixed_size 0
		.amdhsa_private_segment_fixed_size 0
		.amdhsa_kernarg_size 96
		.amdhsa_user_sgpr_count 6
		.amdhsa_user_sgpr_private_segment_buffer 1
		.amdhsa_user_sgpr_dispatch_ptr 0
		.amdhsa_user_sgpr_queue_ptr 0
		.amdhsa_user_sgpr_kernarg_segment_ptr 1
		.amdhsa_user_sgpr_dispatch_id 0
		.amdhsa_user_sgpr_flat_scratch_init 0
		.amdhsa_user_sgpr_kernarg_preload_length 0
		.amdhsa_user_sgpr_kernarg_preload_offset 0
		.amdhsa_user_sgpr_private_segment_size 0
		.amdhsa_uses_dynamic_stack 0
		.amdhsa_system_sgpr_private_segment_wavefront_offset 0
		.amdhsa_system_sgpr_workgroup_id_x 1
		.amdhsa_system_sgpr_workgroup_id_y 0
		.amdhsa_system_sgpr_workgroup_id_z 0
		.amdhsa_system_sgpr_workgroup_info 0
		.amdhsa_system_vgpr_workitem_id 0
		.amdhsa_next_free_vgpr 1
		.amdhsa_next_free_sgpr 0
		.amdhsa_accum_offset 4
		.amdhsa_reserve_vcc 0
		.amdhsa_reserve_flat_scratch 0
		.amdhsa_float_round_mode_32 0
		.amdhsa_float_round_mode_16_64 0
		.amdhsa_float_denorm_mode_32 3
		.amdhsa_float_denorm_mode_16_64 3
		.amdhsa_dx10_clamp 1
		.amdhsa_ieee_mode 1
		.amdhsa_fp16_overflow 0
		.amdhsa_tg_split 0
		.amdhsa_exception_fp_ieee_invalid_op 0
		.amdhsa_exception_fp_denorm_src 0
		.amdhsa_exception_fp_ieee_div_zero 0
		.amdhsa_exception_fp_ieee_overflow 0
		.amdhsa_exception_fp_ieee_underflow 0
		.amdhsa_exception_fp_ieee_inexact 0
		.amdhsa_exception_int_div_zero 0
	.end_amdhsa_kernel
	.section	.text._ZN7rocprim17ROCPRIM_400000_NS6detail17trampoline_kernelINS0_14default_configENS1_36segmented_radix_sort_config_selectorIslEEZNS1_25segmented_radix_sort_implIS3_Lb0EPKsPsPKlPlN2at6native12_GLOBAL__N_18offset_tEEE10hipError_tPvRmT1_PNSt15iterator_traitsISK_E10value_typeET2_T3_PNSL_ISQ_E10value_typeET4_jRbjT5_SW_jjP12ihipStream_tbEUlT_E_NS1_11comp_targetILNS1_3genE10ELNS1_11target_archE1200ELNS1_3gpuE4ELNS1_3repE0EEENS1_30default_config_static_selectorELNS0_4arch9wavefront6targetE1EEEvSK_,"axG",@progbits,_ZN7rocprim17ROCPRIM_400000_NS6detail17trampoline_kernelINS0_14default_configENS1_36segmented_radix_sort_config_selectorIslEEZNS1_25segmented_radix_sort_implIS3_Lb0EPKsPsPKlPlN2at6native12_GLOBAL__N_18offset_tEEE10hipError_tPvRmT1_PNSt15iterator_traitsISK_E10value_typeET2_T3_PNSL_ISQ_E10value_typeET4_jRbjT5_SW_jjP12ihipStream_tbEUlT_E_NS1_11comp_targetILNS1_3genE10ELNS1_11target_archE1200ELNS1_3gpuE4ELNS1_3repE0EEENS1_30default_config_static_selectorELNS0_4arch9wavefront6targetE1EEEvSK_,comdat
.Lfunc_end1020:
	.size	_ZN7rocprim17ROCPRIM_400000_NS6detail17trampoline_kernelINS0_14default_configENS1_36segmented_radix_sort_config_selectorIslEEZNS1_25segmented_radix_sort_implIS3_Lb0EPKsPsPKlPlN2at6native12_GLOBAL__N_18offset_tEEE10hipError_tPvRmT1_PNSt15iterator_traitsISK_E10value_typeET2_T3_PNSL_ISQ_E10value_typeET4_jRbjT5_SW_jjP12ihipStream_tbEUlT_E_NS1_11comp_targetILNS1_3genE10ELNS1_11target_archE1200ELNS1_3gpuE4ELNS1_3repE0EEENS1_30default_config_static_selectorELNS0_4arch9wavefront6targetE1EEEvSK_, .Lfunc_end1020-_ZN7rocprim17ROCPRIM_400000_NS6detail17trampoline_kernelINS0_14default_configENS1_36segmented_radix_sort_config_selectorIslEEZNS1_25segmented_radix_sort_implIS3_Lb0EPKsPsPKlPlN2at6native12_GLOBAL__N_18offset_tEEE10hipError_tPvRmT1_PNSt15iterator_traitsISK_E10value_typeET2_T3_PNSL_ISQ_E10value_typeET4_jRbjT5_SW_jjP12ihipStream_tbEUlT_E_NS1_11comp_targetILNS1_3genE10ELNS1_11target_archE1200ELNS1_3gpuE4ELNS1_3repE0EEENS1_30default_config_static_selectorELNS0_4arch9wavefront6targetE1EEEvSK_
                                        ; -- End function
	.section	.AMDGPU.csdata,"",@progbits
; Kernel info:
; codeLenInByte = 0
; NumSgprs: 4
; NumVgprs: 0
; NumAgprs: 0
; TotalNumVgprs: 0
; ScratchSize: 0
; MemoryBound: 0
; FloatMode: 240
; IeeeMode: 1
; LDSByteSize: 0 bytes/workgroup (compile time only)
; SGPRBlocks: 0
; VGPRBlocks: 0
; NumSGPRsForWavesPerEU: 4
; NumVGPRsForWavesPerEU: 1
; AccumOffset: 4
; Occupancy: 8
; WaveLimiterHint : 0
; COMPUTE_PGM_RSRC2:SCRATCH_EN: 0
; COMPUTE_PGM_RSRC2:USER_SGPR: 6
; COMPUTE_PGM_RSRC2:TRAP_HANDLER: 0
; COMPUTE_PGM_RSRC2:TGID_X_EN: 1
; COMPUTE_PGM_RSRC2:TGID_Y_EN: 0
; COMPUTE_PGM_RSRC2:TGID_Z_EN: 0
; COMPUTE_PGM_RSRC2:TIDIG_COMP_CNT: 0
; COMPUTE_PGM_RSRC3_GFX90A:ACCUM_OFFSET: 0
; COMPUTE_PGM_RSRC3_GFX90A:TG_SPLIT: 0
	.section	.text._ZN7rocprim17ROCPRIM_400000_NS6detail17trampoline_kernelINS0_14default_configENS1_36segmented_radix_sort_config_selectorIslEEZNS1_25segmented_radix_sort_implIS3_Lb0EPKsPsPKlPlN2at6native12_GLOBAL__N_18offset_tEEE10hipError_tPvRmT1_PNSt15iterator_traitsISK_E10value_typeET2_T3_PNSL_ISQ_E10value_typeET4_jRbjT5_SW_jjP12ihipStream_tbEUlT_E_NS1_11comp_targetILNS1_3genE9ELNS1_11target_archE1100ELNS1_3gpuE3ELNS1_3repE0EEENS1_30default_config_static_selectorELNS0_4arch9wavefront6targetE1EEEvSK_,"axG",@progbits,_ZN7rocprim17ROCPRIM_400000_NS6detail17trampoline_kernelINS0_14default_configENS1_36segmented_radix_sort_config_selectorIslEEZNS1_25segmented_radix_sort_implIS3_Lb0EPKsPsPKlPlN2at6native12_GLOBAL__N_18offset_tEEE10hipError_tPvRmT1_PNSt15iterator_traitsISK_E10value_typeET2_T3_PNSL_ISQ_E10value_typeET4_jRbjT5_SW_jjP12ihipStream_tbEUlT_E_NS1_11comp_targetILNS1_3genE9ELNS1_11target_archE1100ELNS1_3gpuE3ELNS1_3repE0EEENS1_30default_config_static_selectorELNS0_4arch9wavefront6targetE1EEEvSK_,comdat
	.globl	_ZN7rocprim17ROCPRIM_400000_NS6detail17trampoline_kernelINS0_14default_configENS1_36segmented_radix_sort_config_selectorIslEEZNS1_25segmented_radix_sort_implIS3_Lb0EPKsPsPKlPlN2at6native12_GLOBAL__N_18offset_tEEE10hipError_tPvRmT1_PNSt15iterator_traitsISK_E10value_typeET2_T3_PNSL_ISQ_E10value_typeET4_jRbjT5_SW_jjP12ihipStream_tbEUlT_E_NS1_11comp_targetILNS1_3genE9ELNS1_11target_archE1100ELNS1_3gpuE3ELNS1_3repE0EEENS1_30default_config_static_selectorELNS0_4arch9wavefront6targetE1EEEvSK_ ; -- Begin function _ZN7rocprim17ROCPRIM_400000_NS6detail17trampoline_kernelINS0_14default_configENS1_36segmented_radix_sort_config_selectorIslEEZNS1_25segmented_radix_sort_implIS3_Lb0EPKsPsPKlPlN2at6native12_GLOBAL__N_18offset_tEEE10hipError_tPvRmT1_PNSt15iterator_traitsISK_E10value_typeET2_T3_PNSL_ISQ_E10value_typeET4_jRbjT5_SW_jjP12ihipStream_tbEUlT_E_NS1_11comp_targetILNS1_3genE9ELNS1_11target_archE1100ELNS1_3gpuE3ELNS1_3repE0EEENS1_30default_config_static_selectorELNS0_4arch9wavefront6targetE1EEEvSK_
	.p2align	8
	.type	_ZN7rocprim17ROCPRIM_400000_NS6detail17trampoline_kernelINS0_14default_configENS1_36segmented_radix_sort_config_selectorIslEEZNS1_25segmented_radix_sort_implIS3_Lb0EPKsPsPKlPlN2at6native12_GLOBAL__N_18offset_tEEE10hipError_tPvRmT1_PNSt15iterator_traitsISK_E10value_typeET2_T3_PNSL_ISQ_E10value_typeET4_jRbjT5_SW_jjP12ihipStream_tbEUlT_E_NS1_11comp_targetILNS1_3genE9ELNS1_11target_archE1100ELNS1_3gpuE3ELNS1_3repE0EEENS1_30default_config_static_selectorELNS0_4arch9wavefront6targetE1EEEvSK_,@function
_ZN7rocprim17ROCPRIM_400000_NS6detail17trampoline_kernelINS0_14default_configENS1_36segmented_radix_sort_config_selectorIslEEZNS1_25segmented_radix_sort_implIS3_Lb0EPKsPsPKlPlN2at6native12_GLOBAL__N_18offset_tEEE10hipError_tPvRmT1_PNSt15iterator_traitsISK_E10value_typeET2_T3_PNSL_ISQ_E10value_typeET4_jRbjT5_SW_jjP12ihipStream_tbEUlT_E_NS1_11comp_targetILNS1_3genE9ELNS1_11target_archE1100ELNS1_3gpuE3ELNS1_3repE0EEENS1_30default_config_static_selectorELNS0_4arch9wavefront6targetE1EEEvSK_: ; @_ZN7rocprim17ROCPRIM_400000_NS6detail17trampoline_kernelINS0_14default_configENS1_36segmented_radix_sort_config_selectorIslEEZNS1_25segmented_radix_sort_implIS3_Lb0EPKsPsPKlPlN2at6native12_GLOBAL__N_18offset_tEEE10hipError_tPvRmT1_PNSt15iterator_traitsISK_E10value_typeET2_T3_PNSL_ISQ_E10value_typeET4_jRbjT5_SW_jjP12ihipStream_tbEUlT_E_NS1_11comp_targetILNS1_3genE9ELNS1_11target_archE1100ELNS1_3gpuE3ELNS1_3repE0EEENS1_30default_config_static_selectorELNS0_4arch9wavefront6targetE1EEEvSK_
; %bb.0:
	.section	.rodata,"a",@progbits
	.p2align	6, 0x0
	.amdhsa_kernel _ZN7rocprim17ROCPRIM_400000_NS6detail17trampoline_kernelINS0_14default_configENS1_36segmented_radix_sort_config_selectorIslEEZNS1_25segmented_radix_sort_implIS3_Lb0EPKsPsPKlPlN2at6native12_GLOBAL__N_18offset_tEEE10hipError_tPvRmT1_PNSt15iterator_traitsISK_E10value_typeET2_T3_PNSL_ISQ_E10value_typeET4_jRbjT5_SW_jjP12ihipStream_tbEUlT_E_NS1_11comp_targetILNS1_3genE9ELNS1_11target_archE1100ELNS1_3gpuE3ELNS1_3repE0EEENS1_30default_config_static_selectorELNS0_4arch9wavefront6targetE1EEEvSK_
		.amdhsa_group_segment_fixed_size 0
		.amdhsa_private_segment_fixed_size 0
		.amdhsa_kernarg_size 96
		.amdhsa_user_sgpr_count 6
		.amdhsa_user_sgpr_private_segment_buffer 1
		.amdhsa_user_sgpr_dispatch_ptr 0
		.amdhsa_user_sgpr_queue_ptr 0
		.amdhsa_user_sgpr_kernarg_segment_ptr 1
		.amdhsa_user_sgpr_dispatch_id 0
		.amdhsa_user_sgpr_flat_scratch_init 0
		.amdhsa_user_sgpr_kernarg_preload_length 0
		.amdhsa_user_sgpr_kernarg_preload_offset 0
		.amdhsa_user_sgpr_private_segment_size 0
		.amdhsa_uses_dynamic_stack 0
		.amdhsa_system_sgpr_private_segment_wavefront_offset 0
		.amdhsa_system_sgpr_workgroup_id_x 1
		.amdhsa_system_sgpr_workgroup_id_y 0
		.amdhsa_system_sgpr_workgroup_id_z 0
		.amdhsa_system_sgpr_workgroup_info 0
		.amdhsa_system_vgpr_workitem_id 0
		.amdhsa_next_free_vgpr 1
		.amdhsa_next_free_sgpr 0
		.amdhsa_accum_offset 4
		.amdhsa_reserve_vcc 0
		.amdhsa_reserve_flat_scratch 0
		.amdhsa_float_round_mode_32 0
		.amdhsa_float_round_mode_16_64 0
		.amdhsa_float_denorm_mode_32 3
		.amdhsa_float_denorm_mode_16_64 3
		.amdhsa_dx10_clamp 1
		.amdhsa_ieee_mode 1
		.amdhsa_fp16_overflow 0
		.amdhsa_tg_split 0
		.amdhsa_exception_fp_ieee_invalid_op 0
		.amdhsa_exception_fp_denorm_src 0
		.amdhsa_exception_fp_ieee_div_zero 0
		.amdhsa_exception_fp_ieee_overflow 0
		.amdhsa_exception_fp_ieee_underflow 0
		.amdhsa_exception_fp_ieee_inexact 0
		.amdhsa_exception_int_div_zero 0
	.end_amdhsa_kernel
	.section	.text._ZN7rocprim17ROCPRIM_400000_NS6detail17trampoline_kernelINS0_14default_configENS1_36segmented_radix_sort_config_selectorIslEEZNS1_25segmented_radix_sort_implIS3_Lb0EPKsPsPKlPlN2at6native12_GLOBAL__N_18offset_tEEE10hipError_tPvRmT1_PNSt15iterator_traitsISK_E10value_typeET2_T3_PNSL_ISQ_E10value_typeET4_jRbjT5_SW_jjP12ihipStream_tbEUlT_E_NS1_11comp_targetILNS1_3genE9ELNS1_11target_archE1100ELNS1_3gpuE3ELNS1_3repE0EEENS1_30default_config_static_selectorELNS0_4arch9wavefront6targetE1EEEvSK_,"axG",@progbits,_ZN7rocprim17ROCPRIM_400000_NS6detail17trampoline_kernelINS0_14default_configENS1_36segmented_radix_sort_config_selectorIslEEZNS1_25segmented_radix_sort_implIS3_Lb0EPKsPsPKlPlN2at6native12_GLOBAL__N_18offset_tEEE10hipError_tPvRmT1_PNSt15iterator_traitsISK_E10value_typeET2_T3_PNSL_ISQ_E10value_typeET4_jRbjT5_SW_jjP12ihipStream_tbEUlT_E_NS1_11comp_targetILNS1_3genE9ELNS1_11target_archE1100ELNS1_3gpuE3ELNS1_3repE0EEENS1_30default_config_static_selectorELNS0_4arch9wavefront6targetE1EEEvSK_,comdat
.Lfunc_end1021:
	.size	_ZN7rocprim17ROCPRIM_400000_NS6detail17trampoline_kernelINS0_14default_configENS1_36segmented_radix_sort_config_selectorIslEEZNS1_25segmented_radix_sort_implIS3_Lb0EPKsPsPKlPlN2at6native12_GLOBAL__N_18offset_tEEE10hipError_tPvRmT1_PNSt15iterator_traitsISK_E10value_typeET2_T3_PNSL_ISQ_E10value_typeET4_jRbjT5_SW_jjP12ihipStream_tbEUlT_E_NS1_11comp_targetILNS1_3genE9ELNS1_11target_archE1100ELNS1_3gpuE3ELNS1_3repE0EEENS1_30default_config_static_selectorELNS0_4arch9wavefront6targetE1EEEvSK_, .Lfunc_end1021-_ZN7rocprim17ROCPRIM_400000_NS6detail17trampoline_kernelINS0_14default_configENS1_36segmented_radix_sort_config_selectorIslEEZNS1_25segmented_radix_sort_implIS3_Lb0EPKsPsPKlPlN2at6native12_GLOBAL__N_18offset_tEEE10hipError_tPvRmT1_PNSt15iterator_traitsISK_E10value_typeET2_T3_PNSL_ISQ_E10value_typeET4_jRbjT5_SW_jjP12ihipStream_tbEUlT_E_NS1_11comp_targetILNS1_3genE9ELNS1_11target_archE1100ELNS1_3gpuE3ELNS1_3repE0EEENS1_30default_config_static_selectorELNS0_4arch9wavefront6targetE1EEEvSK_
                                        ; -- End function
	.section	.AMDGPU.csdata,"",@progbits
; Kernel info:
; codeLenInByte = 0
; NumSgprs: 4
; NumVgprs: 0
; NumAgprs: 0
; TotalNumVgprs: 0
; ScratchSize: 0
; MemoryBound: 0
; FloatMode: 240
; IeeeMode: 1
; LDSByteSize: 0 bytes/workgroup (compile time only)
; SGPRBlocks: 0
; VGPRBlocks: 0
; NumSGPRsForWavesPerEU: 4
; NumVGPRsForWavesPerEU: 1
; AccumOffset: 4
; Occupancy: 8
; WaveLimiterHint : 0
; COMPUTE_PGM_RSRC2:SCRATCH_EN: 0
; COMPUTE_PGM_RSRC2:USER_SGPR: 6
; COMPUTE_PGM_RSRC2:TRAP_HANDLER: 0
; COMPUTE_PGM_RSRC2:TGID_X_EN: 1
; COMPUTE_PGM_RSRC2:TGID_Y_EN: 0
; COMPUTE_PGM_RSRC2:TGID_Z_EN: 0
; COMPUTE_PGM_RSRC2:TIDIG_COMP_CNT: 0
; COMPUTE_PGM_RSRC3_GFX90A:ACCUM_OFFSET: 0
; COMPUTE_PGM_RSRC3_GFX90A:TG_SPLIT: 0
	.section	.text._ZN7rocprim17ROCPRIM_400000_NS6detail17trampoline_kernelINS0_14default_configENS1_36segmented_radix_sort_config_selectorIslEEZNS1_25segmented_radix_sort_implIS3_Lb0EPKsPsPKlPlN2at6native12_GLOBAL__N_18offset_tEEE10hipError_tPvRmT1_PNSt15iterator_traitsISK_E10value_typeET2_T3_PNSL_ISQ_E10value_typeET4_jRbjT5_SW_jjP12ihipStream_tbEUlT_E_NS1_11comp_targetILNS1_3genE8ELNS1_11target_archE1030ELNS1_3gpuE2ELNS1_3repE0EEENS1_30default_config_static_selectorELNS0_4arch9wavefront6targetE1EEEvSK_,"axG",@progbits,_ZN7rocprim17ROCPRIM_400000_NS6detail17trampoline_kernelINS0_14default_configENS1_36segmented_radix_sort_config_selectorIslEEZNS1_25segmented_radix_sort_implIS3_Lb0EPKsPsPKlPlN2at6native12_GLOBAL__N_18offset_tEEE10hipError_tPvRmT1_PNSt15iterator_traitsISK_E10value_typeET2_T3_PNSL_ISQ_E10value_typeET4_jRbjT5_SW_jjP12ihipStream_tbEUlT_E_NS1_11comp_targetILNS1_3genE8ELNS1_11target_archE1030ELNS1_3gpuE2ELNS1_3repE0EEENS1_30default_config_static_selectorELNS0_4arch9wavefront6targetE1EEEvSK_,comdat
	.globl	_ZN7rocprim17ROCPRIM_400000_NS6detail17trampoline_kernelINS0_14default_configENS1_36segmented_radix_sort_config_selectorIslEEZNS1_25segmented_radix_sort_implIS3_Lb0EPKsPsPKlPlN2at6native12_GLOBAL__N_18offset_tEEE10hipError_tPvRmT1_PNSt15iterator_traitsISK_E10value_typeET2_T3_PNSL_ISQ_E10value_typeET4_jRbjT5_SW_jjP12ihipStream_tbEUlT_E_NS1_11comp_targetILNS1_3genE8ELNS1_11target_archE1030ELNS1_3gpuE2ELNS1_3repE0EEENS1_30default_config_static_selectorELNS0_4arch9wavefront6targetE1EEEvSK_ ; -- Begin function _ZN7rocprim17ROCPRIM_400000_NS6detail17trampoline_kernelINS0_14default_configENS1_36segmented_radix_sort_config_selectorIslEEZNS1_25segmented_radix_sort_implIS3_Lb0EPKsPsPKlPlN2at6native12_GLOBAL__N_18offset_tEEE10hipError_tPvRmT1_PNSt15iterator_traitsISK_E10value_typeET2_T3_PNSL_ISQ_E10value_typeET4_jRbjT5_SW_jjP12ihipStream_tbEUlT_E_NS1_11comp_targetILNS1_3genE8ELNS1_11target_archE1030ELNS1_3gpuE2ELNS1_3repE0EEENS1_30default_config_static_selectorELNS0_4arch9wavefront6targetE1EEEvSK_
	.p2align	8
	.type	_ZN7rocprim17ROCPRIM_400000_NS6detail17trampoline_kernelINS0_14default_configENS1_36segmented_radix_sort_config_selectorIslEEZNS1_25segmented_radix_sort_implIS3_Lb0EPKsPsPKlPlN2at6native12_GLOBAL__N_18offset_tEEE10hipError_tPvRmT1_PNSt15iterator_traitsISK_E10value_typeET2_T3_PNSL_ISQ_E10value_typeET4_jRbjT5_SW_jjP12ihipStream_tbEUlT_E_NS1_11comp_targetILNS1_3genE8ELNS1_11target_archE1030ELNS1_3gpuE2ELNS1_3repE0EEENS1_30default_config_static_selectorELNS0_4arch9wavefront6targetE1EEEvSK_,@function
_ZN7rocprim17ROCPRIM_400000_NS6detail17trampoline_kernelINS0_14default_configENS1_36segmented_radix_sort_config_selectorIslEEZNS1_25segmented_radix_sort_implIS3_Lb0EPKsPsPKlPlN2at6native12_GLOBAL__N_18offset_tEEE10hipError_tPvRmT1_PNSt15iterator_traitsISK_E10value_typeET2_T3_PNSL_ISQ_E10value_typeET4_jRbjT5_SW_jjP12ihipStream_tbEUlT_E_NS1_11comp_targetILNS1_3genE8ELNS1_11target_archE1030ELNS1_3gpuE2ELNS1_3repE0EEENS1_30default_config_static_selectorELNS0_4arch9wavefront6targetE1EEEvSK_: ; @_ZN7rocprim17ROCPRIM_400000_NS6detail17trampoline_kernelINS0_14default_configENS1_36segmented_radix_sort_config_selectorIslEEZNS1_25segmented_radix_sort_implIS3_Lb0EPKsPsPKlPlN2at6native12_GLOBAL__N_18offset_tEEE10hipError_tPvRmT1_PNSt15iterator_traitsISK_E10value_typeET2_T3_PNSL_ISQ_E10value_typeET4_jRbjT5_SW_jjP12ihipStream_tbEUlT_E_NS1_11comp_targetILNS1_3genE8ELNS1_11target_archE1030ELNS1_3gpuE2ELNS1_3repE0EEENS1_30default_config_static_selectorELNS0_4arch9wavefront6targetE1EEEvSK_
; %bb.0:
	.section	.rodata,"a",@progbits
	.p2align	6, 0x0
	.amdhsa_kernel _ZN7rocprim17ROCPRIM_400000_NS6detail17trampoline_kernelINS0_14default_configENS1_36segmented_radix_sort_config_selectorIslEEZNS1_25segmented_radix_sort_implIS3_Lb0EPKsPsPKlPlN2at6native12_GLOBAL__N_18offset_tEEE10hipError_tPvRmT1_PNSt15iterator_traitsISK_E10value_typeET2_T3_PNSL_ISQ_E10value_typeET4_jRbjT5_SW_jjP12ihipStream_tbEUlT_E_NS1_11comp_targetILNS1_3genE8ELNS1_11target_archE1030ELNS1_3gpuE2ELNS1_3repE0EEENS1_30default_config_static_selectorELNS0_4arch9wavefront6targetE1EEEvSK_
		.amdhsa_group_segment_fixed_size 0
		.amdhsa_private_segment_fixed_size 0
		.amdhsa_kernarg_size 96
		.amdhsa_user_sgpr_count 6
		.amdhsa_user_sgpr_private_segment_buffer 1
		.amdhsa_user_sgpr_dispatch_ptr 0
		.amdhsa_user_sgpr_queue_ptr 0
		.amdhsa_user_sgpr_kernarg_segment_ptr 1
		.amdhsa_user_sgpr_dispatch_id 0
		.amdhsa_user_sgpr_flat_scratch_init 0
		.amdhsa_user_sgpr_kernarg_preload_length 0
		.amdhsa_user_sgpr_kernarg_preload_offset 0
		.amdhsa_user_sgpr_private_segment_size 0
		.amdhsa_uses_dynamic_stack 0
		.amdhsa_system_sgpr_private_segment_wavefront_offset 0
		.amdhsa_system_sgpr_workgroup_id_x 1
		.amdhsa_system_sgpr_workgroup_id_y 0
		.amdhsa_system_sgpr_workgroup_id_z 0
		.amdhsa_system_sgpr_workgroup_info 0
		.amdhsa_system_vgpr_workitem_id 0
		.amdhsa_next_free_vgpr 1
		.amdhsa_next_free_sgpr 0
		.amdhsa_accum_offset 4
		.amdhsa_reserve_vcc 0
		.amdhsa_reserve_flat_scratch 0
		.amdhsa_float_round_mode_32 0
		.amdhsa_float_round_mode_16_64 0
		.amdhsa_float_denorm_mode_32 3
		.amdhsa_float_denorm_mode_16_64 3
		.amdhsa_dx10_clamp 1
		.amdhsa_ieee_mode 1
		.amdhsa_fp16_overflow 0
		.amdhsa_tg_split 0
		.amdhsa_exception_fp_ieee_invalid_op 0
		.amdhsa_exception_fp_denorm_src 0
		.amdhsa_exception_fp_ieee_div_zero 0
		.amdhsa_exception_fp_ieee_overflow 0
		.amdhsa_exception_fp_ieee_underflow 0
		.amdhsa_exception_fp_ieee_inexact 0
		.amdhsa_exception_int_div_zero 0
	.end_amdhsa_kernel
	.section	.text._ZN7rocprim17ROCPRIM_400000_NS6detail17trampoline_kernelINS0_14default_configENS1_36segmented_radix_sort_config_selectorIslEEZNS1_25segmented_radix_sort_implIS3_Lb0EPKsPsPKlPlN2at6native12_GLOBAL__N_18offset_tEEE10hipError_tPvRmT1_PNSt15iterator_traitsISK_E10value_typeET2_T3_PNSL_ISQ_E10value_typeET4_jRbjT5_SW_jjP12ihipStream_tbEUlT_E_NS1_11comp_targetILNS1_3genE8ELNS1_11target_archE1030ELNS1_3gpuE2ELNS1_3repE0EEENS1_30default_config_static_selectorELNS0_4arch9wavefront6targetE1EEEvSK_,"axG",@progbits,_ZN7rocprim17ROCPRIM_400000_NS6detail17trampoline_kernelINS0_14default_configENS1_36segmented_radix_sort_config_selectorIslEEZNS1_25segmented_radix_sort_implIS3_Lb0EPKsPsPKlPlN2at6native12_GLOBAL__N_18offset_tEEE10hipError_tPvRmT1_PNSt15iterator_traitsISK_E10value_typeET2_T3_PNSL_ISQ_E10value_typeET4_jRbjT5_SW_jjP12ihipStream_tbEUlT_E_NS1_11comp_targetILNS1_3genE8ELNS1_11target_archE1030ELNS1_3gpuE2ELNS1_3repE0EEENS1_30default_config_static_selectorELNS0_4arch9wavefront6targetE1EEEvSK_,comdat
.Lfunc_end1022:
	.size	_ZN7rocprim17ROCPRIM_400000_NS6detail17trampoline_kernelINS0_14default_configENS1_36segmented_radix_sort_config_selectorIslEEZNS1_25segmented_radix_sort_implIS3_Lb0EPKsPsPKlPlN2at6native12_GLOBAL__N_18offset_tEEE10hipError_tPvRmT1_PNSt15iterator_traitsISK_E10value_typeET2_T3_PNSL_ISQ_E10value_typeET4_jRbjT5_SW_jjP12ihipStream_tbEUlT_E_NS1_11comp_targetILNS1_3genE8ELNS1_11target_archE1030ELNS1_3gpuE2ELNS1_3repE0EEENS1_30default_config_static_selectorELNS0_4arch9wavefront6targetE1EEEvSK_, .Lfunc_end1022-_ZN7rocprim17ROCPRIM_400000_NS6detail17trampoline_kernelINS0_14default_configENS1_36segmented_radix_sort_config_selectorIslEEZNS1_25segmented_radix_sort_implIS3_Lb0EPKsPsPKlPlN2at6native12_GLOBAL__N_18offset_tEEE10hipError_tPvRmT1_PNSt15iterator_traitsISK_E10value_typeET2_T3_PNSL_ISQ_E10value_typeET4_jRbjT5_SW_jjP12ihipStream_tbEUlT_E_NS1_11comp_targetILNS1_3genE8ELNS1_11target_archE1030ELNS1_3gpuE2ELNS1_3repE0EEENS1_30default_config_static_selectorELNS0_4arch9wavefront6targetE1EEEvSK_
                                        ; -- End function
	.section	.AMDGPU.csdata,"",@progbits
; Kernel info:
; codeLenInByte = 0
; NumSgprs: 4
; NumVgprs: 0
; NumAgprs: 0
; TotalNumVgprs: 0
; ScratchSize: 0
; MemoryBound: 0
; FloatMode: 240
; IeeeMode: 1
; LDSByteSize: 0 bytes/workgroup (compile time only)
; SGPRBlocks: 0
; VGPRBlocks: 0
; NumSGPRsForWavesPerEU: 4
; NumVGPRsForWavesPerEU: 1
; AccumOffset: 4
; Occupancy: 8
; WaveLimiterHint : 0
; COMPUTE_PGM_RSRC2:SCRATCH_EN: 0
; COMPUTE_PGM_RSRC2:USER_SGPR: 6
; COMPUTE_PGM_RSRC2:TRAP_HANDLER: 0
; COMPUTE_PGM_RSRC2:TGID_X_EN: 1
; COMPUTE_PGM_RSRC2:TGID_Y_EN: 0
; COMPUTE_PGM_RSRC2:TGID_Z_EN: 0
; COMPUTE_PGM_RSRC2:TIDIG_COMP_CNT: 0
; COMPUTE_PGM_RSRC3_GFX90A:ACCUM_OFFSET: 0
; COMPUTE_PGM_RSRC3_GFX90A:TG_SPLIT: 0
	.section	.text._ZN7rocprim17ROCPRIM_400000_NS6detail17trampoline_kernelINS0_14default_configENS1_36segmented_radix_sort_config_selectorIslEEZNS1_25segmented_radix_sort_implIS3_Lb0EPKsPsPKlPlN2at6native12_GLOBAL__N_18offset_tEEE10hipError_tPvRmT1_PNSt15iterator_traitsISK_E10value_typeET2_T3_PNSL_ISQ_E10value_typeET4_jRbjT5_SW_jjP12ihipStream_tbEUlT_E0_NS1_11comp_targetILNS1_3genE0ELNS1_11target_archE4294967295ELNS1_3gpuE0ELNS1_3repE0EEENS1_60segmented_radix_sort_warp_sort_medium_config_static_selectorELNS0_4arch9wavefront6targetE1EEEvSK_,"axG",@progbits,_ZN7rocprim17ROCPRIM_400000_NS6detail17trampoline_kernelINS0_14default_configENS1_36segmented_radix_sort_config_selectorIslEEZNS1_25segmented_radix_sort_implIS3_Lb0EPKsPsPKlPlN2at6native12_GLOBAL__N_18offset_tEEE10hipError_tPvRmT1_PNSt15iterator_traitsISK_E10value_typeET2_T3_PNSL_ISQ_E10value_typeET4_jRbjT5_SW_jjP12ihipStream_tbEUlT_E0_NS1_11comp_targetILNS1_3genE0ELNS1_11target_archE4294967295ELNS1_3gpuE0ELNS1_3repE0EEENS1_60segmented_radix_sort_warp_sort_medium_config_static_selectorELNS0_4arch9wavefront6targetE1EEEvSK_,comdat
	.globl	_ZN7rocprim17ROCPRIM_400000_NS6detail17trampoline_kernelINS0_14default_configENS1_36segmented_radix_sort_config_selectorIslEEZNS1_25segmented_radix_sort_implIS3_Lb0EPKsPsPKlPlN2at6native12_GLOBAL__N_18offset_tEEE10hipError_tPvRmT1_PNSt15iterator_traitsISK_E10value_typeET2_T3_PNSL_ISQ_E10value_typeET4_jRbjT5_SW_jjP12ihipStream_tbEUlT_E0_NS1_11comp_targetILNS1_3genE0ELNS1_11target_archE4294967295ELNS1_3gpuE0ELNS1_3repE0EEENS1_60segmented_radix_sort_warp_sort_medium_config_static_selectorELNS0_4arch9wavefront6targetE1EEEvSK_ ; -- Begin function _ZN7rocprim17ROCPRIM_400000_NS6detail17trampoline_kernelINS0_14default_configENS1_36segmented_radix_sort_config_selectorIslEEZNS1_25segmented_radix_sort_implIS3_Lb0EPKsPsPKlPlN2at6native12_GLOBAL__N_18offset_tEEE10hipError_tPvRmT1_PNSt15iterator_traitsISK_E10value_typeET2_T3_PNSL_ISQ_E10value_typeET4_jRbjT5_SW_jjP12ihipStream_tbEUlT_E0_NS1_11comp_targetILNS1_3genE0ELNS1_11target_archE4294967295ELNS1_3gpuE0ELNS1_3repE0EEENS1_60segmented_radix_sort_warp_sort_medium_config_static_selectorELNS0_4arch9wavefront6targetE1EEEvSK_
	.p2align	8
	.type	_ZN7rocprim17ROCPRIM_400000_NS6detail17trampoline_kernelINS0_14default_configENS1_36segmented_radix_sort_config_selectorIslEEZNS1_25segmented_radix_sort_implIS3_Lb0EPKsPsPKlPlN2at6native12_GLOBAL__N_18offset_tEEE10hipError_tPvRmT1_PNSt15iterator_traitsISK_E10value_typeET2_T3_PNSL_ISQ_E10value_typeET4_jRbjT5_SW_jjP12ihipStream_tbEUlT_E0_NS1_11comp_targetILNS1_3genE0ELNS1_11target_archE4294967295ELNS1_3gpuE0ELNS1_3repE0EEENS1_60segmented_radix_sort_warp_sort_medium_config_static_selectorELNS0_4arch9wavefront6targetE1EEEvSK_,@function
_ZN7rocprim17ROCPRIM_400000_NS6detail17trampoline_kernelINS0_14default_configENS1_36segmented_radix_sort_config_selectorIslEEZNS1_25segmented_radix_sort_implIS3_Lb0EPKsPsPKlPlN2at6native12_GLOBAL__N_18offset_tEEE10hipError_tPvRmT1_PNSt15iterator_traitsISK_E10value_typeET2_T3_PNSL_ISQ_E10value_typeET4_jRbjT5_SW_jjP12ihipStream_tbEUlT_E0_NS1_11comp_targetILNS1_3genE0ELNS1_11target_archE4294967295ELNS1_3gpuE0ELNS1_3repE0EEENS1_60segmented_radix_sort_warp_sort_medium_config_static_selectorELNS0_4arch9wavefront6targetE1EEEvSK_: ; @_ZN7rocprim17ROCPRIM_400000_NS6detail17trampoline_kernelINS0_14default_configENS1_36segmented_radix_sort_config_selectorIslEEZNS1_25segmented_radix_sort_implIS3_Lb0EPKsPsPKlPlN2at6native12_GLOBAL__N_18offset_tEEE10hipError_tPvRmT1_PNSt15iterator_traitsISK_E10value_typeET2_T3_PNSL_ISQ_E10value_typeET4_jRbjT5_SW_jjP12ihipStream_tbEUlT_E0_NS1_11comp_targetILNS1_3genE0ELNS1_11target_archE4294967295ELNS1_3gpuE0ELNS1_3repE0EEENS1_60segmented_radix_sort_warp_sort_medium_config_static_selectorELNS0_4arch9wavefront6targetE1EEEvSK_
; %bb.0:
	.section	.rodata,"a",@progbits
	.p2align	6, 0x0
	.amdhsa_kernel _ZN7rocprim17ROCPRIM_400000_NS6detail17trampoline_kernelINS0_14default_configENS1_36segmented_radix_sort_config_selectorIslEEZNS1_25segmented_radix_sort_implIS3_Lb0EPKsPsPKlPlN2at6native12_GLOBAL__N_18offset_tEEE10hipError_tPvRmT1_PNSt15iterator_traitsISK_E10value_typeET2_T3_PNSL_ISQ_E10value_typeET4_jRbjT5_SW_jjP12ihipStream_tbEUlT_E0_NS1_11comp_targetILNS1_3genE0ELNS1_11target_archE4294967295ELNS1_3gpuE0ELNS1_3repE0EEENS1_60segmented_radix_sort_warp_sort_medium_config_static_selectorELNS0_4arch9wavefront6targetE1EEEvSK_
		.amdhsa_group_segment_fixed_size 0
		.amdhsa_private_segment_fixed_size 0
		.amdhsa_kernarg_size 88
		.amdhsa_user_sgpr_count 6
		.amdhsa_user_sgpr_private_segment_buffer 1
		.amdhsa_user_sgpr_dispatch_ptr 0
		.amdhsa_user_sgpr_queue_ptr 0
		.amdhsa_user_sgpr_kernarg_segment_ptr 1
		.amdhsa_user_sgpr_dispatch_id 0
		.amdhsa_user_sgpr_flat_scratch_init 0
		.amdhsa_user_sgpr_kernarg_preload_length 0
		.amdhsa_user_sgpr_kernarg_preload_offset 0
		.amdhsa_user_sgpr_private_segment_size 0
		.amdhsa_uses_dynamic_stack 0
		.amdhsa_system_sgpr_private_segment_wavefront_offset 0
		.amdhsa_system_sgpr_workgroup_id_x 1
		.amdhsa_system_sgpr_workgroup_id_y 0
		.amdhsa_system_sgpr_workgroup_id_z 0
		.amdhsa_system_sgpr_workgroup_info 0
		.amdhsa_system_vgpr_workitem_id 0
		.amdhsa_next_free_vgpr 1
		.amdhsa_next_free_sgpr 0
		.amdhsa_accum_offset 4
		.amdhsa_reserve_vcc 0
		.amdhsa_reserve_flat_scratch 0
		.amdhsa_float_round_mode_32 0
		.amdhsa_float_round_mode_16_64 0
		.amdhsa_float_denorm_mode_32 3
		.amdhsa_float_denorm_mode_16_64 3
		.amdhsa_dx10_clamp 1
		.amdhsa_ieee_mode 1
		.amdhsa_fp16_overflow 0
		.amdhsa_tg_split 0
		.amdhsa_exception_fp_ieee_invalid_op 0
		.amdhsa_exception_fp_denorm_src 0
		.amdhsa_exception_fp_ieee_div_zero 0
		.amdhsa_exception_fp_ieee_overflow 0
		.amdhsa_exception_fp_ieee_underflow 0
		.amdhsa_exception_fp_ieee_inexact 0
		.amdhsa_exception_int_div_zero 0
	.end_amdhsa_kernel
	.section	.text._ZN7rocprim17ROCPRIM_400000_NS6detail17trampoline_kernelINS0_14default_configENS1_36segmented_radix_sort_config_selectorIslEEZNS1_25segmented_radix_sort_implIS3_Lb0EPKsPsPKlPlN2at6native12_GLOBAL__N_18offset_tEEE10hipError_tPvRmT1_PNSt15iterator_traitsISK_E10value_typeET2_T3_PNSL_ISQ_E10value_typeET4_jRbjT5_SW_jjP12ihipStream_tbEUlT_E0_NS1_11comp_targetILNS1_3genE0ELNS1_11target_archE4294967295ELNS1_3gpuE0ELNS1_3repE0EEENS1_60segmented_radix_sort_warp_sort_medium_config_static_selectorELNS0_4arch9wavefront6targetE1EEEvSK_,"axG",@progbits,_ZN7rocprim17ROCPRIM_400000_NS6detail17trampoline_kernelINS0_14default_configENS1_36segmented_radix_sort_config_selectorIslEEZNS1_25segmented_radix_sort_implIS3_Lb0EPKsPsPKlPlN2at6native12_GLOBAL__N_18offset_tEEE10hipError_tPvRmT1_PNSt15iterator_traitsISK_E10value_typeET2_T3_PNSL_ISQ_E10value_typeET4_jRbjT5_SW_jjP12ihipStream_tbEUlT_E0_NS1_11comp_targetILNS1_3genE0ELNS1_11target_archE4294967295ELNS1_3gpuE0ELNS1_3repE0EEENS1_60segmented_radix_sort_warp_sort_medium_config_static_selectorELNS0_4arch9wavefront6targetE1EEEvSK_,comdat
.Lfunc_end1023:
	.size	_ZN7rocprim17ROCPRIM_400000_NS6detail17trampoline_kernelINS0_14default_configENS1_36segmented_radix_sort_config_selectorIslEEZNS1_25segmented_radix_sort_implIS3_Lb0EPKsPsPKlPlN2at6native12_GLOBAL__N_18offset_tEEE10hipError_tPvRmT1_PNSt15iterator_traitsISK_E10value_typeET2_T3_PNSL_ISQ_E10value_typeET4_jRbjT5_SW_jjP12ihipStream_tbEUlT_E0_NS1_11comp_targetILNS1_3genE0ELNS1_11target_archE4294967295ELNS1_3gpuE0ELNS1_3repE0EEENS1_60segmented_radix_sort_warp_sort_medium_config_static_selectorELNS0_4arch9wavefront6targetE1EEEvSK_, .Lfunc_end1023-_ZN7rocprim17ROCPRIM_400000_NS6detail17trampoline_kernelINS0_14default_configENS1_36segmented_radix_sort_config_selectorIslEEZNS1_25segmented_radix_sort_implIS3_Lb0EPKsPsPKlPlN2at6native12_GLOBAL__N_18offset_tEEE10hipError_tPvRmT1_PNSt15iterator_traitsISK_E10value_typeET2_T3_PNSL_ISQ_E10value_typeET4_jRbjT5_SW_jjP12ihipStream_tbEUlT_E0_NS1_11comp_targetILNS1_3genE0ELNS1_11target_archE4294967295ELNS1_3gpuE0ELNS1_3repE0EEENS1_60segmented_radix_sort_warp_sort_medium_config_static_selectorELNS0_4arch9wavefront6targetE1EEEvSK_
                                        ; -- End function
	.section	.AMDGPU.csdata,"",@progbits
; Kernel info:
; codeLenInByte = 0
; NumSgprs: 4
; NumVgprs: 0
; NumAgprs: 0
; TotalNumVgprs: 0
; ScratchSize: 0
; MemoryBound: 0
; FloatMode: 240
; IeeeMode: 1
; LDSByteSize: 0 bytes/workgroup (compile time only)
; SGPRBlocks: 0
; VGPRBlocks: 0
; NumSGPRsForWavesPerEU: 4
; NumVGPRsForWavesPerEU: 1
; AccumOffset: 4
; Occupancy: 8
; WaveLimiterHint : 0
; COMPUTE_PGM_RSRC2:SCRATCH_EN: 0
; COMPUTE_PGM_RSRC2:USER_SGPR: 6
; COMPUTE_PGM_RSRC2:TRAP_HANDLER: 0
; COMPUTE_PGM_RSRC2:TGID_X_EN: 1
; COMPUTE_PGM_RSRC2:TGID_Y_EN: 0
; COMPUTE_PGM_RSRC2:TGID_Z_EN: 0
; COMPUTE_PGM_RSRC2:TIDIG_COMP_CNT: 0
; COMPUTE_PGM_RSRC3_GFX90A:ACCUM_OFFSET: 0
; COMPUTE_PGM_RSRC3_GFX90A:TG_SPLIT: 0
	.section	.text._ZN7rocprim17ROCPRIM_400000_NS6detail17trampoline_kernelINS0_14default_configENS1_36segmented_radix_sort_config_selectorIslEEZNS1_25segmented_radix_sort_implIS3_Lb0EPKsPsPKlPlN2at6native12_GLOBAL__N_18offset_tEEE10hipError_tPvRmT1_PNSt15iterator_traitsISK_E10value_typeET2_T3_PNSL_ISQ_E10value_typeET4_jRbjT5_SW_jjP12ihipStream_tbEUlT_E0_NS1_11comp_targetILNS1_3genE5ELNS1_11target_archE942ELNS1_3gpuE9ELNS1_3repE0EEENS1_60segmented_radix_sort_warp_sort_medium_config_static_selectorELNS0_4arch9wavefront6targetE1EEEvSK_,"axG",@progbits,_ZN7rocprim17ROCPRIM_400000_NS6detail17trampoline_kernelINS0_14default_configENS1_36segmented_radix_sort_config_selectorIslEEZNS1_25segmented_radix_sort_implIS3_Lb0EPKsPsPKlPlN2at6native12_GLOBAL__N_18offset_tEEE10hipError_tPvRmT1_PNSt15iterator_traitsISK_E10value_typeET2_T3_PNSL_ISQ_E10value_typeET4_jRbjT5_SW_jjP12ihipStream_tbEUlT_E0_NS1_11comp_targetILNS1_3genE5ELNS1_11target_archE942ELNS1_3gpuE9ELNS1_3repE0EEENS1_60segmented_radix_sort_warp_sort_medium_config_static_selectorELNS0_4arch9wavefront6targetE1EEEvSK_,comdat
	.globl	_ZN7rocprim17ROCPRIM_400000_NS6detail17trampoline_kernelINS0_14default_configENS1_36segmented_radix_sort_config_selectorIslEEZNS1_25segmented_radix_sort_implIS3_Lb0EPKsPsPKlPlN2at6native12_GLOBAL__N_18offset_tEEE10hipError_tPvRmT1_PNSt15iterator_traitsISK_E10value_typeET2_T3_PNSL_ISQ_E10value_typeET4_jRbjT5_SW_jjP12ihipStream_tbEUlT_E0_NS1_11comp_targetILNS1_3genE5ELNS1_11target_archE942ELNS1_3gpuE9ELNS1_3repE0EEENS1_60segmented_radix_sort_warp_sort_medium_config_static_selectorELNS0_4arch9wavefront6targetE1EEEvSK_ ; -- Begin function _ZN7rocprim17ROCPRIM_400000_NS6detail17trampoline_kernelINS0_14default_configENS1_36segmented_radix_sort_config_selectorIslEEZNS1_25segmented_radix_sort_implIS3_Lb0EPKsPsPKlPlN2at6native12_GLOBAL__N_18offset_tEEE10hipError_tPvRmT1_PNSt15iterator_traitsISK_E10value_typeET2_T3_PNSL_ISQ_E10value_typeET4_jRbjT5_SW_jjP12ihipStream_tbEUlT_E0_NS1_11comp_targetILNS1_3genE5ELNS1_11target_archE942ELNS1_3gpuE9ELNS1_3repE0EEENS1_60segmented_radix_sort_warp_sort_medium_config_static_selectorELNS0_4arch9wavefront6targetE1EEEvSK_
	.p2align	8
	.type	_ZN7rocprim17ROCPRIM_400000_NS6detail17trampoline_kernelINS0_14default_configENS1_36segmented_radix_sort_config_selectorIslEEZNS1_25segmented_radix_sort_implIS3_Lb0EPKsPsPKlPlN2at6native12_GLOBAL__N_18offset_tEEE10hipError_tPvRmT1_PNSt15iterator_traitsISK_E10value_typeET2_T3_PNSL_ISQ_E10value_typeET4_jRbjT5_SW_jjP12ihipStream_tbEUlT_E0_NS1_11comp_targetILNS1_3genE5ELNS1_11target_archE942ELNS1_3gpuE9ELNS1_3repE0EEENS1_60segmented_radix_sort_warp_sort_medium_config_static_selectorELNS0_4arch9wavefront6targetE1EEEvSK_,@function
_ZN7rocprim17ROCPRIM_400000_NS6detail17trampoline_kernelINS0_14default_configENS1_36segmented_radix_sort_config_selectorIslEEZNS1_25segmented_radix_sort_implIS3_Lb0EPKsPsPKlPlN2at6native12_GLOBAL__N_18offset_tEEE10hipError_tPvRmT1_PNSt15iterator_traitsISK_E10value_typeET2_T3_PNSL_ISQ_E10value_typeET4_jRbjT5_SW_jjP12ihipStream_tbEUlT_E0_NS1_11comp_targetILNS1_3genE5ELNS1_11target_archE942ELNS1_3gpuE9ELNS1_3repE0EEENS1_60segmented_radix_sort_warp_sort_medium_config_static_selectorELNS0_4arch9wavefront6targetE1EEEvSK_: ; @_ZN7rocprim17ROCPRIM_400000_NS6detail17trampoline_kernelINS0_14default_configENS1_36segmented_radix_sort_config_selectorIslEEZNS1_25segmented_radix_sort_implIS3_Lb0EPKsPsPKlPlN2at6native12_GLOBAL__N_18offset_tEEE10hipError_tPvRmT1_PNSt15iterator_traitsISK_E10value_typeET2_T3_PNSL_ISQ_E10value_typeET4_jRbjT5_SW_jjP12ihipStream_tbEUlT_E0_NS1_11comp_targetILNS1_3genE5ELNS1_11target_archE942ELNS1_3gpuE9ELNS1_3repE0EEENS1_60segmented_radix_sort_warp_sort_medium_config_static_selectorELNS0_4arch9wavefront6targetE1EEEvSK_
; %bb.0:
	.section	.rodata,"a",@progbits
	.p2align	6, 0x0
	.amdhsa_kernel _ZN7rocprim17ROCPRIM_400000_NS6detail17trampoline_kernelINS0_14default_configENS1_36segmented_radix_sort_config_selectorIslEEZNS1_25segmented_radix_sort_implIS3_Lb0EPKsPsPKlPlN2at6native12_GLOBAL__N_18offset_tEEE10hipError_tPvRmT1_PNSt15iterator_traitsISK_E10value_typeET2_T3_PNSL_ISQ_E10value_typeET4_jRbjT5_SW_jjP12ihipStream_tbEUlT_E0_NS1_11comp_targetILNS1_3genE5ELNS1_11target_archE942ELNS1_3gpuE9ELNS1_3repE0EEENS1_60segmented_radix_sort_warp_sort_medium_config_static_selectorELNS0_4arch9wavefront6targetE1EEEvSK_
		.amdhsa_group_segment_fixed_size 0
		.amdhsa_private_segment_fixed_size 0
		.amdhsa_kernarg_size 88
		.amdhsa_user_sgpr_count 6
		.amdhsa_user_sgpr_private_segment_buffer 1
		.amdhsa_user_sgpr_dispatch_ptr 0
		.amdhsa_user_sgpr_queue_ptr 0
		.amdhsa_user_sgpr_kernarg_segment_ptr 1
		.amdhsa_user_sgpr_dispatch_id 0
		.amdhsa_user_sgpr_flat_scratch_init 0
		.amdhsa_user_sgpr_kernarg_preload_length 0
		.amdhsa_user_sgpr_kernarg_preload_offset 0
		.amdhsa_user_sgpr_private_segment_size 0
		.amdhsa_uses_dynamic_stack 0
		.amdhsa_system_sgpr_private_segment_wavefront_offset 0
		.amdhsa_system_sgpr_workgroup_id_x 1
		.amdhsa_system_sgpr_workgroup_id_y 0
		.amdhsa_system_sgpr_workgroup_id_z 0
		.amdhsa_system_sgpr_workgroup_info 0
		.amdhsa_system_vgpr_workitem_id 0
		.amdhsa_next_free_vgpr 1
		.amdhsa_next_free_sgpr 0
		.amdhsa_accum_offset 4
		.amdhsa_reserve_vcc 0
		.amdhsa_reserve_flat_scratch 0
		.amdhsa_float_round_mode_32 0
		.amdhsa_float_round_mode_16_64 0
		.amdhsa_float_denorm_mode_32 3
		.amdhsa_float_denorm_mode_16_64 3
		.amdhsa_dx10_clamp 1
		.amdhsa_ieee_mode 1
		.amdhsa_fp16_overflow 0
		.amdhsa_tg_split 0
		.amdhsa_exception_fp_ieee_invalid_op 0
		.amdhsa_exception_fp_denorm_src 0
		.amdhsa_exception_fp_ieee_div_zero 0
		.amdhsa_exception_fp_ieee_overflow 0
		.amdhsa_exception_fp_ieee_underflow 0
		.amdhsa_exception_fp_ieee_inexact 0
		.amdhsa_exception_int_div_zero 0
	.end_amdhsa_kernel
	.section	.text._ZN7rocprim17ROCPRIM_400000_NS6detail17trampoline_kernelINS0_14default_configENS1_36segmented_radix_sort_config_selectorIslEEZNS1_25segmented_radix_sort_implIS3_Lb0EPKsPsPKlPlN2at6native12_GLOBAL__N_18offset_tEEE10hipError_tPvRmT1_PNSt15iterator_traitsISK_E10value_typeET2_T3_PNSL_ISQ_E10value_typeET4_jRbjT5_SW_jjP12ihipStream_tbEUlT_E0_NS1_11comp_targetILNS1_3genE5ELNS1_11target_archE942ELNS1_3gpuE9ELNS1_3repE0EEENS1_60segmented_radix_sort_warp_sort_medium_config_static_selectorELNS0_4arch9wavefront6targetE1EEEvSK_,"axG",@progbits,_ZN7rocprim17ROCPRIM_400000_NS6detail17trampoline_kernelINS0_14default_configENS1_36segmented_radix_sort_config_selectorIslEEZNS1_25segmented_radix_sort_implIS3_Lb0EPKsPsPKlPlN2at6native12_GLOBAL__N_18offset_tEEE10hipError_tPvRmT1_PNSt15iterator_traitsISK_E10value_typeET2_T3_PNSL_ISQ_E10value_typeET4_jRbjT5_SW_jjP12ihipStream_tbEUlT_E0_NS1_11comp_targetILNS1_3genE5ELNS1_11target_archE942ELNS1_3gpuE9ELNS1_3repE0EEENS1_60segmented_radix_sort_warp_sort_medium_config_static_selectorELNS0_4arch9wavefront6targetE1EEEvSK_,comdat
.Lfunc_end1024:
	.size	_ZN7rocprim17ROCPRIM_400000_NS6detail17trampoline_kernelINS0_14default_configENS1_36segmented_radix_sort_config_selectorIslEEZNS1_25segmented_radix_sort_implIS3_Lb0EPKsPsPKlPlN2at6native12_GLOBAL__N_18offset_tEEE10hipError_tPvRmT1_PNSt15iterator_traitsISK_E10value_typeET2_T3_PNSL_ISQ_E10value_typeET4_jRbjT5_SW_jjP12ihipStream_tbEUlT_E0_NS1_11comp_targetILNS1_3genE5ELNS1_11target_archE942ELNS1_3gpuE9ELNS1_3repE0EEENS1_60segmented_radix_sort_warp_sort_medium_config_static_selectorELNS0_4arch9wavefront6targetE1EEEvSK_, .Lfunc_end1024-_ZN7rocprim17ROCPRIM_400000_NS6detail17trampoline_kernelINS0_14default_configENS1_36segmented_radix_sort_config_selectorIslEEZNS1_25segmented_radix_sort_implIS3_Lb0EPKsPsPKlPlN2at6native12_GLOBAL__N_18offset_tEEE10hipError_tPvRmT1_PNSt15iterator_traitsISK_E10value_typeET2_T3_PNSL_ISQ_E10value_typeET4_jRbjT5_SW_jjP12ihipStream_tbEUlT_E0_NS1_11comp_targetILNS1_3genE5ELNS1_11target_archE942ELNS1_3gpuE9ELNS1_3repE0EEENS1_60segmented_radix_sort_warp_sort_medium_config_static_selectorELNS0_4arch9wavefront6targetE1EEEvSK_
                                        ; -- End function
	.section	.AMDGPU.csdata,"",@progbits
; Kernel info:
; codeLenInByte = 0
; NumSgprs: 4
; NumVgprs: 0
; NumAgprs: 0
; TotalNumVgprs: 0
; ScratchSize: 0
; MemoryBound: 0
; FloatMode: 240
; IeeeMode: 1
; LDSByteSize: 0 bytes/workgroup (compile time only)
; SGPRBlocks: 0
; VGPRBlocks: 0
; NumSGPRsForWavesPerEU: 4
; NumVGPRsForWavesPerEU: 1
; AccumOffset: 4
; Occupancy: 8
; WaveLimiterHint : 0
; COMPUTE_PGM_RSRC2:SCRATCH_EN: 0
; COMPUTE_PGM_RSRC2:USER_SGPR: 6
; COMPUTE_PGM_RSRC2:TRAP_HANDLER: 0
; COMPUTE_PGM_RSRC2:TGID_X_EN: 1
; COMPUTE_PGM_RSRC2:TGID_Y_EN: 0
; COMPUTE_PGM_RSRC2:TGID_Z_EN: 0
; COMPUTE_PGM_RSRC2:TIDIG_COMP_CNT: 0
; COMPUTE_PGM_RSRC3_GFX90A:ACCUM_OFFSET: 0
; COMPUTE_PGM_RSRC3_GFX90A:TG_SPLIT: 0
	.text
	.p2align	2                               ; -- Begin function _ZN7rocprim17ROCPRIM_400000_NS6detail26segmented_warp_sort_helperINS1_20WarpSortHelperConfigILj32ELj4ELj256EEEslLi256ELb0EvE4sortIPKsPsPKlPlEEvT_T0_T1_T2_jjjjRNS5_12storage_typeE
	.type	_ZN7rocprim17ROCPRIM_400000_NS6detail26segmented_warp_sort_helperINS1_20WarpSortHelperConfigILj32ELj4ELj256EEEslLi256ELb0EvE4sortIPKsPsPKlPlEEvT_T0_T1_T2_jjjjRNS5_12storage_typeE,@function
_ZN7rocprim17ROCPRIM_400000_NS6detail26segmented_warp_sort_helperINS1_20WarpSortHelperConfigILj32ELj4ELj256EEEslLi256ELb0EvE4sortIPKsPsPKlPlEEvT_T0_T1_T2_jjjjRNS5_12storage_typeE: ; @_ZN7rocprim17ROCPRIM_400000_NS6detail26segmented_warp_sort_helperINS1_20WarpSortHelperConfigILj32ELj4ELj256EEEslLi256ELb0EvE4sortIPKsPsPKlPlEEvT_T0_T1_T2_jjjjRNS5_12storage_typeE
; %bb.0:
	s_waitcnt vmcnt(0) expcnt(0) lgkmcnt(0)
	v_mbcnt_lo_u32_b32 v15, -1, 0
	v_sub_u32_e32 v14, v9, v8
	v_mov_b32_e32 v9, 0
	v_mbcnt_hi_u32_b32 v15, -1, v15
	v_lshlrev_b64 v[80:81], 1, v[8:9]
	v_lshlrev_b32_e32 v83, 2, v15
	v_add_co_u32_e32 v0, vcc, v0, v80
	v_and_b32_e32 v84, 0x7c, v83
	v_addc_co_u32_e32 v1, vcc, v1, v81, vcc
	v_lshlrev_b32_e32 v30, 1, v84
	v_add_co_u32_e32 v0, vcc, v0, v30
	v_addc_co_u32_e32 v1, vcc, 0, v1, vcc
	s_mov_b32 s16, s13
	s_mov_b32 s17, s12
	v_cmp_lt_u32_e32 vcc, v84, v14
	v_mov_b32_e32 v85, 0x7fff
	v_mov_b32_e32 v87, 0x7fff
	s_and_saveexec_b64 s[4:5], vcc
	s_cbranch_execz .LBB1025_2
; %bb.1:
	flat_load_ushort v87, v[0:1]
.LBB1025_2:
	s_or_b64 exec, exec, s[4:5]
	v_or_b32_e32 v15, 1, v84
	v_cmp_lt_u32_e64 s[4:5], v15, v14
	s_and_saveexec_b64 s[6:7], s[4:5]
	s_cbranch_execz .LBB1025_4
; %bb.3:
	flat_load_ushort v85, v[0:1] offset:2
.LBB1025_4:
	s_or_b64 exec, exec, s[6:7]
	v_or_b32_e32 v15, 2, v84
	v_cmp_lt_u32_e64 s[6:7], v15, v14
	v_mov_b32_e32 v86, 0x7fff
	v_mov_b32_e32 v48, 0x7fff
	s_and_saveexec_b64 s[10:11], s[6:7]
	s_cbranch_execz .LBB1025_6
; %bb.5:
	flat_load_ushort v48, v[0:1] offset:4
.LBB1025_6:
	s_or_b64 exec, exec, s[10:11]
	v_or_b32_e32 v15, 3, v84
	v_cmp_lt_u32_e64 s[10:11], v15, v14
	s_and_saveexec_b64 s[12:13], s[10:11]
	s_cbranch_execz .LBB1025_8
; %bb.7:
	flat_load_ushort v86, v[0:1] offset:6
.LBB1025_8:
	s_or_b64 exec, exec, s[12:13]
	v_lshlrev_b64 v[8:9], 3, v[8:9]
	v_add_co_u32_e64 v0, s[12:13], v4, v8
	v_addc_co_u32_e64 v1, s[12:13], v5, v9, s[12:13]
	v_lshlrev_b32_e32 v82, 3, v84
	v_add_co_u32_e64 v0, s[12:13], v0, v82
	v_addc_co_u32_e64 v1, s[12:13], 0, v1, s[12:13]
	; wave barrier
                                        ; implicit-def: $vgpr14_vgpr15
	s_and_saveexec_b64 s[12:13], vcc
	s_cbranch_execz .LBB1025_10
; %bb.9:
	flat_load_dwordx2 v[14:15], v[0:1]
.LBB1025_10:
	s_or_b64 exec, exec, s[12:13]
	s_and_saveexec_b64 s[12:13], s[4:5]
                                        ; implicit-def: $vgpr32_vgpr33_vgpr34_vgpr35_vgpr36_vgpr37_vgpr38_vgpr39
                                        ; implicit-def: $vgpr22_vgpr23_vgpr24_vgpr25_vgpr26_vgpr27_vgpr28_vgpr29
	s_cbranch_execz .LBB1025_138
; %bb.11:
	flat_load_dwordx2 v[16:17], v[0:1] offset:8
                                        ; implicit-def: $vgpr32_vgpr33_vgpr34_vgpr35_vgpr36_vgpr37_vgpr38_vgpr39
                                        ; implicit-def: $vgpr22_vgpr23_vgpr24_vgpr25_vgpr26_vgpr27_vgpr28_vgpr29
	s_or_b64 exec, exec, s[12:13]
                                        ; implicit-def: $vgpr18_vgpr19
	s_and_saveexec_b64 s[12:13], s[6:7]
	s_cbranch_execnz .LBB1025_139
.LBB1025_12:
	s_or_b64 exec, exec, s[12:13]
	s_and_saveexec_b64 s[12:13], s[10:11]
	s_cbranch_execz .LBB1025_14
.LBB1025_13:
	flat_load_dwordx2 v[28:29], v[0:1] offset:24
	s_waitcnt vmcnt(0) lgkmcnt(0)
	v_pk_mov_b32 v[20:21], v[28:29], v[28:29] op_sel:[0,1]
.LBB1025_14:
	s_or_b64 exec, exec, s[12:13]
	v_cmp_ne_u32_e64 s[12:13], 0, v10
	v_cmp_ne_u32_e64 s[14:15], 16, v11
	s_or_b64 s[12:13], s[12:13], s[14:15]
	v_bfe_u32 v0, v31, 10, 10
	v_bfe_u32 v4, v31, 20, 10
	; wave barrier
	s_and_saveexec_b64 s[14:15], s[12:13]
	s_xor_b64 s[26:27], exec, s[14:15]
	s_cbranch_execz .LBB1025_78
; %bb.15:
	s_load_dwordx2 s[12:13], s[8:9], 0x0
	v_mov_b32_e32 v1, 0
	v_lshlrev_b32_e64 v10, v10, -1
	s_waitcnt lgkmcnt(0)
	s_cmp_lt_u32 s17, s12
	s_cselect_b32 s14, 12, 18
	s_cmp_lt_u32 s16, s13
	s_cselect_b32 s12, 14, 20
	s_add_u32 s12, s8, s12
	s_addc_u32 s13, s9, 0
	s_add_u32 s14, s8, s14
	s_addc_u32 s15, s9, 0
	global_load_ushort v5, v1, s[12:13]
	global_load_ushort v22, v1, s[14:15]
	v_lshlrev_b32_e64 v1, v11, -1
	v_and_b32_e32 v11, 0x3ff, v31
	v_xor_b32_e32 v31, v1, v10
	s_movk_i32 s12, 0x400
	s_waitcnt vmcnt(0)
	v_mad_u32_u24 v0, v4, v5, v0
	v_mul_lo_u32 v0, v0, v22
	v_add_lshl_u32 v10, v0, v11, 2
	v_cmp_gt_u32_e64 s[12:13], s12, v10
	s_and_saveexec_b64 s[18:19], s[12:13]
	s_cbranch_execz .LBB1025_27
; %bb.16:
	v_and_b32_e32 v0, v85, v31
	v_and_b32_e32 v1, v87, v31
	v_cmp_gt_i16_e64 s[12:13], v1, v0
	v_cndmask_b32_e64 v4, v16, v14, s[12:13]
	v_cndmask_b32_e64 v0, v14, v16, s[12:13]
	v_and_b32_e32 v14, v86, v31
	v_and_b32_e32 v34, v48, v31
	v_cndmask_b32_e64 v5, v17, v15, s[12:13]
	v_cndmask_b32_e64 v1, v15, v17, s[12:13]
	v_cmp_gt_i16_e64 s[14:15], v34, v14
	v_mov_b32_e32 v11, v48
	s_and_saveexec_b64 s[20:21], s[14:15]
; %bb.17:
	v_pk_mov_b32 v[16:17], v[36:37], v[36:37] op_sel:[0,1]
	v_mov_b32_e32 v11, v86
	v_mov_b32_e32 v86, v48
	;; [unrolled: 1-line block ×3, first 2 shown]
	v_pk_mov_b32 v[36:37], v[28:29], v[28:29] op_sel:[0,1]
	v_pk_mov_b32 v[28:29], v[16:17], v[16:17] op_sel:[0,1]
; %bb.18:
	s_or_b64 exec, exec, s[20:21]
	v_cndmask_b32_e64 v35, v85, v87, s[12:13]
	v_and_b32_e32 v33, v35, v31
	v_cmp_le_i16_e64 s[14:15], v33, v34
                                        ; implicit-def: $vgpr32
	s_and_saveexec_b64 s[20:21], s[14:15]
	s_xor_b64 s[14:15], exec, s[20:21]
                                        ; implicit-def: $vgpr48_vgpr49_vgpr50_vgpr51_vgpr52_vgpr53_vgpr54_vgpr55
                                        ; implicit-def: $vgpr64_vgpr65_vgpr66_vgpr67_vgpr68_vgpr69_vgpr70_vgpr71
                                        ; implicit-def: $vgpr14_vgpr15_vgpr16_vgpr17_vgpr18_vgpr19_vgpr20_vgpr21
; %bb.19:
	v_mov_b32_e32 v50, v4
	v_mov_b32_e32 v67, v5
	;; [unrolled: 1-line block ×6, first 2 shown]
	v_and_b32_e32 v32, v11, v31
                                        ; implicit-def: $vgpr36_vgpr37
                                        ; implicit-def: $vgpr34
                                        ; implicit-def: $vgpr22_vgpr23_vgpr24_vgpr25_vgpr26_vgpr27_vgpr28_vgpr29
; %bb.20:
	s_or_saveexec_b64 s[14:15], s[14:15]
	v_mov_b32_e32 v18, v35
	s_xor_b64 exec, exec, s[14:15]
; %bb.21:
	v_mov_b32_e32 v50, v36
	v_mov_b32_e32 v67, v37
	;; [unrolled: 1-line block ×8, first 2 shown]
; %bb.22:
	s_or_b64 exec, exec, s[14:15]
	v_cndmask_b32_e64 v19, v87, v85, s[12:13]
	v_and_b32_e32 v14, v19, v31
	v_cmp_gt_i16_e64 s[12:13], v14, v33
	v_cndmask_b32_e64 v16, v50, v0, s[12:13]
	v_cndmask_b32_e64 v14, v0, v50, s[12:13]
	v_and_b32_e32 v0, v86, v31
	v_cndmask_b32_e64 v17, v67, v1, s[12:13]
	v_cndmask_b32_e64 v15, v1, v67, s[12:13]
	v_cmp_gt_i16_e64 s[14:15], v32, v0
	v_mov_b32_e32 v22, v11
	s_and_saveexec_b64 s[20:21], s[14:15]
; %bb.23:
	v_pk_mov_b32 v[24:25], v[4:5], v[4:5] op_sel:[0,1]
	v_mov_b32_e32 v22, v86
	v_mov_b32_e32 v86, v11
	;; [unrolled: 1-line block ×3, first 2 shown]
	v_pk_mov_b32 v[4:5], v[20:21], v[20:21] op_sel:[0,1]
	v_pk_mov_b32 v[20:21], v[24:25], v[24:25] op_sel:[0,1]
; %bb.24:
	s_or_b64 exec, exec, s[20:21]
	v_cndmask_b32_e64 v85, v18, v19, s[12:13]
	v_and_b32_e32 v0, v85, v31
	v_cmp_gt_i16_e64 s[14:15], v0, v32
	v_pk_mov_b32 v[0:1], v[4:5], v[4:5] op_sel:[0,1]
	v_mov_b32_e32 v48, v22
	s_and_saveexec_b64 s[20:21], s[14:15]
; %bb.25:
	v_pk_mov_b32 v[0:1], v[16:17], v[16:17] op_sel:[0,1]
	v_pk_mov_b32 v[16:17], v[4:5], v[4:5] op_sel:[0,1]
	v_mov_b32_e32 v48, v85
	v_mov_b32_e32 v85, v22
; %bb.26:
	s_or_b64 exec, exec, s[20:21]
	v_cndmask_b32_e64 v87, v19, v18, s[12:13]
	v_pk_mov_b32 v[18:19], v[0:1], v[0:1] op_sel:[0,1]
.LBB1025_27:
	s_or_b64 exec, exec, s[18:19]
	v_and_b32_e32 v24, 0xffffff00, v10
	v_mov_b32_e32 v25, 0
	s_movk_i32 s12, 0x400
	v_lshlrev_b64 v[0:1], 1, v[24:25]
	v_sub_u32_e64 v28, s12, v24 clamp
	v_add_co_u32_e64 v4, s[12:13], v12, v0
	v_addc_co_u32_e64 v5, s[12:13], v13, v1, s[12:13]
	v_mad_u64_u32 v[0:1], s[12:13], v24, 6, v[4:5]
	v_lshlrev_b32_e32 v10, 1, v83
	v_add_co_u32_e64 v10, s[12:13], v4, v10
	v_addc_co_u32_e64 v11, s[12:13], 0, v5, s[12:13]
	v_lshlrev_b32_e32 v12, 3, v83
	v_add_co_u32_e64 v22, s[12:13], v0, v12
	v_addc_co_u32_e64 v23, s[12:13], 0, v1, s[12:13]
	s_movk_i32 s12, 0x800
	v_add_co_u32_e64 v12, s[12:13], s12, v22
	v_addc_co_u32_e64 v13, s[12:13], 0, v23, s[12:13]
	v_or_b32_e32 v24, 4, v83
	s_mov_b32 s12, 0x5040100
	v_min_u32_e32 v29, v28, v24
	v_perm_b32 v27, v86, v48, s12
	v_perm_b32 v26, v85, v87, s12
	v_add_u32_e32 v24, 4, v29
	flat_store_dwordx4 v[22:23], v[14:17] offset:2048
	flat_store_dwordx2 v[10:11], v[26:27]
	flat_store_dwordx4 v[22:23], v[18:21] offset:2064
	v_and_b32_e32 v26, 0x1f8, v83
	v_min_u32_e32 v32, v28, v24
	v_and_b32_e32 v24, 4, v83
	v_min_u32_e32 v27, v28, v24
	v_sub_u32_e32 v24, v29, v26
	v_sub_u32_e32 v33, v32, v29
	v_sub_u32_e64 v33, v27, v33 clamp
	v_min_u32_e32 v34, v27, v24
	v_cmp_lt_u32_e64 s[12:13], v33, v34
	; wave barrier
	s_and_saveexec_b64 s[14:15], s[12:13]
	s_cbranch_execz .LBB1025_31
; %bb.28:
	v_lshlrev_b32_e32 v24, 1, v26
	v_add_co_u32_e64 v35, s[12:13], v4, v24
	v_addc_co_u32_e64 v36, s[12:13], 0, v5, s[12:13]
	v_lshlrev_b32_e32 v24, 1, v29
	v_add_co_u32_e64 v37, s[12:13], v4, v24
	v_addc_co_u32_e64 v38, s[12:13], 0, v5, s[12:13]
	s_mov_b64 s[18:19], 0
.LBB1025_29:                            ; =>This Inner Loop Header: Depth=1
	v_add_u32_e32 v24, v34, v33
	v_and_b32_e32 v49, -2, v24
	v_lshrrev_b32_e32 v39, 1, v24
	v_add_co_u32_e64 v50, s[12:13], v35, v49
	v_xad_u32 v24, v39, -1, v27
	v_addc_co_u32_e64 v51, s[12:13], 0, v36, s[12:13]
	flat_load_ushort v49, v[50:51]
	v_lshlrev_b64 v[50:51], 1, v[24:25]
	v_add_co_u32_e64 v50, s[12:13], v37, v50
	v_addc_co_u32_e64 v51, s[12:13], v38, v51, s[12:13]
	flat_load_ushort v24, v[50:51]
	v_add_u32_e32 v50, 1, v39
	s_waitcnt vmcnt(0) lgkmcnt(0)
	v_and_b32_e32 v49, v49, v31
	v_and_b32_e32 v24, v24, v31
	v_cmp_gt_i16_e64 s[12:13], v49, v24
	v_cndmask_b32_e64 v34, v34, v39, s[12:13]
	v_cndmask_b32_e64 v33, v50, v33, s[12:13]
	v_cmp_ge_u32_e64 s[12:13], v33, v34
	s_or_b64 s[18:19], s[12:13], s[18:19]
	s_andn2_b64 exec, exec, s[18:19]
	s_cbranch_execnz .LBB1025_29
; %bb.30:
	s_or_b64 exec, exec, s[18:19]
.LBB1025_31:
	s_or_b64 exec, exec, s[14:15]
	v_add_u32_e32 v25, v29, v27
	v_add_u32_e32 v24, v33, v26
	v_sub_u32_e32 v26, v25, v33
	v_cmp_le_u32_e64 s[12:13], v24, v29
	v_cmp_le_u32_e64 s[14:15], v26, v32
	s_or_b64 s[12:13], s[12:13], s[14:15]
	s_and_saveexec_b64 s[28:29], s[12:13]
	s_cbranch_execz .LBB1025_37
; %bb.32:
	v_cmp_lt_u32_e64 s[12:13], v24, v29
                                        ; implicit-def: $vgpr25
	s_and_saveexec_b64 s[18:19], s[12:13]
	s_cbranch_execz .LBB1025_34
; %bb.33:
	v_mov_b32_e32 v25, 0
	v_lshlrev_b64 v[14:15], 1, v[24:25]
	v_add_co_u32_e64 v14, s[14:15], v4, v14
	v_addc_co_u32_e64 v15, s[14:15], v5, v15, s[14:15]
	flat_load_ushort v25, v[14:15]
.LBB1025_34:
	s_or_b64 exec, exec, s[18:19]
	v_cmp_ge_u32_e64 s[14:15], v26, v32
	v_cmp_lt_u32_e64 s[18:19], v26, v32
                                        ; implicit-def: $vgpr27
	s_and_saveexec_b64 s[20:21], s[18:19]
	s_cbranch_execz .LBB1025_36
; %bb.35:
	v_mov_b32_e32 v27, 0
	v_lshlrev_b64 v[14:15], 1, v[26:27]
	v_add_co_u32_e64 v14, s[18:19], v4, v14
	v_addc_co_u32_e64 v15, s[18:19], v5, v15, s[18:19]
	flat_load_ushort v27, v[14:15]
.LBB1025_36:
	s_or_b64 exec, exec, s[20:21]
	s_waitcnt vmcnt(0) lgkmcnt(0)
	v_and_b32_e32 v14, v27, v31
	v_and_b32_e32 v15, v25, v31
	v_cmp_le_i16_e64 s[18:19], v15, v14
	s_and_b64 s[12:13], s[12:13], s[18:19]
	s_or_b64 s[12:13], s[14:15], s[12:13]
	v_cndmask_b32_e64 v20, v26, v24, s[12:13]
	v_cndmask_b32_e64 v16, v32, v29, s[12:13]
	v_mov_b32_e32 v21, 0
	v_add_u32_e32 v18, 1, v20
	v_add_u32_e32 v16, -1, v16
	v_lshlrev_b64 v[14:15], 3, v[20:21]
	v_min_u32_e32 v20, v18, v16
	v_lshlrev_b64 v[16:17], 1, v[20:21]
	v_add_co_u32_e64 v16, s[14:15], v4, v16
	v_addc_co_u32_e64 v17, s[14:15], v5, v17, s[14:15]
	flat_load_ushort v16, v[16:17]
	v_cndmask_b32_e64 v24, v24, v18, s[12:13]
	v_cndmask_b32_e64 v26, v18, v26, s[12:13]
	v_cmp_lt_u32_e64 s[18:19], v24, v29
	v_cmp_ge_u32_e64 s[14:15], v26, v32
	v_cndmask_b32_e64 v87, v27, v25, s[12:13]
	s_waitcnt vmcnt(0) lgkmcnt(0)
	v_cndmask_b32_e64 v33, v16, v27, s[12:13]
	v_cndmask_b32_e64 v36, v25, v16, s[12:13]
	v_and_b32_e32 v16, v33, v31
	v_and_b32_e32 v17, v36, v31
	v_cmp_le_i16_e64 s[20:21], v17, v16
	s_and_b64 s[18:19], s[18:19], s[20:21]
	s_or_b64 s[14:15], s[14:15], s[18:19]
	v_cndmask_b32_e64 v20, v26, v24, s[14:15]
	v_cndmask_b32_e64 v18, v32, v29, s[14:15]
	v_add_u32_e32 v34, 1, v20
	v_add_u32_e32 v18, -1, v18
	v_lshlrev_b64 v[16:17], 3, v[20:21]
	v_min_u32_e32 v20, v34, v18
	v_lshlrev_b64 v[18:19], 1, v[20:21]
	v_add_co_u32_e64 v18, s[18:19], v4, v18
	v_addc_co_u32_e64 v19, s[18:19], v5, v19, s[18:19]
	flat_load_ushort v18, v[18:19]
	v_cndmask_b32_e64 v24, v24, v34, s[14:15]
	v_cndmask_b32_e64 v26, v34, v26, s[14:15]
	v_cmp_lt_u32_e64 s[20:21], v24, v29
	v_cmp_ge_u32_e64 s[18:19], v26, v32
	v_cndmask_b32_e64 v85, v33, v36, s[14:15]
	s_waitcnt vmcnt(0) lgkmcnt(0)
	v_cndmask_b32_e64 v37, v18, v33, s[14:15]
	v_cndmask_b32_e64 v38, v36, v18, s[14:15]
	v_and_b32_e32 v18, v37, v31
	v_and_b32_e32 v19, v38, v31
	v_cmp_le_i16_e64 s[22:23], v19, v18
	s_and_b64 s[20:21], s[20:21], s[22:23]
	s_or_b64 s[18:19], s[18:19], s[20:21]
	v_cndmask_b32_e64 v20, v26, v24, s[18:19]
	v_cndmask_b32_e64 v34, v32, v29, s[18:19]
	v_lshlrev_b64 v[18:19], 3, v[20:21]
	v_add_u32_e32 v39, 1, v20
	v_add_u32_e32 v20, -1, v34
	v_min_u32_e32 v20, v39, v20
	v_lshlrev_b64 v[34:35], 1, v[20:21]
	v_add_co_u32_e64 v34, s[20:21], v4, v34
	v_addc_co_u32_e64 v35, s[20:21], v5, v35, s[20:21]
	flat_load_ushort v20, v[34:35]
	v_add_co_u32_e64 v14, s[20:21], v0, v14
	v_addc_co_u32_e64 v15, s[20:21], v1, v15, s[20:21]
	v_add_co_u32_e64 v16, s[20:21], v0, v16
	v_addc_co_u32_e64 v17, s[20:21], v1, v17, s[20:21]
	v_add_co_u32_e64 v18, s[20:21], v0, v18
	v_addc_co_u32_e64 v19, s[20:21], v1, v19, s[20:21]
	v_cndmask_b32_e64 v26, v39, v26, s[18:19]
	v_cndmask_b32_e64 v24, v24, v39, s[18:19]
	v_cmp_ge_u32_e64 s[20:21], v26, v32
	v_cmp_lt_u32_e64 s[22:23], v24, v29
	flat_load_dwordx2 v[14:15], v[14:15] offset:2048
	v_cndmask_b32_e64 v48, v37, v38, s[18:19]
	flat_load_dwordx2 v[16:17], v[16:17] offset:2048
	s_waitcnt vmcnt(0) lgkmcnt(0)
	v_cndmask_b32_e64 v29, v20, v37, s[18:19]
	flat_load_dwordx2 v[18:19], v[18:19] offset:2048
	v_cndmask_b32_e64 v32, v38, v20, s[18:19]
	v_and_b32_e32 v20, v29, v31
	v_and_b32_e32 v34, v32, v31
	v_cmp_le_i16_e64 s[24:25], v34, v20
	s_and_b64 s[22:23], s[22:23], s[24:25]
	s_or_b64 s[20:21], s[20:21], s[22:23]
	v_cndmask_b32_e64 v20, v26, v24, s[20:21]
	v_lshlrev_b64 v[20:21], 3, v[20:21]
	v_add_co_u32_e64 v20, s[22:23], v0, v20
	v_addc_co_u32_e64 v21, s[22:23], v1, v21, s[22:23]
	flat_load_dwordx2 v[20:21], v[20:21] offset:2048
	v_cndmask_b32_e64 v86, v29, v32, s[20:21]
.LBB1025_37:
	s_or_b64 exec, exec, s[28:29]
	s_mov_b32 s12, 0x5040100
	v_perm_b32 v25, v86, v48, s12
	v_perm_b32 v24, v85, v87, s12
	v_and_b32_e32 v26, 0x1f0, v83
	; wave barrier
	flat_store_dwordx4 v[22:23], v[14:17] offset:2048
	flat_store_dwordx2 v[10:11], v[24:25]
	s_waitcnt vmcnt(0) lgkmcnt(0)
	flat_store_dwordx4 v[12:13], v[18:21] offset:16
	v_or_b32_e32 v24, 8, v26
	v_min_u32_e32 v29, v28, v24
	v_add_u32_e32 v24, 8, v29
	v_min_u32_e32 v32, v28, v24
	v_and_b32_e32 v24, 12, v83
	v_min_u32_e32 v27, v28, v24
	v_sub_u32_e32 v24, v29, v26
	v_sub_u32_e32 v25, v32, v29
	v_sub_u32_e64 v33, v27, v25 clamp
	v_min_u32_e32 v34, v27, v24
	v_cmp_lt_u32_e64 s[12:13], v33, v34
	; wave barrier
	s_and_saveexec_b64 s[14:15], s[12:13]
	s_cbranch_execz .LBB1025_41
; %bb.38:
	v_lshlrev_b32_e32 v24, 1, v26
	v_add_co_u32_e64 v35, s[12:13], v4, v24
	v_addc_co_u32_e64 v36, s[12:13], 0, v5, s[12:13]
	v_lshlrev_b32_e32 v24, 1, v29
	v_add_co_u32_e64 v37, s[12:13], v4, v24
	v_addc_co_u32_e64 v38, s[12:13], 0, v5, s[12:13]
	s_mov_b64 s[18:19], 0
	v_mov_b32_e32 v25, 0
.LBB1025_39:                            ; =>This Inner Loop Header: Depth=1
	v_add_u32_e32 v24, v34, v33
	v_and_b32_e32 v49, -2, v24
	v_lshrrev_b32_e32 v39, 1, v24
	v_add_co_u32_e64 v50, s[12:13], v35, v49
	v_xad_u32 v24, v39, -1, v27
	v_addc_co_u32_e64 v51, s[12:13], 0, v36, s[12:13]
	flat_load_ushort v49, v[50:51]
	v_lshlrev_b64 v[50:51], 1, v[24:25]
	v_add_co_u32_e64 v50, s[12:13], v37, v50
	v_addc_co_u32_e64 v51, s[12:13], v38, v51, s[12:13]
	flat_load_ushort v24, v[50:51]
	v_add_u32_e32 v50, 1, v39
	s_waitcnt vmcnt(0) lgkmcnt(0)
	v_and_b32_e32 v49, v49, v31
	v_and_b32_e32 v24, v24, v31
	v_cmp_gt_i16_e64 s[12:13], v49, v24
	v_cndmask_b32_e64 v34, v34, v39, s[12:13]
	v_cndmask_b32_e64 v33, v50, v33, s[12:13]
	v_cmp_ge_u32_e64 s[12:13], v33, v34
	s_or_b64 s[18:19], s[12:13], s[18:19]
	s_andn2_b64 exec, exec, s[18:19]
	s_cbranch_execnz .LBB1025_39
; %bb.40:
	s_or_b64 exec, exec, s[18:19]
.LBB1025_41:
	s_or_b64 exec, exec, s[14:15]
	v_add_u32_e32 v25, v29, v27
	v_add_u32_e32 v24, v33, v26
	v_sub_u32_e32 v26, v25, v33
	v_cmp_le_u32_e64 s[12:13], v24, v29
	v_cmp_le_u32_e64 s[14:15], v26, v32
	s_or_b64 s[12:13], s[12:13], s[14:15]
	s_and_saveexec_b64 s[28:29], s[12:13]
	s_cbranch_execz .LBB1025_47
; %bb.42:
	v_cmp_lt_u32_e64 s[12:13], v24, v29
                                        ; implicit-def: $vgpr25
	s_and_saveexec_b64 s[18:19], s[12:13]
	s_cbranch_execz .LBB1025_44
; %bb.43:
	v_mov_b32_e32 v25, 0
	v_lshlrev_b64 v[14:15], 1, v[24:25]
	v_add_co_u32_e64 v14, s[14:15], v4, v14
	v_addc_co_u32_e64 v15, s[14:15], v5, v15, s[14:15]
	flat_load_ushort v25, v[14:15]
.LBB1025_44:
	s_or_b64 exec, exec, s[18:19]
	v_cmp_ge_u32_e64 s[14:15], v26, v32
	v_cmp_lt_u32_e64 s[18:19], v26, v32
                                        ; implicit-def: $vgpr27
	s_and_saveexec_b64 s[20:21], s[18:19]
	s_cbranch_execz .LBB1025_46
; %bb.45:
	v_mov_b32_e32 v27, 0
	v_lshlrev_b64 v[14:15], 1, v[26:27]
	v_add_co_u32_e64 v14, s[18:19], v4, v14
	v_addc_co_u32_e64 v15, s[18:19], v5, v15, s[18:19]
	flat_load_ushort v27, v[14:15]
.LBB1025_46:
	s_or_b64 exec, exec, s[20:21]
	s_waitcnt vmcnt(0) lgkmcnt(0)
	v_and_b32_e32 v14, v27, v31
	v_and_b32_e32 v15, v25, v31
	v_cmp_le_i16_e64 s[18:19], v15, v14
	s_and_b64 s[12:13], s[12:13], s[18:19]
	s_or_b64 s[12:13], s[14:15], s[12:13]
	v_cndmask_b32_e64 v20, v26, v24, s[12:13]
	v_cndmask_b32_e64 v16, v32, v29, s[12:13]
	v_mov_b32_e32 v21, 0
	v_add_u32_e32 v18, 1, v20
	v_add_u32_e32 v16, -1, v16
	v_lshlrev_b64 v[14:15], 3, v[20:21]
	v_min_u32_e32 v20, v18, v16
	v_lshlrev_b64 v[16:17], 1, v[20:21]
	v_add_co_u32_e64 v16, s[14:15], v4, v16
	v_addc_co_u32_e64 v17, s[14:15], v5, v17, s[14:15]
	flat_load_ushort v16, v[16:17]
	v_cndmask_b32_e64 v24, v24, v18, s[12:13]
	v_cndmask_b32_e64 v26, v18, v26, s[12:13]
	v_cmp_lt_u32_e64 s[18:19], v24, v29
	v_cmp_ge_u32_e64 s[14:15], v26, v32
	v_cndmask_b32_e64 v87, v27, v25, s[12:13]
	s_waitcnt vmcnt(0) lgkmcnt(0)
	v_cndmask_b32_e64 v33, v16, v27, s[12:13]
	v_cndmask_b32_e64 v36, v25, v16, s[12:13]
	v_and_b32_e32 v16, v33, v31
	v_and_b32_e32 v17, v36, v31
	v_cmp_le_i16_e64 s[20:21], v17, v16
	s_and_b64 s[18:19], s[18:19], s[20:21]
	s_or_b64 s[14:15], s[14:15], s[18:19]
	v_cndmask_b32_e64 v20, v26, v24, s[14:15]
	v_cndmask_b32_e64 v18, v32, v29, s[14:15]
	v_add_u32_e32 v34, 1, v20
	v_add_u32_e32 v18, -1, v18
	v_lshlrev_b64 v[16:17], 3, v[20:21]
	v_min_u32_e32 v20, v34, v18
	v_lshlrev_b64 v[18:19], 1, v[20:21]
	v_add_co_u32_e64 v18, s[18:19], v4, v18
	v_addc_co_u32_e64 v19, s[18:19], v5, v19, s[18:19]
	flat_load_ushort v18, v[18:19]
	v_cndmask_b32_e64 v24, v24, v34, s[14:15]
	v_cndmask_b32_e64 v26, v34, v26, s[14:15]
	v_cmp_lt_u32_e64 s[20:21], v24, v29
	v_cmp_ge_u32_e64 s[18:19], v26, v32
	v_cndmask_b32_e64 v85, v33, v36, s[14:15]
	s_waitcnt vmcnt(0) lgkmcnt(0)
	v_cndmask_b32_e64 v37, v18, v33, s[14:15]
	v_cndmask_b32_e64 v38, v36, v18, s[14:15]
	v_and_b32_e32 v18, v37, v31
	v_and_b32_e32 v19, v38, v31
	v_cmp_le_i16_e64 s[22:23], v19, v18
	s_and_b64 s[20:21], s[20:21], s[22:23]
	s_or_b64 s[18:19], s[18:19], s[20:21]
	v_cndmask_b32_e64 v20, v26, v24, s[18:19]
	v_cndmask_b32_e64 v34, v32, v29, s[18:19]
	v_lshlrev_b64 v[18:19], 3, v[20:21]
	v_add_u32_e32 v39, 1, v20
	v_add_u32_e32 v20, -1, v34
	v_min_u32_e32 v20, v39, v20
	v_lshlrev_b64 v[34:35], 1, v[20:21]
	v_add_co_u32_e64 v34, s[20:21], v4, v34
	v_addc_co_u32_e64 v35, s[20:21], v5, v35, s[20:21]
	flat_load_ushort v20, v[34:35]
	v_add_co_u32_e64 v14, s[20:21], v0, v14
	v_addc_co_u32_e64 v15, s[20:21], v1, v15, s[20:21]
	v_add_co_u32_e64 v16, s[20:21], v0, v16
	v_addc_co_u32_e64 v17, s[20:21], v1, v17, s[20:21]
	;; [unrolled: 2-line block ×3, first 2 shown]
	v_cndmask_b32_e64 v26, v39, v26, s[18:19]
	v_cndmask_b32_e64 v24, v24, v39, s[18:19]
	v_cmp_ge_u32_e64 s[20:21], v26, v32
	v_cmp_lt_u32_e64 s[22:23], v24, v29
	flat_load_dwordx2 v[14:15], v[14:15] offset:2048
	v_cndmask_b32_e64 v48, v37, v38, s[18:19]
	flat_load_dwordx2 v[16:17], v[16:17] offset:2048
	s_waitcnt vmcnt(0) lgkmcnt(0)
	v_cndmask_b32_e64 v29, v20, v37, s[18:19]
	flat_load_dwordx2 v[18:19], v[18:19] offset:2048
	v_cndmask_b32_e64 v32, v38, v20, s[18:19]
	v_and_b32_e32 v20, v29, v31
	v_and_b32_e32 v34, v32, v31
	v_cmp_le_i16_e64 s[24:25], v34, v20
	s_and_b64 s[22:23], s[22:23], s[24:25]
	s_or_b64 s[20:21], s[20:21], s[22:23]
	v_cndmask_b32_e64 v20, v26, v24, s[20:21]
	v_lshlrev_b64 v[20:21], 3, v[20:21]
	v_add_co_u32_e64 v20, s[22:23], v0, v20
	v_addc_co_u32_e64 v21, s[22:23], v1, v21, s[22:23]
	flat_load_dwordx2 v[20:21], v[20:21] offset:2048
	v_cndmask_b32_e64 v86, v29, v32, s[20:21]
.LBB1025_47:
	s_or_b64 exec, exec, s[28:29]
	s_mov_b32 s12, 0x5040100
	v_perm_b32 v25, v86, v48, s12
	v_perm_b32 v24, v85, v87, s12
	v_and_b32_e32 v26, 0x1e0, v83
	; wave barrier
	flat_store_dwordx4 v[22:23], v[14:17] offset:2048
	flat_store_dwordx2 v[10:11], v[24:25]
	s_waitcnt vmcnt(0) lgkmcnt(0)
	flat_store_dwordx4 v[12:13], v[18:21] offset:16
	v_or_b32_e32 v24, 16, v26
	v_min_u32_e32 v29, v28, v24
	v_add_u32_e32 v24, 16, v29
	v_min_u32_e32 v32, v28, v24
	v_and_b32_e32 v24, 28, v83
	v_min_u32_e32 v27, v28, v24
	v_sub_u32_e32 v24, v29, v26
	v_sub_u32_e32 v25, v32, v29
	v_sub_u32_e64 v33, v27, v25 clamp
	v_min_u32_e32 v34, v27, v24
	v_cmp_lt_u32_e64 s[12:13], v33, v34
	; wave barrier
	s_and_saveexec_b64 s[14:15], s[12:13]
	s_cbranch_execz .LBB1025_51
; %bb.48:
	v_lshlrev_b32_e32 v24, 1, v26
	v_add_co_u32_e64 v35, s[12:13], v4, v24
	v_addc_co_u32_e64 v36, s[12:13], 0, v5, s[12:13]
	v_lshlrev_b32_e32 v24, 1, v29
	v_add_co_u32_e64 v37, s[12:13], v4, v24
	v_addc_co_u32_e64 v38, s[12:13], 0, v5, s[12:13]
	s_mov_b64 s[18:19], 0
	v_mov_b32_e32 v25, 0
.LBB1025_49:                            ; =>This Inner Loop Header: Depth=1
	v_add_u32_e32 v24, v34, v33
	v_and_b32_e32 v49, -2, v24
	v_lshrrev_b32_e32 v39, 1, v24
	v_add_co_u32_e64 v50, s[12:13], v35, v49
	v_xad_u32 v24, v39, -1, v27
	v_addc_co_u32_e64 v51, s[12:13], 0, v36, s[12:13]
	flat_load_ushort v49, v[50:51]
	v_lshlrev_b64 v[50:51], 1, v[24:25]
	v_add_co_u32_e64 v50, s[12:13], v37, v50
	v_addc_co_u32_e64 v51, s[12:13], v38, v51, s[12:13]
	flat_load_ushort v24, v[50:51]
	v_add_u32_e32 v50, 1, v39
	s_waitcnt vmcnt(0) lgkmcnt(0)
	v_and_b32_e32 v49, v49, v31
	v_and_b32_e32 v24, v24, v31
	v_cmp_gt_i16_e64 s[12:13], v49, v24
	v_cndmask_b32_e64 v34, v34, v39, s[12:13]
	v_cndmask_b32_e64 v33, v50, v33, s[12:13]
	v_cmp_ge_u32_e64 s[12:13], v33, v34
	s_or_b64 s[18:19], s[12:13], s[18:19]
	s_andn2_b64 exec, exec, s[18:19]
	s_cbranch_execnz .LBB1025_49
; %bb.50:
	s_or_b64 exec, exec, s[18:19]
.LBB1025_51:
	s_or_b64 exec, exec, s[14:15]
	v_add_u32_e32 v25, v29, v27
	v_add_u32_e32 v24, v33, v26
	v_sub_u32_e32 v26, v25, v33
	v_cmp_le_u32_e64 s[12:13], v24, v29
	v_cmp_le_u32_e64 s[14:15], v26, v32
	s_or_b64 s[12:13], s[12:13], s[14:15]
	s_and_saveexec_b64 s[28:29], s[12:13]
	s_cbranch_execz .LBB1025_57
; %bb.52:
	v_cmp_lt_u32_e64 s[12:13], v24, v29
                                        ; implicit-def: $vgpr25
	s_and_saveexec_b64 s[18:19], s[12:13]
	s_cbranch_execz .LBB1025_54
; %bb.53:
	v_mov_b32_e32 v25, 0
	v_lshlrev_b64 v[14:15], 1, v[24:25]
	v_add_co_u32_e64 v14, s[14:15], v4, v14
	v_addc_co_u32_e64 v15, s[14:15], v5, v15, s[14:15]
	flat_load_ushort v25, v[14:15]
.LBB1025_54:
	s_or_b64 exec, exec, s[18:19]
	v_cmp_ge_u32_e64 s[14:15], v26, v32
	v_cmp_lt_u32_e64 s[18:19], v26, v32
                                        ; implicit-def: $vgpr27
	s_and_saveexec_b64 s[20:21], s[18:19]
	s_cbranch_execz .LBB1025_56
; %bb.55:
	v_mov_b32_e32 v27, 0
	v_lshlrev_b64 v[14:15], 1, v[26:27]
	v_add_co_u32_e64 v14, s[18:19], v4, v14
	v_addc_co_u32_e64 v15, s[18:19], v5, v15, s[18:19]
	flat_load_ushort v27, v[14:15]
.LBB1025_56:
	s_or_b64 exec, exec, s[20:21]
	s_waitcnt vmcnt(0) lgkmcnt(0)
	v_and_b32_e32 v14, v27, v31
	v_and_b32_e32 v15, v25, v31
	v_cmp_le_i16_e64 s[18:19], v15, v14
	s_and_b64 s[12:13], s[12:13], s[18:19]
	s_or_b64 s[12:13], s[14:15], s[12:13]
	v_cndmask_b32_e64 v20, v26, v24, s[12:13]
	v_cndmask_b32_e64 v16, v32, v29, s[12:13]
	v_mov_b32_e32 v21, 0
	v_add_u32_e32 v18, 1, v20
	v_add_u32_e32 v16, -1, v16
	v_lshlrev_b64 v[14:15], 3, v[20:21]
	v_min_u32_e32 v20, v18, v16
	v_lshlrev_b64 v[16:17], 1, v[20:21]
	v_add_co_u32_e64 v16, s[14:15], v4, v16
	v_addc_co_u32_e64 v17, s[14:15], v5, v17, s[14:15]
	flat_load_ushort v16, v[16:17]
	v_cndmask_b32_e64 v24, v24, v18, s[12:13]
	v_cndmask_b32_e64 v26, v18, v26, s[12:13]
	v_cmp_lt_u32_e64 s[18:19], v24, v29
	v_cmp_ge_u32_e64 s[14:15], v26, v32
	v_cndmask_b32_e64 v87, v27, v25, s[12:13]
	s_waitcnt vmcnt(0) lgkmcnt(0)
	v_cndmask_b32_e64 v33, v16, v27, s[12:13]
	v_cndmask_b32_e64 v36, v25, v16, s[12:13]
	v_and_b32_e32 v16, v33, v31
	v_and_b32_e32 v17, v36, v31
	v_cmp_le_i16_e64 s[20:21], v17, v16
	s_and_b64 s[18:19], s[18:19], s[20:21]
	s_or_b64 s[14:15], s[14:15], s[18:19]
	v_cndmask_b32_e64 v20, v26, v24, s[14:15]
	v_cndmask_b32_e64 v18, v32, v29, s[14:15]
	v_add_u32_e32 v34, 1, v20
	v_add_u32_e32 v18, -1, v18
	v_lshlrev_b64 v[16:17], 3, v[20:21]
	v_min_u32_e32 v20, v34, v18
	v_lshlrev_b64 v[18:19], 1, v[20:21]
	v_add_co_u32_e64 v18, s[18:19], v4, v18
	v_addc_co_u32_e64 v19, s[18:19], v5, v19, s[18:19]
	flat_load_ushort v18, v[18:19]
	v_cndmask_b32_e64 v24, v24, v34, s[14:15]
	v_cndmask_b32_e64 v26, v34, v26, s[14:15]
	v_cmp_lt_u32_e64 s[20:21], v24, v29
	v_cmp_ge_u32_e64 s[18:19], v26, v32
	v_cndmask_b32_e64 v85, v33, v36, s[14:15]
	s_waitcnt vmcnt(0) lgkmcnt(0)
	v_cndmask_b32_e64 v37, v18, v33, s[14:15]
	v_cndmask_b32_e64 v38, v36, v18, s[14:15]
	v_and_b32_e32 v18, v37, v31
	v_and_b32_e32 v19, v38, v31
	v_cmp_le_i16_e64 s[22:23], v19, v18
	s_and_b64 s[20:21], s[20:21], s[22:23]
	s_or_b64 s[18:19], s[18:19], s[20:21]
	v_cndmask_b32_e64 v20, v26, v24, s[18:19]
	v_cndmask_b32_e64 v34, v32, v29, s[18:19]
	v_lshlrev_b64 v[18:19], 3, v[20:21]
	v_add_u32_e32 v39, 1, v20
	v_add_u32_e32 v20, -1, v34
	v_min_u32_e32 v20, v39, v20
	v_lshlrev_b64 v[34:35], 1, v[20:21]
	v_add_co_u32_e64 v34, s[20:21], v4, v34
	v_addc_co_u32_e64 v35, s[20:21], v5, v35, s[20:21]
	flat_load_ushort v20, v[34:35]
	v_add_co_u32_e64 v14, s[20:21], v0, v14
	v_addc_co_u32_e64 v15, s[20:21], v1, v15, s[20:21]
	v_add_co_u32_e64 v16, s[20:21], v0, v16
	v_addc_co_u32_e64 v17, s[20:21], v1, v17, s[20:21]
	v_add_co_u32_e64 v18, s[20:21], v0, v18
	v_addc_co_u32_e64 v19, s[20:21], v1, v19, s[20:21]
	v_cndmask_b32_e64 v26, v39, v26, s[18:19]
	v_cndmask_b32_e64 v24, v24, v39, s[18:19]
	v_cmp_ge_u32_e64 s[20:21], v26, v32
	v_cmp_lt_u32_e64 s[22:23], v24, v29
	flat_load_dwordx2 v[14:15], v[14:15] offset:2048
	v_cndmask_b32_e64 v48, v37, v38, s[18:19]
	flat_load_dwordx2 v[16:17], v[16:17] offset:2048
	s_waitcnt vmcnt(0) lgkmcnt(0)
	v_cndmask_b32_e64 v29, v20, v37, s[18:19]
	flat_load_dwordx2 v[18:19], v[18:19] offset:2048
	v_cndmask_b32_e64 v32, v38, v20, s[18:19]
	v_and_b32_e32 v20, v29, v31
	v_and_b32_e32 v34, v32, v31
	v_cmp_le_i16_e64 s[24:25], v34, v20
	s_and_b64 s[22:23], s[22:23], s[24:25]
	s_or_b64 s[20:21], s[20:21], s[22:23]
	v_cndmask_b32_e64 v20, v26, v24, s[20:21]
	v_lshlrev_b64 v[20:21], 3, v[20:21]
	v_add_co_u32_e64 v20, s[22:23], v0, v20
	v_addc_co_u32_e64 v21, s[22:23], v1, v21, s[22:23]
	flat_load_dwordx2 v[20:21], v[20:21] offset:2048
	v_cndmask_b32_e64 v86, v29, v32, s[20:21]
.LBB1025_57:
	s_or_b64 exec, exec, s[28:29]
	s_mov_b32 s12, 0x5040100
	v_perm_b32 v25, v86, v48, s12
	v_perm_b32 v24, v85, v87, s12
	v_and_b32_e32 v26, 0x1c0, v83
	; wave barrier
	flat_store_dwordx4 v[22:23], v[14:17] offset:2048
	flat_store_dwordx2 v[10:11], v[24:25]
	s_waitcnt vmcnt(0) lgkmcnt(0)
	flat_store_dwordx4 v[12:13], v[18:21] offset:16
	v_or_b32_e32 v24, 32, v26
	v_min_u32_e32 v29, v28, v24
	v_add_u32_e32 v24, 32, v29
	v_min_u32_e32 v32, v28, v24
	v_and_b32_e32 v24, 60, v83
	v_min_u32_e32 v27, v28, v24
	v_sub_u32_e32 v24, v29, v26
	v_sub_u32_e32 v25, v32, v29
	v_sub_u32_e64 v33, v27, v25 clamp
	v_min_u32_e32 v34, v27, v24
	v_cmp_lt_u32_e64 s[12:13], v33, v34
	; wave barrier
	s_and_saveexec_b64 s[14:15], s[12:13]
	s_cbranch_execz .LBB1025_61
; %bb.58:
	v_lshlrev_b32_e32 v24, 1, v26
	v_add_co_u32_e64 v35, s[12:13], v4, v24
	v_addc_co_u32_e64 v36, s[12:13], 0, v5, s[12:13]
	v_lshlrev_b32_e32 v24, 1, v29
	v_add_co_u32_e64 v37, s[12:13], v4, v24
	v_addc_co_u32_e64 v38, s[12:13], 0, v5, s[12:13]
	s_mov_b64 s[18:19], 0
	v_mov_b32_e32 v25, 0
.LBB1025_59:                            ; =>This Inner Loop Header: Depth=1
	v_add_u32_e32 v24, v34, v33
	v_and_b32_e32 v49, -2, v24
	v_lshrrev_b32_e32 v39, 1, v24
	v_add_co_u32_e64 v50, s[12:13], v35, v49
	v_xad_u32 v24, v39, -1, v27
	v_addc_co_u32_e64 v51, s[12:13], 0, v36, s[12:13]
	flat_load_ushort v49, v[50:51]
	v_lshlrev_b64 v[50:51], 1, v[24:25]
	v_add_co_u32_e64 v50, s[12:13], v37, v50
	v_addc_co_u32_e64 v51, s[12:13], v38, v51, s[12:13]
	flat_load_ushort v24, v[50:51]
	v_add_u32_e32 v50, 1, v39
	s_waitcnt vmcnt(0) lgkmcnt(0)
	v_and_b32_e32 v49, v49, v31
	v_and_b32_e32 v24, v24, v31
	v_cmp_gt_i16_e64 s[12:13], v49, v24
	v_cndmask_b32_e64 v34, v34, v39, s[12:13]
	v_cndmask_b32_e64 v33, v50, v33, s[12:13]
	v_cmp_ge_u32_e64 s[12:13], v33, v34
	s_or_b64 s[18:19], s[12:13], s[18:19]
	s_andn2_b64 exec, exec, s[18:19]
	s_cbranch_execnz .LBB1025_59
; %bb.60:
	s_or_b64 exec, exec, s[18:19]
.LBB1025_61:
	s_or_b64 exec, exec, s[14:15]
	v_add_u32_e32 v25, v29, v27
	v_add_u32_e32 v24, v33, v26
	v_sub_u32_e32 v26, v25, v33
	v_cmp_le_u32_e64 s[12:13], v24, v29
	v_cmp_le_u32_e64 s[14:15], v26, v32
	s_or_b64 s[12:13], s[12:13], s[14:15]
	s_and_saveexec_b64 s[28:29], s[12:13]
	s_cbranch_execz .LBB1025_67
; %bb.62:
	v_cmp_lt_u32_e64 s[12:13], v24, v29
                                        ; implicit-def: $vgpr25
	s_and_saveexec_b64 s[18:19], s[12:13]
	s_cbranch_execz .LBB1025_64
; %bb.63:
	v_mov_b32_e32 v25, 0
	v_lshlrev_b64 v[14:15], 1, v[24:25]
	v_add_co_u32_e64 v14, s[14:15], v4, v14
	v_addc_co_u32_e64 v15, s[14:15], v5, v15, s[14:15]
	flat_load_ushort v25, v[14:15]
.LBB1025_64:
	s_or_b64 exec, exec, s[18:19]
	v_cmp_ge_u32_e64 s[14:15], v26, v32
	v_cmp_lt_u32_e64 s[18:19], v26, v32
                                        ; implicit-def: $vgpr27
	s_and_saveexec_b64 s[20:21], s[18:19]
	s_cbranch_execz .LBB1025_66
; %bb.65:
	v_mov_b32_e32 v27, 0
	v_lshlrev_b64 v[14:15], 1, v[26:27]
	v_add_co_u32_e64 v14, s[18:19], v4, v14
	v_addc_co_u32_e64 v15, s[18:19], v5, v15, s[18:19]
	flat_load_ushort v27, v[14:15]
.LBB1025_66:
	s_or_b64 exec, exec, s[20:21]
	s_waitcnt vmcnt(0) lgkmcnt(0)
	v_and_b32_e32 v14, v27, v31
	v_and_b32_e32 v15, v25, v31
	v_cmp_le_i16_e64 s[18:19], v15, v14
	s_and_b64 s[12:13], s[12:13], s[18:19]
	s_or_b64 s[12:13], s[14:15], s[12:13]
	v_cndmask_b32_e64 v20, v26, v24, s[12:13]
	v_cndmask_b32_e64 v16, v32, v29, s[12:13]
	v_mov_b32_e32 v21, 0
	v_add_u32_e32 v18, 1, v20
	v_add_u32_e32 v16, -1, v16
	v_lshlrev_b64 v[14:15], 3, v[20:21]
	v_min_u32_e32 v20, v18, v16
	v_lshlrev_b64 v[16:17], 1, v[20:21]
	v_add_co_u32_e64 v16, s[14:15], v4, v16
	v_addc_co_u32_e64 v17, s[14:15], v5, v17, s[14:15]
	flat_load_ushort v16, v[16:17]
	v_cndmask_b32_e64 v24, v24, v18, s[12:13]
	v_cndmask_b32_e64 v26, v18, v26, s[12:13]
	v_cmp_lt_u32_e64 s[18:19], v24, v29
	v_cmp_ge_u32_e64 s[14:15], v26, v32
	v_cndmask_b32_e64 v87, v27, v25, s[12:13]
	s_waitcnt vmcnt(0) lgkmcnt(0)
	v_cndmask_b32_e64 v33, v16, v27, s[12:13]
	v_cndmask_b32_e64 v36, v25, v16, s[12:13]
	v_and_b32_e32 v16, v33, v31
	v_and_b32_e32 v17, v36, v31
	v_cmp_le_i16_e64 s[20:21], v17, v16
	s_and_b64 s[18:19], s[18:19], s[20:21]
	s_or_b64 s[14:15], s[14:15], s[18:19]
	v_cndmask_b32_e64 v20, v26, v24, s[14:15]
	v_cndmask_b32_e64 v18, v32, v29, s[14:15]
	v_add_u32_e32 v34, 1, v20
	v_add_u32_e32 v18, -1, v18
	v_lshlrev_b64 v[16:17], 3, v[20:21]
	v_min_u32_e32 v20, v34, v18
	v_lshlrev_b64 v[18:19], 1, v[20:21]
	v_add_co_u32_e64 v18, s[18:19], v4, v18
	v_addc_co_u32_e64 v19, s[18:19], v5, v19, s[18:19]
	flat_load_ushort v18, v[18:19]
	v_cndmask_b32_e64 v24, v24, v34, s[14:15]
	v_cndmask_b32_e64 v26, v34, v26, s[14:15]
	v_cmp_lt_u32_e64 s[20:21], v24, v29
	v_cmp_ge_u32_e64 s[18:19], v26, v32
	v_cndmask_b32_e64 v85, v33, v36, s[14:15]
	s_waitcnt vmcnt(0) lgkmcnt(0)
	v_cndmask_b32_e64 v37, v18, v33, s[14:15]
	v_cndmask_b32_e64 v38, v36, v18, s[14:15]
	v_and_b32_e32 v18, v37, v31
	v_and_b32_e32 v19, v38, v31
	v_cmp_le_i16_e64 s[22:23], v19, v18
	s_and_b64 s[20:21], s[20:21], s[22:23]
	s_or_b64 s[18:19], s[18:19], s[20:21]
	v_cndmask_b32_e64 v20, v26, v24, s[18:19]
	v_cndmask_b32_e64 v34, v32, v29, s[18:19]
	v_lshlrev_b64 v[18:19], 3, v[20:21]
	v_add_u32_e32 v39, 1, v20
	v_add_u32_e32 v20, -1, v34
	v_min_u32_e32 v20, v39, v20
	v_lshlrev_b64 v[34:35], 1, v[20:21]
	v_add_co_u32_e64 v34, s[20:21], v4, v34
	v_addc_co_u32_e64 v35, s[20:21], v5, v35, s[20:21]
	flat_load_ushort v20, v[34:35]
	v_add_co_u32_e64 v14, s[20:21], v0, v14
	v_addc_co_u32_e64 v15, s[20:21], v1, v15, s[20:21]
	v_add_co_u32_e64 v16, s[20:21], v0, v16
	v_addc_co_u32_e64 v17, s[20:21], v1, v17, s[20:21]
	;; [unrolled: 2-line block ×3, first 2 shown]
	v_cndmask_b32_e64 v26, v39, v26, s[18:19]
	v_cndmask_b32_e64 v24, v24, v39, s[18:19]
	v_cmp_ge_u32_e64 s[20:21], v26, v32
	v_cmp_lt_u32_e64 s[22:23], v24, v29
	flat_load_dwordx2 v[14:15], v[14:15] offset:2048
	v_cndmask_b32_e64 v48, v37, v38, s[18:19]
	flat_load_dwordx2 v[16:17], v[16:17] offset:2048
	s_waitcnt vmcnt(0) lgkmcnt(0)
	v_cndmask_b32_e64 v29, v20, v37, s[18:19]
	flat_load_dwordx2 v[18:19], v[18:19] offset:2048
	v_cndmask_b32_e64 v32, v38, v20, s[18:19]
	v_and_b32_e32 v20, v29, v31
	v_and_b32_e32 v34, v32, v31
	v_cmp_le_i16_e64 s[24:25], v34, v20
	s_and_b64 s[22:23], s[22:23], s[24:25]
	s_or_b64 s[20:21], s[20:21], s[22:23]
	v_cndmask_b32_e64 v20, v26, v24, s[20:21]
	v_lshlrev_b64 v[20:21], 3, v[20:21]
	v_add_co_u32_e64 v20, s[22:23], v0, v20
	v_addc_co_u32_e64 v21, s[22:23], v1, v21, s[22:23]
	flat_load_dwordx2 v[20:21], v[20:21] offset:2048
	v_cndmask_b32_e64 v86, v29, v32, s[20:21]
.LBB1025_67:
	s_or_b64 exec, exec, s[28:29]
	s_mov_b32 s12, 0x5040100
	; wave barrier
	flat_store_dwordx4 v[22:23], v[14:17] offset:2048
	v_perm_b32 v23, v86, v48, s12
	v_perm_b32 v22, v85, v87, s12
	flat_store_dwordx2 v[10:11], v[22:23]
	s_waitcnt vmcnt(0) lgkmcnt(0)
	flat_store_dwordx4 v[12:13], v[18:21] offset:16
	v_and_b32_e32 v12, 0x180, v83
	v_or_b32_e32 v10, 64, v12
	v_min_u32_e32 v22, v28, v10
	v_add_u32_e32 v10, 64, v22
	v_min_u32_e32 v23, v28, v10
	v_min_u32_e32 v13, v28, v84
	v_sub_u32_e32 v10, v22, v12
	v_sub_u32_e32 v11, v23, v22
	v_sub_u32_e64 v24, v13, v11 clamp
	v_min_u32_e32 v25, v13, v10
	v_cmp_lt_u32_e64 s[12:13], v24, v25
	; wave barrier
	s_and_saveexec_b64 s[14:15], s[12:13]
	s_cbranch_execz .LBB1025_71
; %bb.68:
	v_lshlrev_b32_e32 v10, 1, v12
	v_add_co_u32_e64 v26, s[12:13], v4, v10
	v_addc_co_u32_e64 v27, s[12:13], 0, v5, s[12:13]
	v_lshlrev_b32_e32 v10, 1, v22
	v_add_co_u32_e64 v28, s[12:13], v4, v10
	v_addc_co_u32_e64 v29, s[12:13], 0, v5, s[12:13]
	s_mov_b64 s[18:19], 0
	v_mov_b32_e32 v11, 0
.LBB1025_69:                            ; =>This Inner Loop Header: Depth=1
	v_add_u32_e32 v10, v25, v24
	v_and_b32_e32 v32, -2, v10
	v_lshrrev_b32_e32 v34, 1, v10
	v_add_co_u32_e64 v32, s[12:13], v26, v32
	v_xad_u32 v10, v34, -1, v13
	v_addc_co_u32_e64 v33, s[12:13], 0, v27, s[12:13]
	flat_load_ushort v35, v[32:33]
	v_lshlrev_b64 v[32:33], 1, v[10:11]
	v_add_co_u32_e64 v32, s[12:13], v28, v32
	v_addc_co_u32_e64 v33, s[12:13], v29, v33, s[12:13]
	flat_load_ushort v10, v[32:33]
	v_add_u32_e32 v32, 1, v34
	s_waitcnt vmcnt(0) lgkmcnt(0)
	v_and_b32_e32 v33, v35, v31
	v_and_b32_e32 v10, v10, v31
	v_cmp_gt_i16_e64 s[12:13], v33, v10
	v_cndmask_b32_e64 v25, v25, v34, s[12:13]
	v_cndmask_b32_e64 v24, v32, v24, s[12:13]
	v_cmp_ge_u32_e64 s[12:13], v24, v25
	s_or_b64 s[18:19], s[12:13], s[18:19]
	s_andn2_b64 exec, exec, s[18:19]
	s_cbranch_execnz .LBB1025_69
; %bb.70:
	s_or_b64 exec, exec, s[18:19]
.LBB1025_71:
	s_or_b64 exec, exec, s[14:15]
	v_add_u32_e32 v11, v22, v13
	v_add_u32_e32 v10, v24, v12
	v_sub_u32_e32 v12, v11, v24
	v_cmp_le_u32_e64 s[12:13], v10, v22
	v_cmp_le_u32_e64 s[14:15], v12, v23
	s_or_b64 s[12:13], s[12:13], s[14:15]
	s_and_saveexec_b64 s[28:29], s[12:13]
	s_cbranch_execz .LBB1025_77
; %bb.72:
	v_cmp_lt_u32_e64 s[12:13], v10, v22
                                        ; implicit-def: $vgpr11
	s_and_saveexec_b64 s[18:19], s[12:13]
	s_cbranch_execz .LBB1025_74
; %bb.73:
	v_mov_b32_e32 v11, 0
	v_lshlrev_b64 v[14:15], 1, v[10:11]
	v_add_co_u32_e64 v14, s[14:15], v4, v14
	v_addc_co_u32_e64 v15, s[14:15], v5, v15, s[14:15]
	flat_load_ushort v11, v[14:15]
.LBB1025_74:
	s_or_b64 exec, exec, s[18:19]
	v_cmp_ge_u32_e64 s[14:15], v12, v23
	v_cmp_lt_u32_e64 s[18:19], v12, v23
                                        ; implicit-def: $vgpr13
	s_and_saveexec_b64 s[20:21], s[18:19]
	s_cbranch_execz .LBB1025_76
; %bb.75:
	v_mov_b32_e32 v13, 0
	v_lshlrev_b64 v[14:15], 1, v[12:13]
	v_add_co_u32_e64 v14, s[18:19], v4, v14
	v_addc_co_u32_e64 v15, s[18:19], v5, v15, s[18:19]
	flat_load_ushort v13, v[14:15]
.LBB1025_76:
	s_or_b64 exec, exec, s[20:21]
	s_waitcnt vmcnt(0) lgkmcnt(0)
	v_and_b32_e32 v14, v13, v31
	v_and_b32_e32 v15, v11, v31
	v_cmp_le_i16_e64 s[18:19], v15, v14
	s_and_b64 s[12:13], s[12:13], s[18:19]
	s_or_b64 s[12:13], s[14:15], s[12:13]
	v_cndmask_b32_e64 v20, v12, v10, s[12:13]
	v_cndmask_b32_e64 v16, v23, v22, s[12:13]
	v_mov_b32_e32 v21, 0
	v_add_u32_e32 v18, 1, v20
	v_add_u32_e32 v16, -1, v16
	v_lshlrev_b64 v[14:15], 3, v[20:21]
	v_min_u32_e32 v20, v18, v16
	v_lshlrev_b64 v[16:17], 1, v[20:21]
	v_add_co_u32_e64 v16, s[14:15], v4, v16
	v_addc_co_u32_e64 v17, s[14:15], v5, v17, s[14:15]
	flat_load_ushort v16, v[16:17]
	v_cndmask_b32_e64 v10, v10, v18, s[12:13]
	v_cndmask_b32_e64 v12, v18, v12, s[12:13]
	v_cmp_lt_u32_e64 s[18:19], v10, v22
	v_cmp_ge_u32_e64 s[14:15], v12, v23
	v_cndmask_b32_e64 v87, v13, v11, s[12:13]
	s_waitcnt vmcnt(0) lgkmcnt(0)
	v_cndmask_b32_e64 v26, v16, v13, s[12:13]
	v_cndmask_b32_e64 v27, v11, v16, s[12:13]
	v_and_b32_e32 v16, v26, v31
	v_and_b32_e32 v17, v27, v31
	v_cmp_le_i16_e64 s[20:21], v17, v16
	s_and_b64 s[18:19], s[18:19], s[20:21]
	s_or_b64 s[14:15], s[14:15], s[18:19]
	v_cndmask_b32_e64 v20, v12, v10, s[14:15]
	v_cndmask_b32_e64 v18, v23, v22, s[14:15]
	v_add_u32_e32 v24, 1, v20
	v_add_u32_e32 v18, -1, v18
	v_lshlrev_b64 v[16:17], 3, v[20:21]
	v_min_u32_e32 v20, v24, v18
	v_lshlrev_b64 v[18:19], 1, v[20:21]
	v_add_co_u32_e64 v18, s[18:19], v4, v18
	v_addc_co_u32_e64 v19, s[18:19], v5, v19, s[18:19]
	flat_load_ushort v18, v[18:19]
	v_cndmask_b32_e64 v10, v10, v24, s[14:15]
	v_cndmask_b32_e64 v12, v24, v12, s[14:15]
	v_cmp_lt_u32_e64 s[20:21], v10, v22
	v_cmp_ge_u32_e64 s[18:19], v12, v23
	v_cndmask_b32_e64 v85, v26, v27, s[14:15]
	s_waitcnt vmcnt(0) lgkmcnt(0)
	v_cndmask_b32_e64 v28, v18, v26, s[14:15]
	v_cndmask_b32_e64 v29, v27, v18, s[14:15]
	v_and_b32_e32 v18, v28, v31
	v_and_b32_e32 v19, v29, v31
	v_cmp_le_i16_e64 s[22:23], v19, v18
	s_and_b64 s[20:21], s[20:21], s[22:23]
	s_or_b64 s[18:19], s[18:19], s[20:21]
	v_cndmask_b32_e64 v20, v12, v10, s[18:19]
	v_cndmask_b32_e64 v24, v23, v22, s[18:19]
	v_lshlrev_b64 v[18:19], 3, v[20:21]
	v_add_u32_e32 v32, 1, v20
	v_add_u32_e32 v20, -1, v24
	v_min_u32_e32 v20, v32, v20
	v_lshlrev_b64 v[24:25], 1, v[20:21]
	v_add_co_u32_e64 v4, s[20:21], v4, v24
	v_addc_co_u32_e64 v5, s[20:21], v5, v25, s[20:21]
	flat_load_ushort v20, v[4:5]
	v_add_co_u32_e64 v4, s[20:21], v0, v14
	v_addc_co_u32_e64 v5, s[20:21], v1, v15, s[20:21]
	flat_load_dwordx2 v[14:15], v[4:5] offset:2048
	v_add_co_u32_e64 v4, s[20:21], v0, v16
	v_addc_co_u32_e64 v5, s[20:21], v1, v17, s[20:21]
	flat_load_dwordx2 v[16:17], v[4:5] offset:2048
	v_add_co_u32_e64 v4, s[20:21], v0, v18
	v_addc_co_u32_e64 v5, s[20:21], v1, v19, s[20:21]
	flat_load_dwordx2 v[18:19], v[4:5] offset:2048
	v_cndmask_b32_e64 v4, v32, v12, s[18:19]
	v_cndmask_b32_e64 v5, v10, v32, s[18:19]
	v_cmp_lt_u32_e64 s[22:23], v5, v22
	v_cmp_ge_u32_e64 s[20:21], v4, v23
	v_cndmask_b32_e64 v48, v28, v29, s[18:19]
	s_waitcnt vmcnt(0) lgkmcnt(0)
	v_cndmask_b32_e64 v10, v20, v28, s[18:19]
	v_cndmask_b32_e64 v12, v29, v20, s[18:19]
	v_and_b32_e32 v20, v10, v31
	v_and_b32_e32 v22, v12, v31
	v_cmp_le_i16_e64 s[24:25], v22, v20
	s_and_b64 s[22:23], s[22:23], s[24:25]
	s_or_b64 s[20:21], s[20:21], s[22:23]
	v_cndmask_b32_e64 v20, v4, v5, s[20:21]
	v_lshlrev_b64 v[4:5], 3, v[20:21]
	v_add_co_u32_e64 v0, s[22:23], v0, v4
	v_addc_co_u32_e64 v1, s[22:23], v1, v5, s[22:23]
	flat_load_dwordx2 v[20:21], v[0:1] offset:2048
	v_cndmask_b32_e64 v86, v10, v12, s[20:21]
.LBB1025_77:
	s_or_b64 exec, exec, s[28:29]
	; wave barrier
	s_waitcnt lgkmcnt(0)
	s_barrier
                                        ; implicit-def: $vgpr83
                                        ; implicit-def: $vgpr12
                                        ; implicit-def: $vgpr13
                                        ; implicit-def: $vgpr84
                                        ; implicit-def: $vgpr31
                                        ; implicit-def: $vgpr0
                                        ; implicit-def: $vgpr4
                                        ; implicit-def: $vgpr32_vgpr33_vgpr34_vgpr35_vgpr36_vgpr37_vgpr38_vgpr39
                                        ; implicit-def: $vgpr22_vgpr23_vgpr24_vgpr25_vgpr26_vgpr27_vgpr28_vgpr29
.LBB1025_78:
	s_andn2_saveexec_b64 s[22:23], s[26:27]
	s_cbranch_execz .LBB1025_134
; %bb.79:
	s_load_dwordx2 s[12:13], s[8:9], 0x0
	v_mov_b32_e32 v1, 0
	v_and_b32_e32 v11, 0x3ff, v31
	s_movk_i32 s20, 0x400
	s_waitcnt lgkmcnt(0)
	s_cmp_lt_u32 s17, s12
	s_cselect_b32 s14, 12, 18
	s_cmp_lt_u32 s16, s13
	s_cselect_b32 s12, 14, 20
	s_add_u32 s12, s8, s12
	s_addc_u32 s13, s9, 0
	s_add_u32 s8, s8, s14
	s_addc_u32 s9, s9, 0
	global_load_ushort v5, v1, s[12:13]
	global_load_ushort v10, v1, s[8:9]
	s_waitcnt vmcnt(0)
	v_mad_u32_u24 v0, v4, v5, v0
	v_mul_lo_u32 v0, v0, v10
	v_add_lshl_u32 v0, v0, v11, 2
	v_cmp_gt_u32_e64 s[8:9], s20, v0
	s_and_saveexec_b64 s[16:17], s[8:9]
	s_cbranch_execz .LBB1025_83
; %bb.80:
	v_cmp_gt_i16_e64 s[8:9], v87, v85
	v_max_i16_e32 v18, v87, v85
	v_cndmask_b32_e64 v19, v14, v16, s[8:9]
	v_cndmask_b32_e64 v20, v15, v17, s[8:9]
	v_cndmask_b32_e64 v15, v17, v15, s[8:9]
	v_cndmask_b32_e64 v14, v16, v14, s[8:9]
	v_min_i16_e32 v16, v48, v86
	v_cmp_gt_i16_e64 s[8:9], v48, v86
	v_min_i16_e32 v4, v87, v85
	v_max_i16_e32 v5, v48, v86
	v_cndmask_b32_e64 v23, v28, v36, s[8:9]
	v_cndmask_b32_e64 v24, v29, v37, s[8:9]
	v_cndmask_b32_e64 v17, v37, v29, s[8:9]
	v_cndmask_b32_e64 v21, v36, v28, s[8:9]
	v_cmp_gt_i16_e64 s[8:9], v18, v16
	v_min_i16_e32 v10, v18, v16
	v_max_i16_e32 v11, v18, v16
	v_cndmask_b32_e64 v25, v21, v14, s[8:9]
	v_cndmask_b32_e64 v26, v17, v15, s[8:9]
	;; [unrolled: 1-line block ×4, first 2 shown]
	v_cmp_lt_i16_e64 s[8:9], v16, v4
	v_cmp_gt_i16_e64 s[12:13], v18, v5
	v_cndmask_b32_e64 v85, v10, v4, s[8:9]
	v_cndmask_b32_e64 v22, v11, v5, s[12:13]
	;; [unrolled: 1-line block ×10, first 2 shown]
	v_cmp_gt_i16_e64 s[14:15], v85, v22
	v_mov_b32_e32 v48, v22
	s_and_saveexec_b64 s[18:19], s[14:15]
; %bb.81:
	v_pk_mov_b32 v[24:25], v[18:19], v[18:19] op_sel:[0,1]
	v_pk_mov_b32 v[18:19], v[16:17], v[16:17] op_sel:[0,1]
	v_pk_mov_b32 v[16:17], v[24:25], v[24:25] op_sel:[0,1]
	v_mov_b32_e32 v48, v85
	v_mov_b32_e32 v85, v22
; %bb.82:
	s_or_b64 exec, exec, s[18:19]
	v_cndmask_b32_e64 v87, v4, v10, s[8:9]
	v_cndmask_b32_e64 v86, v5, v11, s[12:13]
.LBB1025_83:
	s_or_b64 exec, exec, s[16:17]
	v_and_b32_e32 v0, 0xffffff00, v0
	v_lshlrev_b64 v[4:5], 1, v[0:1]
	v_add_co_u32_e64 v4, s[8:9], v12, v4
	v_addc_co_u32_e64 v5, s[8:9], v13, v5, s[8:9]
	v_sub_u32_e64 v28, s20, v0 clamp
	v_mad_u64_u32 v[0:1], s[8:9], v0, 6, v[4:5]
	v_lshlrev_b32_e32 v10, 1, v83
	v_add_co_u32_e64 v10, s[8:9], v4, v10
	v_addc_co_u32_e64 v11, s[8:9], 0, v5, s[8:9]
	v_lshlrev_b32_e32 v12, 3, v83
	v_add_co_u32_e64 v22, s[8:9], v0, v12
	v_addc_co_u32_e64 v23, s[8:9], 0, v1, s[8:9]
	s_movk_i32 s8, 0x800
	v_add_co_u32_e64 v12, s[8:9], s8, v22
	v_addc_co_u32_e64 v13, s[8:9], 0, v23, s[8:9]
	s_mov_b32 s8, 0x5040100
	v_perm_b32 v25, v86, v48, s8
	v_perm_b32 v24, v85, v87, s8
	flat_store_dwordx4 v[22:23], v[14:17] offset:2048
	flat_store_dwordx2 v[10:11], v[24:25]
	flat_store_dwordx4 v[22:23], v[18:21] offset:2064
	v_or_b32_e32 v24, 4, v83
	v_min_u32_e32 v29, v28, v24
	v_add_u32_e32 v24, 4, v29
	v_and_b32_e32 v26, 0x1f8, v83
	v_min_u32_e32 v31, v28, v24
	v_and_b32_e32 v24, 4, v83
	v_min_u32_e32 v27, v28, v24
	v_sub_u32_e32 v24, v29, v26
	v_sub_u32_e32 v25, v31, v29
	v_sub_u32_e64 v32, v27, v25 clamp
	v_min_u32_e32 v33, v27, v24
	v_cmp_lt_u32_e64 s[8:9], v32, v33
	; wave barrier
	s_and_saveexec_b64 s[12:13], s[8:9]
	s_cbranch_execz .LBB1025_87
; %bb.84:
	v_lshlrev_b32_e32 v24, 1, v26
	v_add_co_u32_e64 v34, s[8:9], v4, v24
	v_addc_co_u32_e64 v35, s[8:9], 0, v5, s[8:9]
	v_lshlrev_b32_e32 v24, 1, v29
	v_add_co_u32_e64 v36, s[8:9], v4, v24
	v_addc_co_u32_e64 v37, s[8:9], 0, v5, s[8:9]
	s_mov_b64 s[14:15], 0
	v_mov_b32_e32 v25, 0
.LBB1025_85:                            ; =>This Inner Loop Header: Depth=1
	v_add_u32_e32 v24, v33, v32
	v_and_b32_e32 v38, -2, v24
	v_lshrrev_b32_e32 v49, 1, v24
	v_add_co_u32_e64 v38, s[8:9], v34, v38
	v_xad_u32 v24, v49, -1, v27
	v_addc_co_u32_e64 v39, s[8:9], 0, v35, s[8:9]
	flat_load_ushort v50, v[38:39]
	v_lshlrev_b64 v[38:39], 1, v[24:25]
	v_add_co_u32_e64 v38, s[8:9], v36, v38
	v_addc_co_u32_e64 v39, s[8:9], v37, v39, s[8:9]
	flat_load_ushort v24, v[38:39]
	v_add_u32_e32 v38, 1, v49
	s_waitcnt vmcnt(0) lgkmcnt(0)
	v_cmp_gt_i16_e64 s[8:9], v50, v24
	v_cndmask_b32_e64 v33, v33, v49, s[8:9]
	v_cndmask_b32_e64 v32, v38, v32, s[8:9]
	v_cmp_ge_u32_e64 s[8:9], v32, v33
	s_or_b64 s[14:15], s[8:9], s[14:15]
	s_andn2_b64 exec, exec, s[14:15]
	s_cbranch_execnz .LBB1025_85
; %bb.86:
	s_or_b64 exec, exec, s[14:15]
.LBB1025_87:
	s_or_b64 exec, exec, s[12:13]
	v_add_u32_e32 v25, v29, v27
	v_add_u32_e32 v24, v32, v26
	v_sub_u32_e32 v26, v25, v32
	v_cmp_le_u32_e64 s[8:9], v24, v29
	v_cmp_le_u32_e64 s[12:13], v26, v31
	s_or_b64 s[8:9], s[8:9], s[12:13]
	s_and_saveexec_b64 s[24:25], s[8:9]
	s_cbranch_execz .LBB1025_93
; %bb.88:
	v_cmp_lt_u32_e64 s[8:9], v24, v29
                                        ; implicit-def: $vgpr25
	s_and_saveexec_b64 s[14:15], s[8:9]
	s_cbranch_execz .LBB1025_90
; %bb.89:
	v_mov_b32_e32 v25, 0
	v_lshlrev_b64 v[14:15], 1, v[24:25]
	v_add_co_u32_e64 v14, s[12:13], v4, v14
	v_addc_co_u32_e64 v15, s[12:13], v5, v15, s[12:13]
	flat_load_ushort v25, v[14:15]
.LBB1025_90:
	s_or_b64 exec, exec, s[14:15]
	v_cmp_ge_u32_e64 s[12:13], v26, v31
	v_cmp_lt_u32_e64 s[14:15], v26, v31
                                        ; implicit-def: $vgpr27
	s_and_saveexec_b64 s[16:17], s[14:15]
	s_cbranch_execz .LBB1025_92
; %bb.91:
	v_mov_b32_e32 v27, 0
	v_lshlrev_b64 v[14:15], 1, v[26:27]
	v_add_co_u32_e64 v14, s[14:15], v4, v14
	v_addc_co_u32_e64 v15, s[14:15], v5, v15, s[14:15]
	flat_load_ushort v27, v[14:15]
.LBB1025_92:
	s_or_b64 exec, exec, s[16:17]
	s_waitcnt vmcnt(0) lgkmcnt(0)
	v_cmp_le_i16_e64 s[14:15], v25, v27
	s_and_b64 s[8:9], s[8:9], s[14:15]
	s_or_b64 s[8:9], s[12:13], s[8:9]
	v_cndmask_b32_e64 v20, v26, v24, s[8:9]
	v_cndmask_b32_e64 v16, v31, v29, s[8:9]
	v_mov_b32_e32 v21, 0
	v_add_u32_e32 v18, 1, v20
	v_add_u32_e32 v16, -1, v16
	v_lshlrev_b64 v[14:15], 3, v[20:21]
	v_min_u32_e32 v20, v18, v16
	v_lshlrev_b64 v[16:17], 1, v[20:21]
	v_add_co_u32_e64 v16, s[12:13], v4, v16
	v_addc_co_u32_e64 v17, s[12:13], v5, v17, s[12:13]
	flat_load_ushort v16, v[16:17]
	v_cndmask_b32_e64 v24, v24, v18, s[8:9]
	v_cndmask_b32_e64 v26, v18, v26, s[8:9]
	v_cmp_lt_u32_e64 s[14:15], v24, v29
	v_cmp_ge_u32_e64 s[12:13], v26, v31
	v_cndmask_b32_e64 v87, v27, v25, s[8:9]
	s_waitcnt vmcnt(0) lgkmcnt(0)
	v_cndmask_b32_e64 v34, v16, v27, s[8:9]
	v_cndmask_b32_e64 v35, v25, v16, s[8:9]
	v_cmp_le_i16_e64 s[16:17], v35, v34
	s_and_b64 s[14:15], s[14:15], s[16:17]
	s_or_b64 s[12:13], s[12:13], s[14:15]
	v_cndmask_b32_e64 v20, v26, v24, s[12:13]
	v_cndmask_b32_e64 v18, v31, v29, s[12:13]
	v_add_u32_e32 v32, 1, v20
	v_add_u32_e32 v18, -1, v18
	v_lshlrev_b64 v[16:17], 3, v[20:21]
	v_min_u32_e32 v20, v32, v18
	v_lshlrev_b64 v[18:19], 1, v[20:21]
	v_add_co_u32_e64 v18, s[14:15], v4, v18
	v_addc_co_u32_e64 v19, s[14:15], v5, v19, s[14:15]
	flat_load_ushort v18, v[18:19]
	v_cndmask_b32_e64 v24, v24, v32, s[12:13]
	v_cndmask_b32_e64 v26, v32, v26, s[12:13]
	v_cmp_lt_u32_e64 s[16:17], v24, v29
	v_cmp_ge_u32_e64 s[14:15], v26, v31
	v_cndmask_b32_e64 v85, v34, v35, s[12:13]
	s_waitcnt vmcnt(0) lgkmcnt(0)
	v_cndmask_b32_e64 v36, v18, v34, s[12:13]
	v_cndmask_b32_e64 v37, v35, v18, s[12:13]
	v_cmp_le_i16_e64 s[18:19], v37, v36
	s_and_b64 s[16:17], s[16:17], s[18:19]
	s_or_b64 s[14:15], s[14:15], s[16:17]
	v_cndmask_b32_e64 v20, v26, v24, s[14:15]
	v_cndmask_b32_e64 v32, v31, v29, s[14:15]
	v_lshlrev_b64 v[18:19], 3, v[20:21]
	v_add_u32_e32 v38, 1, v20
	v_add_u32_e32 v20, -1, v32
	v_min_u32_e32 v20, v38, v20
	v_lshlrev_b64 v[32:33], 1, v[20:21]
	v_add_co_u32_e64 v32, s[16:17], v4, v32
	v_addc_co_u32_e64 v33, s[16:17], v5, v33, s[16:17]
	flat_load_ushort v20, v[32:33]
	v_add_co_u32_e64 v14, s[16:17], v0, v14
	v_addc_co_u32_e64 v15, s[16:17], v1, v15, s[16:17]
	v_add_co_u32_e64 v16, s[16:17], v0, v16
	v_addc_co_u32_e64 v17, s[16:17], v1, v17, s[16:17]
	;; [unrolled: 2-line block ×3, first 2 shown]
	v_cndmask_b32_e64 v26, v38, v26, s[14:15]
	v_cndmask_b32_e64 v24, v24, v38, s[14:15]
	v_cmp_ge_u32_e64 s[16:17], v26, v31
	v_cmp_lt_u32_e64 s[18:19], v24, v29
	flat_load_dwordx2 v[14:15], v[14:15] offset:2048
	v_cndmask_b32_e64 v48, v36, v37, s[14:15]
	flat_load_dwordx2 v[16:17], v[16:17] offset:2048
	s_waitcnt vmcnt(0) lgkmcnt(0)
	v_cndmask_b32_e64 v29, v20, v36, s[14:15]
	flat_load_dwordx2 v[18:19], v[18:19] offset:2048
	v_cndmask_b32_e64 v31, v37, v20, s[14:15]
	v_cmp_le_i16_e64 s[20:21], v31, v29
	s_and_b64 s[18:19], s[18:19], s[20:21]
	s_or_b64 s[16:17], s[16:17], s[18:19]
	v_cndmask_b32_e64 v20, v26, v24, s[16:17]
	v_lshlrev_b64 v[20:21], 3, v[20:21]
	v_add_co_u32_e64 v20, s[18:19], v0, v20
	v_addc_co_u32_e64 v21, s[18:19], v1, v21, s[18:19]
	flat_load_dwordx2 v[20:21], v[20:21] offset:2048
	v_cndmask_b32_e64 v86, v29, v31, s[16:17]
.LBB1025_93:
	s_or_b64 exec, exec, s[24:25]
	s_mov_b32 s8, 0x5040100
	v_perm_b32 v25, v86, v48, s8
	v_perm_b32 v24, v85, v87, s8
	v_and_b32_e32 v26, 0x1f0, v83
	; wave barrier
	flat_store_dwordx4 v[22:23], v[14:17] offset:2048
	flat_store_dwordx2 v[10:11], v[24:25]
	s_waitcnt vmcnt(0) lgkmcnt(0)
	flat_store_dwordx4 v[12:13], v[18:21] offset:16
	v_or_b32_e32 v24, 8, v26
	v_min_u32_e32 v29, v28, v24
	v_add_u32_e32 v24, 8, v29
	v_min_u32_e32 v31, v28, v24
	v_and_b32_e32 v24, 12, v83
	v_min_u32_e32 v27, v28, v24
	v_sub_u32_e32 v24, v29, v26
	v_sub_u32_e32 v25, v31, v29
	v_sub_u32_e64 v32, v27, v25 clamp
	v_min_u32_e32 v33, v27, v24
	v_cmp_lt_u32_e64 s[8:9], v32, v33
	; wave barrier
	s_and_saveexec_b64 s[12:13], s[8:9]
	s_cbranch_execz .LBB1025_97
; %bb.94:
	v_lshlrev_b32_e32 v24, 1, v26
	v_add_co_u32_e64 v34, s[8:9], v4, v24
	v_addc_co_u32_e64 v35, s[8:9], 0, v5, s[8:9]
	v_lshlrev_b32_e32 v24, 1, v29
	v_add_co_u32_e64 v36, s[8:9], v4, v24
	v_addc_co_u32_e64 v37, s[8:9], 0, v5, s[8:9]
	s_mov_b64 s[14:15], 0
	v_mov_b32_e32 v25, 0
.LBB1025_95:                            ; =>This Inner Loop Header: Depth=1
	v_add_u32_e32 v24, v33, v32
	v_and_b32_e32 v38, -2, v24
	v_lshrrev_b32_e32 v49, 1, v24
	v_add_co_u32_e64 v38, s[8:9], v34, v38
	v_xad_u32 v24, v49, -1, v27
	v_addc_co_u32_e64 v39, s[8:9], 0, v35, s[8:9]
	flat_load_ushort v50, v[38:39]
	v_lshlrev_b64 v[38:39], 1, v[24:25]
	v_add_co_u32_e64 v38, s[8:9], v36, v38
	v_addc_co_u32_e64 v39, s[8:9], v37, v39, s[8:9]
	flat_load_ushort v24, v[38:39]
	v_add_u32_e32 v38, 1, v49
	s_waitcnt vmcnt(0) lgkmcnt(0)
	v_cmp_gt_i16_e64 s[8:9], v50, v24
	v_cndmask_b32_e64 v33, v33, v49, s[8:9]
	v_cndmask_b32_e64 v32, v38, v32, s[8:9]
	v_cmp_ge_u32_e64 s[8:9], v32, v33
	s_or_b64 s[14:15], s[8:9], s[14:15]
	s_andn2_b64 exec, exec, s[14:15]
	s_cbranch_execnz .LBB1025_95
; %bb.96:
	s_or_b64 exec, exec, s[14:15]
.LBB1025_97:
	s_or_b64 exec, exec, s[12:13]
	v_add_u32_e32 v25, v29, v27
	v_add_u32_e32 v24, v32, v26
	v_sub_u32_e32 v26, v25, v32
	v_cmp_le_u32_e64 s[8:9], v24, v29
	v_cmp_le_u32_e64 s[12:13], v26, v31
	s_or_b64 s[8:9], s[8:9], s[12:13]
	s_and_saveexec_b64 s[24:25], s[8:9]
	s_cbranch_execz .LBB1025_103
; %bb.98:
	v_cmp_lt_u32_e64 s[8:9], v24, v29
                                        ; implicit-def: $vgpr25
	s_and_saveexec_b64 s[14:15], s[8:9]
	s_cbranch_execz .LBB1025_100
; %bb.99:
	v_mov_b32_e32 v25, 0
	v_lshlrev_b64 v[14:15], 1, v[24:25]
	v_add_co_u32_e64 v14, s[12:13], v4, v14
	v_addc_co_u32_e64 v15, s[12:13], v5, v15, s[12:13]
	flat_load_ushort v25, v[14:15]
.LBB1025_100:
	s_or_b64 exec, exec, s[14:15]
	v_cmp_ge_u32_e64 s[12:13], v26, v31
	v_cmp_lt_u32_e64 s[14:15], v26, v31
                                        ; implicit-def: $vgpr27
	s_and_saveexec_b64 s[16:17], s[14:15]
	s_cbranch_execz .LBB1025_102
; %bb.101:
	v_mov_b32_e32 v27, 0
	v_lshlrev_b64 v[14:15], 1, v[26:27]
	v_add_co_u32_e64 v14, s[14:15], v4, v14
	v_addc_co_u32_e64 v15, s[14:15], v5, v15, s[14:15]
	flat_load_ushort v27, v[14:15]
.LBB1025_102:
	s_or_b64 exec, exec, s[16:17]
	s_waitcnt vmcnt(0) lgkmcnt(0)
	v_cmp_le_i16_e64 s[14:15], v25, v27
	s_and_b64 s[8:9], s[8:9], s[14:15]
	s_or_b64 s[8:9], s[12:13], s[8:9]
	v_cndmask_b32_e64 v20, v26, v24, s[8:9]
	v_cndmask_b32_e64 v16, v31, v29, s[8:9]
	v_mov_b32_e32 v21, 0
	v_add_u32_e32 v18, 1, v20
	v_add_u32_e32 v16, -1, v16
	v_lshlrev_b64 v[14:15], 3, v[20:21]
	v_min_u32_e32 v20, v18, v16
	v_lshlrev_b64 v[16:17], 1, v[20:21]
	v_add_co_u32_e64 v16, s[12:13], v4, v16
	v_addc_co_u32_e64 v17, s[12:13], v5, v17, s[12:13]
	flat_load_ushort v16, v[16:17]
	v_cndmask_b32_e64 v24, v24, v18, s[8:9]
	v_cndmask_b32_e64 v26, v18, v26, s[8:9]
	v_cmp_lt_u32_e64 s[14:15], v24, v29
	v_cmp_ge_u32_e64 s[12:13], v26, v31
	v_cndmask_b32_e64 v87, v27, v25, s[8:9]
	s_waitcnt vmcnt(0) lgkmcnt(0)
	v_cndmask_b32_e64 v34, v16, v27, s[8:9]
	v_cndmask_b32_e64 v35, v25, v16, s[8:9]
	v_cmp_le_i16_e64 s[16:17], v35, v34
	s_and_b64 s[14:15], s[14:15], s[16:17]
	s_or_b64 s[12:13], s[12:13], s[14:15]
	v_cndmask_b32_e64 v20, v26, v24, s[12:13]
	v_cndmask_b32_e64 v18, v31, v29, s[12:13]
	v_add_u32_e32 v32, 1, v20
	v_add_u32_e32 v18, -1, v18
	v_lshlrev_b64 v[16:17], 3, v[20:21]
	v_min_u32_e32 v20, v32, v18
	v_lshlrev_b64 v[18:19], 1, v[20:21]
	v_add_co_u32_e64 v18, s[14:15], v4, v18
	v_addc_co_u32_e64 v19, s[14:15], v5, v19, s[14:15]
	flat_load_ushort v18, v[18:19]
	v_cndmask_b32_e64 v24, v24, v32, s[12:13]
	v_cndmask_b32_e64 v26, v32, v26, s[12:13]
	v_cmp_lt_u32_e64 s[16:17], v24, v29
	v_cmp_ge_u32_e64 s[14:15], v26, v31
	v_cndmask_b32_e64 v85, v34, v35, s[12:13]
	s_waitcnt vmcnt(0) lgkmcnt(0)
	v_cndmask_b32_e64 v36, v18, v34, s[12:13]
	v_cndmask_b32_e64 v37, v35, v18, s[12:13]
	v_cmp_le_i16_e64 s[18:19], v37, v36
	s_and_b64 s[16:17], s[16:17], s[18:19]
	s_or_b64 s[14:15], s[14:15], s[16:17]
	v_cndmask_b32_e64 v20, v26, v24, s[14:15]
	v_cndmask_b32_e64 v32, v31, v29, s[14:15]
	v_lshlrev_b64 v[18:19], 3, v[20:21]
	v_add_u32_e32 v38, 1, v20
	v_add_u32_e32 v20, -1, v32
	v_min_u32_e32 v20, v38, v20
	v_lshlrev_b64 v[32:33], 1, v[20:21]
	v_add_co_u32_e64 v32, s[16:17], v4, v32
	v_addc_co_u32_e64 v33, s[16:17], v5, v33, s[16:17]
	flat_load_ushort v20, v[32:33]
	v_add_co_u32_e64 v14, s[16:17], v0, v14
	v_addc_co_u32_e64 v15, s[16:17], v1, v15, s[16:17]
	v_add_co_u32_e64 v16, s[16:17], v0, v16
	v_addc_co_u32_e64 v17, s[16:17], v1, v17, s[16:17]
	;; [unrolled: 2-line block ×3, first 2 shown]
	v_cndmask_b32_e64 v26, v38, v26, s[14:15]
	v_cndmask_b32_e64 v24, v24, v38, s[14:15]
	v_cmp_ge_u32_e64 s[16:17], v26, v31
	v_cmp_lt_u32_e64 s[18:19], v24, v29
	flat_load_dwordx2 v[14:15], v[14:15] offset:2048
	v_cndmask_b32_e64 v48, v36, v37, s[14:15]
	flat_load_dwordx2 v[16:17], v[16:17] offset:2048
	s_waitcnt vmcnt(0) lgkmcnt(0)
	v_cndmask_b32_e64 v29, v20, v36, s[14:15]
	flat_load_dwordx2 v[18:19], v[18:19] offset:2048
	v_cndmask_b32_e64 v31, v37, v20, s[14:15]
	v_cmp_le_i16_e64 s[20:21], v31, v29
	s_and_b64 s[18:19], s[18:19], s[20:21]
	s_or_b64 s[16:17], s[16:17], s[18:19]
	v_cndmask_b32_e64 v20, v26, v24, s[16:17]
	v_lshlrev_b64 v[20:21], 3, v[20:21]
	v_add_co_u32_e64 v20, s[18:19], v0, v20
	v_addc_co_u32_e64 v21, s[18:19], v1, v21, s[18:19]
	flat_load_dwordx2 v[20:21], v[20:21] offset:2048
	v_cndmask_b32_e64 v86, v29, v31, s[16:17]
.LBB1025_103:
	s_or_b64 exec, exec, s[24:25]
	s_mov_b32 s8, 0x5040100
	v_perm_b32 v25, v86, v48, s8
	v_perm_b32 v24, v85, v87, s8
	v_and_b32_e32 v26, 0x1e0, v83
	; wave barrier
	flat_store_dwordx4 v[22:23], v[14:17] offset:2048
	flat_store_dwordx2 v[10:11], v[24:25]
	s_waitcnt vmcnt(0) lgkmcnt(0)
	flat_store_dwordx4 v[12:13], v[18:21] offset:16
	v_or_b32_e32 v24, 16, v26
	v_min_u32_e32 v29, v28, v24
	v_add_u32_e32 v24, 16, v29
	v_min_u32_e32 v31, v28, v24
	v_and_b32_e32 v24, 28, v83
	v_min_u32_e32 v27, v28, v24
	v_sub_u32_e32 v24, v29, v26
	v_sub_u32_e32 v25, v31, v29
	v_sub_u32_e64 v32, v27, v25 clamp
	v_min_u32_e32 v33, v27, v24
	v_cmp_lt_u32_e64 s[8:9], v32, v33
	; wave barrier
	s_and_saveexec_b64 s[12:13], s[8:9]
	s_cbranch_execz .LBB1025_107
; %bb.104:
	v_lshlrev_b32_e32 v24, 1, v26
	v_add_co_u32_e64 v34, s[8:9], v4, v24
	v_addc_co_u32_e64 v35, s[8:9], 0, v5, s[8:9]
	v_lshlrev_b32_e32 v24, 1, v29
	v_add_co_u32_e64 v36, s[8:9], v4, v24
	v_addc_co_u32_e64 v37, s[8:9], 0, v5, s[8:9]
	s_mov_b64 s[14:15], 0
	v_mov_b32_e32 v25, 0
.LBB1025_105:                           ; =>This Inner Loop Header: Depth=1
	v_add_u32_e32 v24, v33, v32
	v_and_b32_e32 v38, -2, v24
	v_lshrrev_b32_e32 v49, 1, v24
	v_add_co_u32_e64 v38, s[8:9], v34, v38
	v_xad_u32 v24, v49, -1, v27
	v_addc_co_u32_e64 v39, s[8:9], 0, v35, s[8:9]
	flat_load_ushort v50, v[38:39]
	v_lshlrev_b64 v[38:39], 1, v[24:25]
	v_add_co_u32_e64 v38, s[8:9], v36, v38
	v_addc_co_u32_e64 v39, s[8:9], v37, v39, s[8:9]
	flat_load_ushort v24, v[38:39]
	v_add_u32_e32 v38, 1, v49
	s_waitcnt vmcnt(0) lgkmcnt(0)
	v_cmp_gt_i16_e64 s[8:9], v50, v24
	v_cndmask_b32_e64 v33, v33, v49, s[8:9]
	v_cndmask_b32_e64 v32, v38, v32, s[8:9]
	v_cmp_ge_u32_e64 s[8:9], v32, v33
	s_or_b64 s[14:15], s[8:9], s[14:15]
	s_andn2_b64 exec, exec, s[14:15]
	s_cbranch_execnz .LBB1025_105
; %bb.106:
	s_or_b64 exec, exec, s[14:15]
.LBB1025_107:
	s_or_b64 exec, exec, s[12:13]
	v_add_u32_e32 v25, v29, v27
	v_add_u32_e32 v24, v32, v26
	v_sub_u32_e32 v26, v25, v32
	v_cmp_le_u32_e64 s[8:9], v24, v29
	v_cmp_le_u32_e64 s[12:13], v26, v31
	s_or_b64 s[8:9], s[8:9], s[12:13]
	s_and_saveexec_b64 s[24:25], s[8:9]
	s_cbranch_execz .LBB1025_113
; %bb.108:
	v_cmp_lt_u32_e64 s[8:9], v24, v29
                                        ; implicit-def: $vgpr25
	s_and_saveexec_b64 s[14:15], s[8:9]
	s_cbranch_execz .LBB1025_110
; %bb.109:
	v_mov_b32_e32 v25, 0
	v_lshlrev_b64 v[14:15], 1, v[24:25]
	v_add_co_u32_e64 v14, s[12:13], v4, v14
	v_addc_co_u32_e64 v15, s[12:13], v5, v15, s[12:13]
	flat_load_ushort v25, v[14:15]
.LBB1025_110:
	s_or_b64 exec, exec, s[14:15]
	v_cmp_ge_u32_e64 s[12:13], v26, v31
	v_cmp_lt_u32_e64 s[14:15], v26, v31
                                        ; implicit-def: $vgpr27
	s_and_saveexec_b64 s[16:17], s[14:15]
	s_cbranch_execz .LBB1025_112
; %bb.111:
	v_mov_b32_e32 v27, 0
	v_lshlrev_b64 v[14:15], 1, v[26:27]
	v_add_co_u32_e64 v14, s[14:15], v4, v14
	v_addc_co_u32_e64 v15, s[14:15], v5, v15, s[14:15]
	flat_load_ushort v27, v[14:15]
.LBB1025_112:
	s_or_b64 exec, exec, s[16:17]
	s_waitcnt vmcnt(0) lgkmcnt(0)
	v_cmp_le_i16_e64 s[14:15], v25, v27
	s_and_b64 s[8:9], s[8:9], s[14:15]
	s_or_b64 s[8:9], s[12:13], s[8:9]
	v_cndmask_b32_e64 v20, v26, v24, s[8:9]
	v_cndmask_b32_e64 v16, v31, v29, s[8:9]
	v_mov_b32_e32 v21, 0
	v_add_u32_e32 v18, 1, v20
	v_add_u32_e32 v16, -1, v16
	v_lshlrev_b64 v[14:15], 3, v[20:21]
	v_min_u32_e32 v20, v18, v16
	v_lshlrev_b64 v[16:17], 1, v[20:21]
	v_add_co_u32_e64 v16, s[12:13], v4, v16
	v_addc_co_u32_e64 v17, s[12:13], v5, v17, s[12:13]
	flat_load_ushort v16, v[16:17]
	v_cndmask_b32_e64 v24, v24, v18, s[8:9]
	v_cndmask_b32_e64 v26, v18, v26, s[8:9]
	v_cmp_lt_u32_e64 s[14:15], v24, v29
	v_cmp_ge_u32_e64 s[12:13], v26, v31
	v_cndmask_b32_e64 v87, v27, v25, s[8:9]
	s_waitcnt vmcnt(0) lgkmcnt(0)
	v_cndmask_b32_e64 v34, v16, v27, s[8:9]
	v_cndmask_b32_e64 v35, v25, v16, s[8:9]
	v_cmp_le_i16_e64 s[16:17], v35, v34
	s_and_b64 s[14:15], s[14:15], s[16:17]
	s_or_b64 s[12:13], s[12:13], s[14:15]
	v_cndmask_b32_e64 v20, v26, v24, s[12:13]
	v_cndmask_b32_e64 v18, v31, v29, s[12:13]
	v_add_u32_e32 v32, 1, v20
	v_add_u32_e32 v18, -1, v18
	v_lshlrev_b64 v[16:17], 3, v[20:21]
	v_min_u32_e32 v20, v32, v18
	v_lshlrev_b64 v[18:19], 1, v[20:21]
	v_add_co_u32_e64 v18, s[14:15], v4, v18
	v_addc_co_u32_e64 v19, s[14:15], v5, v19, s[14:15]
	flat_load_ushort v18, v[18:19]
	v_cndmask_b32_e64 v24, v24, v32, s[12:13]
	v_cndmask_b32_e64 v26, v32, v26, s[12:13]
	v_cmp_lt_u32_e64 s[16:17], v24, v29
	v_cmp_ge_u32_e64 s[14:15], v26, v31
	v_cndmask_b32_e64 v85, v34, v35, s[12:13]
	s_waitcnt vmcnt(0) lgkmcnt(0)
	v_cndmask_b32_e64 v36, v18, v34, s[12:13]
	v_cndmask_b32_e64 v37, v35, v18, s[12:13]
	v_cmp_le_i16_e64 s[18:19], v37, v36
	s_and_b64 s[16:17], s[16:17], s[18:19]
	s_or_b64 s[14:15], s[14:15], s[16:17]
	v_cndmask_b32_e64 v20, v26, v24, s[14:15]
	v_cndmask_b32_e64 v32, v31, v29, s[14:15]
	v_lshlrev_b64 v[18:19], 3, v[20:21]
	v_add_u32_e32 v38, 1, v20
	v_add_u32_e32 v20, -1, v32
	v_min_u32_e32 v20, v38, v20
	v_lshlrev_b64 v[32:33], 1, v[20:21]
	v_add_co_u32_e64 v32, s[16:17], v4, v32
	v_addc_co_u32_e64 v33, s[16:17], v5, v33, s[16:17]
	flat_load_ushort v20, v[32:33]
	v_add_co_u32_e64 v14, s[16:17], v0, v14
	v_addc_co_u32_e64 v15, s[16:17], v1, v15, s[16:17]
	v_add_co_u32_e64 v16, s[16:17], v0, v16
	v_addc_co_u32_e64 v17, s[16:17], v1, v17, s[16:17]
	;; [unrolled: 2-line block ×3, first 2 shown]
	v_cndmask_b32_e64 v26, v38, v26, s[14:15]
	v_cndmask_b32_e64 v24, v24, v38, s[14:15]
	v_cmp_ge_u32_e64 s[16:17], v26, v31
	v_cmp_lt_u32_e64 s[18:19], v24, v29
	flat_load_dwordx2 v[14:15], v[14:15] offset:2048
	v_cndmask_b32_e64 v48, v36, v37, s[14:15]
	flat_load_dwordx2 v[16:17], v[16:17] offset:2048
	s_waitcnt vmcnt(0) lgkmcnt(0)
	v_cndmask_b32_e64 v29, v20, v36, s[14:15]
	flat_load_dwordx2 v[18:19], v[18:19] offset:2048
	v_cndmask_b32_e64 v31, v37, v20, s[14:15]
	v_cmp_le_i16_e64 s[20:21], v31, v29
	s_and_b64 s[18:19], s[18:19], s[20:21]
	s_or_b64 s[16:17], s[16:17], s[18:19]
	v_cndmask_b32_e64 v20, v26, v24, s[16:17]
	v_lshlrev_b64 v[20:21], 3, v[20:21]
	v_add_co_u32_e64 v20, s[18:19], v0, v20
	v_addc_co_u32_e64 v21, s[18:19], v1, v21, s[18:19]
	flat_load_dwordx2 v[20:21], v[20:21] offset:2048
	v_cndmask_b32_e64 v86, v29, v31, s[16:17]
.LBB1025_113:
	s_or_b64 exec, exec, s[24:25]
	s_mov_b32 s8, 0x5040100
	v_perm_b32 v25, v86, v48, s8
	v_perm_b32 v24, v85, v87, s8
	v_and_b32_e32 v26, 0x1c0, v83
	; wave barrier
	flat_store_dwordx4 v[22:23], v[14:17] offset:2048
	flat_store_dwordx2 v[10:11], v[24:25]
	s_waitcnt vmcnt(0) lgkmcnt(0)
	flat_store_dwordx4 v[12:13], v[18:21] offset:16
	v_or_b32_e32 v24, 32, v26
	v_min_u32_e32 v29, v28, v24
	v_add_u32_e32 v24, 32, v29
	v_min_u32_e32 v31, v28, v24
	v_and_b32_e32 v24, 60, v83
	v_min_u32_e32 v27, v28, v24
	v_sub_u32_e32 v24, v29, v26
	v_sub_u32_e32 v25, v31, v29
	v_sub_u32_e64 v32, v27, v25 clamp
	v_min_u32_e32 v33, v27, v24
	v_cmp_lt_u32_e64 s[8:9], v32, v33
	; wave barrier
	s_and_saveexec_b64 s[12:13], s[8:9]
	s_cbranch_execz .LBB1025_117
; %bb.114:
	v_lshlrev_b32_e32 v24, 1, v26
	v_add_co_u32_e64 v34, s[8:9], v4, v24
	v_addc_co_u32_e64 v35, s[8:9], 0, v5, s[8:9]
	v_lshlrev_b32_e32 v24, 1, v29
	v_add_co_u32_e64 v36, s[8:9], v4, v24
	v_addc_co_u32_e64 v37, s[8:9], 0, v5, s[8:9]
	s_mov_b64 s[14:15], 0
	v_mov_b32_e32 v25, 0
.LBB1025_115:                           ; =>This Inner Loop Header: Depth=1
	v_add_u32_e32 v24, v33, v32
	v_and_b32_e32 v38, -2, v24
	v_lshrrev_b32_e32 v49, 1, v24
	v_add_co_u32_e64 v38, s[8:9], v34, v38
	v_xad_u32 v24, v49, -1, v27
	v_addc_co_u32_e64 v39, s[8:9], 0, v35, s[8:9]
	flat_load_ushort v50, v[38:39]
	v_lshlrev_b64 v[38:39], 1, v[24:25]
	v_add_co_u32_e64 v38, s[8:9], v36, v38
	v_addc_co_u32_e64 v39, s[8:9], v37, v39, s[8:9]
	flat_load_ushort v24, v[38:39]
	v_add_u32_e32 v38, 1, v49
	s_waitcnt vmcnt(0) lgkmcnt(0)
	v_cmp_gt_i16_e64 s[8:9], v50, v24
	v_cndmask_b32_e64 v33, v33, v49, s[8:9]
	v_cndmask_b32_e64 v32, v38, v32, s[8:9]
	v_cmp_ge_u32_e64 s[8:9], v32, v33
	s_or_b64 s[14:15], s[8:9], s[14:15]
	s_andn2_b64 exec, exec, s[14:15]
	s_cbranch_execnz .LBB1025_115
; %bb.116:
	s_or_b64 exec, exec, s[14:15]
.LBB1025_117:
	s_or_b64 exec, exec, s[12:13]
	v_add_u32_e32 v25, v29, v27
	v_add_u32_e32 v24, v32, v26
	v_sub_u32_e32 v26, v25, v32
	v_cmp_le_u32_e64 s[8:9], v24, v29
	v_cmp_le_u32_e64 s[12:13], v26, v31
	s_or_b64 s[8:9], s[8:9], s[12:13]
	s_and_saveexec_b64 s[24:25], s[8:9]
	s_cbranch_execz .LBB1025_123
; %bb.118:
	v_cmp_lt_u32_e64 s[8:9], v24, v29
                                        ; implicit-def: $vgpr25
	s_and_saveexec_b64 s[14:15], s[8:9]
	s_cbranch_execz .LBB1025_120
; %bb.119:
	v_mov_b32_e32 v25, 0
	v_lshlrev_b64 v[14:15], 1, v[24:25]
	v_add_co_u32_e64 v14, s[12:13], v4, v14
	v_addc_co_u32_e64 v15, s[12:13], v5, v15, s[12:13]
	flat_load_ushort v25, v[14:15]
.LBB1025_120:
	s_or_b64 exec, exec, s[14:15]
	v_cmp_ge_u32_e64 s[12:13], v26, v31
	v_cmp_lt_u32_e64 s[14:15], v26, v31
                                        ; implicit-def: $vgpr27
	s_and_saveexec_b64 s[16:17], s[14:15]
	s_cbranch_execz .LBB1025_122
; %bb.121:
	v_mov_b32_e32 v27, 0
	v_lshlrev_b64 v[14:15], 1, v[26:27]
	v_add_co_u32_e64 v14, s[14:15], v4, v14
	v_addc_co_u32_e64 v15, s[14:15], v5, v15, s[14:15]
	flat_load_ushort v27, v[14:15]
.LBB1025_122:
	s_or_b64 exec, exec, s[16:17]
	s_waitcnt vmcnt(0) lgkmcnt(0)
	v_cmp_le_i16_e64 s[14:15], v25, v27
	s_and_b64 s[8:9], s[8:9], s[14:15]
	s_or_b64 s[8:9], s[12:13], s[8:9]
	v_cndmask_b32_e64 v20, v26, v24, s[8:9]
	v_cndmask_b32_e64 v16, v31, v29, s[8:9]
	v_mov_b32_e32 v21, 0
	v_add_u32_e32 v18, 1, v20
	v_add_u32_e32 v16, -1, v16
	v_lshlrev_b64 v[14:15], 3, v[20:21]
	v_min_u32_e32 v20, v18, v16
	v_lshlrev_b64 v[16:17], 1, v[20:21]
	v_add_co_u32_e64 v16, s[12:13], v4, v16
	v_addc_co_u32_e64 v17, s[12:13], v5, v17, s[12:13]
	flat_load_ushort v16, v[16:17]
	v_cndmask_b32_e64 v24, v24, v18, s[8:9]
	v_cndmask_b32_e64 v26, v18, v26, s[8:9]
	v_cmp_lt_u32_e64 s[14:15], v24, v29
	v_cmp_ge_u32_e64 s[12:13], v26, v31
	v_cndmask_b32_e64 v87, v27, v25, s[8:9]
	s_waitcnt vmcnt(0) lgkmcnt(0)
	v_cndmask_b32_e64 v34, v16, v27, s[8:9]
	v_cndmask_b32_e64 v35, v25, v16, s[8:9]
	v_cmp_le_i16_e64 s[16:17], v35, v34
	s_and_b64 s[14:15], s[14:15], s[16:17]
	s_or_b64 s[12:13], s[12:13], s[14:15]
	v_cndmask_b32_e64 v20, v26, v24, s[12:13]
	v_cndmask_b32_e64 v18, v31, v29, s[12:13]
	v_add_u32_e32 v32, 1, v20
	v_add_u32_e32 v18, -1, v18
	v_lshlrev_b64 v[16:17], 3, v[20:21]
	v_min_u32_e32 v20, v32, v18
	v_lshlrev_b64 v[18:19], 1, v[20:21]
	v_add_co_u32_e64 v18, s[14:15], v4, v18
	v_addc_co_u32_e64 v19, s[14:15], v5, v19, s[14:15]
	flat_load_ushort v18, v[18:19]
	v_cndmask_b32_e64 v24, v24, v32, s[12:13]
	v_cndmask_b32_e64 v26, v32, v26, s[12:13]
	v_cmp_lt_u32_e64 s[16:17], v24, v29
	v_cmp_ge_u32_e64 s[14:15], v26, v31
	v_cndmask_b32_e64 v85, v34, v35, s[12:13]
	s_waitcnt vmcnt(0) lgkmcnt(0)
	v_cndmask_b32_e64 v36, v18, v34, s[12:13]
	v_cndmask_b32_e64 v37, v35, v18, s[12:13]
	v_cmp_le_i16_e64 s[18:19], v37, v36
	s_and_b64 s[16:17], s[16:17], s[18:19]
	s_or_b64 s[14:15], s[14:15], s[16:17]
	v_cndmask_b32_e64 v20, v26, v24, s[14:15]
	v_cndmask_b32_e64 v32, v31, v29, s[14:15]
	v_lshlrev_b64 v[18:19], 3, v[20:21]
	v_add_u32_e32 v38, 1, v20
	v_add_u32_e32 v20, -1, v32
	v_min_u32_e32 v20, v38, v20
	v_lshlrev_b64 v[32:33], 1, v[20:21]
	v_add_co_u32_e64 v32, s[16:17], v4, v32
	v_addc_co_u32_e64 v33, s[16:17], v5, v33, s[16:17]
	flat_load_ushort v20, v[32:33]
	v_add_co_u32_e64 v14, s[16:17], v0, v14
	v_addc_co_u32_e64 v15, s[16:17], v1, v15, s[16:17]
	v_add_co_u32_e64 v16, s[16:17], v0, v16
	v_addc_co_u32_e64 v17, s[16:17], v1, v17, s[16:17]
	v_add_co_u32_e64 v18, s[16:17], v0, v18
	v_addc_co_u32_e64 v19, s[16:17], v1, v19, s[16:17]
	v_cndmask_b32_e64 v26, v38, v26, s[14:15]
	v_cndmask_b32_e64 v24, v24, v38, s[14:15]
	v_cmp_ge_u32_e64 s[16:17], v26, v31
	v_cmp_lt_u32_e64 s[18:19], v24, v29
	flat_load_dwordx2 v[14:15], v[14:15] offset:2048
	v_cndmask_b32_e64 v48, v36, v37, s[14:15]
	flat_load_dwordx2 v[16:17], v[16:17] offset:2048
	s_waitcnt vmcnt(0) lgkmcnt(0)
	v_cndmask_b32_e64 v29, v20, v36, s[14:15]
	flat_load_dwordx2 v[18:19], v[18:19] offset:2048
	v_cndmask_b32_e64 v31, v37, v20, s[14:15]
	v_cmp_le_i16_e64 s[20:21], v31, v29
	s_and_b64 s[18:19], s[18:19], s[20:21]
	s_or_b64 s[16:17], s[16:17], s[18:19]
	v_cndmask_b32_e64 v20, v26, v24, s[16:17]
	v_lshlrev_b64 v[20:21], 3, v[20:21]
	v_add_co_u32_e64 v20, s[18:19], v0, v20
	v_addc_co_u32_e64 v21, s[18:19], v1, v21, s[18:19]
	flat_load_dwordx2 v[20:21], v[20:21] offset:2048
	v_cndmask_b32_e64 v86, v29, v31, s[16:17]
.LBB1025_123:
	s_or_b64 exec, exec, s[24:25]
	s_mov_b32 s8, 0x5040100
	; wave barrier
	flat_store_dwordx4 v[22:23], v[14:17] offset:2048
	v_perm_b32 v23, v86, v48, s8
	v_perm_b32 v22, v85, v87, s8
	flat_store_dwordx2 v[10:11], v[22:23]
	s_waitcnt vmcnt(0) lgkmcnt(0)
	flat_store_dwordx4 v[12:13], v[18:21] offset:16
	v_and_b32_e32 v12, 0x180, v83
	v_or_b32_e32 v10, 64, v12
	v_min_u32_e32 v22, v28, v10
	v_add_u32_e32 v10, 64, v22
	v_min_u32_e32 v23, v28, v10
	v_min_u32_e32 v13, v28, v84
	v_sub_u32_e32 v10, v22, v12
	v_sub_u32_e32 v11, v23, v22
	v_sub_u32_e64 v24, v13, v11 clamp
	v_min_u32_e32 v25, v13, v10
	v_cmp_lt_u32_e64 s[8:9], v24, v25
	; wave barrier
	s_and_saveexec_b64 s[12:13], s[8:9]
	s_cbranch_execz .LBB1025_127
; %bb.124:
	v_lshlrev_b32_e32 v10, 1, v12
	v_add_co_u32_e64 v26, s[8:9], v4, v10
	v_addc_co_u32_e64 v27, s[8:9], 0, v5, s[8:9]
	v_lshlrev_b32_e32 v10, 1, v22
	v_add_co_u32_e64 v28, s[8:9], v4, v10
	v_addc_co_u32_e64 v29, s[8:9], 0, v5, s[8:9]
	s_mov_b64 s[14:15], 0
	v_mov_b32_e32 v11, 0
.LBB1025_125:                           ; =>This Inner Loop Header: Depth=1
	v_add_u32_e32 v10, v25, v24
	v_and_b32_e32 v32, -2, v10
	v_lshrrev_b32_e32 v31, 1, v10
	v_add_co_u32_e64 v32, s[8:9], v26, v32
	v_xad_u32 v10, v31, -1, v13
	v_addc_co_u32_e64 v33, s[8:9], 0, v27, s[8:9]
	flat_load_ushort v34, v[32:33]
	v_lshlrev_b64 v[32:33], 1, v[10:11]
	v_add_co_u32_e64 v32, s[8:9], v28, v32
	v_addc_co_u32_e64 v33, s[8:9], v29, v33, s[8:9]
	flat_load_ushort v10, v[32:33]
	v_add_u32_e32 v32, 1, v31
	s_waitcnt vmcnt(0) lgkmcnt(0)
	v_cmp_gt_i16_e64 s[8:9], v34, v10
	v_cndmask_b32_e64 v25, v25, v31, s[8:9]
	v_cndmask_b32_e64 v24, v32, v24, s[8:9]
	v_cmp_ge_u32_e64 s[8:9], v24, v25
	s_or_b64 s[14:15], s[8:9], s[14:15]
	s_andn2_b64 exec, exec, s[14:15]
	s_cbranch_execnz .LBB1025_125
; %bb.126:
	s_or_b64 exec, exec, s[14:15]
.LBB1025_127:
	s_or_b64 exec, exec, s[12:13]
	v_add_u32_e32 v11, v22, v13
	v_add_u32_e32 v10, v24, v12
	v_sub_u32_e32 v12, v11, v24
	v_cmp_le_u32_e64 s[8:9], v10, v22
	v_cmp_le_u32_e64 s[12:13], v12, v23
	s_or_b64 s[8:9], s[8:9], s[12:13]
	s_and_saveexec_b64 s[24:25], s[8:9]
	s_cbranch_execz .LBB1025_133
; %bb.128:
	v_cmp_lt_u32_e64 s[8:9], v10, v22
                                        ; implicit-def: $vgpr11
	s_and_saveexec_b64 s[14:15], s[8:9]
	s_cbranch_execz .LBB1025_130
; %bb.129:
	v_mov_b32_e32 v11, 0
	v_lshlrev_b64 v[14:15], 1, v[10:11]
	v_add_co_u32_e64 v14, s[12:13], v4, v14
	v_addc_co_u32_e64 v15, s[12:13], v5, v15, s[12:13]
	flat_load_ushort v11, v[14:15]
.LBB1025_130:
	s_or_b64 exec, exec, s[14:15]
	v_cmp_ge_u32_e64 s[12:13], v12, v23
	v_cmp_lt_u32_e64 s[14:15], v12, v23
                                        ; implicit-def: $vgpr13
	s_and_saveexec_b64 s[16:17], s[14:15]
	s_cbranch_execz .LBB1025_132
; %bb.131:
	v_mov_b32_e32 v13, 0
	v_lshlrev_b64 v[14:15], 1, v[12:13]
	v_add_co_u32_e64 v14, s[14:15], v4, v14
	v_addc_co_u32_e64 v15, s[14:15], v5, v15, s[14:15]
	flat_load_ushort v13, v[14:15]
.LBB1025_132:
	s_or_b64 exec, exec, s[16:17]
	s_waitcnt vmcnt(0) lgkmcnt(0)
	v_cmp_le_i16_e64 s[14:15], v11, v13
	s_and_b64 s[8:9], s[8:9], s[14:15]
	s_or_b64 s[8:9], s[12:13], s[8:9]
	v_cndmask_b32_e64 v20, v12, v10, s[8:9]
	v_cndmask_b32_e64 v16, v23, v22, s[8:9]
	v_mov_b32_e32 v21, 0
	v_add_u32_e32 v18, 1, v20
	v_add_u32_e32 v16, -1, v16
	v_lshlrev_b64 v[14:15], 3, v[20:21]
	v_min_u32_e32 v20, v18, v16
	v_lshlrev_b64 v[16:17], 1, v[20:21]
	v_add_co_u32_e64 v16, s[12:13], v4, v16
	v_addc_co_u32_e64 v17, s[12:13], v5, v17, s[12:13]
	flat_load_ushort v16, v[16:17]
	v_cndmask_b32_e64 v10, v10, v18, s[8:9]
	v_cndmask_b32_e64 v12, v18, v12, s[8:9]
	v_cmp_lt_u32_e64 s[14:15], v10, v22
	v_cmp_ge_u32_e64 s[12:13], v12, v23
	v_cndmask_b32_e64 v87, v13, v11, s[8:9]
	s_waitcnt vmcnt(0) lgkmcnt(0)
	v_cndmask_b32_e64 v26, v16, v13, s[8:9]
	v_cndmask_b32_e64 v27, v11, v16, s[8:9]
	v_cmp_le_i16_e64 s[16:17], v27, v26
	s_and_b64 s[14:15], s[14:15], s[16:17]
	s_or_b64 s[12:13], s[12:13], s[14:15]
	v_cndmask_b32_e64 v20, v12, v10, s[12:13]
	v_cndmask_b32_e64 v18, v23, v22, s[12:13]
	v_add_u32_e32 v24, 1, v20
	v_add_u32_e32 v18, -1, v18
	v_lshlrev_b64 v[16:17], 3, v[20:21]
	v_min_u32_e32 v20, v24, v18
	v_lshlrev_b64 v[18:19], 1, v[20:21]
	v_add_co_u32_e64 v18, s[14:15], v4, v18
	v_addc_co_u32_e64 v19, s[14:15], v5, v19, s[14:15]
	flat_load_ushort v18, v[18:19]
	v_cndmask_b32_e64 v10, v10, v24, s[12:13]
	v_cndmask_b32_e64 v12, v24, v12, s[12:13]
	v_cmp_lt_u32_e64 s[16:17], v10, v22
	v_cmp_ge_u32_e64 s[14:15], v12, v23
	v_cndmask_b32_e64 v85, v26, v27, s[12:13]
	s_waitcnt vmcnt(0) lgkmcnt(0)
	v_cndmask_b32_e64 v28, v18, v26, s[12:13]
	v_cndmask_b32_e64 v29, v27, v18, s[12:13]
	v_cmp_le_i16_e64 s[18:19], v29, v28
	s_and_b64 s[16:17], s[16:17], s[18:19]
	s_or_b64 s[14:15], s[14:15], s[16:17]
	v_cndmask_b32_e64 v20, v12, v10, s[14:15]
	v_cndmask_b32_e64 v24, v23, v22, s[14:15]
	v_lshlrev_b64 v[18:19], 3, v[20:21]
	v_add_u32_e32 v31, 1, v20
	v_add_u32_e32 v20, -1, v24
	v_min_u32_e32 v20, v31, v20
	v_lshlrev_b64 v[24:25], 1, v[20:21]
	v_add_co_u32_e64 v4, s[16:17], v4, v24
	v_addc_co_u32_e64 v5, s[16:17], v5, v25, s[16:17]
	flat_load_ushort v20, v[4:5]
	v_add_co_u32_e64 v4, s[16:17], v0, v14
	v_addc_co_u32_e64 v5, s[16:17], v1, v15, s[16:17]
	flat_load_dwordx2 v[14:15], v[4:5] offset:2048
	v_add_co_u32_e64 v4, s[16:17], v0, v16
	v_addc_co_u32_e64 v5, s[16:17], v1, v17, s[16:17]
	flat_load_dwordx2 v[16:17], v[4:5] offset:2048
	;; [unrolled: 3-line block ×3, first 2 shown]
	v_cndmask_b32_e64 v4, v31, v12, s[14:15]
	v_cndmask_b32_e64 v5, v10, v31, s[14:15]
	v_cmp_lt_u32_e64 s[18:19], v5, v22
	v_cmp_ge_u32_e64 s[16:17], v4, v23
	v_cndmask_b32_e64 v48, v28, v29, s[14:15]
	s_waitcnt vmcnt(0) lgkmcnt(0)
	v_cndmask_b32_e64 v10, v20, v28, s[14:15]
	v_cndmask_b32_e64 v12, v29, v20, s[14:15]
	v_cmp_le_i16_e64 s[20:21], v12, v10
	s_and_b64 s[18:19], s[18:19], s[20:21]
	s_or_b64 s[16:17], s[16:17], s[18:19]
	v_cndmask_b32_e64 v20, v4, v5, s[16:17]
	v_lshlrev_b64 v[4:5], 3, v[20:21]
	v_add_co_u32_e64 v0, s[18:19], v0, v4
	v_addc_co_u32_e64 v1, s[18:19], v1, v5, s[18:19]
	flat_load_dwordx2 v[20:21], v[0:1] offset:2048
	v_cndmask_b32_e64 v86, v10, v12, s[16:17]
.LBB1025_133:
	s_or_b64 exec, exec, s[24:25]
	; wave barrier
	s_waitcnt lgkmcnt(0)
	s_barrier
.LBB1025_134:
	s_or_b64 exec, exec, s[22:23]
	v_add_co_u32_e64 v0, s[8:9], v2, v80
	v_addc_co_u32_e64 v1, s[8:9], v3, v81, s[8:9]
	v_add_co_u32_e64 v0, s[8:9], v0, v30
	v_addc_co_u32_e64 v1, s[8:9], 0, v1, s[8:9]
	s_waitcnt lgkmcnt(0)
	; wave barrier
	s_and_saveexec_b64 s[8:9], vcc
	s_cbranch_execz .LBB1025_140
; %bb.135:
	s_waitcnt vmcnt(0) lgkmcnt(0)
	flat_store_short v[0:1], v87
	s_or_b64 exec, exec, s[8:9]
	s_and_saveexec_b64 s[8:9], s[4:5]
	s_cbranch_execnz .LBB1025_141
.LBB1025_136:
	s_or_b64 exec, exec, s[8:9]
	s_and_saveexec_b64 s[8:9], s[6:7]
	s_cbranch_execz .LBB1025_142
.LBB1025_137:
	s_waitcnt vmcnt(0) lgkmcnt(0)
	flat_store_short v[0:1], v48 offset:4
	s_or_b64 exec, exec, s[8:9]
	s_and_saveexec_b64 s[8:9], s[10:11]
	s_cbranch_execnz .LBB1025_143
	s_branch .LBB1025_144
.LBB1025_138:
	s_or_b64 exec, exec, s[12:13]
                                        ; implicit-def: $vgpr18_vgpr19
	s_and_saveexec_b64 s[12:13], s[6:7]
	s_cbranch_execz .LBB1025_12
.LBB1025_139:
	flat_load_dwordx2 v[36:37], v[0:1] offset:16
	s_waitcnt vmcnt(0) lgkmcnt(0)
	v_pk_mov_b32 v[18:19], v[36:37], v[36:37] op_sel:[0,1]
	s_or_b64 exec, exec, s[12:13]
	s_and_saveexec_b64 s[12:13], s[10:11]
	s_cbranch_execnz .LBB1025_13
	s_branch .LBB1025_14
.LBB1025_140:
	s_or_b64 exec, exec, s[8:9]
	s_and_saveexec_b64 s[8:9], s[4:5]
	s_cbranch_execz .LBB1025_136
.LBB1025_141:
	s_waitcnt vmcnt(0) lgkmcnt(0)
	flat_store_short v[0:1], v85 offset:2
	s_or_b64 exec, exec, s[8:9]
	s_and_saveexec_b64 s[8:9], s[6:7]
	s_cbranch_execnz .LBB1025_137
.LBB1025_142:
	s_or_b64 exec, exec, s[8:9]
	s_and_saveexec_b64 s[8:9], s[10:11]
	s_cbranch_execz .LBB1025_144
.LBB1025_143:
	s_waitcnt vmcnt(0) lgkmcnt(0)
	flat_store_short v[0:1], v86 offset:6
.LBB1025_144:
	s_or_b64 exec, exec, s[8:9]
	v_add_co_u32_e64 v0, s[8:9], v6, v8
	v_addc_co_u32_e64 v1, s[8:9], v7, v9, s[8:9]
	v_add_co_u32_e64 v0, s[8:9], v0, v82
	v_addc_co_u32_e64 v1, s[8:9], 0, v1, s[8:9]
	; wave barrier
	s_and_saveexec_b64 s[8:9], vcc
	s_cbranch_execz .LBB1025_149
; %bb.145:
	s_waitcnt vmcnt(0) lgkmcnt(0)
	flat_store_dwordx2 v[0:1], v[14:15]
	s_or_b64 exec, exec, s[8:9]
	s_and_saveexec_b64 s[8:9], s[4:5]
	s_cbranch_execnz .LBB1025_150
.LBB1025_146:
	s_or_b64 exec, exec, s[8:9]
	s_and_saveexec_b64 s[4:5], s[6:7]
	s_cbranch_execz .LBB1025_151
.LBB1025_147:
	flat_store_dwordx2 v[0:1], v[18:19] offset:16
	s_or_b64 exec, exec, s[4:5]
	s_and_saveexec_b64 s[4:5], s[10:11]
	s_cbranch_execnz .LBB1025_152
.LBB1025_148:
	s_or_b64 exec, exec, s[4:5]
	s_waitcnt vmcnt(0) lgkmcnt(0)
	s_setpc_b64 s[30:31]
.LBB1025_149:
	s_or_b64 exec, exec, s[8:9]
	s_and_saveexec_b64 s[8:9], s[4:5]
	s_cbranch_execz .LBB1025_146
.LBB1025_150:
	s_waitcnt vmcnt(0) lgkmcnt(0)
	flat_store_dwordx2 v[0:1], v[16:17] offset:8
	s_or_b64 exec, exec, s[8:9]
	s_and_saveexec_b64 s[4:5], s[6:7]
	s_cbranch_execnz .LBB1025_147
.LBB1025_151:
	s_or_b64 exec, exec, s[4:5]
	s_and_saveexec_b64 s[4:5], s[10:11]
	s_cbranch_execz .LBB1025_148
.LBB1025_152:
	s_waitcnt vmcnt(0)
	flat_store_dwordx2 v[0:1], v[20:21] offset:24
	s_or_b64 exec, exec, s[4:5]
	s_waitcnt vmcnt(0) lgkmcnt(0)
	s_setpc_b64 s[30:31]
.Lfunc_end1025:
	.size	_ZN7rocprim17ROCPRIM_400000_NS6detail26segmented_warp_sort_helperINS1_20WarpSortHelperConfigILj32ELj4ELj256EEEslLi256ELb0EvE4sortIPKsPsPKlPlEEvT_T0_T1_T2_jjjjRNS5_12storage_typeE, .Lfunc_end1025-_ZN7rocprim17ROCPRIM_400000_NS6detail26segmented_warp_sort_helperINS1_20WarpSortHelperConfigILj32ELj4ELj256EEEslLi256ELb0EvE4sortIPKsPsPKlPlEEvT_T0_T1_T2_jjjjRNS5_12storage_typeE
                                        ; -- End function
	.section	.AMDGPU.csdata,"",@progbits
; Function info:
; codeLenInByte = 12660
; NumSgprs: 36
; NumVgprs: 88
; NumAgprs: 0
; TotalNumVgprs: 88
; ScratchSize: 0
; MemoryBound: 1
	.section	.text._ZN7rocprim17ROCPRIM_400000_NS6detail17trampoline_kernelINS0_14default_configENS1_36segmented_radix_sort_config_selectorIslEEZNS1_25segmented_radix_sort_implIS3_Lb0EPKsPsPKlPlN2at6native12_GLOBAL__N_18offset_tEEE10hipError_tPvRmT1_PNSt15iterator_traitsISK_E10value_typeET2_T3_PNSL_ISQ_E10value_typeET4_jRbjT5_SW_jjP12ihipStream_tbEUlT_E0_NS1_11comp_targetILNS1_3genE4ELNS1_11target_archE910ELNS1_3gpuE8ELNS1_3repE0EEENS1_60segmented_radix_sort_warp_sort_medium_config_static_selectorELNS0_4arch9wavefront6targetE1EEEvSK_,"axG",@progbits,_ZN7rocprim17ROCPRIM_400000_NS6detail17trampoline_kernelINS0_14default_configENS1_36segmented_radix_sort_config_selectorIslEEZNS1_25segmented_radix_sort_implIS3_Lb0EPKsPsPKlPlN2at6native12_GLOBAL__N_18offset_tEEE10hipError_tPvRmT1_PNSt15iterator_traitsISK_E10value_typeET2_T3_PNSL_ISQ_E10value_typeET4_jRbjT5_SW_jjP12ihipStream_tbEUlT_E0_NS1_11comp_targetILNS1_3genE4ELNS1_11target_archE910ELNS1_3gpuE8ELNS1_3repE0EEENS1_60segmented_radix_sort_warp_sort_medium_config_static_selectorELNS0_4arch9wavefront6targetE1EEEvSK_,comdat
	.globl	_ZN7rocprim17ROCPRIM_400000_NS6detail17trampoline_kernelINS0_14default_configENS1_36segmented_radix_sort_config_selectorIslEEZNS1_25segmented_radix_sort_implIS3_Lb0EPKsPsPKlPlN2at6native12_GLOBAL__N_18offset_tEEE10hipError_tPvRmT1_PNSt15iterator_traitsISK_E10value_typeET2_T3_PNSL_ISQ_E10value_typeET4_jRbjT5_SW_jjP12ihipStream_tbEUlT_E0_NS1_11comp_targetILNS1_3genE4ELNS1_11target_archE910ELNS1_3gpuE8ELNS1_3repE0EEENS1_60segmented_radix_sort_warp_sort_medium_config_static_selectorELNS0_4arch9wavefront6targetE1EEEvSK_ ; -- Begin function _ZN7rocprim17ROCPRIM_400000_NS6detail17trampoline_kernelINS0_14default_configENS1_36segmented_radix_sort_config_selectorIslEEZNS1_25segmented_radix_sort_implIS3_Lb0EPKsPsPKlPlN2at6native12_GLOBAL__N_18offset_tEEE10hipError_tPvRmT1_PNSt15iterator_traitsISK_E10value_typeET2_T3_PNSL_ISQ_E10value_typeET4_jRbjT5_SW_jjP12ihipStream_tbEUlT_E0_NS1_11comp_targetILNS1_3genE4ELNS1_11target_archE910ELNS1_3gpuE8ELNS1_3repE0EEENS1_60segmented_radix_sort_warp_sort_medium_config_static_selectorELNS0_4arch9wavefront6targetE1EEEvSK_
	.p2align	8
	.type	_ZN7rocprim17ROCPRIM_400000_NS6detail17trampoline_kernelINS0_14default_configENS1_36segmented_radix_sort_config_selectorIslEEZNS1_25segmented_radix_sort_implIS3_Lb0EPKsPsPKlPlN2at6native12_GLOBAL__N_18offset_tEEE10hipError_tPvRmT1_PNSt15iterator_traitsISK_E10value_typeET2_T3_PNSL_ISQ_E10value_typeET4_jRbjT5_SW_jjP12ihipStream_tbEUlT_E0_NS1_11comp_targetILNS1_3genE4ELNS1_11target_archE910ELNS1_3gpuE8ELNS1_3repE0EEENS1_60segmented_radix_sort_warp_sort_medium_config_static_selectorELNS0_4arch9wavefront6targetE1EEEvSK_,@function
_ZN7rocprim17ROCPRIM_400000_NS6detail17trampoline_kernelINS0_14default_configENS1_36segmented_radix_sort_config_selectorIslEEZNS1_25segmented_radix_sort_implIS3_Lb0EPKsPsPKlPlN2at6native12_GLOBAL__N_18offset_tEEE10hipError_tPvRmT1_PNSt15iterator_traitsISK_E10value_typeET2_T3_PNSL_ISQ_E10value_typeET4_jRbjT5_SW_jjP12ihipStream_tbEUlT_E0_NS1_11comp_targetILNS1_3genE4ELNS1_11target_archE910ELNS1_3gpuE8ELNS1_3repE0EEENS1_60segmented_radix_sort_warp_sort_medium_config_static_selectorELNS0_4arch9wavefront6targetE1EEEvSK_: ; @_ZN7rocprim17ROCPRIM_400000_NS6detail17trampoline_kernelINS0_14default_configENS1_36segmented_radix_sort_config_selectorIslEEZNS1_25segmented_radix_sort_implIS3_Lb0EPKsPsPKlPlN2at6native12_GLOBAL__N_18offset_tEEE10hipError_tPvRmT1_PNSt15iterator_traitsISK_E10value_typeET2_T3_PNSL_ISQ_E10value_typeET4_jRbjT5_SW_jjP12ihipStream_tbEUlT_E0_NS1_11comp_targetILNS1_3genE4ELNS1_11target_archE910ELNS1_3gpuE8ELNS1_3repE0EEENS1_60segmented_radix_sort_warp_sort_medium_config_static_selectorELNS0_4arch9wavefront6targetE1EEEvSK_
; %bb.0:
	s_add_u32 flat_scratch_lo, s6, s10
	s_addc_u32 flat_scratch_hi, s7, 0
	s_add_u32 s0, s0, s10
	s_load_dword s6, s[4:5], 0x64
	s_load_dword s10, s[4:5], 0x34
	s_addc_u32 s1, s1, 0
	v_bfe_u32 v1, v0, 10, 10
	v_bfe_u32 v2, v0, 20, 10
	s_waitcnt lgkmcnt(0)
	s_lshr_b32 s7, s6, 16
	s_and_b32 s6, s6, 0xffff
	v_mad_u32_u24 v1, v2, s7, v1
	v_and_b32_e32 v2, 0x3ff, v0
	v_mad_u64_u32 v[2:3], s[6:7], v1, s6, v[2:3]
	v_lshrrev_b32_e32 v1, 5, v2
	v_lshl_add_u32 v2, s8, 3, v1
	v_cmp_gt_u32_e32 vcc, s10, v2
	s_mov_b32 s32, 0
	s_and_saveexec_b64 s[6:7], vcc
	s_cbranch_execz .LBB1026_6
; %bb.1:
	s_load_dwordx2 s[6:7], s[4:5], 0x38
	s_load_dwordx4 s[12:15], s[4:5], 0x40
	v_mov_b32_e32 v3, 0
	v_lshlrev_b64 v[2:3], 2, v[2:3]
	s_waitcnt lgkmcnt(0)
	v_mov_b32_e32 v1, s7
	v_add_co_u32_e32 v2, vcc, s6, v2
	v_addc_co_u32_e32 v3, vcc, v1, v3, vcc
	global_load_dword v1, v[2:3], off
	s_waitcnt vmcnt(0)
	v_add_u32_e32 v2, s13, v1
	v_add_u32_e32 v1, s15, v1
	v_mul_lo_u32 v40, v2, s12
	v_mul_lo_u32 v41, v1, s14
	v_cmp_gt_u32_e32 vcc, v41, v40
	s_and_b64 exec, exec, vcc
	s_cbranch_execz .LBB1026_6
; %bb.2:
	s_load_dwordx4 s[44:47], s[4:5], 0x20
	s_load_dword s6, s[4:5], 0x30
	s_load_dwordx8 s[36:43], s[4:5], 0x0
	s_load_dwordx2 s[48:49], s[4:5], 0x50
	s_mov_b32 s34, s8
	s_mov_b32 s33, s9
	s_waitcnt lgkmcnt(0)
	s_bitcmp0_b32 s6, 0
	s_mov_b64 s[6:7], -1
	s_cbranch_scc0 .LBB1026_4
; %bb.3:
	s_add_u32 s8, s4, 0x58
	s_mov_b64 s[6:7], src_shared_base
	s_addc_u32 s9, s5, 0
	s_mov_b32 s12, s34
	s_mov_b32 s13, s33
	v_mov_b32_e32 v31, v0
	v_mov_b32_e32 v42, v0
	;; [unrolled: 1-line block ×16, first 2 shown]
	s_getpc_b64 s[10:11]
	s_add_u32 s10, s10, _ZN7rocprim17ROCPRIM_400000_NS6detail26segmented_warp_sort_helperINS1_20WarpSortHelperConfigILj32ELj4ELj256EEEslLi256ELb0EvE4sortIPKsPsPKlPlEEvT_T0_T1_T2_jjjjRNS5_12storage_typeE@rel32@lo+4
	s_addc_u32 s11, s11, _ZN7rocprim17ROCPRIM_400000_NS6detail26segmented_warp_sort_helperINS1_20WarpSortHelperConfigILj32ELj4ELj256EEEslLi256ELb0EvE4sortIPKsPsPKlPlEEvT_T0_T1_T2_jjjjRNS5_12storage_typeE@rel32@hi+12
	s_mov_b64 s[38:39], s[4:5]
	s_swappc_b64 s[30:31], s[10:11]
	v_mov_b32_e32 v0, v42
	s_mov_b64 s[4:5], s[38:39]
	s_mov_b64 s[6:7], 0
.LBB1026_4:
	s_andn2_b64 vcc, exec, s[6:7]
	s_cbranch_vccnz .LBB1026_6
; %bb.5:
	s_add_u32 s8, s4, 0x58
	s_addc_u32 s9, s5, 0
	s_mov_b64 s[4:5], src_shared_base
	s_mov_b32 s12, s34
	s_mov_b32 s13, s33
	v_mov_b32_e32 v31, v0
	v_mov_b32_e32 v0, s36
	;; [unrolled: 1-line block ×15, first 2 shown]
	s_getpc_b64 s[6:7]
	s_add_u32 s6, s6, _ZN7rocprim17ROCPRIM_400000_NS6detail26segmented_warp_sort_helperINS1_20WarpSortHelperConfigILj32ELj4ELj256EEEslLi256ELb0EvE4sortIPKsPsPKlPlEEvT_T0_T1_T2_jjjjRNS5_12storage_typeE@rel32@lo+4
	s_addc_u32 s7, s7, _ZN7rocprim17ROCPRIM_400000_NS6detail26segmented_warp_sort_helperINS1_20WarpSortHelperConfigILj32ELj4ELj256EEEslLi256ELb0EvE4sortIPKsPsPKlPlEEvT_T0_T1_T2_jjjjRNS5_12storage_typeE@rel32@hi+12
	s_swappc_b64 s[30:31], s[6:7]
.LBB1026_6:
	s_endpgm
	.section	.rodata,"a",@progbits
	.p2align	6, 0x0
	.amdhsa_kernel _ZN7rocprim17ROCPRIM_400000_NS6detail17trampoline_kernelINS0_14default_configENS1_36segmented_radix_sort_config_selectorIslEEZNS1_25segmented_radix_sort_implIS3_Lb0EPKsPsPKlPlN2at6native12_GLOBAL__N_18offset_tEEE10hipError_tPvRmT1_PNSt15iterator_traitsISK_E10value_typeET2_T3_PNSL_ISQ_E10value_typeET4_jRbjT5_SW_jjP12ihipStream_tbEUlT_E0_NS1_11comp_targetILNS1_3genE4ELNS1_11target_archE910ELNS1_3gpuE8ELNS1_3repE0EEENS1_60segmented_radix_sort_warp_sort_medium_config_static_selectorELNS0_4arch9wavefront6targetE1EEEvSK_
		.amdhsa_group_segment_fixed_size 10240
		.amdhsa_private_segment_fixed_size 0
		.amdhsa_kernarg_size 344
		.amdhsa_user_sgpr_count 8
		.amdhsa_user_sgpr_private_segment_buffer 1
		.amdhsa_user_sgpr_dispatch_ptr 0
		.amdhsa_user_sgpr_queue_ptr 0
		.amdhsa_user_sgpr_kernarg_segment_ptr 1
		.amdhsa_user_sgpr_dispatch_id 0
		.amdhsa_user_sgpr_flat_scratch_init 1
		.amdhsa_user_sgpr_kernarg_preload_length 0
		.amdhsa_user_sgpr_kernarg_preload_offset 0
		.amdhsa_user_sgpr_private_segment_size 0
		.amdhsa_uses_dynamic_stack 0
		.amdhsa_system_sgpr_private_segment_wavefront_offset 0
		.amdhsa_system_sgpr_workgroup_id_x 1
		.amdhsa_system_sgpr_workgroup_id_y 1
		.amdhsa_system_sgpr_workgroup_id_z 0
		.amdhsa_system_sgpr_workgroup_info 0
		.amdhsa_system_vgpr_workitem_id 2
		.amdhsa_next_free_vgpr 88
		.amdhsa_next_free_sgpr 50
		.amdhsa_accum_offset 88
		.amdhsa_reserve_vcc 1
		.amdhsa_reserve_flat_scratch 1
		.amdhsa_float_round_mode_32 0
		.amdhsa_float_round_mode_16_64 0
		.amdhsa_float_denorm_mode_32 3
		.amdhsa_float_denorm_mode_16_64 3
		.amdhsa_dx10_clamp 1
		.amdhsa_ieee_mode 1
		.amdhsa_fp16_overflow 0
		.amdhsa_tg_split 0
		.amdhsa_exception_fp_ieee_invalid_op 0
		.amdhsa_exception_fp_denorm_src 0
		.amdhsa_exception_fp_ieee_div_zero 0
		.amdhsa_exception_fp_ieee_overflow 0
		.amdhsa_exception_fp_ieee_underflow 0
		.amdhsa_exception_fp_ieee_inexact 0
		.amdhsa_exception_int_div_zero 0
	.end_amdhsa_kernel
	.section	.text._ZN7rocprim17ROCPRIM_400000_NS6detail17trampoline_kernelINS0_14default_configENS1_36segmented_radix_sort_config_selectorIslEEZNS1_25segmented_radix_sort_implIS3_Lb0EPKsPsPKlPlN2at6native12_GLOBAL__N_18offset_tEEE10hipError_tPvRmT1_PNSt15iterator_traitsISK_E10value_typeET2_T3_PNSL_ISQ_E10value_typeET4_jRbjT5_SW_jjP12ihipStream_tbEUlT_E0_NS1_11comp_targetILNS1_3genE4ELNS1_11target_archE910ELNS1_3gpuE8ELNS1_3repE0EEENS1_60segmented_radix_sort_warp_sort_medium_config_static_selectorELNS0_4arch9wavefront6targetE1EEEvSK_,"axG",@progbits,_ZN7rocprim17ROCPRIM_400000_NS6detail17trampoline_kernelINS0_14default_configENS1_36segmented_radix_sort_config_selectorIslEEZNS1_25segmented_radix_sort_implIS3_Lb0EPKsPsPKlPlN2at6native12_GLOBAL__N_18offset_tEEE10hipError_tPvRmT1_PNSt15iterator_traitsISK_E10value_typeET2_T3_PNSL_ISQ_E10value_typeET4_jRbjT5_SW_jjP12ihipStream_tbEUlT_E0_NS1_11comp_targetILNS1_3genE4ELNS1_11target_archE910ELNS1_3gpuE8ELNS1_3repE0EEENS1_60segmented_radix_sort_warp_sort_medium_config_static_selectorELNS0_4arch9wavefront6targetE1EEEvSK_,comdat
.Lfunc_end1026:
	.size	_ZN7rocprim17ROCPRIM_400000_NS6detail17trampoline_kernelINS0_14default_configENS1_36segmented_radix_sort_config_selectorIslEEZNS1_25segmented_radix_sort_implIS3_Lb0EPKsPsPKlPlN2at6native12_GLOBAL__N_18offset_tEEE10hipError_tPvRmT1_PNSt15iterator_traitsISK_E10value_typeET2_T3_PNSL_ISQ_E10value_typeET4_jRbjT5_SW_jjP12ihipStream_tbEUlT_E0_NS1_11comp_targetILNS1_3genE4ELNS1_11target_archE910ELNS1_3gpuE8ELNS1_3repE0EEENS1_60segmented_radix_sort_warp_sort_medium_config_static_selectorELNS0_4arch9wavefront6targetE1EEEvSK_, .Lfunc_end1026-_ZN7rocprim17ROCPRIM_400000_NS6detail17trampoline_kernelINS0_14default_configENS1_36segmented_radix_sort_config_selectorIslEEZNS1_25segmented_radix_sort_implIS3_Lb0EPKsPsPKlPlN2at6native12_GLOBAL__N_18offset_tEEE10hipError_tPvRmT1_PNSt15iterator_traitsISK_E10value_typeET2_T3_PNSL_ISQ_E10value_typeET4_jRbjT5_SW_jjP12ihipStream_tbEUlT_E0_NS1_11comp_targetILNS1_3genE4ELNS1_11target_archE910ELNS1_3gpuE8ELNS1_3repE0EEENS1_60segmented_radix_sort_warp_sort_medium_config_static_selectorELNS0_4arch9wavefront6targetE1EEEvSK_
                                        ; -- End function
	.section	.AMDGPU.csdata,"",@progbits
; Kernel info:
; codeLenInByte = 512
; NumSgprs: 56
; NumVgprs: 88
; NumAgprs: 0
; TotalNumVgprs: 88
; ScratchSize: 0
; MemoryBound: 0
; FloatMode: 240
; IeeeMode: 1
; LDSByteSize: 10240 bytes/workgroup (compile time only)
; SGPRBlocks: 6
; VGPRBlocks: 10
; NumSGPRsForWavesPerEU: 56
; NumVGPRsForWavesPerEU: 88
; AccumOffset: 88
; Occupancy: 5
; WaveLimiterHint : 0
; COMPUTE_PGM_RSRC2:SCRATCH_EN: 0
; COMPUTE_PGM_RSRC2:USER_SGPR: 8
; COMPUTE_PGM_RSRC2:TRAP_HANDLER: 0
; COMPUTE_PGM_RSRC2:TGID_X_EN: 1
; COMPUTE_PGM_RSRC2:TGID_Y_EN: 1
; COMPUTE_PGM_RSRC2:TGID_Z_EN: 0
; COMPUTE_PGM_RSRC2:TIDIG_COMP_CNT: 2
; COMPUTE_PGM_RSRC3_GFX90A:ACCUM_OFFSET: 21
; COMPUTE_PGM_RSRC3_GFX90A:TG_SPLIT: 0
	.section	.text._ZN7rocprim17ROCPRIM_400000_NS6detail17trampoline_kernelINS0_14default_configENS1_36segmented_radix_sort_config_selectorIslEEZNS1_25segmented_radix_sort_implIS3_Lb0EPKsPsPKlPlN2at6native12_GLOBAL__N_18offset_tEEE10hipError_tPvRmT1_PNSt15iterator_traitsISK_E10value_typeET2_T3_PNSL_ISQ_E10value_typeET4_jRbjT5_SW_jjP12ihipStream_tbEUlT_E0_NS1_11comp_targetILNS1_3genE3ELNS1_11target_archE908ELNS1_3gpuE7ELNS1_3repE0EEENS1_60segmented_radix_sort_warp_sort_medium_config_static_selectorELNS0_4arch9wavefront6targetE1EEEvSK_,"axG",@progbits,_ZN7rocprim17ROCPRIM_400000_NS6detail17trampoline_kernelINS0_14default_configENS1_36segmented_radix_sort_config_selectorIslEEZNS1_25segmented_radix_sort_implIS3_Lb0EPKsPsPKlPlN2at6native12_GLOBAL__N_18offset_tEEE10hipError_tPvRmT1_PNSt15iterator_traitsISK_E10value_typeET2_T3_PNSL_ISQ_E10value_typeET4_jRbjT5_SW_jjP12ihipStream_tbEUlT_E0_NS1_11comp_targetILNS1_3genE3ELNS1_11target_archE908ELNS1_3gpuE7ELNS1_3repE0EEENS1_60segmented_radix_sort_warp_sort_medium_config_static_selectorELNS0_4arch9wavefront6targetE1EEEvSK_,comdat
	.globl	_ZN7rocprim17ROCPRIM_400000_NS6detail17trampoline_kernelINS0_14default_configENS1_36segmented_radix_sort_config_selectorIslEEZNS1_25segmented_radix_sort_implIS3_Lb0EPKsPsPKlPlN2at6native12_GLOBAL__N_18offset_tEEE10hipError_tPvRmT1_PNSt15iterator_traitsISK_E10value_typeET2_T3_PNSL_ISQ_E10value_typeET4_jRbjT5_SW_jjP12ihipStream_tbEUlT_E0_NS1_11comp_targetILNS1_3genE3ELNS1_11target_archE908ELNS1_3gpuE7ELNS1_3repE0EEENS1_60segmented_radix_sort_warp_sort_medium_config_static_selectorELNS0_4arch9wavefront6targetE1EEEvSK_ ; -- Begin function _ZN7rocprim17ROCPRIM_400000_NS6detail17trampoline_kernelINS0_14default_configENS1_36segmented_radix_sort_config_selectorIslEEZNS1_25segmented_radix_sort_implIS3_Lb0EPKsPsPKlPlN2at6native12_GLOBAL__N_18offset_tEEE10hipError_tPvRmT1_PNSt15iterator_traitsISK_E10value_typeET2_T3_PNSL_ISQ_E10value_typeET4_jRbjT5_SW_jjP12ihipStream_tbEUlT_E0_NS1_11comp_targetILNS1_3genE3ELNS1_11target_archE908ELNS1_3gpuE7ELNS1_3repE0EEENS1_60segmented_radix_sort_warp_sort_medium_config_static_selectorELNS0_4arch9wavefront6targetE1EEEvSK_
	.p2align	8
	.type	_ZN7rocprim17ROCPRIM_400000_NS6detail17trampoline_kernelINS0_14default_configENS1_36segmented_radix_sort_config_selectorIslEEZNS1_25segmented_radix_sort_implIS3_Lb0EPKsPsPKlPlN2at6native12_GLOBAL__N_18offset_tEEE10hipError_tPvRmT1_PNSt15iterator_traitsISK_E10value_typeET2_T3_PNSL_ISQ_E10value_typeET4_jRbjT5_SW_jjP12ihipStream_tbEUlT_E0_NS1_11comp_targetILNS1_3genE3ELNS1_11target_archE908ELNS1_3gpuE7ELNS1_3repE0EEENS1_60segmented_radix_sort_warp_sort_medium_config_static_selectorELNS0_4arch9wavefront6targetE1EEEvSK_,@function
_ZN7rocprim17ROCPRIM_400000_NS6detail17trampoline_kernelINS0_14default_configENS1_36segmented_radix_sort_config_selectorIslEEZNS1_25segmented_radix_sort_implIS3_Lb0EPKsPsPKlPlN2at6native12_GLOBAL__N_18offset_tEEE10hipError_tPvRmT1_PNSt15iterator_traitsISK_E10value_typeET2_T3_PNSL_ISQ_E10value_typeET4_jRbjT5_SW_jjP12ihipStream_tbEUlT_E0_NS1_11comp_targetILNS1_3genE3ELNS1_11target_archE908ELNS1_3gpuE7ELNS1_3repE0EEENS1_60segmented_radix_sort_warp_sort_medium_config_static_selectorELNS0_4arch9wavefront6targetE1EEEvSK_: ; @_ZN7rocprim17ROCPRIM_400000_NS6detail17trampoline_kernelINS0_14default_configENS1_36segmented_radix_sort_config_selectorIslEEZNS1_25segmented_radix_sort_implIS3_Lb0EPKsPsPKlPlN2at6native12_GLOBAL__N_18offset_tEEE10hipError_tPvRmT1_PNSt15iterator_traitsISK_E10value_typeET2_T3_PNSL_ISQ_E10value_typeET4_jRbjT5_SW_jjP12ihipStream_tbEUlT_E0_NS1_11comp_targetILNS1_3genE3ELNS1_11target_archE908ELNS1_3gpuE7ELNS1_3repE0EEENS1_60segmented_radix_sort_warp_sort_medium_config_static_selectorELNS0_4arch9wavefront6targetE1EEEvSK_
; %bb.0:
	.section	.rodata,"a",@progbits
	.p2align	6, 0x0
	.amdhsa_kernel _ZN7rocprim17ROCPRIM_400000_NS6detail17trampoline_kernelINS0_14default_configENS1_36segmented_radix_sort_config_selectorIslEEZNS1_25segmented_radix_sort_implIS3_Lb0EPKsPsPKlPlN2at6native12_GLOBAL__N_18offset_tEEE10hipError_tPvRmT1_PNSt15iterator_traitsISK_E10value_typeET2_T3_PNSL_ISQ_E10value_typeET4_jRbjT5_SW_jjP12ihipStream_tbEUlT_E0_NS1_11comp_targetILNS1_3genE3ELNS1_11target_archE908ELNS1_3gpuE7ELNS1_3repE0EEENS1_60segmented_radix_sort_warp_sort_medium_config_static_selectorELNS0_4arch9wavefront6targetE1EEEvSK_
		.amdhsa_group_segment_fixed_size 0
		.amdhsa_private_segment_fixed_size 0
		.amdhsa_kernarg_size 88
		.amdhsa_user_sgpr_count 6
		.amdhsa_user_sgpr_private_segment_buffer 1
		.amdhsa_user_sgpr_dispatch_ptr 0
		.amdhsa_user_sgpr_queue_ptr 0
		.amdhsa_user_sgpr_kernarg_segment_ptr 1
		.amdhsa_user_sgpr_dispatch_id 0
		.amdhsa_user_sgpr_flat_scratch_init 0
		.amdhsa_user_sgpr_kernarg_preload_length 0
		.amdhsa_user_sgpr_kernarg_preload_offset 0
		.amdhsa_user_sgpr_private_segment_size 0
		.amdhsa_uses_dynamic_stack 0
		.amdhsa_system_sgpr_private_segment_wavefront_offset 0
		.amdhsa_system_sgpr_workgroup_id_x 1
		.amdhsa_system_sgpr_workgroup_id_y 0
		.amdhsa_system_sgpr_workgroup_id_z 0
		.amdhsa_system_sgpr_workgroup_info 0
		.amdhsa_system_vgpr_workitem_id 0
		.amdhsa_next_free_vgpr 1
		.amdhsa_next_free_sgpr 0
		.amdhsa_accum_offset 4
		.amdhsa_reserve_vcc 0
		.amdhsa_reserve_flat_scratch 0
		.amdhsa_float_round_mode_32 0
		.amdhsa_float_round_mode_16_64 0
		.amdhsa_float_denorm_mode_32 3
		.amdhsa_float_denorm_mode_16_64 3
		.amdhsa_dx10_clamp 1
		.amdhsa_ieee_mode 1
		.amdhsa_fp16_overflow 0
		.amdhsa_tg_split 0
		.amdhsa_exception_fp_ieee_invalid_op 0
		.amdhsa_exception_fp_denorm_src 0
		.amdhsa_exception_fp_ieee_div_zero 0
		.amdhsa_exception_fp_ieee_overflow 0
		.amdhsa_exception_fp_ieee_underflow 0
		.amdhsa_exception_fp_ieee_inexact 0
		.amdhsa_exception_int_div_zero 0
	.end_amdhsa_kernel
	.section	.text._ZN7rocprim17ROCPRIM_400000_NS6detail17trampoline_kernelINS0_14default_configENS1_36segmented_radix_sort_config_selectorIslEEZNS1_25segmented_radix_sort_implIS3_Lb0EPKsPsPKlPlN2at6native12_GLOBAL__N_18offset_tEEE10hipError_tPvRmT1_PNSt15iterator_traitsISK_E10value_typeET2_T3_PNSL_ISQ_E10value_typeET4_jRbjT5_SW_jjP12ihipStream_tbEUlT_E0_NS1_11comp_targetILNS1_3genE3ELNS1_11target_archE908ELNS1_3gpuE7ELNS1_3repE0EEENS1_60segmented_radix_sort_warp_sort_medium_config_static_selectorELNS0_4arch9wavefront6targetE1EEEvSK_,"axG",@progbits,_ZN7rocprim17ROCPRIM_400000_NS6detail17trampoline_kernelINS0_14default_configENS1_36segmented_radix_sort_config_selectorIslEEZNS1_25segmented_radix_sort_implIS3_Lb0EPKsPsPKlPlN2at6native12_GLOBAL__N_18offset_tEEE10hipError_tPvRmT1_PNSt15iterator_traitsISK_E10value_typeET2_T3_PNSL_ISQ_E10value_typeET4_jRbjT5_SW_jjP12ihipStream_tbEUlT_E0_NS1_11comp_targetILNS1_3genE3ELNS1_11target_archE908ELNS1_3gpuE7ELNS1_3repE0EEENS1_60segmented_radix_sort_warp_sort_medium_config_static_selectorELNS0_4arch9wavefront6targetE1EEEvSK_,comdat
.Lfunc_end1027:
	.size	_ZN7rocprim17ROCPRIM_400000_NS6detail17trampoline_kernelINS0_14default_configENS1_36segmented_radix_sort_config_selectorIslEEZNS1_25segmented_radix_sort_implIS3_Lb0EPKsPsPKlPlN2at6native12_GLOBAL__N_18offset_tEEE10hipError_tPvRmT1_PNSt15iterator_traitsISK_E10value_typeET2_T3_PNSL_ISQ_E10value_typeET4_jRbjT5_SW_jjP12ihipStream_tbEUlT_E0_NS1_11comp_targetILNS1_3genE3ELNS1_11target_archE908ELNS1_3gpuE7ELNS1_3repE0EEENS1_60segmented_radix_sort_warp_sort_medium_config_static_selectorELNS0_4arch9wavefront6targetE1EEEvSK_, .Lfunc_end1027-_ZN7rocprim17ROCPRIM_400000_NS6detail17trampoline_kernelINS0_14default_configENS1_36segmented_radix_sort_config_selectorIslEEZNS1_25segmented_radix_sort_implIS3_Lb0EPKsPsPKlPlN2at6native12_GLOBAL__N_18offset_tEEE10hipError_tPvRmT1_PNSt15iterator_traitsISK_E10value_typeET2_T3_PNSL_ISQ_E10value_typeET4_jRbjT5_SW_jjP12ihipStream_tbEUlT_E0_NS1_11comp_targetILNS1_3genE3ELNS1_11target_archE908ELNS1_3gpuE7ELNS1_3repE0EEENS1_60segmented_radix_sort_warp_sort_medium_config_static_selectorELNS0_4arch9wavefront6targetE1EEEvSK_
                                        ; -- End function
	.section	.AMDGPU.csdata,"",@progbits
; Kernel info:
; codeLenInByte = 0
; NumSgprs: 4
; NumVgprs: 0
; NumAgprs: 0
; TotalNumVgprs: 0
; ScratchSize: 0
; MemoryBound: 0
; FloatMode: 240
; IeeeMode: 1
; LDSByteSize: 0 bytes/workgroup (compile time only)
; SGPRBlocks: 0
; VGPRBlocks: 0
; NumSGPRsForWavesPerEU: 4
; NumVGPRsForWavesPerEU: 1
; AccumOffset: 4
; Occupancy: 8
; WaveLimiterHint : 0
; COMPUTE_PGM_RSRC2:SCRATCH_EN: 0
; COMPUTE_PGM_RSRC2:USER_SGPR: 6
; COMPUTE_PGM_RSRC2:TRAP_HANDLER: 0
; COMPUTE_PGM_RSRC2:TGID_X_EN: 1
; COMPUTE_PGM_RSRC2:TGID_Y_EN: 0
; COMPUTE_PGM_RSRC2:TGID_Z_EN: 0
; COMPUTE_PGM_RSRC2:TIDIG_COMP_CNT: 0
; COMPUTE_PGM_RSRC3_GFX90A:ACCUM_OFFSET: 0
; COMPUTE_PGM_RSRC3_GFX90A:TG_SPLIT: 0
	.section	.text._ZN7rocprim17ROCPRIM_400000_NS6detail17trampoline_kernelINS0_14default_configENS1_36segmented_radix_sort_config_selectorIslEEZNS1_25segmented_radix_sort_implIS3_Lb0EPKsPsPKlPlN2at6native12_GLOBAL__N_18offset_tEEE10hipError_tPvRmT1_PNSt15iterator_traitsISK_E10value_typeET2_T3_PNSL_ISQ_E10value_typeET4_jRbjT5_SW_jjP12ihipStream_tbEUlT_E0_NS1_11comp_targetILNS1_3genE2ELNS1_11target_archE906ELNS1_3gpuE6ELNS1_3repE0EEENS1_60segmented_radix_sort_warp_sort_medium_config_static_selectorELNS0_4arch9wavefront6targetE1EEEvSK_,"axG",@progbits,_ZN7rocprim17ROCPRIM_400000_NS6detail17trampoline_kernelINS0_14default_configENS1_36segmented_radix_sort_config_selectorIslEEZNS1_25segmented_radix_sort_implIS3_Lb0EPKsPsPKlPlN2at6native12_GLOBAL__N_18offset_tEEE10hipError_tPvRmT1_PNSt15iterator_traitsISK_E10value_typeET2_T3_PNSL_ISQ_E10value_typeET4_jRbjT5_SW_jjP12ihipStream_tbEUlT_E0_NS1_11comp_targetILNS1_3genE2ELNS1_11target_archE906ELNS1_3gpuE6ELNS1_3repE0EEENS1_60segmented_radix_sort_warp_sort_medium_config_static_selectorELNS0_4arch9wavefront6targetE1EEEvSK_,comdat
	.globl	_ZN7rocprim17ROCPRIM_400000_NS6detail17trampoline_kernelINS0_14default_configENS1_36segmented_radix_sort_config_selectorIslEEZNS1_25segmented_radix_sort_implIS3_Lb0EPKsPsPKlPlN2at6native12_GLOBAL__N_18offset_tEEE10hipError_tPvRmT1_PNSt15iterator_traitsISK_E10value_typeET2_T3_PNSL_ISQ_E10value_typeET4_jRbjT5_SW_jjP12ihipStream_tbEUlT_E0_NS1_11comp_targetILNS1_3genE2ELNS1_11target_archE906ELNS1_3gpuE6ELNS1_3repE0EEENS1_60segmented_radix_sort_warp_sort_medium_config_static_selectorELNS0_4arch9wavefront6targetE1EEEvSK_ ; -- Begin function _ZN7rocprim17ROCPRIM_400000_NS6detail17trampoline_kernelINS0_14default_configENS1_36segmented_radix_sort_config_selectorIslEEZNS1_25segmented_radix_sort_implIS3_Lb0EPKsPsPKlPlN2at6native12_GLOBAL__N_18offset_tEEE10hipError_tPvRmT1_PNSt15iterator_traitsISK_E10value_typeET2_T3_PNSL_ISQ_E10value_typeET4_jRbjT5_SW_jjP12ihipStream_tbEUlT_E0_NS1_11comp_targetILNS1_3genE2ELNS1_11target_archE906ELNS1_3gpuE6ELNS1_3repE0EEENS1_60segmented_radix_sort_warp_sort_medium_config_static_selectorELNS0_4arch9wavefront6targetE1EEEvSK_
	.p2align	8
	.type	_ZN7rocprim17ROCPRIM_400000_NS6detail17trampoline_kernelINS0_14default_configENS1_36segmented_radix_sort_config_selectorIslEEZNS1_25segmented_radix_sort_implIS3_Lb0EPKsPsPKlPlN2at6native12_GLOBAL__N_18offset_tEEE10hipError_tPvRmT1_PNSt15iterator_traitsISK_E10value_typeET2_T3_PNSL_ISQ_E10value_typeET4_jRbjT5_SW_jjP12ihipStream_tbEUlT_E0_NS1_11comp_targetILNS1_3genE2ELNS1_11target_archE906ELNS1_3gpuE6ELNS1_3repE0EEENS1_60segmented_radix_sort_warp_sort_medium_config_static_selectorELNS0_4arch9wavefront6targetE1EEEvSK_,@function
_ZN7rocprim17ROCPRIM_400000_NS6detail17trampoline_kernelINS0_14default_configENS1_36segmented_radix_sort_config_selectorIslEEZNS1_25segmented_radix_sort_implIS3_Lb0EPKsPsPKlPlN2at6native12_GLOBAL__N_18offset_tEEE10hipError_tPvRmT1_PNSt15iterator_traitsISK_E10value_typeET2_T3_PNSL_ISQ_E10value_typeET4_jRbjT5_SW_jjP12ihipStream_tbEUlT_E0_NS1_11comp_targetILNS1_3genE2ELNS1_11target_archE906ELNS1_3gpuE6ELNS1_3repE0EEENS1_60segmented_radix_sort_warp_sort_medium_config_static_selectorELNS0_4arch9wavefront6targetE1EEEvSK_: ; @_ZN7rocprim17ROCPRIM_400000_NS6detail17trampoline_kernelINS0_14default_configENS1_36segmented_radix_sort_config_selectorIslEEZNS1_25segmented_radix_sort_implIS3_Lb0EPKsPsPKlPlN2at6native12_GLOBAL__N_18offset_tEEE10hipError_tPvRmT1_PNSt15iterator_traitsISK_E10value_typeET2_T3_PNSL_ISQ_E10value_typeET4_jRbjT5_SW_jjP12ihipStream_tbEUlT_E0_NS1_11comp_targetILNS1_3genE2ELNS1_11target_archE906ELNS1_3gpuE6ELNS1_3repE0EEENS1_60segmented_radix_sort_warp_sort_medium_config_static_selectorELNS0_4arch9wavefront6targetE1EEEvSK_
; %bb.0:
	.section	.rodata,"a",@progbits
	.p2align	6, 0x0
	.amdhsa_kernel _ZN7rocprim17ROCPRIM_400000_NS6detail17trampoline_kernelINS0_14default_configENS1_36segmented_radix_sort_config_selectorIslEEZNS1_25segmented_radix_sort_implIS3_Lb0EPKsPsPKlPlN2at6native12_GLOBAL__N_18offset_tEEE10hipError_tPvRmT1_PNSt15iterator_traitsISK_E10value_typeET2_T3_PNSL_ISQ_E10value_typeET4_jRbjT5_SW_jjP12ihipStream_tbEUlT_E0_NS1_11comp_targetILNS1_3genE2ELNS1_11target_archE906ELNS1_3gpuE6ELNS1_3repE0EEENS1_60segmented_radix_sort_warp_sort_medium_config_static_selectorELNS0_4arch9wavefront6targetE1EEEvSK_
		.amdhsa_group_segment_fixed_size 0
		.amdhsa_private_segment_fixed_size 0
		.amdhsa_kernarg_size 88
		.amdhsa_user_sgpr_count 6
		.amdhsa_user_sgpr_private_segment_buffer 1
		.amdhsa_user_sgpr_dispatch_ptr 0
		.amdhsa_user_sgpr_queue_ptr 0
		.amdhsa_user_sgpr_kernarg_segment_ptr 1
		.amdhsa_user_sgpr_dispatch_id 0
		.amdhsa_user_sgpr_flat_scratch_init 0
		.amdhsa_user_sgpr_kernarg_preload_length 0
		.amdhsa_user_sgpr_kernarg_preload_offset 0
		.amdhsa_user_sgpr_private_segment_size 0
		.amdhsa_uses_dynamic_stack 0
		.amdhsa_system_sgpr_private_segment_wavefront_offset 0
		.amdhsa_system_sgpr_workgroup_id_x 1
		.amdhsa_system_sgpr_workgroup_id_y 0
		.amdhsa_system_sgpr_workgroup_id_z 0
		.amdhsa_system_sgpr_workgroup_info 0
		.amdhsa_system_vgpr_workitem_id 0
		.amdhsa_next_free_vgpr 1
		.amdhsa_next_free_sgpr 0
		.amdhsa_accum_offset 4
		.amdhsa_reserve_vcc 0
		.amdhsa_reserve_flat_scratch 0
		.amdhsa_float_round_mode_32 0
		.amdhsa_float_round_mode_16_64 0
		.amdhsa_float_denorm_mode_32 3
		.amdhsa_float_denorm_mode_16_64 3
		.amdhsa_dx10_clamp 1
		.amdhsa_ieee_mode 1
		.amdhsa_fp16_overflow 0
		.amdhsa_tg_split 0
		.amdhsa_exception_fp_ieee_invalid_op 0
		.amdhsa_exception_fp_denorm_src 0
		.amdhsa_exception_fp_ieee_div_zero 0
		.amdhsa_exception_fp_ieee_overflow 0
		.amdhsa_exception_fp_ieee_underflow 0
		.amdhsa_exception_fp_ieee_inexact 0
		.amdhsa_exception_int_div_zero 0
	.end_amdhsa_kernel
	.section	.text._ZN7rocprim17ROCPRIM_400000_NS6detail17trampoline_kernelINS0_14default_configENS1_36segmented_radix_sort_config_selectorIslEEZNS1_25segmented_radix_sort_implIS3_Lb0EPKsPsPKlPlN2at6native12_GLOBAL__N_18offset_tEEE10hipError_tPvRmT1_PNSt15iterator_traitsISK_E10value_typeET2_T3_PNSL_ISQ_E10value_typeET4_jRbjT5_SW_jjP12ihipStream_tbEUlT_E0_NS1_11comp_targetILNS1_3genE2ELNS1_11target_archE906ELNS1_3gpuE6ELNS1_3repE0EEENS1_60segmented_radix_sort_warp_sort_medium_config_static_selectorELNS0_4arch9wavefront6targetE1EEEvSK_,"axG",@progbits,_ZN7rocprim17ROCPRIM_400000_NS6detail17trampoline_kernelINS0_14default_configENS1_36segmented_radix_sort_config_selectorIslEEZNS1_25segmented_radix_sort_implIS3_Lb0EPKsPsPKlPlN2at6native12_GLOBAL__N_18offset_tEEE10hipError_tPvRmT1_PNSt15iterator_traitsISK_E10value_typeET2_T3_PNSL_ISQ_E10value_typeET4_jRbjT5_SW_jjP12ihipStream_tbEUlT_E0_NS1_11comp_targetILNS1_3genE2ELNS1_11target_archE906ELNS1_3gpuE6ELNS1_3repE0EEENS1_60segmented_radix_sort_warp_sort_medium_config_static_selectorELNS0_4arch9wavefront6targetE1EEEvSK_,comdat
.Lfunc_end1028:
	.size	_ZN7rocprim17ROCPRIM_400000_NS6detail17trampoline_kernelINS0_14default_configENS1_36segmented_radix_sort_config_selectorIslEEZNS1_25segmented_radix_sort_implIS3_Lb0EPKsPsPKlPlN2at6native12_GLOBAL__N_18offset_tEEE10hipError_tPvRmT1_PNSt15iterator_traitsISK_E10value_typeET2_T3_PNSL_ISQ_E10value_typeET4_jRbjT5_SW_jjP12ihipStream_tbEUlT_E0_NS1_11comp_targetILNS1_3genE2ELNS1_11target_archE906ELNS1_3gpuE6ELNS1_3repE0EEENS1_60segmented_radix_sort_warp_sort_medium_config_static_selectorELNS0_4arch9wavefront6targetE1EEEvSK_, .Lfunc_end1028-_ZN7rocprim17ROCPRIM_400000_NS6detail17trampoline_kernelINS0_14default_configENS1_36segmented_radix_sort_config_selectorIslEEZNS1_25segmented_radix_sort_implIS3_Lb0EPKsPsPKlPlN2at6native12_GLOBAL__N_18offset_tEEE10hipError_tPvRmT1_PNSt15iterator_traitsISK_E10value_typeET2_T3_PNSL_ISQ_E10value_typeET4_jRbjT5_SW_jjP12ihipStream_tbEUlT_E0_NS1_11comp_targetILNS1_3genE2ELNS1_11target_archE906ELNS1_3gpuE6ELNS1_3repE0EEENS1_60segmented_radix_sort_warp_sort_medium_config_static_selectorELNS0_4arch9wavefront6targetE1EEEvSK_
                                        ; -- End function
	.section	.AMDGPU.csdata,"",@progbits
; Kernel info:
; codeLenInByte = 0
; NumSgprs: 4
; NumVgprs: 0
; NumAgprs: 0
; TotalNumVgprs: 0
; ScratchSize: 0
; MemoryBound: 0
; FloatMode: 240
; IeeeMode: 1
; LDSByteSize: 0 bytes/workgroup (compile time only)
; SGPRBlocks: 0
; VGPRBlocks: 0
; NumSGPRsForWavesPerEU: 4
; NumVGPRsForWavesPerEU: 1
; AccumOffset: 4
; Occupancy: 8
; WaveLimiterHint : 0
; COMPUTE_PGM_RSRC2:SCRATCH_EN: 0
; COMPUTE_PGM_RSRC2:USER_SGPR: 6
; COMPUTE_PGM_RSRC2:TRAP_HANDLER: 0
; COMPUTE_PGM_RSRC2:TGID_X_EN: 1
; COMPUTE_PGM_RSRC2:TGID_Y_EN: 0
; COMPUTE_PGM_RSRC2:TGID_Z_EN: 0
; COMPUTE_PGM_RSRC2:TIDIG_COMP_CNT: 0
; COMPUTE_PGM_RSRC3_GFX90A:ACCUM_OFFSET: 0
; COMPUTE_PGM_RSRC3_GFX90A:TG_SPLIT: 0
	.section	.text._ZN7rocprim17ROCPRIM_400000_NS6detail17trampoline_kernelINS0_14default_configENS1_36segmented_radix_sort_config_selectorIslEEZNS1_25segmented_radix_sort_implIS3_Lb0EPKsPsPKlPlN2at6native12_GLOBAL__N_18offset_tEEE10hipError_tPvRmT1_PNSt15iterator_traitsISK_E10value_typeET2_T3_PNSL_ISQ_E10value_typeET4_jRbjT5_SW_jjP12ihipStream_tbEUlT_E0_NS1_11comp_targetILNS1_3genE10ELNS1_11target_archE1201ELNS1_3gpuE5ELNS1_3repE0EEENS1_60segmented_radix_sort_warp_sort_medium_config_static_selectorELNS0_4arch9wavefront6targetE1EEEvSK_,"axG",@progbits,_ZN7rocprim17ROCPRIM_400000_NS6detail17trampoline_kernelINS0_14default_configENS1_36segmented_radix_sort_config_selectorIslEEZNS1_25segmented_radix_sort_implIS3_Lb0EPKsPsPKlPlN2at6native12_GLOBAL__N_18offset_tEEE10hipError_tPvRmT1_PNSt15iterator_traitsISK_E10value_typeET2_T3_PNSL_ISQ_E10value_typeET4_jRbjT5_SW_jjP12ihipStream_tbEUlT_E0_NS1_11comp_targetILNS1_3genE10ELNS1_11target_archE1201ELNS1_3gpuE5ELNS1_3repE0EEENS1_60segmented_radix_sort_warp_sort_medium_config_static_selectorELNS0_4arch9wavefront6targetE1EEEvSK_,comdat
	.globl	_ZN7rocprim17ROCPRIM_400000_NS6detail17trampoline_kernelINS0_14default_configENS1_36segmented_radix_sort_config_selectorIslEEZNS1_25segmented_radix_sort_implIS3_Lb0EPKsPsPKlPlN2at6native12_GLOBAL__N_18offset_tEEE10hipError_tPvRmT1_PNSt15iterator_traitsISK_E10value_typeET2_T3_PNSL_ISQ_E10value_typeET4_jRbjT5_SW_jjP12ihipStream_tbEUlT_E0_NS1_11comp_targetILNS1_3genE10ELNS1_11target_archE1201ELNS1_3gpuE5ELNS1_3repE0EEENS1_60segmented_radix_sort_warp_sort_medium_config_static_selectorELNS0_4arch9wavefront6targetE1EEEvSK_ ; -- Begin function _ZN7rocprim17ROCPRIM_400000_NS6detail17trampoline_kernelINS0_14default_configENS1_36segmented_radix_sort_config_selectorIslEEZNS1_25segmented_radix_sort_implIS3_Lb0EPKsPsPKlPlN2at6native12_GLOBAL__N_18offset_tEEE10hipError_tPvRmT1_PNSt15iterator_traitsISK_E10value_typeET2_T3_PNSL_ISQ_E10value_typeET4_jRbjT5_SW_jjP12ihipStream_tbEUlT_E0_NS1_11comp_targetILNS1_3genE10ELNS1_11target_archE1201ELNS1_3gpuE5ELNS1_3repE0EEENS1_60segmented_radix_sort_warp_sort_medium_config_static_selectorELNS0_4arch9wavefront6targetE1EEEvSK_
	.p2align	8
	.type	_ZN7rocprim17ROCPRIM_400000_NS6detail17trampoline_kernelINS0_14default_configENS1_36segmented_radix_sort_config_selectorIslEEZNS1_25segmented_radix_sort_implIS3_Lb0EPKsPsPKlPlN2at6native12_GLOBAL__N_18offset_tEEE10hipError_tPvRmT1_PNSt15iterator_traitsISK_E10value_typeET2_T3_PNSL_ISQ_E10value_typeET4_jRbjT5_SW_jjP12ihipStream_tbEUlT_E0_NS1_11comp_targetILNS1_3genE10ELNS1_11target_archE1201ELNS1_3gpuE5ELNS1_3repE0EEENS1_60segmented_radix_sort_warp_sort_medium_config_static_selectorELNS0_4arch9wavefront6targetE1EEEvSK_,@function
_ZN7rocprim17ROCPRIM_400000_NS6detail17trampoline_kernelINS0_14default_configENS1_36segmented_radix_sort_config_selectorIslEEZNS1_25segmented_radix_sort_implIS3_Lb0EPKsPsPKlPlN2at6native12_GLOBAL__N_18offset_tEEE10hipError_tPvRmT1_PNSt15iterator_traitsISK_E10value_typeET2_T3_PNSL_ISQ_E10value_typeET4_jRbjT5_SW_jjP12ihipStream_tbEUlT_E0_NS1_11comp_targetILNS1_3genE10ELNS1_11target_archE1201ELNS1_3gpuE5ELNS1_3repE0EEENS1_60segmented_radix_sort_warp_sort_medium_config_static_selectorELNS0_4arch9wavefront6targetE1EEEvSK_: ; @_ZN7rocprim17ROCPRIM_400000_NS6detail17trampoline_kernelINS0_14default_configENS1_36segmented_radix_sort_config_selectorIslEEZNS1_25segmented_radix_sort_implIS3_Lb0EPKsPsPKlPlN2at6native12_GLOBAL__N_18offset_tEEE10hipError_tPvRmT1_PNSt15iterator_traitsISK_E10value_typeET2_T3_PNSL_ISQ_E10value_typeET4_jRbjT5_SW_jjP12ihipStream_tbEUlT_E0_NS1_11comp_targetILNS1_3genE10ELNS1_11target_archE1201ELNS1_3gpuE5ELNS1_3repE0EEENS1_60segmented_radix_sort_warp_sort_medium_config_static_selectorELNS0_4arch9wavefront6targetE1EEEvSK_
; %bb.0:
	.section	.rodata,"a",@progbits
	.p2align	6, 0x0
	.amdhsa_kernel _ZN7rocprim17ROCPRIM_400000_NS6detail17trampoline_kernelINS0_14default_configENS1_36segmented_radix_sort_config_selectorIslEEZNS1_25segmented_radix_sort_implIS3_Lb0EPKsPsPKlPlN2at6native12_GLOBAL__N_18offset_tEEE10hipError_tPvRmT1_PNSt15iterator_traitsISK_E10value_typeET2_T3_PNSL_ISQ_E10value_typeET4_jRbjT5_SW_jjP12ihipStream_tbEUlT_E0_NS1_11comp_targetILNS1_3genE10ELNS1_11target_archE1201ELNS1_3gpuE5ELNS1_3repE0EEENS1_60segmented_radix_sort_warp_sort_medium_config_static_selectorELNS0_4arch9wavefront6targetE1EEEvSK_
		.amdhsa_group_segment_fixed_size 0
		.amdhsa_private_segment_fixed_size 0
		.amdhsa_kernarg_size 88
		.amdhsa_user_sgpr_count 6
		.amdhsa_user_sgpr_private_segment_buffer 1
		.amdhsa_user_sgpr_dispatch_ptr 0
		.amdhsa_user_sgpr_queue_ptr 0
		.amdhsa_user_sgpr_kernarg_segment_ptr 1
		.amdhsa_user_sgpr_dispatch_id 0
		.amdhsa_user_sgpr_flat_scratch_init 0
		.amdhsa_user_sgpr_kernarg_preload_length 0
		.amdhsa_user_sgpr_kernarg_preload_offset 0
		.amdhsa_user_sgpr_private_segment_size 0
		.amdhsa_uses_dynamic_stack 0
		.amdhsa_system_sgpr_private_segment_wavefront_offset 0
		.amdhsa_system_sgpr_workgroup_id_x 1
		.amdhsa_system_sgpr_workgroup_id_y 0
		.amdhsa_system_sgpr_workgroup_id_z 0
		.amdhsa_system_sgpr_workgroup_info 0
		.amdhsa_system_vgpr_workitem_id 0
		.amdhsa_next_free_vgpr 1
		.amdhsa_next_free_sgpr 0
		.amdhsa_accum_offset 4
		.amdhsa_reserve_vcc 0
		.amdhsa_reserve_flat_scratch 0
		.amdhsa_float_round_mode_32 0
		.amdhsa_float_round_mode_16_64 0
		.amdhsa_float_denorm_mode_32 3
		.amdhsa_float_denorm_mode_16_64 3
		.amdhsa_dx10_clamp 1
		.amdhsa_ieee_mode 1
		.amdhsa_fp16_overflow 0
		.amdhsa_tg_split 0
		.amdhsa_exception_fp_ieee_invalid_op 0
		.amdhsa_exception_fp_denorm_src 0
		.amdhsa_exception_fp_ieee_div_zero 0
		.amdhsa_exception_fp_ieee_overflow 0
		.amdhsa_exception_fp_ieee_underflow 0
		.amdhsa_exception_fp_ieee_inexact 0
		.amdhsa_exception_int_div_zero 0
	.end_amdhsa_kernel
	.section	.text._ZN7rocprim17ROCPRIM_400000_NS6detail17trampoline_kernelINS0_14default_configENS1_36segmented_radix_sort_config_selectorIslEEZNS1_25segmented_radix_sort_implIS3_Lb0EPKsPsPKlPlN2at6native12_GLOBAL__N_18offset_tEEE10hipError_tPvRmT1_PNSt15iterator_traitsISK_E10value_typeET2_T3_PNSL_ISQ_E10value_typeET4_jRbjT5_SW_jjP12ihipStream_tbEUlT_E0_NS1_11comp_targetILNS1_3genE10ELNS1_11target_archE1201ELNS1_3gpuE5ELNS1_3repE0EEENS1_60segmented_radix_sort_warp_sort_medium_config_static_selectorELNS0_4arch9wavefront6targetE1EEEvSK_,"axG",@progbits,_ZN7rocprim17ROCPRIM_400000_NS6detail17trampoline_kernelINS0_14default_configENS1_36segmented_radix_sort_config_selectorIslEEZNS1_25segmented_radix_sort_implIS3_Lb0EPKsPsPKlPlN2at6native12_GLOBAL__N_18offset_tEEE10hipError_tPvRmT1_PNSt15iterator_traitsISK_E10value_typeET2_T3_PNSL_ISQ_E10value_typeET4_jRbjT5_SW_jjP12ihipStream_tbEUlT_E0_NS1_11comp_targetILNS1_3genE10ELNS1_11target_archE1201ELNS1_3gpuE5ELNS1_3repE0EEENS1_60segmented_radix_sort_warp_sort_medium_config_static_selectorELNS0_4arch9wavefront6targetE1EEEvSK_,comdat
.Lfunc_end1029:
	.size	_ZN7rocprim17ROCPRIM_400000_NS6detail17trampoline_kernelINS0_14default_configENS1_36segmented_radix_sort_config_selectorIslEEZNS1_25segmented_radix_sort_implIS3_Lb0EPKsPsPKlPlN2at6native12_GLOBAL__N_18offset_tEEE10hipError_tPvRmT1_PNSt15iterator_traitsISK_E10value_typeET2_T3_PNSL_ISQ_E10value_typeET4_jRbjT5_SW_jjP12ihipStream_tbEUlT_E0_NS1_11comp_targetILNS1_3genE10ELNS1_11target_archE1201ELNS1_3gpuE5ELNS1_3repE0EEENS1_60segmented_radix_sort_warp_sort_medium_config_static_selectorELNS0_4arch9wavefront6targetE1EEEvSK_, .Lfunc_end1029-_ZN7rocprim17ROCPRIM_400000_NS6detail17trampoline_kernelINS0_14default_configENS1_36segmented_radix_sort_config_selectorIslEEZNS1_25segmented_radix_sort_implIS3_Lb0EPKsPsPKlPlN2at6native12_GLOBAL__N_18offset_tEEE10hipError_tPvRmT1_PNSt15iterator_traitsISK_E10value_typeET2_T3_PNSL_ISQ_E10value_typeET4_jRbjT5_SW_jjP12ihipStream_tbEUlT_E0_NS1_11comp_targetILNS1_3genE10ELNS1_11target_archE1201ELNS1_3gpuE5ELNS1_3repE0EEENS1_60segmented_radix_sort_warp_sort_medium_config_static_selectorELNS0_4arch9wavefront6targetE1EEEvSK_
                                        ; -- End function
	.section	.AMDGPU.csdata,"",@progbits
; Kernel info:
; codeLenInByte = 0
; NumSgprs: 4
; NumVgprs: 0
; NumAgprs: 0
; TotalNumVgprs: 0
; ScratchSize: 0
; MemoryBound: 0
; FloatMode: 240
; IeeeMode: 1
; LDSByteSize: 0 bytes/workgroup (compile time only)
; SGPRBlocks: 0
; VGPRBlocks: 0
; NumSGPRsForWavesPerEU: 4
; NumVGPRsForWavesPerEU: 1
; AccumOffset: 4
; Occupancy: 8
; WaveLimiterHint : 0
; COMPUTE_PGM_RSRC2:SCRATCH_EN: 0
; COMPUTE_PGM_RSRC2:USER_SGPR: 6
; COMPUTE_PGM_RSRC2:TRAP_HANDLER: 0
; COMPUTE_PGM_RSRC2:TGID_X_EN: 1
; COMPUTE_PGM_RSRC2:TGID_Y_EN: 0
; COMPUTE_PGM_RSRC2:TGID_Z_EN: 0
; COMPUTE_PGM_RSRC2:TIDIG_COMP_CNT: 0
; COMPUTE_PGM_RSRC3_GFX90A:ACCUM_OFFSET: 0
; COMPUTE_PGM_RSRC3_GFX90A:TG_SPLIT: 0
	.section	.text._ZN7rocprim17ROCPRIM_400000_NS6detail17trampoline_kernelINS0_14default_configENS1_36segmented_radix_sort_config_selectorIslEEZNS1_25segmented_radix_sort_implIS3_Lb0EPKsPsPKlPlN2at6native12_GLOBAL__N_18offset_tEEE10hipError_tPvRmT1_PNSt15iterator_traitsISK_E10value_typeET2_T3_PNSL_ISQ_E10value_typeET4_jRbjT5_SW_jjP12ihipStream_tbEUlT_E0_NS1_11comp_targetILNS1_3genE10ELNS1_11target_archE1200ELNS1_3gpuE4ELNS1_3repE0EEENS1_60segmented_radix_sort_warp_sort_medium_config_static_selectorELNS0_4arch9wavefront6targetE1EEEvSK_,"axG",@progbits,_ZN7rocprim17ROCPRIM_400000_NS6detail17trampoline_kernelINS0_14default_configENS1_36segmented_radix_sort_config_selectorIslEEZNS1_25segmented_radix_sort_implIS3_Lb0EPKsPsPKlPlN2at6native12_GLOBAL__N_18offset_tEEE10hipError_tPvRmT1_PNSt15iterator_traitsISK_E10value_typeET2_T3_PNSL_ISQ_E10value_typeET4_jRbjT5_SW_jjP12ihipStream_tbEUlT_E0_NS1_11comp_targetILNS1_3genE10ELNS1_11target_archE1200ELNS1_3gpuE4ELNS1_3repE0EEENS1_60segmented_radix_sort_warp_sort_medium_config_static_selectorELNS0_4arch9wavefront6targetE1EEEvSK_,comdat
	.globl	_ZN7rocprim17ROCPRIM_400000_NS6detail17trampoline_kernelINS0_14default_configENS1_36segmented_radix_sort_config_selectorIslEEZNS1_25segmented_radix_sort_implIS3_Lb0EPKsPsPKlPlN2at6native12_GLOBAL__N_18offset_tEEE10hipError_tPvRmT1_PNSt15iterator_traitsISK_E10value_typeET2_T3_PNSL_ISQ_E10value_typeET4_jRbjT5_SW_jjP12ihipStream_tbEUlT_E0_NS1_11comp_targetILNS1_3genE10ELNS1_11target_archE1200ELNS1_3gpuE4ELNS1_3repE0EEENS1_60segmented_radix_sort_warp_sort_medium_config_static_selectorELNS0_4arch9wavefront6targetE1EEEvSK_ ; -- Begin function _ZN7rocprim17ROCPRIM_400000_NS6detail17trampoline_kernelINS0_14default_configENS1_36segmented_radix_sort_config_selectorIslEEZNS1_25segmented_radix_sort_implIS3_Lb0EPKsPsPKlPlN2at6native12_GLOBAL__N_18offset_tEEE10hipError_tPvRmT1_PNSt15iterator_traitsISK_E10value_typeET2_T3_PNSL_ISQ_E10value_typeET4_jRbjT5_SW_jjP12ihipStream_tbEUlT_E0_NS1_11comp_targetILNS1_3genE10ELNS1_11target_archE1200ELNS1_3gpuE4ELNS1_3repE0EEENS1_60segmented_radix_sort_warp_sort_medium_config_static_selectorELNS0_4arch9wavefront6targetE1EEEvSK_
	.p2align	8
	.type	_ZN7rocprim17ROCPRIM_400000_NS6detail17trampoline_kernelINS0_14default_configENS1_36segmented_radix_sort_config_selectorIslEEZNS1_25segmented_radix_sort_implIS3_Lb0EPKsPsPKlPlN2at6native12_GLOBAL__N_18offset_tEEE10hipError_tPvRmT1_PNSt15iterator_traitsISK_E10value_typeET2_T3_PNSL_ISQ_E10value_typeET4_jRbjT5_SW_jjP12ihipStream_tbEUlT_E0_NS1_11comp_targetILNS1_3genE10ELNS1_11target_archE1200ELNS1_3gpuE4ELNS1_3repE0EEENS1_60segmented_radix_sort_warp_sort_medium_config_static_selectorELNS0_4arch9wavefront6targetE1EEEvSK_,@function
_ZN7rocprim17ROCPRIM_400000_NS6detail17trampoline_kernelINS0_14default_configENS1_36segmented_radix_sort_config_selectorIslEEZNS1_25segmented_radix_sort_implIS3_Lb0EPKsPsPKlPlN2at6native12_GLOBAL__N_18offset_tEEE10hipError_tPvRmT1_PNSt15iterator_traitsISK_E10value_typeET2_T3_PNSL_ISQ_E10value_typeET4_jRbjT5_SW_jjP12ihipStream_tbEUlT_E0_NS1_11comp_targetILNS1_3genE10ELNS1_11target_archE1200ELNS1_3gpuE4ELNS1_3repE0EEENS1_60segmented_radix_sort_warp_sort_medium_config_static_selectorELNS0_4arch9wavefront6targetE1EEEvSK_: ; @_ZN7rocprim17ROCPRIM_400000_NS6detail17trampoline_kernelINS0_14default_configENS1_36segmented_radix_sort_config_selectorIslEEZNS1_25segmented_radix_sort_implIS3_Lb0EPKsPsPKlPlN2at6native12_GLOBAL__N_18offset_tEEE10hipError_tPvRmT1_PNSt15iterator_traitsISK_E10value_typeET2_T3_PNSL_ISQ_E10value_typeET4_jRbjT5_SW_jjP12ihipStream_tbEUlT_E0_NS1_11comp_targetILNS1_3genE10ELNS1_11target_archE1200ELNS1_3gpuE4ELNS1_3repE0EEENS1_60segmented_radix_sort_warp_sort_medium_config_static_selectorELNS0_4arch9wavefront6targetE1EEEvSK_
; %bb.0:
	.section	.rodata,"a",@progbits
	.p2align	6, 0x0
	.amdhsa_kernel _ZN7rocprim17ROCPRIM_400000_NS6detail17trampoline_kernelINS0_14default_configENS1_36segmented_radix_sort_config_selectorIslEEZNS1_25segmented_radix_sort_implIS3_Lb0EPKsPsPKlPlN2at6native12_GLOBAL__N_18offset_tEEE10hipError_tPvRmT1_PNSt15iterator_traitsISK_E10value_typeET2_T3_PNSL_ISQ_E10value_typeET4_jRbjT5_SW_jjP12ihipStream_tbEUlT_E0_NS1_11comp_targetILNS1_3genE10ELNS1_11target_archE1200ELNS1_3gpuE4ELNS1_3repE0EEENS1_60segmented_radix_sort_warp_sort_medium_config_static_selectorELNS0_4arch9wavefront6targetE1EEEvSK_
		.amdhsa_group_segment_fixed_size 0
		.amdhsa_private_segment_fixed_size 0
		.amdhsa_kernarg_size 88
		.amdhsa_user_sgpr_count 6
		.amdhsa_user_sgpr_private_segment_buffer 1
		.amdhsa_user_sgpr_dispatch_ptr 0
		.amdhsa_user_sgpr_queue_ptr 0
		.amdhsa_user_sgpr_kernarg_segment_ptr 1
		.amdhsa_user_sgpr_dispatch_id 0
		.amdhsa_user_sgpr_flat_scratch_init 0
		.amdhsa_user_sgpr_kernarg_preload_length 0
		.amdhsa_user_sgpr_kernarg_preload_offset 0
		.amdhsa_user_sgpr_private_segment_size 0
		.amdhsa_uses_dynamic_stack 0
		.amdhsa_system_sgpr_private_segment_wavefront_offset 0
		.amdhsa_system_sgpr_workgroup_id_x 1
		.amdhsa_system_sgpr_workgroup_id_y 0
		.amdhsa_system_sgpr_workgroup_id_z 0
		.amdhsa_system_sgpr_workgroup_info 0
		.amdhsa_system_vgpr_workitem_id 0
		.amdhsa_next_free_vgpr 1
		.amdhsa_next_free_sgpr 0
		.amdhsa_accum_offset 4
		.amdhsa_reserve_vcc 0
		.amdhsa_reserve_flat_scratch 0
		.amdhsa_float_round_mode_32 0
		.amdhsa_float_round_mode_16_64 0
		.amdhsa_float_denorm_mode_32 3
		.amdhsa_float_denorm_mode_16_64 3
		.amdhsa_dx10_clamp 1
		.amdhsa_ieee_mode 1
		.amdhsa_fp16_overflow 0
		.amdhsa_tg_split 0
		.amdhsa_exception_fp_ieee_invalid_op 0
		.amdhsa_exception_fp_denorm_src 0
		.amdhsa_exception_fp_ieee_div_zero 0
		.amdhsa_exception_fp_ieee_overflow 0
		.amdhsa_exception_fp_ieee_underflow 0
		.amdhsa_exception_fp_ieee_inexact 0
		.amdhsa_exception_int_div_zero 0
	.end_amdhsa_kernel
	.section	.text._ZN7rocprim17ROCPRIM_400000_NS6detail17trampoline_kernelINS0_14default_configENS1_36segmented_radix_sort_config_selectorIslEEZNS1_25segmented_radix_sort_implIS3_Lb0EPKsPsPKlPlN2at6native12_GLOBAL__N_18offset_tEEE10hipError_tPvRmT1_PNSt15iterator_traitsISK_E10value_typeET2_T3_PNSL_ISQ_E10value_typeET4_jRbjT5_SW_jjP12ihipStream_tbEUlT_E0_NS1_11comp_targetILNS1_3genE10ELNS1_11target_archE1200ELNS1_3gpuE4ELNS1_3repE0EEENS1_60segmented_radix_sort_warp_sort_medium_config_static_selectorELNS0_4arch9wavefront6targetE1EEEvSK_,"axG",@progbits,_ZN7rocprim17ROCPRIM_400000_NS6detail17trampoline_kernelINS0_14default_configENS1_36segmented_radix_sort_config_selectorIslEEZNS1_25segmented_radix_sort_implIS3_Lb0EPKsPsPKlPlN2at6native12_GLOBAL__N_18offset_tEEE10hipError_tPvRmT1_PNSt15iterator_traitsISK_E10value_typeET2_T3_PNSL_ISQ_E10value_typeET4_jRbjT5_SW_jjP12ihipStream_tbEUlT_E0_NS1_11comp_targetILNS1_3genE10ELNS1_11target_archE1200ELNS1_3gpuE4ELNS1_3repE0EEENS1_60segmented_radix_sort_warp_sort_medium_config_static_selectorELNS0_4arch9wavefront6targetE1EEEvSK_,comdat
.Lfunc_end1030:
	.size	_ZN7rocprim17ROCPRIM_400000_NS6detail17trampoline_kernelINS0_14default_configENS1_36segmented_radix_sort_config_selectorIslEEZNS1_25segmented_radix_sort_implIS3_Lb0EPKsPsPKlPlN2at6native12_GLOBAL__N_18offset_tEEE10hipError_tPvRmT1_PNSt15iterator_traitsISK_E10value_typeET2_T3_PNSL_ISQ_E10value_typeET4_jRbjT5_SW_jjP12ihipStream_tbEUlT_E0_NS1_11comp_targetILNS1_3genE10ELNS1_11target_archE1200ELNS1_3gpuE4ELNS1_3repE0EEENS1_60segmented_radix_sort_warp_sort_medium_config_static_selectorELNS0_4arch9wavefront6targetE1EEEvSK_, .Lfunc_end1030-_ZN7rocprim17ROCPRIM_400000_NS6detail17trampoline_kernelINS0_14default_configENS1_36segmented_radix_sort_config_selectorIslEEZNS1_25segmented_radix_sort_implIS3_Lb0EPKsPsPKlPlN2at6native12_GLOBAL__N_18offset_tEEE10hipError_tPvRmT1_PNSt15iterator_traitsISK_E10value_typeET2_T3_PNSL_ISQ_E10value_typeET4_jRbjT5_SW_jjP12ihipStream_tbEUlT_E0_NS1_11comp_targetILNS1_3genE10ELNS1_11target_archE1200ELNS1_3gpuE4ELNS1_3repE0EEENS1_60segmented_radix_sort_warp_sort_medium_config_static_selectorELNS0_4arch9wavefront6targetE1EEEvSK_
                                        ; -- End function
	.section	.AMDGPU.csdata,"",@progbits
; Kernel info:
; codeLenInByte = 0
; NumSgprs: 4
; NumVgprs: 0
; NumAgprs: 0
; TotalNumVgprs: 0
; ScratchSize: 0
; MemoryBound: 0
; FloatMode: 240
; IeeeMode: 1
; LDSByteSize: 0 bytes/workgroup (compile time only)
; SGPRBlocks: 0
; VGPRBlocks: 0
; NumSGPRsForWavesPerEU: 4
; NumVGPRsForWavesPerEU: 1
; AccumOffset: 4
; Occupancy: 8
; WaveLimiterHint : 0
; COMPUTE_PGM_RSRC2:SCRATCH_EN: 0
; COMPUTE_PGM_RSRC2:USER_SGPR: 6
; COMPUTE_PGM_RSRC2:TRAP_HANDLER: 0
; COMPUTE_PGM_RSRC2:TGID_X_EN: 1
; COMPUTE_PGM_RSRC2:TGID_Y_EN: 0
; COMPUTE_PGM_RSRC2:TGID_Z_EN: 0
; COMPUTE_PGM_RSRC2:TIDIG_COMP_CNT: 0
; COMPUTE_PGM_RSRC3_GFX90A:ACCUM_OFFSET: 0
; COMPUTE_PGM_RSRC3_GFX90A:TG_SPLIT: 0
	.section	.text._ZN7rocprim17ROCPRIM_400000_NS6detail17trampoline_kernelINS0_14default_configENS1_36segmented_radix_sort_config_selectorIslEEZNS1_25segmented_radix_sort_implIS3_Lb0EPKsPsPKlPlN2at6native12_GLOBAL__N_18offset_tEEE10hipError_tPvRmT1_PNSt15iterator_traitsISK_E10value_typeET2_T3_PNSL_ISQ_E10value_typeET4_jRbjT5_SW_jjP12ihipStream_tbEUlT_E0_NS1_11comp_targetILNS1_3genE9ELNS1_11target_archE1100ELNS1_3gpuE3ELNS1_3repE0EEENS1_60segmented_radix_sort_warp_sort_medium_config_static_selectorELNS0_4arch9wavefront6targetE1EEEvSK_,"axG",@progbits,_ZN7rocprim17ROCPRIM_400000_NS6detail17trampoline_kernelINS0_14default_configENS1_36segmented_radix_sort_config_selectorIslEEZNS1_25segmented_radix_sort_implIS3_Lb0EPKsPsPKlPlN2at6native12_GLOBAL__N_18offset_tEEE10hipError_tPvRmT1_PNSt15iterator_traitsISK_E10value_typeET2_T3_PNSL_ISQ_E10value_typeET4_jRbjT5_SW_jjP12ihipStream_tbEUlT_E0_NS1_11comp_targetILNS1_3genE9ELNS1_11target_archE1100ELNS1_3gpuE3ELNS1_3repE0EEENS1_60segmented_radix_sort_warp_sort_medium_config_static_selectorELNS0_4arch9wavefront6targetE1EEEvSK_,comdat
	.globl	_ZN7rocprim17ROCPRIM_400000_NS6detail17trampoline_kernelINS0_14default_configENS1_36segmented_radix_sort_config_selectorIslEEZNS1_25segmented_radix_sort_implIS3_Lb0EPKsPsPKlPlN2at6native12_GLOBAL__N_18offset_tEEE10hipError_tPvRmT1_PNSt15iterator_traitsISK_E10value_typeET2_T3_PNSL_ISQ_E10value_typeET4_jRbjT5_SW_jjP12ihipStream_tbEUlT_E0_NS1_11comp_targetILNS1_3genE9ELNS1_11target_archE1100ELNS1_3gpuE3ELNS1_3repE0EEENS1_60segmented_radix_sort_warp_sort_medium_config_static_selectorELNS0_4arch9wavefront6targetE1EEEvSK_ ; -- Begin function _ZN7rocprim17ROCPRIM_400000_NS6detail17trampoline_kernelINS0_14default_configENS1_36segmented_radix_sort_config_selectorIslEEZNS1_25segmented_radix_sort_implIS3_Lb0EPKsPsPKlPlN2at6native12_GLOBAL__N_18offset_tEEE10hipError_tPvRmT1_PNSt15iterator_traitsISK_E10value_typeET2_T3_PNSL_ISQ_E10value_typeET4_jRbjT5_SW_jjP12ihipStream_tbEUlT_E0_NS1_11comp_targetILNS1_3genE9ELNS1_11target_archE1100ELNS1_3gpuE3ELNS1_3repE0EEENS1_60segmented_radix_sort_warp_sort_medium_config_static_selectorELNS0_4arch9wavefront6targetE1EEEvSK_
	.p2align	8
	.type	_ZN7rocprim17ROCPRIM_400000_NS6detail17trampoline_kernelINS0_14default_configENS1_36segmented_radix_sort_config_selectorIslEEZNS1_25segmented_radix_sort_implIS3_Lb0EPKsPsPKlPlN2at6native12_GLOBAL__N_18offset_tEEE10hipError_tPvRmT1_PNSt15iterator_traitsISK_E10value_typeET2_T3_PNSL_ISQ_E10value_typeET4_jRbjT5_SW_jjP12ihipStream_tbEUlT_E0_NS1_11comp_targetILNS1_3genE9ELNS1_11target_archE1100ELNS1_3gpuE3ELNS1_3repE0EEENS1_60segmented_radix_sort_warp_sort_medium_config_static_selectorELNS0_4arch9wavefront6targetE1EEEvSK_,@function
_ZN7rocprim17ROCPRIM_400000_NS6detail17trampoline_kernelINS0_14default_configENS1_36segmented_radix_sort_config_selectorIslEEZNS1_25segmented_radix_sort_implIS3_Lb0EPKsPsPKlPlN2at6native12_GLOBAL__N_18offset_tEEE10hipError_tPvRmT1_PNSt15iterator_traitsISK_E10value_typeET2_T3_PNSL_ISQ_E10value_typeET4_jRbjT5_SW_jjP12ihipStream_tbEUlT_E0_NS1_11comp_targetILNS1_3genE9ELNS1_11target_archE1100ELNS1_3gpuE3ELNS1_3repE0EEENS1_60segmented_radix_sort_warp_sort_medium_config_static_selectorELNS0_4arch9wavefront6targetE1EEEvSK_: ; @_ZN7rocprim17ROCPRIM_400000_NS6detail17trampoline_kernelINS0_14default_configENS1_36segmented_radix_sort_config_selectorIslEEZNS1_25segmented_radix_sort_implIS3_Lb0EPKsPsPKlPlN2at6native12_GLOBAL__N_18offset_tEEE10hipError_tPvRmT1_PNSt15iterator_traitsISK_E10value_typeET2_T3_PNSL_ISQ_E10value_typeET4_jRbjT5_SW_jjP12ihipStream_tbEUlT_E0_NS1_11comp_targetILNS1_3genE9ELNS1_11target_archE1100ELNS1_3gpuE3ELNS1_3repE0EEENS1_60segmented_radix_sort_warp_sort_medium_config_static_selectorELNS0_4arch9wavefront6targetE1EEEvSK_
; %bb.0:
	.section	.rodata,"a",@progbits
	.p2align	6, 0x0
	.amdhsa_kernel _ZN7rocprim17ROCPRIM_400000_NS6detail17trampoline_kernelINS0_14default_configENS1_36segmented_radix_sort_config_selectorIslEEZNS1_25segmented_radix_sort_implIS3_Lb0EPKsPsPKlPlN2at6native12_GLOBAL__N_18offset_tEEE10hipError_tPvRmT1_PNSt15iterator_traitsISK_E10value_typeET2_T3_PNSL_ISQ_E10value_typeET4_jRbjT5_SW_jjP12ihipStream_tbEUlT_E0_NS1_11comp_targetILNS1_3genE9ELNS1_11target_archE1100ELNS1_3gpuE3ELNS1_3repE0EEENS1_60segmented_radix_sort_warp_sort_medium_config_static_selectorELNS0_4arch9wavefront6targetE1EEEvSK_
		.amdhsa_group_segment_fixed_size 0
		.amdhsa_private_segment_fixed_size 0
		.amdhsa_kernarg_size 88
		.amdhsa_user_sgpr_count 6
		.amdhsa_user_sgpr_private_segment_buffer 1
		.amdhsa_user_sgpr_dispatch_ptr 0
		.amdhsa_user_sgpr_queue_ptr 0
		.amdhsa_user_sgpr_kernarg_segment_ptr 1
		.amdhsa_user_sgpr_dispatch_id 0
		.amdhsa_user_sgpr_flat_scratch_init 0
		.amdhsa_user_sgpr_kernarg_preload_length 0
		.amdhsa_user_sgpr_kernarg_preload_offset 0
		.amdhsa_user_sgpr_private_segment_size 0
		.amdhsa_uses_dynamic_stack 0
		.amdhsa_system_sgpr_private_segment_wavefront_offset 0
		.amdhsa_system_sgpr_workgroup_id_x 1
		.amdhsa_system_sgpr_workgroup_id_y 0
		.amdhsa_system_sgpr_workgroup_id_z 0
		.amdhsa_system_sgpr_workgroup_info 0
		.amdhsa_system_vgpr_workitem_id 0
		.amdhsa_next_free_vgpr 1
		.amdhsa_next_free_sgpr 0
		.amdhsa_accum_offset 4
		.amdhsa_reserve_vcc 0
		.amdhsa_reserve_flat_scratch 0
		.amdhsa_float_round_mode_32 0
		.amdhsa_float_round_mode_16_64 0
		.amdhsa_float_denorm_mode_32 3
		.amdhsa_float_denorm_mode_16_64 3
		.amdhsa_dx10_clamp 1
		.amdhsa_ieee_mode 1
		.amdhsa_fp16_overflow 0
		.amdhsa_tg_split 0
		.amdhsa_exception_fp_ieee_invalid_op 0
		.amdhsa_exception_fp_denorm_src 0
		.amdhsa_exception_fp_ieee_div_zero 0
		.amdhsa_exception_fp_ieee_overflow 0
		.amdhsa_exception_fp_ieee_underflow 0
		.amdhsa_exception_fp_ieee_inexact 0
		.amdhsa_exception_int_div_zero 0
	.end_amdhsa_kernel
	.section	.text._ZN7rocprim17ROCPRIM_400000_NS6detail17trampoline_kernelINS0_14default_configENS1_36segmented_radix_sort_config_selectorIslEEZNS1_25segmented_radix_sort_implIS3_Lb0EPKsPsPKlPlN2at6native12_GLOBAL__N_18offset_tEEE10hipError_tPvRmT1_PNSt15iterator_traitsISK_E10value_typeET2_T3_PNSL_ISQ_E10value_typeET4_jRbjT5_SW_jjP12ihipStream_tbEUlT_E0_NS1_11comp_targetILNS1_3genE9ELNS1_11target_archE1100ELNS1_3gpuE3ELNS1_3repE0EEENS1_60segmented_radix_sort_warp_sort_medium_config_static_selectorELNS0_4arch9wavefront6targetE1EEEvSK_,"axG",@progbits,_ZN7rocprim17ROCPRIM_400000_NS6detail17trampoline_kernelINS0_14default_configENS1_36segmented_radix_sort_config_selectorIslEEZNS1_25segmented_radix_sort_implIS3_Lb0EPKsPsPKlPlN2at6native12_GLOBAL__N_18offset_tEEE10hipError_tPvRmT1_PNSt15iterator_traitsISK_E10value_typeET2_T3_PNSL_ISQ_E10value_typeET4_jRbjT5_SW_jjP12ihipStream_tbEUlT_E0_NS1_11comp_targetILNS1_3genE9ELNS1_11target_archE1100ELNS1_3gpuE3ELNS1_3repE0EEENS1_60segmented_radix_sort_warp_sort_medium_config_static_selectorELNS0_4arch9wavefront6targetE1EEEvSK_,comdat
.Lfunc_end1031:
	.size	_ZN7rocprim17ROCPRIM_400000_NS6detail17trampoline_kernelINS0_14default_configENS1_36segmented_radix_sort_config_selectorIslEEZNS1_25segmented_radix_sort_implIS3_Lb0EPKsPsPKlPlN2at6native12_GLOBAL__N_18offset_tEEE10hipError_tPvRmT1_PNSt15iterator_traitsISK_E10value_typeET2_T3_PNSL_ISQ_E10value_typeET4_jRbjT5_SW_jjP12ihipStream_tbEUlT_E0_NS1_11comp_targetILNS1_3genE9ELNS1_11target_archE1100ELNS1_3gpuE3ELNS1_3repE0EEENS1_60segmented_radix_sort_warp_sort_medium_config_static_selectorELNS0_4arch9wavefront6targetE1EEEvSK_, .Lfunc_end1031-_ZN7rocprim17ROCPRIM_400000_NS6detail17trampoline_kernelINS0_14default_configENS1_36segmented_radix_sort_config_selectorIslEEZNS1_25segmented_radix_sort_implIS3_Lb0EPKsPsPKlPlN2at6native12_GLOBAL__N_18offset_tEEE10hipError_tPvRmT1_PNSt15iterator_traitsISK_E10value_typeET2_T3_PNSL_ISQ_E10value_typeET4_jRbjT5_SW_jjP12ihipStream_tbEUlT_E0_NS1_11comp_targetILNS1_3genE9ELNS1_11target_archE1100ELNS1_3gpuE3ELNS1_3repE0EEENS1_60segmented_radix_sort_warp_sort_medium_config_static_selectorELNS0_4arch9wavefront6targetE1EEEvSK_
                                        ; -- End function
	.section	.AMDGPU.csdata,"",@progbits
; Kernel info:
; codeLenInByte = 0
; NumSgprs: 4
; NumVgprs: 0
; NumAgprs: 0
; TotalNumVgprs: 0
; ScratchSize: 0
; MemoryBound: 0
; FloatMode: 240
; IeeeMode: 1
; LDSByteSize: 0 bytes/workgroup (compile time only)
; SGPRBlocks: 0
; VGPRBlocks: 0
; NumSGPRsForWavesPerEU: 4
; NumVGPRsForWavesPerEU: 1
; AccumOffset: 4
; Occupancy: 8
; WaveLimiterHint : 0
; COMPUTE_PGM_RSRC2:SCRATCH_EN: 0
; COMPUTE_PGM_RSRC2:USER_SGPR: 6
; COMPUTE_PGM_RSRC2:TRAP_HANDLER: 0
; COMPUTE_PGM_RSRC2:TGID_X_EN: 1
; COMPUTE_PGM_RSRC2:TGID_Y_EN: 0
; COMPUTE_PGM_RSRC2:TGID_Z_EN: 0
; COMPUTE_PGM_RSRC2:TIDIG_COMP_CNT: 0
; COMPUTE_PGM_RSRC3_GFX90A:ACCUM_OFFSET: 0
; COMPUTE_PGM_RSRC3_GFX90A:TG_SPLIT: 0
	.section	.text._ZN7rocprim17ROCPRIM_400000_NS6detail17trampoline_kernelINS0_14default_configENS1_36segmented_radix_sort_config_selectorIslEEZNS1_25segmented_radix_sort_implIS3_Lb0EPKsPsPKlPlN2at6native12_GLOBAL__N_18offset_tEEE10hipError_tPvRmT1_PNSt15iterator_traitsISK_E10value_typeET2_T3_PNSL_ISQ_E10value_typeET4_jRbjT5_SW_jjP12ihipStream_tbEUlT_E0_NS1_11comp_targetILNS1_3genE8ELNS1_11target_archE1030ELNS1_3gpuE2ELNS1_3repE0EEENS1_60segmented_radix_sort_warp_sort_medium_config_static_selectorELNS0_4arch9wavefront6targetE1EEEvSK_,"axG",@progbits,_ZN7rocprim17ROCPRIM_400000_NS6detail17trampoline_kernelINS0_14default_configENS1_36segmented_radix_sort_config_selectorIslEEZNS1_25segmented_radix_sort_implIS3_Lb0EPKsPsPKlPlN2at6native12_GLOBAL__N_18offset_tEEE10hipError_tPvRmT1_PNSt15iterator_traitsISK_E10value_typeET2_T3_PNSL_ISQ_E10value_typeET4_jRbjT5_SW_jjP12ihipStream_tbEUlT_E0_NS1_11comp_targetILNS1_3genE8ELNS1_11target_archE1030ELNS1_3gpuE2ELNS1_3repE0EEENS1_60segmented_radix_sort_warp_sort_medium_config_static_selectorELNS0_4arch9wavefront6targetE1EEEvSK_,comdat
	.globl	_ZN7rocprim17ROCPRIM_400000_NS6detail17trampoline_kernelINS0_14default_configENS1_36segmented_radix_sort_config_selectorIslEEZNS1_25segmented_radix_sort_implIS3_Lb0EPKsPsPKlPlN2at6native12_GLOBAL__N_18offset_tEEE10hipError_tPvRmT1_PNSt15iterator_traitsISK_E10value_typeET2_T3_PNSL_ISQ_E10value_typeET4_jRbjT5_SW_jjP12ihipStream_tbEUlT_E0_NS1_11comp_targetILNS1_3genE8ELNS1_11target_archE1030ELNS1_3gpuE2ELNS1_3repE0EEENS1_60segmented_radix_sort_warp_sort_medium_config_static_selectorELNS0_4arch9wavefront6targetE1EEEvSK_ ; -- Begin function _ZN7rocprim17ROCPRIM_400000_NS6detail17trampoline_kernelINS0_14default_configENS1_36segmented_radix_sort_config_selectorIslEEZNS1_25segmented_radix_sort_implIS3_Lb0EPKsPsPKlPlN2at6native12_GLOBAL__N_18offset_tEEE10hipError_tPvRmT1_PNSt15iterator_traitsISK_E10value_typeET2_T3_PNSL_ISQ_E10value_typeET4_jRbjT5_SW_jjP12ihipStream_tbEUlT_E0_NS1_11comp_targetILNS1_3genE8ELNS1_11target_archE1030ELNS1_3gpuE2ELNS1_3repE0EEENS1_60segmented_radix_sort_warp_sort_medium_config_static_selectorELNS0_4arch9wavefront6targetE1EEEvSK_
	.p2align	8
	.type	_ZN7rocprim17ROCPRIM_400000_NS6detail17trampoline_kernelINS0_14default_configENS1_36segmented_radix_sort_config_selectorIslEEZNS1_25segmented_radix_sort_implIS3_Lb0EPKsPsPKlPlN2at6native12_GLOBAL__N_18offset_tEEE10hipError_tPvRmT1_PNSt15iterator_traitsISK_E10value_typeET2_T3_PNSL_ISQ_E10value_typeET4_jRbjT5_SW_jjP12ihipStream_tbEUlT_E0_NS1_11comp_targetILNS1_3genE8ELNS1_11target_archE1030ELNS1_3gpuE2ELNS1_3repE0EEENS1_60segmented_radix_sort_warp_sort_medium_config_static_selectorELNS0_4arch9wavefront6targetE1EEEvSK_,@function
_ZN7rocprim17ROCPRIM_400000_NS6detail17trampoline_kernelINS0_14default_configENS1_36segmented_radix_sort_config_selectorIslEEZNS1_25segmented_radix_sort_implIS3_Lb0EPKsPsPKlPlN2at6native12_GLOBAL__N_18offset_tEEE10hipError_tPvRmT1_PNSt15iterator_traitsISK_E10value_typeET2_T3_PNSL_ISQ_E10value_typeET4_jRbjT5_SW_jjP12ihipStream_tbEUlT_E0_NS1_11comp_targetILNS1_3genE8ELNS1_11target_archE1030ELNS1_3gpuE2ELNS1_3repE0EEENS1_60segmented_radix_sort_warp_sort_medium_config_static_selectorELNS0_4arch9wavefront6targetE1EEEvSK_: ; @_ZN7rocprim17ROCPRIM_400000_NS6detail17trampoline_kernelINS0_14default_configENS1_36segmented_radix_sort_config_selectorIslEEZNS1_25segmented_radix_sort_implIS3_Lb0EPKsPsPKlPlN2at6native12_GLOBAL__N_18offset_tEEE10hipError_tPvRmT1_PNSt15iterator_traitsISK_E10value_typeET2_T3_PNSL_ISQ_E10value_typeET4_jRbjT5_SW_jjP12ihipStream_tbEUlT_E0_NS1_11comp_targetILNS1_3genE8ELNS1_11target_archE1030ELNS1_3gpuE2ELNS1_3repE0EEENS1_60segmented_radix_sort_warp_sort_medium_config_static_selectorELNS0_4arch9wavefront6targetE1EEEvSK_
; %bb.0:
	.section	.rodata,"a",@progbits
	.p2align	6, 0x0
	.amdhsa_kernel _ZN7rocprim17ROCPRIM_400000_NS6detail17trampoline_kernelINS0_14default_configENS1_36segmented_radix_sort_config_selectorIslEEZNS1_25segmented_radix_sort_implIS3_Lb0EPKsPsPKlPlN2at6native12_GLOBAL__N_18offset_tEEE10hipError_tPvRmT1_PNSt15iterator_traitsISK_E10value_typeET2_T3_PNSL_ISQ_E10value_typeET4_jRbjT5_SW_jjP12ihipStream_tbEUlT_E0_NS1_11comp_targetILNS1_3genE8ELNS1_11target_archE1030ELNS1_3gpuE2ELNS1_3repE0EEENS1_60segmented_radix_sort_warp_sort_medium_config_static_selectorELNS0_4arch9wavefront6targetE1EEEvSK_
		.amdhsa_group_segment_fixed_size 0
		.amdhsa_private_segment_fixed_size 0
		.amdhsa_kernarg_size 88
		.amdhsa_user_sgpr_count 6
		.amdhsa_user_sgpr_private_segment_buffer 1
		.amdhsa_user_sgpr_dispatch_ptr 0
		.amdhsa_user_sgpr_queue_ptr 0
		.amdhsa_user_sgpr_kernarg_segment_ptr 1
		.amdhsa_user_sgpr_dispatch_id 0
		.amdhsa_user_sgpr_flat_scratch_init 0
		.amdhsa_user_sgpr_kernarg_preload_length 0
		.amdhsa_user_sgpr_kernarg_preload_offset 0
		.amdhsa_user_sgpr_private_segment_size 0
		.amdhsa_uses_dynamic_stack 0
		.amdhsa_system_sgpr_private_segment_wavefront_offset 0
		.amdhsa_system_sgpr_workgroup_id_x 1
		.amdhsa_system_sgpr_workgroup_id_y 0
		.amdhsa_system_sgpr_workgroup_id_z 0
		.amdhsa_system_sgpr_workgroup_info 0
		.amdhsa_system_vgpr_workitem_id 0
		.amdhsa_next_free_vgpr 1
		.amdhsa_next_free_sgpr 0
		.amdhsa_accum_offset 4
		.amdhsa_reserve_vcc 0
		.amdhsa_reserve_flat_scratch 0
		.amdhsa_float_round_mode_32 0
		.amdhsa_float_round_mode_16_64 0
		.amdhsa_float_denorm_mode_32 3
		.amdhsa_float_denorm_mode_16_64 3
		.amdhsa_dx10_clamp 1
		.amdhsa_ieee_mode 1
		.amdhsa_fp16_overflow 0
		.amdhsa_tg_split 0
		.amdhsa_exception_fp_ieee_invalid_op 0
		.amdhsa_exception_fp_denorm_src 0
		.amdhsa_exception_fp_ieee_div_zero 0
		.amdhsa_exception_fp_ieee_overflow 0
		.amdhsa_exception_fp_ieee_underflow 0
		.amdhsa_exception_fp_ieee_inexact 0
		.amdhsa_exception_int_div_zero 0
	.end_amdhsa_kernel
	.section	.text._ZN7rocprim17ROCPRIM_400000_NS6detail17trampoline_kernelINS0_14default_configENS1_36segmented_radix_sort_config_selectorIslEEZNS1_25segmented_radix_sort_implIS3_Lb0EPKsPsPKlPlN2at6native12_GLOBAL__N_18offset_tEEE10hipError_tPvRmT1_PNSt15iterator_traitsISK_E10value_typeET2_T3_PNSL_ISQ_E10value_typeET4_jRbjT5_SW_jjP12ihipStream_tbEUlT_E0_NS1_11comp_targetILNS1_3genE8ELNS1_11target_archE1030ELNS1_3gpuE2ELNS1_3repE0EEENS1_60segmented_radix_sort_warp_sort_medium_config_static_selectorELNS0_4arch9wavefront6targetE1EEEvSK_,"axG",@progbits,_ZN7rocprim17ROCPRIM_400000_NS6detail17trampoline_kernelINS0_14default_configENS1_36segmented_radix_sort_config_selectorIslEEZNS1_25segmented_radix_sort_implIS3_Lb0EPKsPsPKlPlN2at6native12_GLOBAL__N_18offset_tEEE10hipError_tPvRmT1_PNSt15iterator_traitsISK_E10value_typeET2_T3_PNSL_ISQ_E10value_typeET4_jRbjT5_SW_jjP12ihipStream_tbEUlT_E0_NS1_11comp_targetILNS1_3genE8ELNS1_11target_archE1030ELNS1_3gpuE2ELNS1_3repE0EEENS1_60segmented_radix_sort_warp_sort_medium_config_static_selectorELNS0_4arch9wavefront6targetE1EEEvSK_,comdat
.Lfunc_end1032:
	.size	_ZN7rocprim17ROCPRIM_400000_NS6detail17trampoline_kernelINS0_14default_configENS1_36segmented_radix_sort_config_selectorIslEEZNS1_25segmented_radix_sort_implIS3_Lb0EPKsPsPKlPlN2at6native12_GLOBAL__N_18offset_tEEE10hipError_tPvRmT1_PNSt15iterator_traitsISK_E10value_typeET2_T3_PNSL_ISQ_E10value_typeET4_jRbjT5_SW_jjP12ihipStream_tbEUlT_E0_NS1_11comp_targetILNS1_3genE8ELNS1_11target_archE1030ELNS1_3gpuE2ELNS1_3repE0EEENS1_60segmented_radix_sort_warp_sort_medium_config_static_selectorELNS0_4arch9wavefront6targetE1EEEvSK_, .Lfunc_end1032-_ZN7rocprim17ROCPRIM_400000_NS6detail17trampoline_kernelINS0_14default_configENS1_36segmented_radix_sort_config_selectorIslEEZNS1_25segmented_radix_sort_implIS3_Lb0EPKsPsPKlPlN2at6native12_GLOBAL__N_18offset_tEEE10hipError_tPvRmT1_PNSt15iterator_traitsISK_E10value_typeET2_T3_PNSL_ISQ_E10value_typeET4_jRbjT5_SW_jjP12ihipStream_tbEUlT_E0_NS1_11comp_targetILNS1_3genE8ELNS1_11target_archE1030ELNS1_3gpuE2ELNS1_3repE0EEENS1_60segmented_radix_sort_warp_sort_medium_config_static_selectorELNS0_4arch9wavefront6targetE1EEEvSK_
                                        ; -- End function
	.section	.AMDGPU.csdata,"",@progbits
; Kernel info:
; codeLenInByte = 0
; NumSgprs: 4
; NumVgprs: 0
; NumAgprs: 0
; TotalNumVgprs: 0
; ScratchSize: 0
; MemoryBound: 0
; FloatMode: 240
; IeeeMode: 1
; LDSByteSize: 0 bytes/workgroup (compile time only)
; SGPRBlocks: 0
; VGPRBlocks: 0
; NumSGPRsForWavesPerEU: 4
; NumVGPRsForWavesPerEU: 1
; AccumOffset: 4
; Occupancy: 8
; WaveLimiterHint : 0
; COMPUTE_PGM_RSRC2:SCRATCH_EN: 0
; COMPUTE_PGM_RSRC2:USER_SGPR: 6
; COMPUTE_PGM_RSRC2:TRAP_HANDLER: 0
; COMPUTE_PGM_RSRC2:TGID_X_EN: 1
; COMPUTE_PGM_RSRC2:TGID_Y_EN: 0
; COMPUTE_PGM_RSRC2:TGID_Z_EN: 0
; COMPUTE_PGM_RSRC2:TIDIG_COMP_CNT: 0
; COMPUTE_PGM_RSRC3_GFX90A:ACCUM_OFFSET: 0
; COMPUTE_PGM_RSRC3_GFX90A:TG_SPLIT: 0
	.section	.text._ZN7rocprim17ROCPRIM_400000_NS6detail17trampoline_kernelINS0_14default_configENS1_36segmented_radix_sort_config_selectorIslEEZNS1_25segmented_radix_sort_implIS3_Lb0EPKsPsPKlPlN2at6native12_GLOBAL__N_18offset_tEEE10hipError_tPvRmT1_PNSt15iterator_traitsISK_E10value_typeET2_T3_PNSL_ISQ_E10value_typeET4_jRbjT5_SW_jjP12ihipStream_tbEUlT_E1_NS1_11comp_targetILNS1_3genE0ELNS1_11target_archE4294967295ELNS1_3gpuE0ELNS1_3repE0EEENS1_59segmented_radix_sort_warp_sort_small_config_static_selectorELNS0_4arch9wavefront6targetE1EEEvSK_,"axG",@progbits,_ZN7rocprim17ROCPRIM_400000_NS6detail17trampoline_kernelINS0_14default_configENS1_36segmented_radix_sort_config_selectorIslEEZNS1_25segmented_radix_sort_implIS3_Lb0EPKsPsPKlPlN2at6native12_GLOBAL__N_18offset_tEEE10hipError_tPvRmT1_PNSt15iterator_traitsISK_E10value_typeET2_T3_PNSL_ISQ_E10value_typeET4_jRbjT5_SW_jjP12ihipStream_tbEUlT_E1_NS1_11comp_targetILNS1_3genE0ELNS1_11target_archE4294967295ELNS1_3gpuE0ELNS1_3repE0EEENS1_59segmented_radix_sort_warp_sort_small_config_static_selectorELNS0_4arch9wavefront6targetE1EEEvSK_,comdat
	.globl	_ZN7rocprim17ROCPRIM_400000_NS6detail17trampoline_kernelINS0_14default_configENS1_36segmented_radix_sort_config_selectorIslEEZNS1_25segmented_radix_sort_implIS3_Lb0EPKsPsPKlPlN2at6native12_GLOBAL__N_18offset_tEEE10hipError_tPvRmT1_PNSt15iterator_traitsISK_E10value_typeET2_T3_PNSL_ISQ_E10value_typeET4_jRbjT5_SW_jjP12ihipStream_tbEUlT_E1_NS1_11comp_targetILNS1_3genE0ELNS1_11target_archE4294967295ELNS1_3gpuE0ELNS1_3repE0EEENS1_59segmented_radix_sort_warp_sort_small_config_static_selectorELNS0_4arch9wavefront6targetE1EEEvSK_ ; -- Begin function _ZN7rocprim17ROCPRIM_400000_NS6detail17trampoline_kernelINS0_14default_configENS1_36segmented_radix_sort_config_selectorIslEEZNS1_25segmented_radix_sort_implIS3_Lb0EPKsPsPKlPlN2at6native12_GLOBAL__N_18offset_tEEE10hipError_tPvRmT1_PNSt15iterator_traitsISK_E10value_typeET2_T3_PNSL_ISQ_E10value_typeET4_jRbjT5_SW_jjP12ihipStream_tbEUlT_E1_NS1_11comp_targetILNS1_3genE0ELNS1_11target_archE4294967295ELNS1_3gpuE0ELNS1_3repE0EEENS1_59segmented_radix_sort_warp_sort_small_config_static_selectorELNS0_4arch9wavefront6targetE1EEEvSK_
	.p2align	8
	.type	_ZN7rocprim17ROCPRIM_400000_NS6detail17trampoline_kernelINS0_14default_configENS1_36segmented_radix_sort_config_selectorIslEEZNS1_25segmented_radix_sort_implIS3_Lb0EPKsPsPKlPlN2at6native12_GLOBAL__N_18offset_tEEE10hipError_tPvRmT1_PNSt15iterator_traitsISK_E10value_typeET2_T3_PNSL_ISQ_E10value_typeET4_jRbjT5_SW_jjP12ihipStream_tbEUlT_E1_NS1_11comp_targetILNS1_3genE0ELNS1_11target_archE4294967295ELNS1_3gpuE0ELNS1_3repE0EEENS1_59segmented_radix_sort_warp_sort_small_config_static_selectorELNS0_4arch9wavefront6targetE1EEEvSK_,@function
_ZN7rocprim17ROCPRIM_400000_NS6detail17trampoline_kernelINS0_14default_configENS1_36segmented_radix_sort_config_selectorIslEEZNS1_25segmented_radix_sort_implIS3_Lb0EPKsPsPKlPlN2at6native12_GLOBAL__N_18offset_tEEE10hipError_tPvRmT1_PNSt15iterator_traitsISK_E10value_typeET2_T3_PNSL_ISQ_E10value_typeET4_jRbjT5_SW_jjP12ihipStream_tbEUlT_E1_NS1_11comp_targetILNS1_3genE0ELNS1_11target_archE4294967295ELNS1_3gpuE0ELNS1_3repE0EEENS1_59segmented_radix_sort_warp_sort_small_config_static_selectorELNS0_4arch9wavefront6targetE1EEEvSK_: ; @_ZN7rocprim17ROCPRIM_400000_NS6detail17trampoline_kernelINS0_14default_configENS1_36segmented_radix_sort_config_selectorIslEEZNS1_25segmented_radix_sort_implIS3_Lb0EPKsPsPKlPlN2at6native12_GLOBAL__N_18offset_tEEE10hipError_tPvRmT1_PNSt15iterator_traitsISK_E10value_typeET2_T3_PNSL_ISQ_E10value_typeET4_jRbjT5_SW_jjP12ihipStream_tbEUlT_E1_NS1_11comp_targetILNS1_3genE0ELNS1_11target_archE4294967295ELNS1_3gpuE0ELNS1_3repE0EEENS1_59segmented_radix_sort_warp_sort_small_config_static_selectorELNS0_4arch9wavefront6targetE1EEEvSK_
; %bb.0:
	.section	.rodata,"a",@progbits
	.p2align	6, 0x0
	.amdhsa_kernel _ZN7rocprim17ROCPRIM_400000_NS6detail17trampoline_kernelINS0_14default_configENS1_36segmented_radix_sort_config_selectorIslEEZNS1_25segmented_radix_sort_implIS3_Lb0EPKsPsPKlPlN2at6native12_GLOBAL__N_18offset_tEEE10hipError_tPvRmT1_PNSt15iterator_traitsISK_E10value_typeET2_T3_PNSL_ISQ_E10value_typeET4_jRbjT5_SW_jjP12ihipStream_tbEUlT_E1_NS1_11comp_targetILNS1_3genE0ELNS1_11target_archE4294967295ELNS1_3gpuE0ELNS1_3repE0EEENS1_59segmented_radix_sort_warp_sort_small_config_static_selectorELNS0_4arch9wavefront6targetE1EEEvSK_
		.amdhsa_group_segment_fixed_size 0
		.amdhsa_private_segment_fixed_size 0
		.amdhsa_kernarg_size 88
		.amdhsa_user_sgpr_count 6
		.amdhsa_user_sgpr_private_segment_buffer 1
		.amdhsa_user_sgpr_dispatch_ptr 0
		.amdhsa_user_sgpr_queue_ptr 0
		.amdhsa_user_sgpr_kernarg_segment_ptr 1
		.amdhsa_user_sgpr_dispatch_id 0
		.amdhsa_user_sgpr_flat_scratch_init 0
		.amdhsa_user_sgpr_kernarg_preload_length 0
		.amdhsa_user_sgpr_kernarg_preload_offset 0
		.amdhsa_user_sgpr_private_segment_size 0
		.amdhsa_uses_dynamic_stack 0
		.amdhsa_system_sgpr_private_segment_wavefront_offset 0
		.amdhsa_system_sgpr_workgroup_id_x 1
		.amdhsa_system_sgpr_workgroup_id_y 0
		.amdhsa_system_sgpr_workgroup_id_z 0
		.amdhsa_system_sgpr_workgroup_info 0
		.amdhsa_system_vgpr_workitem_id 0
		.amdhsa_next_free_vgpr 1
		.amdhsa_next_free_sgpr 0
		.amdhsa_accum_offset 4
		.amdhsa_reserve_vcc 0
		.amdhsa_reserve_flat_scratch 0
		.amdhsa_float_round_mode_32 0
		.amdhsa_float_round_mode_16_64 0
		.amdhsa_float_denorm_mode_32 3
		.amdhsa_float_denorm_mode_16_64 3
		.amdhsa_dx10_clamp 1
		.amdhsa_ieee_mode 1
		.amdhsa_fp16_overflow 0
		.amdhsa_tg_split 0
		.amdhsa_exception_fp_ieee_invalid_op 0
		.amdhsa_exception_fp_denorm_src 0
		.amdhsa_exception_fp_ieee_div_zero 0
		.amdhsa_exception_fp_ieee_overflow 0
		.amdhsa_exception_fp_ieee_underflow 0
		.amdhsa_exception_fp_ieee_inexact 0
		.amdhsa_exception_int_div_zero 0
	.end_amdhsa_kernel
	.section	.text._ZN7rocprim17ROCPRIM_400000_NS6detail17trampoline_kernelINS0_14default_configENS1_36segmented_radix_sort_config_selectorIslEEZNS1_25segmented_radix_sort_implIS3_Lb0EPKsPsPKlPlN2at6native12_GLOBAL__N_18offset_tEEE10hipError_tPvRmT1_PNSt15iterator_traitsISK_E10value_typeET2_T3_PNSL_ISQ_E10value_typeET4_jRbjT5_SW_jjP12ihipStream_tbEUlT_E1_NS1_11comp_targetILNS1_3genE0ELNS1_11target_archE4294967295ELNS1_3gpuE0ELNS1_3repE0EEENS1_59segmented_radix_sort_warp_sort_small_config_static_selectorELNS0_4arch9wavefront6targetE1EEEvSK_,"axG",@progbits,_ZN7rocprim17ROCPRIM_400000_NS6detail17trampoline_kernelINS0_14default_configENS1_36segmented_radix_sort_config_selectorIslEEZNS1_25segmented_radix_sort_implIS3_Lb0EPKsPsPKlPlN2at6native12_GLOBAL__N_18offset_tEEE10hipError_tPvRmT1_PNSt15iterator_traitsISK_E10value_typeET2_T3_PNSL_ISQ_E10value_typeET4_jRbjT5_SW_jjP12ihipStream_tbEUlT_E1_NS1_11comp_targetILNS1_3genE0ELNS1_11target_archE4294967295ELNS1_3gpuE0ELNS1_3repE0EEENS1_59segmented_radix_sort_warp_sort_small_config_static_selectorELNS0_4arch9wavefront6targetE1EEEvSK_,comdat
.Lfunc_end1033:
	.size	_ZN7rocprim17ROCPRIM_400000_NS6detail17trampoline_kernelINS0_14default_configENS1_36segmented_radix_sort_config_selectorIslEEZNS1_25segmented_radix_sort_implIS3_Lb0EPKsPsPKlPlN2at6native12_GLOBAL__N_18offset_tEEE10hipError_tPvRmT1_PNSt15iterator_traitsISK_E10value_typeET2_T3_PNSL_ISQ_E10value_typeET4_jRbjT5_SW_jjP12ihipStream_tbEUlT_E1_NS1_11comp_targetILNS1_3genE0ELNS1_11target_archE4294967295ELNS1_3gpuE0ELNS1_3repE0EEENS1_59segmented_radix_sort_warp_sort_small_config_static_selectorELNS0_4arch9wavefront6targetE1EEEvSK_, .Lfunc_end1033-_ZN7rocprim17ROCPRIM_400000_NS6detail17trampoline_kernelINS0_14default_configENS1_36segmented_radix_sort_config_selectorIslEEZNS1_25segmented_radix_sort_implIS3_Lb0EPKsPsPKlPlN2at6native12_GLOBAL__N_18offset_tEEE10hipError_tPvRmT1_PNSt15iterator_traitsISK_E10value_typeET2_T3_PNSL_ISQ_E10value_typeET4_jRbjT5_SW_jjP12ihipStream_tbEUlT_E1_NS1_11comp_targetILNS1_3genE0ELNS1_11target_archE4294967295ELNS1_3gpuE0ELNS1_3repE0EEENS1_59segmented_radix_sort_warp_sort_small_config_static_selectorELNS0_4arch9wavefront6targetE1EEEvSK_
                                        ; -- End function
	.section	.AMDGPU.csdata,"",@progbits
; Kernel info:
; codeLenInByte = 0
; NumSgprs: 4
; NumVgprs: 0
; NumAgprs: 0
; TotalNumVgprs: 0
; ScratchSize: 0
; MemoryBound: 0
; FloatMode: 240
; IeeeMode: 1
; LDSByteSize: 0 bytes/workgroup (compile time only)
; SGPRBlocks: 0
; VGPRBlocks: 0
; NumSGPRsForWavesPerEU: 4
; NumVGPRsForWavesPerEU: 1
; AccumOffset: 4
; Occupancy: 8
; WaveLimiterHint : 0
; COMPUTE_PGM_RSRC2:SCRATCH_EN: 0
; COMPUTE_PGM_RSRC2:USER_SGPR: 6
; COMPUTE_PGM_RSRC2:TRAP_HANDLER: 0
; COMPUTE_PGM_RSRC2:TGID_X_EN: 1
; COMPUTE_PGM_RSRC2:TGID_Y_EN: 0
; COMPUTE_PGM_RSRC2:TGID_Z_EN: 0
; COMPUTE_PGM_RSRC2:TIDIG_COMP_CNT: 0
; COMPUTE_PGM_RSRC3_GFX90A:ACCUM_OFFSET: 0
; COMPUTE_PGM_RSRC3_GFX90A:TG_SPLIT: 0
	.section	.text._ZN7rocprim17ROCPRIM_400000_NS6detail17trampoline_kernelINS0_14default_configENS1_36segmented_radix_sort_config_selectorIslEEZNS1_25segmented_radix_sort_implIS3_Lb0EPKsPsPKlPlN2at6native12_GLOBAL__N_18offset_tEEE10hipError_tPvRmT1_PNSt15iterator_traitsISK_E10value_typeET2_T3_PNSL_ISQ_E10value_typeET4_jRbjT5_SW_jjP12ihipStream_tbEUlT_E1_NS1_11comp_targetILNS1_3genE5ELNS1_11target_archE942ELNS1_3gpuE9ELNS1_3repE0EEENS1_59segmented_radix_sort_warp_sort_small_config_static_selectorELNS0_4arch9wavefront6targetE1EEEvSK_,"axG",@progbits,_ZN7rocprim17ROCPRIM_400000_NS6detail17trampoline_kernelINS0_14default_configENS1_36segmented_radix_sort_config_selectorIslEEZNS1_25segmented_radix_sort_implIS3_Lb0EPKsPsPKlPlN2at6native12_GLOBAL__N_18offset_tEEE10hipError_tPvRmT1_PNSt15iterator_traitsISK_E10value_typeET2_T3_PNSL_ISQ_E10value_typeET4_jRbjT5_SW_jjP12ihipStream_tbEUlT_E1_NS1_11comp_targetILNS1_3genE5ELNS1_11target_archE942ELNS1_3gpuE9ELNS1_3repE0EEENS1_59segmented_radix_sort_warp_sort_small_config_static_selectorELNS0_4arch9wavefront6targetE1EEEvSK_,comdat
	.globl	_ZN7rocprim17ROCPRIM_400000_NS6detail17trampoline_kernelINS0_14default_configENS1_36segmented_radix_sort_config_selectorIslEEZNS1_25segmented_radix_sort_implIS3_Lb0EPKsPsPKlPlN2at6native12_GLOBAL__N_18offset_tEEE10hipError_tPvRmT1_PNSt15iterator_traitsISK_E10value_typeET2_T3_PNSL_ISQ_E10value_typeET4_jRbjT5_SW_jjP12ihipStream_tbEUlT_E1_NS1_11comp_targetILNS1_3genE5ELNS1_11target_archE942ELNS1_3gpuE9ELNS1_3repE0EEENS1_59segmented_radix_sort_warp_sort_small_config_static_selectorELNS0_4arch9wavefront6targetE1EEEvSK_ ; -- Begin function _ZN7rocprim17ROCPRIM_400000_NS6detail17trampoline_kernelINS0_14default_configENS1_36segmented_radix_sort_config_selectorIslEEZNS1_25segmented_radix_sort_implIS3_Lb0EPKsPsPKlPlN2at6native12_GLOBAL__N_18offset_tEEE10hipError_tPvRmT1_PNSt15iterator_traitsISK_E10value_typeET2_T3_PNSL_ISQ_E10value_typeET4_jRbjT5_SW_jjP12ihipStream_tbEUlT_E1_NS1_11comp_targetILNS1_3genE5ELNS1_11target_archE942ELNS1_3gpuE9ELNS1_3repE0EEENS1_59segmented_radix_sort_warp_sort_small_config_static_selectorELNS0_4arch9wavefront6targetE1EEEvSK_
	.p2align	8
	.type	_ZN7rocprim17ROCPRIM_400000_NS6detail17trampoline_kernelINS0_14default_configENS1_36segmented_radix_sort_config_selectorIslEEZNS1_25segmented_radix_sort_implIS3_Lb0EPKsPsPKlPlN2at6native12_GLOBAL__N_18offset_tEEE10hipError_tPvRmT1_PNSt15iterator_traitsISK_E10value_typeET2_T3_PNSL_ISQ_E10value_typeET4_jRbjT5_SW_jjP12ihipStream_tbEUlT_E1_NS1_11comp_targetILNS1_3genE5ELNS1_11target_archE942ELNS1_3gpuE9ELNS1_3repE0EEENS1_59segmented_radix_sort_warp_sort_small_config_static_selectorELNS0_4arch9wavefront6targetE1EEEvSK_,@function
_ZN7rocprim17ROCPRIM_400000_NS6detail17trampoline_kernelINS0_14default_configENS1_36segmented_radix_sort_config_selectorIslEEZNS1_25segmented_radix_sort_implIS3_Lb0EPKsPsPKlPlN2at6native12_GLOBAL__N_18offset_tEEE10hipError_tPvRmT1_PNSt15iterator_traitsISK_E10value_typeET2_T3_PNSL_ISQ_E10value_typeET4_jRbjT5_SW_jjP12ihipStream_tbEUlT_E1_NS1_11comp_targetILNS1_3genE5ELNS1_11target_archE942ELNS1_3gpuE9ELNS1_3repE0EEENS1_59segmented_radix_sort_warp_sort_small_config_static_selectorELNS0_4arch9wavefront6targetE1EEEvSK_: ; @_ZN7rocprim17ROCPRIM_400000_NS6detail17trampoline_kernelINS0_14default_configENS1_36segmented_radix_sort_config_selectorIslEEZNS1_25segmented_radix_sort_implIS3_Lb0EPKsPsPKlPlN2at6native12_GLOBAL__N_18offset_tEEE10hipError_tPvRmT1_PNSt15iterator_traitsISK_E10value_typeET2_T3_PNSL_ISQ_E10value_typeET4_jRbjT5_SW_jjP12ihipStream_tbEUlT_E1_NS1_11comp_targetILNS1_3genE5ELNS1_11target_archE942ELNS1_3gpuE9ELNS1_3repE0EEENS1_59segmented_radix_sort_warp_sort_small_config_static_selectorELNS0_4arch9wavefront6targetE1EEEvSK_
; %bb.0:
	.section	.rodata,"a",@progbits
	.p2align	6, 0x0
	.amdhsa_kernel _ZN7rocprim17ROCPRIM_400000_NS6detail17trampoline_kernelINS0_14default_configENS1_36segmented_radix_sort_config_selectorIslEEZNS1_25segmented_radix_sort_implIS3_Lb0EPKsPsPKlPlN2at6native12_GLOBAL__N_18offset_tEEE10hipError_tPvRmT1_PNSt15iterator_traitsISK_E10value_typeET2_T3_PNSL_ISQ_E10value_typeET4_jRbjT5_SW_jjP12ihipStream_tbEUlT_E1_NS1_11comp_targetILNS1_3genE5ELNS1_11target_archE942ELNS1_3gpuE9ELNS1_3repE0EEENS1_59segmented_radix_sort_warp_sort_small_config_static_selectorELNS0_4arch9wavefront6targetE1EEEvSK_
		.amdhsa_group_segment_fixed_size 0
		.amdhsa_private_segment_fixed_size 0
		.amdhsa_kernarg_size 88
		.amdhsa_user_sgpr_count 6
		.amdhsa_user_sgpr_private_segment_buffer 1
		.amdhsa_user_sgpr_dispatch_ptr 0
		.amdhsa_user_sgpr_queue_ptr 0
		.amdhsa_user_sgpr_kernarg_segment_ptr 1
		.amdhsa_user_sgpr_dispatch_id 0
		.amdhsa_user_sgpr_flat_scratch_init 0
		.amdhsa_user_sgpr_kernarg_preload_length 0
		.amdhsa_user_sgpr_kernarg_preload_offset 0
		.amdhsa_user_sgpr_private_segment_size 0
		.amdhsa_uses_dynamic_stack 0
		.amdhsa_system_sgpr_private_segment_wavefront_offset 0
		.amdhsa_system_sgpr_workgroup_id_x 1
		.amdhsa_system_sgpr_workgroup_id_y 0
		.amdhsa_system_sgpr_workgroup_id_z 0
		.amdhsa_system_sgpr_workgroup_info 0
		.amdhsa_system_vgpr_workitem_id 0
		.amdhsa_next_free_vgpr 1
		.amdhsa_next_free_sgpr 0
		.amdhsa_accum_offset 4
		.amdhsa_reserve_vcc 0
		.amdhsa_reserve_flat_scratch 0
		.amdhsa_float_round_mode_32 0
		.amdhsa_float_round_mode_16_64 0
		.amdhsa_float_denorm_mode_32 3
		.amdhsa_float_denorm_mode_16_64 3
		.amdhsa_dx10_clamp 1
		.amdhsa_ieee_mode 1
		.amdhsa_fp16_overflow 0
		.amdhsa_tg_split 0
		.amdhsa_exception_fp_ieee_invalid_op 0
		.amdhsa_exception_fp_denorm_src 0
		.amdhsa_exception_fp_ieee_div_zero 0
		.amdhsa_exception_fp_ieee_overflow 0
		.amdhsa_exception_fp_ieee_underflow 0
		.amdhsa_exception_fp_ieee_inexact 0
		.amdhsa_exception_int_div_zero 0
	.end_amdhsa_kernel
	.section	.text._ZN7rocprim17ROCPRIM_400000_NS6detail17trampoline_kernelINS0_14default_configENS1_36segmented_radix_sort_config_selectorIslEEZNS1_25segmented_radix_sort_implIS3_Lb0EPKsPsPKlPlN2at6native12_GLOBAL__N_18offset_tEEE10hipError_tPvRmT1_PNSt15iterator_traitsISK_E10value_typeET2_T3_PNSL_ISQ_E10value_typeET4_jRbjT5_SW_jjP12ihipStream_tbEUlT_E1_NS1_11comp_targetILNS1_3genE5ELNS1_11target_archE942ELNS1_3gpuE9ELNS1_3repE0EEENS1_59segmented_radix_sort_warp_sort_small_config_static_selectorELNS0_4arch9wavefront6targetE1EEEvSK_,"axG",@progbits,_ZN7rocprim17ROCPRIM_400000_NS6detail17trampoline_kernelINS0_14default_configENS1_36segmented_radix_sort_config_selectorIslEEZNS1_25segmented_radix_sort_implIS3_Lb0EPKsPsPKlPlN2at6native12_GLOBAL__N_18offset_tEEE10hipError_tPvRmT1_PNSt15iterator_traitsISK_E10value_typeET2_T3_PNSL_ISQ_E10value_typeET4_jRbjT5_SW_jjP12ihipStream_tbEUlT_E1_NS1_11comp_targetILNS1_3genE5ELNS1_11target_archE942ELNS1_3gpuE9ELNS1_3repE0EEENS1_59segmented_radix_sort_warp_sort_small_config_static_selectorELNS0_4arch9wavefront6targetE1EEEvSK_,comdat
.Lfunc_end1034:
	.size	_ZN7rocprim17ROCPRIM_400000_NS6detail17trampoline_kernelINS0_14default_configENS1_36segmented_radix_sort_config_selectorIslEEZNS1_25segmented_radix_sort_implIS3_Lb0EPKsPsPKlPlN2at6native12_GLOBAL__N_18offset_tEEE10hipError_tPvRmT1_PNSt15iterator_traitsISK_E10value_typeET2_T3_PNSL_ISQ_E10value_typeET4_jRbjT5_SW_jjP12ihipStream_tbEUlT_E1_NS1_11comp_targetILNS1_3genE5ELNS1_11target_archE942ELNS1_3gpuE9ELNS1_3repE0EEENS1_59segmented_radix_sort_warp_sort_small_config_static_selectorELNS0_4arch9wavefront6targetE1EEEvSK_, .Lfunc_end1034-_ZN7rocprim17ROCPRIM_400000_NS6detail17trampoline_kernelINS0_14default_configENS1_36segmented_radix_sort_config_selectorIslEEZNS1_25segmented_radix_sort_implIS3_Lb0EPKsPsPKlPlN2at6native12_GLOBAL__N_18offset_tEEE10hipError_tPvRmT1_PNSt15iterator_traitsISK_E10value_typeET2_T3_PNSL_ISQ_E10value_typeET4_jRbjT5_SW_jjP12ihipStream_tbEUlT_E1_NS1_11comp_targetILNS1_3genE5ELNS1_11target_archE942ELNS1_3gpuE9ELNS1_3repE0EEENS1_59segmented_radix_sort_warp_sort_small_config_static_selectorELNS0_4arch9wavefront6targetE1EEEvSK_
                                        ; -- End function
	.section	.AMDGPU.csdata,"",@progbits
; Kernel info:
; codeLenInByte = 0
; NumSgprs: 4
; NumVgprs: 0
; NumAgprs: 0
; TotalNumVgprs: 0
; ScratchSize: 0
; MemoryBound: 0
; FloatMode: 240
; IeeeMode: 1
; LDSByteSize: 0 bytes/workgroup (compile time only)
; SGPRBlocks: 0
; VGPRBlocks: 0
; NumSGPRsForWavesPerEU: 4
; NumVGPRsForWavesPerEU: 1
; AccumOffset: 4
; Occupancy: 8
; WaveLimiterHint : 0
; COMPUTE_PGM_RSRC2:SCRATCH_EN: 0
; COMPUTE_PGM_RSRC2:USER_SGPR: 6
; COMPUTE_PGM_RSRC2:TRAP_HANDLER: 0
; COMPUTE_PGM_RSRC2:TGID_X_EN: 1
; COMPUTE_PGM_RSRC2:TGID_Y_EN: 0
; COMPUTE_PGM_RSRC2:TGID_Z_EN: 0
; COMPUTE_PGM_RSRC2:TIDIG_COMP_CNT: 0
; COMPUTE_PGM_RSRC3_GFX90A:ACCUM_OFFSET: 0
; COMPUTE_PGM_RSRC3_GFX90A:TG_SPLIT: 0
	.section	.text._ZN7rocprim17ROCPRIM_400000_NS6detail17trampoline_kernelINS0_14default_configENS1_36segmented_radix_sort_config_selectorIslEEZNS1_25segmented_radix_sort_implIS3_Lb0EPKsPsPKlPlN2at6native12_GLOBAL__N_18offset_tEEE10hipError_tPvRmT1_PNSt15iterator_traitsISK_E10value_typeET2_T3_PNSL_ISQ_E10value_typeET4_jRbjT5_SW_jjP12ihipStream_tbEUlT_E1_NS1_11comp_targetILNS1_3genE4ELNS1_11target_archE910ELNS1_3gpuE8ELNS1_3repE0EEENS1_59segmented_radix_sort_warp_sort_small_config_static_selectorELNS0_4arch9wavefront6targetE1EEEvSK_,"axG",@progbits,_ZN7rocprim17ROCPRIM_400000_NS6detail17trampoline_kernelINS0_14default_configENS1_36segmented_radix_sort_config_selectorIslEEZNS1_25segmented_radix_sort_implIS3_Lb0EPKsPsPKlPlN2at6native12_GLOBAL__N_18offset_tEEE10hipError_tPvRmT1_PNSt15iterator_traitsISK_E10value_typeET2_T3_PNSL_ISQ_E10value_typeET4_jRbjT5_SW_jjP12ihipStream_tbEUlT_E1_NS1_11comp_targetILNS1_3genE4ELNS1_11target_archE910ELNS1_3gpuE8ELNS1_3repE0EEENS1_59segmented_radix_sort_warp_sort_small_config_static_selectorELNS0_4arch9wavefront6targetE1EEEvSK_,comdat
	.globl	_ZN7rocprim17ROCPRIM_400000_NS6detail17trampoline_kernelINS0_14default_configENS1_36segmented_radix_sort_config_selectorIslEEZNS1_25segmented_radix_sort_implIS3_Lb0EPKsPsPKlPlN2at6native12_GLOBAL__N_18offset_tEEE10hipError_tPvRmT1_PNSt15iterator_traitsISK_E10value_typeET2_T3_PNSL_ISQ_E10value_typeET4_jRbjT5_SW_jjP12ihipStream_tbEUlT_E1_NS1_11comp_targetILNS1_3genE4ELNS1_11target_archE910ELNS1_3gpuE8ELNS1_3repE0EEENS1_59segmented_radix_sort_warp_sort_small_config_static_selectorELNS0_4arch9wavefront6targetE1EEEvSK_ ; -- Begin function _ZN7rocprim17ROCPRIM_400000_NS6detail17trampoline_kernelINS0_14default_configENS1_36segmented_radix_sort_config_selectorIslEEZNS1_25segmented_radix_sort_implIS3_Lb0EPKsPsPKlPlN2at6native12_GLOBAL__N_18offset_tEEE10hipError_tPvRmT1_PNSt15iterator_traitsISK_E10value_typeET2_T3_PNSL_ISQ_E10value_typeET4_jRbjT5_SW_jjP12ihipStream_tbEUlT_E1_NS1_11comp_targetILNS1_3genE4ELNS1_11target_archE910ELNS1_3gpuE8ELNS1_3repE0EEENS1_59segmented_radix_sort_warp_sort_small_config_static_selectorELNS0_4arch9wavefront6targetE1EEEvSK_
	.p2align	8
	.type	_ZN7rocprim17ROCPRIM_400000_NS6detail17trampoline_kernelINS0_14default_configENS1_36segmented_radix_sort_config_selectorIslEEZNS1_25segmented_radix_sort_implIS3_Lb0EPKsPsPKlPlN2at6native12_GLOBAL__N_18offset_tEEE10hipError_tPvRmT1_PNSt15iterator_traitsISK_E10value_typeET2_T3_PNSL_ISQ_E10value_typeET4_jRbjT5_SW_jjP12ihipStream_tbEUlT_E1_NS1_11comp_targetILNS1_3genE4ELNS1_11target_archE910ELNS1_3gpuE8ELNS1_3repE0EEENS1_59segmented_radix_sort_warp_sort_small_config_static_selectorELNS0_4arch9wavefront6targetE1EEEvSK_,@function
_ZN7rocprim17ROCPRIM_400000_NS6detail17trampoline_kernelINS0_14default_configENS1_36segmented_radix_sort_config_selectorIslEEZNS1_25segmented_radix_sort_implIS3_Lb0EPKsPsPKlPlN2at6native12_GLOBAL__N_18offset_tEEE10hipError_tPvRmT1_PNSt15iterator_traitsISK_E10value_typeET2_T3_PNSL_ISQ_E10value_typeET4_jRbjT5_SW_jjP12ihipStream_tbEUlT_E1_NS1_11comp_targetILNS1_3genE4ELNS1_11target_archE910ELNS1_3gpuE8ELNS1_3repE0EEENS1_59segmented_radix_sort_warp_sort_small_config_static_selectorELNS0_4arch9wavefront6targetE1EEEvSK_: ; @_ZN7rocprim17ROCPRIM_400000_NS6detail17trampoline_kernelINS0_14default_configENS1_36segmented_radix_sort_config_selectorIslEEZNS1_25segmented_radix_sort_implIS3_Lb0EPKsPsPKlPlN2at6native12_GLOBAL__N_18offset_tEEE10hipError_tPvRmT1_PNSt15iterator_traitsISK_E10value_typeET2_T3_PNSL_ISQ_E10value_typeET4_jRbjT5_SW_jjP12ihipStream_tbEUlT_E1_NS1_11comp_targetILNS1_3genE4ELNS1_11target_archE910ELNS1_3gpuE8ELNS1_3repE0EEENS1_59segmented_radix_sort_warp_sort_small_config_static_selectorELNS0_4arch9wavefront6targetE1EEEvSK_
; %bb.0:
	s_add_u32 flat_scratch_lo, s6, s10
	s_addc_u32 flat_scratch_hi, s7, 0
	s_add_u32 s0, s0, s10
	s_load_dword s6, s[4:5], 0x64
	s_load_dword s10, s[4:5], 0x34
	s_addc_u32 s1, s1, 0
	v_bfe_u32 v1, v0, 10, 10
	v_bfe_u32 v2, v0, 20, 10
	s_waitcnt lgkmcnt(0)
	s_lshr_b32 s7, s6, 16
	s_and_b32 s6, s6, 0xffff
	v_mad_u32_u24 v1, v2, s7, v1
	v_and_b32_e32 v2, 0x3ff, v0
	v_mad_u64_u32 v[2:3], s[6:7], v1, s6, v[2:3]
	v_lshrrev_b32_e32 v1, 5, v2
	v_lshl_add_u32 v2, s8, 3, v1
	v_cmp_gt_u32_e32 vcc, s10, v2
	s_mov_b32 s32, 0
	s_and_saveexec_b64 s[6:7], vcc
	s_cbranch_execz .LBB1035_6
; %bb.1:
	s_load_dwordx2 s[6:7], s[4:5], 0x38
	s_load_dwordx4 s[12:15], s[4:5], 0x40
	v_mov_b32_e32 v3, 0
	v_lshlrev_b64 v[2:3], 2, v[2:3]
	s_waitcnt lgkmcnt(0)
	v_mov_b32_e32 v1, s7
	v_sub_co_u32_e32 v2, vcc, s6, v2
	v_subb_co_u32_e32 v3, vcc, v1, v3, vcc
	global_load_dword v1, v[2:3], off offset:-4
	s_waitcnt vmcnt(0)
	v_add_u32_e32 v2, s13, v1
	v_add_u32_e32 v1, s15, v1
	v_mul_lo_u32 v40, v2, s12
	v_mul_lo_u32 v41, v1, s14
	v_cmp_gt_u32_e32 vcc, v41, v40
	s_and_b64 exec, exec, vcc
	s_cbranch_execz .LBB1035_6
; %bb.2:
	s_load_dwordx4 s[44:47], s[4:5], 0x20
	s_load_dword s6, s[4:5], 0x30
	s_load_dwordx8 s[36:43], s[4:5], 0x0
	s_load_dwordx2 s[48:49], s[4:5], 0x50
	s_mov_b32 s34, s8
	s_mov_b32 s33, s9
	s_waitcnt lgkmcnt(0)
	s_bitcmp0_b32 s6, 0
	s_mov_b64 s[6:7], -1
	s_cbranch_scc0 .LBB1035_4
; %bb.3:
	s_add_u32 s8, s4, 0x58
	s_mov_b64 s[6:7], src_shared_base
	s_addc_u32 s9, s5, 0
	s_mov_b32 s12, s34
	s_mov_b32 s13, s33
	v_mov_b32_e32 v31, v0
	v_mov_b32_e32 v42, v0
	;; [unrolled: 1-line block ×16, first 2 shown]
	s_getpc_b64 s[10:11]
	s_add_u32 s10, s10, _ZN7rocprim17ROCPRIM_400000_NS6detail26segmented_warp_sort_helperINS1_20WarpSortHelperConfigILj32ELj4ELj256EEEslLi256ELb0EvE4sortIPKsPsPKlPlEEvT_T0_T1_T2_jjjjRNS5_12storage_typeE@rel32@lo+4
	s_addc_u32 s11, s11, _ZN7rocprim17ROCPRIM_400000_NS6detail26segmented_warp_sort_helperINS1_20WarpSortHelperConfigILj32ELj4ELj256EEEslLi256ELb0EvE4sortIPKsPsPKlPlEEvT_T0_T1_T2_jjjjRNS5_12storage_typeE@rel32@hi+12
	s_mov_b64 s[38:39], s[4:5]
	s_swappc_b64 s[30:31], s[10:11]
	v_mov_b32_e32 v0, v42
	s_mov_b64 s[4:5], s[38:39]
	s_mov_b64 s[6:7], 0
.LBB1035_4:
	s_andn2_b64 vcc, exec, s[6:7]
	s_cbranch_vccnz .LBB1035_6
; %bb.5:
	s_add_u32 s8, s4, 0x58
	s_addc_u32 s9, s5, 0
	s_mov_b64 s[4:5], src_shared_base
	s_mov_b32 s12, s34
	s_mov_b32 s13, s33
	v_mov_b32_e32 v31, v0
	v_mov_b32_e32 v0, s36
	;; [unrolled: 1-line block ×15, first 2 shown]
	s_getpc_b64 s[6:7]
	s_add_u32 s6, s6, _ZN7rocprim17ROCPRIM_400000_NS6detail26segmented_warp_sort_helperINS1_20WarpSortHelperConfigILj32ELj4ELj256EEEslLi256ELb0EvE4sortIPKsPsPKlPlEEvT_T0_T1_T2_jjjjRNS5_12storage_typeE@rel32@lo+4
	s_addc_u32 s7, s7, _ZN7rocprim17ROCPRIM_400000_NS6detail26segmented_warp_sort_helperINS1_20WarpSortHelperConfigILj32ELj4ELj256EEEslLi256ELb0EvE4sortIPKsPsPKlPlEEvT_T0_T1_T2_jjjjRNS5_12storage_typeE@rel32@hi+12
	s_swappc_b64 s[30:31], s[6:7]
.LBB1035_6:
	s_endpgm
	.section	.rodata,"a",@progbits
	.p2align	6, 0x0
	.amdhsa_kernel _ZN7rocprim17ROCPRIM_400000_NS6detail17trampoline_kernelINS0_14default_configENS1_36segmented_radix_sort_config_selectorIslEEZNS1_25segmented_radix_sort_implIS3_Lb0EPKsPsPKlPlN2at6native12_GLOBAL__N_18offset_tEEE10hipError_tPvRmT1_PNSt15iterator_traitsISK_E10value_typeET2_T3_PNSL_ISQ_E10value_typeET4_jRbjT5_SW_jjP12ihipStream_tbEUlT_E1_NS1_11comp_targetILNS1_3genE4ELNS1_11target_archE910ELNS1_3gpuE8ELNS1_3repE0EEENS1_59segmented_radix_sort_warp_sort_small_config_static_selectorELNS0_4arch9wavefront6targetE1EEEvSK_
		.amdhsa_group_segment_fixed_size 10240
		.amdhsa_private_segment_fixed_size 0
		.amdhsa_kernarg_size 344
		.amdhsa_user_sgpr_count 8
		.amdhsa_user_sgpr_private_segment_buffer 1
		.amdhsa_user_sgpr_dispatch_ptr 0
		.amdhsa_user_sgpr_queue_ptr 0
		.amdhsa_user_sgpr_kernarg_segment_ptr 1
		.amdhsa_user_sgpr_dispatch_id 0
		.amdhsa_user_sgpr_flat_scratch_init 1
		.amdhsa_user_sgpr_kernarg_preload_length 0
		.amdhsa_user_sgpr_kernarg_preload_offset 0
		.amdhsa_user_sgpr_private_segment_size 0
		.amdhsa_uses_dynamic_stack 0
		.amdhsa_system_sgpr_private_segment_wavefront_offset 0
		.amdhsa_system_sgpr_workgroup_id_x 1
		.amdhsa_system_sgpr_workgroup_id_y 1
		.amdhsa_system_sgpr_workgroup_id_z 0
		.amdhsa_system_sgpr_workgroup_info 0
		.amdhsa_system_vgpr_workitem_id 2
		.amdhsa_next_free_vgpr 88
		.amdhsa_next_free_sgpr 50
		.amdhsa_accum_offset 88
		.amdhsa_reserve_vcc 1
		.amdhsa_reserve_flat_scratch 1
		.amdhsa_float_round_mode_32 0
		.amdhsa_float_round_mode_16_64 0
		.amdhsa_float_denorm_mode_32 3
		.amdhsa_float_denorm_mode_16_64 3
		.amdhsa_dx10_clamp 1
		.amdhsa_ieee_mode 1
		.amdhsa_fp16_overflow 0
		.amdhsa_tg_split 0
		.amdhsa_exception_fp_ieee_invalid_op 0
		.amdhsa_exception_fp_denorm_src 0
		.amdhsa_exception_fp_ieee_div_zero 0
		.amdhsa_exception_fp_ieee_overflow 0
		.amdhsa_exception_fp_ieee_underflow 0
		.amdhsa_exception_fp_ieee_inexact 0
		.amdhsa_exception_int_div_zero 0
	.end_amdhsa_kernel
	.section	.text._ZN7rocprim17ROCPRIM_400000_NS6detail17trampoline_kernelINS0_14default_configENS1_36segmented_radix_sort_config_selectorIslEEZNS1_25segmented_radix_sort_implIS3_Lb0EPKsPsPKlPlN2at6native12_GLOBAL__N_18offset_tEEE10hipError_tPvRmT1_PNSt15iterator_traitsISK_E10value_typeET2_T3_PNSL_ISQ_E10value_typeET4_jRbjT5_SW_jjP12ihipStream_tbEUlT_E1_NS1_11comp_targetILNS1_3genE4ELNS1_11target_archE910ELNS1_3gpuE8ELNS1_3repE0EEENS1_59segmented_radix_sort_warp_sort_small_config_static_selectorELNS0_4arch9wavefront6targetE1EEEvSK_,"axG",@progbits,_ZN7rocprim17ROCPRIM_400000_NS6detail17trampoline_kernelINS0_14default_configENS1_36segmented_radix_sort_config_selectorIslEEZNS1_25segmented_radix_sort_implIS3_Lb0EPKsPsPKlPlN2at6native12_GLOBAL__N_18offset_tEEE10hipError_tPvRmT1_PNSt15iterator_traitsISK_E10value_typeET2_T3_PNSL_ISQ_E10value_typeET4_jRbjT5_SW_jjP12ihipStream_tbEUlT_E1_NS1_11comp_targetILNS1_3genE4ELNS1_11target_archE910ELNS1_3gpuE8ELNS1_3repE0EEENS1_59segmented_radix_sort_warp_sort_small_config_static_selectorELNS0_4arch9wavefront6targetE1EEEvSK_,comdat
.Lfunc_end1035:
	.size	_ZN7rocprim17ROCPRIM_400000_NS6detail17trampoline_kernelINS0_14default_configENS1_36segmented_radix_sort_config_selectorIslEEZNS1_25segmented_radix_sort_implIS3_Lb0EPKsPsPKlPlN2at6native12_GLOBAL__N_18offset_tEEE10hipError_tPvRmT1_PNSt15iterator_traitsISK_E10value_typeET2_T3_PNSL_ISQ_E10value_typeET4_jRbjT5_SW_jjP12ihipStream_tbEUlT_E1_NS1_11comp_targetILNS1_3genE4ELNS1_11target_archE910ELNS1_3gpuE8ELNS1_3repE0EEENS1_59segmented_radix_sort_warp_sort_small_config_static_selectorELNS0_4arch9wavefront6targetE1EEEvSK_, .Lfunc_end1035-_ZN7rocprim17ROCPRIM_400000_NS6detail17trampoline_kernelINS0_14default_configENS1_36segmented_radix_sort_config_selectorIslEEZNS1_25segmented_radix_sort_implIS3_Lb0EPKsPsPKlPlN2at6native12_GLOBAL__N_18offset_tEEE10hipError_tPvRmT1_PNSt15iterator_traitsISK_E10value_typeET2_T3_PNSL_ISQ_E10value_typeET4_jRbjT5_SW_jjP12ihipStream_tbEUlT_E1_NS1_11comp_targetILNS1_3genE4ELNS1_11target_archE910ELNS1_3gpuE8ELNS1_3repE0EEENS1_59segmented_radix_sort_warp_sort_small_config_static_selectorELNS0_4arch9wavefront6targetE1EEEvSK_
                                        ; -- End function
	.section	.AMDGPU.csdata,"",@progbits
; Kernel info:
; codeLenInByte = 512
; NumSgprs: 56
; NumVgprs: 88
; NumAgprs: 0
; TotalNumVgprs: 88
; ScratchSize: 0
; MemoryBound: 0
; FloatMode: 240
; IeeeMode: 1
; LDSByteSize: 10240 bytes/workgroup (compile time only)
; SGPRBlocks: 6
; VGPRBlocks: 10
; NumSGPRsForWavesPerEU: 56
; NumVGPRsForWavesPerEU: 88
; AccumOffset: 88
; Occupancy: 5
; WaveLimiterHint : 0
; COMPUTE_PGM_RSRC2:SCRATCH_EN: 0
; COMPUTE_PGM_RSRC2:USER_SGPR: 8
; COMPUTE_PGM_RSRC2:TRAP_HANDLER: 0
; COMPUTE_PGM_RSRC2:TGID_X_EN: 1
; COMPUTE_PGM_RSRC2:TGID_Y_EN: 1
; COMPUTE_PGM_RSRC2:TGID_Z_EN: 0
; COMPUTE_PGM_RSRC2:TIDIG_COMP_CNT: 2
; COMPUTE_PGM_RSRC3_GFX90A:ACCUM_OFFSET: 21
; COMPUTE_PGM_RSRC3_GFX90A:TG_SPLIT: 0
	.section	.text._ZN7rocprim17ROCPRIM_400000_NS6detail17trampoline_kernelINS0_14default_configENS1_36segmented_radix_sort_config_selectorIslEEZNS1_25segmented_radix_sort_implIS3_Lb0EPKsPsPKlPlN2at6native12_GLOBAL__N_18offset_tEEE10hipError_tPvRmT1_PNSt15iterator_traitsISK_E10value_typeET2_T3_PNSL_ISQ_E10value_typeET4_jRbjT5_SW_jjP12ihipStream_tbEUlT_E1_NS1_11comp_targetILNS1_3genE3ELNS1_11target_archE908ELNS1_3gpuE7ELNS1_3repE0EEENS1_59segmented_radix_sort_warp_sort_small_config_static_selectorELNS0_4arch9wavefront6targetE1EEEvSK_,"axG",@progbits,_ZN7rocprim17ROCPRIM_400000_NS6detail17trampoline_kernelINS0_14default_configENS1_36segmented_radix_sort_config_selectorIslEEZNS1_25segmented_radix_sort_implIS3_Lb0EPKsPsPKlPlN2at6native12_GLOBAL__N_18offset_tEEE10hipError_tPvRmT1_PNSt15iterator_traitsISK_E10value_typeET2_T3_PNSL_ISQ_E10value_typeET4_jRbjT5_SW_jjP12ihipStream_tbEUlT_E1_NS1_11comp_targetILNS1_3genE3ELNS1_11target_archE908ELNS1_3gpuE7ELNS1_3repE0EEENS1_59segmented_radix_sort_warp_sort_small_config_static_selectorELNS0_4arch9wavefront6targetE1EEEvSK_,comdat
	.globl	_ZN7rocprim17ROCPRIM_400000_NS6detail17trampoline_kernelINS0_14default_configENS1_36segmented_radix_sort_config_selectorIslEEZNS1_25segmented_radix_sort_implIS3_Lb0EPKsPsPKlPlN2at6native12_GLOBAL__N_18offset_tEEE10hipError_tPvRmT1_PNSt15iterator_traitsISK_E10value_typeET2_T3_PNSL_ISQ_E10value_typeET4_jRbjT5_SW_jjP12ihipStream_tbEUlT_E1_NS1_11comp_targetILNS1_3genE3ELNS1_11target_archE908ELNS1_3gpuE7ELNS1_3repE0EEENS1_59segmented_radix_sort_warp_sort_small_config_static_selectorELNS0_4arch9wavefront6targetE1EEEvSK_ ; -- Begin function _ZN7rocprim17ROCPRIM_400000_NS6detail17trampoline_kernelINS0_14default_configENS1_36segmented_radix_sort_config_selectorIslEEZNS1_25segmented_radix_sort_implIS3_Lb0EPKsPsPKlPlN2at6native12_GLOBAL__N_18offset_tEEE10hipError_tPvRmT1_PNSt15iterator_traitsISK_E10value_typeET2_T3_PNSL_ISQ_E10value_typeET4_jRbjT5_SW_jjP12ihipStream_tbEUlT_E1_NS1_11comp_targetILNS1_3genE3ELNS1_11target_archE908ELNS1_3gpuE7ELNS1_3repE0EEENS1_59segmented_radix_sort_warp_sort_small_config_static_selectorELNS0_4arch9wavefront6targetE1EEEvSK_
	.p2align	8
	.type	_ZN7rocprim17ROCPRIM_400000_NS6detail17trampoline_kernelINS0_14default_configENS1_36segmented_radix_sort_config_selectorIslEEZNS1_25segmented_radix_sort_implIS3_Lb0EPKsPsPKlPlN2at6native12_GLOBAL__N_18offset_tEEE10hipError_tPvRmT1_PNSt15iterator_traitsISK_E10value_typeET2_T3_PNSL_ISQ_E10value_typeET4_jRbjT5_SW_jjP12ihipStream_tbEUlT_E1_NS1_11comp_targetILNS1_3genE3ELNS1_11target_archE908ELNS1_3gpuE7ELNS1_3repE0EEENS1_59segmented_radix_sort_warp_sort_small_config_static_selectorELNS0_4arch9wavefront6targetE1EEEvSK_,@function
_ZN7rocprim17ROCPRIM_400000_NS6detail17trampoline_kernelINS0_14default_configENS1_36segmented_radix_sort_config_selectorIslEEZNS1_25segmented_radix_sort_implIS3_Lb0EPKsPsPKlPlN2at6native12_GLOBAL__N_18offset_tEEE10hipError_tPvRmT1_PNSt15iterator_traitsISK_E10value_typeET2_T3_PNSL_ISQ_E10value_typeET4_jRbjT5_SW_jjP12ihipStream_tbEUlT_E1_NS1_11comp_targetILNS1_3genE3ELNS1_11target_archE908ELNS1_3gpuE7ELNS1_3repE0EEENS1_59segmented_radix_sort_warp_sort_small_config_static_selectorELNS0_4arch9wavefront6targetE1EEEvSK_: ; @_ZN7rocprim17ROCPRIM_400000_NS6detail17trampoline_kernelINS0_14default_configENS1_36segmented_radix_sort_config_selectorIslEEZNS1_25segmented_radix_sort_implIS3_Lb0EPKsPsPKlPlN2at6native12_GLOBAL__N_18offset_tEEE10hipError_tPvRmT1_PNSt15iterator_traitsISK_E10value_typeET2_T3_PNSL_ISQ_E10value_typeET4_jRbjT5_SW_jjP12ihipStream_tbEUlT_E1_NS1_11comp_targetILNS1_3genE3ELNS1_11target_archE908ELNS1_3gpuE7ELNS1_3repE0EEENS1_59segmented_radix_sort_warp_sort_small_config_static_selectorELNS0_4arch9wavefront6targetE1EEEvSK_
; %bb.0:
	.section	.rodata,"a",@progbits
	.p2align	6, 0x0
	.amdhsa_kernel _ZN7rocprim17ROCPRIM_400000_NS6detail17trampoline_kernelINS0_14default_configENS1_36segmented_radix_sort_config_selectorIslEEZNS1_25segmented_radix_sort_implIS3_Lb0EPKsPsPKlPlN2at6native12_GLOBAL__N_18offset_tEEE10hipError_tPvRmT1_PNSt15iterator_traitsISK_E10value_typeET2_T3_PNSL_ISQ_E10value_typeET4_jRbjT5_SW_jjP12ihipStream_tbEUlT_E1_NS1_11comp_targetILNS1_3genE3ELNS1_11target_archE908ELNS1_3gpuE7ELNS1_3repE0EEENS1_59segmented_radix_sort_warp_sort_small_config_static_selectorELNS0_4arch9wavefront6targetE1EEEvSK_
		.amdhsa_group_segment_fixed_size 0
		.amdhsa_private_segment_fixed_size 0
		.amdhsa_kernarg_size 88
		.amdhsa_user_sgpr_count 6
		.amdhsa_user_sgpr_private_segment_buffer 1
		.amdhsa_user_sgpr_dispatch_ptr 0
		.amdhsa_user_sgpr_queue_ptr 0
		.amdhsa_user_sgpr_kernarg_segment_ptr 1
		.amdhsa_user_sgpr_dispatch_id 0
		.amdhsa_user_sgpr_flat_scratch_init 0
		.amdhsa_user_sgpr_kernarg_preload_length 0
		.amdhsa_user_sgpr_kernarg_preload_offset 0
		.amdhsa_user_sgpr_private_segment_size 0
		.amdhsa_uses_dynamic_stack 0
		.amdhsa_system_sgpr_private_segment_wavefront_offset 0
		.amdhsa_system_sgpr_workgroup_id_x 1
		.amdhsa_system_sgpr_workgroup_id_y 0
		.amdhsa_system_sgpr_workgroup_id_z 0
		.amdhsa_system_sgpr_workgroup_info 0
		.amdhsa_system_vgpr_workitem_id 0
		.amdhsa_next_free_vgpr 1
		.amdhsa_next_free_sgpr 0
		.amdhsa_accum_offset 4
		.amdhsa_reserve_vcc 0
		.amdhsa_reserve_flat_scratch 0
		.amdhsa_float_round_mode_32 0
		.amdhsa_float_round_mode_16_64 0
		.amdhsa_float_denorm_mode_32 3
		.amdhsa_float_denorm_mode_16_64 3
		.amdhsa_dx10_clamp 1
		.amdhsa_ieee_mode 1
		.amdhsa_fp16_overflow 0
		.amdhsa_tg_split 0
		.amdhsa_exception_fp_ieee_invalid_op 0
		.amdhsa_exception_fp_denorm_src 0
		.amdhsa_exception_fp_ieee_div_zero 0
		.amdhsa_exception_fp_ieee_overflow 0
		.amdhsa_exception_fp_ieee_underflow 0
		.amdhsa_exception_fp_ieee_inexact 0
		.amdhsa_exception_int_div_zero 0
	.end_amdhsa_kernel
	.section	.text._ZN7rocprim17ROCPRIM_400000_NS6detail17trampoline_kernelINS0_14default_configENS1_36segmented_radix_sort_config_selectorIslEEZNS1_25segmented_radix_sort_implIS3_Lb0EPKsPsPKlPlN2at6native12_GLOBAL__N_18offset_tEEE10hipError_tPvRmT1_PNSt15iterator_traitsISK_E10value_typeET2_T3_PNSL_ISQ_E10value_typeET4_jRbjT5_SW_jjP12ihipStream_tbEUlT_E1_NS1_11comp_targetILNS1_3genE3ELNS1_11target_archE908ELNS1_3gpuE7ELNS1_3repE0EEENS1_59segmented_radix_sort_warp_sort_small_config_static_selectorELNS0_4arch9wavefront6targetE1EEEvSK_,"axG",@progbits,_ZN7rocprim17ROCPRIM_400000_NS6detail17trampoline_kernelINS0_14default_configENS1_36segmented_radix_sort_config_selectorIslEEZNS1_25segmented_radix_sort_implIS3_Lb0EPKsPsPKlPlN2at6native12_GLOBAL__N_18offset_tEEE10hipError_tPvRmT1_PNSt15iterator_traitsISK_E10value_typeET2_T3_PNSL_ISQ_E10value_typeET4_jRbjT5_SW_jjP12ihipStream_tbEUlT_E1_NS1_11comp_targetILNS1_3genE3ELNS1_11target_archE908ELNS1_3gpuE7ELNS1_3repE0EEENS1_59segmented_radix_sort_warp_sort_small_config_static_selectorELNS0_4arch9wavefront6targetE1EEEvSK_,comdat
.Lfunc_end1036:
	.size	_ZN7rocprim17ROCPRIM_400000_NS6detail17trampoline_kernelINS0_14default_configENS1_36segmented_radix_sort_config_selectorIslEEZNS1_25segmented_radix_sort_implIS3_Lb0EPKsPsPKlPlN2at6native12_GLOBAL__N_18offset_tEEE10hipError_tPvRmT1_PNSt15iterator_traitsISK_E10value_typeET2_T3_PNSL_ISQ_E10value_typeET4_jRbjT5_SW_jjP12ihipStream_tbEUlT_E1_NS1_11comp_targetILNS1_3genE3ELNS1_11target_archE908ELNS1_3gpuE7ELNS1_3repE0EEENS1_59segmented_radix_sort_warp_sort_small_config_static_selectorELNS0_4arch9wavefront6targetE1EEEvSK_, .Lfunc_end1036-_ZN7rocprim17ROCPRIM_400000_NS6detail17trampoline_kernelINS0_14default_configENS1_36segmented_radix_sort_config_selectorIslEEZNS1_25segmented_radix_sort_implIS3_Lb0EPKsPsPKlPlN2at6native12_GLOBAL__N_18offset_tEEE10hipError_tPvRmT1_PNSt15iterator_traitsISK_E10value_typeET2_T3_PNSL_ISQ_E10value_typeET4_jRbjT5_SW_jjP12ihipStream_tbEUlT_E1_NS1_11comp_targetILNS1_3genE3ELNS1_11target_archE908ELNS1_3gpuE7ELNS1_3repE0EEENS1_59segmented_radix_sort_warp_sort_small_config_static_selectorELNS0_4arch9wavefront6targetE1EEEvSK_
                                        ; -- End function
	.section	.AMDGPU.csdata,"",@progbits
; Kernel info:
; codeLenInByte = 0
; NumSgprs: 4
; NumVgprs: 0
; NumAgprs: 0
; TotalNumVgprs: 0
; ScratchSize: 0
; MemoryBound: 0
; FloatMode: 240
; IeeeMode: 1
; LDSByteSize: 0 bytes/workgroup (compile time only)
; SGPRBlocks: 0
; VGPRBlocks: 0
; NumSGPRsForWavesPerEU: 4
; NumVGPRsForWavesPerEU: 1
; AccumOffset: 4
; Occupancy: 8
; WaveLimiterHint : 0
; COMPUTE_PGM_RSRC2:SCRATCH_EN: 0
; COMPUTE_PGM_RSRC2:USER_SGPR: 6
; COMPUTE_PGM_RSRC2:TRAP_HANDLER: 0
; COMPUTE_PGM_RSRC2:TGID_X_EN: 1
; COMPUTE_PGM_RSRC2:TGID_Y_EN: 0
; COMPUTE_PGM_RSRC2:TGID_Z_EN: 0
; COMPUTE_PGM_RSRC2:TIDIG_COMP_CNT: 0
; COMPUTE_PGM_RSRC3_GFX90A:ACCUM_OFFSET: 0
; COMPUTE_PGM_RSRC3_GFX90A:TG_SPLIT: 0
	.section	.text._ZN7rocprim17ROCPRIM_400000_NS6detail17trampoline_kernelINS0_14default_configENS1_36segmented_radix_sort_config_selectorIslEEZNS1_25segmented_radix_sort_implIS3_Lb0EPKsPsPKlPlN2at6native12_GLOBAL__N_18offset_tEEE10hipError_tPvRmT1_PNSt15iterator_traitsISK_E10value_typeET2_T3_PNSL_ISQ_E10value_typeET4_jRbjT5_SW_jjP12ihipStream_tbEUlT_E1_NS1_11comp_targetILNS1_3genE2ELNS1_11target_archE906ELNS1_3gpuE6ELNS1_3repE0EEENS1_59segmented_radix_sort_warp_sort_small_config_static_selectorELNS0_4arch9wavefront6targetE1EEEvSK_,"axG",@progbits,_ZN7rocprim17ROCPRIM_400000_NS6detail17trampoline_kernelINS0_14default_configENS1_36segmented_radix_sort_config_selectorIslEEZNS1_25segmented_radix_sort_implIS3_Lb0EPKsPsPKlPlN2at6native12_GLOBAL__N_18offset_tEEE10hipError_tPvRmT1_PNSt15iterator_traitsISK_E10value_typeET2_T3_PNSL_ISQ_E10value_typeET4_jRbjT5_SW_jjP12ihipStream_tbEUlT_E1_NS1_11comp_targetILNS1_3genE2ELNS1_11target_archE906ELNS1_3gpuE6ELNS1_3repE0EEENS1_59segmented_radix_sort_warp_sort_small_config_static_selectorELNS0_4arch9wavefront6targetE1EEEvSK_,comdat
	.globl	_ZN7rocprim17ROCPRIM_400000_NS6detail17trampoline_kernelINS0_14default_configENS1_36segmented_radix_sort_config_selectorIslEEZNS1_25segmented_radix_sort_implIS3_Lb0EPKsPsPKlPlN2at6native12_GLOBAL__N_18offset_tEEE10hipError_tPvRmT1_PNSt15iterator_traitsISK_E10value_typeET2_T3_PNSL_ISQ_E10value_typeET4_jRbjT5_SW_jjP12ihipStream_tbEUlT_E1_NS1_11comp_targetILNS1_3genE2ELNS1_11target_archE906ELNS1_3gpuE6ELNS1_3repE0EEENS1_59segmented_radix_sort_warp_sort_small_config_static_selectorELNS0_4arch9wavefront6targetE1EEEvSK_ ; -- Begin function _ZN7rocprim17ROCPRIM_400000_NS6detail17trampoline_kernelINS0_14default_configENS1_36segmented_radix_sort_config_selectorIslEEZNS1_25segmented_radix_sort_implIS3_Lb0EPKsPsPKlPlN2at6native12_GLOBAL__N_18offset_tEEE10hipError_tPvRmT1_PNSt15iterator_traitsISK_E10value_typeET2_T3_PNSL_ISQ_E10value_typeET4_jRbjT5_SW_jjP12ihipStream_tbEUlT_E1_NS1_11comp_targetILNS1_3genE2ELNS1_11target_archE906ELNS1_3gpuE6ELNS1_3repE0EEENS1_59segmented_radix_sort_warp_sort_small_config_static_selectorELNS0_4arch9wavefront6targetE1EEEvSK_
	.p2align	8
	.type	_ZN7rocprim17ROCPRIM_400000_NS6detail17trampoline_kernelINS0_14default_configENS1_36segmented_radix_sort_config_selectorIslEEZNS1_25segmented_radix_sort_implIS3_Lb0EPKsPsPKlPlN2at6native12_GLOBAL__N_18offset_tEEE10hipError_tPvRmT1_PNSt15iterator_traitsISK_E10value_typeET2_T3_PNSL_ISQ_E10value_typeET4_jRbjT5_SW_jjP12ihipStream_tbEUlT_E1_NS1_11comp_targetILNS1_3genE2ELNS1_11target_archE906ELNS1_3gpuE6ELNS1_3repE0EEENS1_59segmented_radix_sort_warp_sort_small_config_static_selectorELNS0_4arch9wavefront6targetE1EEEvSK_,@function
_ZN7rocprim17ROCPRIM_400000_NS6detail17trampoline_kernelINS0_14default_configENS1_36segmented_radix_sort_config_selectorIslEEZNS1_25segmented_radix_sort_implIS3_Lb0EPKsPsPKlPlN2at6native12_GLOBAL__N_18offset_tEEE10hipError_tPvRmT1_PNSt15iterator_traitsISK_E10value_typeET2_T3_PNSL_ISQ_E10value_typeET4_jRbjT5_SW_jjP12ihipStream_tbEUlT_E1_NS1_11comp_targetILNS1_3genE2ELNS1_11target_archE906ELNS1_3gpuE6ELNS1_3repE0EEENS1_59segmented_radix_sort_warp_sort_small_config_static_selectorELNS0_4arch9wavefront6targetE1EEEvSK_: ; @_ZN7rocprim17ROCPRIM_400000_NS6detail17trampoline_kernelINS0_14default_configENS1_36segmented_radix_sort_config_selectorIslEEZNS1_25segmented_radix_sort_implIS3_Lb0EPKsPsPKlPlN2at6native12_GLOBAL__N_18offset_tEEE10hipError_tPvRmT1_PNSt15iterator_traitsISK_E10value_typeET2_T3_PNSL_ISQ_E10value_typeET4_jRbjT5_SW_jjP12ihipStream_tbEUlT_E1_NS1_11comp_targetILNS1_3genE2ELNS1_11target_archE906ELNS1_3gpuE6ELNS1_3repE0EEENS1_59segmented_radix_sort_warp_sort_small_config_static_selectorELNS0_4arch9wavefront6targetE1EEEvSK_
; %bb.0:
	.section	.rodata,"a",@progbits
	.p2align	6, 0x0
	.amdhsa_kernel _ZN7rocprim17ROCPRIM_400000_NS6detail17trampoline_kernelINS0_14default_configENS1_36segmented_radix_sort_config_selectorIslEEZNS1_25segmented_radix_sort_implIS3_Lb0EPKsPsPKlPlN2at6native12_GLOBAL__N_18offset_tEEE10hipError_tPvRmT1_PNSt15iterator_traitsISK_E10value_typeET2_T3_PNSL_ISQ_E10value_typeET4_jRbjT5_SW_jjP12ihipStream_tbEUlT_E1_NS1_11comp_targetILNS1_3genE2ELNS1_11target_archE906ELNS1_3gpuE6ELNS1_3repE0EEENS1_59segmented_radix_sort_warp_sort_small_config_static_selectorELNS0_4arch9wavefront6targetE1EEEvSK_
		.amdhsa_group_segment_fixed_size 0
		.amdhsa_private_segment_fixed_size 0
		.amdhsa_kernarg_size 88
		.amdhsa_user_sgpr_count 6
		.amdhsa_user_sgpr_private_segment_buffer 1
		.amdhsa_user_sgpr_dispatch_ptr 0
		.amdhsa_user_sgpr_queue_ptr 0
		.amdhsa_user_sgpr_kernarg_segment_ptr 1
		.amdhsa_user_sgpr_dispatch_id 0
		.amdhsa_user_sgpr_flat_scratch_init 0
		.amdhsa_user_sgpr_kernarg_preload_length 0
		.amdhsa_user_sgpr_kernarg_preload_offset 0
		.amdhsa_user_sgpr_private_segment_size 0
		.amdhsa_uses_dynamic_stack 0
		.amdhsa_system_sgpr_private_segment_wavefront_offset 0
		.amdhsa_system_sgpr_workgroup_id_x 1
		.amdhsa_system_sgpr_workgroup_id_y 0
		.amdhsa_system_sgpr_workgroup_id_z 0
		.amdhsa_system_sgpr_workgroup_info 0
		.amdhsa_system_vgpr_workitem_id 0
		.amdhsa_next_free_vgpr 1
		.amdhsa_next_free_sgpr 0
		.amdhsa_accum_offset 4
		.amdhsa_reserve_vcc 0
		.amdhsa_reserve_flat_scratch 0
		.amdhsa_float_round_mode_32 0
		.amdhsa_float_round_mode_16_64 0
		.amdhsa_float_denorm_mode_32 3
		.amdhsa_float_denorm_mode_16_64 3
		.amdhsa_dx10_clamp 1
		.amdhsa_ieee_mode 1
		.amdhsa_fp16_overflow 0
		.amdhsa_tg_split 0
		.amdhsa_exception_fp_ieee_invalid_op 0
		.amdhsa_exception_fp_denorm_src 0
		.amdhsa_exception_fp_ieee_div_zero 0
		.amdhsa_exception_fp_ieee_overflow 0
		.amdhsa_exception_fp_ieee_underflow 0
		.amdhsa_exception_fp_ieee_inexact 0
		.amdhsa_exception_int_div_zero 0
	.end_amdhsa_kernel
	.section	.text._ZN7rocprim17ROCPRIM_400000_NS6detail17trampoline_kernelINS0_14default_configENS1_36segmented_radix_sort_config_selectorIslEEZNS1_25segmented_radix_sort_implIS3_Lb0EPKsPsPKlPlN2at6native12_GLOBAL__N_18offset_tEEE10hipError_tPvRmT1_PNSt15iterator_traitsISK_E10value_typeET2_T3_PNSL_ISQ_E10value_typeET4_jRbjT5_SW_jjP12ihipStream_tbEUlT_E1_NS1_11comp_targetILNS1_3genE2ELNS1_11target_archE906ELNS1_3gpuE6ELNS1_3repE0EEENS1_59segmented_radix_sort_warp_sort_small_config_static_selectorELNS0_4arch9wavefront6targetE1EEEvSK_,"axG",@progbits,_ZN7rocprim17ROCPRIM_400000_NS6detail17trampoline_kernelINS0_14default_configENS1_36segmented_radix_sort_config_selectorIslEEZNS1_25segmented_radix_sort_implIS3_Lb0EPKsPsPKlPlN2at6native12_GLOBAL__N_18offset_tEEE10hipError_tPvRmT1_PNSt15iterator_traitsISK_E10value_typeET2_T3_PNSL_ISQ_E10value_typeET4_jRbjT5_SW_jjP12ihipStream_tbEUlT_E1_NS1_11comp_targetILNS1_3genE2ELNS1_11target_archE906ELNS1_3gpuE6ELNS1_3repE0EEENS1_59segmented_radix_sort_warp_sort_small_config_static_selectorELNS0_4arch9wavefront6targetE1EEEvSK_,comdat
.Lfunc_end1037:
	.size	_ZN7rocprim17ROCPRIM_400000_NS6detail17trampoline_kernelINS0_14default_configENS1_36segmented_radix_sort_config_selectorIslEEZNS1_25segmented_radix_sort_implIS3_Lb0EPKsPsPKlPlN2at6native12_GLOBAL__N_18offset_tEEE10hipError_tPvRmT1_PNSt15iterator_traitsISK_E10value_typeET2_T3_PNSL_ISQ_E10value_typeET4_jRbjT5_SW_jjP12ihipStream_tbEUlT_E1_NS1_11comp_targetILNS1_3genE2ELNS1_11target_archE906ELNS1_3gpuE6ELNS1_3repE0EEENS1_59segmented_radix_sort_warp_sort_small_config_static_selectorELNS0_4arch9wavefront6targetE1EEEvSK_, .Lfunc_end1037-_ZN7rocprim17ROCPRIM_400000_NS6detail17trampoline_kernelINS0_14default_configENS1_36segmented_radix_sort_config_selectorIslEEZNS1_25segmented_radix_sort_implIS3_Lb0EPKsPsPKlPlN2at6native12_GLOBAL__N_18offset_tEEE10hipError_tPvRmT1_PNSt15iterator_traitsISK_E10value_typeET2_T3_PNSL_ISQ_E10value_typeET4_jRbjT5_SW_jjP12ihipStream_tbEUlT_E1_NS1_11comp_targetILNS1_3genE2ELNS1_11target_archE906ELNS1_3gpuE6ELNS1_3repE0EEENS1_59segmented_radix_sort_warp_sort_small_config_static_selectorELNS0_4arch9wavefront6targetE1EEEvSK_
                                        ; -- End function
	.section	.AMDGPU.csdata,"",@progbits
; Kernel info:
; codeLenInByte = 0
; NumSgprs: 4
; NumVgprs: 0
; NumAgprs: 0
; TotalNumVgprs: 0
; ScratchSize: 0
; MemoryBound: 0
; FloatMode: 240
; IeeeMode: 1
; LDSByteSize: 0 bytes/workgroup (compile time only)
; SGPRBlocks: 0
; VGPRBlocks: 0
; NumSGPRsForWavesPerEU: 4
; NumVGPRsForWavesPerEU: 1
; AccumOffset: 4
; Occupancy: 8
; WaveLimiterHint : 0
; COMPUTE_PGM_RSRC2:SCRATCH_EN: 0
; COMPUTE_PGM_RSRC2:USER_SGPR: 6
; COMPUTE_PGM_RSRC2:TRAP_HANDLER: 0
; COMPUTE_PGM_RSRC2:TGID_X_EN: 1
; COMPUTE_PGM_RSRC2:TGID_Y_EN: 0
; COMPUTE_PGM_RSRC2:TGID_Z_EN: 0
; COMPUTE_PGM_RSRC2:TIDIG_COMP_CNT: 0
; COMPUTE_PGM_RSRC3_GFX90A:ACCUM_OFFSET: 0
; COMPUTE_PGM_RSRC3_GFX90A:TG_SPLIT: 0
	.section	.text._ZN7rocprim17ROCPRIM_400000_NS6detail17trampoline_kernelINS0_14default_configENS1_36segmented_radix_sort_config_selectorIslEEZNS1_25segmented_radix_sort_implIS3_Lb0EPKsPsPKlPlN2at6native12_GLOBAL__N_18offset_tEEE10hipError_tPvRmT1_PNSt15iterator_traitsISK_E10value_typeET2_T3_PNSL_ISQ_E10value_typeET4_jRbjT5_SW_jjP12ihipStream_tbEUlT_E1_NS1_11comp_targetILNS1_3genE10ELNS1_11target_archE1201ELNS1_3gpuE5ELNS1_3repE0EEENS1_59segmented_radix_sort_warp_sort_small_config_static_selectorELNS0_4arch9wavefront6targetE1EEEvSK_,"axG",@progbits,_ZN7rocprim17ROCPRIM_400000_NS6detail17trampoline_kernelINS0_14default_configENS1_36segmented_radix_sort_config_selectorIslEEZNS1_25segmented_radix_sort_implIS3_Lb0EPKsPsPKlPlN2at6native12_GLOBAL__N_18offset_tEEE10hipError_tPvRmT1_PNSt15iterator_traitsISK_E10value_typeET2_T3_PNSL_ISQ_E10value_typeET4_jRbjT5_SW_jjP12ihipStream_tbEUlT_E1_NS1_11comp_targetILNS1_3genE10ELNS1_11target_archE1201ELNS1_3gpuE5ELNS1_3repE0EEENS1_59segmented_radix_sort_warp_sort_small_config_static_selectorELNS0_4arch9wavefront6targetE1EEEvSK_,comdat
	.globl	_ZN7rocprim17ROCPRIM_400000_NS6detail17trampoline_kernelINS0_14default_configENS1_36segmented_radix_sort_config_selectorIslEEZNS1_25segmented_radix_sort_implIS3_Lb0EPKsPsPKlPlN2at6native12_GLOBAL__N_18offset_tEEE10hipError_tPvRmT1_PNSt15iterator_traitsISK_E10value_typeET2_T3_PNSL_ISQ_E10value_typeET4_jRbjT5_SW_jjP12ihipStream_tbEUlT_E1_NS1_11comp_targetILNS1_3genE10ELNS1_11target_archE1201ELNS1_3gpuE5ELNS1_3repE0EEENS1_59segmented_radix_sort_warp_sort_small_config_static_selectorELNS0_4arch9wavefront6targetE1EEEvSK_ ; -- Begin function _ZN7rocprim17ROCPRIM_400000_NS6detail17trampoline_kernelINS0_14default_configENS1_36segmented_radix_sort_config_selectorIslEEZNS1_25segmented_radix_sort_implIS3_Lb0EPKsPsPKlPlN2at6native12_GLOBAL__N_18offset_tEEE10hipError_tPvRmT1_PNSt15iterator_traitsISK_E10value_typeET2_T3_PNSL_ISQ_E10value_typeET4_jRbjT5_SW_jjP12ihipStream_tbEUlT_E1_NS1_11comp_targetILNS1_3genE10ELNS1_11target_archE1201ELNS1_3gpuE5ELNS1_3repE0EEENS1_59segmented_radix_sort_warp_sort_small_config_static_selectorELNS0_4arch9wavefront6targetE1EEEvSK_
	.p2align	8
	.type	_ZN7rocprim17ROCPRIM_400000_NS6detail17trampoline_kernelINS0_14default_configENS1_36segmented_radix_sort_config_selectorIslEEZNS1_25segmented_radix_sort_implIS3_Lb0EPKsPsPKlPlN2at6native12_GLOBAL__N_18offset_tEEE10hipError_tPvRmT1_PNSt15iterator_traitsISK_E10value_typeET2_T3_PNSL_ISQ_E10value_typeET4_jRbjT5_SW_jjP12ihipStream_tbEUlT_E1_NS1_11comp_targetILNS1_3genE10ELNS1_11target_archE1201ELNS1_3gpuE5ELNS1_3repE0EEENS1_59segmented_radix_sort_warp_sort_small_config_static_selectorELNS0_4arch9wavefront6targetE1EEEvSK_,@function
_ZN7rocprim17ROCPRIM_400000_NS6detail17trampoline_kernelINS0_14default_configENS1_36segmented_radix_sort_config_selectorIslEEZNS1_25segmented_radix_sort_implIS3_Lb0EPKsPsPKlPlN2at6native12_GLOBAL__N_18offset_tEEE10hipError_tPvRmT1_PNSt15iterator_traitsISK_E10value_typeET2_T3_PNSL_ISQ_E10value_typeET4_jRbjT5_SW_jjP12ihipStream_tbEUlT_E1_NS1_11comp_targetILNS1_3genE10ELNS1_11target_archE1201ELNS1_3gpuE5ELNS1_3repE0EEENS1_59segmented_radix_sort_warp_sort_small_config_static_selectorELNS0_4arch9wavefront6targetE1EEEvSK_: ; @_ZN7rocprim17ROCPRIM_400000_NS6detail17trampoline_kernelINS0_14default_configENS1_36segmented_radix_sort_config_selectorIslEEZNS1_25segmented_radix_sort_implIS3_Lb0EPKsPsPKlPlN2at6native12_GLOBAL__N_18offset_tEEE10hipError_tPvRmT1_PNSt15iterator_traitsISK_E10value_typeET2_T3_PNSL_ISQ_E10value_typeET4_jRbjT5_SW_jjP12ihipStream_tbEUlT_E1_NS1_11comp_targetILNS1_3genE10ELNS1_11target_archE1201ELNS1_3gpuE5ELNS1_3repE0EEENS1_59segmented_radix_sort_warp_sort_small_config_static_selectorELNS0_4arch9wavefront6targetE1EEEvSK_
; %bb.0:
	.section	.rodata,"a",@progbits
	.p2align	6, 0x0
	.amdhsa_kernel _ZN7rocprim17ROCPRIM_400000_NS6detail17trampoline_kernelINS0_14default_configENS1_36segmented_radix_sort_config_selectorIslEEZNS1_25segmented_radix_sort_implIS3_Lb0EPKsPsPKlPlN2at6native12_GLOBAL__N_18offset_tEEE10hipError_tPvRmT1_PNSt15iterator_traitsISK_E10value_typeET2_T3_PNSL_ISQ_E10value_typeET4_jRbjT5_SW_jjP12ihipStream_tbEUlT_E1_NS1_11comp_targetILNS1_3genE10ELNS1_11target_archE1201ELNS1_3gpuE5ELNS1_3repE0EEENS1_59segmented_radix_sort_warp_sort_small_config_static_selectorELNS0_4arch9wavefront6targetE1EEEvSK_
		.amdhsa_group_segment_fixed_size 0
		.amdhsa_private_segment_fixed_size 0
		.amdhsa_kernarg_size 88
		.amdhsa_user_sgpr_count 6
		.amdhsa_user_sgpr_private_segment_buffer 1
		.amdhsa_user_sgpr_dispatch_ptr 0
		.amdhsa_user_sgpr_queue_ptr 0
		.amdhsa_user_sgpr_kernarg_segment_ptr 1
		.amdhsa_user_sgpr_dispatch_id 0
		.amdhsa_user_sgpr_flat_scratch_init 0
		.amdhsa_user_sgpr_kernarg_preload_length 0
		.amdhsa_user_sgpr_kernarg_preload_offset 0
		.amdhsa_user_sgpr_private_segment_size 0
		.amdhsa_uses_dynamic_stack 0
		.amdhsa_system_sgpr_private_segment_wavefront_offset 0
		.amdhsa_system_sgpr_workgroup_id_x 1
		.amdhsa_system_sgpr_workgroup_id_y 0
		.amdhsa_system_sgpr_workgroup_id_z 0
		.amdhsa_system_sgpr_workgroup_info 0
		.amdhsa_system_vgpr_workitem_id 0
		.amdhsa_next_free_vgpr 1
		.amdhsa_next_free_sgpr 0
		.amdhsa_accum_offset 4
		.amdhsa_reserve_vcc 0
		.amdhsa_reserve_flat_scratch 0
		.amdhsa_float_round_mode_32 0
		.amdhsa_float_round_mode_16_64 0
		.amdhsa_float_denorm_mode_32 3
		.amdhsa_float_denorm_mode_16_64 3
		.amdhsa_dx10_clamp 1
		.amdhsa_ieee_mode 1
		.amdhsa_fp16_overflow 0
		.amdhsa_tg_split 0
		.amdhsa_exception_fp_ieee_invalid_op 0
		.amdhsa_exception_fp_denorm_src 0
		.amdhsa_exception_fp_ieee_div_zero 0
		.amdhsa_exception_fp_ieee_overflow 0
		.amdhsa_exception_fp_ieee_underflow 0
		.amdhsa_exception_fp_ieee_inexact 0
		.amdhsa_exception_int_div_zero 0
	.end_amdhsa_kernel
	.section	.text._ZN7rocprim17ROCPRIM_400000_NS6detail17trampoline_kernelINS0_14default_configENS1_36segmented_radix_sort_config_selectorIslEEZNS1_25segmented_radix_sort_implIS3_Lb0EPKsPsPKlPlN2at6native12_GLOBAL__N_18offset_tEEE10hipError_tPvRmT1_PNSt15iterator_traitsISK_E10value_typeET2_T3_PNSL_ISQ_E10value_typeET4_jRbjT5_SW_jjP12ihipStream_tbEUlT_E1_NS1_11comp_targetILNS1_3genE10ELNS1_11target_archE1201ELNS1_3gpuE5ELNS1_3repE0EEENS1_59segmented_radix_sort_warp_sort_small_config_static_selectorELNS0_4arch9wavefront6targetE1EEEvSK_,"axG",@progbits,_ZN7rocprim17ROCPRIM_400000_NS6detail17trampoline_kernelINS0_14default_configENS1_36segmented_radix_sort_config_selectorIslEEZNS1_25segmented_radix_sort_implIS3_Lb0EPKsPsPKlPlN2at6native12_GLOBAL__N_18offset_tEEE10hipError_tPvRmT1_PNSt15iterator_traitsISK_E10value_typeET2_T3_PNSL_ISQ_E10value_typeET4_jRbjT5_SW_jjP12ihipStream_tbEUlT_E1_NS1_11comp_targetILNS1_3genE10ELNS1_11target_archE1201ELNS1_3gpuE5ELNS1_3repE0EEENS1_59segmented_radix_sort_warp_sort_small_config_static_selectorELNS0_4arch9wavefront6targetE1EEEvSK_,comdat
.Lfunc_end1038:
	.size	_ZN7rocprim17ROCPRIM_400000_NS6detail17trampoline_kernelINS0_14default_configENS1_36segmented_radix_sort_config_selectorIslEEZNS1_25segmented_radix_sort_implIS3_Lb0EPKsPsPKlPlN2at6native12_GLOBAL__N_18offset_tEEE10hipError_tPvRmT1_PNSt15iterator_traitsISK_E10value_typeET2_T3_PNSL_ISQ_E10value_typeET4_jRbjT5_SW_jjP12ihipStream_tbEUlT_E1_NS1_11comp_targetILNS1_3genE10ELNS1_11target_archE1201ELNS1_3gpuE5ELNS1_3repE0EEENS1_59segmented_radix_sort_warp_sort_small_config_static_selectorELNS0_4arch9wavefront6targetE1EEEvSK_, .Lfunc_end1038-_ZN7rocprim17ROCPRIM_400000_NS6detail17trampoline_kernelINS0_14default_configENS1_36segmented_radix_sort_config_selectorIslEEZNS1_25segmented_radix_sort_implIS3_Lb0EPKsPsPKlPlN2at6native12_GLOBAL__N_18offset_tEEE10hipError_tPvRmT1_PNSt15iterator_traitsISK_E10value_typeET2_T3_PNSL_ISQ_E10value_typeET4_jRbjT5_SW_jjP12ihipStream_tbEUlT_E1_NS1_11comp_targetILNS1_3genE10ELNS1_11target_archE1201ELNS1_3gpuE5ELNS1_3repE0EEENS1_59segmented_radix_sort_warp_sort_small_config_static_selectorELNS0_4arch9wavefront6targetE1EEEvSK_
                                        ; -- End function
	.section	.AMDGPU.csdata,"",@progbits
; Kernel info:
; codeLenInByte = 0
; NumSgprs: 4
; NumVgprs: 0
; NumAgprs: 0
; TotalNumVgprs: 0
; ScratchSize: 0
; MemoryBound: 0
; FloatMode: 240
; IeeeMode: 1
; LDSByteSize: 0 bytes/workgroup (compile time only)
; SGPRBlocks: 0
; VGPRBlocks: 0
; NumSGPRsForWavesPerEU: 4
; NumVGPRsForWavesPerEU: 1
; AccumOffset: 4
; Occupancy: 8
; WaveLimiterHint : 0
; COMPUTE_PGM_RSRC2:SCRATCH_EN: 0
; COMPUTE_PGM_RSRC2:USER_SGPR: 6
; COMPUTE_PGM_RSRC2:TRAP_HANDLER: 0
; COMPUTE_PGM_RSRC2:TGID_X_EN: 1
; COMPUTE_PGM_RSRC2:TGID_Y_EN: 0
; COMPUTE_PGM_RSRC2:TGID_Z_EN: 0
; COMPUTE_PGM_RSRC2:TIDIG_COMP_CNT: 0
; COMPUTE_PGM_RSRC3_GFX90A:ACCUM_OFFSET: 0
; COMPUTE_PGM_RSRC3_GFX90A:TG_SPLIT: 0
	.section	.text._ZN7rocprim17ROCPRIM_400000_NS6detail17trampoline_kernelINS0_14default_configENS1_36segmented_radix_sort_config_selectorIslEEZNS1_25segmented_radix_sort_implIS3_Lb0EPKsPsPKlPlN2at6native12_GLOBAL__N_18offset_tEEE10hipError_tPvRmT1_PNSt15iterator_traitsISK_E10value_typeET2_T3_PNSL_ISQ_E10value_typeET4_jRbjT5_SW_jjP12ihipStream_tbEUlT_E1_NS1_11comp_targetILNS1_3genE10ELNS1_11target_archE1200ELNS1_3gpuE4ELNS1_3repE0EEENS1_59segmented_radix_sort_warp_sort_small_config_static_selectorELNS0_4arch9wavefront6targetE1EEEvSK_,"axG",@progbits,_ZN7rocprim17ROCPRIM_400000_NS6detail17trampoline_kernelINS0_14default_configENS1_36segmented_radix_sort_config_selectorIslEEZNS1_25segmented_radix_sort_implIS3_Lb0EPKsPsPKlPlN2at6native12_GLOBAL__N_18offset_tEEE10hipError_tPvRmT1_PNSt15iterator_traitsISK_E10value_typeET2_T3_PNSL_ISQ_E10value_typeET4_jRbjT5_SW_jjP12ihipStream_tbEUlT_E1_NS1_11comp_targetILNS1_3genE10ELNS1_11target_archE1200ELNS1_3gpuE4ELNS1_3repE0EEENS1_59segmented_radix_sort_warp_sort_small_config_static_selectorELNS0_4arch9wavefront6targetE1EEEvSK_,comdat
	.globl	_ZN7rocprim17ROCPRIM_400000_NS6detail17trampoline_kernelINS0_14default_configENS1_36segmented_radix_sort_config_selectorIslEEZNS1_25segmented_radix_sort_implIS3_Lb0EPKsPsPKlPlN2at6native12_GLOBAL__N_18offset_tEEE10hipError_tPvRmT1_PNSt15iterator_traitsISK_E10value_typeET2_T3_PNSL_ISQ_E10value_typeET4_jRbjT5_SW_jjP12ihipStream_tbEUlT_E1_NS1_11comp_targetILNS1_3genE10ELNS1_11target_archE1200ELNS1_3gpuE4ELNS1_3repE0EEENS1_59segmented_radix_sort_warp_sort_small_config_static_selectorELNS0_4arch9wavefront6targetE1EEEvSK_ ; -- Begin function _ZN7rocprim17ROCPRIM_400000_NS6detail17trampoline_kernelINS0_14default_configENS1_36segmented_radix_sort_config_selectorIslEEZNS1_25segmented_radix_sort_implIS3_Lb0EPKsPsPKlPlN2at6native12_GLOBAL__N_18offset_tEEE10hipError_tPvRmT1_PNSt15iterator_traitsISK_E10value_typeET2_T3_PNSL_ISQ_E10value_typeET4_jRbjT5_SW_jjP12ihipStream_tbEUlT_E1_NS1_11comp_targetILNS1_3genE10ELNS1_11target_archE1200ELNS1_3gpuE4ELNS1_3repE0EEENS1_59segmented_radix_sort_warp_sort_small_config_static_selectorELNS0_4arch9wavefront6targetE1EEEvSK_
	.p2align	8
	.type	_ZN7rocprim17ROCPRIM_400000_NS6detail17trampoline_kernelINS0_14default_configENS1_36segmented_radix_sort_config_selectorIslEEZNS1_25segmented_radix_sort_implIS3_Lb0EPKsPsPKlPlN2at6native12_GLOBAL__N_18offset_tEEE10hipError_tPvRmT1_PNSt15iterator_traitsISK_E10value_typeET2_T3_PNSL_ISQ_E10value_typeET4_jRbjT5_SW_jjP12ihipStream_tbEUlT_E1_NS1_11comp_targetILNS1_3genE10ELNS1_11target_archE1200ELNS1_3gpuE4ELNS1_3repE0EEENS1_59segmented_radix_sort_warp_sort_small_config_static_selectorELNS0_4arch9wavefront6targetE1EEEvSK_,@function
_ZN7rocprim17ROCPRIM_400000_NS6detail17trampoline_kernelINS0_14default_configENS1_36segmented_radix_sort_config_selectorIslEEZNS1_25segmented_radix_sort_implIS3_Lb0EPKsPsPKlPlN2at6native12_GLOBAL__N_18offset_tEEE10hipError_tPvRmT1_PNSt15iterator_traitsISK_E10value_typeET2_T3_PNSL_ISQ_E10value_typeET4_jRbjT5_SW_jjP12ihipStream_tbEUlT_E1_NS1_11comp_targetILNS1_3genE10ELNS1_11target_archE1200ELNS1_3gpuE4ELNS1_3repE0EEENS1_59segmented_radix_sort_warp_sort_small_config_static_selectorELNS0_4arch9wavefront6targetE1EEEvSK_: ; @_ZN7rocprim17ROCPRIM_400000_NS6detail17trampoline_kernelINS0_14default_configENS1_36segmented_radix_sort_config_selectorIslEEZNS1_25segmented_radix_sort_implIS3_Lb0EPKsPsPKlPlN2at6native12_GLOBAL__N_18offset_tEEE10hipError_tPvRmT1_PNSt15iterator_traitsISK_E10value_typeET2_T3_PNSL_ISQ_E10value_typeET4_jRbjT5_SW_jjP12ihipStream_tbEUlT_E1_NS1_11comp_targetILNS1_3genE10ELNS1_11target_archE1200ELNS1_3gpuE4ELNS1_3repE0EEENS1_59segmented_radix_sort_warp_sort_small_config_static_selectorELNS0_4arch9wavefront6targetE1EEEvSK_
; %bb.0:
	.section	.rodata,"a",@progbits
	.p2align	6, 0x0
	.amdhsa_kernel _ZN7rocprim17ROCPRIM_400000_NS6detail17trampoline_kernelINS0_14default_configENS1_36segmented_radix_sort_config_selectorIslEEZNS1_25segmented_radix_sort_implIS3_Lb0EPKsPsPKlPlN2at6native12_GLOBAL__N_18offset_tEEE10hipError_tPvRmT1_PNSt15iterator_traitsISK_E10value_typeET2_T3_PNSL_ISQ_E10value_typeET4_jRbjT5_SW_jjP12ihipStream_tbEUlT_E1_NS1_11comp_targetILNS1_3genE10ELNS1_11target_archE1200ELNS1_3gpuE4ELNS1_3repE0EEENS1_59segmented_radix_sort_warp_sort_small_config_static_selectorELNS0_4arch9wavefront6targetE1EEEvSK_
		.amdhsa_group_segment_fixed_size 0
		.amdhsa_private_segment_fixed_size 0
		.amdhsa_kernarg_size 88
		.amdhsa_user_sgpr_count 6
		.amdhsa_user_sgpr_private_segment_buffer 1
		.amdhsa_user_sgpr_dispatch_ptr 0
		.amdhsa_user_sgpr_queue_ptr 0
		.amdhsa_user_sgpr_kernarg_segment_ptr 1
		.amdhsa_user_sgpr_dispatch_id 0
		.amdhsa_user_sgpr_flat_scratch_init 0
		.amdhsa_user_sgpr_kernarg_preload_length 0
		.amdhsa_user_sgpr_kernarg_preload_offset 0
		.amdhsa_user_sgpr_private_segment_size 0
		.amdhsa_uses_dynamic_stack 0
		.amdhsa_system_sgpr_private_segment_wavefront_offset 0
		.amdhsa_system_sgpr_workgroup_id_x 1
		.amdhsa_system_sgpr_workgroup_id_y 0
		.amdhsa_system_sgpr_workgroup_id_z 0
		.amdhsa_system_sgpr_workgroup_info 0
		.amdhsa_system_vgpr_workitem_id 0
		.amdhsa_next_free_vgpr 1
		.amdhsa_next_free_sgpr 0
		.amdhsa_accum_offset 4
		.amdhsa_reserve_vcc 0
		.amdhsa_reserve_flat_scratch 0
		.amdhsa_float_round_mode_32 0
		.amdhsa_float_round_mode_16_64 0
		.amdhsa_float_denorm_mode_32 3
		.amdhsa_float_denorm_mode_16_64 3
		.amdhsa_dx10_clamp 1
		.amdhsa_ieee_mode 1
		.amdhsa_fp16_overflow 0
		.amdhsa_tg_split 0
		.amdhsa_exception_fp_ieee_invalid_op 0
		.amdhsa_exception_fp_denorm_src 0
		.amdhsa_exception_fp_ieee_div_zero 0
		.amdhsa_exception_fp_ieee_overflow 0
		.amdhsa_exception_fp_ieee_underflow 0
		.amdhsa_exception_fp_ieee_inexact 0
		.amdhsa_exception_int_div_zero 0
	.end_amdhsa_kernel
	.section	.text._ZN7rocprim17ROCPRIM_400000_NS6detail17trampoline_kernelINS0_14default_configENS1_36segmented_radix_sort_config_selectorIslEEZNS1_25segmented_radix_sort_implIS3_Lb0EPKsPsPKlPlN2at6native12_GLOBAL__N_18offset_tEEE10hipError_tPvRmT1_PNSt15iterator_traitsISK_E10value_typeET2_T3_PNSL_ISQ_E10value_typeET4_jRbjT5_SW_jjP12ihipStream_tbEUlT_E1_NS1_11comp_targetILNS1_3genE10ELNS1_11target_archE1200ELNS1_3gpuE4ELNS1_3repE0EEENS1_59segmented_radix_sort_warp_sort_small_config_static_selectorELNS0_4arch9wavefront6targetE1EEEvSK_,"axG",@progbits,_ZN7rocprim17ROCPRIM_400000_NS6detail17trampoline_kernelINS0_14default_configENS1_36segmented_radix_sort_config_selectorIslEEZNS1_25segmented_radix_sort_implIS3_Lb0EPKsPsPKlPlN2at6native12_GLOBAL__N_18offset_tEEE10hipError_tPvRmT1_PNSt15iterator_traitsISK_E10value_typeET2_T3_PNSL_ISQ_E10value_typeET4_jRbjT5_SW_jjP12ihipStream_tbEUlT_E1_NS1_11comp_targetILNS1_3genE10ELNS1_11target_archE1200ELNS1_3gpuE4ELNS1_3repE0EEENS1_59segmented_radix_sort_warp_sort_small_config_static_selectorELNS0_4arch9wavefront6targetE1EEEvSK_,comdat
.Lfunc_end1039:
	.size	_ZN7rocprim17ROCPRIM_400000_NS6detail17trampoline_kernelINS0_14default_configENS1_36segmented_radix_sort_config_selectorIslEEZNS1_25segmented_radix_sort_implIS3_Lb0EPKsPsPKlPlN2at6native12_GLOBAL__N_18offset_tEEE10hipError_tPvRmT1_PNSt15iterator_traitsISK_E10value_typeET2_T3_PNSL_ISQ_E10value_typeET4_jRbjT5_SW_jjP12ihipStream_tbEUlT_E1_NS1_11comp_targetILNS1_3genE10ELNS1_11target_archE1200ELNS1_3gpuE4ELNS1_3repE0EEENS1_59segmented_radix_sort_warp_sort_small_config_static_selectorELNS0_4arch9wavefront6targetE1EEEvSK_, .Lfunc_end1039-_ZN7rocprim17ROCPRIM_400000_NS6detail17trampoline_kernelINS0_14default_configENS1_36segmented_radix_sort_config_selectorIslEEZNS1_25segmented_radix_sort_implIS3_Lb0EPKsPsPKlPlN2at6native12_GLOBAL__N_18offset_tEEE10hipError_tPvRmT1_PNSt15iterator_traitsISK_E10value_typeET2_T3_PNSL_ISQ_E10value_typeET4_jRbjT5_SW_jjP12ihipStream_tbEUlT_E1_NS1_11comp_targetILNS1_3genE10ELNS1_11target_archE1200ELNS1_3gpuE4ELNS1_3repE0EEENS1_59segmented_radix_sort_warp_sort_small_config_static_selectorELNS0_4arch9wavefront6targetE1EEEvSK_
                                        ; -- End function
	.section	.AMDGPU.csdata,"",@progbits
; Kernel info:
; codeLenInByte = 0
; NumSgprs: 4
; NumVgprs: 0
; NumAgprs: 0
; TotalNumVgprs: 0
; ScratchSize: 0
; MemoryBound: 0
; FloatMode: 240
; IeeeMode: 1
; LDSByteSize: 0 bytes/workgroup (compile time only)
; SGPRBlocks: 0
; VGPRBlocks: 0
; NumSGPRsForWavesPerEU: 4
; NumVGPRsForWavesPerEU: 1
; AccumOffset: 4
; Occupancy: 8
; WaveLimiterHint : 0
; COMPUTE_PGM_RSRC2:SCRATCH_EN: 0
; COMPUTE_PGM_RSRC2:USER_SGPR: 6
; COMPUTE_PGM_RSRC2:TRAP_HANDLER: 0
; COMPUTE_PGM_RSRC2:TGID_X_EN: 1
; COMPUTE_PGM_RSRC2:TGID_Y_EN: 0
; COMPUTE_PGM_RSRC2:TGID_Z_EN: 0
; COMPUTE_PGM_RSRC2:TIDIG_COMP_CNT: 0
; COMPUTE_PGM_RSRC3_GFX90A:ACCUM_OFFSET: 0
; COMPUTE_PGM_RSRC3_GFX90A:TG_SPLIT: 0
	.section	.text._ZN7rocprim17ROCPRIM_400000_NS6detail17trampoline_kernelINS0_14default_configENS1_36segmented_radix_sort_config_selectorIslEEZNS1_25segmented_radix_sort_implIS3_Lb0EPKsPsPKlPlN2at6native12_GLOBAL__N_18offset_tEEE10hipError_tPvRmT1_PNSt15iterator_traitsISK_E10value_typeET2_T3_PNSL_ISQ_E10value_typeET4_jRbjT5_SW_jjP12ihipStream_tbEUlT_E1_NS1_11comp_targetILNS1_3genE9ELNS1_11target_archE1100ELNS1_3gpuE3ELNS1_3repE0EEENS1_59segmented_radix_sort_warp_sort_small_config_static_selectorELNS0_4arch9wavefront6targetE1EEEvSK_,"axG",@progbits,_ZN7rocprim17ROCPRIM_400000_NS6detail17trampoline_kernelINS0_14default_configENS1_36segmented_radix_sort_config_selectorIslEEZNS1_25segmented_radix_sort_implIS3_Lb0EPKsPsPKlPlN2at6native12_GLOBAL__N_18offset_tEEE10hipError_tPvRmT1_PNSt15iterator_traitsISK_E10value_typeET2_T3_PNSL_ISQ_E10value_typeET4_jRbjT5_SW_jjP12ihipStream_tbEUlT_E1_NS1_11comp_targetILNS1_3genE9ELNS1_11target_archE1100ELNS1_3gpuE3ELNS1_3repE0EEENS1_59segmented_radix_sort_warp_sort_small_config_static_selectorELNS0_4arch9wavefront6targetE1EEEvSK_,comdat
	.globl	_ZN7rocprim17ROCPRIM_400000_NS6detail17trampoline_kernelINS0_14default_configENS1_36segmented_radix_sort_config_selectorIslEEZNS1_25segmented_radix_sort_implIS3_Lb0EPKsPsPKlPlN2at6native12_GLOBAL__N_18offset_tEEE10hipError_tPvRmT1_PNSt15iterator_traitsISK_E10value_typeET2_T3_PNSL_ISQ_E10value_typeET4_jRbjT5_SW_jjP12ihipStream_tbEUlT_E1_NS1_11comp_targetILNS1_3genE9ELNS1_11target_archE1100ELNS1_3gpuE3ELNS1_3repE0EEENS1_59segmented_radix_sort_warp_sort_small_config_static_selectorELNS0_4arch9wavefront6targetE1EEEvSK_ ; -- Begin function _ZN7rocprim17ROCPRIM_400000_NS6detail17trampoline_kernelINS0_14default_configENS1_36segmented_radix_sort_config_selectorIslEEZNS1_25segmented_radix_sort_implIS3_Lb0EPKsPsPKlPlN2at6native12_GLOBAL__N_18offset_tEEE10hipError_tPvRmT1_PNSt15iterator_traitsISK_E10value_typeET2_T3_PNSL_ISQ_E10value_typeET4_jRbjT5_SW_jjP12ihipStream_tbEUlT_E1_NS1_11comp_targetILNS1_3genE9ELNS1_11target_archE1100ELNS1_3gpuE3ELNS1_3repE0EEENS1_59segmented_radix_sort_warp_sort_small_config_static_selectorELNS0_4arch9wavefront6targetE1EEEvSK_
	.p2align	8
	.type	_ZN7rocprim17ROCPRIM_400000_NS6detail17trampoline_kernelINS0_14default_configENS1_36segmented_radix_sort_config_selectorIslEEZNS1_25segmented_radix_sort_implIS3_Lb0EPKsPsPKlPlN2at6native12_GLOBAL__N_18offset_tEEE10hipError_tPvRmT1_PNSt15iterator_traitsISK_E10value_typeET2_T3_PNSL_ISQ_E10value_typeET4_jRbjT5_SW_jjP12ihipStream_tbEUlT_E1_NS1_11comp_targetILNS1_3genE9ELNS1_11target_archE1100ELNS1_3gpuE3ELNS1_3repE0EEENS1_59segmented_radix_sort_warp_sort_small_config_static_selectorELNS0_4arch9wavefront6targetE1EEEvSK_,@function
_ZN7rocprim17ROCPRIM_400000_NS6detail17trampoline_kernelINS0_14default_configENS1_36segmented_radix_sort_config_selectorIslEEZNS1_25segmented_radix_sort_implIS3_Lb0EPKsPsPKlPlN2at6native12_GLOBAL__N_18offset_tEEE10hipError_tPvRmT1_PNSt15iterator_traitsISK_E10value_typeET2_T3_PNSL_ISQ_E10value_typeET4_jRbjT5_SW_jjP12ihipStream_tbEUlT_E1_NS1_11comp_targetILNS1_3genE9ELNS1_11target_archE1100ELNS1_3gpuE3ELNS1_3repE0EEENS1_59segmented_radix_sort_warp_sort_small_config_static_selectorELNS0_4arch9wavefront6targetE1EEEvSK_: ; @_ZN7rocprim17ROCPRIM_400000_NS6detail17trampoline_kernelINS0_14default_configENS1_36segmented_radix_sort_config_selectorIslEEZNS1_25segmented_radix_sort_implIS3_Lb0EPKsPsPKlPlN2at6native12_GLOBAL__N_18offset_tEEE10hipError_tPvRmT1_PNSt15iterator_traitsISK_E10value_typeET2_T3_PNSL_ISQ_E10value_typeET4_jRbjT5_SW_jjP12ihipStream_tbEUlT_E1_NS1_11comp_targetILNS1_3genE9ELNS1_11target_archE1100ELNS1_3gpuE3ELNS1_3repE0EEENS1_59segmented_radix_sort_warp_sort_small_config_static_selectorELNS0_4arch9wavefront6targetE1EEEvSK_
; %bb.0:
	.section	.rodata,"a",@progbits
	.p2align	6, 0x0
	.amdhsa_kernel _ZN7rocprim17ROCPRIM_400000_NS6detail17trampoline_kernelINS0_14default_configENS1_36segmented_radix_sort_config_selectorIslEEZNS1_25segmented_radix_sort_implIS3_Lb0EPKsPsPKlPlN2at6native12_GLOBAL__N_18offset_tEEE10hipError_tPvRmT1_PNSt15iterator_traitsISK_E10value_typeET2_T3_PNSL_ISQ_E10value_typeET4_jRbjT5_SW_jjP12ihipStream_tbEUlT_E1_NS1_11comp_targetILNS1_3genE9ELNS1_11target_archE1100ELNS1_3gpuE3ELNS1_3repE0EEENS1_59segmented_radix_sort_warp_sort_small_config_static_selectorELNS0_4arch9wavefront6targetE1EEEvSK_
		.amdhsa_group_segment_fixed_size 0
		.amdhsa_private_segment_fixed_size 0
		.amdhsa_kernarg_size 88
		.amdhsa_user_sgpr_count 6
		.amdhsa_user_sgpr_private_segment_buffer 1
		.amdhsa_user_sgpr_dispatch_ptr 0
		.amdhsa_user_sgpr_queue_ptr 0
		.amdhsa_user_sgpr_kernarg_segment_ptr 1
		.amdhsa_user_sgpr_dispatch_id 0
		.amdhsa_user_sgpr_flat_scratch_init 0
		.amdhsa_user_sgpr_kernarg_preload_length 0
		.amdhsa_user_sgpr_kernarg_preload_offset 0
		.amdhsa_user_sgpr_private_segment_size 0
		.amdhsa_uses_dynamic_stack 0
		.amdhsa_system_sgpr_private_segment_wavefront_offset 0
		.amdhsa_system_sgpr_workgroup_id_x 1
		.amdhsa_system_sgpr_workgroup_id_y 0
		.amdhsa_system_sgpr_workgroup_id_z 0
		.amdhsa_system_sgpr_workgroup_info 0
		.amdhsa_system_vgpr_workitem_id 0
		.amdhsa_next_free_vgpr 1
		.amdhsa_next_free_sgpr 0
		.amdhsa_accum_offset 4
		.amdhsa_reserve_vcc 0
		.amdhsa_reserve_flat_scratch 0
		.amdhsa_float_round_mode_32 0
		.amdhsa_float_round_mode_16_64 0
		.amdhsa_float_denorm_mode_32 3
		.amdhsa_float_denorm_mode_16_64 3
		.amdhsa_dx10_clamp 1
		.amdhsa_ieee_mode 1
		.amdhsa_fp16_overflow 0
		.amdhsa_tg_split 0
		.amdhsa_exception_fp_ieee_invalid_op 0
		.amdhsa_exception_fp_denorm_src 0
		.amdhsa_exception_fp_ieee_div_zero 0
		.amdhsa_exception_fp_ieee_overflow 0
		.amdhsa_exception_fp_ieee_underflow 0
		.amdhsa_exception_fp_ieee_inexact 0
		.amdhsa_exception_int_div_zero 0
	.end_amdhsa_kernel
	.section	.text._ZN7rocprim17ROCPRIM_400000_NS6detail17trampoline_kernelINS0_14default_configENS1_36segmented_radix_sort_config_selectorIslEEZNS1_25segmented_radix_sort_implIS3_Lb0EPKsPsPKlPlN2at6native12_GLOBAL__N_18offset_tEEE10hipError_tPvRmT1_PNSt15iterator_traitsISK_E10value_typeET2_T3_PNSL_ISQ_E10value_typeET4_jRbjT5_SW_jjP12ihipStream_tbEUlT_E1_NS1_11comp_targetILNS1_3genE9ELNS1_11target_archE1100ELNS1_3gpuE3ELNS1_3repE0EEENS1_59segmented_radix_sort_warp_sort_small_config_static_selectorELNS0_4arch9wavefront6targetE1EEEvSK_,"axG",@progbits,_ZN7rocprim17ROCPRIM_400000_NS6detail17trampoline_kernelINS0_14default_configENS1_36segmented_radix_sort_config_selectorIslEEZNS1_25segmented_radix_sort_implIS3_Lb0EPKsPsPKlPlN2at6native12_GLOBAL__N_18offset_tEEE10hipError_tPvRmT1_PNSt15iterator_traitsISK_E10value_typeET2_T3_PNSL_ISQ_E10value_typeET4_jRbjT5_SW_jjP12ihipStream_tbEUlT_E1_NS1_11comp_targetILNS1_3genE9ELNS1_11target_archE1100ELNS1_3gpuE3ELNS1_3repE0EEENS1_59segmented_radix_sort_warp_sort_small_config_static_selectorELNS0_4arch9wavefront6targetE1EEEvSK_,comdat
.Lfunc_end1040:
	.size	_ZN7rocprim17ROCPRIM_400000_NS6detail17trampoline_kernelINS0_14default_configENS1_36segmented_radix_sort_config_selectorIslEEZNS1_25segmented_radix_sort_implIS3_Lb0EPKsPsPKlPlN2at6native12_GLOBAL__N_18offset_tEEE10hipError_tPvRmT1_PNSt15iterator_traitsISK_E10value_typeET2_T3_PNSL_ISQ_E10value_typeET4_jRbjT5_SW_jjP12ihipStream_tbEUlT_E1_NS1_11comp_targetILNS1_3genE9ELNS1_11target_archE1100ELNS1_3gpuE3ELNS1_3repE0EEENS1_59segmented_radix_sort_warp_sort_small_config_static_selectorELNS0_4arch9wavefront6targetE1EEEvSK_, .Lfunc_end1040-_ZN7rocprim17ROCPRIM_400000_NS6detail17trampoline_kernelINS0_14default_configENS1_36segmented_radix_sort_config_selectorIslEEZNS1_25segmented_radix_sort_implIS3_Lb0EPKsPsPKlPlN2at6native12_GLOBAL__N_18offset_tEEE10hipError_tPvRmT1_PNSt15iterator_traitsISK_E10value_typeET2_T3_PNSL_ISQ_E10value_typeET4_jRbjT5_SW_jjP12ihipStream_tbEUlT_E1_NS1_11comp_targetILNS1_3genE9ELNS1_11target_archE1100ELNS1_3gpuE3ELNS1_3repE0EEENS1_59segmented_radix_sort_warp_sort_small_config_static_selectorELNS0_4arch9wavefront6targetE1EEEvSK_
                                        ; -- End function
	.section	.AMDGPU.csdata,"",@progbits
; Kernel info:
; codeLenInByte = 0
; NumSgprs: 4
; NumVgprs: 0
; NumAgprs: 0
; TotalNumVgprs: 0
; ScratchSize: 0
; MemoryBound: 0
; FloatMode: 240
; IeeeMode: 1
; LDSByteSize: 0 bytes/workgroup (compile time only)
; SGPRBlocks: 0
; VGPRBlocks: 0
; NumSGPRsForWavesPerEU: 4
; NumVGPRsForWavesPerEU: 1
; AccumOffset: 4
; Occupancy: 8
; WaveLimiterHint : 0
; COMPUTE_PGM_RSRC2:SCRATCH_EN: 0
; COMPUTE_PGM_RSRC2:USER_SGPR: 6
; COMPUTE_PGM_RSRC2:TRAP_HANDLER: 0
; COMPUTE_PGM_RSRC2:TGID_X_EN: 1
; COMPUTE_PGM_RSRC2:TGID_Y_EN: 0
; COMPUTE_PGM_RSRC2:TGID_Z_EN: 0
; COMPUTE_PGM_RSRC2:TIDIG_COMP_CNT: 0
; COMPUTE_PGM_RSRC3_GFX90A:ACCUM_OFFSET: 0
; COMPUTE_PGM_RSRC3_GFX90A:TG_SPLIT: 0
	.section	.text._ZN7rocprim17ROCPRIM_400000_NS6detail17trampoline_kernelINS0_14default_configENS1_36segmented_radix_sort_config_selectorIslEEZNS1_25segmented_radix_sort_implIS3_Lb0EPKsPsPKlPlN2at6native12_GLOBAL__N_18offset_tEEE10hipError_tPvRmT1_PNSt15iterator_traitsISK_E10value_typeET2_T3_PNSL_ISQ_E10value_typeET4_jRbjT5_SW_jjP12ihipStream_tbEUlT_E1_NS1_11comp_targetILNS1_3genE8ELNS1_11target_archE1030ELNS1_3gpuE2ELNS1_3repE0EEENS1_59segmented_radix_sort_warp_sort_small_config_static_selectorELNS0_4arch9wavefront6targetE1EEEvSK_,"axG",@progbits,_ZN7rocprim17ROCPRIM_400000_NS6detail17trampoline_kernelINS0_14default_configENS1_36segmented_radix_sort_config_selectorIslEEZNS1_25segmented_radix_sort_implIS3_Lb0EPKsPsPKlPlN2at6native12_GLOBAL__N_18offset_tEEE10hipError_tPvRmT1_PNSt15iterator_traitsISK_E10value_typeET2_T3_PNSL_ISQ_E10value_typeET4_jRbjT5_SW_jjP12ihipStream_tbEUlT_E1_NS1_11comp_targetILNS1_3genE8ELNS1_11target_archE1030ELNS1_3gpuE2ELNS1_3repE0EEENS1_59segmented_radix_sort_warp_sort_small_config_static_selectorELNS0_4arch9wavefront6targetE1EEEvSK_,comdat
	.globl	_ZN7rocprim17ROCPRIM_400000_NS6detail17trampoline_kernelINS0_14default_configENS1_36segmented_radix_sort_config_selectorIslEEZNS1_25segmented_radix_sort_implIS3_Lb0EPKsPsPKlPlN2at6native12_GLOBAL__N_18offset_tEEE10hipError_tPvRmT1_PNSt15iterator_traitsISK_E10value_typeET2_T3_PNSL_ISQ_E10value_typeET4_jRbjT5_SW_jjP12ihipStream_tbEUlT_E1_NS1_11comp_targetILNS1_3genE8ELNS1_11target_archE1030ELNS1_3gpuE2ELNS1_3repE0EEENS1_59segmented_radix_sort_warp_sort_small_config_static_selectorELNS0_4arch9wavefront6targetE1EEEvSK_ ; -- Begin function _ZN7rocprim17ROCPRIM_400000_NS6detail17trampoline_kernelINS0_14default_configENS1_36segmented_radix_sort_config_selectorIslEEZNS1_25segmented_radix_sort_implIS3_Lb0EPKsPsPKlPlN2at6native12_GLOBAL__N_18offset_tEEE10hipError_tPvRmT1_PNSt15iterator_traitsISK_E10value_typeET2_T3_PNSL_ISQ_E10value_typeET4_jRbjT5_SW_jjP12ihipStream_tbEUlT_E1_NS1_11comp_targetILNS1_3genE8ELNS1_11target_archE1030ELNS1_3gpuE2ELNS1_3repE0EEENS1_59segmented_radix_sort_warp_sort_small_config_static_selectorELNS0_4arch9wavefront6targetE1EEEvSK_
	.p2align	8
	.type	_ZN7rocprim17ROCPRIM_400000_NS6detail17trampoline_kernelINS0_14default_configENS1_36segmented_radix_sort_config_selectorIslEEZNS1_25segmented_radix_sort_implIS3_Lb0EPKsPsPKlPlN2at6native12_GLOBAL__N_18offset_tEEE10hipError_tPvRmT1_PNSt15iterator_traitsISK_E10value_typeET2_T3_PNSL_ISQ_E10value_typeET4_jRbjT5_SW_jjP12ihipStream_tbEUlT_E1_NS1_11comp_targetILNS1_3genE8ELNS1_11target_archE1030ELNS1_3gpuE2ELNS1_3repE0EEENS1_59segmented_radix_sort_warp_sort_small_config_static_selectorELNS0_4arch9wavefront6targetE1EEEvSK_,@function
_ZN7rocprim17ROCPRIM_400000_NS6detail17trampoline_kernelINS0_14default_configENS1_36segmented_radix_sort_config_selectorIslEEZNS1_25segmented_radix_sort_implIS3_Lb0EPKsPsPKlPlN2at6native12_GLOBAL__N_18offset_tEEE10hipError_tPvRmT1_PNSt15iterator_traitsISK_E10value_typeET2_T3_PNSL_ISQ_E10value_typeET4_jRbjT5_SW_jjP12ihipStream_tbEUlT_E1_NS1_11comp_targetILNS1_3genE8ELNS1_11target_archE1030ELNS1_3gpuE2ELNS1_3repE0EEENS1_59segmented_radix_sort_warp_sort_small_config_static_selectorELNS0_4arch9wavefront6targetE1EEEvSK_: ; @_ZN7rocprim17ROCPRIM_400000_NS6detail17trampoline_kernelINS0_14default_configENS1_36segmented_radix_sort_config_selectorIslEEZNS1_25segmented_radix_sort_implIS3_Lb0EPKsPsPKlPlN2at6native12_GLOBAL__N_18offset_tEEE10hipError_tPvRmT1_PNSt15iterator_traitsISK_E10value_typeET2_T3_PNSL_ISQ_E10value_typeET4_jRbjT5_SW_jjP12ihipStream_tbEUlT_E1_NS1_11comp_targetILNS1_3genE8ELNS1_11target_archE1030ELNS1_3gpuE2ELNS1_3repE0EEENS1_59segmented_radix_sort_warp_sort_small_config_static_selectorELNS0_4arch9wavefront6targetE1EEEvSK_
; %bb.0:
	.section	.rodata,"a",@progbits
	.p2align	6, 0x0
	.amdhsa_kernel _ZN7rocprim17ROCPRIM_400000_NS6detail17trampoline_kernelINS0_14default_configENS1_36segmented_radix_sort_config_selectorIslEEZNS1_25segmented_radix_sort_implIS3_Lb0EPKsPsPKlPlN2at6native12_GLOBAL__N_18offset_tEEE10hipError_tPvRmT1_PNSt15iterator_traitsISK_E10value_typeET2_T3_PNSL_ISQ_E10value_typeET4_jRbjT5_SW_jjP12ihipStream_tbEUlT_E1_NS1_11comp_targetILNS1_3genE8ELNS1_11target_archE1030ELNS1_3gpuE2ELNS1_3repE0EEENS1_59segmented_radix_sort_warp_sort_small_config_static_selectorELNS0_4arch9wavefront6targetE1EEEvSK_
		.amdhsa_group_segment_fixed_size 0
		.amdhsa_private_segment_fixed_size 0
		.amdhsa_kernarg_size 88
		.amdhsa_user_sgpr_count 6
		.amdhsa_user_sgpr_private_segment_buffer 1
		.amdhsa_user_sgpr_dispatch_ptr 0
		.amdhsa_user_sgpr_queue_ptr 0
		.amdhsa_user_sgpr_kernarg_segment_ptr 1
		.amdhsa_user_sgpr_dispatch_id 0
		.amdhsa_user_sgpr_flat_scratch_init 0
		.amdhsa_user_sgpr_kernarg_preload_length 0
		.amdhsa_user_sgpr_kernarg_preload_offset 0
		.amdhsa_user_sgpr_private_segment_size 0
		.amdhsa_uses_dynamic_stack 0
		.amdhsa_system_sgpr_private_segment_wavefront_offset 0
		.amdhsa_system_sgpr_workgroup_id_x 1
		.amdhsa_system_sgpr_workgroup_id_y 0
		.amdhsa_system_sgpr_workgroup_id_z 0
		.amdhsa_system_sgpr_workgroup_info 0
		.amdhsa_system_vgpr_workitem_id 0
		.amdhsa_next_free_vgpr 1
		.amdhsa_next_free_sgpr 0
		.amdhsa_accum_offset 4
		.amdhsa_reserve_vcc 0
		.amdhsa_reserve_flat_scratch 0
		.amdhsa_float_round_mode_32 0
		.amdhsa_float_round_mode_16_64 0
		.amdhsa_float_denorm_mode_32 3
		.amdhsa_float_denorm_mode_16_64 3
		.amdhsa_dx10_clamp 1
		.amdhsa_ieee_mode 1
		.amdhsa_fp16_overflow 0
		.amdhsa_tg_split 0
		.amdhsa_exception_fp_ieee_invalid_op 0
		.amdhsa_exception_fp_denorm_src 0
		.amdhsa_exception_fp_ieee_div_zero 0
		.amdhsa_exception_fp_ieee_overflow 0
		.amdhsa_exception_fp_ieee_underflow 0
		.amdhsa_exception_fp_ieee_inexact 0
		.amdhsa_exception_int_div_zero 0
	.end_amdhsa_kernel
	.section	.text._ZN7rocprim17ROCPRIM_400000_NS6detail17trampoline_kernelINS0_14default_configENS1_36segmented_radix_sort_config_selectorIslEEZNS1_25segmented_radix_sort_implIS3_Lb0EPKsPsPKlPlN2at6native12_GLOBAL__N_18offset_tEEE10hipError_tPvRmT1_PNSt15iterator_traitsISK_E10value_typeET2_T3_PNSL_ISQ_E10value_typeET4_jRbjT5_SW_jjP12ihipStream_tbEUlT_E1_NS1_11comp_targetILNS1_3genE8ELNS1_11target_archE1030ELNS1_3gpuE2ELNS1_3repE0EEENS1_59segmented_radix_sort_warp_sort_small_config_static_selectorELNS0_4arch9wavefront6targetE1EEEvSK_,"axG",@progbits,_ZN7rocprim17ROCPRIM_400000_NS6detail17trampoline_kernelINS0_14default_configENS1_36segmented_radix_sort_config_selectorIslEEZNS1_25segmented_radix_sort_implIS3_Lb0EPKsPsPKlPlN2at6native12_GLOBAL__N_18offset_tEEE10hipError_tPvRmT1_PNSt15iterator_traitsISK_E10value_typeET2_T3_PNSL_ISQ_E10value_typeET4_jRbjT5_SW_jjP12ihipStream_tbEUlT_E1_NS1_11comp_targetILNS1_3genE8ELNS1_11target_archE1030ELNS1_3gpuE2ELNS1_3repE0EEENS1_59segmented_radix_sort_warp_sort_small_config_static_selectorELNS0_4arch9wavefront6targetE1EEEvSK_,comdat
.Lfunc_end1041:
	.size	_ZN7rocprim17ROCPRIM_400000_NS6detail17trampoline_kernelINS0_14default_configENS1_36segmented_radix_sort_config_selectorIslEEZNS1_25segmented_radix_sort_implIS3_Lb0EPKsPsPKlPlN2at6native12_GLOBAL__N_18offset_tEEE10hipError_tPvRmT1_PNSt15iterator_traitsISK_E10value_typeET2_T3_PNSL_ISQ_E10value_typeET4_jRbjT5_SW_jjP12ihipStream_tbEUlT_E1_NS1_11comp_targetILNS1_3genE8ELNS1_11target_archE1030ELNS1_3gpuE2ELNS1_3repE0EEENS1_59segmented_radix_sort_warp_sort_small_config_static_selectorELNS0_4arch9wavefront6targetE1EEEvSK_, .Lfunc_end1041-_ZN7rocprim17ROCPRIM_400000_NS6detail17trampoline_kernelINS0_14default_configENS1_36segmented_radix_sort_config_selectorIslEEZNS1_25segmented_radix_sort_implIS3_Lb0EPKsPsPKlPlN2at6native12_GLOBAL__N_18offset_tEEE10hipError_tPvRmT1_PNSt15iterator_traitsISK_E10value_typeET2_T3_PNSL_ISQ_E10value_typeET4_jRbjT5_SW_jjP12ihipStream_tbEUlT_E1_NS1_11comp_targetILNS1_3genE8ELNS1_11target_archE1030ELNS1_3gpuE2ELNS1_3repE0EEENS1_59segmented_radix_sort_warp_sort_small_config_static_selectorELNS0_4arch9wavefront6targetE1EEEvSK_
                                        ; -- End function
	.section	.AMDGPU.csdata,"",@progbits
; Kernel info:
; codeLenInByte = 0
; NumSgprs: 4
; NumVgprs: 0
; NumAgprs: 0
; TotalNumVgprs: 0
; ScratchSize: 0
; MemoryBound: 0
; FloatMode: 240
; IeeeMode: 1
; LDSByteSize: 0 bytes/workgroup (compile time only)
; SGPRBlocks: 0
; VGPRBlocks: 0
; NumSGPRsForWavesPerEU: 4
; NumVGPRsForWavesPerEU: 1
; AccumOffset: 4
; Occupancy: 8
; WaveLimiterHint : 0
; COMPUTE_PGM_RSRC2:SCRATCH_EN: 0
; COMPUTE_PGM_RSRC2:USER_SGPR: 6
; COMPUTE_PGM_RSRC2:TRAP_HANDLER: 0
; COMPUTE_PGM_RSRC2:TGID_X_EN: 1
; COMPUTE_PGM_RSRC2:TGID_Y_EN: 0
; COMPUTE_PGM_RSRC2:TGID_Z_EN: 0
; COMPUTE_PGM_RSRC2:TIDIG_COMP_CNT: 0
; COMPUTE_PGM_RSRC3_GFX90A:ACCUM_OFFSET: 0
; COMPUTE_PGM_RSRC3_GFX90A:TG_SPLIT: 0
	.section	.text._ZN7rocprim17ROCPRIM_400000_NS6detail17trampoline_kernelINS0_14default_configENS1_36segmented_radix_sort_config_selectorIslEEZNS1_25segmented_radix_sort_implIS3_Lb0EPKsPsPKlPlN2at6native12_GLOBAL__N_18offset_tEEE10hipError_tPvRmT1_PNSt15iterator_traitsISK_E10value_typeET2_T3_PNSL_ISQ_E10value_typeET4_jRbjT5_SW_jjP12ihipStream_tbEUlT_E2_NS1_11comp_targetILNS1_3genE0ELNS1_11target_archE4294967295ELNS1_3gpuE0ELNS1_3repE0EEENS1_30default_config_static_selectorELNS0_4arch9wavefront6targetE1EEEvSK_,"axG",@progbits,_ZN7rocprim17ROCPRIM_400000_NS6detail17trampoline_kernelINS0_14default_configENS1_36segmented_radix_sort_config_selectorIslEEZNS1_25segmented_radix_sort_implIS3_Lb0EPKsPsPKlPlN2at6native12_GLOBAL__N_18offset_tEEE10hipError_tPvRmT1_PNSt15iterator_traitsISK_E10value_typeET2_T3_PNSL_ISQ_E10value_typeET4_jRbjT5_SW_jjP12ihipStream_tbEUlT_E2_NS1_11comp_targetILNS1_3genE0ELNS1_11target_archE4294967295ELNS1_3gpuE0ELNS1_3repE0EEENS1_30default_config_static_selectorELNS0_4arch9wavefront6targetE1EEEvSK_,comdat
	.globl	_ZN7rocprim17ROCPRIM_400000_NS6detail17trampoline_kernelINS0_14default_configENS1_36segmented_radix_sort_config_selectorIslEEZNS1_25segmented_radix_sort_implIS3_Lb0EPKsPsPKlPlN2at6native12_GLOBAL__N_18offset_tEEE10hipError_tPvRmT1_PNSt15iterator_traitsISK_E10value_typeET2_T3_PNSL_ISQ_E10value_typeET4_jRbjT5_SW_jjP12ihipStream_tbEUlT_E2_NS1_11comp_targetILNS1_3genE0ELNS1_11target_archE4294967295ELNS1_3gpuE0ELNS1_3repE0EEENS1_30default_config_static_selectorELNS0_4arch9wavefront6targetE1EEEvSK_ ; -- Begin function _ZN7rocprim17ROCPRIM_400000_NS6detail17trampoline_kernelINS0_14default_configENS1_36segmented_radix_sort_config_selectorIslEEZNS1_25segmented_radix_sort_implIS3_Lb0EPKsPsPKlPlN2at6native12_GLOBAL__N_18offset_tEEE10hipError_tPvRmT1_PNSt15iterator_traitsISK_E10value_typeET2_T3_PNSL_ISQ_E10value_typeET4_jRbjT5_SW_jjP12ihipStream_tbEUlT_E2_NS1_11comp_targetILNS1_3genE0ELNS1_11target_archE4294967295ELNS1_3gpuE0ELNS1_3repE0EEENS1_30default_config_static_selectorELNS0_4arch9wavefront6targetE1EEEvSK_
	.p2align	8
	.type	_ZN7rocprim17ROCPRIM_400000_NS6detail17trampoline_kernelINS0_14default_configENS1_36segmented_radix_sort_config_selectorIslEEZNS1_25segmented_radix_sort_implIS3_Lb0EPKsPsPKlPlN2at6native12_GLOBAL__N_18offset_tEEE10hipError_tPvRmT1_PNSt15iterator_traitsISK_E10value_typeET2_T3_PNSL_ISQ_E10value_typeET4_jRbjT5_SW_jjP12ihipStream_tbEUlT_E2_NS1_11comp_targetILNS1_3genE0ELNS1_11target_archE4294967295ELNS1_3gpuE0ELNS1_3repE0EEENS1_30default_config_static_selectorELNS0_4arch9wavefront6targetE1EEEvSK_,@function
_ZN7rocprim17ROCPRIM_400000_NS6detail17trampoline_kernelINS0_14default_configENS1_36segmented_radix_sort_config_selectorIslEEZNS1_25segmented_radix_sort_implIS3_Lb0EPKsPsPKlPlN2at6native12_GLOBAL__N_18offset_tEEE10hipError_tPvRmT1_PNSt15iterator_traitsISK_E10value_typeET2_T3_PNSL_ISQ_E10value_typeET4_jRbjT5_SW_jjP12ihipStream_tbEUlT_E2_NS1_11comp_targetILNS1_3genE0ELNS1_11target_archE4294967295ELNS1_3gpuE0ELNS1_3repE0EEENS1_30default_config_static_selectorELNS0_4arch9wavefront6targetE1EEEvSK_: ; @_ZN7rocprim17ROCPRIM_400000_NS6detail17trampoline_kernelINS0_14default_configENS1_36segmented_radix_sort_config_selectorIslEEZNS1_25segmented_radix_sort_implIS3_Lb0EPKsPsPKlPlN2at6native12_GLOBAL__N_18offset_tEEE10hipError_tPvRmT1_PNSt15iterator_traitsISK_E10value_typeET2_T3_PNSL_ISQ_E10value_typeET4_jRbjT5_SW_jjP12ihipStream_tbEUlT_E2_NS1_11comp_targetILNS1_3genE0ELNS1_11target_archE4294967295ELNS1_3gpuE0ELNS1_3repE0EEENS1_30default_config_static_selectorELNS0_4arch9wavefront6targetE1EEEvSK_
; %bb.0:
	.section	.rodata,"a",@progbits
	.p2align	6, 0x0
	.amdhsa_kernel _ZN7rocprim17ROCPRIM_400000_NS6detail17trampoline_kernelINS0_14default_configENS1_36segmented_radix_sort_config_selectorIslEEZNS1_25segmented_radix_sort_implIS3_Lb0EPKsPsPKlPlN2at6native12_GLOBAL__N_18offset_tEEE10hipError_tPvRmT1_PNSt15iterator_traitsISK_E10value_typeET2_T3_PNSL_ISQ_E10value_typeET4_jRbjT5_SW_jjP12ihipStream_tbEUlT_E2_NS1_11comp_targetILNS1_3genE0ELNS1_11target_archE4294967295ELNS1_3gpuE0ELNS1_3repE0EEENS1_30default_config_static_selectorELNS0_4arch9wavefront6targetE1EEEvSK_
		.amdhsa_group_segment_fixed_size 0
		.amdhsa_private_segment_fixed_size 0
		.amdhsa_kernarg_size 80
		.amdhsa_user_sgpr_count 6
		.amdhsa_user_sgpr_private_segment_buffer 1
		.amdhsa_user_sgpr_dispatch_ptr 0
		.amdhsa_user_sgpr_queue_ptr 0
		.amdhsa_user_sgpr_kernarg_segment_ptr 1
		.amdhsa_user_sgpr_dispatch_id 0
		.amdhsa_user_sgpr_flat_scratch_init 0
		.amdhsa_user_sgpr_kernarg_preload_length 0
		.amdhsa_user_sgpr_kernarg_preload_offset 0
		.amdhsa_user_sgpr_private_segment_size 0
		.amdhsa_uses_dynamic_stack 0
		.amdhsa_system_sgpr_private_segment_wavefront_offset 0
		.amdhsa_system_sgpr_workgroup_id_x 1
		.amdhsa_system_sgpr_workgroup_id_y 0
		.amdhsa_system_sgpr_workgroup_id_z 0
		.amdhsa_system_sgpr_workgroup_info 0
		.amdhsa_system_vgpr_workitem_id 0
		.amdhsa_next_free_vgpr 1
		.amdhsa_next_free_sgpr 0
		.amdhsa_accum_offset 4
		.amdhsa_reserve_vcc 0
		.amdhsa_reserve_flat_scratch 0
		.amdhsa_float_round_mode_32 0
		.amdhsa_float_round_mode_16_64 0
		.amdhsa_float_denorm_mode_32 3
		.amdhsa_float_denorm_mode_16_64 3
		.amdhsa_dx10_clamp 1
		.amdhsa_ieee_mode 1
		.amdhsa_fp16_overflow 0
		.amdhsa_tg_split 0
		.amdhsa_exception_fp_ieee_invalid_op 0
		.amdhsa_exception_fp_denorm_src 0
		.amdhsa_exception_fp_ieee_div_zero 0
		.amdhsa_exception_fp_ieee_overflow 0
		.amdhsa_exception_fp_ieee_underflow 0
		.amdhsa_exception_fp_ieee_inexact 0
		.amdhsa_exception_int_div_zero 0
	.end_amdhsa_kernel
	.section	.text._ZN7rocprim17ROCPRIM_400000_NS6detail17trampoline_kernelINS0_14default_configENS1_36segmented_radix_sort_config_selectorIslEEZNS1_25segmented_radix_sort_implIS3_Lb0EPKsPsPKlPlN2at6native12_GLOBAL__N_18offset_tEEE10hipError_tPvRmT1_PNSt15iterator_traitsISK_E10value_typeET2_T3_PNSL_ISQ_E10value_typeET4_jRbjT5_SW_jjP12ihipStream_tbEUlT_E2_NS1_11comp_targetILNS1_3genE0ELNS1_11target_archE4294967295ELNS1_3gpuE0ELNS1_3repE0EEENS1_30default_config_static_selectorELNS0_4arch9wavefront6targetE1EEEvSK_,"axG",@progbits,_ZN7rocprim17ROCPRIM_400000_NS6detail17trampoline_kernelINS0_14default_configENS1_36segmented_radix_sort_config_selectorIslEEZNS1_25segmented_radix_sort_implIS3_Lb0EPKsPsPKlPlN2at6native12_GLOBAL__N_18offset_tEEE10hipError_tPvRmT1_PNSt15iterator_traitsISK_E10value_typeET2_T3_PNSL_ISQ_E10value_typeET4_jRbjT5_SW_jjP12ihipStream_tbEUlT_E2_NS1_11comp_targetILNS1_3genE0ELNS1_11target_archE4294967295ELNS1_3gpuE0ELNS1_3repE0EEENS1_30default_config_static_selectorELNS0_4arch9wavefront6targetE1EEEvSK_,comdat
.Lfunc_end1042:
	.size	_ZN7rocprim17ROCPRIM_400000_NS6detail17trampoline_kernelINS0_14default_configENS1_36segmented_radix_sort_config_selectorIslEEZNS1_25segmented_radix_sort_implIS3_Lb0EPKsPsPKlPlN2at6native12_GLOBAL__N_18offset_tEEE10hipError_tPvRmT1_PNSt15iterator_traitsISK_E10value_typeET2_T3_PNSL_ISQ_E10value_typeET4_jRbjT5_SW_jjP12ihipStream_tbEUlT_E2_NS1_11comp_targetILNS1_3genE0ELNS1_11target_archE4294967295ELNS1_3gpuE0ELNS1_3repE0EEENS1_30default_config_static_selectorELNS0_4arch9wavefront6targetE1EEEvSK_, .Lfunc_end1042-_ZN7rocprim17ROCPRIM_400000_NS6detail17trampoline_kernelINS0_14default_configENS1_36segmented_radix_sort_config_selectorIslEEZNS1_25segmented_radix_sort_implIS3_Lb0EPKsPsPKlPlN2at6native12_GLOBAL__N_18offset_tEEE10hipError_tPvRmT1_PNSt15iterator_traitsISK_E10value_typeET2_T3_PNSL_ISQ_E10value_typeET4_jRbjT5_SW_jjP12ihipStream_tbEUlT_E2_NS1_11comp_targetILNS1_3genE0ELNS1_11target_archE4294967295ELNS1_3gpuE0ELNS1_3repE0EEENS1_30default_config_static_selectorELNS0_4arch9wavefront6targetE1EEEvSK_
                                        ; -- End function
	.section	.AMDGPU.csdata,"",@progbits
; Kernel info:
; codeLenInByte = 0
; NumSgprs: 4
; NumVgprs: 0
; NumAgprs: 0
; TotalNumVgprs: 0
; ScratchSize: 0
; MemoryBound: 0
; FloatMode: 240
; IeeeMode: 1
; LDSByteSize: 0 bytes/workgroup (compile time only)
; SGPRBlocks: 0
; VGPRBlocks: 0
; NumSGPRsForWavesPerEU: 4
; NumVGPRsForWavesPerEU: 1
; AccumOffset: 4
; Occupancy: 8
; WaveLimiterHint : 0
; COMPUTE_PGM_RSRC2:SCRATCH_EN: 0
; COMPUTE_PGM_RSRC2:USER_SGPR: 6
; COMPUTE_PGM_RSRC2:TRAP_HANDLER: 0
; COMPUTE_PGM_RSRC2:TGID_X_EN: 1
; COMPUTE_PGM_RSRC2:TGID_Y_EN: 0
; COMPUTE_PGM_RSRC2:TGID_Z_EN: 0
; COMPUTE_PGM_RSRC2:TIDIG_COMP_CNT: 0
; COMPUTE_PGM_RSRC3_GFX90A:ACCUM_OFFSET: 0
; COMPUTE_PGM_RSRC3_GFX90A:TG_SPLIT: 0
	.section	.text._ZN7rocprim17ROCPRIM_400000_NS6detail17trampoline_kernelINS0_14default_configENS1_36segmented_radix_sort_config_selectorIslEEZNS1_25segmented_radix_sort_implIS3_Lb0EPKsPsPKlPlN2at6native12_GLOBAL__N_18offset_tEEE10hipError_tPvRmT1_PNSt15iterator_traitsISK_E10value_typeET2_T3_PNSL_ISQ_E10value_typeET4_jRbjT5_SW_jjP12ihipStream_tbEUlT_E2_NS1_11comp_targetILNS1_3genE5ELNS1_11target_archE942ELNS1_3gpuE9ELNS1_3repE0EEENS1_30default_config_static_selectorELNS0_4arch9wavefront6targetE1EEEvSK_,"axG",@progbits,_ZN7rocprim17ROCPRIM_400000_NS6detail17trampoline_kernelINS0_14default_configENS1_36segmented_radix_sort_config_selectorIslEEZNS1_25segmented_radix_sort_implIS3_Lb0EPKsPsPKlPlN2at6native12_GLOBAL__N_18offset_tEEE10hipError_tPvRmT1_PNSt15iterator_traitsISK_E10value_typeET2_T3_PNSL_ISQ_E10value_typeET4_jRbjT5_SW_jjP12ihipStream_tbEUlT_E2_NS1_11comp_targetILNS1_3genE5ELNS1_11target_archE942ELNS1_3gpuE9ELNS1_3repE0EEENS1_30default_config_static_selectorELNS0_4arch9wavefront6targetE1EEEvSK_,comdat
	.globl	_ZN7rocprim17ROCPRIM_400000_NS6detail17trampoline_kernelINS0_14default_configENS1_36segmented_radix_sort_config_selectorIslEEZNS1_25segmented_radix_sort_implIS3_Lb0EPKsPsPKlPlN2at6native12_GLOBAL__N_18offset_tEEE10hipError_tPvRmT1_PNSt15iterator_traitsISK_E10value_typeET2_T3_PNSL_ISQ_E10value_typeET4_jRbjT5_SW_jjP12ihipStream_tbEUlT_E2_NS1_11comp_targetILNS1_3genE5ELNS1_11target_archE942ELNS1_3gpuE9ELNS1_3repE0EEENS1_30default_config_static_selectorELNS0_4arch9wavefront6targetE1EEEvSK_ ; -- Begin function _ZN7rocprim17ROCPRIM_400000_NS6detail17trampoline_kernelINS0_14default_configENS1_36segmented_radix_sort_config_selectorIslEEZNS1_25segmented_radix_sort_implIS3_Lb0EPKsPsPKlPlN2at6native12_GLOBAL__N_18offset_tEEE10hipError_tPvRmT1_PNSt15iterator_traitsISK_E10value_typeET2_T3_PNSL_ISQ_E10value_typeET4_jRbjT5_SW_jjP12ihipStream_tbEUlT_E2_NS1_11comp_targetILNS1_3genE5ELNS1_11target_archE942ELNS1_3gpuE9ELNS1_3repE0EEENS1_30default_config_static_selectorELNS0_4arch9wavefront6targetE1EEEvSK_
	.p2align	8
	.type	_ZN7rocprim17ROCPRIM_400000_NS6detail17trampoline_kernelINS0_14default_configENS1_36segmented_radix_sort_config_selectorIslEEZNS1_25segmented_radix_sort_implIS3_Lb0EPKsPsPKlPlN2at6native12_GLOBAL__N_18offset_tEEE10hipError_tPvRmT1_PNSt15iterator_traitsISK_E10value_typeET2_T3_PNSL_ISQ_E10value_typeET4_jRbjT5_SW_jjP12ihipStream_tbEUlT_E2_NS1_11comp_targetILNS1_3genE5ELNS1_11target_archE942ELNS1_3gpuE9ELNS1_3repE0EEENS1_30default_config_static_selectorELNS0_4arch9wavefront6targetE1EEEvSK_,@function
_ZN7rocprim17ROCPRIM_400000_NS6detail17trampoline_kernelINS0_14default_configENS1_36segmented_radix_sort_config_selectorIslEEZNS1_25segmented_radix_sort_implIS3_Lb0EPKsPsPKlPlN2at6native12_GLOBAL__N_18offset_tEEE10hipError_tPvRmT1_PNSt15iterator_traitsISK_E10value_typeET2_T3_PNSL_ISQ_E10value_typeET4_jRbjT5_SW_jjP12ihipStream_tbEUlT_E2_NS1_11comp_targetILNS1_3genE5ELNS1_11target_archE942ELNS1_3gpuE9ELNS1_3repE0EEENS1_30default_config_static_selectorELNS0_4arch9wavefront6targetE1EEEvSK_: ; @_ZN7rocprim17ROCPRIM_400000_NS6detail17trampoline_kernelINS0_14default_configENS1_36segmented_radix_sort_config_selectorIslEEZNS1_25segmented_radix_sort_implIS3_Lb0EPKsPsPKlPlN2at6native12_GLOBAL__N_18offset_tEEE10hipError_tPvRmT1_PNSt15iterator_traitsISK_E10value_typeET2_T3_PNSL_ISQ_E10value_typeET4_jRbjT5_SW_jjP12ihipStream_tbEUlT_E2_NS1_11comp_targetILNS1_3genE5ELNS1_11target_archE942ELNS1_3gpuE9ELNS1_3repE0EEENS1_30default_config_static_selectorELNS0_4arch9wavefront6targetE1EEEvSK_
; %bb.0:
	.section	.rodata,"a",@progbits
	.p2align	6, 0x0
	.amdhsa_kernel _ZN7rocprim17ROCPRIM_400000_NS6detail17trampoline_kernelINS0_14default_configENS1_36segmented_radix_sort_config_selectorIslEEZNS1_25segmented_radix_sort_implIS3_Lb0EPKsPsPKlPlN2at6native12_GLOBAL__N_18offset_tEEE10hipError_tPvRmT1_PNSt15iterator_traitsISK_E10value_typeET2_T3_PNSL_ISQ_E10value_typeET4_jRbjT5_SW_jjP12ihipStream_tbEUlT_E2_NS1_11comp_targetILNS1_3genE5ELNS1_11target_archE942ELNS1_3gpuE9ELNS1_3repE0EEENS1_30default_config_static_selectorELNS0_4arch9wavefront6targetE1EEEvSK_
		.amdhsa_group_segment_fixed_size 0
		.amdhsa_private_segment_fixed_size 0
		.amdhsa_kernarg_size 80
		.amdhsa_user_sgpr_count 6
		.amdhsa_user_sgpr_private_segment_buffer 1
		.amdhsa_user_sgpr_dispatch_ptr 0
		.amdhsa_user_sgpr_queue_ptr 0
		.amdhsa_user_sgpr_kernarg_segment_ptr 1
		.amdhsa_user_sgpr_dispatch_id 0
		.amdhsa_user_sgpr_flat_scratch_init 0
		.amdhsa_user_sgpr_kernarg_preload_length 0
		.amdhsa_user_sgpr_kernarg_preload_offset 0
		.amdhsa_user_sgpr_private_segment_size 0
		.amdhsa_uses_dynamic_stack 0
		.amdhsa_system_sgpr_private_segment_wavefront_offset 0
		.amdhsa_system_sgpr_workgroup_id_x 1
		.amdhsa_system_sgpr_workgroup_id_y 0
		.amdhsa_system_sgpr_workgroup_id_z 0
		.amdhsa_system_sgpr_workgroup_info 0
		.amdhsa_system_vgpr_workitem_id 0
		.amdhsa_next_free_vgpr 1
		.amdhsa_next_free_sgpr 0
		.amdhsa_accum_offset 4
		.amdhsa_reserve_vcc 0
		.amdhsa_reserve_flat_scratch 0
		.amdhsa_float_round_mode_32 0
		.amdhsa_float_round_mode_16_64 0
		.amdhsa_float_denorm_mode_32 3
		.amdhsa_float_denorm_mode_16_64 3
		.amdhsa_dx10_clamp 1
		.amdhsa_ieee_mode 1
		.amdhsa_fp16_overflow 0
		.amdhsa_tg_split 0
		.amdhsa_exception_fp_ieee_invalid_op 0
		.amdhsa_exception_fp_denorm_src 0
		.amdhsa_exception_fp_ieee_div_zero 0
		.amdhsa_exception_fp_ieee_overflow 0
		.amdhsa_exception_fp_ieee_underflow 0
		.amdhsa_exception_fp_ieee_inexact 0
		.amdhsa_exception_int_div_zero 0
	.end_amdhsa_kernel
	.section	.text._ZN7rocprim17ROCPRIM_400000_NS6detail17trampoline_kernelINS0_14default_configENS1_36segmented_radix_sort_config_selectorIslEEZNS1_25segmented_radix_sort_implIS3_Lb0EPKsPsPKlPlN2at6native12_GLOBAL__N_18offset_tEEE10hipError_tPvRmT1_PNSt15iterator_traitsISK_E10value_typeET2_T3_PNSL_ISQ_E10value_typeET4_jRbjT5_SW_jjP12ihipStream_tbEUlT_E2_NS1_11comp_targetILNS1_3genE5ELNS1_11target_archE942ELNS1_3gpuE9ELNS1_3repE0EEENS1_30default_config_static_selectorELNS0_4arch9wavefront6targetE1EEEvSK_,"axG",@progbits,_ZN7rocprim17ROCPRIM_400000_NS6detail17trampoline_kernelINS0_14default_configENS1_36segmented_radix_sort_config_selectorIslEEZNS1_25segmented_radix_sort_implIS3_Lb0EPKsPsPKlPlN2at6native12_GLOBAL__N_18offset_tEEE10hipError_tPvRmT1_PNSt15iterator_traitsISK_E10value_typeET2_T3_PNSL_ISQ_E10value_typeET4_jRbjT5_SW_jjP12ihipStream_tbEUlT_E2_NS1_11comp_targetILNS1_3genE5ELNS1_11target_archE942ELNS1_3gpuE9ELNS1_3repE0EEENS1_30default_config_static_selectorELNS0_4arch9wavefront6targetE1EEEvSK_,comdat
.Lfunc_end1043:
	.size	_ZN7rocprim17ROCPRIM_400000_NS6detail17trampoline_kernelINS0_14default_configENS1_36segmented_radix_sort_config_selectorIslEEZNS1_25segmented_radix_sort_implIS3_Lb0EPKsPsPKlPlN2at6native12_GLOBAL__N_18offset_tEEE10hipError_tPvRmT1_PNSt15iterator_traitsISK_E10value_typeET2_T3_PNSL_ISQ_E10value_typeET4_jRbjT5_SW_jjP12ihipStream_tbEUlT_E2_NS1_11comp_targetILNS1_3genE5ELNS1_11target_archE942ELNS1_3gpuE9ELNS1_3repE0EEENS1_30default_config_static_selectorELNS0_4arch9wavefront6targetE1EEEvSK_, .Lfunc_end1043-_ZN7rocprim17ROCPRIM_400000_NS6detail17trampoline_kernelINS0_14default_configENS1_36segmented_radix_sort_config_selectorIslEEZNS1_25segmented_radix_sort_implIS3_Lb0EPKsPsPKlPlN2at6native12_GLOBAL__N_18offset_tEEE10hipError_tPvRmT1_PNSt15iterator_traitsISK_E10value_typeET2_T3_PNSL_ISQ_E10value_typeET4_jRbjT5_SW_jjP12ihipStream_tbEUlT_E2_NS1_11comp_targetILNS1_3genE5ELNS1_11target_archE942ELNS1_3gpuE9ELNS1_3repE0EEENS1_30default_config_static_selectorELNS0_4arch9wavefront6targetE1EEEvSK_
                                        ; -- End function
	.section	.AMDGPU.csdata,"",@progbits
; Kernel info:
; codeLenInByte = 0
; NumSgprs: 4
; NumVgprs: 0
; NumAgprs: 0
; TotalNumVgprs: 0
; ScratchSize: 0
; MemoryBound: 0
; FloatMode: 240
; IeeeMode: 1
; LDSByteSize: 0 bytes/workgroup (compile time only)
; SGPRBlocks: 0
; VGPRBlocks: 0
; NumSGPRsForWavesPerEU: 4
; NumVGPRsForWavesPerEU: 1
; AccumOffset: 4
; Occupancy: 8
; WaveLimiterHint : 0
; COMPUTE_PGM_RSRC2:SCRATCH_EN: 0
; COMPUTE_PGM_RSRC2:USER_SGPR: 6
; COMPUTE_PGM_RSRC2:TRAP_HANDLER: 0
; COMPUTE_PGM_RSRC2:TGID_X_EN: 1
; COMPUTE_PGM_RSRC2:TGID_Y_EN: 0
; COMPUTE_PGM_RSRC2:TGID_Z_EN: 0
; COMPUTE_PGM_RSRC2:TIDIG_COMP_CNT: 0
; COMPUTE_PGM_RSRC3_GFX90A:ACCUM_OFFSET: 0
; COMPUTE_PGM_RSRC3_GFX90A:TG_SPLIT: 0
	.section	.text._ZN7rocprim17ROCPRIM_400000_NS6detail17trampoline_kernelINS0_14default_configENS1_36segmented_radix_sort_config_selectorIslEEZNS1_25segmented_radix_sort_implIS3_Lb0EPKsPsPKlPlN2at6native12_GLOBAL__N_18offset_tEEE10hipError_tPvRmT1_PNSt15iterator_traitsISK_E10value_typeET2_T3_PNSL_ISQ_E10value_typeET4_jRbjT5_SW_jjP12ihipStream_tbEUlT_E2_NS1_11comp_targetILNS1_3genE4ELNS1_11target_archE910ELNS1_3gpuE8ELNS1_3repE0EEENS1_30default_config_static_selectorELNS0_4arch9wavefront6targetE1EEEvSK_,"axG",@progbits,_ZN7rocprim17ROCPRIM_400000_NS6detail17trampoline_kernelINS0_14default_configENS1_36segmented_radix_sort_config_selectorIslEEZNS1_25segmented_radix_sort_implIS3_Lb0EPKsPsPKlPlN2at6native12_GLOBAL__N_18offset_tEEE10hipError_tPvRmT1_PNSt15iterator_traitsISK_E10value_typeET2_T3_PNSL_ISQ_E10value_typeET4_jRbjT5_SW_jjP12ihipStream_tbEUlT_E2_NS1_11comp_targetILNS1_3genE4ELNS1_11target_archE910ELNS1_3gpuE8ELNS1_3repE0EEENS1_30default_config_static_selectorELNS0_4arch9wavefront6targetE1EEEvSK_,comdat
	.globl	_ZN7rocprim17ROCPRIM_400000_NS6detail17trampoline_kernelINS0_14default_configENS1_36segmented_radix_sort_config_selectorIslEEZNS1_25segmented_radix_sort_implIS3_Lb0EPKsPsPKlPlN2at6native12_GLOBAL__N_18offset_tEEE10hipError_tPvRmT1_PNSt15iterator_traitsISK_E10value_typeET2_T3_PNSL_ISQ_E10value_typeET4_jRbjT5_SW_jjP12ihipStream_tbEUlT_E2_NS1_11comp_targetILNS1_3genE4ELNS1_11target_archE910ELNS1_3gpuE8ELNS1_3repE0EEENS1_30default_config_static_selectorELNS0_4arch9wavefront6targetE1EEEvSK_ ; -- Begin function _ZN7rocprim17ROCPRIM_400000_NS6detail17trampoline_kernelINS0_14default_configENS1_36segmented_radix_sort_config_selectorIslEEZNS1_25segmented_radix_sort_implIS3_Lb0EPKsPsPKlPlN2at6native12_GLOBAL__N_18offset_tEEE10hipError_tPvRmT1_PNSt15iterator_traitsISK_E10value_typeET2_T3_PNSL_ISQ_E10value_typeET4_jRbjT5_SW_jjP12ihipStream_tbEUlT_E2_NS1_11comp_targetILNS1_3genE4ELNS1_11target_archE910ELNS1_3gpuE8ELNS1_3repE0EEENS1_30default_config_static_selectorELNS0_4arch9wavefront6targetE1EEEvSK_
	.p2align	8
	.type	_ZN7rocprim17ROCPRIM_400000_NS6detail17trampoline_kernelINS0_14default_configENS1_36segmented_radix_sort_config_selectorIslEEZNS1_25segmented_radix_sort_implIS3_Lb0EPKsPsPKlPlN2at6native12_GLOBAL__N_18offset_tEEE10hipError_tPvRmT1_PNSt15iterator_traitsISK_E10value_typeET2_T3_PNSL_ISQ_E10value_typeET4_jRbjT5_SW_jjP12ihipStream_tbEUlT_E2_NS1_11comp_targetILNS1_3genE4ELNS1_11target_archE910ELNS1_3gpuE8ELNS1_3repE0EEENS1_30default_config_static_selectorELNS0_4arch9wavefront6targetE1EEEvSK_,@function
_ZN7rocprim17ROCPRIM_400000_NS6detail17trampoline_kernelINS0_14default_configENS1_36segmented_radix_sort_config_selectorIslEEZNS1_25segmented_radix_sort_implIS3_Lb0EPKsPsPKlPlN2at6native12_GLOBAL__N_18offset_tEEE10hipError_tPvRmT1_PNSt15iterator_traitsISK_E10value_typeET2_T3_PNSL_ISQ_E10value_typeET4_jRbjT5_SW_jjP12ihipStream_tbEUlT_E2_NS1_11comp_targetILNS1_3genE4ELNS1_11target_archE910ELNS1_3gpuE8ELNS1_3repE0EEENS1_30default_config_static_selectorELNS0_4arch9wavefront6targetE1EEEvSK_: ; @_ZN7rocprim17ROCPRIM_400000_NS6detail17trampoline_kernelINS0_14default_configENS1_36segmented_radix_sort_config_selectorIslEEZNS1_25segmented_radix_sort_implIS3_Lb0EPKsPsPKlPlN2at6native12_GLOBAL__N_18offset_tEEE10hipError_tPvRmT1_PNSt15iterator_traitsISK_E10value_typeET2_T3_PNSL_ISQ_E10value_typeET4_jRbjT5_SW_jjP12ihipStream_tbEUlT_E2_NS1_11comp_targetILNS1_3genE4ELNS1_11target_archE910ELNS1_3gpuE8ELNS1_3repE0EEENS1_30default_config_static_selectorELNS0_4arch9wavefront6targetE1EEEvSK_
; %bb.0:
	s_add_u32 flat_scratch_lo, s6, s10
	s_addc_u32 flat_scratch_hi, s7, 0
	s_add_u32 s0, s0, s10
	s_mov_b32 s33, s9
	s_mov_b32 s74, s8
	s_load_dwordx4 s[8:11], s[4:5], 0x34
	s_addc_u32 s1, s1, 0
	s_mov_b32 s32, 0
	s_waitcnt lgkmcnt(0)
	s_add_i32 s75, s9, s74
	s_add_i32 s98, s11, s74
	s_mul_i32 s75, s75, s8
	s_mul_i32 s98, s98, s10
	s_cmp_le_u32 s98, s75
	s_cbranch_scc1 .LBB1044_1270
; %bb.1:
	s_load_dword s6, s[4:5], 0x30
	s_load_dwordx4 s[84:87], s[4:5], 0x20
	s_load_dwordx4 s[88:91], s[4:5], 0x44
	s_load_dwordx8 s[76:83], s[4:5], 0x0
	s_waitcnt lgkmcnt(0)
	s_bitcmp1_b32 s6, 0
	s_cselect_b64 s[92:93], -1, 0
	s_sub_i32 s91, s98, s75
	s_cmpk_lt_u32 s91, 0x1101
	s_mov_b64 s[6:7], -1
	s_cbranch_scc0 .LBB1044_15
; %bb.2:
	s_cmpk_lt_u32 s91, 0x81
	s_cbranch_scc0 .LBB1044_9
; %bb.3:
	s_load_dword s6, s[4:5], 0x5c
	v_bfe_u32 v1, v0, 10, 10
	v_bfe_u32 v3, v0, 20, 10
	v_and_b32_e32 v2, 0x3ff, v0
	s_waitcnt lgkmcnt(0)
	s_lshr_b32 s7, s6, 16
	s_and_b32 s6, s6, 0xffff
	v_mad_u32_u24 v1, v3, s7, v1
	v_mad_u64_u32 v[2:3], s[6:7], v1, s6, v[2:3]
	v_cmp_gt_u32_e32 vcc, 32, v2
	s_and_saveexec_b64 s[34:35], vcc
	s_cbranch_execz .LBB1044_8
; %bb.4:
	s_and_b32 s6, s88, 1
	v_cndmask_b32_e64 v1, 0, 1, s[92:93]
	v_cmp_ne_u32_e32 vcc, s6, v1
	s_mov_b64 s[6:7], -1
	s_cbranch_vccnz .LBB1044_6
; %bb.5:
	s_add_u32 s8, s4, 0x50
	s_mov_b64 s[6:7], src_shared_base
	s_addc_u32 s9, s5, 0
	s_mov_b32 s12, s74
	s_mov_b32 s13, s33
	v_mov_b32_e32 v31, v0
	v_mov_b32_e32 v40, v0
	;; [unrolled: 1-line block ×16, first 2 shown]
	s_getpc_b64 s[10:11]
	s_add_u32 s10, s10, _ZN7rocprim17ROCPRIM_400000_NS6detail26segmented_warp_sort_helperINS1_20WarpSortHelperConfigILj32ELj4ELj256EEEslLi256ELb0EvE4sortIPKsPsPKlPlEEvT_T0_T1_T2_jjjjRNS5_12storage_typeE@rel32@lo+4
	s_addc_u32 s11, s11, _ZN7rocprim17ROCPRIM_400000_NS6detail26segmented_warp_sort_helperINS1_20WarpSortHelperConfigILj32ELj4ELj256EEEslLi256ELb0EvE4sortIPKsPsPKlPlEEvT_T0_T1_T2_jjjjRNS5_12storage_typeE@rel32@hi+12
	s_mov_b64 s[36:37], s[4:5]
	s_swappc_b64 s[30:31], s[10:11]
	v_mov_b32_e32 v0, v40
	s_mov_b64 s[4:5], s[36:37]
	s_mov_b64 s[6:7], 0
.LBB1044_6:
	s_andn2_b64 vcc, exec, s[6:7]
	s_cbranch_vccnz .LBB1044_8
; %bb.7:
	s_add_u32 s8, s4, 0x50
	s_mov_b64 s[6:7], src_shared_base
	s_addc_u32 s9, s5, 0
	s_mov_b32 s12, s74
	s_mov_b32 s13, s33
	v_mov_b32_e32 v31, v0
	v_mov_b32_e32 v40, v0
	;; [unrolled: 1-line block ×16, first 2 shown]
	s_getpc_b64 s[10:11]
	s_add_u32 s10, s10, _ZN7rocprim17ROCPRIM_400000_NS6detail26segmented_warp_sort_helperINS1_20WarpSortHelperConfigILj32ELj4ELj256EEEslLi256ELb0EvE4sortIPKsPsPKlPlEEvT_T0_T1_T2_jjjjRNS5_12storage_typeE@rel32@lo+4
	s_addc_u32 s11, s11, _ZN7rocprim17ROCPRIM_400000_NS6detail26segmented_warp_sort_helperINS1_20WarpSortHelperConfigILj32ELj4ELj256EEEslLi256ELb0EvE4sortIPKsPsPKlPlEEvT_T0_T1_T2_jjjjRNS5_12storage_typeE@rel32@hi+12
	s_mov_b64 s[36:37], s[4:5]
	s_swappc_b64 s[30:31], s[10:11]
	v_mov_b32_e32 v0, v40
	s_mov_b64 s[4:5], s[36:37]
.LBB1044_8:
	s_or_b64 exec, exec, s[34:35]
	s_mov_b64 s[6:7], 0
.LBB1044_9:
	s_andn2_b64 vcc, exec, s[6:7]
	s_cbranch_vccnz .LBB1044_14
; %bb.10:
	s_and_b32 s6, s88, 1
	v_cndmask_b32_e64 v1, 0, 1, s[92:93]
	v_cmp_ne_u32_e32 vcc, s6, v1
	s_mov_b64 s[6:7], -1
	s_cbranch_vccnz .LBB1044_12
; %bb.11:
	s_add_u32 s8, s4, 0x50
	s_mov_b64 s[6:7], src_shared_base
	s_addc_u32 s9, s5, 0
	s_mov_b32 s12, s74
	s_mov_b32 s13, s33
	v_mov_b32_e32 v31, v0
	v_mov_b32_e32 v40, v0
	;; [unrolled: 1-line block ×16, first 2 shown]
	s_getpc_b64 s[10:11]
	s_add_u32 s10, s10, _ZN7rocprim17ROCPRIM_400000_NS6detail40segmented_radix_sort_single_block_helperIslLj256ELj17ELb0EE4sortIPKsPsPKlPlEEbT_T0_T1_T2_jjjjRNS3_12storage_typeE@rel32@lo+4
	s_addc_u32 s11, s11, _ZN7rocprim17ROCPRIM_400000_NS6detail40segmented_radix_sort_single_block_helperIslLj256ELj17ELb0EE4sortIPKsPsPKlPlEEbT_T0_T1_T2_jjjjRNS3_12storage_typeE@rel32@hi+12
	s_mov_b64 s[50:51], s[4:5]
	s_swappc_b64 s[30:31], s[10:11]
	v_mov_b32_e32 v0, v40
	s_mov_b64 s[4:5], s[50:51]
	s_mov_b64 s[6:7], 0
.LBB1044_12:
	s_andn2_b64 vcc, exec, s[6:7]
	s_cbranch_vccnz .LBB1044_14
; %bb.13:
	s_add_u32 s8, s4, 0x50
	s_mov_b64 s[6:7], src_shared_base
	s_addc_u32 s9, s5, 0
	s_mov_b32 s12, s74
	s_mov_b32 s13, s33
	v_mov_b32_e32 v31, v0
	v_mov_b32_e32 v40, v0
	;; [unrolled: 1-line block ×16, first 2 shown]
	s_getpc_b64 s[10:11]
	s_add_u32 s10, s10, _ZN7rocprim17ROCPRIM_400000_NS6detail40segmented_radix_sort_single_block_helperIslLj256ELj17ELb0EE4sortIPKsPsPKlPlEEbT_T0_T1_T2_jjjjRNS3_12storage_typeE@rel32@lo+4
	s_addc_u32 s11, s11, _ZN7rocprim17ROCPRIM_400000_NS6detail40segmented_radix_sort_single_block_helperIslLj256ELj17ELb0EE4sortIPKsPsPKlPlEEbT_T0_T1_T2_jjjjRNS3_12storage_typeE@rel32@hi+12
	s_mov_b64 s[50:51], s[4:5]
	s_swappc_b64 s[30:31], s[10:11]
	v_mov_b32_e32 v0, v40
	s_mov_b64 s[4:5], s[50:51]
.LBB1044_14:
	s_mov_b64 s[6:7], 0
.LBB1044_15:
	s_andn2_b64 vcc, exec, s[6:7]
	s_cbranch_vccnz .LBB1044_1270
; %bb.16:
	s_cmp_ge_u32 s89, s90
	s_cbranch_scc1 .LBB1044_1270
; %bb.17:
	v_and_b32_e32 v2, 0x3ff, v0
	v_and_b32_e32 v24, 0xc0, v2
	v_min_u32_e32 v25, 64, v24
	s_movk_i32 s8, 0x80
	v_or_b32_e32 v25, 63, v25
	v_lshlrev_b32_e32 v5, 1, v2
	s_mov_b64 s[6:7], s[4:5]
	v_cmp_gt_u32_e64 s[4:5], s8, v2
	v_cmp_eq_u32_e64 s[8:9], v25, v2
	v_lshrrev_b32_e32 v25, 4, v2
	v_bfe_u32 v64, v0, 20, 10
	v_bfe_u32 v65, v0, 10, 10
	v_mul_u32_u24_e32 v0, 3, v2
	v_mov_b32_e32 v66, 0x210
	v_mov_b32_e32 v6, s81
	v_add_co_u32_e32 v9, vcc, s80, v5
	v_and_b32_e32 v60, 12, v25
	v_mul_u32_u24_e32 v25, 17, v24
	v_lshl_add_u32 v67, v0, 2, v66
	v_or_b32_e32 v0, 63, v24
	v_addc_co_u32_e32 v11, vcc, 0, v6, vcc
	v_cmp_eq_u32_e64 s[12:13], v0, v2
	v_lshlrev_b32_e32 v0, 3, v25
	v_mov_b32_e32 v24, s87
	v_add_co_u32_e32 v71, vcc, s86, v0
	v_addc_co_u32_e32 v72, vcc, 0, v24, vcc
	v_lshlrev_b32_e32 v24, 1, v25
	v_mov_b32_e32 v26, s81
	v_add_co_u32_e32 v73, vcc, s80, v24
	v_addc_co_u32_e32 v74, vcc, 0, v26, vcc
	v_mov_b32_e32 v26, s79
	v_add_co_u32_e32 v78, vcc, s78, v5
	v_addc_co_u32_e32 v79, vcc, 0, v26, vcc
	;; [unrolled: 3-line block ×5, first 2 shown]
	v_add_u32_e32 v76, 0x200, v5
	v_mov_b32_e32 v5, s83
	v_add_co_u32_e32 v86, vcc, s82, v0
	v_addc_co_u32_e32 v87, vcc, 0, v5, vcc
	v_mov_b32_e32 v0, s77
	v_add_co_u32_e32 v88, vcc, s76, v24
	v_addc_co_u32_e32 v89, vcc, 0, v0, vcc
	v_mbcnt_lo_u32_b32 v0, -1, 0
                                        ; implicit-def: $vgpr232 : SGPR spill to VGPR lane
	v_mbcnt_hi_u32_b32 v102, -1, v0
	v_mul_u32_u24_e32 v58, 12, v2
	v_writelane_b32 v232, s8, 0
	v_lshlrev_b32_e32 v68, 3, v2
	v_and_b32_e32 v0, 63, v102
	v_lshlrev_b32_e32 v3, 2, v2
	v_and_b32_e32 v1, 3, v2
	v_or_b32_e32 v6, 0x800, v2
	v_or_b32_e32 v8, 0x900, v2
	;; [unrolled: 1-line block ×9, first 2 shown]
	v_writelane_b32 v232, s9, 1
	v_cmp_gt_u32_e64 s[8:9], 2, v2
	s_add_u32 s96, s6, 0x50
	v_sub_u32_e32 v69, v58, v68
	s_movk_i32 s6, 0x7f
	v_or_b32_e32 v111, v0, v25
	s_mov_b32 s95, 0
	v_mov_b32_e32 v4, 0
	v_or_b32_e32 v7, 0x100, v2
	v_or_b32_e32 v13, 0x200, v2
	;; [unrolled: 1-line block ×7, first 2 shown]
	s_movk_i32 s88, 0x1000
	v_mad_u32_u24 v59, v2, 12, v3
	v_or_b32_e32 v61, 0x8a00, v60
	v_writelane_b32 v232, s8, 2
	v_add_u32_e32 v62, 0x8a00, v3
	v_cmp_lt_u32_e64 s[10:11], 63, v2
	v_add_u32_e32 v63, 0x89fc, v60
	s_addc_u32 s97, s7, 0
	v_cmp_gt_u32_e64 s[14:15], 4, v2
	v_cmp_eq_u32_e64 s[16:17], 0, v2
	v_lshl_add_u32 v70, v2, 4, v69
	v_cmp_ne_u32_e64 s[18:19], s6, v2
	v_mul_i32_i24_e32 v75, 0xffffffee, v2
	v_mul_u32_u24_e32 v77, 6, v2
	v_lshlrev_b32_e32 v90, 2, v1
	v_mov_b32_e32 v91, 1
	v_lshlrev_b32_e32 v92, 1, v2
	v_lshlrev_b32_e32 v93, 1, v6
	;; [unrolled: 1-line block ×10, first 2 shown]
	v_and_b32_e32 v103, 15, v102
	v_bfe_i32 v104, v102, 4, 1
	v_and_b32_e32 v105, 16, v102
	v_bfe_i32 v106, v102, 0, 1
	v_add_u32_e32 v107, -1, v102
	v_and_b32_e32 v108, 64, v102
	v_and_b32_e32 v109, 3, v102
	v_lshlrev_b32_e32 v110, 3, v0
	v_add_u32_e32 v112, 64, v111
	v_add_u32_e32 v113, 0x80, v111
	;; [unrolled: 1-line block ×16, first 2 shown]
	v_lshlrev_b32_e32 v128, 1, v0
	s_mov_b32 s99, s89
	v_writelane_b32 v232, s9, 3
	s_branch .LBB1044_20
.LBB1044_18:                            ;   in Loop: Header=BB1044_20 Depth=1
	s_waitcnt lgkmcnt(0)
	s_barrier
.LBB1044_19:                            ;   in Loop: Header=BB1044_20 Depth=1
	s_add_i32 s99, s99, 7
	s_cmp_ge_u32 s99, s90
	s_cbranch_scc1 .LBB1044_1270
.LBB1044_20:                            ; =>This Loop Header: Depth=1
                                        ;     Child Loop BB1044_24 Depth 2
                                        ;     Child Loop BB1044_110 Depth 2
	;; [unrolled: 1-line block ×8, first 2 shown]
	s_sub_i32 s6, s90, s99
	s_min_u32 s6, s6, 7
	s_lshl_b32 s6, -1, s6
	s_xor_b64 s[92:93], s[92:93], -1
	s_not_b32 s6, s6
	s_cmp_lg_u32 s99, s89
	s_mov_b64 s[20:21], -1
	ds_write2st64_b32 v3, v4, v4 offset1:4
	s_waitcnt lgkmcnt(0)
	s_cbranch_scc0 .LBB1044_646
; %bb.21:                               ;   in Loop: Header=BB1044_20 Depth=1
	s_and_b64 vcc, exec, s[92:93]
	s_cbranch_vccz .LBB1044_333
; %bb.22:                               ;   in Loop: Header=BB1044_20 Depth=1
	s_mov_b32 s7, s91
	s_mov_b32 s94, s75
	s_barrier
	s_waitcnt lgkmcnt(0)
                                        ; implicit-def: $vgpr39
                                        ; implicit-def: $vgpr5
                                        ; implicit-def: $vgpr24
                                        ; implicit-def: $vgpr25
                                        ; implicit-def: $vgpr26
                                        ; implicit-def: $vgpr27
                                        ; implicit-def: $vgpr28
                                        ; implicit-def: $vgpr29
                                        ; implicit-def: $vgpr30
                                        ; implicit-def: $vgpr31
                                        ; implicit-def: $vgpr32
                                        ; implicit-def: $vgpr33
                                        ; implicit-def: $vgpr34
                                        ; implicit-def: $vgpr35
                                        ; implicit-def: $vgpr36
                                        ; implicit-def: $vgpr37
                                        ; implicit-def: $vgpr38
	s_branch .LBB1044_24
.LBB1044_23:                            ;   in Loop: Header=BB1044_24 Depth=2
	s_or_b64 exec, exec, s[20:21]
	s_addk_i32 s7, 0xef00
	s_cmp_ge_u32 s8, s98
	s_mov_b32 s94, s8
	s_cbranch_scc1 .LBB1044_98
.LBB1044_24:                            ;   Parent Loop BB1044_20 Depth=1
                                        ; =>  This Inner Loop Header: Depth=2
	s_add_i32 s8, s94, 0x1100
	s_cmp_gt_u32 s8, s98
	s_cbranch_scc1 .LBB1044_27
; %bb.25:                               ;   in Loop: Header=BB1044_24 Depth=2
	s_lshl_b64 s[20:21], s[94:95], 1
	v_mov_b32_e32 v1, s21
	v_add_co_u32_e32 v0, vcc, s20, v9
	v_addc_co_u32_e32 v1, vcc, v11, v1, vcc
	s_waitcnt vmcnt(0)
	v_add_co_u32_e32 v56, vcc, s88, v0
	v_addc_co_u32_e32 v57, vcc, 0, v1, vcc
	global_load_ushort v41, v[0:1], off
	global_load_ushort v42, v[0:1], off offset:512
	global_load_ushort v43, v[0:1], off offset:1024
	;; [unrolled: 1-line block ×7, first 2 shown]
	global_load_ushort v49, v[56:57], off
	global_load_ushort v50, v[56:57], off offset:512
	global_load_ushort v51, v[56:57], off offset:1024
	global_load_ushort v52, v[56:57], off offset:1536
	global_load_ushort v53, v[56:57], off offset:2048
	global_load_ushort v54, v[56:57], off offset:2560
	global_load_ushort v55, v[56:57], off offset:3072
	s_nop 0
	global_load_ushort v56, v[56:57], off offset:3584
	v_add_co_u32_e32 v0, vcc, 0x2000, v0
	v_addc_co_u32_e32 v1, vcc, 0, v1, vcc
	s_mov_b64 s[20:21], -1
	s_movk_i32 s9, 0x1100
	s_cbranch_execz .LBB1044_28
; %bb.26:                               ;   in Loop: Header=BB1044_24 Depth=2
                                        ; implicit-def: $vgpr38
                                        ; implicit-def: $vgpr37
                                        ; implicit-def: $vgpr36
                                        ; implicit-def: $vgpr35
                                        ; implicit-def: $vgpr34
                                        ; implicit-def: $vgpr33
                                        ; implicit-def: $vgpr32
                                        ; implicit-def: $vgpr31
                                        ; implicit-def: $vgpr30
                                        ; implicit-def: $vgpr29
                                        ; implicit-def: $vgpr28
                                        ; implicit-def: $vgpr27
                                        ; implicit-def: $vgpr26
                                        ; implicit-def: $vgpr25
                                        ; implicit-def: $vgpr24
                                        ; implicit-def: $vgpr5
                                        ; implicit-def: $vgpr39
	v_mov_b32_e32 v40, s7
	s_and_saveexec_b64 s[22:23], s[20:21]
	s_cbranch_execnz .LBB1044_63
	s_branch .LBB1044_64
.LBB1044_27:                            ;   in Loop: Header=BB1044_24 Depth=2
	s_mov_b64 s[20:21], 0
                                        ; implicit-def: $sgpr9
                                        ; implicit-def: $vgpr41
                                        ; implicit-def: $vgpr42
                                        ; implicit-def: $vgpr43
                                        ; implicit-def: $vgpr44
                                        ; implicit-def: $vgpr45
                                        ; implicit-def: $vgpr46
                                        ; implicit-def: $vgpr47
                                        ; implicit-def: $vgpr48
                                        ; implicit-def: $vgpr49
                                        ; implicit-def: $vgpr50
                                        ; implicit-def: $vgpr51
                                        ; implicit-def: $vgpr52
                                        ; implicit-def: $vgpr53
                                        ; implicit-def: $vgpr54
                                        ; implicit-def: $vgpr55
                                        ; implicit-def: $vgpr56
                                        ; implicit-def: $vgpr0_vgpr1
.LBB1044_28:                            ;   in Loop: Header=BB1044_24 Depth=2
	s_lshl_b64 s[22:23], s[94:95], 1
	s_add_u32 s22, s80, s22
	s_addc_u32 s23, s81, s23
	v_cmp_gt_u32_e32 vcc, s7, v2
	s_and_saveexec_b64 s[24:25], vcc
	s_cbranch_execz .LBB1044_44
; %bb.29:                               ;   in Loop: Header=BB1044_24 Depth=2
	global_load_ushort v38, v92, s[22:23]
	s_or_b64 exec, exec, s[24:25]
	v_cmp_gt_u32_e32 vcc, s7, v7
	s_and_saveexec_b64 s[24:25], vcc
	s_cbranch_execnz .LBB1044_45
.LBB1044_30:                            ;   in Loop: Header=BB1044_24 Depth=2
	s_or_b64 exec, exec, s[24:25]
	v_cmp_gt_u32_e32 vcc, s7, v13
	s_and_saveexec_b64 s[24:25], vcc
	s_cbranch_execz .LBB1044_46
.LBB1044_31:                            ;   in Loop: Header=BB1044_24 Depth=2
	global_load_ushort v36, v92, s[22:23] offset:1024
	s_or_b64 exec, exec, s[24:25]
	v_cmp_gt_u32_e32 vcc, s7, v15
	s_and_saveexec_b64 s[24:25], vcc
	s_cbranch_execnz .LBB1044_47
.LBB1044_32:                            ;   in Loop: Header=BB1044_24 Depth=2
	s_or_b64 exec, exec, s[24:25]
	v_cmp_gt_u32_e32 vcc, s7, v17
	s_and_saveexec_b64 s[24:25], vcc
	s_cbranch_execz .LBB1044_48
.LBB1044_33:                            ;   in Loop: Header=BB1044_24 Depth=2
	global_load_ushort v34, v92, s[22:23] offset:2048
	s_or_b64 exec, exec, s[24:25]
	v_cmp_gt_u32_e32 vcc, s7, v19
	s_and_saveexec_b64 s[24:25], vcc
	s_cbranch_execnz .LBB1044_49
.LBB1044_34:                            ;   in Loop: Header=BB1044_24 Depth=2
	s_or_b64 exec, exec, s[24:25]
	v_cmp_gt_u32_e32 vcc, s7, v21
	s_and_saveexec_b64 s[24:25], vcc
	s_cbranch_execz .LBB1044_50
.LBB1044_35:                            ;   in Loop: Header=BB1044_24 Depth=2
	global_load_ushort v32, v92, s[22:23] offset:3072
	s_or_b64 exec, exec, s[24:25]
	v_cmp_gt_u32_e32 vcc, s7, v23
	s_and_saveexec_b64 s[24:25], vcc
	s_cbranch_execnz .LBB1044_51
.LBB1044_36:                            ;   in Loop: Header=BB1044_24 Depth=2
	s_or_b64 exec, exec, s[24:25]
	v_cmp_gt_u32_e32 vcc, s7, v6
	s_and_saveexec_b64 s[24:25], vcc
	s_cbranch_execz .LBB1044_52
.LBB1044_37:                            ;   in Loop: Header=BB1044_24 Depth=2
	global_load_ushort v30, v93, s[22:23]
	s_or_b64 exec, exec, s[24:25]
	v_cmp_gt_u32_e32 vcc, s7, v8
	s_and_saveexec_b64 s[24:25], vcc
	s_cbranch_execnz .LBB1044_53
.LBB1044_38:                            ;   in Loop: Header=BB1044_24 Depth=2
	s_or_b64 exec, exec, s[24:25]
	v_cmp_gt_u32_e32 vcc, s7, v10
	s_and_saveexec_b64 s[24:25], vcc
	s_cbranch_execz .LBB1044_54
.LBB1044_39:                            ;   in Loop: Header=BB1044_24 Depth=2
	global_load_ushort v28, v95, s[22:23]
	s_or_b64 exec, exec, s[24:25]
	v_cmp_gt_u32_e32 vcc, s7, v12
	s_and_saveexec_b64 s[24:25], vcc
	s_cbranch_execnz .LBB1044_55
.LBB1044_40:                            ;   in Loop: Header=BB1044_24 Depth=2
	s_or_b64 exec, exec, s[24:25]
	v_cmp_gt_u32_e32 vcc, s7, v14
	s_and_saveexec_b64 s[24:25], vcc
	s_cbranch_execz .LBB1044_56
.LBB1044_41:                            ;   in Loop: Header=BB1044_24 Depth=2
	global_load_ushort v26, v97, s[22:23]
	s_or_b64 exec, exec, s[24:25]
	v_cmp_gt_u32_e32 vcc, s7, v16
	s_and_saveexec_b64 s[24:25], vcc
	s_cbranch_execnz .LBB1044_57
.LBB1044_42:                            ;   in Loop: Header=BB1044_24 Depth=2
	s_or_b64 exec, exec, s[24:25]
	v_cmp_gt_u32_e32 vcc, s7, v18
	s_and_saveexec_b64 s[24:25], vcc
	s_cbranch_execz .LBB1044_58
.LBB1044_43:                            ;   in Loop: Header=BB1044_24 Depth=2
	global_load_ushort v24, v99, s[22:23]
	s_or_b64 exec, exec, s[24:25]
	v_cmp_gt_u32_e32 vcc, s7, v20
	s_and_saveexec_b64 s[24:25], vcc
	s_cbranch_execz .LBB1044_60
	s_branch .LBB1044_59
.LBB1044_44:                            ;   in Loop: Header=BB1044_24 Depth=2
	s_or_b64 exec, exec, s[24:25]
	v_cmp_gt_u32_e32 vcc, s7, v7
	s_and_saveexec_b64 s[24:25], vcc
	s_cbranch_execz .LBB1044_30
.LBB1044_45:                            ;   in Loop: Header=BB1044_24 Depth=2
	global_load_ushort v37, v92, s[22:23] offset:512
	s_or_b64 exec, exec, s[24:25]
	v_cmp_gt_u32_e32 vcc, s7, v13
	s_and_saveexec_b64 s[24:25], vcc
	s_cbranch_execnz .LBB1044_31
.LBB1044_46:                            ;   in Loop: Header=BB1044_24 Depth=2
	s_or_b64 exec, exec, s[24:25]
	v_cmp_gt_u32_e32 vcc, s7, v15
	s_and_saveexec_b64 s[24:25], vcc
	s_cbranch_execz .LBB1044_32
.LBB1044_47:                            ;   in Loop: Header=BB1044_24 Depth=2
	global_load_ushort v35, v92, s[22:23] offset:1536
	s_or_b64 exec, exec, s[24:25]
	v_cmp_gt_u32_e32 vcc, s7, v17
	s_and_saveexec_b64 s[24:25], vcc
	s_cbranch_execnz .LBB1044_33
.LBB1044_48:                            ;   in Loop: Header=BB1044_24 Depth=2
	s_or_b64 exec, exec, s[24:25]
	v_cmp_gt_u32_e32 vcc, s7, v19
	s_and_saveexec_b64 s[24:25], vcc
	s_cbranch_execz .LBB1044_34
.LBB1044_49:                            ;   in Loop: Header=BB1044_24 Depth=2
	global_load_ushort v33, v92, s[22:23] offset:2560
	s_or_b64 exec, exec, s[24:25]
	v_cmp_gt_u32_e32 vcc, s7, v21
	s_and_saveexec_b64 s[24:25], vcc
	s_cbranch_execnz .LBB1044_35
.LBB1044_50:                            ;   in Loop: Header=BB1044_24 Depth=2
	s_or_b64 exec, exec, s[24:25]
	v_cmp_gt_u32_e32 vcc, s7, v23
	s_and_saveexec_b64 s[24:25], vcc
	s_cbranch_execz .LBB1044_36
.LBB1044_51:                            ;   in Loop: Header=BB1044_24 Depth=2
	global_load_ushort v31, v92, s[22:23] offset:3584
	s_or_b64 exec, exec, s[24:25]
	v_cmp_gt_u32_e32 vcc, s7, v6
	s_and_saveexec_b64 s[24:25], vcc
	s_cbranch_execnz .LBB1044_37
.LBB1044_52:                            ;   in Loop: Header=BB1044_24 Depth=2
	s_or_b64 exec, exec, s[24:25]
	v_cmp_gt_u32_e32 vcc, s7, v8
	s_and_saveexec_b64 s[24:25], vcc
	s_cbranch_execz .LBB1044_38
.LBB1044_53:                            ;   in Loop: Header=BB1044_24 Depth=2
	global_load_ushort v29, v94, s[22:23]
	s_or_b64 exec, exec, s[24:25]
	v_cmp_gt_u32_e32 vcc, s7, v10
	s_and_saveexec_b64 s[24:25], vcc
	s_cbranch_execnz .LBB1044_39
.LBB1044_54:                            ;   in Loop: Header=BB1044_24 Depth=2
	s_or_b64 exec, exec, s[24:25]
	v_cmp_gt_u32_e32 vcc, s7, v12
	s_and_saveexec_b64 s[24:25], vcc
	s_cbranch_execz .LBB1044_40
.LBB1044_55:                            ;   in Loop: Header=BB1044_24 Depth=2
	global_load_ushort v27, v96, s[22:23]
	s_or_b64 exec, exec, s[24:25]
	v_cmp_gt_u32_e32 vcc, s7, v14
	s_and_saveexec_b64 s[24:25], vcc
	s_cbranch_execnz .LBB1044_41
.LBB1044_56:                            ;   in Loop: Header=BB1044_24 Depth=2
	s_or_b64 exec, exec, s[24:25]
	v_cmp_gt_u32_e32 vcc, s7, v16
	s_and_saveexec_b64 s[24:25], vcc
	s_cbranch_execz .LBB1044_42
.LBB1044_57:                            ;   in Loop: Header=BB1044_24 Depth=2
	global_load_ushort v25, v98, s[22:23]
	s_or_b64 exec, exec, s[24:25]
	v_cmp_gt_u32_e32 vcc, s7, v18
	s_and_saveexec_b64 s[24:25], vcc
	s_cbranch_execnz .LBB1044_43
.LBB1044_58:                            ;   in Loop: Header=BB1044_24 Depth=2
	s_or_b64 exec, exec, s[24:25]
	v_cmp_gt_u32_e32 vcc, s7, v20
	s_and_saveexec_b64 s[24:25], vcc
	s_cbranch_execz .LBB1044_60
.LBB1044_59:                            ;   in Loop: Header=BB1044_24 Depth=2
	global_load_ushort v5, v100, s[22:23]
.LBB1044_60:                            ;   in Loop: Header=BB1044_24 Depth=2
	s_or_b64 exec, exec, s[24:25]
	v_cmp_gt_u32_e32 vcc, s7, v22
                                        ; implicit-def: $sgpr9
                                        ; implicit-def: $vgpr0_vgpr1
	s_and_saveexec_b64 s[24:25], vcc
; %bb.61:                               ;   in Loop: Header=BB1044_24 Depth=2
	v_mov_b32_e32 v1, s23
	v_add_co_u32_e32 v0, vcc, s22, v101
	s_sub_i32 s9, s98, s94
	v_addc_co_u32_e32 v1, vcc, 0, v1, vcc
	s_or_b64 s[20:21], s[20:21], exec
                                        ; implicit-def: $vgpr39
; %bb.62:                               ;   in Loop: Header=BB1044_24 Depth=2
	s_or_b64 exec, exec, s[24:25]
	s_waitcnt vmcnt(0)
	v_mov_b32_e32 v41, v38
	v_mov_b32_e32 v42, v37
	;; [unrolled: 1-line block ×17, first 2 shown]
	s_and_saveexec_b64 s[22:23], s[20:21]
	s_cbranch_execz .LBB1044_64
.LBB1044_63:                            ;   in Loop: Header=BB1044_24 Depth=2
	global_load_ushort v39, v[0:1], off
	v_mov_b32_e32 v40, s9
	s_waitcnt vmcnt(1)
	v_mov_b32_e32 v5, v56
	v_mov_b32_e32 v24, v55
	;; [unrolled: 1-line block ×16, first 2 shown]
.LBB1044_64:                            ;   in Loop: Header=BB1044_24 Depth=2
	s_or_b64 exec, exec, s[22:23]
	v_cmp_lt_u32_e32 vcc, v2, v40
	s_and_saveexec_b64 s[20:21], vcc
	s_cbranch_execz .LBB1044_81
; %bb.65:                               ;   in Loop: Header=BB1044_24 Depth=2
	v_xor_b32_e32 v0, 0xffff8000, v38
	v_lshrrev_b32_sdwa v0, s99, v0 dst_sel:DWORD dst_unused:UNUSED_PAD src0_sel:DWORD src1_sel:WORD_0
	v_and_b32_e32 v0, s6, v0
	v_lshl_or_b32 v0, v0, 4, v90
	ds_add_u32 v0, v91
	s_or_b64 exec, exec, s[20:21]
	v_cmp_lt_u32_e32 vcc, v7, v40
	s_and_saveexec_b64 s[20:21], vcc
	s_cbranch_execnz .LBB1044_82
.LBB1044_66:                            ;   in Loop: Header=BB1044_24 Depth=2
	s_or_b64 exec, exec, s[20:21]
	v_cmp_lt_u32_e32 vcc, v13, v40
	s_and_saveexec_b64 s[20:21], vcc
	s_cbranch_execz .LBB1044_83
.LBB1044_67:                            ;   in Loop: Header=BB1044_24 Depth=2
	v_xor_b32_e32 v0, 0xffff8000, v36
	v_lshrrev_b32_sdwa v0, s99, v0 dst_sel:DWORD dst_unused:UNUSED_PAD src0_sel:DWORD src1_sel:WORD_0
	v_and_b32_e32 v0, s6, v0
	v_lshl_or_b32 v0, v0, 4, v90
	ds_add_u32 v0, v91
	s_or_b64 exec, exec, s[20:21]
	v_cmp_lt_u32_e32 vcc, v15, v40
	s_and_saveexec_b64 s[20:21], vcc
	s_cbranch_execnz .LBB1044_84
.LBB1044_68:                            ;   in Loop: Header=BB1044_24 Depth=2
	s_or_b64 exec, exec, s[20:21]
	v_cmp_lt_u32_e32 vcc, v17, v40
	s_and_saveexec_b64 s[20:21], vcc
	s_cbranch_execz .LBB1044_85
.LBB1044_69:                            ;   in Loop: Header=BB1044_24 Depth=2
	v_xor_b32_e32 v0, 0xffff8000, v34
	v_lshrrev_b32_sdwa v0, s99, v0 dst_sel:DWORD dst_unused:UNUSED_PAD src0_sel:DWORD src1_sel:WORD_0
	v_and_b32_e32 v0, s6, v0
	v_lshl_or_b32 v0, v0, 4, v90
	ds_add_u32 v0, v91
	s_or_b64 exec, exec, s[20:21]
	v_cmp_lt_u32_e32 vcc, v19, v40
	s_and_saveexec_b64 s[20:21], vcc
	s_cbranch_execnz .LBB1044_86
.LBB1044_70:                            ;   in Loop: Header=BB1044_24 Depth=2
	s_or_b64 exec, exec, s[20:21]
	v_cmp_lt_u32_e32 vcc, v21, v40
	s_and_saveexec_b64 s[20:21], vcc
	s_cbranch_execz .LBB1044_87
.LBB1044_71:                            ;   in Loop: Header=BB1044_24 Depth=2
	v_xor_b32_e32 v0, 0xffff8000, v32
	v_lshrrev_b32_sdwa v0, s99, v0 dst_sel:DWORD dst_unused:UNUSED_PAD src0_sel:DWORD src1_sel:WORD_0
	v_and_b32_e32 v0, s6, v0
	v_lshl_or_b32 v0, v0, 4, v90
	ds_add_u32 v0, v91
	s_or_b64 exec, exec, s[20:21]
	v_cmp_lt_u32_e32 vcc, v23, v40
	s_and_saveexec_b64 s[20:21], vcc
	s_cbranch_execnz .LBB1044_88
.LBB1044_72:                            ;   in Loop: Header=BB1044_24 Depth=2
	s_or_b64 exec, exec, s[20:21]
	v_cmp_lt_u32_e32 vcc, v6, v40
	s_and_saveexec_b64 s[20:21], vcc
	s_cbranch_execz .LBB1044_89
.LBB1044_73:                            ;   in Loop: Header=BB1044_24 Depth=2
	v_xor_b32_e32 v0, 0xffff8000, v30
	v_lshrrev_b32_sdwa v0, s99, v0 dst_sel:DWORD dst_unused:UNUSED_PAD src0_sel:DWORD src1_sel:WORD_0
	v_and_b32_e32 v0, s6, v0
	v_lshl_or_b32 v0, v0, 4, v90
	ds_add_u32 v0, v91
	s_or_b64 exec, exec, s[20:21]
	v_cmp_lt_u32_e32 vcc, v8, v40
	s_and_saveexec_b64 s[20:21], vcc
	s_cbranch_execnz .LBB1044_90
.LBB1044_74:                            ;   in Loop: Header=BB1044_24 Depth=2
	s_or_b64 exec, exec, s[20:21]
	v_cmp_lt_u32_e32 vcc, v10, v40
	s_and_saveexec_b64 s[20:21], vcc
	s_cbranch_execz .LBB1044_91
.LBB1044_75:                            ;   in Loop: Header=BB1044_24 Depth=2
	v_xor_b32_e32 v0, 0xffff8000, v28
	v_lshrrev_b32_sdwa v0, s99, v0 dst_sel:DWORD dst_unused:UNUSED_PAD src0_sel:DWORD src1_sel:WORD_0
	v_and_b32_e32 v0, s6, v0
	v_lshl_or_b32 v0, v0, 4, v90
	ds_add_u32 v0, v91
	s_or_b64 exec, exec, s[20:21]
	v_cmp_lt_u32_e32 vcc, v12, v40
	s_and_saveexec_b64 s[20:21], vcc
	s_cbranch_execnz .LBB1044_92
.LBB1044_76:                            ;   in Loop: Header=BB1044_24 Depth=2
	s_or_b64 exec, exec, s[20:21]
	v_cmp_lt_u32_e32 vcc, v14, v40
	s_and_saveexec_b64 s[20:21], vcc
	s_cbranch_execz .LBB1044_93
.LBB1044_77:                            ;   in Loop: Header=BB1044_24 Depth=2
	v_xor_b32_e32 v0, 0xffff8000, v26
	v_lshrrev_b32_sdwa v0, s99, v0 dst_sel:DWORD dst_unused:UNUSED_PAD src0_sel:DWORD src1_sel:WORD_0
	v_and_b32_e32 v0, s6, v0
	v_lshl_or_b32 v0, v0, 4, v90
	ds_add_u32 v0, v91
	s_or_b64 exec, exec, s[20:21]
	v_cmp_lt_u32_e32 vcc, v16, v40
	s_and_saveexec_b64 s[20:21], vcc
	s_cbranch_execnz .LBB1044_94
.LBB1044_78:                            ;   in Loop: Header=BB1044_24 Depth=2
	s_or_b64 exec, exec, s[20:21]
	v_cmp_lt_u32_e32 vcc, v18, v40
	s_and_saveexec_b64 s[20:21], vcc
	s_cbranch_execz .LBB1044_95
.LBB1044_79:                            ;   in Loop: Header=BB1044_24 Depth=2
	v_xor_b32_e32 v0, 0xffff8000, v24
	v_lshrrev_b32_sdwa v0, s99, v0 dst_sel:DWORD dst_unused:UNUSED_PAD src0_sel:DWORD src1_sel:WORD_0
	v_and_b32_e32 v0, s6, v0
	v_lshl_or_b32 v0, v0, 4, v90
	ds_add_u32 v0, v91
	s_or_b64 exec, exec, s[20:21]
	v_cmp_lt_u32_e32 vcc, v20, v40
	s_and_saveexec_b64 s[20:21], vcc
	s_cbranch_execnz .LBB1044_96
.LBB1044_80:                            ;   in Loop: Header=BB1044_24 Depth=2
	s_or_b64 exec, exec, s[20:21]
	v_cmp_lt_u32_e32 vcc, v22, v40
	s_and_saveexec_b64 s[20:21], vcc
	s_cbranch_execz .LBB1044_23
	s_branch .LBB1044_97
.LBB1044_81:                            ;   in Loop: Header=BB1044_24 Depth=2
	s_or_b64 exec, exec, s[20:21]
	v_cmp_lt_u32_e32 vcc, v7, v40
	s_and_saveexec_b64 s[20:21], vcc
	s_cbranch_execz .LBB1044_66
.LBB1044_82:                            ;   in Loop: Header=BB1044_24 Depth=2
	v_xor_b32_e32 v0, 0xffff8000, v37
	v_lshrrev_b32_sdwa v0, s99, v0 dst_sel:DWORD dst_unused:UNUSED_PAD src0_sel:DWORD src1_sel:WORD_0
	v_and_b32_e32 v0, s6, v0
	v_lshl_or_b32 v0, v0, 4, v90
	ds_add_u32 v0, v91
	s_or_b64 exec, exec, s[20:21]
	v_cmp_lt_u32_e32 vcc, v13, v40
	s_and_saveexec_b64 s[20:21], vcc
	s_cbranch_execnz .LBB1044_67
.LBB1044_83:                            ;   in Loop: Header=BB1044_24 Depth=2
	s_or_b64 exec, exec, s[20:21]
	v_cmp_lt_u32_e32 vcc, v15, v40
	s_and_saveexec_b64 s[20:21], vcc
	s_cbranch_execz .LBB1044_68
.LBB1044_84:                            ;   in Loop: Header=BB1044_24 Depth=2
	v_xor_b32_e32 v0, 0xffff8000, v35
	v_lshrrev_b32_sdwa v0, s99, v0 dst_sel:DWORD dst_unused:UNUSED_PAD src0_sel:DWORD src1_sel:WORD_0
	v_and_b32_e32 v0, s6, v0
	v_lshl_or_b32 v0, v0, 4, v90
	ds_add_u32 v0, v91
	s_or_b64 exec, exec, s[20:21]
	v_cmp_lt_u32_e32 vcc, v17, v40
	s_and_saveexec_b64 s[20:21], vcc
	s_cbranch_execnz .LBB1044_69
.LBB1044_85:                            ;   in Loop: Header=BB1044_24 Depth=2
	s_or_b64 exec, exec, s[20:21]
	v_cmp_lt_u32_e32 vcc, v19, v40
	s_and_saveexec_b64 s[20:21], vcc
	s_cbranch_execz .LBB1044_70
.LBB1044_86:                            ;   in Loop: Header=BB1044_24 Depth=2
	v_xor_b32_e32 v0, 0xffff8000, v33
	v_lshrrev_b32_sdwa v0, s99, v0 dst_sel:DWORD dst_unused:UNUSED_PAD src0_sel:DWORD src1_sel:WORD_0
	v_and_b32_e32 v0, s6, v0
	v_lshl_or_b32 v0, v0, 4, v90
	ds_add_u32 v0, v91
	s_or_b64 exec, exec, s[20:21]
	v_cmp_lt_u32_e32 vcc, v21, v40
	s_and_saveexec_b64 s[20:21], vcc
	s_cbranch_execnz .LBB1044_71
.LBB1044_87:                            ;   in Loop: Header=BB1044_24 Depth=2
	s_or_b64 exec, exec, s[20:21]
	v_cmp_lt_u32_e32 vcc, v23, v40
	s_and_saveexec_b64 s[20:21], vcc
	s_cbranch_execz .LBB1044_72
.LBB1044_88:                            ;   in Loop: Header=BB1044_24 Depth=2
	v_xor_b32_e32 v0, 0xffff8000, v31
	v_lshrrev_b32_sdwa v0, s99, v0 dst_sel:DWORD dst_unused:UNUSED_PAD src0_sel:DWORD src1_sel:WORD_0
	v_and_b32_e32 v0, s6, v0
	v_lshl_or_b32 v0, v0, 4, v90
	ds_add_u32 v0, v91
	s_or_b64 exec, exec, s[20:21]
	v_cmp_lt_u32_e32 vcc, v6, v40
	s_and_saveexec_b64 s[20:21], vcc
	s_cbranch_execnz .LBB1044_73
.LBB1044_89:                            ;   in Loop: Header=BB1044_24 Depth=2
	s_or_b64 exec, exec, s[20:21]
	v_cmp_lt_u32_e32 vcc, v8, v40
	s_and_saveexec_b64 s[20:21], vcc
	s_cbranch_execz .LBB1044_74
.LBB1044_90:                            ;   in Loop: Header=BB1044_24 Depth=2
	v_xor_b32_e32 v0, 0xffff8000, v29
	v_lshrrev_b32_sdwa v0, s99, v0 dst_sel:DWORD dst_unused:UNUSED_PAD src0_sel:DWORD src1_sel:WORD_0
	v_and_b32_e32 v0, s6, v0
	v_lshl_or_b32 v0, v0, 4, v90
	ds_add_u32 v0, v91
	s_or_b64 exec, exec, s[20:21]
	v_cmp_lt_u32_e32 vcc, v10, v40
	s_and_saveexec_b64 s[20:21], vcc
	s_cbranch_execnz .LBB1044_75
.LBB1044_91:                            ;   in Loop: Header=BB1044_24 Depth=2
	s_or_b64 exec, exec, s[20:21]
	v_cmp_lt_u32_e32 vcc, v12, v40
	s_and_saveexec_b64 s[20:21], vcc
	s_cbranch_execz .LBB1044_76
.LBB1044_92:                            ;   in Loop: Header=BB1044_24 Depth=2
	v_xor_b32_e32 v0, 0xffff8000, v27
	v_lshrrev_b32_sdwa v0, s99, v0 dst_sel:DWORD dst_unused:UNUSED_PAD src0_sel:DWORD src1_sel:WORD_0
	v_and_b32_e32 v0, s6, v0
	v_lshl_or_b32 v0, v0, 4, v90
	ds_add_u32 v0, v91
	s_or_b64 exec, exec, s[20:21]
	v_cmp_lt_u32_e32 vcc, v14, v40
	s_and_saveexec_b64 s[20:21], vcc
	s_cbranch_execnz .LBB1044_77
.LBB1044_93:                            ;   in Loop: Header=BB1044_24 Depth=2
	s_or_b64 exec, exec, s[20:21]
	v_cmp_lt_u32_e32 vcc, v16, v40
	s_and_saveexec_b64 s[20:21], vcc
	s_cbranch_execz .LBB1044_78
.LBB1044_94:                            ;   in Loop: Header=BB1044_24 Depth=2
	v_xor_b32_e32 v0, 0xffff8000, v25
	v_lshrrev_b32_sdwa v0, s99, v0 dst_sel:DWORD dst_unused:UNUSED_PAD src0_sel:DWORD src1_sel:WORD_0
	v_and_b32_e32 v0, s6, v0
	v_lshl_or_b32 v0, v0, 4, v90
	ds_add_u32 v0, v91
	s_or_b64 exec, exec, s[20:21]
	v_cmp_lt_u32_e32 vcc, v18, v40
	s_and_saveexec_b64 s[20:21], vcc
	s_cbranch_execnz .LBB1044_79
.LBB1044_95:                            ;   in Loop: Header=BB1044_24 Depth=2
	s_or_b64 exec, exec, s[20:21]
	v_cmp_lt_u32_e32 vcc, v20, v40
	s_and_saveexec_b64 s[20:21], vcc
	s_cbranch_execz .LBB1044_80
.LBB1044_96:                            ;   in Loop: Header=BB1044_24 Depth=2
	v_xor_b32_e32 v0, 0xffff8000, v5
	v_lshrrev_b32_sdwa v0, s99, v0 dst_sel:DWORD dst_unused:UNUSED_PAD src0_sel:DWORD src1_sel:WORD_0
	v_and_b32_e32 v0, s6, v0
	v_lshl_or_b32 v0, v0, 4, v90
	ds_add_u32 v0, v91
	s_or_b64 exec, exec, s[20:21]
	v_cmp_lt_u32_e32 vcc, v22, v40
	s_and_saveexec_b64 s[20:21], vcc
	s_cbranch_execz .LBB1044_23
.LBB1044_97:                            ;   in Loop: Header=BB1044_24 Depth=2
	s_waitcnt vmcnt(0)
	v_xor_b32_e32 v0, 0xffff8000, v39
	v_lshrrev_b32_sdwa v0, s99, v0 dst_sel:DWORD dst_unused:UNUSED_PAD src0_sel:DWORD src1_sel:WORD_0
	v_and_b32_e32 v0, s6, v0
	v_lshl_or_b32 v0, v0, 4, v90
	ds_add_u32 v0, v91
	s_branch .LBB1044_23
.LBB1044_98:                            ;   in Loop: Header=BB1044_20 Depth=1
	v_mov_b32_e32 v0, 0
	s_waitcnt lgkmcnt(0)
	s_barrier
	s_and_saveexec_b64 s[20:21], s[4:5]
	s_cbranch_execz .LBB1044_100
; %bb.99:                               ;   in Loop: Header=BB1044_20 Depth=1
	ds_read2_b64 v[24:27], v59 offset1:1
	s_waitcnt lgkmcnt(0)
	v_add_u32_e32 v0, v25, v24
	v_add3_u32 v0, v0, v26, v27
.LBB1044_100:                           ;   in Loop: Header=BB1044_20 Depth=1
	s_or_b64 exec, exec, s[20:21]
	s_nop 0
	v_mov_b32_dpp v1, v0 row_shr:1 row_mask:0xf bank_mask:0xf
	v_cmp_eq_u32_e64 s[20:21], 0, v103
	v_cndmask_b32_e64 v1, v1, 0, s[20:21]
	v_add_u32_e32 v0, v1, v0
	v_cmp_lt_u32_e64 s[22:23], 1, v103
	v_cmp_lt_u32_e64 s[24:25], 3, v103
	v_mov_b32_dpp v1, v0 row_shr:2 row_mask:0xf bank_mask:0xf
	v_cndmask_b32_e64 v1, 0, v1, s[22:23]
	v_add_u32_e32 v0, v0, v1
	v_cmp_lt_u32_e64 s[26:27], 7, v103
	v_cmp_lt_u32_e64 s[30:31], 31, v102
	v_mov_b32_dpp v1, v0 row_shr:4 row_mask:0xf bank_mask:0xf
	v_cndmask_b32_e64 v1, 0, v1, s[24:25]
	v_add_u32_e32 v0, v0, v1
	v_cmp_eq_u32_e64 s[28:29], 0, v105
	s_nop 0
	v_mov_b32_dpp v1, v0 row_shr:8 row_mask:0xf bank_mask:0xf
	v_cndmask_b32_e64 v1, 0, v1, s[26:27]
	v_add_u32_e32 v0, v0, v1
	s_nop 1
	v_mov_b32_dpp v1, v0 row_bcast:15 row_mask:0xf bank_mask:0xf
	v_and_b32_e32 v1, v104, v1
	v_add_u32_e32 v0, v0, v1
	s_nop 1
	v_mov_b32_dpp v1, v0 row_bcast:31 row_mask:0xf bank_mask:0xf
	v_cndmask_b32_e64 v1, 0, v1, s[30:31]
	v_add_u32_e32 v0, v0, v1
	s_mov_b64 s[34:35], exec
	v_readlane_b32 s8, v232, 0
	v_readlane_b32 s9, v232, 1
	s_and_b64 s[8:9], s[34:35], s[8:9]
	s_mov_b64 exec, s[8:9]
	s_cbranch_execz .LBB1044_102
; %bb.101:                              ;   in Loop: Header=BB1044_20 Depth=1
	ds_write_b32 v61, v0
.LBB1044_102:                           ;   in Loop: Header=BB1044_20 Depth=1
	s_or_b64 exec, exec, s[34:35]
	s_waitcnt lgkmcnt(0)
	s_barrier
	s_mov_b64 s[34:35], exec
	v_readlane_b32 s8, v232, 2
	v_readlane_b32 s9, v232, 3
	s_and_b64 s[8:9], s[34:35], s[8:9]
	s_mov_b64 exec, s[8:9]
	s_cbranch_execz .LBB1044_104
; %bb.103:                              ;   in Loop: Header=BB1044_20 Depth=1
	ds_read_b32 v1, v62
	s_waitcnt lgkmcnt(0)
	s_nop 0
	v_mov_b32_dpp v5, v1 row_shr:1 row_mask:0xf bank_mask:0xf
	v_and_b32_e32 v5, v106, v5
	v_add_u32_e32 v1, v5, v1
	ds_write_b32 v62, v1
.LBB1044_104:                           ;   in Loop: Header=BB1044_20 Depth=1
	s_or_b64 exec, exec, s[34:35]
	v_mov_b32_e32 v1, 0
	s_waitcnt lgkmcnt(0)
	s_barrier
	s_and_saveexec_b64 s[34:35], s[10:11]
	s_cbranch_execz .LBB1044_106
; %bb.105:                              ;   in Loop: Header=BB1044_20 Depth=1
	ds_read_b32 v1, v63
.LBB1044_106:                           ;   in Loop: Header=BB1044_20 Depth=1
	s_or_b64 exec, exec, s[34:35]
	v_cmp_lt_i32_e32 vcc, v107, v108
	v_cndmask_b32_e32 v5, v107, v102, vcc
	s_waitcnt lgkmcnt(0)
	v_add_u32_e32 v0, v1, v0
	v_lshlrev_b32_e32 v129, 2, v5
	ds_bpermute_b32 v0, v129, v0
	v_cmp_eq_u32_e64 s[34:35], 0, v102
	s_waitcnt lgkmcnt(0)
	s_barrier
	s_and_saveexec_b64 s[36:37], s[4:5]
	s_cbranch_execz .LBB1044_108
; %bb.107:                              ;   in Loop: Header=BB1044_20 Depth=1
	v_cndmask_b32_e64 v0, v0, v1, s[34:35]
	v_add_u32_e32 v0, s75, v0
	ds_write_b32 v3, v0
.LBB1044_108:                           ;   in Loop: Header=BB1044_20 Depth=1
	s_or_b64 exec, exec, s[36:37]
	s_load_dword s7, s[96:97], 0x4
	s_load_dword s40, s[96:97], 0xc
	v_add_co_u32_e32 v130, vcc, v71, v110
	v_addc_co_u32_e32 v131, vcc, 0, v72, vcc
	s_waitcnt lgkmcnt(0)
	s_cmp_lt_u32 s33, s7
	s_cselect_b32 s7, 14, 20
	s_add_u32 s8, s96, s7
	s_addc_u32 s9, s97, 0
	global_load_ushort v5, v4, s[8:9]
	v_add_co_u32_e32 v132, vcc, v73, v128
	v_addc_co_u32_e32 v133, vcc, 0, v74, vcc
	s_and_b32 s8, s40, 0xffff
	v_add_co_u32_e32 v148, vcc, 0x800, v132
	v_cmp_eq_u32_e64 s[36:37], 0, v109
	v_cmp_lt_u32_e64 s[38:39], 1, v109
	s_mov_b32 s7, s91
	v_addc_co_u32_e32 v151, vcc, 0, v133, vcc
	s_mov_b32 s94, s75
                                        ; implicit-def: $vgpr0_vgpr1
                                        ; implicit-def: $vgpr24_vgpr25
                                        ; implicit-def: $vgpr26_vgpr27
                                        ; implicit-def: $vgpr28_vgpr29
                                        ; implicit-def: $vgpr32_vgpr33
                                        ; implicit-def: $vgpr36_vgpr37
                                        ; implicit-def: $vgpr40_vgpr41
                                        ; implicit-def: $vgpr44_vgpr45
                                        ; implicit-def: $vgpr48_vgpr49
                                        ; implicit-def: $vgpr30_vgpr31
                                        ; implicit-def: $vgpr34_vgpr35
                                        ; implicit-def: $vgpr38_vgpr39
                                        ; implicit-def: $vgpr42_vgpr43
                                        ; implicit-def: $vgpr46_vgpr47
                                        ; implicit-def: $vgpr50_vgpr51
                                        ; implicit-def: $vgpr52_vgpr53
                                        ; implicit-def: $vgpr54_vgpr55
                                        ; implicit-def: $vgpr134
                                        ; implicit-def: $vgpr135
                                        ; implicit-def: $vgpr136
                                        ; implicit-def: $vgpr137
                                        ; implicit-def: $vgpr138
                                        ; implicit-def: $vgpr139
                                        ; implicit-def: $vgpr140
                                        ; implicit-def: $vgpr141
                                        ; implicit-def: $vgpr142
                                        ; implicit-def: $vgpr143
                                        ; implicit-def: $vgpr144
                                        ; implicit-def: $vgpr145
                                        ; implicit-def: $vgpr146
                                        ; implicit-def: $vgpr147
                                        ; implicit-def: $vgpr149
                                        ; implicit-def: $vgpr150
                                        ; implicit-def: $vgpr152
                                        ; implicit-def: $vgpr154
                                        ; implicit-def: $vgpr155
	s_waitcnt vmcnt(0)
	v_mad_u32_u24 v5, v64, v5, v65
	v_mad_u64_u32 v[56:57], s[8:9], v5, s8, v[2:3]
	v_lshrrev_b32_e32 v153, 6, v56
	s_branch .LBB1044_110
.LBB1044_109:                           ;   in Loop: Header=BB1044_110 Depth=2
	s_or_b64 exec, exec, s[40:41]
	s_addk_i32 s7, 0xef00
	s_cmp_lt_u32 s8, s98
	s_mov_b32 s94, s8
	s_cbranch_scc0 .LBB1044_332
.LBB1044_110:                           ;   Parent Loop BB1044_20 Depth=1
                                        ; =>  This Inner Loop Header: Depth=2
	s_add_i32 s8, s94, 0x1100
	s_cmp_gt_u32 s8, s98
	s_cbranch_scc1 .LBB1044_113
; %bb.111:                              ;   in Loop: Header=BB1044_110 Depth=2
	s_lshl_b64 s[40:41], s[94:95], 1
	v_mov_b32_e32 v5, s41
	v_add_co_u32_e32 v56, vcc, s40, v132
	v_addc_co_u32_e32 v57, vcc, v133, v5, vcc
	global_load_ushort v5, v[56:57], off
	global_load_ushort v160, v[56:57], off offset:128
	global_load_ushort v165, v[56:57], off offset:256
	global_load_ushort v171, v[56:57], off offset:384
	global_load_ushort v176, v[56:57], off offset:512
	global_load_ushort v181, v[56:57], off offset:640
	global_load_ushort v186, v[56:57], off offset:768
	global_load_ushort v191, v[56:57], off offset:896
	global_load_ushort v193, v[56:57], off offset:1024
	global_load_ushort v188, v[56:57], off offset:1152
	global_load_ushort v184, v[56:57], off offset:1280
	global_load_ushort v179, v[56:57], off offset:1408
	global_load_ushort v174, v[56:57], off offset:1536
	global_load_ushort v169, v[56:57], off offset:1664
	global_load_ushort v164, v[56:57], off offset:1792
	global_load_ushort v159, v[56:57], off offset:1920
	s_mov_b64 s[40:41], -1
	s_movk_i32 s9, 0x1100
	s_cbranch_execz .LBB1044_114
; %bb.112:                              ;   in Loop: Header=BB1044_110 Depth=2
                                        ; implicit-def: $sgpr42
	v_mov_b32_e32 v166, s42
	v_mov_b32_e32 v156, s7
	s_and_saveexec_b64 s[42:43], s[40:41]
	s_cbranch_execnz .LBB1044_147
	s_branch .LBB1044_148
.LBB1044_113:                           ;   in Loop: Header=BB1044_110 Depth=2
	s_mov_b64 s[40:41], 0
                                        ; implicit-def: $sgpr9
                                        ; implicit-def: $vgpr5
                                        ; implicit-def: $vgpr160
                                        ; implicit-def: $vgpr165
                                        ; implicit-def: $vgpr171
                                        ; implicit-def: $vgpr176
                                        ; implicit-def: $vgpr181
                                        ; implicit-def: $vgpr186
                                        ; implicit-def: $vgpr191
                                        ; implicit-def: $vgpr193
                                        ; implicit-def: $vgpr188
                                        ; implicit-def: $vgpr184
                                        ; implicit-def: $vgpr179
                                        ; implicit-def: $vgpr174
                                        ; implicit-def: $vgpr169
                                        ; implicit-def: $vgpr164
                                        ; implicit-def: $vgpr159
.LBB1044_114:                           ;   in Loop: Header=BB1044_110 Depth=2
	s_lshl_b64 s[40:41], s[94:95], 1
	s_waitcnt vmcnt(15)
	v_mov_b32_e32 v5, s41
	v_add_co_u32_e32 v56, vcc, s40, v132
	v_addc_co_u32_e32 v57, vcc, v133, v5, vcc
	v_cmp_gt_u32_e32 vcc, s7, v111
	s_waitcnt vmcnt(14)
	v_mov_b32_e32 v160, 0x7fff
	v_mov_b32_e32 v5, 0x7fff
	s_and_saveexec_b64 s[40:41], vcc
	s_cbranch_execz .LBB1044_116
; %bb.115:                              ;   in Loop: Header=BB1044_110 Depth=2
	global_load_ushort v5, v[56:57], off
.LBB1044_116:                           ;   in Loop: Header=BB1044_110 Depth=2
	s_or_b64 exec, exec, s[40:41]
	v_cmp_gt_u32_e32 vcc, s7, v112
	s_and_saveexec_b64 s[40:41], vcc
	s_cbranch_execz .LBB1044_118
; %bb.117:                              ;   in Loop: Header=BB1044_110 Depth=2
	global_load_ushort v160, v[56:57], off offset:128
.LBB1044_118:                           ;   in Loop: Header=BB1044_110 Depth=2
	s_or_b64 exec, exec, s[40:41]
	v_cmp_gt_u32_e32 vcc, s7, v113
	s_waitcnt vmcnt(12)
	v_mov_b32_e32 v171, 0x7fff
	v_mov_b32_e32 v165, 0x7fff
	s_and_saveexec_b64 s[40:41], vcc
	s_cbranch_execz .LBB1044_120
; %bb.119:                              ;   in Loop: Header=BB1044_110 Depth=2
	global_load_ushort v165, v[56:57], off offset:256
.LBB1044_120:                           ;   in Loop: Header=BB1044_110 Depth=2
	s_or_b64 exec, exec, s[40:41]
	v_cmp_gt_u32_e32 vcc, s7, v114
	s_and_saveexec_b64 s[40:41], vcc
	s_cbranch_execz .LBB1044_122
; %bb.121:                              ;   in Loop: Header=BB1044_110 Depth=2
	global_load_ushort v171, v[56:57], off offset:384
.LBB1044_122:                           ;   in Loop: Header=BB1044_110 Depth=2
	s_or_b64 exec, exec, s[40:41]
	v_cmp_gt_u32_e32 vcc, s7, v115
	s_waitcnt vmcnt(10)
	v_mov_b32_e32 v181, 0x7fff
	v_mov_b32_e32 v176, 0x7fff
	s_and_saveexec_b64 s[40:41], vcc
	s_cbranch_execz .LBB1044_124
; %bb.123:                              ;   in Loop: Header=BB1044_110 Depth=2
	global_load_ushort v176, v[56:57], off offset:512
.LBB1044_124:                           ;   in Loop: Header=BB1044_110 Depth=2
	;; [unrolled: 17-line block ×7, first 2 shown]
	s_or_b64 exec, exec, s[40:41]
	v_cmp_gt_u32_e32 vcc, s7, v126
	s_and_saveexec_b64 s[40:41], vcc
	s_cbranch_execz .LBB1044_146
; %bb.145:                              ;   in Loop: Header=BB1044_110 Depth=2
	global_load_ushort v159, v[56:57], off offset:1920
.LBB1044_146:                           ;   in Loop: Header=BB1044_110 Depth=2
	s_or_b64 exec, exec, s[40:41]
	s_sub_i32 s9, s98, s94
	v_cmp_gt_u32_e64 s[40:41], s7, v127
	s_movk_i32 s42, 0x7fff
	v_mov_b32_e32 v166, s42
	v_mov_b32_e32 v156, s7
	s_and_saveexec_b64 s[42:43], s[40:41]
	s_cbranch_execz .LBB1044_148
.LBB1044_147:                           ;   in Loop: Header=BB1044_110 Depth=2
	s_lshl_b64 s[40:41], s[94:95], 1
	v_mov_b32_e32 v57, s41
	v_add_co_u32_e32 v56, vcc, s40, v148
	v_addc_co_u32_e32 v57, vcc, v151, v57, vcc
	global_load_ushort v166, v[56:57], off
	v_mov_b32_e32 v156, s9
.LBB1044_148:                           ;   in Loop: Header=BB1044_110 Depth=2
	s_or_b64 exec, exec, s[42:43]
	s_waitcnt vmcnt(15)
	v_xor_b32_e32 v157, 0xffff8000, v5
	v_lshrrev_b32_sdwa v5, s99, v157 dst_sel:DWORD dst_unused:UNUSED_PAD src0_sel:DWORD src1_sel:WORD_0
	v_and_b32_e32 v56, s6, v5
	v_mad_u32_u24 v5, v56, 5, v153
	v_lshl_add_u32 v158, v5, 2, v66
	v_and_b32_e32 v5, 1, v56
	v_add_co_u32_e32 v57, vcc, -1, v5
	v_addc_co_u32_e64 v161, s[40:41], 0, -1, vcc
	v_cmp_ne_u32_e32 vcc, 0, v5
	v_xor_b32_e32 v5, vcc_hi, v161
	v_and_b32_e32 v161, exec_hi, v5
	v_lshlrev_b32_e32 v5, 30, v56
	v_xor_b32_e32 v57, vcc_lo, v57
	v_cmp_gt_i64_e32 vcc, 0, v[4:5]
	v_not_b32_e32 v5, v5
	v_ashrrev_i32_e32 v5, 31, v5
	v_and_b32_e32 v57, exec_lo, v57
	v_xor_b32_e32 v162, vcc_hi, v5
	v_xor_b32_e32 v5, vcc_lo, v5
	v_and_b32_e32 v57, v57, v5
	v_lshlrev_b32_e32 v5, 29, v56
	v_cmp_gt_i64_e32 vcc, 0, v[4:5]
	v_not_b32_e32 v5, v5
	v_ashrrev_i32_e32 v5, 31, v5
	v_and_b32_e32 v161, v161, v162
	v_xor_b32_e32 v162, vcc_hi, v5
	v_xor_b32_e32 v5, vcc_lo, v5
	v_and_b32_e32 v57, v57, v5
	v_lshlrev_b32_e32 v5, 28, v56
	v_cmp_gt_i64_e32 vcc, 0, v[4:5]
	v_not_b32_e32 v5, v5
	v_ashrrev_i32_e32 v5, 31, v5
	v_and_b32_e32 v161, v161, v162
	;; [unrolled: 8-line block ×4, first 2 shown]
	v_xor_b32_e32 v162, vcc_hi, v5
	v_xor_b32_e32 v5, vcc_lo, v5
	v_and_b32_e32 v161, v161, v162
	v_and_b32_e32 v162, v57, v5
	v_lshlrev_b32_e32 v5, 25, v56
	v_cmp_gt_i64_e32 vcc, 0, v[4:5]
	v_not_b32_e32 v5, v5
	v_ashrrev_i32_e32 v5, 31, v5
	v_xor_b32_e32 v56, vcc_hi, v5
	v_xor_b32_e32 v5, vcc_lo, v5
	v_and_b32_e32 v57, v161, v56
	v_and_b32_e32 v56, v162, v5
	v_mbcnt_lo_u32_b32 v5, v56, 0
	v_mbcnt_hi_u32_b32 v161, v57, v5
	v_cmp_eq_u32_e32 vcc, 0, v161
	v_cmp_ne_u64_e64 s[40:41], 0, v[56:57]
	s_and_b64 s[42:43], s[40:41], vcc
	ds_write2_b32 v58, v4, v4 offset0:132 offset1:133
	ds_write_b32 v67, v4 offset:8
	s_waitcnt lgkmcnt(0)
	s_barrier
	s_waitcnt lgkmcnt(0)
	; wave barrier
	s_and_saveexec_b64 s[40:41], s[42:43]
	s_cbranch_execz .LBB1044_150
; %bb.149:                              ;   in Loop: Header=BB1044_110 Depth=2
	v_bcnt_u32_b32 v5, v56, 0
	v_bcnt_u32_b32 v5, v57, v5
	ds_write_b32 v158, v5
.LBB1044_150:                           ;   in Loop: Header=BB1044_110 Depth=2
	s_or_b64 exec, exec, s[40:41]
	s_waitcnt vmcnt(14)
	v_xor_b32_e32 v160, 0xffff8000, v160
	v_lshrrev_b32_sdwa v5, s99, v160 dst_sel:DWORD dst_unused:UNUSED_PAD src0_sel:DWORD src1_sel:WORD_0
	v_and_b32_e32 v56, s6, v5
	v_mul_u32_u24_e32 v5, 5, v56
	v_add_lshl_u32 v5, v5, v153, 2
	; wave barrier
	v_add_u32_e32 v163, 0x210, v5
	ds_read_b32 v162, v5 offset:528
	v_and_b32_e32 v5, 1, v56
	v_add_co_u32_e32 v57, vcc, -1, v5
	v_addc_co_u32_e64 v167, s[40:41], 0, -1, vcc
	v_cmp_ne_u32_e32 vcc, 0, v5
	v_xor_b32_e32 v5, vcc_hi, v167
	v_and_b32_e32 v167, exec_hi, v5
	v_lshlrev_b32_e32 v5, 30, v56
	v_xor_b32_e32 v57, vcc_lo, v57
	v_cmp_gt_i64_e32 vcc, 0, v[4:5]
	v_not_b32_e32 v5, v5
	v_ashrrev_i32_e32 v5, 31, v5
	v_and_b32_e32 v57, exec_lo, v57
	v_xor_b32_e32 v168, vcc_hi, v5
	v_xor_b32_e32 v5, vcc_lo, v5
	v_and_b32_e32 v57, v57, v5
	v_lshlrev_b32_e32 v5, 29, v56
	v_cmp_gt_i64_e32 vcc, 0, v[4:5]
	v_not_b32_e32 v5, v5
	v_ashrrev_i32_e32 v5, 31, v5
	v_and_b32_e32 v167, v167, v168
	v_xor_b32_e32 v168, vcc_hi, v5
	v_xor_b32_e32 v5, vcc_lo, v5
	v_and_b32_e32 v57, v57, v5
	v_lshlrev_b32_e32 v5, 28, v56
	v_cmp_gt_i64_e32 vcc, 0, v[4:5]
	v_not_b32_e32 v5, v5
	v_ashrrev_i32_e32 v5, 31, v5
	v_and_b32_e32 v167, v167, v168
	v_xor_b32_e32 v168, vcc_hi, v5
	v_xor_b32_e32 v5, vcc_lo, v5
	v_and_b32_e32 v57, v57, v5
	v_lshlrev_b32_e32 v5, 27, v56
	v_cmp_gt_i64_e32 vcc, 0, v[4:5]
	v_not_b32_e32 v5, v5
	v_ashrrev_i32_e32 v5, 31, v5
	v_and_b32_e32 v167, v167, v168
	v_xor_b32_e32 v168, vcc_hi, v5
	v_xor_b32_e32 v5, vcc_lo, v5
	v_and_b32_e32 v57, v57, v5
	v_lshlrev_b32_e32 v5, 26, v56
	v_cmp_gt_i64_e32 vcc, 0, v[4:5]
	v_not_b32_e32 v5, v5
	v_ashrrev_i32_e32 v5, 31, v5
	v_and_b32_e32 v167, v167, v168
	v_xor_b32_e32 v168, vcc_hi, v5
	v_xor_b32_e32 v5, vcc_lo, v5
	v_and_b32_e32 v167, v167, v168
	v_and_b32_e32 v168, v57, v5
	v_lshlrev_b32_e32 v5, 25, v56
	v_cmp_gt_i64_e32 vcc, 0, v[4:5]
	v_not_b32_e32 v5, v5
	v_ashrrev_i32_e32 v5, 31, v5
	v_xor_b32_e32 v56, vcc_hi, v5
	v_xor_b32_e32 v5, vcc_lo, v5
	v_and_b32_e32 v57, v167, v56
	v_and_b32_e32 v56, v168, v5
	v_mbcnt_lo_u32_b32 v5, v56, 0
	v_mbcnt_hi_u32_b32 v167, v57, v5
	v_cmp_eq_u32_e32 vcc, 0, v167
	v_cmp_ne_u64_e64 s[40:41], 0, v[56:57]
	s_and_b64 s[42:43], s[40:41], vcc
	; wave barrier
	s_and_saveexec_b64 s[40:41], s[42:43]
	s_cbranch_execz .LBB1044_152
; %bb.151:                              ;   in Loop: Header=BB1044_110 Depth=2
	v_bcnt_u32_b32 v5, v56, 0
	v_bcnt_u32_b32 v5, v57, v5
	s_waitcnt lgkmcnt(0)
	v_add_u32_e32 v5, v162, v5
	ds_write_b32 v163, v5
.LBB1044_152:                           ;   in Loop: Header=BB1044_110 Depth=2
	s_or_b64 exec, exec, s[40:41]
	s_waitcnt vmcnt(13)
	v_xor_b32_e32 v165, 0xffff8000, v165
	v_lshrrev_b32_sdwa v5, s99, v165 dst_sel:DWORD dst_unused:UNUSED_PAD src0_sel:DWORD src1_sel:WORD_0
	v_and_b32_e32 v56, s6, v5
	v_mul_u32_u24_e32 v5, 5, v56
	v_add_lshl_u32 v5, v5, v153, 2
	; wave barrier
	v_add_u32_e32 v170, 0x210, v5
	ds_read_b32 v168, v5 offset:528
	v_and_b32_e32 v5, 1, v56
	v_add_co_u32_e32 v57, vcc, -1, v5
	v_addc_co_u32_e64 v172, s[40:41], 0, -1, vcc
	v_cmp_ne_u32_e32 vcc, 0, v5
	v_xor_b32_e32 v5, vcc_hi, v172
	v_and_b32_e32 v172, exec_hi, v5
	v_lshlrev_b32_e32 v5, 30, v56
	v_xor_b32_e32 v57, vcc_lo, v57
	v_cmp_gt_i64_e32 vcc, 0, v[4:5]
	v_not_b32_e32 v5, v5
	v_ashrrev_i32_e32 v5, 31, v5
	v_and_b32_e32 v57, exec_lo, v57
	v_xor_b32_e32 v173, vcc_hi, v5
	v_xor_b32_e32 v5, vcc_lo, v5
	v_and_b32_e32 v57, v57, v5
	v_lshlrev_b32_e32 v5, 29, v56
	v_cmp_gt_i64_e32 vcc, 0, v[4:5]
	v_not_b32_e32 v5, v5
	v_ashrrev_i32_e32 v5, 31, v5
	v_and_b32_e32 v172, v172, v173
	v_xor_b32_e32 v173, vcc_hi, v5
	v_xor_b32_e32 v5, vcc_lo, v5
	v_and_b32_e32 v57, v57, v5
	v_lshlrev_b32_e32 v5, 28, v56
	v_cmp_gt_i64_e32 vcc, 0, v[4:5]
	v_not_b32_e32 v5, v5
	v_ashrrev_i32_e32 v5, 31, v5
	v_and_b32_e32 v172, v172, v173
	;; [unrolled: 8-line block ×4, first 2 shown]
	v_xor_b32_e32 v173, vcc_hi, v5
	v_xor_b32_e32 v5, vcc_lo, v5
	v_and_b32_e32 v172, v172, v173
	v_and_b32_e32 v173, v57, v5
	v_lshlrev_b32_e32 v5, 25, v56
	v_cmp_gt_i64_e32 vcc, 0, v[4:5]
	v_not_b32_e32 v5, v5
	v_ashrrev_i32_e32 v5, 31, v5
	v_xor_b32_e32 v56, vcc_hi, v5
	v_xor_b32_e32 v5, vcc_lo, v5
	v_and_b32_e32 v57, v172, v56
	v_and_b32_e32 v56, v173, v5
	v_mbcnt_lo_u32_b32 v5, v56, 0
	v_mbcnt_hi_u32_b32 v172, v57, v5
	v_cmp_eq_u32_e32 vcc, 0, v172
	v_cmp_ne_u64_e64 s[40:41], 0, v[56:57]
	s_and_b64 s[42:43], s[40:41], vcc
	; wave barrier
	s_and_saveexec_b64 s[40:41], s[42:43]
	s_cbranch_execz .LBB1044_154
; %bb.153:                              ;   in Loop: Header=BB1044_110 Depth=2
	v_bcnt_u32_b32 v5, v56, 0
	v_bcnt_u32_b32 v5, v57, v5
	s_waitcnt lgkmcnt(0)
	v_add_u32_e32 v5, v168, v5
	ds_write_b32 v170, v5
.LBB1044_154:                           ;   in Loop: Header=BB1044_110 Depth=2
	s_or_b64 exec, exec, s[40:41]
	s_waitcnt vmcnt(12)
	v_xor_b32_e32 v171, 0xffff8000, v171
	v_lshrrev_b32_sdwa v5, s99, v171 dst_sel:DWORD dst_unused:UNUSED_PAD src0_sel:DWORD src1_sel:WORD_0
	v_and_b32_e32 v56, s6, v5
	v_mul_u32_u24_e32 v5, 5, v56
	v_add_lshl_u32 v5, v5, v153, 2
	; wave barrier
	v_add_u32_e32 v175, 0x210, v5
	ds_read_b32 v173, v5 offset:528
	v_and_b32_e32 v5, 1, v56
	v_add_co_u32_e32 v57, vcc, -1, v5
	v_addc_co_u32_e64 v177, s[40:41], 0, -1, vcc
	v_cmp_ne_u32_e32 vcc, 0, v5
	v_xor_b32_e32 v5, vcc_hi, v177
	v_and_b32_e32 v177, exec_hi, v5
	v_lshlrev_b32_e32 v5, 30, v56
	v_xor_b32_e32 v57, vcc_lo, v57
	v_cmp_gt_i64_e32 vcc, 0, v[4:5]
	v_not_b32_e32 v5, v5
	v_ashrrev_i32_e32 v5, 31, v5
	v_and_b32_e32 v57, exec_lo, v57
	v_xor_b32_e32 v178, vcc_hi, v5
	v_xor_b32_e32 v5, vcc_lo, v5
	v_and_b32_e32 v57, v57, v5
	v_lshlrev_b32_e32 v5, 29, v56
	v_cmp_gt_i64_e32 vcc, 0, v[4:5]
	v_not_b32_e32 v5, v5
	v_ashrrev_i32_e32 v5, 31, v5
	v_and_b32_e32 v177, v177, v178
	v_xor_b32_e32 v178, vcc_hi, v5
	v_xor_b32_e32 v5, vcc_lo, v5
	v_and_b32_e32 v57, v57, v5
	v_lshlrev_b32_e32 v5, 28, v56
	v_cmp_gt_i64_e32 vcc, 0, v[4:5]
	v_not_b32_e32 v5, v5
	v_ashrrev_i32_e32 v5, 31, v5
	v_and_b32_e32 v177, v177, v178
	;; [unrolled: 8-line block ×4, first 2 shown]
	v_xor_b32_e32 v178, vcc_hi, v5
	v_xor_b32_e32 v5, vcc_lo, v5
	v_and_b32_e32 v177, v177, v178
	v_and_b32_e32 v178, v57, v5
	v_lshlrev_b32_e32 v5, 25, v56
	v_cmp_gt_i64_e32 vcc, 0, v[4:5]
	v_not_b32_e32 v5, v5
	v_ashrrev_i32_e32 v5, 31, v5
	v_xor_b32_e32 v56, vcc_hi, v5
	v_xor_b32_e32 v5, vcc_lo, v5
	v_and_b32_e32 v57, v177, v56
	v_and_b32_e32 v56, v178, v5
	v_mbcnt_lo_u32_b32 v5, v56, 0
	v_mbcnt_hi_u32_b32 v177, v57, v5
	v_cmp_eq_u32_e32 vcc, 0, v177
	v_cmp_ne_u64_e64 s[40:41], 0, v[56:57]
	s_and_b64 s[42:43], s[40:41], vcc
	; wave barrier
	s_and_saveexec_b64 s[40:41], s[42:43]
	s_cbranch_execz .LBB1044_156
; %bb.155:                              ;   in Loop: Header=BB1044_110 Depth=2
	v_bcnt_u32_b32 v5, v56, 0
	v_bcnt_u32_b32 v5, v57, v5
	s_waitcnt lgkmcnt(0)
	v_add_u32_e32 v5, v173, v5
	ds_write_b32 v175, v5
.LBB1044_156:                           ;   in Loop: Header=BB1044_110 Depth=2
	s_or_b64 exec, exec, s[40:41]
	s_waitcnt vmcnt(11)
	v_xor_b32_e32 v176, 0xffff8000, v176
	v_lshrrev_b32_sdwa v5, s99, v176 dst_sel:DWORD dst_unused:UNUSED_PAD src0_sel:DWORD src1_sel:WORD_0
	v_and_b32_e32 v56, s6, v5
	v_mul_u32_u24_e32 v5, 5, v56
	v_add_lshl_u32 v5, v5, v153, 2
	; wave barrier
	v_add_u32_e32 v180, 0x210, v5
	ds_read_b32 v178, v5 offset:528
	v_and_b32_e32 v5, 1, v56
	v_add_co_u32_e32 v57, vcc, -1, v5
	v_addc_co_u32_e64 v182, s[40:41], 0, -1, vcc
	v_cmp_ne_u32_e32 vcc, 0, v5
	v_xor_b32_e32 v5, vcc_hi, v182
	v_and_b32_e32 v182, exec_hi, v5
	v_lshlrev_b32_e32 v5, 30, v56
	v_xor_b32_e32 v57, vcc_lo, v57
	v_cmp_gt_i64_e32 vcc, 0, v[4:5]
	v_not_b32_e32 v5, v5
	v_ashrrev_i32_e32 v5, 31, v5
	v_and_b32_e32 v57, exec_lo, v57
	v_xor_b32_e32 v183, vcc_hi, v5
	v_xor_b32_e32 v5, vcc_lo, v5
	v_and_b32_e32 v57, v57, v5
	v_lshlrev_b32_e32 v5, 29, v56
	v_cmp_gt_i64_e32 vcc, 0, v[4:5]
	v_not_b32_e32 v5, v5
	v_ashrrev_i32_e32 v5, 31, v5
	v_and_b32_e32 v182, v182, v183
	v_xor_b32_e32 v183, vcc_hi, v5
	v_xor_b32_e32 v5, vcc_lo, v5
	v_and_b32_e32 v57, v57, v5
	v_lshlrev_b32_e32 v5, 28, v56
	v_cmp_gt_i64_e32 vcc, 0, v[4:5]
	v_not_b32_e32 v5, v5
	v_ashrrev_i32_e32 v5, 31, v5
	v_and_b32_e32 v182, v182, v183
	;; [unrolled: 8-line block ×4, first 2 shown]
	v_xor_b32_e32 v183, vcc_hi, v5
	v_xor_b32_e32 v5, vcc_lo, v5
	v_and_b32_e32 v182, v182, v183
	v_and_b32_e32 v183, v57, v5
	v_lshlrev_b32_e32 v5, 25, v56
	v_cmp_gt_i64_e32 vcc, 0, v[4:5]
	v_not_b32_e32 v5, v5
	v_ashrrev_i32_e32 v5, 31, v5
	v_xor_b32_e32 v56, vcc_hi, v5
	v_xor_b32_e32 v5, vcc_lo, v5
	v_and_b32_e32 v57, v182, v56
	v_and_b32_e32 v56, v183, v5
	v_mbcnt_lo_u32_b32 v5, v56, 0
	v_mbcnt_hi_u32_b32 v182, v57, v5
	v_cmp_eq_u32_e32 vcc, 0, v182
	v_cmp_ne_u64_e64 s[40:41], 0, v[56:57]
	s_and_b64 s[42:43], s[40:41], vcc
	; wave barrier
	s_and_saveexec_b64 s[40:41], s[42:43]
	s_cbranch_execz .LBB1044_158
; %bb.157:                              ;   in Loop: Header=BB1044_110 Depth=2
	v_bcnt_u32_b32 v5, v56, 0
	v_bcnt_u32_b32 v5, v57, v5
	s_waitcnt lgkmcnt(0)
	v_add_u32_e32 v5, v178, v5
	ds_write_b32 v180, v5
.LBB1044_158:                           ;   in Loop: Header=BB1044_110 Depth=2
	s_or_b64 exec, exec, s[40:41]
	s_waitcnt vmcnt(10)
	v_xor_b32_e32 v181, 0xffff8000, v181
	v_lshrrev_b32_sdwa v5, s99, v181 dst_sel:DWORD dst_unused:UNUSED_PAD src0_sel:DWORD src1_sel:WORD_0
	v_and_b32_e32 v56, s6, v5
	v_mul_u32_u24_e32 v5, 5, v56
	v_add_lshl_u32 v5, v5, v153, 2
	; wave barrier
	v_add_u32_e32 v185, 0x210, v5
	ds_read_b32 v183, v5 offset:528
	v_and_b32_e32 v5, 1, v56
	v_add_co_u32_e32 v57, vcc, -1, v5
	v_addc_co_u32_e64 v187, s[40:41], 0, -1, vcc
	v_cmp_ne_u32_e32 vcc, 0, v5
	v_xor_b32_e32 v5, vcc_hi, v187
	v_and_b32_e32 v187, exec_hi, v5
	v_lshlrev_b32_e32 v5, 30, v56
	v_xor_b32_e32 v57, vcc_lo, v57
	v_cmp_gt_i64_e32 vcc, 0, v[4:5]
	v_not_b32_e32 v5, v5
	v_ashrrev_i32_e32 v5, 31, v5
	v_and_b32_e32 v57, exec_lo, v57
	v_xor_b32_e32 v189, vcc_hi, v5
	v_xor_b32_e32 v5, vcc_lo, v5
	v_and_b32_e32 v57, v57, v5
	v_lshlrev_b32_e32 v5, 29, v56
	v_cmp_gt_i64_e32 vcc, 0, v[4:5]
	v_not_b32_e32 v5, v5
	v_ashrrev_i32_e32 v5, 31, v5
	v_and_b32_e32 v187, v187, v189
	v_xor_b32_e32 v189, vcc_hi, v5
	v_xor_b32_e32 v5, vcc_lo, v5
	v_and_b32_e32 v57, v57, v5
	v_lshlrev_b32_e32 v5, 28, v56
	v_cmp_gt_i64_e32 vcc, 0, v[4:5]
	v_not_b32_e32 v5, v5
	v_ashrrev_i32_e32 v5, 31, v5
	v_and_b32_e32 v187, v187, v189
	;; [unrolled: 8-line block ×4, first 2 shown]
	v_xor_b32_e32 v189, vcc_hi, v5
	v_xor_b32_e32 v5, vcc_lo, v5
	v_and_b32_e32 v187, v187, v189
	v_and_b32_e32 v189, v57, v5
	v_lshlrev_b32_e32 v5, 25, v56
	v_cmp_gt_i64_e32 vcc, 0, v[4:5]
	v_not_b32_e32 v5, v5
	v_ashrrev_i32_e32 v5, 31, v5
	v_xor_b32_e32 v56, vcc_hi, v5
	v_xor_b32_e32 v5, vcc_lo, v5
	v_and_b32_e32 v57, v187, v56
	v_and_b32_e32 v56, v189, v5
	v_mbcnt_lo_u32_b32 v5, v56, 0
	v_mbcnt_hi_u32_b32 v187, v57, v5
	v_cmp_eq_u32_e32 vcc, 0, v187
	v_cmp_ne_u64_e64 s[40:41], 0, v[56:57]
	s_and_b64 s[42:43], s[40:41], vcc
	; wave barrier
	s_and_saveexec_b64 s[40:41], s[42:43]
	s_cbranch_execz .LBB1044_160
; %bb.159:                              ;   in Loop: Header=BB1044_110 Depth=2
	v_bcnt_u32_b32 v5, v56, 0
	v_bcnt_u32_b32 v5, v57, v5
	s_waitcnt lgkmcnt(0)
	v_add_u32_e32 v5, v183, v5
	ds_write_b32 v185, v5
.LBB1044_160:                           ;   in Loop: Header=BB1044_110 Depth=2
	s_or_b64 exec, exec, s[40:41]
	s_waitcnt vmcnt(9)
	v_xor_b32_e32 v186, 0xffff8000, v186
	v_lshrrev_b32_sdwa v5, s99, v186 dst_sel:DWORD dst_unused:UNUSED_PAD src0_sel:DWORD src1_sel:WORD_0
	v_and_b32_e32 v56, s6, v5
	v_mul_u32_u24_e32 v5, 5, v56
	v_add_lshl_u32 v5, v5, v153, 2
	; wave barrier
	v_add_u32_e32 v190, 0x210, v5
	ds_read_b32 v189, v5 offset:528
	v_and_b32_e32 v5, 1, v56
	v_add_co_u32_e32 v57, vcc, -1, v5
	v_addc_co_u32_e64 v192, s[40:41], 0, -1, vcc
	v_cmp_ne_u32_e32 vcc, 0, v5
	v_xor_b32_e32 v5, vcc_hi, v192
	v_and_b32_e32 v192, exec_hi, v5
	v_lshlrev_b32_e32 v5, 30, v56
	v_xor_b32_e32 v57, vcc_lo, v57
	v_cmp_gt_i64_e32 vcc, 0, v[4:5]
	v_not_b32_e32 v5, v5
	v_ashrrev_i32_e32 v5, 31, v5
	v_and_b32_e32 v57, exec_lo, v57
	v_xor_b32_e32 v194, vcc_hi, v5
	v_xor_b32_e32 v5, vcc_lo, v5
	v_and_b32_e32 v57, v57, v5
	v_lshlrev_b32_e32 v5, 29, v56
	v_cmp_gt_i64_e32 vcc, 0, v[4:5]
	v_not_b32_e32 v5, v5
	v_ashrrev_i32_e32 v5, 31, v5
	v_and_b32_e32 v192, v192, v194
	v_xor_b32_e32 v194, vcc_hi, v5
	v_xor_b32_e32 v5, vcc_lo, v5
	v_and_b32_e32 v57, v57, v5
	v_lshlrev_b32_e32 v5, 28, v56
	v_cmp_gt_i64_e32 vcc, 0, v[4:5]
	v_not_b32_e32 v5, v5
	v_ashrrev_i32_e32 v5, 31, v5
	v_and_b32_e32 v192, v192, v194
	;; [unrolled: 8-line block ×4, first 2 shown]
	v_xor_b32_e32 v194, vcc_hi, v5
	v_xor_b32_e32 v5, vcc_lo, v5
	v_and_b32_e32 v192, v192, v194
	v_and_b32_e32 v194, v57, v5
	v_lshlrev_b32_e32 v5, 25, v56
	v_cmp_gt_i64_e32 vcc, 0, v[4:5]
	v_not_b32_e32 v5, v5
	v_ashrrev_i32_e32 v5, 31, v5
	v_xor_b32_e32 v56, vcc_hi, v5
	v_xor_b32_e32 v5, vcc_lo, v5
	v_and_b32_e32 v57, v192, v56
	v_and_b32_e32 v56, v194, v5
	v_mbcnt_lo_u32_b32 v5, v56, 0
	v_mbcnt_hi_u32_b32 v192, v57, v5
	v_cmp_eq_u32_e32 vcc, 0, v192
	v_cmp_ne_u64_e64 s[40:41], 0, v[56:57]
	s_and_b64 s[42:43], s[40:41], vcc
	; wave barrier
	s_and_saveexec_b64 s[40:41], s[42:43]
	s_cbranch_execz .LBB1044_162
; %bb.161:                              ;   in Loop: Header=BB1044_110 Depth=2
	v_bcnt_u32_b32 v5, v56, 0
	v_bcnt_u32_b32 v5, v57, v5
	s_waitcnt lgkmcnt(0)
	v_add_u32_e32 v5, v189, v5
	ds_write_b32 v190, v5
.LBB1044_162:                           ;   in Loop: Header=BB1044_110 Depth=2
	s_or_b64 exec, exec, s[40:41]
	s_waitcnt vmcnt(8)
	v_xor_b32_e32 v191, 0xffff8000, v191
	v_lshrrev_b32_sdwa v5, s99, v191 dst_sel:DWORD dst_unused:UNUSED_PAD src0_sel:DWORD src1_sel:WORD_0
	v_and_b32_e32 v56, s6, v5
	v_mul_u32_u24_e32 v5, 5, v56
	v_add_lshl_u32 v5, v5, v153, 2
	; wave barrier
	v_add_u32_e32 v195, 0x210, v5
	ds_read_b32 v194, v5 offset:528
	v_and_b32_e32 v5, 1, v56
	v_add_co_u32_e32 v57, vcc, -1, v5
	v_addc_co_u32_e64 v196, s[40:41], 0, -1, vcc
	v_cmp_ne_u32_e32 vcc, 0, v5
	v_xor_b32_e32 v5, vcc_hi, v196
	v_and_b32_e32 v196, exec_hi, v5
	v_lshlrev_b32_e32 v5, 30, v56
	v_xor_b32_e32 v57, vcc_lo, v57
	v_cmp_gt_i64_e32 vcc, 0, v[4:5]
	v_not_b32_e32 v5, v5
	v_ashrrev_i32_e32 v5, 31, v5
	v_and_b32_e32 v57, exec_lo, v57
	v_xor_b32_e32 v197, vcc_hi, v5
	v_xor_b32_e32 v5, vcc_lo, v5
	v_and_b32_e32 v57, v57, v5
	v_lshlrev_b32_e32 v5, 29, v56
	v_cmp_gt_i64_e32 vcc, 0, v[4:5]
	v_not_b32_e32 v5, v5
	v_ashrrev_i32_e32 v5, 31, v5
	v_and_b32_e32 v196, v196, v197
	v_xor_b32_e32 v197, vcc_hi, v5
	v_xor_b32_e32 v5, vcc_lo, v5
	v_and_b32_e32 v57, v57, v5
	v_lshlrev_b32_e32 v5, 28, v56
	v_cmp_gt_i64_e32 vcc, 0, v[4:5]
	v_not_b32_e32 v5, v5
	v_ashrrev_i32_e32 v5, 31, v5
	v_and_b32_e32 v196, v196, v197
	;; [unrolled: 8-line block ×4, first 2 shown]
	v_xor_b32_e32 v197, vcc_hi, v5
	v_xor_b32_e32 v5, vcc_lo, v5
	v_and_b32_e32 v196, v196, v197
	v_and_b32_e32 v197, v57, v5
	v_lshlrev_b32_e32 v5, 25, v56
	v_cmp_gt_i64_e32 vcc, 0, v[4:5]
	v_not_b32_e32 v5, v5
	v_ashrrev_i32_e32 v5, 31, v5
	v_xor_b32_e32 v56, vcc_hi, v5
	v_xor_b32_e32 v5, vcc_lo, v5
	v_and_b32_e32 v57, v196, v56
	v_and_b32_e32 v56, v197, v5
	v_mbcnt_lo_u32_b32 v5, v56, 0
	v_mbcnt_hi_u32_b32 v196, v57, v5
	v_cmp_eq_u32_e32 vcc, 0, v196
	v_cmp_ne_u64_e64 s[40:41], 0, v[56:57]
	s_and_b64 s[42:43], s[40:41], vcc
	; wave barrier
	s_and_saveexec_b64 s[40:41], s[42:43]
	s_cbranch_execz .LBB1044_164
; %bb.163:                              ;   in Loop: Header=BB1044_110 Depth=2
	v_bcnt_u32_b32 v5, v56, 0
	v_bcnt_u32_b32 v5, v57, v5
	s_waitcnt lgkmcnt(0)
	v_add_u32_e32 v5, v194, v5
	ds_write_b32 v195, v5
.LBB1044_164:                           ;   in Loop: Header=BB1044_110 Depth=2
	s_or_b64 exec, exec, s[40:41]
	s_waitcnt vmcnt(7)
	v_xor_b32_e32 v193, 0xffff8000, v193
	v_lshrrev_b32_sdwa v5, s99, v193 dst_sel:DWORD dst_unused:UNUSED_PAD src0_sel:DWORD src1_sel:WORD_0
	v_and_b32_e32 v56, s6, v5
	v_mul_u32_u24_e32 v5, 5, v56
	v_add_lshl_u32 v5, v5, v153, 2
	; wave barrier
	v_add_u32_e32 v198, 0x210, v5
	ds_read_b32 v197, v5 offset:528
	v_and_b32_e32 v5, 1, v56
	v_add_co_u32_e32 v57, vcc, -1, v5
	v_addc_co_u32_e64 v199, s[40:41], 0, -1, vcc
	v_cmp_ne_u32_e32 vcc, 0, v5
	v_xor_b32_e32 v5, vcc_hi, v199
	v_and_b32_e32 v199, exec_hi, v5
	v_lshlrev_b32_e32 v5, 30, v56
	v_xor_b32_e32 v57, vcc_lo, v57
	v_cmp_gt_i64_e32 vcc, 0, v[4:5]
	v_not_b32_e32 v5, v5
	v_ashrrev_i32_e32 v5, 31, v5
	v_and_b32_e32 v57, exec_lo, v57
	v_xor_b32_e32 v200, vcc_hi, v5
	v_xor_b32_e32 v5, vcc_lo, v5
	v_and_b32_e32 v57, v57, v5
	v_lshlrev_b32_e32 v5, 29, v56
	v_cmp_gt_i64_e32 vcc, 0, v[4:5]
	v_not_b32_e32 v5, v5
	v_ashrrev_i32_e32 v5, 31, v5
	v_and_b32_e32 v199, v199, v200
	v_xor_b32_e32 v200, vcc_hi, v5
	v_xor_b32_e32 v5, vcc_lo, v5
	v_and_b32_e32 v57, v57, v5
	v_lshlrev_b32_e32 v5, 28, v56
	v_cmp_gt_i64_e32 vcc, 0, v[4:5]
	v_not_b32_e32 v5, v5
	v_ashrrev_i32_e32 v5, 31, v5
	v_and_b32_e32 v199, v199, v200
	;; [unrolled: 8-line block ×4, first 2 shown]
	v_xor_b32_e32 v200, vcc_hi, v5
	v_xor_b32_e32 v5, vcc_lo, v5
	v_and_b32_e32 v199, v199, v200
	v_and_b32_e32 v200, v57, v5
	v_lshlrev_b32_e32 v5, 25, v56
	v_cmp_gt_i64_e32 vcc, 0, v[4:5]
	v_not_b32_e32 v5, v5
	v_ashrrev_i32_e32 v5, 31, v5
	v_xor_b32_e32 v56, vcc_hi, v5
	v_xor_b32_e32 v5, vcc_lo, v5
	v_and_b32_e32 v57, v199, v56
	v_and_b32_e32 v56, v200, v5
	v_mbcnt_lo_u32_b32 v5, v56, 0
	v_mbcnt_hi_u32_b32 v199, v57, v5
	v_cmp_eq_u32_e32 vcc, 0, v199
	v_cmp_ne_u64_e64 s[40:41], 0, v[56:57]
	s_and_b64 s[42:43], s[40:41], vcc
	; wave barrier
	s_and_saveexec_b64 s[40:41], s[42:43]
	s_cbranch_execz .LBB1044_166
; %bb.165:                              ;   in Loop: Header=BB1044_110 Depth=2
	v_bcnt_u32_b32 v5, v56, 0
	v_bcnt_u32_b32 v5, v57, v5
	s_waitcnt lgkmcnt(0)
	v_add_u32_e32 v5, v197, v5
	ds_write_b32 v198, v5
.LBB1044_166:                           ;   in Loop: Header=BB1044_110 Depth=2
	s_or_b64 exec, exec, s[40:41]
	s_waitcnt vmcnt(6)
	v_xor_b32_e32 v188, 0xffff8000, v188
	v_lshrrev_b32_sdwa v5, s99, v188 dst_sel:DWORD dst_unused:UNUSED_PAD src0_sel:DWORD src1_sel:WORD_0
	v_and_b32_e32 v56, s6, v5
	v_mul_u32_u24_e32 v5, 5, v56
	v_add_lshl_u32 v5, v5, v153, 2
	; wave barrier
	v_add_u32_e32 v201, 0x210, v5
	ds_read_b32 v200, v5 offset:528
	v_and_b32_e32 v5, 1, v56
	v_add_co_u32_e32 v57, vcc, -1, v5
	v_addc_co_u32_e64 v202, s[40:41], 0, -1, vcc
	v_cmp_ne_u32_e32 vcc, 0, v5
	v_xor_b32_e32 v5, vcc_hi, v202
	v_and_b32_e32 v202, exec_hi, v5
	v_lshlrev_b32_e32 v5, 30, v56
	v_xor_b32_e32 v57, vcc_lo, v57
	v_cmp_gt_i64_e32 vcc, 0, v[4:5]
	v_not_b32_e32 v5, v5
	v_ashrrev_i32_e32 v5, 31, v5
	v_and_b32_e32 v57, exec_lo, v57
	v_xor_b32_e32 v203, vcc_hi, v5
	v_xor_b32_e32 v5, vcc_lo, v5
	v_and_b32_e32 v57, v57, v5
	v_lshlrev_b32_e32 v5, 29, v56
	v_cmp_gt_i64_e32 vcc, 0, v[4:5]
	v_not_b32_e32 v5, v5
	v_ashrrev_i32_e32 v5, 31, v5
	v_and_b32_e32 v202, v202, v203
	v_xor_b32_e32 v203, vcc_hi, v5
	v_xor_b32_e32 v5, vcc_lo, v5
	v_and_b32_e32 v57, v57, v5
	v_lshlrev_b32_e32 v5, 28, v56
	v_cmp_gt_i64_e32 vcc, 0, v[4:5]
	v_not_b32_e32 v5, v5
	v_ashrrev_i32_e32 v5, 31, v5
	v_and_b32_e32 v202, v202, v203
	;; [unrolled: 8-line block ×4, first 2 shown]
	v_xor_b32_e32 v203, vcc_hi, v5
	v_xor_b32_e32 v5, vcc_lo, v5
	v_and_b32_e32 v202, v202, v203
	v_and_b32_e32 v203, v57, v5
	v_lshlrev_b32_e32 v5, 25, v56
	v_cmp_gt_i64_e32 vcc, 0, v[4:5]
	v_not_b32_e32 v5, v5
	v_ashrrev_i32_e32 v5, 31, v5
	v_xor_b32_e32 v56, vcc_hi, v5
	v_xor_b32_e32 v5, vcc_lo, v5
	v_and_b32_e32 v57, v202, v56
	v_and_b32_e32 v56, v203, v5
	v_mbcnt_lo_u32_b32 v5, v56, 0
	v_mbcnt_hi_u32_b32 v202, v57, v5
	v_cmp_eq_u32_e32 vcc, 0, v202
	v_cmp_ne_u64_e64 s[40:41], 0, v[56:57]
	s_and_b64 s[42:43], s[40:41], vcc
	; wave barrier
	s_and_saveexec_b64 s[40:41], s[42:43]
	s_cbranch_execz .LBB1044_168
; %bb.167:                              ;   in Loop: Header=BB1044_110 Depth=2
	v_bcnt_u32_b32 v5, v56, 0
	v_bcnt_u32_b32 v5, v57, v5
	s_waitcnt lgkmcnt(0)
	v_add_u32_e32 v5, v200, v5
	ds_write_b32 v201, v5
.LBB1044_168:                           ;   in Loop: Header=BB1044_110 Depth=2
	s_or_b64 exec, exec, s[40:41]
	s_waitcnt vmcnt(5)
	v_xor_b32_e32 v184, 0xffff8000, v184
	v_lshrrev_b32_sdwa v5, s99, v184 dst_sel:DWORD dst_unused:UNUSED_PAD src0_sel:DWORD src1_sel:WORD_0
	v_and_b32_e32 v56, s6, v5
	v_mul_u32_u24_e32 v5, 5, v56
	v_add_lshl_u32 v5, v5, v153, 2
	; wave barrier
	v_add_u32_e32 v205, 0x210, v5
	ds_read_b32 v203, v5 offset:528
	v_and_b32_e32 v5, 1, v56
	v_add_co_u32_e32 v57, vcc, -1, v5
	v_addc_co_u32_e64 v204, s[40:41], 0, -1, vcc
	v_cmp_ne_u32_e32 vcc, 0, v5
	v_xor_b32_e32 v5, vcc_hi, v204
	v_and_b32_e32 v204, exec_hi, v5
	v_lshlrev_b32_e32 v5, 30, v56
	v_xor_b32_e32 v57, vcc_lo, v57
	v_cmp_gt_i64_e32 vcc, 0, v[4:5]
	v_not_b32_e32 v5, v5
	v_ashrrev_i32_e32 v5, 31, v5
	v_and_b32_e32 v57, exec_lo, v57
	v_xor_b32_e32 v206, vcc_hi, v5
	v_xor_b32_e32 v5, vcc_lo, v5
	v_and_b32_e32 v57, v57, v5
	v_lshlrev_b32_e32 v5, 29, v56
	v_cmp_gt_i64_e32 vcc, 0, v[4:5]
	v_not_b32_e32 v5, v5
	v_ashrrev_i32_e32 v5, 31, v5
	v_and_b32_e32 v204, v204, v206
	v_xor_b32_e32 v206, vcc_hi, v5
	v_xor_b32_e32 v5, vcc_lo, v5
	v_and_b32_e32 v57, v57, v5
	v_lshlrev_b32_e32 v5, 28, v56
	v_cmp_gt_i64_e32 vcc, 0, v[4:5]
	v_not_b32_e32 v5, v5
	v_ashrrev_i32_e32 v5, 31, v5
	v_and_b32_e32 v204, v204, v206
	;; [unrolled: 8-line block ×4, first 2 shown]
	v_xor_b32_e32 v206, vcc_hi, v5
	v_xor_b32_e32 v5, vcc_lo, v5
	v_and_b32_e32 v204, v204, v206
	v_and_b32_e32 v206, v57, v5
	v_lshlrev_b32_e32 v5, 25, v56
	v_cmp_gt_i64_e32 vcc, 0, v[4:5]
	v_not_b32_e32 v5, v5
	v_ashrrev_i32_e32 v5, 31, v5
	v_xor_b32_e32 v56, vcc_hi, v5
	v_xor_b32_e32 v5, vcc_lo, v5
	v_and_b32_e32 v57, v204, v56
	v_and_b32_e32 v56, v206, v5
	v_mbcnt_lo_u32_b32 v5, v56, 0
	v_mbcnt_hi_u32_b32 v206, v57, v5
	v_cmp_eq_u32_e32 vcc, 0, v206
	v_cmp_ne_u64_e64 s[40:41], 0, v[56:57]
	s_and_b64 s[42:43], s[40:41], vcc
	; wave barrier
	s_and_saveexec_b64 s[40:41], s[42:43]
	s_cbranch_execz .LBB1044_170
; %bb.169:                              ;   in Loop: Header=BB1044_110 Depth=2
	v_bcnt_u32_b32 v5, v56, 0
	v_bcnt_u32_b32 v5, v57, v5
	s_waitcnt lgkmcnt(0)
	v_add_u32_e32 v5, v203, v5
	ds_write_b32 v205, v5
.LBB1044_170:                           ;   in Loop: Header=BB1044_110 Depth=2
	s_or_b64 exec, exec, s[40:41]
	s_waitcnt vmcnt(4)
	v_xor_b32_e32 v204, 0xffff8000, v179
	v_lshrrev_b32_sdwa v5, s99, v204 dst_sel:DWORD dst_unused:UNUSED_PAD src0_sel:DWORD src1_sel:WORD_0
	v_and_b32_e32 v56, s6, v5
	v_mul_u32_u24_e32 v5, 5, v56
	v_add_lshl_u32 v5, v5, v153, 2
	; wave barrier
	v_add_u32_e32 v179, 0x210, v5
	ds_read_b32 v207, v5 offset:528
	v_and_b32_e32 v5, 1, v56
	v_add_co_u32_e32 v57, vcc, -1, v5
	v_addc_co_u32_e64 v208, s[40:41], 0, -1, vcc
	v_cmp_ne_u32_e32 vcc, 0, v5
	v_xor_b32_e32 v5, vcc_hi, v208
	v_and_b32_e32 v208, exec_hi, v5
	v_lshlrev_b32_e32 v5, 30, v56
	v_xor_b32_e32 v57, vcc_lo, v57
	v_cmp_gt_i64_e32 vcc, 0, v[4:5]
	v_not_b32_e32 v5, v5
	v_ashrrev_i32_e32 v5, 31, v5
	v_and_b32_e32 v57, exec_lo, v57
	v_xor_b32_e32 v209, vcc_hi, v5
	v_xor_b32_e32 v5, vcc_lo, v5
	v_and_b32_e32 v57, v57, v5
	v_lshlrev_b32_e32 v5, 29, v56
	v_cmp_gt_i64_e32 vcc, 0, v[4:5]
	v_not_b32_e32 v5, v5
	v_ashrrev_i32_e32 v5, 31, v5
	v_and_b32_e32 v208, v208, v209
	v_xor_b32_e32 v209, vcc_hi, v5
	v_xor_b32_e32 v5, vcc_lo, v5
	v_and_b32_e32 v57, v57, v5
	v_lshlrev_b32_e32 v5, 28, v56
	v_cmp_gt_i64_e32 vcc, 0, v[4:5]
	v_not_b32_e32 v5, v5
	v_ashrrev_i32_e32 v5, 31, v5
	v_and_b32_e32 v208, v208, v209
	;; [unrolled: 8-line block ×4, first 2 shown]
	v_xor_b32_e32 v209, vcc_hi, v5
	v_xor_b32_e32 v5, vcc_lo, v5
	v_and_b32_e32 v208, v208, v209
	v_and_b32_e32 v209, v57, v5
	v_lshlrev_b32_e32 v5, 25, v56
	v_cmp_gt_i64_e32 vcc, 0, v[4:5]
	v_not_b32_e32 v5, v5
	v_ashrrev_i32_e32 v5, 31, v5
	v_xor_b32_e32 v56, vcc_hi, v5
	v_xor_b32_e32 v5, vcc_lo, v5
	v_and_b32_e32 v57, v208, v56
	v_and_b32_e32 v56, v209, v5
	v_mbcnt_lo_u32_b32 v5, v56, 0
	v_mbcnt_hi_u32_b32 v209, v57, v5
	v_cmp_eq_u32_e32 vcc, 0, v209
	v_cmp_ne_u64_e64 s[40:41], 0, v[56:57]
	s_and_b64 s[42:43], s[40:41], vcc
	; wave barrier
	s_and_saveexec_b64 s[40:41], s[42:43]
	s_cbranch_execz .LBB1044_172
; %bb.171:                              ;   in Loop: Header=BB1044_110 Depth=2
	v_bcnt_u32_b32 v5, v56, 0
	v_bcnt_u32_b32 v5, v57, v5
	s_waitcnt lgkmcnt(0)
	v_add_u32_e32 v5, v207, v5
	ds_write_b32 v179, v5
.LBB1044_172:                           ;   in Loop: Header=BB1044_110 Depth=2
	s_or_b64 exec, exec, s[40:41]
	s_waitcnt vmcnt(3)
	v_xor_b32_e32 v208, 0xffff8000, v174
	v_lshrrev_b32_sdwa v5, s99, v208 dst_sel:DWORD dst_unused:UNUSED_PAD src0_sel:DWORD src1_sel:WORD_0
	v_and_b32_e32 v56, s6, v5
	v_mul_u32_u24_e32 v5, 5, v56
	v_add_lshl_u32 v5, v5, v153, 2
	; wave barrier
	v_add_u32_e32 v174, 0x210, v5
	ds_read_b32 v210, v5 offset:528
	v_and_b32_e32 v5, 1, v56
	v_add_co_u32_e32 v57, vcc, -1, v5
	v_addc_co_u32_e64 v211, s[40:41], 0, -1, vcc
	v_cmp_ne_u32_e32 vcc, 0, v5
	v_xor_b32_e32 v5, vcc_hi, v211
	v_and_b32_e32 v211, exec_hi, v5
	v_lshlrev_b32_e32 v5, 30, v56
	v_xor_b32_e32 v57, vcc_lo, v57
	v_cmp_gt_i64_e32 vcc, 0, v[4:5]
	v_not_b32_e32 v5, v5
	v_ashrrev_i32_e32 v5, 31, v5
	v_and_b32_e32 v57, exec_lo, v57
	v_xor_b32_e32 v212, vcc_hi, v5
	v_xor_b32_e32 v5, vcc_lo, v5
	v_and_b32_e32 v57, v57, v5
	v_lshlrev_b32_e32 v5, 29, v56
	v_cmp_gt_i64_e32 vcc, 0, v[4:5]
	v_not_b32_e32 v5, v5
	v_ashrrev_i32_e32 v5, 31, v5
	v_and_b32_e32 v211, v211, v212
	v_xor_b32_e32 v212, vcc_hi, v5
	v_xor_b32_e32 v5, vcc_lo, v5
	v_and_b32_e32 v57, v57, v5
	v_lshlrev_b32_e32 v5, 28, v56
	v_cmp_gt_i64_e32 vcc, 0, v[4:5]
	v_not_b32_e32 v5, v5
	v_ashrrev_i32_e32 v5, 31, v5
	v_and_b32_e32 v211, v211, v212
	;; [unrolled: 8-line block ×4, first 2 shown]
	v_xor_b32_e32 v212, vcc_hi, v5
	v_xor_b32_e32 v5, vcc_lo, v5
	v_and_b32_e32 v211, v211, v212
	v_and_b32_e32 v212, v57, v5
	v_lshlrev_b32_e32 v5, 25, v56
	v_cmp_gt_i64_e32 vcc, 0, v[4:5]
	v_not_b32_e32 v5, v5
	v_ashrrev_i32_e32 v5, 31, v5
	v_xor_b32_e32 v56, vcc_hi, v5
	v_xor_b32_e32 v5, vcc_lo, v5
	v_and_b32_e32 v57, v211, v56
	v_and_b32_e32 v56, v212, v5
	v_mbcnt_lo_u32_b32 v5, v56, 0
	v_mbcnt_hi_u32_b32 v212, v57, v5
	v_cmp_eq_u32_e32 vcc, 0, v212
	v_cmp_ne_u64_e64 s[40:41], 0, v[56:57]
	s_and_b64 s[42:43], s[40:41], vcc
	; wave barrier
	s_and_saveexec_b64 s[40:41], s[42:43]
	s_cbranch_execz .LBB1044_174
; %bb.173:                              ;   in Loop: Header=BB1044_110 Depth=2
	v_bcnt_u32_b32 v5, v56, 0
	v_bcnt_u32_b32 v5, v57, v5
	s_waitcnt lgkmcnt(0)
	v_add_u32_e32 v5, v210, v5
	ds_write_b32 v174, v5
.LBB1044_174:                           ;   in Loop: Header=BB1044_110 Depth=2
	s_or_b64 exec, exec, s[40:41]
	s_waitcnt vmcnt(2)
	v_xor_b32_e32 v211, 0xffff8000, v169
	v_lshrrev_b32_sdwa v5, s99, v211 dst_sel:DWORD dst_unused:UNUSED_PAD src0_sel:DWORD src1_sel:WORD_0
	v_and_b32_e32 v56, s6, v5
	v_mul_u32_u24_e32 v5, 5, v56
	v_add_lshl_u32 v5, v5, v153, 2
	; wave barrier
	v_add_u32_e32 v169, 0x210, v5
	ds_read_b32 v213, v5 offset:528
	v_and_b32_e32 v5, 1, v56
	v_add_co_u32_e32 v57, vcc, -1, v5
	v_addc_co_u32_e64 v214, s[40:41], 0, -1, vcc
	v_cmp_ne_u32_e32 vcc, 0, v5
	v_xor_b32_e32 v5, vcc_hi, v214
	v_and_b32_e32 v214, exec_hi, v5
	v_lshlrev_b32_e32 v5, 30, v56
	v_xor_b32_e32 v57, vcc_lo, v57
	v_cmp_gt_i64_e32 vcc, 0, v[4:5]
	v_not_b32_e32 v5, v5
	v_ashrrev_i32_e32 v5, 31, v5
	v_and_b32_e32 v57, exec_lo, v57
	v_xor_b32_e32 v215, vcc_hi, v5
	v_xor_b32_e32 v5, vcc_lo, v5
	v_and_b32_e32 v57, v57, v5
	v_lshlrev_b32_e32 v5, 29, v56
	v_cmp_gt_i64_e32 vcc, 0, v[4:5]
	v_not_b32_e32 v5, v5
	v_ashrrev_i32_e32 v5, 31, v5
	v_and_b32_e32 v214, v214, v215
	v_xor_b32_e32 v215, vcc_hi, v5
	v_xor_b32_e32 v5, vcc_lo, v5
	v_and_b32_e32 v57, v57, v5
	v_lshlrev_b32_e32 v5, 28, v56
	v_cmp_gt_i64_e32 vcc, 0, v[4:5]
	v_not_b32_e32 v5, v5
	v_ashrrev_i32_e32 v5, 31, v5
	v_and_b32_e32 v214, v214, v215
	;; [unrolled: 8-line block ×4, first 2 shown]
	v_xor_b32_e32 v215, vcc_hi, v5
	v_xor_b32_e32 v5, vcc_lo, v5
	v_and_b32_e32 v214, v214, v215
	v_and_b32_e32 v215, v57, v5
	v_lshlrev_b32_e32 v5, 25, v56
	v_cmp_gt_i64_e32 vcc, 0, v[4:5]
	v_not_b32_e32 v5, v5
	v_ashrrev_i32_e32 v5, 31, v5
	v_xor_b32_e32 v56, vcc_hi, v5
	v_xor_b32_e32 v5, vcc_lo, v5
	v_and_b32_e32 v57, v214, v56
	v_and_b32_e32 v56, v215, v5
	v_mbcnt_lo_u32_b32 v5, v56, 0
	v_mbcnt_hi_u32_b32 v215, v57, v5
	v_cmp_eq_u32_e32 vcc, 0, v215
	v_cmp_ne_u64_e64 s[40:41], 0, v[56:57]
	s_and_b64 s[42:43], s[40:41], vcc
	; wave barrier
	s_and_saveexec_b64 s[40:41], s[42:43]
	s_cbranch_execz .LBB1044_176
; %bb.175:                              ;   in Loop: Header=BB1044_110 Depth=2
	v_bcnt_u32_b32 v5, v56, 0
	v_bcnt_u32_b32 v5, v57, v5
	s_waitcnt lgkmcnt(0)
	v_add_u32_e32 v5, v213, v5
	ds_write_b32 v169, v5
.LBB1044_176:                           ;   in Loop: Header=BB1044_110 Depth=2
	s_or_b64 exec, exec, s[40:41]
	s_waitcnt vmcnt(0)
	v_xor_b32_e32 v214, 0xffff8000, v164
	v_lshrrev_b32_sdwa v5, s99, v214 dst_sel:DWORD dst_unused:UNUSED_PAD src0_sel:DWORD src1_sel:WORD_0
	v_and_b32_e32 v56, s6, v5
	v_mul_u32_u24_e32 v5, 5, v56
	v_add_lshl_u32 v5, v5, v153, 2
	; wave barrier
	v_add_u32_e32 v164, 0x210, v5
	ds_read_b32 v216, v5 offset:528
	v_and_b32_e32 v5, 1, v56
	v_add_co_u32_e32 v57, vcc, -1, v5
	v_addc_co_u32_e64 v217, s[40:41], 0, -1, vcc
	v_cmp_ne_u32_e32 vcc, 0, v5
	v_xor_b32_e32 v5, vcc_hi, v217
	v_and_b32_e32 v217, exec_hi, v5
	v_lshlrev_b32_e32 v5, 30, v56
	v_xor_b32_e32 v57, vcc_lo, v57
	v_cmp_gt_i64_e32 vcc, 0, v[4:5]
	v_not_b32_e32 v5, v5
	v_ashrrev_i32_e32 v5, 31, v5
	v_and_b32_e32 v57, exec_lo, v57
	v_xor_b32_e32 v218, vcc_hi, v5
	v_xor_b32_e32 v5, vcc_lo, v5
	v_and_b32_e32 v57, v57, v5
	v_lshlrev_b32_e32 v5, 29, v56
	v_cmp_gt_i64_e32 vcc, 0, v[4:5]
	v_not_b32_e32 v5, v5
	v_ashrrev_i32_e32 v5, 31, v5
	v_and_b32_e32 v217, v217, v218
	v_xor_b32_e32 v218, vcc_hi, v5
	v_xor_b32_e32 v5, vcc_lo, v5
	v_and_b32_e32 v57, v57, v5
	v_lshlrev_b32_e32 v5, 28, v56
	v_cmp_gt_i64_e32 vcc, 0, v[4:5]
	v_not_b32_e32 v5, v5
	v_ashrrev_i32_e32 v5, 31, v5
	v_and_b32_e32 v217, v217, v218
	;; [unrolled: 8-line block ×4, first 2 shown]
	v_xor_b32_e32 v218, vcc_hi, v5
	v_xor_b32_e32 v5, vcc_lo, v5
	v_and_b32_e32 v217, v217, v218
	v_and_b32_e32 v218, v57, v5
	v_lshlrev_b32_e32 v5, 25, v56
	v_cmp_gt_i64_e32 vcc, 0, v[4:5]
	v_not_b32_e32 v5, v5
	v_ashrrev_i32_e32 v5, 31, v5
	v_xor_b32_e32 v56, vcc_hi, v5
	v_xor_b32_e32 v5, vcc_lo, v5
	v_and_b32_e32 v57, v217, v56
	v_and_b32_e32 v56, v218, v5
	v_mbcnt_lo_u32_b32 v5, v56, 0
	v_mbcnt_hi_u32_b32 v218, v57, v5
	v_cmp_eq_u32_e32 vcc, 0, v218
	v_cmp_ne_u64_e64 s[40:41], 0, v[56:57]
	s_and_b64 s[42:43], s[40:41], vcc
	; wave barrier
	s_and_saveexec_b64 s[40:41], s[42:43]
	s_cbranch_execz .LBB1044_178
; %bb.177:                              ;   in Loop: Header=BB1044_110 Depth=2
	v_bcnt_u32_b32 v5, v56, 0
	v_bcnt_u32_b32 v5, v57, v5
	s_waitcnt lgkmcnt(0)
	v_add_u32_e32 v5, v216, v5
	ds_write_b32 v164, v5
.LBB1044_178:                           ;   in Loop: Header=BB1044_110 Depth=2
	s_or_b64 exec, exec, s[40:41]
	v_xor_b32_e32 v217, 0xffff8000, v159
	v_lshrrev_b32_sdwa v5, s99, v217 dst_sel:DWORD dst_unused:UNUSED_PAD src0_sel:DWORD src1_sel:WORD_0
	v_and_b32_e32 v56, s6, v5
	v_mul_u32_u24_e32 v5, 5, v56
	v_add_lshl_u32 v5, v5, v153, 2
	; wave barrier
	v_add_u32_e32 v159, 0x210, v5
	ds_read_b32 v219, v5 offset:528
	v_and_b32_e32 v5, 1, v56
	v_add_co_u32_e32 v57, vcc, -1, v5
	v_addc_co_u32_e64 v220, s[40:41], 0, -1, vcc
	v_cmp_ne_u32_e32 vcc, 0, v5
	v_xor_b32_e32 v5, vcc_hi, v220
	v_and_b32_e32 v220, exec_hi, v5
	v_lshlrev_b32_e32 v5, 30, v56
	v_xor_b32_e32 v57, vcc_lo, v57
	v_cmp_gt_i64_e32 vcc, 0, v[4:5]
	v_not_b32_e32 v5, v5
	v_ashrrev_i32_e32 v5, 31, v5
	v_and_b32_e32 v57, exec_lo, v57
	v_xor_b32_e32 v221, vcc_hi, v5
	v_xor_b32_e32 v5, vcc_lo, v5
	v_and_b32_e32 v57, v57, v5
	v_lshlrev_b32_e32 v5, 29, v56
	v_cmp_gt_i64_e32 vcc, 0, v[4:5]
	v_not_b32_e32 v5, v5
	v_ashrrev_i32_e32 v5, 31, v5
	v_and_b32_e32 v220, v220, v221
	v_xor_b32_e32 v221, vcc_hi, v5
	v_xor_b32_e32 v5, vcc_lo, v5
	v_and_b32_e32 v57, v57, v5
	v_lshlrev_b32_e32 v5, 28, v56
	v_cmp_gt_i64_e32 vcc, 0, v[4:5]
	v_not_b32_e32 v5, v5
	v_ashrrev_i32_e32 v5, 31, v5
	v_and_b32_e32 v220, v220, v221
	;; [unrolled: 8-line block ×4, first 2 shown]
	v_xor_b32_e32 v221, vcc_hi, v5
	v_xor_b32_e32 v5, vcc_lo, v5
	v_and_b32_e32 v220, v220, v221
	v_and_b32_e32 v221, v57, v5
	v_lshlrev_b32_e32 v5, 25, v56
	v_cmp_gt_i64_e32 vcc, 0, v[4:5]
	v_not_b32_e32 v5, v5
	v_ashrrev_i32_e32 v5, 31, v5
	v_xor_b32_e32 v56, vcc_hi, v5
	v_xor_b32_e32 v5, vcc_lo, v5
	v_and_b32_e32 v57, v220, v56
	v_and_b32_e32 v56, v221, v5
	v_mbcnt_lo_u32_b32 v5, v56, 0
	v_mbcnt_hi_u32_b32 v221, v57, v5
	v_cmp_eq_u32_e32 vcc, 0, v221
	v_cmp_ne_u64_e64 s[40:41], 0, v[56:57]
	s_and_b64 s[42:43], s[40:41], vcc
	; wave barrier
	s_and_saveexec_b64 s[40:41], s[42:43]
	s_cbranch_execz .LBB1044_180
; %bb.179:                              ;   in Loop: Header=BB1044_110 Depth=2
	v_bcnt_u32_b32 v5, v56, 0
	v_bcnt_u32_b32 v5, v57, v5
	s_waitcnt lgkmcnt(0)
	v_add_u32_e32 v5, v219, v5
	ds_write_b32 v159, v5
.LBB1044_180:                           ;   in Loop: Header=BB1044_110 Depth=2
	s_or_b64 exec, exec, s[40:41]
	v_xor_b32_e32 v220, 0xffff8000, v166
	v_lshrrev_b32_sdwa v5, s99, v220 dst_sel:DWORD dst_unused:UNUSED_PAD src0_sel:DWORD src1_sel:WORD_0
	v_and_b32_e32 v56, s6, v5
	v_mul_u32_u24_e32 v5, 5, v56
	v_add_lshl_u32 v5, v5, v153, 2
	; wave barrier
	v_add_u32_e32 v166, 0x210, v5
	ds_read_b32 v222, v5 offset:528
	v_and_b32_e32 v5, 1, v56
	v_add_co_u32_e32 v57, vcc, -1, v5
	v_addc_co_u32_e64 v223, s[40:41], 0, -1, vcc
	v_cmp_ne_u32_e32 vcc, 0, v5
	v_xor_b32_e32 v5, vcc_hi, v223
	v_and_b32_e32 v223, exec_hi, v5
	v_lshlrev_b32_e32 v5, 30, v56
	v_xor_b32_e32 v57, vcc_lo, v57
	v_cmp_gt_i64_e32 vcc, 0, v[4:5]
	v_not_b32_e32 v5, v5
	v_ashrrev_i32_e32 v5, 31, v5
	v_and_b32_e32 v57, exec_lo, v57
	v_xor_b32_e32 v224, vcc_hi, v5
	v_xor_b32_e32 v5, vcc_lo, v5
	v_and_b32_e32 v57, v57, v5
	v_lshlrev_b32_e32 v5, 29, v56
	v_cmp_gt_i64_e32 vcc, 0, v[4:5]
	v_not_b32_e32 v5, v5
	v_ashrrev_i32_e32 v5, 31, v5
	v_and_b32_e32 v223, v223, v224
	v_xor_b32_e32 v224, vcc_hi, v5
	v_xor_b32_e32 v5, vcc_lo, v5
	v_and_b32_e32 v57, v57, v5
	v_lshlrev_b32_e32 v5, 28, v56
	v_cmp_gt_i64_e32 vcc, 0, v[4:5]
	v_not_b32_e32 v5, v5
	v_ashrrev_i32_e32 v5, 31, v5
	v_and_b32_e32 v223, v223, v224
	;; [unrolled: 8-line block ×4, first 2 shown]
	v_xor_b32_e32 v224, vcc_hi, v5
	v_xor_b32_e32 v5, vcc_lo, v5
	v_and_b32_e32 v223, v223, v224
	v_and_b32_e32 v224, v57, v5
	v_lshlrev_b32_e32 v5, 25, v56
	v_cmp_gt_i64_e32 vcc, 0, v[4:5]
	v_not_b32_e32 v5, v5
	v_ashrrev_i32_e32 v5, 31, v5
	v_xor_b32_e32 v56, vcc_hi, v5
	v_xor_b32_e32 v5, vcc_lo, v5
	v_and_b32_e32 v57, v223, v56
	v_and_b32_e32 v56, v224, v5
	v_mbcnt_lo_u32_b32 v5, v56, 0
	v_mbcnt_hi_u32_b32 v5, v57, v5
	v_cmp_eq_u32_e32 vcc, 0, v5
	v_cmp_ne_u64_e64 s[40:41], 0, v[56:57]
	s_and_b64 s[42:43], s[40:41], vcc
	; wave barrier
	s_and_saveexec_b64 s[40:41], s[42:43]
	s_cbranch_execz .LBB1044_182
; %bb.181:                              ;   in Loop: Header=BB1044_110 Depth=2
	v_bcnt_u32_b32 v56, v56, 0
	v_bcnt_u32_b32 v56, v57, v56
	s_waitcnt lgkmcnt(0)
	v_add_u32_e32 v56, v222, v56
	ds_write_b32 v166, v56
.LBB1044_182:                           ;   in Loop: Header=BB1044_110 Depth=2
	s_or_b64 exec, exec, s[40:41]
	; wave barrier
	s_waitcnt lgkmcnt(0)
	s_barrier
	ds_read_b32 v223, v58 offset:528
	ds_read2_b32 v[56:57], v67 offset0:1 offset1:2
	s_waitcnt lgkmcnt(0)
	v_add3_u32 v57, v56, v223, v57
	s_nop 1
	v_mov_b32_dpp v224, v57 row_shr:1 row_mask:0xf bank_mask:0xf
	v_cndmask_b32_e64 v224, v224, 0, s[20:21]
	v_add_u32_e32 v57, v224, v57
	s_nop 1
	v_mov_b32_dpp v224, v57 row_shr:2 row_mask:0xf bank_mask:0xf
	v_cndmask_b32_e64 v224, 0, v224, s[22:23]
	v_add_u32_e32 v57, v57, v224
	;; [unrolled: 4-line block ×4, first 2 shown]
	s_nop 1
	v_mov_b32_dpp v224, v57 row_bcast:15 row_mask:0xf bank_mask:0xf
	v_cndmask_b32_e64 v224, v224, 0, s[28:29]
	v_add_u32_e32 v57, v57, v224
	s_nop 1
	v_mov_b32_dpp v224, v57 row_bcast:31 row_mask:0xf bank_mask:0xf
	v_cndmask_b32_e64 v224, 0, v224, s[30:31]
	v_add_u32_e32 v57, v57, v224
	s_and_saveexec_b64 s[40:41], s[12:13]
	s_cbranch_execz .LBB1044_184
; %bb.183:                              ;   in Loop: Header=BB1044_110 Depth=2
	ds_write_b32 v60, v57 offset:512
.LBB1044_184:                           ;   in Loop: Header=BB1044_110 Depth=2
	s_or_b64 exec, exec, s[40:41]
	s_waitcnt lgkmcnt(0)
	s_barrier
	s_and_saveexec_b64 s[40:41], s[14:15]
	s_cbranch_execz .LBB1044_186
; %bb.185:                              ;   in Loop: Header=BB1044_110 Depth=2
	ds_read_b32 v224, v69 offset:512
	s_waitcnt lgkmcnt(0)
	s_nop 0
	v_mov_b32_dpp v225, v224 row_shr:1 row_mask:0xf bank_mask:0xf
	v_cndmask_b32_e64 v225, v225, 0, s[36:37]
	v_add_u32_e32 v224, v225, v224
	s_nop 1
	v_mov_b32_dpp v225, v224 row_shr:2 row_mask:0xf bank_mask:0xf
	v_cndmask_b32_e64 v225, 0, v225, s[38:39]
	v_add_u32_e32 v224, v224, v225
	ds_write_b32 v69, v224 offset:512
.LBB1044_186:                           ;   in Loop: Header=BB1044_110 Depth=2
	s_or_b64 exec, exec, s[40:41]
	v_mov_b32_e32 v224, 0
	s_waitcnt lgkmcnt(0)
	s_barrier
	s_and_saveexec_b64 s[40:41], s[10:11]
	s_cbranch_execz .LBB1044_188
; %bb.187:                              ;   in Loop: Header=BB1044_110 Depth=2
	ds_read_b32 v224, v60 offset:508
.LBB1044_188:                           ;   in Loop: Header=BB1044_110 Depth=2
	s_or_b64 exec, exec, s[40:41]
	s_waitcnt lgkmcnt(0)
	v_add_u32_e32 v57, v224, v57
	ds_bpermute_b32 v57, v129, v57
	s_waitcnt lgkmcnt(0)
	v_cndmask_b32_e64 v57, v57, v224, s[34:35]
	v_cndmask_b32_e64 v57, v57, 0, s[16:17]
	v_add_u32_e32 v223, v57, v223
	v_add_u32_e32 v56, v223, v56
	ds_write_b32 v58, v57 offset:528
	ds_write2_b32 v67, v223, v56 offset0:1 offset1:2
	s_waitcnt lgkmcnt(0)
	s_barrier
	ds_read_b32 v56, v158
	ds_read_b32 v57, v163
	;; [unrolled: 1-line block ×17, first 2 shown]
	s_and_saveexec_b64 s[40:41], s[4:5]
	s_cbranch_execz .LBB1044_192
; %bb.189:                              ;   in Loop: Header=BB1044_110 Depth=2
	ds_read_b32 v154, v70 offset:528
	v_mov_b32_e32 v155, 0x1100
	s_and_saveexec_b64 s[42:43], s[18:19]
	s_cbranch_execz .LBB1044_191
; %bb.190:                              ;   in Loop: Header=BB1044_110 Depth=2
	ds_read_b32 v155, v70 offset:548
.LBB1044_191:                           ;   in Loop: Header=BB1044_110 Depth=2
	s_or_b64 exec, exec, s[42:43]
	s_waitcnt lgkmcnt(0)
	v_sub_u32_e32 v155, v155, v154
.LBB1044_192:                           ;   in Loop: Header=BB1044_110 Depth=2
	s_or_b64 exec, exec, s[40:41]
	s_waitcnt lgkmcnt(0)
	s_barrier
	s_and_saveexec_b64 s[40:41], s[4:5]
	s_cbranch_execz .LBB1044_194
; %bb.193:                              ;   in Loop: Header=BB1044_110 Depth=2
	ds_read_b32 v159, v3
	s_waitcnt lgkmcnt(0)
	v_sub_u32_e32 v159, v159, v154
	ds_write_b32 v3, v159
.LBB1044_194:                           ;   in Loop: Header=BB1044_110 Depth=2
	s_or_b64 exec, exec, s[40:41]
	v_add_u32_e32 v179, v56, v161
	v_add3_u32 v175, v167, v162, v57
	v_lshlrev_b32_e32 v56, 1, v179
	v_add3_u32 v174, v172, v168, v158
	ds_write_b16 v56, v157 offset:512
	v_lshlrev_b32_e32 v56, 1, v175
	v_add3_u32 v173, v177, v173, v163
	ds_write_b16 v56, v160 offset:512
	;; [unrolled: 3-line block ×15, first 2 shown]
	v_lshlrev_b32_e32 v56, 1, v158
	ds_write_b16 v56, v217 offset:512
	v_lshlrev_b32_e32 v56, 1, v5
	v_cmp_lt_u32_e64 s[40:41], v2, v156
	ds_write_b16 v56, v220 offset:512
	s_waitcnt lgkmcnt(0)
	s_barrier
	s_and_saveexec_b64 s[42:43], s[40:41]
	s_cbranch_execz .LBB1044_246
; %bb.195:                              ;   in Loop: Header=BB1044_110 Depth=2
	v_add_u32_e32 v56, v70, v75
	ds_read_u16 v56, v56 offset:512
	v_mov_b32_e32 v160, s79
	s_waitcnt lgkmcnt(0)
	v_lshrrev_b32_sdwa v57, s99, v56 dst_sel:DWORD dst_unused:UNUSED_PAD src0_sel:DWORD src1_sel:WORD_0
	v_and_b32_e32 v57, s6, v57
	v_lshlrev_b32_e32 v57, 2, v57
	ds_read_b32 v157, v57
	v_mov_b32_e32 v57, v4
	v_xor_b32_e32 v165, 0xffff8000, v56
	s_waitcnt lgkmcnt(0)
	v_add_u32_e32 v56, v157, v2
	v_lshlrev_b64 v[56:57], 1, v[56:57]
	v_add_co_u32_e32 v56, vcc, s78, v56
	v_addc_co_u32_e32 v57, vcc, v160, v57, vcc
	global_store_short v[56:57], v165, off
	s_or_b64 exec, exec, s[42:43]
	v_cmp_lt_u32_e64 s[42:43], v7, v156
	s_and_saveexec_b64 s[44:45], s[42:43]
	s_cbranch_execnz .LBB1044_247
.LBB1044_196:                           ;   in Loop: Header=BB1044_110 Depth=2
	s_or_b64 exec, exec, s[44:45]
	v_cmp_lt_u32_e64 s[44:45], v13, v156
	s_and_saveexec_b64 s[46:47], s[44:45]
	s_cbranch_execz .LBB1044_248
.LBB1044_197:                           ;   in Loop: Header=BB1044_110 Depth=2
	ds_read_u16 v56, v76 offset:1024
	v_mov_b32_e32 v160, s79
	s_waitcnt lgkmcnt(0)
	v_lshrrev_b32_sdwa v57, s99, v56 dst_sel:DWORD dst_unused:UNUSED_PAD src0_sel:DWORD src1_sel:WORD_0
	v_and_b32_e32 v57, s6, v57
	v_lshlrev_b32_e32 v57, 2, v57
	ds_read_b32 v157, v57
	v_mov_b32_e32 v57, v4
	v_xor_b32_e32 v165, 0xffff8000, v56
	s_waitcnt lgkmcnt(0)
	v_add_u32_e32 v56, v157, v13
	v_lshlrev_b64 v[56:57], 1, v[56:57]
	v_add_co_u32_e32 v56, vcc, s78, v56
	v_addc_co_u32_e32 v57, vcc, v160, v57, vcc
	global_store_short v[56:57], v165, off
	s_or_b64 exec, exec, s[46:47]
	v_cmp_lt_u32_e64 s[46:47], v15, v156
	s_and_saveexec_b64 s[48:49], s[46:47]
	s_cbranch_execnz .LBB1044_249
.LBB1044_198:                           ;   in Loop: Header=BB1044_110 Depth=2
	s_or_b64 exec, exec, s[48:49]
	v_cmp_lt_u32_e64 s[48:49], v17, v156
	s_and_saveexec_b64 s[50:51], s[48:49]
	s_cbranch_execz .LBB1044_250
.LBB1044_199:                           ;   in Loop: Header=BB1044_110 Depth=2
	ds_read_u16 v56, v76 offset:2048
	v_mov_b32_e32 v160, s79
	s_waitcnt lgkmcnt(0)
	v_lshrrev_b32_sdwa v57, s99, v56 dst_sel:DWORD dst_unused:UNUSED_PAD src0_sel:DWORD src1_sel:WORD_0
	v_and_b32_e32 v57, s6, v57
	v_lshlrev_b32_e32 v57, 2, v57
	ds_read_b32 v157, v57
	v_mov_b32_e32 v57, v4
	v_xor_b32_e32 v165, 0xffff8000, v56
	s_waitcnt lgkmcnt(0)
	v_add_u32_e32 v56, v157, v17
	v_lshlrev_b64 v[56:57], 1, v[56:57]
	v_add_co_u32_e32 v56, vcc, s78, v56
	v_addc_co_u32_e32 v57, vcc, v160, v57, vcc
	global_store_short v[56:57], v165, off
	s_or_b64 exec, exec, s[50:51]
	v_cmp_lt_u32_e64 s[50:51], v19, v156
	s_and_saveexec_b64 s[52:53], s[50:51]
	s_cbranch_execnz .LBB1044_251
.LBB1044_200:                           ;   in Loop: Header=BB1044_110 Depth=2
	s_or_b64 exec, exec, s[52:53]
	v_cmp_lt_u32_e64 s[52:53], v21, v156
	s_and_saveexec_b64 s[54:55], s[52:53]
	s_cbranch_execz .LBB1044_252
.LBB1044_201:                           ;   in Loop: Header=BB1044_110 Depth=2
	ds_read_u16 v56, v76 offset:3072
	v_mov_b32_e32 v160, s79
	s_waitcnt lgkmcnt(0)
	v_lshrrev_b32_sdwa v57, s99, v56 dst_sel:DWORD dst_unused:UNUSED_PAD src0_sel:DWORD src1_sel:WORD_0
	v_and_b32_e32 v57, s6, v57
	v_lshlrev_b32_e32 v57, 2, v57
	ds_read_b32 v157, v57
	v_mov_b32_e32 v57, v4
	v_xor_b32_e32 v165, 0xffff8000, v56
	s_waitcnt lgkmcnt(0)
	v_add_u32_e32 v56, v157, v21
	v_lshlrev_b64 v[56:57], 1, v[56:57]
	v_add_co_u32_e32 v56, vcc, s78, v56
	v_addc_co_u32_e32 v57, vcc, v160, v57, vcc
	global_store_short v[56:57], v165, off
	s_or_b64 exec, exec, s[54:55]
	v_cmp_lt_u32_e64 s[54:55], v23, v156
	s_and_saveexec_b64 s[56:57], s[54:55]
	s_cbranch_execnz .LBB1044_253
.LBB1044_202:                           ;   in Loop: Header=BB1044_110 Depth=2
	s_or_b64 exec, exec, s[56:57]
	v_cmp_lt_u32_e64 s[56:57], v6, v156
	s_and_saveexec_b64 s[58:59], s[56:57]
	s_cbranch_execz .LBB1044_254
.LBB1044_203:                           ;   in Loop: Header=BB1044_110 Depth=2
	ds_read_u16 v56, v76 offset:4096
	v_mov_b32_e32 v160, s79
	s_waitcnt lgkmcnt(0)
	v_lshrrev_b32_sdwa v57, s99, v56 dst_sel:DWORD dst_unused:UNUSED_PAD src0_sel:DWORD src1_sel:WORD_0
	v_and_b32_e32 v57, s6, v57
	v_lshlrev_b32_e32 v57, 2, v57
	ds_read_b32 v157, v57
	v_mov_b32_e32 v57, v4
	v_xor_b32_e32 v165, 0xffff8000, v56
	s_waitcnt lgkmcnt(0)
	v_add_u32_e32 v56, v157, v6
	v_lshlrev_b64 v[56:57], 1, v[56:57]
	v_add_co_u32_e32 v56, vcc, s78, v56
	v_addc_co_u32_e32 v57, vcc, v160, v57, vcc
	global_store_short v[56:57], v165, off
	s_or_b64 exec, exec, s[58:59]
	v_cmp_lt_u32_e64 s[58:59], v8, v156
	s_and_saveexec_b64 s[60:61], s[58:59]
	s_cbranch_execnz .LBB1044_255
.LBB1044_204:                           ;   in Loop: Header=BB1044_110 Depth=2
	s_or_b64 exec, exec, s[60:61]
	v_cmp_lt_u32_e64 s[60:61], v10, v156
	s_and_saveexec_b64 s[62:63], s[60:61]
	s_cbranch_execz .LBB1044_256
.LBB1044_205:                           ;   in Loop: Header=BB1044_110 Depth=2
	ds_read_u16 v56, v76 offset:5120
	v_mov_b32_e32 v160, s79
	s_waitcnt lgkmcnt(0)
	v_lshrrev_b32_sdwa v57, s99, v56 dst_sel:DWORD dst_unused:UNUSED_PAD src0_sel:DWORD src1_sel:WORD_0
	v_and_b32_e32 v57, s6, v57
	v_lshlrev_b32_e32 v57, 2, v57
	ds_read_b32 v157, v57
	v_mov_b32_e32 v57, v4
	v_xor_b32_e32 v165, 0xffff8000, v56
	s_waitcnt lgkmcnt(0)
	v_add_u32_e32 v56, v157, v10
	v_lshlrev_b64 v[56:57], 1, v[56:57]
	v_add_co_u32_e32 v56, vcc, s78, v56
	v_addc_co_u32_e32 v57, vcc, v160, v57, vcc
	global_store_short v[56:57], v165, off
	s_or_b64 exec, exec, s[62:63]
	v_cmp_lt_u32_e64 s[62:63], v12, v156
	s_and_saveexec_b64 s[64:65], s[62:63]
	s_cbranch_execnz .LBB1044_257
.LBB1044_206:                           ;   in Loop: Header=BB1044_110 Depth=2
	s_or_b64 exec, exec, s[64:65]
	v_cmp_lt_u32_e64 s[64:65], v14, v156
	s_and_saveexec_b64 s[66:67], s[64:65]
	s_cbranch_execz .LBB1044_258
.LBB1044_207:                           ;   in Loop: Header=BB1044_110 Depth=2
	ds_read_u16 v56, v76 offset:6144
	v_mov_b32_e32 v160, s79
	s_waitcnt lgkmcnt(0)
	v_lshrrev_b32_sdwa v57, s99, v56 dst_sel:DWORD dst_unused:UNUSED_PAD src0_sel:DWORD src1_sel:WORD_0
	v_and_b32_e32 v57, s6, v57
	v_lshlrev_b32_e32 v57, 2, v57
	ds_read_b32 v157, v57
	v_mov_b32_e32 v57, v4
	v_xor_b32_e32 v165, 0xffff8000, v56
	s_waitcnt lgkmcnt(0)
	v_add_u32_e32 v56, v157, v14
	v_lshlrev_b64 v[56:57], 1, v[56:57]
	v_add_co_u32_e32 v56, vcc, s78, v56
	v_addc_co_u32_e32 v57, vcc, v160, v57, vcc
	global_store_short v[56:57], v165, off
	s_or_b64 exec, exec, s[66:67]
	v_cmp_lt_u32_e64 s[66:67], v16, v156
	s_and_saveexec_b64 s[68:69], s[66:67]
	s_cbranch_execnz .LBB1044_259
.LBB1044_208:                           ;   in Loop: Header=BB1044_110 Depth=2
	s_or_b64 exec, exec, s[68:69]
	v_cmp_lt_u32_e64 s[68:69], v18, v156
	s_and_saveexec_b64 s[70:71], s[68:69]
	s_cbranch_execz .LBB1044_260
.LBB1044_209:                           ;   in Loop: Header=BB1044_110 Depth=2
	ds_read_u16 v56, v76 offset:7168
	v_mov_b32_e32 v160, s79
	s_waitcnt lgkmcnt(0)
	v_lshrrev_b32_sdwa v57, s99, v56 dst_sel:DWORD dst_unused:UNUSED_PAD src0_sel:DWORD src1_sel:WORD_0
	v_and_b32_e32 v57, s6, v57
	v_lshlrev_b32_e32 v57, 2, v57
	ds_read_b32 v157, v57
	v_mov_b32_e32 v57, v4
	v_xor_b32_e32 v165, 0xffff8000, v56
	s_waitcnt lgkmcnt(0)
	v_add_u32_e32 v56, v157, v18
	v_lshlrev_b64 v[56:57], 1, v[56:57]
	v_add_co_u32_e32 v56, vcc, s78, v56
	v_addc_co_u32_e32 v57, vcc, v160, v57, vcc
	global_store_short v[56:57], v165, off
	s_or_b64 exec, exec, s[70:71]
	v_cmp_lt_u32_e64 s[70:71], v20, v156
	s_and_saveexec_b64 s[72:73], s[70:71]
	s_cbranch_execnz .LBB1044_261
.LBB1044_210:                           ;   in Loop: Header=BB1044_110 Depth=2
	s_or_b64 exec, exec, s[72:73]
	v_cmp_lt_u32_e64 s[72:73], v22, v156
	s_and_saveexec_b64 s[82:83], s[72:73]
	s_cbranch_execz .LBB1044_212
.LBB1044_211:                           ;   in Loop: Header=BB1044_110 Depth=2
	ds_read_u16 v56, v76 offset:8192
	v_mov_b32_e32 v160, s79
	s_waitcnt lgkmcnt(0)
	v_lshrrev_b32_sdwa v57, s99, v56 dst_sel:DWORD dst_unused:UNUSED_PAD src0_sel:DWORD src1_sel:WORD_0
	v_and_b32_e32 v57, s6, v57
	v_lshlrev_b32_e32 v57, 2, v57
	ds_read_b32 v157, v57
	v_mov_b32_e32 v57, v4
	v_xor_b32_e32 v165, 0xffff8000, v56
	s_waitcnt lgkmcnt(0)
	v_add_u32_e32 v56, v157, v22
	v_lshlrev_b64 v[56:57], 1, v[56:57]
	v_add_co_u32_e32 v56, vcc, s78, v56
	v_addc_co_u32_e32 v57, vcc, v160, v57, vcc
	global_store_short v[56:57], v165, off
.LBB1044_212:                           ;   in Loop: Header=BB1044_110 Depth=2
	s_or_b64 exec, exec, s[82:83]
	s_lshl_b64 s[82:83], s[94:95], 3
	v_mov_b32_e32 v57, s83
	v_add_co_u32_e32 v56, vcc, s82, v130
	v_addc_co_u32_e32 v57, vcc, v131, v57, vcc
	v_cmp_lt_u32_e32 vcc, v111, v156
	s_and_saveexec_b64 s[82:83], vcc
	s_xor_b64 s[82:83], exec, s[82:83]
	s_cbranch_execz .LBB1044_262
; %bb.213:                              ;   in Loop: Header=BB1044_110 Depth=2
	global_load_dwordx2 v[54:55], v[56:57], off
	s_or_b64 exec, exec, s[82:83]
	v_cmp_lt_u32_e32 vcc, v112, v156
	s_and_saveexec_b64 s[82:83], vcc
	s_cbranch_execnz .LBB1044_263
.LBB1044_214:                           ;   in Loop: Header=BB1044_110 Depth=2
	s_or_b64 exec, exec, s[82:83]
	v_cmp_lt_u32_e32 vcc, v113, v156
	s_and_saveexec_b64 s[82:83], vcc
	s_cbranch_execz .LBB1044_264
.LBB1044_215:                           ;   in Loop: Header=BB1044_110 Depth=2
	global_load_dwordx2 v[50:51], v[56:57], off offset:1024
	s_or_b64 exec, exec, s[82:83]
	v_cmp_lt_u32_e32 vcc, v114, v156
	s_and_saveexec_b64 s[82:83], vcc
	s_cbranch_execnz .LBB1044_265
.LBB1044_216:                           ;   in Loop: Header=BB1044_110 Depth=2
	s_or_b64 exec, exec, s[82:83]
	v_cmp_lt_u32_e32 vcc, v115, v156
	s_and_saveexec_b64 s[82:83], vcc
	s_cbranch_execz .LBB1044_266
.LBB1044_217:                           ;   in Loop: Header=BB1044_110 Depth=2
	global_load_dwordx2 v[42:43], v[56:57], off offset:2048
	s_or_b64 exec, exec, s[82:83]
	v_cmp_lt_u32_e32 vcc, v116, v156
	s_and_saveexec_b64 s[82:83], vcc
	s_cbranch_execnz .LBB1044_267
.LBB1044_218:                           ;   in Loop: Header=BB1044_110 Depth=2
	s_or_b64 exec, exec, s[82:83]
	v_cmp_lt_u32_e32 vcc, v117, v156
	s_and_saveexec_b64 s[82:83], vcc
	s_cbranch_execz .LBB1044_268
.LBB1044_219:                           ;   in Loop: Header=BB1044_110 Depth=2
	global_load_dwordx2 v[34:35], v[56:57], off offset:3072
	s_or_b64 exec, exec, s[82:83]
	v_cmp_lt_u32_e32 vcc, v118, v156
	s_and_saveexec_b64 s[82:83], vcc
	s_cbranch_execnz .LBB1044_269
.LBB1044_220:                           ;   in Loop: Header=BB1044_110 Depth=2
	s_or_b64 exec, exec, s[82:83]
	v_cmp_lt_u32_e32 vcc, v119, v156
	s_and_saveexec_b64 s[82:83], vcc
	s_cbranch_execz .LBB1044_270
.LBB1044_221:                           ;   in Loop: Header=BB1044_110 Depth=2
	v_add_co_u32_e32 v48, vcc, 0x1000, v56
	v_addc_co_u32_e32 v49, vcc, 0, v57, vcc
	global_load_dwordx2 v[48:49], v[48:49], off
	s_or_b64 exec, exec, s[82:83]
	v_cmp_lt_u32_e32 vcc, v120, v156
	s_and_saveexec_b64 s[82:83], vcc
	s_cbranch_execnz .LBB1044_271
.LBB1044_222:                           ;   in Loop: Header=BB1044_110 Depth=2
	s_or_b64 exec, exec, s[82:83]
	v_cmp_lt_u32_e32 vcc, v121, v156
	s_and_saveexec_b64 s[82:83], vcc
	s_cbranch_execz .LBB1044_272
.LBB1044_223:                           ;   in Loop: Header=BB1044_110 Depth=2
	v_add_co_u32_e32 v40, vcc, 0x1000, v56
	v_addc_co_u32_e32 v41, vcc, 0, v57, vcc
	global_load_dwordx2 v[40:41], v[40:41], off offset:1024
	s_or_b64 exec, exec, s[82:83]
	v_cmp_lt_u32_e32 vcc, v122, v156
	s_and_saveexec_b64 s[82:83], vcc
	s_cbranch_execnz .LBB1044_273
.LBB1044_224:                           ;   in Loop: Header=BB1044_110 Depth=2
	s_or_b64 exec, exec, s[82:83]
	v_cmp_lt_u32_e32 vcc, v123, v156
	s_and_saveexec_b64 s[82:83], vcc
	s_cbranch_execz .LBB1044_274
.LBB1044_225:                           ;   in Loop: Header=BB1044_110 Depth=2
	v_add_co_u32_e32 v32, vcc, 0x1000, v56
	v_addc_co_u32_e32 v33, vcc, 0, v57, vcc
	global_load_dwordx2 v[32:33], v[32:33], off offset:2048
	s_or_b64 exec, exec, s[82:83]
	v_cmp_lt_u32_e32 vcc, v124, v156
	s_and_saveexec_b64 s[82:83], vcc
	s_cbranch_execnz .LBB1044_275
.LBB1044_226:                           ;   in Loop: Header=BB1044_110 Depth=2
	s_or_b64 exec, exec, s[82:83]
	v_cmp_lt_u32_e32 vcc, v125, v156
	s_and_saveexec_b64 s[82:83], vcc
	s_cbranch_execz .LBB1044_276
.LBB1044_227:                           ;   in Loop: Header=BB1044_110 Depth=2
	v_add_co_u32_e32 v26, vcc, 0x1000, v56
	v_addc_co_u32_e32 v27, vcc, 0, v57, vcc
	global_load_dwordx2 v[26:27], v[26:27], off offset:3072
	s_or_b64 exec, exec, s[82:83]
	v_cmp_lt_u32_e32 vcc, v126, v156
	s_and_saveexec_b64 s[82:83], vcc
	s_cbranch_execnz .LBB1044_277
.LBB1044_228:                           ;   in Loop: Header=BB1044_110 Depth=2
	s_or_b64 exec, exec, s[82:83]
	v_cmp_lt_u32_e32 vcc, v127, v156
	s_and_saveexec_b64 s[82:83], vcc
	s_cbranch_execz .LBB1044_278
.LBB1044_229:                           ;   in Loop: Header=BB1044_110 Depth=2
	v_add_co_u32_e32 v0, vcc, 0x2000, v56
	v_addc_co_u32_e32 v1, vcc, 0, v57, vcc
	global_load_dwordx2 v[0:1], v[0:1], off
	s_or_b64 exec, exec, s[82:83]
	s_and_saveexec_b64 s[82:83], s[40:41]
	s_cbranch_execnz .LBB1044_279
.LBB1044_230:                           ;   in Loop: Header=BB1044_110 Depth=2
	s_or_b64 exec, exec, s[82:83]
	s_and_saveexec_b64 s[82:83], s[42:43]
	s_cbranch_execz .LBB1044_280
.LBB1044_231:                           ;   in Loop: Header=BB1044_110 Depth=2
	ds_read_u16 v56, v76 offset:512
	s_waitcnt lgkmcnt(0)
	v_lshrrev_b32_e32 v56, s99, v56
	v_and_b32_e32 v150, s6, v56
	s_or_b64 exec, exec, s[82:83]
	s_and_saveexec_b64 s[82:83], s[44:45]
	s_cbranch_execnz .LBB1044_281
.LBB1044_232:                           ;   in Loop: Header=BB1044_110 Depth=2
	s_or_b64 exec, exec, s[82:83]
	s_and_saveexec_b64 s[82:83], s[46:47]
	s_cbranch_execz .LBB1044_282
.LBB1044_233:                           ;   in Loop: Header=BB1044_110 Depth=2
	ds_read_u16 v56, v76 offset:1536
	s_waitcnt lgkmcnt(0)
	v_lshrrev_b32_e32 v56, s99, v56
	v_and_b32_e32 v147, s6, v56
	s_or_b64 exec, exec, s[82:83]
	s_and_saveexec_b64 s[82:83], s[48:49]
	s_cbranch_execnz .LBB1044_283
.LBB1044_234:                           ;   in Loop: Header=BB1044_110 Depth=2
	s_or_b64 exec, exec, s[82:83]
	s_and_saveexec_b64 s[82:83], s[50:51]
	s_cbranch_execz .LBB1044_284
.LBB1044_235:                           ;   in Loop: Header=BB1044_110 Depth=2
	ds_read_u16 v56, v76 offset:2560
	s_waitcnt lgkmcnt(0)
	v_lshrrev_b32_e32 v56, s99, v56
	v_and_b32_e32 v145, s6, v56
	s_or_b64 exec, exec, s[82:83]
	s_and_saveexec_b64 s[82:83], s[52:53]
	s_cbranch_execnz .LBB1044_285
.LBB1044_236:                           ;   in Loop: Header=BB1044_110 Depth=2
	s_or_b64 exec, exec, s[82:83]
	s_and_saveexec_b64 s[82:83], s[54:55]
	s_cbranch_execz .LBB1044_286
.LBB1044_237:                           ;   in Loop: Header=BB1044_110 Depth=2
	ds_read_u16 v56, v76 offset:3584
	s_waitcnt lgkmcnt(0)
	v_lshrrev_b32_e32 v56, s99, v56
	v_and_b32_e32 v143, s6, v56
	s_or_b64 exec, exec, s[82:83]
	s_and_saveexec_b64 s[82:83], s[56:57]
	s_cbranch_execnz .LBB1044_287
.LBB1044_238:                           ;   in Loop: Header=BB1044_110 Depth=2
	s_or_b64 exec, exec, s[82:83]
	s_and_saveexec_b64 s[82:83], s[58:59]
	s_cbranch_execz .LBB1044_288
.LBB1044_239:                           ;   in Loop: Header=BB1044_110 Depth=2
	ds_read_u16 v56, v76 offset:4608
	s_waitcnt lgkmcnt(0)
	v_lshrrev_b32_e32 v56, s99, v56
	v_and_b32_e32 v141, s6, v56
	s_or_b64 exec, exec, s[82:83]
	s_and_saveexec_b64 s[82:83], s[60:61]
	s_cbranch_execnz .LBB1044_289
.LBB1044_240:                           ;   in Loop: Header=BB1044_110 Depth=2
	s_or_b64 exec, exec, s[82:83]
	s_and_saveexec_b64 s[82:83], s[62:63]
	s_cbranch_execz .LBB1044_290
.LBB1044_241:                           ;   in Loop: Header=BB1044_110 Depth=2
	ds_read_u16 v56, v76 offset:5632
	s_waitcnt lgkmcnt(0)
	v_lshrrev_b32_e32 v56, s99, v56
	v_and_b32_e32 v139, s6, v56
	s_or_b64 exec, exec, s[82:83]
	s_and_saveexec_b64 s[82:83], s[64:65]
	s_cbranch_execnz .LBB1044_291
.LBB1044_242:                           ;   in Loop: Header=BB1044_110 Depth=2
	s_or_b64 exec, exec, s[82:83]
	s_and_saveexec_b64 s[82:83], s[66:67]
	s_cbranch_execz .LBB1044_292
.LBB1044_243:                           ;   in Loop: Header=BB1044_110 Depth=2
	ds_read_u16 v56, v76 offset:6656
	s_waitcnt lgkmcnt(0)
	v_lshrrev_b32_e32 v56, s99, v56
	v_and_b32_e32 v137, s6, v56
	s_or_b64 exec, exec, s[82:83]
	s_and_saveexec_b64 s[82:83], s[68:69]
	s_cbranch_execnz .LBB1044_293
.LBB1044_244:                           ;   in Loop: Header=BB1044_110 Depth=2
	s_or_b64 exec, exec, s[82:83]
	s_and_saveexec_b64 s[82:83], s[70:71]
	s_cbranch_execz .LBB1044_294
.LBB1044_245:                           ;   in Loop: Header=BB1044_110 Depth=2
	ds_read_u16 v56, v76 offset:7680
	s_waitcnt lgkmcnt(0)
	v_lshrrev_b32_e32 v56, s99, v56
	v_and_b32_e32 v135, s6, v56
	s_or_b64 exec, exec, s[82:83]
	s_and_saveexec_b64 s[82:83], s[72:73]
	s_cbranch_execnz .LBB1044_295
	s_branch .LBB1044_296
.LBB1044_246:                           ;   in Loop: Header=BB1044_110 Depth=2
	s_or_b64 exec, exec, s[42:43]
	v_cmp_lt_u32_e64 s[42:43], v7, v156
	s_and_saveexec_b64 s[44:45], s[42:43]
	s_cbranch_execz .LBB1044_196
.LBB1044_247:                           ;   in Loop: Header=BB1044_110 Depth=2
	ds_read_u16 v56, v76 offset:512
	v_mov_b32_e32 v160, s79
	s_waitcnt lgkmcnt(0)
	v_lshrrev_b32_sdwa v57, s99, v56 dst_sel:DWORD dst_unused:UNUSED_PAD src0_sel:DWORD src1_sel:WORD_0
	v_and_b32_e32 v57, s6, v57
	v_lshlrev_b32_e32 v57, 2, v57
	ds_read_b32 v157, v57
	v_mov_b32_e32 v57, v4
	v_xor_b32_e32 v165, 0xffff8000, v56
	s_waitcnt lgkmcnt(0)
	v_add_u32_e32 v56, v157, v7
	v_lshlrev_b64 v[56:57], 1, v[56:57]
	v_add_co_u32_e32 v56, vcc, s78, v56
	v_addc_co_u32_e32 v57, vcc, v160, v57, vcc
	global_store_short v[56:57], v165, off
	s_or_b64 exec, exec, s[44:45]
	v_cmp_lt_u32_e64 s[44:45], v13, v156
	s_and_saveexec_b64 s[46:47], s[44:45]
	s_cbranch_execnz .LBB1044_197
.LBB1044_248:                           ;   in Loop: Header=BB1044_110 Depth=2
	s_or_b64 exec, exec, s[46:47]
	v_cmp_lt_u32_e64 s[46:47], v15, v156
	s_and_saveexec_b64 s[48:49], s[46:47]
	s_cbranch_execz .LBB1044_198
.LBB1044_249:                           ;   in Loop: Header=BB1044_110 Depth=2
	ds_read_u16 v56, v76 offset:1536
	v_mov_b32_e32 v160, s79
	s_waitcnt lgkmcnt(0)
	v_lshrrev_b32_sdwa v57, s99, v56 dst_sel:DWORD dst_unused:UNUSED_PAD src0_sel:DWORD src1_sel:WORD_0
	v_and_b32_e32 v57, s6, v57
	v_lshlrev_b32_e32 v57, 2, v57
	ds_read_b32 v157, v57
	v_mov_b32_e32 v57, v4
	v_xor_b32_e32 v165, 0xffff8000, v56
	s_waitcnt lgkmcnt(0)
	v_add_u32_e32 v56, v157, v15
	v_lshlrev_b64 v[56:57], 1, v[56:57]
	v_add_co_u32_e32 v56, vcc, s78, v56
	v_addc_co_u32_e32 v57, vcc, v160, v57, vcc
	global_store_short v[56:57], v165, off
	s_or_b64 exec, exec, s[48:49]
	v_cmp_lt_u32_e64 s[48:49], v17, v156
	s_and_saveexec_b64 s[50:51], s[48:49]
	s_cbranch_execnz .LBB1044_199
.LBB1044_250:                           ;   in Loop: Header=BB1044_110 Depth=2
	s_or_b64 exec, exec, s[50:51]
	v_cmp_lt_u32_e64 s[50:51], v19, v156
	s_and_saveexec_b64 s[52:53], s[50:51]
	s_cbranch_execz .LBB1044_200
.LBB1044_251:                           ;   in Loop: Header=BB1044_110 Depth=2
	ds_read_u16 v56, v76 offset:2560
	v_mov_b32_e32 v160, s79
	s_waitcnt lgkmcnt(0)
	v_lshrrev_b32_sdwa v57, s99, v56 dst_sel:DWORD dst_unused:UNUSED_PAD src0_sel:DWORD src1_sel:WORD_0
	v_and_b32_e32 v57, s6, v57
	v_lshlrev_b32_e32 v57, 2, v57
	ds_read_b32 v157, v57
	v_mov_b32_e32 v57, v4
	v_xor_b32_e32 v165, 0xffff8000, v56
	s_waitcnt lgkmcnt(0)
	v_add_u32_e32 v56, v157, v19
	v_lshlrev_b64 v[56:57], 1, v[56:57]
	v_add_co_u32_e32 v56, vcc, s78, v56
	v_addc_co_u32_e32 v57, vcc, v160, v57, vcc
	global_store_short v[56:57], v165, off
	s_or_b64 exec, exec, s[52:53]
	v_cmp_lt_u32_e64 s[52:53], v21, v156
	s_and_saveexec_b64 s[54:55], s[52:53]
	s_cbranch_execnz .LBB1044_201
.LBB1044_252:                           ;   in Loop: Header=BB1044_110 Depth=2
	s_or_b64 exec, exec, s[54:55]
	v_cmp_lt_u32_e64 s[54:55], v23, v156
	s_and_saveexec_b64 s[56:57], s[54:55]
	s_cbranch_execz .LBB1044_202
.LBB1044_253:                           ;   in Loop: Header=BB1044_110 Depth=2
	ds_read_u16 v56, v76 offset:3584
	v_mov_b32_e32 v160, s79
	s_waitcnt lgkmcnt(0)
	v_lshrrev_b32_sdwa v57, s99, v56 dst_sel:DWORD dst_unused:UNUSED_PAD src0_sel:DWORD src1_sel:WORD_0
	v_and_b32_e32 v57, s6, v57
	v_lshlrev_b32_e32 v57, 2, v57
	ds_read_b32 v157, v57
	v_mov_b32_e32 v57, v4
	v_xor_b32_e32 v165, 0xffff8000, v56
	s_waitcnt lgkmcnt(0)
	v_add_u32_e32 v56, v157, v23
	v_lshlrev_b64 v[56:57], 1, v[56:57]
	v_add_co_u32_e32 v56, vcc, s78, v56
	v_addc_co_u32_e32 v57, vcc, v160, v57, vcc
	global_store_short v[56:57], v165, off
	s_or_b64 exec, exec, s[56:57]
	v_cmp_lt_u32_e64 s[56:57], v6, v156
	s_and_saveexec_b64 s[58:59], s[56:57]
	s_cbranch_execnz .LBB1044_203
.LBB1044_254:                           ;   in Loop: Header=BB1044_110 Depth=2
	s_or_b64 exec, exec, s[58:59]
	v_cmp_lt_u32_e64 s[58:59], v8, v156
	s_and_saveexec_b64 s[60:61], s[58:59]
	s_cbranch_execz .LBB1044_204
.LBB1044_255:                           ;   in Loop: Header=BB1044_110 Depth=2
	ds_read_u16 v56, v76 offset:4608
	v_mov_b32_e32 v160, s79
	s_waitcnt lgkmcnt(0)
	v_lshrrev_b32_sdwa v57, s99, v56 dst_sel:DWORD dst_unused:UNUSED_PAD src0_sel:DWORD src1_sel:WORD_0
	v_and_b32_e32 v57, s6, v57
	v_lshlrev_b32_e32 v57, 2, v57
	ds_read_b32 v157, v57
	v_mov_b32_e32 v57, v4
	v_xor_b32_e32 v165, 0xffff8000, v56
	s_waitcnt lgkmcnt(0)
	v_add_u32_e32 v56, v157, v8
	v_lshlrev_b64 v[56:57], 1, v[56:57]
	v_add_co_u32_e32 v56, vcc, s78, v56
	v_addc_co_u32_e32 v57, vcc, v160, v57, vcc
	global_store_short v[56:57], v165, off
	s_or_b64 exec, exec, s[60:61]
	v_cmp_lt_u32_e64 s[60:61], v10, v156
	s_and_saveexec_b64 s[62:63], s[60:61]
	s_cbranch_execnz .LBB1044_205
.LBB1044_256:                           ;   in Loop: Header=BB1044_110 Depth=2
	s_or_b64 exec, exec, s[62:63]
	v_cmp_lt_u32_e64 s[62:63], v12, v156
	s_and_saveexec_b64 s[64:65], s[62:63]
	s_cbranch_execz .LBB1044_206
.LBB1044_257:                           ;   in Loop: Header=BB1044_110 Depth=2
	ds_read_u16 v56, v76 offset:5632
	v_mov_b32_e32 v160, s79
	s_waitcnt lgkmcnt(0)
	v_lshrrev_b32_sdwa v57, s99, v56 dst_sel:DWORD dst_unused:UNUSED_PAD src0_sel:DWORD src1_sel:WORD_0
	v_and_b32_e32 v57, s6, v57
	v_lshlrev_b32_e32 v57, 2, v57
	ds_read_b32 v157, v57
	v_mov_b32_e32 v57, v4
	v_xor_b32_e32 v165, 0xffff8000, v56
	s_waitcnt lgkmcnt(0)
	v_add_u32_e32 v56, v157, v12
	v_lshlrev_b64 v[56:57], 1, v[56:57]
	v_add_co_u32_e32 v56, vcc, s78, v56
	v_addc_co_u32_e32 v57, vcc, v160, v57, vcc
	global_store_short v[56:57], v165, off
	s_or_b64 exec, exec, s[64:65]
	v_cmp_lt_u32_e64 s[64:65], v14, v156
	s_and_saveexec_b64 s[66:67], s[64:65]
	s_cbranch_execnz .LBB1044_207
.LBB1044_258:                           ;   in Loop: Header=BB1044_110 Depth=2
	s_or_b64 exec, exec, s[66:67]
	v_cmp_lt_u32_e64 s[66:67], v16, v156
	s_and_saveexec_b64 s[68:69], s[66:67]
	s_cbranch_execz .LBB1044_208
.LBB1044_259:                           ;   in Loop: Header=BB1044_110 Depth=2
	ds_read_u16 v56, v76 offset:6656
	v_mov_b32_e32 v160, s79
	s_waitcnt lgkmcnt(0)
	v_lshrrev_b32_sdwa v57, s99, v56 dst_sel:DWORD dst_unused:UNUSED_PAD src0_sel:DWORD src1_sel:WORD_0
	v_and_b32_e32 v57, s6, v57
	v_lshlrev_b32_e32 v57, 2, v57
	ds_read_b32 v157, v57
	v_mov_b32_e32 v57, v4
	v_xor_b32_e32 v165, 0xffff8000, v56
	s_waitcnt lgkmcnt(0)
	v_add_u32_e32 v56, v157, v16
	v_lshlrev_b64 v[56:57], 1, v[56:57]
	v_add_co_u32_e32 v56, vcc, s78, v56
	v_addc_co_u32_e32 v57, vcc, v160, v57, vcc
	global_store_short v[56:57], v165, off
	s_or_b64 exec, exec, s[68:69]
	v_cmp_lt_u32_e64 s[68:69], v18, v156
	s_and_saveexec_b64 s[70:71], s[68:69]
	s_cbranch_execnz .LBB1044_209
.LBB1044_260:                           ;   in Loop: Header=BB1044_110 Depth=2
	s_or_b64 exec, exec, s[70:71]
	v_cmp_lt_u32_e64 s[70:71], v20, v156
	s_and_saveexec_b64 s[72:73], s[70:71]
	s_cbranch_execz .LBB1044_210
.LBB1044_261:                           ;   in Loop: Header=BB1044_110 Depth=2
	ds_read_u16 v56, v76 offset:7680
	v_mov_b32_e32 v160, s79
	s_waitcnt lgkmcnt(0)
	v_lshrrev_b32_sdwa v57, s99, v56 dst_sel:DWORD dst_unused:UNUSED_PAD src0_sel:DWORD src1_sel:WORD_0
	v_and_b32_e32 v57, s6, v57
	v_lshlrev_b32_e32 v57, 2, v57
	ds_read_b32 v157, v57
	v_mov_b32_e32 v57, v4
	v_xor_b32_e32 v165, 0xffff8000, v56
	s_waitcnt lgkmcnt(0)
	v_add_u32_e32 v56, v157, v20
	v_lshlrev_b64 v[56:57], 1, v[56:57]
	v_add_co_u32_e32 v56, vcc, s78, v56
	v_addc_co_u32_e32 v57, vcc, v160, v57, vcc
	global_store_short v[56:57], v165, off
	s_or_b64 exec, exec, s[72:73]
	v_cmp_lt_u32_e64 s[72:73], v22, v156
	s_and_saveexec_b64 s[82:83], s[72:73]
	s_cbranch_execnz .LBB1044_211
	s_branch .LBB1044_212
.LBB1044_262:                           ;   in Loop: Header=BB1044_110 Depth=2
	s_or_b64 exec, exec, s[82:83]
	v_cmp_lt_u32_e32 vcc, v112, v156
	s_and_saveexec_b64 s[82:83], vcc
	s_cbranch_execz .LBB1044_214
.LBB1044_263:                           ;   in Loop: Header=BB1044_110 Depth=2
	global_load_dwordx2 v[52:53], v[56:57], off offset:512
	s_or_b64 exec, exec, s[82:83]
	v_cmp_lt_u32_e32 vcc, v113, v156
	s_and_saveexec_b64 s[82:83], vcc
	s_cbranch_execnz .LBB1044_215
.LBB1044_264:                           ;   in Loop: Header=BB1044_110 Depth=2
	s_or_b64 exec, exec, s[82:83]
	v_cmp_lt_u32_e32 vcc, v114, v156
	s_and_saveexec_b64 s[82:83], vcc
	s_cbranch_execz .LBB1044_216
.LBB1044_265:                           ;   in Loop: Header=BB1044_110 Depth=2
	global_load_dwordx2 v[46:47], v[56:57], off offset:1536
	s_or_b64 exec, exec, s[82:83]
	v_cmp_lt_u32_e32 vcc, v115, v156
	s_and_saveexec_b64 s[82:83], vcc
	s_cbranch_execnz .LBB1044_217
.LBB1044_266:                           ;   in Loop: Header=BB1044_110 Depth=2
	s_or_b64 exec, exec, s[82:83]
	v_cmp_lt_u32_e32 vcc, v116, v156
	s_and_saveexec_b64 s[82:83], vcc
	s_cbranch_execz .LBB1044_218
.LBB1044_267:                           ;   in Loop: Header=BB1044_110 Depth=2
	global_load_dwordx2 v[38:39], v[56:57], off offset:2560
	s_or_b64 exec, exec, s[82:83]
	v_cmp_lt_u32_e32 vcc, v117, v156
	s_and_saveexec_b64 s[82:83], vcc
	s_cbranch_execnz .LBB1044_219
.LBB1044_268:                           ;   in Loop: Header=BB1044_110 Depth=2
	s_or_b64 exec, exec, s[82:83]
	v_cmp_lt_u32_e32 vcc, v118, v156
	s_and_saveexec_b64 s[82:83], vcc
	s_cbranch_execz .LBB1044_220
.LBB1044_269:                           ;   in Loop: Header=BB1044_110 Depth=2
	global_load_dwordx2 v[30:31], v[56:57], off offset:3584
	s_or_b64 exec, exec, s[82:83]
	v_cmp_lt_u32_e32 vcc, v119, v156
	s_and_saveexec_b64 s[82:83], vcc
	s_cbranch_execnz .LBB1044_221
.LBB1044_270:                           ;   in Loop: Header=BB1044_110 Depth=2
	s_or_b64 exec, exec, s[82:83]
	v_cmp_lt_u32_e32 vcc, v120, v156
	s_and_saveexec_b64 s[82:83], vcc
	s_cbranch_execz .LBB1044_222
.LBB1044_271:                           ;   in Loop: Header=BB1044_110 Depth=2
	v_add_co_u32_e32 v44, vcc, 0x1000, v56
	v_addc_co_u32_e32 v45, vcc, 0, v57, vcc
	global_load_dwordx2 v[44:45], v[44:45], off offset:512
	s_or_b64 exec, exec, s[82:83]
	v_cmp_lt_u32_e32 vcc, v121, v156
	s_and_saveexec_b64 s[82:83], vcc
	s_cbranch_execnz .LBB1044_223
.LBB1044_272:                           ;   in Loop: Header=BB1044_110 Depth=2
	s_or_b64 exec, exec, s[82:83]
	v_cmp_lt_u32_e32 vcc, v122, v156
	s_and_saveexec_b64 s[82:83], vcc
	s_cbranch_execz .LBB1044_224
.LBB1044_273:                           ;   in Loop: Header=BB1044_110 Depth=2
	v_add_co_u32_e32 v36, vcc, 0x1000, v56
	v_addc_co_u32_e32 v37, vcc, 0, v57, vcc
	global_load_dwordx2 v[36:37], v[36:37], off offset:1536
	s_or_b64 exec, exec, s[82:83]
	v_cmp_lt_u32_e32 vcc, v123, v156
	s_and_saveexec_b64 s[82:83], vcc
	s_cbranch_execnz .LBB1044_225
.LBB1044_274:                           ;   in Loop: Header=BB1044_110 Depth=2
	s_or_b64 exec, exec, s[82:83]
	v_cmp_lt_u32_e32 vcc, v124, v156
	s_and_saveexec_b64 s[82:83], vcc
	s_cbranch_execz .LBB1044_226
.LBB1044_275:                           ;   in Loop: Header=BB1044_110 Depth=2
	v_add_co_u32_e32 v28, vcc, 0x1000, v56
	v_addc_co_u32_e32 v29, vcc, 0, v57, vcc
	global_load_dwordx2 v[28:29], v[28:29], off offset:2560
	s_or_b64 exec, exec, s[82:83]
	v_cmp_lt_u32_e32 vcc, v125, v156
	s_and_saveexec_b64 s[82:83], vcc
	s_cbranch_execnz .LBB1044_227
.LBB1044_276:                           ;   in Loop: Header=BB1044_110 Depth=2
	s_or_b64 exec, exec, s[82:83]
	v_cmp_lt_u32_e32 vcc, v126, v156
	s_and_saveexec_b64 s[82:83], vcc
	s_cbranch_execz .LBB1044_228
.LBB1044_277:                           ;   in Loop: Header=BB1044_110 Depth=2
	v_add_co_u32_e32 v24, vcc, 0x1000, v56
	v_addc_co_u32_e32 v25, vcc, 0, v57, vcc
	global_load_dwordx2 v[24:25], v[24:25], off offset:3584
	s_or_b64 exec, exec, s[82:83]
	v_cmp_lt_u32_e32 vcc, v127, v156
	s_and_saveexec_b64 s[82:83], vcc
	s_cbranch_execnz .LBB1044_229
.LBB1044_278:                           ;   in Loop: Header=BB1044_110 Depth=2
	s_or_b64 exec, exec, s[82:83]
	s_and_saveexec_b64 s[82:83], s[40:41]
	s_cbranch_execz .LBB1044_230
.LBB1044_279:                           ;   in Loop: Header=BB1044_110 Depth=2
	v_add_u32_e32 v56, v70, v75
	ds_read_u16 v56, v56 offset:512
	s_waitcnt lgkmcnt(0)
	v_lshrrev_b32_e32 v56, s99, v56
	v_and_b32_e32 v152, s6, v56
	s_or_b64 exec, exec, s[82:83]
	s_and_saveexec_b64 s[82:83], s[42:43]
	s_cbranch_execnz .LBB1044_231
.LBB1044_280:                           ;   in Loop: Header=BB1044_110 Depth=2
	s_or_b64 exec, exec, s[82:83]
	s_and_saveexec_b64 s[82:83], s[44:45]
	s_cbranch_execz .LBB1044_232
.LBB1044_281:                           ;   in Loop: Header=BB1044_110 Depth=2
	ds_read_u16 v56, v76 offset:1024
	s_waitcnt lgkmcnt(0)
	v_lshrrev_b32_e32 v56, s99, v56
	v_and_b32_e32 v149, s6, v56
	s_or_b64 exec, exec, s[82:83]
	s_and_saveexec_b64 s[82:83], s[46:47]
	s_cbranch_execnz .LBB1044_233
.LBB1044_282:                           ;   in Loop: Header=BB1044_110 Depth=2
	s_or_b64 exec, exec, s[82:83]
	s_and_saveexec_b64 s[82:83], s[48:49]
	s_cbranch_execz .LBB1044_234
.LBB1044_283:                           ;   in Loop: Header=BB1044_110 Depth=2
	ds_read_u16 v56, v76 offset:2048
	s_waitcnt lgkmcnt(0)
	v_lshrrev_b32_e32 v56, s99, v56
	v_and_b32_e32 v146, s6, v56
	s_or_b64 exec, exec, s[82:83]
	s_and_saveexec_b64 s[82:83], s[50:51]
	s_cbranch_execnz .LBB1044_235
.LBB1044_284:                           ;   in Loop: Header=BB1044_110 Depth=2
	s_or_b64 exec, exec, s[82:83]
	s_and_saveexec_b64 s[82:83], s[52:53]
	s_cbranch_execz .LBB1044_236
.LBB1044_285:                           ;   in Loop: Header=BB1044_110 Depth=2
	ds_read_u16 v56, v76 offset:3072
	s_waitcnt lgkmcnt(0)
	v_lshrrev_b32_e32 v56, s99, v56
	v_and_b32_e32 v144, s6, v56
	s_or_b64 exec, exec, s[82:83]
	s_and_saveexec_b64 s[82:83], s[54:55]
	s_cbranch_execnz .LBB1044_237
.LBB1044_286:                           ;   in Loop: Header=BB1044_110 Depth=2
	s_or_b64 exec, exec, s[82:83]
	s_and_saveexec_b64 s[82:83], s[56:57]
	s_cbranch_execz .LBB1044_238
.LBB1044_287:                           ;   in Loop: Header=BB1044_110 Depth=2
	ds_read_u16 v56, v76 offset:4096
	s_waitcnt lgkmcnt(0)
	v_lshrrev_b32_e32 v56, s99, v56
	v_and_b32_e32 v142, s6, v56
	s_or_b64 exec, exec, s[82:83]
	s_and_saveexec_b64 s[82:83], s[58:59]
	s_cbranch_execnz .LBB1044_239
.LBB1044_288:                           ;   in Loop: Header=BB1044_110 Depth=2
	s_or_b64 exec, exec, s[82:83]
	s_and_saveexec_b64 s[82:83], s[60:61]
	s_cbranch_execz .LBB1044_240
.LBB1044_289:                           ;   in Loop: Header=BB1044_110 Depth=2
	ds_read_u16 v56, v76 offset:5120
	s_waitcnt lgkmcnt(0)
	v_lshrrev_b32_e32 v56, s99, v56
	v_and_b32_e32 v140, s6, v56
	s_or_b64 exec, exec, s[82:83]
	s_and_saveexec_b64 s[82:83], s[62:63]
	s_cbranch_execnz .LBB1044_241
.LBB1044_290:                           ;   in Loop: Header=BB1044_110 Depth=2
	s_or_b64 exec, exec, s[82:83]
	s_and_saveexec_b64 s[82:83], s[64:65]
	s_cbranch_execz .LBB1044_242
.LBB1044_291:                           ;   in Loop: Header=BB1044_110 Depth=2
	ds_read_u16 v56, v76 offset:6144
	s_waitcnt lgkmcnt(0)
	v_lshrrev_b32_e32 v56, s99, v56
	v_and_b32_e32 v138, s6, v56
	s_or_b64 exec, exec, s[82:83]
	s_and_saveexec_b64 s[82:83], s[66:67]
	s_cbranch_execnz .LBB1044_243
.LBB1044_292:                           ;   in Loop: Header=BB1044_110 Depth=2
	s_or_b64 exec, exec, s[82:83]
	s_and_saveexec_b64 s[82:83], s[68:69]
	s_cbranch_execz .LBB1044_244
.LBB1044_293:                           ;   in Loop: Header=BB1044_110 Depth=2
	ds_read_u16 v56, v76 offset:7168
	s_waitcnt lgkmcnt(0)
	v_lshrrev_b32_e32 v56, s99, v56
	v_and_b32_e32 v136, s6, v56
	s_or_b64 exec, exec, s[82:83]
	s_and_saveexec_b64 s[82:83], s[70:71]
	s_cbranch_execnz .LBB1044_245
.LBB1044_294:                           ;   in Loop: Header=BB1044_110 Depth=2
	s_or_b64 exec, exec, s[82:83]
	s_and_saveexec_b64 s[82:83], s[72:73]
	s_cbranch_execz .LBB1044_296
.LBB1044_295:                           ;   in Loop: Header=BB1044_110 Depth=2
	ds_read_u16 v56, v76 offset:8192
	s_waitcnt lgkmcnt(0)
	v_lshrrev_b32_e32 v56, s99, v56
	v_and_b32_e32 v134, s6, v56
.LBB1044_296:                           ;   in Loop: Header=BB1044_110 Depth=2
	s_or_b64 exec, exec, s[82:83]
	v_lshlrev_b32_e32 v56, 3, v179
	s_barrier
	s_waitcnt vmcnt(0)
	ds_write_b64 v56, v[54:55] offset:512
	v_lshlrev_b32_e32 v56, 3, v175
	ds_write_b64 v56, v[52:53] offset:512
	v_lshlrev_b32_e32 v56, 3, v174
	;; [unrolled: 2-line block ×15, first 2 shown]
	v_lshlrev_b32_e32 v5, 3, v5
	ds_write_b64 v56, v[24:25] offset:512
	ds_write_b64 v5, v[0:1] offset:512
	s_waitcnt lgkmcnt(0)
	s_barrier
	s_and_saveexec_b64 s[82:83], s[40:41]
	s_cbranch_execz .LBB1044_316
; %bb.297:                              ;   in Loop: Header=BB1044_110 Depth=2
	v_lshlrev_b32_e32 v5, 2, v152
	ds_read_b32 v5, v5
	ds_read_b64 v[56:57], v68 offset:512
	v_mov_b32_e32 v157, v4
	v_mov_b32_e32 v158, s85
	s_waitcnt lgkmcnt(1)
	v_add_u32_e32 v156, v5, v2
	v_lshlrev_b64 v[156:157], 3, v[156:157]
	v_add_co_u32_e32 v156, vcc, s84, v156
	v_addc_co_u32_e32 v157, vcc, v158, v157, vcc
	s_waitcnt lgkmcnt(0)
	global_store_dwordx2 v[156:157], v[56:57], off
	s_or_b64 exec, exec, s[82:83]
	s_and_saveexec_b64 s[40:41], s[42:43]
	s_cbranch_execnz .LBB1044_317
.LBB1044_298:                           ;   in Loop: Header=BB1044_110 Depth=2
	s_or_b64 exec, exec, s[40:41]
	s_and_saveexec_b64 s[40:41], s[44:45]
	s_cbranch_execz .LBB1044_318
.LBB1044_299:                           ;   in Loop: Header=BB1044_110 Depth=2
	v_lshlrev_b32_e32 v5, 2, v149
	ds_read_b32 v5, v5
	v_add_u32_e32 v56, v76, v77
	ds_read_b64 v[56:57], v56 offset:4096
	v_mov_b32_e32 v157, v4
	v_mov_b32_e32 v158, s85
	s_waitcnt lgkmcnt(1)
	v_add_u32_e32 v156, v5, v13
	v_lshlrev_b64 v[156:157], 3, v[156:157]
	v_add_co_u32_e32 v156, vcc, s84, v156
	v_addc_co_u32_e32 v157, vcc, v158, v157, vcc
	s_waitcnt lgkmcnt(0)
	global_store_dwordx2 v[156:157], v[56:57], off
	s_or_b64 exec, exec, s[40:41]
	s_and_saveexec_b64 s[40:41], s[46:47]
	s_cbranch_execnz .LBB1044_319
.LBB1044_300:                           ;   in Loop: Header=BB1044_110 Depth=2
	s_or_b64 exec, exec, s[40:41]
	s_and_saveexec_b64 s[40:41], s[48:49]
	s_cbranch_execz .LBB1044_320
.LBB1044_301:                           ;   in Loop: Header=BB1044_110 Depth=2
	v_lshlrev_b32_e32 v5, 2, v146
	ds_read_b32 v5, v5
	v_add_u32_e32 v56, v76, v77
	ds_read_b64 v[56:57], v56 offset:8192
	v_mov_b32_e32 v157, v4
	v_mov_b32_e32 v158, s85
	s_waitcnt lgkmcnt(1)
	v_add_u32_e32 v156, v5, v17
	v_lshlrev_b64 v[156:157], 3, v[156:157]
	v_add_co_u32_e32 v156, vcc, s84, v156
	v_addc_co_u32_e32 v157, vcc, v158, v157, vcc
	s_waitcnt lgkmcnt(0)
	global_store_dwordx2 v[156:157], v[56:57], off
	s_or_b64 exec, exec, s[40:41]
	s_and_saveexec_b64 s[40:41], s[50:51]
	s_cbranch_execnz .LBB1044_321
.LBB1044_302:                           ;   in Loop: Header=BB1044_110 Depth=2
	s_or_b64 exec, exec, s[40:41]
	s_and_saveexec_b64 s[40:41], s[52:53]
	s_cbranch_execz .LBB1044_322
.LBB1044_303:                           ;   in Loop: Header=BB1044_110 Depth=2
	v_lshlrev_b32_e32 v5, 2, v144
	ds_read_b32 v5, v5
	v_add_u32_e32 v56, v76, v77
	ds_read_b64 v[56:57], v56 offset:12288
	v_mov_b32_e32 v157, v4
	v_mov_b32_e32 v158, s85
	s_waitcnt lgkmcnt(1)
	v_add_u32_e32 v156, v5, v21
	v_lshlrev_b64 v[156:157], 3, v[156:157]
	v_add_co_u32_e32 v156, vcc, s84, v156
	v_addc_co_u32_e32 v157, vcc, v158, v157, vcc
	s_waitcnt lgkmcnt(0)
	global_store_dwordx2 v[156:157], v[56:57], off
	s_or_b64 exec, exec, s[40:41]
	s_and_saveexec_b64 s[40:41], s[54:55]
	s_cbranch_execnz .LBB1044_323
.LBB1044_304:                           ;   in Loop: Header=BB1044_110 Depth=2
	s_or_b64 exec, exec, s[40:41]
	s_and_saveexec_b64 s[40:41], s[56:57]
	s_cbranch_execz .LBB1044_324
.LBB1044_305:                           ;   in Loop: Header=BB1044_110 Depth=2
	v_lshlrev_b32_e32 v5, 2, v142
	ds_read_b32 v5, v5
	v_add_u32_e32 v56, v76, v77
	ds_read_b64 v[56:57], v56 offset:16384
	v_mov_b32_e32 v157, v4
	v_mov_b32_e32 v158, s85
	s_waitcnt lgkmcnt(1)
	v_add_u32_e32 v156, v5, v6
	v_lshlrev_b64 v[156:157], 3, v[156:157]
	v_add_co_u32_e32 v156, vcc, s84, v156
	v_addc_co_u32_e32 v157, vcc, v158, v157, vcc
	s_waitcnt lgkmcnt(0)
	global_store_dwordx2 v[156:157], v[56:57], off
	s_or_b64 exec, exec, s[40:41]
	s_and_saveexec_b64 s[40:41], s[58:59]
	s_cbranch_execnz .LBB1044_325
.LBB1044_306:                           ;   in Loop: Header=BB1044_110 Depth=2
	s_or_b64 exec, exec, s[40:41]
	s_and_saveexec_b64 s[40:41], s[60:61]
	s_cbranch_execz .LBB1044_326
.LBB1044_307:                           ;   in Loop: Header=BB1044_110 Depth=2
	v_lshlrev_b32_e32 v5, 2, v140
	ds_read_b32 v5, v5
	v_add_u32_e32 v56, v76, v77
	ds_read_b64 v[56:57], v56 offset:20480
	v_mov_b32_e32 v157, v4
	v_mov_b32_e32 v158, s85
	s_waitcnt lgkmcnt(1)
	v_add_u32_e32 v156, v5, v10
	v_lshlrev_b64 v[156:157], 3, v[156:157]
	v_add_co_u32_e32 v156, vcc, s84, v156
	v_addc_co_u32_e32 v157, vcc, v158, v157, vcc
	s_waitcnt lgkmcnt(0)
	global_store_dwordx2 v[156:157], v[56:57], off
	s_or_b64 exec, exec, s[40:41]
	s_and_saveexec_b64 s[40:41], s[62:63]
	s_cbranch_execnz .LBB1044_327
.LBB1044_308:                           ;   in Loop: Header=BB1044_110 Depth=2
	s_or_b64 exec, exec, s[40:41]
	s_and_saveexec_b64 s[40:41], s[64:65]
	s_cbranch_execz .LBB1044_328
.LBB1044_309:                           ;   in Loop: Header=BB1044_110 Depth=2
	v_lshlrev_b32_e32 v5, 2, v138
	ds_read_b32 v5, v5
	v_add_u32_e32 v56, v76, v77
	ds_read_b64 v[56:57], v56 offset:24576
	v_mov_b32_e32 v157, v4
	v_mov_b32_e32 v158, s85
	s_waitcnt lgkmcnt(1)
	v_add_u32_e32 v156, v5, v14
	v_lshlrev_b64 v[156:157], 3, v[156:157]
	v_add_co_u32_e32 v156, vcc, s84, v156
	v_addc_co_u32_e32 v157, vcc, v158, v157, vcc
	s_waitcnt lgkmcnt(0)
	global_store_dwordx2 v[156:157], v[56:57], off
	s_or_b64 exec, exec, s[40:41]
	s_and_saveexec_b64 s[40:41], s[66:67]
	s_cbranch_execnz .LBB1044_329
.LBB1044_310:                           ;   in Loop: Header=BB1044_110 Depth=2
	s_or_b64 exec, exec, s[40:41]
	s_and_saveexec_b64 s[40:41], s[68:69]
	s_cbranch_execz .LBB1044_330
.LBB1044_311:                           ;   in Loop: Header=BB1044_110 Depth=2
	v_lshlrev_b32_e32 v5, 2, v136
	ds_read_b32 v5, v5
	v_add_u32_e32 v56, v76, v77
	ds_read_b64 v[56:57], v56 offset:28672
	v_mov_b32_e32 v157, v4
	v_mov_b32_e32 v158, s85
	s_waitcnt lgkmcnt(1)
	v_add_u32_e32 v156, v5, v18
	v_lshlrev_b64 v[156:157], 3, v[156:157]
	v_add_co_u32_e32 v156, vcc, s84, v156
	v_addc_co_u32_e32 v157, vcc, v158, v157, vcc
	s_waitcnt lgkmcnt(0)
	global_store_dwordx2 v[156:157], v[56:57], off
	s_or_b64 exec, exec, s[40:41]
	s_and_saveexec_b64 s[40:41], s[70:71]
	s_cbranch_execnz .LBB1044_331
.LBB1044_312:                           ;   in Loop: Header=BB1044_110 Depth=2
	s_or_b64 exec, exec, s[40:41]
	s_and_saveexec_b64 s[40:41], s[72:73]
	s_cbranch_execz .LBB1044_314
.LBB1044_313:                           ;   in Loop: Header=BB1044_110 Depth=2
	v_lshlrev_b32_e32 v5, 2, v134
	ds_read_b32 v5, v5
	v_add_u32_e32 v56, v76, v77
	ds_read_b64 v[56:57], v56 offset:32768
	v_mov_b32_e32 v157, v4
	v_mov_b32_e32 v158, s85
	s_waitcnt lgkmcnt(1)
	v_add_u32_e32 v156, v5, v22
	v_lshlrev_b64 v[156:157], 3, v[156:157]
	v_add_co_u32_e32 v156, vcc, s84, v156
	v_addc_co_u32_e32 v157, vcc, v158, v157, vcc
	s_waitcnt lgkmcnt(0)
	global_store_dwordx2 v[156:157], v[56:57], off
.LBB1044_314:                           ;   in Loop: Header=BB1044_110 Depth=2
	s_or_b64 exec, exec, s[40:41]
	s_barrier
	s_and_saveexec_b64 s[40:41], s[4:5]
	s_cbranch_execz .LBB1044_109
; %bb.315:                              ;   in Loop: Header=BB1044_110 Depth=2
	ds_read_b32 v5, v3
	s_waitcnt lgkmcnt(0)
	v_add3_u32 v5, v154, v155, v5
	ds_write_b32 v3, v5
	s_branch .LBB1044_109
.LBB1044_316:                           ;   in Loop: Header=BB1044_110 Depth=2
	s_or_b64 exec, exec, s[82:83]
	s_and_saveexec_b64 s[40:41], s[42:43]
	s_cbranch_execz .LBB1044_298
.LBB1044_317:                           ;   in Loop: Header=BB1044_110 Depth=2
	v_lshlrev_b32_e32 v5, 2, v150
	ds_read_b32 v5, v5
	v_add_u32_e32 v56, v76, v77
	ds_read_b64 v[56:57], v56 offset:2048
	v_mov_b32_e32 v157, v4
	v_mov_b32_e32 v158, s85
	s_waitcnt lgkmcnt(1)
	v_add_u32_e32 v156, v5, v7
	v_lshlrev_b64 v[156:157], 3, v[156:157]
	v_add_co_u32_e32 v156, vcc, s84, v156
	v_addc_co_u32_e32 v157, vcc, v158, v157, vcc
	s_waitcnt lgkmcnt(0)
	global_store_dwordx2 v[156:157], v[56:57], off
	s_or_b64 exec, exec, s[40:41]
	s_and_saveexec_b64 s[40:41], s[44:45]
	s_cbranch_execnz .LBB1044_299
.LBB1044_318:                           ;   in Loop: Header=BB1044_110 Depth=2
	s_or_b64 exec, exec, s[40:41]
	s_and_saveexec_b64 s[40:41], s[46:47]
	s_cbranch_execz .LBB1044_300
.LBB1044_319:                           ;   in Loop: Header=BB1044_110 Depth=2
	v_lshlrev_b32_e32 v5, 2, v147
	ds_read_b32 v5, v5
	v_add_u32_e32 v56, v76, v77
	ds_read_b64 v[56:57], v56 offset:6144
	v_mov_b32_e32 v157, v4
	v_mov_b32_e32 v158, s85
	s_waitcnt lgkmcnt(1)
	v_add_u32_e32 v156, v5, v15
	v_lshlrev_b64 v[156:157], 3, v[156:157]
	v_add_co_u32_e32 v156, vcc, s84, v156
	v_addc_co_u32_e32 v157, vcc, v158, v157, vcc
	s_waitcnt lgkmcnt(0)
	global_store_dwordx2 v[156:157], v[56:57], off
	s_or_b64 exec, exec, s[40:41]
	s_and_saveexec_b64 s[40:41], s[48:49]
	s_cbranch_execnz .LBB1044_301
.LBB1044_320:                           ;   in Loop: Header=BB1044_110 Depth=2
	s_or_b64 exec, exec, s[40:41]
	s_and_saveexec_b64 s[40:41], s[50:51]
	s_cbranch_execz .LBB1044_302
.LBB1044_321:                           ;   in Loop: Header=BB1044_110 Depth=2
	v_lshlrev_b32_e32 v5, 2, v145
	ds_read_b32 v5, v5
	v_add_u32_e32 v56, v76, v77
	ds_read_b64 v[56:57], v56 offset:10240
	v_mov_b32_e32 v157, v4
	v_mov_b32_e32 v158, s85
	s_waitcnt lgkmcnt(1)
	v_add_u32_e32 v156, v5, v19
	v_lshlrev_b64 v[156:157], 3, v[156:157]
	v_add_co_u32_e32 v156, vcc, s84, v156
	v_addc_co_u32_e32 v157, vcc, v158, v157, vcc
	s_waitcnt lgkmcnt(0)
	global_store_dwordx2 v[156:157], v[56:57], off
	s_or_b64 exec, exec, s[40:41]
	s_and_saveexec_b64 s[40:41], s[52:53]
	s_cbranch_execnz .LBB1044_303
.LBB1044_322:                           ;   in Loop: Header=BB1044_110 Depth=2
	s_or_b64 exec, exec, s[40:41]
	s_and_saveexec_b64 s[40:41], s[54:55]
	s_cbranch_execz .LBB1044_304
.LBB1044_323:                           ;   in Loop: Header=BB1044_110 Depth=2
	v_lshlrev_b32_e32 v5, 2, v143
	ds_read_b32 v5, v5
	v_add_u32_e32 v56, v76, v77
	ds_read_b64 v[56:57], v56 offset:14336
	v_mov_b32_e32 v157, v4
	v_mov_b32_e32 v158, s85
	s_waitcnt lgkmcnt(1)
	v_add_u32_e32 v156, v5, v23
	v_lshlrev_b64 v[156:157], 3, v[156:157]
	v_add_co_u32_e32 v156, vcc, s84, v156
	v_addc_co_u32_e32 v157, vcc, v158, v157, vcc
	s_waitcnt lgkmcnt(0)
	global_store_dwordx2 v[156:157], v[56:57], off
	s_or_b64 exec, exec, s[40:41]
	s_and_saveexec_b64 s[40:41], s[56:57]
	s_cbranch_execnz .LBB1044_305
.LBB1044_324:                           ;   in Loop: Header=BB1044_110 Depth=2
	s_or_b64 exec, exec, s[40:41]
	s_and_saveexec_b64 s[40:41], s[58:59]
	s_cbranch_execz .LBB1044_306
.LBB1044_325:                           ;   in Loop: Header=BB1044_110 Depth=2
	v_lshlrev_b32_e32 v5, 2, v141
	ds_read_b32 v5, v5
	v_add_u32_e32 v56, v76, v77
	ds_read_b64 v[56:57], v56 offset:18432
	v_mov_b32_e32 v157, v4
	v_mov_b32_e32 v158, s85
	s_waitcnt lgkmcnt(1)
	v_add_u32_e32 v156, v5, v8
	v_lshlrev_b64 v[156:157], 3, v[156:157]
	v_add_co_u32_e32 v156, vcc, s84, v156
	v_addc_co_u32_e32 v157, vcc, v158, v157, vcc
	s_waitcnt lgkmcnt(0)
	global_store_dwordx2 v[156:157], v[56:57], off
	s_or_b64 exec, exec, s[40:41]
	s_and_saveexec_b64 s[40:41], s[60:61]
	s_cbranch_execnz .LBB1044_307
.LBB1044_326:                           ;   in Loop: Header=BB1044_110 Depth=2
	s_or_b64 exec, exec, s[40:41]
	s_and_saveexec_b64 s[40:41], s[62:63]
	s_cbranch_execz .LBB1044_308
.LBB1044_327:                           ;   in Loop: Header=BB1044_110 Depth=2
	v_lshlrev_b32_e32 v5, 2, v139
	ds_read_b32 v5, v5
	v_add_u32_e32 v56, v76, v77
	ds_read_b64 v[56:57], v56 offset:22528
	v_mov_b32_e32 v157, v4
	v_mov_b32_e32 v158, s85
	s_waitcnt lgkmcnt(1)
	v_add_u32_e32 v156, v5, v12
	v_lshlrev_b64 v[156:157], 3, v[156:157]
	v_add_co_u32_e32 v156, vcc, s84, v156
	v_addc_co_u32_e32 v157, vcc, v158, v157, vcc
	s_waitcnt lgkmcnt(0)
	global_store_dwordx2 v[156:157], v[56:57], off
	s_or_b64 exec, exec, s[40:41]
	s_and_saveexec_b64 s[40:41], s[64:65]
	s_cbranch_execnz .LBB1044_309
.LBB1044_328:                           ;   in Loop: Header=BB1044_110 Depth=2
	s_or_b64 exec, exec, s[40:41]
	s_and_saveexec_b64 s[40:41], s[66:67]
	s_cbranch_execz .LBB1044_310
.LBB1044_329:                           ;   in Loop: Header=BB1044_110 Depth=2
	v_lshlrev_b32_e32 v5, 2, v137
	ds_read_b32 v5, v5
	v_add_u32_e32 v56, v76, v77
	ds_read_b64 v[56:57], v56 offset:26624
	v_mov_b32_e32 v157, v4
	v_mov_b32_e32 v158, s85
	s_waitcnt lgkmcnt(1)
	v_add_u32_e32 v156, v5, v16
	v_lshlrev_b64 v[156:157], 3, v[156:157]
	v_add_co_u32_e32 v156, vcc, s84, v156
	v_addc_co_u32_e32 v157, vcc, v158, v157, vcc
	s_waitcnt lgkmcnt(0)
	global_store_dwordx2 v[156:157], v[56:57], off
	s_or_b64 exec, exec, s[40:41]
	s_and_saveexec_b64 s[40:41], s[68:69]
	s_cbranch_execnz .LBB1044_311
.LBB1044_330:                           ;   in Loop: Header=BB1044_110 Depth=2
	s_or_b64 exec, exec, s[40:41]
	s_and_saveexec_b64 s[40:41], s[70:71]
	s_cbranch_execz .LBB1044_312
.LBB1044_331:                           ;   in Loop: Header=BB1044_110 Depth=2
	v_lshlrev_b32_e32 v5, 2, v135
	ds_read_b32 v5, v5
	v_add_u32_e32 v56, v76, v77
	ds_read_b64 v[56:57], v56 offset:30720
	v_mov_b32_e32 v157, v4
	v_mov_b32_e32 v158, s85
	s_waitcnt lgkmcnt(1)
	v_add_u32_e32 v156, v5, v20
	v_lshlrev_b64 v[156:157], 3, v[156:157]
	v_add_co_u32_e32 v156, vcc, s84, v156
	v_addc_co_u32_e32 v157, vcc, v158, v157, vcc
	s_waitcnt lgkmcnt(0)
	global_store_dwordx2 v[156:157], v[56:57], off
	s_or_b64 exec, exec, s[40:41]
	s_and_saveexec_b64 s[40:41], s[72:73]
	s_cbranch_execnz .LBB1044_313
	s_branch .LBB1044_314
.LBB1044_332:                           ;   in Loop: Header=BB1044_20 Depth=1
	s_waitcnt lgkmcnt(0)
	s_barrier
	s_mov_b64 s[20:21], 0
.LBB1044_333:                           ;   in Loop: Header=BB1044_20 Depth=1
	s_and_b64 vcc, exec, s[20:21]
	s_cbranch_vccz .LBB1044_645
; %bb.334:                              ;   in Loop: Header=BB1044_20 Depth=1
	s_mov_b32 s7, s91
	s_mov_b32 s94, s75
	s_barrier
	s_waitcnt lgkmcnt(0)
                                        ; implicit-def: $vgpr39
                                        ; implicit-def: $vgpr5
                                        ; implicit-def: $vgpr24
                                        ; implicit-def: $vgpr25
                                        ; implicit-def: $vgpr26
                                        ; implicit-def: $vgpr27
                                        ; implicit-def: $vgpr28
                                        ; implicit-def: $vgpr29
                                        ; implicit-def: $vgpr30
                                        ; implicit-def: $vgpr31
                                        ; implicit-def: $vgpr32
                                        ; implicit-def: $vgpr33
                                        ; implicit-def: $vgpr34
                                        ; implicit-def: $vgpr35
                                        ; implicit-def: $vgpr36
                                        ; implicit-def: $vgpr37
                                        ; implicit-def: $vgpr38
	s_branch .LBB1044_336
.LBB1044_335:                           ;   in Loop: Header=BB1044_336 Depth=2
	s_or_b64 exec, exec, s[20:21]
	s_addk_i32 s7, 0xef00
	s_cmp_ge_u32 s8, s98
	s_mov_b32 s94, s8
	s_cbranch_scc1 .LBB1044_410
.LBB1044_336:                           ;   Parent Loop BB1044_20 Depth=1
                                        ; =>  This Inner Loop Header: Depth=2
	s_add_i32 s8, s94, 0x1100
	s_cmp_gt_u32 s8, s98
	s_cbranch_scc1 .LBB1044_339
; %bb.337:                              ;   in Loop: Header=BB1044_336 Depth=2
	s_lshl_b64 s[20:21], s[94:95], 1
	v_mov_b32_e32 v1, s21
	v_add_co_u32_e32 v0, vcc, s20, v78
	v_addc_co_u32_e32 v1, vcc, v79, v1, vcc
	s_waitcnt vmcnt(0)
	v_add_co_u32_e32 v56, vcc, s88, v0
	v_addc_co_u32_e32 v57, vcc, 0, v1, vcc
	global_load_ushort v41, v[0:1], off
	global_load_ushort v42, v[0:1], off offset:512
	global_load_ushort v43, v[0:1], off offset:1024
	global_load_ushort v44, v[0:1], off offset:1536
	global_load_ushort v45, v[0:1], off offset:2048
	global_load_ushort v46, v[0:1], off offset:2560
	global_load_ushort v47, v[0:1], off offset:3072
	global_load_ushort v48, v[0:1], off offset:3584
	global_load_ushort v49, v[56:57], off
	global_load_ushort v50, v[56:57], off offset:512
	global_load_ushort v51, v[56:57], off offset:1024
	;; [unrolled: 1-line block ×6, first 2 shown]
	s_nop 0
	global_load_ushort v56, v[56:57], off offset:3584
	v_add_co_u32_e32 v0, vcc, 0x2000, v0
	v_addc_co_u32_e32 v1, vcc, 0, v1, vcc
	s_mov_b64 s[20:21], -1
	s_movk_i32 s9, 0x1100
	s_cbranch_execz .LBB1044_340
; %bb.338:                              ;   in Loop: Header=BB1044_336 Depth=2
                                        ; implicit-def: $vgpr38
                                        ; implicit-def: $vgpr37
                                        ; implicit-def: $vgpr36
                                        ; implicit-def: $vgpr35
                                        ; implicit-def: $vgpr34
                                        ; implicit-def: $vgpr33
                                        ; implicit-def: $vgpr32
                                        ; implicit-def: $vgpr31
                                        ; implicit-def: $vgpr30
                                        ; implicit-def: $vgpr29
                                        ; implicit-def: $vgpr28
                                        ; implicit-def: $vgpr27
                                        ; implicit-def: $vgpr26
                                        ; implicit-def: $vgpr25
                                        ; implicit-def: $vgpr24
                                        ; implicit-def: $vgpr5
                                        ; implicit-def: $vgpr39
	v_mov_b32_e32 v40, s7
	s_and_saveexec_b64 s[22:23], s[20:21]
	s_cbranch_execnz .LBB1044_375
	s_branch .LBB1044_376
.LBB1044_339:                           ;   in Loop: Header=BB1044_336 Depth=2
	s_mov_b64 s[20:21], 0
                                        ; implicit-def: $sgpr9
                                        ; implicit-def: $vgpr41
                                        ; implicit-def: $vgpr42
                                        ; implicit-def: $vgpr43
                                        ; implicit-def: $vgpr44
                                        ; implicit-def: $vgpr45
                                        ; implicit-def: $vgpr46
                                        ; implicit-def: $vgpr47
                                        ; implicit-def: $vgpr48
                                        ; implicit-def: $vgpr49
                                        ; implicit-def: $vgpr50
                                        ; implicit-def: $vgpr51
                                        ; implicit-def: $vgpr52
                                        ; implicit-def: $vgpr53
                                        ; implicit-def: $vgpr54
                                        ; implicit-def: $vgpr55
                                        ; implicit-def: $vgpr56
                                        ; implicit-def: $vgpr0_vgpr1
.LBB1044_340:                           ;   in Loop: Header=BB1044_336 Depth=2
	s_lshl_b64 s[22:23], s[94:95], 1
	s_add_u32 s22, s78, s22
	s_addc_u32 s23, s79, s23
	v_cmp_gt_u32_e32 vcc, s7, v2
	s_and_saveexec_b64 s[24:25], vcc
	s_cbranch_execz .LBB1044_356
; %bb.341:                              ;   in Loop: Header=BB1044_336 Depth=2
	global_load_ushort v38, v92, s[22:23]
	s_or_b64 exec, exec, s[24:25]
	v_cmp_gt_u32_e32 vcc, s7, v7
	s_and_saveexec_b64 s[24:25], vcc
	s_cbranch_execnz .LBB1044_357
.LBB1044_342:                           ;   in Loop: Header=BB1044_336 Depth=2
	s_or_b64 exec, exec, s[24:25]
	v_cmp_gt_u32_e32 vcc, s7, v13
	s_and_saveexec_b64 s[24:25], vcc
	s_cbranch_execz .LBB1044_358
.LBB1044_343:                           ;   in Loop: Header=BB1044_336 Depth=2
	global_load_ushort v36, v92, s[22:23] offset:1024
	s_or_b64 exec, exec, s[24:25]
	v_cmp_gt_u32_e32 vcc, s7, v15
	s_and_saveexec_b64 s[24:25], vcc
	s_cbranch_execnz .LBB1044_359
.LBB1044_344:                           ;   in Loop: Header=BB1044_336 Depth=2
	s_or_b64 exec, exec, s[24:25]
	v_cmp_gt_u32_e32 vcc, s7, v17
	s_and_saveexec_b64 s[24:25], vcc
	s_cbranch_execz .LBB1044_360
.LBB1044_345:                           ;   in Loop: Header=BB1044_336 Depth=2
	global_load_ushort v34, v92, s[22:23] offset:2048
	s_or_b64 exec, exec, s[24:25]
	v_cmp_gt_u32_e32 vcc, s7, v19
	s_and_saveexec_b64 s[24:25], vcc
	s_cbranch_execnz .LBB1044_361
.LBB1044_346:                           ;   in Loop: Header=BB1044_336 Depth=2
	s_or_b64 exec, exec, s[24:25]
	v_cmp_gt_u32_e32 vcc, s7, v21
	s_and_saveexec_b64 s[24:25], vcc
	s_cbranch_execz .LBB1044_362
.LBB1044_347:                           ;   in Loop: Header=BB1044_336 Depth=2
	global_load_ushort v32, v92, s[22:23] offset:3072
	s_or_b64 exec, exec, s[24:25]
	v_cmp_gt_u32_e32 vcc, s7, v23
	s_and_saveexec_b64 s[24:25], vcc
	s_cbranch_execnz .LBB1044_363
.LBB1044_348:                           ;   in Loop: Header=BB1044_336 Depth=2
	s_or_b64 exec, exec, s[24:25]
	v_cmp_gt_u32_e32 vcc, s7, v6
	s_and_saveexec_b64 s[24:25], vcc
	s_cbranch_execz .LBB1044_364
.LBB1044_349:                           ;   in Loop: Header=BB1044_336 Depth=2
	global_load_ushort v30, v93, s[22:23]
	s_or_b64 exec, exec, s[24:25]
	v_cmp_gt_u32_e32 vcc, s7, v8
	s_and_saveexec_b64 s[24:25], vcc
	s_cbranch_execnz .LBB1044_365
.LBB1044_350:                           ;   in Loop: Header=BB1044_336 Depth=2
	s_or_b64 exec, exec, s[24:25]
	v_cmp_gt_u32_e32 vcc, s7, v10
	s_and_saveexec_b64 s[24:25], vcc
	s_cbranch_execz .LBB1044_366
.LBB1044_351:                           ;   in Loop: Header=BB1044_336 Depth=2
	global_load_ushort v28, v95, s[22:23]
	s_or_b64 exec, exec, s[24:25]
	v_cmp_gt_u32_e32 vcc, s7, v12
	s_and_saveexec_b64 s[24:25], vcc
	s_cbranch_execnz .LBB1044_367
.LBB1044_352:                           ;   in Loop: Header=BB1044_336 Depth=2
	s_or_b64 exec, exec, s[24:25]
	v_cmp_gt_u32_e32 vcc, s7, v14
	s_and_saveexec_b64 s[24:25], vcc
	s_cbranch_execz .LBB1044_368
.LBB1044_353:                           ;   in Loop: Header=BB1044_336 Depth=2
	global_load_ushort v26, v97, s[22:23]
	s_or_b64 exec, exec, s[24:25]
	v_cmp_gt_u32_e32 vcc, s7, v16
	s_and_saveexec_b64 s[24:25], vcc
	s_cbranch_execnz .LBB1044_369
.LBB1044_354:                           ;   in Loop: Header=BB1044_336 Depth=2
	s_or_b64 exec, exec, s[24:25]
	v_cmp_gt_u32_e32 vcc, s7, v18
	s_and_saveexec_b64 s[24:25], vcc
	s_cbranch_execz .LBB1044_370
.LBB1044_355:                           ;   in Loop: Header=BB1044_336 Depth=2
	global_load_ushort v24, v99, s[22:23]
	s_or_b64 exec, exec, s[24:25]
	v_cmp_gt_u32_e32 vcc, s7, v20
	s_and_saveexec_b64 s[24:25], vcc
	s_cbranch_execz .LBB1044_372
	s_branch .LBB1044_371
.LBB1044_356:                           ;   in Loop: Header=BB1044_336 Depth=2
	s_or_b64 exec, exec, s[24:25]
	v_cmp_gt_u32_e32 vcc, s7, v7
	s_and_saveexec_b64 s[24:25], vcc
	s_cbranch_execz .LBB1044_342
.LBB1044_357:                           ;   in Loop: Header=BB1044_336 Depth=2
	global_load_ushort v37, v92, s[22:23] offset:512
	s_or_b64 exec, exec, s[24:25]
	v_cmp_gt_u32_e32 vcc, s7, v13
	s_and_saveexec_b64 s[24:25], vcc
	s_cbranch_execnz .LBB1044_343
.LBB1044_358:                           ;   in Loop: Header=BB1044_336 Depth=2
	s_or_b64 exec, exec, s[24:25]
	v_cmp_gt_u32_e32 vcc, s7, v15
	s_and_saveexec_b64 s[24:25], vcc
	s_cbranch_execz .LBB1044_344
.LBB1044_359:                           ;   in Loop: Header=BB1044_336 Depth=2
	global_load_ushort v35, v92, s[22:23] offset:1536
	s_or_b64 exec, exec, s[24:25]
	v_cmp_gt_u32_e32 vcc, s7, v17
	s_and_saveexec_b64 s[24:25], vcc
	s_cbranch_execnz .LBB1044_345
.LBB1044_360:                           ;   in Loop: Header=BB1044_336 Depth=2
	s_or_b64 exec, exec, s[24:25]
	v_cmp_gt_u32_e32 vcc, s7, v19
	s_and_saveexec_b64 s[24:25], vcc
	s_cbranch_execz .LBB1044_346
.LBB1044_361:                           ;   in Loop: Header=BB1044_336 Depth=2
	global_load_ushort v33, v92, s[22:23] offset:2560
	s_or_b64 exec, exec, s[24:25]
	v_cmp_gt_u32_e32 vcc, s7, v21
	s_and_saveexec_b64 s[24:25], vcc
	s_cbranch_execnz .LBB1044_347
.LBB1044_362:                           ;   in Loop: Header=BB1044_336 Depth=2
	s_or_b64 exec, exec, s[24:25]
	v_cmp_gt_u32_e32 vcc, s7, v23
	s_and_saveexec_b64 s[24:25], vcc
	s_cbranch_execz .LBB1044_348
.LBB1044_363:                           ;   in Loop: Header=BB1044_336 Depth=2
	global_load_ushort v31, v92, s[22:23] offset:3584
	s_or_b64 exec, exec, s[24:25]
	v_cmp_gt_u32_e32 vcc, s7, v6
	s_and_saveexec_b64 s[24:25], vcc
	s_cbranch_execnz .LBB1044_349
.LBB1044_364:                           ;   in Loop: Header=BB1044_336 Depth=2
	s_or_b64 exec, exec, s[24:25]
	v_cmp_gt_u32_e32 vcc, s7, v8
	s_and_saveexec_b64 s[24:25], vcc
	s_cbranch_execz .LBB1044_350
.LBB1044_365:                           ;   in Loop: Header=BB1044_336 Depth=2
	global_load_ushort v29, v94, s[22:23]
	s_or_b64 exec, exec, s[24:25]
	v_cmp_gt_u32_e32 vcc, s7, v10
	s_and_saveexec_b64 s[24:25], vcc
	s_cbranch_execnz .LBB1044_351
.LBB1044_366:                           ;   in Loop: Header=BB1044_336 Depth=2
	s_or_b64 exec, exec, s[24:25]
	v_cmp_gt_u32_e32 vcc, s7, v12
	s_and_saveexec_b64 s[24:25], vcc
	s_cbranch_execz .LBB1044_352
.LBB1044_367:                           ;   in Loop: Header=BB1044_336 Depth=2
	global_load_ushort v27, v96, s[22:23]
	s_or_b64 exec, exec, s[24:25]
	v_cmp_gt_u32_e32 vcc, s7, v14
	s_and_saveexec_b64 s[24:25], vcc
	s_cbranch_execnz .LBB1044_353
.LBB1044_368:                           ;   in Loop: Header=BB1044_336 Depth=2
	s_or_b64 exec, exec, s[24:25]
	v_cmp_gt_u32_e32 vcc, s7, v16
	s_and_saveexec_b64 s[24:25], vcc
	s_cbranch_execz .LBB1044_354
.LBB1044_369:                           ;   in Loop: Header=BB1044_336 Depth=2
	global_load_ushort v25, v98, s[22:23]
	s_or_b64 exec, exec, s[24:25]
	v_cmp_gt_u32_e32 vcc, s7, v18
	s_and_saveexec_b64 s[24:25], vcc
	s_cbranch_execnz .LBB1044_355
.LBB1044_370:                           ;   in Loop: Header=BB1044_336 Depth=2
	s_or_b64 exec, exec, s[24:25]
	v_cmp_gt_u32_e32 vcc, s7, v20
	s_and_saveexec_b64 s[24:25], vcc
	s_cbranch_execz .LBB1044_372
.LBB1044_371:                           ;   in Loop: Header=BB1044_336 Depth=2
	global_load_ushort v5, v100, s[22:23]
.LBB1044_372:                           ;   in Loop: Header=BB1044_336 Depth=2
	s_or_b64 exec, exec, s[24:25]
	v_cmp_gt_u32_e32 vcc, s7, v22
                                        ; implicit-def: $sgpr9
                                        ; implicit-def: $vgpr0_vgpr1
	s_and_saveexec_b64 s[24:25], vcc
; %bb.373:                              ;   in Loop: Header=BB1044_336 Depth=2
	v_mov_b32_e32 v1, s23
	v_add_co_u32_e32 v0, vcc, s22, v101
	s_sub_i32 s9, s98, s94
	v_addc_co_u32_e32 v1, vcc, 0, v1, vcc
	s_or_b64 s[20:21], s[20:21], exec
                                        ; implicit-def: $vgpr39
; %bb.374:                              ;   in Loop: Header=BB1044_336 Depth=2
	s_or_b64 exec, exec, s[24:25]
	s_waitcnt vmcnt(0)
	v_mov_b32_e32 v41, v38
	v_mov_b32_e32 v42, v37
	;; [unrolled: 1-line block ×17, first 2 shown]
	s_and_saveexec_b64 s[22:23], s[20:21]
	s_cbranch_execz .LBB1044_376
.LBB1044_375:                           ;   in Loop: Header=BB1044_336 Depth=2
	global_load_ushort v39, v[0:1], off
	v_mov_b32_e32 v40, s9
	s_waitcnt vmcnt(1)
	v_mov_b32_e32 v5, v56
	v_mov_b32_e32 v24, v55
	;; [unrolled: 1-line block ×16, first 2 shown]
.LBB1044_376:                           ;   in Loop: Header=BB1044_336 Depth=2
	s_or_b64 exec, exec, s[22:23]
	v_cmp_lt_u32_e32 vcc, v2, v40
	s_and_saveexec_b64 s[20:21], vcc
	s_cbranch_execz .LBB1044_393
; %bb.377:                              ;   in Loop: Header=BB1044_336 Depth=2
	v_xor_b32_e32 v0, 0xffff8000, v38
	v_lshrrev_b32_sdwa v0, s99, v0 dst_sel:DWORD dst_unused:UNUSED_PAD src0_sel:DWORD src1_sel:WORD_0
	v_and_b32_e32 v0, s6, v0
	v_lshl_or_b32 v0, v0, 4, v90
	ds_add_u32 v0, v91
	s_or_b64 exec, exec, s[20:21]
	v_cmp_lt_u32_e32 vcc, v7, v40
	s_and_saveexec_b64 s[20:21], vcc
	s_cbranch_execnz .LBB1044_394
.LBB1044_378:                           ;   in Loop: Header=BB1044_336 Depth=2
	s_or_b64 exec, exec, s[20:21]
	v_cmp_lt_u32_e32 vcc, v13, v40
	s_and_saveexec_b64 s[20:21], vcc
	s_cbranch_execz .LBB1044_395
.LBB1044_379:                           ;   in Loop: Header=BB1044_336 Depth=2
	v_xor_b32_e32 v0, 0xffff8000, v36
	v_lshrrev_b32_sdwa v0, s99, v0 dst_sel:DWORD dst_unused:UNUSED_PAD src0_sel:DWORD src1_sel:WORD_0
	v_and_b32_e32 v0, s6, v0
	v_lshl_or_b32 v0, v0, 4, v90
	ds_add_u32 v0, v91
	s_or_b64 exec, exec, s[20:21]
	v_cmp_lt_u32_e32 vcc, v15, v40
	s_and_saveexec_b64 s[20:21], vcc
	s_cbranch_execnz .LBB1044_396
.LBB1044_380:                           ;   in Loop: Header=BB1044_336 Depth=2
	s_or_b64 exec, exec, s[20:21]
	v_cmp_lt_u32_e32 vcc, v17, v40
	s_and_saveexec_b64 s[20:21], vcc
	s_cbranch_execz .LBB1044_397
.LBB1044_381:                           ;   in Loop: Header=BB1044_336 Depth=2
	v_xor_b32_e32 v0, 0xffff8000, v34
	v_lshrrev_b32_sdwa v0, s99, v0 dst_sel:DWORD dst_unused:UNUSED_PAD src0_sel:DWORD src1_sel:WORD_0
	v_and_b32_e32 v0, s6, v0
	v_lshl_or_b32 v0, v0, 4, v90
	ds_add_u32 v0, v91
	s_or_b64 exec, exec, s[20:21]
	v_cmp_lt_u32_e32 vcc, v19, v40
	s_and_saveexec_b64 s[20:21], vcc
	s_cbranch_execnz .LBB1044_398
.LBB1044_382:                           ;   in Loop: Header=BB1044_336 Depth=2
	s_or_b64 exec, exec, s[20:21]
	v_cmp_lt_u32_e32 vcc, v21, v40
	s_and_saveexec_b64 s[20:21], vcc
	s_cbranch_execz .LBB1044_399
.LBB1044_383:                           ;   in Loop: Header=BB1044_336 Depth=2
	v_xor_b32_e32 v0, 0xffff8000, v32
	v_lshrrev_b32_sdwa v0, s99, v0 dst_sel:DWORD dst_unused:UNUSED_PAD src0_sel:DWORD src1_sel:WORD_0
	v_and_b32_e32 v0, s6, v0
	v_lshl_or_b32 v0, v0, 4, v90
	ds_add_u32 v0, v91
	s_or_b64 exec, exec, s[20:21]
	v_cmp_lt_u32_e32 vcc, v23, v40
	s_and_saveexec_b64 s[20:21], vcc
	s_cbranch_execnz .LBB1044_400
.LBB1044_384:                           ;   in Loop: Header=BB1044_336 Depth=2
	s_or_b64 exec, exec, s[20:21]
	v_cmp_lt_u32_e32 vcc, v6, v40
	s_and_saveexec_b64 s[20:21], vcc
	s_cbranch_execz .LBB1044_401
.LBB1044_385:                           ;   in Loop: Header=BB1044_336 Depth=2
	v_xor_b32_e32 v0, 0xffff8000, v30
	v_lshrrev_b32_sdwa v0, s99, v0 dst_sel:DWORD dst_unused:UNUSED_PAD src0_sel:DWORD src1_sel:WORD_0
	v_and_b32_e32 v0, s6, v0
	v_lshl_or_b32 v0, v0, 4, v90
	ds_add_u32 v0, v91
	s_or_b64 exec, exec, s[20:21]
	v_cmp_lt_u32_e32 vcc, v8, v40
	s_and_saveexec_b64 s[20:21], vcc
	s_cbranch_execnz .LBB1044_402
.LBB1044_386:                           ;   in Loop: Header=BB1044_336 Depth=2
	s_or_b64 exec, exec, s[20:21]
	v_cmp_lt_u32_e32 vcc, v10, v40
	s_and_saveexec_b64 s[20:21], vcc
	s_cbranch_execz .LBB1044_403
.LBB1044_387:                           ;   in Loop: Header=BB1044_336 Depth=2
	v_xor_b32_e32 v0, 0xffff8000, v28
	v_lshrrev_b32_sdwa v0, s99, v0 dst_sel:DWORD dst_unused:UNUSED_PAD src0_sel:DWORD src1_sel:WORD_0
	v_and_b32_e32 v0, s6, v0
	v_lshl_or_b32 v0, v0, 4, v90
	ds_add_u32 v0, v91
	s_or_b64 exec, exec, s[20:21]
	v_cmp_lt_u32_e32 vcc, v12, v40
	s_and_saveexec_b64 s[20:21], vcc
	s_cbranch_execnz .LBB1044_404
.LBB1044_388:                           ;   in Loop: Header=BB1044_336 Depth=2
	s_or_b64 exec, exec, s[20:21]
	v_cmp_lt_u32_e32 vcc, v14, v40
	s_and_saveexec_b64 s[20:21], vcc
	s_cbranch_execz .LBB1044_405
.LBB1044_389:                           ;   in Loop: Header=BB1044_336 Depth=2
	v_xor_b32_e32 v0, 0xffff8000, v26
	v_lshrrev_b32_sdwa v0, s99, v0 dst_sel:DWORD dst_unused:UNUSED_PAD src0_sel:DWORD src1_sel:WORD_0
	v_and_b32_e32 v0, s6, v0
	v_lshl_or_b32 v0, v0, 4, v90
	ds_add_u32 v0, v91
	s_or_b64 exec, exec, s[20:21]
	v_cmp_lt_u32_e32 vcc, v16, v40
	s_and_saveexec_b64 s[20:21], vcc
	s_cbranch_execnz .LBB1044_406
.LBB1044_390:                           ;   in Loop: Header=BB1044_336 Depth=2
	s_or_b64 exec, exec, s[20:21]
	v_cmp_lt_u32_e32 vcc, v18, v40
	s_and_saveexec_b64 s[20:21], vcc
	s_cbranch_execz .LBB1044_407
.LBB1044_391:                           ;   in Loop: Header=BB1044_336 Depth=2
	v_xor_b32_e32 v0, 0xffff8000, v24
	v_lshrrev_b32_sdwa v0, s99, v0 dst_sel:DWORD dst_unused:UNUSED_PAD src0_sel:DWORD src1_sel:WORD_0
	v_and_b32_e32 v0, s6, v0
	v_lshl_or_b32 v0, v0, 4, v90
	ds_add_u32 v0, v91
	s_or_b64 exec, exec, s[20:21]
	v_cmp_lt_u32_e32 vcc, v20, v40
	s_and_saveexec_b64 s[20:21], vcc
	s_cbranch_execnz .LBB1044_408
.LBB1044_392:                           ;   in Loop: Header=BB1044_336 Depth=2
	s_or_b64 exec, exec, s[20:21]
	v_cmp_lt_u32_e32 vcc, v22, v40
	s_and_saveexec_b64 s[20:21], vcc
	s_cbranch_execz .LBB1044_335
	s_branch .LBB1044_409
.LBB1044_393:                           ;   in Loop: Header=BB1044_336 Depth=2
	s_or_b64 exec, exec, s[20:21]
	v_cmp_lt_u32_e32 vcc, v7, v40
	s_and_saveexec_b64 s[20:21], vcc
	s_cbranch_execz .LBB1044_378
.LBB1044_394:                           ;   in Loop: Header=BB1044_336 Depth=2
	v_xor_b32_e32 v0, 0xffff8000, v37
	v_lshrrev_b32_sdwa v0, s99, v0 dst_sel:DWORD dst_unused:UNUSED_PAD src0_sel:DWORD src1_sel:WORD_0
	v_and_b32_e32 v0, s6, v0
	v_lshl_or_b32 v0, v0, 4, v90
	ds_add_u32 v0, v91
	s_or_b64 exec, exec, s[20:21]
	v_cmp_lt_u32_e32 vcc, v13, v40
	s_and_saveexec_b64 s[20:21], vcc
	s_cbranch_execnz .LBB1044_379
.LBB1044_395:                           ;   in Loop: Header=BB1044_336 Depth=2
	s_or_b64 exec, exec, s[20:21]
	v_cmp_lt_u32_e32 vcc, v15, v40
	s_and_saveexec_b64 s[20:21], vcc
	s_cbranch_execz .LBB1044_380
.LBB1044_396:                           ;   in Loop: Header=BB1044_336 Depth=2
	v_xor_b32_e32 v0, 0xffff8000, v35
	v_lshrrev_b32_sdwa v0, s99, v0 dst_sel:DWORD dst_unused:UNUSED_PAD src0_sel:DWORD src1_sel:WORD_0
	v_and_b32_e32 v0, s6, v0
	v_lshl_or_b32 v0, v0, 4, v90
	ds_add_u32 v0, v91
	s_or_b64 exec, exec, s[20:21]
	v_cmp_lt_u32_e32 vcc, v17, v40
	s_and_saveexec_b64 s[20:21], vcc
	s_cbranch_execnz .LBB1044_381
.LBB1044_397:                           ;   in Loop: Header=BB1044_336 Depth=2
	s_or_b64 exec, exec, s[20:21]
	v_cmp_lt_u32_e32 vcc, v19, v40
	s_and_saveexec_b64 s[20:21], vcc
	s_cbranch_execz .LBB1044_382
.LBB1044_398:                           ;   in Loop: Header=BB1044_336 Depth=2
	v_xor_b32_e32 v0, 0xffff8000, v33
	v_lshrrev_b32_sdwa v0, s99, v0 dst_sel:DWORD dst_unused:UNUSED_PAD src0_sel:DWORD src1_sel:WORD_0
	v_and_b32_e32 v0, s6, v0
	v_lshl_or_b32 v0, v0, 4, v90
	ds_add_u32 v0, v91
	s_or_b64 exec, exec, s[20:21]
	v_cmp_lt_u32_e32 vcc, v21, v40
	s_and_saveexec_b64 s[20:21], vcc
	s_cbranch_execnz .LBB1044_383
.LBB1044_399:                           ;   in Loop: Header=BB1044_336 Depth=2
	s_or_b64 exec, exec, s[20:21]
	v_cmp_lt_u32_e32 vcc, v23, v40
	s_and_saveexec_b64 s[20:21], vcc
	s_cbranch_execz .LBB1044_384
.LBB1044_400:                           ;   in Loop: Header=BB1044_336 Depth=2
	v_xor_b32_e32 v0, 0xffff8000, v31
	v_lshrrev_b32_sdwa v0, s99, v0 dst_sel:DWORD dst_unused:UNUSED_PAD src0_sel:DWORD src1_sel:WORD_0
	v_and_b32_e32 v0, s6, v0
	v_lshl_or_b32 v0, v0, 4, v90
	ds_add_u32 v0, v91
	s_or_b64 exec, exec, s[20:21]
	v_cmp_lt_u32_e32 vcc, v6, v40
	s_and_saveexec_b64 s[20:21], vcc
	s_cbranch_execnz .LBB1044_385
.LBB1044_401:                           ;   in Loop: Header=BB1044_336 Depth=2
	s_or_b64 exec, exec, s[20:21]
	v_cmp_lt_u32_e32 vcc, v8, v40
	s_and_saveexec_b64 s[20:21], vcc
	s_cbranch_execz .LBB1044_386
.LBB1044_402:                           ;   in Loop: Header=BB1044_336 Depth=2
	v_xor_b32_e32 v0, 0xffff8000, v29
	v_lshrrev_b32_sdwa v0, s99, v0 dst_sel:DWORD dst_unused:UNUSED_PAD src0_sel:DWORD src1_sel:WORD_0
	v_and_b32_e32 v0, s6, v0
	v_lshl_or_b32 v0, v0, 4, v90
	ds_add_u32 v0, v91
	s_or_b64 exec, exec, s[20:21]
	v_cmp_lt_u32_e32 vcc, v10, v40
	s_and_saveexec_b64 s[20:21], vcc
	s_cbranch_execnz .LBB1044_387
.LBB1044_403:                           ;   in Loop: Header=BB1044_336 Depth=2
	s_or_b64 exec, exec, s[20:21]
	v_cmp_lt_u32_e32 vcc, v12, v40
	s_and_saveexec_b64 s[20:21], vcc
	s_cbranch_execz .LBB1044_388
.LBB1044_404:                           ;   in Loop: Header=BB1044_336 Depth=2
	v_xor_b32_e32 v0, 0xffff8000, v27
	v_lshrrev_b32_sdwa v0, s99, v0 dst_sel:DWORD dst_unused:UNUSED_PAD src0_sel:DWORD src1_sel:WORD_0
	v_and_b32_e32 v0, s6, v0
	v_lshl_or_b32 v0, v0, 4, v90
	ds_add_u32 v0, v91
	s_or_b64 exec, exec, s[20:21]
	v_cmp_lt_u32_e32 vcc, v14, v40
	s_and_saveexec_b64 s[20:21], vcc
	s_cbranch_execnz .LBB1044_389
.LBB1044_405:                           ;   in Loop: Header=BB1044_336 Depth=2
	s_or_b64 exec, exec, s[20:21]
	v_cmp_lt_u32_e32 vcc, v16, v40
	s_and_saveexec_b64 s[20:21], vcc
	s_cbranch_execz .LBB1044_390
.LBB1044_406:                           ;   in Loop: Header=BB1044_336 Depth=2
	v_xor_b32_e32 v0, 0xffff8000, v25
	v_lshrrev_b32_sdwa v0, s99, v0 dst_sel:DWORD dst_unused:UNUSED_PAD src0_sel:DWORD src1_sel:WORD_0
	v_and_b32_e32 v0, s6, v0
	v_lshl_or_b32 v0, v0, 4, v90
	ds_add_u32 v0, v91
	s_or_b64 exec, exec, s[20:21]
	v_cmp_lt_u32_e32 vcc, v18, v40
	s_and_saveexec_b64 s[20:21], vcc
	s_cbranch_execnz .LBB1044_391
.LBB1044_407:                           ;   in Loop: Header=BB1044_336 Depth=2
	s_or_b64 exec, exec, s[20:21]
	v_cmp_lt_u32_e32 vcc, v20, v40
	s_and_saveexec_b64 s[20:21], vcc
	s_cbranch_execz .LBB1044_392
.LBB1044_408:                           ;   in Loop: Header=BB1044_336 Depth=2
	v_xor_b32_e32 v0, 0xffff8000, v5
	v_lshrrev_b32_sdwa v0, s99, v0 dst_sel:DWORD dst_unused:UNUSED_PAD src0_sel:DWORD src1_sel:WORD_0
	v_and_b32_e32 v0, s6, v0
	v_lshl_or_b32 v0, v0, 4, v90
	ds_add_u32 v0, v91
	s_or_b64 exec, exec, s[20:21]
	v_cmp_lt_u32_e32 vcc, v22, v40
	s_and_saveexec_b64 s[20:21], vcc
	s_cbranch_execz .LBB1044_335
.LBB1044_409:                           ;   in Loop: Header=BB1044_336 Depth=2
	s_waitcnt vmcnt(0)
	v_xor_b32_e32 v0, 0xffff8000, v39
	v_lshrrev_b32_sdwa v0, s99, v0 dst_sel:DWORD dst_unused:UNUSED_PAD src0_sel:DWORD src1_sel:WORD_0
	v_and_b32_e32 v0, s6, v0
	v_lshl_or_b32 v0, v0, 4, v90
	ds_add_u32 v0, v91
	s_branch .LBB1044_335
.LBB1044_410:                           ;   in Loop: Header=BB1044_20 Depth=1
	v_mov_b32_e32 v0, 0
	s_waitcnt lgkmcnt(0)
	s_barrier
	s_and_saveexec_b64 s[20:21], s[4:5]
	s_cbranch_execz .LBB1044_412
; %bb.411:                              ;   in Loop: Header=BB1044_20 Depth=1
	ds_read2_b64 v[24:27], v59 offset1:1
	s_waitcnt lgkmcnt(0)
	v_add_u32_e32 v0, v25, v24
	v_add3_u32 v0, v0, v26, v27
.LBB1044_412:                           ;   in Loop: Header=BB1044_20 Depth=1
	s_or_b64 exec, exec, s[20:21]
	s_nop 0
	v_mov_b32_dpp v1, v0 row_shr:1 row_mask:0xf bank_mask:0xf
	v_cmp_eq_u32_e64 s[20:21], 0, v103
	v_cndmask_b32_e64 v1, v1, 0, s[20:21]
	v_add_u32_e32 v0, v1, v0
	v_cmp_lt_u32_e64 s[22:23], 1, v103
	v_cmp_lt_u32_e64 s[24:25], 3, v103
	v_mov_b32_dpp v1, v0 row_shr:2 row_mask:0xf bank_mask:0xf
	v_cndmask_b32_e64 v1, 0, v1, s[22:23]
	v_add_u32_e32 v0, v0, v1
	v_cmp_lt_u32_e64 s[26:27], 7, v103
	v_cmp_lt_u32_e64 s[30:31], 31, v102
	v_mov_b32_dpp v1, v0 row_shr:4 row_mask:0xf bank_mask:0xf
	v_cndmask_b32_e64 v1, 0, v1, s[24:25]
	v_add_u32_e32 v0, v0, v1
	v_cmp_eq_u32_e64 s[28:29], 0, v105
	s_nop 0
	v_mov_b32_dpp v1, v0 row_shr:8 row_mask:0xf bank_mask:0xf
	v_cndmask_b32_e64 v1, 0, v1, s[26:27]
	v_add_u32_e32 v0, v0, v1
	s_nop 1
	v_mov_b32_dpp v1, v0 row_bcast:15 row_mask:0xf bank_mask:0xf
	v_and_b32_e32 v1, v104, v1
	v_add_u32_e32 v0, v0, v1
	s_nop 1
	v_mov_b32_dpp v1, v0 row_bcast:31 row_mask:0xf bank_mask:0xf
	v_cndmask_b32_e64 v1, 0, v1, s[30:31]
	v_add_u32_e32 v0, v0, v1
	s_mov_b64 s[34:35], exec
	v_readlane_b32 s8, v232, 0
	v_readlane_b32 s9, v232, 1
	s_and_b64 s[8:9], s[34:35], s[8:9]
	s_mov_b64 exec, s[8:9]
	s_cbranch_execz .LBB1044_414
; %bb.413:                              ;   in Loop: Header=BB1044_20 Depth=1
	ds_write_b32 v61, v0
.LBB1044_414:                           ;   in Loop: Header=BB1044_20 Depth=1
	s_or_b64 exec, exec, s[34:35]
	s_waitcnt lgkmcnt(0)
	s_barrier
	s_mov_b64 s[34:35], exec
	v_readlane_b32 s8, v232, 2
	v_readlane_b32 s9, v232, 3
	s_and_b64 s[8:9], s[34:35], s[8:9]
	s_mov_b64 exec, s[8:9]
	s_cbranch_execz .LBB1044_416
; %bb.415:                              ;   in Loop: Header=BB1044_20 Depth=1
	ds_read_b32 v1, v62
	s_waitcnt lgkmcnt(0)
	s_nop 0
	v_mov_b32_dpp v5, v1 row_shr:1 row_mask:0xf bank_mask:0xf
	v_and_b32_e32 v5, v106, v5
	v_add_u32_e32 v1, v5, v1
	ds_write_b32 v62, v1
.LBB1044_416:                           ;   in Loop: Header=BB1044_20 Depth=1
	s_or_b64 exec, exec, s[34:35]
	v_mov_b32_e32 v1, 0
	s_waitcnt lgkmcnt(0)
	s_barrier
	s_and_saveexec_b64 s[34:35], s[10:11]
	s_cbranch_execz .LBB1044_418
; %bb.417:                              ;   in Loop: Header=BB1044_20 Depth=1
	ds_read_b32 v1, v63
.LBB1044_418:                           ;   in Loop: Header=BB1044_20 Depth=1
	s_or_b64 exec, exec, s[34:35]
	v_cmp_lt_i32_e32 vcc, v107, v108
	v_cndmask_b32_e32 v5, v107, v102, vcc
	s_waitcnt lgkmcnt(0)
	v_add_u32_e32 v0, v1, v0
	v_lshlrev_b32_e32 v129, 2, v5
	ds_bpermute_b32 v0, v129, v0
	v_cmp_eq_u32_e64 s[34:35], 0, v102
	s_waitcnt lgkmcnt(0)
	s_barrier
	s_and_saveexec_b64 s[36:37], s[4:5]
	s_cbranch_execz .LBB1044_420
; %bb.419:                              ;   in Loop: Header=BB1044_20 Depth=1
	v_cndmask_b32_e64 v0, v0, v1, s[34:35]
	v_add_u32_e32 v0, s75, v0
	ds_write_b32 v3, v0
.LBB1044_420:                           ;   in Loop: Header=BB1044_20 Depth=1
	s_or_b64 exec, exec, s[36:37]
	s_load_dwordx2 s[8:9], s[96:97], 0x0
	v_add_co_u32_e32 v130, vcc, v80, v110
	v_addc_co_u32_e32 v131, vcc, 0, v81, vcc
	s_waitcnt lgkmcnt(0)
	s_cmp_lt_u32 s74, s8
	s_cselect_b32 s7, 12, 18
	s_cmp_lt_u32 s33, s9
	s_cselect_b32 s8, 14, 20
	s_add_u32 s8, s96, s8
	s_addc_u32 s9, s97, 0
	s_add_u32 s36, s96, s7
	global_load_ushort v5, v4, s[8:9]
	s_addc_u32 s37, s97, 0
	global_load_ushort v56, v4, s[36:37]
	v_add_co_u32_e32 v132, vcc, v82, v128
	v_addc_co_u32_e32 v133, vcc, 0, v83, vcc
	v_add_co_u32_e32 v148, vcc, 0x800, v132
	v_cmp_eq_u32_e64 s[36:37], 0, v109
	v_cmp_lt_u32_e64 s[38:39], 1, v109
	s_mov_b32 s7, s91
	v_addc_co_u32_e32 v151, vcc, 0, v133, vcc
	s_mov_b32 s94, s75
                                        ; implicit-def: $vgpr0_vgpr1
                                        ; implicit-def: $vgpr24_vgpr25
                                        ; implicit-def: $vgpr26_vgpr27
                                        ; implicit-def: $vgpr28_vgpr29
                                        ; implicit-def: $vgpr32_vgpr33
                                        ; implicit-def: $vgpr36_vgpr37
                                        ; implicit-def: $vgpr40_vgpr41
                                        ; implicit-def: $vgpr44_vgpr45
                                        ; implicit-def: $vgpr48_vgpr49
                                        ; implicit-def: $vgpr30_vgpr31
                                        ; implicit-def: $vgpr34_vgpr35
                                        ; implicit-def: $vgpr38_vgpr39
                                        ; implicit-def: $vgpr42_vgpr43
                                        ; implicit-def: $vgpr46_vgpr47
                                        ; implicit-def: $vgpr50_vgpr51
                                        ; implicit-def: $vgpr52_vgpr53
                                        ; implicit-def: $vgpr54_vgpr55
                                        ; implicit-def: $vgpr134
                                        ; implicit-def: $vgpr135
                                        ; implicit-def: $vgpr136
                                        ; implicit-def: $vgpr137
                                        ; implicit-def: $vgpr138
                                        ; implicit-def: $vgpr139
                                        ; implicit-def: $vgpr140
                                        ; implicit-def: $vgpr141
                                        ; implicit-def: $vgpr142
                                        ; implicit-def: $vgpr143
                                        ; implicit-def: $vgpr144
                                        ; implicit-def: $vgpr145
                                        ; implicit-def: $vgpr146
                                        ; implicit-def: $vgpr147
                                        ; implicit-def: $vgpr149
                                        ; implicit-def: $vgpr150
                                        ; implicit-def: $vgpr152
                                        ; implicit-def: $vgpr154
                                        ; implicit-def: $vgpr155
	s_waitcnt vmcnt(1)
	v_mad_u32_u24 v5, v64, v5, v65
	s_waitcnt vmcnt(0)
	v_mad_u64_u32 v[56:57], s[8:9], v5, v56, v[2:3]
	v_lshrrev_b32_e32 v153, 6, v56
	s_branch .LBB1044_422
.LBB1044_421:                           ;   in Loop: Header=BB1044_422 Depth=2
	s_or_b64 exec, exec, s[40:41]
	s_addk_i32 s7, 0xef00
	s_cmp_lt_u32 s8, s98
	s_mov_b32 s94, s8
	s_cbranch_scc0 .LBB1044_644
.LBB1044_422:                           ;   Parent Loop BB1044_20 Depth=1
                                        ; =>  This Inner Loop Header: Depth=2
	s_add_i32 s8, s94, 0x1100
	s_cmp_gt_u32 s8, s98
	s_cbranch_scc1 .LBB1044_425
; %bb.423:                              ;   in Loop: Header=BB1044_422 Depth=2
	s_lshl_b64 s[40:41], s[94:95], 1
	v_mov_b32_e32 v5, s41
	v_add_co_u32_e32 v56, vcc, s40, v132
	v_addc_co_u32_e32 v57, vcc, v133, v5, vcc
	global_load_ushort v5, v[56:57], off
	global_load_ushort v160, v[56:57], off offset:128
	global_load_ushort v165, v[56:57], off offset:256
	;; [unrolled: 1-line block ×15, first 2 shown]
	s_mov_b64 s[40:41], -1
	s_movk_i32 s9, 0x1100
	s_cbranch_execz .LBB1044_426
; %bb.424:                              ;   in Loop: Header=BB1044_422 Depth=2
                                        ; implicit-def: $sgpr42
	v_mov_b32_e32 v166, s42
	v_mov_b32_e32 v156, s7
	s_and_saveexec_b64 s[42:43], s[40:41]
	s_cbranch_execnz .LBB1044_459
	s_branch .LBB1044_460
.LBB1044_425:                           ;   in Loop: Header=BB1044_422 Depth=2
	s_mov_b64 s[40:41], 0
                                        ; implicit-def: $sgpr9
                                        ; implicit-def: $vgpr5
                                        ; implicit-def: $vgpr160
                                        ; implicit-def: $vgpr165
                                        ; implicit-def: $vgpr171
                                        ; implicit-def: $vgpr176
                                        ; implicit-def: $vgpr181
                                        ; implicit-def: $vgpr186
                                        ; implicit-def: $vgpr191
                                        ; implicit-def: $vgpr193
                                        ; implicit-def: $vgpr188
                                        ; implicit-def: $vgpr184
                                        ; implicit-def: $vgpr179
                                        ; implicit-def: $vgpr174
                                        ; implicit-def: $vgpr169
                                        ; implicit-def: $vgpr164
                                        ; implicit-def: $vgpr159
.LBB1044_426:                           ;   in Loop: Header=BB1044_422 Depth=2
	s_lshl_b64 s[40:41], s[94:95], 1
	s_waitcnt vmcnt(15)
	v_mov_b32_e32 v5, s41
	v_add_co_u32_e32 v56, vcc, s40, v132
	v_addc_co_u32_e32 v57, vcc, v133, v5, vcc
	v_cmp_gt_u32_e32 vcc, s7, v111
	s_waitcnt vmcnt(14)
	v_mov_b32_e32 v160, 0x7fff
	v_mov_b32_e32 v5, 0x7fff
	s_and_saveexec_b64 s[40:41], vcc
	s_cbranch_execz .LBB1044_428
; %bb.427:                              ;   in Loop: Header=BB1044_422 Depth=2
	global_load_ushort v5, v[56:57], off
.LBB1044_428:                           ;   in Loop: Header=BB1044_422 Depth=2
	s_or_b64 exec, exec, s[40:41]
	v_cmp_gt_u32_e32 vcc, s7, v112
	s_and_saveexec_b64 s[40:41], vcc
	s_cbranch_execz .LBB1044_430
; %bb.429:                              ;   in Loop: Header=BB1044_422 Depth=2
	global_load_ushort v160, v[56:57], off offset:128
.LBB1044_430:                           ;   in Loop: Header=BB1044_422 Depth=2
	s_or_b64 exec, exec, s[40:41]
	v_cmp_gt_u32_e32 vcc, s7, v113
	s_waitcnt vmcnt(12)
	v_mov_b32_e32 v171, 0x7fff
	v_mov_b32_e32 v165, 0x7fff
	s_and_saveexec_b64 s[40:41], vcc
	s_cbranch_execz .LBB1044_432
; %bb.431:                              ;   in Loop: Header=BB1044_422 Depth=2
	global_load_ushort v165, v[56:57], off offset:256
.LBB1044_432:                           ;   in Loop: Header=BB1044_422 Depth=2
	s_or_b64 exec, exec, s[40:41]
	v_cmp_gt_u32_e32 vcc, s7, v114
	s_and_saveexec_b64 s[40:41], vcc
	s_cbranch_execz .LBB1044_434
; %bb.433:                              ;   in Loop: Header=BB1044_422 Depth=2
	global_load_ushort v171, v[56:57], off offset:384
.LBB1044_434:                           ;   in Loop: Header=BB1044_422 Depth=2
	s_or_b64 exec, exec, s[40:41]
	v_cmp_gt_u32_e32 vcc, s7, v115
	s_waitcnt vmcnt(10)
	v_mov_b32_e32 v181, 0x7fff
	v_mov_b32_e32 v176, 0x7fff
	s_and_saveexec_b64 s[40:41], vcc
	s_cbranch_execz .LBB1044_436
; %bb.435:                              ;   in Loop: Header=BB1044_422 Depth=2
	global_load_ushort v176, v[56:57], off offset:512
.LBB1044_436:                           ;   in Loop: Header=BB1044_422 Depth=2
	;; [unrolled: 17-line block ×7, first 2 shown]
	s_or_b64 exec, exec, s[40:41]
	v_cmp_gt_u32_e32 vcc, s7, v126
	s_and_saveexec_b64 s[40:41], vcc
	s_cbranch_execz .LBB1044_458
; %bb.457:                              ;   in Loop: Header=BB1044_422 Depth=2
	global_load_ushort v159, v[56:57], off offset:1920
.LBB1044_458:                           ;   in Loop: Header=BB1044_422 Depth=2
	s_or_b64 exec, exec, s[40:41]
	s_sub_i32 s9, s98, s94
	v_cmp_gt_u32_e64 s[40:41], s7, v127
	s_movk_i32 s42, 0x7fff
	v_mov_b32_e32 v166, s42
	v_mov_b32_e32 v156, s7
	s_and_saveexec_b64 s[42:43], s[40:41]
	s_cbranch_execz .LBB1044_460
.LBB1044_459:                           ;   in Loop: Header=BB1044_422 Depth=2
	s_lshl_b64 s[40:41], s[94:95], 1
	v_mov_b32_e32 v57, s41
	v_add_co_u32_e32 v56, vcc, s40, v148
	v_addc_co_u32_e32 v57, vcc, v151, v57, vcc
	global_load_ushort v166, v[56:57], off
	v_mov_b32_e32 v156, s9
.LBB1044_460:                           ;   in Loop: Header=BB1044_422 Depth=2
	s_or_b64 exec, exec, s[42:43]
	s_waitcnt vmcnt(15)
	v_xor_b32_e32 v157, 0xffff8000, v5
	v_lshrrev_b32_sdwa v5, s99, v157 dst_sel:DWORD dst_unused:UNUSED_PAD src0_sel:DWORD src1_sel:WORD_0
	v_and_b32_e32 v56, s6, v5
	v_mad_u32_u24 v5, v56, 5, v153
	v_lshl_add_u32 v158, v5, 2, v66
	v_and_b32_e32 v5, 1, v56
	v_add_co_u32_e32 v57, vcc, -1, v5
	v_addc_co_u32_e64 v161, s[40:41], 0, -1, vcc
	v_cmp_ne_u32_e32 vcc, 0, v5
	v_xor_b32_e32 v5, vcc_hi, v161
	v_and_b32_e32 v161, exec_hi, v5
	v_lshlrev_b32_e32 v5, 30, v56
	v_xor_b32_e32 v57, vcc_lo, v57
	v_cmp_gt_i64_e32 vcc, 0, v[4:5]
	v_not_b32_e32 v5, v5
	v_ashrrev_i32_e32 v5, 31, v5
	v_and_b32_e32 v57, exec_lo, v57
	v_xor_b32_e32 v162, vcc_hi, v5
	v_xor_b32_e32 v5, vcc_lo, v5
	v_and_b32_e32 v57, v57, v5
	v_lshlrev_b32_e32 v5, 29, v56
	v_cmp_gt_i64_e32 vcc, 0, v[4:5]
	v_not_b32_e32 v5, v5
	v_ashrrev_i32_e32 v5, 31, v5
	v_and_b32_e32 v161, v161, v162
	v_xor_b32_e32 v162, vcc_hi, v5
	v_xor_b32_e32 v5, vcc_lo, v5
	v_and_b32_e32 v57, v57, v5
	v_lshlrev_b32_e32 v5, 28, v56
	v_cmp_gt_i64_e32 vcc, 0, v[4:5]
	v_not_b32_e32 v5, v5
	v_ashrrev_i32_e32 v5, 31, v5
	v_and_b32_e32 v161, v161, v162
	;; [unrolled: 8-line block ×4, first 2 shown]
	v_xor_b32_e32 v162, vcc_hi, v5
	v_xor_b32_e32 v5, vcc_lo, v5
	v_and_b32_e32 v161, v161, v162
	v_and_b32_e32 v162, v57, v5
	v_lshlrev_b32_e32 v5, 25, v56
	v_cmp_gt_i64_e32 vcc, 0, v[4:5]
	v_not_b32_e32 v5, v5
	v_ashrrev_i32_e32 v5, 31, v5
	v_xor_b32_e32 v56, vcc_hi, v5
	v_xor_b32_e32 v5, vcc_lo, v5
	v_and_b32_e32 v57, v161, v56
	v_and_b32_e32 v56, v162, v5
	v_mbcnt_lo_u32_b32 v5, v56, 0
	v_mbcnt_hi_u32_b32 v161, v57, v5
	v_cmp_eq_u32_e32 vcc, 0, v161
	v_cmp_ne_u64_e64 s[40:41], 0, v[56:57]
	s_and_b64 s[42:43], s[40:41], vcc
	ds_write2_b32 v58, v4, v4 offset0:132 offset1:133
	ds_write_b32 v67, v4 offset:8
	s_waitcnt lgkmcnt(0)
	s_barrier
	s_waitcnt lgkmcnt(0)
	; wave barrier
	s_and_saveexec_b64 s[40:41], s[42:43]
	s_cbranch_execz .LBB1044_462
; %bb.461:                              ;   in Loop: Header=BB1044_422 Depth=2
	v_bcnt_u32_b32 v5, v56, 0
	v_bcnt_u32_b32 v5, v57, v5
	ds_write_b32 v158, v5
.LBB1044_462:                           ;   in Loop: Header=BB1044_422 Depth=2
	s_or_b64 exec, exec, s[40:41]
	s_waitcnt vmcnt(14)
	v_xor_b32_e32 v160, 0xffff8000, v160
	v_lshrrev_b32_sdwa v5, s99, v160 dst_sel:DWORD dst_unused:UNUSED_PAD src0_sel:DWORD src1_sel:WORD_0
	v_and_b32_e32 v56, s6, v5
	v_mul_u32_u24_e32 v5, 5, v56
	v_add_lshl_u32 v5, v5, v153, 2
	; wave barrier
	v_add_u32_e32 v163, 0x210, v5
	ds_read_b32 v162, v5 offset:528
	v_and_b32_e32 v5, 1, v56
	v_add_co_u32_e32 v57, vcc, -1, v5
	v_addc_co_u32_e64 v167, s[40:41], 0, -1, vcc
	v_cmp_ne_u32_e32 vcc, 0, v5
	v_xor_b32_e32 v5, vcc_hi, v167
	v_and_b32_e32 v167, exec_hi, v5
	v_lshlrev_b32_e32 v5, 30, v56
	v_xor_b32_e32 v57, vcc_lo, v57
	v_cmp_gt_i64_e32 vcc, 0, v[4:5]
	v_not_b32_e32 v5, v5
	v_ashrrev_i32_e32 v5, 31, v5
	v_and_b32_e32 v57, exec_lo, v57
	v_xor_b32_e32 v168, vcc_hi, v5
	v_xor_b32_e32 v5, vcc_lo, v5
	v_and_b32_e32 v57, v57, v5
	v_lshlrev_b32_e32 v5, 29, v56
	v_cmp_gt_i64_e32 vcc, 0, v[4:5]
	v_not_b32_e32 v5, v5
	v_ashrrev_i32_e32 v5, 31, v5
	v_and_b32_e32 v167, v167, v168
	v_xor_b32_e32 v168, vcc_hi, v5
	v_xor_b32_e32 v5, vcc_lo, v5
	v_and_b32_e32 v57, v57, v5
	v_lshlrev_b32_e32 v5, 28, v56
	v_cmp_gt_i64_e32 vcc, 0, v[4:5]
	v_not_b32_e32 v5, v5
	v_ashrrev_i32_e32 v5, 31, v5
	v_and_b32_e32 v167, v167, v168
	;; [unrolled: 8-line block ×4, first 2 shown]
	v_xor_b32_e32 v168, vcc_hi, v5
	v_xor_b32_e32 v5, vcc_lo, v5
	v_and_b32_e32 v167, v167, v168
	v_and_b32_e32 v168, v57, v5
	v_lshlrev_b32_e32 v5, 25, v56
	v_cmp_gt_i64_e32 vcc, 0, v[4:5]
	v_not_b32_e32 v5, v5
	v_ashrrev_i32_e32 v5, 31, v5
	v_xor_b32_e32 v56, vcc_hi, v5
	v_xor_b32_e32 v5, vcc_lo, v5
	v_and_b32_e32 v57, v167, v56
	v_and_b32_e32 v56, v168, v5
	v_mbcnt_lo_u32_b32 v5, v56, 0
	v_mbcnt_hi_u32_b32 v167, v57, v5
	v_cmp_eq_u32_e32 vcc, 0, v167
	v_cmp_ne_u64_e64 s[40:41], 0, v[56:57]
	s_and_b64 s[42:43], s[40:41], vcc
	; wave barrier
	s_and_saveexec_b64 s[40:41], s[42:43]
	s_cbranch_execz .LBB1044_464
; %bb.463:                              ;   in Loop: Header=BB1044_422 Depth=2
	v_bcnt_u32_b32 v5, v56, 0
	v_bcnt_u32_b32 v5, v57, v5
	s_waitcnt lgkmcnt(0)
	v_add_u32_e32 v5, v162, v5
	ds_write_b32 v163, v5
.LBB1044_464:                           ;   in Loop: Header=BB1044_422 Depth=2
	s_or_b64 exec, exec, s[40:41]
	s_waitcnt vmcnt(13)
	v_xor_b32_e32 v165, 0xffff8000, v165
	v_lshrrev_b32_sdwa v5, s99, v165 dst_sel:DWORD dst_unused:UNUSED_PAD src0_sel:DWORD src1_sel:WORD_0
	v_and_b32_e32 v56, s6, v5
	v_mul_u32_u24_e32 v5, 5, v56
	v_add_lshl_u32 v5, v5, v153, 2
	; wave barrier
	v_add_u32_e32 v170, 0x210, v5
	ds_read_b32 v168, v5 offset:528
	v_and_b32_e32 v5, 1, v56
	v_add_co_u32_e32 v57, vcc, -1, v5
	v_addc_co_u32_e64 v172, s[40:41], 0, -1, vcc
	v_cmp_ne_u32_e32 vcc, 0, v5
	v_xor_b32_e32 v5, vcc_hi, v172
	v_and_b32_e32 v172, exec_hi, v5
	v_lshlrev_b32_e32 v5, 30, v56
	v_xor_b32_e32 v57, vcc_lo, v57
	v_cmp_gt_i64_e32 vcc, 0, v[4:5]
	v_not_b32_e32 v5, v5
	v_ashrrev_i32_e32 v5, 31, v5
	v_and_b32_e32 v57, exec_lo, v57
	v_xor_b32_e32 v173, vcc_hi, v5
	v_xor_b32_e32 v5, vcc_lo, v5
	v_and_b32_e32 v57, v57, v5
	v_lshlrev_b32_e32 v5, 29, v56
	v_cmp_gt_i64_e32 vcc, 0, v[4:5]
	v_not_b32_e32 v5, v5
	v_ashrrev_i32_e32 v5, 31, v5
	v_and_b32_e32 v172, v172, v173
	v_xor_b32_e32 v173, vcc_hi, v5
	v_xor_b32_e32 v5, vcc_lo, v5
	v_and_b32_e32 v57, v57, v5
	v_lshlrev_b32_e32 v5, 28, v56
	v_cmp_gt_i64_e32 vcc, 0, v[4:5]
	v_not_b32_e32 v5, v5
	v_ashrrev_i32_e32 v5, 31, v5
	v_and_b32_e32 v172, v172, v173
	;; [unrolled: 8-line block ×4, first 2 shown]
	v_xor_b32_e32 v173, vcc_hi, v5
	v_xor_b32_e32 v5, vcc_lo, v5
	v_and_b32_e32 v172, v172, v173
	v_and_b32_e32 v173, v57, v5
	v_lshlrev_b32_e32 v5, 25, v56
	v_cmp_gt_i64_e32 vcc, 0, v[4:5]
	v_not_b32_e32 v5, v5
	v_ashrrev_i32_e32 v5, 31, v5
	v_xor_b32_e32 v56, vcc_hi, v5
	v_xor_b32_e32 v5, vcc_lo, v5
	v_and_b32_e32 v57, v172, v56
	v_and_b32_e32 v56, v173, v5
	v_mbcnt_lo_u32_b32 v5, v56, 0
	v_mbcnt_hi_u32_b32 v172, v57, v5
	v_cmp_eq_u32_e32 vcc, 0, v172
	v_cmp_ne_u64_e64 s[40:41], 0, v[56:57]
	s_and_b64 s[42:43], s[40:41], vcc
	; wave barrier
	s_and_saveexec_b64 s[40:41], s[42:43]
	s_cbranch_execz .LBB1044_466
; %bb.465:                              ;   in Loop: Header=BB1044_422 Depth=2
	v_bcnt_u32_b32 v5, v56, 0
	v_bcnt_u32_b32 v5, v57, v5
	s_waitcnt lgkmcnt(0)
	v_add_u32_e32 v5, v168, v5
	ds_write_b32 v170, v5
.LBB1044_466:                           ;   in Loop: Header=BB1044_422 Depth=2
	s_or_b64 exec, exec, s[40:41]
	s_waitcnt vmcnt(12)
	v_xor_b32_e32 v171, 0xffff8000, v171
	v_lshrrev_b32_sdwa v5, s99, v171 dst_sel:DWORD dst_unused:UNUSED_PAD src0_sel:DWORD src1_sel:WORD_0
	v_and_b32_e32 v56, s6, v5
	v_mul_u32_u24_e32 v5, 5, v56
	v_add_lshl_u32 v5, v5, v153, 2
	; wave barrier
	v_add_u32_e32 v175, 0x210, v5
	ds_read_b32 v173, v5 offset:528
	v_and_b32_e32 v5, 1, v56
	v_add_co_u32_e32 v57, vcc, -1, v5
	v_addc_co_u32_e64 v177, s[40:41], 0, -1, vcc
	v_cmp_ne_u32_e32 vcc, 0, v5
	v_xor_b32_e32 v5, vcc_hi, v177
	v_and_b32_e32 v177, exec_hi, v5
	v_lshlrev_b32_e32 v5, 30, v56
	v_xor_b32_e32 v57, vcc_lo, v57
	v_cmp_gt_i64_e32 vcc, 0, v[4:5]
	v_not_b32_e32 v5, v5
	v_ashrrev_i32_e32 v5, 31, v5
	v_and_b32_e32 v57, exec_lo, v57
	v_xor_b32_e32 v178, vcc_hi, v5
	v_xor_b32_e32 v5, vcc_lo, v5
	v_and_b32_e32 v57, v57, v5
	v_lshlrev_b32_e32 v5, 29, v56
	v_cmp_gt_i64_e32 vcc, 0, v[4:5]
	v_not_b32_e32 v5, v5
	v_ashrrev_i32_e32 v5, 31, v5
	v_and_b32_e32 v177, v177, v178
	v_xor_b32_e32 v178, vcc_hi, v5
	v_xor_b32_e32 v5, vcc_lo, v5
	v_and_b32_e32 v57, v57, v5
	v_lshlrev_b32_e32 v5, 28, v56
	v_cmp_gt_i64_e32 vcc, 0, v[4:5]
	v_not_b32_e32 v5, v5
	v_ashrrev_i32_e32 v5, 31, v5
	v_and_b32_e32 v177, v177, v178
	;; [unrolled: 8-line block ×4, first 2 shown]
	v_xor_b32_e32 v178, vcc_hi, v5
	v_xor_b32_e32 v5, vcc_lo, v5
	v_and_b32_e32 v177, v177, v178
	v_and_b32_e32 v178, v57, v5
	v_lshlrev_b32_e32 v5, 25, v56
	v_cmp_gt_i64_e32 vcc, 0, v[4:5]
	v_not_b32_e32 v5, v5
	v_ashrrev_i32_e32 v5, 31, v5
	v_xor_b32_e32 v56, vcc_hi, v5
	v_xor_b32_e32 v5, vcc_lo, v5
	v_and_b32_e32 v57, v177, v56
	v_and_b32_e32 v56, v178, v5
	v_mbcnt_lo_u32_b32 v5, v56, 0
	v_mbcnt_hi_u32_b32 v177, v57, v5
	v_cmp_eq_u32_e32 vcc, 0, v177
	v_cmp_ne_u64_e64 s[40:41], 0, v[56:57]
	s_and_b64 s[42:43], s[40:41], vcc
	; wave barrier
	s_and_saveexec_b64 s[40:41], s[42:43]
	s_cbranch_execz .LBB1044_468
; %bb.467:                              ;   in Loop: Header=BB1044_422 Depth=2
	v_bcnt_u32_b32 v5, v56, 0
	v_bcnt_u32_b32 v5, v57, v5
	s_waitcnt lgkmcnt(0)
	v_add_u32_e32 v5, v173, v5
	ds_write_b32 v175, v5
.LBB1044_468:                           ;   in Loop: Header=BB1044_422 Depth=2
	s_or_b64 exec, exec, s[40:41]
	s_waitcnt vmcnt(11)
	v_xor_b32_e32 v176, 0xffff8000, v176
	v_lshrrev_b32_sdwa v5, s99, v176 dst_sel:DWORD dst_unused:UNUSED_PAD src0_sel:DWORD src1_sel:WORD_0
	v_and_b32_e32 v56, s6, v5
	v_mul_u32_u24_e32 v5, 5, v56
	v_add_lshl_u32 v5, v5, v153, 2
	; wave barrier
	v_add_u32_e32 v180, 0x210, v5
	ds_read_b32 v178, v5 offset:528
	v_and_b32_e32 v5, 1, v56
	v_add_co_u32_e32 v57, vcc, -1, v5
	v_addc_co_u32_e64 v182, s[40:41], 0, -1, vcc
	v_cmp_ne_u32_e32 vcc, 0, v5
	v_xor_b32_e32 v5, vcc_hi, v182
	v_and_b32_e32 v182, exec_hi, v5
	v_lshlrev_b32_e32 v5, 30, v56
	v_xor_b32_e32 v57, vcc_lo, v57
	v_cmp_gt_i64_e32 vcc, 0, v[4:5]
	v_not_b32_e32 v5, v5
	v_ashrrev_i32_e32 v5, 31, v5
	v_and_b32_e32 v57, exec_lo, v57
	v_xor_b32_e32 v183, vcc_hi, v5
	v_xor_b32_e32 v5, vcc_lo, v5
	v_and_b32_e32 v57, v57, v5
	v_lshlrev_b32_e32 v5, 29, v56
	v_cmp_gt_i64_e32 vcc, 0, v[4:5]
	v_not_b32_e32 v5, v5
	v_ashrrev_i32_e32 v5, 31, v5
	v_and_b32_e32 v182, v182, v183
	v_xor_b32_e32 v183, vcc_hi, v5
	v_xor_b32_e32 v5, vcc_lo, v5
	v_and_b32_e32 v57, v57, v5
	v_lshlrev_b32_e32 v5, 28, v56
	v_cmp_gt_i64_e32 vcc, 0, v[4:5]
	v_not_b32_e32 v5, v5
	v_ashrrev_i32_e32 v5, 31, v5
	v_and_b32_e32 v182, v182, v183
	;; [unrolled: 8-line block ×4, first 2 shown]
	v_xor_b32_e32 v183, vcc_hi, v5
	v_xor_b32_e32 v5, vcc_lo, v5
	v_and_b32_e32 v182, v182, v183
	v_and_b32_e32 v183, v57, v5
	v_lshlrev_b32_e32 v5, 25, v56
	v_cmp_gt_i64_e32 vcc, 0, v[4:5]
	v_not_b32_e32 v5, v5
	v_ashrrev_i32_e32 v5, 31, v5
	v_xor_b32_e32 v56, vcc_hi, v5
	v_xor_b32_e32 v5, vcc_lo, v5
	v_and_b32_e32 v57, v182, v56
	v_and_b32_e32 v56, v183, v5
	v_mbcnt_lo_u32_b32 v5, v56, 0
	v_mbcnt_hi_u32_b32 v182, v57, v5
	v_cmp_eq_u32_e32 vcc, 0, v182
	v_cmp_ne_u64_e64 s[40:41], 0, v[56:57]
	s_and_b64 s[42:43], s[40:41], vcc
	; wave barrier
	s_and_saveexec_b64 s[40:41], s[42:43]
	s_cbranch_execz .LBB1044_470
; %bb.469:                              ;   in Loop: Header=BB1044_422 Depth=2
	v_bcnt_u32_b32 v5, v56, 0
	v_bcnt_u32_b32 v5, v57, v5
	s_waitcnt lgkmcnt(0)
	v_add_u32_e32 v5, v178, v5
	ds_write_b32 v180, v5
.LBB1044_470:                           ;   in Loop: Header=BB1044_422 Depth=2
	s_or_b64 exec, exec, s[40:41]
	s_waitcnt vmcnt(10)
	v_xor_b32_e32 v181, 0xffff8000, v181
	v_lshrrev_b32_sdwa v5, s99, v181 dst_sel:DWORD dst_unused:UNUSED_PAD src0_sel:DWORD src1_sel:WORD_0
	v_and_b32_e32 v56, s6, v5
	v_mul_u32_u24_e32 v5, 5, v56
	v_add_lshl_u32 v5, v5, v153, 2
	; wave barrier
	v_add_u32_e32 v185, 0x210, v5
	ds_read_b32 v183, v5 offset:528
	v_and_b32_e32 v5, 1, v56
	v_add_co_u32_e32 v57, vcc, -1, v5
	v_addc_co_u32_e64 v187, s[40:41], 0, -1, vcc
	v_cmp_ne_u32_e32 vcc, 0, v5
	v_xor_b32_e32 v5, vcc_hi, v187
	v_and_b32_e32 v187, exec_hi, v5
	v_lshlrev_b32_e32 v5, 30, v56
	v_xor_b32_e32 v57, vcc_lo, v57
	v_cmp_gt_i64_e32 vcc, 0, v[4:5]
	v_not_b32_e32 v5, v5
	v_ashrrev_i32_e32 v5, 31, v5
	v_and_b32_e32 v57, exec_lo, v57
	v_xor_b32_e32 v189, vcc_hi, v5
	v_xor_b32_e32 v5, vcc_lo, v5
	v_and_b32_e32 v57, v57, v5
	v_lshlrev_b32_e32 v5, 29, v56
	v_cmp_gt_i64_e32 vcc, 0, v[4:5]
	v_not_b32_e32 v5, v5
	v_ashrrev_i32_e32 v5, 31, v5
	v_and_b32_e32 v187, v187, v189
	v_xor_b32_e32 v189, vcc_hi, v5
	v_xor_b32_e32 v5, vcc_lo, v5
	v_and_b32_e32 v57, v57, v5
	v_lshlrev_b32_e32 v5, 28, v56
	v_cmp_gt_i64_e32 vcc, 0, v[4:5]
	v_not_b32_e32 v5, v5
	v_ashrrev_i32_e32 v5, 31, v5
	v_and_b32_e32 v187, v187, v189
	v_xor_b32_e32 v189, vcc_hi, v5
	v_xor_b32_e32 v5, vcc_lo, v5
	v_and_b32_e32 v57, v57, v5
	v_lshlrev_b32_e32 v5, 27, v56
	v_cmp_gt_i64_e32 vcc, 0, v[4:5]
	v_not_b32_e32 v5, v5
	v_ashrrev_i32_e32 v5, 31, v5
	v_and_b32_e32 v187, v187, v189
	v_xor_b32_e32 v189, vcc_hi, v5
	v_xor_b32_e32 v5, vcc_lo, v5
	v_and_b32_e32 v57, v57, v5
	v_lshlrev_b32_e32 v5, 26, v56
	v_cmp_gt_i64_e32 vcc, 0, v[4:5]
	v_not_b32_e32 v5, v5
	v_ashrrev_i32_e32 v5, 31, v5
	v_and_b32_e32 v187, v187, v189
	v_xor_b32_e32 v189, vcc_hi, v5
	v_xor_b32_e32 v5, vcc_lo, v5
	v_and_b32_e32 v187, v187, v189
	v_and_b32_e32 v189, v57, v5
	v_lshlrev_b32_e32 v5, 25, v56
	v_cmp_gt_i64_e32 vcc, 0, v[4:5]
	v_not_b32_e32 v5, v5
	v_ashrrev_i32_e32 v5, 31, v5
	v_xor_b32_e32 v56, vcc_hi, v5
	v_xor_b32_e32 v5, vcc_lo, v5
	v_and_b32_e32 v57, v187, v56
	v_and_b32_e32 v56, v189, v5
	v_mbcnt_lo_u32_b32 v5, v56, 0
	v_mbcnt_hi_u32_b32 v187, v57, v5
	v_cmp_eq_u32_e32 vcc, 0, v187
	v_cmp_ne_u64_e64 s[40:41], 0, v[56:57]
	s_and_b64 s[42:43], s[40:41], vcc
	; wave barrier
	s_and_saveexec_b64 s[40:41], s[42:43]
	s_cbranch_execz .LBB1044_472
; %bb.471:                              ;   in Loop: Header=BB1044_422 Depth=2
	v_bcnt_u32_b32 v5, v56, 0
	v_bcnt_u32_b32 v5, v57, v5
	s_waitcnt lgkmcnt(0)
	v_add_u32_e32 v5, v183, v5
	ds_write_b32 v185, v5
.LBB1044_472:                           ;   in Loop: Header=BB1044_422 Depth=2
	s_or_b64 exec, exec, s[40:41]
	s_waitcnt vmcnt(9)
	v_xor_b32_e32 v186, 0xffff8000, v186
	v_lshrrev_b32_sdwa v5, s99, v186 dst_sel:DWORD dst_unused:UNUSED_PAD src0_sel:DWORD src1_sel:WORD_0
	v_and_b32_e32 v56, s6, v5
	v_mul_u32_u24_e32 v5, 5, v56
	v_add_lshl_u32 v5, v5, v153, 2
	; wave barrier
	v_add_u32_e32 v190, 0x210, v5
	ds_read_b32 v189, v5 offset:528
	v_and_b32_e32 v5, 1, v56
	v_add_co_u32_e32 v57, vcc, -1, v5
	v_addc_co_u32_e64 v192, s[40:41], 0, -1, vcc
	v_cmp_ne_u32_e32 vcc, 0, v5
	v_xor_b32_e32 v5, vcc_hi, v192
	v_and_b32_e32 v192, exec_hi, v5
	v_lshlrev_b32_e32 v5, 30, v56
	v_xor_b32_e32 v57, vcc_lo, v57
	v_cmp_gt_i64_e32 vcc, 0, v[4:5]
	v_not_b32_e32 v5, v5
	v_ashrrev_i32_e32 v5, 31, v5
	v_and_b32_e32 v57, exec_lo, v57
	v_xor_b32_e32 v194, vcc_hi, v5
	v_xor_b32_e32 v5, vcc_lo, v5
	v_and_b32_e32 v57, v57, v5
	v_lshlrev_b32_e32 v5, 29, v56
	v_cmp_gt_i64_e32 vcc, 0, v[4:5]
	v_not_b32_e32 v5, v5
	v_ashrrev_i32_e32 v5, 31, v5
	v_and_b32_e32 v192, v192, v194
	v_xor_b32_e32 v194, vcc_hi, v5
	v_xor_b32_e32 v5, vcc_lo, v5
	v_and_b32_e32 v57, v57, v5
	v_lshlrev_b32_e32 v5, 28, v56
	v_cmp_gt_i64_e32 vcc, 0, v[4:5]
	v_not_b32_e32 v5, v5
	v_ashrrev_i32_e32 v5, 31, v5
	v_and_b32_e32 v192, v192, v194
	;; [unrolled: 8-line block ×4, first 2 shown]
	v_xor_b32_e32 v194, vcc_hi, v5
	v_xor_b32_e32 v5, vcc_lo, v5
	v_and_b32_e32 v192, v192, v194
	v_and_b32_e32 v194, v57, v5
	v_lshlrev_b32_e32 v5, 25, v56
	v_cmp_gt_i64_e32 vcc, 0, v[4:5]
	v_not_b32_e32 v5, v5
	v_ashrrev_i32_e32 v5, 31, v5
	v_xor_b32_e32 v56, vcc_hi, v5
	v_xor_b32_e32 v5, vcc_lo, v5
	v_and_b32_e32 v57, v192, v56
	v_and_b32_e32 v56, v194, v5
	v_mbcnt_lo_u32_b32 v5, v56, 0
	v_mbcnt_hi_u32_b32 v192, v57, v5
	v_cmp_eq_u32_e32 vcc, 0, v192
	v_cmp_ne_u64_e64 s[40:41], 0, v[56:57]
	s_and_b64 s[42:43], s[40:41], vcc
	; wave barrier
	s_and_saveexec_b64 s[40:41], s[42:43]
	s_cbranch_execz .LBB1044_474
; %bb.473:                              ;   in Loop: Header=BB1044_422 Depth=2
	v_bcnt_u32_b32 v5, v56, 0
	v_bcnt_u32_b32 v5, v57, v5
	s_waitcnt lgkmcnt(0)
	v_add_u32_e32 v5, v189, v5
	ds_write_b32 v190, v5
.LBB1044_474:                           ;   in Loop: Header=BB1044_422 Depth=2
	s_or_b64 exec, exec, s[40:41]
	s_waitcnt vmcnt(8)
	v_xor_b32_e32 v191, 0xffff8000, v191
	v_lshrrev_b32_sdwa v5, s99, v191 dst_sel:DWORD dst_unused:UNUSED_PAD src0_sel:DWORD src1_sel:WORD_0
	v_and_b32_e32 v56, s6, v5
	v_mul_u32_u24_e32 v5, 5, v56
	v_add_lshl_u32 v5, v5, v153, 2
	; wave barrier
	v_add_u32_e32 v195, 0x210, v5
	ds_read_b32 v194, v5 offset:528
	v_and_b32_e32 v5, 1, v56
	v_add_co_u32_e32 v57, vcc, -1, v5
	v_addc_co_u32_e64 v196, s[40:41], 0, -1, vcc
	v_cmp_ne_u32_e32 vcc, 0, v5
	v_xor_b32_e32 v5, vcc_hi, v196
	v_and_b32_e32 v196, exec_hi, v5
	v_lshlrev_b32_e32 v5, 30, v56
	v_xor_b32_e32 v57, vcc_lo, v57
	v_cmp_gt_i64_e32 vcc, 0, v[4:5]
	v_not_b32_e32 v5, v5
	v_ashrrev_i32_e32 v5, 31, v5
	v_and_b32_e32 v57, exec_lo, v57
	v_xor_b32_e32 v197, vcc_hi, v5
	v_xor_b32_e32 v5, vcc_lo, v5
	v_and_b32_e32 v57, v57, v5
	v_lshlrev_b32_e32 v5, 29, v56
	v_cmp_gt_i64_e32 vcc, 0, v[4:5]
	v_not_b32_e32 v5, v5
	v_ashrrev_i32_e32 v5, 31, v5
	v_and_b32_e32 v196, v196, v197
	v_xor_b32_e32 v197, vcc_hi, v5
	v_xor_b32_e32 v5, vcc_lo, v5
	v_and_b32_e32 v57, v57, v5
	v_lshlrev_b32_e32 v5, 28, v56
	v_cmp_gt_i64_e32 vcc, 0, v[4:5]
	v_not_b32_e32 v5, v5
	v_ashrrev_i32_e32 v5, 31, v5
	v_and_b32_e32 v196, v196, v197
	;; [unrolled: 8-line block ×4, first 2 shown]
	v_xor_b32_e32 v197, vcc_hi, v5
	v_xor_b32_e32 v5, vcc_lo, v5
	v_and_b32_e32 v196, v196, v197
	v_and_b32_e32 v197, v57, v5
	v_lshlrev_b32_e32 v5, 25, v56
	v_cmp_gt_i64_e32 vcc, 0, v[4:5]
	v_not_b32_e32 v5, v5
	v_ashrrev_i32_e32 v5, 31, v5
	v_xor_b32_e32 v56, vcc_hi, v5
	v_xor_b32_e32 v5, vcc_lo, v5
	v_and_b32_e32 v57, v196, v56
	v_and_b32_e32 v56, v197, v5
	v_mbcnt_lo_u32_b32 v5, v56, 0
	v_mbcnt_hi_u32_b32 v196, v57, v5
	v_cmp_eq_u32_e32 vcc, 0, v196
	v_cmp_ne_u64_e64 s[40:41], 0, v[56:57]
	s_and_b64 s[42:43], s[40:41], vcc
	; wave barrier
	s_and_saveexec_b64 s[40:41], s[42:43]
	s_cbranch_execz .LBB1044_476
; %bb.475:                              ;   in Loop: Header=BB1044_422 Depth=2
	v_bcnt_u32_b32 v5, v56, 0
	v_bcnt_u32_b32 v5, v57, v5
	s_waitcnt lgkmcnt(0)
	v_add_u32_e32 v5, v194, v5
	ds_write_b32 v195, v5
.LBB1044_476:                           ;   in Loop: Header=BB1044_422 Depth=2
	s_or_b64 exec, exec, s[40:41]
	s_waitcnt vmcnt(7)
	v_xor_b32_e32 v193, 0xffff8000, v193
	v_lshrrev_b32_sdwa v5, s99, v193 dst_sel:DWORD dst_unused:UNUSED_PAD src0_sel:DWORD src1_sel:WORD_0
	v_and_b32_e32 v56, s6, v5
	v_mul_u32_u24_e32 v5, 5, v56
	v_add_lshl_u32 v5, v5, v153, 2
	; wave barrier
	v_add_u32_e32 v198, 0x210, v5
	ds_read_b32 v197, v5 offset:528
	v_and_b32_e32 v5, 1, v56
	v_add_co_u32_e32 v57, vcc, -1, v5
	v_addc_co_u32_e64 v199, s[40:41], 0, -1, vcc
	v_cmp_ne_u32_e32 vcc, 0, v5
	v_xor_b32_e32 v5, vcc_hi, v199
	v_and_b32_e32 v199, exec_hi, v5
	v_lshlrev_b32_e32 v5, 30, v56
	v_xor_b32_e32 v57, vcc_lo, v57
	v_cmp_gt_i64_e32 vcc, 0, v[4:5]
	v_not_b32_e32 v5, v5
	v_ashrrev_i32_e32 v5, 31, v5
	v_and_b32_e32 v57, exec_lo, v57
	v_xor_b32_e32 v200, vcc_hi, v5
	v_xor_b32_e32 v5, vcc_lo, v5
	v_and_b32_e32 v57, v57, v5
	v_lshlrev_b32_e32 v5, 29, v56
	v_cmp_gt_i64_e32 vcc, 0, v[4:5]
	v_not_b32_e32 v5, v5
	v_ashrrev_i32_e32 v5, 31, v5
	v_and_b32_e32 v199, v199, v200
	v_xor_b32_e32 v200, vcc_hi, v5
	v_xor_b32_e32 v5, vcc_lo, v5
	v_and_b32_e32 v57, v57, v5
	v_lshlrev_b32_e32 v5, 28, v56
	v_cmp_gt_i64_e32 vcc, 0, v[4:5]
	v_not_b32_e32 v5, v5
	v_ashrrev_i32_e32 v5, 31, v5
	v_and_b32_e32 v199, v199, v200
	;; [unrolled: 8-line block ×4, first 2 shown]
	v_xor_b32_e32 v200, vcc_hi, v5
	v_xor_b32_e32 v5, vcc_lo, v5
	v_and_b32_e32 v199, v199, v200
	v_and_b32_e32 v200, v57, v5
	v_lshlrev_b32_e32 v5, 25, v56
	v_cmp_gt_i64_e32 vcc, 0, v[4:5]
	v_not_b32_e32 v5, v5
	v_ashrrev_i32_e32 v5, 31, v5
	v_xor_b32_e32 v56, vcc_hi, v5
	v_xor_b32_e32 v5, vcc_lo, v5
	v_and_b32_e32 v57, v199, v56
	v_and_b32_e32 v56, v200, v5
	v_mbcnt_lo_u32_b32 v5, v56, 0
	v_mbcnt_hi_u32_b32 v199, v57, v5
	v_cmp_eq_u32_e32 vcc, 0, v199
	v_cmp_ne_u64_e64 s[40:41], 0, v[56:57]
	s_and_b64 s[42:43], s[40:41], vcc
	; wave barrier
	s_and_saveexec_b64 s[40:41], s[42:43]
	s_cbranch_execz .LBB1044_478
; %bb.477:                              ;   in Loop: Header=BB1044_422 Depth=2
	v_bcnt_u32_b32 v5, v56, 0
	v_bcnt_u32_b32 v5, v57, v5
	s_waitcnt lgkmcnt(0)
	v_add_u32_e32 v5, v197, v5
	ds_write_b32 v198, v5
.LBB1044_478:                           ;   in Loop: Header=BB1044_422 Depth=2
	s_or_b64 exec, exec, s[40:41]
	s_waitcnt vmcnt(6)
	v_xor_b32_e32 v188, 0xffff8000, v188
	v_lshrrev_b32_sdwa v5, s99, v188 dst_sel:DWORD dst_unused:UNUSED_PAD src0_sel:DWORD src1_sel:WORD_0
	v_and_b32_e32 v56, s6, v5
	v_mul_u32_u24_e32 v5, 5, v56
	v_add_lshl_u32 v5, v5, v153, 2
	; wave barrier
	v_add_u32_e32 v201, 0x210, v5
	ds_read_b32 v200, v5 offset:528
	v_and_b32_e32 v5, 1, v56
	v_add_co_u32_e32 v57, vcc, -1, v5
	v_addc_co_u32_e64 v202, s[40:41], 0, -1, vcc
	v_cmp_ne_u32_e32 vcc, 0, v5
	v_xor_b32_e32 v5, vcc_hi, v202
	v_and_b32_e32 v202, exec_hi, v5
	v_lshlrev_b32_e32 v5, 30, v56
	v_xor_b32_e32 v57, vcc_lo, v57
	v_cmp_gt_i64_e32 vcc, 0, v[4:5]
	v_not_b32_e32 v5, v5
	v_ashrrev_i32_e32 v5, 31, v5
	v_and_b32_e32 v57, exec_lo, v57
	v_xor_b32_e32 v203, vcc_hi, v5
	v_xor_b32_e32 v5, vcc_lo, v5
	v_and_b32_e32 v57, v57, v5
	v_lshlrev_b32_e32 v5, 29, v56
	v_cmp_gt_i64_e32 vcc, 0, v[4:5]
	v_not_b32_e32 v5, v5
	v_ashrrev_i32_e32 v5, 31, v5
	v_and_b32_e32 v202, v202, v203
	v_xor_b32_e32 v203, vcc_hi, v5
	v_xor_b32_e32 v5, vcc_lo, v5
	v_and_b32_e32 v57, v57, v5
	v_lshlrev_b32_e32 v5, 28, v56
	v_cmp_gt_i64_e32 vcc, 0, v[4:5]
	v_not_b32_e32 v5, v5
	v_ashrrev_i32_e32 v5, 31, v5
	v_and_b32_e32 v202, v202, v203
	v_xor_b32_e32 v203, vcc_hi, v5
	v_xor_b32_e32 v5, vcc_lo, v5
	v_and_b32_e32 v57, v57, v5
	v_lshlrev_b32_e32 v5, 27, v56
	v_cmp_gt_i64_e32 vcc, 0, v[4:5]
	v_not_b32_e32 v5, v5
	v_ashrrev_i32_e32 v5, 31, v5
	v_and_b32_e32 v202, v202, v203
	v_xor_b32_e32 v203, vcc_hi, v5
	v_xor_b32_e32 v5, vcc_lo, v5
	v_and_b32_e32 v57, v57, v5
	v_lshlrev_b32_e32 v5, 26, v56
	v_cmp_gt_i64_e32 vcc, 0, v[4:5]
	v_not_b32_e32 v5, v5
	v_ashrrev_i32_e32 v5, 31, v5
	v_and_b32_e32 v202, v202, v203
	v_xor_b32_e32 v203, vcc_hi, v5
	v_xor_b32_e32 v5, vcc_lo, v5
	v_and_b32_e32 v202, v202, v203
	v_and_b32_e32 v203, v57, v5
	v_lshlrev_b32_e32 v5, 25, v56
	v_cmp_gt_i64_e32 vcc, 0, v[4:5]
	v_not_b32_e32 v5, v5
	v_ashrrev_i32_e32 v5, 31, v5
	v_xor_b32_e32 v56, vcc_hi, v5
	v_xor_b32_e32 v5, vcc_lo, v5
	v_and_b32_e32 v57, v202, v56
	v_and_b32_e32 v56, v203, v5
	v_mbcnt_lo_u32_b32 v5, v56, 0
	v_mbcnt_hi_u32_b32 v202, v57, v5
	v_cmp_eq_u32_e32 vcc, 0, v202
	v_cmp_ne_u64_e64 s[40:41], 0, v[56:57]
	s_and_b64 s[42:43], s[40:41], vcc
	; wave barrier
	s_and_saveexec_b64 s[40:41], s[42:43]
	s_cbranch_execz .LBB1044_480
; %bb.479:                              ;   in Loop: Header=BB1044_422 Depth=2
	v_bcnt_u32_b32 v5, v56, 0
	v_bcnt_u32_b32 v5, v57, v5
	s_waitcnt lgkmcnt(0)
	v_add_u32_e32 v5, v200, v5
	ds_write_b32 v201, v5
.LBB1044_480:                           ;   in Loop: Header=BB1044_422 Depth=2
	s_or_b64 exec, exec, s[40:41]
	s_waitcnt vmcnt(5)
	v_xor_b32_e32 v184, 0xffff8000, v184
	v_lshrrev_b32_sdwa v5, s99, v184 dst_sel:DWORD dst_unused:UNUSED_PAD src0_sel:DWORD src1_sel:WORD_0
	v_and_b32_e32 v56, s6, v5
	v_mul_u32_u24_e32 v5, 5, v56
	v_add_lshl_u32 v5, v5, v153, 2
	; wave barrier
	v_add_u32_e32 v205, 0x210, v5
	ds_read_b32 v203, v5 offset:528
	v_and_b32_e32 v5, 1, v56
	v_add_co_u32_e32 v57, vcc, -1, v5
	v_addc_co_u32_e64 v204, s[40:41], 0, -1, vcc
	v_cmp_ne_u32_e32 vcc, 0, v5
	v_xor_b32_e32 v5, vcc_hi, v204
	v_and_b32_e32 v204, exec_hi, v5
	v_lshlrev_b32_e32 v5, 30, v56
	v_xor_b32_e32 v57, vcc_lo, v57
	v_cmp_gt_i64_e32 vcc, 0, v[4:5]
	v_not_b32_e32 v5, v5
	v_ashrrev_i32_e32 v5, 31, v5
	v_and_b32_e32 v57, exec_lo, v57
	v_xor_b32_e32 v206, vcc_hi, v5
	v_xor_b32_e32 v5, vcc_lo, v5
	v_and_b32_e32 v57, v57, v5
	v_lshlrev_b32_e32 v5, 29, v56
	v_cmp_gt_i64_e32 vcc, 0, v[4:5]
	v_not_b32_e32 v5, v5
	v_ashrrev_i32_e32 v5, 31, v5
	v_and_b32_e32 v204, v204, v206
	v_xor_b32_e32 v206, vcc_hi, v5
	v_xor_b32_e32 v5, vcc_lo, v5
	v_and_b32_e32 v57, v57, v5
	v_lshlrev_b32_e32 v5, 28, v56
	v_cmp_gt_i64_e32 vcc, 0, v[4:5]
	v_not_b32_e32 v5, v5
	v_ashrrev_i32_e32 v5, 31, v5
	v_and_b32_e32 v204, v204, v206
	v_xor_b32_e32 v206, vcc_hi, v5
	v_xor_b32_e32 v5, vcc_lo, v5
	v_and_b32_e32 v57, v57, v5
	v_lshlrev_b32_e32 v5, 27, v56
	v_cmp_gt_i64_e32 vcc, 0, v[4:5]
	v_not_b32_e32 v5, v5
	v_ashrrev_i32_e32 v5, 31, v5
	v_and_b32_e32 v204, v204, v206
	v_xor_b32_e32 v206, vcc_hi, v5
	v_xor_b32_e32 v5, vcc_lo, v5
	v_and_b32_e32 v57, v57, v5
	v_lshlrev_b32_e32 v5, 26, v56
	v_cmp_gt_i64_e32 vcc, 0, v[4:5]
	v_not_b32_e32 v5, v5
	v_ashrrev_i32_e32 v5, 31, v5
	v_and_b32_e32 v204, v204, v206
	v_xor_b32_e32 v206, vcc_hi, v5
	v_xor_b32_e32 v5, vcc_lo, v5
	v_and_b32_e32 v204, v204, v206
	v_and_b32_e32 v206, v57, v5
	v_lshlrev_b32_e32 v5, 25, v56
	v_cmp_gt_i64_e32 vcc, 0, v[4:5]
	v_not_b32_e32 v5, v5
	v_ashrrev_i32_e32 v5, 31, v5
	v_xor_b32_e32 v56, vcc_hi, v5
	v_xor_b32_e32 v5, vcc_lo, v5
	v_and_b32_e32 v57, v204, v56
	v_and_b32_e32 v56, v206, v5
	v_mbcnt_lo_u32_b32 v5, v56, 0
	v_mbcnt_hi_u32_b32 v206, v57, v5
	v_cmp_eq_u32_e32 vcc, 0, v206
	v_cmp_ne_u64_e64 s[40:41], 0, v[56:57]
	s_and_b64 s[42:43], s[40:41], vcc
	; wave barrier
	s_and_saveexec_b64 s[40:41], s[42:43]
	s_cbranch_execz .LBB1044_482
; %bb.481:                              ;   in Loop: Header=BB1044_422 Depth=2
	v_bcnt_u32_b32 v5, v56, 0
	v_bcnt_u32_b32 v5, v57, v5
	s_waitcnt lgkmcnt(0)
	v_add_u32_e32 v5, v203, v5
	ds_write_b32 v205, v5
.LBB1044_482:                           ;   in Loop: Header=BB1044_422 Depth=2
	s_or_b64 exec, exec, s[40:41]
	s_waitcnt vmcnt(4)
	v_xor_b32_e32 v204, 0xffff8000, v179
	v_lshrrev_b32_sdwa v5, s99, v204 dst_sel:DWORD dst_unused:UNUSED_PAD src0_sel:DWORD src1_sel:WORD_0
	v_and_b32_e32 v56, s6, v5
	v_mul_u32_u24_e32 v5, 5, v56
	v_add_lshl_u32 v5, v5, v153, 2
	; wave barrier
	v_add_u32_e32 v179, 0x210, v5
	ds_read_b32 v207, v5 offset:528
	v_and_b32_e32 v5, 1, v56
	v_add_co_u32_e32 v57, vcc, -1, v5
	v_addc_co_u32_e64 v208, s[40:41], 0, -1, vcc
	v_cmp_ne_u32_e32 vcc, 0, v5
	v_xor_b32_e32 v5, vcc_hi, v208
	v_and_b32_e32 v208, exec_hi, v5
	v_lshlrev_b32_e32 v5, 30, v56
	v_xor_b32_e32 v57, vcc_lo, v57
	v_cmp_gt_i64_e32 vcc, 0, v[4:5]
	v_not_b32_e32 v5, v5
	v_ashrrev_i32_e32 v5, 31, v5
	v_and_b32_e32 v57, exec_lo, v57
	v_xor_b32_e32 v209, vcc_hi, v5
	v_xor_b32_e32 v5, vcc_lo, v5
	v_and_b32_e32 v57, v57, v5
	v_lshlrev_b32_e32 v5, 29, v56
	v_cmp_gt_i64_e32 vcc, 0, v[4:5]
	v_not_b32_e32 v5, v5
	v_ashrrev_i32_e32 v5, 31, v5
	v_and_b32_e32 v208, v208, v209
	v_xor_b32_e32 v209, vcc_hi, v5
	v_xor_b32_e32 v5, vcc_lo, v5
	v_and_b32_e32 v57, v57, v5
	v_lshlrev_b32_e32 v5, 28, v56
	v_cmp_gt_i64_e32 vcc, 0, v[4:5]
	v_not_b32_e32 v5, v5
	v_ashrrev_i32_e32 v5, 31, v5
	v_and_b32_e32 v208, v208, v209
	;; [unrolled: 8-line block ×4, first 2 shown]
	v_xor_b32_e32 v209, vcc_hi, v5
	v_xor_b32_e32 v5, vcc_lo, v5
	v_and_b32_e32 v208, v208, v209
	v_and_b32_e32 v209, v57, v5
	v_lshlrev_b32_e32 v5, 25, v56
	v_cmp_gt_i64_e32 vcc, 0, v[4:5]
	v_not_b32_e32 v5, v5
	v_ashrrev_i32_e32 v5, 31, v5
	v_xor_b32_e32 v56, vcc_hi, v5
	v_xor_b32_e32 v5, vcc_lo, v5
	v_and_b32_e32 v57, v208, v56
	v_and_b32_e32 v56, v209, v5
	v_mbcnt_lo_u32_b32 v5, v56, 0
	v_mbcnt_hi_u32_b32 v209, v57, v5
	v_cmp_eq_u32_e32 vcc, 0, v209
	v_cmp_ne_u64_e64 s[40:41], 0, v[56:57]
	s_and_b64 s[42:43], s[40:41], vcc
	; wave barrier
	s_and_saveexec_b64 s[40:41], s[42:43]
	s_cbranch_execz .LBB1044_484
; %bb.483:                              ;   in Loop: Header=BB1044_422 Depth=2
	v_bcnt_u32_b32 v5, v56, 0
	v_bcnt_u32_b32 v5, v57, v5
	s_waitcnt lgkmcnt(0)
	v_add_u32_e32 v5, v207, v5
	ds_write_b32 v179, v5
.LBB1044_484:                           ;   in Loop: Header=BB1044_422 Depth=2
	s_or_b64 exec, exec, s[40:41]
	s_waitcnt vmcnt(3)
	v_xor_b32_e32 v208, 0xffff8000, v174
	v_lshrrev_b32_sdwa v5, s99, v208 dst_sel:DWORD dst_unused:UNUSED_PAD src0_sel:DWORD src1_sel:WORD_0
	v_and_b32_e32 v56, s6, v5
	v_mul_u32_u24_e32 v5, 5, v56
	v_add_lshl_u32 v5, v5, v153, 2
	; wave barrier
	v_add_u32_e32 v174, 0x210, v5
	ds_read_b32 v210, v5 offset:528
	v_and_b32_e32 v5, 1, v56
	v_add_co_u32_e32 v57, vcc, -1, v5
	v_addc_co_u32_e64 v211, s[40:41], 0, -1, vcc
	v_cmp_ne_u32_e32 vcc, 0, v5
	v_xor_b32_e32 v5, vcc_hi, v211
	v_and_b32_e32 v211, exec_hi, v5
	v_lshlrev_b32_e32 v5, 30, v56
	v_xor_b32_e32 v57, vcc_lo, v57
	v_cmp_gt_i64_e32 vcc, 0, v[4:5]
	v_not_b32_e32 v5, v5
	v_ashrrev_i32_e32 v5, 31, v5
	v_and_b32_e32 v57, exec_lo, v57
	v_xor_b32_e32 v212, vcc_hi, v5
	v_xor_b32_e32 v5, vcc_lo, v5
	v_and_b32_e32 v57, v57, v5
	v_lshlrev_b32_e32 v5, 29, v56
	v_cmp_gt_i64_e32 vcc, 0, v[4:5]
	v_not_b32_e32 v5, v5
	v_ashrrev_i32_e32 v5, 31, v5
	v_and_b32_e32 v211, v211, v212
	v_xor_b32_e32 v212, vcc_hi, v5
	v_xor_b32_e32 v5, vcc_lo, v5
	v_and_b32_e32 v57, v57, v5
	v_lshlrev_b32_e32 v5, 28, v56
	v_cmp_gt_i64_e32 vcc, 0, v[4:5]
	v_not_b32_e32 v5, v5
	v_ashrrev_i32_e32 v5, 31, v5
	v_and_b32_e32 v211, v211, v212
	;; [unrolled: 8-line block ×4, first 2 shown]
	v_xor_b32_e32 v212, vcc_hi, v5
	v_xor_b32_e32 v5, vcc_lo, v5
	v_and_b32_e32 v211, v211, v212
	v_and_b32_e32 v212, v57, v5
	v_lshlrev_b32_e32 v5, 25, v56
	v_cmp_gt_i64_e32 vcc, 0, v[4:5]
	v_not_b32_e32 v5, v5
	v_ashrrev_i32_e32 v5, 31, v5
	v_xor_b32_e32 v56, vcc_hi, v5
	v_xor_b32_e32 v5, vcc_lo, v5
	v_and_b32_e32 v57, v211, v56
	v_and_b32_e32 v56, v212, v5
	v_mbcnt_lo_u32_b32 v5, v56, 0
	v_mbcnt_hi_u32_b32 v212, v57, v5
	v_cmp_eq_u32_e32 vcc, 0, v212
	v_cmp_ne_u64_e64 s[40:41], 0, v[56:57]
	s_and_b64 s[42:43], s[40:41], vcc
	; wave barrier
	s_and_saveexec_b64 s[40:41], s[42:43]
	s_cbranch_execz .LBB1044_486
; %bb.485:                              ;   in Loop: Header=BB1044_422 Depth=2
	v_bcnt_u32_b32 v5, v56, 0
	v_bcnt_u32_b32 v5, v57, v5
	s_waitcnt lgkmcnt(0)
	v_add_u32_e32 v5, v210, v5
	ds_write_b32 v174, v5
.LBB1044_486:                           ;   in Loop: Header=BB1044_422 Depth=2
	s_or_b64 exec, exec, s[40:41]
	s_waitcnt vmcnt(2)
	v_xor_b32_e32 v211, 0xffff8000, v169
	v_lshrrev_b32_sdwa v5, s99, v211 dst_sel:DWORD dst_unused:UNUSED_PAD src0_sel:DWORD src1_sel:WORD_0
	v_and_b32_e32 v56, s6, v5
	v_mul_u32_u24_e32 v5, 5, v56
	v_add_lshl_u32 v5, v5, v153, 2
	; wave barrier
	v_add_u32_e32 v169, 0x210, v5
	ds_read_b32 v213, v5 offset:528
	v_and_b32_e32 v5, 1, v56
	v_add_co_u32_e32 v57, vcc, -1, v5
	v_addc_co_u32_e64 v214, s[40:41], 0, -1, vcc
	v_cmp_ne_u32_e32 vcc, 0, v5
	v_xor_b32_e32 v5, vcc_hi, v214
	v_and_b32_e32 v214, exec_hi, v5
	v_lshlrev_b32_e32 v5, 30, v56
	v_xor_b32_e32 v57, vcc_lo, v57
	v_cmp_gt_i64_e32 vcc, 0, v[4:5]
	v_not_b32_e32 v5, v5
	v_ashrrev_i32_e32 v5, 31, v5
	v_and_b32_e32 v57, exec_lo, v57
	v_xor_b32_e32 v215, vcc_hi, v5
	v_xor_b32_e32 v5, vcc_lo, v5
	v_and_b32_e32 v57, v57, v5
	v_lshlrev_b32_e32 v5, 29, v56
	v_cmp_gt_i64_e32 vcc, 0, v[4:5]
	v_not_b32_e32 v5, v5
	v_ashrrev_i32_e32 v5, 31, v5
	v_and_b32_e32 v214, v214, v215
	v_xor_b32_e32 v215, vcc_hi, v5
	v_xor_b32_e32 v5, vcc_lo, v5
	v_and_b32_e32 v57, v57, v5
	v_lshlrev_b32_e32 v5, 28, v56
	v_cmp_gt_i64_e32 vcc, 0, v[4:5]
	v_not_b32_e32 v5, v5
	v_ashrrev_i32_e32 v5, 31, v5
	v_and_b32_e32 v214, v214, v215
	;; [unrolled: 8-line block ×4, first 2 shown]
	v_xor_b32_e32 v215, vcc_hi, v5
	v_xor_b32_e32 v5, vcc_lo, v5
	v_and_b32_e32 v214, v214, v215
	v_and_b32_e32 v215, v57, v5
	v_lshlrev_b32_e32 v5, 25, v56
	v_cmp_gt_i64_e32 vcc, 0, v[4:5]
	v_not_b32_e32 v5, v5
	v_ashrrev_i32_e32 v5, 31, v5
	v_xor_b32_e32 v56, vcc_hi, v5
	v_xor_b32_e32 v5, vcc_lo, v5
	v_and_b32_e32 v57, v214, v56
	v_and_b32_e32 v56, v215, v5
	v_mbcnt_lo_u32_b32 v5, v56, 0
	v_mbcnt_hi_u32_b32 v215, v57, v5
	v_cmp_eq_u32_e32 vcc, 0, v215
	v_cmp_ne_u64_e64 s[40:41], 0, v[56:57]
	s_and_b64 s[42:43], s[40:41], vcc
	; wave barrier
	s_and_saveexec_b64 s[40:41], s[42:43]
	s_cbranch_execz .LBB1044_488
; %bb.487:                              ;   in Loop: Header=BB1044_422 Depth=2
	v_bcnt_u32_b32 v5, v56, 0
	v_bcnt_u32_b32 v5, v57, v5
	s_waitcnt lgkmcnt(0)
	v_add_u32_e32 v5, v213, v5
	ds_write_b32 v169, v5
.LBB1044_488:                           ;   in Loop: Header=BB1044_422 Depth=2
	s_or_b64 exec, exec, s[40:41]
	s_waitcnt vmcnt(0)
	v_xor_b32_e32 v214, 0xffff8000, v164
	v_lshrrev_b32_sdwa v5, s99, v214 dst_sel:DWORD dst_unused:UNUSED_PAD src0_sel:DWORD src1_sel:WORD_0
	v_and_b32_e32 v56, s6, v5
	v_mul_u32_u24_e32 v5, 5, v56
	v_add_lshl_u32 v5, v5, v153, 2
	; wave barrier
	v_add_u32_e32 v164, 0x210, v5
	ds_read_b32 v216, v5 offset:528
	v_and_b32_e32 v5, 1, v56
	v_add_co_u32_e32 v57, vcc, -1, v5
	v_addc_co_u32_e64 v217, s[40:41], 0, -1, vcc
	v_cmp_ne_u32_e32 vcc, 0, v5
	v_xor_b32_e32 v5, vcc_hi, v217
	v_and_b32_e32 v217, exec_hi, v5
	v_lshlrev_b32_e32 v5, 30, v56
	v_xor_b32_e32 v57, vcc_lo, v57
	v_cmp_gt_i64_e32 vcc, 0, v[4:5]
	v_not_b32_e32 v5, v5
	v_ashrrev_i32_e32 v5, 31, v5
	v_and_b32_e32 v57, exec_lo, v57
	v_xor_b32_e32 v218, vcc_hi, v5
	v_xor_b32_e32 v5, vcc_lo, v5
	v_and_b32_e32 v57, v57, v5
	v_lshlrev_b32_e32 v5, 29, v56
	v_cmp_gt_i64_e32 vcc, 0, v[4:5]
	v_not_b32_e32 v5, v5
	v_ashrrev_i32_e32 v5, 31, v5
	v_and_b32_e32 v217, v217, v218
	v_xor_b32_e32 v218, vcc_hi, v5
	v_xor_b32_e32 v5, vcc_lo, v5
	v_and_b32_e32 v57, v57, v5
	v_lshlrev_b32_e32 v5, 28, v56
	v_cmp_gt_i64_e32 vcc, 0, v[4:5]
	v_not_b32_e32 v5, v5
	v_ashrrev_i32_e32 v5, 31, v5
	v_and_b32_e32 v217, v217, v218
	;; [unrolled: 8-line block ×4, first 2 shown]
	v_xor_b32_e32 v218, vcc_hi, v5
	v_xor_b32_e32 v5, vcc_lo, v5
	v_and_b32_e32 v217, v217, v218
	v_and_b32_e32 v218, v57, v5
	v_lshlrev_b32_e32 v5, 25, v56
	v_cmp_gt_i64_e32 vcc, 0, v[4:5]
	v_not_b32_e32 v5, v5
	v_ashrrev_i32_e32 v5, 31, v5
	v_xor_b32_e32 v56, vcc_hi, v5
	v_xor_b32_e32 v5, vcc_lo, v5
	v_and_b32_e32 v57, v217, v56
	v_and_b32_e32 v56, v218, v5
	v_mbcnt_lo_u32_b32 v5, v56, 0
	v_mbcnt_hi_u32_b32 v218, v57, v5
	v_cmp_eq_u32_e32 vcc, 0, v218
	v_cmp_ne_u64_e64 s[40:41], 0, v[56:57]
	s_and_b64 s[42:43], s[40:41], vcc
	; wave barrier
	s_and_saveexec_b64 s[40:41], s[42:43]
	s_cbranch_execz .LBB1044_490
; %bb.489:                              ;   in Loop: Header=BB1044_422 Depth=2
	v_bcnt_u32_b32 v5, v56, 0
	v_bcnt_u32_b32 v5, v57, v5
	s_waitcnt lgkmcnt(0)
	v_add_u32_e32 v5, v216, v5
	ds_write_b32 v164, v5
.LBB1044_490:                           ;   in Loop: Header=BB1044_422 Depth=2
	s_or_b64 exec, exec, s[40:41]
	v_xor_b32_e32 v217, 0xffff8000, v159
	v_lshrrev_b32_sdwa v5, s99, v217 dst_sel:DWORD dst_unused:UNUSED_PAD src0_sel:DWORD src1_sel:WORD_0
	v_and_b32_e32 v56, s6, v5
	v_mul_u32_u24_e32 v5, 5, v56
	v_add_lshl_u32 v5, v5, v153, 2
	; wave barrier
	v_add_u32_e32 v159, 0x210, v5
	ds_read_b32 v219, v5 offset:528
	v_and_b32_e32 v5, 1, v56
	v_add_co_u32_e32 v57, vcc, -1, v5
	v_addc_co_u32_e64 v220, s[40:41], 0, -1, vcc
	v_cmp_ne_u32_e32 vcc, 0, v5
	v_xor_b32_e32 v5, vcc_hi, v220
	v_and_b32_e32 v220, exec_hi, v5
	v_lshlrev_b32_e32 v5, 30, v56
	v_xor_b32_e32 v57, vcc_lo, v57
	v_cmp_gt_i64_e32 vcc, 0, v[4:5]
	v_not_b32_e32 v5, v5
	v_ashrrev_i32_e32 v5, 31, v5
	v_and_b32_e32 v57, exec_lo, v57
	v_xor_b32_e32 v221, vcc_hi, v5
	v_xor_b32_e32 v5, vcc_lo, v5
	v_and_b32_e32 v57, v57, v5
	v_lshlrev_b32_e32 v5, 29, v56
	v_cmp_gt_i64_e32 vcc, 0, v[4:5]
	v_not_b32_e32 v5, v5
	v_ashrrev_i32_e32 v5, 31, v5
	v_and_b32_e32 v220, v220, v221
	v_xor_b32_e32 v221, vcc_hi, v5
	v_xor_b32_e32 v5, vcc_lo, v5
	v_and_b32_e32 v57, v57, v5
	v_lshlrev_b32_e32 v5, 28, v56
	v_cmp_gt_i64_e32 vcc, 0, v[4:5]
	v_not_b32_e32 v5, v5
	v_ashrrev_i32_e32 v5, 31, v5
	v_and_b32_e32 v220, v220, v221
	;; [unrolled: 8-line block ×4, first 2 shown]
	v_xor_b32_e32 v221, vcc_hi, v5
	v_xor_b32_e32 v5, vcc_lo, v5
	v_and_b32_e32 v220, v220, v221
	v_and_b32_e32 v221, v57, v5
	v_lshlrev_b32_e32 v5, 25, v56
	v_cmp_gt_i64_e32 vcc, 0, v[4:5]
	v_not_b32_e32 v5, v5
	v_ashrrev_i32_e32 v5, 31, v5
	v_xor_b32_e32 v56, vcc_hi, v5
	v_xor_b32_e32 v5, vcc_lo, v5
	v_and_b32_e32 v57, v220, v56
	v_and_b32_e32 v56, v221, v5
	v_mbcnt_lo_u32_b32 v5, v56, 0
	v_mbcnt_hi_u32_b32 v221, v57, v5
	v_cmp_eq_u32_e32 vcc, 0, v221
	v_cmp_ne_u64_e64 s[40:41], 0, v[56:57]
	s_and_b64 s[42:43], s[40:41], vcc
	; wave barrier
	s_and_saveexec_b64 s[40:41], s[42:43]
	s_cbranch_execz .LBB1044_492
; %bb.491:                              ;   in Loop: Header=BB1044_422 Depth=2
	v_bcnt_u32_b32 v5, v56, 0
	v_bcnt_u32_b32 v5, v57, v5
	s_waitcnt lgkmcnt(0)
	v_add_u32_e32 v5, v219, v5
	ds_write_b32 v159, v5
.LBB1044_492:                           ;   in Loop: Header=BB1044_422 Depth=2
	s_or_b64 exec, exec, s[40:41]
	v_xor_b32_e32 v220, 0xffff8000, v166
	v_lshrrev_b32_sdwa v5, s99, v220 dst_sel:DWORD dst_unused:UNUSED_PAD src0_sel:DWORD src1_sel:WORD_0
	v_and_b32_e32 v56, s6, v5
	v_mul_u32_u24_e32 v5, 5, v56
	v_add_lshl_u32 v5, v5, v153, 2
	; wave barrier
	v_add_u32_e32 v166, 0x210, v5
	ds_read_b32 v222, v5 offset:528
	v_and_b32_e32 v5, 1, v56
	v_add_co_u32_e32 v57, vcc, -1, v5
	v_addc_co_u32_e64 v223, s[40:41], 0, -1, vcc
	v_cmp_ne_u32_e32 vcc, 0, v5
	v_xor_b32_e32 v5, vcc_hi, v223
	v_and_b32_e32 v223, exec_hi, v5
	v_lshlrev_b32_e32 v5, 30, v56
	v_xor_b32_e32 v57, vcc_lo, v57
	v_cmp_gt_i64_e32 vcc, 0, v[4:5]
	v_not_b32_e32 v5, v5
	v_ashrrev_i32_e32 v5, 31, v5
	v_and_b32_e32 v57, exec_lo, v57
	v_xor_b32_e32 v224, vcc_hi, v5
	v_xor_b32_e32 v5, vcc_lo, v5
	v_and_b32_e32 v57, v57, v5
	v_lshlrev_b32_e32 v5, 29, v56
	v_cmp_gt_i64_e32 vcc, 0, v[4:5]
	v_not_b32_e32 v5, v5
	v_ashrrev_i32_e32 v5, 31, v5
	v_and_b32_e32 v223, v223, v224
	v_xor_b32_e32 v224, vcc_hi, v5
	v_xor_b32_e32 v5, vcc_lo, v5
	v_and_b32_e32 v57, v57, v5
	v_lshlrev_b32_e32 v5, 28, v56
	v_cmp_gt_i64_e32 vcc, 0, v[4:5]
	v_not_b32_e32 v5, v5
	v_ashrrev_i32_e32 v5, 31, v5
	v_and_b32_e32 v223, v223, v224
	;; [unrolled: 8-line block ×4, first 2 shown]
	v_xor_b32_e32 v224, vcc_hi, v5
	v_xor_b32_e32 v5, vcc_lo, v5
	v_and_b32_e32 v223, v223, v224
	v_and_b32_e32 v224, v57, v5
	v_lshlrev_b32_e32 v5, 25, v56
	v_cmp_gt_i64_e32 vcc, 0, v[4:5]
	v_not_b32_e32 v5, v5
	v_ashrrev_i32_e32 v5, 31, v5
	v_xor_b32_e32 v56, vcc_hi, v5
	v_xor_b32_e32 v5, vcc_lo, v5
	v_and_b32_e32 v57, v223, v56
	v_and_b32_e32 v56, v224, v5
	v_mbcnt_lo_u32_b32 v5, v56, 0
	v_mbcnt_hi_u32_b32 v5, v57, v5
	v_cmp_eq_u32_e32 vcc, 0, v5
	v_cmp_ne_u64_e64 s[40:41], 0, v[56:57]
	s_and_b64 s[42:43], s[40:41], vcc
	; wave barrier
	s_and_saveexec_b64 s[40:41], s[42:43]
	s_cbranch_execz .LBB1044_494
; %bb.493:                              ;   in Loop: Header=BB1044_422 Depth=2
	v_bcnt_u32_b32 v56, v56, 0
	v_bcnt_u32_b32 v56, v57, v56
	s_waitcnt lgkmcnt(0)
	v_add_u32_e32 v56, v222, v56
	ds_write_b32 v166, v56
.LBB1044_494:                           ;   in Loop: Header=BB1044_422 Depth=2
	s_or_b64 exec, exec, s[40:41]
	; wave barrier
	s_waitcnt lgkmcnt(0)
	s_barrier
	ds_read_b32 v223, v58 offset:528
	ds_read2_b32 v[56:57], v67 offset0:1 offset1:2
	s_waitcnt lgkmcnt(0)
	v_add3_u32 v57, v56, v223, v57
	s_nop 1
	v_mov_b32_dpp v224, v57 row_shr:1 row_mask:0xf bank_mask:0xf
	v_cndmask_b32_e64 v224, v224, 0, s[20:21]
	v_add_u32_e32 v57, v224, v57
	s_nop 1
	v_mov_b32_dpp v224, v57 row_shr:2 row_mask:0xf bank_mask:0xf
	v_cndmask_b32_e64 v224, 0, v224, s[22:23]
	v_add_u32_e32 v57, v57, v224
	;; [unrolled: 4-line block ×4, first 2 shown]
	s_nop 1
	v_mov_b32_dpp v224, v57 row_bcast:15 row_mask:0xf bank_mask:0xf
	v_cndmask_b32_e64 v224, v224, 0, s[28:29]
	v_add_u32_e32 v57, v57, v224
	s_nop 1
	v_mov_b32_dpp v224, v57 row_bcast:31 row_mask:0xf bank_mask:0xf
	v_cndmask_b32_e64 v224, 0, v224, s[30:31]
	v_add_u32_e32 v57, v57, v224
	s_and_saveexec_b64 s[40:41], s[12:13]
	s_cbranch_execz .LBB1044_496
; %bb.495:                              ;   in Loop: Header=BB1044_422 Depth=2
	ds_write_b32 v60, v57 offset:512
.LBB1044_496:                           ;   in Loop: Header=BB1044_422 Depth=2
	s_or_b64 exec, exec, s[40:41]
	s_waitcnt lgkmcnt(0)
	s_barrier
	s_and_saveexec_b64 s[40:41], s[14:15]
	s_cbranch_execz .LBB1044_498
; %bb.497:                              ;   in Loop: Header=BB1044_422 Depth=2
	ds_read_b32 v224, v69 offset:512
	s_waitcnt lgkmcnt(0)
	s_nop 0
	v_mov_b32_dpp v225, v224 row_shr:1 row_mask:0xf bank_mask:0xf
	v_cndmask_b32_e64 v225, v225, 0, s[36:37]
	v_add_u32_e32 v224, v225, v224
	s_nop 1
	v_mov_b32_dpp v225, v224 row_shr:2 row_mask:0xf bank_mask:0xf
	v_cndmask_b32_e64 v225, 0, v225, s[38:39]
	v_add_u32_e32 v224, v224, v225
	ds_write_b32 v69, v224 offset:512
.LBB1044_498:                           ;   in Loop: Header=BB1044_422 Depth=2
	s_or_b64 exec, exec, s[40:41]
	v_mov_b32_e32 v224, 0
	s_waitcnt lgkmcnt(0)
	s_barrier
	s_and_saveexec_b64 s[40:41], s[10:11]
	s_cbranch_execz .LBB1044_500
; %bb.499:                              ;   in Loop: Header=BB1044_422 Depth=2
	ds_read_b32 v224, v60 offset:508
.LBB1044_500:                           ;   in Loop: Header=BB1044_422 Depth=2
	s_or_b64 exec, exec, s[40:41]
	s_waitcnt lgkmcnt(0)
	v_add_u32_e32 v57, v224, v57
	ds_bpermute_b32 v57, v129, v57
	s_waitcnt lgkmcnt(0)
	v_cndmask_b32_e64 v57, v57, v224, s[34:35]
	v_cndmask_b32_e64 v57, v57, 0, s[16:17]
	v_add_u32_e32 v223, v57, v223
	v_add_u32_e32 v56, v223, v56
	ds_write_b32 v58, v57 offset:528
	ds_write2_b32 v67, v223, v56 offset0:1 offset1:2
	s_waitcnt lgkmcnt(0)
	s_barrier
	ds_read_b32 v56, v158
	ds_read_b32 v57, v163
	;; [unrolled: 1-line block ×17, first 2 shown]
	s_and_saveexec_b64 s[40:41], s[4:5]
	s_cbranch_execz .LBB1044_504
; %bb.501:                              ;   in Loop: Header=BB1044_422 Depth=2
	ds_read_b32 v154, v70 offset:528
	v_mov_b32_e32 v155, 0x1100
	s_and_saveexec_b64 s[42:43], s[18:19]
	s_cbranch_execz .LBB1044_503
; %bb.502:                              ;   in Loop: Header=BB1044_422 Depth=2
	ds_read_b32 v155, v70 offset:548
.LBB1044_503:                           ;   in Loop: Header=BB1044_422 Depth=2
	s_or_b64 exec, exec, s[42:43]
	s_waitcnt lgkmcnt(0)
	v_sub_u32_e32 v155, v155, v154
.LBB1044_504:                           ;   in Loop: Header=BB1044_422 Depth=2
	s_or_b64 exec, exec, s[40:41]
	s_waitcnt lgkmcnt(0)
	s_barrier
	s_and_saveexec_b64 s[40:41], s[4:5]
	s_cbranch_execz .LBB1044_506
; %bb.505:                              ;   in Loop: Header=BB1044_422 Depth=2
	ds_read_b32 v159, v3
	s_waitcnt lgkmcnt(0)
	v_sub_u32_e32 v159, v159, v154
	ds_write_b32 v3, v159
.LBB1044_506:                           ;   in Loop: Header=BB1044_422 Depth=2
	s_or_b64 exec, exec, s[40:41]
	v_add_u32_e32 v179, v56, v161
	v_add3_u32 v175, v167, v162, v57
	v_lshlrev_b32_e32 v56, 1, v179
	v_add3_u32 v174, v172, v168, v158
	ds_write_b16 v56, v157 offset:512
	v_lshlrev_b32_e32 v56, 1, v175
	v_add3_u32 v173, v177, v173, v163
	ds_write_b16 v56, v160 offset:512
	;; [unrolled: 3-line block ×15, first 2 shown]
	v_lshlrev_b32_e32 v56, 1, v158
	ds_write_b16 v56, v217 offset:512
	v_lshlrev_b32_e32 v56, 1, v5
	v_cmp_lt_u32_e64 s[40:41], v2, v156
	ds_write_b16 v56, v220 offset:512
	s_waitcnt lgkmcnt(0)
	s_barrier
	s_and_saveexec_b64 s[42:43], s[40:41]
	s_cbranch_execz .LBB1044_558
; %bb.507:                              ;   in Loop: Header=BB1044_422 Depth=2
	v_add_u32_e32 v56, v70, v75
	ds_read_u16 v56, v56 offset:512
	v_mov_b32_e32 v160, s81
	s_waitcnt lgkmcnt(0)
	v_lshrrev_b32_sdwa v57, s99, v56 dst_sel:DWORD dst_unused:UNUSED_PAD src0_sel:DWORD src1_sel:WORD_0
	v_and_b32_e32 v57, s6, v57
	v_lshlrev_b32_e32 v57, 2, v57
	ds_read_b32 v157, v57
	v_mov_b32_e32 v57, v4
	v_xor_b32_e32 v165, 0xffff8000, v56
	s_waitcnt lgkmcnt(0)
	v_add_u32_e32 v56, v157, v2
	v_lshlrev_b64 v[56:57], 1, v[56:57]
	v_add_co_u32_e32 v56, vcc, s80, v56
	v_addc_co_u32_e32 v57, vcc, v160, v57, vcc
	global_store_short v[56:57], v165, off
	s_or_b64 exec, exec, s[42:43]
	v_cmp_lt_u32_e64 s[42:43], v7, v156
	s_and_saveexec_b64 s[44:45], s[42:43]
	s_cbranch_execnz .LBB1044_559
.LBB1044_508:                           ;   in Loop: Header=BB1044_422 Depth=2
	s_or_b64 exec, exec, s[44:45]
	v_cmp_lt_u32_e64 s[44:45], v13, v156
	s_and_saveexec_b64 s[46:47], s[44:45]
	s_cbranch_execz .LBB1044_560
.LBB1044_509:                           ;   in Loop: Header=BB1044_422 Depth=2
	ds_read_u16 v56, v76 offset:1024
	v_mov_b32_e32 v160, s81
	s_waitcnt lgkmcnt(0)
	v_lshrrev_b32_sdwa v57, s99, v56 dst_sel:DWORD dst_unused:UNUSED_PAD src0_sel:DWORD src1_sel:WORD_0
	v_and_b32_e32 v57, s6, v57
	v_lshlrev_b32_e32 v57, 2, v57
	ds_read_b32 v157, v57
	v_mov_b32_e32 v57, v4
	v_xor_b32_e32 v165, 0xffff8000, v56
	s_waitcnt lgkmcnt(0)
	v_add_u32_e32 v56, v157, v13
	v_lshlrev_b64 v[56:57], 1, v[56:57]
	v_add_co_u32_e32 v56, vcc, s80, v56
	v_addc_co_u32_e32 v57, vcc, v160, v57, vcc
	global_store_short v[56:57], v165, off
	s_or_b64 exec, exec, s[46:47]
	v_cmp_lt_u32_e64 s[46:47], v15, v156
	s_and_saveexec_b64 s[48:49], s[46:47]
	s_cbranch_execnz .LBB1044_561
.LBB1044_510:                           ;   in Loop: Header=BB1044_422 Depth=2
	s_or_b64 exec, exec, s[48:49]
	v_cmp_lt_u32_e64 s[48:49], v17, v156
	s_and_saveexec_b64 s[50:51], s[48:49]
	s_cbranch_execz .LBB1044_562
.LBB1044_511:                           ;   in Loop: Header=BB1044_422 Depth=2
	ds_read_u16 v56, v76 offset:2048
	v_mov_b32_e32 v160, s81
	s_waitcnt lgkmcnt(0)
	v_lshrrev_b32_sdwa v57, s99, v56 dst_sel:DWORD dst_unused:UNUSED_PAD src0_sel:DWORD src1_sel:WORD_0
	v_and_b32_e32 v57, s6, v57
	v_lshlrev_b32_e32 v57, 2, v57
	ds_read_b32 v157, v57
	v_mov_b32_e32 v57, v4
	v_xor_b32_e32 v165, 0xffff8000, v56
	s_waitcnt lgkmcnt(0)
	v_add_u32_e32 v56, v157, v17
	v_lshlrev_b64 v[56:57], 1, v[56:57]
	v_add_co_u32_e32 v56, vcc, s80, v56
	v_addc_co_u32_e32 v57, vcc, v160, v57, vcc
	global_store_short v[56:57], v165, off
	s_or_b64 exec, exec, s[50:51]
	v_cmp_lt_u32_e64 s[50:51], v19, v156
	s_and_saveexec_b64 s[52:53], s[50:51]
	s_cbranch_execnz .LBB1044_563
.LBB1044_512:                           ;   in Loop: Header=BB1044_422 Depth=2
	s_or_b64 exec, exec, s[52:53]
	v_cmp_lt_u32_e64 s[52:53], v21, v156
	s_and_saveexec_b64 s[54:55], s[52:53]
	s_cbranch_execz .LBB1044_564
.LBB1044_513:                           ;   in Loop: Header=BB1044_422 Depth=2
	ds_read_u16 v56, v76 offset:3072
	v_mov_b32_e32 v160, s81
	s_waitcnt lgkmcnt(0)
	v_lshrrev_b32_sdwa v57, s99, v56 dst_sel:DWORD dst_unused:UNUSED_PAD src0_sel:DWORD src1_sel:WORD_0
	v_and_b32_e32 v57, s6, v57
	v_lshlrev_b32_e32 v57, 2, v57
	ds_read_b32 v157, v57
	v_mov_b32_e32 v57, v4
	v_xor_b32_e32 v165, 0xffff8000, v56
	s_waitcnt lgkmcnt(0)
	v_add_u32_e32 v56, v157, v21
	v_lshlrev_b64 v[56:57], 1, v[56:57]
	v_add_co_u32_e32 v56, vcc, s80, v56
	v_addc_co_u32_e32 v57, vcc, v160, v57, vcc
	global_store_short v[56:57], v165, off
	s_or_b64 exec, exec, s[54:55]
	v_cmp_lt_u32_e64 s[54:55], v23, v156
	s_and_saveexec_b64 s[56:57], s[54:55]
	s_cbranch_execnz .LBB1044_565
.LBB1044_514:                           ;   in Loop: Header=BB1044_422 Depth=2
	s_or_b64 exec, exec, s[56:57]
	v_cmp_lt_u32_e64 s[56:57], v6, v156
	s_and_saveexec_b64 s[58:59], s[56:57]
	s_cbranch_execz .LBB1044_566
.LBB1044_515:                           ;   in Loop: Header=BB1044_422 Depth=2
	ds_read_u16 v56, v76 offset:4096
	v_mov_b32_e32 v160, s81
	s_waitcnt lgkmcnt(0)
	v_lshrrev_b32_sdwa v57, s99, v56 dst_sel:DWORD dst_unused:UNUSED_PAD src0_sel:DWORD src1_sel:WORD_0
	v_and_b32_e32 v57, s6, v57
	v_lshlrev_b32_e32 v57, 2, v57
	ds_read_b32 v157, v57
	v_mov_b32_e32 v57, v4
	v_xor_b32_e32 v165, 0xffff8000, v56
	s_waitcnt lgkmcnt(0)
	v_add_u32_e32 v56, v157, v6
	v_lshlrev_b64 v[56:57], 1, v[56:57]
	v_add_co_u32_e32 v56, vcc, s80, v56
	v_addc_co_u32_e32 v57, vcc, v160, v57, vcc
	global_store_short v[56:57], v165, off
	s_or_b64 exec, exec, s[58:59]
	v_cmp_lt_u32_e64 s[58:59], v8, v156
	s_and_saveexec_b64 s[60:61], s[58:59]
	s_cbranch_execnz .LBB1044_567
.LBB1044_516:                           ;   in Loop: Header=BB1044_422 Depth=2
	s_or_b64 exec, exec, s[60:61]
	v_cmp_lt_u32_e64 s[60:61], v10, v156
	s_and_saveexec_b64 s[62:63], s[60:61]
	s_cbranch_execz .LBB1044_568
.LBB1044_517:                           ;   in Loop: Header=BB1044_422 Depth=2
	ds_read_u16 v56, v76 offset:5120
	v_mov_b32_e32 v160, s81
	s_waitcnt lgkmcnt(0)
	v_lshrrev_b32_sdwa v57, s99, v56 dst_sel:DWORD dst_unused:UNUSED_PAD src0_sel:DWORD src1_sel:WORD_0
	v_and_b32_e32 v57, s6, v57
	v_lshlrev_b32_e32 v57, 2, v57
	ds_read_b32 v157, v57
	v_mov_b32_e32 v57, v4
	v_xor_b32_e32 v165, 0xffff8000, v56
	s_waitcnt lgkmcnt(0)
	v_add_u32_e32 v56, v157, v10
	v_lshlrev_b64 v[56:57], 1, v[56:57]
	v_add_co_u32_e32 v56, vcc, s80, v56
	v_addc_co_u32_e32 v57, vcc, v160, v57, vcc
	global_store_short v[56:57], v165, off
	s_or_b64 exec, exec, s[62:63]
	v_cmp_lt_u32_e64 s[62:63], v12, v156
	s_and_saveexec_b64 s[64:65], s[62:63]
	s_cbranch_execnz .LBB1044_569
.LBB1044_518:                           ;   in Loop: Header=BB1044_422 Depth=2
	s_or_b64 exec, exec, s[64:65]
	v_cmp_lt_u32_e64 s[64:65], v14, v156
	s_and_saveexec_b64 s[66:67], s[64:65]
	s_cbranch_execz .LBB1044_570
.LBB1044_519:                           ;   in Loop: Header=BB1044_422 Depth=2
	ds_read_u16 v56, v76 offset:6144
	v_mov_b32_e32 v160, s81
	s_waitcnt lgkmcnt(0)
	v_lshrrev_b32_sdwa v57, s99, v56 dst_sel:DWORD dst_unused:UNUSED_PAD src0_sel:DWORD src1_sel:WORD_0
	v_and_b32_e32 v57, s6, v57
	v_lshlrev_b32_e32 v57, 2, v57
	ds_read_b32 v157, v57
	v_mov_b32_e32 v57, v4
	v_xor_b32_e32 v165, 0xffff8000, v56
	s_waitcnt lgkmcnt(0)
	v_add_u32_e32 v56, v157, v14
	v_lshlrev_b64 v[56:57], 1, v[56:57]
	v_add_co_u32_e32 v56, vcc, s80, v56
	v_addc_co_u32_e32 v57, vcc, v160, v57, vcc
	global_store_short v[56:57], v165, off
	s_or_b64 exec, exec, s[66:67]
	v_cmp_lt_u32_e64 s[66:67], v16, v156
	s_and_saveexec_b64 s[68:69], s[66:67]
	s_cbranch_execnz .LBB1044_571
.LBB1044_520:                           ;   in Loop: Header=BB1044_422 Depth=2
	s_or_b64 exec, exec, s[68:69]
	v_cmp_lt_u32_e64 s[68:69], v18, v156
	s_and_saveexec_b64 s[70:71], s[68:69]
	s_cbranch_execz .LBB1044_572
.LBB1044_521:                           ;   in Loop: Header=BB1044_422 Depth=2
	ds_read_u16 v56, v76 offset:7168
	v_mov_b32_e32 v160, s81
	s_waitcnt lgkmcnt(0)
	v_lshrrev_b32_sdwa v57, s99, v56 dst_sel:DWORD dst_unused:UNUSED_PAD src0_sel:DWORD src1_sel:WORD_0
	v_and_b32_e32 v57, s6, v57
	v_lshlrev_b32_e32 v57, 2, v57
	ds_read_b32 v157, v57
	v_mov_b32_e32 v57, v4
	v_xor_b32_e32 v165, 0xffff8000, v56
	s_waitcnt lgkmcnt(0)
	v_add_u32_e32 v56, v157, v18
	v_lshlrev_b64 v[56:57], 1, v[56:57]
	v_add_co_u32_e32 v56, vcc, s80, v56
	v_addc_co_u32_e32 v57, vcc, v160, v57, vcc
	global_store_short v[56:57], v165, off
	s_or_b64 exec, exec, s[70:71]
	v_cmp_lt_u32_e64 s[70:71], v20, v156
	s_and_saveexec_b64 s[72:73], s[70:71]
	s_cbranch_execnz .LBB1044_573
.LBB1044_522:                           ;   in Loop: Header=BB1044_422 Depth=2
	s_or_b64 exec, exec, s[72:73]
	v_cmp_lt_u32_e64 s[72:73], v22, v156
	s_and_saveexec_b64 s[82:83], s[72:73]
	s_cbranch_execz .LBB1044_524
.LBB1044_523:                           ;   in Loop: Header=BB1044_422 Depth=2
	ds_read_u16 v56, v76 offset:8192
	v_mov_b32_e32 v160, s81
	s_waitcnt lgkmcnt(0)
	v_lshrrev_b32_sdwa v57, s99, v56 dst_sel:DWORD dst_unused:UNUSED_PAD src0_sel:DWORD src1_sel:WORD_0
	v_and_b32_e32 v57, s6, v57
	v_lshlrev_b32_e32 v57, 2, v57
	ds_read_b32 v157, v57
	v_mov_b32_e32 v57, v4
	v_xor_b32_e32 v165, 0xffff8000, v56
	s_waitcnt lgkmcnt(0)
	v_add_u32_e32 v56, v157, v22
	v_lshlrev_b64 v[56:57], 1, v[56:57]
	v_add_co_u32_e32 v56, vcc, s80, v56
	v_addc_co_u32_e32 v57, vcc, v160, v57, vcc
	global_store_short v[56:57], v165, off
.LBB1044_524:                           ;   in Loop: Header=BB1044_422 Depth=2
	s_or_b64 exec, exec, s[82:83]
	s_lshl_b64 s[82:83], s[94:95], 3
	v_mov_b32_e32 v57, s83
	v_add_co_u32_e32 v56, vcc, s82, v130
	v_addc_co_u32_e32 v57, vcc, v131, v57, vcc
	v_cmp_lt_u32_e32 vcc, v111, v156
	s_and_saveexec_b64 s[82:83], vcc
	s_xor_b64 s[82:83], exec, s[82:83]
	s_cbranch_execz .LBB1044_574
; %bb.525:                              ;   in Loop: Header=BB1044_422 Depth=2
	global_load_dwordx2 v[54:55], v[56:57], off
	s_or_b64 exec, exec, s[82:83]
	v_cmp_lt_u32_e32 vcc, v112, v156
	s_and_saveexec_b64 s[82:83], vcc
	s_cbranch_execnz .LBB1044_575
.LBB1044_526:                           ;   in Loop: Header=BB1044_422 Depth=2
	s_or_b64 exec, exec, s[82:83]
	v_cmp_lt_u32_e32 vcc, v113, v156
	s_and_saveexec_b64 s[82:83], vcc
	s_cbranch_execz .LBB1044_576
.LBB1044_527:                           ;   in Loop: Header=BB1044_422 Depth=2
	global_load_dwordx2 v[50:51], v[56:57], off offset:1024
	s_or_b64 exec, exec, s[82:83]
	v_cmp_lt_u32_e32 vcc, v114, v156
	s_and_saveexec_b64 s[82:83], vcc
	s_cbranch_execnz .LBB1044_577
.LBB1044_528:                           ;   in Loop: Header=BB1044_422 Depth=2
	s_or_b64 exec, exec, s[82:83]
	v_cmp_lt_u32_e32 vcc, v115, v156
	s_and_saveexec_b64 s[82:83], vcc
	s_cbranch_execz .LBB1044_578
.LBB1044_529:                           ;   in Loop: Header=BB1044_422 Depth=2
	global_load_dwordx2 v[42:43], v[56:57], off offset:2048
	s_or_b64 exec, exec, s[82:83]
	v_cmp_lt_u32_e32 vcc, v116, v156
	s_and_saveexec_b64 s[82:83], vcc
	s_cbranch_execnz .LBB1044_579
.LBB1044_530:                           ;   in Loop: Header=BB1044_422 Depth=2
	s_or_b64 exec, exec, s[82:83]
	v_cmp_lt_u32_e32 vcc, v117, v156
	s_and_saveexec_b64 s[82:83], vcc
	s_cbranch_execz .LBB1044_580
.LBB1044_531:                           ;   in Loop: Header=BB1044_422 Depth=2
	global_load_dwordx2 v[34:35], v[56:57], off offset:3072
	s_or_b64 exec, exec, s[82:83]
	v_cmp_lt_u32_e32 vcc, v118, v156
	s_and_saveexec_b64 s[82:83], vcc
	s_cbranch_execnz .LBB1044_581
.LBB1044_532:                           ;   in Loop: Header=BB1044_422 Depth=2
	s_or_b64 exec, exec, s[82:83]
	v_cmp_lt_u32_e32 vcc, v119, v156
	s_and_saveexec_b64 s[82:83], vcc
	s_cbranch_execz .LBB1044_582
.LBB1044_533:                           ;   in Loop: Header=BB1044_422 Depth=2
	v_add_co_u32_e32 v48, vcc, 0x1000, v56
	v_addc_co_u32_e32 v49, vcc, 0, v57, vcc
	global_load_dwordx2 v[48:49], v[48:49], off
	s_or_b64 exec, exec, s[82:83]
	v_cmp_lt_u32_e32 vcc, v120, v156
	s_and_saveexec_b64 s[82:83], vcc
	s_cbranch_execnz .LBB1044_583
.LBB1044_534:                           ;   in Loop: Header=BB1044_422 Depth=2
	s_or_b64 exec, exec, s[82:83]
	v_cmp_lt_u32_e32 vcc, v121, v156
	s_and_saveexec_b64 s[82:83], vcc
	s_cbranch_execz .LBB1044_584
.LBB1044_535:                           ;   in Loop: Header=BB1044_422 Depth=2
	v_add_co_u32_e32 v40, vcc, 0x1000, v56
	v_addc_co_u32_e32 v41, vcc, 0, v57, vcc
	global_load_dwordx2 v[40:41], v[40:41], off offset:1024
	s_or_b64 exec, exec, s[82:83]
	v_cmp_lt_u32_e32 vcc, v122, v156
	s_and_saveexec_b64 s[82:83], vcc
	s_cbranch_execnz .LBB1044_585
.LBB1044_536:                           ;   in Loop: Header=BB1044_422 Depth=2
	s_or_b64 exec, exec, s[82:83]
	v_cmp_lt_u32_e32 vcc, v123, v156
	s_and_saveexec_b64 s[82:83], vcc
	s_cbranch_execz .LBB1044_586
.LBB1044_537:                           ;   in Loop: Header=BB1044_422 Depth=2
	v_add_co_u32_e32 v32, vcc, 0x1000, v56
	v_addc_co_u32_e32 v33, vcc, 0, v57, vcc
	global_load_dwordx2 v[32:33], v[32:33], off offset:2048
	s_or_b64 exec, exec, s[82:83]
	v_cmp_lt_u32_e32 vcc, v124, v156
	s_and_saveexec_b64 s[82:83], vcc
	s_cbranch_execnz .LBB1044_587
.LBB1044_538:                           ;   in Loop: Header=BB1044_422 Depth=2
	s_or_b64 exec, exec, s[82:83]
	v_cmp_lt_u32_e32 vcc, v125, v156
	s_and_saveexec_b64 s[82:83], vcc
	s_cbranch_execz .LBB1044_588
.LBB1044_539:                           ;   in Loop: Header=BB1044_422 Depth=2
	v_add_co_u32_e32 v26, vcc, 0x1000, v56
	v_addc_co_u32_e32 v27, vcc, 0, v57, vcc
	global_load_dwordx2 v[26:27], v[26:27], off offset:3072
	s_or_b64 exec, exec, s[82:83]
	v_cmp_lt_u32_e32 vcc, v126, v156
	s_and_saveexec_b64 s[82:83], vcc
	s_cbranch_execnz .LBB1044_589
.LBB1044_540:                           ;   in Loop: Header=BB1044_422 Depth=2
	s_or_b64 exec, exec, s[82:83]
	v_cmp_lt_u32_e32 vcc, v127, v156
	s_and_saveexec_b64 s[82:83], vcc
	s_cbranch_execz .LBB1044_590
.LBB1044_541:                           ;   in Loop: Header=BB1044_422 Depth=2
	v_add_co_u32_e32 v0, vcc, 0x2000, v56
	v_addc_co_u32_e32 v1, vcc, 0, v57, vcc
	global_load_dwordx2 v[0:1], v[0:1], off
	s_or_b64 exec, exec, s[82:83]
	s_and_saveexec_b64 s[82:83], s[40:41]
	s_cbranch_execnz .LBB1044_591
.LBB1044_542:                           ;   in Loop: Header=BB1044_422 Depth=2
	s_or_b64 exec, exec, s[82:83]
	s_and_saveexec_b64 s[82:83], s[42:43]
	s_cbranch_execz .LBB1044_592
.LBB1044_543:                           ;   in Loop: Header=BB1044_422 Depth=2
	ds_read_u16 v56, v76 offset:512
	s_waitcnt lgkmcnt(0)
	v_lshrrev_b32_e32 v56, s99, v56
	v_and_b32_e32 v150, s6, v56
	s_or_b64 exec, exec, s[82:83]
	s_and_saveexec_b64 s[82:83], s[44:45]
	s_cbranch_execnz .LBB1044_593
.LBB1044_544:                           ;   in Loop: Header=BB1044_422 Depth=2
	s_or_b64 exec, exec, s[82:83]
	s_and_saveexec_b64 s[82:83], s[46:47]
	s_cbranch_execz .LBB1044_594
.LBB1044_545:                           ;   in Loop: Header=BB1044_422 Depth=2
	ds_read_u16 v56, v76 offset:1536
	s_waitcnt lgkmcnt(0)
	v_lshrrev_b32_e32 v56, s99, v56
	v_and_b32_e32 v147, s6, v56
	s_or_b64 exec, exec, s[82:83]
	s_and_saveexec_b64 s[82:83], s[48:49]
	s_cbranch_execnz .LBB1044_595
.LBB1044_546:                           ;   in Loop: Header=BB1044_422 Depth=2
	s_or_b64 exec, exec, s[82:83]
	s_and_saveexec_b64 s[82:83], s[50:51]
	s_cbranch_execz .LBB1044_596
.LBB1044_547:                           ;   in Loop: Header=BB1044_422 Depth=2
	ds_read_u16 v56, v76 offset:2560
	s_waitcnt lgkmcnt(0)
	v_lshrrev_b32_e32 v56, s99, v56
	v_and_b32_e32 v145, s6, v56
	s_or_b64 exec, exec, s[82:83]
	s_and_saveexec_b64 s[82:83], s[52:53]
	s_cbranch_execnz .LBB1044_597
.LBB1044_548:                           ;   in Loop: Header=BB1044_422 Depth=2
	s_or_b64 exec, exec, s[82:83]
	s_and_saveexec_b64 s[82:83], s[54:55]
	s_cbranch_execz .LBB1044_598
.LBB1044_549:                           ;   in Loop: Header=BB1044_422 Depth=2
	ds_read_u16 v56, v76 offset:3584
	s_waitcnt lgkmcnt(0)
	v_lshrrev_b32_e32 v56, s99, v56
	v_and_b32_e32 v143, s6, v56
	s_or_b64 exec, exec, s[82:83]
	s_and_saveexec_b64 s[82:83], s[56:57]
	s_cbranch_execnz .LBB1044_599
.LBB1044_550:                           ;   in Loop: Header=BB1044_422 Depth=2
	s_or_b64 exec, exec, s[82:83]
	s_and_saveexec_b64 s[82:83], s[58:59]
	s_cbranch_execz .LBB1044_600
.LBB1044_551:                           ;   in Loop: Header=BB1044_422 Depth=2
	ds_read_u16 v56, v76 offset:4608
	s_waitcnt lgkmcnt(0)
	v_lshrrev_b32_e32 v56, s99, v56
	v_and_b32_e32 v141, s6, v56
	s_or_b64 exec, exec, s[82:83]
	s_and_saveexec_b64 s[82:83], s[60:61]
	s_cbranch_execnz .LBB1044_601
.LBB1044_552:                           ;   in Loop: Header=BB1044_422 Depth=2
	s_or_b64 exec, exec, s[82:83]
	s_and_saveexec_b64 s[82:83], s[62:63]
	s_cbranch_execz .LBB1044_602
.LBB1044_553:                           ;   in Loop: Header=BB1044_422 Depth=2
	ds_read_u16 v56, v76 offset:5632
	s_waitcnt lgkmcnt(0)
	v_lshrrev_b32_e32 v56, s99, v56
	v_and_b32_e32 v139, s6, v56
	s_or_b64 exec, exec, s[82:83]
	s_and_saveexec_b64 s[82:83], s[64:65]
	s_cbranch_execnz .LBB1044_603
.LBB1044_554:                           ;   in Loop: Header=BB1044_422 Depth=2
	s_or_b64 exec, exec, s[82:83]
	s_and_saveexec_b64 s[82:83], s[66:67]
	s_cbranch_execz .LBB1044_604
.LBB1044_555:                           ;   in Loop: Header=BB1044_422 Depth=2
	ds_read_u16 v56, v76 offset:6656
	s_waitcnt lgkmcnt(0)
	v_lshrrev_b32_e32 v56, s99, v56
	v_and_b32_e32 v137, s6, v56
	s_or_b64 exec, exec, s[82:83]
	s_and_saveexec_b64 s[82:83], s[68:69]
	s_cbranch_execnz .LBB1044_605
.LBB1044_556:                           ;   in Loop: Header=BB1044_422 Depth=2
	s_or_b64 exec, exec, s[82:83]
	s_and_saveexec_b64 s[82:83], s[70:71]
	s_cbranch_execz .LBB1044_606
.LBB1044_557:                           ;   in Loop: Header=BB1044_422 Depth=2
	ds_read_u16 v56, v76 offset:7680
	s_waitcnt lgkmcnt(0)
	v_lshrrev_b32_e32 v56, s99, v56
	v_and_b32_e32 v135, s6, v56
	s_or_b64 exec, exec, s[82:83]
	s_and_saveexec_b64 s[82:83], s[72:73]
	s_cbranch_execnz .LBB1044_607
	s_branch .LBB1044_608
.LBB1044_558:                           ;   in Loop: Header=BB1044_422 Depth=2
	s_or_b64 exec, exec, s[42:43]
	v_cmp_lt_u32_e64 s[42:43], v7, v156
	s_and_saveexec_b64 s[44:45], s[42:43]
	s_cbranch_execz .LBB1044_508
.LBB1044_559:                           ;   in Loop: Header=BB1044_422 Depth=2
	ds_read_u16 v56, v76 offset:512
	v_mov_b32_e32 v160, s81
	s_waitcnt lgkmcnt(0)
	v_lshrrev_b32_sdwa v57, s99, v56 dst_sel:DWORD dst_unused:UNUSED_PAD src0_sel:DWORD src1_sel:WORD_0
	v_and_b32_e32 v57, s6, v57
	v_lshlrev_b32_e32 v57, 2, v57
	ds_read_b32 v157, v57
	v_mov_b32_e32 v57, v4
	v_xor_b32_e32 v165, 0xffff8000, v56
	s_waitcnt lgkmcnt(0)
	v_add_u32_e32 v56, v157, v7
	v_lshlrev_b64 v[56:57], 1, v[56:57]
	v_add_co_u32_e32 v56, vcc, s80, v56
	v_addc_co_u32_e32 v57, vcc, v160, v57, vcc
	global_store_short v[56:57], v165, off
	s_or_b64 exec, exec, s[44:45]
	v_cmp_lt_u32_e64 s[44:45], v13, v156
	s_and_saveexec_b64 s[46:47], s[44:45]
	s_cbranch_execnz .LBB1044_509
.LBB1044_560:                           ;   in Loop: Header=BB1044_422 Depth=2
	s_or_b64 exec, exec, s[46:47]
	v_cmp_lt_u32_e64 s[46:47], v15, v156
	s_and_saveexec_b64 s[48:49], s[46:47]
	s_cbranch_execz .LBB1044_510
.LBB1044_561:                           ;   in Loop: Header=BB1044_422 Depth=2
	ds_read_u16 v56, v76 offset:1536
	v_mov_b32_e32 v160, s81
	s_waitcnt lgkmcnt(0)
	v_lshrrev_b32_sdwa v57, s99, v56 dst_sel:DWORD dst_unused:UNUSED_PAD src0_sel:DWORD src1_sel:WORD_0
	v_and_b32_e32 v57, s6, v57
	v_lshlrev_b32_e32 v57, 2, v57
	ds_read_b32 v157, v57
	v_mov_b32_e32 v57, v4
	v_xor_b32_e32 v165, 0xffff8000, v56
	s_waitcnt lgkmcnt(0)
	v_add_u32_e32 v56, v157, v15
	v_lshlrev_b64 v[56:57], 1, v[56:57]
	v_add_co_u32_e32 v56, vcc, s80, v56
	v_addc_co_u32_e32 v57, vcc, v160, v57, vcc
	global_store_short v[56:57], v165, off
	s_or_b64 exec, exec, s[48:49]
	v_cmp_lt_u32_e64 s[48:49], v17, v156
	s_and_saveexec_b64 s[50:51], s[48:49]
	s_cbranch_execnz .LBB1044_511
.LBB1044_562:                           ;   in Loop: Header=BB1044_422 Depth=2
	s_or_b64 exec, exec, s[50:51]
	v_cmp_lt_u32_e64 s[50:51], v19, v156
	s_and_saveexec_b64 s[52:53], s[50:51]
	s_cbranch_execz .LBB1044_512
.LBB1044_563:                           ;   in Loop: Header=BB1044_422 Depth=2
	ds_read_u16 v56, v76 offset:2560
	v_mov_b32_e32 v160, s81
	s_waitcnt lgkmcnt(0)
	v_lshrrev_b32_sdwa v57, s99, v56 dst_sel:DWORD dst_unused:UNUSED_PAD src0_sel:DWORD src1_sel:WORD_0
	v_and_b32_e32 v57, s6, v57
	v_lshlrev_b32_e32 v57, 2, v57
	ds_read_b32 v157, v57
	v_mov_b32_e32 v57, v4
	v_xor_b32_e32 v165, 0xffff8000, v56
	s_waitcnt lgkmcnt(0)
	v_add_u32_e32 v56, v157, v19
	v_lshlrev_b64 v[56:57], 1, v[56:57]
	v_add_co_u32_e32 v56, vcc, s80, v56
	v_addc_co_u32_e32 v57, vcc, v160, v57, vcc
	global_store_short v[56:57], v165, off
	s_or_b64 exec, exec, s[52:53]
	v_cmp_lt_u32_e64 s[52:53], v21, v156
	s_and_saveexec_b64 s[54:55], s[52:53]
	s_cbranch_execnz .LBB1044_513
.LBB1044_564:                           ;   in Loop: Header=BB1044_422 Depth=2
	s_or_b64 exec, exec, s[54:55]
	v_cmp_lt_u32_e64 s[54:55], v23, v156
	s_and_saveexec_b64 s[56:57], s[54:55]
	s_cbranch_execz .LBB1044_514
.LBB1044_565:                           ;   in Loop: Header=BB1044_422 Depth=2
	ds_read_u16 v56, v76 offset:3584
	v_mov_b32_e32 v160, s81
	s_waitcnt lgkmcnt(0)
	v_lshrrev_b32_sdwa v57, s99, v56 dst_sel:DWORD dst_unused:UNUSED_PAD src0_sel:DWORD src1_sel:WORD_0
	v_and_b32_e32 v57, s6, v57
	v_lshlrev_b32_e32 v57, 2, v57
	ds_read_b32 v157, v57
	v_mov_b32_e32 v57, v4
	v_xor_b32_e32 v165, 0xffff8000, v56
	s_waitcnt lgkmcnt(0)
	v_add_u32_e32 v56, v157, v23
	v_lshlrev_b64 v[56:57], 1, v[56:57]
	v_add_co_u32_e32 v56, vcc, s80, v56
	v_addc_co_u32_e32 v57, vcc, v160, v57, vcc
	global_store_short v[56:57], v165, off
	s_or_b64 exec, exec, s[56:57]
	v_cmp_lt_u32_e64 s[56:57], v6, v156
	s_and_saveexec_b64 s[58:59], s[56:57]
	s_cbranch_execnz .LBB1044_515
.LBB1044_566:                           ;   in Loop: Header=BB1044_422 Depth=2
	s_or_b64 exec, exec, s[58:59]
	v_cmp_lt_u32_e64 s[58:59], v8, v156
	s_and_saveexec_b64 s[60:61], s[58:59]
	s_cbranch_execz .LBB1044_516
.LBB1044_567:                           ;   in Loop: Header=BB1044_422 Depth=2
	ds_read_u16 v56, v76 offset:4608
	v_mov_b32_e32 v160, s81
	s_waitcnt lgkmcnt(0)
	v_lshrrev_b32_sdwa v57, s99, v56 dst_sel:DWORD dst_unused:UNUSED_PAD src0_sel:DWORD src1_sel:WORD_0
	v_and_b32_e32 v57, s6, v57
	v_lshlrev_b32_e32 v57, 2, v57
	ds_read_b32 v157, v57
	v_mov_b32_e32 v57, v4
	v_xor_b32_e32 v165, 0xffff8000, v56
	s_waitcnt lgkmcnt(0)
	v_add_u32_e32 v56, v157, v8
	v_lshlrev_b64 v[56:57], 1, v[56:57]
	v_add_co_u32_e32 v56, vcc, s80, v56
	v_addc_co_u32_e32 v57, vcc, v160, v57, vcc
	global_store_short v[56:57], v165, off
	s_or_b64 exec, exec, s[60:61]
	v_cmp_lt_u32_e64 s[60:61], v10, v156
	s_and_saveexec_b64 s[62:63], s[60:61]
	s_cbranch_execnz .LBB1044_517
.LBB1044_568:                           ;   in Loop: Header=BB1044_422 Depth=2
	s_or_b64 exec, exec, s[62:63]
	v_cmp_lt_u32_e64 s[62:63], v12, v156
	s_and_saveexec_b64 s[64:65], s[62:63]
	s_cbranch_execz .LBB1044_518
.LBB1044_569:                           ;   in Loop: Header=BB1044_422 Depth=2
	ds_read_u16 v56, v76 offset:5632
	v_mov_b32_e32 v160, s81
	s_waitcnt lgkmcnt(0)
	v_lshrrev_b32_sdwa v57, s99, v56 dst_sel:DWORD dst_unused:UNUSED_PAD src0_sel:DWORD src1_sel:WORD_0
	v_and_b32_e32 v57, s6, v57
	v_lshlrev_b32_e32 v57, 2, v57
	ds_read_b32 v157, v57
	v_mov_b32_e32 v57, v4
	v_xor_b32_e32 v165, 0xffff8000, v56
	s_waitcnt lgkmcnt(0)
	v_add_u32_e32 v56, v157, v12
	v_lshlrev_b64 v[56:57], 1, v[56:57]
	v_add_co_u32_e32 v56, vcc, s80, v56
	v_addc_co_u32_e32 v57, vcc, v160, v57, vcc
	global_store_short v[56:57], v165, off
	s_or_b64 exec, exec, s[64:65]
	v_cmp_lt_u32_e64 s[64:65], v14, v156
	s_and_saveexec_b64 s[66:67], s[64:65]
	s_cbranch_execnz .LBB1044_519
.LBB1044_570:                           ;   in Loop: Header=BB1044_422 Depth=2
	s_or_b64 exec, exec, s[66:67]
	v_cmp_lt_u32_e64 s[66:67], v16, v156
	s_and_saveexec_b64 s[68:69], s[66:67]
	s_cbranch_execz .LBB1044_520
.LBB1044_571:                           ;   in Loop: Header=BB1044_422 Depth=2
	ds_read_u16 v56, v76 offset:6656
	v_mov_b32_e32 v160, s81
	s_waitcnt lgkmcnt(0)
	v_lshrrev_b32_sdwa v57, s99, v56 dst_sel:DWORD dst_unused:UNUSED_PAD src0_sel:DWORD src1_sel:WORD_0
	v_and_b32_e32 v57, s6, v57
	v_lshlrev_b32_e32 v57, 2, v57
	ds_read_b32 v157, v57
	v_mov_b32_e32 v57, v4
	v_xor_b32_e32 v165, 0xffff8000, v56
	s_waitcnt lgkmcnt(0)
	v_add_u32_e32 v56, v157, v16
	v_lshlrev_b64 v[56:57], 1, v[56:57]
	v_add_co_u32_e32 v56, vcc, s80, v56
	v_addc_co_u32_e32 v57, vcc, v160, v57, vcc
	global_store_short v[56:57], v165, off
	s_or_b64 exec, exec, s[68:69]
	v_cmp_lt_u32_e64 s[68:69], v18, v156
	s_and_saveexec_b64 s[70:71], s[68:69]
	s_cbranch_execnz .LBB1044_521
.LBB1044_572:                           ;   in Loop: Header=BB1044_422 Depth=2
	s_or_b64 exec, exec, s[70:71]
	v_cmp_lt_u32_e64 s[70:71], v20, v156
	s_and_saveexec_b64 s[72:73], s[70:71]
	s_cbranch_execz .LBB1044_522
.LBB1044_573:                           ;   in Loop: Header=BB1044_422 Depth=2
	ds_read_u16 v56, v76 offset:7680
	v_mov_b32_e32 v160, s81
	s_waitcnt lgkmcnt(0)
	v_lshrrev_b32_sdwa v57, s99, v56 dst_sel:DWORD dst_unused:UNUSED_PAD src0_sel:DWORD src1_sel:WORD_0
	v_and_b32_e32 v57, s6, v57
	v_lshlrev_b32_e32 v57, 2, v57
	ds_read_b32 v157, v57
	v_mov_b32_e32 v57, v4
	v_xor_b32_e32 v165, 0xffff8000, v56
	s_waitcnt lgkmcnt(0)
	v_add_u32_e32 v56, v157, v20
	v_lshlrev_b64 v[56:57], 1, v[56:57]
	v_add_co_u32_e32 v56, vcc, s80, v56
	v_addc_co_u32_e32 v57, vcc, v160, v57, vcc
	global_store_short v[56:57], v165, off
	s_or_b64 exec, exec, s[72:73]
	v_cmp_lt_u32_e64 s[72:73], v22, v156
	s_and_saveexec_b64 s[82:83], s[72:73]
	s_cbranch_execnz .LBB1044_523
	s_branch .LBB1044_524
.LBB1044_574:                           ;   in Loop: Header=BB1044_422 Depth=2
	s_or_b64 exec, exec, s[82:83]
	v_cmp_lt_u32_e32 vcc, v112, v156
	s_and_saveexec_b64 s[82:83], vcc
	s_cbranch_execz .LBB1044_526
.LBB1044_575:                           ;   in Loop: Header=BB1044_422 Depth=2
	global_load_dwordx2 v[52:53], v[56:57], off offset:512
	s_or_b64 exec, exec, s[82:83]
	v_cmp_lt_u32_e32 vcc, v113, v156
	s_and_saveexec_b64 s[82:83], vcc
	s_cbranch_execnz .LBB1044_527
.LBB1044_576:                           ;   in Loop: Header=BB1044_422 Depth=2
	s_or_b64 exec, exec, s[82:83]
	v_cmp_lt_u32_e32 vcc, v114, v156
	s_and_saveexec_b64 s[82:83], vcc
	s_cbranch_execz .LBB1044_528
.LBB1044_577:                           ;   in Loop: Header=BB1044_422 Depth=2
	global_load_dwordx2 v[46:47], v[56:57], off offset:1536
	s_or_b64 exec, exec, s[82:83]
	v_cmp_lt_u32_e32 vcc, v115, v156
	s_and_saveexec_b64 s[82:83], vcc
	s_cbranch_execnz .LBB1044_529
.LBB1044_578:                           ;   in Loop: Header=BB1044_422 Depth=2
	s_or_b64 exec, exec, s[82:83]
	v_cmp_lt_u32_e32 vcc, v116, v156
	s_and_saveexec_b64 s[82:83], vcc
	s_cbranch_execz .LBB1044_530
.LBB1044_579:                           ;   in Loop: Header=BB1044_422 Depth=2
	global_load_dwordx2 v[38:39], v[56:57], off offset:2560
	s_or_b64 exec, exec, s[82:83]
	v_cmp_lt_u32_e32 vcc, v117, v156
	s_and_saveexec_b64 s[82:83], vcc
	s_cbranch_execnz .LBB1044_531
.LBB1044_580:                           ;   in Loop: Header=BB1044_422 Depth=2
	s_or_b64 exec, exec, s[82:83]
	v_cmp_lt_u32_e32 vcc, v118, v156
	s_and_saveexec_b64 s[82:83], vcc
	s_cbranch_execz .LBB1044_532
.LBB1044_581:                           ;   in Loop: Header=BB1044_422 Depth=2
	global_load_dwordx2 v[30:31], v[56:57], off offset:3584
	s_or_b64 exec, exec, s[82:83]
	v_cmp_lt_u32_e32 vcc, v119, v156
	s_and_saveexec_b64 s[82:83], vcc
	s_cbranch_execnz .LBB1044_533
.LBB1044_582:                           ;   in Loop: Header=BB1044_422 Depth=2
	s_or_b64 exec, exec, s[82:83]
	v_cmp_lt_u32_e32 vcc, v120, v156
	s_and_saveexec_b64 s[82:83], vcc
	s_cbranch_execz .LBB1044_534
.LBB1044_583:                           ;   in Loop: Header=BB1044_422 Depth=2
	v_add_co_u32_e32 v44, vcc, 0x1000, v56
	v_addc_co_u32_e32 v45, vcc, 0, v57, vcc
	global_load_dwordx2 v[44:45], v[44:45], off offset:512
	s_or_b64 exec, exec, s[82:83]
	v_cmp_lt_u32_e32 vcc, v121, v156
	s_and_saveexec_b64 s[82:83], vcc
	s_cbranch_execnz .LBB1044_535
.LBB1044_584:                           ;   in Loop: Header=BB1044_422 Depth=2
	s_or_b64 exec, exec, s[82:83]
	v_cmp_lt_u32_e32 vcc, v122, v156
	s_and_saveexec_b64 s[82:83], vcc
	s_cbranch_execz .LBB1044_536
.LBB1044_585:                           ;   in Loop: Header=BB1044_422 Depth=2
	v_add_co_u32_e32 v36, vcc, 0x1000, v56
	v_addc_co_u32_e32 v37, vcc, 0, v57, vcc
	global_load_dwordx2 v[36:37], v[36:37], off offset:1536
	s_or_b64 exec, exec, s[82:83]
	v_cmp_lt_u32_e32 vcc, v123, v156
	s_and_saveexec_b64 s[82:83], vcc
	s_cbranch_execnz .LBB1044_537
.LBB1044_586:                           ;   in Loop: Header=BB1044_422 Depth=2
	s_or_b64 exec, exec, s[82:83]
	v_cmp_lt_u32_e32 vcc, v124, v156
	s_and_saveexec_b64 s[82:83], vcc
	s_cbranch_execz .LBB1044_538
.LBB1044_587:                           ;   in Loop: Header=BB1044_422 Depth=2
	v_add_co_u32_e32 v28, vcc, 0x1000, v56
	v_addc_co_u32_e32 v29, vcc, 0, v57, vcc
	global_load_dwordx2 v[28:29], v[28:29], off offset:2560
	s_or_b64 exec, exec, s[82:83]
	v_cmp_lt_u32_e32 vcc, v125, v156
	s_and_saveexec_b64 s[82:83], vcc
	s_cbranch_execnz .LBB1044_539
.LBB1044_588:                           ;   in Loop: Header=BB1044_422 Depth=2
	s_or_b64 exec, exec, s[82:83]
	v_cmp_lt_u32_e32 vcc, v126, v156
	s_and_saveexec_b64 s[82:83], vcc
	s_cbranch_execz .LBB1044_540
.LBB1044_589:                           ;   in Loop: Header=BB1044_422 Depth=2
	v_add_co_u32_e32 v24, vcc, 0x1000, v56
	v_addc_co_u32_e32 v25, vcc, 0, v57, vcc
	global_load_dwordx2 v[24:25], v[24:25], off offset:3584
	s_or_b64 exec, exec, s[82:83]
	v_cmp_lt_u32_e32 vcc, v127, v156
	s_and_saveexec_b64 s[82:83], vcc
	s_cbranch_execnz .LBB1044_541
.LBB1044_590:                           ;   in Loop: Header=BB1044_422 Depth=2
	s_or_b64 exec, exec, s[82:83]
	s_and_saveexec_b64 s[82:83], s[40:41]
	s_cbranch_execz .LBB1044_542
.LBB1044_591:                           ;   in Loop: Header=BB1044_422 Depth=2
	v_add_u32_e32 v56, v70, v75
	ds_read_u16 v56, v56 offset:512
	s_waitcnt lgkmcnt(0)
	v_lshrrev_b32_e32 v56, s99, v56
	v_and_b32_e32 v152, s6, v56
	s_or_b64 exec, exec, s[82:83]
	s_and_saveexec_b64 s[82:83], s[42:43]
	s_cbranch_execnz .LBB1044_543
.LBB1044_592:                           ;   in Loop: Header=BB1044_422 Depth=2
	s_or_b64 exec, exec, s[82:83]
	s_and_saveexec_b64 s[82:83], s[44:45]
	s_cbranch_execz .LBB1044_544
.LBB1044_593:                           ;   in Loop: Header=BB1044_422 Depth=2
	ds_read_u16 v56, v76 offset:1024
	s_waitcnt lgkmcnt(0)
	v_lshrrev_b32_e32 v56, s99, v56
	v_and_b32_e32 v149, s6, v56
	s_or_b64 exec, exec, s[82:83]
	s_and_saveexec_b64 s[82:83], s[46:47]
	s_cbranch_execnz .LBB1044_545
.LBB1044_594:                           ;   in Loop: Header=BB1044_422 Depth=2
	s_or_b64 exec, exec, s[82:83]
	s_and_saveexec_b64 s[82:83], s[48:49]
	s_cbranch_execz .LBB1044_546
.LBB1044_595:                           ;   in Loop: Header=BB1044_422 Depth=2
	ds_read_u16 v56, v76 offset:2048
	s_waitcnt lgkmcnt(0)
	v_lshrrev_b32_e32 v56, s99, v56
	v_and_b32_e32 v146, s6, v56
	s_or_b64 exec, exec, s[82:83]
	s_and_saveexec_b64 s[82:83], s[50:51]
	s_cbranch_execnz .LBB1044_547
.LBB1044_596:                           ;   in Loop: Header=BB1044_422 Depth=2
	s_or_b64 exec, exec, s[82:83]
	s_and_saveexec_b64 s[82:83], s[52:53]
	s_cbranch_execz .LBB1044_548
.LBB1044_597:                           ;   in Loop: Header=BB1044_422 Depth=2
	ds_read_u16 v56, v76 offset:3072
	s_waitcnt lgkmcnt(0)
	v_lshrrev_b32_e32 v56, s99, v56
	v_and_b32_e32 v144, s6, v56
	s_or_b64 exec, exec, s[82:83]
	s_and_saveexec_b64 s[82:83], s[54:55]
	s_cbranch_execnz .LBB1044_549
.LBB1044_598:                           ;   in Loop: Header=BB1044_422 Depth=2
	s_or_b64 exec, exec, s[82:83]
	s_and_saveexec_b64 s[82:83], s[56:57]
	s_cbranch_execz .LBB1044_550
.LBB1044_599:                           ;   in Loop: Header=BB1044_422 Depth=2
	ds_read_u16 v56, v76 offset:4096
	s_waitcnt lgkmcnt(0)
	v_lshrrev_b32_e32 v56, s99, v56
	v_and_b32_e32 v142, s6, v56
	s_or_b64 exec, exec, s[82:83]
	s_and_saveexec_b64 s[82:83], s[58:59]
	s_cbranch_execnz .LBB1044_551
.LBB1044_600:                           ;   in Loop: Header=BB1044_422 Depth=2
	s_or_b64 exec, exec, s[82:83]
	s_and_saveexec_b64 s[82:83], s[60:61]
	s_cbranch_execz .LBB1044_552
.LBB1044_601:                           ;   in Loop: Header=BB1044_422 Depth=2
	ds_read_u16 v56, v76 offset:5120
	s_waitcnt lgkmcnt(0)
	v_lshrrev_b32_e32 v56, s99, v56
	v_and_b32_e32 v140, s6, v56
	s_or_b64 exec, exec, s[82:83]
	s_and_saveexec_b64 s[82:83], s[62:63]
	s_cbranch_execnz .LBB1044_553
.LBB1044_602:                           ;   in Loop: Header=BB1044_422 Depth=2
	s_or_b64 exec, exec, s[82:83]
	s_and_saveexec_b64 s[82:83], s[64:65]
	s_cbranch_execz .LBB1044_554
.LBB1044_603:                           ;   in Loop: Header=BB1044_422 Depth=2
	ds_read_u16 v56, v76 offset:6144
	s_waitcnt lgkmcnt(0)
	v_lshrrev_b32_e32 v56, s99, v56
	v_and_b32_e32 v138, s6, v56
	s_or_b64 exec, exec, s[82:83]
	s_and_saveexec_b64 s[82:83], s[66:67]
	s_cbranch_execnz .LBB1044_555
.LBB1044_604:                           ;   in Loop: Header=BB1044_422 Depth=2
	s_or_b64 exec, exec, s[82:83]
	s_and_saveexec_b64 s[82:83], s[68:69]
	s_cbranch_execz .LBB1044_556
.LBB1044_605:                           ;   in Loop: Header=BB1044_422 Depth=2
	ds_read_u16 v56, v76 offset:7168
	s_waitcnt lgkmcnt(0)
	v_lshrrev_b32_e32 v56, s99, v56
	v_and_b32_e32 v136, s6, v56
	s_or_b64 exec, exec, s[82:83]
	s_and_saveexec_b64 s[82:83], s[70:71]
	s_cbranch_execnz .LBB1044_557
.LBB1044_606:                           ;   in Loop: Header=BB1044_422 Depth=2
	s_or_b64 exec, exec, s[82:83]
	s_and_saveexec_b64 s[82:83], s[72:73]
	s_cbranch_execz .LBB1044_608
.LBB1044_607:                           ;   in Loop: Header=BB1044_422 Depth=2
	ds_read_u16 v56, v76 offset:8192
	s_waitcnt lgkmcnt(0)
	v_lshrrev_b32_e32 v56, s99, v56
	v_and_b32_e32 v134, s6, v56
.LBB1044_608:                           ;   in Loop: Header=BB1044_422 Depth=2
	s_or_b64 exec, exec, s[82:83]
	v_lshlrev_b32_e32 v56, 3, v179
	s_barrier
	s_waitcnt vmcnt(0)
	ds_write_b64 v56, v[54:55] offset:512
	v_lshlrev_b32_e32 v56, 3, v175
	ds_write_b64 v56, v[52:53] offset:512
	v_lshlrev_b32_e32 v56, 3, v174
	;; [unrolled: 2-line block ×15, first 2 shown]
	v_lshlrev_b32_e32 v5, 3, v5
	ds_write_b64 v56, v[24:25] offset:512
	ds_write_b64 v5, v[0:1] offset:512
	s_waitcnt lgkmcnt(0)
	s_barrier
	s_and_saveexec_b64 s[82:83], s[40:41]
	s_cbranch_execz .LBB1044_628
; %bb.609:                              ;   in Loop: Header=BB1044_422 Depth=2
	v_lshlrev_b32_e32 v5, 2, v152
	ds_read_b32 v5, v5
	ds_read_b64 v[56:57], v68 offset:512
	v_mov_b32_e32 v157, v4
	v_mov_b32_e32 v158, s87
	s_waitcnt lgkmcnt(1)
	v_add_u32_e32 v156, v5, v2
	v_lshlrev_b64 v[156:157], 3, v[156:157]
	v_add_co_u32_e32 v156, vcc, s86, v156
	v_addc_co_u32_e32 v157, vcc, v158, v157, vcc
	s_waitcnt lgkmcnt(0)
	global_store_dwordx2 v[156:157], v[56:57], off
	s_or_b64 exec, exec, s[82:83]
	s_and_saveexec_b64 s[40:41], s[42:43]
	s_cbranch_execnz .LBB1044_629
.LBB1044_610:                           ;   in Loop: Header=BB1044_422 Depth=2
	s_or_b64 exec, exec, s[40:41]
	s_and_saveexec_b64 s[40:41], s[44:45]
	s_cbranch_execz .LBB1044_630
.LBB1044_611:                           ;   in Loop: Header=BB1044_422 Depth=2
	v_lshlrev_b32_e32 v5, 2, v149
	ds_read_b32 v5, v5
	v_add_u32_e32 v56, v76, v77
	ds_read_b64 v[56:57], v56 offset:4096
	v_mov_b32_e32 v157, v4
	v_mov_b32_e32 v158, s87
	s_waitcnt lgkmcnt(1)
	v_add_u32_e32 v156, v5, v13
	v_lshlrev_b64 v[156:157], 3, v[156:157]
	v_add_co_u32_e32 v156, vcc, s86, v156
	v_addc_co_u32_e32 v157, vcc, v158, v157, vcc
	s_waitcnt lgkmcnt(0)
	global_store_dwordx2 v[156:157], v[56:57], off
	s_or_b64 exec, exec, s[40:41]
	s_and_saveexec_b64 s[40:41], s[46:47]
	s_cbranch_execnz .LBB1044_631
.LBB1044_612:                           ;   in Loop: Header=BB1044_422 Depth=2
	s_or_b64 exec, exec, s[40:41]
	s_and_saveexec_b64 s[40:41], s[48:49]
	s_cbranch_execz .LBB1044_632
.LBB1044_613:                           ;   in Loop: Header=BB1044_422 Depth=2
	v_lshlrev_b32_e32 v5, 2, v146
	ds_read_b32 v5, v5
	v_add_u32_e32 v56, v76, v77
	ds_read_b64 v[56:57], v56 offset:8192
	v_mov_b32_e32 v157, v4
	v_mov_b32_e32 v158, s87
	s_waitcnt lgkmcnt(1)
	v_add_u32_e32 v156, v5, v17
	v_lshlrev_b64 v[156:157], 3, v[156:157]
	v_add_co_u32_e32 v156, vcc, s86, v156
	v_addc_co_u32_e32 v157, vcc, v158, v157, vcc
	s_waitcnt lgkmcnt(0)
	global_store_dwordx2 v[156:157], v[56:57], off
	s_or_b64 exec, exec, s[40:41]
	s_and_saveexec_b64 s[40:41], s[50:51]
	s_cbranch_execnz .LBB1044_633
.LBB1044_614:                           ;   in Loop: Header=BB1044_422 Depth=2
	s_or_b64 exec, exec, s[40:41]
	s_and_saveexec_b64 s[40:41], s[52:53]
	s_cbranch_execz .LBB1044_634
.LBB1044_615:                           ;   in Loop: Header=BB1044_422 Depth=2
	v_lshlrev_b32_e32 v5, 2, v144
	ds_read_b32 v5, v5
	v_add_u32_e32 v56, v76, v77
	ds_read_b64 v[56:57], v56 offset:12288
	v_mov_b32_e32 v157, v4
	v_mov_b32_e32 v158, s87
	s_waitcnt lgkmcnt(1)
	v_add_u32_e32 v156, v5, v21
	v_lshlrev_b64 v[156:157], 3, v[156:157]
	v_add_co_u32_e32 v156, vcc, s86, v156
	v_addc_co_u32_e32 v157, vcc, v158, v157, vcc
	s_waitcnt lgkmcnt(0)
	global_store_dwordx2 v[156:157], v[56:57], off
	s_or_b64 exec, exec, s[40:41]
	s_and_saveexec_b64 s[40:41], s[54:55]
	s_cbranch_execnz .LBB1044_635
.LBB1044_616:                           ;   in Loop: Header=BB1044_422 Depth=2
	s_or_b64 exec, exec, s[40:41]
	s_and_saveexec_b64 s[40:41], s[56:57]
	s_cbranch_execz .LBB1044_636
.LBB1044_617:                           ;   in Loop: Header=BB1044_422 Depth=2
	v_lshlrev_b32_e32 v5, 2, v142
	ds_read_b32 v5, v5
	v_add_u32_e32 v56, v76, v77
	ds_read_b64 v[56:57], v56 offset:16384
	v_mov_b32_e32 v157, v4
	v_mov_b32_e32 v158, s87
	s_waitcnt lgkmcnt(1)
	v_add_u32_e32 v156, v5, v6
	v_lshlrev_b64 v[156:157], 3, v[156:157]
	v_add_co_u32_e32 v156, vcc, s86, v156
	v_addc_co_u32_e32 v157, vcc, v158, v157, vcc
	s_waitcnt lgkmcnt(0)
	global_store_dwordx2 v[156:157], v[56:57], off
	s_or_b64 exec, exec, s[40:41]
	s_and_saveexec_b64 s[40:41], s[58:59]
	s_cbranch_execnz .LBB1044_637
.LBB1044_618:                           ;   in Loop: Header=BB1044_422 Depth=2
	s_or_b64 exec, exec, s[40:41]
	s_and_saveexec_b64 s[40:41], s[60:61]
	s_cbranch_execz .LBB1044_638
.LBB1044_619:                           ;   in Loop: Header=BB1044_422 Depth=2
	v_lshlrev_b32_e32 v5, 2, v140
	ds_read_b32 v5, v5
	v_add_u32_e32 v56, v76, v77
	ds_read_b64 v[56:57], v56 offset:20480
	v_mov_b32_e32 v157, v4
	v_mov_b32_e32 v158, s87
	s_waitcnt lgkmcnt(1)
	v_add_u32_e32 v156, v5, v10
	v_lshlrev_b64 v[156:157], 3, v[156:157]
	v_add_co_u32_e32 v156, vcc, s86, v156
	v_addc_co_u32_e32 v157, vcc, v158, v157, vcc
	s_waitcnt lgkmcnt(0)
	global_store_dwordx2 v[156:157], v[56:57], off
	s_or_b64 exec, exec, s[40:41]
	s_and_saveexec_b64 s[40:41], s[62:63]
	s_cbranch_execnz .LBB1044_639
.LBB1044_620:                           ;   in Loop: Header=BB1044_422 Depth=2
	s_or_b64 exec, exec, s[40:41]
	s_and_saveexec_b64 s[40:41], s[64:65]
	s_cbranch_execz .LBB1044_640
.LBB1044_621:                           ;   in Loop: Header=BB1044_422 Depth=2
	v_lshlrev_b32_e32 v5, 2, v138
	ds_read_b32 v5, v5
	v_add_u32_e32 v56, v76, v77
	ds_read_b64 v[56:57], v56 offset:24576
	v_mov_b32_e32 v157, v4
	v_mov_b32_e32 v158, s87
	s_waitcnt lgkmcnt(1)
	v_add_u32_e32 v156, v5, v14
	v_lshlrev_b64 v[156:157], 3, v[156:157]
	v_add_co_u32_e32 v156, vcc, s86, v156
	v_addc_co_u32_e32 v157, vcc, v158, v157, vcc
	s_waitcnt lgkmcnt(0)
	global_store_dwordx2 v[156:157], v[56:57], off
	s_or_b64 exec, exec, s[40:41]
	s_and_saveexec_b64 s[40:41], s[66:67]
	s_cbranch_execnz .LBB1044_641
.LBB1044_622:                           ;   in Loop: Header=BB1044_422 Depth=2
	s_or_b64 exec, exec, s[40:41]
	s_and_saveexec_b64 s[40:41], s[68:69]
	s_cbranch_execz .LBB1044_642
.LBB1044_623:                           ;   in Loop: Header=BB1044_422 Depth=2
	v_lshlrev_b32_e32 v5, 2, v136
	ds_read_b32 v5, v5
	v_add_u32_e32 v56, v76, v77
	ds_read_b64 v[56:57], v56 offset:28672
	v_mov_b32_e32 v157, v4
	v_mov_b32_e32 v158, s87
	s_waitcnt lgkmcnt(1)
	v_add_u32_e32 v156, v5, v18
	v_lshlrev_b64 v[156:157], 3, v[156:157]
	v_add_co_u32_e32 v156, vcc, s86, v156
	v_addc_co_u32_e32 v157, vcc, v158, v157, vcc
	s_waitcnt lgkmcnt(0)
	global_store_dwordx2 v[156:157], v[56:57], off
	s_or_b64 exec, exec, s[40:41]
	s_and_saveexec_b64 s[40:41], s[70:71]
	s_cbranch_execnz .LBB1044_643
.LBB1044_624:                           ;   in Loop: Header=BB1044_422 Depth=2
	s_or_b64 exec, exec, s[40:41]
	s_and_saveexec_b64 s[40:41], s[72:73]
	s_cbranch_execz .LBB1044_626
.LBB1044_625:                           ;   in Loop: Header=BB1044_422 Depth=2
	v_lshlrev_b32_e32 v5, 2, v134
	ds_read_b32 v5, v5
	v_add_u32_e32 v56, v76, v77
	ds_read_b64 v[56:57], v56 offset:32768
	v_mov_b32_e32 v157, v4
	v_mov_b32_e32 v158, s87
	s_waitcnt lgkmcnt(1)
	v_add_u32_e32 v156, v5, v22
	v_lshlrev_b64 v[156:157], 3, v[156:157]
	v_add_co_u32_e32 v156, vcc, s86, v156
	v_addc_co_u32_e32 v157, vcc, v158, v157, vcc
	s_waitcnt lgkmcnt(0)
	global_store_dwordx2 v[156:157], v[56:57], off
.LBB1044_626:                           ;   in Loop: Header=BB1044_422 Depth=2
	s_or_b64 exec, exec, s[40:41]
	s_barrier
	s_and_saveexec_b64 s[40:41], s[4:5]
	s_cbranch_execz .LBB1044_421
; %bb.627:                              ;   in Loop: Header=BB1044_422 Depth=2
	ds_read_b32 v5, v3
	s_waitcnt lgkmcnt(0)
	v_add3_u32 v5, v154, v155, v5
	ds_write_b32 v3, v5
	s_branch .LBB1044_421
.LBB1044_628:                           ;   in Loop: Header=BB1044_422 Depth=2
	s_or_b64 exec, exec, s[82:83]
	s_and_saveexec_b64 s[40:41], s[42:43]
	s_cbranch_execz .LBB1044_610
.LBB1044_629:                           ;   in Loop: Header=BB1044_422 Depth=2
	v_lshlrev_b32_e32 v5, 2, v150
	ds_read_b32 v5, v5
	v_add_u32_e32 v56, v76, v77
	ds_read_b64 v[56:57], v56 offset:2048
	v_mov_b32_e32 v157, v4
	v_mov_b32_e32 v158, s87
	s_waitcnt lgkmcnt(1)
	v_add_u32_e32 v156, v5, v7
	v_lshlrev_b64 v[156:157], 3, v[156:157]
	v_add_co_u32_e32 v156, vcc, s86, v156
	v_addc_co_u32_e32 v157, vcc, v158, v157, vcc
	s_waitcnt lgkmcnt(0)
	global_store_dwordx2 v[156:157], v[56:57], off
	s_or_b64 exec, exec, s[40:41]
	s_and_saveexec_b64 s[40:41], s[44:45]
	s_cbranch_execnz .LBB1044_611
.LBB1044_630:                           ;   in Loop: Header=BB1044_422 Depth=2
	s_or_b64 exec, exec, s[40:41]
	s_and_saveexec_b64 s[40:41], s[46:47]
	s_cbranch_execz .LBB1044_612
.LBB1044_631:                           ;   in Loop: Header=BB1044_422 Depth=2
	v_lshlrev_b32_e32 v5, 2, v147
	ds_read_b32 v5, v5
	v_add_u32_e32 v56, v76, v77
	ds_read_b64 v[56:57], v56 offset:6144
	v_mov_b32_e32 v157, v4
	v_mov_b32_e32 v158, s87
	s_waitcnt lgkmcnt(1)
	v_add_u32_e32 v156, v5, v15
	v_lshlrev_b64 v[156:157], 3, v[156:157]
	v_add_co_u32_e32 v156, vcc, s86, v156
	v_addc_co_u32_e32 v157, vcc, v158, v157, vcc
	s_waitcnt lgkmcnt(0)
	global_store_dwordx2 v[156:157], v[56:57], off
	s_or_b64 exec, exec, s[40:41]
	s_and_saveexec_b64 s[40:41], s[48:49]
	s_cbranch_execnz .LBB1044_613
.LBB1044_632:                           ;   in Loop: Header=BB1044_422 Depth=2
	s_or_b64 exec, exec, s[40:41]
	s_and_saveexec_b64 s[40:41], s[50:51]
	s_cbranch_execz .LBB1044_614
.LBB1044_633:                           ;   in Loop: Header=BB1044_422 Depth=2
	v_lshlrev_b32_e32 v5, 2, v145
	ds_read_b32 v5, v5
	v_add_u32_e32 v56, v76, v77
	ds_read_b64 v[56:57], v56 offset:10240
	v_mov_b32_e32 v157, v4
	v_mov_b32_e32 v158, s87
	s_waitcnt lgkmcnt(1)
	v_add_u32_e32 v156, v5, v19
	v_lshlrev_b64 v[156:157], 3, v[156:157]
	v_add_co_u32_e32 v156, vcc, s86, v156
	v_addc_co_u32_e32 v157, vcc, v158, v157, vcc
	s_waitcnt lgkmcnt(0)
	global_store_dwordx2 v[156:157], v[56:57], off
	s_or_b64 exec, exec, s[40:41]
	s_and_saveexec_b64 s[40:41], s[52:53]
	s_cbranch_execnz .LBB1044_615
.LBB1044_634:                           ;   in Loop: Header=BB1044_422 Depth=2
	s_or_b64 exec, exec, s[40:41]
	s_and_saveexec_b64 s[40:41], s[54:55]
	s_cbranch_execz .LBB1044_616
.LBB1044_635:                           ;   in Loop: Header=BB1044_422 Depth=2
	v_lshlrev_b32_e32 v5, 2, v143
	ds_read_b32 v5, v5
	v_add_u32_e32 v56, v76, v77
	ds_read_b64 v[56:57], v56 offset:14336
	v_mov_b32_e32 v157, v4
	v_mov_b32_e32 v158, s87
	s_waitcnt lgkmcnt(1)
	v_add_u32_e32 v156, v5, v23
	v_lshlrev_b64 v[156:157], 3, v[156:157]
	v_add_co_u32_e32 v156, vcc, s86, v156
	v_addc_co_u32_e32 v157, vcc, v158, v157, vcc
	s_waitcnt lgkmcnt(0)
	global_store_dwordx2 v[156:157], v[56:57], off
	s_or_b64 exec, exec, s[40:41]
	s_and_saveexec_b64 s[40:41], s[56:57]
	s_cbranch_execnz .LBB1044_617
.LBB1044_636:                           ;   in Loop: Header=BB1044_422 Depth=2
	s_or_b64 exec, exec, s[40:41]
	s_and_saveexec_b64 s[40:41], s[58:59]
	s_cbranch_execz .LBB1044_618
.LBB1044_637:                           ;   in Loop: Header=BB1044_422 Depth=2
	v_lshlrev_b32_e32 v5, 2, v141
	ds_read_b32 v5, v5
	v_add_u32_e32 v56, v76, v77
	ds_read_b64 v[56:57], v56 offset:18432
	v_mov_b32_e32 v157, v4
	v_mov_b32_e32 v158, s87
	s_waitcnt lgkmcnt(1)
	v_add_u32_e32 v156, v5, v8
	v_lshlrev_b64 v[156:157], 3, v[156:157]
	v_add_co_u32_e32 v156, vcc, s86, v156
	v_addc_co_u32_e32 v157, vcc, v158, v157, vcc
	s_waitcnt lgkmcnt(0)
	global_store_dwordx2 v[156:157], v[56:57], off
	s_or_b64 exec, exec, s[40:41]
	s_and_saveexec_b64 s[40:41], s[60:61]
	s_cbranch_execnz .LBB1044_619
.LBB1044_638:                           ;   in Loop: Header=BB1044_422 Depth=2
	s_or_b64 exec, exec, s[40:41]
	s_and_saveexec_b64 s[40:41], s[62:63]
	s_cbranch_execz .LBB1044_620
.LBB1044_639:                           ;   in Loop: Header=BB1044_422 Depth=2
	v_lshlrev_b32_e32 v5, 2, v139
	ds_read_b32 v5, v5
	v_add_u32_e32 v56, v76, v77
	ds_read_b64 v[56:57], v56 offset:22528
	v_mov_b32_e32 v157, v4
	v_mov_b32_e32 v158, s87
	s_waitcnt lgkmcnt(1)
	v_add_u32_e32 v156, v5, v12
	v_lshlrev_b64 v[156:157], 3, v[156:157]
	v_add_co_u32_e32 v156, vcc, s86, v156
	v_addc_co_u32_e32 v157, vcc, v158, v157, vcc
	s_waitcnt lgkmcnt(0)
	global_store_dwordx2 v[156:157], v[56:57], off
	s_or_b64 exec, exec, s[40:41]
	s_and_saveexec_b64 s[40:41], s[64:65]
	s_cbranch_execnz .LBB1044_621
.LBB1044_640:                           ;   in Loop: Header=BB1044_422 Depth=2
	s_or_b64 exec, exec, s[40:41]
	s_and_saveexec_b64 s[40:41], s[66:67]
	s_cbranch_execz .LBB1044_622
.LBB1044_641:                           ;   in Loop: Header=BB1044_422 Depth=2
	v_lshlrev_b32_e32 v5, 2, v137
	ds_read_b32 v5, v5
	v_add_u32_e32 v56, v76, v77
	ds_read_b64 v[56:57], v56 offset:26624
	v_mov_b32_e32 v157, v4
	v_mov_b32_e32 v158, s87
	s_waitcnt lgkmcnt(1)
	v_add_u32_e32 v156, v5, v16
	v_lshlrev_b64 v[156:157], 3, v[156:157]
	v_add_co_u32_e32 v156, vcc, s86, v156
	v_addc_co_u32_e32 v157, vcc, v158, v157, vcc
	s_waitcnt lgkmcnt(0)
	global_store_dwordx2 v[156:157], v[56:57], off
	s_or_b64 exec, exec, s[40:41]
	s_and_saveexec_b64 s[40:41], s[68:69]
	s_cbranch_execnz .LBB1044_623
.LBB1044_642:                           ;   in Loop: Header=BB1044_422 Depth=2
	s_or_b64 exec, exec, s[40:41]
	s_and_saveexec_b64 s[40:41], s[70:71]
	s_cbranch_execz .LBB1044_624
.LBB1044_643:                           ;   in Loop: Header=BB1044_422 Depth=2
	v_lshlrev_b32_e32 v5, 2, v135
	ds_read_b32 v5, v5
	v_add_u32_e32 v56, v76, v77
	ds_read_b64 v[56:57], v56 offset:30720
	v_mov_b32_e32 v157, v4
	v_mov_b32_e32 v158, s87
	s_waitcnt lgkmcnt(1)
	v_add_u32_e32 v156, v5, v20
	v_lshlrev_b64 v[156:157], 3, v[156:157]
	v_add_co_u32_e32 v156, vcc, s86, v156
	v_addc_co_u32_e32 v157, vcc, v158, v157, vcc
	s_waitcnt lgkmcnt(0)
	global_store_dwordx2 v[156:157], v[56:57], off
	s_or_b64 exec, exec, s[40:41]
	s_and_saveexec_b64 s[40:41], s[72:73]
	s_cbranch_execnz .LBB1044_625
	s_branch .LBB1044_626
.LBB1044_644:                           ;   in Loop: Header=BB1044_20 Depth=1
	s_waitcnt lgkmcnt(0)
	s_barrier
.LBB1044_645:                           ;   in Loop: Header=BB1044_20 Depth=1
	s_mov_b64 s[20:21], 0
.LBB1044_646:                           ;   in Loop: Header=BB1044_20 Depth=1
	s_andn2_b64 vcc, exec, s[20:21]
	s_cbranch_vccnz .LBB1044_19
; %bb.647:                              ;   in Loop: Header=BB1044_20 Depth=1
	s_mov_b64 s[20:21], -1
	s_and_b64 vcc, exec, s[92:93]
	s_cbranch_vccz .LBB1044_959
; %bb.648:                              ;   in Loop: Header=BB1044_20 Depth=1
	s_mov_b32 s7, s91
	s_mov_b32 s94, s75
	s_barrier
	s_waitcnt lgkmcnt(0)
                                        ; implicit-def: $vgpr39
                                        ; implicit-def: $vgpr5
                                        ; implicit-def: $vgpr24
                                        ; implicit-def: $vgpr25
                                        ; implicit-def: $vgpr26
                                        ; implicit-def: $vgpr27
                                        ; implicit-def: $vgpr28
                                        ; implicit-def: $vgpr29
                                        ; implicit-def: $vgpr30
                                        ; implicit-def: $vgpr31
                                        ; implicit-def: $vgpr32
                                        ; implicit-def: $vgpr33
                                        ; implicit-def: $vgpr34
                                        ; implicit-def: $vgpr35
                                        ; implicit-def: $vgpr36
                                        ; implicit-def: $vgpr37
                                        ; implicit-def: $vgpr38
	s_branch .LBB1044_650
.LBB1044_649:                           ;   in Loop: Header=BB1044_650 Depth=2
	s_or_b64 exec, exec, s[20:21]
	s_addk_i32 s7, 0xef00
	s_cmp_ge_u32 s8, s98
	s_mov_b32 s94, s8
	s_cbranch_scc1 .LBB1044_724
.LBB1044_650:                           ;   Parent Loop BB1044_20 Depth=1
                                        ; =>  This Inner Loop Header: Depth=2
	s_add_i32 s8, s94, 0x1100
	s_cmp_gt_u32 s8, s98
	s_cbranch_scc1 .LBB1044_653
; %bb.651:                              ;   in Loop: Header=BB1044_650 Depth=2
	s_lshl_b64 s[20:21], s[94:95], 1
	v_mov_b32_e32 v1, s21
	v_add_co_u32_e32 v0, vcc, s20, v84
	v_addc_co_u32_e32 v1, vcc, v85, v1, vcc
	s_waitcnt vmcnt(0)
	v_add_co_u32_e32 v56, vcc, s88, v0
	v_addc_co_u32_e32 v57, vcc, 0, v1, vcc
	global_load_ushort v41, v[0:1], off
	global_load_ushort v42, v[0:1], off offset:512
	global_load_ushort v43, v[0:1], off offset:1024
	;; [unrolled: 1-line block ×7, first 2 shown]
	global_load_ushort v49, v[56:57], off
	global_load_ushort v50, v[56:57], off offset:512
	global_load_ushort v51, v[56:57], off offset:1024
	global_load_ushort v52, v[56:57], off offset:1536
	global_load_ushort v53, v[56:57], off offset:2048
	global_load_ushort v54, v[56:57], off offset:2560
	global_load_ushort v55, v[56:57], off offset:3072
	s_nop 0
	global_load_ushort v56, v[56:57], off offset:3584
	v_add_co_u32_e32 v0, vcc, 0x2000, v0
	v_addc_co_u32_e32 v1, vcc, 0, v1, vcc
	s_mov_b64 s[20:21], -1
	s_movk_i32 s9, 0x1100
	s_cbranch_execz .LBB1044_654
; %bb.652:                              ;   in Loop: Header=BB1044_650 Depth=2
                                        ; implicit-def: $vgpr38
                                        ; implicit-def: $vgpr37
                                        ; implicit-def: $vgpr36
                                        ; implicit-def: $vgpr35
                                        ; implicit-def: $vgpr34
                                        ; implicit-def: $vgpr33
                                        ; implicit-def: $vgpr32
                                        ; implicit-def: $vgpr31
                                        ; implicit-def: $vgpr30
                                        ; implicit-def: $vgpr29
                                        ; implicit-def: $vgpr28
                                        ; implicit-def: $vgpr27
                                        ; implicit-def: $vgpr26
                                        ; implicit-def: $vgpr25
                                        ; implicit-def: $vgpr24
                                        ; implicit-def: $vgpr5
                                        ; implicit-def: $vgpr39
	v_mov_b32_e32 v40, s7
	s_and_saveexec_b64 s[22:23], s[20:21]
	s_cbranch_execnz .LBB1044_689
	s_branch .LBB1044_690
.LBB1044_653:                           ;   in Loop: Header=BB1044_650 Depth=2
	s_mov_b64 s[20:21], 0
                                        ; implicit-def: $sgpr9
                                        ; implicit-def: $vgpr41
                                        ; implicit-def: $vgpr42
                                        ; implicit-def: $vgpr43
                                        ; implicit-def: $vgpr44
                                        ; implicit-def: $vgpr45
                                        ; implicit-def: $vgpr46
                                        ; implicit-def: $vgpr47
                                        ; implicit-def: $vgpr48
                                        ; implicit-def: $vgpr49
                                        ; implicit-def: $vgpr50
                                        ; implicit-def: $vgpr51
                                        ; implicit-def: $vgpr52
                                        ; implicit-def: $vgpr53
                                        ; implicit-def: $vgpr54
                                        ; implicit-def: $vgpr55
                                        ; implicit-def: $vgpr56
                                        ; implicit-def: $vgpr0_vgpr1
.LBB1044_654:                           ;   in Loop: Header=BB1044_650 Depth=2
	s_lshl_b64 s[22:23], s[94:95], 1
	s_add_u32 s22, s76, s22
	s_addc_u32 s23, s77, s23
	v_cmp_gt_u32_e32 vcc, s7, v2
	s_and_saveexec_b64 s[24:25], vcc
	s_cbranch_execz .LBB1044_670
; %bb.655:                              ;   in Loop: Header=BB1044_650 Depth=2
	global_load_ushort v38, v92, s[22:23]
	s_or_b64 exec, exec, s[24:25]
	v_cmp_gt_u32_e32 vcc, s7, v7
	s_and_saveexec_b64 s[24:25], vcc
	s_cbranch_execnz .LBB1044_671
.LBB1044_656:                           ;   in Loop: Header=BB1044_650 Depth=2
	s_or_b64 exec, exec, s[24:25]
	v_cmp_gt_u32_e32 vcc, s7, v13
	s_and_saveexec_b64 s[24:25], vcc
	s_cbranch_execz .LBB1044_672
.LBB1044_657:                           ;   in Loop: Header=BB1044_650 Depth=2
	global_load_ushort v36, v92, s[22:23] offset:1024
	s_or_b64 exec, exec, s[24:25]
	v_cmp_gt_u32_e32 vcc, s7, v15
	s_and_saveexec_b64 s[24:25], vcc
	s_cbranch_execnz .LBB1044_673
.LBB1044_658:                           ;   in Loop: Header=BB1044_650 Depth=2
	s_or_b64 exec, exec, s[24:25]
	v_cmp_gt_u32_e32 vcc, s7, v17
	s_and_saveexec_b64 s[24:25], vcc
	s_cbranch_execz .LBB1044_674
.LBB1044_659:                           ;   in Loop: Header=BB1044_650 Depth=2
	global_load_ushort v34, v92, s[22:23] offset:2048
	s_or_b64 exec, exec, s[24:25]
	v_cmp_gt_u32_e32 vcc, s7, v19
	s_and_saveexec_b64 s[24:25], vcc
	s_cbranch_execnz .LBB1044_675
.LBB1044_660:                           ;   in Loop: Header=BB1044_650 Depth=2
	s_or_b64 exec, exec, s[24:25]
	v_cmp_gt_u32_e32 vcc, s7, v21
	s_and_saveexec_b64 s[24:25], vcc
	s_cbranch_execz .LBB1044_676
.LBB1044_661:                           ;   in Loop: Header=BB1044_650 Depth=2
	global_load_ushort v32, v92, s[22:23] offset:3072
	s_or_b64 exec, exec, s[24:25]
	v_cmp_gt_u32_e32 vcc, s7, v23
	s_and_saveexec_b64 s[24:25], vcc
	s_cbranch_execnz .LBB1044_677
.LBB1044_662:                           ;   in Loop: Header=BB1044_650 Depth=2
	s_or_b64 exec, exec, s[24:25]
	v_cmp_gt_u32_e32 vcc, s7, v6
	s_and_saveexec_b64 s[24:25], vcc
	s_cbranch_execz .LBB1044_678
.LBB1044_663:                           ;   in Loop: Header=BB1044_650 Depth=2
	global_load_ushort v30, v93, s[22:23]
	s_or_b64 exec, exec, s[24:25]
	v_cmp_gt_u32_e32 vcc, s7, v8
	s_and_saveexec_b64 s[24:25], vcc
	s_cbranch_execnz .LBB1044_679
.LBB1044_664:                           ;   in Loop: Header=BB1044_650 Depth=2
	s_or_b64 exec, exec, s[24:25]
	v_cmp_gt_u32_e32 vcc, s7, v10
	s_and_saveexec_b64 s[24:25], vcc
	s_cbranch_execz .LBB1044_680
.LBB1044_665:                           ;   in Loop: Header=BB1044_650 Depth=2
	global_load_ushort v28, v95, s[22:23]
	s_or_b64 exec, exec, s[24:25]
	v_cmp_gt_u32_e32 vcc, s7, v12
	s_and_saveexec_b64 s[24:25], vcc
	s_cbranch_execnz .LBB1044_681
.LBB1044_666:                           ;   in Loop: Header=BB1044_650 Depth=2
	s_or_b64 exec, exec, s[24:25]
	v_cmp_gt_u32_e32 vcc, s7, v14
	s_and_saveexec_b64 s[24:25], vcc
	s_cbranch_execz .LBB1044_682
.LBB1044_667:                           ;   in Loop: Header=BB1044_650 Depth=2
	global_load_ushort v26, v97, s[22:23]
	s_or_b64 exec, exec, s[24:25]
	v_cmp_gt_u32_e32 vcc, s7, v16
	s_and_saveexec_b64 s[24:25], vcc
	s_cbranch_execnz .LBB1044_683
.LBB1044_668:                           ;   in Loop: Header=BB1044_650 Depth=2
	s_or_b64 exec, exec, s[24:25]
	v_cmp_gt_u32_e32 vcc, s7, v18
	s_and_saveexec_b64 s[24:25], vcc
	s_cbranch_execz .LBB1044_684
.LBB1044_669:                           ;   in Loop: Header=BB1044_650 Depth=2
	global_load_ushort v24, v99, s[22:23]
	s_or_b64 exec, exec, s[24:25]
	v_cmp_gt_u32_e32 vcc, s7, v20
	s_and_saveexec_b64 s[24:25], vcc
	s_cbranch_execz .LBB1044_686
	s_branch .LBB1044_685
.LBB1044_670:                           ;   in Loop: Header=BB1044_650 Depth=2
	s_or_b64 exec, exec, s[24:25]
	v_cmp_gt_u32_e32 vcc, s7, v7
	s_and_saveexec_b64 s[24:25], vcc
	s_cbranch_execz .LBB1044_656
.LBB1044_671:                           ;   in Loop: Header=BB1044_650 Depth=2
	global_load_ushort v37, v92, s[22:23] offset:512
	s_or_b64 exec, exec, s[24:25]
	v_cmp_gt_u32_e32 vcc, s7, v13
	s_and_saveexec_b64 s[24:25], vcc
	s_cbranch_execnz .LBB1044_657
.LBB1044_672:                           ;   in Loop: Header=BB1044_650 Depth=2
	s_or_b64 exec, exec, s[24:25]
	v_cmp_gt_u32_e32 vcc, s7, v15
	s_and_saveexec_b64 s[24:25], vcc
	s_cbranch_execz .LBB1044_658
.LBB1044_673:                           ;   in Loop: Header=BB1044_650 Depth=2
	global_load_ushort v35, v92, s[22:23] offset:1536
	s_or_b64 exec, exec, s[24:25]
	v_cmp_gt_u32_e32 vcc, s7, v17
	s_and_saveexec_b64 s[24:25], vcc
	s_cbranch_execnz .LBB1044_659
.LBB1044_674:                           ;   in Loop: Header=BB1044_650 Depth=2
	s_or_b64 exec, exec, s[24:25]
	v_cmp_gt_u32_e32 vcc, s7, v19
	s_and_saveexec_b64 s[24:25], vcc
	s_cbranch_execz .LBB1044_660
.LBB1044_675:                           ;   in Loop: Header=BB1044_650 Depth=2
	global_load_ushort v33, v92, s[22:23] offset:2560
	s_or_b64 exec, exec, s[24:25]
	v_cmp_gt_u32_e32 vcc, s7, v21
	s_and_saveexec_b64 s[24:25], vcc
	s_cbranch_execnz .LBB1044_661
.LBB1044_676:                           ;   in Loop: Header=BB1044_650 Depth=2
	s_or_b64 exec, exec, s[24:25]
	v_cmp_gt_u32_e32 vcc, s7, v23
	s_and_saveexec_b64 s[24:25], vcc
	s_cbranch_execz .LBB1044_662
.LBB1044_677:                           ;   in Loop: Header=BB1044_650 Depth=2
	global_load_ushort v31, v92, s[22:23] offset:3584
	s_or_b64 exec, exec, s[24:25]
	v_cmp_gt_u32_e32 vcc, s7, v6
	s_and_saveexec_b64 s[24:25], vcc
	s_cbranch_execnz .LBB1044_663
.LBB1044_678:                           ;   in Loop: Header=BB1044_650 Depth=2
	s_or_b64 exec, exec, s[24:25]
	v_cmp_gt_u32_e32 vcc, s7, v8
	s_and_saveexec_b64 s[24:25], vcc
	s_cbranch_execz .LBB1044_664
.LBB1044_679:                           ;   in Loop: Header=BB1044_650 Depth=2
	global_load_ushort v29, v94, s[22:23]
	s_or_b64 exec, exec, s[24:25]
	v_cmp_gt_u32_e32 vcc, s7, v10
	s_and_saveexec_b64 s[24:25], vcc
	s_cbranch_execnz .LBB1044_665
.LBB1044_680:                           ;   in Loop: Header=BB1044_650 Depth=2
	s_or_b64 exec, exec, s[24:25]
	v_cmp_gt_u32_e32 vcc, s7, v12
	s_and_saveexec_b64 s[24:25], vcc
	s_cbranch_execz .LBB1044_666
.LBB1044_681:                           ;   in Loop: Header=BB1044_650 Depth=2
	global_load_ushort v27, v96, s[22:23]
	s_or_b64 exec, exec, s[24:25]
	v_cmp_gt_u32_e32 vcc, s7, v14
	s_and_saveexec_b64 s[24:25], vcc
	s_cbranch_execnz .LBB1044_667
.LBB1044_682:                           ;   in Loop: Header=BB1044_650 Depth=2
	s_or_b64 exec, exec, s[24:25]
	v_cmp_gt_u32_e32 vcc, s7, v16
	s_and_saveexec_b64 s[24:25], vcc
	s_cbranch_execz .LBB1044_668
.LBB1044_683:                           ;   in Loop: Header=BB1044_650 Depth=2
	global_load_ushort v25, v98, s[22:23]
	s_or_b64 exec, exec, s[24:25]
	v_cmp_gt_u32_e32 vcc, s7, v18
	s_and_saveexec_b64 s[24:25], vcc
	s_cbranch_execnz .LBB1044_669
.LBB1044_684:                           ;   in Loop: Header=BB1044_650 Depth=2
	s_or_b64 exec, exec, s[24:25]
	v_cmp_gt_u32_e32 vcc, s7, v20
	s_and_saveexec_b64 s[24:25], vcc
	s_cbranch_execz .LBB1044_686
.LBB1044_685:                           ;   in Loop: Header=BB1044_650 Depth=2
	global_load_ushort v5, v100, s[22:23]
.LBB1044_686:                           ;   in Loop: Header=BB1044_650 Depth=2
	s_or_b64 exec, exec, s[24:25]
	v_cmp_gt_u32_e32 vcc, s7, v22
                                        ; implicit-def: $sgpr9
                                        ; implicit-def: $vgpr0_vgpr1
	s_and_saveexec_b64 s[24:25], vcc
; %bb.687:                              ;   in Loop: Header=BB1044_650 Depth=2
	v_mov_b32_e32 v1, s23
	v_add_co_u32_e32 v0, vcc, s22, v101
	s_sub_i32 s9, s98, s94
	v_addc_co_u32_e32 v1, vcc, 0, v1, vcc
	s_or_b64 s[20:21], s[20:21], exec
                                        ; implicit-def: $vgpr39
; %bb.688:                              ;   in Loop: Header=BB1044_650 Depth=2
	s_or_b64 exec, exec, s[24:25]
	s_waitcnt vmcnt(0)
	v_mov_b32_e32 v41, v38
	v_mov_b32_e32 v42, v37
	;; [unrolled: 1-line block ×17, first 2 shown]
	s_and_saveexec_b64 s[22:23], s[20:21]
	s_cbranch_execz .LBB1044_690
.LBB1044_689:                           ;   in Loop: Header=BB1044_650 Depth=2
	global_load_ushort v39, v[0:1], off
	v_mov_b32_e32 v40, s9
	s_waitcnt vmcnt(1)
	v_mov_b32_e32 v5, v56
	v_mov_b32_e32 v24, v55
	;; [unrolled: 1-line block ×16, first 2 shown]
.LBB1044_690:                           ;   in Loop: Header=BB1044_650 Depth=2
	s_or_b64 exec, exec, s[22:23]
	v_cmp_lt_u32_e32 vcc, v2, v40
	s_and_saveexec_b64 s[20:21], vcc
	s_cbranch_execz .LBB1044_707
; %bb.691:                              ;   in Loop: Header=BB1044_650 Depth=2
	v_xor_b32_e32 v0, 0xffff8000, v38
	v_lshrrev_b32_sdwa v0, s89, v0 dst_sel:DWORD dst_unused:UNUSED_PAD src0_sel:DWORD src1_sel:WORD_0
	v_and_b32_e32 v0, s6, v0
	v_lshl_or_b32 v0, v0, 4, v90
	ds_add_u32 v0, v91
	s_or_b64 exec, exec, s[20:21]
	v_cmp_lt_u32_e32 vcc, v7, v40
	s_and_saveexec_b64 s[20:21], vcc
	s_cbranch_execnz .LBB1044_708
.LBB1044_692:                           ;   in Loop: Header=BB1044_650 Depth=2
	s_or_b64 exec, exec, s[20:21]
	v_cmp_lt_u32_e32 vcc, v13, v40
	s_and_saveexec_b64 s[20:21], vcc
	s_cbranch_execz .LBB1044_709
.LBB1044_693:                           ;   in Loop: Header=BB1044_650 Depth=2
	v_xor_b32_e32 v0, 0xffff8000, v36
	v_lshrrev_b32_sdwa v0, s89, v0 dst_sel:DWORD dst_unused:UNUSED_PAD src0_sel:DWORD src1_sel:WORD_0
	v_and_b32_e32 v0, s6, v0
	v_lshl_or_b32 v0, v0, 4, v90
	ds_add_u32 v0, v91
	s_or_b64 exec, exec, s[20:21]
	v_cmp_lt_u32_e32 vcc, v15, v40
	s_and_saveexec_b64 s[20:21], vcc
	s_cbranch_execnz .LBB1044_710
.LBB1044_694:                           ;   in Loop: Header=BB1044_650 Depth=2
	s_or_b64 exec, exec, s[20:21]
	v_cmp_lt_u32_e32 vcc, v17, v40
	s_and_saveexec_b64 s[20:21], vcc
	s_cbranch_execz .LBB1044_711
.LBB1044_695:                           ;   in Loop: Header=BB1044_650 Depth=2
	v_xor_b32_e32 v0, 0xffff8000, v34
	v_lshrrev_b32_sdwa v0, s89, v0 dst_sel:DWORD dst_unused:UNUSED_PAD src0_sel:DWORD src1_sel:WORD_0
	v_and_b32_e32 v0, s6, v0
	v_lshl_or_b32 v0, v0, 4, v90
	ds_add_u32 v0, v91
	s_or_b64 exec, exec, s[20:21]
	v_cmp_lt_u32_e32 vcc, v19, v40
	s_and_saveexec_b64 s[20:21], vcc
	s_cbranch_execnz .LBB1044_712
.LBB1044_696:                           ;   in Loop: Header=BB1044_650 Depth=2
	s_or_b64 exec, exec, s[20:21]
	v_cmp_lt_u32_e32 vcc, v21, v40
	s_and_saveexec_b64 s[20:21], vcc
	s_cbranch_execz .LBB1044_713
.LBB1044_697:                           ;   in Loop: Header=BB1044_650 Depth=2
	v_xor_b32_e32 v0, 0xffff8000, v32
	v_lshrrev_b32_sdwa v0, s89, v0 dst_sel:DWORD dst_unused:UNUSED_PAD src0_sel:DWORD src1_sel:WORD_0
	v_and_b32_e32 v0, s6, v0
	v_lshl_or_b32 v0, v0, 4, v90
	ds_add_u32 v0, v91
	s_or_b64 exec, exec, s[20:21]
	v_cmp_lt_u32_e32 vcc, v23, v40
	s_and_saveexec_b64 s[20:21], vcc
	s_cbranch_execnz .LBB1044_714
.LBB1044_698:                           ;   in Loop: Header=BB1044_650 Depth=2
	s_or_b64 exec, exec, s[20:21]
	v_cmp_lt_u32_e32 vcc, v6, v40
	s_and_saveexec_b64 s[20:21], vcc
	s_cbranch_execz .LBB1044_715
.LBB1044_699:                           ;   in Loop: Header=BB1044_650 Depth=2
	v_xor_b32_e32 v0, 0xffff8000, v30
	v_lshrrev_b32_sdwa v0, s89, v0 dst_sel:DWORD dst_unused:UNUSED_PAD src0_sel:DWORD src1_sel:WORD_0
	v_and_b32_e32 v0, s6, v0
	v_lshl_or_b32 v0, v0, 4, v90
	ds_add_u32 v0, v91
	s_or_b64 exec, exec, s[20:21]
	v_cmp_lt_u32_e32 vcc, v8, v40
	s_and_saveexec_b64 s[20:21], vcc
	s_cbranch_execnz .LBB1044_716
.LBB1044_700:                           ;   in Loop: Header=BB1044_650 Depth=2
	s_or_b64 exec, exec, s[20:21]
	v_cmp_lt_u32_e32 vcc, v10, v40
	s_and_saveexec_b64 s[20:21], vcc
	s_cbranch_execz .LBB1044_717
.LBB1044_701:                           ;   in Loop: Header=BB1044_650 Depth=2
	v_xor_b32_e32 v0, 0xffff8000, v28
	v_lshrrev_b32_sdwa v0, s89, v0 dst_sel:DWORD dst_unused:UNUSED_PAD src0_sel:DWORD src1_sel:WORD_0
	v_and_b32_e32 v0, s6, v0
	v_lshl_or_b32 v0, v0, 4, v90
	ds_add_u32 v0, v91
	s_or_b64 exec, exec, s[20:21]
	v_cmp_lt_u32_e32 vcc, v12, v40
	s_and_saveexec_b64 s[20:21], vcc
	s_cbranch_execnz .LBB1044_718
.LBB1044_702:                           ;   in Loop: Header=BB1044_650 Depth=2
	s_or_b64 exec, exec, s[20:21]
	v_cmp_lt_u32_e32 vcc, v14, v40
	s_and_saveexec_b64 s[20:21], vcc
	s_cbranch_execz .LBB1044_719
.LBB1044_703:                           ;   in Loop: Header=BB1044_650 Depth=2
	v_xor_b32_e32 v0, 0xffff8000, v26
	v_lshrrev_b32_sdwa v0, s89, v0 dst_sel:DWORD dst_unused:UNUSED_PAD src0_sel:DWORD src1_sel:WORD_0
	v_and_b32_e32 v0, s6, v0
	v_lshl_or_b32 v0, v0, 4, v90
	ds_add_u32 v0, v91
	s_or_b64 exec, exec, s[20:21]
	v_cmp_lt_u32_e32 vcc, v16, v40
	s_and_saveexec_b64 s[20:21], vcc
	s_cbranch_execnz .LBB1044_720
.LBB1044_704:                           ;   in Loop: Header=BB1044_650 Depth=2
	s_or_b64 exec, exec, s[20:21]
	v_cmp_lt_u32_e32 vcc, v18, v40
	s_and_saveexec_b64 s[20:21], vcc
	s_cbranch_execz .LBB1044_721
.LBB1044_705:                           ;   in Loop: Header=BB1044_650 Depth=2
	v_xor_b32_e32 v0, 0xffff8000, v24
	v_lshrrev_b32_sdwa v0, s89, v0 dst_sel:DWORD dst_unused:UNUSED_PAD src0_sel:DWORD src1_sel:WORD_0
	v_and_b32_e32 v0, s6, v0
	v_lshl_or_b32 v0, v0, 4, v90
	ds_add_u32 v0, v91
	s_or_b64 exec, exec, s[20:21]
	v_cmp_lt_u32_e32 vcc, v20, v40
	s_and_saveexec_b64 s[20:21], vcc
	s_cbranch_execnz .LBB1044_722
.LBB1044_706:                           ;   in Loop: Header=BB1044_650 Depth=2
	s_or_b64 exec, exec, s[20:21]
	v_cmp_lt_u32_e32 vcc, v22, v40
	s_and_saveexec_b64 s[20:21], vcc
	s_cbranch_execz .LBB1044_649
	s_branch .LBB1044_723
.LBB1044_707:                           ;   in Loop: Header=BB1044_650 Depth=2
	s_or_b64 exec, exec, s[20:21]
	v_cmp_lt_u32_e32 vcc, v7, v40
	s_and_saveexec_b64 s[20:21], vcc
	s_cbranch_execz .LBB1044_692
.LBB1044_708:                           ;   in Loop: Header=BB1044_650 Depth=2
	v_xor_b32_e32 v0, 0xffff8000, v37
	v_lshrrev_b32_sdwa v0, s89, v0 dst_sel:DWORD dst_unused:UNUSED_PAD src0_sel:DWORD src1_sel:WORD_0
	v_and_b32_e32 v0, s6, v0
	v_lshl_or_b32 v0, v0, 4, v90
	ds_add_u32 v0, v91
	s_or_b64 exec, exec, s[20:21]
	v_cmp_lt_u32_e32 vcc, v13, v40
	s_and_saveexec_b64 s[20:21], vcc
	s_cbranch_execnz .LBB1044_693
.LBB1044_709:                           ;   in Loop: Header=BB1044_650 Depth=2
	s_or_b64 exec, exec, s[20:21]
	v_cmp_lt_u32_e32 vcc, v15, v40
	s_and_saveexec_b64 s[20:21], vcc
	s_cbranch_execz .LBB1044_694
.LBB1044_710:                           ;   in Loop: Header=BB1044_650 Depth=2
	v_xor_b32_e32 v0, 0xffff8000, v35
	v_lshrrev_b32_sdwa v0, s89, v0 dst_sel:DWORD dst_unused:UNUSED_PAD src0_sel:DWORD src1_sel:WORD_0
	v_and_b32_e32 v0, s6, v0
	v_lshl_or_b32 v0, v0, 4, v90
	ds_add_u32 v0, v91
	s_or_b64 exec, exec, s[20:21]
	v_cmp_lt_u32_e32 vcc, v17, v40
	s_and_saveexec_b64 s[20:21], vcc
	s_cbranch_execnz .LBB1044_695
.LBB1044_711:                           ;   in Loop: Header=BB1044_650 Depth=2
	s_or_b64 exec, exec, s[20:21]
	v_cmp_lt_u32_e32 vcc, v19, v40
	s_and_saveexec_b64 s[20:21], vcc
	s_cbranch_execz .LBB1044_696
.LBB1044_712:                           ;   in Loop: Header=BB1044_650 Depth=2
	v_xor_b32_e32 v0, 0xffff8000, v33
	v_lshrrev_b32_sdwa v0, s89, v0 dst_sel:DWORD dst_unused:UNUSED_PAD src0_sel:DWORD src1_sel:WORD_0
	v_and_b32_e32 v0, s6, v0
	v_lshl_or_b32 v0, v0, 4, v90
	ds_add_u32 v0, v91
	s_or_b64 exec, exec, s[20:21]
	v_cmp_lt_u32_e32 vcc, v21, v40
	s_and_saveexec_b64 s[20:21], vcc
	s_cbranch_execnz .LBB1044_697
.LBB1044_713:                           ;   in Loop: Header=BB1044_650 Depth=2
	s_or_b64 exec, exec, s[20:21]
	v_cmp_lt_u32_e32 vcc, v23, v40
	s_and_saveexec_b64 s[20:21], vcc
	s_cbranch_execz .LBB1044_698
.LBB1044_714:                           ;   in Loop: Header=BB1044_650 Depth=2
	v_xor_b32_e32 v0, 0xffff8000, v31
	v_lshrrev_b32_sdwa v0, s89, v0 dst_sel:DWORD dst_unused:UNUSED_PAD src0_sel:DWORD src1_sel:WORD_0
	v_and_b32_e32 v0, s6, v0
	v_lshl_or_b32 v0, v0, 4, v90
	ds_add_u32 v0, v91
	s_or_b64 exec, exec, s[20:21]
	v_cmp_lt_u32_e32 vcc, v6, v40
	s_and_saveexec_b64 s[20:21], vcc
	s_cbranch_execnz .LBB1044_699
.LBB1044_715:                           ;   in Loop: Header=BB1044_650 Depth=2
	s_or_b64 exec, exec, s[20:21]
	v_cmp_lt_u32_e32 vcc, v8, v40
	s_and_saveexec_b64 s[20:21], vcc
	s_cbranch_execz .LBB1044_700
.LBB1044_716:                           ;   in Loop: Header=BB1044_650 Depth=2
	v_xor_b32_e32 v0, 0xffff8000, v29
	v_lshrrev_b32_sdwa v0, s89, v0 dst_sel:DWORD dst_unused:UNUSED_PAD src0_sel:DWORD src1_sel:WORD_0
	v_and_b32_e32 v0, s6, v0
	v_lshl_or_b32 v0, v0, 4, v90
	ds_add_u32 v0, v91
	s_or_b64 exec, exec, s[20:21]
	v_cmp_lt_u32_e32 vcc, v10, v40
	s_and_saveexec_b64 s[20:21], vcc
	s_cbranch_execnz .LBB1044_701
.LBB1044_717:                           ;   in Loop: Header=BB1044_650 Depth=2
	s_or_b64 exec, exec, s[20:21]
	v_cmp_lt_u32_e32 vcc, v12, v40
	s_and_saveexec_b64 s[20:21], vcc
	s_cbranch_execz .LBB1044_702
.LBB1044_718:                           ;   in Loop: Header=BB1044_650 Depth=2
	v_xor_b32_e32 v0, 0xffff8000, v27
	v_lshrrev_b32_sdwa v0, s89, v0 dst_sel:DWORD dst_unused:UNUSED_PAD src0_sel:DWORD src1_sel:WORD_0
	v_and_b32_e32 v0, s6, v0
	v_lshl_or_b32 v0, v0, 4, v90
	ds_add_u32 v0, v91
	s_or_b64 exec, exec, s[20:21]
	v_cmp_lt_u32_e32 vcc, v14, v40
	s_and_saveexec_b64 s[20:21], vcc
	s_cbranch_execnz .LBB1044_703
.LBB1044_719:                           ;   in Loop: Header=BB1044_650 Depth=2
	s_or_b64 exec, exec, s[20:21]
	v_cmp_lt_u32_e32 vcc, v16, v40
	s_and_saveexec_b64 s[20:21], vcc
	s_cbranch_execz .LBB1044_704
.LBB1044_720:                           ;   in Loop: Header=BB1044_650 Depth=2
	v_xor_b32_e32 v0, 0xffff8000, v25
	v_lshrrev_b32_sdwa v0, s89, v0 dst_sel:DWORD dst_unused:UNUSED_PAD src0_sel:DWORD src1_sel:WORD_0
	v_and_b32_e32 v0, s6, v0
	v_lshl_or_b32 v0, v0, 4, v90
	ds_add_u32 v0, v91
	s_or_b64 exec, exec, s[20:21]
	v_cmp_lt_u32_e32 vcc, v18, v40
	s_and_saveexec_b64 s[20:21], vcc
	s_cbranch_execnz .LBB1044_705
.LBB1044_721:                           ;   in Loop: Header=BB1044_650 Depth=2
	s_or_b64 exec, exec, s[20:21]
	v_cmp_lt_u32_e32 vcc, v20, v40
	s_and_saveexec_b64 s[20:21], vcc
	s_cbranch_execz .LBB1044_706
.LBB1044_722:                           ;   in Loop: Header=BB1044_650 Depth=2
	v_xor_b32_e32 v0, 0xffff8000, v5
	v_lshrrev_b32_sdwa v0, s89, v0 dst_sel:DWORD dst_unused:UNUSED_PAD src0_sel:DWORD src1_sel:WORD_0
	v_and_b32_e32 v0, s6, v0
	v_lshl_or_b32 v0, v0, 4, v90
	ds_add_u32 v0, v91
	s_or_b64 exec, exec, s[20:21]
	v_cmp_lt_u32_e32 vcc, v22, v40
	s_and_saveexec_b64 s[20:21], vcc
	s_cbranch_execz .LBB1044_649
.LBB1044_723:                           ;   in Loop: Header=BB1044_650 Depth=2
	s_waitcnt vmcnt(0)
	v_xor_b32_e32 v0, 0xffff8000, v39
	v_lshrrev_b32_sdwa v0, s89, v0 dst_sel:DWORD dst_unused:UNUSED_PAD src0_sel:DWORD src1_sel:WORD_0
	v_and_b32_e32 v0, s6, v0
	v_lshl_or_b32 v0, v0, 4, v90
	ds_add_u32 v0, v91
	s_branch .LBB1044_649
.LBB1044_724:                           ;   in Loop: Header=BB1044_20 Depth=1
	v_mov_b32_e32 v0, 0
	s_waitcnt lgkmcnt(0)
	s_barrier
	s_and_saveexec_b64 s[20:21], s[4:5]
	s_cbranch_execz .LBB1044_726
; %bb.725:                              ;   in Loop: Header=BB1044_20 Depth=1
	ds_read2_b64 v[24:27], v59 offset1:1
	s_waitcnt lgkmcnt(0)
	v_add_u32_e32 v0, v25, v24
	v_add3_u32 v0, v0, v26, v27
.LBB1044_726:                           ;   in Loop: Header=BB1044_20 Depth=1
	s_or_b64 exec, exec, s[20:21]
	s_nop 0
	v_mov_b32_dpp v1, v0 row_shr:1 row_mask:0xf bank_mask:0xf
	v_cmp_eq_u32_e64 s[20:21], 0, v103
	v_cndmask_b32_e64 v1, v1, 0, s[20:21]
	v_add_u32_e32 v0, v1, v0
	v_cmp_lt_u32_e64 s[22:23], 1, v103
	v_cmp_lt_u32_e64 s[24:25], 3, v103
	v_mov_b32_dpp v1, v0 row_shr:2 row_mask:0xf bank_mask:0xf
	v_cndmask_b32_e64 v1, 0, v1, s[22:23]
	v_add_u32_e32 v0, v0, v1
	v_cmp_lt_u32_e64 s[26:27], 7, v103
	v_cmp_lt_u32_e64 s[30:31], 31, v102
	v_mov_b32_dpp v1, v0 row_shr:4 row_mask:0xf bank_mask:0xf
	v_cndmask_b32_e64 v1, 0, v1, s[24:25]
	v_add_u32_e32 v0, v0, v1
	v_cmp_eq_u32_e64 s[28:29], 0, v105
	s_nop 0
	v_mov_b32_dpp v1, v0 row_shr:8 row_mask:0xf bank_mask:0xf
	v_cndmask_b32_e64 v1, 0, v1, s[26:27]
	v_add_u32_e32 v0, v0, v1
	s_nop 1
	v_mov_b32_dpp v1, v0 row_bcast:15 row_mask:0xf bank_mask:0xf
	v_and_b32_e32 v1, v104, v1
	v_add_u32_e32 v0, v0, v1
	s_nop 1
	v_mov_b32_dpp v1, v0 row_bcast:31 row_mask:0xf bank_mask:0xf
	v_cndmask_b32_e64 v1, 0, v1, s[30:31]
	v_add_u32_e32 v0, v0, v1
	s_mov_b64 s[34:35], exec
	v_readlane_b32 s8, v232, 0
	v_readlane_b32 s9, v232, 1
	s_and_b64 s[8:9], s[34:35], s[8:9]
	s_mov_b64 exec, s[8:9]
	s_cbranch_execz .LBB1044_728
; %bb.727:                              ;   in Loop: Header=BB1044_20 Depth=1
	ds_write_b32 v61, v0
.LBB1044_728:                           ;   in Loop: Header=BB1044_20 Depth=1
	s_or_b64 exec, exec, s[34:35]
	s_waitcnt lgkmcnt(0)
	s_barrier
	s_mov_b64 s[34:35], exec
	v_readlane_b32 s8, v232, 2
	v_readlane_b32 s9, v232, 3
	s_and_b64 s[8:9], s[34:35], s[8:9]
	s_mov_b64 exec, s[8:9]
	s_cbranch_execz .LBB1044_730
; %bb.729:                              ;   in Loop: Header=BB1044_20 Depth=1
	ds_read_b32 v1, v62
	s_waitcnt lgkmcnt(0)
	s_nop 0
	v_mov_b32_dpp v5, v1 row_shr:1 row_mask:0xf bank_mask:0xf
	v_and_b32_e32 v5, v106, v5
	v_add_u32_e32 v1, v5, v1
	ds_write_b32 v62, v1
.LBB1044_730:                           ;   in Loop: Header=BB1044_20 Depth=1
	s_or_b64 exec, exec, s[34:35]
	v_mov_b32_e32 v1, 0
	s_waitcnt lgkmcnt(0)
	s_barrier
	s_and_saveexec_b64 s[34:35], s[10:11]
	s_cbranch_execz .LBB1044_732
; %bb.731:                              ;   in Loop: Header=BB1044_20 Depth=1
	ds_read_b32 v1, v63
.LBB1044_732:                           ;   in Loop: Header=BB1044_20 Depth=1
	s_or_b64 exec, exec, s[34:35]
	v_cmp_lt_i32_e32 vcc, v107, v108
	v_cndmask_b32_e32 v5, v107, v102, vcc
	s_waitcnt lgkmcnt(0)
	v_add_u32_e32 v0, v1, v0
	v_lshlrev_b32_e32 v129, 2, v5
	ds_bpermute_b32 v0, v129, v0
	v_cmp_eq_u32_e64 s[34:35], 0, v102
	s_waitcnt lgkmcnt(0)
	s_barrier
	s_and_saveexec_b64 s[36:37], s[4:5]
	s_cbranch_execz .LBB1044_734
; %bb.733:                              ;   in Loop: Header=BB1044_20 Depth=1
	v_cndmask_b32_e64 v0, v0, v1, s[34:35]
	v_add_u32_e32 v0, s75, v0
	ds_write_b32 v3, v0
.LBB1044_734:                           ;   in Loop: Header=BB1044_20 Depth=1
	s_or_b64 exec, exec, s[36:37]
	s_load_dwordx2 s[8:9], s[96:97], 0x0
	v_add_co_u32_e32 v130, vcc, v86, v110
	v_addc_co_u32_e32 v131, vcc, 0, v87, vcc
	s_waitcnt lgkmcnt(0)
	s_cmp_lt_u32 s74, s8
	s_cselect_b32 s7, 12, 18
	s_cmp_lt_u32 s33, s9
	s_cselect_b32 s8, 14, 20
	s_add_u32 s8, s96, s8
	s_addc_u32 s9, s97, 0
	s_add_u32 s36, s96, s7
	global_load_ushort v5, v4, s[8:9]
	s_addc_u32 s37, s97, 0
	global_load_ushort v56, v4, s[36:37]
	v_add_co_u32_e32 v132, vcc, v88, v128
	v_addc_co_u32_e32 v133, vcc, 0, v89, vcc
	v_add_co_u32_e32 v148, vcc, 0x800, v132
	v_cmp_eq_u32_e64 s[36:37], 0, v109
	v_cmp_lt_u32_e64 s[38:39], 1, v109
	s_mov_b32 s7, s91
	v_addc_co_u32_e32 v151, vcc, 0, v133, vcc
	s_mov_b32 s94, s75
                                        ; implicit-def: $vgpr0_vgpr1
                                        ; implicit-def: $vgpr24_vgpr25
                                        ; implicit-def: $vgpr26_vgpr27
                                        ; implicit-def: $vgpr28_vgpr29
                                        ; implicit-def: $vgpr32_vgpr33
                                        ; implicit-def: $vgpr36_vgpr37
                                        ; implicit-def: $vgpr40_vgpr41
                                        ; implicit-def: $vgpr44_vgpr45
                                        ; implicit-def: $vgpr48_vgpr49
                                        ; implicit-def: $vgpr30_vgpr31
                                        ; implicit-def: $vgpr34_vgpr35
                                        ; implicit-def: $vgpr38_vgpr39
                                        ; implicit-def: $vgpr42_vgpr43
                                        ; implicit-def: $vgpr46_vgpr47
                                        ; implicit-def: $vgpr50_vgpr51
                                        ; implicit-def: $vgpr52_vgpr53
                                        ; implicit-def: $vgpr54_vgpr55
                                        ; implicit-def: $vgpr134
                                        ; implicit-def: $vgpr135
                                        ; implicit-def: $vgpr136
                                        ; implicit-def: $vgpr137
                                        ; implicit-def: $vgpr138
                                        ; implicit-def: $vgpr139
                                        ; implicit-def: $vgpr140
                                        ; implicit-def: $vgpr141
                                        ; implicit-def: $vgpr142
                                        ; implicit-def: $vgpr143
                                        ; implicit-def: $vgpr144
                                        ; implicit-def: $vgpr145
                                        ; implicit-def: $vgpr146
                                        ; implicit-def: $vgpr147
                                        ; implicit-def: $vgpr149
                                        ; implicit-def: $vgpr150
                                        ; implicit-def: $vgpr152
                                        ; implicit-def: $vgpr154
                                        ; implicit-def: $vgpr155
	s_waitcnt vmcnt(1)
	v_mad_u32_u24 v5, v64, v5, v65
	s_waitcnt vmcnt(0)
	v_mad_u64_u32 v[56:57], s[8:9], v5, v56, v[2:3]
	v_lshrrev_b32_e32 v153, 6, v56
	s_branch .LBB1044_736
.LBB1044_735:                           ;   in Loop: Header=BB1044_736 Depth=2
	s_or_b64 exec, exec, s[40:41]
	s_addk_i32 s7, 0xef00
	s_cmp_lt_u32 s8, s98
	s_mov_b32 s94, s8
	s_cbranch_scc0 .LBB1044_958
.LBB1044_736:                           ;   Parent Loop BB1044_20 Depth=1
                                        ; =>  This Inner Loop Header: Depth=2
	s_add_i32 s8, s94, 0x1100
	s_cmp_gt_u32 s8, s98
	s_cbranch_scc1 .LBB1044_739
; %bb.737:                              ;   in Loop: Header=BB1044_736 Depth=2
	s_lshl_b64 s[40:41], s[94:95], 1
	v_mov_b32_e32 v5, s41
	v_add_co_u32_e32 v56, vcc, s40, v132
	v_addc_co_u32_e32 v57, vcc, v133, v5, vcc
	global_load_ushort v5, v[56:57], off
	global_load_ushort v160, v[56:57], off offset:128
	global_load_ushort v165, v[56:57], off offset:256
	;; [unrolled: 1-line block ×15, first 2 shown]
	s_mov_b64 s[40:41], -1
	s_movk_i32 s9, 0x1100
	s_cbranch_execz .LBB1044_740
; %bb.738:                              ;   in Loop: Header=BB1044_736 Depth=2
                                        ; implicit-def: $sgpr42
	v_mov_b32_e32 v166, s42
	v_mov_b32_e32 v156, s7
	s_and_saveexec_b64 s[42:43], s[40:41]
	s_cbranch_execnz .LBB1044_773
	s_branch .LBB1044_774
.LBB1044_739:                           ;   in Loop: Header=BB1044_736 Depth=2
	s_mov_b64 s[40:41], 0
                                        ; implicit-def: $sgpr9
                                        ; implicit-def: $vgpr5
                                        ; implicit-def: $vgpr160
                                        ; implicit-def: $vgpr165
                                        ; implicit-def: $vgpr171
                                        ; implicit-def: $vgpr176
                                        ; implicit-def: $vgpr181
                                        ; implicit-def: $vgpr186
                                        ; implicit-def: $vgpr191
                                        ; implicit-def: $vgpr193
                                        ; implicit-def: $vgpr188
                                        ; implicit-def: $vgpr184
                                        ; implicit-def: $vgpr179
                                        ; implicit-def: $vgpr174
                                        ; implicit-def: $vgpr169
                                        ; implicit-def: $vgpr164
                                        ; implicit-def: $vgpr159
.LBB1044_740:                           ;   in Loop: Header=BB1044_736 Depth=2
	s_lshl_b64 s[40:41], s[94:95], 1
	s_waitcnt vmcnt(15)
	v_mov_b32_e32 v5, s41
	v_add_co_u32_e32 v56, vcc, s40, v132
	v_addc_co_u32_e32 v57, vcc, v133, v5, vcc
	v_cmp_gt_u32_e32 vcc, s7, v111
	s_waitcnt vmcnt(14)
	v_mov_b32_e32 v160, 0x7fff
	v_mov_b32_e32 v5, 0x7fff
	s_and_saveexec_b64 s[40:41], vcc
	s_cbranch_execz .LBB1044_742
; %bb.741:                              ;   in Loop: Header=BB1044_736 Depth=2
	global_load_ushort v5, v[56:57], off
.LBB1044_742:                           ;   in Loop: Header=BB1044_736 Depth=2
	s_or_b64 exec, exec, s[40:41]
	v_cmp_gt_u32_e32 vcc, s7, v112
	s_and_saveexec_b64 s[40:41], vcc
	s_cbranch_execz .LBB1044_744
; %bb.743:                              ;   in Loop: Header=BB1044_736 Depth=2
	global_load_ushort v160, v[56:57], off offset:128
.LBB1044_744:                           ;   in Loop: Header=BB1044_736 Depth=2
	s_or_b64 exec, exec, s[40:41]
	v_cmp_gt_u32_e32 vcc, s7, v113
	s_waitcnt vmcnt(12)
	v_mov_b32_e32 v171, 0x7fff
	v_mov_b32_e32 v165, 0x7fff
	s_and_saveexec_b64 s[40:41], vcc
	s_cbranch_execz .LBB1044_746
; %bb.745:                              ;   in Loop: Header=BB1044_736 Depth=2
	global_load_ushort v165, v[56:57], off offset:256
.LBB1044_746:                           ;   in Loop: Header=BB1044_736 Depth=2
	s_or_b64 exec, exec, s[40:41]
	v_cmp_gt_u32_e32 vcc, s7, v114
	s_and_saveexec_b64 s[40:41], vcc
	s_cbranch_execz .LBB1044_748
; %bb.747:                              ;   in Loop: Header=BB1044_736 Depth=2
	global_load_ushort v171, v[56:57], off offset:384
.LBB1044_748:                           ;   in Loop: Header=BB1044_736 Depth=2
	s_or_b64 exec, exec, s[40:41]
	v_cmp_gt_u32_e32 vcc, s7, v115
	s_waitcnt vmcnt(10)
	v_mov_b32_e32 v181, 0x7fff
	v_mov_b32_e32 v176, 0x7fff
	s_and_saveexec_b64 s[40:41], vcc
	s_cbranch_execz .LBB1044_750
; %bb.749:                              ;   in Loop: Header=BB1044_736 Depth=2
	global_load_ushort v176, v[56:57], off offset:512
.LBB1044_750:                           ;   in Loop: Header=BB1044_736 Depth=2
	;; [unrolled: 17-line block ×7, first 2 shown]
	s_or_b64 exec, exec, s[40:41]
	v_cmp_gt_u32_e32 vcc, s7, v126
	s_and_saveexec_b64 s[40:41], vcc
	s_cbranch_execz .LBB1044_772
; %bb.771:                              ;   in Loop: Header=BB1044_736 Depth=2
	global_load_ushort v159, v[56:57], off offset:1920
.LBB1044_772:                           ;   in Loop: Header=BB1044_736 Depth=2
	s_or_b64 exec, exec, s[40:41]
	s_sub_i32 s9, s98, s94
	v_cmp_gt_u32_e64 s[40:41], s7, v127
	s_movk_i32 s42, 0x7fff
	v_mov_b32_e32 v166, s42
	v_mov_b32_e32 v156, s7
	s_and_saveexec_b64 s[42:43], s[40:41]
	s_cbranch_execz .LBB1044_774
.LBB1044_773:                           ;   in Loop: Header=BB1044_736 Depth=2
	s_lshl_b64 s[40:41], s[94:95], 1
	v_mov_b32_e32 v57, s41
	v_add_co_u32_e32 v56, vcc, s40, v148
	v_addc_co_u32_e32 v57, vcc, v151, v57, vcc
	global_load_ushort v166, v[56:57], off
	v_mov_b32_e32 v156, s9
.LBB1044_774:                           ;   in Loop: Header=BB1044_736 Depth=2
	s_or_b64 exec, exec, s[42:43]
	s_waitcnt vmcnt(15)
	v_xor_b32_e32 v157, 0xffff8000, v5
	v_lshrrev_b32_sdwa v5, s89, v157 dst_sel:DWORD dst_unused:UNUSED_PAD src0_sel:DWORD src1_sel:WORD_0
	v_and_b32_e32 v56, s6, v5
	v_mad_u32_u24 v5, v56, 5, v153
	v_lshl_add_u32 v158, v5, 2, v66
	v_and_b32_e32 v5, 1, v56
	v_add_co_u32_e32 v57, vcc, -1, v5
	v_addc_co_u32_e64 v161, s[40:41], 0, -1, vcc
	v_cmp_ne_u32_e32 vcc, 0, v5
	v_xor_b32_e32 v5, vcc_hi, v161
	v_and_b32_e32 v161, exec_hi, v5
	v_lshlrev_b32_e32 v5, 30, v56
	v_xor_b32_e32 v57, vcc_lo, v57
	v_cmp_gt_i64_e32 vcc, 0, v[4:5]
	v_not_b32_e32 v5, v5
	v_ashrrev_i32_e32 v5, 31, v5
	v_and_b32_e32 v57, exec_lo, v57
	v_xor_b32_e32 v162, vcc_hi, v5
	v_xor_b32_e32 v5, vcc_lo, v5
	v_and_b32_e32 v57, v57, v5
	v_lshlrev_b32_e32 v5, 29, v56
	v_cmp_gt_i64_e32 vcc, 0, v[4:5]
	v_not_b32_e32 v5, v5
	v_ashrrev_i32_e32 v5, 31, v5
	v_and_b32_e32 v161, v161, v162
	v_xor_b32_e32 v162, vcc_hi, v5
	v_xor_b32_e32 v5, vcc_lo, v5
	v_and_b32_e32 v57, v57, v5
	v_lshlrev_b32_e32 v5, 28, v56
	v_cmp_gt_i64_e32 vcc, 0, v[4:5]
	v_not_b32_e32 v5, v5
	v_ashrrev_i32_e32 v5, 31, v5
	v_and_b32_e32 v161, v161, v162
	;; [unrolled: 8-line block ×4, first 2 shown]
	v_xor_b32_e32 v162, vcc_hi, v5
	v_xor_b32_e32 v5, vcc_lo, v5
	v_and_b32_e32 v161, v161, v162
	v_and_b32_e32 v162, v57, v5
	v_lshlrev_b32_e32 v5, 25, v56
	v_cmp_gt_i64_e32 vcc, 0, v[4:5]
	v_not_b32_e32 v5, v5
	v_ashrrev_i32_e32 v5, 31, v5
	v_xor_b32_e32 v56, vcc_hi, v5
	v_xor_b32_e32 v5, vcc_lo, v5
	v_and_b32_e32 v57, v161, v56
	v_and_b32_e32 v56, v162, v5
	v_mbcnt_lo_u32_b32 v5, v56, 0
	v_mbcnt_hi_u32_b32 v161, v57, v5
	v_cmp_eq_u32_e32 vcc, 0, v161
	v_cmp_ne_u64_e64 s[40:41], 0, v[56:57]
	s_and_b64 s[42:43], s[40:41], vcc
	ds_write2_b32 v58, v4, v4 offset0:132 offset1:133
	ds_write_b32 v67, v4 offset:8
	s_waitcnt lgkmcnt(0)
	s_barrier
	s_waitcnt lgkmcnt(0)
	; wave barrier
	s_and_saveexec_b64 s[40:41], s[42:43]
	s_cbranch_execz .LBB1044_776
; %bb.775:                              ;   in Loop: Header=BB1044_736 Depth=2
	v_bcnt_u32_b32 v5, v56, 0
	v_bcnt_u32_b32 v5, v57, v5
	ds_write_b32 v158, v5
.LBB1044_776:                           ;   in Loop: Header=BB1044_736 Depth=2
	s_or_b64 exec, exec, s[40:41]
	s_waitcnt vmcnt(14)
	v_xor_b32_e32 v160, 0xffff8000, v160
	v_lshrrev_b32_sdwa v5, s89, v160 dst_sel:DWORD dst_unused:UNUSED_PAD src0_sel:DWORD src1_sel:WORD_0
	v_and_b32_e32 v56, s6, v5
	v_mul_u32_u24_e32 v5, 5, v56
	v_add_lshl_u32 v5, v5, v153, 2
	; wave barrier
	v_add_u32_e32 v163, 0x210, v5
	ds_read_b32 v162, v5 offset:528
	v_and_b32_e32 v5, 1, v56
	v_add_co_u32_e32 v57, vcc, -1, v5
	v_addc_co_u32_e64 v167, s[40:41], 0, -1, vcc
	v_cmp_ne_u32_e32 vcc, 0, v5
	v_xor_b32_e32 v5, vcc_hi, v167
	v_and_b32_e32 v167, exec_hi, v5
	v_lshlrev_b32_e32 v5, 30, v56
	v_xor_b32_e32 v57, vcc_lo, v57
	v_cmp_gt_i64_e32 vcc, 0, v[4:5]
	v_not_b32_e32 v5, v5
	v_ashrrev_i32_e32 v5, 31, v5
	v_and_b32_e32 v57, exec_lo, v57
	v_xor_b32_e32 v168, vcc_hi, v5
	v_xor_b32_e32 v5, vcc_lo, v5
	v_and_b32_e32 v57, v57, v5
	v_lshlrev_b32_e32 v5, 29, v56
	v_cmp_gt_i64_e32 vcc, 0, v[4:5]
	v_not_b32_e32 v5, v5
	v_ashrrev_i32_e32 v5, 31, v5
	v_and_b32_e32 v167, v167, v168
	v_xor_b32_e32 v168, vcc_hi, v5
	v_xor_b32_e32 v5, vcc_lo, v5
	v_and_b32_e32 v57, v57, v5
	v_lshlrev_b32_e32 v5, 28, v56
	v_cmp_gt_i64_e32 vcc, 0, v[4:5]
	v_not_b32_e32 v5, v5
	v_ashrrev_i32_e32 v5, 31, v5
	v_and_b32_e32 v167, v167, v168
	v_xor_b32_e32 v168, vcc_hi, v5
	v_xor_b32_e32 v5, vcc_lo, v5
	v_and_b32_e32 v57, v57, v5
	v_lshlrev_b32_e32 v5, 27, v56
	v_cmp_gt_i64_e32 vcc, 0, v[4:5]
	v_not_b32_e32 v5, v5
	v_ashrrev_i32_e32 v5, 31, v5
	v_and_b32_e32 v167, v167, v168
	v_xor_b32_e32 v168, vcc_hi, v5
	v_xor_b32_e32 v5, vcc_lo, v5
	v_and_b32_e32 v57, v57, v5
	v_lshlrev_b32_e32 v5, 26, v56
	v_cmp_gt_i64_e32 vcc, 0, v[4:5]
	v_not_b32_e32 v5, v5
	v_ashrrev_i32_e32 v5, 31, v5
	v_and_b32_e32 v167, v167, v168
	v_xor_b32_e32 v168, vcc_hi, v5
	v_xor_b32_e32 v5, vcc_lo, v5
	v_and_b32_e32 v167, v167, v168
	v_and_b32_e32 v168, v57, v5
	v_lshlrev_b32_e32 v5, 25, v56
	v_cmp_gt_i64_e32 vcc, 0, v[4:5]
	v_not_b32_e32 v5, v5
	v_ashrrev_i32_e32 v5, 31, v5
	v_xor_b32_e32 v56, vcc_hi, v5
	v_xor_b32_e32 v5, vcc_lo, v5
	v_and_b32_e32 v57, v167, v56
	v_and_b32_e32 v56, v168, v5
	v_mbcnt_lo_u32_b32 v5, v56, 0
	v_mbcnt_hi_u32_b32 v167, v57, v5
	v_cmp_eq_u32_e32 vcc, 0, v167
	v_cmp_ne_u64_e64 s[40:41], 0, v[56:57]
	s_and_b64 s[42:43], s[40:41], vcc
	; wave barrier
	s_and_saveexec_b64 s[40:41], s[42:43]
	s_cbranch_execz .LBB1044_778
; %bb.777:                              ;   in Loop: Header=BB1044_736 Depth=2
	v_bcnt_u32_b32 v5, v56, 0
	v_bcnt_u32_b32 v5, v57, v5
	s_waitcnt lgkmcnt(0)
	v_add_u32_e32 v5, v162, v5
	ds_write_b32 v163, v5
.LBB1044_778:                           ;   in Loop: Header=BB1044_736 Depth=2
	s_or_b64 exec, exec, s[40:41]
	s_waitcnt vmcnt(13)
	v_xor_b32_e32 v165, 0xffff8000, v165
	v_lshrrev_b32_sdwa v5, s89, v165 dst_sel:DWORD dst_unused:UNUSED_PAD src0_sel:DWORD src1_sel:WORD_0
	v_and_b32_e32 v56, s6, v5
	v_mul_u32_u24_e32 v5, 5, v56
	v_add_lshl_u32 v5, v5, v153, 2
	; wave barrier
	v_add_u32_e32 v170, 0x210, v5
	ds_read_b32 v168, v5 offset:528
	v_and_b32_e32 v5, 1, v56
	v_add_co_u32_e32 v57, vcc, -1, v5
	v_addc_co_u32_e64 v172, s[40:41], 0, -1, vcc
	v_cmp_ne_u32_e32 vcc, 0, v5
	v_xor_b32_e32 v5, vcc_hi, v172
	v_and_b32_e32 v172, exec_hi, v5
	v_lshlrev_b32_e32 v5, 30, v56
	v_xor_b32_e32 v57, vcc_lo, v57
	v_cmp_gt_i64_e32 vcc, 0, v[4:5]
	v_not_b32_e32 v5, v5
	v_ashrrev_i32_e32 v5, 31, v5
	v_and_b32_e32 v57, exec_lo, v57
	v_xor_b32_e32 v173, vcc_hi, v5
	v_xor_b32_e32 v5, vcc_lo, v5
	v_and_b32_e32 v57, v57, v5
	v_lshlrev_b32_e32 v5, 29, v56
	v_cmp_gt_i64_e32 vcc, 0, v[4:5]
	v_not_b32_e32 v5, v5
	v_ashrrev_i32_e32 v5, 31, v5
	v_and_b32_e32 v172, v172, v173
	v_xor_b32_e32 v173, vcc_hi, v5
	v_xor_b32_e32 v5, vcc_lo, v5
	v_and_b32_e32 v57, v57, v5
	v_lshlrev_b32_e32 v5, 28, v56
	v_cmp_gt_i64_e32 vcc, 0, v[4:5]
	v_not_b32_e32 v5, v5
	v_ashrrev_i32_e32 v5, 31, v5
	v_and_b32_e32 v172, v172, v173
	;; [unrolled: 8-line block ×4, first 2 shown]
	v_xor_b32_e32 v173, vcc_hi, v5
	v_xor_b32_e32 v5, vcc_lo, v5
	v_and_b32_e32 v172, v172, v173
	v_and_b32_e32 v173, v57, v5
	v_lshlrev_b32_e32 v5, 25, v56
	v_cmp_gt_i64_e32 vcc, 0, v[4:5]
	v_not_b32_e32 v5, v5
	v_ashrrev_i32_e32 v5, 31, v5
	v_xor_b32_e32 v56, vcc_hi, v5
	v_xor_b32_e32 v5, vcc_lo, v5
	v_and_b32_e32 v57, v172, v56
	v_and_b32_e32 v56, v173, v5
	v_mbcnt_lo_u32_b32 v5, v56, 0
	v_mbcnt_hi_u32_b32 v172, v57, v5
	v_cmp_eq_u32_e32 vcc, 0, v172
	v_cmp_ne_u64_e64 s[40:41], 0, v[56:57]
	s_and_b64 s[42:43], s[40:41], vcc
	; wave barrier
	s_and_saveexec_b64 s[40:41], s[42:43]
	s_cbranch_execz .LBB1044_780
; %bb.779:                              ;   in Loop: Header=BB1044_736 Depth=2
	v_bcnt_u32_b32 v5, v56, 0
	v_bcnt_u32_b32 v5, v57, v5
	s_waitcnt lgkmcnt(0)
	v_add_u32_e32 v5, v168, v5
	ds_write_b32 v170, v5
.LBB1044_780:                           ;   in Loop: Header=BB1044_736 Depth=2
	s_or_b64 exec, exec, s[40:41]
	s_waitcnt vmcnt(12)
	v_xor_b32_e32 v171, 0xffff8000, v171
	v_lshrrev_b32_sdwa v5, s89, v171 dst_sel:DWORD dst_unused:UNUSED_PAD src0_sel:DWORD src1_sel:WORD_0
	v_and_b32_e32 v56, s6, v5
	v_mul_u32_u24_e32 v5, 5, v56
	v_add_lshl_u32 v5, v5, v153, 2
	; wave barrier
	v_add_u32_e32 v175, 0x210, v5
	ds_read_b32 v173, v5 offset:528
	v_and_b32_e32 v5, 1, v56
	v_add_co_u32_e32 v57, vcc, -1, v5
	v_addc_co_u32_e64 v177, s[40:41], 0, -1, vcc
	v_cmp_ne_u32_e32 vcc, 0, v5
	v_xor_b32_e32 v5, vcc_hi, v177
	v_and_b32_e32 v177, exec_hi, v5
	v_lshlrev_b32_e32 v5, 30, v56
	v_xor_b32_e32 v57, vcc_lo, v57
	v_cmp_gt_i64_e32 vcc, 0, v[4:5]
	v_not_b32_e32 v5, v5
	v_ashrrev_i32_e32 v5, 31, v5
	v_and_b32_e32 v57, exec_lo, v57
	v_xor_b32_e32 v178, vcc_hi, v5
	v_xor_b32_e32 v5, vcc_lo, v5
	v_and_b32_e32 v57, v57, v5
	v_lshlrev_b32_e32 v5, 29, v56
	v_cmp_gt_i64_e32 vcc, 0, v[4:5]
	v_not_b32_e32 v5, v5
	v_ashrrev_i32_e32 v5, 31, v5
	v_and_b32_e32 v177, v177, v178
	v_xor_b32_e32 v178, vcc_hi, v5
	v_xor_b32_e32 v5, vcc_lo, v5
	v_and_b32_e32 v57, v57, v5
	v_lshlrev_b32_e32 v5, 28, v56
	v_cmp_gt_i64_e32 vcc, 0, v[4:5]
	v_not_b32_e32 v5, v5
	v_ashrrev_i32_e32 v5, 31, v5
	v_and_b32_e32 v177, v177, v178
	;; [unrolled: 8-line block ×4, first 2 shown]
	v_xor_b32_e32 v178, vcc_hi, v5
	v_xor_b32_e32 v5, vcc_lo, v5
	v_and_b32_e32 v177, v177, v178
	v_and_b32_e32 v178, v57, v5
	v_lshlrev_b32_e32 v5, 25, v56
	v_cmp_gt_i64_e32 vcc, 0, v[4:5]
	v_not_b32_e32 v5, v5
	v_ashrrev_i32_e32 v5, 31, v5
	v_xor_b32_e32 v56, vcc_hi, v5
	v_xor_b32_e32 v5, vcc_lo, v5
	v_and_b32_e32 v57, v177, v56
	v_and_b32_e32 v56, v178, v5
	v_mbcnt_lo_u32_b32 v5, v56, 0
	v_mbcnt_hi_u32_b32 v177, v57, v5
	v_cmp_eq_u32_e32 vcc, 0, v177
	v_cmp_ne_u64_e64 s[40:41], 0, v[56:57]
	s_and_b64 s[42:43], s[40:41], vcc
	; wave barrier
	s_and_saveexec_b64 s[40:41], s[42:43]
	s_cbranch_execz .LBB1044_782
; %bb.781:                              ;   in Loop: Header=BB1044_736 Depth=2
	v_bcnt_u32_b32 v5, v56, 0
	v_bcnt_u32_b32 v5, v57, v5
	s_waitcnt lgkmcnt(0)
	v_add_u32_e32 v5, v173, v5
	ds_write_b32 v175, v5
.LBB1044_782:                           ;   in Loop: Header=BB1044_736 Depth=2
	s_or_b64 exec, exec, s[40:41]
	s_waitcnt vmcnt(11)
	v_xor_b32_e32 v176, 0xffff8000, v176
	v_lshrrev_b32_sdwa v5, s89, v176 dst_sel:DWORD dst_unused:UNUSED_PAD src0_sel:DWORD src1_sel:WORD_0
	v_and_b32_e32 v56, s6, v5
	v_mul_u32_u24_e32 v5, 5, v56
	v_add_lshl_u32 v5, v5, v153, 2
	; wave barrier
	v_add_u32_e32 v180, 0x210, v5
	ds_read_b32 v178, v5 offset:528
	v_and_b32_e32 v5, 1, v56
	v_add_co_u32_e32 v57, vcc, -1, v5
	v_addc_co_u32_e64 v182, s[40:41], 0, -1, vcc
	v_cmp_ne_u32_e32 vcc, 0, v5
	v_xor_b32_e32 v5, vcc_hi, v182
	v_and_b32_e32 v182, exec_hi, v5
	v_lshlrev_b32_e32 v5, 30, v56
	v_xor_b32_e32 v57, vcc_lo, v57
	v_cmp_gt_i64_e32 vcc, 0, v[4:5]
	v_not_b32_e32 v5, v5
	v_ashrrev_i32_e32 v5, 31, v5
	v_and_b32_e32 v57, exec_lo, v57
	v_xor_b32_e32 v183, vcc_hi, v5
	v_xor_b32_e32 v5, vcc_lo, v5
	v_and_b32_e32 v57, v57, v5
	v_lshlrev_b32_e32 v5, 29, v56
	v_cmp_gt_i64_e32 vcc, 0, v[4:5]
	v_not_b32_e32 v5, v5
	v_ashrrev_i32_e32 v5, 31, v5
	v_and_b32_e32 v182, v182, v183
	v_xor_b32_e32 v183, vcc_hi, v5
	v_xor_b32_e32 v5, vcc_lo, v5
	v_and_b32_e32 v57, v57, v5
	v_lshlrev_b32_e32 v5, 28, v56
	v_cmp_gt_i64_e32 vcc, 0, v[4:5]
	v_not_b32_e32 v5, v5
	v_ashrrev_i32_e32 v5, 31, v5
	v_and_b32_e32 v182, v182, v183
	;; [unrolled: 8-line block ×4, first 2 shown]
	v_xor_b32_e32 v183, vcc_hi, v5
	v_xor_b32_e32 v5, vcc_lo, v5
	v_and_b32_e32 v182, v182, v183
	v_and_b32_e32 v183, v57, v5
	v_lshlrev_b32_e32 v5, 25, v56
	v_cmp_gt_i64_e32 vcc, 0, v[4:5]
	v_not_b32_e32 v5, v5
	v_ashrrev_i32_e32 v5, 31, v5
	v_xor_b32_e32 v56, vcc_hi, v5
	v_xor_b32_e32 v5, vcc_lo, v5
	v_and_b32_e32 v57, v182, v56
	v_and_b32_e32 v56, v183, v5
	v_mbcnt_lo_u32_b32 v5, v56, 0
	v_mbcnt_hi_u32_b32 v182, v57, v5
	v_cmp_eq_u32_e32 vcc, 0, v182
	v_cmp_ne_u64_e64 s[40:41], 0, v[56:57]
	s_and_b64 s[42:43], s[40:41], vcc
	; wave barrier
	s_and_saveexec_b64 s[40:41], s[42:43]
	s_cbranch_execz .LBB1044_784
; %bb.783:                              ;   in Loop: Header=BB1044_736 Depth=2
	v_bcnt_u32_b32 v5, v56, 0
	v_bcnt_u32_b32 v5, v57, v5
	s_waitcnt lgkmcnt(0)
	v_add_u32_e32 v5, v178, v5
	ds_write_b32 v180, v5
.LBB1044_784:                           ;   in Loop: Header=BB1044_736 Depth=2
	s_or_b64 exec, exec, s[40:41]
	s_waitcnt vmcnt(10)
	v_xor_b32_e32 v181, 0xffff8000, v181
	v_lshrrev_b32_sdwa v5, s89, v181 dst_sel:DWORD dst_unused:UNUSED_PAD src0_sel:DWORD src1_sel:WORD_0
	v_and_b32_e32 v56, s6, v5
	v_mul_u32_u24_e32 v5, 5, v56
	v_add_lshl_u32 v5, v5, v153, 2
	; wave barrier
	v_add_u32_e32 v185, 0x210, v5
	ds_read_b32 v183, v5 offset:528
	v_and_b32_e32 v5, 1, v56
	v_add_co_u32_e32 v57, vcc, -1, v5
	v_addc_co_u32_e64 v187, s[40:41], 0, -1, vcc
	v_cmp_ne_u32_e32 vcc, 0, v5
	v_xor_b32_e32 v5, vcc_hi, v187
	v_and_b32_e32 v187, exec_hi, v5
	v_lshlrev_b32_e32 v5, 30, v56
	v_xor_b32_e32 v57, vcc_lo, v57
	v_cmp_gt_i64_e32 vcc, 0, v[4:5]
	v_not_b32_e32 v5, v5
	v_ashrrev_i32_e32 v5, 31, v5
	v_and_b32_e32 v57, exec_lo, v57
	v_xor_b32_e32 v189, vcc_hi, v5
	v_xor_b32_e32 v5, vcc_lo, v5
	v_and_b32_e32 v57, v57, v5
	v_lshlrev_b32_e32 v5, 29, v56
	v_cmp_gt_i64_e32 vcc, 0, v[4:5]
	v_not_b32_e32 v5, v5
	v_ashrrev_i32_e32 v5, 31, v5
	v_and_b32_e32 v187, v187, v189
	v_xor_b32_e32 v189, vcc_hi, v5
	v_xor_b32_e32 v5, vcc_lo, v5
	v_and_b32_e32 v57, v57, v5
	v_lshlrev_b32_e32 v5, 28, v56
	v_cmp_gt_i64_e32 vcc, 0, v[4:5]
	v_not_b32_e32 v5, v5
	v_ashrrev_i32_e32 v5, 31, v5
	v_and_b32_e32 v187, v187, v189
	;; [unrolled: 8-line block ×4, first 2 shown]
	v_xor_b32_e32 v189, vcc_hi, v5
	v_xor_b32_e32 v5, vcc_lo, v5
	v_and_b32_e32 v187, v187, v189
	v_and_b32_e32 v189, v57, v5
	v_lshlrev_b32_e32 v5, 25, v56
	v_cmp_gt_i64_e32 vcc, 0, v[4:5]
	v_not_b32_e32 v5, v5
	v_ashrrev_i32_e32 v5, 31, v5
	v_xor_b32_e32 v56, vcc_hi, v5
	v_xor_b32_e32 v5, vcc_lo, v5
	v_and_b32_e32 v57, v187, v56
	v_and_b32_e32 v56, v189, v5
	v_mbcnt_lo_u32_b32 v5, v56, 0
	v_mbcnt_hi_u32_b32 v187, v57, v5
	v_cmp_eq_u32_e32 vcc, 0, v187
	v_cmp_ne_u64_e64 s[40:41], 0, v[56:57]
	s_and_b64 s[42:43], s[40:41], vcc
	; wave barrier
	s_and_saveexec_b64 s[40:41], s[42:43]
	s_cbranch_execz .LBB1044_786
; %bb.785:                              ;   in Loop: Header=BB1044_736 Depth=2
	v_bcnt_u32_b32 v5, v56, 0
	v_bcnt_u32_b32 v5, v57, v5
	s_waitcnt lgkmcnt(0)
	v_add_u32_e32 v5, v183, v5
	ds_write_b32 v185, v5
.LBB1044_786:                           ;   in Loop: Header=BB1044_736 Depth=2
	s_or_b64 exec, exec, s[40:41]
	s_waitcnt vmcnt(9)
	v_xor_b32_e32 v186, 0xffff8000, v186
	v_lshrrev_b32_sdwa v5, s89, v186 dst_sel:DWORD dst_unused:UNUSED_PAD src0_sel:DWORD src1_sel:WORD_0
	v_and_b32_e32 v56, s6, v5
	v_mul_u32_u24_e32 v5, 5, v56
	v_add_lshl_u32 v5, v5, v153, 2
	; wave barrier
	v_add_u32_e32 v190, 0x210, v5
	ds_read_b32 v189, v5 offset:528
	v_and_b32_e32 v5, 1, v56
	v_add_co_u32_e32 v57, vcc, -1, v5
	v_addc_co_u32_e64 v192, s[40:41], 0, -1, vcc
	v_cmp_ne_u32_e32 vcc, 0, v5
	v_xor_b32_e32 v5, vcc_hi, v192
	v_and_b32_e32 v192, exec_hi, v5
	v_lshlrev_b32_e32 v5, 30, v56
	v_xor_b32_e32 v57, vcc_lo, v57
	v_cmp_gt_i64_e32 vcc, 0, v[4:5]
	v_not_b32_e32 v5, v5
	v_ashrrev_i32_e32 v5, 31, v5
	v_and_b32_e32 v57, exec_lo, v57
	v_xor_b32_e32 v194, vcc_hi, v5
	v_xor_b32_e32 v5, vcc_lo, v5
	v_and_b32_e32 v57, v57, v5
	v_lshlrev_b32_e32 v5, 29, v56
	v_cmp_gt_i64_e32 vcc, 0, v[4:5]
	v_not_b32_e32 v5, v5
	v_ashrrev_i32_e32 v5, 31, v5
	v_and_b32_e32 v192, v192, v194
	v_xor_b32_e32 v194, vcc_hi, v5
	v_xor_b32_e32 v5, vcc_lo, v5
	v_and_b32_e32 v57, v57, v5
	v_lshlrev_b32_e32 v5, 28, v56
	v_cmp_gt_i64_e32 vcc, 0, v[4:5]
	v_not_b32_e32 v5, v5
	v_ashrrev_i32_e32 v5, 31, v5
	v_and_b32_e32 v192, v192, v194
	;; [unrolled: 8-line block ×4, first 2 shown]
	v_xor_b32_e32 v194, vcc_hi, v5
	v_xor_b32_e32 v5, vcc_lo, v5
	v_and_b32_e32 v192, v192, v194
	v_and_b32_e32 v194, v57, v5
	v_lshlrev_b32_e32 v5, 25, v56
	v_cmp_gt_i64_e32 vcc, 0, v[4:5]
	v_not_b32_e32 v5, v5
	v_ashrrev_i32_e32 v5, 31, v5
	v_xor_b32_e32 v56, vcc_hi, v5
	v_xor_b32_e32 v5, vcc_lo, v5
	v_and_b32_e32 v57, v192, v56
	v_and_b32_e32 v56, v194, v5
	v_mbcnt_lo_u32_b32 v5, v56, 0
	v_mbcnt_hi_u32_b32 v192, v57, v5
	v_cmp_eq_u32_e32 vcc, 0, v192
	v_cmp_ne_u64_e64 s[40:41], 0, v[56:57]
	s_and_b64 s[42:43], s[40:41], vcc
	; wave barrier
	s_and_saveexec_b64 s[40:41], s[42:43]
	s_cbranch_execz .LBB1044_788
; %bb.787:                              ;   in Loop: Header=BB1044_736 Depth=2
	v_bcnt_u32_b32 v5, v56, 0
	v_bcnt_u32_b32 v5, v57, v5
	s_waitcnt lgkmcnt(0)
	v_add_u32_e32 v5, v189, v5
	ds_write_b32 v190, v5
.LBB1044_788:                           ;   in Loop: Header=BB1044_736 Depth=2
	s_or_b64 exec, exec, s[40:41]
	s_waitcnt vmcnt(8)
	v_xor_b32_e32 v191, 0xffff8000, v191
	v_lshrrev_b32_sdwa v5, s89, v191 dst_sel:DWORD dst_unused:UNUSED_PAD src0_sel:DWORD src1_sel:WORD_0
	v_and_b32_e32 v56, s6, v5
	v_mul_u32_u24_e32 v5, 5, v56
	v_add_lshl_u32 v5, v5, v153, 2
	; wave barrier
	v_add_u32_e32 v195, 0x210, v5
	ds_read_b32 v194, v5 offset:528
	v_and_b32_e32 v5, 1, v56
	v_add_co_u32_e32 v57, vcc, -1, v5
	v_addc_co_u32_e64 v196, s[40:41], 0, -1, vcc
	v_cmp_ne_u32_e32 vcc, 0, v5
	v_xor_b32_e32 v5, vcc_hi, v196
	v_and_b32_e32 v196, exec_hi, v5
	v_lshlrev_b32_e32 v5, 30, v56
	v_xor_b32_e32 v57, vcc_lo, v57
	v_cmp_gt_i64_e32 vcc, 0, v[4:5]
	v_not_b32_e32 v5, v5
	v_ashrrev_i32_e32 v5, 31, v5
	v_and_b32_e32 v57, exec_lo, v57
	v_xor_b32_e32 v197, vcc_hi, v5
	v_xor_b32_e32 v5, vcc_lo, v5
	v_and_b32_e32 v57, v57, v5
	v_lshlrev_b32_e32 v5, 29, v56
	v_cmp_gt_i64_e32 vcc, 0, v[4:5]
	v_not_b32_e32 v5, v5
	v_ashrrev_i32_e32 v5, 31, v5
	v_and_b32_e32 v196, v196, v197
	v_xor_b32_e32 v197, vcc_hi, v5
	v_xor_b32_e32 v5, vcc_lo, v5
	v_and_b32_e32 v57, v57, v5
	v_lshlrev_b32_e32 v5, 28, v56
	v_cmp_gt_i64_e32 vcc, 0, v[4:5]
	v_not_b32_e32 v5, v5
	v_ashrrev_i32_e32 v5, 31, v5
	v_and_b32_e32 v196, v196, v197
	;; [unrolled: 8-line block ×4, first 2 shown]
	v_xor_b32_e32 v197, vcc_hi, v5
	v_xor_b32_e32 v5, vcc_lo, v5
	v_and_b32_e32 v196, v196, v197
	v_and_b32_e32 v197, v57, v5
	v_lshlrev_b32_e32 v5, 25, v56
	v_cmp_gt_i64_e32 vcc, 0, v[4:5]
	v_not_b32_e32 v5, v5
	v_ashrrev_i32_e32 v5, 31, v5
	v_xor_b32_e32 v56, vcc_hi, v5
	v_xor_b32_e32 v5, vcc_lo, v5
	v_and_b32_e32 v57, v196, v56
	v_and_b32_e32 v56, v197, v5
	v_mbcnt_lo_u32_b32 v5, v56, 0
	v_mbcnt_hi_u32_b32 v196, v57, v5
	v_cmp_eq_u32_e32 vcc, 0, v196
	v_cmp_ne_u64_e64 s[40:41], 0, v[56:57]
	s_and_b64 s[42:43], s[40:41], vcc
	; wave barrier
	s_and_saveexec_b64 s[40:41], s[42:43]
	s_cbranch_execz .LBB1044_790
; %bb.789:                              ;   in Loop: Header=BB1044_736 Depth=2
	v_bcnt_u32_b32 v5, v56, 0
	v_bcnt_u32_b32 v5, v57, v5
	s_waitcnt lgkmcnt(0)
	v_add_u32_e32 v5, v194, v5
	ds_write_b32 v195, v5
.LBB1044_790:                           ;   in Loop: Header=BB1044_736 Depth=2
	s_or_b64 exec, exec, s[40:41]
	s_waitcnt vmcnt(7)
	v_xor_b32_e32 v193, 0xffff8000, v193
	v_lshrrev_b32_sdwa v5, s89, v193 dst_sel:DWORD dst_unused:UNUSED_PAD src0_sel:DWORD src1_sel:WORD_0
	v_and_b32_e32 v56, s6, v5
	v_mul_u32_u24_e32 v5, 5, v56
	v_add_lshl_u32 v5, v5, v153, 2
	; wave barrier
	v_add_u32_e32 v198, 0x210, v5
	ds_read_b32 v197, v5 offset:528
	v_and_b32_e32 v5, 1, v56
	v_add_co_u32_e32 v57, vcc, -1, v5
	v_addc_co_u32_e64 v199, s[40:41], 0, -1, vcc
	v_cmp_ne_u32_e32 vcc, 0, v5
	v_xor_b32_e32 v5, vcc_hi, v199
	v_and_b32_e32 v199, exec_hi, v5
	v_lshlrev_b32_e32 v5, 30, v56
	v_xor_b32_e32 v57, vcc_lo, v57
	v_cmp_gt_i64_e32 vcc, 0, v[4:5]
	v_not_b32_e32 v5, v5
	v_ashrrev_i32_e32 v5, 31, v5
	v_and_b32_e32 v57, exec_lo, v57
	v_xor_b32_e32 v200, vcc_hi, v5
	v_xor_b32_e32 v5, vcc_lo, v5
	v_and_b32_e32 v57, v57, v5
	v_lshlrev_b32_e32 v5, 29, v56
	v_cmp_gt_i64_e32 vcc, 0, v[4:5]
	v_not_b32_e32 v5, v5
	v_ashrrev_i32_e32 v5, 31, v5
	v_and_b32_e32 v199, v199, v200
	v_xor_b32_e32 v200, vcc_hi, v5
	v_xor_b32_e32 v5, vcc_lo, v5
	v_and_b32_e32 v57, v57, v5
	v_lshlrev_b32_e32 v5, 28, v56
	v_cmp_gt_i64_e32 vcc, 0, v[4:5]
	v_not_b32_e32 v5, v5
	v_ashrrev_i32_e32 v5, 31, v5
	v_and_b32_e32 v199, v199, v200
	;; [unrolled: 8-line block ×4, first 2 shown]
	v_xor_b32_e32 v200, vcc_hi, v5
	v_xor_b32_e32 v5, vcc_lo, v5
	v_and_b32_e32 v199, v199, v200
	v_and_b32_e32 v200, v57, v5
	v_lshlrev_b32_e32 v5, 25, v56
	v_cmp_gt_i64_e32 vcc, 0, v[4:5]
	v_not_b32_e32 v5, v5
	v_ashrrev_i32_e32 v5, 31, v5
	v_xor_b32_e32 v56, vcc_hi, v5
	v_xor_b32_e32 v5, vcc_lo, v5
	v_and_b32_e32 v57, v199, v56
	v_and_b32_e32 v56, v200, v5
	v_mbcnt_lo_u32_b32 v5, v56, 0
	v_mbcnt_hi_u32_b32 v199, v57, v5
	v_cmp_eq_u32_e32 vcc, 0, v199
	v_cmp_ne_u64_e64 s[40:41], 0, v[56:57]
	s_and_b64 s[42:43], s[40:41], vcc
	; wave barrier
	s_and_saveexec_b64 s[40:41], s[42:43]
	s_cbranch_execz .LBB1044_792
; %bb.791:                              ;   in Loop: Header=BB1044_736 Depth=2
	v_bcnt_u32_b32 v5, v56, 0
	v_bcnt_u32_b32 v5, v57, v5
	s_waitcnt lgkmcnt(0)
	v_add_u32_e32 v5, v197, v5
	ds_write_b32 v198, v5
.LBB1044_792:                           ;   in Loop: Header=BB1044_736 Depth=2
	s_or_b64 exec, exec, s[40:41]
	s_waitcnt vmcnt(6)
	v_xor_b32_e32 v188, 0xffff8000, v188
	v_lshrrev_b32_sdwa v5, s89, v188 dst_sel:DWORD dst_unused:UNUSED_PAD src0_sel:DWORD src1_sel:WORD_0
	v_and_b32_e32 v56, s6, v5
	v_mul_u32_u24_e32 v5, 5, v56
	v_add_lshl_u32 v5, v5, v153, 2
	; wave barrier
	v_add_u32_e32 v201, 0x210, v5
	ds_read_b32 v200, v5 offset:528
	v_and_b32_e32 v5, 1, v56
	v_add_co_u32_e32 v57, vcc, -1, v5
	v_addc_co_u32_e64 v202, s[40:41], 0, -1, vcc
	v_cmp_ne_u32_e32 vcc, 0, v5
	v_xor_b32_e32 v5, vcc_hi, v202
	v_and_b32_e32 v202, exec_hi, v5
	v_lshlrev_b32_e32 v5, 30, v56
	v_xor_b32_e32 v57, vcc_lo, v57
	v_cmp_gt_i64_e32 vcc, 0, v[4:5]
	v_not_b32_e32 v5, v5
	v_ashrrev_i32_e32 v5, 31, v5
	v_and_b32_e32 v57, exec_lo, v57
	v_xor_b32_e32 v203, vcc_hi, v5
	v_xor_b32_e32 v5, vcc_lo, v5
	v_and_b32_e32 v57, v57, v5
	v_lshlrev_b32_e32 v5, 29, v56
	v_cmp_gt_i64_e32 vcc, 0, v[4:5]
	v_not_b32_e32 v5, v5
	v_ashrrev_i32_e32 v5, 31, v5
	v_and_b32_e32 v202, v202, v203
	v_xor_b32_e32 v203, vcc_hi, v5
	v_xor_b32_e32 v5, vcc_lo, v5
	v_and_b32_e32 v57, v57, v5
	v_lshlrev_b32_e32 v5, 28, v56
	v_cmp_gt_i64_e32 vcc, 0, v[4:5]
	v_not_b32_e32 v5, v5
	v_ashrrev_i32_e32 v5, 31, v5
	v_and_b32_e32 v202, v202, v203
	;; [unrolled: 8-line block ×4, first 2 shown]
	v_xor_b32_e32 v203, vcc_hi, v5
	v_xor_b32_e32 v5, vcc_lo, v5
	v_and_b32_e32 v202, v202, v203
	v_and_b32_e32 v203, v57, v5
	v_lshlrev_b32_e32 v5, 25, v56
	v_cmp_gt_i64_e32 vcc, 0, v[4:5]
	v_not_b32_e32 v5, v5
	v_ashrrev_i32_e32 v5, 31, v5
	v_xor_b32_e32 v56, vcc_hi, v5
	v_xor_b32_e32 v5, vcc_lo, v5
	v_and_b32_e32 v57, v202, v56
	v_and_b32_e32 v56, v203, v5
	v_mbcnt_lo_u32_b32 v5, v56, 0
	v_mbcnt_hi_u32_b32 v202, v57, v5
	v_cmp_eq_u32_e32 vcc, 0, v202
	v_cmp_ne_u64_e64 s[40:41], 0, v[56:57]
	s_and_b64 s[42:43], s[40:41], vcc
	; wave barrier
	s_and_saveexec_b64 s[40:41], s[42:43]
	s_cbranch_execz .LBB1044_794
; %bb.793:                              ;   in Loop: Header=BB1044_736 Depth=2
	v_bcnt_u32_b32 v5, v56, 0
	v_bcnt_u32_b32 v5, v57, v5
	s_waitcnt lgkmcnt(0)
	v_add_u32_e32 v5, v200, v5
	ds_write_b32 v201, v5
.LBB1044_794:                           ;   in Loop: Header=BB1044_736 Depth=2
	s_or_b64 exec, exec, s[40:41]
	s_waitcnt vmcnt(5)
	v_xor_b32_e32 v184, 0xffff8000, v184
	v_lshrrev_b32_sdwa v5, s89, v184 dst_sel:DWORD dst_unused:UNUSED_PAD src0_sel:DWORD src1_sel:WORD_0
	v_and_b32_e32 v56, s6, v5
	v_mul_u32_u24_e32 v5, 5, v56
	v_add_lshl_u32 v5, v5, v153, 2
	; wave barrier
	v_add_u32_e32 v205, 0x210, v5
	ds_read_b32 v203, v5 offset:528
	v_and_b32_e32 v5, 1, v56
	v_add_co_u32_e32 v57, vcc, -1, v5
	v_addc_co_u32_e64 v204, s[40:41], 0, -1, vcc
	v_cmp_ne_u32_e32 vcc, 0, v5
	v_xor_b32_e32 v5, vcc_hi, v204
	v_and_b32_e32 v204, exec_hi, v5
	v_lshlrev_b32_e32 v5, 30, v56
	v_xor_b32_e32 v57, vcc_lo, v57
	v_cmp_gt_i64_e32 vcc, 0, v[4:5]
	v_not_b32_e32 v5, v5
	v_ashrrev_i32_e32 v5, 31, v5
	v_and_b32_e32 v57, exec_lo, v57
	v_xor_b32_e32 v206, vcc_hi, v5
	v_xor_b32_e32 v5, vcc_lo, v5
	v_and_b32_e32 v57, v57, v5
	v_lshlrev_b32_e32 v5, 29, v56
	v_cmp_gt_i64_e32 vcc, 0, v[4:5]
	v_not_b32_e32 v5, v5
	v_ashrrev_i32_e32 v5, 31, v5
	v_and_b32_e32 v204, v204, v206
	v_xor_b32_e32 v206, vcc_hi, v5
	v_xor_b32_e32 v5, vcc_lo, v5
	v_and_b32_e32 v57, v57, v5
	v_lshlrev_b32_e32 v5, 28, v56
	v_cmp_gt_i64_e32 vcc, 0, v[4:5]
	v_not_b32_e32 v5, v5
	v_ashrrev_i32_e32 v5, 31, v5
	v_and_b32_e32 v204, v204, v206
	;; [unrolled: 8-line block ×4, first 2 shown]
	v_xor_b32_e32 v206, vcc_hi, v5
	v_xor_b32_e32 v5, vcc_lo, v5
	v_and_b32_e32 v204, v204, v206
	v_and_b32_e32 v206, v57, v5
	v_lshlrev_b32_e32 v5, 25, v56
	v_cmp_gt_i64_e32 vcc, 0, v[4:5]
	v_not_b32_e32 v5, v5
	v_ashrrev_i32_e32 v5, 31, v5
	v_xor_b32_e32 v56, vcc_hi, v5
	v_xor_b32_e32 v5, vcc_lo, v5
	v_and_b32_e32 v57, v204, v56
	v_and_b32_e32 v56, v206, v5
	v_mbcnt_lo_u32_b32 v5, v56, 0
	v_mbcnt_hi_u32_b32 v206, v57, v5
	v_cmp_eq_u32_e32 vcc, 0, v206
	v_cmp_ne_u64_e64 s[40:41], 0, v[56:57]
	s_and_b64 s[42:43], s[40:41], vcc
	; wave barrier
	s_and_saveexec_b64 s[40:41], s[42:43]
	s_cbranch_execz .LBB1044_796
; %bb.795:                              ;   in Loop: Header=BB1044_736 Depth=2
	v_bcnt_u32_b32 v5, v56, 0
	v_bcnt_u32_b32 v5, v57, v5
	s_waitcnt lgkmcnt(0)
	v_add_u32_e32 v5, v203, v5
	ds_write_b32 v205, v5
.LBB1044_796:                           ;   in Loop: Header=BB1044_736 Depth=2
	s_or_b64 exec, exec, s[40:41]
	s_waitcnt vmcnt(4)
	v_xor_b32_e32 v204, 0xffff8000, v179
	v_lshrrev_b32_sdwa v5, s89, v204 dst_sel:DWORD dst_unused:UNUSED_PAD src0_sel:DWORD src1_sel:WORD_0
	v_and_b32_e32 v56, s6, v5
	v_mul_u32_u24_e32 v5, 5, v56
	v_add_lshl_u32 v5, v5, v153, 2
	; wave barrier
	v_add_u32_e32 v179, 0x210, v5
	ds_read_b32 v207, v5 offset:528
	v_and_b32_e32 v5, 1, v56
	v_add_co_u32_e32 v57, vcc, -1, v5
	v_addc_co_u32_e64 v208, s[40:41], 0, -1, vcc
	v_cmp_ne_u32_e32 vcc, 0, v5
	v_xor_b32_e32 v5, vcc_hi, v208
	v_and_b32_e32 v208, exec_hi, v5
	v_lshlrev_b32_e32 v5, 30, v56
	v_xor_b32_e32 v57, vcc_lo, v57
	v_cmp_gt_i64_e32 vcc, 0, v[4:5]
	v_not_b32_e32 v5, v5
	v_ashrrev_i32_e32 v5, 31, v5
	v_and_b32_e32 v57, exec_lo, v57
	v_xor_b32_e32 v209, vcc_hi, v5
	v_xor_b32_e32 v5, vcc_lo, v5
	v_and_b32_e32 v57, v57, v5
	v_lshlrev_b32_e32 v5, 29, v56
	v_cmp_gt_i64_e32 vcc, 0, v[4:5]
	v_not_b32_e32 v5, v5
	v_ashrrev_i32_e32 v5, 31, v5
	v_and_b32_e32 v208, v208, v209
	v_xor_b32_e32 v209, vcc_hi, v5
	v_xor_b32_e32 v5, vcc_lo, v5
	v_and_b32_e32 v57, v57, v5
	v_lshlrev_b32_e32 v5, 28, v56
	v_cmp_gt_i64_e32 vcc, 0, v[4:5]
	v_not_b32_e32 v5, v5
	v_ashrrev_i32_e32 v5, 31, v5
	v_and_b32_e32 v208, v208, v209
	;; [unrolled: 8-line block ×4, first 2 shown]
	v_xor_b32_e32 v209, vcc_hi, v5
	v_xor_b32_e32 v5, vcc_lo, v5
	v_and_b32_e32 v208, v208, v209
	v_and_b32_e32 v209, v57, v5
	v_lshlrev_b32_e32 v5, 25, v56
	v_cmp_gt_i64_e32 vcc, 0, v[4:5]
	v_not_b32_e32 v5, v5
	v_ashrrev_i32_e32 v5, 31, v5
	v_xor_b32_e32 v56, vcc_hi, v5
	v_xor_b32_e32 v5, vcc_lo, v5
	v_and_b32_e32 v57, v208, v56
	v_and_b32_e32 v56, v209, v5
	v_mbcnt_lo_u32_b32 v5, v56, 0
	v_mbcnt_hi_u32_b32 v209, v57, v5
	v_cmp_eq_u32_e32 vcc, 0, v209
	v_cmp_ne_u64_e64 s[40:41], 0, v[56:57]
	s_and_b64 s[42:43], s[40:41], vcc
	; wave barrier
	s_and_saveexec_b64 s[40:41], s[42:43]
	s_cbranch_execz .LBB1044_798
; %bb.797:                              ;   in Loop: Header=BB1044_736 Depth=2
	v_bcnt_u32_b32 v5, v56, 0
	v_bcnt_u32_b32 v5, v57, v5
	s_waitcnt lgkmcnt(0)
	v_add_u32_e32 v5, v207, v5
	ds_write_b32 v179, v5
.LBB1044_798:                           ;   in Loop: Header=BB1044_736 Depth=2
	s_or_b64 exec, exec, s[40:41]
	s_waitcnt vmcnt(3)
	v_xor_b32_e32 v208, 0xffff8000, v174
	v_lshrrev_b32_sdwa v5, s89, v208 dst_sel:DWORD dst_unused:UNUSED_PAD src0_sel:DWORD src1_sel:WORD_0
	v_and_b32_e32 v56, s6, v5
	v_mul_u32_u24_e32 v5, 5, v56
	v_add_lshl_u32 v5, v5, v153, 2
	; wave barrier
	v_add_u32_e32 v174, 0x210, v5
	ds_read_b32 v210, v5 offset:528
	v_and_b32_e32 v5, 1, v56
	v_add_co_u32_e32 v57, vcc, -1, v5
	v_addc_co_u32_e64 v211, s[40:41], 0, -1, vcc
	v_cmp_ne_u32_e32 vcc, 0, v5
	v_xor_b32_e32 v5, vcc_hi, v211
	v_and_b32_e32 v211, exec_hi, v5
	v_lshlrev_b32_e32 v5, 30, v56
	v_xor_b32_e32 v57, vcc_lo, v57
	v_cmp_gt_i64_e32 vcc, 0, v[4:5]
	v_not_b32_e32 v5, v5
	v_ashrrev_i32_e32 v5, 31, v5
	v_and_b32_e32 v57, exec_lo, v57
	v_xor_b32_e32 v212, vcc_hi, v5
	v_xor_b32_e32 v5, vcc_lo, v5
	v_and_b32_e32 v57, v57, v5
	v_lshlrev_b32_e32 v5, 29, v56
	v_cmp_gt_i64_e32 vcc, 0, v[4:5]
	v_not_b32_e32 v5, v5
	v_ashrrev_i32_e32 v5, 31, v5
	v_and_b32_e32 v211, v211, v212
	v_xor_b32_e32 v212, vcc_hi, v5
	v_xor_b32_e32 v5, vcc_lo, v5
	v_and_b32_e32 v57, v57, v5
	v_lshlrev_b32_e32 v5, 28, v56
	v_cmp_gt_i64_e32 vcc, 0, v[4:5]
	v_not_b32_e32 v5, v5
	v_ashrrev_i32_e32 v5, 31, v5
	v_and_b32_e32 v211, v211, v212
	;; [unrolled: 8-line block ×4, first 2 shown]
	v_xor_b32_e32 v212, vcc_hi, v5
	v_xor_b32_e32 v5, vcc_lo, v5
	v_and_b32_e32 v211, v211, v212
	v_and_b32_e32 v212, v57, v5
	v_lshlrev_b32_e32 v5, 25, v56
	v_cmp_gt_i64_e32 vcc, 0, v[4:5]
	v_not_b32_e32 v5, v5
	v_ashrrev_i32_e32 v5, 31, v5
	v_xor_b32_e32 v56, vcc_hi, v5
	v_xor_b32_e32 v5, vcc_lo, v5
	v_and_b32_e32 v57, v211, v56
	v_and_b32_e32 v56, v212, v5
	v_mbcnt_lo_u32_b32 v5, v56, 0
	v_mbcnt_hi_u32_b32 v212, v57, v5
	v_cmp_eq_u32_e32 vcc, 0, v212
	v_cmp_ne_u64_e64 s[40:41], 0, v[56:57]
	s_and_b64 s[42:43], s[40:41], vcc
	; wave barrier
	s_and_saveexec_b64 s[40:41], s[42:43]
	s_cbranch_execz .LBB1044_800
; %bb.799:                              ;   in Loop: Header=BB1044_736 Depth=2
	v_bcnt_u32_b32 v5, v56, 0
	v_bcnt_u32_b32 v5, v57, v5
	s_waitcnt lgkmcnt(0)
	v_add_u32_e32 v5, v210, v5
	ds_write_b32 v174, v5
.LBB1044_800:                           ;   in Loop: Header=BB1044_736 Depth=2
	s_or_b64 exec, exec, s[40:41]
	s_waitcnt vmcnt(2)
	v_xor_b32_e32 v211, 0xffff8000, v169
	v_lshrrev_b32_sdwa v5, s89, v211 dst_sel:DWORD dst_unused:UNUSED_PAD src0_sel:DWORD src1_sel:WORD_0
	v_and_b32_e32 v56, s6, v5
	v_mul_u32_u24_e32 v5, 5, v56
	v_add_lshl_u32 v5, v5, v153, 2
	; wave barrier
	v_add_u32_e32 v169, 0x210, v5
	ds_read_b32 v213, v5 offset:528
	v_and_b32_e32 v5, 1, v56
	v_add_co_u32_e32 v57, vcc, -1, v5
	v_addc_co_u32_e64 v214, s[40:41], 0, -1, vcc
	v_cmp_ne_u32_e32 vcc, 0, v5
	v_xor_b32_e32 v5, vcc_hi, v214
	v_and_b32_e32 v214, exec_hi, v5
	v_lshlrev_b32_e32 v5, 30, v56
	v_xor_b32_e32 v57, vcc_lo, v57
	v_cmp_gt_i64_e32 vcc, 0, v[4:5]
	v_not_b32_e32 v5, v5
	v_ashrrev_i32_e32 v5, 31, v5
	v_and_b32_e32 v57, exec_lo, v57
	v_xor_b32_e32 v215, vcc_hi, v5
	v_xor_b32_e32 v5, vcc_lo, v5
	v_and_b32_e32 v57, v57, v5
	v_lshlrev_b32_e32 v5, 29, v56
	v_cmp_gt_i64_e32 vcc, 0, v[4:5]
	v_not_b32_e32 v5, v5
	v_ashrrev_i32_e32 v5, 31, v5
	v_and_b32_e32 v214, v214, v215
	v_xor_b32_e32 v215, vcc_hi, v5
	v_xor_b32_e32 v5, vcc_lo, v5
	v_and_b32_e32 v57, v57, v5
	v_lshlrev_b32_e32 v5, 28, v56
	v_cmp_gt_i64_e32 vcc, 0, v[4:5]
	v_not_b32_e32 v5, v5
	v_ashrrev_i32_e32 v5, 31, v5
	v_and_b32_e32 v214, v214, v215
	;; [unrolled: 8-line block ×4, first 2 shown]
	v_xor_b32_e32 v215, vcc_hi, v5
	v_xor_b32_e32 v5, vcc_lo, v5
	v_and_b32_e32 v214, v214, v215
	v_and_b32_e32 v215, v57, v5
	v_lshlrev_b32_e32 v5, 25, v56
	v_cmp_gt_i64_e32 vcc, 0, v[4:5]
	v_not_b32_e32 v5, v5
	v_ashrrev_i32_e32 v5, 31, v5
	v_xor_b32_e32 v56, vcc_hi, v5
	v_xor_b32_e32 v5, vcc_lo, v5
	v_and_b32_e32 v57, v214, v56
	v_and_b32_e32 v56, v215, v5
	v_mbcnt_lo_u32_b32 v5, v56, 0
	v_mbcnt_hi_u32_b32 v215, v57, v5
	v_cmp_eq_u32_e32 vcc, 0, v215
	v_cmp_ne_u64_e64 s[40:41], 0, v[56:57]
	s_and_b64 s[42:43], s[40:41], vcc
	; wave barrier
	s_and_saveexec_b64 s[40:41], s[42:43]
	s_cbranch_execz .LBB1044_802
; %bb.801:                              ;   in Loop: Header=BB1044_736 Depth=2
	v_bcnt_u32_b32 v5, v56, 0
	v_bcnt_u32_b32 v5, v57, v5
	s_waitcnt lgkmcnt(0)
	v_add_u32_e32 v5, v213, v5
	ds_write_b32 v169, v5
.LBB1044_802:                           ;   in Loop: Header=BB1044_736 Depth=2
	s_or_b64 exec, exec, s[40:41]
	s_waitcnt vmcnt(0)
	v_xor_b32_e32 v214, 0xffff8000, v164
	v_lshrrev_b32_sdwa v5, s89, v214 dst_sel:DWORD dst_unused:UNUSED_PAD src0_sel:DWORD src1_sel:WORD_0
	v_and_b32_e32 v56, s6, v5
	v_mul_u32_u24_e32 v5, 5, v56
	v_add_lshl_u32 v5, v5, v153, 2
	; wave barrier
	v_add_u32_e32 v164, 0x210, v5
	ds_read_b32 v216, v5 offset:528
	v_and_b32_e32 v5, 1, v56
	v_add_co_u32_e32 v57, vcc, -1, v5
	v_addc_co_u32_e64 v217, s[40:41], 0, -1, vcc
	v_cmp_ne_u32_e32 vcc, 0, v5
	v_xor_b32_e32 v5, vcc_hi, v217
	v_and_b32_e32 v217, exec_hi, v5
	v_lshlrev_b32_e32 v5, 30, v56
	v_xor_b32_e32 v57, vcc_lo, v57
	v_cmp_gt_i64_e32 vcc, 0, v[4:5]
	v_not_b32_e32 v5, v5
	v_ashrrev_i32_e32 v5, 31, v5
	v_and_b32_e32 v57, exec_lo, v57
	v_xor_b32_e32 v218, vcc_hi, v5
	v_xor_b32_e32 v5, vcc_lo, v5
	v_and_b32_e32 v57, v57, v5
	v_lshlrev_b32_e32 v5, 29, v56
	v_cmp_gt_i64_e32 vcc, 0, v[4:5]
	v_not_b32_e32 v5, v5
	v_ashrrev_i32_e32 v5, 31, v5
	v_and_b32_e32 v217, v217, v218
	v_xor_b32_e32 v218, vcc_hi, v5
	v_xor_b32_e32 v5, vcc_lo, v5
	v_and_b32_e32 v57, v57, v5
	v_lshlrev_b32_e32 v5, 28, v56
	v_cmp_gt_i64_e32 vcc, 0, v[4:5]
	v_not_b32_e32 v5, v5
	v_ashrrev_i32_e32 v5, 31, v5
	v_and_b32_e32 v217, v217, v218
	;; [unrolled: 8-line block ×4, first 2 shown]
	v_xor_b32_e32 v218, vcc_hi, v5
	v_xor_b32_e32 v5, vcc_lo, v5
	v_and_b32_e32 v217, v217, v218
	v_and_b32_e32 v218, v57, v5
	v_lshlrev_b32_e32 v5, 25, v56
	v_cmp_gt_i64_e32 vcc, 0, v[4:5]
	v_not_b32_e32 v5, v5
	v_ashrrev_i32_e32 v5, 31, v5
	v_xor_b32_e32 v56, vcc_hi, v5
	v_xor_b32_e32 v5, vcc_lo, v5
	v_and_b32_e32 v57, v217, v56
	v_and_b32_e32 v56, v218, v5
	v_mbcnt_lo_u32_b32 v5, v56, 0
	v_mbcnt_hi_u32_b32 v218, v57, v5
	v_cmp_eq_u32_e32 vcc, 0, v218
	v_cmp_ne_u64_e64 s[40:41], 0, v[56:57]
	s_and_b64 s[42:43], s[40:41], vcc
	; wave barrier
	s_and_saveexec_b64 s[40:41], s[42:43]
	s_cbranch_execz .LBB1044_804
; %bb.803:                              ;   in Loop: Header=BB1044_736 Depth=2
	v_bcnt_u32_b32 v5, v56, 0
	v_bcnt_u32_b32 v5, v57, v5
	s_waitcnt lgkmcnt(0)
	v_add_u32_e32 v5, v216, v5
	ds_write_b32 v164, v5
.LBB1044_804:                           ;   in Loop: Header=BB1044_736 Depth=2
	s_or_b64 exec, exec, s[40:41]
	v_xor_b32_e32 v217, 0xffff8000, v159
	v_lshrrev_b32_sdwa v5, s89, v217 dst_sel:DWORD dst_unused:UNUSED_PAD src0_sel:DWORD src1_sel:WORD_0
	v_and_b32_e32 v56, s6, v5
	v_mul_u32_u24_e32 v5, 5, v56
	v_add_lshl_u32 v5, v5, v153, 2
	; wave barrier
	v_add_u32_e32 v159, 0x210, v5
	ds_read_b32 v219, v5 offset:528
	v_and_b32_e32 v5, 1, v56
	v_add_co_u32_e32 v57, vcc, -1, v5
	v_addc_co_u32_e64 v220, s[40:41], 0, -1, vcc
	v_cmp_ne_u32_e32 vcc, 0, v5
	v_xor_b32_e32 v5, vcc_hi, v220
	v_and_b32_e32 v220, exec_hi, v5
	v_lshlrev_b32_e32 v5, 30, v56
	v_xor_b32_e32 v57, vcc_lo, v57
	v_cmp_gt_i64_e32 vcc, 0, v[4:5]
	v_not_b32_e32 v5, v5
	v_ashrrev_i32_e32 v5, 31, v5
	v_and_b32_e32 v57, exec_lo, v57
	v_xor_b32_e32 v221, vcc_hi, v5
	v_xor_b32_e32 v5, vcc_lo, v5
	v_and_b32_e32 v57, v57, v5
	v_lshlrev_b32_e32 v5, 29, v56
	v_cmp_gt_i64_e32 vcc, 0, v[4:5]
	v_not_b32_e32 v5, v5
	v_ashrrev_i32_e32 v5, 31, v5
	v_and_b32_e32 v220, v220, v221
	v_xor_b32_e32 v221, vcc_hi, v5
	v_xor_b32_e32 v5, vcc_lo, v5
	v_and_b32_e32 v57, v57, v5
	v_lshlrev_b32_e32 v5, 28, v56
	v_cmp_gt_i64_e32 vcc, 0, v[4:5]
	v_not_b32_e32 v5, v5
	v_ashrrev_i32_e32 v5, 31, v5
	v_and_b32_e32 v220, v220, v221
	v_xor_b32_e32 v221, vcc_hi, v5
	v_xor_b32_e32 v5, vcc_lo, v5
	v_and_b32_e32 v57, v57, v5
	v_lshlrev_b32_e32 v5, 27, v56
	v_cmp_gt_i64_e32 vcc, 0, v[4:5]
	v_not_b32_e32 v5, v5
	v_ashrrev_i32_e32 v5, 31, v5
	v_and_b32_e32 v220, v220, v221
	v_xor_b32_e32 v221, vcc_hi, v5
	v_xor_b32_e32 v5, vcc_lo, v5
	v_and_b32_e32 v57, v57, v5
	v_lshlrev_b32_e32 v5, 26, v56
	v_cmp_gt_i64_e32 vcc, 0, v[4:5]
	v_not_b32_e32 v5, v5
	v_ashrrev_i32_e32 v5, 31, v5
	v_and_b32_e32 v220, v220, v221
	v_xor_b32_e32 v221, vcc_hi, v5
	v_xor_b32_e32 v5, vcc_lo, v5
	v_and_b32_e32 v220, v220, v221
	v_and_b32_e32 v221, v57, v5
	v_lshlrev_b32_e32 v5, 25, v56
	v_cmp_gt_i64_e32 vcc, 0, v[4:5]
	v_not_b32_e32 v5, v5
	v_ashrrev_i32_e32 v5, 31, v5
	v_xor_b32_e32 v56, vcc_hi, v5
	v_xor_b32_e32 v5, vcc_lo, v5
	v_and_b32_e32 v57, v220, v56
	v_and_b32_e32 v56, v221, v5
	v_mbcnt_lo_u32_b32 v5, v56, 0
	v_mbcnt_hi_u32_b32 v221, v57, v5
	v_cmp_eq_u32_e32 vcc, 0, v221
	v_cmp_ne_u64_e64 s[40:41], 0, v[56:57]
	s_and_b64 s[42:43], s[40:41], vcc
	; wave barrier
	s_and_saveexec_b64 s[40:41], s[42:43]
	s_cbranch_execz .LBB1044_806
; %bb.805:                              ;   in Loop: Header=BB1044_736 Depth=2
	v_bcnt_u32_b32 v5, v56, 0
	v_bcnt_u32_b32 v5, v57, v5
	s_waitcnt lgkmcnt(0)
	v_add_u32_e32 v5, v219, v5
	ds_write_b32 v159, v5
.LBB1044_806:                           ;   in Loop: Header=BB1044_736 Depth=2
	s_or_b64 exec, exec, s[40:41]
	v_xor_b32_e32 v220, 0xffff8000, v166
	v_lshrrev_b32_sdwa v5, s89, v220 dst_sel:DWORD dst_unused:UNUSED_PAD src0_sel:DWORD src1_sel:WORD_0
	v_and_b32_e32 v56, s6, v5
	v_mul_u32_u24_e32 v5, 5, v56
	v_add_lshl_u32 v5, v5, v153, 2
	; wave barrier
	v_add_u32_e32 v166, 0x210, v5
	ds_read_b32 v222, v5 offset:528
	v_and_b32_e32 v5, 1, v56
	v_add_co_u32_e32 v57, vcc, -1, v5
	v_addc_co_u32_e64 v223, s[40:41], 0, -1, vcc
	v_cmp_ne_u32_e32 vcc, 0, v5
	v_xor_b32_e32 v5, vcc_hi, v223
	v_and_b32_e32 v223, exec_hi, v5
	v_lshlrev_b32_e32 v5, 30, v56
	v_xor_b32_e32 v57, vcc_lo, v57
	v_cmp_gt_i64_e32 vcc, 0, v[4:5]
	v_not_b32_e32 v5, v5
	v_ashrrev_i32_e32 v5, 31, v5
	v_and_b32_e32 v57, exec_lo, v57
	v_xor_b32_e32 v224, vcc_hi, v5
	v_xor_b32_e32 v5, vcc_lo, v5
	v_and_b32_e32 v57, v57, v5
	v_lshlrev_b32_e32 v5, 29, v56
	v_cmp_gt_i64_e32 vcc, 0, v[4:5]
	v_not_b32_e32 v5, v5
	v_ashrrev_i32_e32 v5, 31, v5
	v_and_b32_e32 v223, v223, v224
	v_xor_b32_e32 v224, vcc_hi, v5
	v_xor_b32_e32 v5, vcc_lo, v5
	v_and_b32_e32 v57, v57, v5
	v_lshlrev_b32_e32 v5, 28, v56
	v_cmp_gt_i64_e32 vcc, 0, v[4:5]
	v_not_b32_e32 v5, v5
	v_ashrrev_i32_e32 v5, 31, v5
	v_and_b32_e32 v223, v223, v224
	;; [unrolled: 8-line block ×4, first 2 shown]
	v_xor_b32_e32 v224, vcc_hi, v5
	v_xor_b32_e32 v5, vcc_lo, v5
	v_and_b32_e32 v223, v223, v224
	v_and_b32_e32 v224, v57, v5
	v_lshlrev_b32_e32 v5, 25, v56
	v_cmp_gt_i64_e32 vcc, 0, v[4:5]
	v_not_b32_e32 v5, v5
	v_ashrrev_i32_e32 v5, 31, v5
	v_xor_b32_e32 v56, vcc_hi, v5
	v_xor_b32_e32 v5, vcc_lo, v5
	v_and_b32_e32 v57, v223, v56
	v_and_b32_e32 v56, v224, v5
	v_mbcnt_lo_u32_b32 v5, v56, 0
	v_mbcnt_hi_u32_b32 v5, v57, v5
	v_cmp_eq_u32_e32 vcc, 0, v5
	v_cmp_ne_u64_e64 s[40:41], 0, v[56:57]
	s_and_b64 s[42:43], s[40:41], vcc
	; wave barrier
	s_and_saveexec_b64 s[40:41], s[42:43]
	s_cbranch_execz .LBB1044_808
; %bb.807:                              ;   in Loop: Header=BB1044_736 Depth=2
	v_bcnt_u32_b32 v56, v56, 0
	v_bcnt_u32_b32 v56, v57, v56
	s_waitcnt lgkmcnt(0)
	v_add_u32_e32 v56, v222, v56
	ds_write_b32 v166, v56
.LBB1044_808:                           ;   in Loop: Header=BB1044_736 Depth=2
	s_or_b64 exec, exec, s[40:41]
	; wave barrier
	s_waitcnt lgkmcnt(0)
	s_barrier
	ds_read_b32 v223, v58 offset:528
	ds_read2_b32 v[56:57], v67 offset0:1 offset1:2
	s_waitcnt lgkmcnt(0)
	v_add3_u32 v57, v56, v223, v57
	s_nop 1
	v_mov_b32_dpp v224, v57 row_shr:1 row_mask:0xf bank_mask:0xf
	v_cndmask_b32_e64 v224, v224, 0, s[20:21]
	v_add_u32_e32 v57, v224, v57
	s_nop 1
	v_mov_b32_dpp v224, v57 row_shr:2 row_mask:0xf bank_mask:0xf
	v_cndmask_b32_e64 v224, 0, v224, s[22:23]
	v_add_u32_e32 v57, v57, v224
	s_nop 1
	v_mov_b32_dpp v224, v57 row_shr:4 row_mask:0xf bank_mask:0xf
	v_cndmask_b32_e64 v224, 0, v224, s[24:25]
	v_add_u32_e32 v57, v57, v224
	s_nop 1
	v_mov_b32_dpp v224, v57 row_shr:8 row_mask:0xf bank_mask:0xf
	v_cndmask_b32_e64 v224, 0, v224, s[26:27]
	v_add_u32_e32 v57, v57, v224
	s_nop 1
	v_mov_b32_dpp v224, v57 row_bcast:15 row_mask:0xf bank_mask:0xf
	v_cndmask_b32_e64 v224, v224, 0, s[28:29]
	v_add_u32_e32 v57, v57, v224
	s_nop 1
	v_mov_b32_dpp v224, v57 row_bcast:31 row_mask:0xf bank_mask:0xf
	v_cndmask_b32_e64 v224, 0, v224, s[30:31]
	v_add_u32_e32 v57, v57, v224
	s_and_saveexec_b64 s[40:41], s[12:13]
	s_cbranch_execz .LBB1044_810
; %bb.809:                              ;   in Loop: Header=BB1044_736 Depth=2
	ds_write_b32 v60, v57 offset:512
.LBB1044_810:                           ;   in Loop: Header=BB1044_736 Depth=2
	s_or_b64 exec, exec, s[40:41]
	s_waitcnt lgkmcnt(0)
	s_barrier
	s_and_saveexec_b64 s[40:41], s[14:15]
	s_cbranch_execz .LBB1044_812
; %bb.811:                              ;   in Loop: Header=BB1044_736 Depth=2
	ds_read_b32 v224, v69 offset:512
	s_waitcnt lgkmcnt(0)
	s_nop 0
	v_mov_b32_dpp v225, v224 row_shr:1 row_mask:0xf bank_mask:0xf
	v_cndmask_b32_e64 v225, v225, 0, s[36:37]
	v_add_u32_e32 v224, v225, v224
	s_nop 1
	v_mov_b32_dpp v225, v224 row_shr:2 row_mask:0xf bank_mask:0xf
	v_cndmask_b32_e64 v225, 0, v225, s[38:39]
	v_add_u32_e32 v224, v224, v225
	ds_write_b32 v69, v224 offset:512
.LBB1044_812:                           ;   in Loop: Header=BB1044_736 Depth=2
	s_or_b64 exec, exec, s[40:41]
	v_mov_b32_e32 v224, 0
	s_waitcnt lgkmcnt(0)
	s_barrier
	s_and_saveexec_b64 s[40:41], s[10:11]
	s_cbranch_execz .LBB1044_814
; %bb.813:                              ;   in Loop: Header=BB1044_736 Depth=2
	ds_read_b32 v224, v60 offset:508
.LBB1044_814:                           ;   in Loop: Header=BB1044_736 Depth=2
	s_or_b64 exec, exec, s[40:41]
	s_waitcnt lgkmcnt(0)
	v_add_u32_e32 v57, v224, v57
	ds_bpermute_b32 v57, v129, v57
	s_waitcnt lgkmcnt(0)
	v_cndmask_b32_e64 v57, v57, v224, s[34:35]
	v_cndmask_b32_e64 v57, v57, 0, s[16:17]
	v_add_u32_e32 v223, v57, v223
	v_add_u32_e32 v56, v223, v56
	ds_write_b32 v58, v57 offset:528
	ds_write2_b32 v67, v223, v56 offset0:1 offset1:2
	s_waitcnt lgkmcnt(0)
	s_barrier
	ds_read_b32 v56, v158
	ds_read_b32 v57, v163
	;; [unrolled: 1-line block ×17, first 2 shown]
	s_and_saveexec_b64 s[40:41], s[4:5]
	s_cbranch_execz .LBB1044_818
; %bb.815:                              ;   in Loop: Header=BB1044_736 Depth=2
	ds_read_b32 v154, v70 offset:528
	v_mov_b32_e32 v155, 0x1100
	s_and_saveexec_b64 s[42:43], s[18:19]
	s_cbranch_execz .LBB1044_817
; %bb.816:                              ;   in Loop: Header=BB1044_736 Depth=2
	ds_read_b32 v155, v70 offset:548
.LBB1044_817:                           ;   in Loop: Header=BB1044_736 Depth=2
	s_or_b64 exec, exec, s[42:43]
	s_waitcnt lgkmcnt(0)
	v_sub_u32_e32 v155, v155, v154
.LBB1044_818:                           ;   in Loop: Header=BB1044_736 Depth=2
	s_or_b64 exec, exec, s[40:41]
	s_waitcnt lgkmcnt(0)
	s_barrier
	s_and_saveexec_b64 s[40:41], s[4:5]
	s_cbranch_execz .LBB1044_820
; %bb.819:                              ;   in Loop: Header=BB1044_736 Depth=2
	ds_read_b32 v159, v3
	s_waitcnt lgkmcnt(0)
	v_sub_u32_e32 v159, v159, v154
	ds_write_b32 v3, v159
.LBB1044_820:                           ;   in Loop: Header=BB1044_736 Depth=2
	s_or_b64 exec, exec, s[40:41]
	v_add_u32_e32 v179, v56, v161
	v_add3_u32 v175, v167, v162, v57
	v_lshlrev_b32_e32 v56, 1, v179
	v_add3_u32 v174, v172, v168, v158
	ds_write_b16 v56, v157 offset:512
	v_lshlrev_b32_e32 v56, 1, v175
	v_add3_u32 v173, v177, v173, v163
	ds_write_b16 v56, v160 offset:512
	;; [unrolled: 3-line block ×15, first 2 shown]
	v_lshlrev_b32_e32 v56, 1, v158
	ds_write_b16 v56, v217 offset:512
	v_lshlrev_b32_e32 v56, 1, v5
	v_cmp_lt_u32_e64 s[40:41], v2, v156
	ds_write_b16 v56, v220 offset:512
	s_waitcnt lgkmcnt(0)
	s_barrier
	s_and_saveexec_b64 s[42:43], s[40:41]
	s_cbranch_execz .LBB1044_872
; %bb.821:                              ;   in Loop: Header=BB1044_736 Depth=2
	v_add_u32_e32 v56, v70, v75
	ds_read_u16 v56, v56 offset:512
	v_mov_b32_e32 v160, s79
	s_waitcnt lgkmcnt(0)
	v_lshrrev_b32_sdwa v57, s89, v56 dst_sel:DWORD dst_unused:UNUSED_PAD src0_sel:DWORD src1_sel:WORD_0
	v_and_b32_e32 v57, s6, v57
	v_lshlrev_b32_e32 v57, 2, v57
	ds_read_b32 v157, v57
	v_mov_b32_e32 v57, v4
	v_xor_b32_e32 v165, 0xffff8000, v56
	s_waitcnt lgkmcnt(0)
	v_add_u32_e32 v56, v157, v2
	v_lshlrev_b64 v[56:57], 1, v[56:57]
	v_add_co_u32_e32 v56, vcc, s78, v56
	v_addc_co_u32_e32 v57, vcc, v160, v57, vcc
	global_store_short v[56:57], v165, off
	s_or_b64 exec, exec, s[42:43]
	v_cmp_lt_u32_e64 s[42:43], v7, v156
	s_and_saveexec_b64 s[44:45], s[42:43]
	s_cbranch_execnz .LBB1044_873
.LBB1044_822:                           ;   in Loop: Header=BB1044_736 Depth=2
	s_or_b64 exec, exec, s[44:45]
	v_cmp_lt_u32_e64 s[44:45], v13, v156
	s_and_saveexec_b64 s[46:47], s[44:45]
	s_cbranch_execz .LBB1044_874
.LBB1044_823:                           ;   in Loop: Header=BB1044_736 Depth=2
	ds_read_u16 v56, v76 offset:1024
	v_mov_b32_e32 v160, s79
	s_waitcnt lgkmcnt(0)
	v_lshrrev_b32_sdwa v57, s89, v56 dst_sel:DWORD dst_unused:UNUSED_PAD src0_sel:DWORD src1_sel:WORD_0
	v_and_b32_e32 v57, s6, v57
	v_lshlrev_b32_e32 v57, 2, v57
	ds_read_b32 v157, v57
	v_mov_b32_e32 v57, v4
	v_xor_b32_e32 v165, 0xffff8000, v56
	s_waitcnt lgkmcnt(0)
	v_add_u32_e32 v56, v157, v13
	v_lshlrev_b64 v[56:57], 1, v[56:57]
	v_add_co_u32_e32 v56, vcc, s78, v56
	v_addc_co_u32_e32 v57, vcc, v160, v57, vcc
	global_store_short v[56:57], v165, off
	s_or_b64 exec, exec, s[46:47]
	v_cmp_lt_u32_e64 s[46:47], v15, v156
	s_and_saveexec_b64 s[48:49], s[46:47]
	s_cbranch_execnz .LBB1044_875
.LBB1044_824:                           ;   in Loop: Header=BB1044_736 Depth=2
	s_or_b64 exec, exec, s[48:49]
	v_cmp_lt_u32_e64 s[48:49], v17, v156
	s_and_saveexec_b64 s[50:51], s[48:49]
	s_cbranch_execz .LBB1044_876
.LBB1044_825:                           ;   in Loop: Header=BB1044_736 Depth=2
	ds_read_u16 v56, v76 offset:2048
	v_mov_b32_e32 v160, s79
	s_waitcnt lgkmcnt(0)
	v_lshrrev_b32_sdwa v57, s89, v56 dst_sel:DWORD dst_unused:UNUSED_PAD src0_sel:DWORD src1_sel:WORD_0
	v_and_b32_e32 v57, s6, v57
	v_lshlrev_b32_e32 v57, 2, v57
	ds_read_b32 v157, v57
	v_mov_b32_e32 v57, v4
	v_xor_b32_e32 v165, 0xffff8000, v56
	s_waitcnt lgkmcnt(0)
	v_add_u32_e32 v56, v157, v17
	v_lshlrev_b64 v[56:57], 1, v[56:57]
	v_add_co_u32_e32 v56, vcc, s78, v56
	v_addc_co_u32_e32 v57, vcc, v160, v57, vcc
	global_store_short v[56:57], v165, off
	s_or_b64 exec, exec, s[50:51]
	v_cmp_lt_u32_e64 s[50:51], v19, v156
	s_and_saveexec_b64 s[52:53], s[50:51]
	s_cbranch_execnz .LBB1044_877
.LBB1044_826:                           ;   in Loop: Header=BB1044_736 Depth=2
	s_or_b64 exec, exec, s[52:53]
	v_cmp_lt_u32_e64 s[52:53], v21, v156
	s_and_saveexec_b64 s[54:55], s[52:53]
	s_cbranch_execz .LBB1044_878
.LBB1044_827:                           ;   in Loop: Header=BB1044_736 Depth=2
	ds_read_u16 v56, v76 offset:3072
	v_mov_b32_e32 v160, s79
	s_waitcnt lgkmcnt(0)
	v_lshrrev_b32_sdwa v57, s89, v56 dst_sel:DWORD dst_unused:UNUSED_PAD src0_sel:DWORD src1_sel:WORD_0
	v_and_b32_e32 v57, s6, v57
	v_lshlrev_b32_e32 v57, 2, v57
	ds_read_b32 v157, v57
	v_mov_b32_e32 v57, v4
	v_xor_b32_e32 v165, 0xffff8000, v56
	s_waitcnt lgkmcnt(0)
	v_add_u32_e32 v56, v157, v21
	v_lshlrev_b64 v[56:57], 1, v[56:57]
	v_add_co_u32_e32 v56, vcc, s78, v56
	v_addc_co_u32_e32 v57, vcc, v160, v57, vcc
	global_store_short v[56:57], v165, off
	s_or_b64 exec, exec, s[54:55]
	v_cmp_lt_u32_e64 s[54:55], v23, v156
	s_and_saveexec_b64 s[56:57], s[54:55]
	s_cbranch_execnz .LBB1044_879
.LBB1044_828:                           ;   in Loop: Header=BB1044_736 Depth=2
	s_or_b64 exec, exec, s[56:57]
	v_cmp_lt_u32_e64 s[56:57], v6, v156
	s_and_saveexec_b64 s[58:59], s[56:57]
	s_cbranch_execz .LBB1044_880
.LBB1044_829:                           ;   in Loop: Header=BB1044_736 Depth=2
	ds_read_u16 v56, v76 offset:4096
	v_mov_b32_e32 v160, s79
	s_waitcnt lgkmcnt(0)
	v_lshrrev_b32_sdwa v57, s89, v56 dst_sel:DWORD dst_unused:UNUSED_PAD src0_sel:DWORD src1_sel:WORD_0
	v_and_b32_e32 v57, s6, v57
	v_lshlrev_b32_e32 v57, 2, v57
	ds_read_b32 v157, v57
	v_mov_b32_e32 v57, v4
	v_xor_b32_e32 v165, 0xffff8000, v56
	s_waitcnt lgkmcnt(0)
	v_add_u32_e32 v56, v157, v6
	v_lshlrev_b64 v[56:57], 1, v[56:57]
	v_add_co_u32_e32 v56, vcc, s78, v56
	v_addc_co_u32_e32 v57, vcc, v160, v57, vcc
	global_store_short v[56:57], v165, off
	s_or_b64 exec, exec, s[58:59]
	v_cmp_lt_u32_e64 s[58:59], v8, v156
	s_and_saveexec_b64 s[60:61], s[58:59]
	s_cbranch_execnz .LBB1044_881
.LBB1044_830:                           ;   in Loop: Header=BB1044_736 Depth=2
	s_or_b64 exec, exec, s[60:61]
	v_cmp_lt_u32_e64 s[60:61], v10, v156
	s_and_saveexec_b64 s[62:63], s[60:61]
	s_cbranch_execz .LBB1044_882
.LBB1044_831:                           ;   in Loop: Header=BB1044_736 Depth=2
	ds_read_u16 v56, v76 offset:5120
	v_mov_b32_e32 v160, s79
	s_waitcnt lgkmcnt(0)
	v_lshrrev_b32_sdwa v57, s89, v56 dst_sel:DWORD dst_unused:UNUSED_PAD src0_sel:DWORD src1_sel:WORD_0
	v_and_b32_e32 v57, s6, v57
	v_lshlrev_b32_e32 v57, 2, v57
	ds_read_b32 v157, v57
	v_mov_b32_e32 v57, v4
	v_xor_b32_e32 v165, 0xffff8000, v56
	s_waitcnt lgkmcnt(0)
	v_add_u32_e32 v56, v157, v10
	v_lshlrev_b64 v[56:57], 1, v[56:57]
	v_add_co_u32_e32 v56, vcc, s78, v56
	v_addc_co_u32_e32 v57, vcc, v160, v57, vcc
	global_store_short v[56:57], v165, off
	s_or_b64 exec, exec, s[62:63]
	v_cmp_lt_u32_e64 s[62:63], v12, v156
	s_and_saveexec_b64 s[64:65], s[62:63]
	s_cbranch_execnz .LBB1044_883
.LBB1044_832:                           ;   in Loop: Header=BB1044_736 Depth=2
	s_or_b64 exec, exec, s[64:65]
	v_cmp_lt_u32_e64 s[64:65], v14, v156
	s_and_saveexec_b64 s[66:67], s[64:65]
	s_cbranch_execz .LBB1044_884
.LBB1044_833:                           ;   in Loop: Header=BB1044_736 Depth=2
	ds_read_u16 v56, v76 offset:6144
	v_mov_b32_e32 v160, s79
	s_waitcnt lgkmcnt(0)
	v_lshrrev_b32_sdwa v57, s89, v56 dst_sel:DWORD dst_unused:UNUSED_PAD src0_sel:DWORD src1_sel:WORD_0
	v_and_b32_e32 v57, s6, v57
	v_lshlrev_b32_e32 v57, 2, v57
	ds_read_b32 v157, v57
	v_mov_b32_e32 v57, v4
	v_xor_b32_e32 v165, 0xffff8000, v56
	s_waitcnt lgkmcnt(0)
	v_add_u32_e32 v56, v157, v14
	v_lshlrev_b64 v[56:57], 1, v[56:57]
	v_add_co_u32_e32 v56, vcc, s78, v56
	v_addc_co_u32_e32 v57, vcc, v160, v57, vcc
	global_store_short v[56:57], v165, off
	s_or_b64 exec, exec, s[66:67]
	v_cmp_lt_u32_e64 s[66:67], v16, v156
	s_and_saveexec_b64 s[68:69], s[66:67]
	s_cbranch_execnz .LBB1044_885
.LBB1044_834:                           ;   in Loop: Header=BB1044_736 Depth=2
	s_or_b64 exec, exec, s[68:69]
	v_cmp_lt_u32_e64 s[68:69], v18, v156
	s_and_saveexec_b64 s[70:71], s[68:69]
	s_cbranch_execz .LBB1044_886
.LBB1044_835:                           ;   in Loop: Header=BB1044_736 Depth=2
	ds_read_u16 v56, v76 offset:7168
	v_mov_b32_e32 v160, s79
	s_waitcnt lgkmcnt(0)
	v_lshrrev_b32_sdwa v57, s89, v56 dst_sel:DWORD dst_unused:UNUSED_PAD src0_sel:DWORD src1_sel:WORD_0
	v_and_b32_e32 v57, s6, v57
	v_lshlrev_b32_e32 v57, 2, v57
	ds_read_b32 v157, v57
	v_mov_b32_e32 v57, v4
	v_xor_b32_e32 v165, 0xffff8000, v56
	s_waitcnt lgkmcnt(0)
	v_add_u32_e32 v56, v157, v18
	v_lshlrev_b64 v[56:57], 1, v[56:57]
	v_add_co_u32_e32 v56, vcc, s78, v56
	v_addc_co_u32_e32 v57, vcc, v160, v57, vcc
	global_store_short v[56:57], v165, off
	s_or_b64 exec, exec, s[70:71]
	v_cmp_lt_u32_e64 s[70:71], v20, v156
	s_and_saveexec_b64 s[72:73], s[70:71]
	s_cbranch_execnz .LBB1044_887
.LBB1044_836:                           ;   in Loop: Header=BB1044_736 Depth=2
	s_or_b64 exec, exec, s[72:73]
	v_cmp_lt_u32_e64 s[72:73], v22, v156
	s_and_saveexec_b64 s[82:83], s[72:73]
	s_cbranch_execz .LBB1044_838
.LBB1044_837:                           ;   in Loop: Header=BB1044_736 Depth=2
	ds_read_u16 v56, v76 offset:8192
	v_mov_b32_e32 v160, s79
	s_waitcnt lgkmcnt(0)
	v_lshrrev_b32_sdwa v57, s89, v56 dst_sel:DWORD dst_unused:UNUSED_PAD src0_sel:DWORD src1_sel:WORD_0
	v_and_b32_e32 v57, s6, v57
	v_lshlrev_b32_e32 v57, 2, v57
	ds_read_b32 v157, v57
	v_mov_b32_e32 v57, v4
	v_xor_b32_e32 v165, 0xffff8000, v56
	s_waitcnt lgkmcnt(0)
	v_add_u32_e32 v56, v157, v22
	v_lshlrev_b64 v[56:57], 1, v[56:57]
	v_add_co_u32_e32 v56, vcc, s78, v56
	v_addc_co_u32_e32 v57, vcc, v160, v57, vcc
	global_store_short v[56:57], v165, off
.LBB1044_838:                           ;   in Loop: Header=BB1044_736 Depth=2
	s_or_b64 exec, exec, s[82:83]
	s_lshl_b64 s[82:83], s[94:95], 3
	v_mov_b32_e32 v57, s83
	v_add_co_u32_e32 v56, vcc, s82, v130
	v_addc_co_u32_e32 v57, vcc, v131, v57, vcc
	v_cmp_lt_u32_e32 vcc, v111, v156
	s_and_saveexec_b64 s[82:83], vcc
	s_xor_b64 s[82:83], exec, s[82:83]
	s_cbranch_execz .LBB1044_888
; %bb.839:                              ;   in Loop: Header=BB1044_736 Depth=2
	global_load_dwordx2 v[54:55], v[56:57], off
	s_or_b64 exec, exec, s[82:83]
	v_cmp_lt_u32_e32 vcc, v112, v156
	s_and_saveexec_b64 s[82:83], vcc
	s_cbranch_execnz .LBB1044_889
.LBB1044_840:                           ;   in Loop: Header=BB1044_736 Depth=2
	s_or_b64 exec, exec, s[82:83]
	v_cmp_lt_u32_e32 vcc, v113, v156
	s_and_saveexec_b64 s[82:83], vcc
	s_cbranch_execz .LBB1044_890
.LBB1044_841:                           ;   in Loop: Header=BB1044_736 Depth=2
	global_load_dwordx2 v[50:51], v[56:57], off offset:1024
	s_or_b64 exec, exec, s[82:83]
	v_cmp_lt_u32_e32 vcc, v114, v156
	s_and_saveexec_b64 s[82:83], vcc
	s_cbranch_execnz .LBB1044_891
.LBB1044_842:                           ;   in Loop: Header=BB1044_736 Depth=2
	s_or_b64 exec, exec, s[82:83]
	v_cmp_lt_u32_e32 vcc, v115, v156
	s_and_saveexec_b64 s[82:83], vcc
	s_cbranch_execz .LBB1044_892
.LBB1044_843:                           ;   in Loop: Header=BB1044_736 Depth=2
	global_load_dwordx2 v[42:43], v[56:57], off offset:2048
	s_or_b64 exec, exec, s[82:83]
	v_cmp_lt_u32_e32 vcc, v116, v156
	s_and_saveexec_b64 s[82:83], vcc
	s_cbranch_execnz .LBB1044_893
.LBB1044_844:                           ;   in Loop: Header=BB1044_736 Depth=2
	s_or_b64 exec, exec, s[82:83]
	v_cmp_lt_u32_e32 vcc, v117, v156
	s_and_saveexec_b64 s[82:83], vcc
	s_cbranch_execz .LBB1044_894
.LBB1044_845:                           ;   in Loop: Header=BB1044_736 Depth=2
	global_load_dwordx2 v[34:35], v[56:57], off offset:3072
	s_or_b64 exec, exec, s[82:83]
	v_cmp_lt_u32_e32 vcc, v118, v156
	s_and_saveexec_b64 s[82:83], vcc
	s_cbranch_execnz .LBB1044_895
.LBB1044_846:                           ;   in Loop: Header=BB1044_736 Depth=2
	s_or_b64 exec, exec, s[82:83]
	v_cmp_lt_u32_e32 vcc, v119, v156
	s_and_saveexec_b64 s[82:83], vcc
	s_cbranch_execz .LBB1044_896
.LBB1044_847:                           ;   in Loop: Header=BB1044_736 Depth=2
	v_add_co_u32_e32 v48, vcc, 0x1000, v56
	v_addc_co_u32_e32 v49, vcc, 0, v57, vcc
	global_load_dwordx2 v[48:49], v[48:49], off
	s_or_b64 exec, exec, s[82:83]
	v_cmp_lt_u32_e32 vcc, v120, v156
	s_and_saveexec_b64 s[82:83], vcc
	s_cbranch_execnz .LBB1044_897
.LBB1044_848:                           ;   in Loop: Header=BB1044_736 Depth=2
	s_or_b64 exec, exec, s[82:83]
	v_cmp_lt_u32_e32 vcc, v121, v156
	s_and_saveexec_b64 s[82:83], vcc
	s_cbranch_execz .LBB1044_898
.LBB1044_849:                           ;   in Loop: Header=BB1044_736 Depth=2
	v_add_co_u32_e32 v40, vcc, 0x1000, v56
	v_addc_co_u32_e32 v41, vcc, 0, v57, vcc
	global_load_dwordx2 v[40:41], v[40:41], off offset:1024
	s_or_b64 exec, exec, s[82:83]
	v_cmp_lt_u32_e32 vcc, v122, v156
	s_and_saveexec_b64 s[82:83], vcc
	s_cbranch_execnz .LBB1044_899
.LBB1044_850:                           ;   in Loop: Header=BB1044_736 Depth=2
	s_or_b64 exec, exec, s[82:83]
	v_cmp_lt_u32_e32 vcc, v123, v156
	s_and_saveexec_b64 s[82:83], vcc
	s_cbranch_execz .LBB1044_900
.LBB1044_851:                           ;   in Loop: Header=BB1044_736 Depth=2
	v_add_co_u32_e32 v32, vcc, 0x1000, v56
	v_addc_co_u32_e32 v33, vcc, 0, v57, vcc
	global_load_dwordx2 v[32:33], v[32:33], off offset:2048
	s_or_b64 exec, exec, s[82:83]
	v_cmp_lt_u32_e32 vcc, v124, v156
	s_and_saveexec_b64 s[82:83], vcc
	s_cbranch_execnz .LBB1044_901
.LBB1044_852:                           ;   in Loop: Header=BB1044_736 Depth=2
	s_or_b64 exec, exec, s[82:83]
	v_cmp_lt_u32_e32 vcc, v125, v156
	s_and_saveexec_b64 s[82:83], vcc
	s_cbranch_execz .LBB1044_902
.LBB1044_853:                           ;   in Loop: Header=BB1044_736 Depth=2
	v_add_co_u32_e32 v26, vcc, 0x1000, v56
	v_addc_co_u32_e32 v27, vcc, 0, v57, vcc
	global_load_dwordx2 v[26:27], v[26:27], off offset:3072
	s_or_b64 exec, exec, s[82:83]
	v_cmp_lt_u32_e32 vcc, v126, v156
	s_and_saveexec_b64 s[82:83], vcc
	s_cbranch_execnz .LBB1044_903
.LBB1044_854:                           ;   in Loop: Header=BB1044_736 Depth=2
	s_or_b64 exec, exec, s[82:83]
	v_cmp_lt_u32_e32 vcc, v127, v156
	s_and_saveexec_b64 s[82:83], vcc
	s_cbranch_execz .LBB1044_904
.LBB1044_855:                           ;   in Loop: Header=BB1044_736 Depth=2
	v_add_co_u32_e32 v0, vcc, 0x2000, v56
	v_addc_co_u32_e32 v1, vcc, 0, v57, vcc
	global_load_dwordx2 v[0:1], v[0:1], off
	s_or_b64 exec, exec, s[82:83]
	s_and_saveexec_b64 s[82:83], s[40:41]
	s_cbranch_execnz .LBB1044_905
.LBB1044_856:                           ;   in Loop: Header=BB1044_736 Depth=2
	s_or_b64 exec, exec, s[82:83]
	s_and_saveexec_b64 s[82:83], s[42:43]
	s_cbranch_execz .LBB1044_906
.LBB1044_857:                           ;   in Loop: Header=BB1044_736 Depth=2
	ds_read_u16 v56, v76 offset:512
	s_waitcnt lgkmcnt(0)
	v_lshrrev_b32_e32 v56, s89, v56
	v_and_b32_e32 v150, s6, v56
	s_or_b64 exec, exec, s[82:83]
	s_and_saveexec_b64 s[82:83], s[44:45]
	s_cbranch_execnz .LBB1044_907
.LBB1044_858:                           ;   in Loop: Header=BB1044_736 Depth=2
	s_or_b64 exec, exec, s[82:83]
	s_and_saveexec_b64 s[82:83], s[46:47]
	s_cbranch_execz .LBB1044_908
.LBB1044_859:                           ;   in Loop: Header=BB1044_736 Depth=2
	ds_read_u16 v56, v76 offset:1536
	s_waitcnt lgkmcnt(0)
	v_lshrrev_b32_e32 v56, s89, v56
	v_and_b32_e32 v147, s6, v56
	s_or_b64 exec, exec, s[82:83]
	s_and_saveexec_b64 s[82:83], s[48:49]
	s_cbranch_execnz .LBB1044_909
.LBB1044_860:                           ;   in Loop: Header=BB1044_736 Depth=2
	s_or_b64 exec, exec, s[82:83]
	s_and_saveexec_b64 s[82:83], s[50:51]
	s_cbranch_execz .LBB1044_910
.LBB1044_861:                           ;   in Loop: Header=BB1044_736 Depth=2
	ds_read_u16 v56, v76 offset:2560
	s_waitcnt lgkmcnt(0)
	v_lshrrev_b32_e32 v56, s89, v56
	v_and_b32_e32 v145, s6, v56
	s_or_b64 exec, exec, s[82:83]
	s_and_saveexec_b64 s[82:83], s[52:53]
	s_cbranch_execnz .LBB1044_911
.LBB1044_862:                           ;   in Loop: Header=BB1044_736 Depth=2
	s_or_b64 exec, exec, s[82:83]
	s_and_saveexec_b64 s[82:83], s[54:55]
	s_cbranch_execz .LBB1044_912
.LBB1044_863:                           ;   in Loop: Header=BB1044_736 Depth=2
	ds_read_u16 v56, v76 offset:3584
	s_waitcnt lgkmcnt(0)
	v_lshrrev_b32_e32 v56, s89, v56
	v_and_b32_e32 v143, s6, v56
	s_or_b64 exec, exec, s[82:83]
	s_and_saveexec_b64 s[82:83], s[56:57]
	s_cbranch_execnz .LBB1044_913
.LBB1044_864:                           ;   in Loop: Header=BB1044_736 Depth=2
	s_or_b64 exec, exec, s[82:83]
	s_and_saveexec_b64 s[82:83], s[58:59]
	s_cbranch_execz .LBB1044_914
.LBB1044_865:                           ;   in Loop: Header=BB1044_736 Depth=2
	ds_read_u16 v56, v76 offset:4608
	s_waitcnt lgkmcnt(0)
	v_lshrrev_b32_e32 v56, s89, v56
	v_and_b32_e32 v141, s6, v56
	s_or_b64 exec, exec, s[82:83]
	s_and_saveexec_b64 s[82:83], s[60:61]
	s_cbranch_execnz .LBB1044_915
.LBB1044_866:                           ;   in Loop: Header=BB1044_736 Depth=2
	s_or_b64 exec, exec, s[82:83]
	s_and_saveexec_b64 s[82:83], s[62:63]
	s_cbranch_execz .LBB1044_916
.LBB1044_867:                           ;   in Loop: Header=BB1044_736 Depth=2
	ds_read_u16 v56, v76 offset:5632
	s_waitcnt lgkmcnt(0)
	v_lshrrev_b32_e32 v56, s89, v56
	v_and_b32_e32 v139, s6, v56
	s_or_b64 exec, exec, s[82:83]
	s_and_saveexec_b64 s[82:83], s[64:65]
	s_cbranch_execnz .LBB1044_917
.LBB1044_868:                           ;   in Loop: Header=BB1044_736 Depth=2
	s_or_b64 exec, exec, s[82:83]
	s_and_saveexec_b64 s[82:83], s[66:67]
	s_cbranch_execz .LBB1044_918
.LBB1044_869:                           ;   in Loop: Header=BB1044_736 Depth=2
	ds_read_u16 v56, v76 offset:6656
	s_waitcnt lgkmcnt(0)
	v_lshrrev_b32_e32 v56, s89, v56
	v_and_b32_e32 v137, s6, v56
	s_or_b64 exec, exec, s[82:83]
	s_and_saveexec_b64 s[82:83], s[68:69]
	s_cbranch_execnz .LBB1044_919
.LBB1044_870:                           ;   in Loop: Header=BB1044_736 Depth=2
	s_or_b64 exec, exec, s[82:83]
	s_and_saveexec_b64 s[82:83], s[70:71]
	s_cbranch_execz .LBB1044_920
.LBB1044_871:                           ;   in Loop: Header=BB1044_736 Depth=2
	ds_read_u16 v56, v76 offset:7680
	s_waitcnt lgkmcnt(0)
	v_lshrrev_b32_e32 v56, s89, v56
	v_and_b32_e32 v135, s6, v56
	s_or_b64 exec, exec, s[82:83]
	s_and_saveexec_b64 s[82:83], s[72:73]
	s_cbranch_execnz .LBB1044_921
	s_branch .LBB1044_922
.LBB1044_872:                           ;   in Loop: Header=BB1044_736 Depth=2
	s_or_b64 exec, exec, s[42:43]
	v_cmp_lt_u32_e64 s[42:43], v7, v156
	s_and_saveexec_b64 s[44:45], s[42:43]
	s_cbranch_execz .LBB1044_822
.LBB1044_873:                           ;   in Loop: Header=BB1044_736 Depth=2
	ds_read_u16 v56, v76 offset:512
	v_mov_b32_e32 v160, s79
	s_waitcnt lgkmcnt(0)
	v_lshrrev_b32_sdwa v57, s89, v56 dst_sel:DWORD dst_unused:UNUSED_PAD src0_sel:DWORD src1_sel:WORD_0
	v_and_b32_e32 v57, s6, v57
	v_lshlrev_b32_e32 v57, 2, v57
	ds_read_b32 v157, v57
	v_mov_b32_e32 v57, v4
	v_xor_b32_e32 v165, 0xffff8000, v56
	s_waitcnt lgkmcnt(0)
	v_add_u32_e32 v56, v157, v7
	v_lshlrev_b64 v[56:57], 1, v[56:57]
	v_add_co_u32_e32 v56, vcc, s78, v56
	v_addc_co_u32_e32 v57, vcc, v160, v57, vcc
	global_store_short v[56:57], v165, off
	s_or_b64 exec, exec, s[44:45]
	v_cmp_lt_u32_e64 s[44:45], v13, v156
	s_and_saveexec_b64 s[46:47], s[44:45]
	s_cbranch_execnz .LBB1044_823
.LBB1044_874:                           ;   in Loop: Header=BB1044_736 Depth=2
	s_or_b64 exec, exec, s[46:47]
	v_cmp_lt_u32_e64 s[46:47], v15, v156
	s_and_saveexec_b64 s[48:49], s[46:47]
	s_cbranch_execz .LBB1044_824
.LBB1044_875:                           ;   in Loop: Header=BB1044_736 Depth=2
	ds_read_u16 v56, v76 offset:1536
	v_mov_b32_e32 v160, s79
	s_waitcnt lgkmcnt(0)
	v_lshrrev_b32_sdwa v57, s89, v56 dst_sel:DWORD dst_unused:UNUSED_PAD src0_sel:DWORD src1_sel:WORD_0
	v_and_b32_e32 v57, s6, v57
	v_lshlrev_b32_e32 v57, 2, v57
	ds_read_b32 v157, v57
	v_mov_b32_e32 v57, v4
	v_xor_b32_e32 v165, 0xffff8000, v56
	s_waitcnt lgkmcnt(0)
	v_add_u32_e32 v56, v157, v15
	v_lshlrev_b64 v[56:57], 1, v[56:57]
	v_add_co_u32_e32 v56, vcc, s78, v56
	v_addc_co_u32_e32 v57, vcc, v160, v57, vcc
	global_store_short v[56:57], v165, off
	s_or_b64 exec, exec, s[48:49]
	v_cmp_lt_u32_e64 s[48:49], v17, v156
	s_and_saveexec_b64 s[50:51], s[48:49]
	s_cbranch_execnz .LBB1044_825
.LBB1044_876:                           ;   in Loop: Header=BB1044_736 Depth=2
	s_or_b64 exec, exec, s[50:51]
	v_cmp_lt_u32_e64 s[50:51], v19, v156
	s_and_saveexec_b64 s[52:53], s[50:51]
	s_cbranch_execz .LBB1044_826
.LBB1044_877:                           ;   in Loop: Header=BB1044_736 Depth=2
	ds_read_u16 v56, v76 offset:2560
	v_mov_b32_e32 v160, s79
	s_waitcnt lgkmcnt(0)
	v_lshrrev_b32_sdwa v57, s89, v56 dst_sel:DWORD dst_unused:UNUSED_PAD src0_sel:DWORD src1_sel:WORD_0
	v_and_b32_e32 v57, s6, v57
	v_lshlrev_b32_e32 v57, 2, v57
	ds_read_b32 v157, v57
	v_mov_b32_e32 v57, v4
	v_xor_b32_e32 v165, 0xffff8000, v56
	s_waitcnt lgkmcnt(0)
	v_add_u32_e32 v56, v157, v19
	v_lshlrev_b64 v[56:57], 1, v[56:57]
	v_add_co_u32_e32 v56, vcc, s78, v56
	v_addc_co_u32_e32 v57, vcc, v160, v57, vcc
	global_store_short v[56:57], v165, off
	s_or_b64 exec, exec, s[52:53]
	v_cmp_lt_u32_e64 s[52:53], v21, v156
	s_and_saveexec_b64 s[54:55], s[52:53]
	s_cbranch_execnz .LBB1044_827
.LBB1044_878:                           ;   in Loop: Header=BB1044_736 Depth=2
	s_or_b64 exec, exec, s[54:55]
	v_cmp_lt_u32_e64 s[54:55], v23, v156
	s_and_saveexec_b64 s[56:57], s[54:55]
	s_cbranch_execz .LBB1044_828
.LBB1044_879:                           ;   in Loop: Header=BB1044_736 Depth=2
	ds_read_u16 v56, v76 offset:3584
	v_mov_b32_e32 v160, s79
	s_waitcnt lgkmcnt(0)
	v_lshrrev_b32_sdwa v57, s89, v56 dst_sel:DWORD dst_unused:UNUSED_PAD src0_sel:DWORD src1_sel:WORD_0
	v_and_b32_e32 v57, s6, v57
	v_lshlrev_b32_e32 v57, 2, v57
	ds_read_b32 v157, v57
	v_mov_b32_e32 v57, v4
	v_xor_b32_e32 v165, 0xffff8000, v56
	s_waitcnt lgkmcnt(0)
	v_add_u32_e32 v56, v157, v23
	v_lshlrev_b64 v[56:57], 1, v[56:57]
	v_add_co_u32_e32 v56, vcc, s78, v56
	v_addc_co_u32_e32 v57, vcc, v160, v57, vcc
	global_store_short v[56:57], v165, off
	s_or_b64 exec, exec, s[56:57]
	v_cmp_lt_u32_e64 s[56:57], v6, v156
	s_and_saveexec_b64 s[58:59], s[56:57]
	s_cbranch_execnz .LBB1044_829
.LBB1044_880:                           ;   in Loop: Header=BB1044_736 Depth=2
	s_or_b64 exec, exec, s[58:59]
	v_cmp_lt_u32_e64 s[58:59], v8, v156
	s_and_saveexec_b64 s[60:61], s[58:59]
	s_cbranch_execz .LBB1044_830
.LBB1044_881:                           ;   in Loop: Header=BB1044_736 Depth=2
	ds_read_u16 v56, v76 offset:4608
	v_mov_b32_e32 v160, s79
	s_waitcnt lgkmcnt(0)
	v_lshrrev_b32_sdwa v57, s89, v56 dst_sel:DWORD dst_unused:UNUSED_PAD src0_sel:DWORD src1_sel:WORD_0
	v_and_b32_e32 v57, s6, v57
	v_lshlrev_b32_e32 v57, 2, v57
	ds_read_b32 v157, v57
	v_mov_b32_e32 v57, v4
	v_xor_b32_e32 v165, 0xffff8000, v56
	s_waitcnt lgkmcnt(0)
	v_add_u32_e32 v56, v157, v8
	v_lshlrev_b64 v[56:57], 1, v[56:57]
	v_add_co_u32_e32 v56, vcc, s78, v56
	v_addc_co_u32_e32 v57, vcc, v160, v57, vcc
	global_store_short v[56:57], v165, off
	s_or_b64 exec, exec, s[60:61]
	v_cmp_lt_u32_e64 s[60:61], v10, v156
	s_and_saveexec_b64 s[62:63], s[60:61]
	s_cbranch_execnz .LBB1044_831
.LBB1044_882:                           ;   in Loop: Header=BB1044_736 Depth=2
	s_or_b64 exec, exec, s[62:63]
	v_cmp_lt_u32_e64 s[62:63], v12, v156
	s_and_saveexec_b64 s[64:65], s[62:63]
	s_cbranch_execz .LBB1044_832
.LBB1044_883:                           ;   in Loop: Header=BB1044_736 Depth=2
	ds_read_u16 v56, v76 offset:5632
	v_mov_b32_e32 v160, s79
	s_waitcnt lgkmcnt(0)
	v_lshrrev_b32_sdwa v57, s89, v56 dst_sel:DWORD dst_unused:UNUSED_PAD src0_sel:DWORD src1_sel:WORD_0
	v_and_b32_e32 v57, s6, v57
	v_lshlrev_b32_e32 v57, 2, v57
	ds_read_b32 v157, v57
	v_mov_b32_e32 v57, v4
	v_xor_b32_e32 v165, 0xffff8000, v56
	s_waitcnt lgkmcnt(0)
	v_add_u32_e32 v56, v157, v12
	v_lshlrev_b64 v[56:57], 1, v[56:57]
	v_add_co_u32_e32 v56, vcc, s78, v56
	v_addc_co_u32_e32 v57, vcc, v160, v57, vcc
	global_store_short v[56:57], v165, off
	s_or_b64 exec, exec, s[64:65]
	v_cmp_lt_u32_e64 s[64:65], v14, v156
	s_and_saveexec_b64 s[66:67], s[64:65]
	s_cbranch_execnz .LBB1044_833
.LBB1044_884:                           ;   in Loop: Header=BB1044_736 Depth=2
	s_or_b64 exec, exec, s[66:67]
	v_cmp_lt_u32_e64 s[66:67], v16, v156
	s_and_saveexec_b64 s[68:69], s[66:67]
	s_cbranch_execz .LBB1044_834
.LBB1044_885:                           ;   in Loop: Header=BB1044_736 Depth=2
	ds_read_u16 v56, v76 offset:6656
	v_mov_b32_e32 v160, s79
	s_waitcnt lgkmcnt(0)
	v_lshrrev_b32_sdwa v57, s89, v56 dst_sel:DWORD dst_unused:UNUSED_PAD src0_sel:DWORD src1_sel:WORD_0
	v_and_b32_e32 v57, s6, v57
	v_lshlrev_b32_e32 v57, 2, v57
	ds_read_b32 v157, v57
	v_mov_b32_e32 v57, v4
	v_xor_b32_e32 v165, 0xffff8000, v56
	s_waitcnt lgkmcnt(0)
	v_add_u32_e32 v56, v157, v16
	v_lshlrev_b64 v[56:57], 1, v[56:57]
	v_add_co_u32_e32 v56, vcc, s78, v56
	v_addc_co_u32_e32 v57, vcc, v160, v57, vcc
	global_store_short v[56:57], v165, off
	s_or_b64 exec, exec, s[68:69]
	v_cmp_lt_u32_e64 s[68:69], v18, v156
	s_and_saveexec_b64 s[70:71], s[68:69]
	s_cbranch_execnz .LBB1044_835
.LBB1044_886:                           ;   in Loop: Header=BB1044_736 Depth=2
	s_or_b64 exec, exec, s[70:71]
	v_cmp_lt_u32_e64 s[70:71], v20, v156
	s_and_saveexec_b64 s[72:73], s[70:71]
	s_cbranch_execz .LBB1044_836
.LBB1044_887:                           ;   in Loop: Header=BB1044_736 Depth=2
	ds_read_u16 v56, v76 offset:7680
	v_mov_b32_e32 v160, s79
	s_waitcnt lgkmcnt(0)
	v_lshrrev_b32_sdwa v57, s89, v56 dst_sel:DWORD dst_unused:UNUSED_PAD src0_sel:DWORD src1_sel:WORD_0
	v_and_b32_e32 v57, s6, v57
	v_lshlrev_b32_e32 v57, 2, v57
	ds_read_b32 v157, v57
	v_mov_b32_e32 v57, v4
	v_xor_b32_e32 v165, 0xffff8000, v56
	s_waitcnt lgkmcnt(0)
	v_add_u32_e32 v56, v157, v20
	v_lshlrev_b64 v[56:57], 1, v[56:57]
	v_add_co_u32_e32 v56, vcc, s78, v56
	v_addc_co_u32_e32 v57, vcc, v160, v57, vcc
	global_store_short v[56:57], v165, off
	s_or_b64 exec, exec, s[72:73]
	v_cmp_lt_u32_e64 s[72:73], v22, v156
	s_and_saveexec_b64 s[82:83], s[72:73]
	s_cbranch_execnz .LBB1044_837
	s_branch .LBB1044_838
.LBB1044_888:                           ;   in Loop: Header=BB1044_736 Depth=2
	s_or_b64 exec, exec, s[82:83]
	v_cmp_lt_u32_e32 vcc, v112, v156
	s_and_saveexec_b64 s[82:83], vcc
	s_cbranch_execz .LBB1044_840
.LBB1044_889:                           ;   in Loop: Header=BB1044_736 Depth=2
	global_load_dwordx2 v[52:53], v[56:57], off offset:512
	s_or_b64 exec, exec, s[82:83]
	v_cmp_lt_u32_e32 vcc, v113, v156
	s_and_saveexec_b64 s[82:83], vcc
	s_cbranch_execnz .LBB1044_841
.LBB1044_890:                           ;   in Loop: Header=BB1044_736 Depth=2
	s_or_b64 exec, exec, s[82:83]
	v_cmp_lt_u32_e32 vcc, v114, v156
	s_and_saveexec_b64 s[82:83], vcc
	s_cbranch_execz .LBB1044_842
.LBB1044_891:                           ;   in Loop: Header=BB1044_736 Depth=2
	global_load_dwordx2 v[46:47], v[56:57], off offset:1536
	s_or_b64 exec, exec, s[82:83]
	v_cmp_lt_u32_e32 vcc, v115, v156
	s_and_saveexec_b64 s[82:83], vcc
	s_cbranch_execnz .LBB1044_843
.LBB1044_892:                           ;   in Loop: Header=BB1044_736 Depth=2
	s_or_b64 exec, exec, s[82:83]
	v_cmp_lt_u32_e32 vcc, v116, v156
	s_and_saveexec_b64 s[82:83], vcc
	s_cbranch_execz .LBB1044_844
.LBB1044_893:                           ;   in Loop: Header=BB1044_736 Depth=2
	global_load_dwordx2 v[38:39], v[56:57], off offset:2560
	s_or_b64 exec, exec, s[82:83]
	v_cmp_lt_u32_e32 vcc, v117, v156
	s_and_saveexec_b64 s[82:83], vcc
	s_cbranch_execnz .LBB1044_845
.LBB1044_894:                           ;   in Loop: Header=BB1044_736 Depth=2
	s_or_b64 exec, exec, s[82:83]
	v_cmp_lt_u32_e32 vcc, v118, v156
	s_and_saveexec_b64 s[82:83], vcc
	s_cbranch_execz .LBB1044_846
.LBB1044_895:                           ;   in Loop: Header=BB1044_736 Depth=2
	global_load_dwordx2 v[30:31], v[56:57], off offset:3584
	s_or_b64 exec, exec, s[82:83]
	v_cmp_lt_u32_e32 vcc, v119, v156
	s_and_saveexec_b64 s[82:83], vcc
	s_cbranch_execnz .LBB1044_847
.LBB1044_896:                           ;   in Loop: Header=BB1044_736 Depth=2
	s_or_b64 exec, exec, s[82:83]
	v_cmp_lt_u32_e32 vcc, v120, v156
	s_and_saveexec_b64 s[82:83], vcc
	s_cbranch_execz .LBB1044_848
.LBB1044_897:                           ;   in Loop: Header=BB1044_736 Depth=2
	v_add_co_u32_e32 v44, vcc, 0x1000, v56
	v_addc_co_u32_e32 v45, vcc, 0, v57, vcc
	global_load_dwordx2 v[44:45], v[44:45], off offset:512
	s_or_b64 exec, exec, s[82:83]
	v_cmp_lt_u32_e32 vcc, v121, v156
	s_and_saveexec_b64 s[82:83], vcc
	s_cbranch_execnz .LBB1044_849
.LBB1044_898:                           ;   in Loop: Header=BB1044_736 Depth=2
	s_or_b64 exec, exec, s[82:83]
	v_cmp_lt_u32_e32 vcc, v122, v156
	s_and_saveexec_b64 s[82:83], vcc
	s_cbranch_execz .LBB1044_850
.LBB1044_899:                           ;   in Loop: Header=BB1044_736 Depth=2
	v_add_co_u32_e32 v36, vcc, 0x1000, v56
	v_addc_co_u32_e32 v37, vcc, 0, v57, vcc
	global_load_dwordx2 v[36:37], v[36:37], off offset:1536
	s_or_b64 exec, exec, s[82:83]
	v_cmp_lt_u32_e32 vcc, v123, v156
	s_and_saveexec_b64 s[82:83], vcc
	s_cbranch_execnz .LBB1044_851
.LBB1044_900:                           ;   in Loop: Header=BB1044_736 Depth=2
	s_or_b64 exec, exec, s[82:83]
	v_cmp_lt_u32_e32 vcc, v124, v156
	s_and_saveexec_b64 s[82:83], vcc
	s_cbranch_execz .LBB1044_852
.LBB1044_901:                           ;   in Loop: Header=BB1044_736 Depth=2
	v_add_co_u32_e32 v28, vcc, 0x1000, v56
	v_addc_co_u32_e32 v29, vcc, 0, v57, vcc
	global_load_dwordx2 v[28:29], v[28:29], off offset:2560
	s_or_b64 exec, exec, s[82:83]
	v_cmp_lt_u32_e32 vcc, v125, v156
	s_and_saveexec_b64 s[82:83], vcc
	s_cbranch_execnz .LBB1044_853
.LBB1044_902:                           ;   in Loop: Header=BB1044_736 Depth=2
	s_or_b64 exec, exec, s[82:83]
	v_cmp_lt_u32_e32 vcc, v126, v156
	s_and_saveexec_b64 s[82:83], vcc
	s_cbranch_execz .LBB1044_854
.LBB1044_903:                           ;   in Loop: Header=BB1044_736 Depth=2
	v_add_co_u32_e32 v24, vcc, 0x1000, v56
	v_addc_co_u32_e32 v25, vcc, 0, v57, vcc
	global_load_dwordx2 v[24:25], v[24:25], off offset:3584
	s_or_b64 exec, exec, s[82:83]
	v_cmp_lt_u32_e32 vcc, v127, v156
	s_and_saveexec_b64 s[82:83], vcc
	s_cbranch_execnz .LBB1044_855
.LBB1044_904:                           ;   in Loop: Header=BB1044_736 Depth=2
	s_or_b64 exec, exec, s[82:83]
	s_and_saveexec_b64 s[82:83], s[40:41]
	s_cbranch_execz .LBB1044_856
.LBB1044_905:                           ;   in Loop: Header=BB1044_736 Depth=2
	v_add_u32_e32 v56, v70, v75
	ds_read_u16 v56, v56 offset:512
	s_waitcnt lgkmcnt(0)
	v_lshrrev_b32_e32 v56, s89, v56
	v_and_b32_e32 v152, s6, v56
	s_or_b64 exec, exec, s[82:83]
	s_and_saveexec_b64 s[82:83], s[42:43]
	s_cbranch_execnz .LBB1044_857
.LBB1044_906:                           ;   in Loop: Header=BB1044_736 Depth=2
	s_or_b64 exec, exec, s[82:83]
	s_and_saveexec_b64 s[82:83], s[44:45]
	s_cbranch_execz .LBB1044_858
.LBB1044_907:                           ;   in Loop: Header=BB1044_736 Depth=2
	ds_read_u16 v56, v76 offset:1024
	s_waitcnt lgkmcnt(0)
	v_lshrrev_b32_e32 v56, s89, v56
	v_and_b32_e32 v149, s6, v56
	s_or_b64 exec, exec, s[82:83]
	s_and_saveexec_b64 s[82:83], s[46:47]
	s_cbranch_execnz .LBB1044_859
.LBB1044_908:                           ;   in Loop: Header=BB1044_736 Depth=2
	s_or_b64 exec, exec, s[82:83]
	s_and_saveexec_b64 s[82:83], s[48:49]
	s_cbranch_execz .LBB1044_860
.LBB1044_909:                           ;   in Loop: Header=BB1044_736 Depth=2
	ds_read_u16 v56, v76 offset:2048
	s_waitcnt lgkmcnt(0)
	v_lshrrev_b32_e32 v56, s89, v56
	v_and_b32_e32 v146, s6, v56
	s_or_b64 exec, exec, s[82:83]
	s_and_saveexec_b64 s[82:83], s[50:51]
	s_cbranch_execnz .LBB1044_861
.LBB1044_910:                           ;   in Loop: Header=BB1044_736 Depth=2
	s_or_b64 exec, exec, s[82:83]
	s_and_saveexec_b64 s[82:83], s[52:53]
	s_cbranch_execz .LBB1044_862
.LBB1044_911:                           ;   in Loop: Header=BB1044_736 Depth=2
	ds_read_u16 v56, v76 offset:3072
	s_waitcnt lgkmcnt(0)
	v_lshrrev_b32_e32 v56, s89, v56
	v_and_b32_e32 v144, s6, v56
	s_or_b64 exec, exec, s[82:83]
	s_and_saveexec_b64 s[82:83], s[54:55]
	s_cbranch_execnz .LBB1044_863
.LBB1044_912:                           ;   in Loop: Header=BB1044_736 Depth=2
	s_or_b64 exec, exec, s[82:83]
	s_and_saveexec_b64 s[82:83], s[56:57]
	s_cbranch_execz .LBB1044_864
.LBB1044_913:                           ;   in Loop: Header=BB1044_736 Depth=2
	ds_read_u16 v56, v76 offset:4096
	s_waitcnt lgkmcnt(0)
	v_lshrrev_b32_e32 v56, s89, v56
	v_and_b32_e32 v142, s6, v56
	s_or_b64 exec, exec, s[82:83]
	s_and_saveexec_b64 s[82:83], s[58:59]
	s_cbranch_execnz .LBB1044_865
.LBB1044_914:                           ;   in Loop: Header=BB1044_736 Depth=2
	s_or_b64 exec, exec, s[82:83]
	s_and_saveexec_b64 s[82:83], s[60:61]
	s_cbranch_execz .LBB1044_866
.LBB1044_915:                           ;   in Loop: Header=BB1044_736 Depth=2
	ds_read_u16 v56, v76 offset:5120
	s_waitcnt lgkmcnt(0)
	v_lshrrev_b32_e32 v56, s89, v56
	v_and_b32_e32 v140, s6, v56
	s_or_b64 exec, exec, s[82:83]
	s_and_saveexec_b64 s[82:83], s[62:63]
	s_cbranch_execnz .LBB1044_867
.LBB1044_916:                           ;   in Loop: Header=BB1044_736 Depth=2
	s_or_b64 exec, exec, s[82:83]
	s_and_saveexec_b64 s[82:83], s[64:65]
	s_cbranch_execz .LBB1044_868
.LBB1044_917:                           ;   in Loop: Header=BB1044_736 Depth=2
	ds_read_u16 v56, v76 offset:6144
	s_waitcnt lgkmcnt(0)
	v_lshrrev_b32_e32 v56, s89, v56
	v_and_b32_e32 v138, s6, v56
	s_or_b64 exec, exec, s[82:83]
	s_and_saveexec_b64 s[82:83], s[66:67]
	s_cbranch_execnz .LBB1044_869
.LBB1044_918:                           ;   in Loop: Header=BB1044_736 Depth=2
	s_or_b64 exec, exec, s[82:83]
	s_and_saveexec_b64 s[82:83], s[68:69]
	s_cbranch_execz .LBB1044_870
.LBB1044_919:                           ;   in Loop: Header=BB1044_736 Depth=2
	ds_read_u16 v56, v76 offset:7168
	s_waitcnt lgkmcnt(0)
	v_lshrrev_b32_e32 v56, s89, v56
	v_and_b32_e32 v136, s6, v56
	s_or_b64 exec, exec, s[82:83]
	s_and_saveexec_b64 s[82:83], s[70:71]
	s_cbranch_execnz .LBB1044_871
.LBB1044_920:                           ;   in Loop: Header=BB1044_736 Depth=2
	s_or_b64 exec, exec, s[82:83]
	s_and_saveexec_b64 s[82:83], s[72:73]
	s_cbranch_execz .LBB1044_922
.LBB1044_921:                           ;   in Loop: Header=BB1044_736 Depth=2
	ds_read_u16 v56, v76 offset:8192
	s_waitcnt lgkmcnt(0)
	v_lshrrev_b32_e32 v56, s89, v56
	v_and_b32_e32 v134, s6, v56
.LBB1044_922:                           ;   in Loop: Header=BB1044_736 Depth=2
	s_or_b64 exec, exec, s[82:83]
	v_lshlrev_b32_e32 v56, 3, v179
	s_barrier
	s_waitcnt vmcnt(0)
	ds_write_b64 v56, v[54:55] offset:512
	v_lshlrev_b32_e32 v56, 3, v175
	ds_write_b64 v56, v[52:53] offset:512
	v_lshlrev_b32_e32 v56, 3, v174
	;; [unrolled: 2-line block ×15, first 2 shown]
	v_lshlrev_b32_e32 v5, 3, v5
	ds_write_b64 v56, v[24:25] offset:512
	ds_write_b64 v5, v[0:1] offset:512
	s_waitcnt lgkmcnt(0)
	s_barrier
	s_and_saveexec_b64 s[82:83], s[40:41]
	s_cbranch_execz .LBB1044_942
; %bb.923:                              ;   in Loop: Header=BB1044_736 Depth=2
	v_lshlrev_b32_e32 v5, 2, v152
	ds_read_b32 v5, v5
	ds_read_b64 v[56:57], v68 offset:512
	v_mov_b32_e32 v157, v4
	v_mov_b32_e32 v158, s85
	s_waitcnt lgkmcnt(1)
	v_add_u32_e32 v156, v5, v2
	v_lshlrev_b64 v[156:157], 3, v[156:157]
	v_add_co_u32_e32 v156, vcc, s84, v156
	v_addc_co_u32_e32 v157, vcc, v158, v157, vcc
	s_waitcnt lgkmcnt(0)
	global_store_dwordx2 v[156:157], v[56:57], off
	s_or_b64 exec, exec, s[82:83]
	s_and_saveexec_b64 s[40:41], s[42:43]
	s_cbranch_execnz .LBB1044_943
.LBB1044_924:                           ;   in Loop: Header=BB1044_736 Depth=2
	s_or_b64 exec, exec, s[40:41]
	s_and_saveexec_b64 s[40:41], s[44:45]
	s_cbranch_execz .LBB1044_944
.LBB1044_925:                           ;   in Loop: Header=BB1044_736 Depth=2
	v_lshlrev_b32_e32 v5, 2, v149
	ds_read_b32 v5, v5
	v_add_u32_e32 v56, v76, v77
	ds_read_b64 v[56:57], v56 offset:4096
	v_mov_b32_e32 v157, v4
	v_mov_b32_e32 v158, s85
	s_waitcnt lgkmcnt(1)
	v_add_u32_e32 v156, v5, v13
	v_lshlrev_b64 v[156:157], 3, v[156:157]
	v_add_co_u32_e32 v156, vcc, s84, v156
	v_addc_co_u32_e32 v157, vcc, v158, v157, vcc
	s_waitcnt lgkmcnt(0)
	global_store_dwordx2 v[156:157], v[56:57], off
	s_or_b64 exec, exec, s[40:41]
	s_and_saveexec_b64 s[40:41], s[46:47]
	s_cbranch_execnz .LBB1044_945
.LBB1044_926:                           ;   in Loop: Header=BB1044_736 Depth=2
	s_or_b64 exec, exec, s[40:41]
	s_and_saveexec_b64 s[40:41], s[48:49]
	s_cbranch_execz .LBB1044_946
.LBB1044_927:                           ;   in Loop: Header=BB1044_736 Depth=2
	v_lshlrev_b32_e32 v5, 2, v146
	ds_read_b32 v5, v5
	v_add_u32_e32 v56, v76, v77
	ds_read_b64 v[56:57], v56 offset:8192
	v_mov_b32_e32 v157, v4
	v_mov_b32_e32 v158, s85
	s_waitcnt lgkmcnt(1)
	v_add_u32_e32 v156, v5, v17
	v_lshlrev_b64 v[156:157], 3, v[156:157]
	v_add_co_u32_e32 v156, vcc, s84, v156
	v_addc_co_u32_e32 v157, vcc, v158, v157, vcc
	s_waitcnt lgkmcnt(0)
	global_store_dwordx2 v[156:157], v[56:57], off
	s_or_b64 exec, exec, s[40:41]
	s_and_saveexec_b64 s[40:41], s[50:51]
	s_cbranch_execnz .LBB1044_947
.LBB1044_928:                           ;   in Loop: Header=BB1044_736 Depth=2
	s_or_b64 exec, exec, s[40:41]
	s_and_saveexec_b64 s[40:41], s[52:53]
	s_cbranch_execz .LBB1044_948
.LBB1044_929:                           ;   in Loop: Header=BB1044_736 Depth=2
	v_lshlrev_b32_e32 v5, 2, v144
	ds_read_b32 v5, v5
	v_add_u32_e32 v56, v76, v77
	ds_read_b64 v[56:57], v56 offset:12288
	v_mov_b32_e32 v157, v4
	v_mov_b32_e32 v158, s85
	s_waitcnt lgkmcnt(1)
	v_add_u32_e32 v156, v5, v21
	v_lshlrev_b64 v[156:157], 3, v[156:157]
	v_add_co_u32_e32 v156, vcc, s84, v156
	v_addc_co_u32_e32 v157, vcc, v158, v157, vcc
	s_waitcnt lgkmcnt(0)
	global_store_dwordx2 v[156:157], v[56:57], off
	s_or_b64 exec, exec, s[40:41]
	s_and_saveexec_b64 s[40:41], s[54:55]
	s_cbranch_execnz .LBB1044_949
.LBB1044_930:                           ;   in Loop: Header=BB1044_736 Depth=2
	s_or_b64 exec, exec, s[40:41]
	s_and_saveexec_b64 s[40:41], s[56:57]
	s_cbranch_execz .LBB1044_950
.LBB1044_931:                           ;   in Loop: Header=BB1044_736 Depth=2
	v_lshlrev_b32_e32 v5, 2, v142
	ds_read_b32 v5, v5
	v_add_u32_e32 v56, v76, v77
	ds_read_b64 v[56:57], v56 offset:16384
	v_mov_b32_e32 v157, v4
	v_mov_b32_e32 v158, s85
	s_waitcnt lgkmcnt(1)
	v_add_u32_e32 v156, v5, v6
	v_lshlrev_b64 v[156:157], 3, v[156:157]
	v_add_co_u32_e32 v156, vcc, s84, v156
	v_addc_co_u32_e32 v157, vcc, v158, v157, vcc
	s_waitcnt lgkmcnt(0)
	global_store_dwordx2 v[156:157], v[56:57], off
	s_or_b64 exec, exec, s[40:41]
	s_and_saveexec_b64 s[40:41], s[58:59]
	s_cbranch_execnz .LBB1044_951
.LBB1044_932:                           ;   in Loop: Header=BB1044_736 Depth=2
	s_or_b64 exec, exec, s[40:41]
	s_and_saveexec_b64 s[40:41], s[60:61]
	s_cbranch_execz .LBB1044_952
.LBB1044_933:                           ;   in Loop: Header=BB1044_736 Depth=2
	v_lshlrev_b32_e32 v5, 2, v140
	ds_read_b32 v5, v5
	v_add_u32_e32 v56, v76, v77
	ds_read_b64 v[56:57], v56 offset:20480
	v_mov_b32_e32 v157, v4
	v_mov_b32_e32 v158, s85
	s_waitcnt lgkmcnt(1)
	v_add_u32_e32 v156, v5, v10
	v_lshlrev_b64 v[156:157], 3, v[156:157]
	v_add_co_u32_e32 v156, vcc, s84, v156
	v_addc_co_u32_e32 v157, vcc, v158, v157, vcc
	s_waitcnt lgkmcnt(0)
	global_store_dwordx2 v[156:157], v[56:57], off
	s_or_b64 exec, exec, s[40:41]
	s_and_saveexec_b64 s[40:41], s[62:63]
	s_cbranch_execnz .LBB1044_953
.LBB1044_934:                           ;   in Loop: Header=BB1044_736 Depth=2
	s_or_b64 exec, exec, s[40:41]
	s_and_saveexec_b64 s[40:41], s[64:65]
	s_cbranch_execz .LBB1044_954
.LBB1044_935:                           ;   in Loop: Header=BB1044_736 Depth=2
	v_lshlrev_b32_e32 v5, 2, v138
	ds_read_b32 v5, v5
	v_add_u32_e32 v56, v76, v77
	ds_read_b64 v[56:57], v56 offset:24576
	v_mov_b32_e32 v157, v4
	v_mov_b32_e32 v158, s85
	s_waitcnt lgkmcnt(1)
	v_add_u32_e32 v156, v5, v14
	v_lshlrev_b64 v[156:157], 3, v[156:157]
	v_add_co_u32_e32 v156, vcc, s84, v156
	v_addc_co_u32_e32 v157, vcc, v158, v157, vcc
	s_waitcnt lgkmcnt(0)
	global_store_dwordx2 v[156:157], v[56:57], off
	s_or_b64 exec, exec, s[40:41]
	s_and_saveexec_b64 s[40:41], s[66:67]
	s_cbranch_execnz .LBB1044_955
.LBB1044_936:                           ;   in Loop: Header=BB1044_736 Depth=2
	s_or_b64 exec, exec, s[40:41]
	s_and_saveexec_b64 s[40:41], s[68:69]
	s_cbranch_execz .LBB1044_956
.LBB1044_937:                           ;   in Loop: Header=BB1044_736 Depth=2
	v_lshlrev_b32_e32 v5, 2, v136
	ds_read_b32 v5, v5
	v_add_u32_e32 v56, v76, v77
	ds_read_b64 v[56:57], v56 offset:28672
	v_mov_b32_e32 v157, v4
	v_mov_b32_e32 v158, s85
	s_waitcnt lgkmcnt(1)
	v_add_u32_e32 v156, v5, v18
	v_lshlrev_b64 v[156:157], 3, v[156:157]
	v_add_co_u32_e32 v156, vcc, s84, v156
	v_addc_co_u32_e32 v157, vcc, v158, v157, vcc
	s_waitcnt lgkmcnt(0)
	global_store_dwordx2 v[156:157], v[56:57], off
	s_or_b64 exec, exec, s[40:41]
	s_and_saveexec_b64 s[40:41], s[70:71]
	s_cbranch_execnz .LBB1044_957
.LBB1044_938:                           ;   in Loop: Header=BB1044_736 Depth=2
	s_or_b64 exec, exec, s[40:41]
	s_and_saveexec_b64 s[40:41], s[72:73]
	s_cbranch_execz .LBB1044_940
.LBB1044_939:                           ;   in Loop: Header=BB1044_736 Depth=2
	v_lshlrev_b32_e32 v5, 2, v134
	ds_read_b32 v5, v5
	v_add_u32_e32 v56, v76, v77
	ds_read_b64 v[56:57], v56 offset:32768
	v_mov_b32_e32 v157, v4
	v_mov_b32_e32 v158, s85
	s_waitcnt lgkmcnt(1)
	v_add_u32_e32 v156, v5, v22
	v_lshlrev_b64 v[156:157], 3, v[156:157]
	v_add_co_u32_e32 v156, vcc, s84, v156
	v_addc_co_u32_e32 v157, vcc, v158, v157, vcc
	s_waitcnt lgkmcnt(0)
	global_store_dwordx2 v[156:157], v[56:57], off
.LBB1044_940:                           ;   in Loop: Header=BB1044_736 Depth=2
	s_or_b64 exec, exec, s[40:41]
	s_barrier
	s_and_saveexec_b64 s[40:41], s[4:5]
	s_cbranch_execz .LBB1044_735
; %bb.941:                              ;   in Loop: Header=BB1044_736 Depth=2
	ds_read_b32 v5, v3
	s_waitcnt lgkmcnt(0)
	v_add3_u32 v5, v154, v155, v5
	ds_write_b32 v3, v5
	s_branch .LBB1044_735
.LBB1044_942:                           ;   in Loop: Header=BB1044_736 Depth=2
	s_or_b64 exec, exec, s[82:83]
	s_and_saveexec_b64 s[40:41], s[42:43]
	s_cbranch_execz .LBB1044_924
.LBB1044_943:                           ;   in Loop: Header=BB1044_736 Depth=2
	v_lshlrev_b32_e32 v5, 2, v150
	ds_read_b32 v5, v5
	v_add_u32_e32 v56, v76, v77
	ds_read_b64 v[56:57], v56 offset:2048
	v_mov_b32_e32 v157, v4
	v_mov_b32_e32 v158, s85
	s_waitcnt lgkmcnt(1)
	v_add_u32_e32 v156, v5, v7
	v_lshlrev_b64 v[156:157], 3, v[156:157]
	v_add_co_u32_e32 v156, vcc, s84, v156
	v_addc_co_u32_e32 v157, vcc, v158, v157, vcc
	s_waitcnt lgkmcnt(0)
	global_store_dwordx2 v[156:157], v[56:57], off
	s_or_b64 exec, exec, s[40:41]
	s_and_saveexec_b64 s[40:41], s[44:45]
	s_cbranch_execnz .LBB1044_925
.LBB1044_944:                           ;   in Loop: Header=BB1044_736 Depth=2
	s_or_b64 exec, exec, s[40:41]
	s_and_saveexec_b64 s[40:41], s[46:47]
	s_cbranch_execz .LBB1044_926
.LBB1044_945:                           ;   in Loop: Header=BB1044_736 Depth=2
	v_lshlrev_b32_e32 v5, 2, v147
	ds_read_b32 v5, v5
	v_add_u32_e32 v56, v76, v77
	ds_read_b64 v[56:57], v56 offset:6144
	v_mov_b32_e32 v157, v4
	v_mov_b32_e32 v158, s85
	s_waitcnt lgkmcnt(1)
	v_add_u32_e32 v156, v5, v15
	v_lshlrev_b64 v[156:157], 3, v[156:157]
	v_add_co_u32_e32 v156, vcc, s84, v156
	v_addc_co_u32_e32 v157, vcc, v158, v157, vcc
	s_waitcnt lgkmcnt(0)
	global_store_dwordx2 v[156:157], v[56:57], off
	s_or_b64 exec, exec, s[40:41]
	s_and_saveexec_b64 s[40:41], s[48:49]
	s_cbranch_execnz .LBB1044_927
.LBB1044_946:                           ;   in Loop: Header=BB1044_736 Depth=2
	s_or_b64 exec, exec, s[40:41]
	s_and_saveexec_b64 s[40:41], s[50:51]
	s_cbranch_execz .LBB1044_928
.LBB1044_947:                           ;   in Loop: Header=BB1044_736 Depth=2
	v_lshlrev_b32_e32 v5, 2, v145
	ds_read_b32 v5, v5
	v_add_u32_e32 v56, v76, v77
	ds_read_b64 v[56:57], v56 offset:10240
	v_mov_b32_e32 v157, v4
	v_mov_b32_e32 v158, s85
	s_waitcnt lgkmcnt(1)
	v_add_u32_e32 v156, v5, v19
	v_lshlrev_b64 v[156:157], 3, v[156:157]
	v_add_co_u32_e32 v156, vcc, s84, v156
	v_addc_co_u32_e32 v157, vcc, v158, v157, vcc
	s_waitcnt lgkmcnt(0)
	global_store_dwordx2 v[156:157], v[56:57], off
	s_or_b64 exec, exec, s[40:41]
	s_and_saveexec_b64 s[40:41], s[52:53]
	s_cbranch_execnz .LBB1044_929
.LBB1044_948:                           ;   in Loop: Header=BB1044_736 Depth=2
	s_or_b64 exec, exec, s[40:41]
	s_and_saveexec_b64 s[40:41], s[54:55]
	s_cbranch_execz .LBB1044_930
.LBB1044_949:                           ;   in Loop: Header=BB1044_736 Depth=2
	v_lshlrev_b32_e32 v5, 2, v143
	ds_read_b32 v5, v5
	v_add_u32_e32 v56, v76, v77
	ds_read_b64 v[56:57], v56 offset:14336
	v_mov_b32_e32 v157, v4
	v_mov_b32_e32 v158, s85
	s_waitcnt lgkmcnt(1)
	v_add_u32_e32 v156, v5, v23
	v_lshlrev_b64 v[156:157], 3, v[156:157]
	v_add_co_u32_e32 v156, vcc, s84, v156
	v_addc_co_u32_e32 v157, vcc, v158, v157, vcc
	s_waitcnt lgkmcnt(0)
	global_store_dwordx2 v[156:157], v[56:57], off
	s_or_b64 exec, exec, s[40:41]
	s_and_saveexec_b64 s[40:41], s[56:57]
	s_cbranch_execnz .LBB1044_931
.LBB1044_950:                           ;   in Loop: Header=BB1044_736 Depth=2
	s_or_b64 exec, exec, s[40:41]
	s_and_saveexec_b64 s[40:41], s[58:59]
	s_cbranch_execz .LBB1044_932
.LBB1044_951:                           ;   in Loop: Header=BB1044_736 Depth=2
	v_lshlrev_b32_e32 v5, 2, v141
	ds_read_b32 v5, v5
	v_add_u32_e32 v56, v76, v77
	ds_read_b64 v[56:57], v56 offset:18432
	v_mov_b32_e32 v157, v4
	v_mov_b32_e32 v158, s85
	s_waitcnt lgkmcnt(1)
	v_add_u32_e32 v156, v5, v8
	v_lshlrev_b64 v[156:157], 3, v[156:157]
	v_add_co_u32_e32 v156, vcc, s84, v156
	v_addc_co_u32_e32 v157, vcc, v158, v157, vcc
	s_waitcnt lgkmcnt(0)
	global_store_dwordx2 v[156:157], v[56:57], off
	s_or_b64 exec, exec, s[40:41]
	s_and_saveexec_b64 s[40:41], s[60:61]
	s_cbranch_execnz .LBB1044_933
.LBB1044_952:                           ;   in Loop: Header=BB1044_736 Depth=2
	s_or_b64 exec, exec, s[40:41]
	s_and_saveexec_b64 s[40:41], s[62:63]
	s_cbranch_execz .LBB1044_934
.LBB1044_953:                           ;   in Loop: Header=BB1044_736 Depth=2
	v_lshlrev_b32_e32 v5, 2, v139
	ds_read_b32 v5, v5
	v_add_u32_e32 v56, v76, v77
	ds_read_b64 v[56:57], v56 offset:22528
	v_mov_b32_e32 v157, v4
	v_mov_b32_e32 v158, s85
	s_waitcnt lgkmcnt(1)
	v_add_u32_e32 v156, v5, v12
	v_lshlrev_b64 v[156:157], 3, v[156:157]
	v_add_co_u32_e32 v156, vcc, s84, v156
	v_addc_co_u32_e32 v157, vcc, v158, v157, vcc
	s_waitcnt lgkmcnt(0)
	global_store_dwordx2 v[156:157], v[56:57], off
	s_or_b64 exec, exec, s[40:41]
	s_and_saveexec_b64 s[40:41], s[64:65]
	s_cbranch_execnz .LBB1044_935
.LBB1044_954:                           ;   in Loop: Header=BB1044_736 Depth=2
	s_or_b64 exec, exec, s[40:41]
	s_and_saveexec_b64 s[40:41], s[66:67]
	s_cbranch_execz .LBB1044_936
.LBB1044_955:                           ;   in Loop: Header=BB1044_736 Depth=2
	v_lshlrev_b32_e32 v5, 2, v137
	ds_read_b32 v5, v5
	v_add_u32_e32 v56, v76, v77
	ds_read_b64 v[56:57], v56 offset:26624
	v_mov_b32_e32 v157, v4
	v_mov_b32_e32 v158, s85
	s_waitcnt lgkmcnt(1)
	v_add_u32_e32 v156, v5, v16
	v_lshlrev_b64 v[156:157], 3, v[156:157]
	v_add_co_u32_e32 v156, vcc, s84, v156
	v_addc_co_u32_e32 v157, vcc, v158, v157, vcc
	s_waitcnt lgkmcnt(0)
	global_store_dwordx2 v[156:157], v[56:57], off
	s_or_b64 exec, exec, s[40:41]
	s_and_saveexec_b64 s[40:41], s[68:69]
	s_cbranch_execnz .LBB1044_937
.LBB1044_956:                           ;   in Loop: Header=BB1044_736 Depth=2
	s_or_b64 exec, exec, s[40:41]
	s_and_saveexec_b64 s[40:41], s[70:71]
	s_cbranch_execz .LBB1044_938
.LBB1044_957:                           ;   in Loop: Header=BB1044_736 Depth=2
	v_lshlrev_b32_e32 v5, 2, v135
	ds_read_b32 v5, v5
	v_add_u32_e32 v56, v76, v77
	ds_read_b64 v[56:57], v56 offset:30720
	v_mov_b32_e32 v157, v4
	v_mov_b32_e32 v158, s85
	s_waitcnt lgkmcnt(1)
	v_add_u32_e32 v156, v5, v20
	v_lshlrev_b64 v[156:157], 3, v[156:157]
	v_add_co_u32_e32 v156, vcc, s84, v156
	v_addc_co_u32_e32 v157, vcc, v158, v157, vcc
	s_waitcnt lgkmcnt(0)
	global_store_dwordx2 v[156:157], v[56:57], off
	s_or_b64 exec, exec, s[40:41]
	s_and_saveexec_b64 s[40:41], s[72:73]
	s_cbranch_execnz .LBB1044_939
	s_branch .LBB1044_940
.LBB1044_958:                           ;   in Loop: Header=BB1044_20 Depth=1
	s_waitcnt lgkmcnt(0)
	s_barrier
	s_mov_b64 s[20:21], 0
.LBB1044_959:                           ;   in Loop: Header=BB1044_20 Depth=1
	s_and_b64 vcc, exec, s[20:21]
	s_cbranch_vccz .LBB1044_19
; %bb.960:                              ;   in Loop: Header=BB1044_20 Depth=1
	s_mov_b32 s7, s91
	s_mov_b32 s94, s75
	s_barrier
	s_waitcnt lgkmcnt(0)
                                        ; implicit-def: $vgpr39
                                        ; implicit-def: $vgpr5
                                        ; implicit-def: $vgpr24
                                        ; implicit-def: $vgpr25
                                        ; implicit-def: $vgpr26
                                        ; implicit-def: $vgpr27
                                        ; implicit-def: $vgpr28
                                        ; implicit-def: $vgpr29
                                        ; implicit-def: $vgpr30
                                        ; implicit-def: $vgpr31
                                        ; implicit-def: $vgpr32
                                        ; implicit-def: $vgpr33
                                        ; implicit-def: $vgpr34
                                        ; implicit-def: $vgpr35
                                        ; implicit-def: $vgpr36
                                        ; implicit-def: $vgpr37
                                        ; implicit-def: $vgpr38
	s_branch .LBB1044_962
.LBB1044_961:                           ;   in Loop: Header=BB1044_962 Depth=2
	s_or_b64 exec, exec, s[20:21]
	s_addk_i32 s7, 0xef00
	s_cmp_ge_u32 s8, s98
	s_mov_b32 s94, s8
	s_cbranch_scc1 .LBB1044_1036
.LBB1044_962:                           ;   Parent Loop BB1044_20 Depth=1
                                        ; =>  This Inner Loop Header: Depth=2
	s_add_i32 s8, s94, 0x1100
	s_cmp_gt_u32 s8, s98
	s_cbranch_scc1 .LBB1044_965
; %bb.963:                              ;   in Loop: Header=BB1044_962 Depth=2
	s_lshl_b64 s[20:21], s[94:95], 1
	v_mov_b32_e32 v1, s21
	v_add_co_u32_e32 v0, vcc, s20, v84
	v_addc_co_u32_e32 v1, vcc, v85, v1, vcc
	s_waitcnt vmcnt(0)
	v_add_co_u32_e32 v56, vcc, s88, v0
	v_addc_co_u32_e32 v57, vcc, 0, v1, vcc
	global_load_ushort v41, v[0:1], off
	global_load_ushort v42, v[0:1], off offset:512
	global_load_ushort v43, v[0:1], off offset:1024
	;; [unrolled: 1-line block ×7, first 2 shown]
	global_load_ushort v49, v[56:57], off
	global_load_ushort v50, v[56:57], off offset:512
	global_load_ushort v51, v[56:57], off offset:1024
	;; [unrolled: 1-line block ×6, first 2 shown]
	s_nop 0
	global_load_ushort v56, v[56:57], off offset:3584
	v_add_co_u32_e32 v0, vcc, 0x2000, v0
	v_addc_co_u32_e32 v1, vcc, 0, v1, vcc
	s_mov_b64 s[20:21], -1
	s_movk_i32 s9, 0x1100
	s_cbranch_execz .LBB1044_966
; %bb.964:                              ;   in Loop: Header=BB1044_962 Depth=2
                                        ; implicit-def: $vgpr38
                                        ; implicit-def: $vgpr37
                                        ; implicit-def: $vgpr36
                                        ; implicit-def: $vgpr35
                                        ; implicit-def: $vgpr34
                                        ; implicit-def: $vgpr33
                                        ; implicit-def: $vgpr32
                                        ; implicit-def: $vgpr31
                                        ; implicit-def: $vgpr30
                                        ; implicit-def: $vgpr29
                                        ; implicit-def: $vgpr28
                                        ; implicit-def: $vgpr27
                                        ; implicit-def: $vgpr26
                                        ; implicit-def: $vgpr25
                                        ; implicit-def: $vgpr24
                                        ; implicit-def: $vgpr5
                                        ; implicit-def: $vgpr39
	v_mov_b32_e32 v40, s7
	s_and_saveexec_b64 s[22:23], s[20:21]
	s_cbranch_execnz .LBB1044_1001
	s_branch .LBB1044_1002
.LBB1044_965:                           ;   in Loop: Header=BB1044_962 Depth=2
	s_mov_b64 s[20:21], 0
                                        ; implicit-def: $sgpr9
                                        ; implicit-def: $vgpr41
                                        ; implicit-def: $vgpr42
                                        ; implicit-def: $vgpr43
                                        ; implicit-def: $vgpr44
                                        ; implicit-def: $vgpr45
                                        ; implicit-def: $vgpr46
                                        ; implicit-def: $vgpr47
                                        ; implicit-def: $vgpr48
                                        ; implicit-def: $vgpr49
                                        ; implicit-def: $vgpr50
                                        ; implicit-def: $vgpr51
                                        ; implicit-def: $vgpr52
                                        ; implicit-def: $vgpr53
                                        ; implicit-def: $vgpr54
                                        ; implicit-def: $vgpr55
                                        ; implicit-def: $vgpr56
                                        ; implicit-def: $vgpr0_vgpr1
.LBB1044_966:                           ;   in Loop: Header=BB1044_962 Depth=2
	s_lshl_b64 s[22:23], s[94:95], 1
	s_add_u32 s22, s76, s22
	s_addc_u32 s23, s77, s23
	v_cmp_gt_u32_e32 vcc, s7, v2
	s_and_saveexec_b64 s[24:25], vcc
	s_cbranch_execz .LBB1044_982
; %bb.967:                              ;   in Loop: Header=BB1044_962 Depth=2
	global_load_ushort v38, v92, s[22:23]
	s_or_b64 exec, exec, s[24:25]
	v_cmp_gt_u32_e32 vcc, s7, v7
	s_and_saveexec_b64 s[24:25], vcc
	s_cbranch_execnz .LBB1044_983
.LBB1044_968:                           ;   in Loop: Header=BB1044_962 Depth=2
	s_or_b64 exec, exec, s[24:25]
	v_cmp_gt_u32_e32 vcc, s7, v13
	s_and_saveexec_b64 s[24:25], vcc
	s_cbranch_execz .LBB1044_984
.LBB1044_969:                           ;   in Loop: Header=BB1044_962 Depth=2
	global_load_ushort v36, v92, s[22:23] offset:1024
	s_or_b64 exec, exec, s[24:25]
	v_cmp_gt_u32_e32 vcc, s7, v15
	s_and_saveexec_b64 s[24:25], vcc
	s_cbranch_execnz .LBB1044_985
.LBB1044_970:                           ;   in Loop: Header=BB1044_962 Depth=2
	s_or_b64 exec, exec, s[24:25]
	v_cmp_gt_u32_e32 vcc, s7, v17
	s_and_saveexec_b64 s[24:25], vcc
	s_cbranch_execz .LBB1044_986
.LBB1044_971:                           ;   in Loop: Header=BB1044_962 Depth=2
	global_load_ushort v34, v92, s[22:23] offset:2048
	s_or_b64 exec, exec, s[24:25]
	v_cmp_gt_u32_e32 vcc, s7, v19
	s_and_saveexec_b64 s[24:25], vcc
	s_cbranch_execnz .LBB1044_987
.LBB1044_972:                           ;   in Loop: Header=BB1044_962 Depth=2
	s_or_b64 exec, exec, s[24:25]
	v_cmp_gt_u32_e32 vcc, s7, v21
	s_and_saveexec_b64 s[24:25], vcc
	s_cbranch_execz .LBB1044_988
.LBB1044_973:                           ;   in Loop: Header=BB1044_962 Depth=2
	global_load_ushort v32, v92, s[22:23] offset:3072
	s_or_b64 exec, exec, s[24:25]
	v_cmp_gt_u32_e32 vcc, s7, v23
	s_and_saveexec_b64 s[24:25], vcc
	s_cbranch_execnz .LBB1044_989
.LBB1044_974:                           ;   in Loop: Header=BB1044_962 Depth=2
	s_or_b64 exec, exec, s[24:25]
	v_cmp_gt_u32_e32 vcc, s7, v6
	s_and_saveexec_b64 s[24:25], vcc
	s_cbranch_execz .LBB1044_990
.LBB1044_975:                           ;   in Loop: Header=BB1044_962 Depth=2
	global_load_ushort v30, v93, s[22:23]
	s_or_b64 exec, exec, s[24:25]
	v_cmp_gt_u32_e32 vcc, s7, v8
	s_and_saveexec_b64 s[24:25], vcc
	s_cbranch_execnz .LBB1044_991
.LBB1044_976:                           ;   in Loop: Header=BB1044_962 Depth=2
	s_or_b64 exec, exec, s[24:25]
	v_cmp_gt_u32_e32 vcc, s7, v10
	s_and_saveexec_b64 s[24:25], vcc
	s_cbranch_execz .LBB1044_992
.LBB1044_977:                           ;   in Loop: Header=BB1044_962 Depth=2
	global_load_ushort v28, v95, s[22:23]
	s_or_b64 exec, exec, s[24:25]
	v_cmp_gt_u32_e32 vcc, s7, v12
	s_and_saveexec_b64 s[24:25], vcc
	s_cbranch_execnz .LBB1044_993
.LBB1044_978:                           ;   in Loop: Header=BB1044_962 Depth=2
	s_or_b64 exec, exec, s[24:25]
	v_cmp_gt_u32_e32 vcc, s7, v14
	s_and_saveexec_b64 s[24:25], vcc
	s_cbranch_execz .LBB1044_994
.LBB1044_979:                           ;   in Loop: Header=BB1044_962 Depth=2
	global_load_ushort v26, v97, s[22:23]
	s_or_b64 exec, exec, s[24:25]
	v_cmp_gt_u32_e32 vcc, s7, v16
	s_and_saveexec_b64 s[24:25], vcc
	s_cbranch_execnz .LBB1044_995
.LBB1044_980:                           ;   in Loop: Header=BB1044_962 Depth=2
	s_or_b64 exec, exec, s[24:25]
	v_cmp_gt_u32_e32 vcc, s7, v18
	s_and_saveexec_b64 s[24:25], vcc
	s_cbranch_execz .LBB1044_996
.LBB1044_981:                           ;   in Loop: Header=BB1044_962 Depth=2
	global_load_ushort v24, v99, s[22:23]
	s_or_b64 exec, exec, s[24:25]
	v_cmp_gt_u32_e32 vcc, s7, v20
	s_and_saveexec_b64 s[24:25], vcc
	s_cbranch_execz .LBB1044_998
	s_branch .LBB1044_997
.LBB1044_982:                           ;   in Loop: Header=BB1044_962 Depth=2
	s_or_b64 exec, exec, s[24:25]
	v_cmp_gt_u32_e32 vcc, s7, v7
	s_and_saveexec_b64 s[24:25], vcc
	s_cbranch_execz .LBB1044_968
.LBB1044_983:                           ;   in Loop: Header=BB1044_962 Depth=2
	global_load_ushort v37, v92, s[22:23] offset:512
	s_or_b64 exec, exec, s[24:25]
	v_cmp_gt_u32_e32 vcc, s7, v13
	s_and_saveexec_b64 s[24:25], vcc
	s_cbranch_execnz .LBB1044_969
.LBB1044_984:                           ;   in Loop: Header=BB1044_962 Depth=2
	s_or_b64 exec, exec, s[24:25]
	v_cmp_gt_u32_e32 vcc, s7, v15
	s_and_saveexec_b64 s[24:25], vcc
	s_cbranch_execz .LBB1044_970
.LBB1044_985:                           ;   in Loop: Header=BB1044_962 Depth=2
	global_load_ushort v35, v92, s[22:23] offset:1536
	s_or_b64 exec, exec, s[24:25]
	v_cmp_gt_u32_e32 vcc, s7, v17
	s_and_saveexec_b64 s[24:25], vcc
	s_cbranch_execnz .LBB1044_971
.LBB1044_986:                           ;   in Loop: Header=BB1044_962 Depth=2
	s_or_b64 exec, exec, s[24:25]
	v_cmp_gt_u32_e32 vcc, s7, v19
	s_and_saveexec_b64 s[24:25], vcc
	s_cbranch_execz .LBB1044_972
.LBB1044_987:                           ;   in Loop: Header=BB1044_962 Depth=2
	global_load_ushort v33, v92, s[22:23] offset:2560
	s_or_b64 exec, exec, s[24:25]
	v_cmp_gt_u32_e32 vcc, s7, v21
	s_and_saveexec_b64 s[24:25], vcc
	s_cbranch_execnz .LBB1044_973
.LBB1044_988:                           ;   in Loop: Header=BB1044_962 Depth=2
	s_or_b64 exec, exec, s[24:25]
	v_cmp_gt_u32_e32 vcc, s7, v23
	s_and_saveexec_b64 s[24:25], vcc
	s_cbranch_execz .LBB1044_974
.LBB1044_989:                           ;   in Loop: Header=BB1044_962 Depth=2
	global_load_ushort v31, v92, s[22:23] offset:3584
	s_or_b64 exec, exec, s[24:25]
	v_cmp_gt_u32_e32 vcc, s7, v6
	s_and_saveexec_b64 s[24:25], vcc
	s_cbranch_execnz .LBB1044_975
.LBB1044_990:                           ;   in Loop: Header=BB1044_962 Depth=2
	s_or_b64 exec, exec, s[24:25]
	v_cmp_gt_u32_e32 vcc, s7, v8
	s_and_saveexec_b64 s[24:25], vcc
	s_cbranch_execz .LBB1044_976
.LBB1044_991:                           ;   in Loop: Header=BB1044_962 Depth=2
	global_load_ushort v29, v94, s[22:23]
	s_or_b64 exec, exec, s[24:25]
	v_cmp_gt_u32_e32 vcc, s7, v10
	s_and_saveexec_b64 s[24:25], vcc
	s_cbranch_execnz .LBB1044_977
.LBB1044_992:                           ;   in Loop: Header=BB1044_962 Depth=2
	s_or_b64 exec, exec, s[24:25]
	v_cmp_gt_u32_e32 vcc, s7, v12
	s_and_saveexec_b64 s[24:25], vcc
	s_cbranch_execz .LBB1044_978
.LBB1044_993:                           ;   in Loop: Header=BB1044_962 Depth=2
	global_load_ushort v27, v96, s[22:23]
	s_or_b64 exec, exec, s[24:25]
	v_cmp_gt_u32_e32 vcc, s7, v14
	s_and_saveexec_b64 s[24:25], vcc
	s_cbranch_execnz .LBB1044_979
.LBB1044_994:                           ;   in Loop: Header=BB1044_962 Depth=2
	s_or_b64 exec, exec, s[24:25]
	v_cmp_gt_u32_e32 vcc, s7, v16
	s_and_saveexec_b64 s[24:25], vcc
	s_cbranch_execz .LBB1044_980
.LBB1044_995:                           ;   in Loop: Header=BB1044_962 Depth=2
	global_load_ushort v25, v98, s[22:23]
	s_or_b64 exec, exec, s[24:25]
	v_cmp_gt_u32_e32 vcc, s7, v18
	s_and_saveexec_b64 s[24:25], vcc
	s_cbranch_execnz .LBB1044_981
.LBB1044_996:                           ;   in Loop: Header=BB1044_962 Depth=2
	s_or_b64 exec, exec, s[24:25]
	v_cmp_gt_u32_e32 vcc, s7, v20
	s_and_saveexec_b64 s[24:25], vcc
	s_cbranch_execz .LBB1044_998
.LBB1044_997:                           ;   in Loop: Header=BB1044_962 Depth=2
	global_load_ushort v5, v100, s[22:23]
.LBB1044_998:                           ;   in Loop: Header=BB1044_962 Depth=2
	s_or_b64 exec, exec, s[24:25]
	v_cmp_gt_u32_e32 vcc, s7, v22
                                        ; implicit-def: $sgpr9
                                        ; implicit-def: $vgpr0_vgpr1
	s_and_saveexec_b64 s[24:25], vcc
; %bb.999:                              ;   in Loop: Header=BB1044_962 Depth=2
	v_mov_b32_e32 v1, s23
	v_add_co_u32_e32 v0, vcc, s22, v101
	s_sub_i32 s9, s98, s94
	v_addc_co_u32_e32 v1, vcc, 0, v1, vcc
	s_or_b64 s[20:21], s[20:21], exec
                                        ; implicit-def: $vgpr39
; %bb.1000:                             ;   in Loop: Header=BB1044_962 Depth=2
	s_or_b64 exec, exec, s[24:25]
	s_waitcnt vmcnt(0)
	v_mov_b32_e32 v41, v38
	v_mov_b32_e32 v42, v37
	;; [unrolled: 1-line block ×17, first 2 shown]
	s_and_saveexec_b64 s[22:23], s[20:21]
	s_cbranch_execz .LBB1044_1002
.LBB1044_1001:                          ;   in Loop: Header=BB1044_962 Depth=2
	global_load_ushort v39, v[0:1], off
	v_mov_b32_e32 v40, s9
	s_waitcnt vmcnt(1)
	v_mov_b32_e32 v5, v56
	v_mov_b32_e32 v24, v55
	;; [unrolled: 1-line block ×16, first 2 shown]
.LBB1044_1002:                          ;   in Loop: Header=BB1044_962 Depth=2
	s_or_b64 exec, exec, s[22:23]
	v_cmp_lt_u32_e32 vcc, v2, v40
	s_and_saveexec_b64 s[20:21], vcc
	s_cbranch_execz .LBB1044_1019
; %bb.1003:                             ;   in Loop: Header=BB1044_962 Depth=2
	v_xor_b32_e32 v0, 0xffff8000, v38
	v_lshrrev_b32_sdwa v0, s89, v0 dst_sel:DWORD dst_unused:UNUSED_PAD src0_sel:DWORD src1_sel:WORD_0
	v_and_b32_e32 v0, s6, v0
	v_lshl_or_b32 v0, v0, 4, v90
	ds_add_u32 v0, v91
	s_or_b64 exec, exec, s[20:21]
	v_cmp_lt_u32_e32 vcc, v7, v40
	s_and_saveexec_b64 s[20:21], vcc
	s_cbranch_execnz .LBB1044_1020
.LBB1044_1004:                          ;   in Loop: Header=BB1044_962 Depth=2
	s_or_b64 exec, exec, s[20:21]
	v_cmp_lt_u32_e32 vcc, v13, v40
	s_and_saveexec_b64 s[20:21], vcc
	s_cbranch_execz .LBB1044_1021
.LBB1044_1005:                          ;   in Loop: Header=BB1044_962 Depth=2
	v_xor_b32_e32 v0, 0xffff8000, v36
	v_lshrrev_b32_sdwa v0, s89, v0 dst_sel:DWORD dst_unused:UNUSED_PAD src0_sel:DWORD src1_sel:WORD_0
	v_and_b32_e32 v0, s6, v0
	v_lshl_or_b32 v0, v0, 4, v90
	ds_add_u32 v0, v91
	s_or_b64 exec, exec, s[20:21]
	v_cmp_lt_u32_e32 vcc, v15, v40
	s_and_saveexec_b64 s[20:21], vcc
	s_cbranch_execnz .LBB1044_1022
.LBB1044_1006:                          ;   in Loop: Header=BB1044_962 Depth=2
	s_or_b64 exec, exec, s[20:21]
	v_cmp_lt_u32_e32 vcc, v17, v40
	s_and_saveexec_b64 s[20:21], vcc
	s_cbranch_execz .LBB1044_1023
.LBB1044_1007:                          ;   in Loop: Header=BB1044_962 Depth=2
	v_xor_b32_e32 v0, 0xffff8000, v34
	v_lshrrev_b32_sdwa v0, s89, v0 dst_sel:DWORD dst_unused:UNUSED_PAD src0_sel:DWORD src1_sel:WORD_0
	v_and_b32_e32 v0, s6, v0
	v_lshl_or_b32 v0, v0, 4, v90
	ds_add_u32 v0, v91
	s_or_b64 exec, exec, s[20:21]
	v_cmp_lt_u32_e32 vcc, v19, v40
	s_and_saveexec_b64 s[20:21], vcc
	s_cbranch_execnz .LBB1044_1024
.LBB1044_1008:                          ;   in Loop: Header=BB1044_962 Depth=2
	s_or_b64 exec, exec, s[20:21]
	v_cmp_lt_u32_e32 vcc, v21, v40
	s_and_saveexec_b64 s[20:21], vcc
	s_cbranch_execz .LBB1044_1025
.LBB1044_1009:                          ;   in Loop: Header=BB1044_962 Depth=2
	v_xor_b32_e32 v0, 0xffff8000, v32
	v_lshrrev_b32_sdwa v0, s89, v0 dst_sel:DWORD dst_unused:UNUSED_PAD src0_sel:DWORD src1_sel:WORD_0
	v_and_b32_e32 v0, s6, v0
	v_lshl_or_b32 v0, v0, 4, v90
	ds_add_u32 v0, v91
	s_or_b64 exec, exec, s[20:21]
	v_cmp_lt_u32_e32 vcc, v23, v40
	s_and_saveexec_b64 s[20:21], vcc
	s_cbranch_execnz .LBB1044_1026
.LBB1044_1010:                          ;   in Loop: Header=BB1044_962 Depth=2
	s_or_b64 exec, exec, s[20:21]
	v_cmp_lt_u32_e32 vcc, v6, v40
	s_and_saveexec_b64 s[20:21], vcc
	s_cbranch_execz .LBB1044_1027
.LBB1044_1011:                          ;   in Loop: Header=BB1044_962 Depth=2
	v_xor_b32_e32 v0, 0xffff8000, v30
	v_lshrrev_b32_sdwa v0, s89, v0 dst_sel:DWORD dst_unused:UNUSED_PAD src0_sel:DWORD src1_sel:WORD_0
	v_and_b32_e32 v0, s6, v0
	v_lshl_or_b32 v0, v0, 4, v90
	ds_add_u32 v0, v91
	s_or_b64 exec, exec, s[20:21]
	v_cmp_lt_u32_e32 vcc, v8, v40
	s_and_saveexec_b64 s[20:21], vcc
	s_cbranch_execnz .LBB1044_1028
.LBB1044_1012:                          ;   in Loop: Header=BB1044_962 Depth=2
	s_or_b64 exec, exec, s[20:21]
	v_cmp_lt_u32_e32 vcc, v10, v40
	s_and_saveexec_b64 s[20:21], vcc
	s_cbranch_execz .LBB1044_1029
.LBB1044_1013:                          ;   in Loop: Header=BB1044_962 Depth=2
	v_xor_b32_e32 v0, 0xffff8000, v28
	v_lshrrev_b32_sdwa v0, s89, v0 dst_sel:DWORD dst_unused:UNUSED_PAD src0_sel:DWORD src1_sel:WORD_0
	v_and_b32_e32 v0, s6, v0
	v_lshl_or_b32 v0, v0, 4, v90
	ds_add_u32 v0, v91
	s_or_b64 exec, exec, s[20:21]
	v_cmp_lt_u32_e32 vcc, v12, v40
	s_and_saveexec_b64 s[20:21], vcc
	s_cbranch_execnz .LBB1044_1030
.LBB1044_1014:                          ;   in Loop: Header=BB1044_962 Depth=2
	s_or_b64 exec, exec, s[20:21]
	v_cmp_lt_u32_e32 vcc, v14, v40
	s_and_saveexec_b64 s[20:21], vcc
	s_cbranch_execz .LBB1044_1031
.LBB1044_1015:                          ;   in Loop: Header=BB1044_962 Depth=2
	v_xor_b32_e32 v0, 0xffff8000, v26
	v_lshrrev_b32_sdwa v0, s89, v0 dst_sel:DWORD dst_unused:UNUSED_PAD src0_sel:DWORD src1_sel:WORD_0
	v_and_b32_e32 v0, s6, v0
	v_lshl_or_b32 v0, v0, 4, v90
	ds_add_u32 v0, v91
	s_or_b64 exec, exec, s[20:21]
	v_cmp_lt_u32_e32 vcc, v16, v40
	s_and_saveexec_b64 s[20:21], vcc
	s_cbranch_execnz .LBB1044_1032
.LBB1044_1016:                          ;   in Loop: Header=BB1044_962 Depth=2
	s_or_b64 exec, exec, s[20:21]
	v_cmp_lt_u32_e32 vcc, v18, v40
	s_and_saveexec_b64 s[20:21], vcc
	s_cbranch_execz .LBB1044_1033
.LBB1044_1017:                          ;   in Loop: Header=BB1044_962 Depth=2
	v_xor_b32_e32 v0, 0xffff8000, v24
	v_lshrrev_b32_sdwa v0, s89, v0 dst_sel:DWORD dst_unused:UNUSED_PAD src0_sel:DWORD src1_sel:WORD_0
	v_and_b32_e32 v0, s6, v0
	v_lshl_or_b32 v0, v0, 4, v90
	ds_add_u32 v0, v91
	s_or_b64 exec, exec, s[20:21]
	v_cmp_lt_u32_e32 vcc, v20, v40
	s_and_saveexec_b64 s[20:21], vcc
	s_cbranch_execnz .LBB1044_1034
.LBB1044_1018:                          ;   in Loop: Header=BB1044_962 Depth=2
	s_or_b64 exec, exec, s[20:21]
	v_cmp_lt_u32_e32 vcc, v22, v40
	s_and_saveexec_b64 s[20:21], vcc
	s_cbranch_execz .LBB1044_961
	s_branch .LBB1044_1035
.LBB1044_1019:                          ;   in Loop: Header=BB1044_962 Depth=2
	s_or_b64 exec, exec, s[20:21]
	v_cmp_lt_u32_e32 vcc, v7, v40
	s_and_saveexec_b64 s[20:21], vcc
	s_cbranch_execz .LBB1044_1004
.LBB1044_1020:                          ;   in Loop: Header=BB1044_962 Depth=2
	v_xor_b32_e32 v0, 0xffff8000, v37
	v_lshrrev_b32_sdwa v0, s89, v0 dst_sel:DWORD dst_unused:UNUSED_PAD src0_sel:DWORD src1_sel:WORD_0
	v_and_b32_e32 v0, s6, v0
	v_lshl_or_b32 v0, v0, 4, v90
	ds_add_u32 v0, v91
	s_or_b64 exec, exec, s[20:21]
	v_cmp_lt_u32_e32 vcc, v13, v40
	s_and_saveexec_b64 s[20:21], vcc
	s_cbranch_execnz .LBB1044_1005
.LBB1044_1021:                          ;   in Loop: Header=BB1044_962 Depth=2
	s_or_b64 exec, exec, s[20:21]
	v_cmp_lt_u32_e32 vcc, v15, v40
	s_and_saveexec_b64 s[20:21], vcc
	s_cbranch_execz .LBB1044_1006
.LBB1044_1022:                          ;   in Loop: Header=BB1044_962 Depth=2
	v_xor_b32_e32 v0, 0xffff8000, v35
	v_lshrrev_b32_sdwa v0, s89, v0 dst_sel:DWORD dst_unused:UNUSED_PAD src0_sel:DWORD src1_sel:WORD_0
	v_and_b32_e32 v0, s6, v0
	v_lshl_or_b32 v0, v0, 4, v90
	ds_add_u32 v0, v91
	s_or_b64 exec, exec, s[20:21]
	v_cmp_lt_u32_e32 vcc, v17, v40
	s_and_saveexec_b64 s[20:21], vcc
	s_cbranch_execnz .LBB1044_1007
.LBB1044_1023:                          ;   in Loop: Header=BB1044_962 Depth=2
	s_or_b64 exec, exec, s[20:21]
	v_cmp_lt_u32_e32 vcc, v19, v40
	s_and_saveexec_b64 s[20:21], vcc
	s_cbranch_execz .LBB1044_1008
.LBB1044_1024:                          ;   in Loop: Header=BB1044_962 Depth=2
	v_xor_b32_e32 v0, 0xffff8000, v33
	v_lshrrev_b32_sdwa v0, s89, v0 dst_sel:DWORD dst_unused:UNUSED_PAD src0_sel:DWORD src1_sel:WORD_0
	v_and_b32_e32 v0, s6, v0
	v_lshl_or_b32 v0, v0, 4, v90
	ds_add_u32 v0, v91
	s_or_b64 exec, exec, s[20:21]
	v_cmp_lt_u32_e32 vcc, v21, v40
	s_and_saveexec_b64 s[20:21], vcc
	s_cbranch_execnz .LBB1044_1009
.LBB1044_1025:                          ;   in Loop: Header=BB1044_962 Depth=2
	s_or_b64 exec, exec, s[20:21]
	v_cmp_lt_u32_e32 vcc, v23, v40
	s_and_saveexec_b64 s[20:21], vcc
	s_cbranch_execz .LBB1044_1010
.LBB1044_1026:                          ;   in Loop: Header=BB1044_962 Depth=2
	v_xor_b32_e32 v0, 0xffff8000, v31
	v_lshrrev_b32_sdwa v0, s89, v0 dst_sel:DWORD dst_unused:UNUSED_PAD src0_sel:DWORD src1_sel:WORD_0
	v_and_b32_e32 v0, s6, v0
	v_lshl_or_b32 v0, v0, 4, v90
	ds_add_u32 v0, v91
	s_or_b64 exec, exec, s[20:21]
	v_cmp_lt_u32_e32 vcc, v6, v40
	s_and_saveexec_b64 s[20:21], vcc
	s_cbranch_execnz .LBB1044_1011
.LBB1044_1027:                          ;   in Loop: Header=BB1044_962 Depth=2
	s_or_b64 exec, exec, s[20:21]
	v_cmp_lt_u32_e32 vcc, v8, v40
	s_and_saveexec_b64 s[20:21], vcc
	s_cbranch_execz .LBB1044_1012
.LBB1044_1028:                          ;   in Loop: Header=BB1044_962 Depth=2
	v_xor_b32_e32 v0, 0xffff8000, v29
	v_lshrrev_b32_sdwa v0, s89, v0 dst_sel:DWORD dst_unused:UNUSED_PAD src0_sel:DWORD src1_sel:WORD_0
	v_and_b32_e32 v0, s6, v0
	v_lshl_or_b32 v0, v0, 4, v90
	ds_add_u32 v0, v91
	s_or_b64 exec, exec, s[20:21]
	v_cmp_lt_u32_e32 vcc, v10, v40
	s_and_saveexec_b64 s[20:21], vcc
	s_cbranch_execnz .LBB1044_1013
.LBB1044_1029:                          ;   in Loop: Header=BB1044_962 Depth=2
	s_or_b64 exec, exec, s[20:21]
	v_cmp_lt_u32_e32 vcc, v12, v40
	s_and_saveexec_b64 s[20:21], vcc
	s_cbranch_execz .LBB1044_1014
.LBB1044_1030:                          ;   in Loop: Header=BB1044_962 Depth=2
	v_xor_b32_e32 v0, 0xffff8000, v27
	v_lshrrev_b32_sdwa v0, s89, v0 dst_sel:DWORD dst_unused:UNUSED_PAD src0_sel:DWORD src1_sel:WORD_0
	v_and_b32_e32 v0, s6, v0
	v_lshl_or_b32 v0, v0, 4, v90
	ds_add_u32 v0, v91
	s_or_b64 exec, exec, s[20:21]
	v_cmp_lt_u32_e32 vcc, v14, v40
	s_and_saveexec_b64 s[20:21], vcc
	s_cbranch_execnz .LBB1044_1015
.LBB1044_1031:                          ;   in Loop: Header=BB1044_962 Depth=2
	s_or_b64 exec, exec, s[20:21]
	v_cmp_lt_u32_e32 vcc, v16, v40
	s_and_saveexec_b64 s[20:21], vcc
	s_cbranch_execz .LBB1044_1016
.LBB1044_1032:                          ;   in Loop: Header=BB1044_962 Depth=2
	v_xor_b32_e32 v0, 0xffff8000, v25
	v_lshrrev_b32_sdwa v0, s89, v0 dst_sel:DWORD dst_unused:UNUSED_PAD src0_sel:DWORD src1_sel:WORD_0
	v_and_b32_e32 v0, s6, v0
	v_lshl_or_b32 v0, v0, 4, v90
	ds_add_u32 v0, v91
	s_or_b64 exec, exec, s[20:21]
	v_cmp_lt_u32_e32 vcc, v18, v40
	s_and_saveexec_b64 s[20:21], vcc
	s_cbranch_execnz .LBB1044_1017
.LBB1044_1033:                          ;   in Loop: Header=BB1044_962 Depth=2
	s_or_b64 exec, exec, s[20:21]
	v_cmp_lt_u32_e32 vcc, v20, v40
	s_and_saveexec_b64 s[20:21], vcc
	s_cbranch_execz .LBB1044_1018
.LBB1044_1034:                          ;   in Loop: Header=BB1044_962 Depth=2
	v_xor_b32_e32 v0, 0xffff8000, v5
	v_lshrrev_b32_sdwa v0, s89, v0 dst_sel:DWORD dst_unused:UNUSED_PAD src0_sel:DWORD src1_sel:WORD_0
	v_and_b32_e32 v0, s6, v0
	v_lshl_or_b32 v0, v0, 4, v90
	ds_add_u32 v0, v91
	s_or_b64 exec, exec, s[20:21]
	v_cmp_lt_u32_e32 vcc, v22, v40
	s_and_saveexec_b64 s[20:21], vcc
	s_cbranch_execz .LBB1044_961
.LBB1044_1035:                          ;   in Loop: Header=BB1044_962 Depth=2
	s_waitcnt vmcnt(0)
	v_xor_b32_e32 v0, 0xffff8000, v39
	v_lshrrev_b32_sdwa v0, s89, v0 dst_sel:DWORD dst_unused:UNUSED_PAD src0_sel:DWORD src1_sel:WORD_0
	v_and_b32_e32 v0, s6, v0
	v_lshl_or_b32 v0, v0, 4, v90
	ds_add_u32 v0, v91
	s_branch .LBB1044_961
.LBB1044_1036:                          ;   in Loop: Header=BB1044_20 Depth=1
	v_mov_b32_e32 v0, 0
	s_waitcnt lgkmcnt(0)
	s_barrier
	s_and_saveexec_b64 s[20:21], s[4:5]
	s_cbranch_execz .LBB1044_1038
; %bb.1037:                             ;   in Loop: Header=BB1044_20 Depth=1
	ds_read2_b64 v[24:27], v59 offset1:1
	s_waitcnt lgkmcnt(0)
	v_add_u32_e32 v0, v25, v24
	v_add3_u32 v0, v0, v26, v27
.LBB1044_1038:                          ;   in Loop: Header=BB1044_20 Depth=1
	s_or_b64 exec, exec, s[20:21]
	s_nop 0
	v_mov_b32_dpp v1, v0 row_shr:1 row_mask:0xf bank_mask:0xf
	v_cmp_eq_u32_e64 s[20:21], 0, v103
	v_cndmask_b32_e64 v1, v1, 0, s[20:21]
	v_add_u32_e32 v0, v1, v0
	v_cmp_lt_u32_e64 s[22:23], 1, v103
	v_cmp_lt_u32_e64 s[24:25], 3, v103
	v_mov_b32_dpp v1, v0 row_shr:2 row_mask:0xf bank_mask:0xf
	v_cndmask_b32_e64 v1, 0, v1, s[22:23]
	v_add_u32_e32 v0, v0, v1
	v_cmp_lt_u32_e64 s[26:27], 7, v103
	v_cmp_lt_u32_e64 s[30:31], 31, v102
	v_mov_b32_dpp v1, v0 row_shr:4 row_mask:0xf bank_mask:0xf
	v_cndmask_b32_e64 v1, 0, v1, s[24:25]
	v_add_u32_e32 v0, v0, v1
	v_cmp_eq_u32_e64 s[28:29], 0, v105
	s_nop 0
	v_mov_b32_dpp v1, v0 row_shr:8 row_mask:0xf bank_mask:0xf
	v_cndmask_b32_e64 v1, 0, v1, s[26:27]
	v_add_u32_e32 v0, v0, v1
	s_nop 1
	v_mov_b32_dpp v1, v0 row_bcast:15 row_mask:0xf bank_mask:0xf
	v_and_b32_e32 v1, v104, v1
	v_add_u32_e32 v0, v0, v1
	s_nop 1
	v_mov_b32_dpp v1, v0 row_bcast:31 row_mask:0xf bank_mask:0xf
	v_cndmask_b32_e64 v1, 0, v1, s[30:31]
	v_add_u32_e32 v0, v0, v1
	s_mov_b64 s[34:35], exec
	v_readlane_b32 s8, v232, 0
	v_readlane_b32 s9, v232, 1
	s_and_b64 s[8:9], s[34:35], s[8:9]
	s_mov_b64 exec, s[8:9]
	s_cbranch_execz .LBB1044_1040
; %bb.1039:                             ;   in Loop: Header=BB1044_20 Depth=1
	ds_write_b32 v61, v0
.LBB1044_1040:                          ;   in Loop: Header=BB1044_20 Depth=1
	s_or_b64 exec, exec, s[34:35]
	s_waitcnt lgkmcnt(0)
	s_barrier
	s_mov_b64 s[34:35], exec
	v_readlane_b32 s8, v232, 2
	v_readlane_b32 s9, v232, 3
	s_and_b64 s[8:9], s[34:35], s[8:9]
	s_mov_b64 exec, s[8:9]
	s_cbranch_execz .LBB1044_1042
; %bb.1041:                             ;   in Loop: Header=BB1044_20 Depth=1
	ds_read_b32 v1, v62
	s_waitcnt lgkmcnt(0)
	s_nop 0
	v_mov_b32_dpp v5, v1 row_shr:1 row_mask:0xf bank_mask:0xf
	v_and_b32_e32 v5, v106, v5
	v_add_u32_e32 v1, v5, v1
	ds_write_b32 v62, v1
.LBB1044_1042:                          ;   in Loop: Header=BB1044_20 Depth=1
	s_or_b64 exec, exec, s[34:35]
	v_mov_b32_e32 v1, 0
	s_waitcnt lgkmcnt(0)
	s_barrier
	s_and_saveexec_b64 s[34:35], s[10:11]
	s_cbranch_execz .LBB1044_1044
; %bb.1043:                             ;   in Loop: Header=BB1044_20 Depth=1
	ds_read_b32 v1, v63
.LBB1044_1044:                          ;   in Loop: Header=BB1044_20 Depth=1
	s_or_b64 exec, exec, s[34:35]
	v_cmp_lt_i32_e32 vcc, v107, v108
	v_cndmask_b32_e32 v5, v107, v102, vcc
	s_waitcnt lgkmcnt(0)
	v_add_u32_e32 v0, v1, v0
	v_lshlrev_b32_e32 v129, 2, v5
	ds_bpermute_b32 v0, v129, v0
	v_cmp_eq_u32_e64 s[34:35], 0, v102
	s_waitcnt lgkmcnt(0)
	s_barrier
	s_and_saveexec_b64 s[36:37], s[4:5]
	s_cbranch_execz .LBB1044_1046
; %bb.1045:                             ;   in Loop: Header=BB1044_20 Depth=1
	v_cndmask_b32_e64 v0, v0, v1, s[34:35]
	v_add_u32_e32 v0, s75, v0
	ds_write_b32 v3, v0
.LBB1044_1046:                          ;   in Loop: Header=BB1044_20 Depth=1
	s_or_b64 exec, exec, s[36:37]
	s_load_dwordx2 s[8:9], s[96:97], 0x0
	v_add_co_u32_e32 v130, vcc, v86, v110
	v_addc_co_u32_e32 v131, vcc, 0, v87, vcc
	s_waitcnt lgkmcnt(0)
	s_cmp_lt_u32 s74, s8
	s_cselect_b32 s7, 12, 18
	s_cmp_lt_u32 s33, s9
	s_cselect_b32 s8, 14, 20
	s_add_u32 s8, s96, s8
	s_addc_u32 s9, s97, 0
	s_add_u32 s36, s96, s7
	global_load_ushort v5, v4, s[8:9]
	s_addc_u32 s37, s97, 0
	global_load_ushort v56, v4, s[36:37]
	v_add_co_u32_e32 v132, vcc, v88, v128
	v_addc_co_u32_e32 v133, vcc, 0, v89, vcc
	v_add_co_u32_e32 v148, vcc, 0x800, v132
	v_cmp_eq_u32_e64 s[36:37], 0, v109
	v_cmp_lt_u32_e64 s[38:39], 1, v109
	s_mov_b32 s7, s91
	v_addc_co_u32_e32 v151, vcc, 0, v133, vcc
	s_mov_b32 s94, s75
                                        ; implicit-def: $vgpr0_vgpr1
                                        ; implicit-def: $vgpr24_vgpr25
                                        ; implicit-def: $vgpr26_vgpr27
                                        ; implicit-def: $vgpr28_vgpr29
                                        ; implicit-def: $vgpr32_vgpr33
                                        ; implicit-def: $vgpr36_vgpr37
                                        ; implicit-def: $vgpr40_vgpr41
                                        ; implicit-def: $vgpr44_vgpr45
                                        ; implicit-def: $vgpr48_vgpr49
                                        ; implicit-def: $vgpr30_vgpr31
                                        ; implicit-def: $vgpr34_vgpr35
                                        ; implicit-def: $vgpr38_vgpr39
                                        ; implicit-def: $vgpr42_vgpr43
                                        ; implicit-def: $vgpr46_vgpr47
                                        ; implicit-def: $vgpr50_vgpr51
                                        ; implicit-def: $vgpr52_vgpr53
                                        ; implicit-def: $vgpr54_vgpr55
                                        ; implicit-def: $vgpr134
                                        ; implicit-def: $vgpr135
                                        ; implicit-def: $vgpr136
                                        ; implicit-def: $vgpr137
                                        ; implicit-def: $vgpr138
                                        ; implicit-def: $vgpr139
                                        ; implicit-def: $vgpr140
                                        ; implicit-def: $vgpr141
                                        ; implicit-def: $vgpr142
                                        ; implicit-def: $vgpr143
                                        ; implicit-def: $vgpr144
                                        ; implicit-def: $vgpr145
                                        ; implicit-def: $vgpr146
                                        ; implicit-def: $vgpr147
                                        ; implicit-def: $vgpr149
                                        ; implicit-def: $vgpr150
                                        ; implicit-def: $vgpr152
                                        ; implicit-def: $vgpr154
                                        ; implicit-def: $vgpr155
	s_waitcnt vmcnt(1)
	v_mad_u32_u24 v5, v64, v5, v65
	s_waitcnt vmcnt(0)
	v_mad_u64_u32 v[56:57], s[8:9], v5, v56, v[2:3]
	v_lshrrev_b32_e32 v153, 6, v56
	s_branch .LBB1044_1048
.LBB1044_1047:                          ;   in Loop: Header=BB1044_1048 Depth=2
	s_or_b64 exec, exec, s[40:41]
	s_addk_i32 s7, 0xef00
	s_cmp_lt_u32 s8, s98
	s_mov_b32 s94, s8
	s_cbranch_scc0 .LBB1044_18
.LBB1044_1048:                          ;   Parent Loop BB1044_20 Depth=1
                                        ; =>  This Inner Loop Header: Depth=2
	s_add_i32 s8, s94, 0x1100
	s_cmp_gt_u32 s8, s98
	s_cbranch_scc1 .LBB1044_1051
; %bb.1049:                             ;   in Loop: Header=BB1044_1048 Depth=2
	s_lshl_b64 s[40:41], s[94:95], 1
	v_mov_b32_e32 v5, s41
	v_add_co_u32_e32 v56, vcc, s40, v132
	v_addc_co_u32_e32 v57, vcc, v133, v5, vcc
	global_load_ushort v5, v[56:57], off
	global_load_ushort v160, v[56:57], off offset:128
	global_load_ushort v165, v[56:57], off offset:256
	;; [unrolled: 1-line block ×15, first 2 shown]
	s_mov_b64 s[40:41], -1
	s_movk_i32 s9, 0x1100
	s_cbranch_execz .LBB1044_1052
; %bb.1050:                             ;   in Loop: Header=BB1044_1048 Depth=2
                                        ; implicit-def: $sgpr42
	v_mov_b32_e32 v166, s42
	v_mov_b32_e32 v156, s7
	s_and_saveexec_b64 s[42:43], s[40:41]
	s_cbranch_execnz .LBB1044_1085
	s_branch .LBB1044_1086
.LBB1044_1051:                          ;   in Loop: Header=BB1044_1048 Depth=2
	s_mov_b64 s[40:41], 0
                                        ; implicit-def: $sgpr9
                                        ; implicit-def: $vgpr5
                                        ; implicit-def: $vgpr160
                                        ; implicit-def: $vgpr165
                                        ; implicit-def: $vgpr171
                                        ; implicit-def: $vgpr176
                                        ; implicit-def: $vgpr181
                                        ; implicit-def: $vgpr186
                                        ; implicit-def: $vgpr191
                                        ; implicit-def: $vgpr193
                                        ; implicit-def: $vgpr188
                                        ; implicit-def: $vgpr184
                                        ; implicit-def: $vgpr179
                                        ; implicit-def: $vgpr174
                                        ; implicit-def: $vgpr169
                                        ; implicit-def: $vgpr164
                                        ; implicit-def: $vgpr159
.LBB1044_1052:                          ;   in Loop: Header=BB1044_1048 Depth=2
	s_lshl_b64 s[40:41], s[94:95], 1
	s_waitcnt vmcnt(15)
	v_mov_b32_e32 v5, s41
	v_add_co_u32_e32 v56, vcc, s40, v132
	v_addc_co_u32_e32 v57, vcc, v133, v5, vcc
	v_cmp_gt_u32_e32 vcc, s7, v111
	s_waitcnt vmcnt(14)
	v_mov_b32_e32 v160, 0x7fff
	v_mov_b32_e32 v5, 0x7fff
	s_and_saveexec_b64 s[40:41], vcc
	s_cbranch_execz .LBB1044_1054
; %bb.1053:                             ;   in Loop: Header=BB1044_1048 Depth=2
	global_load_ushort v5, v[56:57], off
.LBB1044_1054:                          ;   in Loop: Header=BB1044_1048 Depth=2
	s_or_b64 exec, exec, s[40:41]
	v_cmp_gt_u32_e32 vcc, s7, v112
	s_and_saveexec_b64 s[40:41], vcc
	s_cbranch_execz .LBB1044_1056
; %bb.1055:                             ;   in Loop: Header=BB1044_1048 Depth=2
	global_load_ushort v160, v[56:57], off offset:128
.LBB1044_1056:                          ;   in Loop: Header=BB1044_1048 Depth=2
	s_or_b64 exec, exec, s[40:41]
	v_cmp_gt_u32_e32 vcc, s7, v113
	s_waitcnt vmcnt(12)
	v_mov_b32_e32 v171, 0x7fff
	v_mov_b32_e32 v165, 0x7fff
	s_and_saveexec_b64 s[40:41], vcc
	s_cbranch_execz .LBB1044_1058
; %bb.1057:                             ;   in Loop: Header=BB1044_1048 Depth=2
	global_load_ushort v165, v[56:57], off offset:256
.LBB1044_1058:                          ;   in Loop: Header=BB1044_1048 Depth=2
	s_or_b64 exec, exec, s[40:41]
	v_cmp_gt_u32_e32 vcc, s7, v114
	s_and_saveexec_b64 s[40:41], vcc
	s_cbranch_execz .LBB1044_1060
; %bb.1059:                             ;   in Loop: Header=BB1044_1048 Depth=2
	global_load_ushort v171, v[56:57], off offset:384
.LBB1044_1060:                          ;   in Loop: Header=BB1044_1048 Depth=2
	s_or_b64 exec, exec, s[40:41]
	v_cmp_gt_u32_e32 vcc, s7, v115
	s_waitcnt vmcnt(10)
	v_mov_b32_e32 v181, 0x7fff
	v_mov_b32_e32 v176, 0x7fff
	s_and_saveexec_b64 s[40:41], vcc
	s_cbranch_execz .LBB1044_1062
; %bb.1061:                             ;   in Loop: Header=BB1044_1048 Depth=2
	global_load_ushort v176, v[56:57], off offset:512
.LBB1044_1062:                          ;   in Loop: Header=BB1044_1048 Depth=2
	;; [unrolled: 17-line block ×7, first 2 shown]
	s_or_b64 exec, exec, s[40:41]
	v_cmp_gt_u32_e32 vcc, s7, v126
	s_and_saveexec_b64 s[40:41], vcc
	s_cbranch_execz .LBB1044_1084
; %bb.1083:                             ;   in Loop: Header=BB1044_1048 Depth=2
	global_load_ushort v159, v[56:57], off offset:1920
.LBB1044_1084:                          ;   in Loop: Header=BB1044_1048 Depth=2
	s_or_b64 exec, exec, s[40:41]
	s_sub_i32 s9, s98, s94
	v_cmp_gt_u32_e64 s[40:41], s7, v127
	s_movk_i32 s42, 0x7fff
	v_mov_b32_e32 v166, s42
	v_mov_b32_e32 v156, s7
	s_and_saveexec_b64 s[42:43], s[40:41]
	s_cbranch_execz .LBB1044_1086
.LBB1044_1085:                          ;   in Loop: Header=BB1044_1048 Depth=2
	s_lshl_b64 s[40:41], s[94:95], 1
	v_mov_b32_e32 v57, s41
	v_add_co_u32_e32 v56, vcc, s40, v148
	v_addc_co_u32_e32 v57, vcc, v151, v57, vcc
	global_load_ushort v166, v[56:57], off
	v_mov_b32_e32 v156, s9
.LBB1044_1086:                          ;   in Loop: Header=BB1044_1048 Depth=2
	s_or_b64 exec, exec, s[42:43]
	s_waitcnt vmcnt(15)
	v_xor_b32_e32 v157, 0xffff8000, v5
	v_lshrrev_b32_sdwa v5, s89, v157 dst_sel:DWORD dst_unused:UNUSED_PAD src0_sel:DWORD src1_sel:WORD_0
	v_and_b32_e32 v56, s6, v5
	v_mad_u32_u24 v5, v56, 5, v153
	v_lshl_add_u32 v158, v5, 2, v66
	v_and_b32_e32 v5, 1, v56
	v_add_co_u32_e32 v57, vcc, -1, v5
	v_addc_co_u32_e64 v161, s[40:41], 0, -1, vcc
	v_cmp_ne_u32_e32 vcc, 0, v5
	v_xor_b32_e32 v5, vcc_hi, v161
	v_and_b32_e32 v161, exec_hi, v5
	v_lshlrev_b32_e32 v5, 30, v56
	v_xor_b32_e32 v57, vcc_lo, v57
	v_cmp_gt_i64_e32 vcc, 0, v[4:5]
	v_not_b32_e32 v5, v5
	v_ashrrev_i32_e32 v5, 31, v5
	v_and_b32_e32 v57, exec_lo, v57
	v_xor_b32_e32 v162, vcc_hi, v5
	v_xor_b32_e32 v5, vcc_lo, v5
	v_and_b32_e32 v57, v57, v5
	v_lshlrev_b32_e32 v5, 29, v56
	v_cmp_gt_i64_e32 vcc, 0, v[4:5]
	v_not_b32_e32 v5, v5
	v_ashrrev_i32_e32 v5, 31, v5
	v_and_b32_e32 v161, v161, v162
	v_xor_b32_e32 v162, vcc_hi, v5
	v_xor_b32_e32 v5, vcc_lo, v5
	v_and_b32_e32 v57, v57, v5
	v_lshlrev_b32_e32 v5, 28, v56
	v_cmp_gt_i64_e32 vcc, 0, v[4:5]
	v_not_b32_e32 v5, v5
	v_ashrrev_i32_e32 v5, 31, v5
	v_and_b32_e32 v161, v161, v162
	;; [unrolled: 8-line block ×4, first 2 shown]
	v_xor_b32_e32 v162, vcc_hi, v5
	v_xor_b32_e32 v5, vcc_lo, v5
	v_and_b32_e32 v161, v161, v162
	v_and_b32_e32 v162, v57, v5
	v_lshlrev_b32_e32 v5, 25, v56
	v_cmp_gt_i64_e32 vcc, 0, v[4:5]
	v_not_b32_e32 v5, v5
	v_ashrrev_i32_e32 v5, 31, v5
	v_xor_b32_e32 v56, vcc_hi, v5
	v_xor_b32_e32 v5, vcc_lo, v5
	v_and_b32_e32 v57, v161, v56
	v_and_b32_e32 v56, v162, v5
	v_mbcnt_lo_u32_b32 v5, v56, 0
	v_mbcnt_hi_u32_b32 v161, v57, v5
	v_cmp_eq_u32_e32 vcc, 0, v161
	v_cmp_ne_u64_e64 s[40:41], 0, v[56:57]
	s_and_b64 s[42:43], s[40:41], vcc
	ds_write2_b32 v58, v4, v4 offset0:132 offset1:133
	ds_write_b32 v67, v4 offset:8
	s_waitcnt lgkmcnt(0)
	s_barrier
	s_waitcnt lgkmcnt(0)
	; wave barrier
	s_and_saveexec_b64 s[40:41], s[42:43]
	s_cbranch_execz .LBB1044_1088
; %bb.1087:                             ;   in Loop: Header=BB1044_1048 Depth=2
	v_bcnt_u32_b32 v5, v56, 0
	v_bcnt_u32_b32 v5, v57, v5
	ds_write_b32 v158, v5
.LBB1044_1088:                          ;   in Loop: Header=BB1044_1048 Depth=2
	s_or_b64 exec, exec, s[40:41]
	s_waitcnt vmcnt(14)
	v_xor_b32_e32 v160, 0xffff8000, v160
	v_lshrrev_b32_sdwa v5, s89, v160 dst_sel:DWORD dst_unused:UNUSED_PAD src0_sel:DWORD src1_sel:WORD_0
	v_and_b32_e32 v56, s6, v5
	v_mul_u32_u24_e32 v5, 5, v56
	v_add_lshl_u32 v5, v5, v153, 2
	; wave barrier
	v_add_u32_e32 v163, 0x210, v5
	ds_read_b32 v162, v5 offset:528
	v_and_b32_e32 v5, 1, v56
	v_add_co_u32_e32 v57, vcc, -1, v5
	v_addc_co_u32_e64 v167, s[40:41], 0, -1, vcc
	v_cmp_ne_u32_e32 vcc, 0, v5
	v_xor_b32_e32 v5, vcc_hi, v167
	v_and_b32_e32 v167, exec_hi, v5
	v_lshlrev_b32_e32 v5, 30, v56
	v_xor_b32_e32 v57, vcc_lo, v57
	v_cmp_gt_i64_e32 vcc, 0, v[4:5]
	v_not_b32_e32 v5, v5
	v_ashrrev_i32_e32 v5, 31, v5
	v_and_b32_e32 v57, exec_lo, v57
	v_xor_b32_e32 v168, vcc_hi, v5
	v_xor_b32_e32 v5, vcc_lo, v5
	v_and_b32_e32 v57, v57, v5
	v_lshlrev_b32_e32 v5, 29, v56
	v_cmp_gt_i64_e32 vcc, 0, v[4:5]
	v_not_b32_e32 v5, v5
	v_ashrrev_i32_e32 v5, 31, v5
	v_and_b32_e32 v167, v167, v168
	v_xor_b32_e32 v168, vcc_hi, v5
	v_xor_b32_e32 v5, vcc_lo, v5
	v_and_b32_e32 v57, v57, v5
	v_lshlrev_b32_e32 v5, 28, v56
	v_cmp_gt_i64_e32 vcc, 0, v[4:5]
	v_not_b32_e32 v5, v5
	v_ashrrev_i32_e32 v5, 31, v5
	v_and_b32_e32 v167, v167, v168
	v_xor_b32_e32 v168, vcc_hi, v5
	v_xor_b32_e32 v5, vcc_lo, v5
	v_and_b32_e32 v57, v57, v5
	v_lshlrev_b32_e32 v5, 27, v56
	v_cmp_gt_i64_e32 vcc, 0, v[4:5]
	v_not_b32_e32 v5, v5
	v_ashrrev_i32_e32 v5, 31, v5
	v_and_b32_e32 v167, v167, v168
	v_xor_b32_e32 v168, vcc_hi, v5
	v_xor_b32_e32 v5, vcc_lo, v5
	v_and_b32_e32 v57, v57, v5
	v_lshlrev_b32_e32 v5, 26, v56
	v_cmp_gt_i64_e32 vcc, 0, v[4:5]
	v_not_b32_e32 v5, v5
	v_ashrrev_i32_e32 v5, 31, v5
	v_and_b32_e32 v167, v167, v168
	v_xor_b32_e32 v168, vcc_hi, v5
	v_xor_b32_e32 v5, vcc_lo, v5
	v_and_b32_e32 v167, v167, v168
	v_and_b32_e32 v168, v57, v5
	v_lshlrev_b32_e32 v5, 25, v56
	v_cmp_gt_i64_e32 vcc, 0, v[4:5]
	v_not_b32_e32 v5, v5
	v_ashrrev_i32_e32 v5, 31, v5
	v_xor_b32_e32 v56, vcc_hi, v5
	v_xor_b32_e32 v5, vcc_lo, v5
	v_and_b32_e32 v57, v167, v56
	v_and_b32_e32 v56, v168, v5
	v_mbcnt_lo_u32_b32 v5, v56, 0
	v_mbcnt_hi_u32_b32 v167, v57, v5
	v_cmp_eq_u32_e32 vcc, 0, v167
	v_cmp_ne_u64_e64 s[40:41], 0, v[56:57]
	s_and_b64 s[42:43], s[40:41], vcc
	; wave barrier
	s_and_saveexec_b64 s[40:41], s[42:43]
	s_cbranch_execz .LBB1044_1090
; %bb.1089:                             ;   in Loop: Header=BB1044_1048 Depth=2
	v_bcnt_u32_b32 v5, v56, 0
	v_bcnt_u32_b32 v5, v57, v5
	s_waitcnt lgkmcnt(0)
	v_add_u32_e32 v5, v162, v5
	ds_write_b32 v163, v5
.LBB1044_1090:                          ;   in Loop: Header=BB1044_1048 Depth=2
	s_or_b64 exec, exec, s[40:41]
	s_waitcnt vmcnt(13)
	v_xor_b32_e32 v165, 0xffff8000, v165
	v_lshrrev_b32_sdwa v5, s89, v165 dst_sel:DWORD dst_unused:UNUSED_PAD src0_sel:DWORD src1_sel:WORD_0
	v_and_b32_e32 v56, s6, v5
	v_mul_u32_u24_e32 v5, 5, v56
	v_add_lshl_u32 v5, v5, v153, 2
	; wave barrier
	v_add_u32_e32 v170, 0x210, v5
	ds_read_b32 v168, v5 offset:528
	v_and_b32_e32 v5, 1, v56
	v_add_co_u32_e32 v57, vcc, -1, v5
	v_addc_co_u32_e64 v172, s[40:41], 0, -1, vcc
	v_cmp_ne_u32_e32 vcc, 0, v5
	v_xor_b32_e32 v5, vcc_hi, v172
	v_and_b32_e32 v172, exec_hi, v5
	v_lshlrev_b32_e32 v5, 30, v56
	v_xor_b32_e32 v57, vcc_lo, v57
	v_cmp_gt_i64_e32 vcc, 0, v[4:5]
	v_not_b32_e32 v5, v5
	v_ashrrev_i32_e32 v5, 31, v5
	v_and_b32_e32 v57, exec_lo, v57
	v_xor_b32_e32 v173, vcc_hi, v5
	v_xor_b32_e32 v5, vcc_lo, v5
	v_and_b32_e32 v57, v57, v5
	v_lshlrev_b32_e32 v5, 29, v56
	v_cmp_gt_i64_e32 vcc, 0, v[4:5]
	v_not_b32_e32 v5, v5
	v_ashrrev_i32_e32 v5, 31, v5
	v_and_b32_e32 v172, v172, v173
	v_xor_b32_e32 v173, vcc_hi, v5
	v_xor_b32_e32 v5, vcc_lo, v5
	v_and_b32_e32 v57, v57, v5
	v_lshlrev_b32_e32 v5, 28, v56
	v_cmp_gt_i64_e32 vcc, 0, v[4:5]
	v_not_b32_e32 v5, v5
	v_ashrrev_i32_e32 v5, 31, v5
	v_and_b32_e32 v172, v172, v173
	;; [unrolled: 8-line block ×4, first 2 shown]
	v_xor_b32_e32 v173, vcc_hi, v5
	v_xor_b32_e32 v5, vcc_lo, v5
	v_and_b32_e32 v172, v172, v173
	v_and_b32_e32 v173, v57, v5
	v_lshlrev_b32_e32 v5, 25, v56
	v_cmp_gt_i64_e32 vcc, 0, v[4:5]
	v_not_b32_e32 v5, v5
	v_ashrrev_i32_e32 v5, 31, v5
	v_xor_b32_e32 v56, vcc_hi, v5
	v_xor_b32_e32 v5, vcc_lo, v5
	v_and_b32_e32 v57, v172, v56
	v_and_b32_e32 v56, v173, v5
	v_mbcnt_lo_u32_b32 v5, v56, 0
	v_mbcnt_hi_u32_b32 v172, v57, v5
	v_cmp_eq_u32_e32 vcc, 0, v172
	v_cmp_ne_u64_e64 s[40:41], 0, v[56:57]
	s_and_b64 s[42:43], s[40:41], vcc
	; wave barrier
	s_and_saveexec_b64 s[40:41], s[42:43]
	s_cbranch_execz .LBB1044_1092
; %bb.1091:                             ;   in Loop: Header=BB1044_1048 Depth=2
	v_bcnt_u32_b32 v5, v56, 0
	v_bcnt_u32_b32 v5, v57, v5
	s_waitcnt lgkmcnt(0)
	v_add_u32_e32 v5, v168, v5
	ds_write_b32 v170, v5
.LBB1044_1092:                          ;   in Loop: Header=BB1044_1048 Depth=2
	s_or_b64 exec, exec, s[40:41]
	s_waitcnt vmcnt(12)
	v_xor_b32_e32 v171, 0xffff8000, v171
	v_lshrrev_b32_sdwa v5, s89, v171 dst_sel:DWORD dst_unused:UNUSED_PAD src0_sel:DWORD src1_sel:WORD_0
	v_and_b32_e32 v56, s6, v5
	v_mul_u32_u24_e32 v5, 5, v56
	v_add_lshl_u32 v5, v5, v153, 2
	; wave barrier
	v_add_u32_e32 v175, 0x210, v5
	ds_read_b32 v173, v5 offset:528
	v_and_b32_e32 v5, 1, v56
	v_add_co_u32_e32 v57, vcc, -1, v5
	v_addc_co_u32_e64 v177, s[40:41], 0, -1, vcc
	v_cmp_ne_u32_e32 vcc, 0, v5
	v_xor_b32_e32 v5, vcc_hi, v177
	v_and_b32_e32 v177, exec_hi, v5
	v_lshlrev_b32_e32 v5, 30, v56
	v_xor_b32_e32 v57, vcc_lo, v57
	v_cmp_gt_i64_e32 vcc, 0, v[4:5]
	v_not_b32_e32 v5, v5
	v_ashrrev_i32_e32 v5, 31, v5
	v_and_b32_e32 v57, exec_lo, v57
	v_xor_b32_e32 v178, vcc_hi, v5
	v_xor_b32_e32 v5, vcc_lo, v5
	v_and_b32_e32 v57, v57, v5
	v_lshlrev_b32_e32 v5, 29, v56
	v_cmp_gt_i64_e32 vcc, 0, v[4:5]
	v_not_b32_e32 v5, v5
	v_ashrrev_i32_e32 v5, 31, v5
	v_and_b32_e32 v177, v177, v178
	v_xor_b32_e32 v178, vcc_hi, v5
	v_xor_b32_e32 v5, vcc_lo, v5
	v_and_b32_e32 v57, v57, v5
	v_lshlrev_b32_e32 v5, 28, v56
	v_cmp_gt_i64_e32 vcc, 0, v[4:5]
	v_not_b32_e32 v5, v5
	v_ashrrev_i32_e32 v5, 31, v5
	v_and_b32_e32 v177, v177, v178
	v_xor_b32_e32 v178, vcc_hi, v5
	v_xor_b32_e32 v5, vcc_lo, v5
	v_and_b32_e32 v57, v57, v5
	v_lshlrev_b32_e32 v5, 27, v56
	v_cmp_gt_i64_e32 vcc, 0, v[4:5]
	v_not_b32_e32 v5, v5
	v_ashrrev_i32_e32 v5, 31, v5
	v_and_b32_e32 v177, v177, v178
	v_xor_b32_e32 v178, vcc_hi, v5
	v_xor_b32_e32 v5, vcc_lo, v5
	v_and_b32_e32 v57, v57, v5
	v_lshlrev_b32_e32 v5, 26, v56
	v_cmp_gt_i64_e32 vcc, 0, v[4:5]
	v_not_b32_e32 v5, v5
	v_ashrrev_i32_e32 v5, 31, v5
	v_and_b32_e32 v177, v177, v178
	v_xor_b32_e32 v178, vcc_hi, v5
	v_xor_b32_e32 v5, vcc_lo, v5
	v_and_b32_e32 v177, v177, v178
	v_and_b32_e32 v178, v57, v5
	v_lshlrev_b32_e32 v5, 25, v56
	v_cmp_gt_i64_e32 vcc, 0, v[4:5]
	v_not_b32_e32 v5, v5
	v_ashrrev_i32_e32 v5, 31, v5
	v_xor_b32_e32 v56, vcc_hi, v5
	v_xor_b32_e32 v5, vcc_lo, v5
	v_and_b32_e32 v57, v177, v56
	v_and_b32_e32 v56, v178, v5
	v_mbcnt_lo_u32_b32 v5, v56, 0
	v_mbcnt_hi_u32_b32 v177, v57, v5
	v_cmp_eq_u32_e32 vcc, 0, v177
	v_cmp_ne_u64_e64 s[40:41], 0, v[56:57]
	s_and_b64 s[42:43], s[40:41], vcc
	; wave barrier
	s_and_saveexec_b64 s[40:41], s[42:43]
	s_cbranch_execz .LBB1044_1094
; %bb.1093:                             ;   in Loop: Header=BB1044_1048 Depth=2
	v_bcnt_u32_b32 v5, v56, 0
	v_bcnt_u32_b32 v5, v57, v5
	s_waitcnt lgkmcnt(0)
	v_add_u32_e32 v5, v173, v5
	ds_write_b32 v175, v5
.LBB1044_1094:                          ;   in Loop: Header=BB1044_1048 Depth=2
	s_or_b64 exec, exec, s[40:41]
	s_waitcnt vmcnt(11)
	v_xor_b32_e32 v176, 0xffff8000, v176
	v_lshrrev_b32_sdwa v5, s89, v176 dst_sel:DWORD dst_unused:UNUSED_PAD src0_sel:DWORD src1_sel:WORD_0
	v_and_b32_e32 v56, s6, v5
	v_mul_u32_u24_e32 v5, 5, v56
	v_add_lshl_u32 v5, v5, v153, 2
	; wave barrier
	v_add_u32_e32 v180, 0x210, v5
	ds_read_b32 v178, v5 offset:528
	v_and_b32_e32 v5, 1, v56
	v_add_co_u32_e32 v57, vcc, -1, v5
	v_addc_co_u32_e64 v182, s[40:41], 0, -1, vcc
	v_cmp_ne_u32_e32 vcc, 0, v5
	v_xor_b32_e32 v5, vcc_hi, v182
	v_and_b32_e32 v182, exec_hi, v5
	v_lshlrev_b32_e32 v5, 30, v56
	v_xor_b32_e32 v57, vcc_lo, v57
	v_cmp_gt_i64_e32 vcc, 0, v[4:5]
	v_not_b32_e32 v5, v5
	v_ashrrev_i32_e32 v5, 31, v5
	v_and_b32_e32 v57, exec_lo, v57
	v_xor_b32_e32 v183, vcc_hi, v5
	v_xor_b32_e32 v5, vcc_lo, v5
	v_and_b32_e32 v57, v57, v5
	v_lshlrev_b32_e32 v5, 29, v56
	v_cmp_gt_i64_e32 vcc, 0, v[4:5]
	v_not_b32_e32 v5, v5
	v_ashrrev_i32_e32 v5, 31, v5
	v_and_b32_e32 v182, v182, v183
	v_xor_b32_e32 v183, vcc_hi, v5
	v_xor_b32_e32 v5, vcc_lo, v5
	v_and_b32_e32 v57, v57, v5
	v_lshlrev_b32_e32 v5, 28, v56
	v_cmp_gt_i64_e32 vcc, 0, v[4:5]
	v_not_b32_e32 v5, v5
	v_ashrrev_i32_e32 v5, 31, v5
	v_and_b32_e32 v182, v182, v183
	;; [unrolled: 8-line block ×4, first 2 shown]
	v_xor_b32_e32 v183, vcc_hi, v5
	v_xor_b32_e32 v5, vcc_lo, v5
	v_and_b32_e32 v182, v182, v183
	v_and_b32_e32 v183, v57, v5
	v_lshlrev_b32_e32 v5, 25, v56
	v_cmp_gt_i64_e32 vcc, 0, v[4:5]
	v_not_b32_e32 v5, v5
	v_ashrrev_i32_e32 v5, 31, v5
	v_xor_b32_e32 v56, vcc_hi, v5
	v_xor_b32_e32 v5, vcc_lo, v5
	v_and_b32_e32 v57, v182, v56
	v_and_b32_e32 v56, v183, v5
	v_mbcnt_lo_u32_b32 v5, v56, 0
	v_mbcnt_hi_u32_b32 v182, v57, v5
	v_cmp_eq_u32_e32 vcc, 0, v182
	v_cmp_ne_u64_e64 s[40:41], 0, v[56:57]
	s_and_b64 s[42:43], s[40:41], vcc
	; wave barrier
	s_and_saveexec_b64 s[40:41], s[42:43]
	s_cbranch_execz .LBB1044_1096
; %bb.1095:                             ;   in Loop: Header=BB1044_1048 Depth=2
	v_bcnt_u32_b32 v5, v56, 0
	v_bcnt_u32_b32 v5, v57, v5
	s_waitcnt lgkmcnt(0)
	v_add_u32_e32 v5, v178, v5
	ds_write_b32 v180, v5
.LBB1044_1096:                          ;   in Loop: Header=BB1044_1048 Depth=2
	s_or_b64 exec, exec, s[40:41]
	s_waitcnt vmcnt(10)
	v_xor_b32_e32 v181, 0xffff8000, v181
	v_lshrrev_b32_sdwa v5, s89, v181 dst_sel:DWORD dst_unused:UNUSED_PAD src0_sel:DWORD src1_sel:WORD_0
	v_and_b32_e32 v56, s6, v5
	v_mul_u32_u24_e32 v5, 5, v56
	v_add_lshl_u32 v5, v5, v153, 2
	; wave barrier
	v_add_u32_e32 v185, 0x210, v5
	ds_read_b32 v183, v5 offset:528
	v_and_b32_e32 v5, 1, v56
	v_add_co_u32_e32 v57, vcc, -1, v5
	v_addc_co_u32_e64 v187, s[40:41], 0, -1, vcc
	v_cmp_ne_u32_e32 vcc, 0, v5
	v_xor_b32_e32 v5, vcc_hi, v187
	v_and_b32_e32 v187, exec_hi, v5
	v_lshlrev_b32_e32 v5, 30, v56
	v_xor_b32_e32 v57, vcc_lo, v57
	v_cmp_gt_i64_e32 vcc, 0, v[4:5]
	v_not_b32_e32 v5, v5
	v_ashrrev_i32_e32 v5, 31, v5
	v_and_b32_e32 v57, exec_lo, v57
	v_xor_b32_e32 v189, vcc_hi, v5
	v_xor_b32_e32 v5, vcc_lo, v5
	v_and_b32_e32 v57, v57, v5
	v_lshlrev_b32_e32 v5, 29, v56
	v_cmp_gt_i64_e32 vcc, 0, v[4:5]
	v_not_b32_e32 v5, v5
	v_ashrrev_i32_e32 v5, 31, v5
	v_and_b32_e32 v187, v187, v189
	v_xor_b32_e32 v189, vcc_hi, v5
	v_xor_b32_e32 v5, vcc_lo, v5
	v_and_b32_e32 v57, v57, v5
	v_lshlrev_b32_e32 v5, 28, v56
	v_cmp_gt_i64_e32 vcc, 0, v[4:5]
	v_not_b32_e32 v5, v5
	v_ashrrev_i32_e32 v5, 31, v5
	v_and_b32_e32 v187, v187, v189
	;; [unrolled: 8-line block ×4, first 2 shown]
	v_xor_b32_e32 v189, vcc_hi, v5
	v_xor_b32_e32 v5, vcc_lo, v5
	v_and_b32_e32 v187, v187, v189
	v_and_b32_e32 v189, v57, v5
	v_lshlrev_b32_e32 v5, 25, v56
	v_cmp_gt_i64_e32 vcc, 0, v[4:5]
	v_not_b32_e32 v5, v5
	v_ashrrev_i32_e32 v5, 31, v5
	v_xor_b32_e32 v56, vcc_hi, v5
	v_xor_b32_e32 v5, vcc_lo, v5
	v_and_b32_e32 v57, v187, v56
	v_and_b32_e32 v56, v189, v5
	v_mbcnt_lo_u32_b32 v5, v56, 0
	v_mbcnt_hi_u32_b32 v187, v57, v5
	v_cmp_eq_u32_e32 vcc, 0, v187
	v_cmp_ne_u64_e64 s[40:41], 0, v[56:57]
	s_and_b64 s[42:43], s[40:41], vcc
	; wave barrier
	s_and_saveexec_b64 s[40:41], s[42:43]
	s_cbranch_execz .LBB1044_1098
; %bb.1097:                             ;   in Loop: Header=BB1044_1048 Depth=2
	v_bcnt_u32_b32 v5, v56, 0
	v_bcnt_u32_b32 v5, v57, v5
	s_waitcnt lgkmcnt(0)
	v_add_u32_e32 v5, v183, v5
	ds_write_b32 v185, v5
.LBB1044_1098:                          ;   in Loop: Header=BB1044_1048 Depth=2
	s_or_b64 exec, exec, s[40:41]
	s_waitcnt vmcnt(9)
	v_xor_b32_e32 v186, 0xffff8000, v186
	v_lshrrev_b32_sdwa v5, s89, v186 dst_sel:DWORD dst_unused:UNUSED_PAD src0_sel:DWORD src1_sel:WORD_0
	v_and_b32_e32 v56, s6, v5
	v_mul_u32_u24_e32 v5, 5, v56
	v_add_lshl_u32 v5, v5, v153, 2
	; wave barrier
	v_add_u32_e32 v190, 0x210, v5
	ds_read_b32 v189, v5 offset:528
	v_and_b32_e32 v5, 1, v56
	v_add_co_u32_e32 v57, vcc, -1, v5
	v_addc_co_u32_e64 v192, s[40:41], 0, -1, vcc
	v_cmp_ne_u32_e32 vcc, 0, v5
	v_xor_b32_e32 v5, vcc_hi, v192
	v_and_b32_e32 v192, exec_hi, v5
	v_lshlrev_b32_e32 v5, 30, v56
	v_xor_b32_e32 v57, vcc_lo, v57
	v_cmp_gt_i64_e32 vcc, 0, v[4:5]
	v_not_b32_e32 v5, v5
	v_ashrrev_i32_e32 v5, 31, v5
	v_and_b32_e32 v57, exec_lo, v57
	v_xor_b32_e32 v194, vcc_hi, v5
	v_xor_b32_e32 v5, vcc_lo, v5
	v_and_b32_e32 v57, v57, v5
	v_lshlrev_b32_e32 v5, 29, v56
	v_cmp_gt_i64_e32 vcc, 0, v[4:5]
	v_not_b32_e32 v5, v5
	v_ashrrev_i32_e32 v5, 31, v5
	v_and_b32_e32 v192, v192, v194
	v_xor_b32_e32 v194, vcc_hi, v5
	v_xor_b32_e32 v5, vcc_lo, v5
	v_and_b32_e32 v57, v57, v5
	v_lshlrev_b32_e32 v5, 28, v56
	v_cmp_gt_i64_e32 vcc, 0, v[4:5]
	v_not_b32_e32 v5, v5
	v_ashrrev_i32_e32 v5, 31, v5
	v_and_b32_e32 v192, v192, v194
	;; [unrolled: 8-line block ×4, first 2 shown]
	v_xor_b32_e32 v194, vcc_hi, v5
	v_xor_b32_e32 v5, vcc_lo, v5
	v_and_b32_e32 v192, v192, v194
	v_and_b32_e32 v194, v57, v5
	v_lshlrev_b32_e32 v5, 25, v56
	v_cmp_gt_i64_e32 vcc, 0, v[4:5]
	v_not_b32_e32 v5, v5
	v_ashrrev_i32_e32 v5, 31, v5
	v_xor_b32_e32 v56, vcc_hi, v5
	v_xor_b32_e32 v5, vcc_lo, v5
	v_and_b32_e32 v57, v192, v56
	v_and_b32_e32 v56, v194, v5
	v_mbcnt_lo_u32_b32 v5, v56, 0
	v_mbcnt_hi_u32_b32 v192, v57, v5
	v_cmp_eq_u32_e32 vcc, 0, v192
	v_cmp_ne_u64_e64 s[40:41], 0, v[56:57]
	s_and_b64 s[42:43], s[40:41], vcc
	; wave barrier
	s_and_saveexec_b64 s[40:41], s[42:43]
	s_cbranch_execz .LBB1044_1100
; %bb.1099:                             ;   in Loop: Header=BB1044_1048 Depth=2
	v_bcnt_u32_b32 v5, v56, 0
	v_bcnt_u32_b32 v5, v57, v5
	s_waitcnt lgkmcnt(0)
	v_add_u32_e32 v5, v189, v5
	ds_write_b32 v190, v5
.LBB1044_1100:                          ;   in Loop: Header=BB1044_1048 Depth=2
	s_or_b64 exec, exec, s[40:41]
	s_waitcnt vmcnt(8)
	v_xor_b32_e32 v191, 0xffff8000, v191
	v_lshrrev_b32_sdwa v5, s89, v191 dst_sel:DWORD dst_unused:UNUSED_PAD src0_sel:DWORD src1_sel:WORD_0
	v_and_b32_e32 v56, s6, v5
	v_mul_u32_u24_e32 v5, 5, v56
	v_add_lshl_u32 v5, v5, v153, 2
	; wave barrier
	v_add_u32_e32 v195, 0x210, v5
	ds_read_b32 v194, v5 offset:528
	v_and_b32_e32 v5, 1, v56
	v_add_co_u32_e32 v57, vcc, -1, v5
	v_addc_co_u32_e64 v196, s[40:41], 0, -1, vcc
	v_cmp_ne_u32_e32 vcc, 0, v5
	v_xor_b32_e32 v5, vcc_hi, v196
	v_and_b32_e32 v196, exec_hi, v5
	v_lshlrev_b32_e32 v5, 30, v56
	v_xor_b32_e32 v57, vcc_lo, v57
	v_cmp_gt_i64_e32 vcc, 0, v[4:5]
	v_not_b32_e32 v5, v5
	v_ashrrev_i32_e32 v5, 31, v5
	v_and_b32_e32 v57, exec_lo, v57
	v_xor_b32_e32 v197, vcc_hi, v5
	v_xor_b32_e32 v5, vcc_lo, v5
	v_and_b32_e32 v57, v57, v5
	v_lshlrev_b32_e32 v5, 29, v56
	v_cmp_gt_i64_e32 vcc, 0, v[4:5]
	v_not_b32_e32 v5, v5
	v_ashrrev_i32_e32 v5, 31, v5
	v_and_b32_e32 v196, v196, v197
	v_xor_b32_e32 v197, vcc_hi, v5
	v_xor_b32_e32 v5, vcc_lo, v5
	v_and_b32_e32 v57, v57, v5
	v_lshlrev_b32_e32 v5, 28, v56
	v_cmp_gt_i64_e32 vcc, 0, v[4:5]
	v_not_b32_e32 v5, v5
	v_ashrrev_i32_e32 v5, 31, v5
	v_and_b32_e32 v196, v196, v197
	;; [unrolled: 8-line block ×4, first 2 shown]
	v_xor_b32_e32 v197, vcc_hi, v5
	v_xor_b32_e32 v5, vcc_lo, v5
	v_and_b32_e32 v196, v196, v197
	v_and_b32_e32 v197, v57, v5
	v_lshlrev_b32_e32 v5, 25, v56
	v_cmp_gt_i64_e32 vcc, 0, v[4:5]
	v_not_b32_e32 v5, v5
	v_ashrrev_i32_e32 v5, 31, v5
	v_xor_b32_e32 v56, vcc_hi, v5
	v_xor_b32_e32 v5, vcc_lo, v5
	v_and_b32_e32 v57, v196, v56
	v_and_b32_e32 v56, v197, v5
	v_mbcnt_lo_u32_b32 v5, v56, 0
	v_mbcnt_hi_u32_b32 v196, v57, v5
	v_cmp_eq_u32_e32 vcc, 0, v196
	v_cmp_ne_u64_e64 s[40:41], 0, v[56:57]
	s_and_b64 s[42:43], s[40:41], vcc
	; wave barrier
	s_and_saveexec_b64 s[40:41], s[42:43]
	s_cbranch_execz .LBB1044_1102
; %bb.1101:                             ;   in Loop: Header=BB1044_1048 Depth=2
	v_bcnt_u32_b32 v5, v56, 0
	v_bcnt_u32_b32 v5, v57, v5
	s_waitcnt lgkmcnt(0)
	v_add_u32_e32 v5, v194, v5
	ds_write_b32 v195, v5
.LBB1044_1102:                          ;   in Loop: Header=BB1044_1048 Depth=2
	s_or_b64 exec, exec, s[40:41]
	s_waitcnt vmcnt(7)
	v_xor_b32_e32 v193, 0xffff8000, v193
	v_lshrrev_b32_sdwa v5, s89, v193 dst_sel:DWORD dst_unused:UNUSED_PAD src0_sel:DWORD src1_sel:WORD_0
	v_and_b32_e32 v56, s6, v5
	v_mul_u32_u24_e32 v5, 5, v56
	v_add_lshl_u32 v5, v5, v153, 2
	; wave barrier
	v_add_u32_e32 v198, 0x210, v5
	ds_read_b32 v197, v5 offset:528
	v_and_b32_e32 v5, 1, v56
	v_add_co_u32_e32 v57, vcc, -1, v5
	v_addc_co_u32_e64 v199, s[40:41], 0, -1, vcc
	v_cmp_ne_u32_e32 vcc, 0, v5
	v_xor_b32_e32 v5, vcc_hi, v199
	v_and_b32_e32 v199, exec_hi, v5
	v_lshlrev_b32_e32 v5, 30, v56
	v_xor_b32_e32 v57, vcc_lo, v57
	v_cmp_gt_i64_e32 vcc, 0, v[4:5]
	v_not_b32_e32 v5, v5
	v_ashrrev_i32_e32 v5, 31, v5
	v_and_b32_e32 v57, exec_lo, v57
	v_xor_b32_e32 v200, vcc_hi, v5
	v_xor_b32_e32 v5, vcc_lo, v5
	v_and_b32_e32 v57, v57, v5
	v_lshlrev_b32_e32 v5, 29, v56
	v_cmp_gt_i64_e32 vcc, 0, v[4:5]
	v_not_b32_e32 v5, v5
	v_ashrrev_i32_e32 v5, 31, v5
	v_and_b32_e32 v199, v199, v200
	v_xor_b32_e32 v200, vcc_hi, v5
	v_xor_b32_e32 v5, vcc_lo, v5
	v_and_b32_e32 v57, v57, v5
	v_lshlrev_b32_e32 v5, 28, v56
	v_cmp_gt_i64_e32 vcc, 0, v[4:5]
	v_not_b32_e32 v5, v5
	v_ashrrev_i32_e32 v5, 31, v5
	v_and_b32_e32 v199, v199, v200
	;; [unrolled: 8-line block ×4, first 2 shown]
	v_xor_b32_e32 v200, vcc_hi, v5
	v_xor_b32_e32 v5, vcc_lo, v5
	v_and_b32_e32 v199, v199, v200
	v_and_b32_e32 v200, v57, v5
	v_lshlrev_b32_e32 v5, 25, v56
	v_cmp_gt_i64_e32 vcc, 0, v[4:5]
	v_not_b32_e32 v5, v5
	v_ashrrev_i32_e32 v5, 31, v5
	v_xor_b32_e32 v56, vcc_hi, v5
	v_xor_b32_e32 v5, vcc_lo, v5
	v_and_b32_e32 v57, v199, v56
	v_and_b32_e32 v56, v200, v5
	v_mbcnt_lo_u32_b32 v5, v56, 0
	v_mbcnt_hi_u32_b32 v199, v57, v5
	v_cmp_eq_u32_e32 vcc, 0, v199
	v_cmp_ne_u64_e64 s[40:41], 0, v[56:57]
	s_and_b64 s[42:43], s[40:41], vcc
	; wave barrier
	s_and_saveexec_b64 s[40:41], s[42:43]
	s_cbranch_execz .LBB1044_1104
; %bb.1103:                             ;   in Loop: Header=BB1044_1048 Depth=2
	v_bcnt_u32_b32 v5, v56, 0
	v_bcnt_u32_b32 v5, v57, v5
	s_waitcnt lgkmcnt(0)
	v_add_u32_e32 v5, v197, v5
	ds_write_b32 v198, v5
.LBB1044_1104:                          ;   in Loop: Header=BB1044_1048 Depth=2
	s_or_b64 exec, exec, s[40:41]
	s_waitcnt vmcnt(6)
	v_xor_b32_e32 v188, 0xffff8000, v188
	v_lshrrev_b32_sdwa v5, s89, v188 dst_sel:DWORD dst_unused:UNUSED_PAD src0_sel:DWORD src1_sel:WORD_0
	v_and_b32_e32 v56, s6, v5
	v_mul_u32_u24_e32 v5, 5, v56
	v_add_lshl_u32 v5, v5, v153, 2
	; wave barrier
	v_add_u32_e32 v201, 0x210, v5
	ds_read_b32 v200, v5 offset:528
	v_and_b32_e32 v5, 1, v56
	v_add_co_u32_e32 v57, vcc, -1, v5
	v_addc_co_u32_e64 v202, s[40:41], 0, -1, vcc
	v_cmp_ne_u32_e32 vcc, 0, v5
	v_xor_b32_e32 v5, vcc_hi, v202
	v_and_b32_e32 v202, exec_hi, v5
	v_lshlrev_b32_e32 v5, 30, v56
	v_xor_b32_e32 v57, vcc_lo, v57
	v_cmp_gt_i64_e32 vcc, 0, v[4:5]
	v_not_b32_e32 v5, v5
	v_ashrrev_i32_e32 v5, 31, v5
	v_and_b32_e32 v57, exec_lo, v57
	v_xor_b32_e32 v203, vcc_hi, v5
	v_xor_b32_e32 v5, vcc_lo, v5
	v_and_b32_e32 v57, v57, v5
	v_lshlrev_b32_e32 v5, 29, v56
	v_cmp_gt_i64_e32 vcc, 0, v[4:5]
	v_not_b32_e32 v5, v5
	v_ashrrev_i32_e32 v5, 31, v5
	v_and_b32_e32 v202, v202, v203
	v_xor_b32_e32 v203, vcc_hi, v5
	v_xor_b32_e32 v5, vcc_lo, v5
	v_and_b32_e32 v57, v57, v5
	v_lshlrev_b32_e32 v5, 28, v56
	v_cmp_gt_i64_e32 vcc, 0, v[4:5]
	v_not_b32_e32 v5, v5
	v_ashrrev_i32_e32 v5, 31, v5
	v_and_b32_e32 v202, v202, v203
	;; [unrolled: 8-line block ×4, first 2 shown]
	v_xor_b32_e32 v203, vcc_hi, v5
	v_xor_b32_e32 v5, vcc_lo, v5
	v_and_b32_e32 v202, v202, v203
	v_and_b32_e32 v203, v57, v5
	v_lshlrev_b32_e32 v5, 25, v56
	v_cmp_gt_i64_e32 vcc, 0, v[4:5]
	v_not_b32_e32 v5, v5
	v_ashrrev_i32_e32 v5, 31, v5
	v_xor_b32_e32 v56, vcc_hi, v5
	v_xor_b32_e32 v5, vcc_lo, v5
	v_and_b32_e32 v57, v202, v56
	v_and_b32_e32 v56, v203, v5
	v_mbcnt_lo_u32_b32 v5, v56, 0
	v_mbcnt_hi_u32_b32 v202, v57, v5
	v_cmp_eq_u32_e32 vcc, 0, v202
	v_cmp_ne_u64_e64 s[40:41], 0, v[56:57]
	s_and_b64 s[42:43], s[40:41], vcc
	; wave barrier
	s_and_saveexec_b64 s[40:41], s[42:43]
	s_cbranch_execz .LBB1044_1106
; %bb.1105:                             ;   in Loop: Header=BB1044_1048 Depth=2
	v_bcnt_u32_b32 v5, v56, 0
	v_bcnt_u32_b32 v5, v57, v5
	s_waitcnt lgkmcnt(0)
	v_add_u32_e32 v5, v200, v5
	ds_write_b32 v201, v5
.LBB1044_1106:                          ;   in Loop: Header=BB1044_1048 Depth=2
	s_or_b64 exec, exec, s[40:41]
	s_waitcnt vmcnt(5)
	v_xor_b32_e32 v184, 0xffff8000, v184
	v_lshrrev_b32_sdwa v5, s89, v184 dst_sel:DWORD dst_unused:UNUSED_PAD src0_sel:DWORD src1_sel:WORD_0
	v_and_b32_e32 v56, s6, v5
	v_mul_u32_u24_e32 v5, 5, v56
	v_add_lshl_u32 v5, v5, v153, 2
	; wave barrier
	v_add_u32_e32 v205, 0x210, v5
	ds_read_b32 v203, v5 offset:528
	v_and_b32_e32 v5, 1, v56
	v_add_co_u32_e32 v57, vcc, -1, v5
	v_addc_co_u32_e64 v204, s[40:41], 0, -1, vcc
	v_cmp_ne_u32_e32 vcc, 0, v5
	v_xor_b32_e32 v5, vcc_hi, v204
	v_and_b32_e32 v204, exec_hi, v5
	v_lshlrev_b32_e32 v5, 30, v56
	v_xor_b32_e32 v57, vcc_lo, v57
	v_cmp_gt_i64_e32 vcc, 0, v[4:5]
	v_not_b32_e32 v5, v5
	v_ashrrev_i32_e32 v5, 31, v5
	v_and_b32_e32 v57, exec_lo, v57
	v_xor_b32_e32 v206, vcc_hi, v5
	v_xor_b32_e32 v5, vcc_lo, v5
	v_and_b32_e32 v57, v57, v5
	v_lshlrev_b32_e32 v5, 29, v56
	v_cmp_gt_i64_e32 vcc, 0, v[4:5]
	v_not_b32_e32 v5, v5
	v_ashrrev_i32_e32 v5, 31, v5
	v_and_b32_e32 v204, v204, v206
	v_xor_b32_e32 v206, vcc_hi, v5
	v_xor_b32_e32 v5, vcc_lo, v5
	v_and_b32_e32 v57, v57, v5
	v_lshlrev_b32_e32 v5, 28, v56
	v_cmp_gt_i64_e32 vcc, 0, v[4:5]
	v_not_b32_e32 v5, v5
	v_ashrrev_i32_e32 v5, 31, v5
	v_and_b32_e32 v204, v204, v206
	;; [unrolled: 8-line block ×4, first 2 shown]
	v_xor_b32_e32 v206, vcc_hi, v5
	v_xor_b32_e32 v5, vcc_lo, v5
	v_and_b32_e32 v204, v204, v206
	v_and_b32_e32 v206, v57, v5
	v_lshlrev_b32_e32 v5, 25, v56
	v_cmp_gt_i64_e32 vcc, 0, v[4:5]
	v_not_b32_e32 v5, v5
	v_ashrrev_i32_e32 v5, 31, v5
	v_xor_b32_e32 v56, vcc_hi, v5
	v_xor_b32_e32 v5, vcc_lo, v5
	v_and_b32_e32 v57, v204, v56
	v_and_b32_e32 v56, v206, v5
	v_mbcnt_lo_u32_b32 v5, v56, 0
	v_mbcnt_hi_u32_b32 v206, v57, v5
	v_cmp_eq_u32_e32 vcc, 0, v206
	v_cmp_ne_u64_e64 s[40:41], 0, v[56:57]
	s_and_b64 s[42:43], s[40:41], vcc
	; wave barrier
	s_and_saveexec_b64 s[40:41], s[42:43]
	s_cbranch_execz .LBB1044_1108
; %bb.1107:                             ;   in Loop: Header=BB1044_1048 Depth=2
	v_bcnt_u32_b32 v5, v56, 0
	v_bcnt_u32_b32 v5, v57, v5
	s_waitcnt lgkmcnt(0)
	v_add_u32_e32 v5, v203, v5
	ds_write_b32 v205, v5
.LBB1044_1108:                          ;   in Loop: Header=BB1044_1048 Depth=2
	s_or_b64 exec, exec, s[40:41]
	s_waitcnt vmcnt(4)
	v_xor_b32_e32 v204, 0xffff8000, v179
	v_lshrrev_b32_sdwa v5, s89, v204 dst_sel:DWORD dst_unused:UNUSED_PAD src0_sel:DWORD src1_sel:WORD_0
	v_and_b32_e32 v56, s6, v5
	v_mul_u32_u24_e32 v5, 5, v56
	v_add_lshl_u32 v5, v5, v153, 2
	; wave barrier
	v_add_u32_e32 v179, 0x210, v5
	ds_read_b32 v207, v5 offset:528
	v_and_b32_e32 v5, 1, v56
	v_add_co_u32_e32 v57, vcc, -1, v5
	v_addc_co_u32_e64 v208, s[40:41], 0, -1, vcc
	v_cmp_ne_u32_e32 vcc, 0, v5
	v_xor_b32_e32 v5, vcc_hi, v208
	v_and_b32_e32 v208, exec_hi, v5
	v_lshlrev_b32_e32 v5, 30, v56
	v_xor_b32_e32 v57, vcc_lo, v57
	v_cmp_gt_i64_e32 vcc, 0, v[4:5]
	v_not_b32_e32 v5, v5
	v_ashrrev_i32_e32 v5, 31, v5
	v_and_b32_e32 v57, exec_lo, v57
	v_xor_b32_e32 v209, vcc_hi, v5
	v_xor_b32_e32 v5, vcc_lo, v5
	v_and_b32_e32 v57, v57, v5
	v_lshlrev_b32_e32 v5, 29, v56
	v_cmp_gt_i64_e32 vcc, 0, v[4:5]
	v_not_b32_e32 v5, v5
	v_ashrrev_i32_e32 v5, 31, v5
	v_and_b32_e32 v208, v208, v209
	v_xor_b32_e32 v209, vcc_hi, v5
	v_xor_b32_e32 v5, vcc_lo, v5
	v_and_b32_e32 v57, v57, v5
	v_lshlrev_b32_e32 v5, 28, v56
	v_cmp_gt_i64_e32 vcc, 0, v[4:5]
	v_not_b32_e32 v5, v5
	v_ashrrev_i32_e32 v5, 31, v5
	v_and_b32_e32 v208, v208, v209
	;; [unrolled: 8-line block ×4, first 2 shown]
	v_xor_b32_e32 v209, vcc_hi, v5
	v_xor_b32_e32 v5, vcc_lo, v5
	v_and_b32_e32 v208, v208, v209
	v_and_b32_e32 v209, v57, v5
	v_lshlrev_b32_e32 v5, 25, v56
	v_cmp_gt_i64_e32 vcc, 0, v[4:5]
	v_not_b32_e32 v5, v5
	v_ashrrev_i32_e32 v5, 31, v5
	v_xor_b32_e32 v56, vcc_hi, v5
	v_xor_b32_e32 v5, vcc_lo, v5
	v_and_b32_e32 v57, v208, v56
	v_and_b32_e32 v56, v209, v5
	v_mbcnt_lo_u32_b32 v5, v56, 0
	v_mbcnt_hi_u32_b32 v209, v57, v5
	v_cmp_eq_u32_e32 vcc, 0, v209
	v_cmp_ne_u64_e64 s[40:41], 0, v[56:57]
	s_and_b64 s[42:43], s[40:41], vcc
	; wave barrier
	s_and_saveexec_b64 s[40:41], s[42:43]
	s_cbranch_execz .LBB1044_1110
; %bb.1109:                             ;   in Loop: Header=BB1044_1048 Depth=2
	v_bcnt_u32_b32 v5, v56, 0
	v_bcnt_u32_b32 v5, v57, v5
	s_waitcnt lgkmcnt(0)
	v_add_u32_e32 v5, v207, v5
	ds_write_b32 v179, v5
.LBB1044_1110:                          ;   in Loop: Header=BB1044_1048 Depth=2
	s_or_b64 exec, exec, s[40:41]
	s_waitcnt vmcnt(3)
	v_xor_b32_e32 v208, 0xffff8000, v174
	v_lshrrev_b32_sdwa v5, s89, v208 dst_sel:DWORD dst_unused:UNUSED_PAD src0_sel:DWORD src1_sel:WORD_0
	v_and_b32_e32 v56, s6, v5
	v_mul_u32_u24_e32 v5, 5, v56
	v_add_lshl_u32 v5, v5, v153, 2
	; wave barrier
	v_add_u32_e32 v174, 0x210, v5
	ds_read_b32 v210, v5 offset:528
	v_and_b32_e32 v5, 1, v56
	v_add_co_u32_e32 v57, vcc, -1, v5
	v_addc_co_u32_e64 v211, s[40:41], 0, -1, vcc
	v_cmp_ne_u32_e32 vcc, 0, v5
	v_xor_b32_e32 v5, vcc_hi, v211
	v_and_b32_e32 v211, exec_hi, v5
	v_lshlrev_b32_e32 v5, 30, v56
	v_xor_b32_e32 v57, vcc_lo, v57
	v_cmp_gt_i64_e32 vcc, 0, v[4:5]
	v_not_b32_e32 v5, v5
	v_ashrrev_i32_e32 v5, 31, v5
	v_and_b32_e32 v57, exec_lo, v57
	v_xor_b32_e32 v212, vcc_hi, v5
	v_xor_b32_e32 v5, vcc_lo, v5
	v_and_b32_e32 v57, v57, v5
	v_lshlrev_b32_e32 v5, 29, v56
	v_cmp_gt_i64_e32 vcc, 0, v[4:5]
	v_not_b32_e32 v5, v5
	v_ashrrev_i32_e32 v5, 31, v5
	v_and_b32_e32 v211, v211, v212
	v_xor_b32_e32 v212, vcc_hi, v5
	v_xor_b32_e32 v5, vcc_lo, v5
	v_and_b32_e32 v57, v57, v5
	v_lshlrev_b32_e32 v5, 28, v56
	v_cmp_gt_i64_e32 vcc, 0, v[4:5]
	v_not_b32_e32 v5, v5
	v_ashrrev_i32_e32 v5, 31, v5
	v_and_b32_e32 v211, v211, v212
	;; [unrolled: 8-line block ×4, first 2 shown]
	v_xor_b32_e32 v212, vcc_hi, v5
	v_xor_b32_e32 v5, vcc_lo, v5
	v_and_b32_e32 v211, v211, v212
	v_and_b32_e32 v212, v57, v5
	v_lshlrev_b32_e32 v5, 25, v56
	v_cmp_gt_i64_e32 vcc, 0, v[4:5]
	v_not_b32_e32 v5, v5
	v_ashrrev_i32_e32 v5, 31, v5
	v_xor_b32_e32 v56, vcc_hi, v5
	v_xor_b32_e32 v5, vcc_lo, v5
	v_and_b32_e32 v57, v211, v56
	v_and_b32_e32 v56, v212, v5
	v_mbcnt_lo_u32_b32 v5, v56, 0
	v_mbcnt_hi_u32_b32 v212, v57, v5
	v_cmp_eq_u32_e32 vcc, 0, v212
	v_cmp_ne_u64_e64 s[40:41], 0, v[56:57]
	s_and_b64 s[42:43], s[40:41], vcc
	; wave barrier
	s_and_saveexec_b64 s[40:41], s[42:43]
	s_cbranch_execz .LBB1044_1112
; %bb.1111:                             ;   in Loop: Header=BB1044_1048 Depth=2
	v_bcnt_u32_b32 v5, v56, 0
	v_bcnt_u32_b32 v5, v57, v5
	s_waitcnt lgkmcnt(0)
	v_add_u32_e32 v5, v210, v5
	ds_write_b32 v174, v5
.LBB1044_1112:                          ;   in Loop: Header=BB1044_1048 Depth=2
	s_or_b64 exec, exec, s[40:41]
	s_waitcnt vmcnt(2)
	v_xor_b32_e32 v211, 0xffff8000, v169
	v_lshrrev_b32_sdwa v5, s89, v211 dst_sel:DWORD dst_unused:UNUSED_PAD src0_sel:DWORD src1_sel:WORD_0
	v_and_b32_e32 v56, s6, v5
	v_mul_u32_u24_e32 v5, 5, v56
	v_add_lshl_u32 v5, v5, v153, 2
	; wave barrier
	v_add_u32_e32 v169, 0x210, v5
	ds_read_b32 v213, v5 offset:528
	v_and_b32_e32 v5, 1, v56
	v_add_co_u32_e32 v57, vcc, -1, v5
	v_addc_co_u32_e64 v214, s[40:41], 0, -1, vcc
	v_cmp_ne_u32_e32 vcc, 0, v5
	v_xor_b32_e32 v5, vcc_hi, v214
	v_and_b32_e32 v214, exec_hi, v5
	v_lshlrev_b32_e32 v5, 30, v56
	v_xor_b32_e32 v57, vcc_lo, v57
	v_cmp_gt_i64_e32 vcc, 0, v[4:5]
	v_not_b32_e32 v5, v5
	v_ashrrev_i32_e32 v5, 31, v5
	v_and_b32_e32 v57, exec_lo, v57
	v_xor_b32_e32 v215, vcc_hi, v5
	v_xor_b32_e32 v5, vcc_lo, v5
	v_and_b32_e32 v57, v57, v5
	v_lshlrev_b32_e32 v5, 29, v56
	v_cmp_gt_i64_e32 vcc, 0, v[4:5]
	v_not_b32_e32 v5, v5
	v_ashrrev_i32_e32 v5, 31, v5
	v_and_b32_e32 v214, v214, v215
	v_xor_b32_e32 v215, vcc_hi, v5
	v_xor_b32_e32 v5, vcc_lo, v5
	v_and_b32_e32 v57, v57, v5
	v_lshlrev_b32_e32 v5, 28, v56
	v_cmp_gt_i64_e32 vcc, 0, v[4:5]
	v_not_b32_e32 v5, v5
	v_ashrrev_i32_e32 v5, 31, v5
	v_and_b32_e32 v214, v214, v215
	;; [unrolled: 8-line block ×4, first 2 shown]
	v_xor_b32_e32 v215, vcc_hi, v5
	v_xor_b32_e32 v5, vcc_lo, v5
	v_and_b32_e32 v214, v214, v215
	v_and_b32_e32 v215, v57, v5
	v_lshlrev_b32_e32 v5, 25, v56
	v_cmp_gt_i64_e32 vcc, 0, v[4:5]
	v_not_b32_e32 v5, v5
	v_ashrrev_i32_e32 v5, 31, v5
	v_xor_b32_e32 v56, vcc_hi, v5
	v_xor_b32_e32 v5, vcc_lo, v5
	v_and_b32_e32 v57, v214, v56
	v_and_b32_e32 v56, v215, v5
	v_mbcnt_lo_u32_b32 v5, v56, 0
	v_mbcnt_hi_u32_b32 v215, v57, v5
	v_cmp_eq_u32_e32 vcc, 0, v215
	v_cmp_ne_u64_e64 s[40:41], 0, v[56:57]
	s_and_b64 s[42:43], s[40:41], vcc
	; wave barrier
	s_and_saveexec_b64 s[40:41], s[42:43]
	s_cbranch_execz .LBB1044_1114
; %bb.1113:                             ;   in Loop: Header=BB1044_1048 Depth=2
	v_bcnt_u32_b32 v5, v56, 0
	v_bcnt_u32_b32 v5, v57, v5
	s_waitcnt lgkmcnt(0)
	v_add_u32_e32 v5, v213, v5
	ds_write_b32 v169, v5
.LBB1044_1114:                          ;   in Loop: Header=BB1044_1048 Depth=2
	s_or_b64 exec, exec, s[40:41]
	s_waitcnt vmcnt(0)
	v_xor_b32_e32 v214, 0xffff8000, v164
	v_lshrrev_b32_sdwa v5, s89, v214 dst_sel:DWORD dst_unused:UNUSED_PAD src0_sel:DWORD src1_sel:WORD_0
	v_and_b32_e32 v56, s6, v5
	v_mul_u32_u24_e32 v5, 5, v56
	v_add_lshl_u32 v5, v5, v153, 2
	; wave barrier
	v_add_u32_e32 v164, 0x210, v5
	ds_read_b32 v216, v5 offset:528
	v_and_b32_e32 v5, 1, v56
	v_add_co_u32_e32 v57, vcc, -1, v5
	v_addc_co_u32_e64 v217, s[40:41], 0, -1, vcc
	v_cmp_ne_u32_e32 vcc, 0, v5
	v_xor_b32_e32 v5, vcc_hi, v217
	v_and_b32_e32 v217, exec_hi, v5
	v_lshlrev_b32_e32 v5, 30, v56
	v_xor_b32_e32 v57, vcc_lo, v57
	v_cmp_gt_i64_e32 vcc, 0, v[4:5]
	v_not_b32_e32 v5, v5
	v_ashrrev_i32_e32 v5, 31, v5
	v_and_b32_e32 v57, exec_lo, v57
	v_xor_b32_e32 v218, vcc_hi, v5
	v_xor_b32_e32 v5, vcc_lo, v5
	v_and_b32_e32 v57, v57, v5
	v_lshlrev_b32_e32 v5, 29, v56
	v_cmp_gt_i64_e32 vcc, 0, v[4:5]
	v_not_b32_e32 v5, v5
	v_ashrrev_i32_e32 v5, 31, v5
	v_and_b32_e32 v217, v217, v218
	v_xor_b32_e32 v218, vcc_hi, v5
	v_xor_b32_e32 v5, vcc_lo, v5
	v_and_b32_e32 v57, v57, v5
	v_lshlrev_b32_e32 v5, 28, v56
	v_cmp_gt_i64_e32 vcc, 0, v[4:5]
	v_not_b32_e32 v5, v5
	v_ashrrev_i32_e32 v5, 31, v5
	v_and_b32_e32 v217, v217, v218
	;; [unrolled: 8-line block ×4, first 2 shown]
	v_xor_b32_e32 v218, vcc_hi, v5
	v_xor_b32_e32 v5, vcc_lo, v5
	v_and_b32_e32 v217, v217, v218
	v_and_b32_e32 v218, v57, v5
	v_lshlrev_b32_e32 v5, 25, v56
	v_cmp_gt_i64_e32 vcc, 0, v[4:5]
	v_not_b32_e32 v5, v5
	v_ashrrev_i32_e32 v5, 31, v5
	v_xor_b32_e32 v56, vcc_hi, v5
	v_xor_b32_e32 v5, vcc_lo, v5
	v_and_b32_e32 v57, v217, v56
	v_and_b32_e32 v56, v218, v5
	v_mbcnt_lo_u32_b32 v5, v56, 0
	v_mbcnt_hi_u32_b32 v218, v57, v5
	v_cmp_eq_u32_e32 vcc, 0, v218
	v_cmp_ne_u64_e64 s[40:41], 0, v[56:57]
	s_and_b64 s[42:43], s[40:41], vcc
	; wave barrier
	s_and_saveexec_b64 s[40:41], s[42:43]
	s_cbranch_execz .LBB1044_1116
; %bb.1115:                             ;   in Loop: Header=BB1044_1048 Depth=2
	v_bcnt_u32_b32 v5, v56, 0
	v_bcnt_u32_b32 v5, v57, v5
	s_waitcnt lgkmcnt(0)
	v_add_u32_e32 v5, v216, v5
	ds_write_b32 v164, v5
.LBB1044_1116:                          ;   in Loop: Header=BB1044_1048 Depth=2
	s_or_b64 exec, exec, s[40:41]
	v_xor_b32_e32 v217, 0xffff8000, v159
	v_lshrrev_b32_sdwa v5, s89, v217 dst_sel:DWORD dst_unused:UNUSED_PAD src0_sel:DWORD src1_sel:WORD_0
	v_and_b32_e32 v56, s6, v5
	v_mul_u32_u24_e32 v5, 5, v56
	v_add_lshl_u32 v5, v5, v153, 2
	; wave barrier
	v_add_u32_e32 v159, 0x210, v5
	ds_read_b32 v219, v5 offset:528
	v_and_b32_e32 v5, 1, v56
	v_add_co_u32_e32 v57, vcc, -1, v5
	v_addc_co_u32_e64 v220, s[40:41], 0, -1, vcc
	v_cmp_ne_u32_e32 vcc, 0, v5
	v_xor_b32_e32 v5, vcc_hi, v220
	v_and_b32_e32 v220, exec_hi, v5
	v_lshlrev_b32_e32 v5, 30, v56
	v_xor_b32_e32 v57, vcc_lo, v57
	v_cmp_gt_i64_e32 vcc, 0, v[4:5]
	v_not_b32_e32 v5, v5
	v_ashrrev_i32_e32 v5, 31, v5
	v_and_b32_e32 v57, exec_lo, v57
	v_xor_b32_e32 v221, vcc_hi, v5
	v_xor_b32_e32 v5, vcc_lo, v5
	v_and_b32_e32 v57, v57, v5
	v_lshlrev_b32_e32 v5, 29, v56
	v_cmp_gt_i64_e32 vcc, 0, v[4:5]
	v_not_b32_e32 v5, v5
	v_ashrrev_i32_e32 v5, 31, v5
	v_and_b32_e32 v220, v220, v221
	v_xor_b32_e32 v221, vcc_hi, v5
	v_xor_b32_e32 v5, vcc_lo, v5
	v_and_b32_e32 v57, v57, v5
	v_lshlrev_b32_e32 v5, 28, v56
	v_cmp_gt_i64_e32 vcc, 0, v[4:5]
	v_not_b32_e32 v5, v5
	v_ashrrev_i32_e32 v5, 31, v5
	v_and_b32_e32 v220, v220, v221
	;; [unrolled: 8-line block ×4, first 2 shown]
	v_xor_b32_e32 v221, vcc_hi, v5
	v_xor_b32_e32 v5, vcc_lo, v5
	v_and_b32_e32 v220, v220, v221
	v_and_b32_e32 v221, v57, v5
	v_lshlrev_b32_e32 v5, 25, v56
	v_cmp_gt_i64_e32 vcc, 0, v[4:5]
	v_not_b32_e32 v5, v5
	v_ashrrev_i32_e32 v5, 31, v5
	v_xor_b32_e32 v56, vcc_hi, v5
	v_xor_b32_e32 v5, vcc_lo, v5
	v_and_b32_e32 v57, v220, v56
	v_and_b32_e32 v56, v221, v5
	v_mbcnt_lo_u32_b32 v5, v56, 0
	v_mbcnt_hi_u32_b32 v221, v57, v5
	v_cmp_eq_u32_e32 vcc, 0, v221
	v_cmp_ne_u64_e64 s[40:41], 0, v[56:57]
	s_and_b64 s[42:43], s[40:41], vcc
	; wave barrier
	s_and_saveexec_b64 s[40:41], s[42:43]
	s_cbranch_execz .LBB1044_1118
; %bb.1117:                             ;   in Loop: Header=BB1044_1048 Depth=2
	v_bcnt_u32_b32 v5, v56, 0
	v_bcnt_u32_b32 v5, v57, v5
	s_waitcnt lgkmcnt(0)
	v_add_u32_e32 v5, v219, v5
	ds_write_b32 v159, v5
.LBB1044_1118:                          ;   in Loop: Header=BB1044_1048 Depth=2
	s_or_b64 exec, exec, s[40:41]
	v_xor_b32_e32 v220, 0xffff8000, v166
	v_lshrrev_b32_sdwa v5, s89, v220 dst_sel:DWORD dst_unused:UNUSED_PAD src0_sel:DWORD src1_sel:WORD_0
	v_and_b32_e32 v56, s6, v5
	v_mul_u32_u24_e32 v5, 5, v56
	v_add_lshl_u32 v5, v5, v153, 2
	; wave barrier
	v_add_u32_e32 v166, 0x210, v5
	ds_read_b32 v222, v5 offset:528
	v_and_b32_e32 v5, 1, v56
	v_add_co_u32_e32 v57, vcc, -1, v5
	v_addc_co_u32_e64 v223, s[40:41], 0, -1, vcc
	v_cmp_ne_u32_e32 vcc, 0, v5
	v_xor_b32_e32 v5, vcc_hi, v223
	v_and_b32_e32 v223, exec_hi, v5
	v_lshlrev_b32_e32 v5, 30, v56
	v_xor_b32_e32 v57, vcc_lo, v57
	v_cmp_gt_i64_e32 vcc, 0, v[4:5]
	v_not_b32_e32 v5, v5
	v_ashrrev_i32_e32 v5, 31, v5
	v_and_b32_e32 v57, exec_lo, v57
	v_xor_b32_e32 v224, vcc_hi, v5
	v_xor_b32_e32 v5, vcc_lo, v5
	v_and_b32_e32 v57, v57, v5
	v_lshlrev_b32_e32 v5, 29, v56
	v_cmp_gt_i64_e32 vcc, 0, v[4:5]
	v_not_b32_e32 v5, v5
	v_ashrrev_i32_e32 v5, 31, v5
	v_and_b32_e32 v223, v223, v224
	v_xor_b32_e32 v224, vcc_hi, v5
	v_xor_b32_e32 v5, vcc_lo, v5
	v_and_b32_e32 v57, v57, v5
	v_lshlrev_b32_e32 v5, 28, v56
	v_cmp_gt_i64_e32 vcc, 0, v[4:5]
	v_not_b32_e32 v5, v5
	v_ashrrev_i32_e32 v5, 31, v5
	v_and_b32_e32 v223, v223, v224
	;; [unrolled: 8-line block ×4, first 2 shown]
	v_xor_b32_e32 v224, vcc_hi, v5
	v_xor_b32_e32 v5, vcc_lo, v5
	v_and_b32_e32 v223, v223, v224
	v_and_b32_e32 v224, v57, v5
	v_lshlrev_b32_e32 v5, 25, v56
	v_cmp_gt_i64_e32 vcc, 0, v[4:5]
	v_not_b32_e32 v5, v5
	v_ashrrev_i32_e32 v5, 31, v5
	v_xor_b32_e32 v56, vcc_hi, v5
	v_xor_b32_e32 v5, vcc_lo, v5
	v_and_b32_e32 v57, v223, v56
	v_and_b32_e32 v56, v224, v5
	v_mbcnt_lo_u32_b32 v5, v56, 0
	v_mbcnt_hi_u32_b32 v5, v57, v5
	v_cmp_eq_u32_e32 vcc, 0, v5
	v_cmp_ne_u64_e64 s[40:41], 0, v[56:57]
	s_and_b64 s[42:43], s[40:41], vcc
	; wave barrier
	s_and_saveexec_b64 s[40:41], s[42:43]
	s_cbranch_execz .LBB1044_1120
; %bb.1119:                             ;   in Loop: Header=BB1044_1048 Depth=2
	v_bcnt_u32_b32 v56, v56, 0
	v_bcnt_u32_b32 v56, v57, v56
	s_waitcnt lgkmcnt(0)
	v_add_u32_e32 v56, v222, v56
	ds_write_b32 v166, v56
.LBB1044_1120:                          ;   in Loop: Header=BB1044_1048 Depth=2
	s_or_b64 exec, exec, s[40:41]
	; wave barrier
	s_waitcnt lgkmcnt(0)
	s_barrier
	ds_read_b32 v223, v58 offset:528
	ds_read2_b32 v[56:57], v67 offset0:1 offset1:2
	s_waitcnt lgkmcnt(0)
	v_add3_u32 v57, v56, v223, v57
	s_nop 1
	v_mov_b32_dpp v224, v57 row_shr:1 row_mask:0xf bank_mask:0xf
	v_cndmask_b32_e64 v224, v224, 0, s[20:21]
	v_add_u32_e32 v57, v224, v57
	s_nop 1
	v_mov_b32_dpp v224, v57 row_shr:2 row_mask:0xf bank_mask:0xf
	v_cndmask_b32_e64 v224, 0, v224, s[22:23]
	v_add_u32_e32 v57, v57, v224
	;; [unrolled: 4-line block ×4, first 2 shown]
	s_nop 1
	v_mov_b32_dpp v224, v57 row_bcast:15 row_mask:0xf bank_mask:0xf
	v_cndmask_b32_e64 v224, v224, 0, s[28:29]
	v_add_u32_e32 v57, v57, v224
	s_nop 1
	v_mov_b32_dpp v224, v57 row_bcast:31 row_mask:0xf bank_mask:0xf
	v_cndmask_b32_e64 v224, 0, v224, s[30:31]
	v_add_u32_e32 v57, v57, v224
	s_and_saveexec_b64 s[40:41], s[12:13]
	s_cbranch_execz .LBB1044_1122
; %bb.1121:                             ;   in Loop: Header=BB1044_1048 Depth=2
	ds_write_b32 v60, v57 offset:512
.LBB1044_1122:                          ;   in Loop: Header=BB1044_1048 Depth=2
	s_or_b64 exec, exec, s[40:41]
	s_waitcnt lgkmcnt(0)
	s_barrier
	s_and_saveexec_b64 s[40:41], s[14:15]
	s_cbranch_execz .LBB1044_1124
; %bb.1123:                             ;   in Loop: Header=BB1044_1048 Depth=2
	ds_read_b32 v224, v69 offset:512
	s_waitcnt lgkmcnt(0)
	s_nop 0
	v_mov_b32_dpp v225, v224 row_shr:1 row_mask:0xf bank_mask:0xf
	v_cndmask_b32_e64 v225, v225, 0, s[36:37]
	v_add_u32_e32 v224, v225, v224
	s_nop 1
	v_mov_b32_dpp v225, v224 row_shr:2 row_mask:0xf bank_mask:0xf
	v_cndmask_b32_e64 v225, 0, v225, s[38:39]
	v_add_u32_e32 v224, v224, v225
	ds_write_b32 v69, v224 offset:512
.LBB1044_1124:                          ;   in Loop: Header=BB1044_1048 Depth=2
	s_or_b64 exec, exec, s[40:41]
	v_mov_b32_e32 v224, 0
	s_waitcnt lgkmcnt(0)
	s_barrier
	s_and_saveexec_b64 s[40:41], s[10:11]
	s_cbranch_execz .LBB1044_1126
; %bb.1125:                             ;   in Loop: Header=BB1044_1048 Depth=2
	ds_read_b32 v224, v60 offset:508
.LBB1044_1126:                          ;   in Loop: Header=BB1044_1048 Depth=2
	s_or_b64 exec, exec, s[40:41]
	s_waitcnt lgkmcnt(0)
	v_add_u32_e32 v57, v224, v57
	ds_bpermute_b32 v57, v129, v57
	s_waitcnt lgkmcnt(0)
	v_cndmask_b32_e64 v57, v57, v224, s[34:35]
	v_cndmask_b32_e64 v57, v57, 0, s[16:17]
	v_add_u32_e32 v223, v57, v223
	v_add_u32_e32 v56, v223, v56
	ds_write_b32 v58, v57 offset:528
	ds_write2_b32 v67, v223, v56 offset0:1 offset1:2
	s_waitcnt lgkmcnt(0)
	s_barrier
	ds_read_b32 v56, v158
	ds_read_b32 v57, v163
	;; [unrolled: 1-line block ×17, first 2 shown]
	s_and_saveexec_b64 s[40:41], s[4:5]
	s_cbranch_execz .LBB1044_1130
; %bb.1127:                             ;   in Loop: Header=BB1044_1048 Depth=2
	ds_read_b32 v154, v70 offset:528
	v_mov_b32_e32 v155, 0x1100
	s_and_saveexec_b64 s[42:43], s[18:19]
	s_cbranch_execz .LBB1044_1129
; %bb.1128:                             ;   in Loop: Header=BB1044_1048 Depth=2
	ds_read_b32 v155, v70 offset:548
.LBB1044_1129:                          ;   in Loop: Header=BB1044_1048 Depth=2
	s_or_b64 exec, exec, s[42:43]
	s_waitcnt lgkmcnt(0)
	v_sub_u32_e32 v155, v155, v154
.LBB1044_1130:                          ;   in Loop: Header=BB1044_1048 Depth=2
	s_or_b64 exec, exec, s[40:41]
	s_waitcnt lgkmcnt(0)
	s_barrier
	s_and_saveexec_b64 s[40:41], s[4:5]
	s_cbranch_execz .LBB1044_1132
; %bb.1131:                             ;   in Loop: Header=BB1044_1048 Depth=2
	ds_read_b32 v159, v3
	s_waitcnt lgkmcnt(0)
	v_sub_u32_e32 v159, v159, v154
	ds_write_b32 v3, v159
.LBB1044_1132:                          ;   in Loop: Header=BB1044_1048 Depth=2
	s_or_b64 exec, exec, s[40:41]
	v_add_u32_e32 v179, v56, v161
	v_add3_u32 v175, v167, v162, v57
	v_lshlrev_b32_e32 v56, 1, v179
	v_add3_u32 v174, v172, v168, v158
	ds_write_b16 v56, v157 offset:512
	v_lshlrev_b32_e32 v56, 1, v175
	v_add3_u32 v173, v177, v173, v163
	ds_write_b16 v56, v160 offset:512
	;; [unrolled: 3-line block ×15, first 2 shown]
	v_lshlrev_b32_e32 v56, 1, v158
	ds_write_b16 v56, v217 offset:512
	v_lshlrev_b32_e32 v56, 1, v5
	v_cmp_lt_u32_e64 s[40:41], v2, v156
	v_add_u32_e32 v157, v70, v75
	ds_write_b16 v56, v220 offset:512
	s_waitcnt lgkmcnt(0)
	s_barrier
	s_and_saveexec_b64 s[42:43], s[40:41]
	s_cbranch_execz .LBB1044_1184
; %bb.1133:                             ;   in Loop: Header=BB1044_1048 Depth=2
	ds_read_u16 v56, v157 offset:512
	v_mov_b32_e32 v165, s81
	s_waitcnt lgkmcnt(0)
	v_lshrrev_b32_sdwa v57, s89, v56 dst_sel:DWORD dst_unused:UNUSED_PAD src0_sel:DWORD src1_sel:WORD_0
	v_and_b32_e32 v57, s6, v57
	v_lshlrev_b32_e32 v57, 2, v57
	ds_read_b32 v160, v57
	v_mov_b32_e32 v57, v4
	v_xor_b32_e32 v171, 0xffff8000, v56
	s_waitcnt lgkmcnt(0)
	v_add_u32_e32 v56, v160, v2
	v_lshlrev_b64 v[56:57], 1, v[56:57]
	v_add_co_u32_e32 v56, vcc, s80, v56
	v_addc_co_u32_e32 v57, vcc, v165, v57, vcc
	global_store_short v[56:57], v171, off
	s_or_b64 exec, exec, s[42:43]
	v_cmp_lt_u32_e64 s[42:43], v7, v156
	s_and_saveexec_b64 s[44:45], s[42:43]
	s_cbranch_execnz .LBB1044_1185
.LBB1044_1134:                          ;   in Loop: Header=BB1044_1048 Depth=2
	s_or_b64 exec, exec, s[44:45]
	v_cmp_lt_u32_e64 s[44:45], v13, v156
	s_and_saveexec_b64 s[46:47], s[44:45]
	s_cbranch_execz .LBB1044_1186
.LBB1044_1135:                          ;   in Loop: Header=BB1044_1048 Depth=2
	ds_read_u16 v56, v76 offset:1024
	v_mov_b32_e32 v165, s81
	s_waitcnt lgkmcnt(0)
	v_lshrrev_b32_sdwa v57, s89, v56 dst_sel:DWORD dst_unused:UNUSED_PAD src0_sel:DWORD src1_sel:WORD_0
	v_and_b32_e32 v57, s6, v57
	v_lshlrev_b32_e32 v57, 2, v57
	ds_read_b32 v160, v57
	v_mov_b32_e32 v57, v4
	v_xor_b32_e32 v171, 0xffff8000, v56
	s_waitcnt lgkmcnt(0)
	v_add_u32_e32 v56, v160, v13
	v_lshlrev_b64 v[56:57], 1, v[56:57]
	v_add_co_u32_e32 v56, vcc, s80, v56
	v_addc_co_u32_e32 v57, vcc, v165, v57, vcc
	global_store_short v[56:57], v171, off
	s_or_b64 exec, exec, s[46:47]
	v_cmp_lt_u32_e64 s[46:47], v15, v156
	s_and_saveexec_b64 s[48:49], s[46:47]
	s_cbranch_execnz .LBB1044_1187
.LBB1044_1136:                          ;   in Loop: Header=BB1044_1048 Depth=2
	s_or_b64 exec, exec, s[48:49]
	v_cmp_lt_u32_e64 s[48:49], v17, v156
	s_and_saveexec_b64 s[50:51], s[48:49]
	s_cbranch_execz .LBB1044_1188
.LBB1044_1137:                          ;   in Loop: Header=BB1044_1048 Depth=2
	ds_read_u16 v56, v76 offset:2048
	v_mov_b32_e32 v165, s81
	s_waitcnt lgkmcnt(0)
	v_lshrrev_b32_sdwa v57, s89, v56 dst_sel:DWORD dst_unused:UNUSED_PAD src0_sel:DWORD src1_sel:WORD_0
	v_and_b32_e32 v57, s6, v57
	v_lshlrev_b32_e32 v57, 2, v57
	ds_read_b32 v160, v57
	v_mov_b32_e32 v57, v4
	v_xor_b32_e32 v171, 0xffff8000, v56
	s_waitcnt lgkmcnt(0)
	v_add_u32_e32 v56, v160, v17
	v_lshlrev_b64 v[56:57], 1, v[56:57]
	v_add_co_u32_e32 v56, vcc, s80, v56
	v_addc_co_u32_e32 v57, vcc, v165, v57, vcc
	global_store_short v[56:57], v171, off
	s_or_b64 exec, exec, s[50:51]
	v_cmp_lt_u32_e64 s[50:51], v19, v156
	s_and_saveexec_b64 s[52:53], s[50:51]
	s_cbranch_execnz .LBB1044_1189
.LBB1044_1138:                          ;   in Loop: Header=BB1044_1048 Depth=2
	s_or_b64 exec, exec, s[52:53]
	v_cmp_lt_u32_e64 s[52:53], v21, v156
	s_and_saveexec_b64 s[54:55], s[52:53]
	s_cbranch_execz .LBB1044_1190
.LBB1044_1139:                          ;   in Loop: Header=BB1044_1048 Depth=2
	ds_read_u16 v56, v76 offset:3072
	v_mov_b32_e32 v165, s81
	s_waitcnt lgkmcnt(0)
	v_lshrrev_b32_sdwa v57, s89, v56 dst_sel:DWORD dst_unused:UNUSED_PAD src0_sel:DWORD src1_sel:WORD_0
	v_and_b32_e32 v57, s6, v57
	v_lshlrev_b32_e32 v57, 2, v57
	ds_read_b32 v160, v57
	v_mov_b32_e32 v57, v4
	v_xor_b32_e32 v171, 0xffff8000, v56
	s_waitcnt lgkmcnt(0)
	v_add_u32_e32 v56, v160, v21
	v_lshlrev_b64 v[56:57], 1, v[56:57]
	v_add_co_u32_e32 v56, vcc, s80, v56
	v_addc_co_u32_e32 v57, vcc, v165, v57, vcc
	global_store_short v[56:57], v171, off
	s_or_b64 exec, exec, s[54:55]
	v_cmp_lt_u32_e64 s[54:55], v23, v156
	s_and_saveexec_b64 s[56:57], s[54:55]
	s_cbranch_execnz .LBB1044_1191
.LBB1044_1140:                          ;   in Loop: Header=BB1044_1048 Depth=2
	s_or_b64 exec, exec, s[56:57]
	v_cmp_lt_u32_e64 s[56:57], v6, v156
	s_and_saveexec_b64 s[58:59], s[56:57]
	s_cbranch_execz .LBB1044_1192
.LBB1044_1141:                          ;   in Loop: Header=BB1044_1048 Depth=2
	ds_read_u16 v56, v76 offset:4096
	v_mov_b32_e32 v165, s81
	s_waitcnt lgkmcnt(0)
	v_lshrrev_b32_sdwa v57, s89, v56 dst_sel:DWORD dst_unused:UNUSED_PAD src0_sel:DWORD src1_sel:WORD_0
	v_and_b32_e32 v57, s6, v57
	v_lshlrev_b32_e32 v57, 2, v57
	ds_read_b32 v160, v57
	v_mov_b32_e32 v57, v4
	v_xor_b32_e32 v171, 0xffff8000, v56
	s_waitcnt lgkmcnt(0)
	v_add_u32_e32 v56, v160, v6
	v_lshlrev_b64 v[56:57], 1, v[56:57]
	v_add_co_u32_e32 v56, vcc, s80, v56
	v_addc_co_u32_e32 v57, vcc, v165, v57, vcc
	global_store_short v[56:57], v171, off
	s_or_b64 exec, exec, s[58:59]
	v_cmp_lt_u32_e64 s[58:59], v8, v156
	s_and_saveexec_b64 s[60:61], s[58:59]
	s_cbranch_execnz .LBB1044_1193
.LBB1044_1142:                          ;   in Loop: Header=BB1044_1048 Depth=2
	s_or_b64 exec, exec, s[60:61]
	v_cmp_lt_u32_e64 s[60:61], v10, v156
	s_and_saveexec_b64 s[62:63], s[60:61]
	s_cbranch_execz .LBB1044_1194
.LBB1044_1143:                          ;   in Loop: Header=BB1044_1048 Depth=2
	ds_read_u16 v56, v76 offset:5120
	v_mov_b32_e32 v165, s81
	s_waitcnt lgkmcnt(0)
	v_lshrrev_b32_sdwa v57, s89, v56 dst_sel:DWORD dst_unused:UNUSED_PAD src0_sel:DWORD src1_sel:WORD_0
	v_and_b32_e32 v57, s6, v57
	v_lshlrev_b32_e32 v57, 2, v57
	ds_read_b32 v160, v57
	v_mov_b32_e32 v57, v4
	v_xor_b32_e32 v171, 0xffff8000, v56
	s_waitcnt lgkmcnt(0)
	v_add_u32_e32 v56, v160, v10
	v_lshlrev_b64 v[56:57], 1, v[56:57]
	v_add_co_u32_e32 v56, vcc, s80, v56
	v_addc_co_u32_e32 v57, vcc, v165, v57, vcc
	global_store_short v[56:57], v171, off
	s_or_b64 exec, exec, s[62:63]
	v_cmp_lt_u32_e64 s[62:63], v12, v156
	s_and_saveexec_b64 s[64:65], s[62:63]
	s_cbranch_execnz .LBB1044_1195
.LBB1044_1144:                          ;   in Loop: Header=BB1044_1048 Depth=2
	s_or_b64 exec, exec, s[64:65]
	v_cmp_lt_u32_e64 s[64:65], v14, v156
	s_and_saveexec_b64 s[66:67], s[64:65]
	s_cbranch_execz .LBB1044_1196
.LBB1044_1145:                          ;   in Loop: Header=BB1044_1048 Depth=2
	ds_read_u16 v56, v76 offset:6144
	v_mov_b32_e32 v165, s81
	s_waitcnt lgkmcnt(0)
	v_lshrrev_b32_sdwa v57, s89, v56 dst_sel:DWORD dst_unused:UNUSED_PAD src0_sel:DWORD src1_sel:WORD_0
	v_and_b32_e32 v57, s6, v57
	v_lshlrev_b32_e32 v57, 2, v57
	ds_read_b32 v160, v57
	v_mov_b32_e32 v57, v4
	v_xor_b32_e32 v171, 0xffff8000, v56
	s_waitcnt lgkmcnt(0)
	v_add_u32_e32 v56, v160, v14
	v_lshlrev_b64 v[56:57], 1, v[56:57]
	v_add_co_u32_e32 v56, vcc, s80, v56
	v_addc_co_u32_e32 v57, vcc, v165, v57, vcc
	global_store_short v[56:57], v171, off
	s_or_b64 exec, exec, s[66:67]
	v_cmp_lt_u32_e64 s[66:67], v16, v156
	s_and_saveexec_b64 s[68:69], s[66:67]
	s_cbranch_execnz .LBB1044_1197
.LBB1044_1146:                          ;   in Loop: Header=BB1044_1048 Depth=2
	s_or_b64 exec, exec, s[68:69]
	v_cmp_lt_u32_e64 s[68:69], v18, v156
	s_and_saveexec_b64 s[70:71], s[68:69]
	s_cbranch_execz .LBB1044_1198
.LBB1044_1147:                          ;   in Loop: Header=BB1044_1048 Depth=2
	ds_read_u16 v56, v76 offset:7168
	v_mov_b32_e32 v165, s81
	s_waitcnt lgkmcnt(0)
	v_lshrrev_b32_sdwa v57, s89, v56 dst_sel:DWORD dst_unused:UNUSED_PAD src0_sel:DWORD src1_sel:WORD_0
	v_and_b32_e32 v57, s6, v57
	v_lshlrev_b32_e32 v57, 2, v57
	ds_read_b32 v160, v57
	v_mov_b32_e32 v57, v4
	v_xor_b32_e32 v171, 0xffff8000, v56
	s_waitcnt lgkmcnt(0)
	v_add_u32_e32 v56, v160, v18
	v_lshlrev_b64 v[56:57], 1, v[56:57]
	v_add_co_u32_e32 v56, vcc, s80, v56
	v_addc_co_u32_e32 v57, vcc, v165, v57, vcc
	global_store_short v[56:57], v171, off
	s_or_b64 exec, exec, s[70:71]
	v_cmp_lt_u32_e64 s[70:71], v20, v156
	s_and_saveexec_b64 s[72:73], s[70:71]
	s_cbranch_execnz .LBB1044_1199
.LBB1044_1148:                          ;   in Loop: Header=BB1044_1048 Depth=2
	s_or_b64 exec, exec, s[72:73]
	v_cmp_lt_u32_e64 s[72:73], v22, v156
	s_and_saveexec_b64 s[82:83], s[72:73]
	s_cbranch_execz .LBB1044_1150
.LBB1044_1149:                          ;   in Loop: Header=BB1044_1048 Depth=2
	ds_read_u16 v56, v76 offset:8192
	v_mov_b32_e32 v165, s81
	s_waitcnt lgkmcnt(0)
	v_lshrrev_b32_sdwa v57, s89, v56 dst_sel:DWORD dst_unused:UNUSED_PAD src0_sel:DWORD src1_sel:WORD_0
	v_and_b32_e32 v57, s6, v57
	v_lshlrev_b32_e32 v57, 2, v57
	ds_read_b32 v160, v57
	v_mov_b32_e32 v57, v4
	v_xor_b32_e32 v171, 0xffff8000, v56
	s_waitcnt lgkmcnt(0)
	v_add_u32_e32 v56, v160, v22
	v_lshlrev_b64 v[56:57], 1, v[56:57]
	v_add_co_u32_e32 v56, vcc, s80, v56
	v_addc_co_u32_e32 v57, vcc, v165, v57, vcc
	global_store_short v[56:57], v171, off
.LBB1044_1150:                          ;   in Loop: Header=BB1044_1048 Depth=2
	s_or_b64 exec, exec, s[82:83]
	s_lshl_b64 s[82:83], s[94:95], 3
	v_mov_b32_e32 v57, s83
	v_add_co_u32_e32 v56, vcc, s82, v130
	v_addc_co_u32_e32 v57, vcc, v131, v57, vcc
	v_cmp_lt_u32_e32 vcc, v111, v156
	s_and_saveexec_b64 s[82:83], vcc
	s_xor_b64 s[82:83], exec, s[82:83]
	s_cbranch_execz .LBB1044_1200
; %bb.1151:                             ;   in Loop: Header=BB1044_1048 Depth=2
	global_load_dwordx2 v[54:55], v[56:57], off
	s_or_b64 exec, exec, s[82:83]
	v_cmp_lt_u32_e32 vcc, v112, v156
	s_and_saveexec_b64 s[82:83], vcc
	s_cbranch_execnz .LBB1044_1201
.LBB1044_1152:                          ;   in Loop: Header=BB1044_1048 Depth=2
	s_or_b64 exec, exec, s[82:83]
	v_cmp_lt_u32_e32 vcc, v113, v156
	s_and_saveexec_b64 s[82:83], vcc
	s_cbranch_execz .LBB1044_1202
.LBB1044_1153:                          ;   in Loop: Header=BB1044_1048 Depth=2
	global_load_dwordx2 v[50:51], v[56:57], off offset:1024
	s_or_b64 exec, exec, s[82:83]
	v_cmp_lt_u32_e32 vcc, v114, v156
	s_and_saveexec_b64 s[82:83], vcc
	s_cbranch_execnz .LBB1044_1203
.LBB1044_1154:                          ;   in Loop: Header=BB1044_1048 Depth=2
	s_or_b64 exec, exec, s[82:83]
	v_cmp_lt_u32_e32 vcc, v115, v156
	s_and_saveexec_b64 s[82:83], vcc
	s_cbranch_execz .LBB1044_1204
.LBB1044_1155:                          ;   in Loop: Header=BB1044_1048 Depth=2
	global_load_dwordx2 v[42:43], v[56:57], off offset:2048
	s_or_b64 exec, exec, s[82:83]
	v_cmp_lt_u32_e32 vcc, v116, v156
	s_and_saveexec_b64 s[82:83], vcc
	s_cbranch_execnz .LBB1044_1205
.LBB1044_1156:                          ;   in Loop: Header=BB1044_1048 Depth=2
	s_or_b64 exec, exec, s[82:83]
	v_cmp_lt_u32_e32 vcc, v117, v156
	s_and_saveexec_b64 s[82:83], vcc
	s_cbranch_execz .LBB1044_1206
.LBB1044_1157:                          ;   in Loop: Header=BB1044_1048 Depth=2
	global_load_dwordx2 v[34:35], v[56:57], off offset:3072
	s_or_b64 exec, exec, s[82:83]
	v_cmp_lt_u32_e32 vcc, v118, v156
	s_and_saveexec_b64 s[82:83], vcc
	s_cbranch_execnz .LBB1044_1207
.LBB1044_1158:                          ;   in Loop: Header=BB1044_1048 Depth=2
	s_or_b64 exec, exec, s[82:83]
	v_cmp_lt_u32_e32 vcc, v119, v156
	s_and_saveexec_b64 s[82:83], vcc
	s_cbranch_execz .LBB1044_1208
.LBB1044_1159:                          ;   in Loop: Header=BB1044_1048 Depth=2
	v_add_co_u32_e32 v48, vcc, 0x1000, v56
	v_addc_co_u32_e32 v49, vcc, 0, v57, vcc
	global_load_dwordx2 v[48:49], v[48:49], off
	s_or_b64 exec, exec, s[82:83]
	v_cmp_lt_u32_e32 vcc, v120, v156
	s_and_saveexec_b64 s[82:83], vcc
	s_cbranch_execnz .LBB1044_1209
.LBB1044_1160:                          ;   in Loop: Header=BB1044_1048 Depth=2
	s_or_b64 exec, exec, s[82:83]
	v_cmp_lt_u32_e32 vcc, v121, v156
	s_and_saveexec_b64 s[82:83], vcc
	s_cbranch_execz .LBB1044_1210
.LBB1044_1161:                          ;   in Loop: Header=BB1044_1048 Depth=2
	v_add_co_u32_e32 v40, vcc, 0x1000, v56
	v_addc_co_u32_e32 v41, vcc, 0, v57, vcc
	global_load_dwordx2 v[40:41], v[40:41], off offset:1024
	s_or_b64 exec, exec, s[82:83]
	v_cmp_lt_u32_e32 vcc, v122, v156
	s_and_saveexec_b64 s[82:83], vcc
	s_cbranch_execnz .LBB1044_1211
.LBB1044_1162:                          ;   in Loop: Header=BB1044_1048 Depth=2
	s_or_b64 exec, exec, s[82:83]
	v_cmp_lt_u32_e32 vcc, v123, v156
	s_and_saveexec_b64 s[82:83], vcc
	s_cbranch_execz .LBB1044_1212
.LBB1044_1163:                          ;   in Loop: Header=BB1044_1048 Depth=2
	v_add_co_u32_e32 v32, vcc, 0x1000, v56
	v_addc_co_u32_e32 v33, vcc, 0, v57, vcc
	global_load_dwordx2 v[32:33], v[32:33], off offset:2048
	s_or_b64 exec, exec, s[82:83]
	v_cmp_lt_u32_e32 vcc, v124, v156
	s_and_saveexec_b64 s[82:83], vcc
	s_cbranch_execnz .LBB1044_1213
.LBB1044_1164:                          ;   in Loop: Header=BB1044_1048 Depth=2
	s_or_b64 exec, exec, s[82:83]
	v_cmp_lt_u32_e32 vcc, v125, v156
	s_and_saveexec_b64 s[82:83], vcc
	s_cbranch_execz .LBB1044_1214
.LBB1044_1165:                          ;   in Loop: Header=BB1044_1048 Depth=2
	v_add_co_u32_e32 v26, vcc, 0x1000, v56
	v_addc_co_u32_e32 v27, vcc, 0, v57, vcc
	global_load_dwordx2 v[26:27], v[26:27], off offset:3072
	s_or_b64 exec, exec, s[82:83]
	v_cmp_lt_u32_e32 vcc, v126, v156
	s_and_saveexec_b64 s[82:83], vcc
	s_cbranch_execnz .LBB1044_1215
.LBB1044_1166:                          ;   in Loop: Header=BB1044_1048 Depth=2
	s_or_b64 exec, exec, s[82:83]
	v_cmp_lt_u32_e32 vcc, v127, v156
	s_and_saveexec_b64 s[82:83], vcc
	s_cbranch_execz .LBB1044_1216
.LBB1044_1167:                          ;   in Loop: Header=BB1044_1048 Depth=2
	v_add_co_u32_e32 v0, vcc, 0x2000, v56
	v_addc_co_u32_e32 v1, vcc, 0, v57, vcc
	global_load_dwordx2 v[0:1], v[0:1], off
	s_or_b64 exec, exec, s[82:83]
	s_and_saveexec_b64 s[82:83], s[40:41]
	s_cbranch_execnz .LBB1044_1217
.LBB1044_1168:                          ;   in Loop: Header=BB1044_1048 Depth=2
	s_or_b64 exec, exec, s[82:83]
	s_and_saveexec_b64 s[82:83], s[42:43]
	s_cbranch_execz .LBB1044_1218
.LBB1044_1169:                          ;   in Loop: Header=BB1044_1048 Depth=2
	ds_read_u16 v56, v76 offset:512
	s_waitcnt lgkmcnt(0)
	v_lshrrev_b32_e32 v56, s89, v56
	v_and_b32_e32 v150, s6, v56
	s_or_b64 exec, exec, s[82:83]
	s_and_saveexec_b64 s[82:83], s[44:45]
	s_cbranch_execnz .LBB1044_1219
.LBB1044_1170:                          ;   in Loop: Header=BB1044_1048 Depth=2
	s_or_b64 exec, exec, s[82:83]
	s_and_saveexec_b64 s[82:83], s[46:47]
	s_cbranch_execz .LBB1044_1220
.LBB1044_1171:                          ;   in Loop: Header=BB1044_1048 Depth=2
	ds_read_u16 v56, v76 offset:1536
	s_waitcnt lgkmcnt(0)
	v_lshrrev_b32_e32 v56, s89, v56
	v_and_b32_e32 v147, s6, v56
	s_or_b64 exec, exec, s[82:83]
	s_and_saveexec_b64 s[82:83], s[48:49]
	s_cbranch_execnz .LBB1044_1221
.LBB1044_1172:                          ;   in Loop: Header=BB1044_1048 Depth=2
	s_or_b64 exec, exec, s[82:83]
	s_and_saveexec_b64 s[82:83], s[50:51]
	s_cbranch_execz .LBB1044_1222
.LBB1044_1173:                          ;   in Loop: Header=BB1044_1048 Depth=2
	ds_read_u16 v56, v76 offset:2560
	s_waitcnt lgkmcnt(0)
	v_lshrrev_b32_e32 v56, s89, v56
	v_and_b32_e32 v145, s6, v56
	s_or_b64 exec, exec, s[82:83]
	s_and_saveexec_b64 s[82:83], s[52:53]
	s_cbranch_execnz .LBB1044_1223
.LBB1044_1174:                          ;   in Loop: Header=BB1044_1048 Depth=2
	s_or_b64 exec, exec, s[82:83]
	s_and_saveexec_b64 s[82:83], s[54:55]
	s_cbranch_execz .LBB1044_1224
.LBB1044_1175:                          ;   in Loop: Header=BB1044_1048 Depth=2
	ds_read_u16 v56, v76 offset:3584
	s_waitcnt lgkmcnt(0)
	v_lshrrev_b32_e32 v56, s89, v56
	v_and_b32_e32 v143, s6, v56
	s_or_b64 exec, exec, s[82:83]
	s_and_saveexec_b64 s[82:83], s[56:57]
	s_cbranch_execnz .LBB1044_1225
.LBB1044_1176:                          ;   in Loop: Header=BB1044_1048 Depth=2
	s_or_b64 exec, exec, s[82:83]
	s_and_saveexec_b64 s[82:83], s[58:59]
	s_cbranch_execz .LBB1044_1226
.LBB1044_1177:                          ;   in Loop: Header=BB1044_1048 Depth=2
	ds_read_u16 v56, v76 offset:4608
	s_waitcnt lgkmcnt(0)
	v_lshrrev_b32_e32 v56, s89, v56
	v_and_b32_e32 v141, s6, v56
	s_or_b64 exec, exec, s[82:83]
	s_and_saveexec_b64 s[82:83], s[60:61]
	s_cbranch_execnz .LBB1044_1227
.LBB1044_1178:                          ;   in Loop: Header=BB1044_1048 Depth=2
	s_or_b64 exec, exec, s[82:83]
	s_and_saveexec_b64 s[82:83], s[62:63]
	s_cbranch_execz .LBB1044_1228
.LBB1044_1179:                          ;   in Loop: Header=BB1044_1048 Depth=2
	ds_read_u16 v56, v76 offset:5632
	s_waitcnt lgkmcnt(0)
	v_lshrrev_b32_e32 v56, s89, v56
	v_and_b32_e32 v139, s6, v56
	s_or_b64 exec, exec, s[82:83]
	s_and_saveexec_b64 s[82:83], s[64:65]
	s_cbranch_execnz .LBB1044_1229
.LBB1044_1180:                          ;   in Loop: Header=BB1044_1048 Depth=2
	s_or_b64 exec, exec, s[82:83]
	s_and_saveexec_b64 s[82:83], s[66:67]
	s_cbranch_execz .LBB1044_1230
.LBB1044_1181:                          ;   in Loop: Header=BB1044_1048 Depth=2
	ds_read_u16 v56, v76 offset:6656
	s_waitcnt lgkmcnt(0)
	v_lshrrev_b32_e32 v56, s89, v56
	v_and_b32_e32 v137, s6, v56
	s_or_b64 exec, exec, s[82:83]
	s_and_saveexec_b64 s[82:83], s[68:69]
	s_cbranch_execnz .LBB1044_1231
.LBB1044_1182:                          ;   in Loop: Header=BB1044_1048 Depth=2
	s_or_b64 exec, exec, s[82:83]
	s_and_saveexec_b64 s[82:83], s[70:71]
	s_cbranch_execz .LBB1044_1232
.LBB1044_1183:                          ;   in Loop: Header=BB1044_1048 Depth=2
	ds_read_u16 v56, v76 offset:7680
	s_waitcnt lgkmcnt(0)
	v_lshrrev_b32_e32 v56, s89, v56
	v_and_b32_e32 v135, s6, v56
	s_or_b64 exec, exec, s[82:83]
	s_and_saveexec_b64 s[82:83], s[72:73]
	s_cbranch_execnz .LBB1044_1233
	s_branch .LBB1044_1234
.LBB1044_1184:                          ;   in Loop: Header=BB1044_1048 Depth=2
	s_or_b64 exec, exec, s[42:43]
	v_cmp_lt_u32_e64 s[42:43], v7, v156
	s_and_saveexec_b64 s[44:45], s[42:43]
	s_cbranch_execz .LBB1044_1134
.LBB1044_1185:                          ;   in Loop: Header=BB1044_1048 Depth=2
	ds_read_u16 v56, v76 offset:512
	v_mov_b32_e32 v165, s81
	s_waitcnt lgkmcnt(0)
	v_lshrrev_b32_sdwa v57, s89, v56 dst_sel:DWORD dst_unused:UNUSED_PAD src0_sel:DWORD src1_sel:WORD_0
	v_and_b32_e32 v57, s6, v57
	v_lshlrev_b32_e32 v57, 2, v57
	ds_read_b32 v160, v57
	v_mov_b32_e32 v57, v4
	v_xor_b32_e32 v171, 0xffff8000, v56
	s_waitcnt lgkmcnt(0)
	v_add_u32_e32 v56, v160, v7
	v_lshlrev_b64 v[56:57], 1, v[56:57]
	v_add_co_u32_e32 v56, vcc, s80, v56
	v_addc_co_u32_e32 v57, vcc, v165, v57, vcc
	global_store_short v[56:57], v171, off
	s_or_b64 exec, exec, s[44:45]
	v_cmp_lt_u32_e64 s[44:45], v13, v156
	s_and_saveexec_b64 s[46:47], s[44:45]
	s_cbranch_execnz .LBB1044_1135
.LBB1044_1186:                          ;   in Loop: Header=BB1044_1048 Depth=2
	s_or_b64 exec, exec, s[46:47]
	v_cmp_lt_u32_e64 s[46:47], v15, v156
	s_and_saveexec_b64 s[48:49], s[46:47]
	s_cbranch_execz .LBB1044_1136
.LBB1044_1187:                          ;   in Loop: Header=BB1044_1048 Depth=2
	ds_read_u16 v56, v76 offset:1536
	v_mov_b32_e32 v165, s81
	s_waitcnt lgkmcnt(0)
	v_lshrrev_b32_sdwa v57, s89, v56 dst_sel:DWORD dst_unused:UNUSED_PAD src0_sel:DWORD src1_sel:WORD_0
	v_and_b32_e32 v57, s6, v57
	v_lshlrev_b32_e32 v57, 2, v57
	ds_read_b32 v160, v57
	v_mov_b32_e32 v57, v4
	v_xor_b32_e32 v171, 0xffff8000, v56
	s_waitcnt lgkmcnt(0)
	v_add_u32_e32 v56, v160, v15
	v_lshlrev_b64 v[56:57], 1, v[56:57]
	v_add_co_u32_e32 v56, vcc, s80, v56
	v_addc_co_u32_e32 v57, vcc, v165, v57, vcc
	global_store_short v[56:57], v171, off
	s_or_b64 exec, exec, s[48:49]
	v_cmp_lt_u32_e64 s[48:49], v17, v156
	s_and_saveexec_b64 s[50:51], s[48:49]
	s_cbranch_execnz .LBB1044_1137
.LBB1044_1188:                          ;   in Loop: Header=BB1044_1048 Depth=2
	s_or_b64 exec, exec, s[50:51]
	v_cmp_lt_u32_e64 s[50:51], v19, v156
	s_and_saveexec_b64 s[52:53], s[50:51]
	s_cbranch_execz .LBB1044_1138
.LBB1044_1189:                          ;   in Loop: Header=BB1044_1048 Depth=2
	ds_read_u16 v56, v76 offset:2560
	v_mov_b32_e32 v165, s81
	s_waitcnt lgkmcnt(0)
	v_lshrrev_b32_sdwa v57, s89, v56 dst_sel:DWORD dst_unused:UNUSED_PAD src0_sel:DWORD src1_sel:WORD_0
	v_and_b32_e32 v57, s6, v57
	v_lshlrev_b32_e32 v57, 2, v57
	ds_read_b32 v160, v57
	v_mov_b32_e32 v57, v4
	v_xor_b32_e32 v171, 0xffff8000, v56
	s_waitcnt lgkmcnt(0)
	v_add_u32_e32 v56, v160, v19
	v_lshlrev_b64 v[56:57], 1, v[56:57]
	v_add_co_u32_e32 v56, vcc, s80, v56
	v_addc_co_u32_e32 v57, vcc, v165, v57, vcc
	global_store_short v[56:57], v171, off
	s_or_b64 exec, exec, s[52:53]
	v_cmp_lt_u32_e64 s[52:53], v21, v156
	s_and_saveexec_b64 s[54:55], s[52:53]
	s_cbranch_execnz .LBB1044_1139
.LBB1044_1190:                          ;   in Loop: Header=BB1044_1048 Depth=2
	s_or_b64 exec, exec, s[54:55]
	v_cmp_lt_u32_e64 s[54:55], v23, v156
	s_and_saveexec_b64 s[56:57], s[54:55]
	s_cbranch_execz .LBB1044_1140
.LBB1044_1191:                          ;   in Loop: Header=BB1044_1048 Depth=2
	ds_read_u16 v56, v76 offset:3584
	v_mov_b32_e32 v165, s81
	s_waitcnt lgkmcnt(0)
	v_lshrrev_b32_sdwa v57, s89, v56 dst_sel:DWORD dst_unused:UNUSED_PAD src0_sel:DWORD src1_sel:WORD_0
	v_and_b32_e32 v57, s6, v57
	v_lshlrev_b32_e32 v57, 2, v57
	ds_read_b32 v160, v57
	v_mov_b32_e32 v57, v4
	v_xor_b32_e32 v171, 0xffff8000, v56
	s_waitcnt lgkmcnt(0)
	v_add_u32_e32 v56, v160, v23
	v_lshlrev_b64 v[56:57], 1, v[56:57]
	v_add_co_u32_e32 v56, vcc, s80, v56
	v_addc_co_u32_e32 v57, vcc, v165, v57, vcc
	global_store_short v[56:57], v171, off
	s_or_b64 exec, exec, s[56:57]
	v_cmp_lt_u32_e64 s[56:57], v6, v156
	s_and_saveexec_b64 s[58:59], s[56:57]
	s_cbranch_execnz .LBB1044_1141
.LBB1044_1192:                          ;   in Loop: Header=BB1044_1048 Depth=2
	s_or_b64 exec, exec, s[58:59]
	v_cmp_lt_u32_e64 s[58:59], v8, v156
	s_and_saveexec_b64 s[60:61], s[58:59]
	s_cbranch_execz .LBB1044_1142
.LBB1044_1193:                          ;   in Loop: Header=BB1044_1048 Depth=2
	ds_read_u16 v56, v76 offset:4608
	v_mov_b32_e32 v165, s81
	s_waitcnt lgkmcnt(0)
	v_lshrrev_b32_sdwa v57, s89, v56 dst_sel:DWORD dst_unused:UNUSED_PAD src0_sel:DWORD src1_sel:WORD_0
	v_and_b32_e32 v57, s6, v57
	v_lshlrev_b32_e32 v57, 2, v57
	ds_read_b32 v160, v57
	v_mov_b32_e32 v57, v4
	v_xor_b32_e32 v171, 0xffff8000, v56
	s_waitcnt lgkmcnt(0)
	v_add_u32_e32 v56, v160, v8
	v_lshlrev_b64 v[56:57], 1, v[56:57]
	v_add_co_u32_e32 v56, vcc, s80, v56
	v_addc_co_u32_e32 v57, vcc, v165, v57, vcc
	global_store_short v[56:57], v171, off
	s_or_b64 exec, exec, s[60:61]
	v_cmp_lt_u32_e64 s[60:61], v10, v156
	s_and_saveexec_b64 s[62:63], s[60:61]
	s_cbranch_execnz .LBB1044_1143
.LBB1044_1194:                          ;   in Loop: Header=BB1044_1048 Depth=2
	s_or_b64 exec, exec, s[62:63]
	v_cmp_lt_u32_e64 s[62:63], v12, v156
	s_and_saveexec_b64 s[64:65], s[62:63]
	s_cbranch_execz .LBB1044_1144
.LBB1044_1195:                          ;   in Loop: Header=BB1044_1048 Depth=2
	ds_read_u16 v56, v76 offset:5632
	v_mov_b32_e32 v165, s81
	s_waitcnt lgkmcnt(0)
	v_lshrrev_b32_sdwa v57, s89, v56 dst_sel:DWORD dst_unused:UNUSED_PAD src0_sel:DWORD src1_sel:WORD_0
	v_and_b32_e32 v57, s6, v57
	v_lshlrev_b32_e32 v57, 2, v57
	ds_read_b32 v160, v57
	v_mov_b32_e32 v57, v4
	v_xor_b32_e32 v171, 0xffff8000, v56
	s_waitcnt lgkmcnt(0)
	v_add_u32_e32 v56, v160, v12
	v_lshlrev_b64 v[56:57], 1, v[56:57]
	v_add_co_u32_e32 v56, vcc, s80, v56
	v_addc_co_u32_e32 v57, vcc, v165, v57, vcc
	global_store_short v[56:57], v171, off
	s_or_b64 exec, exec, s[64:65]
	v_cmp_lt_u32_e64 s[64:65], v14, v156
	s_and_saveexec_b64 s[66:67], s[64:65]
	s_cbranch_execnz .LBB1044_1145
.LBB1044_1196:                          ;   in Loop: Header=BB1044_1048 Depth=2
	s_or_b64 exec, exec, s[66:67]
	v_cmp_lt_u32_e64 s[66:67], v16, v156
	s_and_saveexec_b64 s[68:69], s[66:67]
	s_cbranch_execz .LBB1044_1146
.LBB1044_1197:                          ;   in Loop: Header=BB1044_1048 Depth=2
	ds_read_u16 v56, v76 offset:6656
	v_mov_b32_e32 v165, s81
	s_waitcnt lgkmcnt(0)
	v_lshrrev_b32_sdwa v57, s89, v56 dst_sel:DWORD dst_unused:UNUSED_PAD src0_sel:DWORD src1_sel:WORD_0
	v_and_b32_e32 v57, s6, v57
	v_lshlrev_b32_e32 v57, 2, v57
	ds_read_b32 v160, v57
	v_mov_b32_e32 v57, v4
	v_xor_b32_e32 v171, 0xffff8000, v56
	s_waitcnt lgkmcnt(0)
	v_add_u32_e32 v56, v160, v16
	v_lshlrev_b64 v[56:57], 1, v[56:57]
	v_add_co_u32_e32 v56, vcc, s80, v56
	v_addc_co_u32_e32 v57, vcc, v165, v57, vcc
	global_store_short v[56:57], v171, off
	s_or_b64 exec, exec, s[68:69]
	v_cmp_lt_u32_e64 s[68:69], v18, v156
	s_and_saveexec_b64 s[70:71], s[68:69]
	s_cbranch_execnz .LBB1044_1147
.LBB1044_1198:                          ;   in Loop: Header=BB1044_1048 Depth=2
	s_or_b64 exec, exec, s[70:71]
	v_cmp_lt_u32_e64 s[70:71], v20, v156
	s_and_saveexec_b64 s[72:73], s[70:71]
	s_cbranch_execz .LBB1044_1148
.LBB1044_1199:                          ;   in Loop: Header=BB1044_1048 Depth=2
	ds_read_u16 v56, v76 offset:7680
	v_mov_b32_e32 v165, s81
	s_waitcnt lgkmcnt(0)
	v_lshrrev_b32_sdwa v57, s89, v56 dst_sel:DWORD dst_unused:UNUSED_PAD src0_sel:DWORD src1_sel:WORD_0
	v_and_b32_e32 v57, s6, v57
	v_lshlrev_b32_e32 v57, 2, v57
	ds_read_b32 v160, v57
	v_mov_b32_e32 v57, v4
	v_xor_b32_e32 v171, 0xffff8000, v56
	s_waitcnt lgkmcnt(0)
	v_add_u32_e32 v56, v160, v20
	v_lshlrev_b64 v[56:57], 1, v[56:57]
	v_add_co_u32_e32 v56, vcc, s80, v56
	v_addc_co_u32_e32 v57, vcc, v165, v57, vcc
	global_store_short v[56:57], v171, off
	s_or_b64 exec, exec, s[72:73]
	v_cmp_lt_u32_e64 s[72:73], v22, v156
	s_and_saveexec_b64 s[82:83], s[72:73]
	s_cbranch_execnz .LBB1044_1149
	s_branch .LBB1044_1150
.LBB1044_1200:                          ;   in Loop: Header=BB1044_1048 Depth=2
	s_or_b64 exec, exec, s[82:83]
	v_cmp_lt_u32_e32 vcc, v112, v156
	s_and_saveexec_b64 s[82:83], vcc
	s_cbranch_execz .LBB1044_1152
.LBB1044_1201:                          ;   in Loop: Header=BB1044_1048 Depth=2
	global_load_dwordx2 v[52:53], v[56:57], off offset:512
	s_or_b64 exec, exec, s[82:83]
	v_cmp_lt_u32_e32 vcc, v113, v156
	s_and_saveexec_b64 s[82:83], vcc
	s_cbranch_execnz .LBB1044_1153
.LBB1044_1202:                          ;   in Loop: Header=BB1044_1048 Depth=2
	s_or_b64 exec, exec, s[82:83]
	v_cmp_lt_u32_e32 vcc, v114, v156
	s_and_saveexec_b64 s[82:83], vcc
	s_cbranch_execz .LBB1044_1154
.LBB1044_1203:                          ;   in Loop: Header=BB1044_1048 Depth=2
	global_load_dwordx2 v[46:47], v[56:57], off offset:1536
	s_or_b64 exec, exec, s[82:83]
	v_cmp_lt_u32_e32 vcc, v115, v156
	s_and_saveexec_b64 s[82:83], vcc
	s_cbranch_execnz .LBB1044_1155
.LBB1044_1204:                          ;   in Loop: Header=BB1044_1048 Depth=2
	s_or_b64 exec, exec, s[82:83]
	v_cmp_lt_u32_e32 vcc, v116, v156
	s_and_saveexec_b64 s[82:83], vcc
	s_cbranch_execz .LBB1044_1156
.LBB1044_1205:                          ;   in Loop: Header=BB1044_1048 Depth=2
	global_load_dwordx2 v[38:39], v[56:57], off offset:2560
	s_or_b64 exec, exec, s[82:83]
	v_cmp_lt_u32_e32 vcc, v117, v156
	s_and_saveexec_b64 s[82:83], vcc
	s_cbranch_execnz .LBB1044_1157
.LBB1044_1206:                          ;   in Loop: Header=BB1044_1048 Depth=2
	s_or_b64 exec, exec, s[82:83]
	v_cmp_lt_u32_e32 vcc, v118, v156
	s_and_saveexec_b64 s[82:83], vcc
	s_cbranch_execz .LBB1044_1158
.LBB1044_1207:                          ;   in Loop: Header=BB1044_1048 Depth=2
	global_load_dwordx2 v[30:31], v[56:57], off offset:3584
	s_or_b64 exec, exec, s[82:83]
	v_cmp_lt_u32_e32 vcc, v119, v156
	s_and_saveexec_b64 s[82:83], vcc
	s_cbranch_execnz .LBB1044_1159
.LBB1044_1208:                          ;   in Loop: Header=BB1044_1048 Depth=2
	s_or_b64 exec, exec, s[82:83]
	v_cmp_lt_u32_e32 vcc, v120, v156
	s_and_saveexec_b64 s[82:83], vcc
	s_cbranch_execz .LBB1044_1160
.LBB1044_1209:                          ;   in Loop: Header=BB1044_1048 Depth=2
	v_add_co_u32_e32 v44, vcc, 0x1000, v56
	v_addc_co_u32_e32 v45, vcc, 0, v57, vcc
	global_load_dwordx2 v[44:45], v[44:45], off offset:512
	s_or_b64 exec, exec, s[82:83]
	v_cmp_lt_u32_e32 vcc, v121, v156
	s_and_saveexec_b64 s[82:83], vcc
	s_cbranch_execnz .LBB1044_1161
.LBB1044_1210:                          ;   in Loop: Header=BB1044_1048 Depth=2
	s_or_b64 exec, exec, s[82:83]
	v_cmp_lt_u32_e32 vcc, v122, v156
	s_and_saveexec_b64 s[82:83], vcc
	s_cbranch_execz .LBB1044_1162
.LBB1044_1211:                          ;   in Loop: Header=BB1044_1048 Depth=2
	v_add_co_u32_e32 v36, vcc, 0x1000, v56
	v_addc_co_u32_e32 v37, vcc, 0, v57, vcc
	global_load_dwordx2 v[36:37], v[36:37], off offset:1536
	s_or_b64 exec, exec, s[82:83]
	v_cmp_lt_u32_e32 vcc, v123, v156
	s_and_saveexec_b64 s[82:83], vcc
	s_cbranch_execnz .LBB1044_1163
.LBB1044_1212:                          ;   in Loop: Header=BB1044_1048 Depth=2
	s_or_b64 exec, exec, s[82:83]
	v_cmp_lt_u32_e32 vcc, v124, v156
	s_and_saveexec_b64 s[82:83], vcc
	s_cbranch_execz .LBB1044_1164
.LBB1044_1213:                          ;   in Loop: Header=BB1044_1048 Depth=2
	v_add_co_u32_e32 v28, vcc, 0x1000, v56
	v_addc_co_u32_e32 v29, vcc, 0, v57, vcc
	global_load_dwordx2 v[28:29], v[28:29], off offset:2560
	s_or_b64 exec, exec, s[82:83]
	v_cmp_lt_u32_e32 vcc, v125, v156
	s_and_saveexec_b64 s[82:83], vcc
	s_cbranch_execnz .LBB1044_1165
.LBB1044_1214:                          ;   in Loop: Header=BB1044_1048 Depth=2
	s_or_b64 exec, exec, s[82:83]
	v_cmp_lt_u32_e32 vcc, v126, v156
	s_and_saveexec_b64 s[82:83], vcc
	s_cbranch_execz .LBB1044_1166
.LBB1044_1215:                          ;   in Loop: Header=BB1044_1048 Depth=2
	v_add_co_u32_e32 v24, vcc, 0x1000, v56
	v_addc_co_u32_e32 v25, vcc, 0, v57, vcc
	global_load_dwordx2 v[24:25], v[24:25], off offset:3584
	s_or_b64 exec, exec, s[82:83]
	v_cmp_lt_u32_e32 vcc, v127, v156
	s_and_saveexec_b64 s[82:83], vcc
	s_cbranch_execnz .LBB1044_1167
.LBB1044_1216:                          ;   in Loop: Header=BB1044_1048 Depth=2
	s_or_b64 exec, exec, s[82:83]
	s_and_saveexec_b64 s[82:83], s[40:41]
	s_cbranch_execz .LBB1044_1168
.LBB1044_1217:                          ;   in Loop: Header=BB1044_1048 Depth=2
	ds_read_u16 v56, v157 offset:512
	s_waitcnt lgkmcnt(0)
	v_lshrrev_b32_e32 v56, s89, v56
	v_and_b32_e32 v152, s6, v56
	s_or_b64 exec, exec, s[82:83]
	s_and_saveexec_b64 s[82:83], s[42:43]
	s_cbranch_execnz .LBB1044_1169
.LBB1044_1218:                          ;   in Loop: Header=BB1044_1048 Depth=2
	s_or_b64 exec, exec, s[82:83]
	s_and_saveexec_b64 s[82:83], s[44:45]
	s_cbranch_execz .LBB1044_1170
.LBB1044_1219:                          ;   in Loop: Header=BB1044_1048 Depth=2
	ds_read_u16 v56, v76 offset:1024
	s_waitcnt lgkmcnt(0)
	v_lshrrev_b32_e32 v56, s89, v56
	v_and_b32_e32 v149, s6, v56
	s_or_b64 exec, exec, s[82:83]
	s_and_saveexec_b64 s[82:83], s[46:47]
	s_cbranch_execnz .LBB1044_1171
.LBB1044_1220:                          ;   in Loop: Header=BB1044_1048 Depth=2
	s_or_b64 exec, exec, s[82:83]
	s_and_saveexec_b64 s[82:83], s[48:49]
	s_cbranch_execz .LBB1044_1172
.LBB1044_1221:                          ;   in Loop: Header=BB1044_1048 Depth=2
	ds_read_u16 v56, v76 offset:2048
	s_waitcnt lgkmcnt(0)
	v_lshrrev_b32_e32 v56, s89, v56
	v_and_b32_e32 v146, s6, v56
	s_or_b64 exec, exec, s[82:83]
	s_and_saveexec_b64 s[82:83], s[50:51]
	s_cbranch_execnz .LBB1044_1173
.LBB1044_1222:                          ;   in Loop: Header=BB1044_1048 Depth=2
	s_or_b64 exec, exec, s[82:83]
	s_and_saveexec_b64 s[82:83], s[52:53]
	s_cbranch_execz .LBB1044_1174
.LBB1044_1223:                          ;   in Loop: Header=BB1044_1048 Depth=2
	ds_read_u16 v56, v76 offset:3072
	s_waitcnt lgkmcnt(0)
	v_lshrrev_b32_e32 v56, s89, v56
	v_and_b32_e32 v144, s6, v56
	s_or_b64 exec, exec, s[82:83]
	s_and_saveexec_b64 s[82:83], s[54:55]
	s_cbranch_execnz .LBB1044_1175
.LBB1044_1224:                          ;   in Loop: Header=BB1044_1048 Depth=2
	s_or_b64 exec, exec, s[82:83]
	s_and_saveexec_b64 s[82:83], s[56:57]
	s_cbranch_execz .LBB1044_1176
.LBB1044_1225:                          ;   in Loop: Header=BB1044_1048 Depth=2
	ds_read_u16 v56, v76 offset:4096
	s_waitcnt lgkmcnt(0)
	v_lshrrev_b32_e32 v56, s89, v56
	v_and_b32_e32 v142, s6, v56
	s_or_b64 exec, exec, s[82:83]
	s_and_saveexec_b64 s[82:83], s[58:59]
	s_cbranch_execnz .LBB1044_1177
.LBB1044_1226:                          ;   in Loop: Header=BB1044_1048 Depth=2
	s_or_b64 exec, exec, s[82:83]
	s_and_saveexec_b64 s[82:83], s[60:61]
	s_cbranch_execz .LBB1044_1178
.LBB1044_1227:                          ;   in Loop: Header=BB1044_1048 Depth=2
	ds_read_u16 v56, v76 offset:5120
	s_waitcnt lgkmcnt(0)
	v_lshrrev_b32_e32 v56, s89, v56
	v_and_b32_e32 v140, s6, v56
	s_or_b64 exec, exec, s[82:83]
	s_and_saveexec_b64 s[82:83], s[62:63]
	s_cbranch_execnz .LBB1044_1179
.LBB1044_1228:                          ;   in Loop: Header=BB1044_1048 Depth=2
	s_or_b64 exec, exec, s[82:83]
	s_and_saveexec_b64 s[82:83], s[64:65]
	s_cbranch_execz .LBB1044_1180
.LBB1044_1229:                          ;   in Loop: Header=BB1044_1048 Depth=2
	ds_read_u16 v56, v76 offset:6144
	s_waitcnt lgkmcnt(0)
	v_lshrrev_b32_e32 v56, s89, v56
	v_and_b32_e32 v138, s6, v56
	s_or_b64 exec, exec, s[82:83]
	s_and_saveexec_b64 s[82:83], s[66:67]
	s_cbranch_execnz .LBB1044_1181
.LBB1044_1230:                          ;   in Loop: Header=BB1044_1048 Depth=2
	s_or_b64 exec, exec, s[82:83]
	s_and_saveexec_b64 s[82:83], s[68:69]
	s_cbranch_execz .LBB1044_1182
.LBB1044_1231:                          ;   in Loop: Header=BB1044_1048 Depth=2
	ds_read_u16 v56, v76 offset:7168
	s_waitcnt lgkmcnt(0)
	v_lshrrev_b32_e32 v56, s89, v56
	v_and_b32_e32 v136, s6, v56
	s_or_b64 exec, exec, s[82:83]
	s_and_saveexec_b64 s[82:83], s[70:71]
	s_cbranch_execnz .LBB1044_1183
.LBB1044_1232:                          ;   in Loop: Header=BB1044_1048 Depth=2
	s_or_b64 exec, exec, s[82:83]
	s_and_saveexec_b64 s[82:83], s[72:73]
	s_cbranch_execz .LBB1044_1234
.LBB1044_1233:                          ;   in Loop: Header=BB1044_1048 Depth=2
	ds_read_u16 v56, v76 offset:8192
	s_waitcnt lgkmcnt(0)
	v_lshrrev_b32_e32 v56, s89, v56
	v_and_b32_e32 v134, s6, v56
.LBB1044_1234:                          ;   in Loop: Header=BB1044_1048 Depth=2
	s_or_b64 exec, exec, s[82:83]
	v_lshlrev_b32_e32 v56, 3, v179
	s_barrier
	s_waitcnt vmcnt(0)
	ds_write_b64 v56, v[54:55] offset:512
	v_lshlrev_b32_e32 v56, 3, v175
	ds_write_b64 v56, v[52:53] offset:512
	v_lshlrev_b32_e32 v56, 3, v174
	;; [unrolled: 2-line block ×15, first 2 shown]
	v_lshlrev_b32_e32 v5, 3, v5
	ds_write_b64 v56, v[24:25] offset:512
	ds_write_b64 v5, v[0:1] offset:512
	s_waitcnt lgkmcnt(0)
	s_barrier
	s_and_saveexec_b64 s[82:83], s[40:41]
	s_cbranch_execz .LBB1044_1254
; %bb.1235:                             ;   in Loop: Header=BB1044_1048 Depth=2
	v_lshlrev_b32_e32 v5, 2, v152
	ds_read_b32 v5, v5
	ds_read_b64 v[56:57], v68 offset:512
	v_mov_b32_e32 v157, v4
	v_mov_b32_e32 v158, s87
	s_waitcnt lgkmcnt(1)
	v_add_u32_e32 v156, v5, v2
	v_lshlrev_b64 v[156:157], 3, v[156:157]
	v_add_co_u32_e32 v156, vcc, s86, v156
	v_addc_co_u32_e32 v157, vcc, v158, v157, vcc
	s_waitcnt lgkmcnt(0)
	global_store_dwordx2 v[156:157], v[56:57], off
	s_or_b64 exec, exec, s[82:83]
	v_add_u32_e32 v5, v76, v77
	s_and_saveexec_b64 s[40:41], s[42:43]
	s_cbranch_execnz .LBB1044_1255
.LBB1044_1236:                          ;   in Loop: Header=BB1044_1048 Depth=2
	s_or_b64 exec, exec, s[40:41]
	s_and_saveexec_b64 s[40:41], s[44:45]
	s_cbranch_execz .LBB1044_1256
.LBB1044_1237:                          ;   in Loop: Header=BB1044_1048 Depth=2
	v_lshlrev_b32_e32 v56, 2, v149
	ds_read_b32 v156, v56
	ds_read_b64 v[56:57], v5 offset:4096
	v_mov_b32_e32 v157, v4
	v_mov_b32_e32 v158, s87
	s_waitcnt lgkmcnt(1)
	v_add_u32_e32 v156, v156, v13
	v_lshlrev_b64 v[156:157], 3, v[156:157]
	v_add_co_u32_e32 v156, vcc, s86, v156
	v_addc_co_u32_e32 v157, vcc, v158, v157, vcc
	s_waitcnt lgkmcnt(0)
	global_store_dwordx2 v[156:157], v[56:57], off
	s_or_b64 exec, exec, s[40:41]
	s_and_saveexec_b64 s[40:41], s[46:47]
	s_cbranch_execnz .LBB1044_1257
.LBB1044_1238:                          ;   in Loop: Header=BB1044_1048 Depth=2
	s_or_b64 exec, exec, s[40:41]
	s_and_saveexec_b64 s[40:41], s[48:49]
	s_cbranch_execz .LBB1044_1258
.LBB1044_1239:                          ;   in Loop: Header=BB1044_1048 Depth=2
	v_lshlrev_b32_e32 v56, 2, v146
	ds_read_b32 v156, v56
	ds_read_b64 v[56:57], v5 offset:8192
	v_mov_b32_e32 v157, v4
	v_mov_b32_e32 v158, s87
	s_waitcnt lgkmcnt(1)
	v_add_u32_e32 v156, v156, v17
	v_lshlrev_b64 v[156:157], 3, v[156:157]
	v_add_co_u32_e32 v156, vcc, s86, v156
	v_addc_co_u32_e32 v157, vcc, v158, v157, vcc
	s_waitcnt lgkmcnt(0)
	global_store_dwordx2 v[156:157], v[56:57], off
	s_or_b64 exec, exec, s[40:41]
	s_and_saveexec_b64 s[40:41], s[50:51]
	s_cbranch_execnz .LBB1044_1259
.LBB1044_1240:                          ;   in Loop: Header=BB1044_1048 Depth=2
	s_or_b64 exec, exec, s[40:41]
	s_and_saveexec_b64 s[40:41], s[52:53]
	s_cbranch_execz .LBB1044_1260
.LBB1044_1241:                          ;   in Loop: Header=BB1044_1048 Depth=2
	v_lshlrev_b32_e32 v56, 2, v144
	ds_read_b32 v156, v56
	ds_read_b64 v[56:57], v5 offset:12288
	v_mov_b32_e32 v157, v4
	v_mov_b32_e32 v158, s87
	s_waitcnt lgkmcnt(1)
	v_add_u32_e32 v156, v156, v21
	v_lshlrev_b64 v[156:157], 3, v[156:157]
	v_add_co_u32_e32 v156, vcc, s86, v156
	v_addc_co_u32_e32 v157, vcc, v158, v157, vcc
	s_waitcnt lgkmcnt(0)
	global_store_dwordx2 v[156:157], v[56:57], off
	s_or_b64 exec, exec, s[40:41]
	s_and_saveexec_b64 s[40:41], s[54:55]
	s_cbranch_execnz .LBB1044_1261
.LBB1044_1242:                          ;   in Loop: Header=BB1044_1048 Depth=2
	s_or_b64 exec, exec, s[40:41]
	s_and_saveexec_b64 s[40:41], s[56:57]
	s_cbranch_execz .LBB1044_1262
.LBB1044_1243:                          ;   in Loop: Header=BB1044_1048 Depth=2
	v_lshlrev_b32_e32 v56, 2, v142
	ds_read_b32 v156, v56
	ds_read_b64 v[56:57], v5 offset:16384
	v_mov_b32_e32 v157, v4
	v_mov_b32_e32 v158, s87
	s_waitcnt lgkmcnt(1)
	v_add_u32_e32 v156, v156, v6
	v_lshlrev_b64 v[156:157], 3, v[156:157]
	v_add_co_u32_e32 v156, vcc, s86, v156
	v_addc_co_u32_e32 v157, vcc, v158, v157, vcc
	s_waitcnt lgkmcnt(0)
	global_store_dwordx2 v[156:157], v[56:57], off
	s_or_b64 exec, exec, s[40:41]
	s_and_saveexec_b64 s[40:41], s[58:59]
	s_cbranch_execnz .LBB1044_1263
.LBB1044_1244:                          ;   in Loop: Header=BB1044_1048 Depth=2
	s_or_b64 exec, exec, s[40:41]
	s_and_saveexec_b64 s[40:41], s[60:61]
	s_cbranch_execz .LBB1044_1264
.LBB1044_1245:                          ;   in Loop: Header=BB1044_1048 Depth=2
	v_lshlrev_b32_e32 v56, 2, v140
	ds_read_b32 v156, v56
	ds_read_b64 v[56:57], v5 offset:20480
	v_mov_b32_e32 v157, v4
	v_mov_b32_e32 v158, s87
	s_waitcnt lgkmcnt(1)
	v_add_u32_e32 v156, v156, v10
	v_lshlrev_b64 v[156:157], 3, v[156:157]
	v_add_co_u32_e32 v156, vcc, s86, v156
	v_addc_co_u32_e32 v157, vcc, v158, v157, vcc
	s_waitcnt lgkmcnt(0)
	global_store_dwordx2 v[156:157], v[56:57], off
	s_or_b64 exec, exec, s[40:41]
	s_and_saveexec_b64 s[40:41], s[62:63]
	s_cbranch_execnz .LBB1044_1265
.LBB1044_1246:                          ;   in Loop: Header=BB1044_1048 Depth=2
	s_or_b64 exec, exec, s[40:41]
	s_and_saveexec_b64 s[40:41], s[64:65]
	s_cbranch_execz .LBB1044_1266
.LBB1044_1247:                          ;   in Loop: Header=BB1044_1048 Depth=2
	v_lshlrev_b32_e32 v56, 2, v138
	ds_read_b32 v156, v56
	ds_read_b64 v[56:57], v5 offset:24576
	v_mov_b32_e32 v157, v4
	v_mov_b32_e32 v158, s87
	s_waitcnt lgkmcnt(1)
	v_add_u32_e32 v156, v156, v14
	v_lshlrev_b64 v[156:157], 3, v[156:157]
	v_add_co_u32_e32 v156, vcc, s86, v156
	v_addc_co_u32_e32 v157, vcc, v158, v157, vcc
	s_waitcnt lgkmcnt(0)
	global_store_dwordx2 v[156:157], v[56:57], off
	s_or_b64 exec, exec, s[40:41]
	s_and_saveexec_b64 s[40:41], s[66:67]
	s_cbranch_execnz .LBB1044_1267
.LBB1044_1248:                          ;   in Loop: Header=BB1044_1048 Depth=2
	s_or_b64 exec, exec, s[40:41]
	s_and_saveexec_b64 s[40:41], s[68:69]
	s_cbranch_execz .LBB1044_1268
.LBB1044_1249:                          ;   in Loop: Header=BB1044_1048 Depth=2
	v_lshlrev_b32_e32 v56, 2, v136
	ds_read_b32 v156, v56
	ds_read_b64 v[56:57], v5 offset:28672
	v_mov_b32_e32 v157, v4
	v_mov_b32_e32 v158, s87
	s_waitcnt lgkmcnt(1)
	v_add_u32_e32 v156, v156, v18
	v_lshlrev_b64 v[156:157], 3, v[156:157]
	v_add_co_u32_e32 v156, vcc, s86, v156
	v_addc_co_u32_e32 v157, vcc, v158, v157, vcc
	s_waitcnt lgkmcnt(0)
	global_store_dwordx2 v[156:157], v[56:57], off
	s_or_b64 exec, exec, s[40:41]
	s_and_saveexec_b64 s[40:41], s[70:71]
	s_cbranch_execnz .LBB1044_1269
.LBB1044_1250:                          ;   in Loop: Header=BB1044_1048 Depth=2
	s_or_b64 exec, exec, s[40:41]
	s_and_saveexec_b64 s[40:41], s[72:73]
	s_cbranch_execz .LBB1044_1252
.LBB1044_1251:                          ;   in Loop: Header=BB1044_1048 Depth=2
	v_lshlrev_b32_e32 v56, 2, v134
	ds_read_b32 v156, v56
	ds_read_b64 v[56:57], v5 offset:32768
	v_mov_b32_e32 v157, v4
	v_mov_b32_e32 v5, s87
	s_waitcnt lgkmcnt(1)
	v_add_u32_e32 v156, v156, v22
	v_lshlrev_b64 v[156:157], 3, v[156:157]
	v_add_co_u32_e32 v156, vcc, s86, v156
	v_addc_co_u32_e32 v157, vcc, v5, v157, vcc
	s_waitcnt lgkmcnt(0)
	global_store_dwordx2 v[156:157], v[56:57], off
.LBB1044_1252:                          ;   in Loop: Header=BB1044_1048 Depth=2
	s_or_b64 exec, exec, s[40:41]
	s_barrier
	s_and_saveexec_b64 s[40:41], s[4:5]
	s_cbranch_execz .LBB1044_1047
; %bb.1253:                             ;   in Loop: Header=BB1044_1048 Depth=2
	ds_read_b32 v5, v3
	s_waitcnt lgkmcnt(0)
	v_add3_u32 v5, v154, v155, v5
	ds_write_b32 v3, v5
	s_branch .LBB1044_1047
.LBB1044_1254:                          ;   in Loop: Header=BB1044_1048 Depth=2
	s_or_b64 exec, exec, s[82:83]
	v_add_u32_e32 v5, v76, v77
	s_and_saveexec_b64 s[40:41], s[42:43]
	s_cbranch_execz .LBB1044_1236
.LBB1044_1255:                          ;   in Loop: Header=BB1044_1048 Depth=2
	v_lshlrev_b32_e32 v56, 2, v150
	ds_read_b32 v156, v56
	ds_read_b64 v[56:57], v5 offset:2048
	v_mov_b32_e32 v157, v4
	v_mov_b32_e32 v158, s87
	s_waitcnt lgkmcnt(1)
	v_add_u32_e32 v156, v156, v7
	v_lshlrev_b64 v[156:157], 3, v[156:157]
	v_add_co_u32_e32 v156, vcc, s86, v156
	v_addc_co_u32_e32 v157, vcc, v158, v157, vcc
	s_waitcnt lgkmcnt(0)
	global_store_dwordx2 v[156:157], v[56:57], off
	s_or_b64 exec, exec, s[40:41]
	s_and_saveexec_b64 s[40:41], s[44:45]
	s_cbranch_execnz .LBB1044_1237
.LBB1044_1256:                          ;   in Loop: Header=BB1044_1048 Depth=2
	s_or_b64 exec, exec, s[40:41]
	s_and_saveexec_b64 s[40:41], s[46:47]
	s_cbranch_execz .LBB1044_1238
.LBB1044_1257:                          ;   in Loop: Header=BB1044_1048 Depth=2
	v_lshlrev_b32_e32 v56, 2, v147
	ds_read_b32 v156, v56
	ds_read_b64 v[56:57], v5 offset:6144
	v_mov_b32_e32 v157, v4
	v_mov_b32_e32 v158, s87
	s_waitcnt lgkmcnt(1)
	v_add_u32_e32 v156, v156, v15
	v_lshlrev_b64 v[156:157], 3, v[156:157]
	v_add_co_u32_e32 v156, vcc, s86, v156
	v_addc_co_u32_e32 v157, vcc, v158, v157, vcc
	s_waitcnt lgkmcnt(0)
	global_store_dwordx2 v[156:157], v[56:57], off
	s_or_b64 exec, exec, s[40:41]
	s_and_saveexec_b64 s[40:41], s[48:49]
	s_cbranch_execnz .LBB1044_1239
.LBB1044_1258:                          ;   in Loop: Header=BB1044_1048 Depth=2
	s_or_b64 exec, exec, s[40:41]
	s_and_saveexec_b64 s[40:41], s[50:51]
	s_cbranch_execz .LBB1044_1240
.LBB1044_1259:                          ;   in Loop: Header=BB1044_1048 Depth=2
	v_lshlrev_b32_e32 v56, 2, v145
	ds_read_b32 v156, v56
	ds_read_b64 v[56:57], v5 offset:10240
	v_mov_b32_e32 v157, v4
	v_mov_b32_e32 v158, s87
	s_waitcnt lgkmcnt(1)
	v_add_u32_e32 v156, v156, v19
	v_lshlrev_b64 v[156:157], 3, v[156:157]
	v_add_co_u32_e32 v156, vcc, s86, v156
	v_addc_co_u32_e32 v157, vcc, v158, v157, vcc
	s_waitcnt lgkmcnt(0)
	global_store_dwordx2 v[156:157], v[56:57], off
	s_or_b64 exec, exec, s[40:41]
	s_and_saveexec_b64 s[40:41], s[52:53]
	s_cbranch_execnz .LBB1044_1241
.LBB1044_1260:                          ;   in Loop: Header=BB1044_1048 Depth=2
	s_or_b64 exec, exec, s[40:41]
	s_and_saveexec_b64 s[40:41], s[54:55]
	s_cbranch_execz .LBB1044_1242
.LBB1044_1261:                          ;   in Loop: Header=BB1044_1048 Depth=2
	v_lshlrev_b32_e32 v56, 2, v143
	ds_read_b32 v156, v56
	ds_read_b64 v[56:57], v5 offset:14336
	v_mov_b32_e32 v157, v4
	v_mov_b32_e32 v158, s87
	s_waitcnt lgkmcnt(1)
	v_add_u32_e32 v156, v156, v23
	v_lshlrev_b64 v[156:157], 3, v[156:157]
	v_add_co_u32_e32 v156, vcc, s86, v156
	v_addc_co_u32_e32 v157, vcc, v158, v157, vcc
	s_waitcnt lgkmcnt(0)
	global_store_dwordx2 v[156:157], v[56:57], off
	s_or_b64 exec, exec, s[40:41]
	s_and_saveexec_b64 s[40:41], s[56:57]
	s_cbranch_execnz .LBB1044_1243
.LBB1044_1262:                          ;   in Loop: Header=BB1044_1048 Depth=2
	s_or_b64 exec, exec, s[40:41]
	s_and_saveexec_b64 s[40:41], s[58:59]
	s_cbranch_execz .LBB1044_1244
.LBB1044_1263:                          ;   in Loop: Header=BB1044_1048 Depth=2
	v_lshlrev_b32_e32 v56, 2, v141
	ds_read_b32 v156, v56
	ds_read_b64 v[56:57], v5 offset:18432
	v_mov_b32_e32 v157, v4
	v_mov_b32_e32 v158, s87
	s_waitcnt lgkmcnt(1)
	v_add_u32_e32 v156, v156, v8
	v_lshlrev_b64 v[156:157], 3, v[156:157]
	v_add_co_u32_e32 v156, vcc, s86, v156
	v_addc_co_u32_e32 v157, vcc, v158, v157, vcc
	s_waitcnt lgkmcnt(0)
	global_store_dwordx2 v[156:157], v[56:57], off
	s_or_b64 exec, exec, s[40:41]
	s_and_saveexec_b64 s[40:41], s[60:61]
	s_cbranch_execnz .LBB1044_1245
.LBB1044_1264:                          ;   in Loop: Header=BB1044_1048 Depth=2
	s_or_b64 exec, exec, s[40:41]
	s_and_saveexec_b64 s[40:41], s[62:63]
	s_cbranch_execz .LBB1044_1246
.LBB1044_1265:                          ;   in Loop: Header=BB1044_1048 Depth=2
	v_lshlrev_b32_e32 v56, 2, v139
	ds_read_b32 v156, v56
	ds_read_b64 v[56:57], v5 offset:22528
	v_mov_b32_e32 v157, v4
	v_mov_b32_e32 v158, s87
	s_waitcnt lgkmcnt(1)
	v_add_u32_e32 v156, v156, v12
	v_lshlrev_b64 v[156:157], 3, v[156:157]
	v_add_co_u32_e32 v156, vcc, s86, v156
	v_addc_co_u32_e32 v157, vcc, v158, v157, vcc
	s_waitcnt lgkmcnt(0)
	global_store_dwordx2 v[156:157], v[56:57], off
	s_or_b64 exec, exec, s[40:41]
	s_and_saveexec_b64 s[40:41], s[64:65]
	s_cbranch_execnz .LBB1044_1247
.LBB1044_1266:                          ;   in Loop: Header=BB1044_1048 Depth=2
	s_or_b64 exec, exec, s[40:41]
	s_and_saveexec_b64 s[40:41], s[66:67]
	s_cbranch_execz .LBB1044_1248
.LBB1044_1267:                          ;   in Loop: Header=BB1044_1048 Depth=2
	v_lshlrev_b32_e32 v56, 2, v137
	ds_read_b32 v156, v56
	ds_read_b64 v[56:57], v5 offset:26624
	v_mov_b32_e32 v157, v4
	v_mov_b32_e32 v158, s87
	s_waitcnt lgkmcnt(1)
	v_add_u32_e32 v156, v156, v16
	v_lshlrev_b64 v[156:157], 3, v[156:157]
	v_add_co_u32_e32 v156, vcc, s86, v156
	v_addc_co_u32_e32 v157, vcc, v158, v157, vcc
	s_waitcnt lgkmcnt(0)
	global_store_dwordx2 v[156:157], v[56:57], off
	s_or_b64 exec, exec, s[40:41]
	s_and_saveexec_b64 s[40:41], s[68:69]
	s_cbranch_execnz .LBB1044_1249
.LBB1044_1268:                          ;   in Loop: Header=BB1044_1048 Depth=2
	s_or_b64 exec, exec, s[40:41]
	s_and_saveexec_b64 s[40:41], s[70:71]
	s_cbranch_execz .LBB1044_1250
.LBB1044_1269:                          ;   in Loop: Header=BB1044_1048 Depth=2
	v_lshlrev_b32_e32 v56, 2, v135
	ds_read_b32 v156, v56
	ds_read_b64 v[56:57], v5 offset:30720
	v_mov_b32_e32 v157, v4
	v_mov_b32_e32 v158, s87
	s_waitcnt lgkmcnt(1)
	v_add_u32_e32 v156, v156, v20
	v_lshlrev_b64 v[156:157], 3, v[156:157]
	v_add_co_u32_e32 v156, vcc, s86, v156
	v_addc_co_u32_e32 v157, vcc, v158, v157, vcc
	s_waitcnt lgkmcnt(0)
	global_store_dwordx2 v[156:157], v[56:57], off
	s_or_b64 exec, exec, s[40:41]
	s_and_saveexec_b64 s[40:41], s[72:73]
	s_cbranch_execnz .LBB1044_1251
	s_branch .LBB1044_1252
.LBB1044_1270:
	s_endpgm
	.section	.rodata,"a",@progbits
	.p2align	6, 0x0
	.amdhsa_kernel _ZN7rocprim17ROCPRIM_400000_NS6detail17trampoline_kernelINS0_14default_configENS1_36segmented_radix_sort_config_selectorIslEEZNS1_25segmented_radix_sort_implIS3_Lb0EPKsPsPKlPlN2at6native12_GLOBAL__N_18offset_tEEE10hipError_tPvRmT1_PNSt15iterator_traitsISK_E10value_typeET2_T3_PNSL_ISQ_E10value_typeET4_jRbjT5_SW_jjP12ihipStream_tbEUlT_E2_NS1_11comp_targetILNS1_3genE4ELNS1_11target_archE910ELNS1_3gpuE8ELNS1_3repE0EEENS1_30default_config_static_selectorELNS0_4arch9wavefront6targetE1EEEvSK_
		.amdhsa_group_segment_fixed_size 35336
		.amdhsa_private_segment_fixed_size 184
		.amdhsa_kernarg_size 336
		.amdhsa_user_sgpr_count 8
		.amdhsa_user_sgpr_private_segment_buffer 1
		.amdhsa_user_sgpr_dispatch_ptr 0
		.amdhsa_user_sgpr_queue_ptr 0
		.amdhsa_user_sgpr_kernarg_segment_ptr 1
		.amdhsa_user_sgpr_dispatch_id 0
		.amdhsa_user_sgpr_flat_scratch_init 1
		.amdhsa_user_sgpr_kernarg_preload_length 0
		.amdhsa_user_sgpr_kernarg_preload_offset 0
		.amdhsa_user_sgpr_private_segment_size 0
		.amdhsa_uses_dynamic_stack 0
		.amdhsa_system_sgpr_private_segment_wavefront_offset 1
		.amdhsa_system_sgpr_workgroup_id_x 1
		.amdhsa_system_sgpr_workgroup_id_y 1
		.amdhsa_system_sgpr_workgroup_id_z 0
		.amdhsa_system_sgpr_workgroup_info 0
		.amdhsa_system_vgpr_workitem_id 2
		.amdhsa_next_free_vgpr 280
		.amdhsa_next_free_sgpr 100
		.amdhsa_accum_offset 248
		.amdhsa_reserve_vcc 1
		.amdhsa_reserve_flat_scratch 1
		.amdhsa_float_round_mode_32 0
		.amdhsa_float_round_mode_16_64 0
		.amdhsa_float_denorm_mode_32 3
		.amdhsa_float_denorm_mode_16_64 3
		.amdhsa_dx10_clamp 1
		.amdhsa_ieee_mode 1
		.amdhsa_fp16_overflow 0
		.amdhsa_tg_split 0
		.amdhsa_exception_fp_ieee_invalid_op 0
		.amdhsa_exception_fp_denorm_src 0
		.amdhsa_exception_fp_ieee_div_zero 0
		.amdhsa_exception_fp_ieee_overflow 0
		.amdhsa_exception_fp_ieee_underflow 0
		.amdhsa_exception_fp_ieee_inexact 0
		.amdhsa_exception_int_div_zero 0
	.end_amdhsa_kernel
	.section	.text._ZN7rocprim17ROCPRIM_400000_NS6detail17trampoline_kernelINS0_14default_configENS1_36segmented_radix_sort_config_selectorIslEEZNS1_25segmented_radix_sort_implIS3_Lb0EPKsPsPKlPlN2at6native12_GLOBAL__N_18offset_tEEE10hipError_tPvRmT1_PNSt15iterator_traitsISK_E10value_typeET2_T3_PNSL_ISQ_E10value_typeET4_jRbjT5_SW_jjP12ihipStream_tbEUlT_E2_NS1_11comp_targetILNS1_3genE4ELNS1_11target_archE910ELNS1_3gpuE8ELNS1_3repE0EEENS1_30default_config_static_selectorELNS0_4arch9wavefront6targetE1EEEvSK_,"axG",@progbits,_ZN7rocprim17ROCPRIM_400000_NS6detail17trampoline_kernelINS0_14default_configENS1_36segmented_radix_sort_config_selectorIslEEZNS1_25segmented_radix_sort_implIS3_Lb0EPKsPsPKlPlN2at6native12_GLOBAL__N_18offset_tEEE10hipError_tPvRmT1_PNSt15iterator_traitsISK_E10value_typeET2_T3_PNSL_ISQ_E10value_typeET4_jRbjT5_SW_jjP12ihipStream_tbEUlT_E2_NS1_11comp_targetILNS1_3genE4ELNS1_11target_archE910ELNS1_3gpuE8ELNS1_3repE0EEENS1_30default_config_static_selectorELNS0_4arch9wavefront6targetE1EEEvSK_,comdat
.Lfunc_end1044:
	.size	_ZN7rocprim17ROCPRIM_400000_NS6detail17trampoline_kernelINS0_14default_configENS1_36segmented_radix_sort_config_selectorIslEEZNS1_25segmented_radix_sort_implIS3_Lb0EPKsPsPKlPlN2at6native12_GLOBAL__N_18offset_tEEE10hipError_tPvRmT1_PNSt15iterator_traitsISK_E10value_typeET2_T3_PNSL_ISQ_E10value_typeET4_jRbjT5_SW_jjP12ihipStream_tbEUlT_E2_NS1_11comp_targetILNS1_3genE4ELNS1_11target_archE910ELNS1_3gpuE8ELNS1_3repE0EEENS1_30default_config_static_selectorELNS0_4arch9wavefront6targetE1EEEvSK_, .Lfunc_end1044-_ZN7rocprim17ROCPRIM_400000_NS6detail17trampoline_kernelINS0_14default_configENS1_36segmented_radix_sort_config_selectorIslEEZNS1_25segmented_radix_sort_implIS3_Lb0EPKsPsPKlPlN2at6native12_GLOBAL__N_18offset_tEEE10hipError_tPvRmT1_PNSt15iterator_traitsISK_E10value_typeET2_T3_PNSL_ISQ_E10value_typeET4_jRbjT5_SW_jjP12ihipStream_tbEUlT_E2_NS1_11comp_targetILNS1_3genE4ELNS1_11target_archE910ELNS1_3gpuE8ELNS1_3repE0EEENS1_30default_config_static_selectorELNS0_4arch9wavefront6targetE1EEEvSK_
                                        ; -- End function
	.section	.AMDGPU.csdata,"",@progbits
; Kernel info:
; codeLenInByte = 66376
; NumSgprs: 106
; NumVgprs: 248
; NumAgprs: 32
; TotalNumVgprs: 280
; ScratchSize: 184
; MemoryBound: 0
; FloatMode: 240
; IeeeMode: 1
; LDSByteSize: 35336 bytes/workgroup (compile time only)
; SGPRBlocks: 13
; VGPRBlocks: 34
; NumSGPRsForWavesPerEU: 106
; NumVGPRsForWavesPerEU: 280
; AccumOffset: 248
; Occupancy: 1
; WaveLimiterHint : 1
; COMPUTE_PGM_RSRC2:SCRATCH_EN: 1
; COMPUTE_PGM_RSRC2:USER_SGPR: 8
; COMPUTE_PGM_RSRC2:TRAP_HANDLER: 0
; COMPUTE_PGM_RSRC2:TGID_X_EN: 1
; COMPUTE_PGM_RSRC2:TGID_Y_EN: 1
; COMPUTE_PGM_RSRC2:TGID_Z_EN: 0
; COMPUTE_PGM_RSRC2:TIDIG_COMP_CNT: 2
; COMPUTE_PGM_RSRC3_GFX90A:ACCUM_OFFSET: 61
; COMPUTE_PGM_RSRC3_GFX90A:TG_SPLIT: 0
	.section	.text._ZN7rocprim17ROCPRIM_400000_NS6detail17trampoline_kernelINS0_14default_configENS1_36segmented_radix_sort_config_selectorIslEEZNS1_25segmented_radix_sort_implIS3_Lb0EPKsPsPKlPlN2at6native12_GLOBAL__N_18offset_tEEE10hipError_tPvRmT1_PNSt15iterator_traitsISK_E10value_typeET2_T3_PNSL_ISQ_E10value_typeET4_jRbjT5_SW_jjP12ihipStream_tbEUlT_E2_NS1_11comp_targetILNS1_3genE3ELNS1_11target_archE908ELNS1_3gpuE7ELNS1_3repE0EEENS1_30default_config_static_selectorELNS0_4arch9wavefront6targetE1EEEvSK_,"axG",@progbits,_ZN7rocprim17ROCPRIM_400000_NS6detail17trampoline_kernelINS0_14default_configENS1_36segmented_radix_sort_config_selectorIslEEZNS1_25segmented_radix_sort_implIS3_Lb0EPKsPsPKlPlN2at6native12_GLOBAL__N_18offset_tEEE10hipError_tPvRmT1_PNSt15iterator_traitsISK_E10value_typeET2_T3_PNSL_ISQ_E10value_typeET4_jRbjT5_SW_jjP12ihipStream_tbEUlT_E2_NS1_11comp_targetILNS1_3genE3ELNS1_11target_archE908ELNS1_3gpuE7ELNS1_3repE0EEENS1_30default_config_static_selectorELNS0_4arch9wavefront6targetE1EEEvSK_,comdat
	.globl	_ZN7rocprim17ROCPRIM_400000_NS6detail17trampoline_kernelINS0_14default_configENS1_36segmented_radix_sort_config_selectorIslEEZNS1_25segmented_radix_sort_implIS3_Lb0EPKsPsPKlPlN2at6native12_GLOBAL__N_18offset_tEEE10hipError_tPvRmT1_PNSt15iterator_traitsISK_E10value_typeET2_T3_PNSL_ISQ_E10value_typeET4_jRbjT5_SW_jjP12ihipStream_tbEUlT_E2_NS1_11comp_targetILNS1_3genE3ELNS1_11target_archE908ELNS1_3gpuE7ELNS1_3repE0EEENS1_30default_config_static_selectorELNS0_4arch9wavefront6targetE1EEEvSK_ ; -- Begin function _ZN7rocprim17ROCPRIM_400000_NS6detail17trampoline_kernelINS0_14default_configENS1_36segmented_radix_sort_config_selectorIslEEZNS1_25segmented_radix_sort_implIS3_Lb0EPKsPsPKlPlN2at6native12_GLOBAL__N_18offset_tEEE10hipError_tPvRmT1_PNSt15iterator_traitsISK_E10value_typeET2_T3_PNSL_ISQ_E10value_typeET4_jRbjT5_SW_jjP12ihipStream_tbEUlT_E2_NS1_11comp_targetILNS1_3genE3ELNS1_11target_archE908ELNS1_3gpuE7ELNS1_3repE0EEENS1_30default_config_static_selectorELNS0_4arch9wavefront6targetE1EEEvSK_
	.p2align	8
	.type	_ZN7rocprim17ROCPRIM_400000_NS6detail17trampoline_kernelINS0_14default_configENS1_36segmented_radix_sort_config_selectorIslEEZNS1_25segmented_radix_sort_implIS3_Lb0EPKsPsPKlPlN2at6native12_GLOBAL__N_18offset_tEEE10hipError_tPvRmT1_PNSt15iterator_traitsISK_E10value_typeET2_T3_PNSL_ISQ_E10value_typeET4_jRbjT5_SW_jjP12ihipStream_tbEUlT_E2_NS1_11comp_targetILNS1_3genE3ELNS1_11target_archE908ELNS1_3gpuE7ELNS1_3repE0EEENS1_30default_config_static_selectorELNS0_4arch9wavefront6targetE1EEEvSK_,@function
_ZN7rocprim17ROCPRIM_400000_NS6detail17trampoline_kernelINS0_14default_configENS1_36segmented_radix_sort_config_selectorIslEEZNS1_25segmented_radix_sort_implIS3_Lb0EPKsPsPKlPlN2at6native12_GLOBAL__N_18offset_tEEE10hipError_tPvRmT1_PNSt15iterator_traitsISK_E10value_typeET2_T3_PNSL_ISQ_E10value_typeET4_jRbjT5_SW_jjP12ihipStream_tbEUlT_E2_NS1_11comp_targetILNS1_3genE3ELNS1_11target_archE908ELNS1_3gpuE7ELNS1_3repE0EEENS1_30default_config_static_selectorELNS0_4arch9wavefront6targetE1EEEvSK_: ; @_ZN7rocprim17ROCPRIM_400000_NS6detail17trampoline_kernelINS0_14default_configENS1_36segmented_radix_sort_config_selectorIslEEZNS1_25segmented_radix_sort_implIS3_Lb0EPKsPsPKlPlN2at6native12_GLOBAL__N_18offset_tEEE10hipError_tPvRmT1_PNSt15iterator_traitsISK_E10value_typeET2_T3_PNSL_ISQ_E10value_typeET4_jRbjT5_SW_jjP12ihipStream_tbEUlT_E2_NS1_11comp_targetILNS1_3genE3ELNS1_11target_archE908ELNS1_3gpuE7ELNS1_3repE0EEENS1_30default_config_static_selectorELNS0_4arch9wavefront6targetE1EEEvSK_
; %bb.0:
	.section	.rodata,"a",@progbits
	.p2align	6, 0x0
	.amdhsa_kernel _ZN7rocprim17ROCPRIM_400000_NS6detail17trampoline_kernelINS0_14default_configENS1_36segmented_radix_sort_config_selectorIslEEZNS1_25segmented_radix_sort_implIS3_Lb0EPKsPsPKlPlN2at6native12_GLOBAL__N_18offset_tEEE10hipError_tPvRmT1_PNSt15iterator_traitsISK_E10value_typeET2_T3_PNSL_ISQ_E10value_typeET4_jRbjT5_SW_jjP12ihipStream_tbEUlT_E2_NS1_11comp_targetILNS1_3genE3ELNS1_11target_archE908ELNS1_3gpuE7ELNS1_3repE0EEENS1_30default_config_static_selectorELNS0_4arch9wavefront6targetE1EEEvSK_
		.amdhsa_group_segment_fixed_size 0
		.amdhsa_private_segment_fixed_size 0
		.amdhsa_kernarg_size 80
		.amdhsa_user_sgpr_count 6
		.amdhsa_user_sgpr_private_segment_buffer 1
		.amdhsa_user_sgpr_dispatch_ptr 0
		.amdhsa_user_sgpr_queue_ptr 0
		.amdhsa_user_sgpr_kernarg_segment_ptr 1
		.amdhsa_user_sgpr_dispatch_id 0
		.amdhsa_user_sgpr_flat_scratch_init 0
		.amdhsa_user_sgpr_kernarg_preload_length 0
		.amdhsa_user_sgpr_kernarg_preload_offset 0
		.amdhsa_user_sgpr_private_segment_size 0
		.amdhsa_uses_dynamic_stack 0
		.amdhsa_system_sgpr_private_segment_wavefront_offset 0
		.amdhsa_system_sgpr_workgroup_id_x 1
		.amdhsa_system_sgpr_workgroup_id_y 0
		.amdhsa_system_sgpr_workgroup_id_z 0
		.amdhsa_system_sgpr_workgroup_info 0
		.amdhsa_system_vgpr_workitem_id 0
		.amdhsa_next_free_vgpr 1
		.amdhsa_next_free_sgpr 0
		.amdhsa_accum_offset 4
		.amdhsa_reserve_vcc 0
		.amdhsa_reserve_flat_scratch 0
		.amdhsa_float_round_mode_32 0
		.amdhsa_float_round_mode_16_64 0
		.amdhsa_float_denorm_mode_32 3
		.amdhsa_float_denorm_mode_16_64 3
		.amdhsa_dx10_clamp 1
		.amdhsa_ieee_mode 1
		.amdhsa_fp16_overflow 0
		.amdhsa_tg_split 0
		.amdhsa_exception_fp_ieee_invalid_op 0
		.amdhsa_exception_fp_denorm_src 0
		.amdhsa_exception_fp_ieee_div_zero 0
		.amdhsa_exception_fp_ieee_overflow 0
		.amdhsa_exception_fp_ieee_underflow 0
		.amdhsa_exception_fp_ieee_inexact 0
		.amdhsa_exception_int_div_zero 0
	.end_amdhsa_kernel
	.section	.text._ZN7rocprim17ROCPRIM_400000_NS6detail17trampoline_kernelINS0_14default_configENS1_36segmented_radix_sort_config_selectorIslEEZNS1_25segmented_radix_sort_implIS3_Lb0EPKsPsPKlPlN2at6native12_GLOBAL__N_18offset_tEEE10hipError_tPvRmT1_PNSt15iterator_traitsISK_E10value_typeET2_T3_PNSL_ISQ_E10value_typeET4_jRbjT5_SW_jjP12ihipStream_tbEUlT_E2_NS1_11comp_targetILNS1_3genE3ELNS1_11target_archE908ELNS1_3gpuE7ELNS1_3repE0EEENS1_30default_config_static_selectorELNS0_4arch9wavefront6targetE1EEEvSK_,"axG",@progbits,_ZN7rocprim17ROCPRIM_400000_NS6detail17trampoline_kernelINS0_14default_configENS1_36segmented_radix_sort_config_selectorIslEEZNS1_25segmented_radix_sort_implIS3_Lb0EPKsPsPKlPlN2at6native12_GLOBAL__N_18offset_tEEE10hipError_tPvRmT1_PNSt15iterator_traitsISK_E10value_typeET2_T3_PNSL_ISQ_E10value_typeET4_jRbjT5_SW_jjP12ihipStream_tbEUlT_E2_NS1_11comp_targetILNS1_3genE3ELNS1_11target_archE908ELNS1_3gpuE7ELNS1_3repE0EEENS1_30default_config_static_selectorELNS0_4arch9wavefront6targetE1EEEvSK_,comdat
.Lfunc_end1045:
	.size	_ZN7rocprim17ROCPRIM_400000_NS6detail17trampoline_kernelINS0_14default_configENS1_36segmented_radix_sort_config_selectorIslEEZNS1_25segmented_radix_sort_implIS3_Lb0EPKsPsPKlPlN2at6native12_GLOBAL__N_18offset_tEEE10hipError_tPvRmT1_PNSt15iterator_traitsISK_E10value_typeET2_T3_PNSL_ISQ_E10value_typeET4_jRbjT5_SW_jjP12ihipStream_tbEUlT_E2_NS1_11comp_targetILNS1_3genE3ELNS1_11target_archE908ELNS1_3gpuE7ELNS1_3repE0EEENS1_30default_config_static_selectorELNS0_4arch9wavefront6targetE1EEEvSK_, .Lfunc_end1045-_ZN7rocprim17ROCPRIM_400000_NS6detail17trampoline_kernelINS0_14default_configENS1_36segmented_radix_sort_config_selectorIslEEZNS1_25segmented_radix_sort_implIS3_Lb0EPKsPsPKlPlN2at6native12_GLOBAL__N_18offset_tEEE10hipError_tPvRmT1_PNSt15iterator_traitsISK_E10value_typeET2_T3_PNSL_ISQ_E10value_typeET4_jRbjT5_SW_jjP12ihipStream_tbEUlT_E2_NS1_11comp_targetILNS1_3genE3ELNS1_11target_archE908ELNS1_3gpuE7ELNS1_3repE0EEENS1_30default_config_static_selectorELNS0_4arch9wavefront6targetE1EEEvSK_
                                        ; -- End function
	.section	.AMDGPU.csdata,"",@progbits
; Kernel info:
; codeLenInByte = 0
; NumSgprs: 4
; NumVgprs: 0
; NumAgprs: 0
; TotalNumVgprs: 0
; ScratchSize: 0
; MemoryBound: 0
; FloatMode: 240
; IeeeMode: 1
; LDSByteSize: 0 bytes/workgroup (compile time only)
; SGPRBlocks: 0
; VGPRBlocks: 0
; NumSGPRsForWavesPerEU: 4
; NumVGPRsForWavesPerEU: 1
; AccumOffset: 4
; Occupancy: 8
; WaveLimiterHint : 0
; COMPUTE_PGM_RSRC2:SCRATCH_EN: 0
; COMPUTE_PGM_RSRC2:USER_SGPR: 6
; COMPUTE_PGM_RSRC2:TRAP_HANDLER: 0
; COMPUTE_PGM_RSRC2:TGID_X_EN: 1
; COMPUTE_PGM_RSRC2:TGID_Y_EN: 0
; COMPUTE_PGM_RSRC2:TGID_Z_EN: 0
; COMPUTE_PGM_RSRC2:TIDIG_COMP_CNT: 0
; COMPUTE_PGM_RSRC3_GFX90A:ACCUM_OFFSET: 0
; COMPUTE_PGM_RSRC3_GFX90A:TG_SPLIT: 0
	.section	.text._ZN7rocprim17ROCPRIM_400000_NS6detail17trampoline_kernelINS0_14default_configENS1_36segmented_radix_sort_config_selectorIslEEZNS1_25segmented_radix_sort_implIS3_Lb0EPKsPsPKlPlN2at6native12_GLOBAL__N_18offset_tEEE10hipError_tPvRmT1_PNSt15iterator_traitsISK_E10value_typeET2_T3_PNSL_ISQ_E10value_typeET4_jRbjT5_SW_jjP12ihipStream_tbEUlT_E2_NS1_11comp_targetILNS1_3genE2ELNS1_11target_archE906ELNS1_3gpuE6ELNS1_3repE0EEENS1_30default_config_static_selectorELNS0_4arch9wavefront6targetE1EEEvSK_,"axG",@progbits,_ZN7rocprim17ROCPRIM_400000_NS6detail17trampoline_kernelINS0_14default_configENS1_36segmented_radix_sort_config_selectorIslEEZNS1_25segmented_radix_sort_implIS3_Lb0EPKsPsPKlPlN2at6native12_GLOBAL__N_18offset_tEEE10hipError_tPvRmT1_PNSt15iterator_traitsISK_E10value_typeET2_T3_PNSL_ISQ_E10value_typeET4_jRbjT5_SW_jjP12ihipStream_tbEUlT_E2_NS1_11comp_targetILNS1_3genE2ELNS1_11target_archE906ELNS1_3gpuE6ELNS1_3repE0EEENS1_30default_config_static_selectorELNS0_4arch9wavefront6targetE1EEEvSK_,comdat
	.globl	_ZN7rocprim17ROCPRIM_400000_NS6detail17trampoline_kernelINS0_14default_configENS1_36segmented_radix_sort_config_selectorIslEEZNS1_25segmented_radix_sort_implIS3_Lb0EPKsPsPKlPlN2at6native12_GLOBAL__N_18offset_tEEE10hipError_tPvRmT1_PNSt15iterator_traitsISK_E10value_typeET2_T3_PNSL_ISQ_E10value_typeET4_jRbjT5_SW_jjP12ihipStream_tbEUlT_E2_NS1_11comp_targetILNS1_3genE2ELNS1_11target_archE906ELNS1_3gpuE6ELNS1_3repE0EEENS1_30default_config_static_selectorELNS0_4arch9wavefront6targetE1EEEvSK_ ; -- Begin function _ZN7rocprim17ROCPRIM_400000_NS6detail17trampoline_kernelINS0_14default_configENS1_36segmented_radix_sort_config_selectorIslEEZNS1_25segmented_radix_sort_implIS3_Lb0EPKsPsPKlPlN2at6native12_GLOBAL__N_18offset_tEEE10hipError_tPvRmT1_PNSt15iterator_traitsISK_E10value_typeET2_T3_PNSL_ISQ_E10value_typeET4_jRbjT5_SW_jjP12ihipStream_tbEUlT_E2_NS1_11comp_targetILNS1_3genE2ELNS1_11target_archE906ELNS1_3gpuE6ELNS1_3repE0EEENS1_30default_config_static_selectorELNS0_4arch9wavefront6targetE1EEEvSK_
	.p2align	8
	.type	_ZN7rocprim17ROCPRIM_400000_NS6detail17trampoline_kernelINS0_14default_configENS1_36segmented_radix_sort_config_selectorIslEEZNS1_25segmented_radix_sort_implIS3_Lb0EPKsPsPKlPlN2at6native12_GLOBAL__N_18offset_tEEE10hipError_tPvRmT1_PNSt15iterator_traitsISK_E10value_typeET2_T3_PNSL_ISQ_E10value_typeET4_jRbjT5_SW_jjP12ihipStream_tbEUlT_E2_NS1_11comp_targetILNS1_3genE2ELNS1_11target_archE906ELNS1_3gpuE6ELNS1_3repE0EEENS1_30default_config_static_selectorELNS0_4arch9wavefront6targetE1EEEvSK_,@function
_ZN7rocprim17ROCPRIM_400000_NS6detail17trampoline_kernelINS0_14default_configENS1_36segmented_radix_sort_config_selectorIslEEZNS1_25segmented_radix_sort_implIS3_Lb0EPKsPsPKlPlN2at6native12_GLOBAL__N_18offset_tEEE10hipError_tPvRmT1_PNSt15iterator_traitsISK_E10value_typeET2_T3_PNSL_ISQ_E10value_typeET4_jRbjT5_SW_jjP12ihipStream_tbEUlT_E2_NS1_11comp_targetILNS1_3genE2ELNS1_11target_archE906ELNS1_3gpuE6ELNS1_3repE0EEENS1_30default_config_static_selectorELNS0_4arch9wavefront6targetE1EEEvSK_: ; @_ZN7rocprim17ROCPRIM_400000_NS6detail17trampoline_kernelINS0_14default_configENS1_36segmented_radix_sort_config_selectorIslEEZNS1_25segmented_radix_sort_implIS3_Lb0EPKsPsPKlPlN2at6native12_GLOBAL__N_18offset_tEEE10hipError_tPvRmT1_PNSt15iterator_traitsISK_E10value_typeET2_T3_PNSL_ISQ_E10value_typeET4_jRbjT5_SW_jjP12ihipStream_tbEUlT_E2_NS1_11comp_targetILNS1_3genE2ELNS1_11target_archE906ELNS1_3gpuE6ELNS1_3repE0EEENS1_30default_config_static_selectorELNS0_4arch9wavefront6targetE1EEEvSK_
; %bb.0:
	.section	.rodata,"a",@progbits
	.p2align	6, 0x0
	.amdhsa_kernel _ZN7rocprim17ROCPRIM_400000_NS6detail17trampoline_kernelINS0_14default_configENS1_36segmented_radix_sort_config_selectorIslEEZNS1_25segmented_radix_sort_implIS3_Lb0EPKsPsPKlPlN2at6native12_GLOBAL__N_18offset_tEEE10hipError_tPvRmT1_PNSt15iterator_traitsISK_E10value_typeET2_T3_PNSL_ISQ_E10value_typeET4_jRbjT5_SW_jjP12ihipStream_tbEUlT_E2_NS1_11comp_targetILNS1_3genE2ELNS1_11target_archE906ELNS1_3gpuE6ELNS1_3repE0EEENS1_30default_config_static_selectorELNS0_4arch9wavefront6targetE1EEEvSK_
		.amdhsa_group_segment_fixed_size 0
		.amdhsa_private_segment_fixed_size 0
		.amdhsa_kernarg_size 80
		.amdhsa_user_sgpr_count 6
		.amdhsa_user_sgpr_private_segment_buffer 1
		.amdhsa_user_sgpr_dispatch_ptr 0
		.amdhsa_user_sgpr_queue_ptr 0
		.amdhsa_user_sgpr_kernarg_segment_ptr 1
		.amdhsa_user_sgpr_dispatch_id 0
		.amdhsa_user_sgpr_flat_scratch_init 0
		.amdhsa_user_sgpr_kernarg_preload_length 0
		.amdhsa_user_sgpr_kernarg_preload_offset 0
		.amdhsa_user_sgpr_private_segment_size 0
		.amdhsa_uses_dynamic_stack 0
		.amdhsa_system_sgpr_private_segment_wavefront_offset 0
		.amdhsa_system_sgpr_workgroup_id_x 1
		.amdhsa_system_sgpr_workgroup_id_y 0
		.amdhsa_system_sgpr_workgroup_id_z 0
		.amdhsa_system_sgpr_workgroup_info 0
		.amdhsa_system_vgpr_workitem_id 0
		.amdhsa_next_free_vgpr 1
		.amdhsa_next_free_sgpr 0
		.amdhsa_accum_offset 4
		.amdhsa_reserve_vcc 0
		.amdhsa_reserve_flat_scratch 0
		.amdhsa_float_round_mode_32 0
		.amdhsa_float_round_mode_16_64 0
		.amdhsa_float_denorm_mode_32 3
		.amdhsa_float_denorm_mode_16_64 3
		.amdhsa_dx10_clamp 1
		.amdhsa_ieee_mode 1
		.amdhsa_fp16_overflow 0
		.amdhsa_tg_split 0
		.amdhsa_exception_fp_ieee_invalid_op 0
		.amdhsa_exception_fp_denorm_src 0
		.amdhsa_exception_fp_ieee_div_zero 0
		.amdhsa_exception_fp_ieee_overflow 0
		.amdhsa_exception_fp_ieee_underflow 0
		.amdhsa_exception_fp_ieee_inexact 0
		.amdhsa_exception_int_div_zero 0
	.end_amdhsa_kernel
	.section	.text._ZN7rocprim17ROCPRIM_400000_NS6detail17trampoline_kernelINS0_14default_configENS1_36segmented_radix_sort_config_selectorIslEEZNS1_25segmented_radix_sort_implIS3_Lb0EPKsPsPKlPlN2at6native12_GLOBAL__N_18offset_tEEE10hipError_tPvRmT1_PNSt15iterator_traitsISK_E10value_typeET2_T3_PNSL_ISQ_E10value_typeET4_jRbjT5_SW_jjP12ihipStream_tbEUlT_E2_NS1_11comp_targetILNS1_3genE2ELNS1_11target_archE906ELNS1_3gpuE6ELNS1_3repE0EEENS1_30default_config_static_selectorELNS0_4arch9wavefront6targetE1EEEvSK_,"axG",@progbits,_ZN7rocprim17ROCPRIM_400000_NS6detail17trampoline_kernelINS0_14default_configENS1_36segmented_radix_sort_config_selectorIslEEZNS1_25segmented_radix_sort_implIS3_Lb0EPKsPsPKlPlN2at6native12_GLOBAL__N_18offset_tEEE10hipError_tPvRmT1_PNSt15iterator_traitsISK_E10value_typeET2_T3_PNSL_ISQ_E10value_typeET4_jRbjT5_SW_jjP12ihipStream_tbEUlT_E2_NS1_11comp_targetILNS1_3genE2ELNS1_11target_archE906ELNS1_3gpuE6ELNS1_3repE0EEENS1_30default_config_static_selectorELNS0_4arch9wavefront6targetE1EEEvSK_,comdat
.Lfunc_end1046:
	.size	_ZN7rocprim17ROCPRIM_400000_NS6detail17trampoline_kernelINS0_14default_configENS1_36segmented_radix_sort_config_selectorIslEEZNS1_25segmented_radix_sort_implIS3_Lb0EPKsPsPKlPlN2at6native12_GLOBAL__N_18offset_tEEE10hipError_tPvRmT1_PNSt15iterator_traitsISK_E10value_typeET2_T3_PNSL_ISQ_E10value_typeET4_jRbjT5_SW_jjP12ihipStream_tbEUlT_E2_NS1_11comp_targetILNS1_3genE2ELNS1_11target_archE906ELNS1_3gpuE6ELNS1_3repE0EEENS1_30default_config_static_selectorELNS0_4arch9wavefront6targetE1EEEvSK_, .Lfunc_end1046-_ZN7rocprim17ROCPRIM_400000_NS6detail17trampoline_kernelINS0_14default_configENS1_36segmented_radix_sort_config_selectorIslEEZNS1_25segmented_radix_sort_implIS3_Lb0EPKsPsPKlPlN2at6native12_GLOBAL__N_18offset_tEEE10hipError_tPvRmT1_PNSt15iterator_traitsISK_E10value_typeET2_T3_PNSL_ISQ_E10value_typeET4_jRbjT5_SW_jjP12ihipStream_tbEUlT_E2_NS1_11comp_targetILNS1_3genE2ELNS1_11target_archE906ELNS1_3gpuE6ELNS1_3repE0EEENS1_30default_config_static_selectorELNS0_4arch9wavefront6targetE1EEEvSK_
                                        ; -- End function
	.section	.AMDGPU.csdata,"",@progbits
; Kernel info:
; codeLenInByte = 0
; NumSgprs: 4
; NumVgprs: 0
; NumAgprs: 0
; TotalNumVgprs: 0
; ScratchSize: 0
; MemoryBound: 0
; FloatMode: 240
; IeeeMode: 1
; LDSByteSize: 0 bytes/workgroup (compile time only)
; SGPRBlocks: 0
; VGPRBlocks: 0
; NumSGPRsForWavesPerEU: 4
; NumVGPRsForWavesPerEU: 1
; AccumOffset: 4
; Occupancy: 8
; WaveLimiterHint : 0
; COMPUTE_PGM_RSRC2:SCRATCH_EN: 0
; COMPUTE_PGM_RSRC2:USER_SGPR: 6
; COMPUTE_PGM_RSRC2:TRAP_HANDLER: 0
; COMPUTE_PGM_RSRC2:TGID_X_EN: 1
; COMPUTE_PGM_RSRC2:TGID_Y_EN: 0
; COMPUTE_PGM_RSRC2:TGID_Z_EN: 0
; COMPUTE_PGM_RSRC2:TIDIG_COMP_CNT: 0
; COMPUTE_PGM_RSRC3_GFX90A:ACCUM_OFFSET: 0
; COMPUTE_PGM_RSRC3_GFX90A:TG_SPLIT: 0
	.section	.text._ZN7rocprim17ROCPRIM_400000_NS6detail17trampoline_kernelINS0_14default_configENS1_36segmented_radix_sort_config_selectorIslEEZNS1_25segmented_radix_sort_implIS3_Lb0EPKsPsPKlPlN2at6native12_GLOBAL__N_18offset_tEEE10hipError_tPvRmT1_PNSt15iterator_traitsISK_E10value_typeET2_T3_PNSL_ISQ_E10value_typeET4_jRbjT5_SW_jjP12ihipStream_tbEUlT_E2_NS1_11comp_targetILNS1_3genE10ELNS1_11target_archE1201ELNS1_3gpuE5ELNS1_3repE0EEENS1_30default_config_static_selectorELNS0_4arch9wavefront6targetE1EEEvSK_,"axG",@progbits,_ZN7rocprim17ROCPRIM_400000_NS6detail17trampoline_kernelINS0_14default_configENS1_36segmented_radix_sort_config_selectorIslEEZNS1_25segmented_radix_sort_implIS3_Lb0EPKsPsPKlPlN2at6native12_GLOBAL__N_18offset_tEEE10hipError_tPvRmT1_PNSt15iterator_traitsISK_E10value_typeET2_T3_PNSL_ISQ_E10value_typeET4_jRbjT5_SW_jjP12ihipStream_tbEUlT_E2_NS1_11comp_targetILNS1_3genE10ELNS1_11target_archE1201ELNS1_3gpuE5ELNS1_3repE0EEENS1_30default_config_static_selectorELNS0_4arch9wavefront6targetE1EEEvSK_,comdat
	.globl	_ZN7rocprim17ROCPRIM_400000_NS6detail17trampoline_kernelINS0_14default_configENS1_36segmented_radix_sort_config_selectorIslEEZNS1_25segmented_radix_sort_implIS3_Lb0EPKsPsPKlPlN2at6native12_GLOBAL__N_18offset_tEEE10hipError_tPvRmT1_PNSt15iterator_traitsISK_E10value_typeET2_T3_PNSL_ISQ_E10value_typeET4_jRbjT5_SW_jjP12ihipStream_tbEUlT_E2_NS1_11comp_targetILNS1_3genE10ELNS1_11target_archE1201ELNS1_3gpuE5ELNS1_3repE0EEENS1_30default_config_static_selectorELNS0_4arch9wavefront6targetE1EEEvSK_ ; -- Begin function _ZN7rocprim17ROCPRIM_400000_NS6detail17trampoline_kernelINS0_14default_configENS1_36segmented_radix_sort_config_selectorIslEEZNS1_25segmented_radix_sort_implIS3_Lb0EPKsPsPKlPlN2at6native12_GLOBAL__N_18offset_tEEE10hipError_tPvRmT1_PNSt15iterator_traitsISK_E10value_typeET2_T3_PNSL_ISQ_E10value_typeET4_jRbjT5_SW_jjP12ihipStream_tbEUlT_E2_NS1_11comp_targetILNS1_3genE10ELNS1_11target_archE1201ELNS1_3gpuE5ELNS1_3repE0EEENS1_30default_config_static_selectorELNS0_4arch9wavefront6targetE1EEEvSK_
	.p2align	8
	.type	_ZN7rocprim17ROCPRIM_400000_NS6detail17trampoline_kernelINS0_14default_configENS1_36segmented_radix_sort_config_selectorIslEEZNS1_25segmented_radix_sort_implIS3_Lb0EPKsPsPKlPlN2at6native12_GLOBAL__N_18offset_tEEE10hipError_tPvRmT1_PNSt15iterator_traitsISK_E10value_typeET2_T3_PNSL_ISQ_E10value_typeET4_jRbjT5_SW_jjP12ihipStream_tbEUlT_E2_NS1_11comp_targetILNS1_3genE10ELNS1_11target_archE1201ELNS1_3gpuE5ELNS1_3repE0EEENS1_30default_config_static_selectorELNS0_4arch9wavefront6targetE1EEEvSK_,@function
_ZN7rocprim17ROCPRIM_400000_NS6detail17trampoline_kernelINS0_14default_configENS1_36segmented_radix_sort_config_selectorIslEEZNS1_25segmented_radix_sort_implIS3_Lb0EPKsPsPKlPlN2at6native12_GLOBAL__N_18offset_tEEE10hipError_tPvRmT1_PNSt15iterator_traitsISK_E10value_typeET2_T3_PNSL_ISQ_E10value_typeET4_jRbjT5_SW_jjP12ihipStream_tbEUlT_E2_NS1_11comp_targetILNS1_3genE10ELNS1_11target_archE1201ELNS1_3gpuE5ELNS1_3repE0EEENS1_30default_config_static_selectorELNS0_4arch9wavefront6targetE1EEEvSK_: ; @_ZN7rocprim17ROCPRIM_400000_NS6detail17trampoline_kernelINS0_14default_configENS1_36segmented_radix_sort_config_selectorIslEEZNS1_25segmented_radix_sort_implIS3_Lb0EPKsPsPKlPlN2at6native12_GLOBAL__N_18offset_tEEE10hipError_tPvRmT1_PNSt15iterator_traitsISK_E10value_typeET2_T3_PNSL_ISQ_E10value_typeET4_jRbjT5_SW_jjP12ihipStream_tbEUlT_E2_NS1_11comp_targetILNS1_3genE10ELNS1_11target_archE1201ELNS1_3gpuE5ELNS1_3repE0EEENS1_30default_config_static_selectorELNS0_4arch9wavefront6targetE1EEEvSK_
; %bb.0:
	.section	.rodata,"a",@progbits
	.p2align	6, 0x0
	.amdhsa_kernel _ZN7rocprim17ROCPRIM_400000_NS6detail17trampoline_kernelINS0_14default_configENS1_36segmented_radix_sort_config_selectorIslEEZNS1_25segmented_radix_sort_implIS3_Lb0EPKsPsPKlPlN2at6native12_GLOBAL__N_18offset_tEEE10hipError_tPvRmT1_PNSt15iterator_traitsISK_E10value_typeET2_T3_PNSL_ISQ_E10value_typeET4_jRbjT5_SW_jjP12ihipStream_tbEUlT_E2_NS1_11comp_targetILNS1_3genE10ELNS1_11target_archE1201ELNS1_3gpuE5ELNS1_3repE0EEENS1_30default_config_static_selectorELNS0_4arch9wavefront6targetE1EEEvSK_
		.amdhsa_group_segment_fixed_size 0
		.amdhsa_private_segment_fixed_size 0
		.amdhsa_kernarg_size 80
		.amdhsa_user_sgpr_count 6
		.amdhsa_user_sgpr_private_segment_buffer 1
		.amdhsa_user_sgpr_dispatch_ptr 0
		.amdhsa_user_sgpr_queue_ptr 0
		.amdhsa_user_sgpr_kernarg_segment_ptr 1
		.amdhsa_user_sgpr_dispatch_id 0
		.amdhsa_user_sgpr_flat_scratch_init 0
		.amdhsa_user_sgpr_kernarg_preload_length 0
		.amdhsa_user_sgpr_kernarg_preload_offset 0
		.amdhsa_user_sgpr_private_segment_size 0
		.amdhsa_uses_dynamic_stack 0
		.amdhsa_system_sgpr_private_segment_wavefront_offset 0
		.amdhsa_system_sgpr_workgroup_id_x 1
		.amdhsa_system_sgpr_workgroup_id_y 0
		.amdhsa_system_sgpr_workgroup_id_z 0
		.amdhsa_system_sgpr_workgroup_info 0
		.amdhsa_system_vgpr_workitem_id 0
		.amdhsa_next_free_vgpr 1
		.amdhsa_next_free_sgpr 0
		.amdhsa_accum_offset 4
		.amdhsa_reserve_vcc 0
		.amdhsa_reserve_flat_scratch 0
		.amdhsa_float_round_mode_32 0
		.amdhsa_float_round_mode_16_64 0
		.amdhsa_float_denorm_mode_32 3
		.amdhsa_float_denorm_mode_16_64 3
		.amdhsa_dx10_clamp 1
		.amdhsa_ieee_mode 1
		.amdhsa_fp16_overflow 0
		.amdhsa_tg_split 0
		.amdhsa_exception_fp_ieee_invalid_op 0
		.amdhsa_exception_fp_denorm_src 0
		.amdhsa_exception_fp_ieee_div_zero 0
		.amdhsa_exception_fp_ieee_overflow 0
		.amdhsa_exception_fp_ieee_underflow 0
		.amdhsa_exception_fp_ieee_inexact 0
		.amdhsa_exception_int_div_zero 0
	.end_amdhsa_kernel
	.section	.text._ZN7rocprim17ROCPRIM_400000_NS6detail17trampoline_kernelINS0_14default_configENS1_36segmented_radix_sort_config_selectorIslEEZNS1_25segmented_radix_sort_implIS3_Lb0EPKsPsPKlPlN2at6native12_GLOBAL__N_18offset_tEEE10hipError_tPvRmT1_PNSt15iterator_traitsISK_E10value_typeET2_T3_PNSL_ISQ_E10value_typeET4_jRbjT5_SW_jjP12ihipStream_tbEUlT_E2_NS1_11comp_targetILNS1_3genE10ELNS1_11target_archE1201ELNS1_3gpuE5ELNS1_3repE0EEENS1_30default_config_static_selectorELNS0_4arch9wavefront6targetE1EEEvSK_,"axG",@progbits,_ZN7rocprim17ROCPRIM_400000_NS6detail17trampoline_kernelINS0_14default_configENS1_36segmented_radix_sort_config_selectorIslEEZNS1_25segmented_radix_sort_implIS3_Lb0EPKsPsPKlPlN2at6native12_GLOBAL__N_18offset_tEEE10hipError_tPvRmT1_PNSt15iterator_traitsISK_E10value_typeET2_T3_PNSL_ISQ_E10value_typeET4_jRbjT5_SW_jjP12ihipStream_tbEUlT_E2_NS1_11comp_targetILNS1_3genE10ELNS1_11target_archE1201ELNS1_3gpuE5ELNS1_3repE0EEENS1_30default_config_static_selectorELNS0_4arch9wavefront6targetE1EEEvSK_,comdat
.Lfunc_end1047:
	.size	_ZN7rocprim17ROCPRIM_400000_NS6detail17trampoline_kernelINS0_14default_configENS1_36segmented_radix_sort_config_selectorIslEEZNS1_25segmented_radix_sort_implIS3_Lb0EPKsPsPKlPlN2at6native12_GLOBAL__N_18offset_tEEE10hipError_tPvRmT1_PNSt15iterator_traitsISK_E10value_typeET2_T3_PNSL_ISQ_E10value_typeET4_jRbjT5_SW_jjP12ihipStream_tbEUlT_E2_NS1_11comp_targetILNS1_3genE10ELNS1_11target_archE1201ELNS1_3gpuE5ELNS1_3repE0EEENS1_30default_config_static_selectorELNS0_4arch9wavefront6targetE1EEEvSK_, .Lfunc_end1047-_ZN7rocprim17ROCPRIM_400000_NS6detail17trampoline_kernelINS0_14default_configENS1_36segmented_radix_sort_config_selectorIslEEZNS1_25segmented_radix_sort_implIS3_Lb0EPKsPsPKlPlN2at6native12_GLOBAL__N_18offset_tEEE10hipError_tPvRmT1_PNSt15iterator_traitsISK_E10value_typeET2_T3_PNSL_ISQ_E10value_typeET4_jRbjT5_SW_jjP12ihipStream_tbEUlT_E2_NS1_11comp_targetILNS1_3genE10ELNS1_11target_archE1201ELNS1_3gpuE5ELNS1_3repE0EEENS1_30default_config_static_selectorELNS0_4arch9wavefront6targetE1EEEvSK_
                                        ; -- End function
	.section	.AMDGPU.csdata,"",@progbits
; Kernel info:
; codeLenInByte = 0
; NumSgprs: 4
; NumVgprs: 0
; NumAgprs: 0
; TotalNumVgprs: 0
; ScratchSize: 0
; MemoryBound: 0
; FloatMode: 240
; IeeeMode: 1
; LDSByteSize: 0 bytes/workgroup (compile time only)
; SGPRBlocks: 0
; VGPRBlocks: 0
; NumSGPRsForWavesPerEU: 4
; NumVGPRsForWavesPerEU: 1
; AccumOffset: 4
; Occupancy: 8
; WaveLimiterHint : 0
; COMPUTE_PGM_RSRC2:SCRATCH_EN: 0
; COMPUTE_PGM_RSRC2:USER_SGPR: 6
; COMPUTE_PGM_RSRC2:TRAP_HANDLER: 0
; COMPUTE_PGM_RSRC2:TGID_X_EN: 1
; COMPUTE_PGM_RSRC2:TGID_Y_EN: 0
; COMPUTE_PGM_RSRC2:TGID_Z_EN: 0
; COMPUTE_PGM_RSRC2:TIDIG_COMP_CNT: 0
; COMPUTE_PGM_RSRC3_GFX90A:ACCUM_OFFSET: 0
; COMPUTE_PGM_RSRC3_GFX90A:TG_SPLIT: 0
	.section	.text._ZN7rocprim17ROCPRIM_400000_NS6detail17trampoline_kernelINS0_14default_configENS1_36segmented_radix_sort_config_selectorIslEEZNS1_25segmented_radix_sort_implIS3_Lb0EPKsPsPKlPlN2at6native12_GLOBAL__N_18offset_tEEE10hipError_tPvRmT1_PNSt15iterator_traitsISK_E10value_typeET2_T3_PNSL_ISQ_E10value_typeET4_jRbjT5_SW_jjP12ihipStream_tbEUlT_E2_NS1_11comp_targetILNS1_3genE10ELNS1_11target_archE1200ELNS1_3gpuE4ELNS1_3repE0EEENS1_30default_config_static_selectorELNS0_4arch9wavefront6targetE1EEEvSK_,"axG",@progbits,_ZN7rocprim17ROCPRIM_400000_NS6detail17trampoline_kernelINS0_14default_configENS1_36segmented_radix_sort_config_selectorIslEEZNS1_25segmented_radix_sort_implIS3_Lb0EPKsPsPKlPlN2at6native12_GLOBAL__N_18offset_tEEE10hipError_tPvRmT1_PNSt15iterator_traitsISK_E10value_typeET2_T3_PNSL_ISQ_E10value_typeET4_jRbjT5_SW_jjP12ihipStream_tbEUlT_E2_NS1_11comp_targetILNS1_3genE10ELNS1_11target_archE1200ELNS1_3gpuE4ELNS1_3repE0EEENS1_30default_config_static_selectorELNS0_4arch9wavefront6targetE1EEEvSK_,comdat
	.globl	_ZN7rocprim17ROCPRIM_400000_NS6detail17trampoline_kernelINS0_14default_configENS1_36segmented_radix_sort_config_selectorIslEEZNS1_25segmented_radix_sort_implIS3_Lb0EPKsPsPKlPlN2at6native12_GLOBAL__N_18offset_tEEE10hipError_tPvRmT1_PNSt15iterator_traitsISK_E10value_typeET2_T3_PNSL_ISQ_E10value_typeET4_jRbjT5_SW_jjP12ihipStream_tbEUlT_E2_NS1_11comp_targetILNS1_3genE10ELNS1_11target_archE1200ELNS1_3gpuE4ELNS1_3repE0EEENS1_30default_config_static_selectorELNS0_4arch9wavefront6targetE1EEEvSK_ ; -- Begin function _ZN7rocprim17ROCPRIM_400000_NS6detail17trampoline_kernelINS0_14default_configENS1_36segmented_radix_sort_config_selectorIslEEZNS1_25segmented_radix_sort_implIS3_Lb0EPKsPsPKlPlN2at6native12_GLOBAL__N_18offset_tEEE10hipError_tPvRmT1_PNSt15iterator_traitsISK_E10value_typeET2_T3_PNSL_ISQ_E10value_typeET4_jRbjT5_SW_jjP12ihipStream_tbEUlT_E2_NS1_11comp_targetILNS1_3genE10ELNS1_11target_archE1200ELNS1_3gpuE4ELNS1_3repE0EEENS1_30default_config_static_selectorELNS0_4arch9wavefront6targetE1EEEvSK_
	.p2align	8
	.type	_ZN7rocprim17ROCPRIM_400000_NS6detail17trampoline_kernelINS0_14default_configENS1_36segmented_radix_sort_config_selectorIslEEZNS1_25segmented_radix_sort_implIS3_Lb0EPKsPsPKlPlN2at6native12_GLOBAL__N_18offset_tEEE10hipError_tPvRmT1_PNSt15iterator_traitsISK_E10value_typeET2_T3_PNSL_ISQ_E10value_typeET4_jRbjT5_SW_jjP12ihipStream_tbEUlT_E2_NS1_11comp_targetILNS1_3genE10ELNS1_11target_archE1200ELNS1_3gpuE4ELNS1_3repE0EEENS1_30default_config_static_selectorELNS0_4arch9wavefront6targetE1EEEvSK_,@function
_ZN7rocprim17ROCPRIM_400000_NS6detail17trampoline_kernelINS0_14default_configENS1_36segmented_radix_sort_config_selectorIslEEZNS1_25segmented_radix_sort_implIS3_Lb0EPKsPsPKlPlN2at6native12_GLOBAL__N_18offset_tEEE10hipError_tPvRmT1_PNSt15iterator_traitsISK_E10value_typeET2_T3_PNSL_ISQ_E10value_typeET4_jRbjT5_SW_jjP12ihipStream_tbEUlT_E2_NS1_11comp_targetILNS1_3genE10ELNS1_11target_archE1200ELNS1_3gpuE4ELNS1_3repE0EEENS1_30default_config_static_selectorELNS0_4arch9wavefront6targetE1EEEvSK_: ; @_ZN7rocprim17ROCPRIM_400000_NS6detail17trampoline_kernelINS0_14default_configENS1_36segmented_radix_sort_config_selectorIslEEZNS1_25segmented_radix_sort_implIS3_Lb0EPKsPsPKlPlN2at6native12_GLOBAL__N_18offset_tEEE10hipError_tPvRmT1_PNSt15iterator_traitsISK_E10value_typeET2_T3_PNSL_ISQ_E10value_typeET4_jRbjT5_SW_jjP12ihipStream_tbEUlT_E2_NS1_11comp_targetILNS1_3genE10ELNS1_11target_archE1200ELNS1_3gpuE4ELNS1_3repE0EEENS1_30default_config_static_selectorELNS0_4arch9wavefront6targetE1EEEvSK_
; %bb.0:
	.section	.rodata,"a",@progbits
	.p2align	6, 0x0
	.amdhsa_kernel _ZN7rocprim17ROCPRIM_400000_NS6detail17trampoline_kernelINS0_14default_configENS1_36segmented_radix_sort_config_selectorIslEEZNS1_25segmented_radix_sort_implIS3_Lb0EPKsPsPKlPlN2at6native12_GLOBAL__N_18offset_tEEE10hipError_tPvRmT1_PNSt15iterator_traitsISK_E10value_typeET2_T3_PNSL_ISQ_E10value_typeET4_jRbjT5_SW_jjP12ihipStream_tbEUlT_E2_NS1_11comp_targetILNS1_3genE10ELNS1_11target_archE1200ELNS1_3gpuE4ELNS1_3repE0EEENS1_30default_config_static_selectorELNS0_4arch9wavefront6targetE1EEEvSK_
		.amdhsa_group_segment_fixed_size 0
		.amdhsa_private_segment_fixed_size 0
		.amdhsa_kernarg_size 80
		.amdhsa_user_sgpr_count 6
		.amdhsa_user_sgpr_private_segment_buffer 1
		.amdhsa_user_sgpr_dispatch_ptr 0
		.amdhsa_user_sgpr_queue_ptr 0
		.amdhsa_user_sgpr_kernarg_segment_ptr 1
		.amdhsa_user_sgpr_dispatch_id 0
		.amdhsa_user_sgpr_flat_scratch_init 0
		.amdhsa_user_sgpr_kernarg_preload_length 0
		.amdhsa_user_sgpr_kernarg_preload_offset 0
		.amdhsa_user_sgpr_private_segment_size 0
		.amdhsa_uses_dynamic_stack 0
		.amdhsa_system_sgpr_private_segment_wavefront_offset 0
		.amdhsa_system_sgpr_workgroup_id_x 1
		.amdhsa_system_sgpr_workgroup_id_y 0
		.amdhsa_system_sgpr_workgroup_id_z 0
		.amdhsa_system_sgpr_workgroup_info 0
		.amdhsa_system_vgpr_workitem_id 0
		.amdhsa_next_free_vgpr 1
		.amdhsa_next_free_sgpr 0
		.amdhsa_accum_offset 4
		.amdhsa_reserve_vcc 0
		.amdhsa_reserve_flat_scratch 0
		.amdhsa_float_round_mode_32 0
		.amdhsa_float_round_mode_16_64 0
		.amdhsa_float_denorm_mode_32 3
		.amdhsa_float_denorm_mode_16_64 3
		.amdhsa_dx10_clamp 1
		.amdhsa_ieee_mode 1
		.amdhsa_fp16_overflow 0
		.amdhsa_tg_split 0
		.amdhsa_exception_fp_ieee_invalid_op 0
		.amdhsa_exception_fp_denorm_src 0
		.amdhsa_exception_fp_ieee_div_zero 0
		.amdhsa_exception_fp_ieee_overflow 0
		.amdhsa_exception_fp_ieee_underflow 0
		.amdhsa_exception_fp_ieee_inexact 0
		.amdhsa_exception_int_div_zero 0
	.end_amdhsa_kernel
	.section	.text._ZN7rocprim17ROCPRIM_400000_NS6detail17trampoline_kernelINS0_14default_configENS1_36segmented_radix_sort_config_selectorIslEEZNS1_25segmented_radix_sort_implIS3_Lb0EPKsPsPKlPlN2at6native12_GLOBAL__N_18offset_tEEE10hipError_tPvRmT1_PNSt15iterator_traitsISK_E10value_typeET2_T3_PNSL_ISQ_E10value_typeET4_jRbjT5_SW_jjP12ihipStream_tbEUlT_E2_NS1_11comp_targetILNS1_3genE10ELNS1_11target_archE1200ELNS1_3gpuE4ELNS1_3repE0EEENS1_30default_config_static_selectorELNS0_4arch9wavefront6targetE1EEEvSK_,"axG",@progbits,_ZN7rocprim17ROCPRIM_400000_NS6detail17trampoline_kernelINS0_14default_configENS1_36segmented_radix_sort_config_selectorIslEEZNS1_25segmented_radix_sort_implIS3_Lb0EPKsPsPKlPlN2at6native12_GLOBAL__N_18offset_tEEE10hipError_tPvRmT1_PNSt15iterator_traitsISK_E10value_typeET2_T3_PNSL_ISQ_E10value_typeET4_jRbjT5_SW_jjP12ihipStream_tbEUlT_E2_NS1_11comp_targetILNS1_3genE10ELNS1_11target_archE1200ELNS1_3gpuE4ELNS1_3repE0EEENS1_30default_config_static_selectorELNS0_4arch9wavefront6targetE1EEEvSK_,comdat
.Lfunc_end1048:
	.size	_ZN7rocprim17ROCPRIM_400000_NS6detail17trampoline_kernelINS0_14default_configENS1_36segmented_radix_sort_config_selectorIslEEZNS1_25segmented_radix_sort_implIS3_Lb0EPKsPsPKlPlN2at6native12_GLOBAL__N_18offset_tEEE10hipError_tPvRmT1_PNSt15iterator_traitsISK_E10value_typeET2_T3_PNSL_ISQ_E10value_typeET4_jRbjT5_SW_jjP12ihipStream_tbEUlT_E2_NS1_11comp_targetILNS1_3genE10ELNS1_11target_archE1200ELNS1_3gpuE4ELNS1_3repE0EEENS1_30default_config_static_selectorELNS0_4arch9wavefront6targetE1EEEvSK_, .Lfunc_end1048-_ZN7rocprim17ROCPRIM_400000_NS6detail17trampoline_kernelINS0_14default_configENS1_36segmented_radix_sort_config_selectorIslEEZNS1_25segmented_radix_sort_implIS3_Lb0EPKsPsPKlPlN2at6native12_GLOBAL__N_18offset_tEEE10hipError_tPvRmT1_PNSt15iterator_traitsISK_E10value_typeET2_T3_PNSL_ISQ_E10value_typeET4_jRbjT5_SW_jjP12ihipStream_tbEUlT_E2_NS1_11comp_targetILNS1_3genE10ELNS1_11target_archE1200ELNS1_3gpuE4ELNS1_3repE0EEENS1_30default_config_static_selectorELNS0_4arch9wavefront6targetE1EEEvSK_
                                        ; -- End function
	.section	.AMDGPU.csdata,"",@progbits
; Kernel info:
; codeLenInByte = 0
; NumSgprs: 4
; NumVgprs: 0
; NumAgprs: 0
; TotalNumVgprs: 0
; ScratchSize: 0
; MemoryBound: 0
; FloatMode: 240
; IeeeMode: 1
; LDSByteSize: 0 bytes/workgroup (compile time only)
; SGPRBlocks: 0
; VGPRBlocks: 0
; NumSGPRsForWavesPerEU: 4
; NumVGPRsForWavesPerEU: 1
; AccumOffset: 4
; Occupancy: 8
; WaveLimiterHint : 0
; COMPUTE_PGM_RSRC2:SCRATCH_EN: 0
; COMPUTE_PGM_RSRC2:USER_SGPR: 6
; COMPUTE_PGM_RSRC2:TRAP_HANDLER: 0
; COMPUTE_PGM_RSRC2:TGID_X_EN: 1
; COMPUTE_PGM_RSRC2:TGID_Y_EN: 0
; COMPUTE_PGM_RSRC2:TGID_Z_EN: 0
; COMPUTE_PGM_RSRC2:TIDIG_COMP_CNT: 0
; COMPUTE_PGM_RSRC3_GFX90A:ACCUM_OFFSET: 0
; COMPUTE_PGM_RSRC3_GFX90A:TG_SPLIT: 0
	.section	.text._ZN7rocprim17ROCPRIM_400000_NS6detail17trampoline_kernelINS0_14default_configENS1_36segmented_radix_sort_config_selectorIslEEZNS1_25segmented_radix_sort_implIS3_Lb0EPKsPsPKlPlN2at6native12_GLOBAL__N_18offset_tEEE10hipError_tPvRmT1_PNSt15iterator_traitsISK_E10value_typeET2_T3_PNSL_ISQ_E10value_typeET4_jRbjT5_SW_jjP12ihipStream_tbEUlT_E2_NS1_11comp_targetILNS1_3genE9ELNS1_11target_archE1100ELNS1_3gpuE3ELNS1_3repE0EEENS1_30default_config_static_selectorELNS0_4arch9wavefront6targetE1EEEvSK_,"axG",@progbits,_ZN7rocprim17ROCPRIM_400000_NS6detail17trampoline_kernelINS0_14default_configENS1_36segmented_radix_sort_config_selectorIslEEZNS1_25segmented_radix_sort_implIS3_Lb0EPKsPsPKlPlN2at6native12_GLOBAL__N_18offset_tEEE10hipError_tPvRmT1_PNSt15iterator_traitsISK_E10value_typeET2_T3_PNSL_ISQ_E10value_typeET4_jRbjT5_SW_jjP12ihipStream_tbEUlT_E2_NS1_11comp_targetILNS1_3genE9ELNS1_11target_archE1100ELNS1_3gpuE3ELNS1_3repE0EEENS1_30default_config_static_selectorELNS0_4arch9wavefront6targetE1EEEvSK_,comdat
	.globl	_ZN7rocprim17ROCPRIM_400000_NS6detail17trampoline_kernelINS0_14default_configENS1_36segmented_radix_sort_config_selectorIslEEZNS1_25segmented_radix_sort_implIS3_Lb0EPKsPsPKlPlN2at6native12_GLOBAL__N_18offset_tEEE10hipError_tPvRmT1_PNSt15iterator_traitsISK_E10value_typeET2_T3_PNSL_ISQ_E10value_typeET4_jRbjT5_SW_jjP12ihipStream_tbEUlT_E2_NS1_11comp_targetILNS1_3genE9ELNS1_11target_archE1100ELNS1_3gpuE3ELNS1_3repE0EEENS1_30default_config_static_selectorELNS0_4arch9wavefront6targetE1EEEvSK_ ; -- Begin function _ZN7rocprim17ROCPRIM_400000_NS6detail17trampoline_kernelINS0_14default_configENS1_36segmented_radix_sort_config_selectorIslEEZNS1_25segmented_radix_sort_implIS3_Lb0EPKsPsPKlPlN2at6native12_GLOBAL__N_18offset_tEEE10hipError_tPvRmT1_PNSt15iterator_traitsISK_E10value_typeET2_T3_PNSL_ISQ_E10value_typeET4_jRbjT5_SW_jjP12ihipStream_tbEUlT_E2_NS1_11comp_targetILNS1_3genE9ELNS1_11target_archE1100ELNS1_3gpuE3ELNS1_3repE0EEENS1_30default_config_static_selectorELNS0_4arch9wavefront6targetE1EEEvSK_
	.p2align	8
	.type	_ZN7rocprim17ROCPRIM_400000_NS6detail17trampoline_kernelINS0_14default_configENS1_36segmented_radix_sort_config_selectorIslEEZNS1_25segmented_radix_sort_implIS3_Lb0EPKsPsPKlPlN2at6native12_GLOBAL__N_18offset_tEEE10hipError_tPvRmT1_PNSt15iterator_traitsISK_E10value_typeET2_T3_PNSL_ISQ_E10value_typeET4_jRbjT5_SW_jjP12ihipStream_tbEUlT_E2_NS1_11comp_targetILNS1_3genE9ELNS1_11target_archE1100ELNS1_3gpuE3ELNS1_3repE0EEENS1_30default_config_static_selectorELNS0_4arch9wavefront6targetE1EEEvSK_,@function
_ZN7rocprim17ROCPRIM_400000_NS6detail17trampoline_kernelINS0_14default_configENS1_36segmented_radix_sort_config_selectorIslEEZNS1_25segmented_radix_sort_implIS3_Lb0EPKsPsPKlPlN2at6native12_GLOBAL__N_18offset_tEEE10hipError_tPvRmT1_PNSt15iterator_traitsISK_E10value_typeET2_T3_PNSL_ISQ_E10value_typeET4_jRbjT5_SW_jjP12ihipStream_tbEUlT_E2_NS1_11comp_targetILNS1_3genE9ELNS1_11target_archE1100ELNS1_3gpuE3ELNS1_3repE0EEENS1_30default_config_static_selectorELNS0_4arch9wavefront6targetE1EEEvSK_: ; @_ZN7rocprim17ROCPRIM_400000_NS6detail17trampoline_kernelINS0_14default_configENS1_36segmented_radix_sort_config_selectorIslEEZNS1_25segmented_radix_sort_implIS3_Lb0EPKsPsPKlPlN2at6native12_GLOBAL__N_18offset_tEEE10hipError_tPvRmT1_PNSt15iterator_traitsISK_E10value_typeET2_T3_PNSL_ISQ_E10value_typeET4_jRbjT5_SW_jjP12ihipStream_tbEUlT_E2_NS1_11comp_targetILNS1_3genE9ELNS1_11target_archE1100ELNS1_3gpuE3ELNS1_3repE0EEENS1_30default_config_static_selectorELNS0_4arch9wavefront6targetE1EEEvSK_
; %bb.0:
	.section	.rodata,"a",@progbits
	.p2align	6, 0x0
	.amdhsa_kernel _ZN7rocprim17ROCPRIM_400000_NS6detail17trampoline_kernelINS0_14default_configENS1_36segmented_radix_sort_config_selectorIslEEZNS1_25segmented_radix_sort_implIS3_Lb0EPKsPsPKlPlN2at6native12_GLOBAL__N_18offset_tEEE10hipError_tPvRmT1_PNSt15iterator_traitsISK_E10value_typeET2_T3_PNSL_ISQ_E10value_typeET4_jRbjT5_SW_jjP12ihipStream_tbEUlT_E2_NS1_11comp_targetILNS1_3genE9ELNS1_11target_archE1100ELNS1_3gpuE3ELNS1_3repE0EEENS1_30default_config_static_selectorELNS0_4arch9wavefront6targetE1EEEvSK_
		.amdhsa_group_segment_fixed_size 0
		.amdhsa_private_segment_fixed_size 0
		.amdhsa_kernarg_size 80
		.amdhsa_user_sgpr_count 6
		.amdhsa_user_sgpr_private_segment_buffer 1
		.amdhsa_user_sgpr_dispatch_ptr 0
		.amdhsa_user_sgpr_queue_ptr 0
		.amdhsa_user_sgpr_kernarg_segment_ptr 1
		.amdhsa_user_sgpr_dispatch_id 0
		.amdhsa_user_sgpr_flat_scratch_init 0
		.amdhsa_user_sgpr_kernarg_preload_length 0
		.amdhsa_user_sgpr_kernarg_preload_offset 0
		.amdhsa_user_sgpr_private_segment_size 0
		.amdhsa_uses_dynamic_stack 0
		.amdhsa_system_sgpr_private_segment_wavefront_offset 0
		.amdhsa_system_sgpr_workgroup_id_x 1
		.amdhsa_system_sgpr_workgroup_id_y 0
		.amdhsa_system_sgpr_workgroup_id_z 0
		.amdhsa_system_sgpr_workgroup_info 0
		.amdhsa_system_vgpr_workitem_id 0
		.amdhsa_next_free_vgpr 1
		.amdhsa_next_free_sgpr 0
		.amdhsa_accum_offset 4
		.amdhsa_reserve_vcc 0
		.amdhsa_reserve_flat_scratch 0
		.amdhsa_float_round_mode_32 0
		.amdhsa_float_round_mode_16_64 0
		.amdhsa_float_denorm_mode_32 3
		.amdhsa_float_denorm_mode_16_64 3
		.amdhsa_dx10_clamp 1
		.amdhsa_ieee_mode 1
		.amdhsa_fp16_overflow 0
		.amdhsa_tg_split 0
		.amdhsa_exception_fp_ieee_invalid_op 0
		.amdhsa_exception_fp_denorm_src 0
		.amdhsa_exception_fp_ieee_div_zero 0
		.amdhsa_exception_fp_ieee_overflow 0
		.amdhsa_exception_fp_ieee_underflow 0
		.amdhsa_exception_fp_ieee_inexact 0
		.amdhsa_exception_int_div_zero 0
	.end_amdhsa_kernel
	.section	.text._ZN7rocprim17ROCPRIM_400000_NS6detail17trampoline_kernelINS0_14default_configENS1_36segmented_radix_sort_config_selectorIslEEZNS1_25segmented_radix_sort_implIS3_Lb0EPKsPsPKlPlN2at6native12_GLOBAL__N_18offset_tEEE10hipError_tPvRmT1_PNSt15iterator_traitsISK_E10value_typeET2_T3_PNSL_ISQ_E10value_typeET4_jRbjT5_SW_jjP12ihipStream_tbEUlT_E2_NS1_11comp_targetILNS1_3genE9ELNS1_11target_archE1100ELNS1_3gpuE3ELNS1_3repE0EEENS1_30default_config_static_selectorELNS0_4arch9wavefront6targetE1EEEvSK_,"axG",@progbits,_ZN7rocprim17ROCPRIM_400000_NS6detail17trampoline_kernelINS0_14default_configENS1_36segmented_radix_sort_config_selectorIslEEZNS1_25segmented_radix_sort_implIS3_Lb0EPKsPsPKlPlN2at6native12_GLOBAL__N_18offset_tEEE10hipError_tPvRmT1_PNSt15iterator_traitsISK_E10value_typeET2_T3_PNSL_ISQ_E10value_typeET4_jRbjT5_SW_jjP12ihipStream_tbEUlT_E2_NS1_11comp_targetILNS1_3genE9ELNS1_11target_archE1100ELNS1_3gpuE3ELNS1_3repE0EEENS1_30default_config_static_selectorELNS0_4arch9wavefront6targetE1EEEvSK_,comdat
.Lfunc_end1049:
	.size	_ZN7rocprim17ROCPRIM_400000_NS6detail17trampoline_kernelINS0_14default_configENS1_36segmented_radix_sort_config_selectorIslEEZNS1_25segmented_radix_sort_implIS3_Lb0EPKsPsPKlPlN2at6native12_GLOBAL__N_18offset_tEEE10hipError_tPvRmT1_PNSt15iterator_traitsISK_E10value_typeET2_T3_PNSL_ISQ_E10value_typeET4_jRbjT5_SW_jjP12ihipStream_tbEUlT_E2_NS1_11comp_targetILNS1_3genE9ELNS1_11target_archE1100ELNS1_3gpuE3ELNS1_3repE0EEENS1_30default_config_static_selectorELNS0_4arch9wavefront6targetE1EEEvSK_, .Lfunc_end1049-_ZN7rocprim17ROCPRIM_400000_NS6detail17trampoline_kernelINS0_14default_configENS1_36segmented_radix_sort_config_selectorIslEEZNS1_25segmented_radix_sort_implIS3_Lb0EPKsPsPKlPlN2at6native12_GLOBAL__N_18offset_tEEE10hipError_tPvRmT1_PNSt15iterator_traitsISK_E10value_typeET2_T3_PNSL_ISQ_E10value_typeET4_jRbjT5_SW_jjP12ihipStream_tbEUlT_E2_NS1_11comp_targetILNS1_3genE9ELNS1_11target_archE1100ELNS1_3gpuE3ELNS1_3repE0EEENS1_30default_config_static_selectorELNS0_4arch9wavefront6targetE1EEEvSK_
                                        ; -- End function
	.section	.AMDGPU.csdata,"",@progbits
; Kernel info:
; codeLenInByte = 0
; NumSgprs: 4
; NumVgprs: 0
; NumAgprs: 0
; TotalNumVgprs: 0
; ScratchSize: 0
; MemoryBound: 0
; FloatMode: 240
; IeeeMode: 1
; LDSByteSize: 0 bytes/workgroup (compile time only)
; SGPRBlocks: 0
; VGPRBlocks: 0
; NumSGPRsForWavesPerEU: 4
; NumVGPRsForWavesPerEU: 1
; AccumOffset: 4
; Occupancy: 8
; WaveLimiterHint : 0
; COMPUTE_PGM_RSRC2:SCRATCH_EN: 0
; COMPUTE_PGM_RSRC2:USER_SGPR: 6
; COMPUTE_PGM_RSRC2:TRAP_HANDLER: 0
; COMPUTE_PGM_RSRC2:TGID_X_EN: 1
; COMPUTE_PGM_RSRC2:TGID_Y_EN: 0
; COMPUTE_PGM_RSRC2:TGID_Z_EN: 0
; COMPUTE_PGM_RSRC2:TIDIG_COMP_CNT: 0
; COMPUTE_PGM_RSRC3_GFX90A:ACCUM_OFFSET: 0
; COMPUTE_PGM_RSRC3_GFX90A:TG_SPLIT: 0
	.section	.text._ZN7rocprim17ROCPRIM_400000_NS6detail17trampoline_kernelINS0_14default_configENS1_36segmented_radix_sort_config_selectorIslEEZNS1_25segmented_radix_sort_implIS3_Lb0EPKsPsPKlPlN2at6native12_GLOBAL__N_18offset_tEEE10hipError_tPvRmT1_PNSt15iterator_traitsISK_E10value_typeET2_T3_PNSL_ISQ_E10value_typeET4_jRbjT5_SW_jjP12ihipStream_tbEUlT_E2_NS1_11comp_targetILNS1_3genE8ELNS1_11target_archE1030ELNS1_3gpuE2ELNS1_3repE0EEENS1_30default_config_static_selectorELNS0_4arch9wavefront6targetE1EEEvSK_,"axG",@progbits,_ZN7rocprim17ROCPRIM_400000_NS6detail17trampoline_kernelINS0_14default_configENS1_36segmented_radix_sort_config_selectorIslEEZNS1_25segmented_radix_sort_implIS3_Lb0EPKsPsPKlPlN2at6native12_GLOBAL__N_18offset_tEEE10hipError_tPvRmT1_PNSt15iterator_traitsISK_E10value_typeET2_T3_PNSL_ISQ_E10value_typeET4_jRbjT5_SW_jjP12ihipStream_tbEUlT_E2_NS1_11comp_targetILNS1_3genE8ELNS1_11target_archE1030ELNS1_3gpuE2ELNS1_3repE0EEENS1_30default_config_static_selectorELNS0_4arch9wavefront6targetE1EEEvSK_,comdat
	.globl	_ZN7rocprim17ROCPRIM_400000_NS6detail17trampoline_kernelINS0_14default_configENS1_36segmented_radix_sort_config_selectorIslEEZNS1_25segmented_radix_sort_implIS3_Lb0EPKsPsPKlPlN2at6native12_GLOBAL__N_18offset_tEEE10hipError_tPvRmT1_PNSt15iterator_traitsISK_E10value_typeET2_T3_PNSL_ISQ_E10value_typeET4_jRbjT5_SW_jjP12ihipStream_tbEUlT_E2_NS1_11comp_targetILNS1_3genE8ELNS1_11target_archE1030ELNS1_3gpuE2ELNS1_3repE0EEENS1_30default_config_static_selectorELNS0_4arch9wavefront6targetE1EEEvSK_ ; -- Begin function _ZN7rocprim17ROCPRIM_400000_NS6detail17trampoline_kernelINS0_14default_configENS1_36segmented_radix_sort_config_selectorIslEEZNS1_25segmented_radix_sort_implIS3_Lb0EPKsPsPKlPlN2at6native12_GLOBAL__N_18offset_tEEE10hipError_tPvRmT1_PNSt15iterator_traitsISK_E10value_typeET2_T3_PNSL_ISQ_E10value_typeET4_jRbjT5_SW_jjP12ihipStream_tbEUlT_E2_NS1_11comp_targetILNS1_3genE8ELNS1_11target_archE1030ELNS1_3gpuE2ELNS1_3repE0EEENS1_30default_config_static_selectorELNS0_4arch9wavefront6targetE1EEEvSK_
	.p2align	8
	.type	_ZN7rocprim17ROCPRIM_400000_NS6detail17trampoline_kernelINS0_14default_configENS1_36segmented_radix_sort_config_selectorIslEEZNS1_25segmented_radix_sort_implIS3_Lb0EPKsPsPKlPlN2at6native12_GLOBAL__N_18offset_tEEE10hipError_tPvRmT1_PNSt15iterator_traitsISK_E10value_typeET2_T3_PNSL_ISQ_E10value_typeET4_jRbjT5_SW_jjP12ihipStream_tbEUlT_E2_NS1_11comp_targetILNS1_3genE8ELNS1_11target_archE1030ELNS1_3gpuE2ELNS1_3repE0EEENS1_30default_config_static_selectorELNS0_4arch9wavefront6targetE1EEEvSK_,@function
_ZN7rocprim17ROCPRIM_400000_NS6detail17trampoline_kernelINS0_14default_configENS1_36segmented_radix_sort_config_selectorIslEEZNS1_25segmented_radix_sort_implIS3_Lb0EPKsPsPKlPlN2at6native12_GLOBAL__N_18offset_tEEE10hipError_tPvRmT1_PNSt15iterator_traitsISK_E10value_typeET2_T3_PNSL_ISQ_E10value_typeET4_jRbjT5_SW_jjP12ihipStream_tbEUlT_E2_NS1_11comp_targetILNS1_3genE8ELNS1_11target_archE1030ELNS1_3gpuE2ELNS1_3repE0EEENS1_30default_config_static_selectorELNS0_4arch9wavefront6targetE1EEEvSK_: ; @_ZN7rocprim17ROCPRIM_400000_NS6detail17trampoline_kernelINS0_14default_configENS1_36segmented_radix_sort_config_selectorIslEEZNS1_25segmented_radix_sort_implIS3_Lb0EPKsPsPKlPlN2at6native12_GLOBAL__N_18offset_tEEE10hipError_tPvRmT1_PNSt15iterator_traitsISK_E10value_typeET2_T3_PNSL_ISQ_E10value_typeET4_jRbjT5_SW_jjP12ihipStream_tbEUlT_E2_NS1_11comp_targetILNS1_3genE8ELNS1_11target_archE1030ELNS1_3gpuE2ELNS1_3repE0EEENS1_30default_config_static_selectorELNS0_4arch9wavefront6targetE1EEEvSK_
; %bb.0:
	.section	.rodata,"a",@progbits
	.p2align	6, 0x0
	.amdhsa_kernel _ZN7rocprim17ROCPRIM_400000_NS6detail17trampoline_kernelINS0_14default_configENS1_36segmented_radix_sort_config_selectorIslEEZNS1_25segmented_radix_sort_implIS3_Lb0EPKsPsPKlPlN2at6native12_GLOBAL__N_18offset_tEEE10hipError_tPvRmT1_PNSt15iterator_traitsISK_E10value_typeET2_T3_PNSL_ISQ_E10value_typeET4_jRbjT5_SW_jjP12ihipStream_tbEUlT_E2_NS1_11comp_targetILNS1_3genE8ELNS1_11target_archE1030ELNS1_3gpuE2ELNS1_3repE0EEENS1_30default_config_static_selectorELNS0_4arch9wavefront6targetE1EEEvSK_
		.amdhsa_group_segment_fixed_size 0
		.amdhsa_private_segment_fixed_size 0
		.amdhsa_kernarg_size 80
		.amdhsa_user_sgpr_count 6
		.amdhsa_user_sgpr_private_segment_buffer 1
		.amdhsa_user_sgpr_dispatch_ptr 0
		.amdhsa_user_sgpr_queue_ptr 0
		.amdhsa_user_sgpr_kernarg_segment_ptr 1
		.amdhsa_user_sgpr_dispatch_id 0
		.amdhsa_user_sgpr_flat_scratch_init 0
		.amdhsa_user_sgpr_kernarg_preload_length 0
		.amdhsa_user_sgpr_kernarg_preload_offset 0
		.amdhsa_user_sgpr_private_segment_size 0
		.amdhsa_uses_dynamic_stack 0
		.amdhsa_system_sgpr_private_segment_wavefront_offset 0
		.amdhsa_system_sgpr_workgroup_id_x 1
		.amdhsa_system_sgpr_workgroup_id_y 0
		.amdhsa_system_sgpr_workgroup_id_z 0
		.amdhsa_system_sgpr_workgroup_info 0
		.amdhsa_system_vgpr_workitem_id 0
		.amdhsa_next_free_vgpr 1
		.amdhsa_next_free_sgpr 0
		.amdhsa_accum_offset 4
		.amdhsa_reserve_vcc 0
		.amdhsa_reserve_flat_scratch 0
		.amdhsa_float_round_mode_32 0
		.amdhsa_float_round_mode_16_64 0
		.amdhsa_float_denorm_mode_32 3
		.amdhsa_float_denorm_mode_16_64 3
		.amdhsa_dx10_clamp 1
		.amdhsa_ieee_mode 1
		.amdhsa_fp16_overflow 0
		.amdhsa_tg_split 0
		.amdhsa_exception_fp_ieee_invalid_op 0
		.amdhsa_exception_fp_denorm_src 0
		.amdhsa_exception_fp_ieee_div_zero 0
		.amdhsa_exception_fp_ieee_overflow 0
		.amdhsa_exception_fp_ieee_underflow 0
		.amdhsa_exception_fp_ieee_inexact 0
		.amdhsa_exception_int_div_zero 0
	.end_amdhsa_kernel
	.section	.text._ZN7rocprim17ROCPRIM_400000_NS6detail17trampoline_kernelINS0_14default_configENS1_36segmented_radix_sort_config_selectorIslEEZNS1_25segmented_radix_sort_implIS3_Lb0EPKsPsPKlPlN2at6native12_GLOBAL__N_18offset_tEEE10hipError_tPvRmT1_PNSt15iterator_traitsISK_E10value_typeET2_T3_PNSL_ISQ_E10value_typeET4_jRbjT5_SW_jjP12ihipStream_tbEUlT_E2_NS1_11comp_targetILNS1_3genE8ELNS1_11target_archE1030ELNS1_3gpuE2ELNS1_3repE0EEENS1_30default_config_static_selectorELNS0_4arch9wavefront6targetE1EEEvSK_,"axG",@progbits,_ZN7rocprim17ROCPRIM_400000_NS6detail17trampoline_kernelINS0_14default_configENS1_36segmented_radix_sort_config_selectorIslEEZNS1_25segmented_radix_sort_implIS3_Lb0EPKsPsPKlPlN2at6native12_GLOBAL__N_18offset_tEEE10hipError_tPvRmT1_PNSt15iterator_traitsISK_E10value_typeET2_T3_PNSL_ISQ_E10value_typeET4_jRbjT5_SW_jjP12ihipStream_tbEUlT_E2_NS1_11comp_targetILNS1_3genE8ELNS1_11target_archE1030ELNS1_3gpuE2ELNS1_3repE0EEENS1_30default_config_static_selectorELNS0_4arch9wavefront6targetE1EEEvSK_,comdat
.Lfunc_end1050:
	.size	_ZN7rocprim17ROCPRIM_400000_NS6detail17trampoline_kernelINS0_14default_configENS1_36segmented_radix_sort_config_selectorIslEEZNS1_25segmented_radix_sort_implIS3_Lb0EPKsPsPKlPlN2at6native12_GLOBAL__N_18offset_tEEE10hipError_tPvRmT1_PNSt15iterator_traitsISK_E10value_typeET2_T3_PNSL_ISQ_E10value_typeET4_jRbjT5_SW_jjP12ihipStream_tbEUlT_E2_NS1_11comp_targetILNS1_3genE8ELNS1_11target_archE1030ELNS1_3gpuE2ELNS1_3repE0EEENS1_30default_config_static_selectorELNS0_4arch9wavefront6targetE1EEEvSK_, .Lfunc_end1050-_ZN7rocprim17ROCPRIM_400000_NS6detail17trampoline_kernelINS0_14default_configENS1_36segmented_radix_sort_config_selectorIslEEZNS1_25segmented_radix_sort_implIS3_Lb0EPKsPsPKlPlN2at6native12_GLOBAL__N_18offset_tEEE10hipError_tPvRmT1_PNSt15iterator_traitsISK_E10value_typeET2_T3_PNSL_ISQ_E10value_typeET4_jRbjT5_SW_jjP12ihipStream_tbEUlT_E2_NS1_11comp_targetILNS1_3genE8ELNS1_11target_archE1030ELNS1_3gpuE2ELNS1_3repE0EEENS1_30default_config_static_selectorELNS0_4arch9wavefront6targetE1EEEvSK_
                                        ; -- End function
	.section	.AMDGPU.csdata,"",@progbits
; Kernel info:
; codeLenInByte = 0
; NumSgprs: 4
; NumVgprs: 0
; NumAgprs: 0
; TotalNumVgprs: 0
; ScratchSize: 0
; MemoryBound: 0
; FloatMode: 240
; IeeeMode: 1
; LDSByteSize: 0 bytes/workgroup (compile time only)
; SGPRBlocks: 0
; VGPRBlocks: 0
; NumSGPRsForWavesPerEU: 4
; NumVGPRsForWavesPerEU: 1
; AccumOffset: 4
; Occupancy: 8
; WaveLimiterHint : 0
; COMPUTE_PGM_RSRC2:SCRATCH_EN: 0
; COMPUTE_PGM_RSRC2:USER_SGPR: 6
; COMPUTE_PGM_RSRC2:TRAP_HANDLER: 0
; COMPUTE_PGM_RSRC2:TGID_X_EN: 1
; COMPUTE_PGM_RSRC2:TGID_Y_EN: 0
; COMPUTE_PGM_RSRC2:TGID_Z_EN: 0
; COMPUTE_PGM_RSRC2:TIDIG_COMP_CNT: 0
; COMPUTE_PGM_RSRC3_GFX90A:ACCUM_OFFSET: 0
; COMPUTE_PGM_RSRC3_GFX90A:TG_SPLIT: 0
	.section	.text._ZN2at6native12_GLOBAL__N_123sort_postprocess_kernelIdEEvPKT_PS3_PlPK15HIP_vector_typeIiLj2EEii,"axG",@progbits,_ZN2at6native12_GLOBAL__N_123sort_postprocess_kernelIdEEvPKT_PS3_PlPK15HIP_vector_typeIiLj2EEii,comdat
	.globl	_ZN2at6native12_GLOBAL__N_123sort_postprocess_kernelIdEEvPKT_PS3_PlPK15HIP_vector_typeIiLj2EEii ; -- Begin function _ZN2at6native12_GLOBAL__N_123sort_postprocess_kernelIdEEvPKT_PS3_PlPK15HIP_vector_typeIiLj2EEii
	.p2align	8
	.type	_ZN2at6native12_GLOBAL__N_123sort_postprocess_kernelIdEEvPKT_PS3_PlPK15HIP_vector_typeIiLj2EEii,@function
_ZN2at6native12_GLOBAL__N_123sort_postprocess_kernelIdEEvPKT_PS3_PlPK15HIP_vector_typeIiLj2EEii: ; @_ZN2at6native12_GLOBAL__N_123sort_postprocess_kernelIdEEvPKT_PS3_PlPK15HIP_vector_typeIiLj2EEii
; %bb.0:
	s_load_dword s0, s[4:5], 0x34
	s_load_dwordx2 s[8:9], s[4:5], 0x20
	s_add_u32 s2, s4, 40
	s_addc_u32 s3, s5, 0
	v_mov_b32_e32 v1, 0
	s_waitcnt lgkmcnt(0)
	s_and_b32 s7, s0, 0xffff
	v_mov_b32_e32 v2, s6
	v_mad_u64_u32 v[0:1], s[0:1], s7, v2, v[0:1]
	s_mul_i32 s0, s9, s8
	s_ashr_i32 s1, s0, 31
	v_cmp_gt_i64_e32 vcc, s[0:1], v[0:1]
	s_and_saveexec_b64 s[10:11], vcc
	s_cbranch_execz .LBB1051_3
; %bb.1:
	s_abs_i32 s6, s9
	v_cvt_f32_u32_e32 v2, s6
	s_load_dwordx8 s[8:15], s[4:5], 0x0
	s_load_dword s16, s[2:3], 0x0
	s_sub_i32 s17, 0, s6
	s_mov_b32 s5, 0
	v_rcp_iflag_f32_e32 v2, v2
	s_mov_b64 s[2:3], 0
	s_waitcnt lgkmcnt(0)
	s_mul_i32 s4, s16, s7
	v_mov_b32_e32 v3, s11
	v_mul_f32_e32 v2, 0x4f7ffffe, v2
	v_cvt_u32_f32_e32 v5, v2
	v_mov_b32_e32 v2, s9
	v_mov_b32_e32 v4, s13
	v_mov_b32_e32 v7, s5
	v_mul_lo_u32 v6, s17, v5
	v_mul_hi_u32 v6, v5, v6
	v_add_u32_e32 v5, v5, v6
	v_mov_b32_e32 v6, s15
.LBB1051_2:                             ; =>This Inner Loop Header: Depth=1
	v_sub_u32_e32 v9, 0, v0
	v_max_i32_e32 v9, v0, v9
	v_mul_hi_u32 v11, v9, v5
	v_mul_lo_u32 v11, v11, s6
	v_sub_u32_e32 v9, v9, v11
	v_subrev_u32_e32 v11, s6, v9
	v_cmp_le_u32_e32 vcc, s6, v9
	v_cndmask_b32_e32 v9, v9, v11, vcc
	v_subrev_u32_e32 v11, s6, v9
	v_cmp_le_u32_e32 vcc, s6, v9
	v_ashrrev_i32_e32 v8, 31, v0
	v_cndmask_b32_e32 v9, v9, v11, vcc
	v_add_u32_e32 v10, v0, v8
	v_xor_b32_e32 v9, v9, v8
	v_sub_u32_e32 v10, v10, v9
	v_ashrrev_i32_e32 v11, 31, v10
	v_sub_u32_e32 v8, v9, v8
	v_lshlrev_b64 v[10:11], 3, v[10:11]
	v_ashrrev_i32_e32 v9, 31, v8
	v_add_co_u32_e32 v12, vcc, s14, v10
	v_lshlrev_b64 v[8:9], 3, v[8:9]
	v_addc_co_u32_e32 v13, vcc, v6, v11, vcc
	v_add_co_u32_e32 v12, vcc, v12, v8
	v_addc_co_u32_e32 v13, vcc, v13, v9, vcc
	global_load_dword v12, v[12:13], off offset:4
	v_add_co_u32_e32 v16, vcc, s8, v10
	v_addc_co_u32_e32 v17, vcc, v2, v11, vcc
	s_waitcnt vmcnt(0)
	v_ashrrev_i32_e32 v13, 31, v12
	v_lshlrev_b64 v[14:15], 3, v[12:13]
	v_add_co_u32_e32 v14, vcc, v16, v14
	v_addc_co_u32_e32 v15, vcc, v17, v15, vcc
	global_load_dwordx2 v[14:15], v[14:15], off
	v_add_co_u32_e32 v0, vcc, s4, v0
	v_addc_co_u32_e32 v1, vcc, v1, v7, vcc
	v_cmp_le_i64_e32 vcc, s[0:1], v[0:1]
	s_or_b64 s[2:3], vcc, s[2:3]
	v_add_co_u32_e32 v16, vcc, s10, v10
	v_addc_co_u32_e32 v17, vcc, v3, v11, vcc
	v_add_co_u32_e32 v10, vcc, s12, v10
	v_addc_co_u32_e32 v11, vcc, v4, v11, vcc
	v_add_co_u32_e32 v10, vcc, v10, v8
	v_addc_co_u32_e32 v11, vcc, v11, v9, vcc
	v_add_co_u32_e32 v8, vcc, v16, v8
	v_addc_co_u32_e32 v9, vcc, v17, v9, vcc
	global_store_dwordx2 v[10:11], v[12:13], off
	s_waitcnt vmcnt(1)
	global_store_dwordx2 v[8:9], v[14:15], off
	s_andn2_b64 exec, exec, s[2:3]
	s_cbranch_execnz .LBB1051_2
.LBB1051_3:
	s_endpgm
	.section	.rodata,"a",@progbits
	.p2align	6, 0x0
	.amdhsa_kernel _ZN2at6native12_GLOBAL__N_123sort_postprocess_kernelIdEEvPKT_PS3_PlPK15HIP_vector_typeIiLj2EEii
		.amdhsa_group_segment_fixed_size 0
		.amdhsa_private_segment_fixed_size 0
		.amdhsa_kernarg_size 296
		.amdhsa_user_sgpr_count 6
		.amdhsa_user_sgpr_private_segment_buffer 1
		.amdhsa_user_sgpr_dispatch_ptr 0
		.amdhsa_user_sgpr_queue_ptr 0
		.amdhsa_user_sgpr_kernarg_segment_ptr 1
		.amdhsa_user_sgpr_dispatch_id 0
		.amdhsa_user_sgpr_flat_scratch_init 0
		.amdhsa_user_sgpr_kernarg_preload_length 0
		.amdhsa_user_sgpr_kernarg_preload_offset 0
		.amdhsa_user_sgpr_private_segment_size 0
		.amdhsa_uses_dynamic_stack 0
		.amdhsa_system_sgpr_private_segment_wavefront_offset 0
		.amdhsa_system_sgpr_workgroup_id_x 1
		.amdhsa_system_sgpr_workgroup_id_y 0
		.amdhsa_system_sgpr_workgroup_id_z 0
		.amdhsa_system_sgpr_workgroup_info 0
		.amdhsa_system_vgpr_workitem_id 0
		.amdhsa_next_free_vgpr 18
		.amdhsa_next_free_sgpr 18
		.amdhsa_accum_offset 20
		.amdhsa_reserve_vcc 1
		.amdhsa_reserve_flat_scratch 0
		.amdhsa_float_round_mode_32 0
		.amdhsa_float_round_mode_16_64 0
		.amdhsa_float_denorm_mode_32 3
		.amdhsa_float_denorm_mode_16_64 3
		.amdhsa_dx10_clamp 1
		.amdhsa_ieee_mode 1
		.amdhsa_fp16_overflow 0
		.amdhsa_tg_split 0
		.amdhsa_exception_fp_ieee_invalid_op 0
		.amdhsa_exception_fp_denorm_src 0
		.amdhsa_exception_fp_ieee_div_zero 0
		.amdhsa_exception_fp_ieee_overflow 0
		.amdhsa_exception_fp_ieee_underflow 0
		.amdhsa_exception_fp_ieee_inexact 0
		.amdhsa_exception_int_div_zero 0
	.end_amdhsa_kernel
	.section	.text._ZN2at6native12_GLOBAL__N_123sort_postprocess_kernelIdEEvPKT_PS3_PlPK15HIP_vector_typeIiLj2EEii,"axG",@progbits,_ZN2at6native12_GLOBAL__N_123sort_postprocess_kernelIdEEvPKT_PS3_PlPK15HIP_vector_typeIiLj2EEii,comdat
.Lfunc_end1051:
	.size	_ZN2at6native12_GLOBAL__N_123sort_postprocess_kernelIdEEvPKT_PS3_PlPK15HIP_vector_typeIiLj2EEii, .Lfunc_end1051-_ZN2at6native12_GLOBAL__N_123sort_postprocess_kernelIdEEvPKT_PS3_PlPK15HIP_vector_typeIiLj2EEii
                                        ; -- End function
	.section	.AMDGPU.csdata,"",@progbits
; Kernel info:
; codeLenInByte = 412
; NumSgprs: 22
; NumVgprs: 18
; NumAgprs: 0
; TotalNumVgprs: 18
; ScratchSize: 0
; MemoryBound: 0
; FloatMode: 240
; IeeeMode: 1
; LDSByteSize: 0 bytes/workgroup (compile time only)
; SGPRBlocks: 2
; VGPRBlocks: 2
; NumSGPRsForWavesPerEU: 22
; NumVGPRsForWavesPerEU: 18
; AccumOffset: 20
; Occupancy: 8
; WaveLimiterHint : 1
; COMPUTE_PGM_RSRC2:SCRATCH_EN: 0
; COMPUTE_PGM_RSRC2:USER_SGPR: 6
; COMPUTE_PGM_RSRC2:TRAP_HANDLER: 0
; COMPUTE_PGM_RSRC2:TGID_X_EN: 1
; COMPUTE_PGM_RSRC2:TGID_Y_EN: 0
; COMPUTE_PGM_RSRC2:TGID_Z_EN: 0
; COMPUTE_PGM_RSRC2:TIDIG_COMP_CNT: 0
; COMPUTE_PGM_RSRC3_GFX90A:ACCUM_OFFSET: 4
; COMPUTE_PGM_RSRC3_GFX90A:TG_SPLIT: 0
	.section	.text._ZN7rocprim17ROCPRIM_400000_NS6detail17trampoline_kernelINS0_13select_configILj256ELj13ELNS0_17block_load_methodE3ELS4_3ELS4_3ELNS0_20block_scan_algorithmE0ELj4294967295EEENS1_25partition_config_selectorILNS1_17partition_subalgoE4EjNS0_10empty_typeEbEEZZNS1_14partition_implILS8_4ELb0ES6_15HIP_vector_typeIjLj2EENS0_17counting_iteratorIjlEEPS9_SG_NS0_5tupleIJPjSI_NS0_16reverse_iteratorISI_EEEEENSH_IJSG_SG_SG_EEES9_SI_JZNS1_25segmented_radix_sort_implINS0_14default_configELb1EPKdPdPKlPlN2at6native12_GLOBAL__N_18offset_tEEE10hipError_tPvRmT1_PNSt15iterator_traitsIS12_E10value_typeET2_T3_PNS13_IS18_E10value_typeET4_jRbjT5_S1E_jjP12ihipStream_tbEUljE_ZNSN_ISO_Lb1ESQ_SR_ST_SU_SY_EESZ_S10_S11_S12_S16_S17_S18_S1B_S1C_jS1D_jS1E_S1E_jjS1G_bEUljE0_EEESZ_S10_S11_S18_S1C_S1E_T6_T7_T9_mT8_S1G_bDpT10_ENKUlT_T0_E_clISt17integral_constantIbLb0EES1U_EEDaS1P_S1Q_EUlS1P_E_NS1_11comp_targetILNS1_3genE0ELNS1_11target_archE4294967295ELNS1_3gpuE0ELNS1_3repE0EEENS1_30default_config_static_selectorELNS0_4arch9wavefront6targetE1EEEvS12_,"axG",@progbits,_ZN7rocprim17ROCPRIM_400000_NS6detail17trampoline_kernelINS0_13select_configILj256ELj13ELNS0_17block_load_methodE3ELS4_3ELS4_3ELNS0_20block_scan_algorithmE0ELj4294967295EEENS1_25partition_config_selectorILNS1_17partition_subalgoE4EjNS0_10empty_typeEbEEZZNS1_14partition_implILS8_4ELb0ES6_15HIP_vector_typeIjLj2EENS0_17counting_iteratorIjlEEPS9_SG_NS0_5tupleIJPjSI_NS0_16reverse_iteratorISI_EEEEENSH_IJSG_SG_SG_EEES9_SI_JZNS1_25segmented_radix_sort_implINS0_14default_configELb1EPKdPdPKlPlN2at6native12_GLOBAL__N_18offset_tEEE10hipError_tPvRmT1_PNSt15iterator_traitsIS12_E10value_typeET2_T3_PNS13_IS18_E10value_typeET4_jRbjT5_S1E_jjP12ihipStream_tbEUljE_ZNSN_ISO_Lb1ESQ_SR_ST_SU_SY_EESZ_S10_S11_S12_S16_S17_S18_S1B_S1C_jS1D_jS1E_S1E_jjS1G_bEUljE0_EEESZ_S10_S11_S18_S1C_S1E_T6_T7_T9_mT8_S1G_bDpT10_ENKUlT_T0_E_clISt17integral_constantIbLb0EES1U_EEDaS1P_S1Q_EUlS1P_E_NS1_11comp_targetILNS1_3genE0ELNS1_11target_archE4294967295ELNS1_3gpuE0ELNS1_3repE0EEENS1_30default_config_static_selectorELNS0_4arch9wavefront6targetE1EEEvS12_,comdat
	.globl	_ZN7rocprim17ROCPRIM_400000_NS6detail17trampoline_kernelINS0_13select_configILj256ELj13ELNS0_17block_load_methodE3ELS4_3ELS4_3ELNS0_20block_scan_algorithmE0ELj4294967295EEENS1_25partition_config_selectorILNS1_17partition_subalgoE4EjNS0_10empty_typeEbEEZZNS1_14partition_implILS8_4ELb0ES6_15HIP_vector_typeIjLj2EENS0_17counting_iteratorIjlEEPS9_SG_NS0_5tupleIJPjSI_NS0_16reverse_iteratorISI_EEEEENSH_IJSG_SG_SG_EEES9_SI_JZNS1_25segmented_radix_sort_implINS0_14default_configELb1EPKdPdPKlPlN2at6native12_GLOBAL__N_18offset_tEEE10hipError_tPvRmT1_PNSt15iterator_traitsIS12_E10value_typeET2_T3_PNS13_IS18_E10value_typeET4_jRbjT5_S1E_jjP12ihipStream_tbEUljE_ZNSN_ISO_Lb1ESQ_SR_ST_SU_SY_EESZ_S10_S11_S12_S16_S17_S18_S1B_S1C_jS1D_jS1E_S1E_jjS1G_bEUljE0_EEESZ_S10_S11_S18_S1C_S1E_T6_T7_T9_mT8_S1G_bDpT10_ENKUlT_T0_E_clISt17integral_constantIbLb0EES1U_EEDaS1P_S1Q_EUlS1P_E_NS1_11comp_targetILNS1_3genE0ELNS1_11target_archE4294967295ELNS1_3gpuE0ELNS1_3repE0EEENS1_30default_config_static_selectorELNS0_4arch9wavefront6targetE1EEEvS12_ ; -- Begin function _ZN7rocprim17ROCPRIM_400000_NS6detail17trampoline_kernelINS0_13select_configILj256ELj13ELNS0_17block_load_methodE3ELS4_3ELS4_3ELNS0_20block_scan_algorithmE0ELj4294967295EEENS1_25partition_config_selectorILNS1_17partition_subalgoE4EjNS0_10empty_typeEbEEZZNS1_14partition_implILS8_4ELb0ES6_15HIP_vector_typeIjLj2EENS0_17counting_iteratorIjlEEPS9_SG_NS0_5tupleIJPjSI_NS0_16reverse_iteratorISI_EEEEENSH_IJSG_SG_SG_EEES9_SI_JZNS1_25segmented_radix_sort_implINS0_14default_configELb1EPKdPdPKlPlN2at6native12_GLOBAL__N_18offset_tEEE10hipError_tPvRmT1_PNSt15iterator_traitsIS12_E10value_typeET2_T3_PNS13_IS18_E10value_typeET4_jRbjT5_S1E_jjP12ihipStream_tbEUljE_ZNSN_ISO_Lb1ESQ_SR_ST_SU_SY_EESZ_S10_S11_S12_S16_S17_S18_S1B_S1C_jS1D_jS1E_S1E_jjS1G_bEUljE0_EEESZ_S10_S11_S18_S1C_S1E_T6_T7_T9_mT8_S1G_bDpT10_ENKUlT_T0_E_clISt17integral_constantIbLb0EES1U_EEDaS1P_S1Q_EUlS1P_E_NS1_11comp_targetILNS1_3genE0ELNS1_11target_archE4294967295ELNS1_3gpuE0ELNS1_3repE0EEENS1_30default_config_static_selectorELNS0_4arch9wavefront6targetE1EEEvS12_
	.p2align	8
	.type	_ZN7rocprim17ROCPRIM_400000_NS6detail17trampoline_kernelINS0_13select_configILj256ELj13ELNS0_17block_load_methodE3ELS4_3ELS4_3ELNS0_20block_scan_algorithmE0ELj4294967295EEENS1_25partition_config_selectorILNS1_17partition_subalgoE4EjNS0_10empty_typeEbEEZZNS1_14partition_implILS8_4ELb0ES6_15HIP_vector_typeIjLj2EENS0_17counting_iteratorIjlEEPS9_SG_NS0_5tupleIJPjSI_NS0_16reverse_iteratorISI_EEEEENSH_IJSG_SG_SG_EEES9_SI_JZNS1_25segmented_radix_sort_implINS0_14default_configELb1EPKdPdPKlPlN2at6native12_GLOBAL__N_18offset_tEEE10hipError_tPvRmT1_PNSt15iterator_traitsIS12_E10value_typeET2_T3_PNS13_IS18_E10value_typeET4_jRbjT5_S1E_jjP12ihipStream_tbEUljE_ZNSN_ISO_Lb1ESQ_SR_ST_SU_SY_EESZ_S10_S11_S12_S16_S17_S18_S1B_S1C_jS1D_jS1E_S1E_jjS1G_bEUljE0_EEESZ_S10_S11_S18_S1C_S1E_T6_T7_T9_mT8_S1G_bDpT10_ENKUlT_T0_E_clISt17integral_constantIbLb0EES1U_EEDaS1P_S1Q_EUlS1P_E_NS1_11comp_targetILNS1_3genE0ELNS1_11target_archE4294967295ELNS1_3gpuE0ELNS1_3repE0EEENS1_30default_config_static_selectorELNS0_4arch9wavefront6targetE1EEEvS12_,@function
_ZN7rocprim17ROCPRIM_400000_NS6detail17trampoline_kernelINS0_13select_configILj256ELj13ELNS0_17block_load_methodE3ELS4_3ELS4_3ELNS0_20block_scan_algorithmE0ELj4294967295EEENS1_25partition_config_selectorILNS1_17partition_subalgoE4EjNS0_10empty_typeEbEEZZNS1_14partition_implILS8_4ELb0ES6_15HIP_vector_typeIjLj2EENS0_17counting_iteratorIjlEEPS9_SG_NS0_5tupleIJPjSI_NS0_16reverse_iteratorISI_EEEEENSH_IJSG_SG_SG_EEES9_SI_JZNS1_25segmented_radix_sort_implINS0_14default_configELb1EPKdPdPKlPlN2at6native12_GLOBAL__N_18offset_tEEE10hipError_tPvRmT1_PNSt15iterator_traitsIS12_E10value_typeET2_T3_PNS13_IS18_E10value_typeET4_jRbjT5_S1E_jjP12ihipStream_tbEUljE_ZNSN_ISO_Lb1ESQ_SR_ST_SU_SY_EESZ_S10_S11_S12_S16_S17_S18_S1B_S1C_jS1D_jS1E_S1E_jjS1G_bEUljE0_EEESZ_S10_S11_S18_S1C_S1E_T6_T7_T9_mT8_S1G_bDpT10_ENKUlT_T0_E_clISt17integral_constantIbLb0EES1U_EEDaS1P_S1Q_EUlS1P_E_NS1_11comp_targetILNS1_3genE0ELNS1_11target_archE4294967295ELNS1_3gpuE0ELNS1_3repE0EEENS1_30default_config_static_selectorELNS0_4arch9wavefront6targetE1EEEvS12_: ; @_ZN7rocprim17ROCPRIM_400000_NS6detail17trampoline_kernelINS0_13select_configILj256ELj13ELNS0_17block_load_methodE3ELS4_3ELS4_3ELNS0_20block_scan_algorithmE0ELj4294967295EEENS1_25partition_config_selectorILNS1_17partition_subalgoE4EjNS0_10empty_typeEbEEZZNS1_14partition_implILS8_4ELb0ES6_15HIP_vector_typeIjLj2EENS0_17counting_iteratorIjlEEPS9_SG_NS0_5tupleIJPjSI_NS0_16reverse_iteratorISI_EEEEENSH_IJSG_SG_SG_EEES9_SI_JZNS1_25segmented_radix_sort_implINS0_14default_configELb1EPKdPdPKlPlN2at6native12_GLOBAL__N_18offset_tEEE10hipError_tPvRmT1_PNSt15iterator_traitsIS12_E10value_typeET2_T3_PNS13_IS18_E10value_typeET4_jRbjT5_S1E_jjP12ihipStream_tbEUljE_ZNSN_ISO_Lb1ESQ_SR_ST_SU_SY_EESZ_S10_S11_S12_S16_S17_S18_S1B_S1C_jS1D_jS1E_S1E_jjS1G_bEUljE0_EEESZ_S10_S11_S18_S1C_S1E_T6_T7_T9_mT8_S1G_bDpT10_ENKUlT_T0_E_clISt17integral_constantIbLb0EES1U_EEDaS1P_S1Q_EUlS1P_E_NS1_11comp_targetILNS1_3genE0ELNS1_11target_archE4294967295ELNS1_3gpuE0ELNS1_3repE0EEENS1_30default_config_static_selectorELNS0_4arch9wavefront6targetE1EEEvS12_
; %bb.0:
	.section	.rodata,"a",@progbits
	.p2align	6, 0x0
	.amdhsa_kernel _ZN7rocprim17ROCPRIM_400000_NS6detail17trampoline_kernelINS0_13select_configILj256ELj13ELNS0_17block_load_methodE3ELS4_3ELS4_3ELNS0_20block_scan_algorithmE0ELj4294967295EEENS1_25partition_config_selectorILNS1_17partition_subalgoE4EjNS0_10empty_typeEbEEZZNS1_14partition_implILS8_4ELb0ES6_15HIP_vector_typeIjLj2EENS0_17counting_iteratorIjlEEPS9_SG_NS0_5tupleIJPjSI_NS0_16reverse_iteratorISI_EEEEENSH_IJSG_SG_SG_EEES9_SI_JZNS1_25segmented_radix_sort_implINS0_14default_configELb1EPKdPdPKlPlN2at6native12_GLOBAL__N_18offset_tEEE10hipError_tPvRmT1_PNSt15iterator_traitsIS12_E10value_typeET2_T3_PNS13_IS18_E10value_typeET4_jRbjT5_S1E_jjP12ihipStream_tbEUljE_ZNSN_ISO_Lb1ESQ_SR_ST_SU_SY_EESZ_S10_S11_S12_S16_S17_S18_S1B_S1C_jS1D_jS1E_S1E_jjS1G_bEUljE0_EEESZ_S10_S11_S18_S1C_S1E_T6_T7_T9_mT8_S1G_bDpT10_ENKUlT_T0_E_clISt17integral_constantIbLb0EES1U_EEDaS1P_S1Q_EUlS1P_E_NS1_11comp_targetILNS1_3genE0ELNS1_11target_archE4294967295ELNS1_3gpuE0ELNS1_3repE0EEENS1_30default_config_static_selectorELNS0_4arch9wavefront6targetE1EEEvS12_
		.amdhsa_group_segment_fixed_size 0
		.amdhsa_private_segment_fixed_size 0
		.amdhsa_kernarg_size 176
		.amdhsa_user_sgpr_count 6
		.amdhsa_user_sgpr_private_segment_buffer 1
		.amdhsa_user_sgpr_dispatch_ptr 0
		.amdhsa_user_sgpr_queue_ptr 0
		.amdhsa_user_sgpr_kernarg_segment_ptr 1
		.amdhsa_user_sgpr_dispatch_id 0
		.amdhsa_user_sgpr_flat_scratch_init 0
		.amdhsa_user_sgpr_kernarg_preload_length 0
		.amdhsa_user_sgpr_kernarg_preload_offset 0
		.amdhsa_user_sgpr_private_segment_size 0
		.amdhsa_uses_dynamic_stack 0
		.amdhsa_system_sgpr_private_segment_wavefront_offset 0
		.amdhsa_system_sgpr_workgroup_id_x 1
		.amdhsa_system_sgpr_workgroup_id_y 0
		.amdhsa_system_sgpr_workgroup_id_z 0
		.amdhsa_system_sgpr_workgroup_info 0
		.amdhsa_system_vgpr_workitem_id 0
		.amdhsa_next_free_vgpr 1
		.amdhsa_next_free_sgpr 0
		.amdhsa_accum_offset 4
		.amdhsa_reserve_vcc 0
		.amdhsa_reserve_flat_scratch 0
		.amdhsa_float_round_mode_32 0
		.amdhsa_float_round_mode_16_64 0
		.amdhsa_float_denorm_mode_32 3
		.amdhsa_float_denorm_mode_16_64 3
		.amdhsa_dx10_clamp 1
		.amdhsa_ieee_mode 1
		.amdhsa_fp16_overflow 0
		.amdhsa_tg_split 0
		.amdhsa_exception_fp_ieee_invalid_op 0
		.amdhsa_exception_fp_denorm_src 0
		.amdhsa_exception_fp_ieee_div_zero 0
		.amdhsa_exception_fp_ieee_overflow 0
		.amdhsa_exception_fp_ieee_underflow 0
		.amdhsa_exception_fp_ieee_inexact 0
		.amdhsa_exception_int_div_zero 0
	.end_amdhsa_kernel
	.section	.text._ZN7rocprim17ROCPRIM_400000_NS6detail17trampoline_kernelINS0_13select_configILj256ELj13ELNS0_17block_load_methodE3ELS4_3ELS4_3ELNS0_20block_scan_algorithmE0ELj4294967295EEENS1_25partition_config_selectorILNS1_17partition_subalgoE4EjNS0_10empty_typeEbEEZZNS1_14partition_implILS8_4ELb0ES6_15HIP_vector_typeIjLj2EENS0_17counting_iteratorIjlEEPS9_SG_NS0_5tupleIJPjSI_NS0_16reverse_iteratorISI_EEEEENSH_IJSG_SG_SG_EEES9_SI_JZNS1_25segmented_radix_sort_implINS0_14default_configELb1EPKdPdPKlPlN2at6native12_GLOBAL__N_18offset_tEEE10hipError_tPvRmT1_PNSt15iterator_traitsIS12_E10value_typeET2_T3_PNS13_IS18_E10value_typeET4_jRbjT5_S1E_jjP12ihipStream_tbEUljE_ZNSN_ISO_Lb1ESQ_SR_ST_SU_SY_EESZ_S10_S11_S12_S16_S17_S18_S1B_S1C_jS1D_jS1E_S1E_jjS1G_bEUljE0_EEESZ_S10_S11_S18_S1C_S1E_T6_T7_T9_mT8_S1G_bDpT10_ENKUlT_T0_E_clISt17integral_constantIbLb0EES1U_EEDaS1P_S1Q_EUlS1P_E_NS1_11comp_targetILNS1_3genE0ELNS1_11target_archE4294967295ELNS1_3gpuE0ELNS1_3repE0EEENS1_30default_config_static_selectorELNS0_4arch9wavefront6targetE1EEEvS12_,"axG",@progbits,_ZN7rocprim17ROCPRIM_400000_NS6detail17trampoline_kernelINS0_13select_configILj256ELj13ELNS0_17block_load_methodE3ELS4_3ELS4_3ELNS0_20block_scan_algorithmE0ELj4294967295EEENS1_25partition_config_selectorILNS1_17partition_subalgoE4EjNS0_10empty_typeEbEEZZNS1_14partition_implILS8_4ELb0ES6_15HIP_vector_typeIjLj2EENS0_17counting_iteratorIjlEEPS9_SG_NS0_5tupleIJPjSI_NS0_16reverse_iteratorISI_EEEEENSH_IJSG_SG_SG_EEES9_SI_JZNS1_25segmented_radix_sort_implINS0_14default_configELb1EPKdPdPKlPlN2at6native12_GLOBAL__N_18offset_tEEE10hipError_tPvRmT1_PNSt15iterator_traitsIS12_E10value_typeET2_T3_PNS13_IS18_E10value_typeET4_jRbjT5_S1E_jjP12ihipStream_tbEUljE_ZNSN_ISO_Lb1ESQ_SR_ST_SU_SY_EESZ_S10_S11_S12_S16_S17_S18_S1B_S1C_jS1D_jS1E_S1E_jjS1G_bEUljE0_EEESZ_S10_S11_S18_S1C_S1E_T6_T7_T9_mT8_S1G_bDpT10_ENKUlT_T0_E_clISt17integral_constantIbLb0EES1U_EEDaS1P_S1Q_EUlS1P_E_NS1_11comp_targetILNS1_3genE0ELNS1_11target_archE4294967295ELNS1_3gpuE0ELNS1_3repE0EEENS1_30default_config_static_selectorELNS0_4arch9wavefront6targetE1EEEvS12_,comdat
.Lfunc_end1052:
	.size	_ZN7rocprim17ROCPRIM_400000_NS6detail17trampoline_kernelINS0_13select_configILj256ELj13ELNS0_17block_load_methodE3ELS4_3ELS4_3ELNS0_20block_scan_algorithmE0ELj4294967295EEENS1_25partition_config_selectorILNS1_17partition_subalgoE4EjNS0_10empty_typeEbEEZZNS1_14partition_implILS8_4ELb0ES6_15HIP_vector_typeIjLj2EENS0_17counting_iteratorIjlEEPS9_SG_NS0_5tupleIJPjSI_NS0_16reverse_iteratorISI_EEEEENSH_IJSG_SG_SG_EEES9_SI_JZNS1_25segmented_radix_sort_implINS0_14default_configELb1EPKdPdPKlPlN2at6native12_GLOBAL__N_18offset_tEEE10hipError_tPvRmT1_PNSt15iterator_traitsIS12_E10value_typeET2_T3_PNS13_IS18_E10value_typeET4_jRbjT5_S1E_jjP12ihipStream_tbEUljE_ZNSN_ISO_Lb1ESQ_SR_ST_SU_SY_EESZ_S10_S11_S12_S16_S17_S18_S1B_S1C_jS1D_jS1E_S1E_jjS1G_bEUljE0_EEESZ_S10_S11_S18_S1C_S1E_T6_T7_T9_mT8_S1G_bDpT10_ENKUlT_T0_E_clISt17integral_constantIbLb0EES1U_EEDaS1P_S1Q_EUlS1P_E_NS1_11comp_targetILNS1_3genE0ELNS1_11target_archE4294967295ELNS1_3gpuE0ELNS1_3repE0EEENS1_30default_config_static_selectorELNS0_4arch9wavefront6targetE1EEEvS12_, .Lfunc_end1052-_ZN7rocprim17ROCPRIM_400000_NS6detail17trampoline_kernelINS0_13select_configILj256ELj13ELNS0_17block_load_methodE3ELS4_3ELS4_3ELNS0_20block_scan_algorithmE0ELj4294967295EEENS1_25partition_config_selectorILNS1_17partition_subalgoE4EjNS0_10empty_typeEbEEZZNS1_14partition_implILS8_4ELb0ES6_15HIP_vector_typeIjLj2EENS0_17counting_iteratorIjlEEPS9_SG_NS0_5tupleIJPjSI_NS0_16reverse_iteratorISI_EEEEENSH_IJSG_SG_SG_EEES9_SI_JZNS1_25segmented_radix_sort_implINS0_14default_configELb1EPKdPdPKlPlN2at6native12_GLOBAL__N_18offset_tEEE10hipError_tPvRmT1_PNSt15iterator_traitsIS12_E10value_typeET2_T3_PNS13_IS18_E10value_typeET4_jRbjT5_S1E_jjP12ihipStream_tbEUljE_ZNSN_ISO_Lb1ESQ_SR_ST_SU_SY_EESZ_S10_S11_S12_S16_S17_S18_S1B_S1C_jS1D_jS1E_S1E_jjS1G_bEUljE0_EEESZ_S10_S11_S18_S1C_S1E_T6_T7_T9_mT8_S1G_bDpT10_ENKUlT_T0_E_clISt17integral_constantIbLb0EES1U_EEDaS1P_S1Q_EUlS1P_E_NS1_11comp_targetILNS1_3genE0ELNS1_11target_archE4294967295ELNS1_3gpuE0ELNS1_3repE0EEENS1_30default_config_static_selectorELNS0_4arch9wavefront6targetE1EEEvS12_
                                        ; -- End function
	.section	.AMDGPU.csdata,"",@progbits
; Kernel info:
; codeLenInByte = 0
; NumSgprs: 4
; NumVgprs: 0
; NumAgprs: 0
; TotalNumVgprs: 0
; ScratchSize: 0
; MemoryBound: 0
; FloatMode: 240
; IeeeMode: 1
; LDSByteSize: 0 bytes/workgroup (compile time only)
; SGPRBlocks: 0
; VGPRBlocks: 0
; NumSGPRsForWavesPerEU: 4
; NumVGPRsForWavesPerEU: 1
; AccumOffset: 4
; Occupancy: 8
; WaveLimiterHint : 0
; COMPUTE_PGM_RSRC2:SCRATCH_EN: 0
; COMPUTE_PGM_RSRC2:USER_SGPR: 6
; COMPUTE_PGM_RSRC2:TRAP_HANDLER: 0
; COMPUTE_PGM_RSRC2:TGID_X_EN: 1
; COMPUTE_PGM_RSRC2:TGID_Y_EN: 0
; COMPUTE_PGM_RSRC2:TGID_Z_EN: 0
; COMPUTE_PGM_RSRC2:TIDIG_COMP_CNT: 0
; COMPUTE_PGM_RSRC3_GFX90A:ACCUM_OFFSET: 0
; COMPUTE_PGM_RSRC3_GFX90A:TG_SPLIT: 0
	.section	.text._ZN7rocprim17ROCPRIM_400000_NS6detail17trampoline_kernelINS0_13select_configILj256ELj13ELNS0_17block_load_methodE3ELS4_3ELS4_3ELNS0_20block_scan_algorithmE0ELj4294967295EEENS1_25partition_config_selectorILNS1_17partition_subalgoE4EjNS0_10empty_typeEbEEZZNS1_14partition_implILS8_4ELb0ES6_15HIP_vector_typeIjLj2EENS0_17counting_iteratorIjlEEPS9_SG_NS0_5tupleIJPjSI_NS0_16reverse_iteratorISI_EEEEENSH_IJSG_SG_SG_EEES9_SI_JZNS1_25segmented_radix_sort_implINS0_14default_configELb1EPKdPdPKlPlN2at6native12_GLOBAL__N_18offset_tEEE10hipError_tPvRmT1_PNSt15iterator_traitsIS12_E10value_typeET2_T3_PNS13_IS18_E10value_typeET4_jRbjT5_S1E_jjP12ihipStream_tbEUljE_ZNSN_ISO_Lb1ESQ_SR_ST_SU_SY_EESZ_S10_S11_S12_S16_S17_S18_S1B_S1C_jS1D_jS1E_S1E_jjS1G_bEUljE0_EEESZ_S10_S11_S18_S1C_S1E_T6_T7_T9_mT8_S1G_bDpT10_ENKUlT_T0_E_clISt17integral_constantIbLb0EES1U_EEDaS1P_S1Q_EUlS1P_E_NS1_11comp_targetILNS1_3genE5ELNS1_11target_archE942ELNS1_3gpuE9ELNS1_3repE0EEENS1_30default_config_static_selectorELNS0_4arch9wavefront6targetE1EEEvS12_,"axG",@progbits,_ZN7rocprim17ROCPRIM_400000_NS6detail17trampoline_kernelINS0_13select_configILj256ELj13ELNS0_17block_load_methodE3ELS4_3ELS4_3ELNS0_20block_scan_algorithmE0ELj4294967295EEENS1_25partition_config_selectorILNS1_17partition_subalgoE4EjNS0_10empty_typeEbEEZZNS1_14partition_implILS8_4ELb0ES6_15HIP_vector_typeIjLj2EENS0_17counting_iteratorIjlEEPS9_SG_NS0_5tupleIJPjSI_NS0_16reverse_iteratorISI_EEEEENSH_IJSG_SG_SG_EEES9_SI_JZNS1_25segmented_radix_sort_implINS0_14default_configELb1EPKdPdPKlPlN2at6native12_GLOBAL__N_18offset_tEEE10hipError_tPvRmT1_PNSt15iterator_traitsIS12_E10value_typeET2_T3_PNS13_IS18_E10value_typeET4_jRbjT5_S1E_jjP12ihipStream_tbEUljE_ZNSN_ISO_Lb1ESQ_SR_ST_SU_SY_EESZ_S10_S11_S12_S16_S17_S18_S1B_S1C_jS1D_jS1E_S1E_jjS1G_bEUljE0_EEESZ_S10_S11_S18_S1C_S1E_T6_T7_T9_mT8_S1G_bDpT10_ENKUlT_T0_E_clISt17integral_constantIbLb0EES1U_EEDaS1P_S1Q_EUlS1P_E_NS1_11comp_targetILNS1_3genE5ELNS1_11target_archE942ELNS1_3gpuE9ELNS1_3repE0EEENS1_30default_config_static_selectorELNS0_4arch9wavefront6targetE1EEEvS12_,comdat
	.globl	_ZN7rocprim17ROCPRIM_400000_NS6detail17trampoline_kernelINS0_13select_configILj256ELj13ELNS0_17block_load_methodE3ELS4_3ELS4_3ELNS0_20block_scan_algorithmE0ELj4294967295EEENS1_25partition_config_selectorILNS1_17partition_subalgoE4EjNS0_10empty_typeEbEEZZNS1_14partition_implILS8_4ELb0ES6_15HIP_vector_typeIjLj2EENS0_17counting_iteratorIjlEEPS9_SG_NS0_5tupleIJPjSI_NS0_16reverse_iteratorISI_EEEEENSH_IJSG_SG_SG_EEES9_SI_JZNS1_25segmented_radix_sort_implINS0_14default_configELb1EPKdPdPKlPlN2at6native12_GLOBAL__N_18offset_tEEE10hipError_tPvRmT1_PNSt15iterator_traitsIS12_E10value_typeET2_T3_PNS13_IS18_E10value_typeET4_jRbjT5_S1E_jjP12ihipStream_tbEUljE_ZNSN_ISO_Lb1ESQ_SR_ST_SU_SY_EESZ_S10_S11_S12_S16_S17_S18_S1B_S1C_jS1D_jS1E_S1E_jjS1G_bEUljE0_EEESZ_S10_S11_S18_S1C_S1E_T6_T7_T9_mT8_S1G_bDpT10_ENKUlT_T0_E_clISt17integral_constantIbLb0EES1U_EEDaS1P_S1Q_EUlS1P_E_NS1_11comp_targetILNS1_3genE5ELNS1_11target_archE942ELNS1_3gpuE9ELNS1_3repE0EEENS1_30default_config_static_selectorELNS0_4arch9wavefront6targetE1EEEvS12_ ; -- Begin function _ZN7rocprim17ROCPRIM_400000_NS6detail17trampoline_kernelINS0_13select_configILj256ELj13ELNS0_17block_load_methodE3ELS4_3ELS4_3ELNS0_20block_scan_algorithmE0ELj4294967295EEENS1_25partition_config_selectorILNS1_17partition_subalgoE4EjNS0_10empty_typeEbEEZZNS1_14partition_implILS8_4ELb0ES6_15HIP_vector_typeIjLj2EENS0_17counting_iteratorIjlEEPS9_SG_NS0_5tupleIJPjSI_NS0_16reverse_iteratorISI_EEEEENSH_IJSG_SG_SG_EEES9_SI_JZNS1_25segmented_radix_sort_implINS0_14default_configELb1EPKdPdPKlPlN2at6native12_GLOBAL__N_18offset_tEEE10hipError_tPvRmT1_PNSt15iterator_traitsIS12_E10value_typeET2_T3_PNS13_IS18_E10value_typeET4_jRbjT5_S1E_jjP12ihipStream_tbEUljE_ZNSN_ISO_Lb1ESQ_SR_ST_SU_SY_EESZ_S10_S11_S12_S16_S17_S18_S1B_S1C_jS1D_jS1E_S1E_jjS1G_bEUljE0_EEESZ_S10_S11_S18_S1C_S1E_T6_T7_T9_mT8_S1G_bDpT10_ENKUlT_T0_E_clISt17integral_constantIbLb0EES1U_EEDaS1P_S1Q_EUlS1P_E_NS1_11comp_targetILNS1_3genE5ELNS1_11target_archE942ELNS1_3gpuE9ELNS1_3repE0EEENS1_30default_config_static_selectorELNS0_4arch9wavefront6targetE1EEEvS12_
	.p2align	8
	.type	_ZN7rocprim17ROCPRIM_400000_NS6detail17trampoline_kernelINS0_13select_configILj256ELj13ELNS0_17block_load_methodE3ELS4_3ELS4_3ELNS0_20block_scan_algorithmE0ELj4294967295EEENS1_25partition_config_selectorILNS1_17partition_subalgoE4EjNS0_10empty_typeEbEEZZNS1_14partition_implILS8_4ELb0ES6_15HIP_vector_typeIjLj2EENS0_17counting_iteratorIjlEEPS9_SG_NS0_5tupleIJPjSI_NS0_16reverse_iteratorISI_EEEEENSH_IJSG_SG_SG_EEES9_SI_JZNS1_25segmented_radix_sort_implINS0_14default_configELb1EPKdPdPKlPlN2at6native12_GLOBAL__N_18offset_tEEE10hipError_tPvRmT1_PNSt15iterator_traitsIS12_E10value_typeET2_T3_PNS13_IS18_E10value_typeET4_jRbjT5_S1E_jjP12ihipStream_tbEUljE_ZNSN_ISO_Lb1ESQ_SR_ST_SU_SY_EESZ_S10_S11_S12_S16_S17_S18_S1B_S1C_jS1D_jS1E_S1E_jjS1G_bEUljE0_EEESZ_S10_S11_S18_S1C_S1E_T6_T7_T9_mT8_S1G_bDpT10_ENKUlT_T0_E_clISt17integral_constantIbLb0EES1U_EEDaS1P_S1Q_EUlS1P_E_NS1_11comp_targetILNS1_3genE5ELNS1_11target_archE942ELNS1_3gpuE9ELNS1_3repE0EEENS1_30default_config_static_selectorELNS0_4arch9wavefront6targetE1EEEvS12_,@function
_ZN7rocprim17ROCPRIM_400000_NS6detail17trampoline_kernelINS0_13select_configILj256ELj13ELNS0_17block_load_methodE3ELS4_3ELS4_3ELNS0_20block_scan_algorithmE0ELj4294967295EEENS1_25partition_config_selectorILNS1_17partition_subalgoE4EjNS0_10empty_typeEbEEZZNS1_14partition_implILS8_4ELb0ES6_15HIP_vector_typeIjLj2EENS0_17counting_iteratorIjlEEPS9_SG_NS0_5tupleIJPjSI_NS0_16reverse_iteratorISI_EEEEENSH_IJSG_SG_SG_EEES9_SI_JZNS1_25segmented_radix_sort_implINS0_14default_configELb1EPKdPdPKlPlN2at6native12_GLOBAL__N_18offset_tEEE10hipError_tPvRmT1_PNSt15iterator_traitsIS12_E10value_typeET2_T3_PNS13_IS18_E10value_typeET4_jRbjT5_S1E_jjP12ihipStream_tbEUljE_ZNSN_ISO_Lb1ESQ_SR_ST_SU_SY_EESZ_S10_S11_S12_S16_S17_S18_S1B_S1C_jS1D_jS1E_S1E_jjS1G_bEUljE0_EEESZ_S10_S11_S18_S1C_S1E_T6_T7_T9_mT8_S1G_bDpT10_ENKUlT_T0_E_clISt17integral_constantIbLb0EES1U_EEDaS1P_S1Q_EUlS1P_E_NS1_11comp_targetILNS1_3genE5ELNS1_11target_archE942ELNS1_3gpuE9ELNS1_3repE0EEENS1_30default_config_static_selectorELNS0_4arch9wavefront6targetE1EEEvS12_: ; @_ZN7rocprim17ROCPRIM_400000_NS6detail17trampoline_kernelINS0_13select_configILj256ELj13ELNS0_17block_load_methodE3ELS4_3ELS4_3ELNS0_20block_scan_algorithmE0ELj4294967295EEENS1_25partition_config_selectorILNS1_17partition_subalgoE4EjNS0_10empty_typeEbEEZZNS1_14partition_implILS8_4ELb0ES6_15HIP_vector_typeIjLj2EENS0_17counting_iteratorIjlEEPS9_SG_NS0_5tupleIJPjSI_NS0_16reverse_iteratorISI_EEEEENSH_IJSG_SG_SG_EEES9_SI_JZNS1_25segmented_radix_sort_implINS0_14default_configELb1EPKdPdPKlPlN2at6native12_GLOBAL__N_18offset_tEEE10hipError_tPvRmT1_PNSt15iterator_traitsIS12_E10value_typeET2_T3_PNS13_IS18_E10value_typeET4_jRbjT5_S1E_jjP12ihipStream_tbEUljE_ZNSN_ISO_Lb1ESQ_SR_ST_SU_SY_EESZ_S10_S11_S12_S16_S17_S18_S1B_S1C_jS1D_jS1E_S1E_jjS1G_bEUljE0_EEESZ_S10_S11_S18_S1C_S1E_T6_T7_T9_mT8_S1G_bDpT10_ENKUlT_T0_E_clISt17integral_constantIbLb0EES1U_EEDaS1P_S1Q_EUlS1P_E_NS1_11comp_targetILNS1_3genE5ELNS1_11target_archE942ELNS1_3gpuE9ELNS1_3repE0EEENS1_30default_config_static_selectorELNS0_4arch9wavefront6targetE1EEEvS12_
; %bb.0:
	.section	.rodata,"a",@progbits
	.p2align	6, 0x0
	.amdhsa_kernel _ZN7rocprim17ROCPRIM_400000_NS6detail17trampoline_kernelINS0_13select_configILj256ELj13ELNS0_17block_load_methodE3ELS4_3ELS4_3ELNS0_20block_scan_algorithmE0ELj4294967295EEENS1_25partition_config_selectorILNS1_17partition_subalgoE4EjNS0_10empty_typeEbEEZZNS1_14partition_implILS8_4ELb0ES6_15HIP_vector_typeIjLj2EENS0_17counting_iteratorIjlEEPS9_SG_NS0_5tupleIJPjSI_NS0_16reverse_iteratorISI_EEEEENSH_IJSG_SG_SG_EEES9_SI_JZNS1_25segmented_radix_sort_implINS0_14default_configELb1EPKdPdPKlPlN2at6native12_GLOBAL__N_18offset_tEEE10hipError_tPvRmT1_PNSt15iterator_traitsIS12_E10value_typeET2_T3_PNS13_IS18_E10value_typeET4_jRbjT5_S1E_jjP12ihipStream_tbEUljE_ZNSN_ISO_Lb1ESQ_SR_ST_SU_SY_EESZ_S10_S11_S12_S16_S17_S18_S1B_S1C_jS1D_jS1E_S1E_jjS1G_bEUljE0_EEESZ_S10_S11_S18_S1C_S1E_T6_T7_T9_mT8_S1G_bDpT10_ENKUlT_T0_E_clISt17integral_constantIbLb0EES1U_EEDaS1P_S1Q_EUlS1P_E_NS1_11comp_targetILNS1_3genE5ELNS1_11target_archE942ELNS1_3gpuE9ELNS1_3repE0EEENS1_30default_config_static_selectorELNS0_4arch9wavefront6targetE1EEEvS12_
		.amdhsa_group_segment_fixed_size 0
		.amdhsa_private_segment_fixed_size 0
		.amdhsa_kernarg_size 176
		.amdhsa_user_sgpr_count 6
		.amdhsa_user_sgpr_private_segment_buffer 1
		.amdhsa_user_sgpr_dispatch_ptr 0
		.amdhsa_user_sgpr_queue_ptr 0
		.amdhsa_user_sgpr_kernarg_segment_ptr 1
		.amdhsa_user_sgpr_dispatch_id 0
		.amdhsa_user_sgpr_flat_scratch_init 0
		.amdhsa_user_sgpr_kernarg_preload_length 0
		.amdhsa_user_sgpr_kernarg_preload_offset 0
		.amdhsa_user_sgpr_private_segment_size 0
		.amdhsa_uses_dynamic_stack 0
		.amdhsa_system_sgpr_private_segment_wavefront_offset 0
		.amdhsa_system_sgpr_workgroup_id_x 1
		.amdhsa_system_sgpr_workgroup_id_y 0
		.amdhsa_system_sgpr_workgroup_id_z 0
		.amdhsa_system_sgpr_workgroup_info 0
		.amdhsa_system_vgpr_workitem_id 0
		.amdhsa_next_free_vgpr 1
		.amdhsa_next_free_sgpr 0
		.amdhsa_accum_offset 4
		.amdhsa_reserve_vcc 0
		.amdhsa_reserve_flat_scratch 0
		.amdhsa_float_round_mode_32 0
		.amdhsa_float_round_mode_16_64 0
		.amdhsa_float_denorm_mode_32 3
		.amdhsa_float_denorm_mode_16_64 3
		.amdhsa_dx10_clamp 1
		.amdhsa_ieee_mode 1
		.amdhsa_fp16_overflow 0
		.amdhsa_tg_split 0
		.amdhsa_exception_fp_ieee_invalid_op 0
		.amdhsa_exception_fp_denorm_src 0
		.amdhsa_exception_fp_ieee_div_zero 0
		.amdhsa_exception_fp_ieee_overflow 0
		.amdhsa_exception_fp_ieee_underflow 0
		.amdhsa_exception_fp_ieee_inexact 0
		.amdhsa_exception_int_div_zero 0
	.end_amdhsa_kernel
	.section	.text._ZN7rocprim17ROCPRIM_400000_NS6detail17trampoline_kernelINS0_13select_configILj256ELj13ELNS0_17block_load_methodE3ELS4_3ELS4_3ELNS0_20block_scan_algorithmE0ELj4294967295EEENS1_25partition_config_selectorILNS1_17partition_subalgoE4EjNS0_10empty_typeEbEEZZNS1_14partition_implILS8_4ELb0ES6_15HIP_vector_typeIjLj2EENS0_17counting_iteratorIjlEEPS9_SG_NS0_5tupleIJPjSI_NS0_16reverse_iteratorISI_EEEEENSH_IJSG_SG_SG_EEES9_SI_JZNS1_25segmented_radix_sort_implINS0_14default_configELb1EPKdPdPKlPlN2at6native12_GLOBAL__N_18offset_tEEE10hipError_tPvRmT1_PNSt15iterator_traitsIS12_E10value_typeET2_T3_PNS13_IS18_E10value_typeET4_jRbjT5_S1E_jjP12ihipStream_tbEUljE_ZNSN_ISO_Lb1ESQ_SR_ST_SU_SY_EESZ_S10_S11_S12_S16_S17_S18_S1B_S1C_jS1D_jS1E_S1E_jjS1G_bEUljE0_EEESZ_S10_S11_S18_S1C_S1E_T6_T7_T9_mT8_S1G_bDpT10_ENKUlT_T0_E_clISt17integral_constantIbLb0EES1U_EEDaS1P_S1Q_EUlS1P_E_NS1_11comp_targetILNS1_3genE5ELNS1_11target_archE942ELNS1_3gpuE9ELNS1_3repE0EEENS1_30default_config_static_selectorELNS0_4arch9wavefront6targetE1EEEvS12_,"axG",@progbits,_ZN7rocprim17ROCPRIM_400000_NS6detail17trampoline_kernelINS0_13select_configILj256ELj13ELNS0_17block_load_methodE3ELS4_3ELS4_3ELNS0_20block_scan_algorithmE0ELj4294967295EEENS1_25partition_config_selectorILNS1_17partition_subalgoE4EjNS0_10empty_typeEbEEZZNS1_14partition_implILS8_4ELb0ES6_15HIP_vector_typeIjLj2EENS0_17counting_iteratorIjlEEPS9_SG_NS0_5tupleIJPjSI_NS0_16reverse_iteratorISI_EEEEENSH_IJSG_SG_SG_EEES9_SI_JZNS1_25segmented_radix_sort_implINS0_14default_configELb1EPKdPdPKlPlN2at6native12_GLOBAL__N_18offset_tEEE10hipError_tPvRmT1_PNSt15iterator_traitsIS12_E10value_typeET2_T3_PNS13_IS18_E10value_typeET4_jRbjT5_S1E_jjP12ihipStream_tbEUljE_ZNSN_ISO_Lb1ESQ_SR_ST_SU_SY_EESZ_S10_S11_S12_S16_S17_S18_S1B_S1C_jS1D_jS1E_S1E_jjS1G_bEUljE0_EEESZ_S10_S11_S18_S1C_S1E_T6_T7_T9_mT8_S1G_bDpT10_ENKUlT_T0_E_clISt17integral_constantIbLb0EES1U_EEDaS1P_S1Q_EUlS1P_E_NS1_11comp_targetILNS1_3genE5ELNS1_11target_archE942ELNS1_3gpuE9ELNS1_3repE0EEENS1_30default_config_static_selectorELNS0_4arch9wavefront6targetE1EEEvS12_,comdat
.Lfunc_end1053:
	.size	_ZN7rocprim17ROCPRIM_400000_NS6detail17trampoline_kernelINS0_13select_configILj256ELj13ELNS0_17block_load_methodE3ELS4_3ELS4_3ELNS0_20block_scan_algorithmE0ELj4294967295EEENS1_25partition_config_selectorILNS1_17partition_subalgoE4EjNS0_10empty_typeEbEEZZNS1_14partition_implILS8_4ELb0ES6_15HIP_vector_typeIjLj2EENS0_17counting_iteratorIjlEEPS9_SG_NS0_5tupleIJPjSI_NS0_16reverse_iteratorISI_EEEEENSH_IJSG_SG_SG_EEES9_SI_JZNS1_25segmented_radix_sort_implINS0_14default_configELb1EPKdPdPKlPlN2at6native12_GLOBAL__N_18offset_tEEE10hipError_tPvRmT1_PNSt15iterator_traitsIS12_E10value_typeET2_T3_PNS13_IS18_E10value_typeET4_jRbjT5_S1E_jjP12ihipStream_tbEUljE_ZNSN_ISO_Lb1ESQ_SR_ST_SU_SY_EESZ_S10_S11_S12_S16_S17_S18_S1B_S1C_jS1D_jS1E_S1E_jjS1G_bEUljE0_EEESZ_S10_S11_S18_S1C_S1E_T6_T7_T9_mT8_S1G_bDpT10_ENKUlT_T0_E_clISt17integral_constantIbLb0EES1U_EEDaS1P_S1Q_EUlS1P_E_NS1_11comp_targetILNS1_3genE5ELNS1_11target_archE942ELNS1_3gpuE9ELNS1_3repE0EEENS1_30default_config_static_selectorELNS0_4arch9wavefront6targetE1EEEvS12_, .Lfunc_end1053-_ZN7rocprim17ROCPRIM_400000_NS6detail17trampoline_kernelINS0_13select_configILj256ELj13ELNS0_17block_load_methodE3ELS4_3ELS4_3ELNS0_20block_scan_algorithmE0ELj4294967295EEENS1_25partition_config_selectorILNS1_17partition_subalgoE4EjNS0_10empty_typeEbEEZZNS1_14partition_implILS8_4ELb0ES6_15HIP_vector_typeIjLj2EENS0_17counting_iteratorIjlEEPS9_SG_NS0_5tupleIJPjSI_NS0_16reverse_iteratorISI_EEEEENSH_IJSG_SG_SG_EEES9_SI_JZNS1_25segmented_radix_sort_implINS0_14default_configELb1EPKdPdPKlPlN2at6native12_GLOBAL__N_18offset_tEEE10hipError_tPvRmT1_PNSt15iterator_traitsIS12_E10value_typeET2_T3_PNS13_IS18_E10value_typeET4_jRbjT5_S1E_jjP12ihipStream_tbEUljE_ZNSN_ISO_Lb1ESQ_SR_ST_SU_SY_EESZ_S10_S11_S12_S16_S17_S18_S1B_S1C_jS1D_jS1E_S1E_jjS1G_bEUljE0_EEESZ_S10_S11_S18_S1C_S1E_T6_T7_T9_mT8_S1G_bDpT10_ENKUlT_T0_E_clISt17integral_constantIbLb0EES1U_EEDaS1P_S1Q_EUlS1P_E_NS1_11comp_targetILNS1_3genE5ELNS1_11target_archE942ELNS1_3gpuE9ELNS1_3repE0EEENS1_30default_config_static_selectorELNS0_4arch9wavefront6targetE1EEEvS12_
                                        ; -- End function
	.section	.AMDGPU.csdata,"",@progbits
; Kernel info:
; codeLenInByte = 0
; NumSgprs: 4
; NumVgprs: 0
; NumAgprs: 0
; TotalNumVgprs: 0
; ScratchSize: 0
; MemoryBound: 0
; FloatMode: 240
; IeeeMode: 1
; LDSByteSize: 0 bytes/workgroup (compile time only)
; SGPRBlocks: 0
; VGPRBlocks: 0
; NumSGPRsForWavesPerEU: 4
; NumVGPRsForWavesPerEU: 1
; AccumOffset: 4
; Occupancy: 8
; WaveLimiterHint : 0
; COMPUTE_PGM_RSRC2:SCRATCH_EN: 0
; COMPUTE_PGM_RSRC2:USER_SGPR: 6
; COMPUTE_PGM_RSRC2:TRAP_HANDLER: 0
; COMPUTE_PGM_RSRC2:TGID_X_EN: 1
; COMPUTE_PGM_RSRC2:TGID_Y_EN: 0
; COMPUTE_PGM_RSRC2:TGID_Z_EN: 0
; COMPUTE_PGM_RSRC2:TIDIG_COMP_CNT: 0
; COMPUTE_PGM_RSRC3_GFX90A:ACCUM_OFFSET: 0
; COMPUTE_PGM_RSRC3_GFX90A:TG_SPLIT: 0
	.section	.text._ZN7rocprim17ROCPRIM_400000_NS6detail17trampoline_kernelINS0_13select_configILj256ELj13ELNS0_17block_load_methodE3ELS4_3ELS4_3ELNS0_20block_scan_algorithmE0ELj4294967295EEENS1_25partition_config_selectorILNS1_17partition_subalgoE4EjNS0_10empty_typeEbEEZZNS1_14partition_implILS8_4ELb0ES6_15HIP_vector_typeIjLj2EENS0_17counting_iteratorIjlEEPS9_SG_NS0_5tupleIJPjSI_NS0_16reverse_iteratorISI_EEEEENSH_IJSG_SG_SG_EEES9_SI_JZNS1_25segmented_radix_sort_implINS0_14default_configELb1EPKdPdPKlPlN2at6native12_GLOBAL__N_18offset_tEEE10hipError_tPvRmT1_PNSt15iterator_traitsIS12_E10value_typeET2_T3_PNS13_IS18_E10value_typeET4_jRbjT5_S1E_jjP12ihipStream_tbEUljE_ZNSN_ISO_Lb1ESQ_SR_ST_SU_SY_EESZ_S10_S11_S12_S16_S17_S18_S1B_S1C_jS1D_jS1E_S1E_jjS1G_bEUljE0_EEESZ_S10_S11_S18_S1C_S1E_T6_T7_T9_mT8_S1G_bDpT10_ENKUlT_T0_E_clISt17integral_constantIbLb0EES1U_EEDaS1P_S1Q_EUlS1P_E_NS1_11comp_targetILNS1_3genE4ELNS1_11target_archE910ELNS1_3gpuE8ELNS1_3repE0EEENS1_30default_config_static_selectorELNS0_4arch9wavefront6targetE1EEEvS12_,"axG",@progbits,_ZN7rocprim17ROCPRIM_400000_NS6detail17trampoline_kernelINS0_13select_configILj256ELj13ELNS0_17block_load_methodE3ELS4_3ELS4_3ELNS0_20block_scan_algorithmE0ELj4294967295EEENS1_25partition_config_selectorILNS1_17partition_subalgoE4EjNS0_10empty_typeEbEEZZNS1_14partition_implILS8_4ELb0ES6_15HIP_vector_typeIjLj2EENS0_17counting_iteratorIjlEEPS9_SG_NS0_5tupleIJPjSI_NS0_16reverse_iteratorISI_EEEEENSH_IJSG_SG_SG_EEES9_SI_JZNS1_25segmented_radix_sort_implINS0_14default_configELb1EPKdPdPKlPlN2at6native12_GLOBAL__N_18offset_tEEE10hipError_tPvRmT1_PNSt15iterator_traitsIS12_E10value_typeET2_T3_PNS13_IS18_E10value_typeET4_jRbjT5_S1E_jjP12ihipStream_tbEUljE_ZNSN_ISO_Lb1ESQ_SR_ST_SU_SY_EESZ_S10_S11_S12_S16_S17_S18_S1B_S1C_jS1D_jS1E_S1E_jjS1G_bEUljE0_EEESZ_S10_S11_S18_S1C_S1E_T6_T7_T9_mT8_S1G_bDpT10_ENKUlT_T0_E_clISt17integral_constantIbLb0EES1U_EEDaS1P_S1Q_EUlS1P_E_NS1_11comp_targetILNS1_3genE4ELNS1_11target_archE910ELNS1_3gpuE8ELNS1_3repE0EEENS1_30default_config_static_selectorELNS0_4arch9wavefront6targetE1EEEvS12_,comdat
	.globl	_ZN7rocprim17ROCPRIM_400000_NS6detail17trampoline_kernelINS0_13select_configILj256ELj13ELNS0_17block_load_methodE3ELS4_3ELS4_3ELNS0_20block_scan_algorithmE0ELj4294967295EEENS1_25partition_config_selectorILNS1_17partition_subalgoE4EjNS0_10empty_typeEbEEZZNS1_14partition_implILS8_4ELb0ES6_15HIP_vector_typeIjLj2EENS0_17counting_iteratorIjlEEPS9_SG_NS0_5tupleIJPjSI_NS0_16reverse_iteratorISI_EEEEENSH_IJSG_SG_SG_EEES9_SI_JZNS1_25segmented_radix_sort_implINS0_14default_configELb1EPKdPdPKlPlN2at6native12_GLOBAL__N_18offset_tEEE10hipError_tPvRmT1_PNSt15iterator_traitsIS12_E10value_typeET2_T3_PNS13_IS18_E10value_typeET4_jRbjT5_S1E_jjP12ihipStream_tbEUljE_ZNSN_ISO_Lb1ESQ_SR_ST_SU_SY_EESZ_S10_S11_S12_S16_S17_S18_S1B_S1C_jS1D_jS1E_S1E_jjS1G_bEUljE0_EEESZ_S10_S11_S18_S1C_S1E_T6_T7_T9_mT8_S1G_bDpT10_ENKUlT_T0_E_clISt17integral_constantIbLb0EES1U_EEDaS1P_S1Q_EUlS1P_E_NS1_11comp_targetILNS1_3genE4ELNS1_11target_archE910ELNS1_3gpuE8ELNS1_3repE0EEENS1_30default_config_static_selectorELNS0_4arch9wavefront6targetE1EEEvS12_ ; -- Begin function _ZN7rocprim17ROCPRIM_400000_NS6detail17trampoline_kernelINS0_13select_configILj256ELj13ELNS0_17block_load_methodE3ELS4_3ELS4_3ELNS0_20block_scan_algorithmE0ELj4294967295EEENS1_25partition_config_selectorILNS1_17partition_subalgoE4EjNS0_10empty_typeEbEEZZNS1_14partition_implILS8_4ELb0ES6_15HIP_vector_typeIjLj2EENS0_17counting_iteratorIjlEEPS9_SG_NS0_5tupleIJPjSI_NS0_16reverse_iteratorISI_EEEEENSH_IJSG_SG_SG_EEES9_SI_JZNS1_25segmented_radix_sort_implINS0_14default_configELb1EPKdPdPKlPlN2at6native12_GLOBAL__N_18offset_tEEE10hipError_tPvRmT1_PNSt15iterator_traitsIS12_E10value_typeET2_T3_PNS13_IS18_E10value_typeET4_jRbjT5_S1E_jjP12ihipStream_tbEUljE_ZNSN_ISO_Lb1ESQ_SR_ST_SU_SY_EESZ_S10_S11_S12_S16_S17_S18_S1B_S1C_jS1D_jS1E_S1E_jjS1G_bEUljE0_EEESZ_S10_S11_S18_S1C_S1E_T6_T7_T9_mT8_S1G_bDpT10_ENKUlT_T0_E_clISt17integral_constantIbLb0EES1U_EEDaS1P_S1Q_EUlS1P_E_NS1_11comp_targetILNS1_3genE4ELNS1_11target_archE910ELNS1_3gpuE8ELNS1_3repE0EEENS1_30default_config_static_selectorELNS0_4arch9wavefront6targetE1EEEvS12_
	.p2align	8
	.type	_ZN7rocprim17ROCPRIM_400000_NS6detail17trampoline_kernelINS0_13select_configILj256ELj13ELNS0_17block_load_methodE3ELS4_3ELS4_3ELNS0_20block_scan_algorithmE0ELj4294967295EEENS1_25partition_config_selectorILNS1_17partition_subalgoE4EjNS0_10empty_typeEbEEZZNS1_14partition_implILS8_4ELb0ES6_15HIP_vector_typeIjLj2EENS0_17counting_iteratorIjlEEPS9_SG_NS0_5tupleIJPjSI_NS0_16reverse_iteratorISI_EEEEENSH_IJSG_SG_SG_EEES9_SI_JZNS1_25segmented_radix_sort_implINS0_14default_configELb1EPKdPdPKlPlN2at6native12_GLOBAL__N_18offset_tEEE10hipError_tPvRmT1_PNSt15iterator_traitsIS12_E10value_typeET2_T3_PNS13_IS18_E10value_typeET4_jRbjT5_S1E_jjP12ihipStream_tbEUljE_ZNSN_ISO_Lb1ESQ_SR_ST_SU_SY_EESZ_S10_S11_S12_S16_S17_S18_S1B_S1C_jS1D_jS1E_S1E_jjS1G_bEUljE0_EEESZ_S10_S11_S18_S1C_S1E_T6_T7_T9_mT8_S1G_bDpT10_ENKUlT_T0_E_clISt17integral_constantIbLb0EES1U_EEDaS1P_S1Q_EUlS1P_E_NS1_11comp_targetILNS1_3genE4ELNS1_11target_archE910ELNS1_3gpuE8ELNS1_3repE0EEENS1_30default_config_static_selectorELNS0_4arch9wavefront6targetE1EEEvS12_,@function
_ZN7rocprim17ROCPRIM_400000_NS6detail17trampoline_kernelINS0_13select_configILj256ELj13ELNS0_17block_load_methodE3ELS4_3ELS4_3ELNS0_20block_scan_algorithmE0ELj4294967295EEENS1_25partition_config_selectorILNS1_17partition_subalgoE4EjNS0_10empty_typeEbEEZZNS1_14partition_implILS8_4ELb0ES6_15HIP_vector_typeIjLj2EENS0_17counting_iteratorIjlEEPS9_SG_NS0_5tupleIJPjSI_NS0_16reverse_iteratorISI_EEEEENSH_IJSG_SG_SG_EEES9_SI_JZNS1_25segmented_radix_sort_implINS0_14default_configELb1EPKdPdPKlPlN2at6native12_GLOBAL__N_18offset_tEEE10hipError_tPvRmT1_PNSt15iterator_traitsIS12_E10value_typeET2_T3_PNS13_IS18_E10value_typeET4_jRbjT5_S1E_jjP12ihipStream_tbEUljE_ZNSN_ISO_Lb1ESQ_SR_ST_SU_SY_EESZ_S10_S11_S12_S16_S17_S18_S1B_S1C_jS1D_jS1E_S1E_jjS1G_bEUljE0_EEESZ_S10_S11_S18_S1C_S1E_T6_T7_T9_mT8_S1G_bDpT10_ENKUlT_T0_E_clISt17integral_constantIbLb0EES1U_EEDaS1P_S1Q_EUlS1P_E_NS1_11comp_targetILNS1_3genE4ELNS1_11target_archE910ELNS1_3gpuE8ELNS1_3repE0EEENS1_30default_config_static_selectorELNS0_4arch9wavefront6targetE1EEEvS12_: ; @_ZN7rocprim17ROCPRIM_400000_NS6detail17trampoline_kernelINS0_13select_configILj256ELj13ELNS0_17block_load_methodE3ELS4_3ELS4_3ELNS0_20block_scan_algorithmE0ELj4294967295EEENS1_25partition_config_selectorILNS1_17partition_subalgoE4EjNS0_10empty_typeEbEEZZNS1_14partition_implILS8_4ELb0ES6_15HIP_vector_typeIjLj2EENS0_17counting_iteratorIjlEEPS9_SG_NS0_5tupleIJPjSI_NS0_16reverse_iteratorISI_EEEEENSH_IJSG_SG_SG_EEES9_SI_JZNS1_25segmented_radix_sort_implINS0_14default_configELb1EPKdPdPKlPlN2at6native12_GLOBAL__N_18offset_tEEE10hipError_tPvRmT1_PNSt15iterator_traitsIS12_E10value_typeET2_T3_PNS13_IS18_E10value_typeET4_jRbjT5_S1E_jjP12ihipStream_tbEUljE_ZNSN_ISO_Lb1ESQ_SR_ST_SU_SY_EESZ_S10_S11_S12_S16_S17_S18_S1B_S1C_jS1D_jS1E_S1E_jjS1G_bEUljE0_EEESZ_S10_S11_S18_S1C_S1E_T6_T7_T9_mT8_S1G_bDpT10_ENKUlT_T0_E_clISt17integral_constantIbLb0EES1U_EEDaS1P_S1Q_EUlS1P_E_NS1_11comp_targetILNS1_3genE4ELNS1_11target_archE910ELNS1_3gpuE8ELNS1_3repE0EEENS1_30default_config_static_selectorELNS0_4arch9wavefront6targetE1EEEvS12_
; %bb.0:
	s_load_dwordx2 s[0:1], s[4:5], 0x68
	s_load_dword s7, s[4:5], 0x8
	s_load_dwordx2 s[56:57], s[4:5], 0x10
	s_load_dwordx4 s[44:47], s[4:5], 0x58
	s_mul_i32 s33, s6, 0xd00
	s_waitcnt lgkmcnt(0)
	v_mov_b32_e32 v3, s1
	v_mov_b32_e32 v2, s0
	s_load_dword s1, s[4:5], 0x80
	s_load_dwordx2 s[60:61], s[4:5], 0xa8
	s_load_dwordx8 s[36:43], s[4:5], 0x88
	s_load_dwordx4 s[48:51], s[46:47], 0x0
	s_waitcnt lgkmcnt(0)
	s_add_i32 s8, s1, -1
	s_mulk_i32 s1, 0xd00
	s_add_u32 s2, s56, s1
	s_addc_u32 s3, s57, 0
	s_cmp_eq_u32 s6, s8
	s_cselect_b64 s[30:31], -1, 0
	s_cmp_lg_u32 s6, s8
	v_cmp_lt_u64_e32 vcc, s[2:3], v[2:3]
	s_cselect_b64 s[2:3], -1, 0
	s_add_i32 s7, s7, s33
	s_or_b64 s[2:3], s[2:3], vcc
	s_add_i32 s7, s7, s56
	v_add_u32_e32 v1, s7, v0
	s_mov_b64 s[8:9], -1
	s_and_b64 vcc, exec, s[2:3]
	s_cbranch_vccz .LBB1054_2
; %bb.1:
	v_add_u32_e32 v2, 0x100, v1
	v_lshlrev_b32_e32 v14, 2, v0
	v_add_u32_e32 v3, 0x200, v1
	v_add_u32_e32 v4, 0x300, v1
	;; [unrolled: 1-line block ×11, first 2 shown]
	ds_write2st64_b32 v14, v1, v2 offset1:4
	ds_write2st64_b32 v14, v3, v4 offset0:8 offset1:12
	ds_write2st64_b32 v14, v5, v6 offset0:16 offset1:20
	;; [unrolled: 1-line block ×5, first 2 shown]
	ds_write_b32 v14, v13 offset:12288
	s_waitcnt lgkmcnt(0)
	s_barrier
	s_mov_b64 s[8:9], 0
.LBB1054_2:
	s_andn2_b64 vcc, exec, s[8:9]
	s_add_i32 s1, s1, s56
	s_cbranch_vccnz .LBB1054_4
; %bb.3:
	v_add_u32_e32 v2, 0x100, v1
	v_lshlrev_b32_e32 v14, 2, v0
	v_add_u32_e32 v3, 0x200, v1
	v_add_u32_e32 v4, 0x300, v1
	;; [unrolled: 1-line block ×11, first 2 shown]
	ds_write2st64_b32 v14, v1, v2 offset1:4
	ds_write2st64_b32 v14, v3, v4 offset0:8 offset1:12
	ds_write2st64_b32 v14, v5, v6 offset0:16 offset1:20
	;; [unrolled: 1-line block ×5, first 2 shown]
	ds_write_b32 v14, v13 offset:12288
	s_waitcnt lgkmcnt(0)
	s_barrier
.LBB1054_4:
	v_mul_u32_u24_e32 v31, 13, v0
	v_lshlrev_b32_e32 v1, 2, v31
	s_load_dwordx4 s[52:55], s[4:5], 0x28
	s_load_dwordx2 s[34:35], s[4:5], 0x38
	s_waitcnt lgkmcnt(0)
	ds_read2_b32 v[18:19], v1 offset1:1
	ds_read2_b32 v[16:17], v1 offset0:2 offset1:3
	ds_read2_b32 v[14:15], v1 offset0:4 offset1:5
	;; [unrolled: 1-line block ×5, first 2 shown]
	ds_read_b32 v30, v1 offset:48
	v_cndmask_b32_e64 v1, 0, 1, s[2:3]
	s_sub_i32 s7, s0, s1
	v_cmp_ne_u32_e64 s[0:1], 1, v1
	s_andn2_b64 vcc, exec, s[2:3]
	s_waitcnt lgkmcnt(0)
	s_barrier
	s_cbranch_vccnz .LBB1054_32
; %bb.5:
	v_add_u32_e32 v1, s37, v18
	v_add_u32_e32 v2, s39, v18
	v_mul_lo_u32 v1, v1, s36
	v_mul_lo_u32 v2, v2, s38
	v_sub_u32_e32 v1, v1, v2
	v_cmp_lt_u32_e32 vcc, s40, v1
	v_cmp_ge_u32_e64 s[2:3], s40, v1
	s_mov_b64 s[64:65], 0
	s_mov_b64 s[62:63], 0
	s_and_saveexec_b64 s[8:9], s[2:3]
; %bb.6:
	v_add_u32_e32 v1, s42, v18
	v_add_u32_e32 v2, s60, v18
	v_mul_lo_u32 v1, v1, s41
	v_mul_lo_u32 v2, v2, s43
	v_sub_u32_e32 v1, v1, v2
	v_cmp_lt_u32_e64 s[2:3], s61, v1
	s_and_b64 s[62:63], s[2:3], exec
; %bb.7:
	s_or_b64 exec, exec, s[8:9]
	v_add_u32_e32 v1, s37, v19
	v_add_u32_e32 v2, s39, v19
	v_mul_lo_u32 v1, v1, s36
	v_mul_lo_u32 v2, v2, s38
	v_sub_u32_e32 v1, v1, v2
	v_cmp_lt_u32_e64 s[2:3], s40, v1
	v_cmp_ge_u32_e64 s[8:9], s40, v1
	s_and_saveexec_b64 s[10:11], s[8:9]
; %bb.8:
	v_add_u32_e32 v1, s42, v19
	v_add_u32_e32 v2, s60, v19
	v_mul_lo_u32 v1, v1, s41
	v_mul_lo_u32 v2, v2, s43
	v_sub_u32_e32 v1, v1, v2
	v_cmp_lt_u32_e64 s[8:9], s61, v1
	s_and_b64 s[64:65], s[8:9], exec
; %bb.9:
	s_or_b64 exec, exec, s[10:11]
	v_add_u32_e32 v1, s37, v16
	v_add_u32_e32 v2, s39, v16
	v_mul_lo_u32 v1, v1, s36
	v_mul_lo_u32 v2, v2, s38
	v_sub_u32_e32 v1, v1, v2
	v_cmp_lt_u32_e64 s[26:27], s40, v1
	v_cmp_ge_u32_e64 s[8:9], s40, v1
	s_mov_b64 s[68:69], 0
	s_mov_b64 s[66:67], 0
	s_and_saveexec_b64 s[10:11], s[8:9]
; %bb.10:
	v_add_u32_e32 v1, s42, v16
	v_add_u32_e32 v2, s60, v16
	v_mul_lo_u32 v1, v1, s41
	v_mul_lo_u32 v2, v2, s43
	v_sub_u32_e32 v1, v1, v2
	v_cmp_lt_u32_e64 s[8:9], s61, v1
	s_and_b64 s[66:67], s[8:9], exec
; %bb.11:
	s_or_b64 exec, exec, s[10:11]
	v_add_u32_e32 v1, s37, v17
	v_add_u32_e32 v2, s39, v17
	v_mul_lo_u32 v1, v1, s36
	v_mul_lo_u32 v2, v2, s38
	v_sub_u32_e32 v1, v1, v2
	v_cmp_lt_u32_e64 s[8:9], s40, v1
	v_cmp_ge_u32_e64 s[10:11], s40, v1
	s_and_saveexec_b64 s[12:13], s[10:11]
; %bb.12:
	v_add_u32_e32 v1, s42, v17
	v_add_u32_e32 v2, s60, v17
	v_mul_lo_u32 v1, v1, s41
	v_mul_lo_u32 v2, v2, s43
	v_sub_u32_e32 v1, v1, v2
	v_cmp_lt_u32_e64 s[10:11], s61, v1
	s_and_b64 s[68:69], s[10:11], exec
; %bb.13:
	s_or_b64 exec, exec, s[12:13]
	v_add_u32_e32 v1, s37, v14
	v_add_u32_e32 v2, s39, v14
	v_mul_lo_u32 v1, v1, s36
	v_mul_lo_u32 v2, v2, s38
	v_sub_u32_e32 v1, v1, v2
	v_cmp_lt_u32_e64 s[10:11], s40, v1
	;; [unrolled: 38-line block ×5, first 2 shown]
	v_cmp_ge_u32_e64 s[24:25], s40, v1
	s_mov_b64 s[84:85], 0
	s_mov_b64 s[86:87], 0
	s_and_saveexec_b64 s[28:29], s[24:25]
; %bb.26:
	v_add_u32_e32 v1, s42, v8
	v_add_u32_e32 v2, s60, v8
	v_mul_lo_u32 v1, v1, s41
	v_mul_lo_u32 v2, v2, s43
	v_sub_u32_e32 v1, v1, v2
	v_cmp_lt_u32_e64 s[24:25], s61, v1
	s_and_b64 s[86:87], s[24:25], exec
; %bb.27:
	s_or_b64 exec, exec, s[28:29]
	v_add_u32_e32 v1, s37, v9
	v_add_u32_e32 v2, s39, v9
	v_mul_lo_u32 v1, v1, s36
	v_mul_lo_u32 v2, v2, s38
	v_sub_u32_e32 v1, v1, v2
	v_cmp_lt_u32_e64 s[24:25], s40, v1
	v_cmp_ge_u32_e64 s[28:29], s40, v1
	s_and_saveexec_b64 s[46:47], s[28:29]
; %bb.28:
	v_add_u32_e32 v1, s42, v9
	v_add_u32_e32 v2, s60, v9
	v_mul_lo_u32 v1, v1, s41
	v_mul_lo_u32 v2, v2, s43
	v_sub_u32_e32 v1, v1, v2
	v_cmp_lt_u32_e64 s[28:29], s61, v1
	s_and_b64 s[84:85], s[28:29], exec
; %bb.29:
	s_or_b64 exec, exec, s[46:47]
	v_add_u32_e32 v1, s37, v30
	v_add_u32_e32 v2, s39, v30
	v_mul_lo_u32 v1, v1, s36
	v_mul_lo_u32 v2, v2, s38
	v_sub_u32_e32 v1, v1, v2
	v_cmp_ge_u32_e64 s[28:29], s40, v1
	s_mov_b64 s[46:47], -1
	s_mov_b64 s[78:79], 0
	s_mov_b64 s[58:59], 0
	s_and_saveexec_b64 s[88:89], s[28:29]
; %bb.30:
	v_add_u32_e32 v1, s42, v30
	v_add_u32_e32 v2, s60, v30
	v_mul_lo_u32 v1, v1, s41
	v_mul_lo_u32 v2, v2, s43
	v_sub_u32_e32 v1, v1, v2
	v_cmp_lt_u32_e64 s[28:29], s61, v1
	s_and_b64 s[58:59], s[28:29], exec
	s_xor_b64 s[46:47], exec, -1
; %bb.31:
	s_or_b64 exec, exec, s[88:89]
	v_cndmask_b32_e64 v52, 0, 1, s[86:87]
	v_cndmask_b32_e64 v55, 0, 1, s[24:25]
	;; [unrolled: 1-line block ×22, first 2 shown]
	v_cndmask_b32_e64 v32, 0, 1, vcc
	v_cndmask_b32_e64 v54, 0, 1, s[84:85]
	s_load_dwordx2 s[12:13], s[4:5], 0x78
	s_add_i32 s18, s7, 0xd00
	s_and_b64 vcc, exec, s[78:79]
	s_cbranch_vccnz .LBB1054_33
	s_branch .LBB1054_86
.LBB1054_32:
                                        ; implicit-def: $sgpr46_sgpr47
                                        ; implicit-def: $sgpr58_sgpr59
                                        ; implicit-def: $vgpr54
                                        ; implicit-def: $vgpr52
                                        ; implicit-def: $vgpr50
                                        ; implicit-def: $vgpr48
                                        ; implicit-def: $vgpr46
                                        ; implicit-def: $vgpr44
                                        ; implicit-def: $vgpr42
                                        ; implicit-def: $vgpr40
                                        ; implicit-def: $vgpr38
                                        ; implicit-def: $vgpr32
                                        ; implicit-def: $vgpr34
                                        ; implicit-def: $vgpr36
                                        ; implicit-def: $vgpr39
                                        ; implicit-def: $vgpr41
                                        ; implicit-def: $vgpr43
                                        ; implicit-def: $vgpr45
                                        ; implicit-def: $vgpr47
                                        ; implicit-def: $vgpr49
                                        ; implicit-def: $vgpr51
                                        ; implicit-def: $vgpr53
                                        ; implicit-def: $vgpr55
                                        ; implicit-def: $vgpr33
                                        ; implicit-def: $vgpr35
                                        ; implicit-def: $vgpr37
	s_load_dwordx2 s[12:13], s[4:5], 0x78
	s_add_i32 s18, s7, 0xd00
	s_cbranch_execz .LBB1054_86
.LBB1054_33:
	v_cmp_gt_u32_e32 vcc, s18, v31
	v_mov_b32_e32 v33, 0
	v_mov_b32_e32 v32, 0
	s_and_saveexec_b64 s[4:5], vcc
	s_cbranch_execz .LBB1054_37
; %bb.34:
	v_add_u32_e32 v1, s37, v18
	v_add_u32_e32 v2, s39, v18
	v_mul_lo_u32 v1, v1, s36
	v_mul_lo_u32 v2, v2, s38
	v_sub_u32_e32 v1, v1, v2
	v_cmp_lt_u32_e32 vcc, s40, v1
	v_cmp_ge_u32_e64 s[2:3], s40, v1
	s_mov_b64 s[10:11], 0
	s_and_saveexec_b64 s[8:9], s[2:3]
; %bb.35:
	v_add_u32_e32 v1, s42, v18
	v_add_u32_e32 v2, s60, v18
	v_mul_lo_u32 v1, v1, s41
	v_mul_lo_u32 v2, v2, s43
	v_sub_u32_e32 v1, v1, v2
	v_cmp_lt_u32_e64 s[2:3], s61, v1
	s_and_b64 s[10:11], s[2:3], exec
; %bb.36:
	s_or_b64 exec, exec, s[8:9]
	v_cndmask_b32_e64 v32, 0, 1, vcc
	v_cndmask_b32_e64 v33, 0, 1, s[10:11]
.LBB1054_37:
	s_or_b64 exec, exec, s[4:5]
	v_add_u32_e32 v1, 1, v31
	v_cmp_gt_u32_e32 vcc, s18, v1
	v_mov_b32_e32 v34, 0
	v_mov_b32_e32 v35, 0
	s_and_saveexec_b64 s[4:5], vcc
	s_cbranch_execz .LBB1054_41
; %bb.38:
	v_add_u32_e32 v1, s37, v19
	v_add_u32_e32 v2, s39, v19
	v_mul_lo_u32 v1, v1, s36
	v_mul_lo_u32 v2, v2, s38
	v_sub_u32_e32 v1, v1, v2
	v_cmp_lt_u32_e32 vcc, s40, v1
	v_cmp_ge_u32_e64 s[2:3], s40, v1
	s_mov_b64 s[10:11], 0
	s_and_saveexec_b64 s[8:9], s[2:3]
; %bb.39:
	v_add_u32_e32 v1, s42, v19
	v_add_u32_e32 v2, s60, v19
	v_mul_lo_u32 v1, v1, s41
	v_mul_lo_u32 v2, v2, s43
	v_sub_u32_e32 v1, v1, v2
	v_cmp_lt_u32_e64 s[2:3], s61, v1
	s_and_b64 s[10:11], s[2:3], exec
; %bb.40:
	s_or_b64 exec, exec, s[8:9]
	v_cndmask_b32_e64 v34, 0, 1, vcc
	v_cndmask_b32_e64 v35, 0, 1, s[10:11]
.LBB1054_41:
	s_or_b64 exec, exec, s[4:5]
	v_add_u32_e32 v1, 2, v31
	;; [unrolled: 30-line block ×12, first 2 shown]
	v_cmp_gt_u32_e32 vcc, s18, v1
	s_mov_b64 s[46:47], 0
	s_mov_b64 s[58:59], 0
	s_and_saveexec_b64 s[2:3], vcc
	s_cbranch_execz .LBB1054_85
; %bb.82:
	v_add_u32_e32 v1, s37, v30
	v_add_u32_e32 v2, s39, v30
	v_mul_lo_u32 v1, v1, s36
	v_mul_lo_u32 v2, v2, s38
	v_sub_u32_e32 v1, v1, v2
	v_cmp_ge_u32_e32 vcc, s40, v1
	s_mov_b64 s[8:9], -1
	s_mov_b64 s[10:11], 0
	s_and_saveexec_b64 s[4:5], vcc
; %bb.83:
	v_add_u32_e32 v1, s42, v30
	v_add_u32_e32 v2, s60, v30
	v_mul_lo_u32 v1, v1, s41
	v_mul_lo_u32 v2, v2, s43
	v_sub_u32_e32 v1, v1, v2
	v_cmp_lt_u32_e32 vcc, s61, v1
	s_and_b64 s[10:11], vcc, exec
	s_xor_b64 s[8:9], exec, -1
; %bb.84:
	s_or_b64 exec, exec, s[4:5]
	s_and_b64 s[58:59], s[10:11], exec
	s_and_b64 s[46:47], s[8:9], exec
.LBB1054_85:
	s_or_b64 exec, exec, s[2:3]
.LBB1054_86:
	v_and_b32_e32 v63, 0xff, v33
	v_and_b32_e32 v74, 0xff, v35
	;; [unrolled: 1-line block ×5, first 2 shown]
	v_add3_u32 v2, v74, v65, v63
	v_and_b32_e32 v76, 0xff, v42
	v_and_b32_e32 v69, 0xff, v44
	v_add3_u32 v2, v2, v75, v67
	v_and_b32_e32 v62, 0xff, v32
	v_and_b32_e32 v56, 0xff, v34
	;; [unrolled: 1-line block ×5, first 2 shown]
	v_add3_u32 v2, v2, v76, v69
	v_and_b32_e32 v57, 0xff, v39
	v_and_b32_e32 v66, 0xff, v41
	;; [unrolled: 1-line block ×4, first 2 shown]
	v_add3_u32 v3, v56, v64, v62
	v_add3_u32 v2, v2, v77, v71
	v_and_b32_e32 v58, 0xff, v43
	v_and_b32_e32 v68, 0xff, v45
	;; [unrolled: 1-line block ×3, first 2 shown]
	v_cndmask_b32_e64 v1, 0, 1, s[58:59]
	v_add3_u32 v3, v3, v57, v66
	v_add3_u32 v2, v2, v78, v73
	v_and_b32_e32 v59, 0xff, v47
	v_and_b32_e32 v70, 0xff, v49
	v_add3_u32 v3, v3, v58, v68
	v_add3_u32 v86, v2, v79, v1
	v_mbcnt_lo_u32_b32 v1, -1, 0
	v_and_b32_e32 v60, 0xff, v51
	v_and_b32_e32 v72, 0xff, v53
	v_add3_u32 v3, v3, v59, v70
	v_mbcnt_hi_u32_b32 v80, -1, v1
	v_and_b32_e32 v61, 0xff, v55
	v_add3_u32 v3, v3, v60, v72
	v_cndmask_b32_e64 v4, 0, 1, s[46:47]
	v_and_b32_e32 v84, 15, v80
	s_cmp_lg_u32 s6, 0
	v_add3_u32 v85, v3, v61, v4
	v_cmp_eq_u32_e64 s[4:5], 0, v84
	v_cmp_lt_u32_e64 s[2:3], 1, v84
	v_cmp_lt_u32_e64 s[8:9], 3, v84
	;; [unrolled: 1-line block ×3, first 2 shown]
	v_and_b32_e32 v83, 16, v80
	v_cmp_lt_u32_e32 vcc, 31, v80
	v_lshrrev_b32_e32 v81, 6, v0
	v_or_b32_e32 v82, 63, v0
	s_cbranch_scc0 .LBB1054_115
; %bb.87:
	v_mov_b32_dpp v1, v85 row_shr:1 row_mask:0xf bank_mask:0xf
	v_mov_b32_dpp v2, v86 row_shr:1 row_mask:0xf bank_mask:0xf
	v_add_u32_e32 v1, v1, v85
	v_add_u32_e32 v2, v2, v86
	v_cndmask_b32_e64 v2, v2, v86, s[4:5]
	v_cndmask_b32_e64 v1, v1, v85, s[4:5]
	s_nop 0
	v_mov_b32_dpp v4, v2 row_shr:2 row_mask:0xf bank_mask:0xf
	v_mov_b32_dpp v3, v1 row_shr:2 row_mask:0xf bank_mask:0xf
	v_add_u32_e32 v3, v1, v3
	v_add_u32_e32 v4, v2, v4
	v_cndmask_b32_e64 v2, v2, v4, s[2:3]
	v_cndmask_b32_e64 v1, v1, v3, s[2:3]
	s_nop 0
	v_mov_b32_dpp v4, v2 row_shr:4 row_mask:0xf bank_mask:0xf
	v_mov_b32_dpp v3, v1 row_shr:4 row_mask:0xf bank_mask:0xf
	v_add_u32_e32 v3, v1, v3
	v_add_u32_e32 v4, v2, v4
	v_cndmask_b32_e64 v2, v2, v4, s[8:9]
	v_cndmask_b32_e64 v1, v1, v3, s[8:9]
	v_cmp_eq_u32_e64 s[8:9], 0, v83
	v_mov_b32_dpp v4, v2 row_shr:8 row_mask:0xf bank_mask:0xf
	v_mov_b32_dpp v3, v1 row_shr:8 row_mask:0xf bank_mask:0xf
	v_add_u32_e32 v3, v1, v3
	v_add_u32_e32 v4, v2, v4
	v_cndmask_b32_e64 v2, v2, v4, s[10:11]
	v_cndmask_b32_e64 v1, v1, v3, s[10:11]
	s_nop 0
	v_mov_b32_dpp v4, v2 row_bcast:15 row_mask:0xf bank_mask:0xf
	v_mov_b32_dpp v3, v1 row_bcast:15 row_mask:0xf bank_mask:0xf
	v_add_u32_e32 v3, v1, v3
	v_add_u32_e32 v4, v2, v4
	v_cndmask_b32_e64 v2, v4, v2, s[8:9]
	v_cndmask_b32_e64 v1, v3, v1, s[8:9]
	s_nop 0
	v_mov_b32_dpp v4, v2 row_bcast:31 row_mask:0xf bank_mask:0xf
	v_mov_b32_dpp v3, v1 row_bcast:31 row_mask:0xf bank_mask:0xf
	v_add_u32_e32 v4, v2, v4
	v_add_u32_e32 v5, v1, v3
	v_cndmask_b32_e32 v3, v2, v4, vcc
	v_cndmask_b32_e32 v2, v1, v5, vcc
	v_cmp_eq_u32_e32 vcc, v82, v0
	s_and_saveexec_b64 s[8:9], vcc
	s_cbranch_execz .LBB1054_89
; %bb.88:
	v_lshlrev_b32_e32 v1, 3, v81
	ds_write_b64 v1, v[2:3]
.LBB1054_89:
	s_or_b64 exec, exec, s[8:9]
	v_cmp_gt_u32_e32 vcc, 4, v0
	s_waitcnt lgkmcnt(0)
	s_barrier
	s_and_saveexec_b64 s[8:9], vcc
	s_cbranch_execz .LBB1054_91
; %bb.90:
	v_lshlrev_b32_e32 v1, 3, v0
	ds_read_b64 v[4:5], v1
	v_and_b32_e32 v6, 3, v80
	v_cmp_eq_u32_e32 vcc, 0, v6
	s_waitcnt lgkmcnt(0)
	v_mov_b32_dpp v7, v4 row_shr:1 row_mask:0xf bank_mask:0xf
	v_mov_b32_dpp v20, v5 row_shr:1 row_mask:0xf bank_mask:0xf
	v_add_u32_e32 v7, v7, v4
	v_add_u32_e32 v20, v20, v5
	v_cndmask_b32_e32 v5, v20, v5, vcc
	v_cndmask_b32_e32 v4, v7, v4, vcc
	v_cmp_lt_u32_e32 vcc, 1, v6
	v_mov_b32_dpp v20, v5 row_shr:2 row_mask:0xf bank_mask:0xf
	v_mov_b32_dpp v7, v4 row_shr:2 row_mask:0xf bank_mask:0xf
	v_cndmask_b32_e32 v6, 0, v7, vcc
	v_cndmask_b32_e32 v7, 0, v20, vcc
	v_add_u32_e32 v5, v7, v5
	v_add_u32_e32 v4, v6, v4
	ds_write_b64 v1, v[4:5]
.LBB1054_91:
	s_or_b64 exec, exec, s[8:9]
	v_cmp_gt_u32_e32 vcc, 64, v0
	v_cmp_lt_u32_e64 s[8:9], 63, v0
	s_waitcnt lgkmcnt(0)
	s_barrier
	s_waitcnt lgkmcnt(0)
                                        ; implicit-def: $vgpr21
	s_and_saveexec_b64 s[10:11], s[8:9]
	s_xor_b64 s[8:9], exec, s[10:11]
	s_cbranch_execz .LBB1054_93
; %bb.92:
	v_lshl_add_u32 v1, v81, 3, -8
	ds_read_b64 v[20:21], v1
	s_waitcnt lgkmcnt(0)
	v_add_u32_e32 v3, v21, v3
	v_add_u32_e32 v2, v20, v2
.LBB1054_93:
	s_andn2_saveexec_b64 s[8:9], s[8:9]
; %bb.94:
                                        ; implicit-def: $vgpr20
; %bb.95:
	s_or_b64 exec, exec, s[8:9]
	v_add_u32_e32 v1, -1, v80
	v_and_b32_e32 v4, 64, v80
	v_cmp_lt_i32_e64 s[8:9], v1, v4
	v_cndmask_b32_e64 v1, v1, v80, s[8:9]
	v_lshlrev_b32_e32 v4, 2, v1
	ds_bpermute_b32 v1, v4, v2
	ds_bpermute_b32 v87, v4, v3
	v_cmp_eq_u32_e64 s[8:9], 0, v80
	s_and_saveexec_b64 s[10:11], vcc
	s_cbranch_execz .LBB1054_114
; %bb.96:
	v_mov_b32_e32 v7, 0
	ds_read_b64 v[22:23], v7 offset:24
	s_and_saveexec_b64 s[14:15], s[8:9]
	s_cbranch_execz .LBB1054_98
; %bb.97:
	s_add_i32 s16, s6, 64
	s_mov_b32 s17, 0
	s_lshl_b64 s[16:17], s[16:17], 4
	s_waitcnt lgkmcnt(0)
	v_and_b32_e32 v2, 0xff000000, v23
	v_and_b32_e32 v3, 0xff0000, v23
	s_add_u32 s16, s12, s16
	v_or_b32_e32 v2, v3, v2
	v_and_b32_e32 v3, 0xff00, v23
	s_addc_u32 s17, s13, s17
	v_or_b32_e32 v2, v2, v3
	v_or_b32_sdwa v5, v2, v23 dst_sel:DWORD dst_unused:UNUSED_PAD src0_sel:DWORD src1_sel:BYTE_0
	v_mov_b32_e32 v6, 1
	v_mov_b32_e32 v4, v22
	v_pk_mov_b32 v[2:3], s[16:17], s[16:17] op_sel:[0,1]
	;;#ASMSTART
	global_store_dwordx4 v[2:3], v[4:7] off	
s_waitcnt vmcnt(0)
	;;#ASMEND
.LBB1054_98:
	s_or_b64 exec, exec, s[14:15]
	v_xad_u32 v24, v80, -1, s6
	v_add_u32_e32 v6, 64, v24
	v_lshlrev_b64 v[2:3], 4, v[6:7]
	v_mov_b32_e32 v4, s13
	v_add_co_u32_e32 v26, vcc, s12, v2
	v_addc_co_u32_e32 v27, vcc, v4, v3, vcc
	;;#ASMSTART
	global_load_dwordx4 v[2:5], v[26:27] off glc	
s_waitcnt vmcnt(0)
	;;#ASMEND
	v_and_b32_e32 v5, 0xff, v3
	v_and_b32_e32 v6, 0xff00, v3
	v_or3_b32 v5, 0, v5, v6
	v_or3_b32 v2, v2, 0, 0
	v_and_b32_e32 v6, 0xff000000, v3
	v_and_b32_e32 v3, 0xff0000, v3
	v_or3_b32 v3, v5, v3, v6
	v_or3_b32 v2, v2, 0, 0
	v_cmp_eq_u16_sdwa s[16:17], v4, v7 src0_sel:BYTE_0 src1_sel:DWORD
	s_and_saveexec_b64 s[14:15], s[16:17]
	s_cbranch_execz .LBB1054_102
; %bb.99:
	s_mov_b64 s[16:17], 0
	v_mov_b32_e32 v6, 0
.LBB1054_100:                           ; =>This Inner Loop Header: Depth=1
	;;#ASMSTART
	global_load_dwordx4 v[2:5], v[26:27] off glc	
s_waitcnt vmcnt(0)
	;;#ASMEND
	v_cmp_ne_u16_sdwa s[20:21], v4, v6 src0_sel:BYTE_0 src1_sel:DWORD
	s_or_b64 s[16:17], s[20:21], s[16:17]
	s_andn2_b64 exec, exec, s[16:17]
	s_cbranch_execnz .LBB1054_100
; %bb.101:
	s_or_b64 exec, exec, s[16:17]
.LBB1054_102:
	s_or_b64 exec, exec, s[14:15]
	v_and_b32_e32 v89, 63, v80
	v_cmp_ne_u32_e32 vcc, 63, v89
	v_mov_b32_e32 v88, 2
	v_addc_co_u32_e32 v26, vcc, 0, v80, vcc
	v_cmp_eq_u16_sdwa s[14:15], v4, v88 src0_sel:BYTE_0 src1_sel:DWORD
	v_lshlrev_b64 v[6:7], v80, -1
	v_lshlrev_b32_e32 v90, 2, v26
	v_and_b32_e32 v5, s15, v7
	ds_bpermute_b32 v26, v90, v2
	ds_bpermute_b32 v27, v90, v3
	v_or_b32_e32 v5, 0x80000000, v5
	v_and_b32_e32 v25, s14, v6
	v_ffbl_b32_e32 v5, v5
	v_add_u32_e32 v5, 32, v5
	v_ffbl_b32_e32 v25, v25
	v_min_u32_e32 v5, v25, v5
	s_waitcnt lgkmcnt(1)
	v_add_u32_e32 v25, v26, v2
	s_waitcnt lgkmcnt(0)
	v_add_u32_e32 v26, v27, v3
	v_cmp_lt_u32_e32 vcc, v89, v5
	v_cndmask_b32_e32 v3, v3, v26, vcc
	v_cndmask_b32_e32 v2, v2, v25, vcc
	v_cmp_gt_u32_e32 vcc, 62, v89
	v_cndmask_b32_e64 v25, 0, 1, vcc
	v_lshlrev_b32_e32 v25, 1, v25
	v_add_lshl_u32 v91, v25, v80, 2
	ds_bpermute_b32 v25, v91, v2
	ds_bpermute_b32 v26, v91, v3
	v_add_u32_e32 v92, 2, v89
	v_cmp_gt_u32_e32 vcc, v92, v5
	v_add_u32_e32 v94, 4, v89
	s_waitcnt lgkmcnt(1)
	v_add_u32_e32 v25, v2, v25
	s_waitcnt lgkmcnt(0)
	v_add_u32_e32 v26, v3, v26
	v_cndmask_b32_e32 v3, v26, v3, vcc
	v_cndmask_b32_e32 v2, v25, v2, vcc
	v_cmp_gt_u32_e32 vcc, 60, v89
	v_cndmask_b32_e64 v25, 0, 1, vcc
	v_lshlrev_b32_e32 v25, 2, v25
	v_add_lshl_u32 v93, v25, v80, 2
	ds_bpermute_b32 v25, v93, v2
	ds_bpermute_b32 v26, v93, v3
	v_cmp_gt_u32_e32 vcc, v94, v5
	v_add_u32_e32 v96, 8, v89
	v_add_u32_e32 v98, 16, v89
	s_waitcnt lgkmcnt(1)
	v_add_u32_e32 v25, v2, v25
	s_waitcnt lgkmcnt(0)
	v_add_u32_e32 v26, v3, v26
	v_cndmask_b32_e32 v3, v26, v3, vcc
	v_cndmask_b32_e32 v2, v25, v2, vcc
	v_cmp_gt_u32_e32 vcc, 56, v89
	v_cndmask_b32_e64 v25, 0, 1, vcc
	v_lshlrev_b32_e32 v25, 3, v25
	v_add_lshl_u32 v95, v25, v80, 2
	ds_bpermute_b32 v25, v95, v2
	ds_bpermute_b32 v26, v95, v3
	v_cmp_gt_u32_e32 vcc, v96, v5
	v_add_u32_e32 v100, 32, v89
	s_waitcnt lgkmcnt(1)
	v_add_u32_e32 v25, v2, v25
	s_waitcnt lgkmcnt(0)
	v_add_u32_e32 v26, v3, v26
	v_cndmask_b32_e32 v3, v26, v3, vcc
	v_cndmask_b32_e32 v2, v25, v2, vcc
	v_cmp_gt_u32_e32 vcc, 48, v89
	v_cndmask_b32_e64 v25, 0, 1, vcc
	v_lshlrev_b32_e32 v25, 4, v25
	v_add_lshl_u32 v97, v25, v80, 2
	ds_bpermute_b32 v25, v97, v2
	ds_bpermute_b32 v26, v97, v3
	v_cmp_gt_u32_e32 vcc, v98, v5
	s_waitcnt lgkmcnt(1)
	v_add_u32_e32 v25, v2, v25
	s_waitcnt lgkmcnt(0)
	v_add_u32_e32 v26, v3, v26
	v_cndmask_b32_e32 v3, v26, v3, vcc
	v_cndmask_b32_e32 v2, v25, v2, vcc
	v_cmp_gt_u32_e32 vcc, 32, v89
	v_cndmask_b32_e64 v25, 0, 1, vcc
	v_lshlrev_b32_e32 v25, 5, v25
	v_add_lshl_u32 v99, v25, v80, 2
	ds_bpermute_b32 v25, v99, v2
	ds_bpermute_b32 v26, v99, v3
	v_cmp_le_u32_e32 vcc, v100, v5
	s_waitcnt lgkmcnt(1)
	v_cndmask_b32_e32 v5, 0, v25, vcc
	s_waitcnt lgkmcnt(0)
	v_cndmask_b32_e32 v25, 0, v26, vcc
	v_add_u32_e32 v3, v3, v25
	v_add_u32_e32 v2, v2, v5
	v_mov_b32_e32 v25, 0
	s_branch .LBB1054_104
.LBB1054_103:                           ;   in Loop: Header=BB1054_104 Depth=1
	s_or_b64 exec, exec, s[14:15]
	v_cmp_eq_u16_sdwa s[14:15], v4, v88 src0_sel:BYTE_0 src1_sel:DWORD
	v_and_b32_e32 v5, s15, v7
	ds_bpermute_b32 v29, v90, v2
	ds_bpermute_b32 v101, v90, v3
	v_or_b32_e32 v5, 0x80000000, v5
	v_and_b32_e32 v28, s14, v6
	v_ffbl_b32_e32 v5, v5
	v_add_u32_e32 v5, 32, v5
	v_ffbl_b32_e32 v28, v28
	v_min_u32_e32 v5, v28, v5
	s_waitcnt lgkmcnt(1)
	v_add_u32_e32 v28, v29, v2
	s_waitcnt lgkmcnt(0)
	v_add_u32_e32 v29, v101, v3
	v_cmp_lt_u32_e32 vcc, v89, v5
	v_cndmask_b32_e32 v3, v3, v29, vcc
	v_cndmask_b32_e32 v2, v2, v28, vcc
	ds_bpermute_b32 v28, v91, v2
	ds_bpermute_b32 v29, v91, v3
	v_cmp_gt_u32_e32 vcc, v92, v5
	v_subrev_u32_e32 v24, 64, v24
	s_waitcnt lgkmcnt(1)
	v_add_u32_e32 v28, v2, v28
	s_waitcnt lgkmcnt(0)
	v_add_u32_e32 v29, v3, v29
	v_cndmask_b32_e32 v3, v29, v3, vcc
	v_cndmask_b32_e32 v2, v28, v2, vcc
	ds_bpermute_b32 v28, v93, v2
	ds_bpermute_b32 v29, v93, v3
	v_cmp_gt_u32_e32 vcc, v94, v5
	s_waitcnt lgkmcnt(1)
	v_add_u32_e32 v28, v2, v28
	s_waitcnt lgkmcnt(0)
	v_add_u32_e32 v29, v3, v29
	v_cndmask_b32_e32 v3, v29, v3, vcc
	v_cndmask_b32_e32 v2, v28, v2, vcc
	ds_bpermute_b32 v28, v95, v2
	ds_bpermute_b32 v29, v95, v3
	v_cmp_gt_u32_e32 vcc, v96, v5
	s_waitcnt lgkmcnt(1)
	v_add_u32_e32 v28, v2, v28
	s_waitcnt lgkmcnt(0)
	v_add_u32_e32 v29, v3, v29
	v_cndmask_b32_e32 v3, v29, v3, vcc
	v_cndmask_b32_e32 v2, v28, v2, vcc
	ds_bpermute_b32 v28, v97, v2
	ds_bpermute_b32 v29, v97, v3
	v_cmp_gt_u32_e32 vcc, v98, v5
	s_waitcnt lgkmcnt(1)
	v_add_u32_e32 v28, v2, v28
	s_waitcnt lgkmcnt(0)
	v_add_u32_e32 v29, v3, v29
	v_cndmask_b32_e32 v3, v29, v3, vcc
	v_cndmask_b32_e32 v2, v28, v2, vcc
	ds_bpermute_b32 v28, v99, v2
	ds_bpermute_b32 v29, v99, v3
	v_cmp_le_u32_e32 vcc, v100, v5
	s_waitcnt lgkmcnt(1)
	v_cndmask_b32_e32 v5, 0, v28, vcc
	s_waitcnt lgkmcnt(0)
	v_cndmask_b32_e32 v28, 0, v29, vcc
	v_add3_u32 v3, v28, v27, v3
	v_add3_u32 v2, v5, v26, v2
.LBB1054_104:                           ; =>This Loop Header: Depth=1
                                        ;     Child Loop BB1054_107 Depth 2
	v_cmp_ne_u16_sdwa s[14:15], v4, v88 src0_sel:BYTE_0 src1_sel:DWORD
	v_cndmask_b32_e64 v4, 0, 1, s[14:15]
	;;#ASMSTART
	;;#ASMEND
	v_cmp_ne_u32_e32 vcc, 0, v4
	s_cmp_lg_u64 vcc, exec
	v_pk_mov_b32 v[26:27], v[2:3], v[2:3] op_sel:[0,1]
	s_cbranch_scc1 .LBB1054_109
; %bb.105:                              ;   in Loop: Header=BB1054_104 Depth=1
	v_lshlrev_b64 v[2:3], 4, v[24:25]
	v_mov_b32_e32 v4, s13
	v_add_co_u32_e32 v28, vcc, s12, v2
	v_addc_co_u32_e32 v29, vcc, v4, v3, vcc
	;;#ASMSTART
	global_load_dwordx4 v[2:5], v[28:29] off glc	
s_waitcnt vmcnt(0)
	;;#ASMEND
	v_and_b32_e32 v5, 0xff, v3
	v_and_b32_e32 v101, 0xff00, v3
	v_or3_b32 v5, 0, v5, v101
	v_or3_b32 v2, v2, 0, 0
	v_and_b32_e32 v101, 0xff000000, v3
	v_and_b32_e32 v3, 0xff0000, v3
	v_or3_b32 v3, v5, v3, v101
	v_or3_b32 v2, v2, 0, 0
	v_cmp_eq_u16_sdwa s[16:17], v4, v25 src0_sel:BYTE_0 src1_sel:DWORD
	s_and_saveexec_b64 s[14:15], s[16:17]
	s_cbranch_execz .LBB1054_103
; %bb.106:                              ;   in Loop: Header=BB1054_104 Depth=1
	s_mov_b64 s[16:17], 0
.LBB1054_107:                           ;   Parent Loop BB1054_104 Depth=1
                                        ; =>  This Inner Loop Header: Depth=2
	;;#ASMSTART
	global_load_dwordx4 v[2:5], v[28:29] off glc	
s_waitcnt vmcnt(0)
	;;#ASMEND
	v_cmp_ne_u16_sdwa s[20:21], v4, v25 src0_sel:BYTE_0 src1_sel:DWORD
	s_or_b64 s[16:17], s[20:21], s[16:17]
	s_andn2_b64 exec, exec, s[16:17]
	s_cbranch_execnz .LBB1054_107
; %bb.108:                              ;   in Loop: Header=BB1054_104 Depth=1
	s_or_b64 exec, exec, s[16:17]
	s_branch .LBB1054_103
.LBB1054_109:                           ;   in Loop: Header=BB1054_104 Depth=1
                                        ; implicit-def: $vgpr4
                                        ; implicit-def: $vgpr2_vgpr3
	s_cbranch_execz .LBB1054_104
; %bb.110:
	s_and_saveexec_b64 s[14:15], s[8:9]
	s_cbranch_execz .LBB1054_112
; %bb.111:
	s_add_i32 s6, s6, 64
	s_mov_b32 s7, 0
	v_add_u32_e32 v3, v27, v23
	s_lshl_b64 s[6:7], s[6:7], 4
	s_add_u32 s6, s12, s6
	v_and_b32_e32 v4, 0xff000000, v3
	v_and_b32_e32 v6, 0xff0000, v3
	s_addc_u32 s7, s13, s7
	v_or_b32_e32 v4, v6, v4
	v_and_b32_e32 v6, 0xff00, v3
	v_and_b32_e32 v3, 0xff, v3
	v_add_u32_e32 v2, v26, v22
	v_mov_b32_e32 v5, 0
	v_or3_b32 v3, v4, v6, v3
	v_mov_b32_e32 v4, 2
	v_pk_mov_b32 v[6:7], s[6:7], s[6:7] op_sel:[0,1]
	;;#ASMSTART
	global_store_dwordx4 v[6:7], v[2:5] off	
s_waitcnt vmcnt(0)
	;;#ASMEND
	s_movk_i32 s6, 0x3400
	v_add_u32_e64 v2, s6, 0
	ds_write2_b32 v2, v22, v23 offset1:2
	ds_write2_b32 v2, v26, v27 offset0:4 offset1:6
.LBB1054_112:
	s_or_b64 exec, exec, s[14:15]
	v_cmp_eq_u32_e32 vcc, 0, v0
	s_and_b64 exec, exec, vcc
	s_cbranch_execz .LBB1054_114
; %bb.113:
	v_mov_b32_e32 v2, 0
	ds_write_b64 v2, v[26:27] offset:24
.LBB1054_114:
	s_or_b64 exec, exec, s[10:11]
	v_mov_b32_e32 v2, 0
	s_waitcnt lgkmcnt(0)
	s_barrier
	ds_read_b64 v[6:7], v2 offset:24
	s_movk_i32 s6, 0x3400
	v_cndmask_b32_e64 v2, v87, v21, s[8:9]
	v_cndmask_b32_e64 v1, v1, v20, s[8:9]
	v_add_u32_e64 v4, s6, 0
	s_waitcnt lgkmcnt(0)
	v_add_u32_e32 v20, v6, v1
	v_add_u32_e32 v1, v7, v2
	s_barrier
	ds_read2_b32 v[2:3], v4 offset1:2
	ds_read2_b32 v[4:5], v4 offset0:4 offset1:6
	v_cmp_eq_u32_e32 vcc, 0, v0
	v_cndmask_b32_e32 v1, v1, v7, vcc
	v_cndmask_b32_e32 v20, v20, v6, vcc
	s_branch .LBB1054_125
.LBB1054_115:
                                        ; implicit-def: $vgpr1
                                        ; implicit-def: $vgpr4
                                        ; implicit-def: $vgpr2
                                        ; implicit-def: $vgpr20_vgpr21
	s_cbranch_execz .LBB1054_125
; %bb.116:
	s_nop 0
	v_mov_b32_dpp v1, v85 row_shr:1 row_mask:0xf bank_mask:0xf
	s_waitcnt lgkmcnt(0)
	v_mov_b32_dpp v2, v86 row_shr:1 row_mask:0xf bank_mask:0xf
	v_add_u32_e32 v1, v1, v85
	v_add_u32_e32 v2, v2, v86
	v_cndmask_b32_e64 v2, v2, v86, s[4:5]
	v_cndmask_b32_e64 v1, v1, v85, s[4:5]
	v_cmp_lt_u32_e32 vcc, 3, v84
	v_mov_b32_dpp v4, v2 row_shr:2 row_mask:0xf bank_mask:0xf
	v_mov_b32_dpp v3, v1 row_shr:2 row_mask:0xf bank_mask:0xf
	v_add_u32_e32 v3, v1, v3
	v_add_u32_e32 v4, v2, v4
	v_cndmask_b32_e64 v2, v2, v4, s[2:3]
	v_cndmask_b32_e64 v1, v1, v3, s[2:3]
	s_nop 0
	v_mov_b32_dpp v4, v2 row_shr:4 row_mask:0xf bank_mask:0xf
	v_mov_b32_dpp v3, v1 row_shr:4 row_mask:0xf bank_mask:0xf
	v_add_u32_e32 v3, v1, v3
	v_add_u32_e32 v4, v2, v4
	v_cndmask_b32_e32 v2, v2, v4, vcc
	v_cndmask_b32_e32 v1, v1, v3, vcc
	v_cmp_lt_u32_e32 vcc, 7, v84
	v_mov_b32_dpp v4, v2 row_shr:8 row_mask:0xf bank_mask:0xf
	v_mov_b32_dpp v3, v1 row_shr:8 row_mask:0xf bank_mask:0xf
	v_add_u32_e32 v3, v1, v3
	v_add_u32_e32 v4, v2, v4
	v_cndmask_b32_e32 v2, v2, v4, vcc
	v_cndmask_b32_e32 v1, v1, v3, vcc
	v_cmp_eq_u32_e32 vcc, 0, v83
	v_mov_b32_dpp v4, v2 row_bcast:15 row_mask:0xf bank_mask:0xf
	v_mov_b32_dpp v3, v1 row_bcast:15 row_mask:0xf bank_mask:0xf
	v_add_u32_e32 v3, v1, v3
	v_add_u32_e32 v4, v2, v4
	v_cndmask_b32_e32 v2, v4, v2, vcc
	v_cndmask_b32_e32 v1, v3, v1, vcc
	v_cmp_lt_u32_e32 vcc, 31, v80
	v_mov_b32_dpp v4, v2 row_bcast:31 row_mask:0xf bank_mask:0xf
	v_mov_b32_dpp v3, v1 row_bcast:31 row_mask:0xf bank_mask:0xf
	v_add_u32_e32 v4, v2, v4
	v_add_u32_e32 v5, v1, v3
	v_cndmask_b32_e32 v3, v2, v4, vcc
	v_cndmask_b32_e32 v2, v1, v5, vcc
	v_cmp_eq_u32_e32 vcc, v82, v0
	s_and_saveexec_b64 s[2:3], vcc
	s_cbranch_execz .LBB1054_118
; %bb.117:
	v_lshlrev_b32_e32 v1, 3, v81
	ds_write_b64 v1, v[2:3]
.LBB1054_118:
	s_or_b64 exec, exec, s[2:3]
	v_cmp_gt_u32_e32 vcc, 4, v0
	s_waitcnt lgkmcnt(0)
	s_barrier
	s_and_saveexec_b64 s[2:3], vcc
	s_cbranch_execz .LBB1054_120
; %bb.119:
	v_lshlrev_b32_e32 v1, 3, v0
	ds_read_b64 v[4:5], v1
	v_and_b32_e32 v6, 3, v80
	v_cmp_eq_u32_e32 vcc, 0, v6
	s_waitcnt lgkmcnt(0)
	v_mov_b32_dpp v7, v4 row_shr:1 row_mask:0xf bank_mask:0xf
	v_mov_b32_dpp v20, v5 row_shr:1 row_mask:0xf bank_mask:0xf
	v_add_u32_e32 v7, v7, v4
	v_add_u32_e32 v20, v20, v5
	v_cndmask_b32_e32 v5, v20, v5, vcc
	v_cndmask_b32_e32 v4, v7, v4, vcc
	v_cmp_lt_u32_e32 vcc, 1, v6
	v_mov_b32_dpp v20, v5 row_shr:2 row_mask:0xf bank_mask:0xf
	v_mov_b32_dpp v7, v4 row_shr:2 row_mask:0xf bank_mask:0xf
	v_cndmask_b32_e32 v6, 0, v7, vcc
	v_cndmask_b32_e32 v7, 0, v20, vcc
	v_add_u32_e32 v5, v7, v5
	v_add_u32_e32 v4, v6, v4
	ds_write_b64 v1, v[4:5]
.LBB1054_120:
	s_or_b64 exec, exec, s[2:3]
	v_cmp_lt_u32_e32 vcc, 63, v0
	v_mov_b32_e32 v4, 0
	v_mov_b32_e32 v6, 0
	;; [unrolled: 1-line block ×3, first 2 shown]
	s_waitcnt lgkmcnt(0)
	s_barrier
	s_and_saveexec_b64 s[2:3], vcc
	s_cbranch_execz .LBB1054_122
; %bb.121:
	v_lshl_add_u32 v1, v81, 3, -8
	ds_read_b64 v[6:7], v1
.LBB1054_122:
	s_or_b64 exec, exec, s[2:3]
	s_waitcnt lgkmcnt(0)
	v_add_u32_e32 v5, v7, v3
	v_add_u32_e32 v1, v6, v2
	v_add_u32_e32 v2, -1, v80
	v_and_b32_e32 v3, 64, v80
	v_cmp_lt_i32_e32 vcc, v2, v3
	v_cndmask_b32_e32 v2, v2, v80, vcc
	v_lshlrev_b32_e32 v20, 2, v2
	ds_read_b64 v[2:3], v4 offset:24
	ds_bpermute_b32 v1, v20, v1
	ds_bpermute_b32 v20, v20, v5
	v_cmp_eq_u32_e32 vcc, 0, v0
	s_waitcnt lgkmcnt(2)
	v_readfirstlane_b32 s4, v3
	s_and_saveexec_b64 s[2:3], vcc
	s_cbranch_execz .LBB1054_124
; %bb.123:
	s_add_u32 s6, s12, 0x400
	s_mov_b32 s8, 0
	s_addc_u32 s7, s13, 0
	s_and_b32 s9, s4, 0xff000000
	s_and_b32 s11, s4, 0xff0000
	s_mov_b32 s10, s8
	s_or_b64 s[10:11], s[10:11], s[8:9]
	s_and_b32 s9, s4, 0xff00
	s_or_b64 s[10:11], s[10:11], s[8:9]
	s_and_b32 s9, s4, 0xff
	s_or_b64 s[8:9], s[10:11], s[8:9]
	v_mov_b32_e32 v3, s9
	v_mov_b32_e32 v4, 2
	v_mov_b32_e32 v5, 0
	v_pk_mov_b32 v[22:23], s[6:7], s[6:7] op_sel:[0,1]
	;;#ASMSTART
	global_store_dwordx4 v[22:23], v[2:5] off	
s_waitcnt vmcnt(0)
	;;#ASMEND
.LBB1054_124:
	s_or_b64 exec, exec, s[2:3]
	v_cmp_eq_u32_e64 s[2:3], 0, v80
	s_waitcnt lgkmcnt(1)
	v_cndmask_b32_e64 v3, v1, v6, s[2:3]
	s_waitcnt lgkmcnt(0)
	v_cndmask_b32_e64 v1, v20, v7, s[2:3]
	v_mov_b32_e32 v4, 0
	v_cndmask_b32_e64 v1, v1, 0, vcc
	v_cndmask_b32_e64 v20, v3, 0, vcc
	s_barrier
	v_mov_b32_e32 v3, s4
	v_mov_b32_e32 v5, 0
.LBB1054_125:
	v_add_u32_e32 v24, v1, v63
	v_add_u32_e32 v25, v24, v74
	;; [unrolled: 1-line block ×14, first 2 shown]
	v_mov_b32_e32 v7, s49
	s_waitcnt lgkmcnt(0)
	v_add_co_u32_e32 v6, vcc, s48, v4
	v_add_u32_e32 v64, v58, v68
	v_add_u32_e32 v68, v66, v71
	v_addc_co_u32_e32 v7, vcc, 0, v7, vcc
	v_add_u32_e32 v69, v68, v78
	v_mov_b32_e32 v22, s51
	v_sub_co_u32_e32 v23, vcc, s50, v2
	v_add_u32_e32 v71, v69, v73
	v_subbrev_co_u32_e32 v73, vcc, 0, v22, vcc
	v_add_co_u32_e32 v22, vcc, v23, v5
	v_addc_co_u32_e32 v23, vcc, 0, v73, vcc
	v_lshlrev_b32_e32 v73, 1, v2
	v_sub_u32_e32 v1, v1, v5
	v_add_u32_e32 v74, v73, v3
	v_sub_u32_e32 v20, v20, v4
	v_add_u32_e32 v1, v1, v2
	v_add_u32_e32 v31, v74, v31
	v_and_b32_e32 v33, 1, v33
	v_add_u32_e32 v74, v20, v1
	v_and_b32_e32 v32, 1, v32
	v_sub_u32_e32 v74, v31, v74
	v_cmp_eq_u32_e32 vcc, 1, v33
	v_cndmask_b32_e32 v1, v74, v1, vcc
	v_cmp_eq_u32_e32 vcc, 1, v32
	v_cndmask_b32_e32 v1, v1, v20, vcc
	v_lshlrev_b32_e32 v1, 2, v1
	v_sub_u32_e32 v20, v24, v5
	ds_write_b32 v1, v18
	v_sub_u32_e32 v1, v21, v4
	v_add_u32_e32 v20, v20, v2
	v_add_u32_e32 v24, v20, v1
	v_and_b32_e32 v21, 1, v35
	v_sub_u32_e32 v24, v31, v24
	v_and_b32_e32 v18, 1, v34
	v_add_u32_e32 v24, 1, v24
	v_cmp_eq_u32_e32 vcc, 1, v21
	v_cndmask_b32_e32 v20, v24, v20, vcc
	v_cmp_eq_u32_e32 vcc, 1, v18
	v_cndmask_b32_e32 v1, v20, v1, vcc
	v_lshlrev_b32_e32 v1, 2, v1
	ds_write_b32 v1, v19
	v_sub_u32_e32 v19, v25, v5
	v_sub_u32_e32 v1, v26, v4
	v_add_u32_e32 v19, v19, v2
	v_add_u32_e32 v21, v19, v1
	v_and_b32_e32 v20, 1, v37
	v_sub_u32_e32 v21, v31, v21
	v_and_b32_e32 v18, 1, v36
	v_add_u32_e32 v21, 2, v21
	v_cmp_eq_u32_e32 vcc, 1, v20
	v_cndmask_b32_e32 v19, v21, v19, vcc
	v_cmp_eq_u32_e32 vcc, 1, v18
	v_cndmask_b32_e32 v1, v19, v1, vcc
	v_lshlrev_b32_e32 v1, 2, v1
	v_sub_u32_e32 v18, v28, v5
	ds_write_b32 v1, v16
	v_sub_u32_e32 v1, v27, v4
	v_add_u32_e32 v18, v18, v2
	v_add_u32_e32 v20, v1, v18
	v_and_b32_e32 v19, 1, v38
	v_sub_u32_e32 v20, v31, v20
	v_and_b32_e32 v16, 1, v39
	v_add_u32_e32 v20, 3, v20
	v_cmp_eq_u32_e32 vcc, 1, v19
	v_cndmask_b32_e32 v18, v20, v18, vcc
	v_cmp_eq_u32_e32 vcc, 1, v16
	v_cndmask_b32_e32 v1, v18, v1, vcc
	v_lshlrev_b32_e32 v1, 2, v1
	ds_write_b32 v1, v17
	v_sub_u32_e32 v17, v29, v5
	v_sub_u32_e32 v1, v56, v4
	v_add_u32_e32 v17, v17, v2
	v_add_u32_e32 v19, v1, v17
	v_and_b32_e32 v18, 1, v40
	v_sub_u32_e32 v19, v31, v19
	v_and_b32_e32 v16, 1, v41
	v_add_u32_e32 v19, 4, v19
	;; [unrolled: 28-line block ×3, first 2 shown]
	v_cmp_eq_u32_e32 vcc, 1, v16
	v_cndmask_b32_e32 v15, v17, v15, vcc
	v_cmp_eq_u32_e32 vcc, 1, v14
	v_cndmask_b32_e32 v1, v15, v1, vcc
	v_lshlrev_b32_e32 v1, 2, v1
	v_sub_u32_e32 v14, v65, v5
	ds_write_b32 v1, v12
	v_sub_u32_e32 v1, v64, v4
	v_add_u32_e32 v14, v14, v2
	v_add_u32_e32 v16, v1, v14
	v_and_b32_e32 v15, 1, v46
	v_sub_u32_e32 v16, v31, v16
	v_and_b32_e32 v12, 1, v47
	v_add_u32_e32 v16, 7, v16
	v_cmp_eq_u32_e32 vcc, 1, v15
	v_cndmask_b32_e32 v14, v16, v14, vcc
	v_cmp_eq_u32_e32 vcc, 1, v12
	v_cndmask_b32_e32 v1, v14, v1, vcc
	v_lshlrev_b32_e32 v1, 2, v1
	v_add_u32_e32 v59, v64, v59
	ds_write_b32 v1, v13
	v_sub_u32_e32 v13, v66, v5
	v_sub_u32_e32 v1, v59, v4
	v_add_u32_e32 v13, v13, v2
	v_add_u32_e32 v15, v1, v13
	v_and_b32_e32 v14, 1, v48
	v_sub_u32_e32 v15, v31, v15
	v_and_b32_e32 v12, 1, v49
	v_add_u32_e32 v15, 8, v15
	v_cmp_eq_u32_e32 vcc, 1, v14
	v_cndmask_b32_e32 v13, v15, v13, vcc
	v_cmp_eq_u32_e32 vcc, 1, v12
	v_cndmask_b32_e32 v1, v13, v1, vcc
	v_add_u32_e32 v67, v59, v70
	v_lshlrev_b32_e32 v1, 2, v1
	v_sub_u32_e32 v12, v68, v5
	ds_write_b32 v1, v10
	v_sub_u32_e32 v1, v67, v4
	v_add_u32_e32 v12, v12, v2
	v_add_u32_e32 v14, v1, v12
	v_and_b32_e32 v13, 1, v50
	v_sub_u32_e32 v14, v31, v14
	v_and_b32_e32 v10, 1, v51
	v_add_u32_e32 v14, 9, v14
	v_cmp_eq_u32_e32 vcc, 1, v13
	v_cndmask_b32_e32 v12, v14, v12, vcc
	v_cmp_eq_u32_e32 vcc, 1, v10
	v_cndmask_b32_e32 v1, v12, v1, vcc
	v_lshlrev_b32_e32 v1, 2, v1
	v_add_u32_e32 v60, v67, v60
	ds_write_b32 v1, v11
	v_sub_u32_e32 v11, v69, v5
	v_sub_u32_e32 v1, v60, v4
	v_add_u32_e32 v11, v11, v2
	v_add_u32_e32 v13, v1, v11
	v_and_b32_e32 v12, 1, v52
	v_sub_u32_e32 v13, v31, v13
	v_and_b32_e32 v10, 1, v53
	v_add_u32_e32 v13, 10, v13
	v_cmp_eq_u32_e32 vcc, 1, v12
	v_cndmask_b32_e32 v11, v13, v11, vcc
	v_cmp_eq_u32_e32 vcc, 1, v10
	v_cndmask_b32_e32 v1, v11, v1, vcc
	v_add_u32_e32 v70, v60, v72
	v_lshlrev_b32_e32 v1, 2, v1
	v_sub_u32_e32 v10, v71, v5
	ds_write_b32 v1, v8
	v_sub_u32_e32 v1, v70, v4
	v_add_u32_e32 v10, v10, v2
	v_add_u32_e32 v12, v1, v10
	v_and_b32_e32 v11, 1, v54
	v_sub_u32_e32 v12, v31, v12
	v_and_b32_e32 v8, 1, v55
	v_add_u32_e32 v12, 11, v12
	v_cmp_eq_u32_e32 vcc, 1, v11
	v_cndmask_b32_e32 v10, v12, v10, vcc
	v_cmp_eq_u32_e32 vcc, 1, v8
	v_cndmask_b32_e32 v1, v10, v1, vcc
	v_add_u32_e32 v72, v71, v79
	v_add_u32_e32 v61, v70, v61
	v_lshlrev_b32_e32 v1, 2, v1
	ds_write_b32 v1, v9
	v_sub_u32_e32 v1, v61, v4
	v_sub_u32_e32 v4, v72, v5
	v_add_u32_e32 v4, v4, v2
	v_add_u32_e32 v8, v1, v4
	v_sub_u32_e32 v8, v31, v8
	v_add_u32_e32 v8, 12, v8
	v_cndmask_b32_e64 v4, v8, v4, s[58:59]
	v_cndmask_b32_e64 v1, v4, v1, s[46:47]
	v_lshlrev_b32_e32 v1, 2, v1
	ds_write_b32 v1, v30
	v_add_co_u32_e32 v1, vcc, v3, v73
	v_addc_co_u32_e64 v4, s[2:3], 0, 0, vcc
	v_add_co_u32_e32 v1, vcc, v1, v22
	v_addc_co_u32_e32 v4, vcc, v4, v23, vcc
	s_add_u32 s4, s56, s33
	v_add_co_u32_e32 v1, vcc, v1, v6
	s_addc_u32 s5, s57, 0
	v_addc_co_u32_e32 v4, vcc, v4, v7, vcc
	v_mov_b32_e32 v8, s5
	v_sub_co_u32_e32 v1, vcc, s4, v1
	v_subb_co_u32_e32 v4, vcc, v8, v4, vcc
	v_lshlrev_b64 v[8:9], 2, v[22:23]
	v_mov_b32_e32 v10, s55
	v_add_co_u32_e32 v8, vcc, s54, v8
	v_addc_co_u32_e32 v9, vcc, v10, v9, vcc
	v_lshlrev_b64 v[10:11], 2, v[6:7]
	v_mov_b32_e32 v13, s53
	v_add_co_u32_e32 v10, vcc, s52, v10
	s_add_u32 s6, s34, -4
	v_addc_co_u32_e32 v11, vcc, v13, v11, vcc
	s_addc_u32 s7, s35, -1
	v_add_u32_e32 v12, v2, v3
	s_and_b64 vcc, exec, s[0:1]
	s_mov_b64 s[0:1], -1
	s_waitcnt lgkmcnt(0)
	s_barrier
	s_cbranch_vccz .LBB1054_129
; %bb.126:
	s_and_b64 vcc, exec, s[0:1]
	s_cbranch_vccnz .LBB1054_234
.LBB1054_127:
	v_cmp_eq_u32_e32 vcc, 0, v0
	s_and_b64 s[0:1], vcc, s[30:31]
	s_and_saveexec_b64 s[2:3], s[0:1]
	s_cbranch_execnz .LBB1054_352
.LBB1054_128:
	s_endpgm
.LBB1054_129:
	v_cmp_le_u32_e32 vcc, v2, v0
	s_and_saveexec_b64 s[0:1], vcc
	s_xor_b64 s[0:1], exec, s[0:1]
	s_cbranch_execz .LBB1054_135
; %bb.130:
	v_cmp_le_u32_e32 vcc, v12, v0
	s_and_saveexec_b64 s[2:3], vcc
	s_xor_b64 s[2:3], exec, s[2:3]
	s_cbranch_execz .LBB1054_132
; %bb.131:
	v_lshlrev_b32_e32 v13, 2, v0
	v_add_co_u32_e32 v14, vcc, v1, v0
	ds_read_b32 v13, v13
	v_addc_co_u32_e32 v15, vcc, 0, v4, vcc
	v_lshlrev_b64 v[14:15], 2, v[14:15]
	v_mov_b32_e32 v16, s35
	v_sub_co_u32_e32 v14, vcc, s34, v14
	v_subb_co_u32_e32 v15, vcc, v16, v15, vcc
	s_waitcnt lgkmcnt(0)
	global_store_dword v[14:15], v13, off offset:-4
.LBB1054_132:
	s_andn2_saveexec_b64 s[2:3], s[2:3]
	s_cbranch_execz .LBB1054_134
; %bb.133:
	v_lshlrev_b32_e32 v13, 2, v0
	ds_read_b32 v14, v13
	v_readfirstlane_b32 s4, v8
	v_readfirstlane_b32 s5, v9
	s_waitcnt lgkmcnt(0)
	s_nop 3
	global_store_dword v13, v14, s[4:5]
.LBB1054_134:
	s_or_b64 exec, exec, s[2:3]
.LBB1054_135:
	s_andn2_saveexec_b64 s[0:1], s[0:1]
	s_cbranch_execz .LBB1054_137
; %bb.136:
	v_lshlrev_b32_e32 v13, 2, v0
	ds_read_b32 v14, v13
	v_readfirstlane_b32 s2, v10
	v_readfirstlane_b32 s3, v11
	s_waitcnt lgkmcnt(0)
	s_nop 3
	global_store_dword v13, v14, s[2:3]
.LBB1054_137:
	s_or_b64 exec, exec, s[0:1]
	v_or_b32_e32 v13, 0x100, v0
	v_cmp_le_u32_e32 vcc, v2, v13
	s_and_saveexec_b64 s[0:1], vcc
	s_xor_b64 s[0:1], exec, s[0:1]
	s_cbranch_execz .LBB1054_143
; %bb.138:
	v_cmp_le_u32_e32 vcc, v12, v13
	s_and_saveexec_b64 s[2:3], vcc
	s_xor_b64 s[2:3], exec, s[2:3]
	s_cbranch_execz .LBB1054_140
; %bb.139:
	v_lshlrev_b32_e32 v13, 2, v0
	ds_read_b32 v13, v13 offset:1024
	v_add_co_u32_e32 v14, vcc, v1, v0
	v_addc_co_u32_e32 v15, vcc, 0, v4, vcc
	v_lshlrev_b64 v[14:15], 2, v[14:15]
	v_mov_b32_e32 v16, s7
	v_sub_co_u32_e32 v14, vcc, s6, v14
	v_subb_co_u32_e32 v15, vcc, v16, v15, vcc
	s_waitcnt lgkmcnt(0)
	global_store_dword v[14:15], v13, off offset:-1024
.LBB1054_140:
	s_andn2_saveexec_b64 s[2:3], s[2:3]
	s_cbranch_execz .LBB1054_142
; %bb.141:
	v_lshlrev_b32_e32 v13, 2, v0
	ds_read_b32 v14, v13 offset:1024
	v_readfirstlane_b32 s4, v8
	v_readfirstlane_b32 s5, v9
	s_waitcnt lgkmcnt(0)
	s_nop 3
	global_store_dword v13, v14, s[4:5] offset:1024
.LBB1054_142:
	s_or_b64 exec, exec, s[2:3]
.LBB1054_143:
	s_andn2_saveexec_b64 s[0:1], s[0:1]
	s_cbranch_execz .LBB1054_145
; %bb.144:
	v_lshlrev_b32_e32 v13, 2, v0
	ds_read_b32 v14, v13 offset:1024
	v_readfirstlane_b32 s2, v10
	v_readfirstlane_b32 s3, v11
	s_waitcnt lgkmcnt(0)
	s_nop 3
	global_store_dword v13, v14, s[2:3] offset:1024
.LBB1054_145:
	s_or_b64 exec, exec, s[0:1]
	v_or_b32_e32 v13, 0x200, v0
	v_cmp_le_u32_e32 vcc, v2, v13
	s_and_saveexec_b64 s[0:1], vcc
	s_xor_b64 s[0:1], exec, s[0:1]
	s_cbranch_execz .LBB1054_151
; %bb.146:
	v_cmp_le_u32_e32 vcc, v12, v13
	s_and_saveexec_b64 s[2:3], vcc
	s_xor_b64 s[2:3], exec, s[2:3]
	s_cbranch_execz .LBB1054_148
; %bb.147:
	v_lshlrev_b32_e32 v13, 2, v0
	ds_read_b32 v13, v13 offset:2048
	v_add_co_u32_e32 v14, vcc, v1, v0
	v_addc_co_u32_e32 v15, vcc, 0, v4, vcc
	v_lshlrev_b64 v[14:15], 2, v[14:15]
	v_mov_b32_e32 v16, s7
	v_sub_co_u32_e32 v14, vcc, s6, v14
	v_subb_co_u32_e32 v15, vcc, v16, v15, vcc
	s_waitcnt lgkmcnt(0)
	global_store_dword v[14:15], v13, off offset:-2048
.LBB1054_148:
	s_andn2_saveexec_b64 s[2:3], s[2:3]
	s_cbranch_execz .LBB1054_150
; %bb.149:
	v_lshlrev_b32_e32 v13, 2, v0
	ds_read_b32 v14, v13 offset:2048
	v_readfirstlane_b32 s4, v8
	v_readfirstlane_b32 s5, v9
	s_waitcnt lgkmcnt(0)
	s_nop 3
	global_store_dword v13, v14, s[4:5] offset:2048
.LBB1054_150:
	s_or_b64 exec, exec, s[2:3]
.LBB1054_151:
	s_andn2_saveexec_b64 s[0:1], s[0:1]
	s_cbranch_execz .LBB1054_153
; %bb.152:
	v_lshlrev_b32_e32 v13, 2, v0
	ds_read_b32 v14, v13 offset:2048
	v_readfirstlane_b32 s2, v10
	v_readfirstlane_b32 s3, v11
	s_waitcnt lgkmcnt(0)
	s_nop 3
	global_store_dword v13, v14, s[2:3] offset:2048
.LBB1054_153:
	;; [unrolled: 47-line block ×3, first 2 shown]
	s_or_b64 exec, exec, s[0:1]
	v_or_b32_e32 v13, 0x400, v0
	v_cmp_le_u32_e32 vcc, v2, v13
	s_and_saveexec_b64 s[0:1], vcc
	s_xor_b64 s[0:1], exec, s[0:1]
	s_cbranch_execz .LBB1054_167
; %bb.162:
	v_cmp_le_u32_e32 vcc, v12, v13
	s_and_saveexec_b64 s[2:3], vcc
	s_xor_b64 s[2:3], exec, s[2:3]
	s_cbranch_execz .LBB1054_164
; %bb.163:
	v_lshlrev_b32_e32 v13, 2, v0
	ds_read_b32 v13, v13 offset:4096
	v_add_co_u32_e32 v14, vcc, v1, v0
	v_addc_co_u32_e32 v15, vcc, 0, v4, vcc
	v_lshlrev_b64 v[14:15], 2, v[14:15]
	v_mov_b32_e32 v16, s7
	v_sub_co_u32_e32 v14, vcc, s6, v14
	v_subb_co_u32_e32 v15, vcc, v16, v15, vcc
	s_waitcnt lgkmcnt(0)
	global_store_dword v[14:15], v13, off offset:-4096
                                        ; implicit-def: $vgpr13
.LBB1054_164:
	s_andn2_saveexec_b64 s[2:3], s[2:3]
	s_cbranch_execz .LBB1054_166
; %bb.165:
	v_lshlrev_b32_e32 v14, 2, v0
	ds_read_b32 v14, v14 offset:4096
	v_lshlrev_b32_e32 v13, 2, v13
	v_readfirstlane_b32 s4, v8
	v_readfirstlane_b32 s5, v9
	s_waitcnt lgkmcnt(0)
	s_nop 3
	global_store_dword v13, v14, s[4:5]
.LBB1054_166:
	s_or_b64 exec, exec, s[2:3]
                                        ; implicit-def: $vgpr13
.LBB1054_167:
	s_andn2_saveexec_b64 s[0:1], s[0:1]
	s_cbranch_execz .LBB1054_169
; %bb.168:
	v_lshlrev_b32_e32 v14, 2, v0
	ds_read_b32 v14, v14 offset:4096
	v_lshlrev_b32_e32 v13, 2, v13
	v_readfirstlane_b32 s2, v10
	v_readfirstlane_b32 s3, v11
	s_waitcnt lgkmcnt(0)
	s_nop 3
	global_store_dword v13, v14, s[2:3]
.LBB1054_169:
	s_or_b64 exec, exec, s[0:1]
	v_or_b32_e32 v13, 0x500, v0
	v_cmp_le_u32_e32 vcc, v2, v13
	s_and_saveexec_b64 s[0:1], vcc
	s_xor_b64 s[0:1], exec, s[0:1]
	s_cbranch_execz .LBB1054_175
; %bb.170:
	v_cmp_le_u32_e32 vcc, v12, v13
	s_and_saveexec_b64 s[2:3], vcc
	s_xor_b64 s[2:3], exec, s[2:3]
	s_cbranch_execz .LBB1054_172
; %bb.171:
	v_add_co_u32_e32 v14, vcc, v1, v13
	v_lshlrev_b32_e32 v13, 2, v0
	ds_read_b32 v13, v13 offset:5120
	v_addc_co_u32_e32 v15, vcc, 0, v4, vcc
	v_lshlrev_b64 v[14:15], 2, v[14:15]
	v_mov_b32_e32 v16, s7
	v_sub_co_u32_e32 v14, vcc, s6, v14
	v_subb_co_u32_e32 v15, vcc, v16, v15, vcc
	s_waitcnt lgkmcnt(0)
	global_store_dword v[14:15], v13, off
                                        ; implicit-def: $vgpr13
.LBB1054_172:
	s_andn2_saveexec_b64 s[2:3], s[2:3]
	s_cbranch_execz .LBB1054_174
; %bb.173:
	v_lshlrev_b32_e32 v14, 2, v0
	ds_read_b32 v14, v14 offset:5120
	v_lshlrev_b32_e32 v13, 2, v13
	v_readfirstlane_b32 s4, v8
	v_readfirstlane_b32 s5, v9
	s_waitcnt lgkmcnt(0)
	s_nop 3
	global_store_dword v13, v14, s[4:5]
.LBB1054_174:
	s_or_b64 exec, exec, s[2:3]
                                        ; implicit-def: $vgpr13
.LBB1054_175:
	s_andn2_saveexec_b64 s[0:1], s[0:1]
	s_cbranch_execz .LBB1054_177
; %bb.176:
	v_lshlrev_b32_e32 v14, 2, v0
	ds_read_b32 v14, v14 offset:5120
	v_lshlrev_b32_e32 v13, 2, v13
	v_readfirstlane_b32 s2, v10
	v_readfirstlane_b32 s3, v11
	s_waitcnt lgkmcnt(0)
	s_nop 3
	global_store_dword v13, v14, s[2:3]
.LBB1054_177:
	s_or_b64 exec, exec, s[0:1]
	v_or_b32_e32 v13, 0x600, v0
	v_cmp_le_u32_e32 vcc, v2, v13
	s_and_saveexec_b64 s[0:1], vcc
	s_xor_b64 s[0:1], exec, s[0:1]
	s_cbranch_execz .LBB1054_183
; %bb.178:
	v_cmp_le_u32_e32 vcc, v12, v13
	s_and_saveexec_b64 s[2:3], vcc
	s_xor_b64 s[2:3], exec, s[2:3]
	s_cbranch_execz .LBB1054_180
; %bb.179:
	v_add_co_u32_e32 v14, vcc, v1, v13
	v_lshlrev_b32_e32 v13, 2, v0
	ds_read_b32 v13, v13 offset:6144
	v_addc_co_u32_e32 v15, vcc, 0, v4, vcc
	v_lshlrev_b64 v[14:15], 2, v[14:15]
	v_mov_b32_e32 v16, s7
	v_sub_co_u32_e32 v14, vcc, s6, v14
	v_subb_co_u32_e32 v15, vcc, v16, v15, vcc
	s_waitcnt lgkmcnt(0)
	global_store_dword v[14:15], v13, off
                                        ; implicit-def: $vgpr13
.LBB1054_180:
	s_andn2_saveexec_b64 s[2:3], s[2:3]
	s_cbranch_execz .LBB1054_182
; %bb.181:
	v_lshlrev_b32_e32 v14, 2, v0
	ds_read_b32 v14, v14 offset:6144
	v_lshlrev_b32_e32 v13, 2, v13
	v_readfirstlane_b32 s4, v8
	v_readfirstlane_b32 s5, v9
	s_waitcnt lgkmcnt(0)
	s_nop 3
	global_store_dword v13, v14, s[4:5]
.LBB1054_182:
	s_or_b64 exec, exec, s[2:3]
                                        ; implicit-def: $vgpr13
.LBB1054_183:
	;; [unrolled: 51-line block ×8, first 2 shown]
	s_andn2_saveexec_b64 s[0:1], s[0:1]
	s_cbranch_execz .LBB1054_233
; %bb.232:
	v_lshlrev_b32_e32 v14, 2, v0
	ds_read_b32 v14, v14 offset:12288
	v_lshlrev_b32_e32 v13, 2, v13
	v_readfirstlane_b32 s2, v10
	v_readfirstlane_b32 s3, v11
	s_waitcnt lgkmcnt(0)
	s_nop 3
	global_store_dword v13, v14, s[2:3]
.LBB1054_233:
	s_or_b64 exec, exec, s[0:1]
	s_branch .LBB1054_127
.LBB1054_234:
	v_cmp_gt_u32_e32 vcc, s18, v0
	s_and_saveexec_b64 s[0:1], vcc
	s_cbranch_execz .LBB1054_243
; %bb.235:
	v_cmp_le_u32_e32 vcc, v2, v0
	s_and_saveexec_b64 s[2:3], vcc
	s_xor_b64 s[2:3], exec, s[2:3]
	s_cbranch_execz .LBB1054_241
; %bb.236:
	v_cmp_le_u32_e32 vcc, v12, v0
	s_and_saveexec_b64 s[4:5], vcc
	s_xor_b64 s[4:5], exec, s[4:5]
	s_cbranch_execz .LBB1054_238
; %bb.237:
	v_lshlrev_b32_e32 v13, 2, v0
	v_add_co_u32_e32 v14, vcc, v1, v0
	ds_read_b32 v13, v13
	v_addc_co_u32_e32 v15, vcc, 0, v4, vcc
	v_lshlrev_b64 v[14:15], 2, v[14:15]
	v_mov_b32_e32 v16, s35
	v_sub_co_u32_e32 v14, vcc, s34, v14
	v_subb_co_u32_e32 v15, vcc, v16, v15, vcc
	s_waitcnt lgkmcnt(0)
	global_store_dword v[14:15], v13, off offset:-4
.LBB1054_238:
	s_andn2_saveexec_b64 s[4:5], s[4:5]
	s_cbranch_execz .LBB1054_240
; %bb.239:
	v_lshlrev_b32_e32 v13, 2, v0
	ds_read_b32 v14, v13
	v_readfirstlane_b32 s8, v8
	v_readfirstlane_b32 s9, v9
	s_waitcnt lgkmcnt(0)
	s_nop 3
	global_store_dword v13, v14, s[8:9]
.LBB1054_240:
	s_or_b64 exec, exec, s[4:5]
.LBB1054_241:
	s_andn2_saveexec_b64 s[2:3], s[2:3]
	s_cbranch_execz .LBB1054_243
; %bb.242:
	v_lshlrev_b32_e32 v13, 2, v0
	ds_read_b32 v14, v13
	v_readfirstlane_b32 s2, v10
	v_readfirstlane_b32 s3, v11
	s_waitcnt lgkmcnt(0)
	s_nop 3
	global_store_dword v13, v14, s[2:3]
.LBB1054_243:
	s_or_b64 exec, exec, s[0:1]
	v_or_b32_e32 v13, 0x100, v0
	v_cmp_gt_u32_e32 vcc, s18, v13
	s_and_saveexec_b64 s[0:1], vcc
	s_cbranch_execz .LBB1054_252
; %bb.244:
	v_cmp_le_u32_e32 vcc, v2, v13
	s_and_saveexec_b64 s[2:3], vcc
	s_xor_b64 s[2:3], exec, s[2:3]
	s_cbranch_execz .LBB1054_250
; %bb.245:
	v_cmp_le_u32_e32 vcc, v12, v13
	s_and_saveexec_b64 s[4:5], vcc
	s_xor_b64 s[4:5], exec, s[4:5]
	s_cbranch_execz .LBB1054_247
; %bb.246:
	v_lshlrev_b32_e32 v13, 2, v0
	ds_read_b32 v13, v13 offset:1024
	v_add_co_u32_e32 v14, vcc, v1, v0
	v_addc_co_u32_e32 v15, vcc, 0, v4, vcc
	v_lshlrev_b64 v[14:15], 2, v[14:15]
	v_mov_b32_e32 v16, s7
	v_sub_co_u32_e32 v14, vcc, s6, v14
	v_subb_co_u32_e32 v15, vcc, v16, v15, vcc
	s_waitcnt lgkmcnt(0)
	global_store_dword v[14:15], v13, off offset:-1024
.LBB1054_247:
	s_andn2_saveexec_b64 s[4:5], s[4:5]
	s_cbranch_execz .LBB1054_249
; %bb.248:
	v_lshlrev_b32_e32 v13, 2, v0
	ds_read_b32 v14, v13 offset:1024
	v_readfirstlane_b32 s8, v8
	v_readfirstlane_b32 s9, v9
	s_waitcnt lgkmcnt(0)
	s_nop 3
	global_store_dword v13, v14, s[8:9] offset:1024
.LBB1054_249:
	s_or_b64 exec, exec, s[4:5]
.LBB1054_250:
	s_andn2_saveexec_b64 s[2:3], s[2:3]
	s_cbranch_execz .LBB1054_252
; %bb.251:
	v_lshlrev_b32_e32 v13, 2, v0
	ds_read_b32 v14, v13 offset:1024
	v_readfirstlane_b32 s2, v10
	v_readfirstlane_b32 s3, v11
	s_waitcnt lgkmcnt(0)
	s_nop 3
	global_store_dword v13, v14, s[2:3] offset:1024
.LBB1054_252:
	s_or_b64 exec, exec, s[0:1]
	v_or_b32_e32 v13, 0x200, v0
	v_cmp_gt_u32_e32 vcc, s18, v13
	s_and_saveexec_b64 s[0:1], vcc
	s_cbranch_execz .LBB1054_261
; %bb.253:
	v_cmp_le_u32_e32 vcc, v2, v13
	s_and_saveexec_b64 s[2:3], vcc
	s_xor_b64 s[2:3], exec, s[2:3]
	s_cbranch_execz .LBB1054_259
; %bb.254:
	v_cmp_le_u32_e32 vcc, v12, v13
	s_and_saveexec_b64 s[4:5], vcc
	s_xor_b64 s[4:5], exec, s[4:5]
	s_cbranch_execz .LBB1054_256
; %bb.255:
	v_lshlrev_b32_e32 v13, 2, v0
	ds_read_b32 v13, v13 offset:2048
	v_add_co_u32_e32 v14, vcc, v1, v0
	v_addc_co_u32_e32 v15, vcc, 0, v4, vcc
	v_lshlrev_b64 v[14:15], 2, v[14:15]
	v_mov_b32_e32 v16, s7
	v_sub_co_u32_e32 v14, vcc, s6, v14
	v_subb_co_u32_e32 v15, vcc, v16, v15, vcc
	s_waitcnt lgkmcnt(0)
	global_store_dword v[14:15], v13, off offset:-2048
.LBB1054_256:
	s_andn2_saveexec_b64 s[4:5], s[4:5]
	s_cbranch_execz .LBB1054_258
; %bb.257:
	v_lshlrev_b32_e32 v13, 2, v0
	ds_read_b32 v14, v13 offset:2048
	v_readfirstlane_b32 s8, v8
	v_readfirstlane_b32 s9, v9
	s_waitcnt lgkmcnt(0)
	s_nop 3
	global_store_dword v13, v14, s[8:9] offset:2048
.LBB1054_258:
	s_or_b64 exec, exec, s[4:5]
.LBB1054_259:
	s_andn2_saveexec_b64 s[2:3], s[2:3]
	s_cbranch_execz .LBB1054_261
; %bb.260:
	v_lshlrev_b32_e32 v13, 2, v0
	ds_read_b32 v14, v13 offset:2048
	v_readfirstlane_b32 s2, v10
	v_readfirstlane_b32 s3, v11
	s_waitcnt lgkmcnt(0)
	s_nop 3
	global_store_dword v13, v14, s[2:3] offset:2048
.LBB1054_261:
	;; [unrolled: 51-line block ×3, first 2 shown]
	s_or_b64 exec, exec, s[0:1]
	v_or_b32_e32 v13, 0x400, v0
	v_cmp_gt_u32_e32 vcc, s18, v13
	s_and_saveexec_b64 s[0:1], vcc
	s_cbranch_execz .LBB1054_279
; %bb.271:
	v_cmp_le_u32_e32 vcc, v2, v13
	s_and_saveexec_b64 s[2:3], vcc
	s_xor_b64 s[2:3], exec, s[2:3]
	s_cbranch_execz .LBB1054_277
; %bb.272:
	v_cmp_le_u32_e32 vcc, v12, v13
	s_and_saveexec_b64 s[4:5], vcc
	s_xor_b64 s[4:5], exec, s[4:5]
	s_cbranch_execz .LBB1054_274
; %bb.273:
	v_lshlrev_b32_e32 v13, 2, v0
	ds_read_b32 v13, v13 offset:4096
	v_add_co_u32_e32 v14, vcc, v1, v0
	v_addc_co_u32_e32 v15, vcc, 0, v4, vcc
	v_lshlrev_b64 v[14:15], 2, v[14:15]
	v_mov_b32_e32 v16, s7
	v_sub_co_u32_e32 v14, vcc, s6, v14
	v_subb_co_u32_e32 v15, vcc, v16, v15, vcc
	s_waitcnt lgkmcnt(0)
	global_store_dword v[14:15], v13, off offset:-4096
                                        ; implicit-def: $vgpr13
.LBB1054_274:
	s_andn2_saveexec_b64 s[4:5], s[4:5]
	s_cbranch_execz .LBB1054_276
; %bb.275:
	v_lshlrev_b32_e32 v14, 2, v0
	ds_read_b32 v14, v14 offset:4096
	v_lshlrev_b32_e32 v13, 2, v13
	v_readfirstlane_b32 s8, v8
	v_readfirstlane_b32 s9, v9
	s_waitcnt lgkmcnt(0)
	s_nop 3
	global_store_dword v13, v14, s[8:9]
.LBB1054_276:
	s_or_b64 exec, exec, s[4:5]
                                        ; implicit-def: $vgpr13
.LBB1054_277:
	s_andn2_saveexec_b64 s[2:3], s[2:3]
	s_cbranch_execz .LBB1054_279
; %bb.278:
	v_lshlrev_b32_e32 v14, 2, v0
	ds_read_b32 v14, v14 offset:4096
	v_lshlrev_b32_e32 v13, 2, v13
	v_readfirstlane_b32 s2, v10
	v_readfirstlane_b32 s3, v11
	s_waitcnt lgkmcnt(0)
	s_nop 3
	global_store_dword v13, v14, s[2:3]
.LBB1054_279:
	s_or_b64 exec, exec, s[0:1]
	v_or_b32_e32 v13, 0x500, v0
	v_cmp_gt_u32_e32 vcc, s18, v13
	s_and_saveexec_b64 s[0:1], vcc
	s_cbranch_execz .LBB1054_288
; %bb.280:
	v_cmp_le_u32_e32 vcc, v2, v13
	s_and_saveexec_b64 s[2:3], vcc
	s_xor_b64 s[2:3], exec, s[2:3]
	s_cbranch_execz .LBB1054_286
; %bb.281:
	v_cmp_le_u32_e32 vcc, v12, v13
	s_and_saveexec_b64 s[4:5], vcc
	s_xor_b64 s[4:5], exec, s[4:5]
	s_cbranch_execz .LBB1054_283
; %bb.282:
	v_add_co_u32_e32 v14, vcc, v1, v13
	v_lshlrev_b32_e32 v13, 2, v0
	ds_read_b32 v13, v13 offset:5120
	v_addc_co_u32_e32 v15, vcc, 0, v4, vcc
	v_lshlrev_b64 v[14:15], 2, v[14:15]
	v_mov_b32_e32 v16, s7
	v_sub_co_u32_e32 v14, vcc, s6, v14
	v_subb_co_u32_e32 v15, vcc, v16, v15, vcc
	s_waitcnt lgkmcnt(0)
	global_store_dword v[14:15], v13, off
                                        ; implicit-def: $vgpr13
.LBB1054_283:
	s_andn2_saveexec_b64 s[4:5], s[4:5]
	s_cbranch_execz .LBB1054_285
; %bb.284:
	v_lshlrev_b32_e32 v14, 2, v0
	ds_read_b32 v14, v14 offset:5120
	v_lshlrev_b32_e32 v13, 2, v13
	v_readfirstlane_b32 s8, v8
	v_readfirstlane_b32 s9, v9
	s_waitcnt lgkmcnt(0)
	s_nop 3
	global_store_dword v13, v14, s[8:9]
.LBB1054_285:
	s_or_b64 exec, exec, s[4:5]
                                        ; implicit-def: $vgpr13
.LBB1054_286:
	s_andn2_saveexec_b64 s[2:3], s[2:3]
	s_cbranch_execz .LBB1054_288
; %bb.287:
	v_lshlrev_b32_e32 v14, 2, v0
	ds_read_b32 v14, v14 offset:5120
	v_lshlrev_b32_e32 v13, 2, v13
	v_readfirstlane_b32 s2, v10
	v_readfirstlane_b32 s3, v11
	s_waitcnt lgkmcnt(0)
	s_nop 3
	global_store_dword v13, v14, s[2:3]
.LBB1054_288:
	s_or_b64 exec, exec, s[0:1]
	v_or_b32_e32 v13, 0x600, v0
	v_cmp_gt_u32_e32 vcc, s18, v13
	s_and_saveexec_b64 s[0:1], vcc
	s_cbranch_execz .LBB1054_297
; %bb.289:
	v_cmp_le_u32_e32 vcc, v2, v13
	s_and_saveexec_b64 s[2:3], vcc
	s_xor_b64 s[2:3], exec, s[2:3]
	s_cbranch_execz .LBB1054_295
; %bb.290:
	v_cmp_le_u32_e32 vcc, v12, v13
	s_and_saveexec_b64 s[4:5], vcc
	s_xor_b64 s[4:5], exec, s[4:5]
	s_cbranch_execz .LBB1054_292
; %bb.291:
	v_add_co_u32_e32 v14, vcc, v1, v13
	v_lshlrev_b32_e32 v13, 2, v0
	ds_read_b32 v13, v13 offset:6144
	v_addc_co_u32_e32 v15, vcc, 0, v4, vcc
	v_lshlrev_b64 v[14:15], 2, v[14:15]
	v_mov_b32_e32 v16, s7
	v_sub_co_u32_e32 v14, vcc, s6, v14
	v_subb_co_u32_e32 v15, vcc, v16, v15, vcc
	s_waitcnt lgkmcnt(0)
	global_store_dword v[14:15], v13, off
                                        ; implicit-def: $vgpr13
.LBB1054_292:
	s_andn2_saveexec_b64 s[4:5], s[4:5]
	s_cbranch_execz .LBB1054_294
; %bb.293:
	v_lshlrev_b32_e32 v14, 2, v0
	ds_read_b32 v14, v14 offset:6144
	v_lshlrev_b32_e32 v13, 2, v13
	v_readfirstlane_b32 s8, v8
	v_readfirstlane_b32 s9, v9
	s_waitcnt lgkmcnt(0)
	s_nop 3
	global_store_dword v13, v14, s[8:9]
.LBB1054_294:
	s_or_b64 exec, exec, s[4:5]
                                        ; implicit-def: $vgpr13
.LBB1054_295:
	s_andn2_saveexec_b64 s[2:3], s[2:3]
	s_cbranch_execz .LBB1054_297
; %bb.296:
	v_lshlrev_b32_e32 v14, 2, v0
	ds_read_b32 v14, v14 offset:6144
	v_lshlrev_b32_e32 v13, 2, v13
	v_readfirstlane_b32 s2, v10
	v_readfirstlane_b32 s3, v11
	s_waitcnt lgkmcnt(0)
	s_nop 3
	global_store_dword v13, v14, s[2:3]
.LBB1054_297:
	;; [unrolled: 55-line block ×7, first 2 shown]
	s_or_b64 exec, exec, s[0:1]
	v_or_b32_e32 v13, 0xc00, v0
	v_cmp_gt_u32_e32 vcc, s18, v13
	s_and_saveexec_b64 s[0:1], vcc
	s_cbranch_execz .LBB1054_351
; %bb.343:
	v_cmp_le_u32_e32 vcc, v2, v13
	s_and_saveexec_b64 s[2:3], vcc
	s_xor_b64 s[2:3], exec, s[2:3]
	s_cbranch_execz .LBB1054_349
; %bb.344:
	v_cmp_le_u32_e32 vcc, v12, v13
	s_and_saveexec_b64 s[4:5], vcc
	s_xor_b64 s[4:5], exec, s[4:5]
	s_cbranch_execz .LBB1054_346
; %bb.345:
	v_add_co_u32_e32 v8, vcc, v1, v13
	v_lshlrev_b32_e32 v1, 2, v0
	ds_read_b32 v1, v1 offset:12288
	v_addc_co_u32_e32 v9, vcc, 0, v4, vcc
	v_lshlrev_b64 v[8:9], 2, v[8:9]
	v_mov_b32_e32 v4, s7
	v_sub_co_u32_e32 v8, vcc, s6, v8
	v_subb_co_u32_e32 v9, vcc, v4, v9, vcc
	s_waitcnt lgkmcnt(0)
	global_store_dword v[8:9], v1, off
                                        ; implicit-def: $vgpr13
                                        ; implicit-def: $vgpr8_vgpr9
.LBB1054_346:
	s_andn2_saveexec_b64 s[4:5], s[4:5]
	s_cbranch_execz .LBB1054_348
; %bb.347:
	v_lshlrev_b32_e32 v1, 2, v0
	ds_read_b32 v1, v1 offset:12288
	v_lshlrev_b32_e32 v4, 2, v13
	v_readfirstlane_b32 s6, v8
	v_readfirstlane_b32 s7, v9
	s_waitcnt lgkmcnt(0)
	s_nop 3
	global_store_dword v4, v1, s[6:7]
.LBB1054_348:
	s_or_b64 exec, exec, s[4:5]
                                        ; implicit-def: $vgpr13
                                        ; implicit-def: $vgpr10_vgpr11
.LBB1054_349:
	s_andn2_saveexec_b64 s[2:3], s[2:3]
	s_cbranch_execz .LBB1054_351
; %bb.350:
	v_lshlrev_b32_e32 v1, 2, v0
	ds_read_b32 v1, v1 offset:12288
	v_lshlrev_b32_e32 v4, 2, v13
	v_readfirstlane_b32 s2, v10
	v_readfirstlane_b32 s3, v11
	s_waitcnt lgkmcnt(0)
	s_nop 3
	global_store_dword v4, v1, s[2:3]
.LBB1054_351:
	s_or_b64 exec, exec, s[0:1]
	v_cmp_eq_u32_e32 vcc, 0, v0
	s_and_b64 s[0:1], vcc, s[30:31]
	s_and_saveexec_b64 s[2:3], s[0:1]
	s_cbranch_execz .LBB1054_128
.LBB1054_352:
	v_add_co_u32_e32 v0, vcc, v6, v2
	v_addc_co_u32_e32 v1, vcc, 0, v7, vcc
	v_mov_b32_e32 v2, s51
	v_add_co_u32_e32 v3, vcc, s50, v3
	v_addc_co_u32_e32 v6, vcc, 0, v2, vcc
	v_add_co_u32_e32 v2, vcc, v3, v5
	v_mov_b32_e32 v4, 0
	v_addc_co_u32_e32 v3, vcc, 0, v6, vcc
	global_store_dwordx4 v4, v[0:3], s[44:45]
	s_endpgm
	.section	.rodata,"a",@progbits
	.p2align	6, 0x0
	.amdhsa_kernel _ZN7rocprim17ROCPRIM_400000_NS6detail17trampoline_kernelINS0_13select_configILj256ELj13ELNS0_17block_load_methodE3ELS4_3ELS4_3ELNS0_20block_scan_algorithmE0ELj4294967295EEENS1_25partition_config_selectorILNS1_17partition_subalgoE4EjNS0_10empty_typeEbEEZZNS1_14partition_implILS8_4ELb0ES6_15HIP_vector_typeIjLj2EENS0_17counting_iteratorIjlEEPS9_SG_NS0_5tupleIJPjSI_NS0_16reverse_iteratorISI_EEEEENSH_IJSG_SG_SG_EEES9_SI_JZNS1_25segmented_radix_sort_implINS0_14default_configELb1EPKdPdPKlPlN2at6native12_GLOBAL__N_18offset_tEEE10hipError_tPvRmT1_PNSt15iterator_traitsIS12_E10value_typeET2_T3_PNS13_IS18_E10value_typeET4_jRbjT5_S1E_jjP12ihipStream_tbEUljE_ZNSN_ISO_Lb1ESQ_SR_ST_SU_SY_EESZ_S10_S11_S12_S16_S17_S18_S1B_S1C_jS1D_jS1E_S1E_jjS1G_bEUljE0_EEESZ_S10_S11_S18_S1C_S1E_T6_T7_T9_mT8_S1G_bDpT10_ENKUlT_T0_E_clISt17integral_constantIbLb0EES1U_EEDaS1P_S1Q_EUlS1P_E_NS1_11comp_targetILNS1_3genE4ELNS1_11target_archE910ELNS1_3gpuE8ELNS1_3repE0EEENS1_30default_config_static_selectorELNS0_4arch9wavefront6targetE1EEEvS12_
		.amdhsa_group_segment_fixed_size 13340
		.amdhsa_private_segment_fixed_size 0
		.amdhsa_kernarg_size 176
		.amdhsa_user_sgpr_count 6
		.amdhsa_user_sgpr_private_segment_buffer 1
		.amdhsa_user_sgpr_dispatch_ptr 0
		.amdhsa_user_sgpr_queue_ptr 0
		.amdhsa_user_sgpr_kernarg_segment_ptr 1
		.amdhsa_user_sgpr_dispatch_id 0
		.amdhsa_user_sgpr_flat_scratch_init 0
		.amdhsa_user_sgpr_kernarg_preload_length 0
		.amdhsa_user_sgpr_kernarg_preload_offset 0
		.amdhsa_user_sgpr_private_segment_size 0
		.amdhsa_uses_dynamic_stack 0
		.amdhsa_system_sgpr_private_segment_wavefront_offset 0
		.amdhsa_system_sgpr_workgroup_id_x 1
		.amdhsa_system_sgpr_workgroup_id_y 0
		.amdhsa_system_sgpr_workgroup_id_z 0
		.amdhsa_system_sgpr_workgroup_info 0
		.amdhsa_system_vgpr_workitem_id 0
		.amdhsa_next_free_vgpr 102
		.amdhsa_next_free_sgpr 90
		.amdhsa_accum_offset 104
		.amdhsa_reserve_vcc 1
		.amdhsa_reserve_flat_scratch 0
		.amdhsa_float_round_mode_32 0
		.amdhsa_float_round_mode_16_64 0
		.amdhsa_float_denorm_mode_32 3
		.amdhsa_float_denorm_mode_16_64 3
		.amdhsa_dx10_clamp 1
		.amdhsa_ieee_mode 1
		.amdhsa_fp16_overflow 0
		.amdhsa_tg_split 0
		.amdhsa_exception_fp_ieee_invalid_op 0
		.amdhsa_exception_fp_denorm_src 0
		.amdhsa_exception_fp_ieee_div_zero 0
		.amdhsa_exception_fp_ieee_overflow 0
		.amdhsa_exception_fp_ieee_underflow 0
		.amdhsa_exception_fp_ieee_inexact 0
		.amdhsa_exception_int_div_zero 0
	.end_amdhsa_kernel
	.section	.text._ZN7rocprim17ROCPRIM_400000_NS6detail17trampoline_kernelINS0_13select_configILj256ELj13ELNS0_17block_load_methodE3ELS4_3ELS4_3ELNS0_20block_scan_algorithmE0ELj4294967295EEENS1_25partition_config_selectorILNS1_17partition_subalgoE4EjNS0_10empty_typeEbEEZZNS1_14partition_implILS8_4ELb0ES6_15HIP_vector_typeIjLj2EENS0_17counting_iteratorIjlEEPS9_SG_NS0_5tupleIJPjSI_NS0_16reverse_iteratorISI_EEEEENSH_IJSG_SG_SG_EEES9_SI_JZNS1_25segmented_radix_sort_implINS0_14default_configELb1EPKdPdPKlPlN2at6native12_GLOBAL__N_18offset_tEEE10hipError_tPvRmT1_PNSt15iterator_traitsIS12_E10value_typeET2_T3_PNS13_IS18_E10value_typeET4_jRbjT5_S1E_jjP12ihipStream_tbEUljE_ZNSN_ISO_Lb1ESQ_SR_ST_SU_SY_EESZ_S10_S11_S12_S16_S17_S18_S1B_S1C_jS1D_jS1E_S1E_jjS1G_bEUljE0_EEESZ_S10_S11_S18_S1C_S1E_T6_T7_T9_mT8_S1G_bDpT10_ENKUlT_T0_E_clISt17integral_constantIbLb0EES1U_EEDaS1P_S1Q_EUlS1P_E_NS1_11comp_targetILNS1_3genE4ELNS1_11target_archE910ELNS1_3gpuE8ELNS1_3repE0EEENS1_30default_config_static_selectorELNS0_4arch9wavefront6targetE1EEEvS12_,"axG",@progbits,_ZN7rocprim17ROCPRIM_400000_NS6detail17trampoline_kernelINS0_13select_configILj256ELj13ELNS0_17block_load_methodE3ELS4_3ELS4_3ELNS0_20block_scan_algorithmE0ELj4294967295EEENS1_25partition_config_selectorILNS1_17partition_subalgoE4EjNS0_10empty_typeEbEEZZNS1_14partition_implILS8_4ELb0ES6_15HIP_vector_typeIjLj2EENS0_17counting_iteratorIjlEEPS9_SG_NS0_5tupleIJPjSI_NS0_16reverse_iteratorISI_EEEEENSH_IJSG_SG_SG_EEES9_SI_JZNS1_25segmented_radix_sort_implINS0_14default_configELb1EPKdPdPKlPlN2at6native12_GLOBAL__N_18offset_tEEE10hipError_tPvRmT1_PNSt15iterator_traitsIS12_E10value_typeET2_T3_PNS13_IS18_E10value_typeET4_jRbjT5_S1E_jjP12ihipStream_tbEUljE_ZNSN_ISO_Lb1ESQ_SR_ST_SU_SY_EESZ_S10_S11_S12_S16_S17_S18_S1B_S1C_jS1D_jS1E_S1E_jjS1G_bEUljE0_EEESZ_S10_S11_S18_S1C_S1E_T6_T7_T9_mT8_S1G_bDpT10_ENKUlT_T0_E_clISt17integral_constantIbLb0EES1U_EEDaS1P_S1Q_EUlS1P_E_NS1_11comp_targetILNS1_3genE4ELNS1_11target_archE910ELNS1_3gpuE8ELNS1_3repE0EEENS1_30default_config_static_selectorELNS0_4arch9wavefront6targetE1EEEvS12_,comdat
.Lfunc_end1054:
	.size	_ZN7rocprim17ROCPRIM_400000_NS6detail17trampoline_kernelINS0_13select_configILj256ELj13ELNS0_17block_load_methodE3ELS4_3ELS4_3ELNS0_20block_scan_algorithmE0ELj4294967295EEENS1_25partition_config_selectorILNS1_17partition_subalgoE4EjNS0_10empty_typeEbEEZZNS1_14partition_implILS8_4ELb0ES6_15HIP_vector_typeIjLj2EENS0_17counting_iteratorIjlEEPS9_SG_NS0_5tupleIJPjSI_NS0_16reverse_iteratorISI_EEEEENSH_IJSG_SG_SG_EEES9_SI_JZNS1_25segmented_radix_sort_implINS0_14default_configELb1EPKdPdPKlPlN2at6native12_GLOBAL__N_18offset_tEEE10hipError_tPvRmT1_PNSt15iterator_traitsIS12_E10value_typeET2_T3_PNS13_IS18_E10value_typeET4_jRbjT5_S1E_jjP12ihipStream_tbEUljE_ZNSN_ISO_Lb1ESQ_SR_ST_SU_SY_EESZ_S10_S11_S12_S16_S17_S18_S1B_S1C_jS1D_jS1E_S1E_jjS1G_bEUljE0_EEESZ_S10_S11_S18_S1C_S1E_T6_T7_T9_mT8_S1G_bDpT10_ENKUlT_T0_E_clISt17integral_constantIbLb0EES1U_EEDaS1P_S1Q_EUlS1P_E_NS1_11comp_targetILNS1_3genE4ELNS1_11target_archE910ELNS1_3gpuE8ELNS1_3repE0EEENS1_30default_config_static_selectorELNS0_4arch9wavefront6targetE1EEEvS12_, .Lfunc_end1054-_ZN7rocprim17ROCPRIM_400000_NS6detail17trampoline_kernelINS0_13select_configILj256ELj13ELNS0_17block_load_methodE3ELS4_3ELS4_3ELNS0_20block_scan_algorithmE0ELj4294967295EEENS1_25partition_config_selectorILNS1_17partition_subalgoE4EjNS0_10empty_typeEbEEZZNS1_14partition_implILS8_4ELb0ES6_15HIP_vector_typeIjLj2EENS0_17counting_iteratorIjlEEPS9_SG_NS0_5tupleIJPjSI_NS0_16reverse_iteratorISI_EEEEENSH_IJSG_SG_SG_EEES9_SI_JZNS1_25segmented_radix_sort_implINS0_14default_configELb1EPKdPdPKlPlN2at6native12_GLOBAL__N_18offset_tEEE10hipError_tPvRmT1_PNSt15iterator_traitsIS12_E10value_typeET2_T3_PNS13_IS18_E10value_typeET4_jRbjT5_S1E_jjP12ihipStream_tbEUljE_ZNSN_ISO_Lb1ESQ_SR_ST_SU_SY_EESZ_S10_S11_S12_S16_S17_S18_S1B_S1C_jS1D_jS1E_S1E_jjS1G_bEUljE0_EEESZ_S10_S11_S18_S1C_S1E_T6_T7_T9_mT8_S1G_bDpT10_ENKUlT_T0_E_clISt17integral_constantIbLb0EES1U_EEDaS1P_S1Q_EUlS1P_E_NS1_11comp_targetILNS1_3genE4ELNS1_11target_archE910ELNS1_3gpuE8ELNS1_3repE0EEENS1_30default_config_static_selectorELNS0_4arch9wavefront6targetE1EEEvS12_
                                        ; -- End function
	.section	.AMDGPU.csdata,"",@progbits
; Kernel info:
; codeLenInByte = 13332
; NumSgprs: 94
; NumVgprs: 102
; NumAgprs: 0
; TotalNumVgprs: 102
; ScratchSize: 0
; MemoryBound: 0
; FloatMode: 240
; IeeeMode: 1
; LDSByteSize: 13340 bytes/workgroup (compile time only)
; SGPRBlocks: 11
; VGPRBlocks: 12
; NumSGPRsForWavesPerEU: 94
; NumVGPRsForWavesPerEU: 102
; AccumOffset: 104
; Occupancy: 4
; WaveLimiterHint : 1
; COMPUTE_PGM_RSRC2:SCRATCH_EN: 0
; COMPUTE_PGM_RSRC2:USER_SGPR: 6
; COMPUTE_PGM_RSRC2:TRAP_HANDLER: 0
; COMPUTE_PGM_RSRC2:TGID_X_EN: 1
; COMPUTE_PGM_RSRC2:TGID_Y_EN: 0
; COMPUTE_PGM_RSRC2:TGID_Z_EN: 0
; COMPUTE_PGM_RSRC2:TIDIG_COMP_CNT: 0
; COMPUTE_PGM_RSRC3_GFX90A:ACCUM_OFFSET: 25
; COMPUTE_PGM_RSRC3_GFX90A:TG_SPLIT: 0
	.section	.text._ZN7rocprim17ROCPRIM_400000_NS6detail17trampoline_kernelINS0_13select_configILj256ELj13ELNS0_17block_load_methodE3ELS4_3ELS4_3ELNS0_20block_scan_algorithmE0ELj4294967295EEENS1_25partition_config_selectorILNS1_17partition_subalgoE4EjNS0_10empty_typeEbEEZZNS1_14partition_implILS8_4ELb0ES6_15HIP_vector_typeIjLj2EENS0_17counting_iteratorIjlEEPS9_SG_NS0_5tupleIJPjSI_NS0_16reverse_iteratorISI_EEEEENSH_IJSG_SG_SG_EEES9_SI_JZNS1_25segmented_radix_sort_implINS0_14default_configELb1EPKdPdPKlPlN2at6native12_GLOBAL__N_18offset_tEEE10hipError_tPvRmT1_PNSt15iterator_traitsIS12_E10value_typeET2_T3_PNS13_IS18_E10value_typeET4_jRbjT5_S1E_jjP12ihipStream_tbEUljE_ZNSN_ISO_Lb1ESQ_SR_ST_SU_SY_EESZ_S10_S11_S12_S16_S17_S18_S1B_S1C_jS1D_jS1E_S1E_jjS1G_bEUljE0_EEESZ_S10_S11_S18_S1C_S1E_T6_T7_T9_mT8_S1G_bDpT10_ENKUlT_T0_E_clISt17integral_constantIbLb0EES1U_EEDaS1P_S1Q_EUlS1P_E_NS1_11comp_targetILNS1_3genE3ELNS1_11target_archE908ELNS1_3gpuE7ELNS1_3repE0EEENS1_30default_config_static_selectorELNS0_4arch9wavefront6targetE1EEEvS12_,"axG",@progbits,_ZN7rocprim17ROCPRIM_400000_NS6detail17trampoline_kernelINS0_13select_configILj256ELj13ELNS0_17block_load_methodE3ELS4_3ELS4_3ELNS0_20block_scan_algorithmE0ELj4294967295EEENS1_25partition_config_selectorILNS1_17partition_subalgoE4EjNS0_10empty_typeEbEEZZNS1_14partition_implILS8_4ELb0ES6_15HIP_vector_typeIjLj2EENS0_17counting_iteratorIjlEEPS9_SG_NS0_5tupleIJPjSI_NS0_16reverse_iteratorISI_EEEEENSH_IJSG_SG_SG_EEES9_SI_JZNS1_25segmented_radix_sort_implINS0_14default_configELb1EPKdPdPKlPlN2at6native12_GLOBAL__N_18offset_tEEE10hipError_tPvRmT1_PNSt15iterator_traitsIS12_E10value_typeET2_T3_PNS13_IS18_E10value_typeET4_jRbjT5_S1E_jjP12ihipStream_tbEUljE_ZNSN_ISO_Lb1ESQ_SR_ST_SU_SY_EESZ_S10_S11_S12_S16_S17_S18_S1B_S1C_jS1D_jS1E_S1E_jjS1G_bEUljE0_EEESZ_S10_S11_S18_S1C_S1E_T6_T7_T9_mT8_S1G_bDpT10_ENKUlT_T0_E_clISt17integral_constantIbLb0EES1U_EEDaS1P_S1Q_EUlS1P_E_NS1_11comp_targetILNS1_3genE3ELNS1_11target_archE908ELNS1_3gpuE7ELNS1_3repE0EEENS1_30default_config_static_selectorELNS0_4arch9wavefront6targetE1EEEvS12_,comdat
	.globl	_ZN7rocprim17ROCPRIM_400000_NS6detail17trampoline_kernelINS0_13select_configILj256ELj13ELNS0_17block_load_methodE3ELS4_3ELS4_3ELNS0_20block_scan_algorithmE0ELj4294967295EEENS1_25partition_config_selectorILNS1_17partition_subalgoE4EjNS0_10empty_typeEbEEZZNS1_14partition_implILS8_4ELb0ES6_15HIP_vector_typeIjLj2EENS0_17counting_iteratorIjlEEPS9_SG_NS0_5tupleIJPjSI_NS0_16reverse_iteratorISI_EEEEENSH_IJSG_SG_SG_EEES9_SI_JZNS1_25segmented_radix_sort_implINS0_14default_configELb1EPKdPdPKlPlN2at6native12_GLOBAL__N_18offset_tEEE10hipError_tPvRmT1_PNSt15iterator_traitsIS12_E10value_typeET2_T3_PNS13_IS18_E10value_typeET4_jRbjT5_S1E_jjP12ihipStream_tbEUljE_ZNSN_ISO_Lb1ESQ_SR_ST_SU_SY_EESZ_S10_S11_S12_S16_S17_S18_S1B_S1C_jS1D_jS1E_S1E_jjS1G_bEUljE0_EEESZ_S10_S11_S18_S1C_S1E_T6_T7_T9_mT8_S1G_bDpT10_ENKUlT_T0_E_clISt17integral_constantIbLb0EES1U_EEDaS1P_S1Q_EUlS1P_E_NS1_11comp_targetILNS1_3genE3ELNS1_11target_archE908ELNS1_3gpuE7ELNS1_3repE0EEENS1_30default_config_static_selectorELNS0_4arch9wavefront6targetE1EEEvS12_ ; -- Begin function _ZN7rocprim17ROCPRIM_400000_NS6detail17trampoline_kernelINS0_13select_configILj256ELj13ELNS0_17block_load_methodE3ELS4_3ELS4_3ELNS0_20block_scan_algorithmE0ELj4294967295EEENS1_25partition_config_selectorILNS1_17partition_subalgoE4EjNS0_10empty_typeEbEEZZNS1_14partition_implILS8_4ELb0ES6_15HIP_vector_typeIjLj2EENS0_17counting_iteratorIjlEEPS9_SG_NS0_5tupleIJPjSI_NS0_16reverse_iteratorISI_EEEEENSH_IJSG_SG_SG_EEES9_SI_JZNS1_25segmented_radix_sort_implINS0_14default_configELb1EPKdPdPKlPlN2at6native12_GLOBAL__N_18offset_tEEE10hipError_tPvRmT1_PNSt15iterator_traitsIS12_E10value_typeET2_T3_PNS13_IS18_E10value_typeET4_jRbjT5_S1E_jjP12ihipStream_tbEUljE_ZNSN_ISO_Lb1ESQ_SR_ST_SU_SY_EESZ_S10_S11_S12_S16_S17_S18_S1B_S1C_jS1D_jS1E_S1E_jjS1G_bEUljE0_EEESZ_S10_S11_S18_S1C_S1E_T6_T7_T9_mT8_S1G_bDpT10_ENKUlT_T0_E_clISt17integral_constantIbLb0EES1U_EEDaS1P_S1Q_EUlS1P_E_NS1_11comp_targetILNS1_3genE3ELNS1_11target_archE908ELNS1_3gpuE7ELNS1_3repE0EEENS1_30default_config_static_selectorELNS0_4arch9wavefront6targetE1EEEvS12_
	.p2align	8
	.type	_ZN7rocprim17ROCPRIM_400000_NS6detail17trampoline_kernelINS0_13select_configILj256ELj13ELNS0_17block_load_methodE3ELS4_3ELS4_3ELNS0_20block_scan_algorithmE0ELj4294967295EEENS1_25partition_config_selectorILNS1_17partition_subalgoE4EjNS0_10empty_typeEbEEZZNS1_14partition_implILS8_4ELb0ES6_15HIP_vector_typeIjLj2EENS0_17counting_iteratorIjlEEPS9_SG_NS0_5tupleIJPjSI_NS0_16reverse_iteratorISI_EEEEENSH_IJSG_SG_SG_EEES9_SI_JZNS1_25segmented_radix_sort_implINS0_14default_configELb1EPKdPdPKlPlN2at6native12_GLOBAL__N_18offset_tEEE10hipError_tPvRmT1_PNSt15iterator_traitsIS12_E10value_typeET2_T3_PNS13_IS18_E10value_typeET4_jRbjT5_S1E_jjP12ihipStream_tbEUljE_ZNSN_ISO_Lb1ESQ_SR_ST_SU_SY_EESZ_S10_S11_S12_S16_S17_S18_S1B_S1C_jS1D_jS1E_S1E_jjS1G_bEUljE0_EEESZ_S10_S11_S18_S1C_S1E_T6_T7_T9_mT8_S1G_bDpT10_ENKUlT_T0_E_clISt17integral_constantIbLb0EES1U_EEDaS1P_S1Q_EUlS1P_E_NS1_11comp_targetILNS1_3genE3ELNS1_11target_archE908ELNS1_3gpuE7ELNS1_3repE0EEENS1_30default_config_static_selectorELNS0_4arch9wavefront6targetE1EEEvS12_,@function
_ZN7rocprim17ROCPRIM_400000_NS6detail17trampoline_kernelINS0_13select_configILj256ELj13ELNS0_17block_load_methodE3ELS4_3ELS4_3ELNS0_20block_scan_algorithmE0ELj4294967295EEENS1_25partition_config_selectorILNS1_17partition_subalgoE4EjNS0_10empty_typeEbEEZZNS1_14partition_implILS8_4ELb0ES6_15HIP_vector_typeIjLj2EENS0_17counting_iteratorIjlEEPS9_SG_NS0_5tupleIJPjSI_NS0_16reverse_iteratorISI_EEEEENSH_IJSG_SG_SG_EEES9_SI_JZNS1_25segmented_radix_sort_implINS0_14default_configELb1EPKdPdPKlPlN2at6native12_GLOBAL__N_18offset_tEEE10hipError_tPvRmT1_PNSt15iterator_traitsIS12_E10value_typeET2_T3_PNS13_IS18_E10value_typeET4_jRbjT5_S1E_jjP12ihipStream_tbEUljE_ZNSN_ISO_Lb1ESQ_SR_ST_SU_SY_EESZ_S10_S11_S12_S16_S17_S18_S1B_S1C_jS1D_jS1E_S1E_jjS1G_bEUljE0_EEESZ_S10_S11_S18_S1C_S1E_T6_T7_T9_mT8_S1G_bDpT10_ENKUlT_T0_E_clISt17integral_constantIbLb0EES1U_EEDaS1P_S1Q_EUlS1P_E_NS1_11comp_targetILNS1_3genE3ELNS1_11target_archE908ELNS1_3gpuE7ELNS1_3repE0EEENS1_30default_config_static_selectorELNS0_4arch9wavefront6targetE1EEEvS12_: ; @_ZN7rocprim17ROCPRIM_400000_NS6detail17trampoline_kernelINS0_13select_configILj256ELj13ELNS0_17block_load_methodE3ELS4_3ELS4_3ELNS0_20block_scan_algorithmE0ELj4294967295EEENS1_25partition_config_selectorILNS1_17partition_subalgoE4EjNS0_10empty_typeEbEEZZNS1_14partition_implILS8_4ELb0ES6_15HIP_vector_typeIjLj2EENS0_17counting_iteratorIjlEEPS9_SG_NS0_5tupleIJPjSI_NS0_16reverse_iteratorISI_EEEEENSH_IJSG_SG_SG_EEES9_SI_JZNS1_25segmented_radix_sort_implINS0_14default_configELb1EPKdPdPKlPlN2at6native12_GLOBAL__N_18offset_tEEE10hipError_tPvRmT1_PNSt15iterator_traitsIS12_E10value_typeET2_T3_PNS13_IS18_E10value_typeET4_jRbjT5_S1E_jjP12ihipStream_tbEUljE_ZNSN_ISO_Lb1ESQ_SR_ST_SU_SY_EESZ_S10_S11_S12_S16_S17_S18_S1B_S1C_jS1D_jS1E_S1E_jjS1G_bEUljE0_EEESZ_S10_S11_S18_S1C_S1E_T6_T7_T9_mT8_S1G_bDpT10_ENKUlT_T0_E_clISt17integral_constantIbLb0EES1U_EEDaS1P_S1Q_EUlS1P_E_NS1_11comp_targetILNS1_3genE3ELNS1_11target_archE908ELNS1_3gpuE7ELNS1_3repE0EEENS1_30default_config_static_selectorELNS0_4arch9wavefront6targetE1EEEvS12_
; %bb.0:
	.section	.rodata,"a",@progbits
	.p2align	6, 0x0
	.amdhsa_kernel _ZN7rocprim17ROCPRIM_400000_NS6detail17trampoline_kernelINS0_13select_configILj256ELj13ELNS0_17block_load_methodE3ELS4_3ELS4_3ELNS0_20block_scan_algorithmE0ELj4294967295EEENS1_25partition_config_selectorILNS1_17partition_subalgoE4EjNS0_10empty_typeEbEEZZNS1_14partition_implILS8_4ELb0ES6_15HIP_vector_typeIjLj2EENS0_17counting_iteratorIjlEEPS9_SG_NS0_5tupleIJPjSI_NS0_16reverse_iteratorISI_EEEEENSH_IJSG_SG_SG_EEES9_SI_JZNS1_25segmented_radix_sort_implINS0_14default_configELb1EPKdPdPKlPlN2at6native12_GLOBAL__N_18offset_tEEE10hipError_tPvRmT1_PNSt15iterator_traitsIS12_E10value_typeET2_T3_PNS13_IS18_E10value_typeET4_jRbjT5_S1E_jjP12ihipStream_tbEUljE_ZNSN_ISO_Lb1ESQ_SR_ST_SU_SY_EESZ_S10_S11_S12_S16_S17_S18_S1B_S1C_jS1D_jS1E_S1E_jjS1G_bEUljE0_EEESZ_S10_S11_S18_S1C_S1E_T6_T7_T9_mT8_S1G_bDpT10_ENKUlT_T0_E_clISt17integral_constantIbLb0EES1U_EEDaS1P_S1Q_EUlS1P_E_NS1_11comp_targetILNS1_3genE3ELNS1_11target_archE908ELNS1_3gpuE7ELNS1_3repE0EEENS1_30default_config_static_selectorELNS0_4arch9wavefront6targetE1EEEvS12_
		.amdhsa_group_segment_fixed_size 0
		.amdhsa_private_segment_fixed_size 0
		.amdhsa_kernarg_size 176
		.amdhsa_user_sgpr_count 6
		.amdhsa_user_sgpr_private_segment_buffer 1
		.amdhsa_user_sgpr_dispatch_ptr 0
		.amdhsa_user_sgpr_queue_ptr 0
		.amdhsa_user_sgpr_kernarg_segment_ptr 1
		.amdhsa_user_sgpr_dispatch_id 0
		.amdhsa_user_sgpr_flat_scratch_init 0
		.amdhsa_user_sgpr_kernarg_preload_length 0
		.amdhsa_user_sgpr_kernarg_preload_offset 0
		.amdhsa_user_sgpr_private_segment_size 0
		.amdhsa_uses_dynamic_stack 0
		.amdhsa_system_sgpr_private_segment_wavefront_offset 0
		.amdhsa_system_sgpr_workgroup_id_x 1
		.amdhsa_system_sgpr_workgroup_id_y 0
		.amdhsa_system_sgpr_workgroup_id_z 0
		.amdhsa_system_sgpr_workgroup_info 0
		.amdhsa_system_vgpr_workitem_id 0
		.amdhsa_next_free_vgpr 1
		.amdhsa_next_free_sgpr 0
		.amdhsa_accum_offset 4
		.amdhsa_reserve_vcc 0
		.amdhsa_reserve_flat_scratch 0
		.amdhsa_float_round_mode_32 0
		.amdhsa_float_round_mode_16_64 0
		.amdhsa_float_denorm_mode_32 3
		.amdhsa_float_denorm_mode_16_64 3
		.amdhsa_dx10_clamp 1
		.amdhsa_ieee_mode 1
		.amdhsa_fp16_overflow 0
		.amdhsa_tg_split 0
		.amdhsa_exception_fp_ieee_invalid_op 0
		.amdhsa_exception_fp_denorm_src 0
		.amdhsa_exception_fp_ieee_div_zero 0
		.amdhsa_exception_fp_ieee_overflow 0
		.amdhsa_exception_fp_ieee_underflow 0
		.amdhsa_exception_fp_ieee_inexact 0
		.amdhsa_exception_int_div_zero 0
	.end_amdhsa_kernel
	.section	.text._ZN7rocprim17ROCPRIM_400000_NS6detail17trampoline_kernelINS0_13select_configILj256ELj13ELNS0_17block_load_methodE3ELS4_3ELS4_3ELNS0_20block_scan_algorithmE0ELj4294967295EEENS1_25partition_config_selectorILNS1_17partition_subalgoE4EjNS0_10empty_typeEbEEZZNS1_14partition_implILS8_4ELb0ES6_15HIP_vector_typeIjLj2EENS0_17counting_iteratorIjlEEPS9_SG_NS0_5tupleIJPjSI_NS0_16reverse_iteratorISI_EEEEENSH_IJSG_SG_SG_EEES9_SI_JZNS1_25segmented_radix_sort_implINS0_14default_configELb1EPKdPdPKlPlN2at6native12_GLOBAL__N_18offset_tEEE10hipError_tPvRmT1_PNSt15iterator_traitsIS12_E10value_typeET2_T3_PNS13_IS18_E10value_typeET4_jRbjT5_S1E_jjP12ihipStream_tbEUljE_ZNSN_ISO_Lb1ESQ_SR_ST_SU_SY_EESZ_S10_S11_S12_S16_S17_S18_S1B_S1C_jS1D_jS1E_S1E_jjS1G_bEUljE0_EEESZ_S10_S11_S18_S1C_S1E_T6_T7_T9_mT8_S1G_bDpT10_ENKUlT_T0_E_clISt17integral_constantIbLb0EES1U_EEDaS1P_S1Q_EUlS1P_E_NS1_11comp_targetILNS1_3genE3ELNS1_11target_archE908ELNS1_3gpuE7ELNS1_3repE0EEENS1_30default_config_static_selectorELNS0_4arch9wavefront6targetE1EEEvS12_,"axG",@progbits,_ZN7rocprim17ROCPRIM_400000_NS6detail17trampoline_kernelINS0_13select_configILj256ELj13ELNS0_17block_load_methodE3ELS4_3ELS4_3ELNS0_20block_scan_algorithmE0ELj4294967295EEENS1_25partition_config_selectorILNS1_17partition_subalgoE4EjNS0_10empty_typeEbEEZZNS1_14partition_implILS8_4ELb0ES6_15HIP_vector_typeIjLj2EENS0_17counting_iteratorIjlEEPS9_SG_NS0_5tupleIJPjSI_NS0_16reverse_iteratorISI_EEEEENSH_IJSG_SG_SG_EEES9_SI_JZNS1_25segmented_radix_sort_implINS0_14default_configELb1EPKdPdPKlPlN2at6native12_GLOBAL__N_18offset_tEEE10hipError_tPvRmT1_PNSt15iterator_traitsIS12_E10value_typeET2_T3_PNS13_IS18_E10value_typeET4_jRbjT5_S1E_jjP12ihipStream_tbEUljE_ZNSN_ISO_Lb1ESQ_SR_ST_SU_SY_EESZ_S10_S11_S12_S16_S17_S18_S1B_S1C_jS1D_jS1E_S1E_jjS1G_bEUljE0_EEESZ_S10_S11_S18_S1C_S1E_T6_T7_T9_mT8_S1G_bDpT10_ENKUlT_T0_E_clISt17integral_constantIbLb0EES1U_EEDaS1P_S1Q_EUlS1P_E_NS1_11comp_targetILNS1_3genE3ELNS1_11target_archE908ELNS1_3gpuE7ELNS1_3repE0EEENS1_30default_config_static_selectorELNS0_4arch9wavefront6targetE1EEEvS12_,comdat
.Lfunc_end1055:
	.size	_ZN7rocprim17ROCPRIM_400000_NS6detail17trampoline_kernelINS0_13select_configILj256ELj13ELNS0_17block_load_methodE3ELS4_3ELS4_3ELNS0_20block_scan_algorithmE0ELj4294967295EEENS1_25partition_config_selectorILNS1_17partition_subalgoE4EjNS0_10empty_typeEbEEZZNS1_14partition_implILS8_4ELb0ES6_15HIP_vector_typeIjLj2EENS0_17counting_iteratorIjlEEPS9_SG_NS0_5tupleIJPjSI_NS0_16reverse_iteratorISI_EEEEENSH_IJSG_SG_SG_EEES9_SI_JZNS1_25segmented_radix_sort_implINS0_14default_configELb1EPKdPdPKlPlN2at6native12_GLOBAL__N_18offset_tEEE10hipError_tPvRmT1_PNSt15iterator_traitsIS12_E10value_typeET2_T3_PNS13_IS18_E10value_typeET4_jRbjT5_S1E_jjP12ihipStream_tbEUljE_ZNSN_ISO_Lb1ESQ_SR_ST_SU_SY_EESZ_S10_S11_S12_S16_S17_S18_S1B_S1C_jS1D_jS1E_S1E_jjS1G_bEUljE0_EEESZ_S10_S11_S18_S1C_S1E_T6_T7_T9_mT8_S1G_bDpT10_ENKUlT_T0_E_clISt17integral_constantIbLb0EES1U_EEDaS1P_S1Q_EUlS1P_E_NS1_11comp_targetILNS1_3genE3ELNS1_11target_archE908ELNS1_3gpuE7ELNS1_3repE0EEENS1_30default_config_static_selectorELNS0_4arch9wavefront6targetE1EEEvS12_, .Lfunc_end1055-_ZN7rocprim17ROCPRIM_400000_NS6detail17trampoline_kernelINS0_13select_configILj256ELj13ELNS0_17block_load_methodE3ELS4_3ELS4_3ELNS0_20block_scan_algorithmE0ELj4294967295EEENS1_25partition_config_selectorILNS1_17partition_subalgoE4EjNS0_10empty_typeEbEEZZNS1_14partition_implILS8_4ELb0ES6_15HIP_vector_typeIjLj2EENS0_17counting_iteratorIjlEEPS9_SG_NS0_5tupleIJPjSI_NS0_16reverse_iteratorISI_EEEEENSH_IJSG_SG_SG_EEES9_SI_JZNS1_25segmented_radix_sort_implINS0_14default_configELb1EPKdPdPKlPlN2at6native12_GLOBAL__N_18offset_tEEE10hipError_tPvRmT1_PNSt15iterator_traitsIS12_E10value_typeET2_T3_PNS13_IS18_E10value_typeET4_jRbjT5_S1E_jjP12ihipStream_tbEUljE_ZNSN_ISO_Lb1ESQ_SR_ST_SU_SY_EESZ_S10_S11_S12_S16_S17_S18_S1B_S1C_jS1D_jS1E_S1E_jjS1G_bEUljE0_EEESZ_S10_S11_S18_S1C_S1E_T6_T7_T9_mT8_S1G_bDpT10_ENKUlT_T0_E_clISt17integral_constantIbLb0EES1U_EEDaS1P_S1Q_EUlS1P_E_NS1_11comp_targetILNS1_3genE3ELNS1_11target_archE908ELNS1_3gpuE7ELNS1_3repE0EEENS1_30default_config_static_selectorELNS0_4arch9wavefront6targetE1EEEvS12_
                                        ; -- End function
	.section	.AMDGPU.csdata,"",@progbits
; Kernel info:
; codeLenInByte = 0
; NumSgprs: 4
; NumVgprs: 0
; NumAgprs: 0
; TotalNumVgprs: 0
; ScratchSize: 0
; MemoryBound: 0
; FloatMode: 240
; IeeeMode: 1
; LDSByteSize: 0 bytes/workgroup (compile time only)
; SGPRBlocks: 0
; VGPRBlocks: 0
; NumSGPRsForWavesPerEU: 4
; NumVGPRsForWavesPerEU: 1
; AccumOffset: 4
; Occupancy: 8
; WaveLimiterHint : 0
; COMPUTE_PGM_RSRC2:SCRATCH_EN: 0
; COMPUTE_PGM_RSRC2:USER_SGPR: 6
; COMPUTE_PGM_RSRC2:TRAP_HANDLER: 0
; COMPUTE_PGM_RSRC2:TGID_X_EN: 1
; COMPUTE_PGM_RSRC2:TGID_Y_EN: 0
; COMPUTE_PGM_RSRC2:TGID_Z_EN: 0
; COMPUTE_PGM_RSRC2:TIDIG_COMP_CNT: 0
; COMPUTE_PGM_RSRC3_GFX90A:ACCUM_OFFSET: 0
; COMPUTE_PGM_RSRC3_GFX90A:TG_SPLIT: 0
	.section	.text._ZN7rocprim17ROCPRIM_400000_NS6detail17trampoline_kernelINS0_13select_configILj256ELj13ELNS0_17block_load_methodE3ELS4_3ELS4_3ELNS0_20block_scan_algorithmE0ELj4294967295EEENS1_25partition_config_selectorILNS1_17partition_subalgoE4EjNS0_10empty_typeEbEEZZNS1_14partition_implILS8_4ELb0ES6_15HIP_vector_typeIjLj2EENS0_17counting_iteratorIjlEEPS9_SG_NS0_5tupleIJPjSI_NS0_16reverse_iteratorISI_EEEEENSH_IJSG_SG_SG_EEES9_SI_JZNS1_25segmented_radix_sort_implINS0_14default_configELb1EPKdPdPKlPlN2at6native12_GLOBAL__N_18offset_tEEE10hipError_tPvRmT1_PNSt15iterator_traitsIS12_E10value_typeET2_T3_PNS13_IS18_E10value_typeET4_jRbjT5_S1E_jjP12ihipStream_tbEUljE_ZNSN_ISO_Lb1ESQ_SR_ST_SU_SY_EESZ_S10_S11_S12_S16_S17_S18_S1B_S1C_jS1D_jS1E_S1E_jjS1G_bEUljE0_EEESZ_S10_S11_S18_S1C_S1E_T6_T7_T9_mT8_S1G_bDpT10_ENKUlT_T0_E_clISt17integral_constantIbLb0EES1U_EEDaS1P_S1Q_EUlS1P_E_NS1_11comp_targetILNS1_3genE2ELNS1_11target_archE906ELNS1_3gpuE6ELNS1_3repE0EEENS1_30default_config_static_selectorELNS0_4arch9wavefront6targetE1EEEvS12_,"axG",@progbits,_ZN7rocprim17ROCPRIM_400000_NS6detail17trampoline_kernelINS0_13select_configILj256ELj13ELNS0_17block_load_methodE3ELS4_3ELS4_3ELNS0_20block_scan_algorithmE0ELj4294967295EEENS1_25partition_config_selectorILNS1_17partition_subalgoE4EjNS0_10empty_typeEbEEZZNS1_14partition_implILS8_4ELb0ES6_15HIP_vector_typeIjLj2EENS0_17counting_iteratorIjlEEPS9_SG_NS0_5tupleIJPjSI_NS0_16reverse_iteratorISI_EEEEENSH_IJSG_SG_SG_EEES9_SI_JZNS1_25segmented_radix_sort_implINS0_14default_configELb1EPKdPdPKlPlN2at6native12_GLOBAL__N_18offset_tEEE10hipError_tPvRmT1_PNSt15iterator_traitsIS12_E10value_typeET2_T3_PNS13_IS18_E10value_typeET4_jRbjT5_S1E_jjP12ihipStream_tbEUljE_ZNSN_ISO_Lb1ESQ_SR_ST_SU_SY_EESZ_S10_S11_S12_S16_S17_S18_S1B_S1C_jS1D_jS1E_S1E_jjS1G_bEUljE0_EEESZ_S10_S11_S18_S1C_S1E_T6_T7_T9_mT8_S1G_bDpT10_ENKUlT_T0_E_clISt17integral_constantIbLb0EES1U_EEDaS1P_S1Q_EUlS1P_E_NS1_11comp_targetILNS1_3genE2ELNS1_11target_archE906ELNS1_3gpuE6ELNS1_3repE0EEENS1_30default_config_static_selectorELNS0_4arch9wavefront6targetE1EEEvS12_,comdat
	.globl	_ZN7rocprim17ROCPRIM_400000_NS6detail17trampoline_kernelINS0_13select_configILj256ELj13ELNS0_17block_load_methodE3ELS4_3ELS4_3ELNS0_20block_scan_algorithmE0ELj4294967295EEENS1_25partition_config_selectorILNS1_17partition_subalgoE4EjNS0_10empty_typeEbEEZZNS1_14partition_implILS8_4ELb0ES6_15HIP_vector_typeIjLj2EENS0_17counting_iteratorIjlEEPS9_SG_NS0_5tupleIJPjSI_NS0_16reverse_iteratorISI_EEEEENSH_IJSG_SG_SG_EEES9_SI_JZNS1_25segmented_radix_sort_implINS0_14default_configELb1EPKdPdPKlPlN2at6native12_GLOBAL__N_18offset_tEEE10hipError_tPvRmT1_PNSt15iterator_traitsIS12_E10value_typeET2_T3_PNS13_IS18_E10value_typeET4_jRbjT5_S1E_jjP12ihipStream_tbEUljE_ZNSN_ISO_Lb1ESQ_SR_ST_SU_SY_EESZ_S10_S11_S12_S16_S17_S18_S1B_S1C_jS1D_jS1E_S1E_jjS1G_bEUljE0_EEESZ_S10_S11_S18_S1C_S1E_T6_T7_T9_mT8_S1G_bDpT10_ENKUlT_T0_E_clISt17integral_constantIbLb0EES1U_EEDaS1P_S1Q_EUlS1P_E_NS1_11comp_targetILNS1_3genE2ELNS1_11target_archE906ELNS1_3gpuE6ELNS1_3repE0EEENS1_30default_config_static_selectorELNS0_4arch9wavefront6targetE1EEEvS12_ ; -- Begin function _ZN7rocprim17ROCPRIM_400000_NS6detail17trampoline_kernelINS0_13select_configILj256ELj13ELNS0_17block_load_methodE3ELS4_3ELS4_3ELNS0_20block_scan_algorithmE0ELj4294967295EEENS1_25partition_config_selectorILNS1_17partition_subalgoE4EjNS0_10empty_typeEbEEZZNS1_14partition_implILS8_4ELb0ES6_15HIP_vector_typeIjLj2EENS0_17counting_iteratorIjlEEPS9_SG_NS0_5tupleIJPjSI_NS0_16reverse_iteratorISI_EEEEENSH_IJSG_SG_SG_EEES9_SI_JZNS1_25segmented_radix_sort_implINS0_14default_configELb1EPKdPdPKlPlN2at6native12_GLOBAL__N_18offset_tEEE10hipError_tPvRmT1_PNSt15iterator_traitsIS12_E10value_typeET2_T3_PNS13_IS18_E10value_typeET4_jRbjT5_S1E_jjP12ihipStream_tbEUljE_ZNSN_ISO_Lb1ESQ_SR_ST_SU_SY_EESZ_S10_S11_S12_S16_S17_S18_S1B_S1C_jS1D_jS1E_S1E_jjS1G_bEUljE0_EEESZ_S10_S11_S18_S1C_S1E_T6_T7_T9_mT8_S1G_bDpT10_ENKUlT_T0_E_clISt17integral_constantIbLb0EES1U_EEDaS1P_S1Q_EUlS1P_E_NS1_11comp_targetILNS1_3genE2ELNS1_11target_archE906ELNS1_3gpuE6ELNS1_3repE0EEENS1_30default_config_static_selectorELNS0_4arch9wavefront6targetE1EEEvS12_
	.p2align	8
	.type	_ZN7rocprim17ROCPRIM_400000_NS6detail17trampoline_kernelINS0_13select_configILj256ELj13ELNS0_17block_load_methodE3ELS4_3ELS4_3ELNS0_20block_scan_algorithmE0ELj4294967295EEENS1_25partition_config_selectorILNS1_17partition_subalgoE4EjNS0_10empty_typeEbEEZZNS1_14partition_implILS8_4ELb0ES6_15HIP_vector_typeIjLj2EENS0_17counting_iteratorIjlEEPS9_SG_NS0_5tupleIJPjSI_NS0_16reverse_iteratorISI_EEEEENSH_IJSG_SG_SG_EEES9_SI_JZNS1_25segmented_radix_sort_implINS0_14default_configELb1EPKdPdPKlPlN2at6native12_GLOBAL__N_18offset_tEEE10hipError_tPvRmT1_PNSt15iterator_traitsIS12_E10value_typeET2_T3_PNS13_IS18_E10value_typeET4_jRbjT5_S1E_jjP12ihipStream_tbEUljE_ZNSN_ISO_Lb1ESQ_SR_ST_SU_SY_EESZ_S10_S11_S12_S16_S17_S18_S1B_S1C_jS1D_jS1E_S1E_jjS1G_bEUljE0_EEESZ_S10_S11_S18_S1C_S1E_T6_T7_T9_mT8_S1G_bDpT10_ENKUlT_T0_E_clISt17integral_constantIbLb0EES1U_EEDaS1P_S1Q_EUlS1P_E_NS1_11comp_targetILNS1_3genE2ELNS1_11target_archE906ELNS1_3gpuE6ELNS1_3repE0EEENS1_30default_config_static_selectorELNS0_4arch9wavefront6targetE1EEEvS12_,@function
_ZN7rocprim17ROCPRIM_400000_NS6detail17trampoline_kernelINS0_13select_configILj256ELj13ELNS0_17block_load_methodE3ELS4_3ELS4_3ELNS0_20block_scan_algorithmE0ELj4294967295EEENS1_25partition_config_selectorILNS1_17partition_subalgoE4EjNS0_10empty_typeEbEEZZNS1_14partition_implILS8_4ELb0ES6_15HIP_vector_typeIjLj2EENS0_17counting_iteratorIjlEEPS9_SG_NS0_5tupleIJPjSI_NS0_16reverse_iteratorISI_EEEEENSH_IJSG_SG_SG_EEES9_SI_JZNS1_25segmented_radix_sort_implINS0_14default_configELb1EPKdPdPKlPlN2at6native12_GLOBAL__N_18offset_tEEE10hipError_tPvRmT1_PNSt15iterator_traitsIS12_E10value_typeET2_T3_PNS13_IS18_E10value_typeET4_jRbjT5_S1E_jjP12ihipStream_tbEUljE_ZNSN_ISO_Lb1ESQ_SR_ST_SU_SY_EESZ_S10_S11_S12_S16_S17_S18_S1B_S1C_jS1D_jS1E_S1E_jjS1G_bEUljE0_EEESZ_S10_S11_S18_S1C_S1E_T6_T7_T9_mT8_S1G_bDpT10_ENKUlT_T0_E_clISt17integral_constantIbLb0EES1U_EEDaS1P_S1Q_EUlS1P_E_NS1_11comp_targetILNS1_3genE2ELNS1_11target_archE906ELNS1_3gpuE6ELNS1_3repE0EEENS1_30default_config_static_selectorELNS0_4arch9wavefront6targetE1EEEvS12_: ; @_ZN7rocprim17ROCPRIM_400000_NS6detail17trampoline_kernelINS0_13select_configILj256ELj13ELNS0_17block_load_methodE3ELS4_3ELS4_3ELNS0_20block_scan_algorithmE0ELj4294967295EEENS1_25partition_config_selectorILNS1_17partition_subalgoE4EjNS0_10empty_typeEbEEZZNS1_14partition_implILS8_4ELb0ES6_15HIP_vector_typeIjLj2EENS0_17counting_iteratorIjlEEPS9_SG_NS0_5tupleIJPjSI_NS0_16reverse_iteratorISI_EEEEENSH_IJSG_SG_SG_EEES9_SI_JZNS1_25segmented_radix_sort_implINS0_14default_configELb1EPKdPdPKlPlN2at6native12_GLOBAL__N_18offset_tEEE10hipError_tPvRmT1_PNSt15iterator_traitsIS12_E10value_typeET2_T3_PNS13_IS18_E10value_typeET4_jRbjT5_S1E_jjP12ihipStream_tbEUljE_ZNSN_ISO_Lb1ESQ_SR_ST_SU_SY_EESZ_S10_S11_S12_S16_S17_S18_S1B_S1C_jS1D_jS1E_S1E_jjS1G_bEUljE0_EEESZ_S10_S11_S18_S1C_S1E_T6_T7_T9_mT8_S1G_bDpT10_ENKUlT_T0_E_clISt17integral_constantIbLb0EES1U_EEDaS1P_S1Q_EUlS1P_E_NS1_11comp_targetILNS1_3genE2ELNS1_11target_archE906ELNS1_3gpuE6ELNS1_3repE0EEENS1_30default_config_static_selectorELNS0_4arch9wavefront6targetE1EEEvS12_
; %bb.0:
	.section	.rodata,"a",@progbits
	.p2align	6, 0x0
	.amdhsa_kernel _ZN7rocprim17ROCPRIM_400000_NS6detail17trampoline_kernelINS0_13select_configILj256ELj13ELNS0_17block_load_methodE3ELS4_3ELS4_3ELNS0_20block_scan_algorithmE0ELj4294967295EEENS1_25partition_config_selectorILNS1_17partition_subalgoE4EjNS0_10empty_typeEbEEZZNS1_14partition_implILS8_4ELb0ES6_15HIP_vector_typeIjLj2EENS0_17counting_iteratorIjlEEPS9_SG_NS0_5tupleIJPjSI_NS0_16reverse_iteratorISI_EEEEENSH_IJSG_SG_SG_EEES9_SI_JZNS1_25segmented_radix_sort_implINS0_14default_configELb1EPKdPdPKlPlN2at6native12_GLOBAL__N_18offset_tEEE10hipError_tPvRmT1_PNSt15iterator_traitsIS12_E10value_typeET2_T3_PNS13_IS18_E10value_typeET4_jRbjT5_S1E_jjP12ihipStream_tbEUljE_ZNSN_ISO_Lb1ESQ_SR_ST_SU_SY_EESZ_S10_S11_S12_S16_S17_S18_S1B_S1C_jS1D_jS1E_S1E_jjS1G_bEUljE0_EEESZ_S10_S11_S18_S1C_S1E_T6_T7_T9_mT8_S1G_bDpT10_ENKUlT_T0_E_clISt17integral_constantIbLb0EES1U_EEDaS1P_S1Q_EUlS1P_E_NS1_11comp_targetILNS1_3genE2ELNS1_11target_archE906ELNS1_3gpuE6ELNS1_3repE0EEENS1_30default_config_static_selectorELNS0_4arch9wavefront6targetE1EEEvS12_
		.amdhsa_group_segment_fixed_size 0
		.amdhsa_private_segment_fixed_size 0
		.amdhsa_kernarg_size 176
		.amdhsa_user_sgpr_count 6
		.amdhsa_user_sgpr_private_segment_buffer 1
		.amdhsa_user_sgpr_dispatch_ptr 0
		.amdhsa_user_sgpr_queue_ptr 0
		.amdhsa_user_sgpr_kernarg_segment_ptr 1
		.amdhsa_user_sgpr_dispatch_id 0
		.amdhsa_user_sgpr_flat_scratch_init 0
		.amdhsa_user_sgpr_kernarg_preload_length 0
		.amdhsa_user_sgpr_kernarg_preload_offset 0
		.amdhsa_user_sgpr_private_segment_size 0
		.amdhsa_uses_dynamic_stack 0
		.amdhsa_system_sgpr_private_segment_wavefront_offset 0
		.amdhsa_system_sgpr_workgroup_id_x 1
		.amdhsa_system_sgpr_workgroup_id_y 0
		.amdhsa_system_sgpr_workgroup_id_z 0
		.amdhsa_system_sgpr_workgroup_info 0
		.amdhsa_system_vgpr_workitem_id 0
		.amdhsa_next_free_vgpr 1
		.amdhsa_next_free_sgpr 0
		.amdhsa_accum_offset 4
		.amdhsa_reserve_vcc 0
		.amdhsa_reserve_flat_scratch 0
		.amdhsa_float_round_mode_32 0
		.amdhsa_float_round_mode_16_64 0
		.amdhsa_float_denorm_mode_32 3
		.amdhsa_float_denorm_mode_16_64 3
		.amdhsa_dx10_clamp 1
		.amdhsa_ieee_mode 1
		.amdhsa_fp16_overflow 0
		.amdhsa_tg_split 0
		.amdhsa_exception_fp_ieee_invalid_op 0
		.amdhsa_exception_fp_denorm_src 0
		.amdhsa_exception_fp_ieee_div_zero 0
		.amdhsa_exception_fp_ieee_overflow 0
		.amdhsa_exception_fp_ieee_underflow 0
		.amdhsa_exception_fp_ieee_inexact 0
		.amdhsa_exception_int_div_zero 0
	.end_amdhsa_kernel
	.section	.text._ZN7rocprim17ROCPRIM_400000_NS6detail17trampoline_kernelINS0_13select_configILj256ELj13ELNS0_17block_load_methodE3ELS4_3ELS4_3ELNS0_20block_scan_algorithmE0ELj4294967295EEENS1_25partition_config_selectorILNS1_17partition_subalgoE4EjNS0_10empty_typeEbEEZZNS1_14partition_implILS8_4ELb0ES6_15HIP_vector_typeIjLj2EENS0_17counting_iteratorIjlEEPS9_SG_NS0_5tupleIJPjSI_NS0_16reverse_iteratorISI_EEEEENSH_IJSG_SG_SG_EEES9_SI_JZNS1_25segmented_radix_sort_implINS0_14default_configELb1EPKdPdPKlPlN2at6native12_GLOBAL__N_18offset_tEEE10hipError_tPvRmT1_PNSt15iterator_traitsIS12_E10value_typeET2_T3_PNS13_IS18_E10value_typeET4_jRbjT5_S1E_jjP12ihipStream_tbEUljE_ZNSN_ISO_Lb1ESQ_SR_ST_SU_SY_EESZ_S10_S11_S12_S16_S17_S18_S1B_S1C_jS1D_jS1E_S1E_jjS1G_bEUljE0_EEESZ_S10_S11_S18_S1C_S1E_T6_T7_T9_mT8_S1G_bDpT10_ENKUlT_T0_E_clISt17integral_constantIbLb0EES1U_EEDaS1P_S1Q_EUlS1P_E_NS1_11comp_targetILNS1_3genE2ELNS1_11target_archE906ELNS1_3gpuE6ELNS1_3repE0EEENS1_30default_config_static_selectorELNS0_4arch9wavefront6targetE1EEEvS12_,"axG",@progbits,_ZN7rocprim17ROCPRIM_400000_NS6detail17trampoline_kernelINS0_13select_configILj256ELj13ELNS0_17block_load_methodE3ELS4_3ELS4_3ELNS0_20block_scan_algorithmE0ELj4294967295EEENS1_25partition_config_selectorILNS1_17partition_subalgoE4EjNS0_10empty_typeEbEEZZNS1_14partition_implILS8_4ELb0ES6_15HIP_vector_typeIjLj2EENS0_17counting_iteratorIjlEEPS9_SG_NS0_5tupleIJPjSI_NS0_16reverse_iteratorISI_EEEEENSH_IJSG_SG_SG_EEES9_SI_JZNS1_25segmented_radix_sort_implINS0_14default_configELb1EPKdPdPKlPlN2at6native12_GLOBAL__N_18offset_tEEE10hipError_tPvRmT1_PNSt15iterator_traitsIS12_E10value_typeET2_T3_PNS13_IS18_E10value_typeET4_jRbjT5_S1E_jjP12ihipStream_tbEUljE_ZNSN_ISO_Lb1ESQ_SR_ST_SU_SY_EESZ_S10_S11_S12_S16_S17_S18_S1B_S1C_jS1D_jS1E_S1E_jjS1G_bEUljE0_EEESZ_S10_S11_S18_S1C_S1E_T6_T7_T9_mT8_S1G_bDpT10_ENKUlT_T0_E_clISt17integral_constantIbLb0EES1U_EEDaS1P_S1Q_EUlS1P_E_NS1_11comp_targetILNS1_3genE2ELNS1_11target_archE906ELNS1_3gpuE6ELNS1_3repE0EEENS1_30default_config_static_selectorELNS0_4arch9wavefront6targetE1EEEvS12_,comdat
.Lfunc_end1056:
	.size	_ZN7rocprim17ROCPRIM_400000_NS6detail17trampoline_kernelINS0_13select_configILj256ELj13ELNS0_17block_load_methodE3ELS4_3ELS4_3ELNS0_20block_scan_algorithmE0ELj4294967295EEENS1_25partition_config_selectorILNS1_17partition_subalgoE4EjNS0_10empty_typeEbEEZZNS1_14partition_implILS8_4ELb0ES6_15HIP_vector_typeIjLj2EENS0_17counting_iteratorIjlEEPS9_SG_NS0_5tupleIJPjSI_NS0_16reverse_iteratorISI_EEEEENSH_IJSG_SG_SG_EEES9_SI_JZNS1_25segmented_radix_sort_implINS0_14default_configELb1EPKdPdPKlPlN2at6native12_GLOBAL__N_18offset_tEEE10hipError_tPvRmT1_PNSt15iterator_traitsIS12_E10value_typeET2_T3_PNS13_IS18_E10value_typeET4_jRbjT5_S1E_jjP12ihipStream_tbEUljE_ZNSN_ISO_Lb1ESQ_SR_ST_SU_SY_EESZ_S10_S11_S12_S16_S17_S18_S1B_S1C_jS1D_jS1E_S1E_jjS1G_bEUljE0_EEESZ_S10_S11_S18_S1C_S1E_T6_T7_T9_mT8_S1G_bDpT10_ENKUlT_T0_E_clISt17integral_constantIbLb0EES1U_EEDaS1P_S1Q_EUlS1P_E_NS1_11comp_targetILNS1_3genE2ELNS1_11target_archE906ELNS1_3gpuE6ELNS1_3repE0EEENS1_30default_config_static_selectorELNS0_4arch9wavefront6targetE1EEEvS12_, .Lfunc_end1056-_ZN7rocprim17ROCPRIM_400000_NS6detail17trampoline_kernelINS0_13select_configILj256ELj13ELNS0_17block_load_methodE3ELS4_3ELS4_3ELNS0_20block_scan_algorithmE0ELj4294967295EEENS1_25partition_config_selectorILNS1_17partition_subalgoE4EjNS0_10empty_typeEbEEZZNS1_14partition_implILS8_4ELb0ES6_15HIP_vector_typeIjLj2EENS0_17counting_iteratorIjlEEPS9_SG_NS0_5tupleIJPjSI_NS0_16reverse_iteratorISI_EEEEENSH_IJSG_SG_SG_EEES9_SI_JZNS1_25segmented_radix_sort_implINS0_14default_configELb1EPKdPdPKlPlN2at6native12_GLOBAL__N_18offset_tEEE10hipError_tPvRmT1_PNSt15iterator_traitsIS12_E10value_typeET2_T3_PNS13_IS18_E10value_typeET4_jRbjT5_S1E_jjP12ihipStream_tbEUljE_ZNSN_ISO_Lb1ESQ_SR_ST_SU_SY_EESZ_S10_S11_S12_S16_S17_S18_S1B_S1C_jS1D_jS1E_S1E_jjS1G_bEUljE0_EEESZ_S10_S11_S18_S1C_S1E_T6_T7_T9_mT8_S1G_bDpT10_ENKUlT_T0_E_clISt17integral_constantIbLb0EES1U_EEDaS1P_S1Q_EUlS1P_E_NS1_11comp_targetILNS1_3genE2ELNS1_11target_archE906ELNS1_3gpuE6ELNS1_3repE0EEENS1_30default_config_static_selectorELNS0_4arch9wavefront6targetE1EEEvS12_
                                        ; -- End function
	.section	.AMDGPU.csdata,"",@progbits
; Kernel info:
; codeLenInByte = 0
; NumSgprs: 4
; NumVgprs: 0
; NumAgprs: 0
; TotalNumVgprs: 0
; ScratchSize: 0
; MemoryBound: 0
; FloatMode: 240
; IeeeMode: 1
; LDSByteSize: 0 bytes/workgroup (compile time only)
; SGPRBlocks: 0
; VGPRBlocks: 0
; NumSGPRsForWavesPerEU: 4
; NumVGPRsForWavesPerEU: 1
; AccumOffset: 4
; Occupancy: 8
; WaveLimiterHint : 0
; COMPUTE_PGM_RSRC2:SCRATCH_EN: 0
; COMPUTE_PGM_RSRC2:USER_SGPR: 6
; COMPUTE_PGM_RSRC2:TRAP_HANDLER: 0
; COMPUTE_PGM_RSRC2:TGID_X_EN: 1
; COMPUTE_PGM_RSRC2:TGID_Y_EN: 0
; COMPUTE_PGM_RSRC2:TGID_Z_EN: 0
; COMPUTE_PGM_RSRC2:TIDIG_COMP_CNT: 0
; COMPUTE_PGM_RSRC3_GFX90A:ACCUM_OFFSET: 0
; COMPUTE_PGM_RSRC3_GFX90A:TG_SPLIT: 0
	.section	.text._ZN7rocprim17ROCPRIM_400000_NS6detail17trampoline_kernelINS0_13select_configILj256ELj13ELNS0_17block_load_methodE3ELS4_3ELS4_3ELNS0_20block_scan_algorithmE0ELj4294967295EEENS1_25partition_config_selectorILNS1_17partition_subalgoE4EjNS0_10empty_typeEbEEZZNS1_14partition_implILS8_4ELb0ES6_15HIP_vector_typeIjLj2EENS0_17counting_iteratorIjlEEPS9_SG_NS0_5tupleIJPjSI_NS0_16reverse_iteratorISI_EEEEENSH_IJSG_SG_SG_EEES9_SI_JZNS1_25segmented_radix_sort_implINS0_14default_configELb1EPKdPdPKlPlN2at6native12_GLOBAL__N_18offset_tEEE10hipError_tPvRmT1_PNSt15iterator_traitsIS12_E10value_typeET2_T3_PNS13_IS18_E10value_typeET4_jRbjT5_S1E_jjP12ihipStream_tbEUljE_ZNSN_ISO_Lb1ESQ_SR_ST_SU_SY_EESZ_S10_S11_S12_S16_S17_S18_S1B_S1C_jS1D_jS1E_S1E_jjS1G_bEUljE0_EEESZ_S10_S11_S18_S1C_S1E_T6_T7_T9_mT8_S1G_bDpT10_ENKUlT_T0_E_clISt17integral_constantIbLb0EES1U_EEDaS1P_S1Q_EUlS1P_E_NS1_11comp_targetILNS1_3genE10ELNS1_11target_archE1200ELNS1_3gpuE4ELNS1_3repE0EEENS1_30default_config_static_selectorELNS0_4arch9wavefront6targetE1EEEvS12_,"axG",@progbits,_ZN7rocprim17ROCPRIM_400000_NS6detail17trampoline_kernelINS0_13select_configILj256ELj13ELNS0_17block_load_methodE3ELS4_3ELS4_3ELNS0_20block_scan_algorithmE0ELj4294967295EEENS1_25partition_config_selectorILNS1_17partition_subalgoE4EjNS0_10empty_typeEbEEZZNS1_14partition_implILS8_4ELb0ES6_15HIP_vector_typeIjLj2EENS0_17counting_iteratorIjlEEPS9_SG_NS0_5tupleIJPjSI_NS0_16reverse_iteratorISI_EEEEENSH_IJSG_SG_SG_EEES9_SI_JZNS1_25segmented_radix_sort_implINS0_14default_configELb1EPKdPdPKlPlN2at6native12_GLOBAL__N_18offset_tEEE10hipError_tPvRmT1_PNSt15iterator_traitsIS12_E10value_typeET2_T3_PNS13_IS18_E10value_typeET4_jRbjT5_S1E_jjP12ihipStream_tbEUljE_ZNSN_ISO_Lb1ESQ_SR_ST_SU_SY_EESZ_S10_S11_S12_S16_S17_S18_S1B_S1C_jS1D_jS1E_S1E_jjS1G_bEUljE0_EEESZ_S10_S11_S18_S1C_S1E_T6_T7_T9_mT8_S1G_bDpT10_ENKUlT_T0_E_clISt17integral_constantIbLb0EES1U_EEDaS1P_S1Q_EUlS1P_E_NS1_11comp_targetILNS1_3genE10ELNS1_11target_archE1200ELNS1_3gpuE4ELNS1_3repE0EEENS1_30default_config_static_selectorELNS0_4arch9wavefront6targetE1EEEvS12_,comdat
	.globl	_ZN7rocprim17ROCPRIM_400000_NS6detail17trampoline_kernelINS0_13select_configILj256ELj13ELNS0_17block_load_methodE3ELS4_3ELS4_3ELNS0_20block_scan_algorithmE0ELj4294967295EEENS1_25partition_config_selectorILNS1_17partition_subalgoE4EjNS0_10empty_typeEbEEZZNS1_14partition_implILS8_4ELb0ES6_15HIP_vector_typeIjLj2EENS0_17counting_iteratorIjlEEPS9_SG_NS0_5tupleIJPjSI_NS0_16reverse_iteratorISI_EEEEENSH_IJSG_SG_SG_EEES9_SI_JZNS1_25segmented_radix_sort_implINS0_14default_configELb1EPKdPdPKlPlN2at6native12_GLOBAL__N_18offset_tEEE10hipError_tPvRmT1_PNSt15iterator_traitsIS12_E10value_typeET2_T3_PNS13_IS18_E10value_typeET4_jRbjT5_S1E_jjP12ihipStream_tbEUljE_ZNSN_ISO_Lb1ESQ_SR_ST_SU_SY_EESZ_S10_S11_S12_S16_S17_S18_S1B_S1C_jS1D_jS1E_S1E_jjS1G_bEUljE0_EEESZ_S10_S11_S18_S1C_S1E_T6_T7_T9_mT8_S1G_bDpT10_ENKUlT_T0_E_clISt17integral_constantIbLb0EES1U_EEDaS1P_S1Q_EUlS1P_E_NS1_11comp_targetILNS1_3genE10ELNS1_11target_archE1200ELNS1_3gpuE4ELNS1_3repE0EEENS1_30default_config_static_selectorELNS0_4arch9wavefront6targetE1EEEvS12_ ; -- Begin function _ZN7rocprim17ROCPRIM_400000_NS6detail17trampoline_kernelINS0_13select_configILj256ELj13ELNS0_17block_load_methodE3ELS4_3ELS4_3ELNS0_20block_scan_algorithmE0ELj4294967295EEENS1_25partition_config_selectorILNS1_17partition_subalgoE4EjNS0_10empty_typeEbEEZZNS1_14partition_implILS8_4ELb0ES6_15HIP_vector_typeIjLj2EENS0_17counting_iteratorIjlEEPS9_SG_NS0_5tupleIJPjSI_NS0_16reverse_iteratorISI_EEEEENSH_IJSG_SG_SG_EEES9_SI_JZNS1_25segmented_radix_sort_implINS0_14default_configELb1EPKdPdPKlPlN2at6native12_GLOBAL__N_18offset_tEEE10hipError_tPvRmT1_PNSt15iterator_traitsIS12_E10value_typeET2_T3_PNS13_IS18_E10value_typeET4_jRbjT5_S1E_jjP12ihipStream_tbEUljE_ZNSN_ISO_Lb1ESQ_SR_ST_SU_SY_EESZ_S10_S11_S12_S16_S17_S18_S1B_S1C_jS1D_jS1E_S1E_jjS1G_bEUljE0_EEESZ_S10_S11_S18_S1C_S1E_T6_T7_T9_mT8_S1G_bDpT10_ENKUlT_T0_E_clISt17integral_constantIbLb0EES1U_EEDaS1P_S1Q_EUlS1P_E_NS1_11comp_targetILNS1_3genE10ELNS1_11target_archE1200ELNS1_3gpuE4ELNS1_3repE0EEENS1_30default_config_static_selectorELNS0_4arch9wavefront6targetE1EEEvS12_
	.p2align	8
	.type	_ZN7rocprim17ROCPRIM_400000_NS6detail17trampoline_kernelINS0_13select_configILj256ELj13ELNS0_17block_load_methodE3ELS4_3ELS4_3ELNS0_20block_scan_algorithmE0ELj4294967295EEENS1_25partition_config_selectorILNS1_17partition_subalgoE4EjNS0_10empty_typeEbEEZZNS1_14partition_implILS8_4ELb0ES6_15HIP_vector_typeIjLj2EENS0_17counting_iteratorIjlEEPS9_SG_NS0_5tupleIJPjSI_NS0_16reverse_iteratorISI_EEEEENSH_IJSG_SG_SG_EEES9_SI_JZNS1_25segmented_radix_sort_implINS0_14default_configELb1EPKdPdPKlPlN2at6native12_GLOBAL__N_18offset_tEEE10hipError_tPvRmT1_PNSt15iterator_traitsIS12_E10value_typeET2_T3_PNS13_IS18_E10value_typeET4_jRbjT5_S1E_jjP12ihipStream_tbEUljE_ZNSN_ISO_Lb1ESQ_SR_ST_SU_SY_EESZ_S10_S11_S12_S16_S17_S18_S1B_S1C_jS1D_jS1E_S1E_jjS1G_bEUljE0_EEESZ_S10_S11_S18_S1C_S1E_T6_T7_T9_mT8_S1G_bDpT10_ENKUlT_T0_E_clISt17integral_constantIbLb0EES1U_EEDaS1P_S1Q_EUlS1P_E_NS1_11comp_targetILNS1_3genE10ELNS1_11target_archE1200ELNS1_3gpuE4ELNS1_3repE0EEENS1_30default_config_static_selectorELNS0_4arch9wavefront6targetE1EEEvS12_,@function
_ZN7rocprim17ROCPRIM_400000_NS6detail17trampoline_kernelINS0_13select_configILj256ELj13ELNS0_17block_load_methodE3ELS4_3ELS4_3ELNS0_20block_scan_algorithmE0ELj4294967295EEENS1_25partition_config_selectorILNS1_17partition_subalgoE4EjNS0_10empty_typeEbEEZZNS1_14partition_implILS8_4ELb0ES6_15HIP_vector_typeIjLj2EENS0_17counting_iteratorIjlEEPS9_SG_NS0_5tupleIJPjSI_NS0_16reverse_iteratorISI_EEEEENSH_IJSG_SG_SG_EEES9_SI_JZNS1_25segmented_radix_sort_implINS0_14default_configELb1EPKdPdPKlPlN2at6native12_GLOBAL__N_18offset_tEEE10hipError_tPvRmT1_PNSt15iterator_traitsIS12_E10value_typeET2_T3_PNS13_IS18_E10value_typeET4_jRbjT5_S1E_jjP12ihipStream_tbEUljE_ZNSN_ISO_Lb1ESQ_SR_ST_SU_SY_EESZ_S10_S11_S12_S16_S17_S18_S1B_S1C_jS1D_jS1E_S1E_jjS1G_bEUljE0_EEESZ_S10_S11_S18_S1C_S1E_T6_T7_T9_mT8_S1G_bDpT10_ENKUlT_T0_E_clISt17integral_constantIbLb0EES1U_EEDaS1P_S1Q_EUlS1P_E_NS1_11comp_targetILNS1_3genE10ELNS1_11target_archE1200ELNS1_3gpuE4ELNS1_3repE0EEENS1_30default_config_static_selectorELNS0_4arch9wavefront6targetE1EEEvS12_: ; @_ZN7rocprim17ROCPRIM_400000_NS6detail17trampoline_kernelINS0_13select_configILj256ELj13ELNS0_17block_load_methodE3ELS4_3ELS4_3ELNS0_20block_scan_algorithmE0ELj4294967295EEENS1_25partition_config_selectorILNS1_17partition_subalgoE4EjNS0_10empty_typeEbEEZZNS1_14partition_implILS8_4ELb0ES6_15HIP_vector_typeIjLj2EENS0_17counting_iteratorIjlEEPS9_SG_NS0_5tupleIJPjSI_NS0_16reverse_iteratorISI_EEEEENSH_IJSG_SG_SG_EEES9_SI_JZNS1_25segmented_radix_sort_implINS0_14default_configELb1EPKdPdPKlPlN2at6native12_GLOBAL__N_18offset_tEEE10hipError_tPvRmT1_PNSt15iterator_traitsIS12_E10value_typeET2_T3_PNS13_IS18_E10value_typeET4_jRbjT5_S1E_jjP12ihipStream_tbEUljE_ZNSN_ISO_Lb1ESQ_SR_ST_SU_SY_EESZ_S10_S11_S12_S16_S17_S18_S1B_S1C_jS1D_jS1E_S1E_jjS1G_bEUljE0_EEESZ_S10_S11_S18_S1C_S1E_T6_T7_T9_mT8_S1G_bDpT10_ENKUlT_T0_E_clISt17integral_constantIbLb0EES1U_EEDaS1P_S1Q_EUlS1P_E_NS1_11comp_targetILNS1_3genE10ELNS1_11target_archE1200ELNS1_3gpuE4ELNS1_3repE0EEENS1_30default_config_static_selectorELNS0_4arch9wavefront6targetE1EEEvS12_
; %bb.0:
	.section	.rodata,"a",@progbits
	.p2align	6, 0x0
	.amdhsa_kernel _ZN7rocprim17ROCPRIM_400000_NS6detail17trampoline_kernelINS0_13select_configILj256ELj13ELNS0_17block_load_methodE3ELS4_3ELS4_3ELNS0_20block_scan_algorithmE0ELj4294967295EEENS1_25partition_config_selectorILNS1_17partition_subalgoE4EjNS0_10empty_typeEbEEZZNS1_14partition_implILS8_4ELb0ES6_15HIP_vector_typeIjLj2EENS0_17counting_iteratorIjlEEPS9_SG_NS0_5tupleIJPjSI_NS0_16reverse_iteratorISI_EEEEENSH_IJSG_SG_SG_EEES9_SI_JZNS1_25segmented_radix_sort_implINS0_14default_configELb1EPKdPdPKlPlN2at6native12_GLOBAL__N_18offset_tEEE10hipError_tPvRmT1_PNSt15iterator_traitsIS12_E10value_typeET2_T3_PNS13_IS18_E10value_typeET4_jRbjT5_S1E_jjP12ihipStream_tbEUljE_ZNSN_ISO_Lb1ESQ_SR_ST_SU_SY_EESZ_S10_S11_S12_S16_S17_S18_S1B_S1C_jS1D_jS1E_S1E_jjS1G_bEUljE0_EEESZ_S10_S11_S18_S1C_S1E_T6_T7_T9_mT8_S1G_bDpT10_ENKUlT_T0_E_clISt17integral_constantIbLb0EES1U_EEDaS1P_S1Q_EUlS1P_E_NS1_11comp_targetILNS1_3genE10ELNS1_11target_archE1200ELNS1_3gpuE4ELNS1_3repE0EEENS1_30default_config_static_selectorELNS0_4arch9wavefront6targetE1EEEvS12_
		.amdhsa_group_segment_fixed_size 0
		.amdhsa_private_segment_fixed_size 0
		.amdhsa_kernarg_size 176
		.amdhsa_user_sgpr_count 6
		.amdhsa_user_sgpr_private_segment_buffer 1
		.amdhsa_user_sgpr_dispatch_ptr 0
		.amdhsa_user_sgpr_queue_ptr 0
		.amdhsa_user_sgpr_kernarg_segment_ptr 1
		.amdhsa_user_sgpr_dispatch_id 0
		.amdhsa_user_sgpr_flat_scratch_init 0
		.amdhsa_user_sgpr_kernarg_preload_length 0
		.amdhsa_user_sgpr_kernarg_preload_offset 0
		.amdhsa_user_sgpr_private_segment_size 0
		.amdhsa_uses_dynamic_stack 0
		.amdhsa_system_sgpr_private_segment_wavefront_offset 0
		.amdhsa_system_sgpr_workgroup_id_x 1
		.amdhsa_system_sgpr_workgroup_id_y 0
		.amdhsa_system_sgpr_workgroup_id_z 0
		.amdhsa_system_sgpr_workgroup_info 0
		.amdhsa_system_vgpr_workitem_id 0
		.amdhsa_next_free_vgpr 1
		.amdhsa_next_free_sgpr 0
		.amdhsa_accum_offset 4
		.amdhsa_reserve_vcc 0
		.amdhsa_reserve_flat_scratch 0
		.amdhsa_float_round_mode_32 0
		.amdhsa_float_round_mode_16_64 0
		.amdhsa_float_denorm_mode_32 3
		.amdhsa_float_denorm_mode_16_64 3
		.amdhsa_dx10_clamp 1
		.amdhsa_ieee_mode 1
		.amdhsa_fp16_overflow 0
		.amdhsa_tg_split 0
		.amdhsa_exception_fp_ieee_invalid_op 0
		.amdhsa_exception_fp_denorm_src 0
		.amdhsa_exception_fp_ieee_div_zero 0
		.amdhsa_exception_fp_ieee_overflow 0
		.amdhsa_exception_fp_ieee_underflow 0
		.amdhsa_exception_fp_ieee_inexact 0
		.amdhsa_exception_int_div_zero 0
	.end_amdhsa_kernel
	.section	.text._ZN7rocprim17ROCPRIM_400000_NS6detail17trampoline_kernelINS0_13select_configILj256ELj13ELNS0_17block_load_methodE3ELS4_3ELS4_3ELNS0_20block_scan_algorithmE0ELj4294967295EEENS1_25partition_config_selectorILNS1_17partition_subalgoE4EjNS0_10empty_typeEbEEZZNS1_14partition_implILS8_4ELb0ES6_15HIP_vector_typeIjLj2EENS0_17counting_iteratorIjlEEPS9_SG_NS0_5tupleIJPjSI_NS0_16reverse_iteratorISI_EEEEENSH_IJSG_SG_SG_EEES9_SI_JZNS1_25segmented_radix_sort_implINS0_14default_configELb1EPKdPdPKlPlN2at6native12_GLOBAL__N_18offset_tEEE10hipError_tPvRmT1_PNSt15iterator_traitsIS12_E10value_typeET2_T3_PNS13_IS18_E10value_typeET4_jRbjT5_S1E_jjP12ihipStream_tbEUljE_ZNSN_ISO_Lb1ESQ_SR_ST_SU_SY_EESZ_S10_S11_S12_S16_S17_S18_S1B_S1C_jS1D_jS1E_S1E_jjS1G_bEUljE0_EEESZ_S10_S11_S18_S1C_S1E_T6_T7_T9_mT8_S1G_bDpT10_ENKUlT_T0_E_clISt17integral_constantIbLb0EES1U_EEDaS1P_S1Q_EUlS1P_E_NS1_11comp_targetILNS1_3genE10ELNS1_11target_archE1200ELNS1_3gpuE4ELNS1_3repE0EEENS1_30default_config_static_selectorELNS0_4arch9wavefront6targetE1EEEvS12_,"axG",@progbits,_ZN7rocprim17ROCPRIM_400000_NS6detail17trampoline_kernelINS0_13select_configILj256ELj13ELNS0_17block_load_methodE3ELS4_3ELS4_3ELNS0_20block_scan_algorithmE0ELj4294967295EEENS1_25partition_config_selectorILNS1_17partition_subalgoE4EjNS0_10empty_typeEbEEZZNS1_14partition_implILS8_4ELb0ES6_15HIP_vector_typeIjLj2EENS0_17counting_iteratorIjlEEPS9_SG_NS0_5tupleIJPjSI_NS0_16reverse_iteratorISI_EEEEENSH_IJSG_SG_SG_EEES9_SI_JZNS1_25segmented_radix_sort_implINS0_14default_configELb1EPKdPdPKlPlN2at6native12_GLOBAL__N_18offset_tEEE10hipError_tPvRmT1_PNSt15iterator_traitsIS12_E10value_typeET2_T3_PNS13_IS18_E10value_typeET4_jRbjT5_S1E_jjP12ihipStream_tbEUljE_ZNSN_ISO_Lb1ESQ_SR_ST_SU_SY_EESZ_S10_S11_S12_S16_S17_S18_S1B_S1C_jS1D_jS1E_S1E_jjS1G_bEUljE0_EEESZ_S10_S11_S18_S1C_S1E_T6_T7_T9_mT8_S1G_bDpT10_ENKUlT_T0_E_clISt17integral_constantIbLb0EES1U_EEDaS1P_S1Q_EUlS1P_E_NS1_11comp_targetILNS1_3genE10ELNS1_11target_archE1200ELNS1_3gpuE4ELNS1_3repE0EEENS1_30default_config_static_selectorELNS0_4arch9wavefront6targetE1EEEvS12_,comdat
.Lfunc_end1057:
	.size	_ZN7rocprim17ROCPRIM_400000_NS6detail17trampoline_kernelINS0_13select_configILj256ELj13ELNS0_17block_load_methodE3ELS4_3ELS4_3ELNS0_20block_scan_algorithmE0ELj4294967295EEENS1_25partition_config_selectorILNS1_17partition_subalgoE4EjNS0_10empty_typeEbEEZZNS1_14partition_implILS8_4ELb0ES6_15HIP_vector_typeIjLj2EENS0_17counting_iteratorIjlEEPS9_SG_NS0_5tupleIJPjSI_NS0_16reverse_iteratorISI_EEEEENSH_IJSG_SG_SG_EEES9_SI_JZNS1_25segmented_radix_sort_implINS0_14default_configELb1EPKdPdPKlPlN2at6native12_GLOBAL__N_18offset_tEEE10hipError_tPvRmT1_PNSt15iterator_traitsIS12_E10value_typeET2_T3_PNS13_IS18_E10value_typeET4_jRbjT5_S1E_jjP12ihipStream_tbEUljE_ZNSN_ISO_Lb1ESQ_SR_ST_SU_SY_EESZ_S10_S11_S12_S16_S17_S18_S1B_S1C_jS1D_jS1E_S1E_jjS1G_bEUljE0_EEESZ_S10_S11_S18_S1C_S1E_T6_T7_T9_mT8_S1G_bDpT10_ENKUlT_T0_E_clISt17integral_constantIbLb0EES1U_EEDaS1P_S1Q_EUlS1P_E_NS1_11comp_targetILNS1_3genE10ELNS1_11target_archE1200ELNS1_3gpuE4ELNS1_3repE0EEENS1_30default_config_static_selectorELNS0_4arch9wavefront6targetE1EEEvS12_, .Lfunc_end1057-_ZN7rocprim17ROCPRIM_400000_NS6detail17trampoline_kernelINS0_13select_configILj256ELj13ELNS0_17block_load_methodE3ELS4_3ELS4_3ELNS0_20block_scan_algorithmE0ELj4294967295EEENS1_25partition_config_selectorILNS1_17partition_subalgoE4EjNS0_10empty_typeEbEEZZNS1_14partition_implILS8_4ELb0ES6_15HIP_vector_typeIjLj2EENS0_17counting_iteratorIjlEEPS9_SG_NS0_5tupleIJPjSI_NS0_16reverse_iteratorISI_EEEEENSH_IJSG_SG_SG_EEES9_SI_JZNS1_25segmented_radix_sort_implINS0_14default_configELb1EPKdPdPKlPlN2at6native12_GLOBAL__N_18offset_tEEE10hipError_tPvRmT1_PNSt15iterator_traitsIS12_E10value_typeET2_T3_PNS13_IS18_E10value_typeET4_jRbjT5_S1E_jjP12ihipStream_tbEUljE_ZNSN_ISO_Lb1ESQ_SR_ST_SU_SY_EESZ_S10_S11_S12_S16_S17_S18_S1B_S1C_jS1D_jS1E_S1E_jjS1G_bEUljE0_EEESZ_S10_S11_S18_S1C_S1E_T6_T7_T9_mT8_S1G_bDpT10_ENKUlT_T0_E_clISt17integral_constantIbLb0EES1U_EEDaS1P_S1Q_EUlS1P_E_NS1_11comp_targetILNS1_3genE10ELNS1_11target_archE1200ELNS1_3gpuE4ELNS1_3repE0EEENS1_30default_config_static_selectorELNS0_4arch9wavefront6targetE1EEEvS12_
                                        ; -- End function
	.section	.AMDGPU.csdata,"",@progbits
; Kernel info:
; codeLenInByte = 0
; NumSgprs: 4
; NumVgprs: 0
; NumAgprs: 0
; TotalNumVgprs: 0
; ScratchSize: 0
; MemoryBound: 0
; FloatMode: 240
; IeeeMode: 1
; LDSByteSize: 0 bytes/workgroup (compile time only)
; SGPRBlocks: 0
; VGPRBlocks: 0
; NumSGPRsForWavesPerEU: 4
; NumVGPRsForWavesPerEU: 1
; AccumOffset: 4
; Occupancy: 8
; WaveLimiterHint : 0
; COMPUTE_PGM_RSRC2:SCRATCH_EN: 0
; COMPUTE_PGM_RSRC2:USER_SGPR: 6
; COMPUTE_PGM_RSRC2:TRAP_HANDLER: 0
; COMPUTE_PGM_RSRC2:TGID_X_EN: 1
; COMPUTE_PGM_RSRC2:TGID_Y_EN: 0
; COMPUTE_PGM_RSRC2:TGID_Z_EN: 0
; COMPUTE_PGM_RSRC2:TIDIG_COMP_CNT: 0
; COMPUTE_PGM_RSRC3_GFX90A:ACCUM_OFFSET: 0
; COMPUTE_PGM_RSRC3_GFX90A:TG_SPLIT: 0
	.section	.text._ZN7rocprim17ROCPRIM_400000_NS6detail17trampoline_kernelINS0_13select_configILj256ELj13ELNS0_17block_load_methodE3ELS4_3ELS4_3ELNS0_20block_scan_algorithmE0ELj4294967295EEENS1_25partition_config_selectorILNS1_17partition_subalgoE4EjNS0_10empty_typeEbEEZZNS1_14partition_implILS8_4ELb0ES6_15HIP_vector_typeIjLj2EENS0_17counting_iteratorIjlEEPS9_SG_NS0_5tupleIJPjSI_NS0_16reverse_iteratorISI_EEEEENSH_IJSG_SG_SG_EEES9_SI_JZNS1_25segmented_radix_sort_implINS0_14default_configELb1EPKdPdPKlPlN2at6native12_GLOBAL__N_18offset_tEEE10hipError_tPvRmT1_PNSt15iterator_traitsIS12_E10value_typeET2_T3_PNS13_IS18_E10value_typeET4_jRbjT5_S1E_jjP12ihipStream_tbEUljE_ZNSN_ISO_Lb1ESQ_SR_ST_SU_SY_EESZ_S10_S11_S12_S16_S17_S18_S1B_S1C_jS1D_jS1E_S1E_jjS1G_bEUljE0_EEESZ_S10_S11_S18_S1C_S1E_T6_T7_T9_mT8_S1G_bDpT10_ENKUlT_T0_E_clISt17integral_constantIbLb0EES1U_EEDaS1P_S1Q_EUlS1P_E_NS1_11comp_targetILNS1_3genE9ELNS1_11target_archE1100ELNS1_3gpuE3ELNS1_3repE0EEENS1_30default_config_static_selectorELNS0_4arch9wavefront6targetE1EEEvS12_,"axG",@progbits,_ZN7rocprim17ROCPRIM_400000_NS6detail17trampoline_kernelINS0_13select_configILj256ELj13ELNS0_17block_load_methodE3ELS4_3ELS4_3ELNS0_20block_scan_algorithmE0ELj4294967295EEENS1_25partition_config_selectorILNS1_17partition_subalgoE4EjNS0_10empty_typeEbEEZZNS1_14partition_implILS8_4ELb0ES6_15HIP_vector_typeIjLj2EENS0_17counting_iteratorIjlEEPS9_SG_NS0_5tupleIJPjSI_NS0_16reverse_iteratorISI_EEEEENSH_IJSG_SG_SG_EEES9_SI_JZNS1_25segmented_radix_sort_implINS0_14default_configELb1EPKdPdPKlPlN2at6native12_GLOBAL__N_18offset_tEEE10hipError_tPvRmT1_PNSt15iterator_traitsIS12_E10value_typeET2_T3_PNS13_IS18_E10value_typeET4_jRbjT5_S1E_jjP12ihipStream_tbEUljE_ZNSN_ISO_Lb1ESQ_SR_ST_SU_SY_EESZ_S10_S11_S12_S16_S17_S18_S1B_S1C_jS1D_jS1E_S1E_jjS1G_bEUljE0_EEESZ_S10_S11_S18_S1C_S1E_T6_T7_T9_mT8_S1G_bDpT10_ENKUlT_T0_E_clISt17integral_constantIbLb0EES1U_EEDaS1P_S1Q_EUlS1P_E_NS1_11comp_targetILNS1_3genE9ELNS1_11target_archE1100ELNS1_3gpuE3ELNS1_3repE0EEENS1_30default_config_static_selectorELNS0_4arch9wavefront6targetE1EEEvS12_,comdat
	.globl	_ZN7rocprim17ROCPRIM_400000_NS6detail17trampoline_kernelINS0_13select_configILj256ELj13ELNS0_17block_load_methodE3ELS4_3ELS4_3ELNS0_20block_scan_algorithmE0ELj4294967295EEENS1_25partition_config_selectorILNS1_17partition_subalgoE4EjNS0_10empty_typeEbEEZZNS1_14partition_implILS8_4ELb0ES6_15HIP_vector_typeIjLj2EENS0_17counting_iteratorIjlEEPS9_SG_NS0_5tupleIJPjSI_NS0_16reverse_iteratorISI_EEEEENSH_IJSG_SG_SG_EEES9_SI_JZNS1_25segmented_radix_sort_implINS0_14default_configELb1EPKdPdPKlPlN2at6native12_GLOBAL__N_18offset_tEEE10hipError_tPvRmT1_PNSt15iterator_traitsIS12_E10value_typeET2_T3_PNS13_IS18_E10value_typeET4_jRbjT5_S1E_jjP12ihipStream_tbEUljE_ZNSN_ISO_Lb1ESQ_SR_ST_SU_SY_EESZ_S10_S11_S12_S16_S17_S18_S1B_S1C_jS1D_jS1E_S1E_jjS1G_bEUljE0_EEESZ_S10_S11_S18_S1C_S1E_T6_T7_T9_mT8_S1G_bDpT10_ENKUlT_T0_E_clISt17integral_constantIbLb0EES1U_EEDaS1P_S1Q_EUlS1P_E_NS1_11comp_targetILNS1_3genE9ELNS1_11target_archE1100ELNS1_3gpuE3ELNS1_3repE0EEENS1_30default_config_static_selectorELNS0_4arch9wavefront6targetE1EEEvS12_ ; -- Begin function _ZN7rocprim17ROCPRIM_400000_NS6detail17trampoline_kernelINS0_13select_configILj256ELj13ELNS0_17block_load_methodE3ELS4_3ELS4_3ELNS0_20block_scan_algorithmE0ELj4294967295EEENS1_25partition_config_selectorILNS1_17partition_subalgoE4EjNS0_10empty_typeEbEEZZNS1_14partition_implILS8_4ELb0ES6_15HIP_vector_typeIjLj2EENS0_17counting_iteratorIjlEEPS9_SG_NS0_5tupleIJPjSI_NS0_16reverse_iteratorISI_EEEEENSH_IJSG_SG_SG_EEES9_SI_JZNS1_25segmented_radix_sort_implINS0_14default_configELb1EPKdPdPKlPlN2at6native12_GLOBAL__N_18offset_tEEE10hipError_tPvRmT1_PNSt15iterator_traitsIS12_E10value_typeET2_T3_PNS13_IS18_E10value_typeET4_jRbjT5_S1E_jjP12ihipStream_tbEUljE_ZNSN_ISO_Lb1ESQ_SR_ST_SU_SY_EESZ_S10_S11_S12_S16_S17_S18_S1B_S1C_jS1D_jS1E_S1E_jjS1G_bEUljE0_EEESZ_S10_S11_S18_S1C_S1E_T6_T7_T9_mT8_S1G_bDpT10_ENKUlT_T0_E_clISt17integral_constantIbLb0EES1U_EEDaS1P_S1Q_EUlS1P_E_NS1_11comp_targetILNS1_3genE9ELNS1_11target_archE1100ELNS1_3gpuE3ELNS1_3repE0EEENS1_30default_config_static_selectorELNS0_4arch9wavefront6targetE1EEEvS12_
	.p2align	8
	.type	_ZN7rocprim17ROCPRIM_400000_NS6detail17trampoline_kernelINS0_13select_configILj256ELj13ELNS0_17block_load_methodE3ELS4_3ELS4_3ELNS0_20block_scan_algorithmE0ELj4294967295EEENS1_25partition_config_selectorILNS1_17partition_subalgoE4EjNS0_10empty_typeEbEEZZNS1_14partition_implILS8_4ELb0ES6_15HIP_vector_typeIjLj2EENS0_17counting_iteratorIjlEEPS9_SG_NS0_5tupleIJPjSI_NS0_16reverse_iteratorISI_EEEEENSH_IJSG_SG_SG_EEES9_SI_JZNS1_25segmented_radix_sort_implINS0_14default_configELb1EPKdPdPKlPlN2at6native12_GLOBAL__N_18offset_tEEE10hipError_tPvRmT1_PNSt15iterator_traitsIS12_E10value_typeET2_T3_PNS13_IS18_E10value_typeET4_jRbjT5_S1E_jjP12ihipStream_tbEUljE_ZNSN_ISO_Lb1ESQ_SR_ST_SU_SY_EESZ_S10_S11_S12_S16_S17_S18_S1B_S1C_jS1D_jS1E_S1E_jjS1G_bEUljE0_EEESZ_S10_S11_S18_S1C_S1E_T6_T7_T9_mT8_S1G_bDpT10_ENKUlT_T0_E_clISt17integral_constantIbLb0EES1U_EEDaS1P_S1Q_EUlS1P_E_NS1_11comp_targetILNS1_3genE9ELNS1_11target_archE1100ELNS1_3gpuE3ELNS1_3repE0EEENS1_30default_config_static_selectorELNS0_4arch9wavefront6targetE1EEEvS12_,@function
_ZN7rocprim17ROCPRIM_400000_NS6detail17trampoline_kernelINS0_13select_configILj256ELj13ELNS0_17block_load_methodE3ELS4_3ELS4_3ELNS0_20block_scan_algorithmE0ELj4294967295EEENS1_25partition_config_selectorILNS1_17partition_subalgoE4EjNS0_10empty_typeEbEEZZNS1_14partition_implILS8_4ELb0ES6_15HIP_vector_typeIjLj2EENS0_17counting_iteratorIjlEEPS9_SG_NS0_5tupleIJPjSI_NS0_16reverse_iteratorISI_EEEEENSH_IJSG_SG_SG_EEES9_SI_JZNS1_25segmented_radix_sort_implINS0_14default_configELb1EPKdPdPKlPlN2at6native12_GLOBAL__N_18offset_tEEE10hipError_tPvRmT1_PNSt15iterator_traitsIS12_E10value_typeET2_T3_PNS13_IS18_E10value_typeET4_jRbjT5_S1E_jjP12ihipStream_tbEUljE_ZNSN_ISO_Lb1ESQ_SR_ST_SU_SY_EESZ_S10_S11_S12_S16_S17_S18_S1B_S1C_jS1D_jS1E_S1E_jjS1G_bEUljE0_EEESZ_S10_S11_S18_S1C_S1E_T6_T7_T9_mT8_S1G_bDpT10_ENKUlT_T0_E_clISt17integral_constantIbLb0EES1U_EEDaS1P_S1Q_EUlS1P_E_NS1_11comp_targetILNS1_3genE9ELNS1_11target_archE1100ELNS1_3gpuE3ELNS1_3repE0EEENS1_30default_config_static_selectorELNS0_4arch9wavefront6targetE1EEEvS12_: ; @_ZN7rocprim17ROCPRIM_400000_NS6detail17trampoline_kernelINS0_13select_configILj256ELj13ELNS0_17block_load_methodE3ELS4_3ELS4_3ELNS0_20block_scan_algorithmE0ELj4294967295EEENS1_25partition_config_selectorILNS1_17partition_subalgoE4EjNS0_10empty_typeEbEEZZNS1_14partition_implILS8_4ELb0ES6_15HIP_vector_typeIjLj2EENS0_17counting_iteratorIjlEEPS9_SG_NS0_5tupleIJPjSI_NS0_16reverse_iteratorISI_EEEEENSH_IJSG_SG_SG_EEES9_SI_JZNS1_25segmented_radix_sort_implINS0_14default_configELb1EPKdPdPKlPlN2at6native12_GLOBAL__N_18offset_tEEE10hipError_tPvRmT1_PNSt15iterator_traitsIS12_E10value_typeET2_T3_PNS13_IS18_E10value_typeET4_jRbjT5_S1E_jjP12ihipStream_tbEUljE_ZNSN_ISO_Lb1ESQ_SR_ST_SU_SY_EESZ_S10_S11_S12_S16_S17_S18_S1B_S1C_jS1D_jS1E_S1E_jjS1G_bEUljE0_EEESZ_S10_S11_S18_S1C_S1E_T6_T7_T9_mT8_S1G_bDpT10_ENKUlT_T0_E_clISt17integral_constantIbLb0EES1U_EEDaS1P_S1Q_EUlS1P_E_NS1_11comp_targetILNS1_3genE9ELNS1_11target_archE1100ELNS1_3gpuE3ELNS1_3repE0EEENS1_30default_config_static_selectorELNS0_4arch9wavefront6targetE1EEEvS12_
; %bb.0:
	.section	.rodata,"a",@progbits
	.p2align	6, 0x0
	.amdhsa_kernel _ZN7rocprim17ROCPRIM_400000_NS6detail17trampoline_kernelINS0_13select_configILj256ELj13ELNS0_17block_load_methodE3ELS4_3ELS4_3ELNS0_20block_scan_algorithmE0ELj4294967295EEENS1_25partition_config_selectorILNS1_17partition_subalgoE4EjNS0_10empty_typeEbEEZZNS1_14partition_implILS8_4ELb0ES6_15HIP_vector_typeIjLj2EENS0_17counting_iteratorIjlEEPS9_SG_NS0_5tupleIJPjSI_NS0_16reverse_iteratorISI_EEEEENSH_IJSG_SG_SG_EEES9_SI_JZNS1_25segmented_radix_sort_implINS0_14default_configELb1EPKdPdPKlPlN2at6native12_GLOBAL__N_18offset_tEEE10hipError_tPvRmT1_PNSt15iterator_traitsIS12_E10value_typeET2_T3_PNS13_IS18_E10value_typeET4_jRbjT5_S1E_jjP12ihipStream_tbEUljE_ZNSN_ISO_Lb1ESQ_SR_ST_SU_SY_EESZ_S10_S11_S12_S16_S17_S18_S1B_S1C_jS1D_jS1E_S1E_jjS1G_bEUljE0_EEESZ_S10_S11_S18_S1C_S1E_T6_T7_T9_mT8_S1G_bDpT10_ENKUlT_T0_E_clISt17integral_constantIbLb0EES1U_EEDaS1P_S1Q_EUlS1P_E_NS1_11comp_targetILNS1_3genE9ELNS1_11target_archE1100ELNS1_3gpuE3ELNS1_3repE0EEENS1_30default_config_static_selectorELNS0_4arch9wavefront6targetE1EEEvS12_
		.amdhsa_group_segment_fixed_size 0
		.amdhsa_private_segment_fixed_size 0
		.amdhsa_kernarg_size 176
		.amdhsa_user_sgpr_count 6
		.amdhsa_user_sgpr_private_segment_buffer 1
		.amdhsa_user_sgpr_dispatch_ptr 0
		.amdhsa_user_sgpr_queue_ptr 0
		.amdhsa_user_sgpr_kernarg_segment_ptr 1
		.amdhsa_user_sgpr_dispatch_id 0
		.amdhsa_user_sgpr_flat_scratch_init 0
		.amdhsa_user_sgpr_kernarg_preload_length 0
		.amdhsa_user_sgpr_kernarg_preload_offset 0
		.amdhsa_user_sgpr_private_segment_size 0
		.amdhsa_uses_dynamic_stack 0
		.amdhsa_system_sgpr_private_segment_wavefront_offset 0
		.amdhsa_system_sgpr_workgroup_id_x 1
		.amdhsa_system_sgpr_workgroup_id_y 0
		.amdhsa_system_sgpr_workgroup_id_z 0
		.amdhsa_system_sgpr_workgroup_info 0
		.amdhsa_system_vgpr_workitem_id 0
		.amdhsa_next_free_vgpr 1
		.amdhsa_next_free_sgpr 0
		.amdhsa_accum_offset 4
		.amdhsa_reserve_vcc 0
		.amdhsa_reserve_flat_scratch 0
		.amdhsa_float_round_mode_32 0
		.amdhsa_float_round_mode_16_64 0
		.amdhsa_float_denorm_mode_32 3
		.amdhsa_float_denorm_mode_16_64 3
		.amdhsa_dx10_clamp 1
		.amdhsa_ieee_mode 1
		.amdhsa_fp16_overflow 0
		.amdhsa_tg_split 0
		.amdhsa_exception_fp_ieee_invalid_op 0
		.amdhsa_exception_fp_denorm_src 0
		.amdhsa_exception_fp_ieee_div_zero 0
		.amdhsa_exception_fp_ieee_overflow 0
		.amdhsa_exception_fp_ieee_underflow 0
		.amdhsa_exception_fp_ieee_inexact 0
		.amdhsa_exception_int_div_zero 0
	.end_amdhsa_kernel
	.section	.text._ZN7rocprim17ROCPRIM_400000_NS6detail17trampoline_kernelINS0_13select_configILj256ELj13ELNS0_17block_load_methodE3ELS4_3ELS4_3ELNS0_20block_scan_algorithmE0ELj4294967295EEENS1_25partition_config_selectorILNS1_17partition_subalgoE4EjNS0_10empty_typeEbEEZZNS1_14partition_implILS8_4ELb0ES6_15HIP_vector_typeIjLj2EENS0_17counting_iteratorIjlEEPS9_SG_NS0_5tupleIJPjSI_NS0_16reverse_iteratorISI_EEEEENSH_IJSG_SG_SG_EEES9_SI_JZNS1_25segmented_radix_sort_implINS0_14default_configELb1EPKdPdPKlPlN2at6native12_GLOBAL__N_18offset_tEEE10hipError_tPvRmT1_PNSt15iterator_traitsIS12_E10value_typeET2_T3_PNS13_IS18_E10value_typeET4_jRbjT5_S1E_jjP12ihipStream_tbEUljE_ZNSN_ISO_Lb1ESQ_SR_ST_SU_SY_EESZ_S10_S11_S12_S16_S17_S18_S1B_S1C_jS1D_jS1E_S1E_jjS1G_bEUljE0_EEESZ_S10_S11_S18_S1C_S1E_T6_T7_T9_mT8_S1G_bDpT10_ENKUlT_T0_E_clISt17integral_constantIbLb0EES1U_EEDaS1P_S1Q_EUlS1P_E_NS1_11comp_targetILNS1_3genE9ELNS1_11target_archE1100ELNS1_3gpuE3ELNS1_3repE0EEENS1_30default_config_static_selectorELNS0_4arch9wavefront6targetE1EEEvS12_,"axG",@progbits,_ZN7rocprim17ROCPRIM_400000_NS6detail17trampoline_kernelINS0_13select_configILj256ELj13ELNS0_17block_load_methodE3ELS4_3ELS4_3ELNS0_20block_scan_algorithmE0ELj4294967295EEENS1_25partition_config_selectorILNS1_17partition_subalgoE4EjNS0_10empty_typeEbEEZZNS1_14partition_implILS8_4ELb0ES6_15HIP_vector_typeIjLj2EENS0_17counting_iteratorIjlEEPS9_SG_NS0_5tupleIJPjSI_NS0_16reverse_iteratorISI_EEEEENSH_IJSG_SG_SG_EEES9_SI_JZNS1_25segmented_radix_sort_implINS0_14default_configELb1EPKdPdPKlPlN2at6native12_GLOBAL__N_18offset_tEEE10hipError_tPvRmT1_PNSt15iterator_traitsIS12_E10value_typeET2_T3_PNS13_IS18_E10value_typeET4_jRbjT5_S1E_jjP12ihipStream_tbEUljE_ZNSN_ISO_Lb1ESQ_SR_ST_SU_SY_EESZ_S10_S11_S12_S16_S17_S18_S1B_S1C_jS1D_jS1E_S1E_jjS1G_bEUljE0_EEESZ_S10_S11_S18_S1C_S1E_T6_T7_T9_mT8_S1G_bDpT10_ENKUlT_T0_E_clISt17integral_constantIbLb0EES1U_EEDaS1P_S1Q_EUlS1P_E_NS1_11comp_targetILNS1_3genE9ELNS1_11target_archE1100ELNS1_3gpuE3ELNS1_3repE0EEENS1_30default_config_static_selectorELNS0_4arch9wavefront6targetE1EEEvS12_,comdat
.Lfunc_end1058:
	.size	_ZN7rocprim17ROCPRIM_400000_NS6detail17trampoline_kernelINS0_13select_configILj256ELj13ELNS0_17block_load_methodE3ELS4_3ELS4_3ELNS0_20block_scan_algorithmE0ELj4294967295EEENS1_25partition_config_selectorILNS1_17partition_subalgoE4EjNS0_10empty_typeEbEEZZNS1_14partition_implILS8_4ELb0ES6_15HIP_vector_typeIjLj2EENS0_17counting_iteratorIjlEEPS9_SG_NS0_5tupleIJPjSI_NS0_16reverse_iteratorISI_EEEEENSH_IJSG_SG_SG_EEES9_SI_JZNS1_25segmented_radix_sort_implINS0_14default_configELb1EPKdPdPKlPlN2at6native12_GLOBAL__N_18offset_tEEE10hipError_tPvRmT1_PNSt15iterator_traitsIS12_E10value_typeET2_T3_PNS13_IS18_E10value_typeET4_jRbjT5_S1E_jjP12ihipStream_tbEUljE_ZNSN_ISO_Lb1ESQ_SR_ST_SU_SY_EESZ_S10_S11_S12_S16_S17_S18_S1B_S1C_jS1D_jS1E_S1E_jjS1G_bEUljE0_EEESZ_S10_S11_S18_S1C_S1E_T6_T7_T9_mT8_S1G_bDpT10_ENKUlT_T0_E_clISt17integral_constantIbLb0EES1U_EEDaS1P_S1Q_EUlS1P_E_NS1_11comp_targetILNS1_3genE9ELNS1_11target_archE1100ELNS1_3gpuE3ELNS1_3repE0EEENS1_30default_config_static_selectorELNS0_4arch9wavefront6targetE1EEEvS12_, .Lfunc_end1058-_ZN7rocprim17ROCPRIM_400000_NS6detail17trampoline_kernelINS0_13select_configILj256ELj13ELNS0_17block_load_methodE3ELS4_3ELS4_3ELNS0_20block_scan_algorithmE0ELj4294967295EEENS1_25partition_config_selectorILNS1_17partition_subalgoE4EjNS0_10empty_typeEbEEZZNS1_14partition_implILS8_4ELb0ES6_15HIP_vector_typeIjLj2EENS0_17counting_iteratorIjlEEPS9_SG_NS0_5tupleIJPjSI_NS0_16reverse_iteratorISI_EEEEENSH_IJSG_SG_SG_EEES9_SI_JZNS1_25segmented_radix_sort_implINS0_14default_configELb1EPKdPdPKlPlN2at6native12_GLOBAL__N_18offset_tEEE10hipError_tPvRmT1_PNSt15iterator_traitsIS12_E10value_typeET2_T3_PNS13_IS18_E10value_typeET4_jRbjT5_S1E_jjP12ihipStream_tbEUljE_ZNSN_ISO_Lb1ESQ_SR_ST_SU_SY_EESZ_S10_S11_S12_S16_S17_S18_S1B_S1C_jS1D_jS1E_S1E_jjS1G_bEUljE0_EEESZ_S10_S11_S18_S1C_S1E_T6_T7_T9_mT8_S1G_bDpT10_ENKUlT_T0_E_clISt17integral_constantIbLb0EES1U_EEDaS1P_S1Q_EUlS1P_E_NS1_11comp_targetILNS1_3genE9ELNS1_11target_archE1100ELNS1_3gpuE3ELNS1_3repE0EEENS1_30default_config_static_selectorELNS0_4arch9wavefront6targetE1EEEvS12_
                                        ; -- End function
	.section	.AMDGPU.csdata,"",@progbits
; Kernel info:
; codeLenInByte = 0
; NumSgprs: 4
; NumVgprs: 0
; NumAgprs: 0
; TotalNumVgprs: 0
; ScratchSize: 0
; MemoryBound: 0
; FloatMode: 240
; IeeeMode: 1
; LDSByteSize: 0 bytes/workgroup (compile time only)
; SGPRBlocks: 0
; VGPRBlocks: 0
; NumSGPRsForWavesPerEU: 4
; NumVGPRsForWavesPerEU: 1
; AccumOffset: 4
; Occupancy: 8
; WaveLimiterHint : 0
; COMPUTE_PGM_RSRC2:SCRATCH_EN: 0
; COMPUTE_PGM_RSRC2:USER_SGPR: 6
; COMPUTE_PGM_RSRC2:TRAP_HANDLER: 0
; COMPUTE_PGM_RSRC2:TGID_X_EN: 1
; COMPUTE_PGM_RSRC2:TGID_Y_EN: 0
; COMPUTE_PGM_RSRC2:TGID_Z_EN: 0
; COMPUTE_PGM_RSRC2:TIDIG_COMP_CNT: 0
; COMPUTE_PGM_RSRC3_GFX90A:ACCUM_OFFSET: 0
; COMPUTE_PGM_RSRC3_GFX90A:TG_SPLIT: 0
	.section	.text._ZN7rocprim17ROCPRIM_400000_NS6detail17trampoline_kernelINS0_13select_configILj256ELj13ELNS0_17block_load_methodE3ELS4_3ELS4_3ELNS0_20block_scan_algorithmE0ELj4294967295EEENS1_25partition_config_selectorILNS1_17partition_subalgoE4EjNS0_10empty_typeEbEEZZNS1_14partition_implILS8_4ELb0ES6_15HIP_vector_typeIjLj2EENS0_17counting_iteratorIjlEEPS9_SG_NS0_5tupleIJPjSI_NS0_16reverse_iteratorISI_EEEEENSH_IJSG_SG_SG_EEES9_SI_JZNS1_25segmented_radix_sort_implINS0_14default_configELb1EPKdPdPKlPlN2at6native12_GLOBAL__N_18offset_tEEE10hipError_tPvRmT1_PNSt15iterator_traitsIS12_E10value_typeET2_T3_PNS13_IS18_E10value_typeET4_jRbjT5_S1E_jjP12ihipStream_tbEUljE_ZNSN_ISO_Lb1ESQ_SR_ST_SU_SY_EESZ_S10_S11_S12_S16_S17_S18_S1B_S1C_jS1D_jS1E_S1E_jjS1G_bEUljE0_EEESZ_S10_S11_S18_S1C_S1E_T6_T7_T9_mT8_S1G_bDpT10_ENKUlT_T0_E_clISt17integral_constantIbLb0EES1U_EEDaS1P_S1Q_EUlS1P_E_NS1_11comp_targetILNS1_3genE8ELNS1_11target_archE1030ELNS1_3gpuE2ELNS1_3repE0EEENS1_30default_config_static_selectorELNS0_4arch9wavefront6targetE1EEEvS12_,"axG",@progbits,_ZN7rocprim17ROCPRIM_400000_NS6detail17trampoline_kernelINS0_13select_configILj256ELj13ELNS0_17block_load_methodE3ELS4_3ELS4_3ELNS0_20block_scan_algorithmE0ELj4294967295EEENS1_25partition_config_selectorILNS1_17partition_subalgoE4EjNS0_10empty_typeEbEEZZNS1_14partition_implILS8_4ELb0ES6_15HIP_vector_typeIjLj2EENS0_17counting_iteratorIjlEEPS9_SG_NS0_5tupleIJPjSI_NS0_16reverse_iteratorISI_EEEEENSH_IJSG_SG_SG_EEES9_SI_JZNS1_25segmented_radix_sort_implINS0_14default_configELb1EPKdPdPKlPlN2at6native12_GLOBAL__N_18offset_tEEE10hipError_tPvRmT1_PNSt15iterator_traitsIS12_E10value_typeET2_T3_PNS13_IS18_E10value_typeET4_jRbjT5_S1E_jjP12ihipStream_tbEUljE_ZNSN_ISO_Lb1ESQ_SR_ST_SU_SY_EESZ_S10_S11_S12_S16_S17_S18_S1B_S1C_jS1D_jS1E_S1E_jjS1G_bEUljE0_EEESZ_S10_S11_S18_S1C_S1E_T6_T7_T9_mT8_S1G_bDpT10_ENKUlT_T0_E_clISt17integral_constantIbLb0EES1U_EEDaS1P_S1Q_EUlS1P_E_NS1_11comp_targetILNS1_3genE8ELNS1_11target_archE1030ELNS1_3gpuE2ELNS1_3repE0EEENS1_30default_config_static_selectorELNS0_4arch9wavefront6targetE1EEEvS12_,comdat
	.globl	_ZN7rocprim17ROCPRIM_400000_NS6detail17trampoline_kernelINS0_13select_configILj256ELj13ELNS0_17block_load_methodE3ELS4_3ELS4_3ELNS0_20block_scan_algorithmE0ELj4294967295EEENS1_25partition_config_selectorILNS1_17partition_subalgoE4EjNS0_10empty_typeEbEEZZNS1_14partition_implILS8_4ELb0ES6_15HIP_vector_typeIjLj2EENS0_17counting_iteratorIjlEEPS9_SG_NS0_5tupleIJPjSI_NS0_16reverse_iteratorISI_EEEEENSH_IJSG_SG_SG_EEES9_SI_JZNS1_25segmented_radix_sort_implINS0_14default_configELb1EPKdPdPKlPlN2at6native12_GLOBAL__N_18offset_tEEE10hipError_tPvRmT1_PNSt15iterator_traitsIS12_E10value_typeET2_T3_PNS13_IS18_E10value_typeET4_jRbjT5_S1E_jjP12ihipStream_tbEUljE_ZNSN_ISO_Lb1ESQ_SR_ST_SU_SY_EESZ_S10_S11_S12_S16_S17_S18_S1B_S1C_jS1D_jS1E_S1E_jjS1G_bEUljE0_EEESZ_S10_S11_S18_S1C_S1E_T6_T7_T9_mT8_S1G_bDpT10_ENKUlT_T0_E_clISt17integral_constantIbLb0EES1U_EEDaS1P_S1Q_EUlS1P_E_NS1_11comp_targetILNS1_3genE8ELNS1_11target_archE1030ELNS1_3gpuE2ELNS1_3repE0EEENS1_30default_config_static_selectorELNS0_4arch9wavefront6targetE1EEEvS12_ ; -- Begin function _ZN7rocprim17ROCPRIM_400000_NS6detail17trampoline_kernelINS0_13select_configILj256ELj13ELNS0_17block_load_methodE3ELS4_3ELS4_3ELNS0_20block_scan_algorithmE0ELj4294967295EEENS1_25partition_config_selectorILNS1_17partition_subalgoE4EjNS0_10empty_typeEbEEZZNS1_14partition_implILS8_4ELb0ES6_15HIP_vector_typeIjLj2EENS0_17counting_iteratorIjlEEPS9_SG_NS0_5tupleIJPjSI_NS0_16reverse_iteratorISI_EEEEENSH_IJSG_SG_SG_EEES9_SI_JZNS1_25segmented_radix_sort_implINS0_14default_configELb1EPKdPdPKlPlN2at6native12_GLOBAL__N_18offset_tEEE10hipError_tPvRmT1_PNSt15iterator_traitsIS12_E10value_typeET2_T3_PNS13_IS18_E10value_typeET4_jRbjT5_S1E_jjP12ihipStream_tbEUljE_ZNSN_ISO_Lb1ESQ_SR_ST_SU_SY_EESZ_S10_S11_S12_S16_S17_S18_S1B_S1C_jS1D_jS1E_S1E_jjS1G_bEUljE0_EEESZ_S10_S11_S18_S1C_S1E_T6_T7_T9_mT8_S1G_bDpT10_ENKUlT_T0_E_clISt17integral_constantIbLb0EES1U_EEDaS1P_S1Q_EUlS1P_E_NS1_11comp_targetILNS1_3genE8ELNS1_11target_archE1030ELNS1_3gpuE2ELNS1_3repE0EEENS1_30default_config_static_selectorELNS0_4arch9wavefront6targetE1EEEvS12_
	.p2align	8
	.type	_ZN7rocprim17ROCPRIM_400000_NS6detail17trampoline_kernelINS0_13select_configILj256ELj13ELNS0_17block_load_methodE3ELS4_3ELS4_3ELNS0_20block_scan_algorithmE0ELj4294967295EEENS1_25partition_config_selectorILNS1_17partition_subalgoE4EjNS0_10empty_typeEbEEZZNS1_14partition_implILS8_4ELb0ES6_15HIP_vector_typeIjLj2EENS0_17counting_iteratorIjlEEPS9_SG_NS0_5tupleIJPjSI_NS0_16reverse_iteratorISI_EEEEENSH_IJSG_SG_SG_EEES9_SI_JZNS1_25segmented_radix_sort_implINS0_14default_configELb1EPKdPdPKlPlN2at6native12_GLOBAL__N_18offset_tEEE10hipError_tPvRmT1_PNSt15iterator_traitsIS12_E10value_typeET2_T3_PNS13_IS18_E10value_typeET4_jRbjT5_S1E_jjP12ihipStream_tbEUljE_ZNSN_ISO_Lb1ESQ_SR_ST_SU_SY_EESZ_S10_S11_S12_S16_S17_S18_S1B_S1C_jS1D_jS1E_S1E_jjS1G_bEUljE0_EEESZ_S10_S11_S18_S1C_S1E_T6_T7_T9_mT8_S1G_bDpT10_ENKUlT_T0_E_clISt17integral_constantIbLb0EES1U_EEDaS1P_S1Q_EUlS1P_E_NS1_11comp_targetILNS1_3genE8ELNS1_11target_archE1030ELNS1_3gpuE2ELNS1_3repE0EEENS1_30default_config_static_selectorELNS0_4arch9wavefront6targetE1EEEvS12_,@function
_ZN7rocprim17ROCPRIM_400000_NS6detail17trampoline_kernelINS0_13select_configILj256ELj13ELNS0_17block_load_methodE3ELS4_3ELS4_3ELNS0_20block_scan_algorithmE0ELj4294967295EEENS1_25partition_config_selectorILNS1_17partition_subalgoE4EjNS0_10empty_typeEbEEZZNS1_14partition_implILS8_4ELb0ES6_15HIP_vector_typeIjLj2EENS0_17counting_iteratorIjlEEPS9_SG_NS0_5tupleIJPjSI_NS0_16reverse_iteratorISI_EEEEENSH_IJSG_SG_SG_EEES9_SI_JZNS1_25segmented_radix_sort_implINS0_14default_configELb1EPKdPdPKlPlN2at6native12_GLOBAL__N_18offset_tEEE10hipError_tPvRmT1_PNSt15iterator_traitsIS12_E10value_typeET2_T3_PNS13_IS18_E10value_typeET4_jRbjT5_S1E_jjP12ihipStream_tbEUljE_ZNSN_ISO_Lb1ESQ_SR_ST_SU_SY_EESZ_S10_S11_S12_S16_S17_S18_S1B_S1C_jS1D_jS1E_S1E_jjS1G_bEUljE0_EEESZ_S10_S11_S18_S1C_S1E_T6_T7_T9_mT8_S1G_bDpT10_ENKUlT_T0_E_clISt17integral_constantIbLb0EES1U_EEDaS1P_S1Q_EUlS1P_E_NS1_11comp_targetILNS1_3genE8ELNS1_11target_archE1030ELNS1_3gpuE2ELNS1_3repE0EEENS1_30default_config_static_selectorELNS0_4arch9wavefront6targetE1EEEvS12_: ; @_ZN7rocprim17ROCPRIM_400000_NS6detail17trampoline_kernelINS0_13select_configILj256ELj13ELNS0_17block_load_methodE3ELS4_3ELS4_3ELNS0_20block_scan_algorithmE0ELj4294967295EEENS1_25partition_config_selectorILNS1_17partition_subalgoE4EjNS0_10empty_typeEbEEZZNS1_14partition_implILS8_4ELb0ES6_15HIP_vector_typeIjLj2EENS0_17counting_iteratorIjlEEPS9_SG_NS0_5tupleIJPjSI_NS0_16reverse_iteratorISI_EEEEENSH_IJSG_SG_SG_EEES9_SI_JZNS1_25segmented_radix_sort_implINS0_14default_configELb1EPKdPdPKlPlN2at6native12_GLOBAL__N_18offset_tEEE10hipError_tPvRmT1_PNSt15iterator_traitsIS12_E10value_typeET2_T3_PNS13_IS18_E10value_typeET4_jRbjT5_S1E_jjP12ihipStream_tbEUljE_ZNSN_ISO_Lb1ESQ_SR_ST_SU_SY_EESZ_S10_S11_S12_S16_S17_S18_S1B_S1C_jS1D_jS1E_S1E_jjS1G_bEUljE0_EEESZ_S10_S11_S18_S1C_S1E_T6_T7_T9_mT8_S1G_bDpT10_ENKUlT_T0_E_clISt17integral_constantIbLb0EES1U_EEDaS1P_S1Q_EUlS1P_E_NS1_11comp_targetILNS1_3genE8ELNS1_11target_archE1030ELNS1_3gpuE2ELNS1_3repE0EEENS1_30default_config_static_selectorELNS0_4arch9wavefront6targetE1EEEvS12_
; %bb.0:
	.section	.rodata,"a",@progbits
	.p2align	6, 0x0
	.amdhsa_kernel _ZN7rocprim17ROCPRIM_400000_NS6detail17trampoline_kernelINS0_13select_configILj256ELj13ELNS0_17block_load_methodE3ELS4_3ELS4_3ELNS0_20block_scan_algorithmE0ELj4294967295EEENS1_25partition_config_selectorILNS1_17partition_subalgoE4EjNS0_10empty_typeEbEEZZNS1_14partition_implILS8_4ELb0ES6_15HIP_vector_typeIjLj2EENS0_17counting_iteratorIjlEEPS9_SG_NS0_5tupleIJPjSI_NS0_16reverse_iteratorISI_EEEEENSH_IJSG_SG_SG_EEES9_SI_JZNS1_25segmented_radix_sort_implINS0_14default_configELb1EPKdPdPKlPlN2at6native12_GLOBAL__N_18offset_tEEE10hipError_tPvRmT1_PNSt15iterator_traitsIS12_E10value_typeET2_T3_PNS13_IS18_E10value_typeET4_jRbjT5_S1E_jjP12ihipStream_tbEUljE_ZNSN_ISO_Lb1ESQ_SR_ST_SU_SY_EESZ_S10_S11_S12_S16_S17_S18_S1B_S1C_jS1D_jS1E_S1E_jjS1G_bEUljE0_EEESZ_S10_S11_S18_S1C_S1E_T6_T7_T9_mT8_S1G_bDpT10_ENKUlT_T0_E_clISt17integral_constantIbLb0EES1U_EEDaS1P_S1Q_EUlS1P_E_NS1_11comp_targetILNS1_3genE8ELNS1_11target_archE1030ELNS1_3gpuE2ELNS1_3repE0EEENS1_30default_config_static_selectorELNS0_4arch9wavefront6targetE1EEEvS12_
		.amdhsa_group_segment_fixed_size 0
		.amdhsa_private_segment_fixed_size 0
		.amdhsa_kernarg_size 176
		.amdhsa_user_sgpr_count 6
		.amdhsa_user_sgpr_private_segment_buffer 1
		.amdhsa_user_sgpr_dispatch_ptr 0
		.amdhsa_user_sgpr_queue_ptr 0
		.amdhsa_user_sgpr_kernarg_segment_ptr 1
		.amdhsa_user_sgpr_dispatch_id 0
		.amdhsa_user_sgpr_flat_scratch_init 0
		.amdhsa_user_sgpr_kernarg_preload_length 0
		.amdhsa_user_sgpr_kernarg_preload_offset 0
		.amdhsa_user_sgpr_private_segment_size 0
		.amdhsa_uses_dynamic_stack 0
		.amdhsa_system_sgpr_private_segment_wavefront_offset 0
		.amdhsa_system_sgpr_workgroup_id_x 1
		.amdhsa_system_sgpr_workgroup_id_y 0
		.amdhsa_system_sgpr_workgroup_id_z 0
		.amdhsa_system_sgpr_workgroup_info 0
		.amdhsa_system_vgpr_workitem_id 0
		.amdhsa_next_free_vgpr 1
		.amdhsa_next_free_sgpr 0
		.amdhsa_accum_offset 4
		.amdhsa_reserve_vcc 0
		.amdhsa_reserve_flat_scratch 0
		.amdhsa_float_round_mode_32 0
		.amdhsa_float_round_mode_16_64 0
		.amdhsa_float_denorm_mode_32 3
		.amdhsa_float_denorm_mode_16_64 3
		.amdhsa_dx10_clamp 1
		.amdhsa_ieee_mode 1
		.amdhsa_fp16_overflow 0
		.amdhsa_tg_split 0
		.amdhsa_exception_fp_ieee_invalid_op 0
		.amdhsa_exception_fp_denorm_src 0
		.amdhsa_exception_fp_ieee_div_zero 0
		.amdhsa_exception_fp_ieee_overflow 0
		.amdhsa_exception_fp_ieee_underflow 0
		.amdhsa_exception_fp_ieee_inexact 0
		.amdhsa_exception_int_div_zero 0
	.end_amdhsa_kernel
	.section	.text._ZN7rocprim17ROCPRIM_400000_NS6detail17trampoline_kernelINS0_13select_configILj256ELj13ELNS0_17block_load_methodE3ELS4_3ELS4_3ELNS0_20block_scan_algorithmE0ELj4294967295EEENS1_25partition_config_selectorILNS1_17partition_subalgoE4EjNS0_10empty_typeEbEEZZNS1_14partition_implILS8_4ELb0ES6_15HIP_vector_typeIjLj2EENS0_17counting_iteratorIjlEEPS9_SG_NS0_5tupleIJPjSI_NS0_16reverse_iteratorISI_EEEEENSH_IJSG_SG_SG_EEES9_SI_JZNS1_25segmented_radix_sort_implINS0_14default_configELb1EPKdPdPKlPlN2at6native12_GLOBAL__N_18offset_tEEE10hipError_tPvRmT1_PNSt15iterator_traitsIS12_E10value_typeET2_T3_PNS13_IS18_E10value_typeET4_jRbjT5_S1E_jjP12ihipStream_tbEUljE_ZNSN_ISO_Lb1ESQ_SR_ST_SU_SY_EESZ_S10_S11_S12_S16_S17_S18_S1B_S1C_jS1D_jS1E_S1E_jjS1G_bEUljE0_EEESZ_S10_S11_S18_S1C_S1E_T6_T7_T9_mT8_S1G_bDpT10_ENKUlT_T0_E_clISt17integral_constantIbLb0EES1U_EEDaS1P_S1Q_EUlS1P_E_NS1_11comp_targetILNS1_3genE8ELNS1_11target_archE1030ELNS1_3gpuE2ELNS1_3repE0EEENS1_30default_config_static_selectorELNS0_4arch9wavefront6targetE1EEEvS12_,"axG",@progbits,_ZN7rocprim17ROCPRIM_400000_NS6detail17trampoline_kernelINS0_13select_configILj256ELj13ELNS0_17block_load_methodE3ELS4_3ELS4_3ELNS0_20block_scan_algorithmE0ELj4294967295EEENS1_25partition_config_selectorILNS1_17partition_subalgoE4EjNS0_10empty_typeEbEEZZNS1_14partition_implILS8_4ELb0ES6_15HIP_vector_typeIjLj2EENS0_17counting_iteratorIjlEEPS9_SG_NS0_5tupleIJPjSI_NS0_16reverse_iteratorISI_EEEEENSH_IJSG_SG_SG_EEES9_SI_JZNS1_25segmented_radix_sort_implINS0_14default_configELb1EPKdPdPKlPlN2at6native12_GLOBAL__N_18offset_tEEE10hipError_tPvRmT1_PNSt15iterator_traitsIS12_E10value_typeET2_T3_PNS13_IS18_E10value_typeET4_jRbjT5_S1E_jjP12ihipStream_tbEUljE_ZNSN_ISO_Lb1ESQ_SR_ST_SU_SY_EESZ_S10_S11_S12_S16_S17_S18_S1B_S1C_jS1D_jS1E_S1E_jjS1G_bEUljE0_EEESZ_S10_S11_S18_S1C_S1E_T6_T7_T9_mT8_S1G_bDpT10_ENKUlT_T0_E_clISt17integral_constantIbLb0EES1U_EEDaS1P_S1Q_EUlS1P_E_NS1_11comp_targetILNS1_3genE8ELNS1_11target_archE1030ELNS1_3gpuE2ELNS1_3repE0EEENS1_30default_config_static_selectorELNS0_4arch9wavefront6targetE1EEEvS12_,comdat
.Lfunc_end1059:
	.size	_ZN7rocprim17ROCPRIM_400000_NS6detail17trampoline_kernelINS0_13select_configILj256ELj13ELNS0_17block_load_methodE3ELS4_3ELS4_3ELNS0_20block_scan_algorithmE0ELj4294967295EEENS1_25partition_config_selectorILNS1_17partition_subalgoE4EjNS0_10empty_typeEbEEZZNS1_14partition_implILS8_4ELb0ES6_15HIP_vector_typeIjLj2EENS0_17counting_iteratorIjlEEPS9_SG_NS0_5tupleIJPjSI_NS0_16reverse_iteratorISI_EEEEENSH_IJSG_SG_SG_EEES9_SI_JZNS1_25segmented_radix_sort_implINS0_14default_configELb1EPKdPdPKlPlN2at6native12_GLOBAL__N_18offset_tEEE10hipError_tPvRmT1_PNSt15iterator_traitsIS12_E10value_typeET2_T3_PNS13_IS18_E10value_typeET4_jRbjT5_S1E_jjP12ihipStream_tbEUljE_ZNSN_ISO_Lb1ESQ_SR_ST_SU_SY_EESZ_S10_S11_S12_S16_S17_S18_S1B_S1C_jS1D_jS1E_S1E_jjS1G_bEUljE0_EEESZ_S10_S11_S18_S1C_S1E_T6_T7_T9_mT8_S1G_bDpT10_ENKUlT_T0_E_clISt17integral_constantIbLb0EES1U_EEDaS1P_S1Q_EUlS1P_E_NS1_11comp_targetILNS1_3genE8ELNS1_11target_archE1030ELNS1_3gpuE2ELNS1_3repE0EEENS1_30default_config_static_selectorELNS0_4arch9wavefront6targetE1EEEvS12_, .Lfunc_end1059-_ZN7rocprim17ROCPRIM_400000_NS6detail17trampoline_kernelINS0_13select_configILj256ELj13ELNS0_17block_load_methodE3ELS4_3ELS4_3ELNS0_20block_scan_algorithmE0ELj4294967295EEENS1_25partition_config_selectorILNS1_17partition_subalgoE4EjNS0_10empty_typeEbEEZZNS1_14partition_implILS8_4ELb0ES6_15HIP_vector_typeIjLj2EENS0_17counting_iteratorIjlEEPS9_SG_NS0_5tupleIJPjSI_NS0_16reverse_iteratorISI_EEEEENSH_IJSG_SG_SG_EEES9_SI_JZNS1_25segmented_radix_sort_implINS0_14default_configELb1EPKdPdPKlPlN2at6native12_GLOBAL__N_18offset_tEEE10hipError_tPvRmT1_PNSt15iterator_traitsIS12_E10value_typeET2_T3_PNS13_IS18_E10value_typeET4_jRbjT5_S1E_jjP12ihipStream_tbEUljE_ZNSN_ISO_Lb1ESQ_SR_ST_SU_SY_EESZ_S10_S11_S12_S16_S17_S18_S1B_S1C_jS1D_jS1E_S1E_jjS1G_bEUljE0_EEESZ_S10_S11_S18_S1C_S1E_T6_T7_T9_mT8_S1G_bDpT10_ENKUlT_T0_E_clISt17integral_constantIbLb0EES1U_EEDaS1P_S1Q_EUlS1P_E_NS1_11comp_targetILNS1_3genE8ELNS1_11target_archE1030ELNS1_3gpuE2ELNS1_3repE0EEENS1_30default_config_static_selectorELNS0_4arch9wavefront6targetE1EEEvS12_
                                        ; -- End function
	.section	.AMDGPU.csdata,"",@progbits
; Kernel info:
; codeLenInByte = 0
; NumSgprs: 4
; NumVgprs: 0
; NumAgprs: 0
; TotalNumVgprs: 0
; ScratchSize: 0
; MemoryBound: 0
; FloatMode: 240
; IeeeMode: 1
; LDSByteSize: 0 bytes/workgroup (compile time only)
; SGPRBlocks: 0
; VGPRBlocks: 0
; NumSGPRsForWavesPerEU: 4
; NumVGPRsForWavesPerEU: 1
; AccumOffset: 4
; Occupancy: 8
; WaveLimiterHint : 0
; COMPUTE_PGM_RSRC2:SCRATCH_EN: 0
; COMPUTE_PGM_RSRC2:USER_SGPR: 6
; COMPUTE_PGM_RSRC2:TRAP_HANDLER: 0
; COMPUTE_PGM_RSRC2:TGID_X_EN: 1
; COMPUTE_PGM_RSRC2:TGID_Y_EN: 0
; COMPUTE_PGM_RSRC2:TGID_Z_EN: 0
; COMPUTE_PGM_RSRC2:TIDIG_COMP_CNT: 0
; COMPUTE_PGM_RSRC3_GFX90A:ACCUM_OFFSET: 0
; COMPUTE_PGM_RSRC3_GFX90A:TG_SPLIT: 0
	.section	.text._ZN7rocprim17ROCPRIM_400000_NS6detail17trampoline_kernelINS0_13select_configILj256ELj13ELNS0_17block_load_methodE3ELS4_3ELS4_3ELNS0_20block_scan_algorithmE0ELj4294967295EEENS1_25partition_config_selectorILNS1_17partition_subalgoE4EjNS0_10empty_typeEbEEZZNS1_14partition_implILS8_4ELb0ES6_15HIP_vector_typeIjLj2EENS0_17counting_iteratorIjlEEPS9_SG_NS0_5tupleIJPjSI_NS0_16reverse_iteratorISI_EEEEENSH_IJSG_SG_SG_EEES9_SI_JZNS1_25segmented_radix_sort_implINS0_14default_configELb1EPKdPdPKlPlN2at6native12_GLOBAL__N_18offset_tEEE10hipError_tPvRmT1_PNSt15iterator_traitsIS12_E10value_typeET2_T3_PNS13_IS18_E10value_typeET4_jRbjT5_S1E_jjP12ihipStream_tbEUljE_ZNSN_ISO_Lb1ESQ_SR_ST_SU_SY_EESZ_S10_S11_S12_S16_S17_S18_S1B_S1C_jS1D_jS1E_S1E_jjS1G_bEUljE0_EEESZ_S10_S11_S18_S1C_S1E_T6_T7_T9_mT8_S1G_bDpT10_ENKUlT_T0_E_clISt17integral_constantIbLb1EES1U_EEDaS1P_S1Q_EUlS1P_E_NS1_11comp_targetILNS1_3genE0ELNS1_11target_archE4294967295ELNS1_3gpuE0ELNS1_3repE0EEENS1_30default_config_static_selectorELNS0_4arch9wavefront6targetE1EEEvS12_,"axG",@progbits,_ZN7rocprim17ROCPRIM_400000_NS6detail17trampoline_kernelINS0_13select_configILj256ELj13ELNS0_17block_load_methodE3ELS4_3ELS4_3ELNS0_20block_scan_algorithmE0ELj4294967295EEENS1_25partition_config_selectorILNS1_17partition_subalgoE4EjNS0_10empty_typeEbEEZZNS1_14partition_implILS8_4ELb0ES6_15HIP_vector_typeIjLj2EENS0_17counting_iteratorIjlEEPS9_SG_NS0_5tupleIJPjSI_NS0_16reverse_iteratorISI_EEEEENSH_IJSG_SG_SG_EEES9_SI_JZNS1_25segmented_radix_sort_implINS0_14default_configELb1EPKdPdPKlPlN2at6native12_GLOBAL__N_18offset_tEEE10hipError_tPvRmT1_PNSt15iterator_traitsIS12_E10value_typeET2_T3_PNS13_IS18_E10value_typeET4_jRbjT5_S1E_jjP12ihipStream_tbEUljE_ZNSN_ISO_Lb1ESQ_SR_ST_SU_SY_EESZ_S10_S11_S12_S16_S17_S18_S1B_S1C_jS1D_jS1E_S1E_jjS1G_bEUljE0_EEESZ_S10_S11_S18_S1C_S1E_T6_T7_T9_mT8_S1G_bDpT10_ENKUlT_T0_E_clISt17integral_constantIbLb1EES1U_EEDaS1P_S1Q_EUlS1P_E_NS1_11comp_targetILNS1_3genE0ELNS1_11target_archE4294967295ELNS1_3gpuE0ELNS1_3repE0EEENS1_30default_config_static_selectorELNS0_4arch9wavefront6targetE1EEEvS12_,comdat
	.globl	_ZN7rocprim17ROCPRIM_400000_NS6detail17trampoline_kernelINS0_13select_configILj256ELj13ELNS0_17block_load_methodE3ELS4_3ELS4_3ELNS0_20block_scan_algorithmE0ELj4294967295EEENS1_25partition_config_selectorILNS1_17partition_subalgoE4EjNS0_10empty_typeEbEEZZNS1_14partition_implILS8_4ELb0ES6_15HIP_vector_typeIjLj2EENS0_17counting_iteratorIjlEEPS9_SG_NS0_5tupleIJPjSI_NS0_16reverse_iteratorISI_EEEEENSH_IJSG_SG_SG_EEES9_SI_JZNS1_25segmented_radix_sort_implINS0_14default_configELb1EPKdPdPKlPlN2at6native12_GLOBAL__N_18offset_tEEE10hipError_tPvRmT1_PNSt15iterator_traitsIS12_E10value_typeET2_T3_PNS13_IS18_E10value_typeET4_jRbjT5_S1E_jjP12ihipStream_tbEUljE_ZNSN_ISO_Lb1ESQ_SR_ST_SU_SY_EESZ_S10_S11_S12_S16_S17_S18_S1B_S1C_jS1D_jS1E_S1E_jjS1G_bEUljE0_EEESZ_S10_S11_S18_S1C_S1E_T6_T7_T9_mT8_S1G_bDpT10_ENKUlT_T0_E_clISt17integral_constantIbLb1EES1U_EEDaS1P_S1Q_EUlS1P_E_NS1_11comp_targetILNS1_3genE0ELNS1_11target_archE4294967295ELNS1_3gpuE0ELNS1_3repE0EEENS1_30default_config_static_selectorELNS0_4arch9wavefront6targetE1EEEvS12_ ; -- Begin function _ZN7rocprim17ROCPRIM_400000_NS6detail17trampoline_kernelINS0_13select_configILj256ELj13ELNS0_17block_load_methodE3ELS4_3ELS4_3ELNS0_20block_scan_algorithmE0ELj4294967295EEENS1_25partition_config_selectorILNS1_17partition_subalgoE4EjNS0_10empty_typeEbEEZZNS1_14partition_implILS8_4ELb0ES6_15HIP_vector_typeIjLj2EENS0_17counting_iteratorIjlEEPS9_SG_NS0_5tupleIJPjSI_NS0_16reverse_iteratorISI_EEEEENSH_IJSG_SG_SG_EEES9_SI_JZNS1_25segmented_radix_sort_implINS0_14default_configELb1EPKdPdPKlPlN2at6native12_GLOBAL__N_18offset_tEEE10hipError_tPvRmT1_PNSt15iterator_traitsIS12_E10value_typeET2_T3_PNS13_IS18_E10value_typeET4_jRbjT5_S1E_jjP12ihipStream_tbEUljE_ZNSN_ISO_Lb1ESQ_SR_ST_SU_SY_EESZ_S10_S11_S12_S16_S17_S18_S1B_S1C_jS1D_jS1E_S1E_jjS1G_bEUljE0_EEESZ_S10_S11_S18_S1C_S1E_T6_T7_T9_mT8_S1G_bDpT10_ENKUlT_T0_E_clISt17integral_constantIbLb1EES1U_EEDaS1P_S1Q_EUlS1P_E_NS1_11comp_targetILNS1_3genE0ELNS1_11target_archE4294967295ELNS1_3gpuE0ELNS1_3repE0EEENS1_30default_config_static_selectorELNS0_4arch9wavefront6targetE1EEEvS12_
	.p2align	8
	.type	_ZN7rocprim17ROCPRIM_400000_NS6detail17trampoline_kernelINS0_13select_configILj256ELj13ELNS0_17block_load_methodE3ELS4_3ELS4_3ELNS0_20block_scan_algorithmE0ELj4294967295EEENS1_25partition_config_selectorILNS1_17partition_subalgoE4EjNS0_10empty_typeEbEEZZNS1_14partition_implILS8_4ELb0ES6_15HIP_vector_typeIjLj2EENS0_17counting_iteratorIjlEEPS9_SG_NS0_5tupleIJPjSI_NS0_16reverse_iteratorISI_EEEEENSH_IJSG_SG_SG_EEES9_SI_JZNS1_25segmented_radix_sort_implINS0_14default_configELb1EPKdPdPKlPlN2at6native12_GLOBAL__N_18offset_tEEE10hipError_tPvRmT1_PNSt15iterator_traitsIS12_E10value_typeET2_T3_PNS13_IS18_E10value_typeET4_jRbjT5_S1E_jjP12ihipStream_tbEUljE_ZNSN_ISO_Lb1ESQ_SR_ST_SU_SY_EESZ_S10_S11_S12_S16_S17_S18_S1B_S1C_jS1D_jS1E_S1E_jjS1G_bEUljE0_EEESZ_S10_S11_S18_S1C_S1E_T6_T7_T9_mT8_S1G_bDpT10_ENKUlT_T0_E_clISt17integral_constantIbLb1EES1U_EEDaS1P_S1Q_EUlS1P_E_NS1_11comp_targetILNS1_3genE0ELNS1_11target_archE4294967295ELNS1_3gpuE0ELNS1_3repE0EEENS1_30default_config_static_selectorELNS0_4arch9wavefront6targetE1EEEvS12_,@function
_ZN7rocprim17ROCPRIM_400000_NS6detail17trampoline_kernelINS0_13select_configILj256ELj13ELNS0_17block_load_methodE3ELS4_3ELS4_3ELNS0_20block_scan_algorithmE0ELj4294967295EEENS1_25partition_config_selectorILNS1_17partition_subalgoE4EjNS0_10empty_typeEbEEZZNS1_14partition_implILS8_4ELb0ES6_15HIP_vector_typeIjLj2EENS0_17counting_iteratorIjlEEPS9_SG_NS0_5tupleIJPjSI_NS0_16reverse_iteratorISI_EEEEENSH_IJSG_SG_SG_EEES9_SI_JZNS1_25segmented_radix_sort_implINS0_14default_configELb1EPKdPdPKlPlN2at6native12_GLOBAL__N_18offset_tEEE10hipError_tPvRmT1_PNSt15iterator_traitsIS12_E10value_typeET2_T3_PNS13_IS18_E10value_typeET4_jRbjT5_S1E_jjP12ihipStream_tbEUljE_ZNSN_ISO_Lb1ESQ_SR_ST_SU_SY_EESZ_S10_S11_S12_S16_S17_S18_S1B_S1C_jS1D_jS1E_S1E_jjS1G_bEUljE0_EEESZ_S10_S11_S18_S1C_S1E_T6_T7_T9_mT8_S1G_bDpT10_ENKUlT_T0_E_clISt17integral_constantIbLb1EES1U_EEDaS1P_S1Q_EUlS1P_E_NS1_11comp_targetILNS1_3genE0ELNS1_11target_archE4294967295ELNS1_3gpuE0ELNS1_3repE0EEENS1_30default_config_static_selectorELNS0_4arch9wavefront6targetE1EEEvS12_: ; @_ZN7rocprim17ROCPRIM_400000_NS6detail17trampoline_kernelINS0_13select_configILj256ELj13ELNS0_17block_load_methodE3ELS4_3ELS4_3ELNS0_20block_scan_algorithmE0ELj4294967295EEENS1_25partition_config_selectorILNS1_17partition_subalgoE4EjNS0_10empty_typeEbEEZZNS1_14partition_implILS8_4ELb0ES6_15HIP_vector_typeIjLj2EENS0_17counting_iteratorIjlEEPS9_SG_NS0_5tupleIJPjSI_NS0_16reverse_iteratorISI_EEEEENSH_IJSG_SG_SG_EEES9_SI_JZNS1_25segmented_radix_sort_implINS0_14default_configELb1EPKdPdPKlPlN2at6native12_GLOBAL__N_18offset_tEEE10hipError_tPvRmT1_PNSt15iterator_traitsIS12_E10value_typeET2_T3_PNS13_IS18_E10value_typeET4_jRbjT5_S1E_jjP12ihipStream_tbEUljE_ZNSN_ISO_Lb1ESQ_SR_ST_SU_SY_EESZ_S10_S11_S12_S16_S17_S18_S1B_S1C_jS1D_jS1E_S1E_jjS1G_bEUljE0_EEESZ_S10_S11_S18_S1C_S1E_T6_T7_T9_mT8_S1G_bDpT10_ENKUlT_T0_E_clISt17integral_constantIbLb1EES1U_EEDaS1P_S1Q_EUlS1P_E_NS1_11comp_targetILNS1_3genE0ELNS1_11target_archE4294967295ELNS1_3gpuE0ELNS1_3repE0EEENS1_30default_config_static_selectorELNS0_4arch9wavefront6targetE1EEEvS12_
; %bb.0:
	.section	.rodata,"a",@progbits
	.p2align	6, 0x0
	.amdhsa_kernel _ZN7rocprim17ROCPRIM_400000_NS6detail17trampoline_kernelINS0_13select_configILj256ELj13ELNS0_17block_load_methodE3ELS4_3ELS4_3ELNS0_20block_scan_algorithmE0ELj4294967295EEENS1_25partition_config_selectorILNS1_17partition_subalgoE4EjNS0_10empty_typeEbEEZZNS1_14partition_implILS8_4ELb0ES6_15HIP_vector_typeIjLj2EENS0_17counting_iteratorIjlEEPS9_SG_NS0_5tupleIJPjSI_NS0_16reverse_iteratorISI_EEEEENSH_IJSG_SG_SG_EEES9_SI_JZNS1_25segmented_radix_sort_implINS0_14default_configELb1EPKdPdPKlPlN2at6native12_GLOBAL__N_18offset_tEEE10hipError_tPvRmT1_PNSt15iterator_traitsIS12_E10value_typeET2_T3_PNS13_IS18_E10value_typeET4_jRbjT5_S1E_jjP12ihipStream_tbEUljE_ZNSN_ISO_Lb1ESQ_SR_ST_SU_SY_EESZ_S10_S11_S12_S16_S17_S18_S1B_S1C_jS1D_jS1E_S1E_jjS1G_bEUljE0_EEESZ_S10_S11_S18_S1C_S1E_T6_T7_T9_mT8_S1G_bDpT10_ENKUlT_T0_E_clISt17integral_constantIbLb1EES1U_EEDaS1P_S1Q_EUlS1P_E_NS1_11comp_targetILNS1_3genE0ELNS1_11target_archE4294967295ELNS1_3gpuE0ELNS1_3repE0EEENS1_30default_config_static_selectorELNS0_4arch9wavefront6targetE1EEEvS12_
		.amdhsa_group_segment_fixed_size 0
		.amdhsa_private_segment_fixed_size 0
		.amdhsa_kernarg_size 184
		.amdhsa_user_sgpr_count 6
		.amdhsa_user_sgpr_private_segment_buffer 1
		.amdhsa_user_sgpr_dispatch_ptr 0
		.amdhsa_user_sgpr_queue_ptr 0
		.amdhsa_user_sgpr_kernarg_segment_ptr 1
		.amdhsa_user_sgpr_dispatch_id 0
		.amdhsa_user_sgpr_flat_scratch_init 0
		.amdhsa_user_sgpr_kernarg_preload_length 0
		.amdhsa_user_sgpr_kernarg_preload_offset 0
		.amdhsa_user_sgpr_private_segment_size 0
		.amdhsa_uses_dynamic_stack 0
		.amdhsa_system_sgpr_private_segment_wavefront_offset 0
		.amdhsa_system_sgpr_workgroup_id_x 1
		.amdhsa_system_sgpr_workgroup_id_y 0
		.amdhsa_system_sgpr_workgroup_id_z 0
		.amdhsa_system_sgpr_workgroup_info 0
		.amdhsa_system_vgpr_workitem_id 0
		.amdhsa_next_free_vgpr 1
		.amdhsa_next_free_sgpr 0
		.amdhsa_accum_offset 4
		.amdhsa_reserve_vcc 0
		.amdhsa_reserve_flat_scratch 0
		.amdhsa_float_round_mode_32 0
		.amdhsa_float_round_mode_16_64 0
		.amdhsa_float_denorm_mode_32 3
		.amdhsa_float_denorm_mode_16_64 3
		.amdhsa_dx10_clamp 1
		.amdhsa_ieee_mode 1
		.amdhsa_fp16_overflow 0
		.amdhsa_tg_split 0
		.amdhsa_exception_fp_ieee_invalid_op 0
		.amdhsa_exception_fp_denorm_src 0
		.amdhsa_exception_fp_ieee_div_zero 0
		.amdhsa_exception_fp_ieee_overflow 0
		.amdhsa_exception_fp_ieee_underflow 0
		.amdhsa_exception_fp_ieee_inexact 0
		.amdhsa_exception_int_div_zero 0
	.end_amdhsa_kernel
	.section	.text._ZN7rocprim17ROCPRIM_400000_NS6detail17trampoline_kernelINS0_13select_configILj256ELj13ELNS0_17block_load_methodE3ELS4_3ELS4_3ELNS0_20block_scan_algorithmE0ELj4294967295EEENS1_25partition_config_selectorILNS1_17partition_subalgoE4EjNS0_10empty_typeEbEEZZNS1_14partition_implILS8_4ELb0ES6_15HIP_vector_typeIjLj2EENS0_17counting_iteratorIjlEEPS9_SG_NS0_5tupleIJPjSI_NS0_16reverse_iteratorISI_EEEEENSH_IJSG_SG_SG_EEES9_SI_JZNS1_25segmented_radix_sort_implINS0_14default_configELb1EPKdPdPKlPlN2at6native12_GLOBAL__N_18offset_tEEE10hipError_tPvRmT1_PNSt15iterator_traitsIS12_E10value_typeET2_T3_PNS13_IS18_E10value_typeET4_jRbjT5_S1E_jjP12ihipStream_tbEUljE_ZNSN_ISO_Lb1ESQ_SR_ST_SU_SY_EESZ_S10_S11_S12_S16_S17_S18_S1B_S1C_jS1D_jS1E_S1E_jjS1G_bEUljE0_EEESZ_S10_S11_S18_S1C_S1E_T6_T7_T9_mT8_S1G_bDpT10_ENKUlT_T0_E_clISt17integral_constantIbLb1EES1U_EEDaS1P_S1Q_EUlS1P_E_NS1_11comp_targetILNS1_3genE0ELNS1_11target_archE4294967295ELNS1_3gpuE0ELNS1_3repE0EEENS1_30default_config_static_selectorELNS0_4arch9wavefront6targetE1EEEvS12_,"axG",@progbits,_ZN7rocprim17ROCPRIM_400000_NS6detail17trampoline_kernelINS0_13select_configILj256ELj13ELNS0_17block_load_methodE3ELS4_3ELS4_3ELNS0_20block_scan_algorithmE0ELj4294967295EEENS1_25partition_config_selectorILNS1_17partition_subalgoE4EjNS0_10empty_typeEbEEZZNS1_14partition_implILS8_4ELb0ES6_15HIP_vector_typeIjLj2EENS0_17counting_iteratorIjlEEPS9_SG_NS0_5tupleIJPjSI_NS0_16reverse_iteratorISI_EEEEENSH_IJSG_SG_SG_EEES9_SI_JZNS1_25segmented_radix_sort_implINS0_14default_configELb1EPKdPdPKlPlN2at6native12_GLOBAL__N_18offset_tEEE10hipError_tPvRmT1_PNSt15iterator_traitsIS12_E10value_typeET2_T3_PNS13_IS18_E10value_typeET4_jRbjT5_S1E_jjP12ihipStream_tbEUljE_ZNSN_ISO_Lb1ESQ_SR_ST_SU_SY_EESZ_S10_S11_S12_S16_S17_S18_S1B_S1C_jS1D_jS1E_S1E_jjS1G_bEUljE0_EEESZ_S10_S11_S18_S1C_S1E_T6_T7_T9_mT8_S1G_bDpT10_ENKUlT_T0_E_clISt17integral_constantIbLb1EES1U_EEDaS1P_S1Q_EUlS1P_E_NS1_11comp_targetILNS1_3genE0ELNS1_11target_archE4294967295ELNS1_3gpuE0ELNS1_3repE0EEENS1_30default_config_static_selectorELNS0_4arch9wavefront6targetE1EEEvS12_,comdat
.Lfunc_end1060:
	.size	_ZN7rocprim17ROCPRIM_400000_NS6detail17trampoline_kernelINS0_13select_configILj256ELj13ELNS0_17block_load_methodE3ELS4_3ELS4_3ELNS0_20block_scan_algorithmE0ELj4294967295EEENS1_25partition_config_selectorILNS1_17partition_subalgoE4EjNS0_10empty_typeEbEEZZNS1_14partition_implILS8_4ELb0ES6_15HIP_vector_typeIjLj2EENS0_17counting_iteratorIjlEEPS9_SG_NS0_5tupleIJPjSI_NS0_16reverse_iteratorISI_EEEEENSH_IJSG_SG_SG_EEES9_SI_JZNS1_25segmented_radix_sort_implINS0_14default_configELb1EPKdPdPKlPlN2at6native12_GLOBAL__N_18offset_tEEE10hipError_tPvRmT1_PNSt15iterator_traitsIS12_E10value_typeET2_T3_PNS13_IS18_E10value_typeET4_jRbjT5_S1E_jjP12ihipStream_tbEUljE_ZNSN_ISO_Lb1ESQ_SR_ST_SU_SY_EESZ_S10_S11_S12_S16_S17_S18_S1B_S1C_jS1D_jS1E_S1E_jjS1G_bEUljE0_EEESZ_S10_S11_S18_S1C_S1E_T6_T7_T9_mT8_S1G_bDpT10_ENKUlT_T0_E_clISt17integral_constantIbLb1EES1U_EEDaS1P_S1Q_EUlS1P_E_NS1_11comp_targetILNS1_3genE0ELNS1_11target_archE4294967295ELNS1_3gpuE0ELNS1_3repE0EEENS1_30default_config_static_selectorELNS0_4arch9wavefront6targetE1EEEvS12_, .Lfunc_end1060-_ZN7rocprim17ROCPRIM_400000_NS6detail17trampoline_kernelINS0_13select_configILj256ELj13ELNS0_17block_load_methodE3ELS4_3ELS4_3ELNS0_20block_scan_algorithmE0ELj4294967295EEENS1_25partition_config_selectorILNS1_17partition_subalgoE4EjNS0_10empty_typeEbEEZZNS1_14partition_implILS8_4ELb0ES6_15HIP_vector_typeIjLj2EENS0_17counting_iteratorIjlEEPS9_SG_NS0_5tupleIJPjSI_NS0_16reverse_iteratorISI_EEEEENSH_IJSG_SG_SG_EEES9_SI_JZNS1_25segmented_radix_sort_implINS0_14default_configELb1EPKdPdPKlPlN2at6native12_GLOBAL__N_18offset_tEEE10hipError_tPvRmT1_PNSt15iterator_traitsIS12_E10value_typeET2_T3_PNS13_IS18_E10value_typeET4_jRbjT5_S1E_jjP12ihipStream_tbEUljE_ZNSN_ISO_Lb1ESQ_SR_ST_SU_SY_EESZ_S10_S11_S12_S16_S17_S18_S1B_S1C_jS1D_jS1E_S1E_jjS1G_bEUljE0_EEESZ_S10_S11_S18_S1C_S1E_T6_T7_T9_mT8_S1G_bDpT10_ENKUlT_T0_E_clISt17integral_constantIbLb1EES1U_EEDaS1P_S1Q_EUlS1P_E_NS1_11comp_targetILNS1_3genE0ELNS1_11target_archE4294967295ELNS1_3gpuE0ELNS1_3repE0EEENS1_30default_config_static_selectorELNS0_4arch9wavefront6targetE1EEEvS12_
                                        ; -- End function
	.section	.AMDGPU.csdata,"",@progbits
; Kernel info:
; codeLenInByte = 0
; NumSgprs: 4
; NumVgprs: 0
; NumAgprs: 0
; TotalNumVgprs: 0
; ScratchSize: 0
; MemoryBound: 0
; FloatMode: 240
; IeeeMode: 1
; LDSByteSize: 0 bytes/workgroup (compile time only)
; SGPRBlocks: 0
; VGPRBlocks: 0
; NumSGPRsForWavesPerEU: 4
; NumVGPRsForWavesPerEU: 1
; AccumOffset: 4
; Occupancy: 8
; WaveLimiterHint : 0
; COMPUTE_PGM_RSRC2:SCRATCH_EN: 0
; COMPUTE_PGM_RSRC2:USER_SGPR: 6
; COMPUTE_PGM_RSRC2:TRAP_HANDLER: 0
; COMPUTE_PGM_RSRC2:TGID_X_EN: 1
; COMPUTE_PGM_RSRC2:TGID_Y_EN: 0
; COMPUTE_PGM_RSRC2:TGID_Z_EN: 0
; COMPUTE_PGM_RSRC2:TIDIG_COMP_CNT: 0
; COMPUTE_PGM_RSRC3_GFX90A:ACCUM_OFFSET: 0
; COMPUTE_PGM_RSRC3_GFX90A:TG_SPLIT: 0
	.section	.text._ZN7rocprim17ROCPRIM_400000_NS6detail17trampoline_kernelINS0_13select_configILj256ELj13ELNS0_17block_load_methodE3ELS4_3ELS4_3ELNS0_20block_scan_algorithmE0ELj4294967295EEENS1_25partition_config_selectorILNS1_17partition_subalgoE4EjNS0_10empty_typeEbEEZZNS1_14partition_implILS8_4ELb0ES6_15HIP_vector_typeIjLj2EENS0_17counting_iteratorIjlEEPS9_SG_NS0_5tupleIJPjSI_NS0_16reverse_iteratorISI_EEEEENSH_IJSG_SG_SG_EEES9_SI_JZNS1_25segmented_radix_sort_implINS0_14default_configELb1EPKdPdPKlPlN2at6native12_GLOBAL__N_18offset_tEEE10hipError_tPvRmT1_PNSt15iterator_traitsIS12_E10value_typeET2_T3_PNS13_IS18_E10value_typeET4_jRbjT5_S1E_jjP12ihipStream_tbEUljE_ZNSN_ISO_Lb1ESQ_SR_ST_SU_SY_EESZ_S10_S11_S12_S16_S17_S18_S1B_S1C_jS1D_jS1E_S1E_jjS1G_bEUljE0_EEESZ_S10_S11_S18_S1C_S1E_T6_T7_T9_mT8_S1G_bDpT10_ENKUlT_T0_E_clISt17integral_constantIbLb1EES1U_EEDaS1P_S1Q_EUlS1P_E_NS1_11comp_targetILNS1_3genE5ELNS1_11target_archE942ELNS1_3gpuE9ELNS1_3repE0EEENS1_30default_config_static_selectorELNS0_4arch9wavefront6targetE1EEEvS12_,"axG",@progbits,_ZN7rocprim17ROCPRIM_400000_NS6detail17trampoline_kernelINS0_13select_configILj256ELj13ELNS0_17block_load_methodE3ELS4_3ELS4_3ELNS0_20block_scan_algorithmE0ELj4294967295EEENS1_25partition_config_selectorILNS1_17partition_subalgoE4EjNS0_10empty_typeEbEEZZNS1_14partition_implILS8_4ELb0ES6_15HIP_vector_typeIjLj2EENS0_17counting_iteratorIjlEEPS9_SG_NS0_5tupleIJPjSI_NS0_16reverse_iteratorISI_EEEEENSH_IJSG_SG_SG_EEES9_SI_JZNS1_25segmented_radix_sort_implINS0_14default_configELb1EPKdPdPKlPlN2at6native12_GLOBAL__N_18offset_tEEE10hipError_tPvRmT1_PNSt15iterator_traitsIS12_E10value_typeET2_T3_PNS13_IS18_E10value_typeET4_jRbjT5_S1E_jjP12ihipStream_tbEUljE_ZNSN_ISO_Lb1ESQ_SR_ST_SU_SY_EESZ_S10_S11_S12_S16_S17_S18_S1B_S1C_jS1D_jS1E_S1E_jjS1G_bEUljE0_EEESZ_S10_S11_S18_S1C_S1E_T6_T7_T9_mT8_S1G_bDpT10_ENKUlT_T0_E_clISt17integral_constantIbLb1EES1U_EEDaS1P_S1Q_EUlS1P_E_NS1_11comp_targetILNS1_3genE5ELNS1_11target_archE942ELNS1_3gpuE9ELNS1_3repE0EEENS1_30default_config_static_selectorELNS0_4arch9wavefront6targetE1EEEvS12_,comdat
	.globl	_ZN7rocprim17ROCPRIM_400000_NS6detail17trampoline_kernelINS0_13select_configILj256ELj13ELNS0_17block_load_methodE3ELS4_3ELS4_3ELNS0_20block_scan_algorithmE0ELj4294967295EEENS1_25partition_config_selectorILNS1_17partition_subalgoE4EjNS0_10empty_typeEbEEZZNS1_14partition_implILS8_4ELb0ES6_15HIP_vector_typeIjLj2EENS0_17counting_iteratorIjlEEPS9_SG_NS0_5tupleIJPjSI_NS0_16reverse_iteratorISI_EEEEENSH_IJSG_SG_SG_EEES9_SI_JZNS1_25segmented_radix_sort_implINS0_14default_configELb1EPKdPdPKlPlN2at6native12_GLOBAL__N_18offset_tEEE10hipError_tPvRmT1_PNSt15iterator_traitsIS12_E10value_typeET2_T3_PNS13_IS18_E10value_typeET4_jRbjT5_S1E_jjP12ihipStream_tbEUljE_ZNSN_ISO_Lb1ESQ_SR_ST_SU_SY_EESZ_S10_S11_S12_S16_S17_S18_S1B_S1C_jS1D_jS1E_S1E_jjS1G_bEUljE0_EEESZ_S10_S11_S18_S1C_S1E_T6_T7_T9_mT8_S1G_bDpT10_ENKUlT_T0_E_clISt17integral_constantIbLb1EES1U_EEDaS1P_S1Q_EUlS1P_E_NS1_11comp_targetILNS1_3genE5ELNS1_11target_archE942ELNS1_3gpuE9ELNS1_3repE0EEENS1_30default_config_static_selectorELNS0_4arch9wavefront6targetE1EEEvS12_ ; -- Begin function _ZN7rocprim17ROCPRIM_400000_NS6detail17trampoline_kernelINS0_13select_configILj256ELj13ELNS0_17block_load_methodE3ELS4_3ELS4_3ELNS0_20block_scan_algorithmE0ELj4294967295EEENS1_25partition_config_selectorILNS1_17partition_subalgoE4EjNS0_10empty_typeEbEEZZNS1_14partition_implILS8_4ELb0ES6_15HIP_vector_typeIjLj2EENS0_17counting_iteratorIjlEEPS9_SG_NS0_5tupleIJPjSI_NS0_16reverse_iteratorISI_EEEEENSH_IJSG_SG_SG_EEES9_SI_JZNS1_25segmented_radix_sort_implINS0_14default_configELb1EPKdPdPKlPlN2at6native12_GLOBAL__N_18offset_tEEE10hipError_tPvRmT1_PNSt15iterator_traitsIS12_E10value_typeET2_T3_PNS13_IS18_E10value_typeET4_jRbjT5_S1E_jjP12ihipStream_tbEUljE_ZNSN_ISO_Lb1ESQ_SR_ST_SU_SY_EESZ_S10_S11_S12_S16_S17_S18_S1B_S1C_jS1D_jS1E_S1E_jjS1G_bEUljE0_EEESZ_S10_S11_S18_S1C_S1E_T6_T7_T9_mT8_S1G_bDpT10_ENKUlT_T0_E_clISt17integral_constantIbLb1EES1U_EEDaS1P_S1Q_EUlS1P_E_NS1_11comp_targetILNS1_3genE5ELNS1_11target_archE942ELNS1_3gpuE9ELNS1_3repE0EEENS1_30default_config_static_selectorELNS0_4arch9wavefront6targetE1EEEvS12_
	.p2align	8
	.type	_ZN7rocprim17ROCPRIM_400000_NS6detail17trampoline_kernelINS0_13select_configILj256ELj13ELNS0_17block_load_methodE3ELS4_3ELS4_3ELNS0_20block_scan_algorithmE0ELj4294967295EEENS1_25partition_config_selectorILNS1_17partition_subalgoE4EjNS0_10empty_typeEbEEZZNS1_14partition_implILS8_4ELb0ES6_15HIP_vector_typeIjLj2EENS0_17counting_iteratorIjlEEPS9_SG_NS0_5tupleIJPjSI_NS0_16reverse_iteratorISI_EEEEENSH_IJSG_SG_SG_EEES9_SI_JZNS1_25segmented_radix_sort_implINS0_14default_configELb1EPKdPdPKlPlN2at6native12_GLOBAL__N_18offset_tEEE10hipError_tPvRmT1_PNSt15iterator_traitsIS12_E10value_typeET2_T3_PNS13_IS18_E10value_typeET4_jRbjT5_S1E_jjP12ihipStream_tbEUljE_ZNSN_ISO_Lb1ESQ_SR_ST_SU_SY_EESZ_S10_S11_S12_S16_S17_S18_S1B_S1C_jS1D_jS1E_S1E_jjS1G_bEUljE0_EEESZ_S10_S11_S18_S1C_S1E_T6_T7_T9_mT8_S1G_bDpT10_ENKUlT_T0_E_clISt17integral_constantIbLb1EES1U_EEDaS1P_S1Q_EUlS1P_E_NS1_11comp_targetILNS1_3genE5ELNS1_11target_archE942ELNS1_3gpuE9ELNS1_3repE0EEENS1_30default_config_static_selectorELNS0_4arch9wavefront6targetE1EEEvS12_,@function
_ZN7rocprim17ROCPRIM_400000_NS6detail17trampoline_kernelINS0_13select_configILj256ELj13ELNS0_17block_load_methodE3ELS4_3ELS4_3ELNS0_20block_scan_algorithmE0ELj4294967295EEENS1_25partition_config_selectorILNS1_17partition_subalgoE4EjNS0_10empty_typeEbEEZZNS1_14partition_implILS8_4ELb0ES6_15HIP_vector_typeIjLj2EENS0_17counting_iteratorIjlEEPS9_SG_NS0_5tupleIJPjSI_NS0_16reverse_iteratorISI_EEEEENSH_IJSG_SG_SG_EEES9_SI_JZNS1_25segmented_radix_sort_implINS0_14default_configELb1EPKdPdPKlPlN2at6native12_GLOBAL__N_18offset_tEEE10hipError_tPvRmT1_PNSt15iterator_traitsIS12_E10value_typeET2_T3_PNS13_IS18_E10value_typeET4_jRbjT5_S1E_jjP12ihipStream_tbEUljE_ZNSN_ISO_Lb1ESQ_SR_ST_SU_SY_EESZ_S10_S11_S12_S16_S17_S18_S1B_S1C_jS1D_jS1E_S1E_jjS1G_bEUljE0_EEESZ_S10_S11_S18_S1C_S1E_T6_T7_T9_mT8_S1G_bDpT10_ENKUlT_T0_E_clISt17integral_constantIbLb1EES1U_EEDaS1P_S1Q_EUlS1P_E_NS1_11comp_targetILNS1_3genE5ELNS1_11target_archE942ELNS1_3gpuE9ELNS1_3repE0EEENS1_30default_config_static_selectorELNS0_4arch9wavefront6targetE1EEEvS12_: ; @_ZN7rocprim17ROCPRIM_400000_NS6detail17trampoline_kernelINS0_13select_configILj256ELj13ELNS0_17block_load_methodE3ELS4_3ELS4_3ELNS0_20block_scan_algorithmE0ELj4294967295EEENS1_25partition_config_selectorILNS1_17partition_subalgoE4EjNS0_10empty_typeEbEEZZNS1_14partition_implILS8_4ELb0ES6_15HIP_vector_typeIjLj2EENS0_17counting_iteratorIjlEEPS9_SG_NS0_5tupleIJPjSI_NS0_16reverse_iteratorISI_EEEEENSH_IJSG_SG_SG_EEES9_SI_JZNS1_25segmented_radix_sort_implINS0_14default_configELb1EPKdPdPKlPlN2at6native12_GLOBAL__N_18offset_tEEE10hipError_tPvRmT1_PNSt15iterator_traitsIS12_E10value_typeET2_T3_PNS13_IS18_E10value_typeET4_jRbjT5_S1E_jjP12ihipStream_tbEUljE_ZNSN_ISO_Lb1ESQ_SR_ST_SU_SY_EESZ_S10_S11_S12_S16_S17_S18_S1B_S1C_jS1D_jS1E_S1E_jjS1G_bEUljE0_EEESZ_S10_S11_S18_S1C_S1E_T6_T7_T9_mT8_S1G_bDpT10_ENKUlT_T0_E_clISt17integral_constantIbLb1EES1U_EEDaS1P_S1Q_EUlS1P_E_NS1_11comp_targetILNS1_3genE5ELNS1_11target_archE942ELNS1_3gpuE9ELNS1_3repE0EEENS1_30default_config_static_selectorELNS0_4arch9wavefront6targetE1EEEvS12_
; %bb.0:
	.section	.rodata,"a",@progbits
	.p2align	6, 0x0
	.amdhsa_kernel _ZN7rocprim17ROCPRIM_400000_NS6detail17trampoline_kernelINS0_13select_configILj256ELj13ELNS0_17block_load_methodE3ELS4_3ELS4_3ELNS0_20block_scan_algorithmE0ELj4294967295EEENS1_25partition_config_selectorILNS1_17partition_subalgoE4EjNS0_10empty_typeEbEEZZNS1_14partition_implILS8_4ELb0ES6_15HIP_vector_typeIjLj2EENS0_17counting_iteratorIjlEEPS9_SG_NS0_5tupleIJPjSI_NS0_16reverse_iteratorISI_EEEEENSH_IJSG_SG_SG_EEES9_SI_JZNS1_25segmented_radix_sort_implINS0_14default_configELb1EPKdPdPKlPlN2at6native12_GLOBAL__N_18offset_tEEE10hipError_tPvRmT1_PNSt15iterator_traitsIS12_E10value_typeET2_T3_PNS13_IS18_E10value_typeET4_jRbjT5_S1E_jjP12ihipStream_tbEUljE_ZNSN_ISO_Lb1ESQ_SR_ST_SU_SY_EESZ_S10_S11_S12_S16_S17_S18_S1B_S1C_jS1D_jS1E_S1E_jjS1G_bEUljE0_EEESZ_S10_S11_S18_S1C_S1E_T6_T7_T9_mT8_S1G_bDpT10_ENKUlT_T0_E_clISt17integral_constantIbLb1EES1U_EEDaS1P_S1Q_EUlS1P_E_NS1_11comp_targetILNS1_3genE5ELNS1_11target_archE942ELNS1_3gpuE9ELNS1_3repE0EEENS1_30default_config_static_selectorELNS0_4arch9wavefront6targetE1EEEvS12_
		.amdhsa_group_segment_fixed_size 0
		.amdhsa_private_segment_fixed_size 0
		.amdhsa_kernarg_size 184
		.amdhsa_user_sgpr_count 6
		.amdhsa_user_sgpr_private_segment_buffer 1
		.amdhsa_user_sgpr_dispatch_ptr 0
		.amdhsa_user_sgpr_queue_ptr 0
		.amdhsa_user_sgpr_kernarg_segment_ptr 1
		.amdhsa_user_sgpr_dispatch_id 0
		.amdhsa_user_sgpr_flat_scratch_init 0
		.amdhsa_user_sgpr_kernarg_preload_length 0
		.amdhsa_user_sgpr_kernarg_preload_offset 0
		.amdhsa_user_sgpr_private_segment_size 0
		.amdhsa_uses_dynamic_stack 0
		.amdhsa_system_sgpr_private_segment_wavefront_offset 0
		.amdhsa_system_sgpr_workgroup_id_x 1
		.amdhsa_system_sgpr_workgroup_id_y 0
		.amdhsa_system_sgpr_workgroup_id_z 0
		.amdhsa_system_sgpr_workgroup_info 0
		.amdhsa_system_vgpr_workitem_id 0
		.amdhsa_next_free_vgpr 1
		.amdhsa_next_free_sgpr 0
		.amdhsa_accum_offset 4
		.amdhsa_reserve_vcc 0
		.amdhsa_reserve_flat_scratch 0
		.amdhsa_float_round_mode_32 0
		.amdhsa_float_round_mode_16_64 0
		.amdhsa_float_denorm_mode_32 3
		.amdhsa_float_denorm_mode_16_64 3
		.amdhsa_dx10_clamp 1
		.amdhsa_ieee_mode 1
		.amdhsa_fp16_overflow 0
		.amdhsa_tg_split 0
		.amdhsa_exception_fp_ieee_invalid_op 0
		.amdhsa_exception_fp_denorm_src 0
		.amdhsa_exception_fp_ieee_div_zero 0
		.amdhsa_exception_fp_ieee_overflow 0
		.amdhsa_exception_fp_ieee_underflow 0
		.amdhsa_exception_fp_ieee_inexact 0
		.amdhsa_exception_int_div_zero 0
	.end_amdhsa_kernel
	.section	.text._ZN7rocprim17ROCPRIM_400000_NS6detail17trampoline_kernelINS0_13select_configILj256ELj13ELNS0_17block_load_methodE3ELS4_3ELS4_3ELNS0_20block_scan_algorithmE0ELj4294967295EEENS1_25partition_config_selectorILNS1_17partition_subalgoE4EjNS0_10empty_typeEbEEZZNS1_14partition_implILS8_4ELb0ES6_15HIP_vector_typeIjLj2EENS0_17counting_iteratorIjlEEPS9_SG_NS0_5tupleIJPjSI_NS0_16reverse_iteratorISI_EEEEENSH_IJSG_SG_SG_EEES9_SI_JZNS1_25segmented_radix_sort_implINS0_14default_configELb1EPKdPdPKlPlN2at6native12_GLOBAL__N_18offset_tEEE10hipError_tPvRmT1_PNSt15iterator_traitsIS12_E10value_typeET2_T3_PNS13_IS18_E10value_typeET4_jRbjT5_S1E_jjP12ihipStream_tbEUljE_ZNSN_ISO_Lb1ESQ_SR_ST_SU_SY_EESZ_S10_S11_S12_S16_S17_S18_S1B_S1C_jS1D_jS1E_S1E_jjS1G_bEUljE0_EEESZ_S10_S11_S18_S1C_S1E_T6_T7_T9_mT8_S1G_bDpT10_ENKUlT_T0_E_clISt17integral_constantIbLb1EES1U_EEDaS1P_S1Q_EUlS1P_E_NS1_11comp_targetILNS1_3genE5ELNS1_11target_archE942ELNS1_3gpuE9ELNS1_3repE0EEENS1_30default_config_static_selectorELNS0_4arch9wavefront6targetE1EEEvS12_,"axG",@progbits,_ZN7rocprim17ROCPRIM_400000_NS6detail17trampoline_kernelINS0_13select_configILj256ELj13ELNS0_17block_load_methodE3ELS4_3ELS4_3ELNS0_20block_scan_algorithmE0ELj4294967295EEENS1_25partition_config_selectorILNS1_17partition_subalgoE4EjNS0_10empty_typeEbEEZZNS1_14partition_implILS8_4ELb0ES6_15HIP_vector_typeIjLj2EENS0_17counting_iteratorIjlEEPS9_SG_NS0_5tupleIJPjSI_NS0_16reverse_iteratorISI_EEEEENSH_IJSG_SG_SG_EEES9_SI_JZNS1_25segmented_radix_sort_implINS0_14default_configELb1EPKdPdPKlPlN2at6native12_GLOBAL__N_18offset_tEEE10hipError_tPvRmT1_PNSt15iterator_traitsIS12_E10value_typeET2_T3_PNS13_IS18_E10value_typeET4_jRbjT5_S1E_jjP12ihipStream_tbEUljE_ZNSN_ISO_Lb1ESQ_SR_ST_SU_SY_EESZ_S10_S11_S12_S16_S17_S18_S1B_S1C_jS1D_jS1E_S1E_jjS1G_bEUljE0_EEESZ_S10_S11_S18_S1C_S1E_T6_T7_T9_mT8_S1G_bDpT10_ENKUlT_T0_E_clISt17integral_constantIbLb1EES1U_EEDaS1P_S1Q_EUlS1P_E_NS1_11comp_targetILNS1_3genE5ELNS1_11target_archE942ELNS1_3gpuE9ELNS1_3repE0EEENS1_30default_config_static_selectorELNS0_4arch9wavefront6targetE1EEEvS12_,comdat
.Lfunc_end1061:
	.size	_ZN7rocprim17ROCPRIM_400000_NS6detail17trampoline_kernelINS0_13select_configILj256ELj13ELNS0_17block_load_methodE3ELS4_3ELS4_3ELNS0_20block_scan_algorithmE0ELj4294967295EEENS1_25partition_config_selectorILNS1_17partition_subalgoE4EjNS0_10empty_typeEbEEZZNS1_14partition_implILS8_4ELb0ES6_15HIP_vector_typeIjLj2EENS0_17counting_iteratorIjlEEPS9_SG_NS0_5tupleIJPjSI_NS0_16reverse_iteratorISI_EEEEENSH_IJSG_SG_SG_EEES9_SI_JZNS1_25segmented_radix_sort_implINS0_14default_configELb1EPKdPdPKlPlN2at6native12_GLOBAL__N_18offset_tEEE10hipError_tPvRmT1_PNSt15iterator_traitsIS12_E10value_typeET2_T3_PNS13_IS18_E10value_typeET4_jRbjT5_S1E_jjP12ihipStream_tbEUljE_ZNSN_ISO_Lb1ESQ_SR_ST_SU_SY_EESZ_S10_S11_S12_S16_S17_S18_S1B_S1C_jS1D_jS1E_S1E_jjS1G_bEUljE0_EEESZ_S10_S11_S18_S1C_S1E_T6_T7_T9_mT8_S1G_bDpT10_ENKUlT_T0_E_clISt17integral_constantIbLb1EES1U_EEDaS1P_S1Q_EUlS1P_E_NS1_11comp_targetILNS1_3genE5ELNS1_11target_archE942ELNS1_3gpuE9ELNS1_3repE0EEENS1_30default_config_static_selectorELNS0_4arch9wavefront6targetE1EEEvS12_, .Lfunc_end1061-_ZN7rocprim17ROCPRIM_400000_NS6detail17trampoline_kernelINS0_13select_configILj256ELj13ELNS0_17block_load_methodE3ELS4_3ELS4_3ELNS0_20block_scan_algorithmE0ELj4294967295EEENS1_25partition_config_selectorILNS1_17partition_subalgoE4EjNS0_10empty_typeEbEEZZNS1_14partition_implILS8_4ELb0ES6_15HIP_vector_typeIjLj2EENS0_17counting_iteratorIjlEEPS9_SG_NS0_5tupleIJPjSI_NS0_16reverse_iteratorISI_EEEEENSH_IJSG_SG_SG_EEES9_SI_JZNS1_25segmented_radix_sort_implINS0_14default_configELb1EPKdPdPKlPlN2at6native12_GLOBAL__N_18offset_tEEE10hipError_tPvRmT1_PNSt15iterator_traitsIS12_E10value_typeET2_T3_PNS13_IS18_E10value_typeET4_jRbjT5_S1E_jjP12ihipStream_tbEUljE_ZNSN_ISO_Lb1ESQ_SR_ST_SU_SY_EESZ_S10_S11_S12_S16_S17_S18_S1B_S1C_jS1D_jS1E_S1E_jjS1G_bEUljE0_EEESZ_S10_S11_S18_S1C_S1E_T6_T7_T9_mT8_S1G_bDpT10_ENKUlT_T0_E_clISt17integral_constantIbLb1EES1U_EEDaS1P_S1Q_EUlS1P_E_NS1_11comp_targetILNS1_3genE5ELNS1_11target_archE942ELNS1_3gpuE9ELNS1_3repE0EEENS1_30default_config_static_selectorELNS0_4arch9wavefront6targetE1EEEvS12_
                                        ; -- End function
	.section	.AMDGPU.csdata,"",@progbits
; Kernel info:
; codeLenInByte = 0
; NumSgprs: 4
; NumVgprs: 0
; NumAgprs: 0
; TotalNumVgprs: 0
; ScratchSize: 0
; MemoryBound: 0
; FloatMode: 240
; IeeeMode: 1
; LDSByteSize: 0 bytes/workgroup (compile time only)
; SGPRBlocks: 0
; VGPRBlocks: 0
; NumSGPRsForWavesPerEU: 4
; NumVGPRsForWavesPerEU: 1
; AccumOffset: 4
; Occupancy: 8
; WaveLimiterHint : 0
; COMPUTE_PGM_RSRC2:SCRATCH_EN: 0
; COMPUTE_PGM_RSRC2:USER_SGPR: 6
; COMPUTE_PGM_RSRC2:TRAP_HANDLER: 0
; COMPUTE_PGM_RSRC2:TGID_X_EN: 1
; COMPUTE_PGM_RSRC2:TGID_Y_EN: 0
; COMPUTE_PGM_RSRC2:TGID_Z_EN: 0
; COMPUTE_PGM_RSRC2:TIDIG_COMP_CNT: 0
; COMPUTE_PGM_RSRC3_GFX90A:ACCUM_OFFSET: 0
; COMPUTE_PGM_RSRC3_GFX90A:TG_SPLIT: 0
	.section	.text._ZN7rocprim17ROCPRIM_400000_NS6detail17trampoline_kernelINS0_13select_configILj256ELj13ELNS0_17block_load_methodE3ELS4_3ELS4_3ELNS0_20block_scan_algorithmE0ELj4294967295EEENS1_25partition_config_selectorILNS1_17partition_subalgoE4EjNS0_10empty_typeEbEEZZNS1_14partition_implILS8_4ELb0ES6_15HIP_vector_typeIjLj2EENS0_17counting_iteratorIjlEEPS9_SG_NS0_5tupleIJPjSI_NS0_16reverse_iteratorISI_EEEEENSH_IJSG_SG_SG_EEES9_SI_JZNS1_25segmented_radix_sort_implINS0_14default_configELb1EPKdPdPKlPlN2at6native12_GLOBAL__N_18offset_tEEE10hipError_tPvRmT1_PNSt15iterator_traitsIS12_E10value_typeET2_T3_PNS13_IS18_E10value_typeET4_jRbjT5_S1E_jjP12ihipStream_tbEUljE_ZNSN_ISO_Lb1ESQ_SR_ST_SU_SY_EESZ_S10_S11_S12_S16_S17_S18_S1B_S1C_jS1D_jS1E_S1E_jjS1G_bEUljE0_EEESZ_S10_S11_S18_S1C_S1E_T6_T7_T9_mT8_S1G_bDpT10_ENKUlT_T0_E_clISt17integral_constantIbLb1EES1U_EEDaS1P_S1Q_EUlS1P_E_NS1_11comp_targetILNS1_3genE4ELNS1_11target_archE910ELNS1_3gpuE8ELNS1_3repE0EEENS1_30default_config_static_selectorELNS0_4arch9wavefront6targetE1EEEvS12_,"axG",@progbits,_ZN7rocprim17ROCPRIM_400000_NS6detail17trampoline_kernelINS0_13select_configILj256ELj13ELNS0_17block_load_methodE3ELS4_3ELS4_3ELNS0_20block_scan_algorithmE0ELj4294967295EEENS1_25partition_config_selectorILNS1_17partition_subalgoE4EjNS0_10empty_typeEbEEZZNS1_14partition_implILS8_4ELb0ES6_15HIP_vector_typeIjLj2EENS0_17counting_iteratorIjlEEPS9_SG_NS0_5tupleIJPjSI_NS0_16reverse_iteratorISI_EEEEENSH_IJSG_SG_SG_EEES9_SI_JZNS1_25segmented_radix_sort_implINS0_14default_configELb1EPKdPdPKlPlN2at6native12_GLOBAL__N_18offset_tEEE10hipError_tPvRmT1_PNSt15iterator_traitsIS12_E10value_typeET2_T3_PNS13_IS18_E10value_typeET4_jRbjT5_S1E_jjP12ihipStream_tbEUljE_ZNSN_ISO_Lb1ESQ_SR_ST_SU_SY_EESZ_S10_S11_S12_S16_S17_S18_S1B_S1C_jS1D_jS1E_S1E_jjS1G_bEUljE0_EEESZ_S10_S11_S18_S1C_S1E_T6_T7_T9_mT8_S1G_bDpT10_ENKUlT_T0_E_clISt17integral_constantIbLb1EES1U_EEDaS1P_S1Q_EUlS1P_E_NS1_11comp_targetILNS1_3genE4ELNS1_11target_archE910ELNS1_3gpuE8ELNS1_3repE0EEENS1_30default_config_static_selectorELNS0_4arch9wavefront6targetE1EEEvS12_,comdat
	.globl	_ZN7rocprim17ROCPRIM_400000_NS6detail17trampoline_kernelINS0_13select_configILj256ELj13ELNS0_17block_load_methodE3ELS4_3ELS4_3ELNS0_20block_scan_algorithmE0ELj4294967295EEENS1_25partition_config_selectorILNS1_17partition_subalgoE4EjNS0_10empty_typeEbEEZZNS1_14partition_implILS8_4ELb0ES6_15HIP_vector_typeIjLj2EENS0_17counting_iteratorIjlEEPS9_SG_NS0_5tupleIJPjSI_NS0_16reverse_iteratorISI_EEEEENSH_IJSG_SG_SG_EEES9_SI_JZNS1_25segmented_radix_sort_implINS0_14default_configELb1EPKdPdPKlPlN2at6native12_GLOBAL__N_18offset_tEEE10hipError_tPvRmT1_PNSt15iterator_traitsIS12_E10value_typeET2_T3_PNS13_IS18_E10value_typeET4_jRbjT5_S1E_jjP12ihipStream_tbEUljE_ZNSN_ISO_Lb1ESQ_SR_ST_SU_SY_EESZ_S10_S11_S12_S16_S17_S18_S1B_S1C_jS1D_jS1E_S1E_jjS1G_bEUljE0_EEESZ_S10_S11_S18_S1C_S1E_T6_T7_T9_mT8_S1G_bDpT10_ENKUlT_T0_E_clISt17integral_constantIbLb1EES1U_EEDaS1P_S1Q_EUlS1P_E_NS1_11comp_targetILNS1_3genE4ELNS1_11target_archE910ELNS1_3gpuE8ELNS1_3repE0EEENS1_30default_config_static_selectorELNS0_4arch9wavefront6targetE1EEEvS12_ ; -- Begin function _ZN7rocprim17ROCPRIM_400000_NS6detail17trampoline_kernelINS0_13select_configILj256ELj13ELNS0_17block_load_methodE3ELS4_3ELS4_3ELNS0_20block_scan_algorithmE0ELj4294967295EEENS1_25partition_config_selectorILNS1_17partition_subalgoE4EjNS0_10empty_typeEbEEZZNS1_14partition_implILS8_4ELb0ES6_15HIP_vector_typeIjLj2EENS0_17counting_iteratorIjlEEPS9_SG_NS0_5tupleIJPjSI_NS0_16reverse_iteratorISI_EEEEENSH_IJSG_SG_SG_EEES9_SI_JZNS1_25segmented_radix_sort_implINS0_14default_configELb1EPKdPdPKlPlN2at6native12_GLOBAL__N_18offset_tEEE10hipError_tPvRmT1_PNSt15iterator_traitsIS12_E10value_typeET2_T3_PNS13_IS18_E10value_typeET4_jRbjT5_S1E_jjP12ihipStream_tbEUljE_ZNSN_ISO_Lb1ESQ_SR_ST_SU_SY_EESZ_S10_S11_S12_S16_S17_S18_S1B_S1C_jS1D_jS1E_S1E_jjS1G_bEUljE0_EEESZ_S10_S11_S18_S1C_S1E_T6_T7_T9_mT8_S1G_bDpT10_ENKUlT_T0_E_clISt17integral_constantIbLb1EES1U_EEDaS1P_S1Q_EUlS1P_E_NS1_11comp_targetILNS1_3genE4ELNS1_11target_archE910ELNS1_3gpuE8ELNS1_3repE0EEENS1_30default_config_static_selectorELNS0_4arch9wavefront6targetE1EEEvS12_
	.p2align	8
	.type	_ZN7rocprim17ROCPRIM_400000_NS6detail17trampoline_kernelINS0_13select_configILj256ELj13ELNS0_17block_load_methodE3ELS4_3ELS4_3ELNS0_20block_scan_algorithmE0ELj4294967295EEENS1_25partition_config_selectorILNS1_17partition_subalgoE4EjNS0_10empty_typeEbEEZZNS1_14partition_implILS8_4ELb0ES6_15HIP_vector_typeIjLj2EENS0_17counting_iteratorIjlEEPS9_SG_NS0_5tupleIJPjSI_NS0_16reverse_iteratorISI_EEEEENSH_IJSG_SG_SG_EEES9_SI_JZNS1_25segmented_radix_sort_implINS0_14default_configELb1EPKdPdPKlPlN2at6native12_GLOBAL__N_18offset_tEEE10hipError_tPvRmT1_PNSt15iterator_traitsIS12_E10value_typeET2_T3_PNS13_IS18_E10value_typeET4_jRbjT5_S1E_jjP12ihipStream_tbEUljE_ZNSN_ISO_Lb1ESQ_SR_ST_SU_SY_EESZ_S10_S11_S12_S16_S17_S18_S1B_S1C_jS1D_jS1E_S1E_jjS1G_bEUljE0_EEESZ_S10_S11_S18_S1C_S1E_T6_T7_T9_mT8_S1G_bDpT10_ENKUlT_T0_E_clISt17integral_constantIbLb1EES1U_EEDaS1P_S1Q_EUlS1P_E_NS1_11comp_targetILNS1_3genE4ELNS1_11target_archE910ELNS1_3gpuE8ELNS1_3repE0EEENS1_30default_config_static_selectorELNS0_4arch9wavefront6targetE1EEEvS12_,@function
_ZN7rocprim17ROCPRIM_400000_NS6detail17trampoline_kernelINS0_13select_configILj256ELj13ELNS0_17block_load_methodE3ELS4_3ELS4_3ELNS0_20block_scan_algorithmE0ELj4294967295EEENS1_25partition_config_selectorILNS1_17partition_subalgoE4EjNS0_10empty_typeEbEEZZNS1_14partition_implILS8_4ELb0ES6_15HIP_vector_typeIjLj2EENS0_17counting_iteratorIjlEEPS9_SG_NS0_5tupleIJPjSI_NS0_16reverse_iteratorISI_EEEEENSH_IJSG_SG_SG_EEES9_SI_JZNS1_25segmented_radix_sort_implINS0_14default_configELb1EPKdPdPKlPlN2at6native12_GLOBAL__N_18offset_tEEE10hipError_tPvRmT1_PNSt15iterator_traitsIS12_E10value_typeET2_T3_PNS13_IS18_E10value_typeET4_jRbjT5_S1E_jjP12ihipStream_tbEUljE_ZNSN_ISO_Lb1ESQ_SR_ST_SU_SY_EESZ_S10_S11_S12_S16_S17_S18_S1B_S1C_jS1D_jS1E_S1E_jjS1G_bEUljE0_EEESZ_S10_S11_S18_S1C_S1E_T6_T7_T9_mT8_S1G_bDpT10_ENKUlT_T0_E_clISt17integral_constantIbLb1EES1U_EEDaS1P_S1Q_EUlS1P_E_NS1_11comp_targetILNS1_3genE4ELNS1_11target_archE910ELNS1_3gpuE8ELNS1_3repE0EEENS1_30default_config_static_selectorELNS0_4arch9wavefront6targetE1EEEvS12_: ; @_ZN7rocprim17ROCPRIM_400000_NS6detail17trampoline_kernelINS0_13select_configILj256ELj13ELNS0_17block_load_methodE3ELS4_3ELS4_3ELNS0_20block_scan_algorithmE0ELj4294967295EEENS1_25partition_config_selectorILNS1_17partition_subalgoE4EjNS0_10empty_typeEbEEZZNS1_14partition_implILS8_4ELb0ES6_15HIP_vector_typeIjLj2EENS0_17counting_iteratorIjlEEPS9_SG_NS0_5tupleIJPjSI_NS0_16reverse_iteratorISI_EEEEENSH_IJSG_SG_SG_EEES9_SI_JZNS1_25segmented_radix_sort_implINS0_14default_configELb1EPKdPdPKlPlN2at6native12_GLOBAL__N_18offset_tEEE10hipError_tPvRmT1_PNSt15iterator_traitsIS12_E10value_typeET2_T3_PNS13_IS18_E10value_typeET4_jRbjT5_S1E_jjP12ihipStream_tbEUljE_ZNSN_ISO_Lb1ESQ_SR_ST_SU_SY_EESZ_S10_S11_S12_S16_S17_S18_S1B_S1C_jS1D_jS1E_S1E_jjS1G_bEUljE0_EEESZ_S10_S11_S18_S1C_S1E_T6_T7_T9_mT8_S1G_bDpT10_ENKUlT_T0_E_clISt17integral_constantIbLb1EES1U_EEDaS1P_S1Q_EUlS1P_E_NS1_11comp_targetILNS1_3genE4ELNS1_11target_archE910ELNS1_3gpuE8ELNS1_3repE0EEENS1_30default_config_static_selectorELNS0_4arch9wavefront6targetE1EEEvS12_
; %bb.0:
	s_load_dwordx2 s[48:49], s[4:5], 0x10
	s_load_dwordx4 s[44:47], s[4:5], 0x28
	s_load_dwordx2 s[34:35], s[4:5], 0x38
	s_load_dwordx4 s[28:31], s[4:5], 0x58
	s_load_dwordx2 s[2:3], s[4:5], 0x68
	s_load_dwordx2 s[50:51], s[4:5], 0x78
	;; [unrolled: 1-line block ×3, first 2 shown]
	s_load_dwordx8 s[36:43], s[4:5], 0x90
	v_cmp_eq_u32_e64 s[0:1], 0, v0
	s_and_saveexec_b64 s[6:7], s[0:1]
	s_cbranch_execz .LBB1062_4
; %bb.1:
	s_mov_b64 s[10:11], exec
	v_mbcnt_lo_u32_b32 v1, s10, 0
	v_mbcnt_hi_u32_b32 v1, s11, v1
	v_cmp_eq_u32_e32 vcc, 0, v1
                                        ; implicit-def: $vgpr2
	s_and_saveexec_b64 s[8:9], vcc
	s_cbranch_execz .LBB1062_3
; %bb.2:
	s_load_dwordx2 s[12:13], s[4:5], 0x88
	s_bcnt1_i32_b64 s10, s[10:11]
	v_mov_b32_e32 v2, 0
	v_mov_b32_e32 v3, s10
	s_waitcnt lgkmcnt(0)
	global_atomic_add v2, v2, v3, s[12:13] glc
.LBB1062_3:
	s_or_b64 exec, exec, s[8:9]
	s_waitcnt vmcnt(0)
	v_readfirstlane_b32 s8, v2
	v_add_u32_e32 v1, s8, v1
	v_mov_b32_e32 v2, 0
	ds_write_b32 v2, v1
.LBB1062_4:
	s_or_b64 exec, exec, s[6:7]
	v_mov_b32_e32 v1, 0
	s_load_dword s7, s[4:5], 0x8
	s_load_dword s6, s[4:5], 0x80
	s_waitcnt lgkmcnt(0)
	s_barrier
	ds_read_b32 v8, v1
	s_waitcnt lgkmcnt(0)
	s_barrier
	global_load_dwordx4 v[2:5], v1, s[30:31]
	v_mov_b32_e32 v7, s3
	s_movk_i32 s3, 0xd00
	s_add_i32 s8, s7, s48
	v_mul_lo_u32 v34, v8, s3
	s_add_i32 s7, s6, -1
	s_mul_i32 s3, s6, 0xd00
	s_add_u32 s4, s48, s3
	v_readfirstlane_b32 s33, v8
	s_addc_u32 s5, s49, 0
	s_cmp_eq_u32 s33, s7
	v_mov_b32_e32 v6, s2
	s_cselect_b64 s[30:31], -1, 0
	s_cmp_lg_u32 s33, s7
	v_cmp_lt_u64_e32 vcc, s[4:5], v[6:7]
	s_cselect_b64 s[4:5], -1, 0
	s_or_b64 s[4:5], vcc, s[4:5]
	v_add_u32_e32 v1, s8, v34
	s_mov_b64 s[6:7], -1
	s_and_b64 vcc, exec, s[4:5]
	v_add_u32_e32 v1, v1, v0
	s_cbranch_vccz .LBB1062_6
; %bb.5:
	v_add_u32_e32 v6, 0x100, v1
	v_lshlrev_b32_e32 v18, 2, v0
	v_add_u32_e32 v7, 0x200, v1
	v_add_u32_e32 v8, 0x300, v1
	v_add_u32_e32 v9, 0x400, v1
	v_add_u32_e32 v10, 0x500, v1
	v_add_u32_e32 v11, 0x600, v1
	v_add_u32_e32 v12, 0x700, v1
	v_add_u32_e32 v13, 0x800, v1
	v_add_u32_e32 v14, 0x900, v1
	v_add_u32_e32 v15, 0xa00, v1
	v_add_u32_e32 v16, 0xb00, v1
	v_add_u32_e32 v17, 0xc00, v1
	ds_write2st64_b32 v18, v1, v6 offset1:4
	ds_write2st64_b32 v18, v7, v8 offset0:8 offset1:12
	ds_write2st64_b32 v18, v9, v10 offset0:16 offset1:20
	;; [unrolled: 1-line block ×5, first 2 shown]
	ds_write_b32 v18, v17 offset:12288
	s_waitcnt lgkmcnt(0)
	s_barrier
	s_mov_b64 s[6:7], 0
.LBB1062_6:
	s_andn2_b64 vcc, exec, s[6:7]
	s_add_i32 s3, s3, s48
	s_cbranch_vccnz .LBB1062_8
; %bb.7:
	v_add_u32_e32 v6, 0x100, v1
	v_lshlrev_b32_e32 v18, 2, v0
	v_add_u32_e32 v7, 0x200, v1
	v_add_u32_e32 v8, 0x300, v1
	;; [unrolled: 1-line block ×11, first 2 shown]
	ds_write2st64_b32 v18, v1, v6 offset1:4
	ds_write2st64_b32 v18, v7, v8 offset0:8 offset1:12
	ds_write2st64_b32 v18, v9, v10 offset0:16 offset1:20
	;; [unrolled: 1-line block ×5, first 2 shown]
	ds_write_b32 v18, v17 offset:12288
	s_waitcnt lgkmcnt(0)
	s_barrier
.LBB1062_8:
	v_mul_u32_u24_e32 v36, 13, v0
	v_lshlrev_b32_e32 v1, 2, v36
	ds_read2_b32 v[22:23], v1 offset1:1
	ds_read2_b32 v[20:21], v1 offset0:2 offset1:3
	ds_read2_b32 v[18:19], v1 offset0:4 offset1:5
	;; [unrolled: 1-line block ×5, first 2 shown]
	ds_read_b32 v35, v1 offset:48
	v_cndmask_b32_e64 v1, 0, 1, s[4:5]
	s_sub_i32 s86, s2, s3
	v_cmp_ne_u32_e64 s[2:3], 1, v1
	s_andn2_b64 vcc, exec, s[4:5]
	s_waitcnt lgkmcnt(0)
	s_barrier
	s_cbranch_vccnz .LBB1062_36
; %bb.9:
	v_add_u32_e32 v1, s37, v22
	v_add_u32_e32 v6, s39, v22
	v_mul_lo_u32 v1, v1, s36
	v_mul_lo_u32 v6, v6, s38
	v_sub_u32_e32 v1, v1, v6
	v_cmp_lt_u32_e32 vcc, s40, v1
	v_cmp_ge_u32_e64 s[4:5], s40, v1
	s_mov_b64 s[60:61], 0
	s_mov_b64 s[58:59], 0
	s_and_saveexec_b64 s[6:7], s[4:5]
; %bb.10:
	v_add_u32_e32 v1, s42, v22
	v_add_u32_e32 v6, s56, v22
	v_mul_lo_u32 v1, v1, s41
	v_mul_lo_u32 v6, v6, s43
	v_sub_u32_e32 v1, v1, v6
	v_cmp_lt_u32_e64 s[4:5], s57, v1
	s_and_b64 s[58:59], s[4:5], exec
; %bb.11:
	s_or_b64 exec, exec, s[6:7]
	v_add_u32_e32 v1, s37, v23
	v_add_u32_e32 v6, s39, v23
	v_mul_lo_u32 v1, v1, s36
	v_mul_lo_u32 v6, v6, s38
	v_sub_u32_e32 v1, v1, v6
	v_cmp_lt_u32_e64 s[4:5], s40, v1
	v_cmp_ge_u32_e64 s[6:7], s40, v1
	s_and_saveexec_b64 s[8:9], s[6:7]
; %bb.12:
	v_add_u32_e32 v1, s42, v23
	v_add_u32_e32 v6, s56, v23
	v_mul_lo_u32 v1, v1, s41
	v_mul_lo_u32 v6, v6, s43
	v_sub_u32_e32 v1, v1, v6
	v_cmp_lt_u32_e64 s[6:7], s57, v1
	s_and_b64 s[60:61], s[6:7], exec
; %bb.13:
	s_or_b64 exec, exec, s[8:9]
	v_add_u32_e32 v1, s37, v20
	v_add_u32_e32 v6, s39, v20
	v_mul_lo_u32 v1, v1, s36
	v_mul_lo_u32 v6, v6, s38
	v_sub_u32_e32 v1, v1, v6
	v_cmp_lt_u32_e64 s[6:7], s40, v1
	v_cmp_ge_u32_e64 s[8:9], s40, v1
	s_mov_b64 s[64:65], 0
	s_mov_b64 s[62:63], 0
	s_and_saveexec_b64 s[10:11], s[8:9]
; %bb.14:
	v_add_u32_e32 v1, s42, v20
	v_add_u32_e32 v6, s56, v20
	v_mul_lo_u32 v1, v1, s41
	v_mul_lo_u32 v6, v6, s43
	v_sub_u32_e32 v1, v1, v6
	v_cmp_lt_u32_e64 s[8:9], s57, v1
	s_and_b64 s[62:63], s[8:9], exec
; %bb.15:
	s_or_b64 exec, exec, s[10:11]
	v_add_u32_e32 v1, s37, v21
	v_add_u32_e32 v6, s39, v21
	v_mul_lo_u32 v1, v1, s36
	v_mul_lo_u32 v6, v6, s38
	v_sub_u32_e32 v1, v1, v6
	v_cmp_lt_u32_e64 s[8:9], s40, v1
	v_cmp_ge_u32_e64 s[10:11], s40, v1
	s_and_saveexec_b64 s[12:13], s[10:11]
; %bb.16:
	v_add_u32_e32 v1, s42, v21
	v_add_u32_e32 v6, s56, v21
	v_mul_lo_u32 v1, v1, s41
	v_mul_lo_u32 v6, v6, s43
	v_sub_u32_e32 v1, v1, v6
	v_cmp_lt_u32_e64 s[10:11], s57, v1
	s_and_b64 s[64:65], s[10:11], exec
; %bb.17:
	s_or_b64 exec, exec, s[12:13]
	v_add_u32_e32 v1, s37, v18
	v_add_u32_e32 v6, s39, v18
	v_mul_lo_u32 v1, v1, s36
	v_mul_lo_u32 v6, v6, s38
	v_sub_u32_e32 v1, v1, v6
	v_cmp_lt_u32_e64 s[10:11], s40, v1
	;; [unrolled: 38-line block ×5, first 2 shown]
	v_cmp_ge_u32_e64 s[24:25], s40, v1
	s_mov_b64 s[80:81], 0
	s_mov_b64 s[82:83], 0
	s_and_saveexec_b64 s[26:27], s[24:25]
; %bb.30:
	v_add_u32_e32 v1, s42, v12
	v_add_u32_e32 v6, s56, v12
	v_mul_lo_u32 v1, v1, s41
	v_mul_lo_u32 v6, v6, s43
	v_sub_u32_e32 v1, v1, v6
	v_cmp_lt_u32_e64 s[24:25], s57, v1
	s_and_b64 s[82:83], s[24:25], exec
; %bb.31:
	s_or_b64 exec, exec, s[26:27]
	v_add_u32_e32 v1, s37, v13
	v_add_u32_e32 v6, s39, v13
	v_mul_lo_u32 v1, v1, s36
	v_mul_lo_u32 v6, v6, s38
	v_sub_u32_e32 v1, v1, v6
	v_cmp_lt_u32_e64 s[24:25], s40, v1
	v_cmp_ge_u32_e64 s[26:27], s40, v1
	s_and_saveexec_b64 s[52:53], s[26:27]
; %bb.32:
	v_add_u32_e32 v1, s42, v13
	v_add_u32_e32 v6, s56, v13
	v_mul_lo_u32 v1, v1, s41
	v_mul_lo_u32 v6, v6, s43
	v_sub_u32_e32 v1, v1, v6
	v_cmp_lt_u32_e64 s[26:27], s57, v1
	s_and_b64 s[80:81], s[26:27], exec
; %bb.33:
	s_or_b64 exec, exec, s[52:53]
	v_add_u32_e32 v1, s37, v35
	v_add_u32_e32 v6, s39, v35
	v_mul_lo_u32 v1, v1, s36
	v_mul_lo_u32 v6, v6, s38
	v_sub_u32_e32 v1, v1, v6
	v_cmp_ge_u32_e64 s[26:27], s40, v1
	s_mov_b64 s[52:53], -1
	s_mov_b64 s[74:75], 0
	s_mov_b64 s[54:55], 0
	s_and_saveexec_b64 s[84:85], s[26:27]
; %bb.34:
	v_add_u32_e32 v1, s42, v35
	v_add_u32_e32 v6, s56, v35
	v_mul_lo_u32 v1, v1, s41
	v_mul_lo_u32 v6, v6, s43
	v_sub_u32_e32 v1, v1, v6
	v_cmp_lt_u32_e64 s[26:27], s57, v1
	s_and_b64 s[54:55], s[26:27], exec
	s_xor_b64 s[52:53], exec, -1
; %bb.35:
	s_or_b64 exec, exec, s[84:85]
	v_cndmask_b32_e64 v57, 0, 1, s[82:83]
	v_cndmask_b32_e64 v60, 0, 1, s[24:25]
	;; [unrolled: 1-line block ×22, first 2 shown]
	v_cndmask_b32_e64 v37, 0, 1, vcc
	v_cndmask_b32_e64 v59, 0, 1, s[80:81]
	s_add_i32 s16, s86, 0xd00
	s_and_b64 vcc, exec, s[74:75]
	s_cbranch_vccnz .LBB1062_37
	s_branch .LBB1062_90
.LBB1062_36:
                                        ; implicit-def: $sgpr52_sgpr53
                                        ; implicit-def: $sgpr54_sgpr55
                                        ; implicit-def: $vgpr59
                                        ; implicit-def: $vgpr57
                                        ; implicit-def: $vgpr55
                                        ; implicit-def: $vgpr53
                                        ; implicit-def: $vgpr51
                                        ; implicit-def: $vgpr49
                                        ; implicit-def: $vgpr47
                                        ; implicit-def: $vgpr45
                                        ; implicit-def: $vgpr43
                                        ; implicit-def: $vgpr37
                                        ; implicit-def: $vgpr39
                                        ; implicit-def: $vgpr41
                                        ; implicit-def: $vgpr44
                                        ; implicit-def: $vgpr46
                                        ; implicit-def: $vgpr48
                                        ; implicit-def: $vgpr50
                                        ; implicit-def: $vgpr52
                                        ; implicit-def: $vgpr54
                                        ; implicit-def: $vgpr56
                                        ; implicit-def: $vgpr58
                                        ; implicit-def: $vgpr60
                                        ; implicit-def: $vgpr38
                                        ; implicit-def: $vgpr40
                                        ; implicit-def: $vgpr42
	s_add_i32 s16, s86, 0xd00
	s_cbranch_execz .LBB1062_90
.LBB1062_37:
	v_cmp_gt_u32_e32 vcc, s16, v36
	v_mov_b32_e32 v38, 0
	v_mov_b32_e32 v37, 0
	s_and_saveexec_b64 s[6:7], vcc
	s_cbranch_execz .LBB1062_41
; %bb.38:
	v_add_u32_e32 v1, s37, v22
	v_add_u32_e32 v6, s39, v22
	v_mul_lo_u32 v1, v1, s36
	v_mul_lo_u32 v6, v6, s38
	v_sub_u32_e32 v1, v1, v6
	v_cmp_lt_u32_e32 vcc, s40, v1
	v_cmp_ge_u32_e64 s[4:5], s40, v1
	s_mov_b64 s[10:11], 0
	s_and_saveexec_b64 s[8:9], s[4:5]
; %bb.39:
	v_add_u32_e32 v1, s42, v22
	v_add_u32_e32 v6, s56, v22
	v_mul_lo_u32 v1, v1, s41
	v_mul_lo_u32 v6, v6, s43
	v_sub_u32_e32 v1, v1, v6
	v_cmp_lt_u32_e64 s[4:5], s57, v1
	s_and_b64 s[10:11], s[4:5], exec
; %bb.40:
	s_or_b64 exec, exec, s[8:9]
	v_cndmask_b32_e64 v37, 0, 1, vcc
	v_cndmask_b32_e64 v38, 0, 1, s[10:11]
.LBB1062_41:
	s_or_b64 exec, exec, s[6:7]
	v_add_u32_e32 v1, 1, v36
	v_cmp_gt_u32_e32 vcc, s16, v1
	v_mov_b32_e32 v39, 0
	v_mov_b32_e32 v40, 0
	s_and_saveexec_b64 s[6:7], vcc
	s_cbranch_execz .LBB1062_45
; %bb.42:
	v_add_u32_e32 v1, s37, v23
	v_add_u32_e32 v6, s39, v23
	v_mul_lo_u32 v1, v1, s36
	v_mul_lo_u32 v6, v6, s38
	v_sub_u32_e32 v1, v1, v6
	v_cmp_lt_u32_e32 vcc, s40, v1
	v_cmp_ge_u32_e64 s[4:5], s40, v1
	s_mov_b64 s[10:11], 0
	s_and_saveexec_b64 s[8:9], s[4:5]
; %bb.43:
	v_add_u32_e32 v1, s42, v23
	v_add_u32_e32 v6, s56, v23
	v_mul_lo_u32 v1, v1, s41
	v_mul_lo_u32 v6, v6, s43
	v_sub_u32_e32 v1, v1, v6
	v_cmp_lt_u32_e64 s[4:5], s57, v1
	s_and_b64 s[10:11], s[4:5], exec
; %bb.44:
	s_or_b64 exec, exec, s[8:9]
	v_cndmask_b32_e64 v39, 0, 1, vcc
	v_cndmask_b32_e64 v40, 0, 1, s[10:11]
.LBB1062_45:
	s_or_b64 exec, exec, s[6:7]
	v_add_u32_e32 v1, 2, v36
	v_cmp_gt_u32_e32 vcc, s16, v1
	v_mov_b32_e32 v41, 0
	v_mov_b32_e32 v42, 0
	s_and_saveexec_b64 s[6:7], vcc
	s_cbranch_execz .LBB1062_49
; %bb.46:
	v_add_u32_e32 v1, s37, v20
	v_add_u32_e32 v6, s39, v20
	v_mul_lo_u32 v1, v1, s36
	v_mul_lo_u32 v6, v6, s38
	v_sub_u32_e32 v1, v1, v6
	v_cmp_lt_u32_e32 vcc, s40, v1
	v_cmp_ge_u32_e64 s[4:5], s40, v1
	s_mov_b64 s[10:11], 0
	s_and_saveexec_b64 s[8:9], s[4:5]
; %bb.47:
	v_add_u32_e32 v1, s42, v20
	v_add_u32_e32 v6, s56, v20
	v_mul_lo_u32 v1, v1, s41
	v_mul_lo_u32 v6, v6, s43
	v_sub_u32_e32 v1, v1, v6
	v_cmp_lt_u32_e64 s[4:5], s57, v1
	s_and_b64 s[10:11], s[4:5], exec
; %bb.48:
	s_or_b64 exec, exec, s[8:9]
	v_cndmask_b32_e64 v41, 0, 1, vcc
	v_cndmask_b32_e64 v42, 0, 1, s[10:11]
.LBB1062_49:
	s_or_b64 exec, exec, s[6:7]
	v_add_u32_e32 v1, 3, v36
	v_cmp_gt_u32_e32 vcc, s16, v1
	v_mov_b32_e32 v43, 0
	v_mov_b32_e32 v44, 0
	s_and_saveexec_b64 s[6:7], vcc
	s_cbranch_execz .LBB1062_53
; %bb.50:
	v_add_u32_e32 v1, s37, v21
	v_add_u32_e32 v6, s39, v21
	v_mul_lo_u32 v1, v1, s36
	v_mul_lo_u32 v6, v6, s38
	v_sub_u32_e32 v1, v1, v6
	v_cmp_lt_u32_e32 vcc, s40, v1
	v_cmp_ge_u32_e64 s[4:5], s40, v1
	s_mov_b64 s[10:11], 0
	s_and_saveexec_b64 s[8:9], s[4:5]
; %bb.51:
	v_add_u32_e32 v1, s42, v21
	v_add_u32_e32 v6, s56, v21
	v_mul_lo_u32 v1, v1, s41
	v_mul_lo_u32 v6, v6, s43
	v_sub_u32_e32 v1, v1, v6
	v_cmp_lt_u32_e64 s[4:5], s57, v1
	s_and_b64 s[10:11], s[4:5], exec
; %bb.52:
	s_or_b64 exec, exec, s[8:9]
	v_cndmask_b32_e64 v44, 0, 1, vcc
	v_cndmask_b32_e64 v43, 0, 1, s[10:11]
.LBB1062_53:
	s_or_b64 exec, exec, s[6:7]
	v_add_u32_e32 v1, 4, v36
	v_cmp_gt_u32_e32 vcc, s16, v1
	v_mov_b32_e32 v45, 0
	v_mov_b32_e32 v46, 0
	s_and_saveexec_b64 s[6:7], vcc
	s_cbranch_execz .LBB1062_57
; %bb.54:
	v_add_u32_e32 v1, s37, v18
	v_add_u32_e32 v6, s39, v18
	v_mul_lo_u32 v1, v1, s36
	v_mul_lo_u32 v6, v6, s38
	v_sub_u32_e32 v1, v1, v6
	v_cmp_lt_u32_e32 vcc, s40, v1
	v_cmp_ge_u32_e64 s[4:5], s40, v1
	s_mov_b64 s[10:11], 0
	s_and_saveexec_b64 s[8:9], s[4:5]
; %bb.55:
	v_add_u32_e32 v1, s42, v18
	v_add_u32_e32 v6, s56, v18
	v_mul_lo_u32 v1, v1, s41
	v_mul_lo_u32 v6, v6, s43
	v_sub_u32_e32 v1, v1, v6
	v_cmp_lt_u32_e64 s[4:5], s57, v1
	s_and_b64 s[10:11], s[4:5], exec
; %bb.56:
	s_or_b64 exec, exec, s[8:9]
	v_cndmask_b32_e64 v46, 0, 1, vcc
	v_cndmask_b32_e64 v45, 0, 1, s[10:11]
.LBB1062_57:
	s_or_b64 exec, exec, s[6:7]
	v_add_u32_e32 v1, 5, v36
	v_cmp_gt_u32_e32 vcc, s16, v1
	v_mov_b32_e32 v47, 0
	v_mov_b32_e32 v48, 0
	s_and_saveexec_b64 s[6:7], vcc
	s_cbranch_execz .LBB1062_61
; %bb.58:
	v_add_u32_e32 v1, s37, v19
	v_add_u32_e32 v6, s39, v19
	v_mul_lo_u32 v1, v1, s36
	v_mul_lo_u32 v6, v6, s38
	v_sub_u32_e32 v1, v1, v6
	v_cmp_lt_u32_e32 vcc, s40, v1
	v_cmp_ge_u32_e64 s[4:5], s40, v1
	s_mov_b64 s[10:11], 0
	s_and_saveexec_b64 s[8:9], s[4:5]
; %bb.59:
	v_add_u32_e32 v1, s42, v19
	v_add_u32_e32 v6, s56, v19
	v_mul_lo_u32 v1, v1, s41
	v_mul_lo_u32 v6, v6, s43
	v_sub_u32_e32 v1, v1, v6
	v_cmp_lt_u32_e64 s[4:5], s57, v1
	s_and_b64 s[10:11], s[4:5], exec
; %bb.60:
	s_or_b64 exec, exec, s[8:9]
	v_cndmask_b32_e64 v48, 0, 1, vcc
	v_cndmask_b32_e64 v47, 0, 1, s[10:11]
.LBB1062_61:
	s_or_b64 exec, exec, s[6:7]
	v_add_u32_e32 v1, 6, v36
	v_cmp_gt_u32_e32 vcc, s16, v1
	v_mov_b32_e32 v49, 0
	v_mov_b32_e32 v50, 0
	s_and_saveexec_b64 s[6:7], vcc
	s_cbranch_execz .LBB1062_65
; %bb.62:
	v_add_u32_e32 v1, s37, v16
	v_add_u32_e32 v6, s39, v16
	v_mul_lo_u32 v1, v1, s36
	v_mul_lo_u32 v6, v6, s38
	v_sub_u32_e32 v1, v1, v6
	v_cmp_lt_u32_e32 vcc, s40, v1
	v_cmp_ge_u32_e64 s[4:5], s40, v1
	s_mov_b64 s[10:11], 0
	s_and_saveexec_b64 s[8:9], s[4:5]
; %bb.63:
	v_add_u32_e32 v1, s42, v16
	v_add_u32_e32 v6, s56, v16
	v_mul_lo_u32 v1, v1, s41
	v_mul_lo_u32 v6, v6, s43
	v_sub_u32_e32 v1, v1, v6
	v_cmp_lt_u32_e64 s[4:5], s57, v1
	s_and_b64 s[10:11], s[4:5], exec
; %bb.64:
	s_or_b64 exec, exec, s[8:9]
	v_cndmask_b32_e64 v50, 0, 1, vcc
	v_cndmask_b32_e64 v49, 0, 1, s[10:11]
.LBB1062_65:
	s_or_b64 exec, exec, s[6:7]
	v_add_u32_e32 v1, 7, v36
	v_cmp_gt_u32_e32 vcc, s16, v1
	v_mov_b32_e32 v51, 0
	v_mov_b32_e32 v52, 0
	s_and_saveexec_b64 s[6:7], vcc
	s_cbranch_execz .LBB1062_69
; %bb.66:
	v_add_u32_e32 v1, s37, v17
	v_add_u32_e32 v6, s39, v17
	v_mul_lo_u32 v1, v1, s36
	v_mul_lo_u32 v6, v6, s38
	v_sub_u32_e32 v1, v1, v6
	v_cmp_lt_u32_e32 vcc, s40, v1
	v_cmp_ge_u32_e64 s[4:5], s40, v1
	s_mov_b64 s[10:11], 0
	s_and_saveexec_b64 s[8:9], s[4:5]
; %bb.67:
	v_add_u32_e32 v1, s42, v17
	v_add_u32_e32 v6, s56, v17
	v_mul_lo_u32 v1, v1, s41
	v_mul_lo_u32 v6, v6, s43
	v_sub_u32_e32 v1, v1, v6
	v_cmp_lt_u32_e64 s[4:5], s57, v1
	s_and_b64 s[10:11], s[4:5], exec
; %bb.68:
	s_or_b64 exec, exec, s[8:9]
	v_cndmask_b32_e64 v52, 0, 1, vcc
	v_cndmask_b32_e64 v51, 0, 1, s[10:11]
.LBB1062_69:
	s_or_b64 exec, exec, s[6:7]
	v_add_u32_e32 v1, 8, v36
	v_cmp_gt_u32_e32 vcc, s16, v1
	v_mov_b32_e32 v53, 0
	v_mov_b32_e32 v54, 0
	s_and_saveexec_b64 s[6:7], vcc
	s_cbranch_execz .LBB1062_73
; %bb.70:
	v_add_u32_e32 v1, s37, v14
	v_add_u32_e32 v6, s39, v14
	v_mul_lo_u32 v1, v1, s36
	v_mul_lo_u32 v6, v6, s38
	v_sub_u32_e32 v1, v1, v6
	v_cmp_lt_u32_e32 vcc, s40, v1
	v_cmp_ge_u32_e64 s[4:5], s40, v1
	s_mov_b64 s[10:11], 0
	s_and_saveexec_b64 s[8:9], s[4:5]
; %bb.71:
	v_add_u32_e32 v1, s42, v14
	v_add_u32_e32 v6, s56, v14
	v_mul_lo_u32 v1, v1, s41
	v_mul_lo_u32 v6, v6, s43
	v_sub_u32_e32 v1, v1, v6
	v_cmp_lt_u32_e64 s[4:5], s57, v1
	s_and_b64 s[10:11], s[4:5], exec
; %bb.72:
	s_or_b64 exec, exec, s[8:9]
	v_cndmask_b32_e64 v54, 0, 1, vcc
	v_cndmask_b32_e64 v53, 0, 1, s[10:11]
.LBB1062_73:
	s_or_b64 exec, exec, s[6:7]
	v_add_u32_e32 v1, 9, v36
	v_cmp_gt_u32_e32 vcc, s16, v1
	v_mov_b32_e32 v55, 0
	v_mov_b32_e32 v56, 0
	s_and_saveexec_b64 s[6:7], vcc
	s_cbranch_execz .LBB1062_77
; %bb.74:
	v_add_u32_e32 v1, s37, v15
	v_add_u32_e32 v6, s39, v15
	v_mul_lo_u32 v1, v1, s36
	v_mul_lo_u32 v6, v6, s38
	v_sub_u32_e32 v1, v1, v6
	v_cmp_lt_u32_e32 vcc, s40, v1
	v_cmp_ge_u32_e64 s[4:5], s40, v1
	s_mov_b64 s[10:11], 0
	s_and_saveexec_b64 s[8:9], s[4:5]
; %bb.75:
	v_add_u32_e32 v1, s42, v15
	v_add_u32_e32 v6, s56, v15
	v_mul_lo_u32 v1, v1, s41
	v_mul_lo_u32 v6, v6, s43
	v_sub_u32_e32 v1, v1, v6
	v_cmp_lt_u32_e64 s[4:5], s57, v1
	s_and_b64 s[10:11], s[4:5], exec
; %bb.76:
	s_or_b64 exec, exec, s[8:9]
	v_cndmask_b32_e64 v56, 0, 1, vcc
	v_cndmask_b32_e64 v55, 0, 1, s[10:11]
.LBB1062_77:
	s_or_b64 exec, exec, s[6:7]
	v_add_u32_e32 v1, 10, v36
	v_cmp_gt_u32_e32 vcc, s16, v1
	v_mov_b32_e32 v57, 0
	v_mov_b32_e32 v58, 0
	s_and_saveexec_b64 s[6:7], vcc
	s_cbranch_execz .LBB1062_81
; %bb.78:
	v_add_u32_e32 v1, s37, v12
	v_add_u32_e32 v6, s39, v12
	v_mul_lo_u32 v1, v1, s36
	v_mul_lo_u32 v6, v6, s38
	v_sub_u32_e32 v1, v1, v6
	v_cmp_lt_u32_e32 vcc, s40, v1
	v_cmp_ge_u32_e64 s[4:5], s40, v1
	s_mov_b64 s[10:11], 0
	s_and_saveexec_b64 s[8:9], s[4:5]
; %bb.79:
	v_add_u32_e32 v1, s42, v12
	v_add_u32_e32 v6, s56, v12
	v_mul_lo_u32 v1, v1, s41
	v_mul_lo_u32 v6, v6, s43
	v_sub_u32_e32 v1, v1, v6
	v_cmp_lt_u32_e64 s[4:5], s57, v1
	s_and_b64 s[10:11], s[4:5], exec
; %bb.80:
	s_or_b64 exec, exec, s[8:9]
	v_cndmask_b32_e64 v58, 0, 1, vcc
	v_cndmask_b32_e64 v57, 0, 1, s[10:11]
.LBB1062_81:
	s_or_b64 exec, exec, s[6:7]
	v_add_u32_e32 v1, 11, v36
	v_cmp_gt_u32_e32 vcc, s16, v1
	v_mov_b32_e32 v59, 0
	v_mov_b32_e32 v60, 0
	s_and_saveexec_b64 s[6:7], vcc
	s_cbranch_execz .LBB1062_85
; %bb.82:
	v_add_u32_e32 v1, s37, v13
	v_add_u32_e32 v6, s39, v13
	v_mul_lo_u32 v1, v1, s36
	v_mul_lo_u32 v6, v6, s38
	v_sub_u32_e32 v1, v1, v6
	v_cmp_lt_u32_e32 vcc, s40, v1
	v_cmp_ge_u32_e64 s[4:5], s40, v1
	s_mov_b64 s[10:11], 0
	s_and_saveexec_b64 s[8:9], s[4:5]
; %bb.83:
	v_add_u32_e32 v1, s42, v13
	v_add_u32_e32 v6, s56, v13
	v_mul_lo_u32 v1, v1, s41
	v_mul_lo_u32 v6, v6, s43
	v_sub_u32_e32 v1, v1, v6
	v_cmp_lt_u32_e64 s[4:5], s57, v1
	s_and_b64 s[10:11], s[4:5], exec
; %bb.84:
	s_or_b64 exec, exec, s[8:9]
	v_cndmask_b32_e64 v60, 0, 1, vcc
	v_cndmask_b32_e64 v59, 0, 1, s[10:11]
.LBB1062_85:
	s_or_b64 exec, exec, s[6:7]
	v_add_u32_e32 v1, 12, v36
	v_cmp_gt_u32_e32 vcc, s16, v1
	s_mov_b64 s[52:53], 0
	s_mov_b64 s[54:55], 0
	s_and_saveexec_b64 s[4:5], vcc
	s_cbranch_execz .LBB1062_89
; %bb.86:
	v_add_u32_e32 v1, s37, v35
	v_add_u32_e32 v6, s39, v35
	v_mul_lo_u32 v1, v1, s36
	v_mul_lo_u32 v6, v6, s38
	v_sub_u32_e32 v1, v1, v6
	v_cmp_ge_u32_e32 vcc, s40, v1
	s_mov_b64 s[8:9], -1
	s_mov_b64 s[10:11], 0
	s_and_saveexec_b64 s[6:7], vcc
; %bb.87:
	v_add_u32_e32 v1, s42, v35
	v_add_u32_e32 v6, s56, v35
	v_mul_lo_u32 v1, v1, s41
	v_mul_lo_u32 v6, v6, s43
	v_sub_u32_e32 v1, v1, v6
	v_cmp_lt_u32_e32 vcc, s57, v1
	s_and_b64 s[10:11], vcc, exec
	s_xor_b64 s[8:9], exec, -1
; %bb.88:
	s_or_b64 exec, exec, s[6:7]
	s_and_b64 s[54:55], s[10:11], exec
	s_and_b64 s[52:53], s[8:9], exec
.LBB1062_89:
	s_or_b64 exec, exec, s[4:5]
.LBB1062_90:
	v_and_b32_e32 v68, 0xff, v38
	v_and_b32_e32 v79, 0xff, v40
	;; [unrolled: 1-line block ×5, first 2 shown]
	v_add3_u32 v6, v79, v70, v68
	v_and_b32_e32 v81, 0xff, v47
	v_and_b32_e32 v74, 0xff, v49
	v_add3_u32 v6, v6, v80, v72
	v_and_b32_e32 v67, 0xff, v37
	v_and_b32_e32 v61, 0xff, v39
	;; [unrolled: 1-line block ×5, first 2 shown]
	v_add3_u32 v6, v6, v81, v74
	v_and_b32_e32 v62, 0xff, v44
	v_and_b32_e32 v71, 0xff, v46
	;; [unrolled: 1-line block ×4, first 2 shown]
	v_add3_u32 v7, v61, v69, v67
	v_add3_u32 v6, v6, v82, v76
	v_and_b32_e32 v63, 0xff, v48
	v_and_b32_e32 v73, 0xff, v50
	;; [unrolled: 1-line block ×3, first 2 shown]
	v_cndmask_b32_e64 v1, 0, 1, s[54:55]
	v_add3_u32 v7, v7, v62, v71
	v_add3_u32 v6, v6, v83, v78
	v_and_b32_e32 v64, 0xff, v52
	v_and_b32_e32 v75, 0xff, v54
	v_add3_u32 v7, v7, v63, v73
	v_add3_u32 v91, v6, v84, v1
	v_mbcnt_lo_u32_b32 v1, -1, 0
	v_and_b32_e32 v65, 0xff, v56
	v_and_b32_e32 v77, 0xff, v58
	v_add3_u32 v7, v7, v64, v75
	v_mbcnt_hi_u32_b32 v85, -1, v1
	v_and_b32_e32 v66, 0xff, v60
	v_add3_u32 v7, v7, v65, v77
	v_cndmask_b32_e64 v8, 0, 1, s[52:53]
	v_and_b32_e32 v89, 15, v85
	s_cmp_lg_u32 s33, 0
	v_add3_u32 v90, v7, v66, v8
	v_cmp_eq_u32_e64 s[6:7], 0, v89
	v_cmp_lt_u32_e64 s[4:5], 1, v89
	v_cmp_lt_u32_e64 s[10:11], 3, v89
	;; [unrolled: 1-line block ×3, first 2 shown]
	v_and_b32_e32 v88, 16, v85
	v_cmp_lt_u32_e32 vcc, 31, v85
	v_lshrrev_b32_e32 v86, 6, v0
	v_or_b32_e32 v87, 63, v0
	s_cbranch_scc0 .LBB1062_123
; %bb.91:
	v_mov_b32_dpp v1, v90 row_shr:1 row_mask:0xf bank_mask:0xf
	v_mov_b32_dpp v6, v91 row_shr:1 row_mask:0xf bank_mask:0xf
	v_add_u32_e32 v1, v1, v90
	v_add_u32_e32 v6, v6, v91
	v_cndmask_b32_e64 v6, v6, v91, s[6:7]
	v_cndmask_b32_e64 v1, v1, v90, s[6:7]
	s_nop 0
	v_mov_b32_dpp v8, v6 row_shr:2 row_mask:0xf bank_mask:0xf
	v_mov_b32_dpp v7, v1 row_shr:2 row_mask:0xf bank_mask:0xf
	v_add_u32_e32 v7, v1, v7
	v_add_u32_e32 v8, v6, v8
	v_cndmask_b32_e64 v6, v6, v8, s[4:5]
	v_cndmask_b32_e64 v1, v1, v7, s[4:5]
	s_nop 0
	v_mov_b32_dpp v8, v6 row_shr:4 row_mask:0xf bank_mask:0xf
	v_mov_b32_dpp v7, v1 row_shr:4 row_mask:0xf bank_mask:0xf
	v_add_u32_e32 v7, v1, v7
	v_add_u32_e32 v8, v6, v8
	v_cndmask_b32_e64 v6, v6, v8, s[10:11]
	v_cndmask_b32_e64 v1, v1, v7, s[10:11]
	s_nop 0
	v_mov_b32_dpp v8, v6 row_shr:8 row_mask:0xf bank_mask:0xf
	v_mov_b32_dpp v7, v1 row_shr:8 row_mask:0xf bank_mask:0xf
	v_add_u32_e32 v7, v1, v7
	v_add_u32_e32 v8, v6, v8
	v_cndmask_b32_e64 v6, v6, v8, s[8:9]
	v_cndmask_b32_e64 v1, v1, v7, s[8:9]
	v_cmp_eq_u32_e64 s[8:9], 0, v88
	v_mov_b32_dpp v8, v6 row_bcast:15 row_mask:0xf bank_mask:0xf
	v_mov_b32_dpp v7, v1 row_bcast:15 row_mask:0xf bank_mask:0xf
	v_add_u32_e32 v7, v1, v7
	v_add_u32_e32 v8, v6, v8
	v_cndmask_b32_e64 v6, v8, v6, s[8:9]
	v_cndmask_b32_e64 v1, v7, v1, s[8:9]
	s_nop 0
	v_mov_b32_dpp v8, v6 row_bcast:31 row_mask:0xf bank_mask:0xf
	v_mov_b32_dpp v7, v1 row_bcast:31 row_mask:0xf bank_mask:0xf
	v_add_u32_e32 v8, v6, v8
	v_add_u32_e32 v9, v1, v7
	v_cndmask_b32_e32 v7, v6, v8, vcc
	v_cndmask_b32_e32 v6, v1, v9, vcc
	v_cmp_eq_u32_e32 vcc, v87, v0
	s_and_saveexec_b64 s[8:9], vcc
	s_cbranch_execz .LBB1062_93
; %bb.92:
	v_lshlrev_b32_e32 v1, 3, v86
	ds_write_b64 v1, v[6:7]
.LBB1062_93:
	s_or_b64 exec, exec, s[8:9]
	v_cmp_gt_u32_e32 vcc, 4, v0
	s_waitcnt lgkmcnt(0)
	s_barrier
	s_and_saveexec_b64 s[8:9], vcc
	s_cbranch_execz .LBB1062_95
; %bb.94:
	v_lshlrev_b32_e32 v1, 3, v0
	ds_read_b64 v[8:9], v1
	v_and_b32_e32 v10, 3, v85
	v_cmp_eq_u32_e32 vcc, 0, v10
	s_waitcnt lgkmcnt(0)
	v_mov_b32_dpp v11, v8 row_shr:1 row_mask:0xf bank_mask:0xf
	v_mov_b32_dpp v24, v9 row_shr:1 row_mask:0xf bank_mask:0xf
	v_add_u32_e32 v11, v11, v8
	v_add_u32_e32 v24, v24, v9
	v_cndmask_b32_e32 v9, v24, v9, vcc
	v_cndmask_b32_e32 v8, v11, v8, vcc
	v_cmp_lt_u32_e32 vcc, 1, v10
	v_mov_b32_dpp v24, v9 row_shr:2 row_mask:0xf bank_mask:0xf
	v_mov_b32_dpp v11, v8 row_shr:2 row_mask:0xf bank_mask:0xf
	v_cndmask_b32_e32 v10, 0, v11, vcc
	v_cndmask_b32_e32 v11, 0, v24, vcc
	v_add_u32_e32 v9, v11, v9
	v_add_u32_e32 v8, v10, v8
	ds_write_b64 v1, v[8:9]
.LBB1062_95:
	s_or_b64 exec, exec, s[8:9]
	v_cmp_gt_u32_e32 vcc, 64, v0
	v_cmp_lt_u32_e64 s[8:9], 63, v0
	s_waitcnt lgkmcnt(0)
	s_barrier
	s_waitcnt lgkmcnt(0)
                                        ; implicit-def: $vgpr25
	s_and_saveexec_b64 s[10:11], s[8:9]
	s_xor_b64 s[8:9], exec, s[10:11]
	s_cbranch_execz .LBB1062_97
; %bb.96:
	v_lshl_add_u32 v1, v86, 3, -8
	ds_read_b64 v[24:25], v1
	s_waitcnt lgkmcnt(0)
	v_add_u32_e32 v7, v25, v7
	v_add_u32_e32 v6, v24, v6
.LBB1062_97:
	s_andn2_saveexec_b64 s[8:9], s[8:9]
; %bb.98:
                                        ; implicit-def: $vgpr24
; %bb.99:
	s_or_b64 exec, exec, s[8:9]
	v_add_u32_e32 v1, -1, v85
	v_and_b32_e32 v8, 64, v85
	v_cmp_lt_i32_e64 s[8:9], v1, v8
	v_cndmask_b32_e64 v1, v1, v85, s[8:9]
	v_lshlrev_b32_e32 v8, 2, v1
	ds_bpermute_b32 v1, v8, v6
	ds_bpermute_b32 v92, v8, v7
	v_cmp_eq_u32_e64 s[8:9], 0, v85
	s_and_saveexec_b64 s[10:11], vcc
	s_cbranch_execz .LBB1062_122
; %bb.100:
	v_mov_b32_e32 v11, 0
	ds_read_b64 v[26:27], v11 offset:24
	s_and_saveexec_b64 s[12:13], s[8:9]
	s_cbranch_execz .LBB1062_102
; %bb.101:
	s_add_i32 s14, s33, 64
	s_mov_b32 s15, 0
	s_lshl_b64 s[14:15], s[14:15], 4
	s_waitcnt lgkmcnt(0)
	v_and_b32_e32 v6, 0xff000000, v27
	v_and_b32_e32 v7, 0xff0000, v27
	s_add_u32 s14, s50, s14
	v_or_b32_e32 v6, v7, v6
	v_and_b32_e32 v7, 0xff00, v27
	s_addc_u32 s15, s51, s15
	v_or_b32_e32 v6, v6, v7
	v_or_b32_sdwa v9, v6, v27 dst_sel:DWORD dst_unused:UNUSED_PAD src0_sel:DWORD src1_sel:BYTE_0
	v_mov_b32_e32 v10, 1
	v_mov_b32_e32 v8, v26
	v_pk_mov_b32 v[6:7], s[14:15], s[14:15] op_sel:[0,1]
	;;#ASMSTART
	global_store_dwordx4 v[6:7], v[8:11] off	
s_waitcnt vmcnt(0)
	;;#ASMEND
.LBB1062_102:
	s_or_b64 exec, exec, s[12:13]
	v_xad_u32 v28, v85, -1, s33
	v_add_u32_e32 v10, 64, v28
	v_lshlrev_b64 v[6:7], 4, v[10:11]
	v_mov_b32_e32 v8, s51
	v_add_co_u32_e32 v30, vcc, s50, v6
	v_addc_co_u32_e32 v31, vcc, v8, v7, vcc
	;;#ASMSTART
	global_load_dwordx4 v[6:9], v[30:31] off glc	
s_waitcnt vmcnt(0)
	;;#ASMEND
	v_and_b32_e32 v9, 0xff, v7
	v_and_b32_e32 v10, 0xff00, v7
	v_or3_b32 v9, 0, v9, v10
	v_or3_b32 v6, v6, 0, 0
	v_and_b32_e32 v10, 0xff000000, v7
	v_and_b32_e32 v7, 0xff0000, v7
	v_or3_b32 v7, v9, v7, v10
	v_or3_b32 v6, v6, 0, 0
	v_cmp_eq_u16_sdwa s[14:15], v8, v11 src0_sel:BYTE_0 src1_sel:DWORD
	s_and_saveexec_b64 s[12:13], s[14:15]
	s_cbranch_execz .LBB1062_108
; %bb.103:
	s_mov_b32 s17, 1
	s_mov_b64 s[14:15], 0
	v_mov_b32_e32 v10, 0
.LBB1062_104:                           ; =>This Loop Header: Depth=1
                                        ;     Child Loop BB1062_105 Depth 2
	s_max_u32 s18, s17, 1
.LBB1062_105:                           ;   Parent Loop BB1062_104 Depth=1
                                        ; =>  This Inner Loop Header: Depth=2
	s_add_i32 s18, s18, -1
	s_cmp_eq_u32 s18, 0
	s_sleep 1
	s_cbranch_scc0 .LBB1062_105
; %bb.106:                              ;   in Loop: Header=BB1062_104 Depth=1
	s_cmp_lt_u32 s17, 32
	s_cselect_b64 s[18:19], -1, 0
	s_cmp_lg_u64 s[18:19], 0
	s_addc_u32 s17, s17, 0
	;;#ASMSTART
	global_load_dwordx4 v[6:9], v[30:31] off glc	
s_waitcnt vmcnt(0)
	;;#ASMEND
	v_cmp_ne_u16_sdwa s[18:19], v8, v10 src0_sel:BYTE_0 src1_sel:DWORD
	s_or_b64 s[14:15], s[18:19], s[14:15]
	s_andn2_b64 exec, exec, s[14:15]
	s_cbranch_execnz .LBB1062_104
; %bb.107:
	s_or_b64 exec, exec, s[14:15]
.LBB1062_108:
	s_or_b64 exec, exec, s[12:13]
	v_and_b32_e32 v94, 63, v85
	v_cmp_ne_u32_e32 vcc, 63, v94
	v_mov_b32_e32 v93, 2
	v_addc_co_u32_e32 v30, vcc, 0, v85, vcc
	v_cmp_eq_u16_sdwa s[12:13], v8, v93 src0_sel:BYTE_0 src1_sel:DWORD
	v_lshlrev_b64 v[10:11], v85, -1
	v_lshlrev_b32_e32 v95, 2, v30
	v_and_b32_e32 v9, s13, v11
	ds_bpermute_b32 v30, v95, v6
	ds_bpermute_b32 v31, v95, v7
	v_or_b32_e32 v9, 0x80000000, v9
	v_and_b32_e32 v29, s12, v10
	v_ffbl_b32_e32 v9, v9
	v_add_u32_e32 v9, 32, v9
	v_ffbl_b32_e32 v29, v29
	v_min_u32_e32 v9, v29, v9
	s_waitcnt lgkmcnt(1)
	v_add_u32_e32 v29, v30, v6
	s_waitcnt lgkmcnt(0)
	v_add_u32_e32 v30, v31, v7
	v_cmp_lt_u32_e32 vcc, v94, v9
	v_cndmask_b32_e32 v7, v7, v30, vcc
	v_cndmask_b32_e32 v6, v6, v29, vcc
	v_cmp_gt_u32_e32 vcc, 62, v94
	v_cndmask_b32_e64 v29, 0, 1, vcc
	v_lshlrev_b32_e32 v29, 1, v29
	v_add_lshl_u32 v96, v29, v85, 2
	ds_bpermute_b32 v29, v96, v6
	ds_bpermute_b32 v30, v96, v7
	v_add_u32_e32 v97, 2, v94
	v_cmp_gt_u32_e32 vcc, v97, v9
	v_add_u32_e32 v99, 4, v94
	s_waitcnt lgkmcnt(1)
	v_add_u32_e32 v29, v6, v29
	s_waitcnt lgkmcnt(0)
	v_add_u32_e32 v30, v7, v30
	v_cndmask_b32_e32 v7, v30, v7, vcc
	v_cndmask_b32_e32 v6, v29, v6, vcc
	v_cmp_gt_u32_e32 vcc, 60, v94
	v_cndmask_b32_e64 v29, 0, 1, vcc
	v_lshlrev_b32_e32 v29, 2, v29
	v_add_lshl_u32 v98, v29, v85, 2
	ds_bpermute_b32 v29, v98, v6
	ds_bpermute_b32 v30, v98, v7
	v_cmp_gt_u32_e32 vcc, v99, v9
	v_add_u32_e32 v101, 8, v94
	v_add_u32_e32 v103, 16, v94
	s_waitcnt lgkmcnt(1)
	v_add_u32_e32 v29, v6, v29
	s_waitcnt lgkmcnt(0)
	v_add_u32_e32 v30, v7, v30
	v_cndmask_b32_e32 v7, v30, v7, vcc
	v_cndmask_b32_e32 v6, v29, v6, vcc
	v_cmp_gt_u32_e32 vcc, 56, v94
	v_cndmask_b32_e64 v29, 0, 1, vcc
	v_lshlrev_b32_e32 v29, 3, v29
	v_add_lshl_u32 v100, v29, v85, 2
	ds_bpermute_b32 v29, v100, v6
	ds_bpermute_b32 v30, v100, v7
	v_cmp_gt_u32_e32 vcc, v101, v9
	v_add_u32_e32 v105, 32, v94
	s_waitcnt lgkmcnt(1)
	v_add_u32_e32 v29, v6, v29
	s_waitcnt lgkmcnt(0)
	v_add_u32_e32 v30, v7, v30
	v_cndmask_b32_e32 v7, v30, v7, vcc
	v_cndmask_b32_e32 v6, v29, v6, vcc
	v_cmp_gt_u32_e32 vcc, 48, v94
	v_cndmask_b32_e64 v29, 0, 1, vcc
	v_lshlrev_b32_e32 v29, 4, v29
	v_add_lshl_u32 v102, v29, v85, 2
	ds_bpermute_b32 v29, v102, v6
	ds_bpermute_b32 v30, v102, v7
	v_cmp_gt_u32_e32 vcc, v103, v9
	s_waitcnt lgkmcnt(1)
	v_add_u32_e32 v29, v6, v29
	s_waitcnt lgkmcnt(0)
	v_add_u32_e32 v30, v7, v30
	v_cndmask_b32_e32 v7, v30, v7, vcc
	v_cndmask_b32_e32 v6, v29, v6, vcc
	v_cmp_gt_u32_e32 vcc, 32, v94
	v_cndmask_b32_e64 v29, 0, 1, vcc
	v_lshlrev_b32_e32 v29, 5, v29
	v_add_lshl_u32 v104, v29, v85, 2
	ds_bpermute_b32 v29, v104, v6
	ds_bpermute_b32 v30, v104, v7
	v_cmp_le_u32_e32 vcc, v105, v9
	s_waitcnt lgkmcnt(1)
	v_cndmask_b32_e32 v9, 0, v29, vcc
	s_waitcnt lgkmcnt(0)
	v_cndmask_b32_e32 v29, 0, v30, vcc
	v_add_u32_e32 v7, v7, v29
	v_add_u32_e32 v6, v6, v9
	v_mov_b32_e32 v29, 0
	s_branch .LBB1062_110
.LBB1062_109:                           ;   in Loop: Header=BB1062_110 Depth=1
	s_or_b64 exec, exec, s[12:13]
	v_cmp_eq_u16_sdwa s[12:13], v8, v93 src0_sel:BYTE_0 src1_sel:DWORD
	v_and_b32_e32 v9, s13, v11
	ds_bpermute_b32 v33, v95, v6
	ds_bpermute_b32 v106, v95, v7
	v_or_b32_e32 v9, 0x80000000, v9
	v_and_b32_e32 v32, s12, v10
	v_ffbl_b32_e32 v9, v9
	v_add_u32_e32 v9, 32, v9
	v_ffbl_b32_e32 v32, v32
	v_min_u32_e32 v9, v32, v9
	s_waitcnt lgkmcnt(1)
	v_add_u32_e32 v32, v33, v6
	s_waitcnt lgkmcnt(0)
	v_add_u32_e32 v33, v106, v7
	v_cmp_lt_u32_e32 vcc, v94, v9
	v_cndmask_b32_e32 v7, v7, v33, vcc
	v_cndmask_b32_e32 v6, v6, v32, vcc
	ds_bpermute_b32 v32, v96, v6
	ds_bpermute_b32 v33, v96, v7
	v_cmp_gt_u32_e32 vcc, v97, v9
	v_subrev_u32_e32 v28, 64, v28
	s_waitcnt lgkmcnt(1)
	v_add_u32_e32 v32, v6, v32
	s_waitcnt lgkmcnt(0)
	v_add_u32_e32 v33, v7, v33
	v_cndmask_b32_e32 v7, v33, v7, vcc
	v_cndmask_b32_e32 v6, v32, v6, vcc
	ds_bpermute_b32 v32, v98, v6
	ds_bpermute_b32 v33, v98, v7
	v_cmp_gt_u32_e32 vcc, v99, v9
	s_waitcnt lgkmcnt(1)
	v_add_u32_e32 v32, v6, v32
	s_waitcnt lgkmcnt(0)
	v_add_u32_e32 v33, v7, v33
	v_cndmask_b32_e32 v7, v33, v7, vcc
	v_cndmask_b32_e32 v6, v32, v6, vcc
	ds_bpermute_b32 v32, v100, v6
	ds_bpermute_b32 v33, v100, v7
	v_cmp_gt_u32_e32 vcc, v101, v9
	;; [unrolled: 9-line block ×3, first 2 shown]
	s_waitcnt lgkmcnt(1)
	v_add_u32_e32 v32, v6, v32
	s_waitcnt lgkmcnt(0)
	v_add_u32_e32 v33, v7, v33
	v_cndmask_b32_e32 v7, v33, v7, vcc
	v_cndmask_b32_e32 v6, v32, v6, vcc
	ds_bpermute_b32 v32, v104, v6
	ds_bpermute_b32 v33, v104, v7
	v_cmp_le_u32_e32 vcc, v105, v9
	s_waitcnt lgkmcnt(1)
	v_cndmask_b32_e32 v9, 0, v32, vcc
	s_waitcnt lgkmcnt(0)
	v_cndmask_b32_e32 v32, 0, v33, vcc
	v_add3_u32 v7, v32, v31, v7
	v_add3_u32 v6, v9, v30, v6
.LBB1062_110:                           ; =>This Loop Header: Depth=1
                                        ;     Child Loop BB1062_113 Depth 2
                                        ;       Child Loop BB1062_114 Depth 3
	v_cmp_ne_u16_sdwa s[12:13], v8, v93 src0_sel:BYTE_0 src1_sel:DWORD
	v_cndmask_b32_e64 v8, 0, 1, s[12:13]
	;;#ASMSTART
	;;#ASMEND
	v_cmp_ne_u32_e32 vcc, 0, v8
	s_cmp_lg_u64 vcc, exec
	v_pk_mov_b32 v[30:31], v[6:7], v[6:7] op_sel:[0,1]
	s_cbranch_scc1 .LBB1062_117
; %bb.111:                              ;   in Loop: Header=BB1062_110 Depth=1
	v_lshlrev_b64 v[6:7], 4, v[28:29]
	v_mov_b32_e32 v8, s51
	v_add_co_u32_e32 v32, vcc, s50, v6
	v_addc_co_u32_e32 v33, vcc, v8, v7, vcc
	;;#ASMSTART
	global_load_dwordx4 v[6:9], v[32:33] off glc	
s_waitcnt vmcnt(0)
	;;#ASMEND
	v_and_b32_e32 v9, 0xff, v7
	v_and_b32_e32 v106, 0xff00, v7
	v_or3_b32 v9, 0, v9, v106
	v_or3_b32 v6, v6, 0, 0
	v_and_b32_e32 v106, 0xff000000, v7
	v_and_b32_e32 v7, 0xff0000, v7
	v_or3_b32 v7, v9, v7, v106
	v_or3_b32 v6, v6, 0, 0
	v_cmp_eq_u16_sdwa s[14:15], v8, v29 src0_sel:BYTE_0 src1_sel:DWORD
	s_and_saveexec_b64 s[12:13], s[14:15]
	s_cbranch_execz .LBB1062_109
; %bb.112:                              ;   in Loop: Header=BB1062_110 Depth=1
	s_mov_b32 s17, 1
	s_mov_b64 s[14:15], 0
.LBB1062_113:                           ;   Parent Loop BB1062_110 Depth=1
                                        ; =>  This Loop Header: Depth=2
                                        ;       Child Loop BB1062_114 Depth 3
	s_max_u32 s18, s17, 1
.LBB1062_114:                           ;   Parent Loop BB1062_110 Depth=1
                                        ;     Parent Loop BB1062_113 Depth=2
                                        ; =>    This Inner Loop Header: Depth=3
	s_add_i32 s18, s18, -1
	s_cmp_eq_u32 s18, 0
	s_sleep 1
	s_cbranch_scc0 .LBB1062_114
; %bb.115:                              ;   in Loop: Header=BB1062_113 Depth=2
	s_cmp_lt_u32 s17, 32
	s_cselect_b64 s[18:19], -1, 0
	s_cmp_lg_u64 s[18:19], 0
	s_addc_u32 s17, s17, 0
	;;#ASMSTART
	global_load_dwordx4 v[6:9], v[32:33] off glc	
s_waitcnt vmcnt(0)
	;;#ASMEND
	v_cmp_ne_u16_sdwa s[18:19], v8, v29 src0_sel:BYTE_0 src1_sel:DWORD
	s_or_b64 s[14:15], s[18:19], s[14:15]
	s_andn2_b64 exec, exec, s[14:15]
	s_cbranch_execnz .LBB1062_113
; %bb.116:                              ;   in Loop: Header=BB1062_110 Depth=1
	s_or_b64 exec, exec, s[14:15]
	s_branch .LBB1062_109
.LBB1062_117:                           ;   in Loop: Header=BB1062_110 Depth=1
                                        ; implicit-def: $vgpr8
                                        ; implicit-def: $vgpr6_vgpr7
	s_cbranch_execz .LBB1062_110
; %bb.118:
	s_and_saveexec_b64 s[12:13], s[8:9]
	s_cbranch_execz .LBB1062_120
; %bb.119:
	s_add_i32 s14, s33, 64
	s_mov_b32 s15, 0
	v_add_u32_e32 v7, v31, v27
	s_lshl_b64 s[14:15], s[14:15], 4
	s_add_u32 s14, s50, s14
	v_and_b32_e32 v8, 0xff000000, v7
	v_and_b32_e32 v10, 0xff0000, v7
	s_addc_u32 s15, s51, s15
	v_or_b32_e32 v8, v10, v8
	v_and_b32_e32 v10, 0xff00, v7
	v_and_b32_e32 v7, 0xff, v7
	v_add_u32_e32 v6, v30, v26
	v_mov_b32_e32 v9, 0
	v_or3_b32 v7, v8, v10, v7
	v_mov_b32_e32 v8, 2
	v_pk_mov_b32 v[10:11], s[14:15], s[14:15] op_sel:[0,1]
	;;#ASMSTART
	global_store_dwordx4 v[10:11], v[6:9] off	
s_waitcnt vmcnt(0)
	;;#ASMEND
	s_movk_i32 s14, 0x3400
	v_add_u32_e64 v6, s14, 0
	ds_write2_b32 v6, v26, v27 offset1:2
	ds_write2_b32 v6, v30, v31 offset0:4 offset1:6
.LBB1062_120:
	s_or_b64 exec, exec, s[12:13]
	s_and_b64 exec, exec, s[0:1]
	s_cbranch_execz .LBB1062_122
; %bb.121:
	v_mov_b32_e32 v6, 0
	ds_write_b64 v6, v[30:31] offset:24
.LBB1062_122:
	s_or_b64 exec, exec, s[10:11]
	v_mov_b32_e32 v6, 0
	s_waitcnt lgkmcnt(0)
	s_barrier
	ds_read_b64 v[10:11], v6 offset:24
	v_cndmask_b32_e64 v25, v92, v25, s[8:9]
	v_cndmask_b32_e64 v1, v1, v24, s[8:9]
	s_movk_i32 s8, 0x3400
	s_waitcnt lgkmcnt(0)
	v_add_u32_e32 v24, v10, v1
	v_add_u32_e64 v1, s8, 0
	s_barrier
	ds_read2_b32 v[6:7], v1 offset1:2
	ds_read2_b32 v[8:9], v1 offset0:4 offset1:6
	v_add_u32_e32 v1, v11, v25
	v_cndmask_b32_e64 v1, v1, v11, s[0:1]
	v_cndmask_b32_e64 v10, v24, v10, s[0:1]
	s_branch .LBB1062_133
.LBB1062_123:
                                        ; implicit-def: $vgpr1
                                        ; implicit-def: $vgpr8
                                        ; implicit-def: $vgpr6
                                        ; implicit-def: $vgpr10_vgpr11
	s_cbranch_execz .LBB1062_133
; %bb.124:
	s_nop 0
	v_mov_b32_dpp v1, v90 row_shr:1 row_mask:0xf bank_mask:0xf
	s_waitcnt lgkmcnt(1)
	v_mov_b32_dpp v6, v91 row_shr:1 row_mask:0xf bank_mask:0xf
	v_add_u32_e32 v1, v1, v90
	v_add_u32_e32 v6, v6, v91
	v_cndmask_b32_e64 v6, v6, v91, s[6:7]
	v_cndmask_b32_e64 v1, v1, v90, s[6:7]
	v_cmp_lt_u32_e32 vcc, 3, v89
	s_waitcnt lgkmcnt(0)
	v_mov_b32_dpp v8, v6 row_shr:2 row_mask:0xf bank_mask:0xf
	v_mov_b32_dpp v7, v1 row_shr:2 row_mask:0xf bank_mask:0xf
	v_add_u32_e32 v7, v1, v7
	v_add_u32_e32 v8, v6, v8
	v_cndmask_b32_e64 v6, v6, v8, s[4:5]
	v_cndmask_b32_e64 v1, v1, v7, s[4:5]
	s_nop 0
	v_mov_b32_dpp v8, v6 row_shr:4 row_mask:0xf bank_mask:0xf
	v_mov_b32_dpp v7, v1 row_shr:4 row_mask:0xf bank_mask:0xf
	v_add_u32_e32 v7, v1, v7
	v_add_u32_e32 v8, v6, v8
	v_cndmask_b32_e32 v6, v6, v8, vcc
	v_cndmask_b32_e32 v1, v1, v7, vcc
	v_cmp_lt_u32_e32 vcc, 7, v89
	v_mov_b32_dpp v8, v6 row_shr:8 row_mask:0xf bank_mask:0xf
	v_mov_b32_dpp v7, v1 row_shr:8 row_mask:0xf bank_mask:0xf
	v_add_u32_e32 v7, v1, v7
	v_add_u32_e32 v8, v6, v8
	v_cndmask_b32_e32 v6, v6, v8, vcc
	v_cndmask_b32_e32 v1, v1, v7, vcc
	v_cmp_eq_u32_e32 vcc, 0, v88
	v_mov_b32_dpp v8, v6 row_bcast:15 row_mask:0xf bank_mask:0xf
	v_mov_b32_dpp v7, v1 row_bcast:15 row_mask:0xf bank_mask:0xf
	v_add_u32_e32 v7, v1, v7
	v_add_u32_e32 v8, v6, v8
	v_cndmask_b32_e32 v6, v8, v6, vcc
	v_cndmask_b32_e32 v1, v7, v1, vcc
	v_cmp_lt_u32_e32 vcc, 31, v85
	v_mov_b32_dpp v8, v6 row_bcast:31 row_mask:0xf bank_mask:0xf
	v_mov_b32_dpp v7, v1 row_bcast:31 row_mask:0xf bank_mask:0xf
	v_add_u32_e32 v8, v6, v8
	v_add_u32_e32 v9, v1, v7
	v_cndmask_b32_e32 v7, v6, v8, vcc
	v_cndmask_b32_e32 v6, v1, v9, vcc
	v_cmp_eq_u32_e32 vcc, v87, v0
	s_and_saveexec_b64 s[4:5], vcc
	s_cbranch_execz .LBB1062_126
; %bb.125:
	v_lshlrev_b32_e32 v1, 3, v86
	ds_write_b64 v1, v[6:7]
.LBB1062_126:
	s_or_b64 exec, exec, s[4:5]
	v_cmp_gt_u32_e32 vcc, 4, v0
	s_waitcnt lgkmcnt(0)
	s_barrier
	s_and_saveexec_b64 s[4:5], vcc
	s_cbranch_execz .LBB1062_128
; %bb.127:
	v_lshlrev_b32_e32 v1, 3, v0
	ds_read_b64 v[8:9], v1
	v_and_b32_e32 v10, 3, v85
	v_cmp_eq_u32_e32 vcc, 0, v10
	s_waitcnt lgkmcnt(0)
	v_mov_b32_dpp v11, v8 row_shr:1 row_mask:0xf bank_mask:0xf
	v_mov_b32_dpp v24, v9 row_shr:1 row_mask:0xf bank_mask:0xf
	v_add_u32_e32 v11, v11, v8
	v_add_u32_e32 v24, v24, v9
	v_cndmask_b32_e32 v9, v24, v9, vcc
	v_cndmask_b32_e32 v8, v11, v8, vcc
	v_cmp_lt_u32_e32 vcc, 1, v10
	v_mov_b32_dpp v24, v9 row_shr:2 row_mask:0xf bank_mask:0xf
	v_mov_b32_dpp v11, v8 row_shr:2 row_mask:0xf bank_mask:0xf
	v_cndmask_b32_e32 v10, 0, v11, vcc
	v_cndmask_b32_e32 v11, 0, v24, vcc
	v_add_u32_e32 v9, v11, v9
	v_add_u32_e32 v8, v10, v8
	ds_write_b64 v1, v[8:9]
.LBB1062_128:
	s_or_b64 exec, exec, s[4:5]
	v_cmp_lt_u32_e32 vcc, 63, v0
	v_mov_b32_e32 v8, 0
	v_mov_b32_e32 v10, 0
	v_mov_b32_e32 v11, 0
	s_waitcnt lgkmcnt(0)
	s_barrier
	s_and_saveexec_b64 s[4:5], vcc
	s_cbranch_execz .LBB1062_130
; %bb.129:
	v_lshl_add_u32 v1, v86, 3, -8
	ds_read_b64 v[10:11], v1
.LBB1062_130:
	s_or_b64 exec, exec, s[4:5]
	s_waitcnt lgkmcnt(0)
	v_add_u32_e32 v9, v11, v7
	v_add_u32_e32 v1, v10, v6
	v_add_u32_e32 v6, -1, v85
	v_and_b32_e32 v7, 64, v85
	v_cmp_lt_i32_e32 vcc, v6, v7
	v_cndmask_b32_e32 v6, v6, v85, vcc
	v_lshlrev_b32_e32 v24, 2, v6
	ds_read_b64 v[6:7], v8 offset:24
	ds_bpermute_b32 v1, v24, v1
	ds_bpermute_b32 v24, v24, v9
	s_waitcnt lgkmcnt(2)
	v_readfirstlane_b32 s6, v7
	s_and_saveexec_b64 s[4:5], s[0:1]
	s_cbranch_execz .LBB1062_132
; %bb.131:
	s_add_u32 s8, s50, 0x400
	s_mov_b32 s10, 0
	s_addc_u32 s9, s51, 0
	s_and_b32 s11, s6, 0xff000000
	s_and_b32 s13, s6, 0xff0000
	s_mov_b32 s12, s10
	s_or_b64 s[12:13], s[12:13], s[10:11]
	s_and_b32 s11, s6, 0xff00
	s_or_b64 s[12:13], s[12:13], s[10:11]
	s_and_b32 s11, s6, 0xff
	s_or_b64 s[10:11], s[12:13], s[10:11]
	v_mov_b32_e32 v7, s11
	v_mov_b32_e32 v8, 2
	;; [unrolled: 1-line block ×3, first 2 shown]
	v_pk_mov_b32 v[26:27], s[8:9], s[8:9] op_sel:[0,1]
	;;#ASMSTART
	global_store_dwordx4 v[26:27], v[6:9] off	
s_waitcnt vmcnt(0)
	;;#ASMEND
.LBB1062_132:
	s_or_b64 exec, exec, s[4:5]
	v_cmp_eq_u32_e32 vcc, 0, v85
	s_waitcnt lgkmcnt(1)
	v_cndmask_b32_e32 v7, v1, v10, vcc
	s_waitcnt lgkmcnt(0)
	v_cndmask_b32_e32 v1, v24, v11, vcc
	v_mov_b32_e32 v8, 0
	v_cndmask_b32_e64 v1, v1, 0, s[0:1]
	v_cndmask_b32_e64 v10, v7, 0, s[0:1]
	s_barrier
	v_mov_b32_e32 v7, s6
	v_mov_b32_e32 v9, 0
.LBB1062_133:
	v_add_u32_e32 v11, v10, v67
	v_add_u32_e32 v26, v1, v68
	;; [unrolled: 1-line block ×13, first 2 shown]
	s_waitcnt vmcnt(0) lgkmcnt(0)
	v_add_co_u32_e32 v2, vcc, v2, v8
	v_add_u32_e32 v68, v62, v74
	v_add_u32_e32 v64, v67, v64
	v_addc_co_u32_e32 v3, vcc, 0, v3, vcc
	v_add_u32_e32 v69, v68, v82
	v_add_u32_e32 v70, v64, v75
	v_sub_co_u32_e32 v24, vcc, v4, v6
	v_add_u32_e32 v71, v69, v76
	v_add_u32_e32 v65, v70, v65
	v_subbrev_co_u32_e32 v25, vcc, 0, v5, vcc
	v_lshlrev_b32_e32 v76, 1, v6
	v_sub_u32_e32 v1, v1, v9
	v_add_u32_e32 v73, v65, v77
	v_add_co_u32_e32 v24, vcc, v24, v9
	v_add_u32_e32 v77, v76, v7
	v_sub_u32_e32 v10, v10, v8
	v_add_u32_e32 v1, v1, v6
	v_addc_co_u32_e32 v25, vcc, 0, v25, vcc
	v_add_u32_e32 v36, v77, v36
	v_and_b32_e32 v38, 1, v38
	v_add_u32_e32 v77, v10, v1
	v_and_b32_e32 v37, 1, v37
	v_sub_u32_e32 v77, v36, v77
	v_cmp_eq_u32_e32 vcc, 1, v38
	v_cndmask_b32_e32 v1, v77, v1, vcc
	v_cmp_eq_u32_e32 vcc, 1, v37
	v_cndmask_b32_e32 v1, v1, v10, vcc
	v_lshlrev_b32_e32 v1, 2, v1
	ds_write_b32 v1, v22
	v_sub_u32_e32 v1, v11, v8
	v_sub_u32_e32 v11, v26, v9
	v_add_u32_e32 v11, v11, v6
	v_add_u32_e32 v26, v11, v1
	v_and_b32_e32 v22, 1, v40
	v_sub_u32_e32 v26, v36, v26
	v_and_b32_e32 v10, 1, v39
	v_add_u32_e32 v26, 1, v26
	v_cmp_eq_u32_e32 vcc, 1, v22
	v_cndmask_b32_e32 v11, v26, v11, vcc
	v_cmp_eq_u32_e32 vcc, 1, v10
	v_cndmask_b32_e32 v1, v11, v1, vcc
	v_lshlrev_b32_e32 v1, 2, v1
	v_sub_u32_e32 v11, v27, v9
	ds_write_b32 v1, v23
	v_sub_u32_e32 v1, v28, v8
	v_add_u32_e32 v11, v11, v6
	v_add_u32_e32 v23, v11, v1
	v_and_b32_e32 v22, 1, v42
	v_sub_u32_e32 v23, v36, v23
	v_and_b32_e32 v10, 1, v41
	v_add_u32_e32 v23, 2, v23
	v_cmp_eq_u32_e32 vcc, 1, v22
	v_cndmask_b32_e32 v11, v23, v11, vcc
	v_cmp_eq_u32_e32 vcc, 1, v10
	v_cndmask_b32_e32 v1, v11, v1, vcc
	v_lshlrev_b32_e32 v1, 2, v1
	v_sub_u32_e32 v11, v30, v9
	ds_write_b32 v1, v20
	v_sub_u32_e32 v1, v29, v8
	v_add_u32_e32 v11, v11, v6
	v_add_u32_e32 v22, v1, v11
	v_and_b32_e32 v20, 1, v43
	v_sub_u32_e32 v22, v36, v22
	v_and_b32_e32 v10, 1, v44
	v_add_u32_e32 v22, 3, v22
	v_cmp_eq_u32_e32 vcc, 1, v20
	v_cndmask_b32_e32 v11, v22, v11, vcc
	v_cmp_eq_u32_e32 vcc, 1, v10
	v_cndmask_b32_e32 v1, v11, v1, vcc
	v_lshlrev_b32_e32 v1, 2, v1
	v_sub_u32_e32 v11, v31, v9
	ds_write_b32 v1, v21
	v_sub_u32_e32 v1, v32, v8
	v_add_u32_e32 v11, v11, v6
	v_add_u32_e32 v21, v1, v11
	v_and_b32_e32 v20, 1, v45
	v_sub_u32_e32 v21, v36, v21
	v_and_b32_e32 v10, 1, v46
	v_add_u32_e32 v21, 4, v21
	v_cmp_eq_u32_e32 vcc, 1, v20
	v_cndmask_b32_e32 v11, v21, v11, vcc
	v_cmp_eq_u32_e32 vcc, 1, v10
	v_cndmask_b32_e32 v1, v11, v1, vcc
	v_lshlrev_b32_e32 v1, 2, v1
	v_sub_u32_e32 v11, v61, v9
	ds_write_b32 v1, v18
	v_sub_u32_e32 v1, v33, v8
	v_add_u32_e32 v11, v11, v6
	v_add_u32_e32 v20, v1, v11
	v_and_b32_e32 v18, 1, v47
	v_sub_u32_e32 v20, v36, v20
	v_and_b32_e32 v10, 1, v48
	v_add_u32_e32 v20, 5, v20
	v_cmp_eq_u32_e32 vcc, 1, v18
	v_cndmask_b32_e32 v11, v20, v11, vcc
	v_cmp_eq_u32_e32 vcc, 1, v10
	v_cndmask_b32_e32 v1, v11, v1, vcc
	v_lshlrev_b32_e32 v1, 2, v1
	v_sub_u32_e32 v11, v62, v9
	ds_write_b32 v1, v19
	v_sub_u32_e32 v1, v63, v8
	v_add_u32_e32 v11, v11, v6
	v_add_u32_e32 v19, v1, v11
	v_and_b32_e32 v18, 1, v49
	v_sub_u32_e32 v19, v36, v19
	v_and_b32_e32 v10, 1, v50
	v_add_u32_e32 v19, 6, v19
	v_cmp_eq_u32_e32 vcc, 1, v18
	v_cndmask_b32_e32 v11, v19, v11, vcc
	v_cmp_eq_u32_e32 vcc, 1, v10
	v_cndmask_b32_e32 v1, v11, v1, vcc
	v_lshlrev_b32_e32 v1, 2, v1
	v_sub_u32_e32 v11, v68, v9
	ds_write_b32 v1, v16
	v_sub_u32_e32 v1, v67, v8
	v_add_u32_e32 v11, v11, v6
	v_add_u32_e32 v18, v1, v11
	v_and_b32_e32 v16, 1, v51
	v_sub_u32_e32 v18, v36, v18
	v_and_b32_e32 v10, 1, v52
	v_add_u32_e32 v18, 7, v18
	v_cmp_eq_u32_e32 vcc, 1, v16
	v_cndmask_b32_e32 v11, v18, v11, vcc
	v_cmp_eq_u32_e32 vcc, 1, v10
	v_cndmask_b32_e32 v1, v11, v1, vcc
	v_lshlrev_b32_e32 v1, 2, v1
	v_sub_u32_e32 v11, v69, v9
	ds_write_b32 v1, v17
	v_sub_u32_e32 v1, v64, v8
	v_add_u32_e32 v11, v11, v6
	v_add_u32_e32 v17, v1, v11
	v_and_b32_e32 v16, 1, v53
	v_sub_u32_e32 v17, v36, v17
	v_and_b32_e32 v10, 1, v54
	v_add_u32_e32 v17, 8, v17
	v_cmp_eq_u32_e32 vcc, 1, v16
	v_cndmask_b32_e32 v11, v17, v11, vcc
	v_cmp_eq_u32_e32 vcc, 1, v10
	v_cndmask_b32_e32 v1, v11, v1, vcc
	v_lshlrev_b32_e32 v1, 2, v1
	v_sub_u32_e32 v11, v71, v9
	ds_write_b32 v1, v14
	v_sub_u32_e32 v1, v70, v8
	v_add_u32_e32 v11, v11, v6
	v_add_u32_e32 v16, v1, v11
	v_and_b32_e32 v14, 1, v55
	v_sub_u32_e32 v16, v36, v16
	v_and_b32_e32 v10, 1, v56
	v_add_u32_e32 v16, 9, v16
	v_cmp_eq_u32_e32 vcc, 1, v14
	v_cndmask_b32_e32 v11, v16, v11, vcc
	v_cmp_eq_u32_e32 vcc, 1, v10
	v_add_u32_e32 v72, v71, v83
	v_cndmask_b32_e32 v1, v11, v1, vcc
	v_lshlrev_b32_e32 v1, 2, v1
	v_sub_u32_e32 v11, v72, v9
	ds_write_b32 v1, v15
	v_sub_u32_e32 v1, v65, v8
	v_add_u32_e32 v11, v11, v6
	v_add_u32_e32 v15, v1, v11
	v_and_b32_e32 v14, 1, v57
	v_sub_u32_e32 v15, v36, v15
	v_and_b32_e32 v10, 1, v58
	v_add_u32_e32 v15, 10, v15
	v_cmp_eq_u32_e32 vcc, 1, v14
	v_cndmask_b32_e32 v11, v15, v11, vcc
	v_cmp_eq_u32_e32 vcc, 1, v10
	v_add_u32_e32 v74, v72, v78
	v_cndmask_b32_e32 v1, v11, v1, vcc
	v_lshlrev_b32_e32 v1, 2, v1
	v_sub_u32_e32 v11, v74, v9
	ds_write_b32 v1, v12
	v_sub_u32_e32 v1, v73, v8
	v_add_u32_e32 v11, v11, v6
	v_add_u32_e32 v14, v1, v11
	v_and_b32_e32 v12, 1, v59
	v_sub_u32_e32 v14, v36, v14
	v_and_b32_e32 v10, 1, v60
	v_add_u32_e32 v14, 11, v14
	v_cmp_eq_u32_e32 vcc, 1, v12
	v_cndmask_b32_e32 v11, v14, v11, vcc
	v_cmp_eq_u32_e32 vcc, 1, v10
	v_cndmask_b32_e32 v1, v11, v1, vcc
	v_add_u32_e32 v75, v74, v84
	v_add_u32_e32 v66, v73, v66
	v_lshlrev_b32_e32 v1, 2, v1
	ds_write_b32 v1, v13
	v_sub_u32_e32 v1, v66, v8
	v_sub_u32_e32 v8, v75, v9
	v_add_u32_e32 v8, v8, v6
	v_add_u32_e32 v10, v1, v8
	v_sub_u32_e32 v10, v36, v10
	v_add_u32_e32 v10, 12, v10
	v_cndmask_b32_e64 v8, v10, v8, s[54:55]
	v_cndmask_b32_e64 v1, v8, v1, s[52:53]
	v_lshlrev_b32_e32 v1, 2, v1
	ds_write_b32 v1, v35
	v_mov_b32_e32 v1, s49
	v_add_co_u32_e32 v8, vcc, s48, v34
	v_addc_co_u32_e32 v10, vcc, 0, v1, vcc
	v_add_co_u32_e32 v1, vcc, v7, v76
	v_addc_co_u32_e64 v11, s[4:5], 0, 0, vcc
	v_add_co_u32_e32 v1, vcc, v1, v24
	v_addc_co_u32_e32 v11, vcc, v11, v25, vcc
	v_add_co_u32_e32 v1, vcc, v1, v2
	v_addc_co_u32_e32 v11, vcc, v11, v3, vcc
	v_sub_co_u32_e32 v1, vcc, v8, v1
	v_subb_co_u32_e32 v8, vcc, v10, v11, vcc
	v_lshlrev_b64 v[10:11], 2, v[24:25]
	v_mov_b32_e32 v12, s47
	v_add_co_u32_e32 v10, vcc, s46, v10
	v_addc_co_u32_e32 v11, vcc, v12, v11, vcc
	v_lshlrev_b64 v[12:13], 2, v[2:3]
	v_mov_b32_e32 v15, s45
	v_add_co_u32_e32 v12, vcc, s44, v12
	s_add_u32 s8, s34, -4
	v_addc_co_u32_e32 v13, vcc, v15, v13, vcc
	s_addc_u32 s9, s35, -1
	v_add_u32_e32 v14, v6, v7
	s_and_b64 vcc, exec, s[2:3]
	s_mov_b64 s[2:3], -1
	s_waitcnt lgkmcnt(0)
	s_barrier
	s_cbranch_vccz .LBB1062_137
; %bb.134:
	s_and_b64 vcc, exec, s[2:3]
	s_cbranch_vccnz .LBB1062_242
.LBB1062_135:
	s_and_b64 s[0:1], s[0:1], s[30:31]
	s_and_saveexec_b64 s[2:3], s[0:1]
	s_cbranch_execnz .LBB1062_360
.LBB1062_136:
	s_endpgm
.LBB1062_137:
	v_cmp_le_u32_e32 vcc, v6, v0
	s_and_saveexec_b64 s[2:3], vcc
	s_xor_b64 s[2:3], exec, s[2:3]
	s_cbranch_execz .LBB1062_143
; %bb.138:
	v_cmp_le_u32_e32 vcc, v14, v0
	s_and_saveexec_b64 s[4:5], vcc
	s_xor_b64 s[4:5], exec, s[4:5]
	s_cbranch_execz .LBB1062_140
; %bb.139:
	v_lshlrev_b32_e32 v15, 2, v0
	v_add_co_u32_e32 v16, vcc, v1, v0
	ds_read_b32 v15, v15
	v_addc_co_u32_e32 v17, vcc, 0, v8, vcc
	v_lshlrev_b64 v[16:17], 2, v[16:17]
	v_mov_b32_e32 v18, s35
	v_sub_co_u32_e32 v16, vcc, s34, v16
	v_subb_co_u32_e32 v17, vcc, v18, v17, vcc
	s_waitcnt lgkmcnt(0)
	global_store_dword v[16:17], v15, off offset:-4
.LBB1062_140:
	s_andn2_saveexec_b64 s[4:5], s[4:5]
	s_cbranch_execz .LBB1062_142
; %bb.141:
	v_lshlrev_b32_e32 v15, 2, v0
	ds_read_b32 v16, v15
	v_readfirstlane_b32 s6, v10
	v_readfirstlane_b32 s7, v11
	s_waitcnt lgkmcnt(0)
	s_nop 3
	global_store_dword v15, v16, s[6:7]
.LBB1062_142:
	s_or_b64 exec, exec, s[4:5]
.LBB1062_143:
	s_andn2_saveexec_b64 s[2:3], s[2:3]
	s_cbranch_execz .LBB1062_145
; %bb.144:
	v_lshlrev_b32_e32 v15, 2, v0
	ds_read_b32 v16, v15
	v_readfirstlane_b32 s4, v12
	v_readfirstlane_b32 s5, v13
	s_waitcnt lgkmcnt(0)
	s_nop 3
	global_store_dword v15, v16, s[4:5]
.LBB1062_145:
	s_or_b64 exec, exec, s[2:3]
	v_or_b32_e32 v15, 0x100, v0
	v_cmp_le_u32_e32 vcc, v6, v15
	s_and_saveexec_b64 s[2:3], vcc
	s_xor_b64 s[2:3], exec, s[2:3]
	s_cbranch_execz .LBB1062_151
; %bb.146:
	v_cmp_le_u32_e32 vcc, v14, v15
	s_and_saveexec_b64 s[4:5], vcc
	s_xor_b64 s[4:5], exec, s[4:5]
	s_cbranch_execz .LBB1062_148
; %bb.147:
	v_lshlrev_b32_e32 v15, 2, v0
	ds_read_b32 v15, v15 offset:1024
	v_add_co_u32_e32 v16, vcc, v1, v0
	v_addc_co_u32_e32 v17, vcc, 0, v8, vcc
	v_lshlrev_b64 v[16:17], 2, v[16:17]
	v_mov_b32_e32 v18, s9
	v_sub_co_u32_e32 v16, vcc, s8, v16
	v_subb_co_u32_e32 v17, vcc, v18, v17, vcc
	s_waitcnt lgkmcnt(0)
	global_store_dword v[16:17], v15, off offset:-1024
.LBB1062_148:
	s_andn2_saveexec_b64 s[4:5], s[4:5]
	s_cbranch_execz .LBB1062_150
; %bb.149:
	v_lshlrev_b32_e32 v15, 2, v0
	ds_read_b32 v16, v15 offset:1024
	v_readfirstlane_b32 s6, v10
	v_readfirstlane_b32 s7, v11
	s_waitcnt lgkmcnt(0)
	s_nop 3
	global_store_dword v15, v16, s[6:7] offset:1024
.LBB1062_150:
	s_or_b64 exec, exec, s[4:5]
.LBB1062_151:
	s_andn2_saveexec_b64 s[2:3], s[2:3]
	s_cbranch_execz .LBB1062_153
; %bb.152:
	v_lshlrev_b32_e32 v15, 2, v0
	ds_read_b32 v16, v15 offset:1024
	v_readfirstlane_b32 s4, v12
	v_readfirstlane_b32 s5, v13
	s_waitcnt lgkmcnt(0)
	s_nop 3
	global_store_dword v15, v16, s[4:5] offset:1024
.LBB1062_153:
	s_or_b64 exec, exec, s[2:3]
	v_or_b32_e32 v15, 0x200, v0
	v_cmp_le_u32_e32 vcc, v6, v15
	s_and_saveexec_b64 s[2:3], vcc
	s_xor_b64 s[2:3], exec, s[2:3]
	s_cbranch_execz .LBB1062_159
; %bb.154:
	v_cmp_le_u32_e32 vcc, v14, v15
	s_and_saveexec_b64 s[4:5], vcc
	s_xor_b64 s[4:5], exec, s[4:5]
	s_cbranch_execz .LBB1062_156
; %bb.155:
	v_lshlrev_b32_e32 v15, 2, v0
	ds_read_b32 v15, v15 offset:2048
	v_add_co_u32_e32 v16, vcc, v1, v0
	v_addc_co_u32_e32 v17, vcc, 0, v8, vcc
	v_lshlrev_b64 v[16:17], 2, v[16:17]
	v_mov_b32_e32 v18, s9
	v_sub_co_u32_e32 v16, vcc, s8, v16
	v_subb_co_u32_e32 v17, vcc, v18, v17, vcc
	s_waitcnt lgkmcnt(0)
	global_store_dword v[16:17], v15, off offset:-2048
.LBB1062_156:
	s_andn2_saveexec_b64 s[4:5], s[4:5]
	s_cbranch_execz .LBB1062_158
; %bb.157:
	v_lshlrev_b32_e32 v15, 2, v0
	ds_read_b32 v16, v15 offset:2048
	v_readfirstlane_b32 s6, v10
	v_readfirstlane_b32 s7, v11
	s_waitcnt lgkmcnt(0)
	s_nop 3
	global_store_dword v15, v16, s[6:7] offset:2048
.LBB1062_158:
	s_or_b64 exec, exec, s[4:5]
.LBB1062_159:
	s_andn2_saveexec_b64 s[2:3], s[2:3]
	s_cbranch_execz .LBB1062_161
; %bb.160:
	v_lshlrev_b32_e32 v15, 2, v0
	ds_read_b32 v16, v15 offset:2048
	v_readfirstlane_b32 s4, v12
	v_readfirstlane_b32 s5, v13
	s_waitcnt lgkmcnt(0)
	s_nop 3
	global_store_dword v15, v16, s[4:5] offset:2048
.LBB1062_161:
	;; [unrolled: 47-line block ×3, first 2 shown]
	s_or_b64 exec, exec, s[2:3]
	v_or_b32_e32 v15, 0x400, v0
	v_cmp_le_u32_e32 vcc, v6, v15
	s_and_saveexec_b64 s[2:3], vcc
	s_xor_b64 s[2:3], exec, s[2:3]
	s_cbranch_execz .LBB1062_175
; %bb.170:
	v_cmp_le_u32_e32 vcc, v14, v15
	s_and_saveexec_b64 s[4:5], vcc
	s_xor_b64 s[4:5], exec, s[4:5]
	s_cbranch_execz .LBB1062_172
; %bb.171:
	v_lshlrev_b32_e32 v15, 2, v0
	ds_read_b32 v15, v15 offset:4096
	v_add_co_u32_e32 v16, vcc, v1, v0
	v_addc_co_u32_e32 v17, vcc, 0, v8, vcc
	v_lshlrev_b64 v[16:17], 2, v[16:17]
	v_mov_b32_e32 v18, s9
	v_sub_co_u32_e32 v16, vcc, s8, v16
	v_subb_co_u32_e32 v17, vcc, v18, v17, vcc
	s_waitcnt lgkmcnt(0)
	global_store_dword v[16:17], v15, off offset:-4096
                                        ; implicit-def: $vgpr15
.LBB1062_172:
	s_andn2_saveexec_b64 s[4:5], s[4:5]
	s_cbranch_execz .LBB1062_174
; %bb.173:
	v_lshlrev_b32_e32 v16, 2, v0
	ds_read_b32 v16, v16 offset:4096
	v_lshlrev_b32_e32 v15, 2, v15
	v_readfirstlane_b32 s6, v10
	v_readfirstlane_b32 s7, v11
	s_waitcnt lgkmcnt(0)
	s_nop 3
	global_store_dword v15, v16, s[6:7]
.LBB1062_174:
	s_or_b64 exec, exec, s[4:5]
                                        ; implicit-def: $vgpr15
.LBB1062_175:
	s_andn2_saveexec_b64 s[2:3], s[2:3]
	s_cbranch_execz .LBB1062_177
; %bb.176:
	v_lshlrev_b32_e32 v16, 2, v0
	ds_read_b32 v16, v16 offset:4096
	v_lshlrev_b32_e32 v15, 2, v15
	v_readfirstlane_b32 s4, v12
	v_readfirstlane_b32 s5, v13
	s_waitcnt lgkmcnt(0)
	s_nop 3
	global_store_dword v15, v16, s[4:5]
.LBB1062_177:
	s_or_b64 exec, exec, s[2:3]
	v_or_b32_e32 v15, 0x500, v0
	v_cmp_le_u32_e32 vcc, v6, v15
	s_and_saveexec_b64 s[2:3], vcc
	s_xor_b64 s[2:3], exec, s[2:3]
	s_cbranch_execz .LBB1062_183
; %bb.178:
	v_cmp_le_u32_e32 vcc, v14, v15
	s_and_saveexec_b64 s[4:5], vcc
	s_xor_b64 s[4:5], exec, s[4:5]
	s_cbranch_execz .LBB1062_180
; %bb.179:
	v_add_co_u32_e32 v16, vcc, v1, v15
	v_lshlrev_b32_e32 v15, 2, v0
	ds_read_b32 v15, v15 offset:5120
	v_addc_co_u32_e32 v17, vcc, 0, v8, vcc
	v_lshlrev_b64 v[16:17], 2, v[16:17]
	v_mov_b32_e32 v18, s9
	v_sub_co_u32_e32 v16, vcc, s8, v16
	v_subb_co_u32_e32 v17, vcc, v18, v17, vcc
	s_waitcnt lgkmcnt(0)
	global_store_dword v[16:17], v15, off
                                        ; implicit-def: $vgpr15
.LBB1062_180:
	s_andn2_saveexec_b64 s[4:5], s[4:5]
	s_cbranch_execz .LBB1062_182
; %bb.181:
	v_lshlrev_b32_e32 v16, 2, v0
	ds_read_b32 v16, v16 offset:5120
	v_lshlrev_b32_e32 v15, 2, v15
	v_readfirstlane_b32 s6, v10
	v_readfirstlane_b32 s7, v11
	s_waitcnt lgkmcnt(0)
	s_nop 3
	global_store_dword v15, v16, s[6:7]
.LBB1062_182:
	s_or_b64 exec, exec, s[4:5]
                                        ; implicit-def: $vgpr15
.LBB1062_183:
	s_andn2_saveexec_b64 s[2:3], s[2:3]
	s_cbranch_execz .LBB1062_185
; %bb.184:
	v_lshlrev_b32_e32 v16, 2, v0
	ds_read_b32 v16, v16 offset:5120
	v_lshlrev_b32_e32 v15, 2, v15
	v_readfirstlane_b32 s4, v12
	v_readfirstlane_b32 s5, v13
	s_waitcnt lgkmcnt(0)
	s_nop 3
	global_store_dword v15, v16, s[4:5]
.LBB1062_185:
	s_or_b64 exec, exec, s[2:3]
	v_or_b32_e32 v15, 0x600, v0
	v_cmp_le_u32_e32 vcc, v6, v15
	s_and_saveexec_b64 s[2:3], vcc
	s_xor_b64 s[2:3], exec, s[2:3]
	s_cbranch_execz .LBB1062_191
; %bb.186:
	v_cmp_le_u32_e32 vcc, v14, v15
	s_and_saveexec_b64 s[4:5], vcc
	s_xor_b64 s[4:5], exec, s[4:5]
	s_cbranch_execz .LBB1062_188
; %bb.187:
	v_add_co_u32_e32 v16, vcc, v1, v15
	v_lshlrev_b32_e32 v15, 2, v0
	ds_read_b32 v15, v15 offset:6144
	v_addc_co_u32_e32 v17, vcc, 0, v8, vcc
	v_lshlrev_b64 v[16:17], 2, v[16:17]
	v_mov_b32_e32 v18, s9
	v_sub_co_u32_e32 v16, vcc, s8, v16
	v_subb_co_u32_e32 v17, vcc, v18, v17, vcc
	s_waitcnt lgkmcnt(0)
	global_store_dword v[16:17], v15, off
                                        ; implicit-def: $vgpr15
.LBB1062_188:
	s_andn2_saveexec_b64 s[4:5], s[4:5]
	s_cbranch_execz .LBB1062_190
; %bb.189:
	v_lshlrev_b32_e32 v16, 2, v0
	ds_read_b32 v16, v16 offset:6144
	v_lshlrev_b32_e32 v15, 2, v15
	v_readfirstlane_b32 s6, v10
	v_readfirstlane_b32 s7, v11
	s_waitcnt lgkmcnt(0)
	s_nop 3
	global_store_dword v15, v16, s[6:7]
.LBB1062_190:
	s_or_b64 exec, exec, s[4:5]
                                        ; implicit-def: $vgpr15
.LBB1062_191:
	;; [unrolled: 51-line block ×8, first 2 shown]
	s_andn2_saveexec_b64 s[2:3], s[2:3]
	s_cbranch_execz .LBB1062_241
; %bb.240:
	v_lshlrev_b32_e32 v16, 2, v0
	ds_read_b32 v16, v16 offset:12288
	v_lshlrev_b32_e32 v15, 2, v15
	v_readfirstlane_b32 s4, v12
	v_readfirstlane_b32 s5, v13
	s_waitcnt lgkmcnt(0)
	s_nop 3
	global_store_dword v15, v16, s[4:5]
.LBB1062_241:
	s_or_b64 exec, exec, s[2:3]
	s_branch .LBB1062_135
.LBB1062_242:
	v_cmp_gt_u32_e32 vcc, s16, v0
	s_and_saveexec_b64 s[2:3], vcc
	s_cbranch_execz .LBB1062_251
; %bb.243:
	v_cmp_le_u32_e32 vcc, v6, v0
	s_and_saveexec_b64 s[4:5], vcc
	s_xor_b64 s[4:5], exec, s[4:5]
	s_cbranch_execz .LBB1062_249
; %bb.244:
	v_cmp_le_u32_e32 vcc, v14, v0
	s_and_saveexec_b64 s[6:7], vcc
	s_xor_b64 s[6:7], exec, s[6:7]
	s_cbranch_execz .LBB1062_246
; %bb.245:
	v_lshlrev_b32_e32 v15, 2, v0
	v_add_co_u32_e32 v16, vcc, v1, v0
	ds_read_b32 v15, v15
	v_addc_co_u32_e32 v17, vcc, 0, v8, vcc
	v_lshlrev_b64 v[16:17], 2, v[16:17]
	v_mov_b32_e32 v18, s35
	v_sub_co_u32_e32 v16, vcc, s34, v16
	v_subb_co_u32_e32 v17, vcc, v18, v17, vcc
	s_waitcnt lgkmcnt(0)
	global_store_dword v[16:17], v15, off offset:-4
.LBB1062_246:
	s_andn2_saveexec_b64 s[6:7], s[6:7]
	s_cbranch_execz .LBB1062_248
; %bb.247:
	v_lshlrev_b32_e32 v15, 2, v0
	ds_read_b32 v16, v15
	v_readfirstlane_b32 s10, v10
	v_readfirstlane_b32 s11, v11
	s_waitcnt lgkmcnt(0)
	s_nop 3
	global_store_dword v15, v16, s[10:11]
.LBB1062_248:
	s_or_b64 exec, exec, s[6:7]
.LBB1062_249:
	s_andn2_saveexec_b64 s[4:5], s[4:5]
	s_cbranch_execz .LBB1062_251
; %bb.250:
	v_lshlrev_b32_e32 v15, 2, v0
	ds_read_b32 v16, v15
	v_readfirstlane_b32 s4, v12
	v_readfirstlane_b32 s5, v13
	s_waitcnt lgkmcnt(0)
	s_nop 3
	global_store_dword v15, v16, s[4:5]
.LBB1062_251:
	s_or_b64 exec, exec, s[2:3]
	v_or_b32_e32 v15, 0x100, v0
	v_cmp_gt_u32_e32 vcc, s16, v15
	s_and_saveexec_b64 s[2:3], vcc
	s_cbranch_execz .LBB1062_260
; %bb.252:
	v_cmp_le_u32_e32 vcc, v6, v15
	s_and_saveexec_b64 s[4:5], vcc
	s_xor_b64 s[4:5], exec, s[4:5]
	s_cbranch_execz .LBB1062_258
; %bb.253:
	v_cmp_le_u32_e32 vcc, v14, v15
	s_and_saveexec_b64 s[6:7], vcc
	s_xor_b64 s[6:7], exec, s[6:7]
	s_cbranch_execz .LBB1062_255
; %bb.254:
	v_lshlrev_b32_e32 v15, 2, v0
	ds_read_b32 v15, v15 offset:1024
	v_add_co_u32_e32 v16, vcc, v1, v0
	v_addc_co_u32_e32 v17, vcc, 0, v8, vcc
	v_lshlrev_b64 v[16:17], 2, v[16:17]
	v_mov_b32_e32 v18, s9
	v_sub_co_u32_e32 v16, vcc, s8, v16
	v_subb_co_u32_e32 v17, vcc, v18, v17, vcc
	s_waitcnt lgkmcnt(0)
	global_store_dword v[16:17], v15, off offset:-1024
.LBB1062_255:
	s_andn2_saveexec_b64 s[6:7], s[6:7]
	s_cbranch_execz .LBB1062_257
; %bb.256:
	v_lshlrev_b32_e32 v15, 2, v0
	ds_read_b32 v16, v15 offset:1024
	v_readfirstlane_b32 s10, v10
	v_readfirstlane_b32 s11, v11
	s_waitcnt lgkmcnt(0)
	s_nop 3
	global_store_dword v15, v16, s[10:11] offset:1024
.LBB1062_257:
	s_or_b64 exec, exec, s[6:7]
.LBB1062_258:
	s_andn2_saveexec_b64 s[4:5], s[4:5]
	s_cbranch_execz .LBB1062_260
; %bb.259:
	v_lshlrev_b32_e32 v15, 2, v0
	ds_read_b32 v16, v15 offset:1024
	v_readfirstlane_b32 s4, v12
	v_readfirstlane_b32 s5, v13
	s_waitcnt lgkmcnt(0)
	s_nop 3
	global_store_dword v15, v16, s[4:5] offset:1024
.LBB1062_260:
	s_or_b64 exec, exec, s[2:3]
	v_or_b32_e32 v15, 0x200, v0
	v_cmp_gt_u32_e32 vcc, s16, v15
	s_and_saveexec_b64 s[2:3], vcc
	s_cbranch_execz .LBB1062_269
; %bb.261:
	v_cmp_le_u32_e32 vcc, v6, v15
	s_and_saveexec_b64 s[4:5], vcc
	s_xor_b64 s[4:5], exec, s[4:5]
	s_cbranch_execz .LBB1062_267
; %bb.262:
	v_cmp_le_u32_e32 vcc, v14, v15
	s_and_saveexec_b64 s[6:7], vcc
	s_xor_b64 s[6:7], exec, s[6:7]
	s_cbranch_execz .LBB1062_264
; %bb.263:
	v_lshlrev_b32_e32 v15, 2, v0
	ds_read_b32 v15, v15 offset:2048
	v_add_co_u32_e32 v16, vcc, v1, v0
	v_addc_co_u32_e32 v17, vcc, 0, v8, vcc
	v_lshlrev_b64 v[16:17], 2, v[16:17]
	v_mov_b32_e32 v18, s9
	v_sub_co_u32_e32 v16, vcc, s8, v16
	v_subb_co_u32_e32 v17, vcc, v18, v17, vcc
	s_waitcnt lgkmcnt(0)
	global_store_dword v[16:17], v15, off offset:-2048
.LBB1062_264:
	s_andn2_saveexec_b64 s[6:7], s[6:7]
	s_cbranch_execz .LBB1062_266
; %bb.265:
	v_lshlrev_b32_e32 v15, 2, v0
	ds_read_b32 v16, v15 offset:2048
	v_readfirstlane_b32 s10, v10
	v_readfirstlane_b32 s11, v11
	s_waitcnt lgkmcnt(0)
	s_nop 3
	global_store_dword v15, v16, s[10:11] offset:2048
.LBB1062_266:
	s_or_b64 exec, exec, s[6:7]
.LBB1062_267:
	s_andn2_saveexec_b64 s[4:5], s[4:5]
	s_cbranch_execz .LBB1062_269
; %bb.268:
	v_lshlrev_b32_e32 v15, 2, v0
	ds_read_b32 v16, v15 offset:2048
	v_readfirstlane_b32 s4, v12
	v_readfirstlane_b32 s5, v13
	s_waitcnt lgkmcnt(0)
	s_nop 3
	global_store_dword v15, v16, s[4:5] offset:2048
.LBB1062_269:
	;; [unrolled: 51-line block ×3, first 2 shown]
	s_or_b64 exec, exec, s[2:3]
	v_or_b32_e32 v15, 0x400, v0
	v_cmp_gt_u32_e32 vcc, s16, v15
	s_and_saveexec_b64 s[2:3], vcc
	s_cbranch_execz .LBB1062_287
; %bb.279:
	v_cmp_le_u32_e32 vcc, v6, v15
	s_and_saveexec_b64 s[4:5], vcc
	s_xor_b64 s[4:5], exec, s[4:5]
	s_cbranch_execz .LBB1062_285
; %bb.280:
	v_cmp_le_u32_e32 vcc, v14, v15
	s_and_saveexec_b64 s[6:7], vcc
	s_xor_b64 s[6:7], exec, s[6:7]
	s_cbranch_execz .LBB1062_282
; %bb.281:
	v_lshlrev_b32_e32 v15, 2, v0
	ds_read_b32 v15, v15 offset:4096
	v_add_co_u32_e32 v16, vcc, v1, v0
	v_addc_co_u32_e32 v17, vcc, 0, v8, vcc
	v_lshlrev_b64 v[16:17], 2, v[16:17]
	v_mov_b32_e32 v18, s9
	v_sub_co_u32_e32 v16, vcc, s8, v16
	v_subb_co_u32_e32 v17, vcc, v18, v17, vcc
	s_waitcnt lgkmcnt(0)
	global_store_dword v[16:17], v15, off offset:-4096
                                        ; implicit-def: $vgpr15
.LBB1062_282:
	s_andn2_saveexec_b64 s[6:7], s[6:7]
	s_cbranch_execz .LBB1062_284
; %bb.283:
	v_lshlrev_b32_e32 v16, 2, v0
	ds_read_b32 v16, v16 offset:4096
	v_lshlrev_b32_e32 v15, 2, v15
	v_readfirstlane_b32 s10, v10
	v_readfirstlane_b32 s11, v11
	s_waitcnt lgkmcnt(0)
	s_nop 3
	global_store_dword v15, v16, s[10:11]
.LBB1062_284:
	s_or_b64 exec, exec, s[6:7]
                                        ; implicit-def: $vgpr15
.LBB1062_285:
	s_andn2_saveexec_b64 s[4:5], s[4:5]
	s_cbranch_execz .LBB1062_287
; %bb.286:
	v_lshlrev_b32_e32 v16, 2, v0
	ds_read_b32 v16, v16 offset:4096
	v_lshlrev_b32_e32 v15, 2, v15
	v_readfirstlane_b32 s4, v12
	v_readfirstlane_b32 s5, v13
	s_waitcnt lgkmcnt(0)
	s_nop 3
	global_store_dword v15, v16, s[4:5]
.LBB1062_287:
	s_or_b64 exec, exec, s[2:3]
	v_or_b32_e32 v15, 0x500, v0
	v_cmp_gt_u32_e32 vcc, s16, v15
	s_and_saveexec_b64 s[2:3], vcc
	s_cbranch_execz .LBB1062_296
; %bb.288:
	v_cmp_le_u32_e32 vcc, v6, v15
	s_and_saveexec_b64 s[4:5], vcc
	s_xor_b64 s[4:5], exec, s[4:5]
	s_cbranch_execz .LBB1062_294
; %bb.289:
	v_cmp_le_u32_e32 vcc, v14, v15
	s_and_saveexec_b64 s[6:7], vcc
	s_xor_b64 s[6:7], exec, s[6:7]
	s_cbranch_execz .LBB1062_291
; %bb.290:
	v_add_co_u32_e32 v16, vcc, v1, v15
	v_lshlrev_b32_e32 v15, 2, v0
	ds_read_b32 v15, v15 offset:5120
	v_addc_co_u32_e32 v17, vcc, 0, v8, vcc
	v_lshlrev_b64 v[16:17], 2, v[16:17]
	v_mov_b32_e32 v18, s9
	v_sub_co_u32_e32 v16, vcc, s8, v16
	v_subb_co_u32_e32 v17, vcc, v18, v17, vcc
	s_waitcnt lgkmcnt(0)
	global_store_dword v[16:17], v15, off
                                        ; implicit-def: $vgpr15
.LBB1062_291:
	s_andn2_saveexec_b64 s[6:7], s[6:7]
	s_cbranch_execz .LBB1062_293
; %bb.292:
	v_lshlrev_b32_e32 v16, 2, v0
	ds_read_b32 v16, v16 offset:5120
	v_lshlrev_b32_e32 v15, 2, v15
	v_readfirstlane_b32 s10, v10
	v_readfirstlane_b32 s11, v11
	s_waitcnt lgkmcnt(0)
	s_nop 3
	global_store_dword v15, v16, s[10:11]
.LBB1062_293:
	s_or_b64 exec, exec, s[6:7]
                                        ; implicit-def: $vgpr15
.LBB1062_294:
	s_andn2_saveexec_b64 s[4:5], s[4:5]
	s_cbranch_execz .LBB1062_296
; %bb.295:
	v_lshlrev_b32_e32 v16, 2, v0
	ds_read_b32 v16, v16 offset:5120
	v_lshlrev_b32_e32 v15, 2, v15
	v_readfirstlane_b32 s4, v12
	v_readfirstlane_b32 s5, v13
	s_waitcnt lgkmcnt(0)
	s_nop 3
	global_store_dword v15, v16, s[4:5]
.LBB1062_296:
	s_or_b64 exec, exec, s[2:3]
	v_or_b32_e32 v15, 0x600, v0
	v_cmp_gt_u32_e32 vcc, s16, v15
	s_and_saveexec_b64 s[2:3], vcc
	s_cbranch_execz .LBB1062_305
; %bb.297:
	v_cmp_le_u32_e32 vcc, v6, v15
	s_and_saveexec_b64 s[4:5], vcc
	s_xor_b64 s[4:5], exec, s[4:5]
	s_cbranch_execz .LBB1062_303
; %bb.298:
	v_cmp_le_u32_e32 vcc, v14, v15
	s_and_saveexec_b64 s[6:7], vcc
	s_xor_b64 s[6:7], exec, s[6:7]
	s_cbranch_execz .LBB1062_300
; %bb.299:
	v_add_co_u32_e32 v16, vcc, v1, v15
	v_lshlrev_b32_e32 v15, 2, v0
	ds_read_b32 v15, v15 offset:6144
	v_addc_co_u32_e32 v17, vcc, 0, v8, vcc
	v_lshlrev_b64 v[16:17], 2, v[16:17]
	v_mov_b32_e32 v18, s9
	v_sub_co_u32_e32 v16, vcc, s8, v16
	v_subb_co_u32_e32 v17, vcc, v18, v17, vcc
	s_waitcnt lgkmcnt(0)
	global_store_dword v[16:17], v15, off
                                        ; implicit-def: $vgpr15
.LBB1062_300:
	s_andn2_saveexec_b64 s[6:7], s[6:7]
	s_cbranch_execz .LBB1062_302
; %bb.301:
	v_lshlrev_b32_e32 v16, 2, v0
	ds_read_b32 v16, v16 offset:6144
	v_lshlrev_b32_e32 v15, 2, v15
	v_readfirstlane_b32 s10, v10
	v_readfirstlane_b32 s11, v11
	s_waitcnt lgkmcnt(0)
	s_nop 3
	global_store_dword v15, v16, s[10:11]
.LBB1062_302:
	s_or_b64 exec, exec, s[6:7]
                                        ; implicit-def: $vgpr15
.LBB1062_303:
	s_andn2_saveexec_b64 s[4:5], s[4:5]
	s_cbranch_execz .LBB1062_305
; %bb.304:
	v_lshlrev_b32_e32 v16, 2, v0
	ds_read_b32 v16, v16 offset:6144
	v_lshlrev_b32_e32 v15, 2, v15
	v_readfirstlane_b32 s4, v12
	v_readfirstlane_b32 s5, v13
	s_waitcnt lgkmcnt(0)
	s_nop 3
	global_store_dword v15, v16, s[4:5]
.LBB1062_305:
	;; [unrolled: 55-line block ×7, first 2 shown]
	s_or_b64 exec, exec, s[2:3]
	v_or_b32_e32 v15, 0xc00, v0
	v_cmp_gt_u32_e32 vcc, s16, v15
	s_and_saveexec_b64 s[2:3], vcc
	s_cbranch_execz .LBB1062_359
; %bb.351:
	v_cmp_le_u32_e32 vcc, v6, v15
	s_and_saveexec_b64 s[4:5], vcc
	s_xor_b64 s[4:5], exec, s[4:5]
	s_cbranch_execz .LBB1062_357
; %bb.352:
	v_cmp_le_u32_e32 vcc, v14, v15
	s_and_saveexec_b64 s[6:7], vcc
	s_xor_b64 s[6:7], exec, s[6:7]
	s_cbranch_execz .LBB1062_354
; %bb.353:
	v_add_co_u32_e32 v10, vcc, v1, v15
	v_lshlrev_b32_e32 v0, 2, v0
	v_addc_co_u32_e32 v11, vcc, 0, v8, vcc
	ds_read_b32 v8, v0 offset:12288
	v_lshlrev_b64 v[0:1], 2, v[10:11]
	v_mov_b32_e32 v10, s9
	v_sub_co_u32_e32 v0, vcc, s8, v0
	v_subb_co_u32_e32 v1, vcc, v10, v1, vcc
	s_waitcnt lgkmcnt(0)
	global_store_dword v[0:1], v8, off
                                        ; implicit-def: $vgpr0
                                        ; implicit-def: $vgpr15
                                        ; implicit-def: $vgpr10_vgpr11
.LBB1062_354:
	s_andn2_saveexec_b64 s[6:7], s[6:7]
	s_cbranch_execz .LBB1062_356
; %bb.355:
	v_lshlrev_b32_e32 v0, 2, v0
	ds_read_b32 v0, v0 offset:12288
	v_lshlrev_b32_e32 v1, 2, v15
	v_readfirstlane_b32 s8, v10
	v_readfirstlane_b32 s9, v11
	s_waitcnt lgkmcnt(0)
	s_nop 3
	global_store_dword v1, v0, s[8:9]
.LBB1062_356:
	s_or_b64 exec, exec, s[6:7]
                                        ; implicit-def: $vgpr0
                                        ; implicit-def: $vgpr15
                                        ; implicit-def: $vgpr12_vgpr13
.LBB1062_357:
	s_andn2_saveexec_b64 s[4:5], s[4:5]
	s_cbranch_execz .LBB1062_359
; %bb.358:
	v_lshlrev_b32_e32 v0, 2, v0
	ds_read_b32 v0, v0 offset:12288
	v_lshlrev_b32_e32 v1, 2, v15
	v_readfirstlane_b32 s4, v12
	v_readfirstlane_b32 s5, v13
	s_waitcnt lgkmcnt(0)
	s_nop 3
	global_store_dword v1, v0, s[4:5]
.LBB1062_359:
	s_or_b64 exec, exec, s[2:3]
	s_and_b64 s[0:1], s[0:1], s[30:31]
	s_and_saveexec_b64 s[2:3], s[0:1]
	s_cbranch_execz .LBB1062_136
.LBB1062_360:
	v_add_co_u32_e32 v0, vcc, v2, v6
	v_addc_co_u32_e32 v1, vcc, 0, v3, vcc
	v_add_co_u32_e32 v2, vcc, v4, v7
	v_addc_co_u32_e32 v3, vcc, 0, v5, vcc
	v_add_co_u32_e32 v2, vcc, v2, v9
	v_mov_b32_e32 v8, 0
	v_addc_co_u32_e32 v3, vcc, 0, v3, vcc
	global_store_dwordx4 v8, v[0:3], s[28:29]
	s_endpgm
	.section	.rodata,"a",@progbits
	.p2align	6, 0x0
	.amdhsa_kernel _ZN7rocprim17ROCPRIM_400000_NS6detail17trampoline_kernelINS0_13select_configILj256ELj13ELNS0_17block_load_methodE3ELS4_3ELS4_3ELNS0_20block_scan_algorithmE0ELj4294967295EEENS1_25partition_config_selectorILNS1_17partition_subalgoE4EjNS0_10empty_typeEbEEZZNS1_14partition_implILS8_4ELb0ES6_15HIP_vector_typeIjLj2EENS0_17counting_iteratorIjlEEPS9_SG_NS0_5tupleIJPjSI_NS0_16reverse_iteratorISI_EEEEENSH_IJSG_SG_SG_EEES9_SI_JZNS1_25segmented_radix_sort_implINS0_14default_configELb1EPKdPdPKlPlN2at6native12_GLOBAL__N_18offset_tEEE10hipError_tPvRmT1_PNSt15iterator_traitsIS12_E10value_typeET2_T3_PNS13_IS18_E10value_typeET4_jRbjT5_S1E_jjP12ihipStream_tbEUljE_ZNSN_ISO_Lb1ESQ_SR_ST_SU_SY_EESZ_S10_S11_S12_S16_S17_S18_S1B_S1C_jS1D_jS1E_S1E_jjS1G_bEUljE0_EEESZ_S10_S11_S18_S1C_S1E_T6_T7_T9_mT8_S1G_bDpT10_ENKUlT_T0_E_clISt17integral_constantIbLb1EES1U_EEDaS1P_S1Q_EUlS1P_E_NS1_11comp_targetILNS1_3genE4ELNS1_11target_archE910ELNS1_3gpuE8ELNS1_3repE0EEENS1_30default_config_static_selectorELNS0_4arch9wavefront6targetE1EEEvS12_
		.amdhsa_group_segment_fixed_size 13340
		.amdhsa_private_segment_fixed_size 0
		.amdhsa_kernarg_size 184
		.amdhsa_user_sgpr_count 6
		.amdhsa_user_sgpr_private_segment_buffer 1
		.amdhsa_user_sgpr_dispatch_ptr 0
		.amdhsa_user_sgpr_queue_ptr 0
		.amdhsa_user_sgpr_kernarg_segment_ptr 1
		.amdhsa_user_sgpr_dispatch_id 0
		.amdhsa_user_sgpr_flat_scratch_init 0
		.amdhsa_user_sgpr_kernarg_preload_length 0
		.amdhsa_user_sgpr_kernarg_preload_offset 0
		.amdhsa_user_sgpr_private_segment_size 0
		.amdhsa_uses_dynamic_stack 0
		.amdhsa_system_sgpr_private_segment_wavefront_offset 0
		.amdhsa_system_sgpr_workgroup_id_x 1
		.amdhsa_system_sgpr_workgroup_id_y 0
		.amdhsa_system_sgpr_workgroup_id_z 0
		.amdhsa_system_sgpr_workgroup_info 0
		.amdhsa_system_vgpr_workitem_id 0
		.amdhsa_next_free_vgpr 107
		.amdhsa_next_free_sgpr 87
		.amdhsa_accum_offset 108
		.amdhsa_reserve_vcc 1
		.amdhsa_reserve_flat_scratch 0
		.amdhsa_float_round_mode_32 0
		.amdhsa_float_round_mode_16_64 0
		.amdhsa_float_denorm_mode_32 3
		.amdhsa_float_denorm_mode_16_64 3
		.amdhsa_dx10_clamp 1
		.amdhsa_ieee_mode 1
		.amdhsa_fp16_overflow 0
		.amdhsa_tg_split 0
		.amdhsa_exception_fp_ieee_invalid_op 0
		.amdhsa_exception_fp_denorm_src 0
		.amdhsa_exception_fp_ieee_div_zero 0
		.amdhsa_exception_fp_ieee_overflow 0
		.amdhsa_exception_fp_ieee_underflow 0
		.amdhsa_exception_fp_ieee_inexact 0
		.amdhsa_exception_int_div_zero 0
	.end_amdhsa_kernel
	.section	.text._ZN7rocprim17ROCPRIM_400000_NS6detail17trampoline_kernelINS0_13select_configILj256ELj13ELNS0_17block_load_methodE3ELS4_3ELS4_3ELNS0_20block_scan_algorithmE0ELj4294967295EEENS1_25partition_config_selectorILNS1_17partition_subalgoE4EjNS0_10empty_typeEbEEZZNS1_14partition_implILS8_4ELb0ES6_15HIP_vector_typeIjLj2EENS0_17counting_iteratorIjlEEPS9_SG_NS0_5tupleIJPjSI_NS0_16reverse_iteratorISI_EEEEENSH_IJSG_SG_SG_EEES9_SI_JZNS1_25segmented_radix_sort_implINS0_14default_configELb1EPKdPdPKlPlN2at6native12_GLOBAL__N_18offset_tEEE10hipError_tPvRmT1_PNSt15iterator_traitsIS12_E10value_typeET2_T3_PNS13_IS18_E10value_typeET4_jRbjT5_S1E_jjP12ihipStream_tbEUljE_ZNSN_ISO_Lb1ESQ_SR_ST_SU_SY_EESZ_S10_S11_S12_S16_S17_S18_S1B_S1C_jS1D_jS1E_S1E_jjS1G_bEUljE0_EEESZ_S10_S11_S18_S1C_S1E_T6_T7_T9_mT8_S1G_bDpT10_ENKUlT_T0_E_clISt17integral_constantIbLb1EES1U_EEDaS1P_S1Q_EUlS1P_E_NS1_11comp_targetILNS1_3genE4ELNS1_11target_archE910ELNS1_3gpuE8ELNS1_3repE0EEENS1_30default_config_static_selectorELNS0_4arch9wavefront6targetE1EEEvS12_,"axG",@progbits,_ZN7rocprim17ROCPRIM_400000_NS6detail17trampoline_kernelINS0_13select_configILj256ELj13ELNS0_17block_load_methodE3ELS4_3ELS4_3ELNS0_20block_scan_algorithmE0ELj4294967295EEENS1_25partition_config_selectorILNS1_17partition_subalgoE4EjNS0_10empty_typeEbEEZZNS1_14partition_implILS8_4ELb0ES6_15HIP_vector_typeIjLj2EENS0_17counting_iteratorIjlEEPS9_SG_NS0_5tupleIJPjSI_NS0_16reverse_iteratorISI_EEEEENSH_IJSG_SG_SG_EEES9_SI_JZNS1_25segmented_radix_sort_implINS0_14default_configELb1EPKdPdPKlPlN2at6native12_GLOBAL__N_18offset_tEEE10hipError_tPvRmT1_PNSt15iterator_traitsIS12_E10value_typeET2_T3_PNS13_IS18_E10value_typeET4_jRbjT5_S1E_jjP12ihipStream_tbEUljE_ZNSN_ISO_Lb1ESQ_SR_ST_SU_SY_EESZ_S10_S11_S12_S16_S17_S18_S1B_S1C_jS1D_jS1E_S1E_jjS1G_bEUljE0_EEESZ_S10_S11_S18_S1C_S1E_T6_T7_T9_mT8_S1G_bDpT10_ENKUlT_T0_E_clISt17integral_constantIbLb1EES1U_EEDaS1P_S1Q_EUlS1P_E_NS1_11comp_targetILNS1_3genE4ELNS1_11target_archE910ELNS1_3gpuE8ELNS1_3repE0EEENS1_30default_config_static_selectorELNS0_4arch9wavefront6targetE1EEEvS12_,comdat
.Lfunc_end1062:
	.size	_ZN7rocprim17ROCPRIM_400000_NS6detail17trampoline_kernelINS0_13select_configILj256ELj13ELNS0_17block_load_methodE3ELS4_3ELS4_3ELNS0_20block_scan_algorithmE0ELj4294967295EEENS1_25partition_config_selectorILNS1_17partition_subalgoE4EjNS0_10empty_typeEbEEZZNS1_14partition_implILS8_4ELb0ES6_15HIP_vector_typeIjLj2EENS0_17counting_iteratorIjlEEPS9_SG_NS0_5tupleIJPjSI_NS0_16reverse_iteratorISI_EEEEENSH_IJSG_SG_SG_EEES9_SI_JZNS1_25segmented_radix_sort_implINS0_14default_configELb1EPKdPdPKlPlN2at6native12_GLOBAL__N_18offset_tEEE10hipError_tPvRmT1_PNSt15iterator_traitsIS12_E10value_typeET2_T3_PNS13_IS18_E10value_typeET4_jRbjT5_S1E_jjP12ihipStream_tbEUljE_ZNSN_ISO_Lb1ESQ_SR_ST_SU_SY_EESZ_S10_S11_S12_S16_S17_S18_S1B_S1C_jS1D_jS1E_S1E_jjS1G_bEUljE0_EEESZ_S10_S11_S18_S1C_S1E_T6_T7_T9_mT8_S1G_bDpT10_ENKUlT_T0_E_clISt17integral_constantIbLb1EES1U_EEDaS1P_S1Q_EUlS1P_E_NS1_11comp_targetILNS1_3genE4ELNS1_11target_archE910ELNS1_3gpuE8ELNS1_3repE0EEENS1_30default_config_static_selectorELNS0_4arch9wavefront6targetE1EEEvS12_, .Lfunc_end1062-_ZN7rocprim17ROCPRIM_400000_NS6detail17trampoline_kernelINS0_13select_configILj256ELj13ELNS0_17block_load_methodE3ELS4_3ELS4_3ELNS0_20block_scan_algorithmE0ELj4294967295EEENS1_25partition_config_selectorILNS1_17partition_subalgoE4EjNS0_10empty_typeEbEEZZNS1_14partition_implILS8_4ELb0ES6_15HIP_vector_typeIjLj2EENS0_17counting_iteratorIjlEEPS9_SG_NS0_5tupleIJPjSI_NS0_16reverse_iteratorISI_EEEEENSH_IJSG_SG_SG_EEES9_SI_JZNS1_25segmented_radix_sort_implINS0_14default_configELb1EPKdPdPKlPlN2at6native12_GLOBAL__N_18offset_tEEE10hipError_tPvRmT1_PNSt15iterator_traitsIS12_E10value_typeET2_T3_PNS13_IS18_E10value_typeET4_jRbjT5_S1E_jjP12ihipStream_tbEUljE_ZNSN_ISO_Lb1ESQ_SR_ST_SU_SY_EESZ_S10_S11_S12_S16_S17_S18_S1B_S1C_jS1D_jS1E_S1E_jjS1G_bEUljE0_EEESZ_S10_S11_S18_S1C_S1E_T6_T7_T9_mT8_S1G_bDpT10_ENKUlT_T0_E_clISt17integral_constantIbLb1EES1U_EEDaS1P_S1Q_EUlS1P_E_NS1_11comp_targetILNS1_3genE4ELNS1_11target_archE910ELNS1_3gpuE8ELNS1_3repE0EEENS1_30default_config_static_selectorELNS0_4arch9wavefront6targetE1EEEvS12_
                                        ; -- End function
	.section	.AMDGPU.csdata,"",@progbits
; Kernel info:
; codeLenInByte = 13512
; NumSgprs: 91
; NumVgprs: 107
; NumAgprs: 0
; TotalNumVgprs: 107
; ScratchSize: 0
; MemoryBound: 0
; FloatMode: 240
; IeeeMode: 1
; LDSByteSize: 13340 bytes/workgroup (compile time only)
; SGPRBlocks: 11
; VGPRBlocks: 13
; NumSGPRsForWavesPerEU: 91
; NumVGPRsForWavesPerEU: 107
; AccumOffset: 108
; Occupancy: 4
; WaveLimiterHint : 1
; COMPUTE_PGM_RSRC2:SCRATCH_EN: 0
; COMPUTE_PGM_RSRC2:USER_SGPR: 6
; COMPUTE_PGM_RSRC2:TRAP_HANDLER: 0
; COMPUTE_PGM_RSRC2:TGID_X_EN: 1
; COMPUTE_PGM_RSRC2:TGID_Y_EN: 0
; COMPUTE_PGM_RSRC2:TGID_Z_EN: 0
; COMPUTE_PGM_RSRC2:TIDIG_COMP_CNT: 0
; COMPUTE_PGM_RSRC3_GFX90A:ACCUM_OFFSET: 26
; COMPUTE_PGM_RSRC3_GFX90A:TG_SPLIT: 0
	.section	.text._ZN7rocprim17ROCPRIM_400000_NS6detail17trampoline_kernelINS0_13select_configILj256ELj13ELNS0_17block_load_methodE3ELS4_3ELS4_3ELNS0_20block_scan_algorithmE0ELj4294967295EEENS1_25partition_config_selectorILNS1_17partition_subalgoE4EjNS0_10empty_typeEbEEZZNS1_14partition_implILS8_4ELb0ES6_15HIP_vector_typeIjLj2EENS0_17counting_iteratorIjlEEPS9_SG_NS0_5tupleIJPjSI_NS0_16reverse_iteratorISI_EEEEENSH_IJSG_SG_SG_EEES9_SI_JZNS1_25segmented_radix_sort_implINS0_14default_configELb1EPKdPdPKlPlN2at6native12_GLOBAL__N_18offset_tEEE10hipError_tPvRmT1_PNSt15iterator_traitsIS12_E10value_typeET2_T3_PNS13_IS18_E10value_typeET4_jRbjT5_S1E_jjP12ihipStream_tbEUljE_ZNSN_ISO_Lb1ESQ_SR_ST_SU_SY_EESZ_S10_S11_S12_S16_S17_S18_S1B_S1C_jS1D_jS1E_S1E_jjS1G_bEUljE0_EEESZ_S10_S11_S18_S1C_S1E_T6_T7_T9_mT8_S1G_bDpT10_ENKUlT_T0_E_clISt17integral_constantIbLb1EES1U_EEDaS1P_S1Q_EUlS1P_E_NS1_11comp_targetILNS1_3genE3ELNS1_11target_archE908ELNS1_3gpuE7ELNS1_3repE0EEENS1_30default_config_static_selectorELNS0_4arch9wavefront6targetE1EEEvS12_,"axG",@progbits,_ZN7rocprim17ROCPRIM_400000_NS6detail17trampoline_kernelINS0_13select_configILj256ELj13ELNS0_17block_load_methodE3ELS4_3ELS4_3ELNS0_20block_scan_algorithmE0ELj4294967295EEENS1_25partition_config_selectorILNS1_17partition_subalgoE4EjNS0_10empty_typeEbEEZZNS1_14partition_implILS8_4ELb0ES6_15HIP_vector_typeIjLj2EENS0_17counting_iteratorIjlEEPS9_SG_NS0_5tupleIJPjSI_NS0_16reverse_iteratorISI_EEEEENSH_IJSG_SG_SG_EEES9_SI_JZNS1_25segmented_radix_sort_implINS0_14default_configELb1EPKdPdPKlPlN2at6native12_GLOBAL__N_18offset_tEEE10hipError_tPvRmT1_PNSt15iterator_traitsIS12_E10value_typeET2_T3_PNS13_IS18_E10value_typeET4_jRbjT5_S1E_jjP12ihipStream_tbEUljE_ZNSN_ISO_Lb1ESQ_SR_ST_SU_SY_EESZ_S10_S11_S12_S16_S17_S18_S1B_S1C_jS1D_jS1E_S1E_jjS1G_bEUljE0_EEESZ_S10_S11_S18_S1C_S1E_T6_T7_T9_mT8_S1G_bDpT10_ENKUlT_T0_E_clISt17integral_constantIbLb1EES1U_EEDaS1P_S1Q_EUlS1P_E_NS1_11comp_targetILNS1_3genE3ELNS1_11target_archE908ELNS1_3gpuE7ELNS1_3repE0EEENS1_30default_config_static_selectorELNS0_4arch9wavefront6targetE1EEEvS12_,comdat
	.globl	_ZN7rocprim17ROCPRIM_400000_NS6detail17trampoline_kernelINS0_13select_configILj256ELj13ELNS0_17block_load_methodE3ELS4_3ELS4_3ELNS0_20block_scan_algorithmE0ELj4294967295EEENS1_25partition_config_selectorILNS1_17partition_subalgoE4EjNS0_10empty_typeEbEEZZNS1_14partition_implILS8_4ELb0ES6_15HIP_vector_typeIjLj2EENS0_17counting_iteratorIjlEEPS9_SG_NS0_5tupleIJPjSI_NS0_16reverse_iteratorISI_EEEEENSH_IJSG_SG_SG_EEES9_SI_JZNS1_25segmented_radix_sort_implINS0_14default_configELb1EPKdPdPKlPlN2at6native12_GLOBAL__N_18offset_tEEE10hipError_tPvRmT1_PNSt15iterator_traitsIS12_E10value_typeET2_T3_PNS13_IS18_E10value_typeET4_jRbjT5_S1E_jjP12ihipStream_tbEUljE_ZNSN_ISO_Lb1ESQ_SR_ST_SU_SY_EESZ_S10_S11_S12_S16_S17_S18_S1B_S1C_jS1D_jS1E_S1E_jjS1G_bEUljE0_EEESZ_S10_S11_S18_S1C_S1E_T6_T7_T9_mT8_S1G_bDpT10_ENKUlT_T0_E_clISt17integral_constantIbLb1EES1U_EEDaS1P_S1Q_EUlS1P_E_NS1_11comp_targetILNS1_3genE3ELNS1_11target_archE908ELNS1_3gpuE7ELNS1_3repE0EEENS1_30default_config_static_selectorELNS0_4arch9wavefront6targetE1EEEvS12_ ; -- Begin function _ZN7rocprim17ROCPRIM_400000_NS6detail17trampoline_kernelINS0_13select_configILj256ELj13ELNS0_17block_load_methodE3ELS4_3ELS4_3ELNS0_20block_scan_algorithmE0ELj4294967295EEENS1_25partition_config_selectorILNS1_17partition_subalgoE4EjNS0_10empty_typeEbEEZZNS1_14partition_implILS8_4ELb0ES6_15HIP_vector_typeIjLj2EENS0_17counting_iteratorIjlEEPS9_SG_NS0_5tupleIJPjSI_NS0_16reverse_iteratorISI_EEEEENSH_IJSG_SG_SG_EEES9_SI_JZNS1_25segmented_radix_sort_implINS0_14default_configELb1EPKdPdPKlPlN2at6native12_GLOBAL__N_18offset_tEEE10hipError_tPvRmT1_PNSt15iterator_traitsIS12_E10value_typeET2_T3_PNS13_IS18_E10value_typeET4_jRbjT5_S1E_jjP12ihipStream_tbEUljE_ZNSN_ISO_Lb1ESQ_SR_ST_SU_SY_EESZ_S10_S11_S12_S16_S17_S18_S1B_S1C_jS1D_jS1E_S1E_jjS1G_bEUljE0_EEESZ_S10_S11_S18_S1C_S1E_T6_T7_T9_mT8_S1G_bDpT10_ENKUlT_T0_E_clISt17integral_constantIbLb1EES1U_EEDaS1P_S1Q_EUlS1P_E_NS1_11comp_targetILNS1_3genE3ELNS1_11target_archE908ELNS1_3gpuE7ELNS1_3repE0EEENS1_30default_config_static_selectorELNS0_4arch9wavefront6targetE1EEEvS12_
	.p2align	8
	.type	_ZN7rocprim17ROCPRIM_400000_NS6detail17trampoline_kernelINS0_13select_configILj256ELj13ELNS0_17block_load_methodE3ELS4_3ELS4_3ELNS0_20block_scan_algorithmE0ELj4294967295EEENS1_25partition_config_selectorILNS1_17partition_subalgoE4EjNS0_10empty_typeEbEEZZNS1_14partition_implILS8_4ELb0ES6_15HIP_vector_typeIjLj2EENS0_17counting_iteratorIjlEEPS9_SG_NS0_5tupleIJPjSI_NS0_16reverse_iteratorISI_EEEEENSH_IJSG_SG_SG_EEES9_SI_JZNS1_25segmented_radix_sort_implINS0_14default_configELb1EPKdPdPKlPlN2at6native12_GLOBAL__N_18offset_tEEE10hipError_tPvRmT1_PNSt15iterator_traitsIS12_E10value_typeET2_T3_PNS13_IS18_E10value_typeET4_jRbjT5_S1E_jjP12ihipStream_tbEUljE_ZNSN_ISO_Lb1ESQ_SR_ST_SU_SY_EESZ_S10_S11_S12_S16_S17_S18_S1B_S1C_jS1D_jS1E_S1E_jjS1G_bEUljE0_EEESZ_S10_S11_S18_S1C_S1E_T6_T7_T9_mT8_S1G_bDpT10_ENKUlT_T0_E_clISt17integral_constantIbLb1EES1U_EEDaS1P_S1Q_EUlS1P_E_NS1_11comp_targetILNS1_3genE3ELNS1_11target_archE908ELNS1_3gpuE7ELNS1_3repE0EEENS1_30default_config_static_selectorELNS0_4arch9wavefront6targetE1EEEvS12_,@function
_ZN7rocprim17ROCPRIM_400000_NS6detail17trampoline_kernelINS0_13select_configILj256ELj13ELNS0_17block_load_methodE3ELS4_3ELS4_3ELNS0_20block_scan_algorithmE0ELj4294967295EEENS1_25partition_config_selectorILNS1_17partition_subalgoE4EjNS0_10empty_typeEbEEZZNS1_14partition_implILS8_4ELb0ES6_15HIP_vector_typeIjLj2EENS0_17counting_iteratorIjlEEPS9_SG_NS0_5tupleIJPjSI_NS0_16reverse_iteratorISI_EEEEENSH_IJSG_SG_SG_EEES9_SI_JZNS1_25segmented_radix_sort_implINS0_14default_configELb1EPKdPdPKlPlN2at6native12_GLOBAL__N_18offset_tEEE10hipError_tPvRmT1_PNSt15iterator_traitsIS12_E10value_typeET2_T3_PNS13_IS18_E10value_typeET4_jRbjT5_S1E_jjP12ihipStream_tbEUljE_ZNSN_ISO_Lb1ESQ_SR_ST_SU_SY_EESZ_S10_S11_S12_S16_S17_S18_S1B_S1C_jS1D_jS1E_S1E_jjS1G_bEUljE0_EEESZ_S10_S11_S18_S1C_S1E_T6_T7_T9_mT8_S1G_bDpT10_ENKUlT_T0_E_clISt17integral_constantIbLb1EES1U_EEDaS1P_S1Q_EUlS1P_E_NS1_11comp_targetILNS1_3genE3ELNS1_11target_archE908ELNS1_3gpuE7ELNS1_3repE0EEENS1_30default_config_static_selectorELNS0_4arch9wavefront6targetE1EEEvS12_: ; @_ZN7rocprim17ROCPRIM_400000_NS6detail17trampoline_kernelINS0_13select_configILj256ELj13ELNS0_17block_load_methodE3ELS4_3ELS4_3ELNS0_20block_scan_algorithmE0ELj4294967295EEENS1_25partition_config_selectorILNS1_17partition_subalgoE4EjNS0_10empty_typeEbEEZZNS1_14partition_implILS8_4ELb0ES6_15HIP_vector_typeIjLj2EENS0_17counting_iteratorIjlEEPS9_SG_NS0_5tupleIJPjSI_NS0_16reverse_iteratorISI_EEEEENSH_IJSG_SG_SG_EEES9_SI_JZNS1_25segmented_radix_sort_implINS0_14default_configELb1EPKdPdPKlPlN2at6native12_GLOBAL__N_18offset_tEEE10hipError_tPvRmT1_PNSt15iterator_traitsIS12_E10value_typeET2_T3_PNS13_IS18_E10value_typeET4_jRbjT5_S1E_jjP12ihipStream_tbEUljE_ZNSN_ISO_Lb1ESQ_SR_ST_SU_SY_EESZ_S10_S11_S12_S16_S17_S18_S1B_S1C_jS1D_jS1E_S1E_jjS1G_bEUljE0_EEESZ_S10_S11_S18_S1C_S1E_T6_T7_T9_mT8_S1G_bDpT10_ENKUlT_T0_E_clISt17integral_constantIbLb1EES1U_EEDaS1P_S1Q_EUlS1P_E_NS1_11comp_targetILNS1_3genE3ELNS1_11target_archE908ELNS1_3gpuE7ELNS1_3repE0EEENS1_30default_config_static_selectorELNS0_4arch9wavefront6targetE1EEEvS12_
; %bb.0:
	.section	.rodata,"a",@progbits
	.p2align	6, 0x0
	.amdhsa_kernel _ZN7rocprim17ROCPRIM_400000_NS6detail17trampoline_kernelINS0_13select_configILj256ELj13ELNS0_17block_load_methodE3ELS4_3ELS4_3ELNS0_20block_scan_algorithmE0ELj4294967295EEENS1_25partition_config_selectorILNS1_17partition_subalgoE4EjNS0_10empty_typeEbEEZZNS1_14partition_implILS8_4ELb0ES6_15HIP_vector_typeIjLj2EENS0_17counting_iteratorIjlEEPS9_SG_NS0_5tupleIJPjSI_NS0_16reverse_iteratorISI_EEEEENSH_IJSG_SG_SG_EEES9_SI_JZNS1_25segmented_radix_sort_implINS0_14default_configELb1EPKdPdPKlPlN2at6native12_GLOBAL__N_18offset_tEEE10hipError_tPvRmT1_PNSt15iterator_traitsIS12_E10value_typeET2_T3_PNS13_IS18_E10value_typeET4_jRbjT5_S1E_jjP12ihipStream_tbEUljE_ZNSN_ISO_Lb1ESQ_SR_ST_SU_SY_EESZ_S10_S11_S12_S16_S17_S18_S1B_S1C_jS1D_jS1E_S1E_jjS1G_bEUljE0_EEESZ_S10_S11_S18_S1C_S1E_T6_T7_T9_mT8_S1G_bDpT10_ENKUlT_T0_E_clISt17integral_constantIbLb1EES1U_EEDaS1P_S1Q_EUlS1P_E_NS1_11comp_targetILNS1_3genE3ELNS1_11target_archE908ELNS1_3gpuE7ELNS1_3repE0EEENS1_30default_config_static_selectorELNS0_4arch9wavefront6targetE1EEEvS12_
		.amdhsa_group_segment_fixed_size 0
		.amdhsa_private_segment_fixed_size 0
		.amdhsa_kernarg_size 184
		.amdhsa_user_sgpr_count 6
		.amdhsa_user_sgpr_private_segment_buffer 1
		.amdhsa_user_sgpr_dispatch_ptr 0
		.amdhsa_user_sgpr_queue_ptr 0
		.amdhsa_user_sgpr_kernarg_segment_ptr 1
		.amdhsa_user_sgpr_dispatch_id 0
		.amdhsa_user_sgpr_flat_scratch_init 0
		.amdhsa_user_sgpr_kernarg_preload_length 0
		.amdhsa_user_sgpr_kernarg_preload_offset 0
		.amdhsa_user_sgpr_private_segment_size 0
		.amdhsa_uses_dynamic_stack 0
		.amdhsa_system_sgpr_private_segment_wavefront_offset 0
		.amdhsa_system_sgpr_workgroup_id_x 1
		.amdhsa_system_sgpr_workgroup_id_y 0
		.amdhsa_system_sgpr_workgroup_id_z 0
		.amdhsa_system_sgpr_workgroup_info 0
		.amdhsa_system_vgpr_workitem_id 0
		.amdhsa_next_free_vgpr 1
		.amdhsa_next_free_sgpr 0
		.amdhsa_accum_offset 4
		.amdhsa_reserve_vcc 0
		.amdhsa_reserve_flat_scratch 0
		.amdhsa_float_round_mode_32 0
		.amdhsa_float_round_mode_16_64 0
		.amdhsa_float_denorm_mode_32 3
		.amdhsa_float_denorm_mode_16_64 3
		.amdhsa_dx10_clamp 1
		.amdhsa_ieee_mode 1
		.amdhsa_fp16_overflow 0
		.amdhsa_tg_split 0
		.amdhsa_exception_fp_ieee_invalid_op 0
		.amdhsa_exception_fp_denorm_src 0
		.amdhsa_exception_fp_ieee_div_zero 0
		.amdhsa_exception_fp_ieee_overflow 0
		.amdhsa_exception_fp_ieee_underflow 0
		.amdhsa_exception_fp_ieee_inexact 0
		.amdhsa_exception_int_div_zero 0
	.end_amdhsa_kernel
	.section	.text._ZN7rocprim17ROCPRIM_400000_NS6detail17trampoline_kernelINS0_13select_configILj256ELj13ELNS0_17block_load_methodE3ELS4_3ELS4_3ELNS0_20block_scan_algorithmE0ELj4294967295EEENS1_25partition_config_selectorILNS1_17partition_subalgoE4EjNS0_10empty_typeEbEEZZNS1_14partition_implILS8_4ELb0ES6_15HIP_vector_typeIjLj2EENS0_17counting_iteratorIjlEEPS9_SG_NS0_5tupleIJPjSI_NS0_16reverse_iteratorISI_EEEEENSH_IJSG_SG_SG_EEES9_SI_JZNS1_25segmented_radix_sort_implINS0_14default_configELb1EPKdPdPKlPlN2at6native12_GLOBAL__N_18offset_tEEE10hipError_tPvRmT1_PNSt15iterator_traitsIS12_E10value_typeET2_T3_PNS13_IS18_E10value_typeET4_jRbjT5_S1E_jjP12ihipStream_tbEUljE_ZNSN_ISO_Lb1ESQ_SR_ST_SU_SY_EESZ_S10_S11_S12_S16_S17_S18_S1B_S1C_jS1D_jS1E_S1E_jjS1G_bEUljE0_EEESZ_S10_S11_S18_S1C_S1E_T6_T7_T9_mT8_S1G_bDpT10_ENKUlT_T0_E_clISt17integral_constantIbLb1EES1U_EEDaS1P_S1Q_EUlS1P_E_NS1_11comp_targetILNS1_3genE3ELNS1_11target_archE908ELNS1_3gpuE7ELNS1_3repE0EEENS1_30default_config_static_selectorELNS0_4arch9wavefront6targetE1EEEvS12_,"axG",@progbits,_ZN7rocprim17ROCPRIM_400000_NS6detail17trampoline_kernelINS0_13select_configILj256ELj13ELNS0_17block_load_methodE3ELS4_3ELS4_3ELNS0_20block_scan_algorithmE0ELj4294967295EEENS1_25partition_config_selectorILNS1_17partition_subalgoE4EjNS0_10empty_typeEbEEZZNS1_14partition_implILS8_4ELb0ES6_15HIP_vector_typeIjLj2EENS0_17counting_iteratorIjlEEPS9_SG_NS0_5tupleIJPjSI_NS0_16reverse_iteratorISI_EEEEENSH_IJSG_SG_SG_EEES9_SI_JZNS1_25segmented_radix_sort_implINS0_14default_configELb1EPKdPdPKlPlN2at6native12_GLOBAL__N_18offset_tEEE10hipError_tPvRmT1_PNSt15iterator_traitsIS12_E10value_typeET2_T3_PNS13_IS18_E10value_typeET4_jRbjT5_S1E_jjP12ihipStream_tbEUljE_ZNSN_ISO_Lb1ESQ_SR_ST_SU_SY_EESZ_S10_S11_S12_S16_S17_S18_S1B_S1C_jS1D_jS1E_S1E_jjS1G_bEUljE0_EEESZ_S10_S11_S18_S1C_S1E_T6_T7_T9_mT8_S1G_bDpT10_ENKUlT_T0_E_clISt17integral_constantIbLb1EES1U_EEDaS1P_S1Q_EUlS1P_E_NS1_11comp_targetILNS1_3genE3ELNS1_11target_archE908ELNS1_3gpuE7ELNS1_3repE0EEENS1_30default_config_static_selectorELNS0_4arch9wavefront6targetE1EEEvS12_,comdat
.Lfunc_end1063:
	.size	_ZN7rocprim17ROCPRIM_400000_NS6detail17trampoline_kernelINS0_13select_configILj256ELj13ELNS0_17block_load_methodE3ELS4_3ELS4_3ELNS0_20block_scan_algorithmE0ELj4294967295EEENS1_25partition_config_selectorILNS1_17partition_subalgoE4EjNS0_10empty_typeEbEEZZNS1_14partition_implILS8_4ELb0ES6_15HIP_vector_typeIjLj2EENS0_17counting_iteratorIjlEEPS9_SG_NS0_5tupleIJPjSI_NS0_16reverse_iteratorISI_EEEEENSH_IJSG_SG_SG_EEES9_SI_JZNS1_25segmented_radix_sort_implINS0_14default_configELb1EPKdPdPKlPlN2at6native12_GLOBAL__N_18offset_tEEE10hipError_tPvRmT1_PNSt15iterator_traitsIS12_E10value_typeET2_T3_PNS13_IS18_E10value_typeET4_jRbjT5_S1E_jjP12ihipStream_tbEUljE_ZNSN_ISO_Lb1ESQ_SR_ST_SU_SY_EESZ_S10_S11_S12_S16_S17_S18_S1B_S1C_jS1D_jS1E_S1E_jjS1G_bEUljE0_EEESZ_S10_S11_S18_S1C_S1E_T6_T7_T9_mT8_S1G_bDpT10_ENKUlT_T0_E_clISt17integral_constantIbLb1EES1U_EEDaS1P_S1Q_EUlS1P_E_NS1_11comp_targetILNS1_3genE3ELNS1_11target_archE908ELNS1_3gpuE7ELNS1_3repE0EEENS1_30default_config_static_selectorELNS0_4arch9wavefront6targetE1EEEvS12_, .Lfunc_end1063-_ZN7rocprim17ROCPRIM_400000_NS6detail17trampoline_kernelINS0_13select_configILj256ELj13ELNS0_17block_load_methodE3ELS4_3ELS4_3ELNS0_20block_scan_algorithmE0ELj4294967295EEENS1_25partition_config_selectorILNS1_17partition_subalgoE4EjNS0_10empty_typeEbEEZZNS1_14partition_implILS8_4ELb0ES6_15HIP_vector_typeIjLj2EENS0_17counting_iteratorIjlEEPS9_SG_NS0_5tupleIJPjSI_NS0_16reverse_iteratorISI_EEEEENSH_IJSG_SG_SG_EEES9_SI_JZNS1_25segmented_radix_sort_implINS0_14default_configELb1EPKdPdPKlPlN2at6native12_GLOBAL__N_18offset_tEEE10hipError_tPvRmT1_PNSt15iterator_traitsIS12_E10value_typeET2_T3_PNS13_IS18_E10value_typeET4_jRbjT5_S1E_jjP12ihipStream_tbEUljE_ZNSN_ISO_Lb1ESQ_SR_ST_SU_SY_EESZ_S10_S11_S12_S16_S17_S18_S1B_S1C_jS1D_jS1E_S1E_jjS1G_bEUljE0_EEESZ_S10_S11_S18_S1C_S1E_T6_T7_T9_mT8_S1G_bDpT10_ENKUlT_T0_E_clISt17integral_constantIbLb1EES1U_EEDaS1P_S1Q_EUlS1P_E_NS1_11comp_targetILNS1_3genE3ELNS1_11target_archE908ELNS1_3gpuE7ELNS1_3repE0EEENS1_30default_config_static_selectorELNS0_4arch9wavefront6targetE1EEEvS12_
                                        ; -- End function
	.section	.AMDGPU.csdata,"",@progbits
; Kernel info:
; codeLenInByte = 0
; NumSgprs: 4
; NumVgprs: 0
; NumAgprs: 0
; TotalNumVgprs: 0
; ScratchSize: 0
; MemoryBound: 0
; FloatMode: 240
; IeeeMode: 1
; LDSByteSize: 0 bytes/workgroup (compile time only)
; SGPRBlocks: 0
; VGPRBlocks: 0
; NumSGPRsForWavesPerEU: 4
; NumVGPRsForWavesPerEU: 1
; AccumOffset: 4
; Occupancy: 8
; WaveLimiterHint : 0
; COMPUTE_PGM_RSRC2:SCRATCH_EN: 0
; COMPUTE_PGM_RSRC2:USER_SGPR: 6
; COMPUTE_PGM_RSRC2:TRAP_HANDLER: 0
; COMPUTE_PGM_RSRC2:TGID_X_EN: 1
; COMPUTE_PGM_RSRC2:TGID_Y_EN: 0
; COMPUTE_PGM_RSRC2:TGID_Z_EN: 0
; COMPUTE_PGM_RSRC2:TIDIG_COMP_CNT: 0
; COMPUTE_PGM_RSRC3_GFX90A:ACCUM_OFFSET: 0
; COMPUTE_PGM_RSRC3_GFX90A:TG_SPLIT: 0
	.section	.text._ZN7rocprim17ROCPRIM_400000_NS6detail17trampoline_kernelINS0_13select_configILj256ELj13ELNS0_17block_load_methodE3ELS4_3ELS4_3ELNS0_20block_scan_algorithmE0ELj4294967295EEENS1_25partition_config_selectorILNS1_17partition_subalgoE4EjNS0_10empty_typeEbEEZZNS1_14partition_implILS8_4ELb0ES6_15HIP_vector_typeIjLj2EENS0_17counting_iteratorIjlEEPS9_SG_NS0_5tupleIJPjSI_NS0_16reverse_iteratorISI_EEEEENSH_IJSG_SG_SG_EEES9_SI_JZNS1_25segmented_radix_sort_implINS0_14default_configELb1EPKdPdPKlPlN2at6native12_GLOBAL__N_18offset_tEEE10hipError_tPvRmT1_PNSt15iterator_traitsIS12_E10value_typeET2_T3_PNS13_IS18_E10value_typeET4_jRbjT5_S1E_jjP12ihipStream_tbEUljE_ZNSN_ISO_Lb1ESQ_SR_ST_SU_SY_EESZ_S10_S11_S12_S16_S17_S18_S1B_S1C_jS1D_jS1E_S1E_jjS1G_bEUljE0_EEESZ_S10_S11_S18_S1C_S1E_T6_T7_T9_mT8_S1G_bDpT10_ENKUlT_T0_E_clISt17integral_constantIbLb1EES1U_EEDaS1P_S1Q_EUlS1P_E_NS1_11comp_targetILNS1_3genE2ELNS1_11target_archE906ELNS1_3gpuE6ELNS1_3repE0EEENS1_30default_config_static_selectorELNS0_4arch9wavefront6targetE1EEEvS12_,"axG",@progbits,_ZN7rocprim17ROCPRIM_400000_NS6detail17trampoline_kernelINS0_13select_configILj256ELj13ELNS0_17block_load_methodE3ELS4_3ELS4_3ELNS0_20block_scan_algorithmE0ELj4294967295EEENS1_25partition_config_selectorILNS1_17partition_subalgoE4EjNS0_10empty_typeEbEEZZNS1_14partition_implILS8_4ELb0ES6_15HIP_vector_typeIjLj2EENS0_17counting_iteratorIjlEEPS9_SG_NS0_5tupleIJPjSI_NS0_16reverse_iteratorISI_EEEEENSH_IJSG_SG_SG_EEES9_SI_JZNS1_25segmented_radix_sort_implINS0_14default_configELb1EPKdPdPKlPlN2at6native12_GLOBAL__N_18offset_tEEE10hipError_tPvRmT1_PNSt15iterator_traitsIS12_E10value_typeET2_T3_PNS13_IS18_E10value_typeET4_jRbjT5_S1E_jjP12ihipStream_tbEUljE_ZNSN_ISO_Lb1ESQ_SR_ST_SU_SY_EESZ_S10_S11_S12_S16_S17_S18_S1B_S1C_jS1D_jS1E_S1E_jjS1G_bEUljE0_EEESZ_S10_S11_S18_S1C_S1E_T6_T7_T9_mT8_S1G_bDpT10_ENKUlT_T0_E_clISt17integral_constantIbLb1EES1U_EEDaS1P_S1Q_EUlS1P_E_NS1_11comp_targetILNS1_3genE2ELNS1_11target_archE906ELNS1_3gpuE6ELNS1_3repE0EEENS1_30default_config_static_selectorELNS0_4arch9wavefront6targetE1EEEvS12_,comdat
	.globl	_ZN7rocprim17ROCPRIM_400000_NS6detail17trampoline_kernelINS0_13select_configILj256ELj13ELNS0_17block_load_methodE3ELS4_3ELS4_3ELNS0_20block_scan_algorithmE0ELj4294967295EEENS1_25partition_config_selectorILNS1_17partition_subalgoE4EjNS0_10empty_typeEbEEZZNS1_14partition_implILS8_4ELb0ES6_15HIP_vector_typeIjLj2EENS0_17counting_iteratorIjlEEPS9_SG_NS0_5tupleIJPjSI_NS0_16reverse_iteratorISI_EEEEENSH_IJSG_SG_SG_EEES9_SI_JZNS1_25segmented_radix_sort_implINS0_14default_configELb1EPKdPdPKlPlN2at6native12_GLOBAL__N_18offset_tEEE10hipError_tPvRmT1_PNSt15iterator_traitsIS12_E10value_typeET2_T3_PNS13_IS18_E10value_typeET4_jRbjT5_S1E_jjP12ihipStream_tbEUljE_ZNSN_ISO_Lb1ESQ_SR_ST_SU_SY_EESZ_S10_S11_S12_S16_S17_S18_S1B_S1C_jS1D_jS1E_S1E_jjS1G_bEUljE0_EEESZ_S10_S11_S18_S1C_S1E_T6_T7_T9_mT8_S1G_bDpT10_ENKUlT_T0_E_clISt17integral_constantIbLb1EES1U_EEDaS1P_S1Q_EUlS1P_E_NS1_11comp_targetILNS1_3genE2ELNS1_11target_archE906ELNS1_3gpuE6ELNS1_3repE0EEENS1_30default_config_static_selectorELNS0_4arch9wavefront6targetE1EEEvS12_ ; -- Begin function _ZN7rocprim17ROCPRIM_400000_NS6detail17trampoline_kernelINS0_13select_configILj256ELj13ELNS0_17block_load_methodE3ELS4_3ELS4_3ELNS0_20block_scan_algorithmE0ELj4294967295EEENS1_25partition_config_selectorILNS1_17partition_subalgoE4EjNS0_10empty_typeEbEEZZNS1_14partition_implILS8_4ELb0ES6_15HIP_vector_typeIjLj2EENS0_17counting_iteratorIjlEEPS9_SG_NS0_5tupleIJPjSI_NS0_16reverse_iteratorISI_EEEEENSH_IJSG_SG_SG_EEES9_SI_JZNS1_25segmented_radix_sort_implINS0_14default_configELb1EPKdPdPKlPlN2at6native12_GLOBAL__N_18offset_tEEE10hipError_tPvRmT1_PNSt15iterator_traitsIS12_E10value_typeET2_T3_PNS13_IS18_E10value_typeET4_jRbjT5_S1E_jjP12ihipStream_tbEUljE_ZNSN_ISO_Lb1ESQ_SR_ST_SU_SY_EESZ_S10_S11_S12_S16_S17_S18_S1B_S1C_jS1D_jS1E_S1E_jjS1G_bEUljE0_EEESZ_S10_S11_S18_S1C_S1E_T6_T7_T9_mT8_S1G_bDpT10_ENKUlT_T0_E_clISt17integral_constantIbLb1EES1U_EEDaS1P_S1Q_EUlS1P_E_NS1_11comp_targetILNS1_3genE2ELNS1_11target_archE906ELNS1_3gpuE6ELNS1_3repE0EEENS1_30default_config_static_selectorELNS0_4arch9wavefront6targetE1EEEvS12_
	.p2align	8
	.type	_ZN7rocprim17ROCPRIM_400000_NS6detail17trampoline_kernelINS0_13select_configILj256ELj13ELNS0_17block_load_methodE3ELS4_3ELS4_3ELNS0_20block_scan_algorithmE0ELj4294967295EEENS1_25partition_config_selectorILNS1_17partition_subalgoE4EjNS0_10empty_typeEbEEZZNS1_14partition_implILS8_4ELb0ES6_15HIP_vector_typeIjLj2EENS0_17counting_iteratorIjlEEPS9_SG_NS0_5tupleIJPjSI_NS0_16reverse_iteratorISI_EEEEENSH_IJSG_SG_SG_EEES9_SI_JZNS1_25segmented_radix_sort_implINS0_14default_configELb1EPKdPdPKlPlN2at6native12_GLOBAL__N_18offset_tEEE10hipError_tPvRmT1_PNSt15iterator_traitsIS12_E10value_typeET2_T3_PNS13_IS18_E10value_typeET4_jRbjT5_S1E_jjP12ihipStream_tbEUljE_ZNSN_ISO_Lb1ESQ_SR_ST_SU_SY_EESZ_S10_S11_S12_S16_S17_S18_S1B_S1C_jS1D_jS1E_S1E_jjS1G_bEUljE0_EEESZ_S10_S11_S18_S1C_S1E_T6_T7_T9_mT8_S1G_bDpT10_ENKUlT_T0_E_clISt17integral_constantIbLb1EES1U_EEDaS1P_S1Q_EUlS1P_E_NS1_11comp_targetILNS1_3genE2ELNS1_11target_archE906ELNS1_3gpuE6ELNS1_3repE0EEENS1_30default_config_static_selectorELNS0_4arch9wavefront6targetE1EEEvS12_,@function
_ZN7rocprim17ROCPRIM_400000_NS6detail17trampoline_kernelINS0_13select_configILj256ELj13ELNS0_17block_load_methodE3ELS4_3ELS4_3ELNS0_20block_scan_algorithmE0ELj4294967295EEENS1_25partition_config_selectorILNS1_17partition_subalgoE4EjNS0_10empty_typeEbEEZZNS1_14partition_implILS8_4ELb0ES6_15HIP_vector_typeIjLj2EENS0_17counting_iteratorIjlEEPS9_SG_NS0_5tupleIJPjSI_NS0_16reverse_iteratorISI_EEEEENSH_IJSG_SG_SG_EEES9_SI_JZNS1_25segmented_radix_sort_implINS0_14default_configELb1EPKdPdPKlPlN2at6native12_GLOBAL__N_18offset_tEEE10hipError_tPvRmT1_PNSt15iterator_traitsIS12_E10value_typeET2_T3_PNS13_IS18_E10value_typeET4_jRbjT5_S1E_jjP12ihipStream_tbEUljE_ZNSN_ISO_Lb1ESQ_SR_ST_SU_SY_EESZ_S10_S11_S12_S16_S17_S18_S1B_S1C_jS1D_jS1E_S1E_jjS1G_bEUljE0_EEESZ_S10_S11_S18_S1C_S1E_T6_T7_T9_mT8_S1G_bDpT10_ENKUlT_T0_E_clISt17integral_constantIbLb1EES1U_EEDaS1P_S1Q_EUlS1P_E_NS1_11comp_targetILNS1_3genE2ELNS1_11target_archE906ELNS1_3gpuE6ELNS1_3repE0EEENS1_30default_config_static_selectorELNS0_4arch9wavefront6targetE1EEEvS12_: ; @_ZN7rocprim17ROCPRIM_400000_NS6detail17trampoline_kernelINS0_13select_configILj256ELj13ELNS0_17block_load_methodE3ELS4_3ELS4_3ELNS0_20block_scan_algorithmE0ELj4294967295EEENS1_25partition_config_selectorILNS1_17partition_subalgoE4EjNS0_10empty_typeEbEEZZNS1_14partition_implILS8_4ELb0ES6_15HIP_vector_typeIjLj2EENS0_17counting_iteratorIjlEEPS9_SG_NS0_5tupleIJPjSI_NS0_16reverse_iteratorISI_EEEEENSH_IJSG_SG_SG_EEES9_SI_JZNS1_25segmented_radix_sort_implINS0_14default_configELb1EPKdPdPKlPlN2at6native12_GLOBAL__N_18offset_tEEE10hipError_tPvRmT1_PNSt15iterator_traitsIS12_E10value_typeET2_T3_PNS13_IS18_E10value_typeET4_jRbjT5_S1E_jjP12ihipStream_tbEUljE_ZNSN_ISO_Lb1ESQ_SR_ST_SU_SY_EESZ_S10_S11_S12_S16_S17_S18_S1B_S1C_jS1D_jS1E_S1E_jjS1G_bEUljE0_EEESZ_S10_S11_S18_S1C_S1E_T6_T7_T9_mT8_S1G_bDpT10_ENKUlT_T0_E_clISt17integral_constantIbLb1EES1U_EEDaS1P_S1Q_EUlS1P_E_NS1_11comp_targetILNS1_3genE2ELNS1_11target_archE906ELNS1_3gpuE6ELNS1_3repE0EEENS1_30default_config_static_selectorELNS0_4arch9wavefront6targetE1EEEvS12_
; %bb.0:
	.section	.rodata,"a",@progbits
	.p2align	6, 0x0
	.amdhsa_kernel _ZN7rocprim17ROCPRIM_400000_NS6detail17trampoline_kernelINS0_13select_configILj256ELj13ELNS0_17block_load_methodE3ELS4_3ELS4_3ELNS0_20block_scan_algorithmE0ELj4294967295EEENS1_25partition_config_selectorILNS1_17partition_subalgoE4EjNS0_10empty_typeEbEEZZNS1_14partition_implILS8_4ELb0ES6_15HIP_vector_typeIjLj2EENS0_17counting_iteratorIjlEEPS9_SG_NS0_5tupleIJPjSI_NS0_16reverse_iteratorISI_EEEEENSH_IJSG_SG_SG_EEES9_SI_JZNS1_25segmented_radix_sort_implINS0_14default_configELb1EPKdPdPKlPlN2at6native12_GLOBAL__N_18offset_tEEE10hipError_tPvRmT1_PNSt15iterator_traitsIS12_E10value_typeET2_T3_PNS13_IS18_E10value_typeET4_jRbjT5_S1E_jjP12ihipStream_tbEUljE_ZNSN_ISO_Lb1ESQ_SR_ST_SU_SY_EESZ_S10_S11_S12_S16_S17_S18_S1B_S1C_jS1D_jS1E_S1E_jjS1G_bEUljE0_EEESZ_S10_S11_S18_S1C_S1E_T6_T7_T9_mT8_S1G_bDpT10_ENKUlT_T0_E_clISt17integral_constantIbLb1EES1U_EEDaS1P_S1Q_EUlS1P_E_NS1_11comp_targetILNS1_3genE2ELNS1_11target_archE906ELNS1_3gpuE6ELNS1_3repE0EEENS1_30default_config_static_selectorELNS0_4arch9wavefront6targetE1EEEvS12_
		.amdhsa_group_segment_fixed_size 0
		.amdhsa_private_segment_fixed_size 0
		.amdhsa_kernarg_size 184
		.amdhsa_user_sgpr_count 6
		.amdhsa_user_sgpr_private_segment_buffer 1
		.amdhsa_user_sgpr_dispatch_ptr 0
		.amdhsa_user_sgpr_queue_ptr 0
		.amdhsa_user_sgpr_kernarg_segment_ptr 1
		.amdhsa_user_sgpr_dispatch_id 0
		.amdhsa_user_sgpr_flat_scratch_init 0
		.amdhsa_user_sgpr_kernarg_preload_length 0
		.amdhsa_user_sgpr_kernarg_preload_offset 0
		.amdhsa_user_sgpr_private_segment_size 0
		.amdhsa_uses_dynamic_stack 0
		.amdhsa_system_sgpr_private_segment_wavefront_offset 0
		.amdhsa_system_sgpr_workgroup_id_x 1
		.amdhsa_system_sgpr_workgroup_id_y 0
		.amdhsa_system_sgpr_workgroup_id_z 0
		.amdhsa_system_sgpr_workgroup_info 0
		.amdhsa_system_vgpr_workitem_id 0
		.amdhsa_next_free_vgpr 1
		.amdhsa_next_free_sgpr 0
		.amdhsa_accum_offset 4
		.amdhsa_reserve_vcc 0
		.amdhsa_reserve_flat_scratch 0
		.amdhsa_float_round_mode_32 0
		.amdhsa_float_round_mode_16_64 0
		.amdhsa_float_denorm_mode_32 3
		.amdhsa_float_denorm_mode_16_64 3
		.amdhsa_dx10_clamp 1
		.amdhsa_ieee_mode 1
		.amdhsa_fp16_overflow 0
		.amdhsa_tg_split 0
		.amdhsa_exception_fp_ieee_invalid_op 0
		.amdhsa_exception_fp_denorm_src 0
		.amdhsa_exception_fp_ieee_div_zero 0
		.amdhsa_exception_fp_ieee_overflow 0
		.amdhsa_exception_fp_ieee_underflow 0
		.amdhsa_exception_fp_ieee_inexact 0
		.amdhsa_exception_int_div_zero 0
	.end_amdhsa_kernel
	.section	.text._ZN7rocprim17ROCPRIM_400000_NS6detail17trampoline_kernelINS0_13select_configILj256ELj13ELNS0_17block_load_methodE3ELS4_3ELS4_3ELNS0_20block_scan_algorithmE0ELj4294967295EEENS1_25partition_config_selectorILNS1_17partition_subalgoE4EjNS0_10empty_typeEbEEZZNS1_14partition_implILS8_4ELb0ES6_15HIP_vector_typeIjLj2EENS0_17counting_iteratorIjlEEPS9_SG_NS0_5tupleIJPjSI_NS0_16reverse_iteratorISI_EEEEENSH_IJSG_SG_SG_EEES9_SI_JZNS1_25segmented_radix_sort_implINS0_14default_configELb1EPKdPdPKlPlN2at6native12_GLOBAL__N_18offset_tEEE10hipError_tPvRmT1_PNSt15iterator_traitsIS12_E10value_typeET2_T3_PNS13_IS18_E10value_typeET4_jRbjT5_S1E_jjP12ihipStream_tbEUljE_ZNSN_ISO_Lb1ESQ_SR_ST_SU_SY_EESZ_S10_S11_S12_S16_S17_S18_S1B_S1C_jS1D_jS1E_S1E_jjS1G_bEUljE0_EEESZ_S10_S11_S18_S1C_S1E_T6_T7_T9_mT8_S1G_bDpT10_ENKUlT_T0_E_clISt17integral_constantIbLb1EES1U_EEDaS1P_S1Q_EUlS1P_E_NS1_11comp_targetILNS1_3genE2ELNS1_11target_archE906ELNS1_3gpuE6ELNS1_3repE0EEENS1_30default_config_static_selectorELNS0_4arch9wavefront6targetE1EEEvS12_,"axG",@progbits,_ZN7rocprim17ROCPRIM_400000_NS6detail17trampoline_kernelINS0_13select_configILj256ELj13ELNS0_17block_load_methodE3ELS4_3ELS4_3ELNS0_20block_scan_algorithmE0ELj4294967295EEENS1_25partition_config_selectorILNS1_17partition_subalgoE4EjNS0_10empty_typeEbEEZZNS1_14partition_implILS8_4ELb0ES6_15HIP_vector_typeIjLj2EENS0_17counting_iteratorIjlEEPS9_SG_NS0_5tupleIJPjSI_NS0_16reverse_iteratorISI_EEEEENSH_IJSG_SG_SG_EEES9_SI_JZNS1_25segmented_radix_sort_implINS0_14default_configELb1EPKdPdPKlPlN2at6native12_GLOBAL__N_18offset_tEEE10hipError_tPvRmT1_PNSt15iterator_traitsIS12_E10value_typeET2_T3_PNS13_IS18_E10value_typeET4_jRbjT5_S1E_jjP12ihipStream_tbEUljE_ZNSN_ISO_Lb1ESQ_SR_ST_SU_SY_EESZ_S10_S11_S12_S16_S17_S18_S1B_S1C_jS1D_jS1E_S1E_jjS1G_bEUljE0_EEESZ_S10_S11_S18_S1C_S1E_T6_T7_T9_mT8_S1G_bDpT10_ENKUlT_T0_E_clISt17integral_constantIbLb1EES1U_EEDaS1P_S1Q_EUlS1P_E_NS1_11comp_targetILNS1_3genE2ELNS1_11target_archE906ELNS1_3gpuE6ELNS1_3repE0EEENS1_30default_config_static_selectorELNS0_4arch9wavefront6targetE1EEEvS12_,comdat
.Lfunc_end1064:
	.size	_ZN7rocprim17ROCPRIM_400000_NS6detail17trampoline_kernelINS0_13select_configILj256ELj13ELNS0_17block_load_methodE3ELS4_3ELS4_3ELNS0_20block_scan_algorithmE0ELj4294967295EEENS1_25partition_config_selectorILNS1_17partition_subalgoE4EjNS0_10empty_typeEbEEZZNS1_14partition_implILS8_4ELb0ES6_15HIP_vector_typeIjLj2EENS0_17counting_iteratorIjlEEPS9_SG_NS0_5tupleIJPjSI_NS0_16reverse_iteratorISI_EEEEENSH_IJSG_SG_SG_EEES9_SI_JZNS1_25segmented_radix_sort_implINS0_14default_configELb1EPKdPdPKlPlN2at6native12_GLOBAL__N_18offset_tEEE10hipError_tPvRmT1_PNSt15iterator_traitsIS12_E10value_typeET2_T3_PNS13_IS18_E10value_typeET4_jRbjT5_S1E_jjP12ihipStream_tbEUljE_ZNSN_ISO_Lb1ESQ_SR_ST_SU_SY_EESZ_S10_S11_S12_S16_S17_S18_S1B_S1C_jS1D_jS1E_S1E_jjS1G_bEUljE0_EEESZ_S10_S11_S18_S1C_S1E_T6_T7_T9_mT8_S1G_bDpT10_ENKUlT_T0_E_clISt17integral_constantIbLb1EES1U_EEDaS1P_S1Q_EUlS1P_E_NS1_11comp_targetILNS1_3genE2ELNS1_11target_archE906ELNS1_3gpuE6ELNS1_3repE0EEENS1_30default_config_static_selectorELNS0_4arch9wavefront6targetE1EEEvS12_, .Lfunc_end1064-_ZN7rocprim17ROCPRIM_400000_NS6detail17trampoline_kernelINS0_13select_configILj256ELj13ELNS0_17block_load_methodE3ELS4_3ELS4_3ELNS0_20block_scan_algorithmE0ELj4294967295EEENS1_25partition_config_selectorILNS1_17partition_subalgoE4EjNS0_10empty_typeEbEEZZNS1_14partition_implILS8_4ELb0ES6_15HIP_vector_typeIjLj2EENS0_17counting_iteratorIjlEEPS9_SG_NS0_5tupleIJPjSI_NS0_16reverse_iteratorISI_EEEEENSH_IJSG_SG_SG_EEES9_SI_JZNS1_25segmented_radix_sort_implINS0_14default_configELb1EPKdPdPKlPlN2at6native12_GLOBAL__N_18offset_tEEE10hipError_tPvRmT1_PNSt15iterator_traitsIS12_E10value_typeET2_T3_PNS13_IS18_E10value_typeET4_jRbjT5_S1E_jjP12ihipStream_tbEUljE_ZNSN_ISO_Lb1ESQ_SR_ST_SU_SY_EESZ_S10_S11_S12_S16_S17_S18_S1B_S1C_jS1D_jS1E_S1E_jjS1G_bEUljE0_EEESZ_S10_S11_S18_S1C_S1E_T6_T7_T9_mT8_S1G_bDpT10_ENKUlT_T0_E_clISt17integral_constantIbLb1EES1U_EEDaS1P_S1Q_EUlS1P_E_NS1_11comp_targetILNS1_3genE2ELNS1_11target_archE906ELNS1_3gpuE6ELNS1_3repE0EEENS1_30default_config_static_selectorELNS0_4arch9wavefront6targetE1EEEvS12_
                                        ; -- End function
	.section	.AMDGPU.csdata,"",@progbits
; Kernel info:
; codeLenInByte = 0
; NumSgprs: 4
; NumVgprs: 0
; NumAgprs: 0
; TotalNumVgprs: 0
; ScratchSize: 0
; MemoryBound: 0
; FloatMode: 240
; IeeeMode: 1
; LDSByteSize: 0 bytes/workgroup (compile time only)
; SGPRBlocks: 0
; VGPRBlocks: 0
; NumSGPRsForWavesPerEU: 4
; NumVGPRsForWavesPerEU: 1
; AccumOffset: 4
; Occupancy: 8
; WaveLimiterHint : 0
; COMPUTE_PGM_RSRC2:SCRATCH_EN: 0
; COMPUTE_PGM_RSRC2:USER_SGPR: 6
; COMPUTE_PGM_RSRC2:TRAP_HANDLER: 0
; COMPUTE_PGM_RSRC2:TGID_X_EN: 1
; COMPUTE_PGM_RSRC2:TGID_Y_EN: 0
; COMPUTE_PGM_RSRC2:TGID_Z_EN: 0
; COMPUTE_PGM_RSRC2:TIDIG_COMP_CNT: 0
; COMPUTE_PGM_RSRC3_GFX90A:ACCUM_OFFSET: 0
; COMPUTE_PGM_RSRC3_GFX90A:TG_SPLIT: 0
	.section	.text._ZN7rocprim17ROCPRIM_400000_NS6detail17trampoline_kernelINS0_13select_configILj256ELj13ELNS0_17block_load_methodE3ELS4_3ELS4_3ELNS0_20block_scan_algorithmE0ELj4294967295EEENS1_25partition_config_selectorILNS1_17partition_subalgoE4EjNS0_10empty_typeEbEEZZNS1_14partition_implILS8_4ELb0ES6_15HIP_vector_typeIjLj2EENS0_17counting_iteratorIjlEEPS9_SG_NS0_5tupleIJPjSI_NS0_16reverse_iteratorISI_EEEEENSH_IJSG_SG_SG_EEES9_SI_JZNS1_25segmented_radix_sort_implINS0_14default_configELb1EPKdPdPKlPlN2at6native12_GLOBAL__N_18offset_tEEE10hipError_tPvRmT1_PNSt15iterator_traitsIS12_E10value_typeET2_T3_PNS13_IS18_E10value_typeET4_jRbjT5_S1E_jjP12ihipStream_tbEUljE_ZNSN_ISO_Lb1ESQ_SR_ST_SU_SY_EESZ_S10_S11_S12_S16_S17_S18_S1B_S1C_jS1D_jS1E_S1E_jjS1G_bEUljE0_EEESZ_S10_S11_S18_S1C_S1E_T6_T7_T9_mT8_S1G_bDpT10_ENKUlT_T0_E_clISt17integral_constantIbLb1EES1U_EEDaS1P_S1Q_EUlS1P_E_NS1_11comp_targetILNS1_3genE10ELNS1_11target_archE1200ELNS1_3gpuE4ELNS1_3repE0EEENS1_30default_config_static_selectorELNS0_4arch9wavefront6targetE1EEEvS12_,"axG",@progbits,_ZN7rocprim17ROCPRIM_400000_NS6detail17trampoline_kernelINS0_13select_configILj256ELj13ELNS0_17block_load_methodE3ELS4_3ELS4_3ELNS0_20block_scan_algorithmE0ELj4294967295EEENS1_25partition_config_selectorILNS1_17partition_subalgoE4EjNS0_10empty_typeEbEEZZNS1_14partition_implILS8_4ELb0ES6_15HIP_vector_typeIjLj2EENS0_17counting_iteratorIjlEEPS9_SG_NS0_5tupleIJPjSI_NS0_16reverse_iteratorISI_EEEEENSH_IJSG_SG_SG_EEES9_SI_JZNS1_25segmented_radix_sort_implINS0_14default_configELb1EPKdPdPKlPlN2at6native12_GLOBAL__N_18offset_tEEE10hipError_tPvRmT1_PNSt15iterator_traitsIS12_E10value_typeET2_T3_PNS13_IS18_E10value_typeET4_jRbjT5_S1E_jjP12ihipStream_tbEUljE_ZNSN_ISO_Lb1ESQ_SR_ST_SU_SY_EESZ_S10_S11_S12_S16_S17_S18_S1B_S1C_jS1D_jS1E_S1E_jjS1G_bEUljE0_EEESZ_S10_S11_S18_S1C_S1E_T6_T7_T9_mT8_S1G_bDpT10_ENKUlT_T0_E_clISt17integral_constantIbLb1EES1U_EEDaS1P_S1Q_EUlS1P_E_NS1_11comp_targetILNS1_3genE10ELNS1_11target_archE1200ELNS1_3gpuE4ELNS1_3repE0EEENS1_30default_config_static_selectorELNS0_4arch9wavefront6targetE1EEEvS12_,comdat
	.globl	_ZN7rocprim17ROCPRIM_400000_NS6detail17trampoline_kernelINS0_13select_configILj256ELj13ELNS0_17block_load_methodE3ELS4_3ELS4_3ELNS0_20block_scan_algorithmE0ELj4294967295EEENS1_25partition_config_selectorILNS1_17partition_subalgoE4EjNS0_10empty_typeEbEEZZNS1_14partition_implILS8_4ELb0ES6_15HIP_vector_typeIjLj2EENS0_17counting_iteratorIjlEEPS9_SG_NS0_5tupleIJPjSI_NS0_16reverse_iteratorISI_EEEEENSH_IJSG_SG_SG_EEES9_SI_JZNS1_25segmented_radix_sort_implINS0_14default_configELb1EPKdPdPKlPlN2at6native12_GLOBAL__N_18offset_tEEE10hipError_tPvRmT1_PNSt15iterator_traitsIS12_E10value_typeET2_T3_PNS13_IS18_E10value_typeET4_jRbjT5_S1E_jjP12ihipStream_tbEUljE_ZNSN_ISO_Lb1ESQ_SR_ST_SU_SY_EESZ_S10_S11_S12_S16_S17_S18_S1B_S1C_jS1D_jS1E_S1E_jjS1G_bEUljE0_EEESZ_S10_S11_S18_S1C_S1E_T6_T7_T9_mT8_S1G_bDpT10_ENKUlT_T0_E_clISt17integral_constantIbLb1EES1U_EEDaS1P_S1Q_EUlS1P_E_NS1_11comp_targetILNS1_3genE10ELNS1_11target_archE1200ELNS1_3gpuE4ELNS1_3repE0EEENS1_30default_config_static_selectorELNS0_4arch9wavefront6targetE1EEEvS12_ ; -- Begin function _ZN7rocprim17ROCPRIM_400000_NS6detail17trampoline_kernelINS0_13select_configILj256ELj13ELNS0_17block_load_methodE3ELS4_3ELS4_3ELNS0_20block_scan_algorithmE0ELj4294967295EEENS1_25partition_config_selectorILNS1_17partition_subalgoE4EjNS0_10empty_typeEbEEZZNS1_14partition_implILS8_4ELb0ES6_15HIP_vector_typeIjLj2EENS0_17counting_iteratorIjlEEPS9_SG_NS0_5tupleIJPjSI_NS0_16reverse_iteratorISI_EEEEENSH_IJSG_SG_SG_EEES9_SI_JZNS1_25segmented_radix_sort_implINS0_14default_configELb1EPKdPdPKlPlN2at6native12_GLOBAL__N_18offset_tEEE10hipError_tPvRmT1_PNSt15iterator_traitsIS12_E10value_typeET2_T3_PNS13_IS18_E10value_typeET4_jRbjT5_S1E_jjP12ihipStream_tbEUljE_ZNSN_ISO_Lb1ESQ_SR_ST_SU_SY_EESZ_S10_S11_S12_S16_S17_S18_S1B_S1C_jS1D_jS1E_S1E_jjS1G_bEUljE0_EEESZ_S10_S11_S18_S1C_S1E_T6_T7_T9_mT8_S1G_bDpT10_ENKUlT_T0_E_clISt17integral_constantIbLb1EES1U_EEDaS1P_S1Q_EUlS1P_E_NS1_11comp_targetILNS1_3genE10ELNS1_11target_archE1200ELNS1_3gpuE4ELNS1_3repE0EEENS1_30default_config_static_selectorELNS0_4arch9wavefront6targetE1EEEvS12_
	.p2align	8
	.type	_ZN7rocprim17ROCPRIM_400000_NS6detail17trampoline_kernelINS0_13select_configILj256ELj13ELNS0_17block_load_methodE3ELS4_3ELS4_3ELNS0_20block_scan_algorithmE0ELj4294967295EEENS1_25partition_config_selectorILNS1_17partition_subalgoE4EjNS0_10empty_typeEbEEZZNS1_14partition_implILS8_4ELb0ES6_15HIP_vector_typeIjLj2EENS0_17counting_iteratorIjlEEPS9_SG_NS0_5tupleIJPjSI_NS0_16reverse_iteratorISI_EEEEENSH_IJSG_SG_SG_EEES9_SI_JZNS1_25segmented_radix_sort_implINS0_14default_configELb1EPKdPdPKlPlN2at6native12_GLOBAL__N_18offset_tEEE10hipError_tPvRmT1_PNSt15iterator_traitsIS12_E10value_typeET2_T3_PNS13_IS18_E10value_typeET4_jRbjT5_S1E_jjP12ihipStream_tbEUljE_ZNSN_ISO_Lb1ESQ_SR_ST_SU_SY_EESZ_S10_S11_S12_S16_S17_S18_S1B_S1C_jS1D_jS1E_S1E_jjS1G_bEUljE0_EEESZ_S10_S11_S18_S1C_S1E_T6_T7_T9_mT8_S1G_bDpT10_ENKUlT_T0_E_clISt17integral_constantIbLb1EES1U_EEDaS1P_S1Q_EUlS1P_E_NS1_11comp_targetILNS1_3genE10ELNS1_11target_archE1200ELNS1_3gpuE4ELNS1_3repE0EEENS1_30default_config_static_selectorELNS0_4arch9wavefront6targetE1EEEvS12_,@function
_ZN7rocprim17ROCPRIM_400000_NS6detail17trampoline_kernelINS0_13select_configILj256ELj13ELNS0_17block_load_methodE3ELS4_3ELS4_3ELNS0_20block_scan_algorithmE0ELj4294967295EEENS1_25partition_config_selectorILNS1_17partition_subalgoE4EjNS0_10empty_typeEbEEZZNS1_14partition_implILS8_4ELb0ES6_15HIP_vector_typeIjLj2EENS0_17counting_iteratorIjlEEPS9_SG_NS0_5tupleIJPjSI_NS0_16reverse_iteratorISI_EEEEENSH_IJSG_SG_SG_EEES9_SI_JZNS1_25segmented_radix_sort_implINS0_14default_configELb1EPKdPdPKlPlN2at6native12_GLOBAL__N_18offset_tEEE10hipError_tPvRmT1_PNSt15iterator_traitsIS12_E10value_typeET2_T3_PNS13_IS18_E10value_typeET4_jRbjT5_S1E_jjP12ihipStream_tbEUljE_ZNSN_ISO_Lb1ESQ_SR_ST_SU_SY_EESZ_S10_S11_S12_S16_S17_S18_S1B_S1C_jS1D_jS1E_S1E_jjS1G_bEUljE0_EEESZ_S10_S11_S18_S1C_S1E_T6_T7_T9_mT8_S1G_bDpT10_ENKUlT_T0_E_clISt17integral_constantIbLb1EES1U_EEDaS1P_S1Q_EUlS1P_E_NS1_11comp_targetILNS1_3genE10ELNS1_11target_archE1200ELNS1_3gpuE4ELNS1_3repE0EEENS1_30default_config_static_selectorELNS0_4arch9wavefront6targetE1EEEvS12_: ; @_ZN7rocprim17ROCPRIM_400000_NS6detail17trampoline_kernelINS0_13select_configILj256ELj13ELNS0_17block_load_methodE3ELS4_3ELS4_3ELNS0_20block_scan_algorithmE0ELj4294967295EEENS1_25partition_config_selectorILNS1_17partition_subalgoE4EjNS0_10empty_typeEbEEZZNS1_14partition_implILS8_4ELb0ES6_15HIP_vector_typeIjLj2EENS0_17counting_iteratorIjlEEPS9_SG_NS0_5tupleIJPjSI_NS0_16reverse_iteratorISI_EEEEENSH_IJSG_SG_SG_EEES9_SI_JZNS1_25segmented_radix_sort_implINS0_14default_configELb1EPKdPdPKlPlN2at6native12_GLOBAL__N_18offset_tEEE10hipError_tPvRmT1_PNSt15iterator_traitsIS12_E10value_typeET2_T3_PNS13_IS18_E10value_typeET4_jRbjT5_S1E_jjP12ihipStream_tbEUljE_ZNSN_ISO_Lb1ESQ_SR_ST_SU_SY_EESZ_S10_S11_S12_S16_S17_S18_S1B_S1C_jS1D_jS1E_S1E_jjS1G_bEUljE0_EEESZ_S10_S11_S18_S1C_S1E_T6_T7_T9_mT8_S1G_bDpT10_ENKUlT_T0_E_clISt17integral_constantIbLb1EES1U_EEDaS1P_S1Q_EUlS1P_E_NS1_11comp_targetILNS1_3genE10ELNS1_11target_archE1200ELNS1_3gpuE4ELNS1_3repE0EEENS1_30default_config_static_selectorELNS0_4arch9wavefront6targetE1EEEvS12_
; %bb.0:
	.section	.rodata,"a",@progbits
	.p2align	6, 0x0
	.amdhsa_kernel _ZN7rocprim17ROCPRIM_400000_NS6detail17trampoline_kernelINS0_13select_configILj256ELj13ELNS0_17block_load_methodE3ELS4_3ELS4_3ELNS0_20block_scan_algorithmE0ELj4294967295EEENS1_25partition_config_selectorILNS1_17partition_subalgoE4EjNS0_10empty_typeEbEEZZNS1_14partition_implILS8_4ELb0ES6_15HIP_vector_typeIjLj2EENS0_17counting_iteratorIjlEEPS9_SG_NS0_5tupleIJPjSI_NS0_16reverse_iteratorISI_EEEEENSH_IJSG_SG_SG_EEES9_SI_JZNS1_25segmented_radix_sort_implINS0_14default_configELb1EPKdPdPKlPlN2at6native12_GLOBAL__N_18offset_tEEE10hipError_tPvRmT1_PNSt15iterator_traitsIS12_E10value_typeET2_T3_PNS13_IS18_E10value_typeET4_jRbjT5_S1E_jjP12ihipStream_tbEUljE_ZNSN_ISO_Lb1ESQ_SR_ST_SU_SY_EESZ_S10_S11_S12_S16_S17_S18_S1B_S1C_jS1D_jS1E_S1E_jjS1G_bEUljE0_EEESZ_S10_S11_S18_S1C_S1E_T6_T7_T9_mT8_S1G_bDpT10_ENKUlT_T0_E_clISt17integral_constantIbLb1EES1U_EEDaS1P_S1Q_EUlS1P_E_NS1_11comp_targetILNS1_3genE10ELNS1_11target_archE1200ELNS1_3gpuE4ELNS1_3repE0EEENS1_30default_config_static_selectorELNS0_4arch9wavefront6targetE1EEEvS12_
		.amdhsa_group_segment_fixed_size 0
		.amdhsa_private_segment_fixed_size 0
		.amdhsa_kernarg_size 184
		.amdhsa_user_sgpr_count 6
		.amdhsa_user_sgpr_private_segment_buffer 1
		.amdhsa_user_sgpr_dispatch_ptr 0
		.amdhsa_user_sgpr_queue_ptr 0
		.amdhsa_user_sgpr_kernarg_segment_ptr 1
		.amdhsa_user_sgpr_dispatch_id 0
		.amdhsa_user_sgpr_flat_scratch_init 0
		.amdhsa_user_sgpr_kernarg_preload_length 0
		.amdhsa_user_sgpr_kernarg_preload_offset 0
		.amdhsa_user_sgpr_private_segment_size 0
		.amdhsa_uses_dynamic_stack 0
		.amdhsa_system_sgpr_private_segment_wavefront_offset 0
		.amdhsa_system_sgpr_workgroup_id_x 1
		.amdhsa_system_sgpr_workgroup_id_y 0
		.amdhsa_system_sgpr_workgroup_id_z 0
		.amdhsa_system_sgpr_workgroup_info 0
		.amdhsa_system_vgpr_workitem_id 0
		.amdhsa_next_free_vgpr 1
		.amdhsa_next_free_sgpr 0
		.amdhsa_accum_offset 4
		.amdhsa_reserve_vcc 0
		.amdhsa_reserve_flat_scratch 0
		.amdhsa_float_round_mode_32 0
		.amdhsa_float_round_mode_16_64 0
		.amdhsa_float_denorm_mode_32 3
		.amdhsa_float_denorm_mode_16_64 3
		.amdhsa_dx10_clamp 1
		.amdhsa_ieee_mode 1
		.amdhsa_fp16_overflow 0
		.amdhsa_tg_split 0
		.amdhsa_exception_fp_ieee_invalid_op 0
		.amdhsa_exception_fp_denorm_src 0
		.amdhsa_exception_fp_ieee_div_zero 0
		.amdhsa_exception_fp_ieee_overflow 0
		.amdhsa_exception_fp_ieee_underflow 0
		.amdhsa_exception_fp_ieee_inexact 0
		.amdhsa_exception_int_div_zero 0
	.end_amdhsa_kernel
	.section	.text._ZN7rocprim17ROCPRIM_400000_NS6detail17trampoline_kernelINS0_13select_configILj256ELj13ELNS0_17block_load_methodE3ELS4_3ELS4_3ELNS0_20block_scan_algorithmE0ELj4294967295EEENS1_25partition_config_selectorILNS1_17partition_subalgoE4EjNS0_10empty_typeEbEEZZNS1_14partition_implILS8_4ELb0ES6_15HIP_vector_typeIjLj2EENS0_17counting_iteratorIjlEEPS9_SG_NS0_5tupleIJPjSI_NS0_16reverse_iteratorISI_EEEEENSH_IJSG_SG_SG_EEES9_SI_JZNS1_25segmented_radix_sort_implINS0_14default_configELb1EPKdPdPKlPlN2at6native12_GLOBAL__N_18offset_tEEE10hipError_tPvRmT1_PNSt15iterator_traitsIS12_E10value_typeET2_T3_PNS13_IS18_E10value_typeET4_jRbjT5_S1E_jjP12ihipStream_tbEUljE_ZNSN_ISO_Lb1ESQ_SR_ST_SU_SY_EESZ_S10_S11_S12_S16_S17_S18_S1B_S1C_jS1D_jS1E_S1E_jjS1G_bEUljE0_EEESZ_S10_S11_S18_S1C_S1E_T6_T7_T9_mT8_S1G_bDpT10_ENKUlT_T0_E_clISt17integral_constantIbLb1EES1U_EEDaS1P_S1Q_EUlS1P_E_NS1_11comp_targetILNS1_3genE10ELNS1_11target_archE1200ELNS1_3gpuE4ELNS1_3repE0EEENS1_30default_config_static_selectorELNS0_4arch9wavefront6targetE1EEEvS12_,"axG",@progbits,_ZN7rocprim17ROCPRIM_400000_NS6detail17trampoline_kernelINS0_13select_configILj256ELj13ELNS0_17block_load_methodE3ELS4_3ELS4_3ELNS0_20block_scan_algorithmE0ELj4294967295EEENS1_25partition_config_selectorILNS1_17partition_subalgoE4EjNS0_10empty_typeEbEEZZNS1_14partition_implILS8_4ELb0ES6_15HIP_vector_typeIjLj2EENS0_17counting_iteratorIjlEEPS9_SG_NS0_5tupleIJPjSI_NS0_16reverse_iteratorISI_EEEEENSH_IJSG_SG_SG_EEES9_SI_JZNS1_25segmented_radix_sort_implINS0_14default_configELb1EPKdPdPKlPlN2at6native12_GLOBAL__N_18offset_tEEE10hipError_tPvRmT1_PNSt15iterator_traitsIS12_E10value_typeET2_T3_PNS13_IS18_E10value_typeET4_jRbjT5_S1E_jjP12ihipStream_tbEUljE_ZNSN_ISO_Lb1ESQ_SR_ST_SU_SY_EESZ_S10_S11_S12_S16_S17_S18_S1B_S1C_jS1D_jS1E_S1E_jjS1G_bEUljE0_EEESZ_S10_S11_S18_S1C_S1E_T6_T7_T9_mT8_S1G_bDpT10_ENKUlT_T0_E_clISt17integral_constantIbLb1EES1U_EEDaS1P_S1Q_EUlS1P_E_NS1_11comp_targetILNS1_3genE10ELNS1_11target_archE1200ELNS1_3gpuE4ELNS1_3repE0EEENS1_30default_config_static_selectorELNS0_4arch9wavefront6targetE1EEEvS12_,comdat
.Lfunc_end1065:
	.size	_ZN7rocprim17ROCPRIM_400000_NS6detail17trampoline_kernelINS0_13select_configILj256ELj13ELNS0_17block_load_methodE3ELS4_3ELS4_3ELNS0_20block_scan_algorithmE0ELj4294967295EEENS1_25partition_config_selectorILNS1_17partition_subalgoE4EjNS0_10empty_typeEbEEZZNS1_14partition_implILS8_4ELb0ES6_15HIP_vector_typeIjLj2EENS0_17counting_iteratorIjlEEPS9_SG_NS0_5tupleIJPjSI_NS0_16reverse_iteratorISI_EEEEENSH_IJSG_SG_SG_EEES9_SI_JZNS1_25segmented_radix_sort_implINS0_14default_configELb1EPKdPdPKlPlN2at6native12_GLOBAL__N_18offset_tEEE10hipError_tPvRmT1_PNSt15iterator_traitsIS12_E10value_typeET2_T3_PNS13_IS18_E10value_typeET4_jRbjT5_S1E_jjP12ihipStream_tbEUljE_ZNSN_ISO_Lb1ESQ_SR_ST_SU_SY_EESZ_S10_S11_S12_S16_S17_S18_S1B_S1C_jS1D_jS1E_S1E_jjS1G_bEUljE0_EEESZ_S10_S11_S18_S1C_S1E_T6_T7_T9_mT8_S1G_bDpT10_ENKUlT_T0_E_clISt17integral_constantIbLb1EES1U_EEDaS1P_S1Q_EUlS1P_E_NS1_11comp_targetILNS1_3genE10ELNS1_11target_archE1200ELNS1_3gpuE4ELNS1_3repE0EEENS1_30default_config_static_selectorELNS0_4arch9wavefront6targetE1EEEvS12_, .Lfunc_end1065-_ZN7rocprim17ROCPRIM_400000_NS6detail17trampoline_kernelINS0_13select_configILj256ELj13ELNS0_17block_load_methodE3ELS4_3ELS4_3ELNS0_20block_scan_algorithmE0ELj4294967295EEENS1_25partition_config_selectorILNS1_17partition_subalgoE4EjNS0_10empty_typeEbEEZZNS1_14partition_implILS8_4ELb0ES6_15HIP_vector_typeIjLj2EENS0_17counting_iteratorIjlEEPS9_SG_NS0_5tupleIJPjSI_NS0_16reverse_iteratorISI_EEEEENSH_IJSG_SG_SG_EEES9_SI_JZNS1_25segmented_radix_sort_implINS0_14default_configELb1EPKdPdPKlPlN2at6native12_GLOBAL__N_18offset_tEEE10hipError_tPvRmT1_PNSt15iterator_traitsIS12_E10value_typeET2_T3_PNS13_IS18_E10value_typeET4_jRbjT5_S1E_jjP12ihipStream_tbEUljE_ZNSN_ISO_Lb1ESQ_SR_ST_SU_SY_EESZ_S10_S11_S12_S16_S17_S18_S1B_S1C_jS1D_jS1E_S1E_jjS1G_bEUljE0_EEESZ_S10_S11_S18_S1C_S1E_T6_T7_T9_mT8_S1G_bDpT10_ENKUlT_T0_E_clISt17integral_constantIbLb1EES1U_EEDaS1P_S1Q_EUlS1P_E_NS1_11comp_targetILNS1_3genE10ELNS1_11target_archE1200ELNS1_3gpuE4ELNS1_3repE0EEENS1_30default_config_static_selectorELNS0_4arch9wavefront6targetE1EEEvS12_
                                        ; -- End function
	.section	.AMDGPU.csdata,"",@progbits
; Kernel info:
; codeLenInByte = 0
; NumSgprs: 4
; NumVgprs: 0
; NumAgprs: 0
; TotalNumVgprs: 0
; ScratchSize: 0
; MemoryBound: 0
; FloatMode: 240
; IeeeMode: 1
; LDSByteSize: 0 bytes/workgroup (compile time only)
; SGPRBlocks: 0
; VGPRBlocks: 0
; NumSGPRsForWavesPerEU: 4
; NumVGPRsForWavesPerEU: 1
; AccumOffset: 4
; Occupancy: 8
; WaveLimiterHint : 0
; COMPUTE_PGM_RSRC2:SCRATCH_EN: 0
; COMPUTE_PGM_RSRC2:USER_SGPR: 6
; COMPUTE_PGM_RSRC2:TRAP_HANDLER: 0
; COMPUTE_PGM_RSRC2:TGID_X_EN: 1
; COMPUTE_PGM_RSRC2:TGID_Y_EN: 0
; COMPUTE_PGM_RSRC2:TGID_Z_EN: 0
; COMPUTE_PGM_RSRC2:TIDIG_COMP_CNT: 0
; COMPUTE_PGM_RSRC3_GFX90A:ACCUM_OFFSET: 0
; COMPUTE_PGM_RSRC3_GFX90A:TG_SPLIT: 0
	.section	.text._ZN7rocprim17ROCPRIM_400000_NS6detail17trampoline_kernelINS0_13select_configILj256ELj13ELNS0_17block_load_methodE3ELS4_3ELS4_3ELNS0_20block_scan_algorithmE0ELj4294967295EEENS1_25partition_config_selectorILNS1_17partition_subalgoE4EjNS0_10empty_typeEbEEZZNS1_14partition_implILS8_4ELb0ES6_15HIP_vector_typeIjLj2EENS0_17counting_iteratorIjlEEPS9_SG_NS0_5tupleIJPjSI_NS0_16reverse_iteratorISI_EEEEENSH_IJSG_SG_SG_EEES9_SI_JZNS1_25segmented_radix_sort_implINS0_14default_configELb1EPKdPdPKlPlN2at6native12_GLOBAL__N_18offset_tEEE10hipError_tPvRmT1_PNSt15iterator_traitsIS12_E10value_typeET2_T3_PNS13_IS18_E10value_typeET4_jRbjT5_S1E_jjP12ihipStream_tbEUljE_ZNSN_ISO_Lb1ESQ_SR_ST_SU_SY_EESZ_S10_S11_S12_S16_S17_S18_S1B_S1C_jS1D_jS1E_S1E_jjS1G_bEUljE0_EEESZ_S10_S11_S18_S1C_S1E_T6_T7_T9_mT8_S1G_bDpT10_ENKUlT_T0_E_clISt17integral_constantIbLb1EES1U_EEDaS1P_S1Q_EUlS1P_E_NS1_11comp_targetILNS1_3genE9ELNS1_11target_archE1100ELNS1_3gpuE3ELNS1_3repE0EEENS1_30default_config_static_selectorELNS0_4arch9wavefront6targetE1EEEvS12_,"axG",@progbits,_ZN7rocprim17ROCPRIM_400000_NS6detail17trampoline_kernelINS0_13select_configILj256ELj13ELNS0_17block_load_methodE3ELS4_3ELS4_3ELNS0_20block_scan_algorithmE0ELj4294967295EEENS1_25partition_config_selectorILNS1_17partition_subalgoE4EjNS0_10empty_typeEbEEZZNS1_14partition_implILS8_4ELb0ES6_15HIP_vector_typeIjLj2EENS0_17counting_iteratorIjlEEPS9_SG_NS0_5tupleIJPjSI_NS0_16reverse_iteratorISI_EEEEENSH_IJSG_SG_SG_EEES9_SI_JZNS1_25segmented_radix_sort_implINS0_14default_configELb1EPKdPdPKlPlN2at6native12_GLOBAL__N_18offset_tEEE10hipError_tPvRmT1_PNSt15iterator_traitsIS12_E10value_typeET2_T3_PNS13_IS18_E10value_typeET4_jRbjT5_S1E_jjP12ihipStream_tbEUljE_ZNSN_ISO_Lb1ESQ_SR_ST_SU_SY_EESZ_S10_S11_S12_S16_S17_S18_S1B_S1C_jS1D_jS1E_S1E_jjS1G_bEUljE0_EEESZ_S10_S11_S18_S1C_S1E_T6_T7_T9_mT8_S1G_bDpT10_ENKUlT_T0_E_clISt17integral_constantIbLb1EES1U_EEDaS1P_S1Q_EUlS1P_E_NS1_11comp_targetILNS1_3genE9ELNS1_11target_archE1100ELNS1_3gpuE3ELNS1_3repE0EEENS1_30default_config_static_selectorELNS0_4arch9wavefront6targetE1EEEvS12_,comdat
	.globl	_ZN7rocprim17ROCPRIM_400000_NS6detail17trampoline_kernelINS0_13select_configILj256ELj13ELNS0_17block_load_methodE3ELS4_3ELS4_3ELNS0_20block_scan_algorithmE0ELj4294967295EEENS1_25partition_config_selectorILNS1_17partition_subalgoE4EjNS0_10empty_typeEbEEZZNS1_14partition_implILS8_4ELb0ES6_15HIP_vector_typeIjLj2EENS0_17counting_iteratorIjlEEPS9_SG_NS0_5tupleIJPjSI_NS0_16reverse_iteratorISI_EEEEENSH_IJSG_SG_SG_EEES9_SI_JZNS1_25segmented_radix_sort_implINS0_14default_configELb1EPKdPdPKlPlN2at6native12_GLOBAL__N_18offset_tEEE10hipError_tPvRmT1_PNSt15iterator_traitsIS12_E10value_typeET2_T3_PNS13_IS18_E10value_typeET4_jRbjT5_S1E_jjP12ihipStream_tbEUljE_ZNSN_ISO_Lb1ESQ_SR_ST_SU_SY_EESZ_S10_S11_S12_S16_S17_S18_S1B_S1C_jS1D_jS1E_S1E_jjS1G_bEUljE0_EEESZ_S10_S11_S18_S1C_S1E_T6_T7_T9_mT8_S1G_bDpT10_ENKUlT_T0_E_clISt17integral_constantIbLb1EES1U_EEDaS1P_S1Q_EUlS1P_E_NS1_11comp_targetILNS1_3genE9ELNS1_11target_archE1100ELNS1_3gpuE3ELNS1_3repE0EEENS1_30default_config_static_selectorELNS0_4arch9wavefront6targetE1EEEvS12_ ; -- Begin function _ZN7rocprim17ROCPRIM_400000_NS6detail17trampoline_kernelINS0_13select_configILj256ELj13ELNS0_17block_load_methodE3ELS4_3ELS4_3ELNS0_20block_scan_algorithmE0ELj4294967295EEENS1_25partition_config_selectorILNS1_17partition_subalgoE4EjNS0_10empty_typeEbEEZZNS1_14partition_implILS8_4ELb0ES6_15HIP_vector_typeIjLj2EENS0_17counting_iteratorIjlEEPS9_SG_NS0_5tupleIJPjSI_NS0_16reverse_iteratorISI_EEEEENSH_IJSG_SG_SG_EEES9_SI_JZNS1_25segmented_radix_sort_implINS0_14default_configELb1EPKdPdPKlPlN2at6native12_GLOBAL__N_18offset_tEEE10hipError_tPvRmT1_PNSt15iterator_traitsIS12_E10value_typeET2_T3_PNS13_IS18_E10value_typeET4_jRbjT5_S1E_jjP12ihipStream_tbEUljE_ZNSN_ISO_Lb1ESQ_SR_ST_SU_SY_EESZ_S10_S11_S12_S16_S17_S18_S1B_S1C_jS1D_jS1E_S1E_jjS1G_bEUljE0_EEESZ_S10_S11_S18_S1C_S1E_T6_T7_T9_mT8_S1G_bDpT10_ENKUlT_T0_E_clISt17integral_constantIbLb1EES1U_EEDaS1P_S1Q_EUlS1P_E_NS1_11comp_targetILNS1_3genE9ELNS1_11target_archE1100ELNS1_3gpuE3ELNS1_3repE0EEENS1_30default_config_static_selectorELNS0_4arch9wavefront6targetE1EEEvS12_
	.p2align	8
	.type	_ZN7rocprim17ROCPRIM_400000_NS6detail17trampoline_kernelINS0_13select_configILj256ELj13ELNS0_17block_load_methodE3ELS4_3ELS4_3ELNS0_20block_scan_algorithmE0ELj4294967295EEENS1_25partition_config_selectorILNS1_17partition_subalgoE4EjNS0_10empty_typeEbEEZZNS1_14partition_implILS8_4ELb0ES6_15HIP_vector_typeIjLj2EENS0_17counting_iteratorIjlEEPS9_SG_NS0_5tupleIJPjSI_NS0_16reverse_iteratorISI_EEEEENSH_IJSG_SG_SG_EEES9_SI_JZNS1_25segmented_radix_sort_implINS0_14default_configELb1EPKdPdPKlPlN2at6native12_GLOBAL__N_18offset_tEEE10hipError_tPvRmT1_PNSt15iterator_traitsIS12_E10value_typeET2_T3_PNS13_IS18_E10value_typeET4_jRbjT5_S1E_jjP12ihipStream_tbEUljE_ZNSN_ISO_Lb1ESQ_SR_ST_SU_SY_EESZ_S10_S11_S12_S16_S17_S18_S1B_S1C_jS1D_jS1E_S1E_jjS1G_bEUljE0_EEESZ_S10_S11_S18_S1C_S1E_T6_T7_T9_mT8_S1G_bDpT10_ENKUlT_T0_E_clISt17integral_constantIbLb1EES1U_EEDaS1P_S1Q_EUlS1P_E_NS1_11comp_targetILNS1_3genE9ELNS1_11target_archE1100ELNS1_3gpuE3ELNS1_3repE0EEENS1_30default_config_static_selectorELNS0_4arch9wavefront6targetE1EEEvS12_,@function
_ZN7rocprim17ROCPRIM_400000_NS6detail17trampoline_kernelINS0_13select_configILj256ELj13ELNS0_17block_load_methodE3ELS4_3ELS4_3ELNS0_20block_scan_algorithmE0ELj4294967295EEENS1_25partition_config_selectorILNS1_17partition_subalgoE4EjNS0_10empty_typeEbEEZZNS1_14partition_implILS8_4ELb0ES6_15HIP_vector_typeIjLj2EENS0_17counting_iteratorIjlEEPS9_SG_NS0_5tupleIJPjSI_NS0_16reverse_iteratorISI_EEEEENSH_IJSG_SG_SG_EEES9_SI_JZNS1_25segmented_radix_sort_implINS0_14default_configELb1EPKdPdPKlPlN2at6native12_GLOBAL__N_18offset_tEEE10hipError_tPvRmT1_PNSt15iterator_traitsIS12_E10value_typeET2_T3_PNS13_IS18_E10value_typeET4_jRbjT5_S1E_jjP12ihipStream_tbEUljE_ZNSN_ISO_Lb1ESQ_SR_ST_SU_SY_EESZ_S10_S11_S12_S16_S17_S18_S1B_S1C_jS1D_jS1E_S1E_jjS1G_bEUljE0_EEESZ_S10_S11_S18_S1C_S1E_T6_T7_T9_mT8_S1G_bDpT10_ENKUlT_T0_E_clISt17integral_constantIbLb1EES1U_EEDaS1P_S1Q_EUlS1P_E_NS1_11comp_targetILNS1_3genE9ELNS1_11target_archE1100ELNS1_3gpuE3ELNS1_3repE0EEENS1_30default_config_static_selectorELNS0_4arch9wavefront6targetE1EEEvS12_: ; @_ZN7rocprim17ROCPRIM_400000_NS6detail17trampoline_kernelINS0_13select_configILj256ELj13ELNS0_17block_load_methodE3ELS4_3ELS4_3ELNS0_20block_scan_algorithmE0ELj4294967295EEENS1_25partition_config_selectorILNS1_17partition_subalgoE4EjNS0_10empty_typeEbEEZZNS1_14partition_implILS8_4ELb0ES6_15HIP_vector_typeIjLj2EENS0_17counting_iteratorIjlEEPS9_SG_NS0_5tupleIJPjSI_NS0_16reverse_iteratorISI_EEEEENSH_IJSG_SG_SG_EEES9_SI_JZNS1_25segmented_radix_sort_implINS0_14default_configELb1EPKdPdPKlPlN2at6native12_GLOBAL__N_18offset_tEEE10hipError_tPvRmT1_PNSt15iterator_traitsIS12_E10value_typeET2_T3_PNS13_IS18_E10value_typeET4_jRbjT5_S1E_jjP12ihipStream_tbEUljE_ZNSN_ISO_Lb1ESQ_SR_ST_SU_SY_EESZ_S10_S11_S12_S16_S17_S18_S1B_S1C_jS1D_jS1E_S1E_jjS1G_bEUljE0_EEESZ_S10_S11_S18_S1C_S1E_T6_T7_T9_mT8_S1G_bDpT10_ENKUlT_T0_E_clISt17integral_constantIbLb1EES1U_EEDaS1P_S1Q_EUlS1P_E_NS1_11comp_targetILNS1_3genE9ELNS1_11target_archE1100ELNS1_3gpuE3ELNS1_3repE0EEENS1_30default_config_static_selectorELNS0_4arch9wavefront6targetE1EEEvS12_
; %bb.0:
	.section	.rodata,"a",@progbits
	.p2align	6, 0x0
	.amdhsa_kernel _ZN7rocprim17ROCPRIM_400000_NS6detail17trampoline_kernelINS0_13select_configILj256ELj13ELNS0_17block_load_methodE3ELS4_3ELS4_3ELNS0_20block_scan_algorithmE0ELj4294967295EEENS1_25partition_config_selectorILNS1_17partition_subalgoE4EjNS0_10empty_typeEbEEZZNS1_14partition_implILS8_4ELb0ES6_15HIP_vector_typeIjLj2EENS0_17counting_iteratorIjlEEPS9_SG_NS0_5tupleIJPjSI_NS0_16reverse_iteratorISI_EEEEENSH_IJSG_SG_SG_EEES9_SI_JZNS1_25segmented_radix_sort_implINS0_14default_configELb1EPKdPdPKlPlN2at6native12_GLOBAL__N_18offset_tEEE10hipError_tPvRmT1_PNSt15iterator_traitsIS12_E10value_typeET2_T3_PNS13_IS18_E10value_typeET4_jRbjT5_S1E_jjP12ihipStream_tbEUljE_ZNSN_ISO_Lb1ESQ_SR_ST_SU_SY_EESZ_S10_S11_S12_S16_S17_S18_S1B_S1C_jS1D_jS1E_S1E_jjS1G_bEUljE0_EEESZ_S10_S11_S18_S1C_S1E_T6_T7_T9_mT8_S1G_bDpT10_ENKUlT_T0_E_clISt17integral_constantIbLb1EES1U_EEDaS1P_S1Q_EUlS1P_E_NS1_11comp_targetILNS1_3genE9ELNS1_11target_archE1100ELNS1_3gpuE3ELNS1_3repE0EEENS1_30default_config_static_selectorELNS0_4arch9wavefront6targetE1EEEvS12_
		.amdhsa_group_segment_fixed_size 0
		.amdhsa_private_segment_fixed_size 0
		.amdhsa_kernarg_size 184
		.amdhsa_user_sgpr_count 6
		.amdhsa_user_sgpr_private_segment_buffer 1
		.amdhsa_user_sgpr_dispatch_ptr 0
		.amdhsa_user_sgpr_queue_ptr 0
		.amdhsa_user_sgpr_kernarg_segment_ptr 1
		.amdhsa_user_sgpr_dispatch_id 0
		.amdhsa_user_sgpr_flat_scratch_init 0
		.amdhsa_user_sgpr_kernarg_preload_length 0
		.amdhsa_user_sgpr_kernarg_preload_offset 0
		.amdhsa_user_sgpr_private_segment_size 0
		.amdhsa_uses_dynamic_stack 0
		.amdhsa_system_sgpr_private_segment_wavefront_offset 0
		.amdhsa_system_sgpr_workgroup_id_x 1
		.amdhsa_system_sgpr_workgroup_id_y 0
		.amdhsa_system_sgpr_workgroup_id_z 0
		.amdhsa_system_sgpr_workgroup_info 0
		.amdhsa_system_vgpr_workitem_id 0
		.amdhsa_next_free_vgpr 1
		.amdhsa_next_free_sgpr 0
		.amdhsa_accum_offset 4
		.amdhsa_reserve_vcc 0
		.amdhsa_reserve_flat_scratch 0
		.amdhsa_float_round_mode_32 0
		.amdhsa_float_round_mode_16_64 0
		.amdhsa_float_denorm_mode_32 3
		.amdhsa_float_denorm_mode_16_64 3
		.amdhsa_dx10_clamp 1
		.amdhsa_ieee_mode 1
		.amdhsa_fp16_overflow 0
		.amdhsa_tg_split 0
		.amdhsa_exception_fp_ieee_invalid_op 0
		.amdhsa_exception_fp_denorm_src 0
		.amdhsa_exception_fp_ieee_div_zero 0
		.amdhsa_exception_fp_ieee_overflow 0
		.amdhsa_exception_fp_ieee_underflow 0
		.amdhsa_exception_fp_ieee_inexact 0
		.amdhsa_exception_int_div_zero 0
	.end_amdhsa_kernel
	.section	.text._ZN7rocprim17ROCPRIM_400000_NS6detail17trampoline_kernelINS0_13select_configILj256ELj13ELNS0_17block_load_methodE3ELS4_3ELS4_3ELNS0_20block_scan_algorithmE0ELj4294967295EEENS1_25partition_config_selectorILNS1_17partition_subalgoE4EjNS0_10empty_typeEbEEZZNS1_14partition_implILS8_4ELb0ES6_15HIP_vector_typeIjLj2EENS0_17counting_iteratorIjlEEPS9_SG_NS0_5tupleIJPjSI_NS0_16reverse_iteratorISI_EEEEENSH_IJSG_SG_SG_EEES9_SI_JZNS1_25segmented_radix_sort_implINS0_14default_configELb1EPKdPdPKlPlN2at6native12_GLOBAL__N_18offset_tEEE10hipError_tPvRmT1_PNSt15iterator_traitsIS12_E10value_typeET2_T3_PNS13_IS18_E10value_typeET4_jRbjT5_S1E_jjP12ihipStream_tbEUljE_ZNSN_ISO_Lb1ESQ_SR_ST_SU_SY_EESZ_S10_S11_S12_S16_S17_S18_S1B_S1C_jS1D_jS1E_S1E_jjS1G_bEUljE0_EEESZ_S10_S11_S18_S1C_S1E_T6_T7_T9_mT8_S1G_bDpT10_ENKUlT_T0_E_clISt17integral_constantIbLb1EES1U_EEDaS1P_S1Q_EUlS1P_E_NS1_11comp_targetILNS1_3genE9ELNS1_11target_archE1100ELNS1_3gpuE3ELNS1_3repE0EEENS1_30default_config_static_selectorELNS0_4arch9wavefront6targetE1EEEvS12_,"axG",@progbits,_ZN7rocprim17ROCPRIM_400000_NS6detail17trampoline_kernelINS0_13select_configILj256ELj13ELNS0_17block_load_methodE3ELS4_3ELS4_3ELNS0_20block_scan_algorithmE0ELj4294967295EEENS1_25partition_config_selectorILNS1_17partition_subalgoE4EjNS0_10empty_typeEbEEZZNS1_14partition_implILS8_4ELb0ES6_15HIP_vector_typeIjLj2EENS0_17counting_iteratorIjlEEPS9_SG_NS0_5tupleIJPjSI_NS0_16reverse_iteratorISI_EEEEENSH_IJSG_SG_SG_EEES9_SI_JZNS1_25segmented_radix_sort_implINS0_14default_configELb1EPKdPdPKlPlN2at6native12_GLOBAL__N_18offset_tEEE10hipError_tPvRmT1_PNSt15iterator_traitsIS12_E10value_typeET2_T3_PNS13_IS18_E10value_typeET4_jRbjT5_S1E_jjP12ihipStream_tbEUljE_ZNSN_ISO_Lb1ESQ_SR_ST_SU_SY_EESZ_S10_S11_S12_S16_S17_S18_S1B_S1C_jS1D_jS1E_S1E_jjS1G_bEUljE0_EEESZ_S10_S11_S18_S1C_S1E_T6_T7_T9_mT8_S1G_bDpT10_ENKUlT_T0_E_clISt17integral_constantIbLb1EES1U_EEDaS1P_S1Q_EUlS1P_E_NS1_11comp_targetILNS1_3genE9ELNS1_11target_archE1100ELNS1_3gpuE3ELNS1_3repE0EEENS1_30default_config_static_selectorELNS0_4arch9wavefront6targetE1EEEvS12_,comdat
.Lfunc_end1066:
	.size	_ZN7rocprim17ROCPRIM_400000_NS6detail17trampoline_kernelINS0_13select_configILj256ELj13ELNS0_17block_load_methodE3ELS4_3ELS4_3ELNS0_20block_scan_algorithmE0ELj4294967295EEENS1_25partition_config_selectorILNS1_17partition_subalgoE4EjNS0_10empty_typeEbEEZZNS1_14partition_implILS8_4ELb0ES6_15HIP_vector_typeIjLj2EENS0_17counting_iteratorIjlEEPS9_SG_NS0_5tupleIJPjSI_NS0_16reverse_iteratorISI_EEEEENSH_IJSG_SG_SG_EEES9_SI_JZNS1_25segmented_radix_sort_implINS0_14default_configELb1EPKdPdPKlPlN2at6native12_GLOBAL__N_18offset_tEEE10hipError_tPvRmT1_PNSt15iterator_traitsIS12_E10value_typeET2_T3_PNS13_IS18_E10value_typeET4_jRbjT5_S1E_jjP12ihipStream_tbEUljE_ZNSN_ISO_Lb1ESQ_SR_ST_SU_SY_EESZ_S10_S11_S12_S16_S17_S18_S1B_S1C_jS1D_jS1E_S1E_jjS1G_bEUljE0_EEESZ_S10_S11_S18_S1C_S1E_T6_T7_T9_mT8_S1G_bDpT10_ENKUlT_T0_E_clISt17integral_constantIbLb1EES1U_EEDaS1P_S1Q_EUlS1P_E_NS1_11comp_targetILNS1_3genE9ELNS1_11target_archE1100ELNS1_3gpuE3ELNS1_3repE0EEENS1_30default_config_static_selectorELNS0_4arch9wavefront6targetE1EEEvS12_, .Lfunc_end1066-_ZN7rocprim17ROCPRIM_400000_NS6detail17trampoline_kernelINS0_13select_configILj256ELj13ELNS0_17block_load_methodE3ELS4_3ELS4_3ELNS0_20block_scan_algorithmE0ELj4294967295EEENS1_25partition_config_selectorILNS1_17partition_subalgoE4EjNS0_10empty_typeEbEEZZNS1_14partition_implILS8_4ELb0ES6_15HIP_vector_typeIjLj2EENS0_17counting_iteratorIjlEEPS9_SG_NS0_5tupleIJPjSI_NS0_16reverse_iteratorISI_EEEEENSH_IJSG_SG_SG_EEES9_SI_JZNS1_25segmented_radix_sort_implINS0_14default_configELb1EPKdPdPKlPlN2at6native12_GLOBAL__N_18offset_tEEE10hipError_tPvRmT1_PNSt15iterator_traitsIS12_E10value_typeET2_T3_PNS13_IS18_E10value_typeET4_jRbjT5_S1E_jjP12ihipStream_tbEUljE_ZNSN_ISO_Lb1ESQ_SR_ST_SU_SY_EESZ_S10_S11_S12_S16_S17_S18_S1B_S1C_jS1D_jS1E_S1E_jjS1G_bEUljE0_EEESZ_S10_S11_S18_S1C_S1E_T6_T7_T9_mT8_S1G_bDpT10_ENKUlT_T0_E_clISt17integral_constantIbLb1EES1U_EEDaS1P_S1Q_EUlS1P_E_NS1_11comp_targetILNS1_3genE9ELNS1_11target_archE1100ELNS1_3gpuE3ELNS1_3repE0EEENS1_30default_config_static_selectorELNS0_4arch9wavefront6targetE1EEEvS12_
                                        ; -- End function
	.section	.AMDGPU.csdata,"",@progbits
; Kernel info:
; codeLenInByte = 0
; NumSgprs: 4
; NumVgprs: 0
; NumAgprs: 0
; TotalNumVgprs: 0
; ScratchSize: 0
; MemoryBound: 0
; FloatMode: 240
; IeeeMode: 1
; LDSByteSize: 0 bytes/workgroup (compile time only)
; SGPRBlocks: 0
; VGPRBlocks: 0
; NumSGPRsForWavesPerEU: 4
; NumVGPRsForWavesPerEU: 1
; AccumOffset: 4
; Occupancy: 8
; WaveLimiterHint : 0
; COMPUTE_PGM_RSRC2:SCRATCH_EN: 0
; COMPUTE_PGM_RSRC2:USER_SGPR: 6
; COMPUTE_PGM_RSRC2:TRAP_HANDLER: 0
; COMPUTE_PGM_RSRC2:TGID_X_EN: 1
; COMPUTE_PGM_RSRC2:TGID_Y_EN: 0
; COMPUTE_PGM_RSRC2:TGID_Z_EN: 0
; COMPUTE_PGM_RSRC2:TIDIG_COMP_CNT: 0
; COMPUTE_PGM_RSRC3_GFX90A:ACCUM_OFFSET: 0
; COMPUTE_PGM_RSRC3_GFX90A:TG_SPLIT: 0
	.section	.text._ZN7rocprim17ROCPRIM_400000_NS6detail17trampoline_kernelINS0_13select_configILj256ELj13ELNS0_17block_load_methodE3ELS4_3ELS4_3ELNS0_20block_scan_algorithmE0ELj4294967295EEENS1_25partition_config_selectorILNS1_17partition_subalgoE4EjNS0_10empty_typeEbEEZZNS1_14partition_implILS8_4ELb0ES6_15HIP_vector_typeIjLj2EENS0_17counting_iteratorIjlEEPS9_SG_NS0_5tupleIJPjSI_NS0_16reverse_iteratorISI_EEEEENSH_IJSG_SG_SG_EEES9_SI_JZNS1_25segmented_radix_sort_implINS0_14default_configELb1EPKdPdPKlPlN2at6native12_GLOBAL__N_18offset_tEEE10hipError_tPvRmT1_PNSt15iterator_traitsIS12_E10value_typeET2_T3_PNS13_IS18_E10value_typeET4_jRbjT5_S1E_jjP12ihipStream_tbEUljE_ZNSN_ISO_Lb1ESQ_SR_ST_SU_SY_EESZ_S10_S11_S12_S16_S17_S18_S1B_S1C_jS1D_jS1E_S1E_jjS1G_bEUljE0_EEESZ_S10_S11_S18_S1C_S1E_T6_T7_T9_mT8_S1G_bDpT10_ENKUlT_T0_E_clISt17integral_constantIbLb1EES1U_EEDaS1P_S1Q_EUlS1P_E_NS1_11comp_targetILNS1_3genE8ELNS1_11target_archE1030ELNS1_3gpuE2ELNS1_3repE0EEENS1_30default_config_static_selectorELNS0_4arch9wavefront6targetE1EEEvS12_,"axG",@progbits,_ZN7rocprim17ROCPRIM_400000_NS6detail17trampoline_kernelINS0_13select_configILj256ELj13ELNS0_17block_load_methodE3ELS4_3ELS4_3ELNS0_20block_scan_algorithmE0ELj4294967295EEENS1_25partition_config_selectorILNS1_17partition_subalgoE4EjNS0_10empty_typeEbEEZZNS1_14partition_implILS8_4ELb0ES6_15HIP_vector_typeIjLj2EENS0_17counting_iteratorIjlEEPS9_SG_NS0_5tupleIJPjSI_NS0_16reverse_iteratorISI_EEEEENSH_IJSG_SG_SG_EEES9_SI_JZNS1_25segmented_radix_sort_implINS0_14default_configELb1EPKdPdPKlPlN2at6native12_GLOBAL__N_18offset_tEEE10hipError_tPvRmT1_PNSt15iterator_traitsIS12_E10value_typeET2_T3_PNS13_IS18_E10value_typeET4_jRbjT5_S1E_jjP12ihipStream_tbEUljE_ZNSN_ISO_Lb1ESQ_SR_ST_SU_SY_EESZ_S10_S11_S12_S16_S17_S18_S1B_S1C_jS1D_jS1E_S1E_jjS1G_bEUljE0_EEESZ_S10_S11_S18_S1C_S1E_T6_T7_T9_mT8_S1G_bDpT10_ENKUlT_T0_E_clISt17integral_constantIbLb1EES1U_EEDaS1P_S1Q_EUlS1P_E_NS1_11comp_targetILNS1_3genE8ELNS1_11target_archE1030ELNS1_3gpuE2ELNS1_3repE0EEENS1_30default_config_static_selectorELNS0_4arch9wavefront6targetE1EEEvS12_,comdat
	.globl	_ZN7rocprim17ROCPRIM_400000_NS6detail17trampoline_kernelINS0_13select_configILj256ELj13ELNS0_17block_load_methodE3ELS4_3ELS4_3ELNS0_20block_scan_algorithmE0ELj4294967295EEENS1_25partition_config_selectorILNS1_17partition_subalgoE4EjNS0_10empty_typeEbEEZZNS1_14partition_implILS8_4ELb0ES6_15HIP_vector_typeIjLj2EENS0_17counting_iteratorIjlEEPS9_SG_NS0_5tupleIJPjSI_NS0_16reverse_iteratorISI_EEEEENSH_IJSG_SG_SG_EEES9_SI_JZNS1_25segmented_radix_sort_implINS0_14default_configELb1EPKdPdPKlPlN2at6native12_GLOBAL__N_18offset_tEEE10hipError_tPvRmT1_PNSt15iterator_traitsIS12_E10value_typeET2_T3_PNS13_IS18_E10value_typeET4_jRbjT5_S1E_jjP12ihipStream_tbEUljE_ZNSN_ISO_Lb1ESQ_SR_ST_SU_SY_EESZ_S10_S11_S12_S16_S17_S18_S1B_S1C_jS1D_jS1E_S1E_jjS1G_bEUljE0_EEESZ_S10_S11_S18_S1C_S1E_T6_T7_T9_mT8_S1G_bDpT10_ENKUlT_T0_E_clISt17integral_constantIbLb1EES1U_EEDaS1P_S1Q_EUlS1P_E_NS1_11comp_targetILNS1_3genE8ELNS1_11target_archE1030ELNS1_3gpuE2ELNS1_3repE0EEENS1_30default_config_static_selectorELNS0_4arch9wavefront6targetE1EEEvS12_ ; -- Begin function _ZN7rocprim17ROCPRIM_400000_NS6detail17trampoline_kernelINS0_13select_configILj256ELj13ELNS0_17block_load_methodE3ELS4_3ELS4_3ELNS0_20block_scan_algorithmE0ELj4294967295EEENS1_25partition_config_selectorILNS1_17partition_subalgoE4EjNS0_10empty_typeEbEEZZNS1_14partition_implILS8_4ELb0ES6_15HIP_vector_typeIjLj2EENS0_17counting_iteratorIjlEEPS9_SG_NS0_5tupleIJPjSI_NS0_16reverse_iteratorISI_EEEEENSH_IJSG_SG_SG_EEES9_SI_JZNS1_25segmented_radix_sort_implINS0_14default_configELb1EPKdPdPKlPlN2at6native12_GLOBAL__N_18offset_tEEE10hipError_tPvRmT1_PNSt15iterator_traitsIS12_E10value_typeET2_T3_PNS13_IS18_E10value_typeET4_jRbjT5_S1E_jjP12ihipStream_tbEUljE_ZNSN_ISO_Lb1ESQ_SR_ST_SU_SY_EESZ_S10_S11_S12_S16_S17_S18_S1B_S1C_jS1D_jS1E_S1E_jjS1G_bEUljE0_EEESZ_S10_S11_S18_S1C_S1E_T6_T7_T9_mT8_S1G_bDpT10_ENKUlT_T0_E_clISt17integral_constantIbLb1EES1U_EEDaS1P_S1Q_EUlS1P_E_NS1_11comp_targetILNS1_3genE8ELNS1_11target_archE1030ELNS1_3gpuE2ELNS1_3repE0EEENS1_30default_config_static_selectorELNS0_4arch9wavefront6targetE1EEEvS12_
	.p2align	8
	.type	_ZN7rocprim17ROCPRIM_400000_NS6detail17trampoline_kernelINS0_13select_configILj256ELj13ELNS0_17block_load_methodE3ELS4_3ELS4_3ELNS0_20block_scan_algorithmE0ELj4294967295EEENS1_25partition_config_selectorILNS1_17partition_subalgoE4EjNS0_10empty_typeEbEEZZNS1_14partition_implILS8_4ELb0ES6_15HIP_vector_typeIjLj2EENS0_17counting_iteratorIjlEEPS9_SG_NS0_5tupleIJPjSI_NS0_16reverse_iteratorISI_EEEEENSH_IJSG_SG_SG_EEES9_SI_JZNS1_25segmented_radix_sort_implINS0_14default_configELb1EPKdPdPKlPlN2at6native12_GLOBAL__N_18offset_tEEE10hipError_tPvRmT1_PNSt15iterator_traitsIS12_E10value_typeET2_T3_PNS13_IS18_E10value_typeET4_jRbjT5_S1E_jjP12ihipStream_tbEUljE_ZNSN_ISO_Lb1ESQ_SR_ST_SU_SY_EESZ_S10_S11_S12_S16_S17_S18_S1B_S1C_jS1D_jS1E_S1E_jjS1G_bEUljE0_EEESZ_S10_S11_S18_S1C_S1E_T6_T7_T9_mT8_S1G_bDpT10_ENKUlT_T0_E_clISt17integral_constantIbLb1EES1U_EEDaS1P_S1Q_EUlS1P_E_NS1_11comp_targetILNS1_3genE8ELNS1_11target_archE1030ELNS1_3gpuE2ELNS1_3repE0EEENS1_30default_config_static_selectorELNS0_4arch9wavefront6targetE1EEEvS12_,@function
_ZN7rocprim17ROCPRIM_400000_NS6detail17trampoline_kernelINS0_13select_configILj256ELj13ELNS0_17block_load_methodE3ELS4_3ELS4_3ELNS0_20block_scan_algorithmE0ELj4294967295EEENS1_25partition_config_selectorILNS1_17partition_subalgoE4EjNS0_10empty_typeEbEEZZNS1_14partition_implILS8_4ELb0ES6_15HIP_vector_typeIjLj2EENS0_17counting_iteratorIjlEEPS9_SG_NS0_5tupleIJPjSI_NS0_16reverse_iteratorISI_EEEEENSH_IJSG_SG_SG_EEES9_SI_JZNS1_25segmented_radix_sort_implINS0_14default_configELb1EPKdPdPKlPlN2at6native12_GLOBAL__N_18offset_tEEE10hipError_tPvRmT1_PNSt15iterator_traitsIS12_E10value_typeET2_T3_PNS13_IS18_E10value_typeET4_jRbjT5_S1E_jjP12ihipStream_tbEUljE_ZNSN_ISO_Lb1ESQ_SR_ST_SU_SY_EESZ_S10_S11_S12_S16_S17_S18_S1B_S1C_jS1D_jS1E_S1E_jjS1G_bEUljE0_EEESZ_S10_S11_S18_S1C_S1E_T6_T7_T9_mT8_S1G_bDpT10_ENKUlT_T0_E_clISt17integral_constantIbLb1EES1U_EEDaS1P_S1Q_EUlS1P_E_NS1_11comp_targetILNS1_3genE8ELNS1_11target_archE1030ELNS1_3gpuE2ELNS1_3repE0EEENS1_30default_config_static_selectorELNS0_4arch9wavefront6targetE1EEEvS12_: ; @_ZN7rocprim17ROCPRIM_400000_NS6detail17trampoline_kernelINS0_13select_configILj256ELj13ELNS0_17block_load_methodE3ELS4_3ELS4_3ELNS0_20block_scan_algorithmE0ELj4294967295EEENS1_25partition_config_selectorILNS1_17partition_subalgoE4EjNS0_10empty_typeEbEEZZNS1_14partition_implILS8_4ELb0ES6_15HIP_vector_typeIjLj2EENS0_17counting_iteratorIjlEEPS9_SG_NS0_5tupleIJPjSI_NS0_16reverse_iteratorISI_EEEEENSH_IJSG_SG_SG_EEES9_SI_JZNS1_25segmented_radix_sort_implINS0_14default_configELb1EPKdPdPKlPlN2at6native12_GLOBAL__N_18offset_tEEE10hipError_tPvRmT1_PNSt15iterator_traitsIS12_E10value_typeET2_T3_PNS13_IS18_E10value_typeET4_jRbjT5_S1E_jjP12ihipStream_tbEUljE_ZNSN_ISO_Lb1ESQ_SR_ST_SU_SY_EESZ_S10_S11_S12_S16_S17_S18_S1B_S1C_jS1D_jS1E_S1E_jjS1G_bEUljE0_EEESZ_S10_S11_S18_S1C_S1E_T6_T7_T9_mT8_S1G_bDpT10_ENKUlT_T0_E_clISt17integral_constantIbLb1EES1U_EEDaS1P_S1Q_EUlS1P_E_NS1_11comp_targetILNS1_3genE8ELNS1_11target_archE1030ELNS1_3gpuE2ELNS1_3repE0EEENS1_30default_config_static_selectorELNS0_4arch9wavefront6targetE1EEEvS12_
; %bb.0:
	.section	.rodata,"a",@progbits
	.p2align	6, 0x0
	.amdhsa_kernel _ZN7rocprim17ROCPRIM_400000_NS6detail17trampoline_kernelINS0_13select_configILj256ELj13ELNS0_17block_load_methodE3ELS4_3ELS4_3ELNS0_20block_scan_algorithmE0ELj4294967295EEENS1_25partition_config_selectorILNS1_17partition_subalgoE4EjNS0_10empty_typeEbEEZZNS1_14partition_implILS8_4ELb0ES6_15HIP_vector_typeIjLj2EENS0_17counting_iteratorIjlEEPS9_SG_NS0_5tupleIJPjSI_NS0_16reverse_iteratorISI_EEEEENSH_IJSG_SG_SG_EEES9_SI_JZNS1_25segmented_radix_sort_implINS0_14default_configELb1EPKdPdPKlPlN2at6native12_GLOBAL__N_18offset_tEEE10hipError_tPvRmT1_PNSt15iterator_traitsIS12_E10value_typeET2_T3_PNS13_IS18_E10value_typeET4_jRbjT5_S1E_jjP12ihipStream_tbEUljE_ZNSN_ISO_Lb1ESQ_SR_ST_SU_SY_EESZ_S10_S11_S12_S16_S17_S18_S1B_S1C_jS1D_jS1E_S1E_jjS1G_bEUljE0_EEESZ_S10_S11_S18_S1C_S1E_T6_T7_T9_mT8_S1G_bDpT10_ENKUlT_T0_E_clISt17integral_constantIbLb1EES1U_EEDaS1P_S1Q_EUlS1P_E_NS1_11comp_targetILNS1_3genE8ELNS1_11target_archE1030ELNS1_3gpuE2ELNS1_3repE0EEENS1_30default_config_static_selectorELNS0_4arch9wavefront6targetE1EEEvS12_
		.amdhsa_group_segment_fixed_size 0
		.amdhsa_private_segment_fixed_size 0
		.amdhsa_kernarg_size 184
		.amdhsa_user_sgpr_count 6
		.amdhsa_user_sgpr_private_segment_buffer 1
		.amdhsa_user_sgpr_dispatch_ptr 0
		.amdhsa_user_sgpr_queue_ptr 0
		.amdhsa_user_sgpr_kernarg_segment_ptr 1
		.amdhsa_user_sgpr_dispatch_id 0
		.amdhsa_user_sgpr_flat_scratch_init 0
		.amdhsa_user_sgpr_kernarg_preload_length 0
		.amdhsa_user_sgpr_kernarg_preload_offset 0
		.amdhsa_user_sgpr_private_segment_size 0
		.amdhsa_uses_dynamic_stack 0
		.amdhsa_system_sgpr_private_segment_wavefront_offset 0
		.amdhsa_system_sgpr_workgroup_id_x 1
		.amdhsa_system_sgpr_workgroup_id_y 0
		.amdhsa_system_sgpr_workgroup_id_z 0
		.amdhsa_system_sgpr_workgroup_info 0
		.amdhsa_system_vgpr_workitem_id 0
		.amdhsa_next_free_vgpr 1
		.amdhsa_next_free_sgpr 0
		.amdhsa_accum_offset 4
		.amdhsa_reserve_vcc 0
		.amdhsa_reserve_flat_scratch 0
		.amdhsa_float_round_mode_32 0
		.amdhsa_float_round_mode_16_64 0
		.amdhsa_float_denorm_mode_32 3
		.amdhsa_float_denorm_mode_16_64 3
		.amdhsa_dx10_clamp 1
		.amdhsa_ieee_mode 1
		.amdhsa_fp16_overflow 0
		.amdhsa_tg_split 0
		.amdhsa_exception_fp_ieee_invalid_op 0
		.amdhsa_exception_fp_denorm_src 0
		.amdhsa_exception_fp_ieee_div_zero 0
		.amdhsa_exception_fp_ieee_overflow 0
		.amdhsa_exception_fp_ieee_underflow 0
		.amdhsa_exception_fp_ieee_inexact 0
		.amdhsa_exception_int_div_zero 0
	.end_amdhsa_kernel
	.section	.text._ZN7rocprim17ROCPRIM_400000_NS6detail17trampoline_kernelINS0_13select_configILj256ELj13ELNS0_17block_load_methodE3ELS4_3ELS4_3ELNS0_20block_scan_algorithmE0ELj4294967295EEENS1_25partition_config_selectorILNS1_17partition_subalgoE4EjNS0_10empty_typeEbEEZZNS1_14partition_implILS8_4ELb0ES6_15HIP_vector_typeIjLj2EENS0_17counting_iteratorIjlEEPS9_SG_NS0_5tupleIJPjSI_NS0_16reverse_iteratorISI_EEEEENSH_IJSG_SG_SG_EEES9_SI_JZNS1_25segmented_radix_sort_implINS0_14default_configELb1EPKdPdPKlPlN2at6native12_GLOBAL__N_18offset_tEEE10hipError_tPvRmT1_PNSt15iterator_traitsIS12_E10value_typeET2_T3_PNS13_IS18_E10value_typeET4_jRbjT5_S1E_jjP12ihipStream_tbEUljE_ZNSN_ISO_Lb1ESQ_SR_ST_SU_SY_EESZ_S10_S11_S12_S16_S17_S18_S1B_S1C_jS1D_jS1E_S1E_jjS1G_bEUljE0_EEESZ_S10_S11_S18_S1C_S1E_T6_T7_T9_mT8_S1G_bDpT10_ENKUlT_T0_E_clISt17integral_constantIbLb1EES1U_EEDaS1P_S1Q_EUlS1P_E_NS1_11comp_targetILNS1_3genE8ELNS1_11target_archE1030ELNS1_3gpuE2ELNS1_3repE0EEENS1_30default_config_static_selectorELNS0_4arch9wavefront6targetE1EEEvS12_,"axG",@progbits,_ZN7rocprim17ROCPRIM_400000_NS6detail17trampoline_kernelINS0_13select_configILj256ELj13ELNS0_17block_load_methodE3ELS4_3ELS4_3ELNS0_20block_scan_algorithmE0ELj4294967295EEENS1_25partition_config_selectorILNS1_17partition_subalgoE4EjNS0_10empty_typeEbEEZZNS1_14partition_implILS8_4ELb0ES6_15HIP_vector_typeIjLj2EENS0_17counting_iteratorIjlEEPS9_SG_NS0_5tupleIJPjSI_NS0_16reverse_iteratorISI_EEEEENSH_IJSG_SG_SG_EEES9_SI_JZNS1_25segmented_radix_sort_implINS0_14default_configELb1EPKdPdPKlPlN2at6native12_GLOBAL__N_18offset_tEEE10hipError_tPvRmT1_PNSt15iterator_traitsIS12_E10value_typeET2_T3_PNS13_IS18_E10value_typeET4_jRbjT5_S1E_jjP12ihipStream_tbEUljE_ZNSN_ISO_Lb1ESQ_SR_ST_SU_SY_EESZ_S10_S11_S12_S16_S17_S18_S1B_S1C_jS1D_jS1E_S1E_jjS1G_bEUljE0_EEESZ_S10_S11_S18_S1C_S1E_T6_T7_T9_mT8_S1G_bDpT10_ENKUlT_T0_E_clISt17integral_constantIbLb1EES1U_EEDaS1P_S1Q_EUlS1P_E_NS1_11comp_targetILNS1_3genE8ELNS1_11target_archE1030ELNS1_3gpuE2ELNS1_3repE0EEENS1_30default_config_static_selectorELNS0_4arch9wavefront6targetE1EEEvS12_,comdat
.Lfunc_end1067:
	.size	_ZN7rocprim17ROCPRIM_400000_NS6detail17trampoline_kernelINS0_13select_configILj256ELj13ELNS0_17block_load_methodE3ELS4_3ELS4_3ELNS0_20block_scan_algorithmE0ELj4294967295EEENS1_25partition_config_selectorILNS1_17partition_subalgoE4EjNS0_10empty_typeEbEEZZNS1_14partition_implILS8_4ELb0ES6_15HIP_vector_typeIjLj2EENS0_17counting_iteratorIjlEEPS9_SG_NS0_5tupleIJPjSI_NS0_16reverse_iteratorISI_EEEEENSH_IJSG_SG_SG_EEES9_SI_JZNS1_25segmented_radix_sort_implINS0_14default_configELb1EPKdPdPKlPlN2at6native12_GLOBAL__N_18offset_tEEE10hipError_tPvRmT1_PNSt15iterator_traitsIS12_E10value_typeET2_T3_PNS13_IS18_E10value_typeET4_jRbjT5_S1E_jjP12ihipStream_tbEUljE_ZNSN_ISO_Lb1ESQ_SR_ST_SU_SY_EESZ_S10_S11_S12_S16_S17_S18_S1B_S1C_jS1D_jS1E_S1E_jjS1G_bEUljE0_EEESZ_S10_S11_S18_S1C_S1E_T6_T7_T9_mT8_S1G_bDpT10_ENKUlT_T0_E_clISt17integral_constantIbLb1EES1U_EEDaS1P_S1Q_EUlS1P_E_NS1_11comp_targetILNS1_3genE8ELNS1_11target_archE1030ELNS1_3gpuE2ELNS1_3repE0EEENS1_30default_config_static_selectorELNS0_4arch9wavefront6targetE1EEEvS12_, .Lfunc_end1067-_ZN7rocprim17ROCPRIM_400000_NS6detail17trampoline_kernelINS0_13select_configILj256ELj13ELNS0_17block_load_methodE3ELS4_3ELS4_3ELNS0_20block_scan_algorithmE0ELj4294967295EEENS1_25partition_config_selectorILNS1_17partition_subalgoE4EjNS0_10empty_typeEbEEZZNS1_14partition_implILS8_4ELb0ES6_15HIP_vector_typeIjLj2EENS0_17counting_iteratorIjlEEPS9_SG_NS0_5tupleIJPjSI_NS0_16reverse_iteratorISI_EEEEENSH_IJSG_SG_SG_EEES9_SI_JZNS1_25segmented_radix_sort_implINS0_14default_configELb1EPKdPdPKlPlN2at6native12_GLOBAL__N_18offset_tEEE10hipError_tPvRmT1_PNSt15iterator_traitsIS12_E10value_typeET2_T3_PNS13_IS18_E10value_typeET4_jRbjT5_S1E_jjP12ihipStream_tbEUljE_ZNSN_ISO_Lb1ESQ_SR_ST_SU_SY_EESZ_S10_S11_S12_S16_S17_S18_S1B_S1C_jS1D_jS1E_S1E_jjS1G_bEUljE0_EEESZ_S10_S11_S18_S1C_S1E_T6_T7_T9_mT8_S1G_bDpT10_ENKUlT_T0_E_clISt17integral_constantIbLb1EES1U_EEDaS1P_S1Q_EUlS1P_E_NS1_11comp_targetILNS1_3genE8ELNS1_11target_archE1030ELNS1_3gpuE2ELNS1_3repE0EEENS1_30default_config_static_selectorELNS0_4arch9wavefront6targetE1EEEvS12_
                                        ; -- End function
	.section	.AMDGPU.csdata,"",@progbits
; Kernel info:
; codeLenInByte = 0
; NumSgprs: 4
; NumVgprs: 0
; NumAgprs: 0
; TotalNumVgprs: 0
; ScratchSize: 0
; MemoryBound: 0
; FloatMode: 240
; IeeeMode: 1
; LDSByteSize: 0 bytes/workgroup (compile time only)
; SGPRBlocks: 0
; VGPRBlocks: 0
; NumSGPRsForWavesPerEU: 4
; NumVGPRsForWavesPerEU: 1
; AccumOffset: 4
; Occupancy: 8
; WaveLimiterHint : 0
; COMPUTE_PGM_RSRC2:SCRATCH_EN: 0
; COMPUTE_PGM_RSRC2:USER_SGPR: 6
; COMPUTE_PGM_RSRC2:TRAP_HANDLER: 0
; COMPUTE_PGM_RSRC2:TGID_X_EN: 1
; COMPUTE_PGM_RSRC2:TGID_Y_EN: 0
; COMPUTE_PGM_RSRC2:TGID_Z_EN: 0
; COMPUTE_PGM_RSRC2:TIDIG_COMP_CNT: 0
; COMPUTE_PGM_RSRC3_GFX90A:ACCUM_OFFSET: 0
; COMPUTE_PGM_RSRC3_GFX90A:TG_SPLIT: 0
	.section	.text._ZN7rocprim17ROCPRIM_400000_NS6detail17trampoline_kernelINS0_13select_configILj256ELj13ELNS0_17block_load_methodE3ELS4_3ELS4_3ELNS0_20block_scan_algorithmE0ELj4294967295EEENS1_25partition_config_selectorILNS1_17partition_subalgoE4EjNS0_10empty_typeEbEEZZNS1_14partition_implILS8_4ELb0ES6_15HIP_vector_typeIjLj2EENS0_17counting_iteratorIjlEEPS9_SG_NS0_5tupleIJPjSI_NS0_16reverse_iteratorISI_EEEEENSH_IJSG_SG_SG_EEES9_SI_JZNS1_25segmented_radix_sort_implINS0_14default_configELb1EPKdPdPKlPlN2at6native12_GLOBAL__N_18offset_tEEE10hipError_tPvRmT1_PNSt15iterator_traitsIS12_E10value_typeET2_T3_PNS13_IS18_E10value_typeET4_jRbjT5_S1E_jjP12ihipStream_tbEUljE_ZNSN_ISO_Lb1ESQ_SR_ST_SU_SY_EESZ_S10_S11_S12_S16_S17_S18_S1B_S1C_jS1D_jS1E_S1E_jjS1G_bEUljE0_EEESZ_S10_S11_S18_S1C_S1E_T6_T7_T9_mT8_S1G_bDpT10_ENKUlT_T0_E_clISt17integral_constantIbLb1EES1T_IbLb0EEEEDaS1P_S1Q_EUlS1P_E_NS1_11comp_targetILNS1_3genE0ELNS1_11target_archE4294967295ELNS1_3gpuE0ELNS1_3repE0EEENS1_30default_config_static_selectorELNS0_4arch9wavefront6targetE1EEEvS12_,"axG",@progbits,_ZN7rocprim17ROCPRIM_400000_NS6detail17trampoline_kernelINS0_13select_configILj256ELj13ELNS0_17block_load_methodE3ELS4_3ELS4_3ELNS0_20block_scan_algorithmE0ELj4294967295EEENS1_25partition_config_selectorILNS1_17partition_subalgoE4EjNS0_10empty_typeEbEEZZNS1_14partition_implILS8_4ELb0ES6_15HIP_vector_typeIjLj2EENS0_17counting_iteratorIjlEEPS9_SG_NS0_5tupleIJPjSI_NS0_16reverse_iteratorISI_EEEEENSH_IJSG_SG_SG_EEES9_SI_JZNS1_25segmented_radix_sort_implINS0_14default_configELb1EPKdPdPKlPlN2at6native12_GLOBAL__N_18offset_tEEE10hipError_tPvRmT1_PNSt15iterator_traitsIS12_E10value_typeET2_T3_PNS13_IS18_E10value_typeET4_jRbjT5_S1E_jjP12ihipStream_tbEUljE_ZNSN_ISO_Lb1ESQ_SR_ST_SU_SY_EESZ_S10_S11_S12_S16_S17_S18_S1B_S1C_jS1D_jS1E_S1E_jjS1G_bEUljE0_EEESZ_S10_S11_S18_S1C_S1E_T6_T7_T9_mT8_S1G_bDpT10_ENKUlT_T0_E_clISt17integral_constantIbLb1EES1T_IbLb0EEEEDaS1P_S1Q_EUlS1P_E_NS1_11comp_targetILNS1_3genE0ELNS1_11target_archE4294967295ELNS1_3gpuE0ELNS1_3repE0EEENS1_30default_config_static_selectorELNS0_4arch9wavefront6targetE1EEEvS12_,comdat
	.globl	_ZN7rocprim17ROCPRIM_400000_NS6detail17trampoline_kernelINS0_13select_configILj256ELj13ELNS0_17block_load_methodE3ELS4_3ELS4_3ELNS0_20block_scan_algorithmE0ELj4294967295EEENS1_25partition_config_selectorILNS1_17partition_subalgoE4EjNS0_10empty_typeEbEEZZNS1_14partition_implILS8_4ELb0ES6_15HIP_vector_typeIjLj2EENS0_17counting_iteratorIjlEEPS9_SG_NS0_5tupleIJPjSI_NS0_16reverse_iteratorISI_EEEEENSH_IJSG_SG_SG_EEES9_SI_JZNS1_25segmented_radix_sort_implINS0_14default_configELb1EPKdPdPKlPlN2at6native12_GLOBAL__N_18offset_tEEE10hipError_tPvRmT1_PNSt15iterator_traitsIS12_E10value_typeET2_T3_PNS13_IS18_E10value_typeET4_jRbjT5_S1E_jjP12ihipStream_tbEUljE_ZNSN_ISO_Lb1ESQ_SR_ST_SU_SY_EESZ_S10_S11_S12_S16_S17_S18_S1B_S1C_jS1D_jS1E_S1E_jjS1G_bEUljE0_EEESZ_S10_S11_S18_S1C_S1E_T6_T7_T9_mT8_S1G_bDpT10_ENKUlT_T0_E_clISt17integral_constantIbLb1EES1T_IbLb0EEEEDaS1P_S1Q_EUlS1P_E_NS1_11comp_targetILNS1_3genE0ELNS1_11target_archE4294967295ELNS1_3gpuE0ELNS1_3repE0EEENS1_30default_config_static_selectorELNS0_4arch9wavefront6targetE1EEEvS12_ ; -- Begin function _ZN7rocprim17ROCPRIM_400000_NS6detail17trampoline_kernelINS0_13select_configILj256ELj13ELNS0_17block_load_methodE3ELS4_3ELS4_3ELNS0_20block_scan_algorithmE0ELj4294967295EEENS1_25partition_config_selectorILNS1_17partition_subalgoE4EjNS0_10empty_typeEbEEZZNS1_14partition_implILS8_4ELb0ES6_15HIP_vector_typeIjLj2EENS0_17counting_iteratorIjlEEPS9_SG_NS0_5tupleIJPjSI_NS0_16reverse_iteratorISI_EEEEENSH_IJSG_SG_SG_EEES9_SI_JZNS1_25segmented_radix_sort_implINS0_14default_configELb1EPKdPdPKlPlN2at6native12_GLOBAL__N_18offset_tEEE10hipError_tPvRmT1_PNSt15iterator_traitsIS12_E10value_typeET2_T3_PNS13_IS18_E10value_typeET4_jRbjT5_S1E_jjP12ihipStream_tbEUljE_ZNSN_ISO_Lb1ESQ_SR_ST_SU_SY_EESZ_S10_S11_S12_S16_S17_S18_S1B_S1C_jS1D_jS1E_S1E_jjS1G_bEUljE0_EEESZ_S10_S11_S18_S1C_S1E_T6_T7_T9_mT8_S1G_bDpT10_ENKUlT_T0_E_clISt17integral_constantIbLb1EES1T_IbLb0EEEEDaS1P_S1Q_EUlS1P_E_NS1_11comp_targetILNS1_3genE0ELNS1_11target_archE4294967295ELNS1_3gpuE0ELNS1_3repE0EEENS1_30default_config_static_selectorELNS0_4arch9wavefront6targetE1EEEvS12_
	.p2align	8
	.type	_ZN7rocprim17ROCPRIM_400000_NS6detail17trampoline_kernelINS0_13select_configILj256ELj13ELNS0_17block_load_methodE3ELS4_3ELS4_3ELNS0_20block_scan_algorithmE0ELj4294967295EEENS1_25partition_config_selectorILNS1_17partition_subalgoE4EjNS0_10empty_typeEbEEZZNS1_14partition_implILS8_4ELb0ES6_15HIP_vector_typeIjLj2EENS0_17counting_iteratorIjlEEPS9_SG_NS0_5tupleIJPjSI_NS0_16reverse_iteratorISI_EEEEENSH_IJSG_SG_SG_EEES9_SI_JZNS1_25segmented_radix_sort_implINS0_14default_configELb1EPKdPdPKlPlN2at6native12_GLOBAL__N_18offset_tEEE10hipError_tPvRmT1_PNSt15iterator_traitsIS12_E10value_typeET2_T3_PNS13_IS18_E10value_typeET4_jRbjT5_S1E_jjP12ihipStream_tbEUljE_ZNSN_ISO_Lb1ESQ_SR_ST_SU_SY_EESZ_S10_S11_S12_S16_S17_S18_S1B_S1C_jS1D_jS1E_S1E_jjS1G_bEUljE0_EEESZ_S10_S11_S18_S1C_S1E_T6_T7_T9_mT8_S1G_bDpT10_ENKUlT_T0_E_clISt17integral_constantIbLb1EES1T_IbLb0EEEEDaS1P_S1Q_EUlS1P_E_NS1_11comp_targetILNS1_3genE0ELNS1_11target_archE4294967295ELNS1_3gpuE0ELNS1_3repE0EEENS1_30default_config_static_selectorELNS0_4arch9wavefront6targetE1EEEvS12_,@function
_ZN7rocprim17ROCPRIM_400000_NS6detail17trampoline_kernelINS0_13select_configILj256ELj13ELNS0_17block_load_methodE3ELS4_3ELS4_3ELNS0_20block_scan_algorithmE0ELj4294967295EEENS1_25partition_config_selectorILNS1_17partition_subalgoE4EjNS0_10empty_typeEbEEZZNS1_14partition_implILS8_4ELb0ES6_15HIP_vector_typeIjLj2EENS0_17counting_iteratorIjlEEPS9_SG_NS0_5tupleIJPjSI_NS0_16reverse_iteratorISI_EEEEENSH_IJSG_SG_SG_EEES9_SI_JZNS1_25segmented_radix_sort_implINS0_14default_configELb1EPKdPdPKlPlN2at6native12_GLOBAL__N_18offset_tEEE10hipError_tPvRmT1_PNSt15iterator_traitsIS12_E10value_typeET2_T3_PNS13_IS18_E10value_typeET4_jRbjT5_S1E_jjP12ihipStream_tbEUljE_ZNSN_ISO_Lb1ESQ_SR_ST_SU_SY_EESZ_S10_S11_S12_S16_S17_S18_S1B_S1C_jS1D_jS1E_S1E_jjS1G_bEUljE0_EEESZ_S10_S11_S18_S1C_S1E_T6_T7_T9_mT8_S1G_bDpT10_ENKUlT_T0_E_clISt17integral_constantIbLb1EES1T_IbLb0EEEEDaS1P_S1Q_EUlS1P_E_NS1_11comp_targetILNS1_3genE0ELNS1_11target_archE4294967295ELNS1_3gpuE0ELNS1_3repE0EEENS1_30default_config_static_selectorELNS0_4arch9wavefront6targetE1EEEvS12_: ; @_ZN7rocprim17ROCPRIM_400000_NS6detail17trampoline_kernelINS0_13select_configILj256ELj13ELNS0_17block_load_methodE3ELS4_3ELS4_3ELNS0_20block_scan_algorithmE0ELj4294967295EEENS1_25partition_config_selectorILNS1_17partition_subalgoE4EjNS0_10empty_typeEbEEZZNS1_14partition_implILS8_4ELb0ES6_15HIP_vector_typeIjLj2EENS0_17counting_iteratorIjlEEPS9_SG_NS0_5tupleIJPjSI_NS0_16reverse_iteratorISI_EEEEENSH_IJSG_SG_SG_EEES9_SI_JZNS1_25segmented_radix_sort_implINS0_14default_configELb1EPKdPdPKlPlN2at6native12_GLOBAL__N_18offset_tEEE10hipError_tPvRmT1_PNSt15iterator_traitsIS12_E10value_typeET2_T3_PNS13_IS18_E10value_typeET4_jRbjT5_S1E_jjP12ihipStream_tbEUljE_ZNSN_ISO_Lb1ESQ_SR_ST_SU_SY_EESZ_S10_S11_S12_S16_S17_S18_S1B_S1C_jS1D_jS1E_S1E_jjS1G_bEUljE0_EEESZ_S10_S11_S18_S1C_S1E_T6_T7_T9_mT8_S1G_bDpT10_ENKUlT_T0_E_clISt17integral_constantIbLb1EES1T_IbLb0EEEEDaS1P_S1Q_EUlS1P_E_NS1_11comp_targetILNS1_3genE0ELNS1_11target_archE4294967295ELNS1_3gpuE0ELNS1_3repE0EEENS1_30default_config_static_selectorELNS0_4arch9wavefront6targetE1EEEvS12_
; %bb.0:
	.section	.rodata,"a",@progbits
	.p2align	6, 0x0
	.amdhsa_kernel _ZN7rocprim17ROCPRIM_400000_NS6detail17trampoline_kernelINS0_13select_configILj256ELj13ELNS0_17block_load_methodE3ELS4_3ELS4_3ELNS0_20block_scan_algorithmE0ELj4294967295EEENS1_25partition_config_selectorILNS1_17partition_subalgoE4EjNS0_10empty_typeEbEEZZNS1_14partition_implILS8_4ELb0ES6_15HIP_vector_typeIjLj2EENS0_17counting_iteratorIjlEEPS9_SG_NS0_5tupleIJPjSI_NS0_16reverse_iteratorISI_EEEEENSH_IJSG_SG_SG_EEES9_SI_JZNS1_25segmented_radix_sort_implINS0_14default_configELb1EPKdPdPKlPlN2at6native12_GLOBAL__N_18offset_tEEE10hipError_tPvRmT1_PNSt15iterator_traitsIS12_E10value_typeET2_T3_PNS13_IS18_E10value_typeET4_jRbjT5_S1E_jjP12ihipStream_tbEUljE_ZNSN_ISO_Lb1ESQ_SR_ST_SU_SY_EESZ_S10_S11_S12_S16_S17_S18_S1B_S1C_jS1D_jS1E_S1E_jjS1G_bEUljE0_EEESZ_S10_S11_S18_S1C_S1E_T6_T7_T9_mT8_S1G_bDpT10_ENKUlT_T0_E_clISt17integral_constantIbLb1EES1T_IbLb0EEEEDaS1P_S1Q_EUlS1P_E_NS1_11comp_targetILNS1_3genE0ELNS1_11target_archE4294967295ELNS1_3gpuE0ELNS1_3repE0EEENS1_30default_config_static_selectorELNS0_4arch9wavefront6targetE1EEEvS12_
		.amdhsa_group_segment_fixed_size 0
		.amdhsa_private_segment_fixed_size 0
		.amdhsa_kernarg_size 176
		.amdhsa_user_sgpr_count 6
		.amdhsa_user_sgpr_private_segment_buffer 1
		.amdhsa_user_sgpr_dispatch_ptr 0
		.amdhsa_user_sgpr_queue_ptr 0
		.amdhsa_user_sgpr_kernarg_segment_ptr 1
		.amdhsa_user_sgpr_dispatch_id 0
		.amdhsa_user_sgpr_flat_scratch_init 0
		.amdhsa_user_sgpr_kernarg_preload_length 0
		.amdhsa_user_sgpr_kernarg_preload_offset 0
		.amdhsa_user_sgpr_private_segment_size 0
		.amdhsa_uses_dynamic_stack 0
		.amdhsa_system_sgpr_private_segment_wavefront_offset 0
		.amdhsa_system_sgpr_workgroup_id_x 1
		.amdhsa_system_sgpr_workgroup_id_y 0
		.amdhsa_system_sgpr_workgroup_id_z 0
		.amdhsa_system_sgpr_workgroup_info 0
		.amdhsa_system_vgpr_workitem_id 0
		.amdhsa_next_free_vgpr 1
		.amdhsa_next_free_sgpr 0
		.amdhsa_accum_offset 4
		.amdhsa_reserve_vcc 0
		.amdhsa_reserve_flat_scratch 0
		.amdhsa_float_round_mode_32 0
		.amdhsa_float_round_mode_16_64 0
		.amdhsa_float_denorm_mode_32 3
		.amdhsa_float_denorm_mode_16_64 3
		.amdhsa_dx10_clamp 1
		.amdhsa_ieee_mode 1
		.amdhsa_fp16_overflow 0
		.amdhsa_tg_split 0
		.amdhsa_exception_fp_ieee_invalid_op 0
		.amdhsa_exception_fp_denorm_src 0
		.amdhsa_exception_fp_ieee_div_zero 0
		.amdhsa_exception_fp_ieee_overflow 0
		.amdhsa_exception_fp_ieee_underflow 0
		.amdhsa_exception_fp_ieee_inexact 0
		.amdhsa_exception_int_div_zero 0
	.end_amdhsa_kernel
	.section	.text._ZN7rocprim17ROCPRIM_400000_NS6detail17trampoline_kernelINS0_13select_configILj256ELj13ELNS0_17block_load_methodE3ELS4_3ELS4_3ELNS0_20block_scan_algorithmE0ELj4294967295EEENS1_25partition_config_selectorILNS1_17partition_subalgoE4EjNS0_10empty_typeEbEEZZNS1_14partition_implILS8_4ELb0ES6_15HIP_vector_typeIjLj2EENS0_17counting_iteratorIjlEEPS9_SG_NS0_5tupleIJPjSI_NS0_16reverse_iteratorISI_EEEEENSH_IJSG_SG_SG_EEES9_SI_JZNS1_25segmented_radix_sort_implINS0_14default_configELb1EPKdPdPKlPlN2at6native12_GLOBAL__N_18offset_tEEE10hipError_tPvRmT1_PNSt15iterator_traitsIS12_E10value_typeET2_T3_PNS13_IS18_E10value_typeET4_jRbjT5_S1E_jjP12ihipStream_tbEUljE_ZNSN_ISO_Lb1ESQ_SR_ST_SU_SY_EESZ_S10_S11_S12_S16_S17_S18_S1B_S1C_jS1D_jS1E_S1E_jjS1G_bEUljE0_EEESZ_S10_S11_S18_S1C_S1E_T6_T7_T9_mT8_S1G_bDpT10_ENKUlT_T0_E_clISt17integral_constantIbLb1EES1T_IbLb0EEEEDaS1P_S1Q_EUlS1P_E_NS1_11comp_targetILNS1_3genE0ELNS1_11target_archE4294967295ELNS1_3gpuE0ELNS1_3repE0EEENS1_30default_config_static_selectorELNS0_4arch9wavefront6targetE1EEEvS12_,"axG",@progbits,_ZN7rocprim17ROCPRIM_400000_NS6detail17trampoline_kernelINS0_13select_configILj256ELj13ELNS0_17block_load_methodE3ELS4_3ELS4_3ELNS0_20block_scan_algorithmE0ELj4294967295EEENS1_25partition_config_selectorILNS1_17partition_subalgoE4EjNS0_10empty_typeEbEEZZNS1_14partition_implILS8_4ELb0ES6_15HIP_vector_typeIjLj2EENS0_17counting_iteratorIjlEEPS9_SG_NS0_5tupleIJPjSI_NS0_16reverse_iteratorISI_EEEEENSH_IJSG_SG_SG_EEES9_SI_JZNS1_25segmented_radix_sort_implINS0_14default_configELb1EPKdPdPKlPlN2at6native12_GLOBAL__N_18offset_tEEE10hipError_tPvRmT1_PNSt15iterator_traitsIS12_E10value_typeET2_T3_PNS13_IS18_E10value_typeET4_jRbjT5_S1E_jjP12ihipStream_tbEUljE_ZNSN_ISO_Lb1ESQ_SR_ST_SU_SY_EESZ_S10_S11_S12_S16_S17_S18_S1B_S1C_jS1D_jS1E_S1E_jjS1G_bEUljE0_EEESZ_S10_S11_S18_S1C_S1E_T6_T7_T9_mT8_S1G_bDpT10_ENKUlT_T0_E_clISt17integral_constantIbLb1EES1T_IbLb0EEEEDaS1P_S1Q_EUlS1P_E_NS1_11comp_targetILNS1_3genE0ELNS1_11target_archE4294967295ELNS1_3gpuE0ELNS1_3repE0EEENS1_30default_config_static_selectorELNS0_4arch9wavefront6targetE1EEEvS12_,comdat
.Lfunc_end1068:
	.size	_ZN7rocprim17ROCPRIM_400000_NS6detail17trampoline_kernelINS0_13select_configILj256ELj13ELNS0_17block_load_methodE3ELS4_3ELS4_3ELNS0_20block_scan_algorithmE0ELj4294967295EEENS1_25partition_config_selectorILNS1_17partition_subalgoE4EjNS0_10empty_typeEbEEZZNS1_14partition_implILS8_4ELb0ES6_15HIP_vector_typeIjLj2EENS0_17counting_iteratorIjlEEPS9_SG_NS0_5tupleIJPjSI_NS0_16reverse_iteratorISI_EEEEENSH_IJSG_SG_SG_EEES9_SI_JZNS1_25segmented_radix_sort_implINS0_14default_configELb1EPKdPdPKlPlN2at6native12_GLOBAL__N_18offset_tEEE10hipError_tPvRmT1_PNSt15iterator_traitsIS12_E10value_typeET2_T3_PNS13_IS18_E10value_typeET4_jRbjT5_S1E_jjP12ihipStream_tbEUljE_ZNSN_ISO_Lb1ESQ_SR_ST_SU_SY_EESZ_S10_S11_S12_S16_S17_S18_S1B_S1C_jS1D_jS1E_S1E_jjS1G_bEUljE0_EEESZ_S10_S11_S18_S1C_S1E_T6_T7_T9_mT8_S1G_bDpT10_ENKUlT_T0_E_clISt17integral_constantIbLb1EES1T_IbLb0EEEEDaS1P_S1Q_EUlS1P_E_NS1_11comp_targetILNS1_3genE0ELNS1_11target_archE4294967295ELNS1_3gpuE0ELNS1_3repE0EEENS1_30default_config_static_selectorELNS0_4arch9wavefront6targetE1EEEvS12_, .Lfunc_end1068-_ZN7rocprim17ROCPRIM_400000_NS6detail17trampoline_kernelINS0_13select_configILj256ELj13ELNS0_17block_load_methodE3ELS4_3ELS4_3ELNS0_20block_scan_algorithmE0ELj4294967295EEENS1_25partition_config_selectorILNS1_17partition_subalgoE4EjNS0_10empty_typeEbEEZZNS1_14partition_implILS8_4ELb0ES6_15HIP_vector_typeIjLj2EENS0_17counting_iteratorIjlEEPS9_SG_NS0_5tupleIJPjSI_NS0_16reverse_iteratorISI_EEEEENSH_IJSG_SG_SG_EEES9_SI_JZNS1_25segmented_radix_sort_implINS0_14default_configELb1EPKdPdPKlPlN2at6native12_GLOBAL__N_18offset_tEEE10hipError_tPvRmT1_PNSt15iterator_traitsIS12_E10value_typeET2_T3_PNS13_IS18_E10value_typeET4_jRbjT5_S1E_jjP12ihipStream_tbEUljE_ZNSN_ISO_Lb1ESQ_SR_ST_SU_SY_EESZ_S10_S11_S12_S16_S17_S18_S1B_S1C_jS1D_jS1E_S1E_jjS1G_bEUljE0_EEESZ_S10_S11_S18_S1C_S1E_T6_T7_T9_mT8_S1G_bDpT10_ENKUlT_T0_E_clISt17integral_constantIbLb1EES1T_IbLb0EEEEDaS1P_S1Q_EUlS1P_E_NS1_11comp_targetILNS1_3genE0ELNS1_11target_archE4294967295ELNS1_3gpuE0ELNS1_3repE0EEENS1_30default_config_static_selectorELNS0_4arch9wavefront6targetE1EEEvS12_
                                        ; -- End function
	.section	.AMDGPU.csdata,"",@progbits
; Kernel info:
; codeLenInByte = 0
; NumSgprs: 4
; NumVgprs: 0
; NumAgprs: 0
; TotalNumVgprs: 0
; ScratchSize: 0
; MemoryBound: 0
; FloatMode: 240
; IeeeMode: 1
; LDSByteSize: 0 bytes/workgroup (compile time only)
; SGPRBlocks: 0
; VGPRBlocks: 0
; NumSGPRsForWavesPerEU: 4
; NumVGPRsForWavesPerEU: 1
; AccumOffset: 4
; Occupancy: 8
; WaveLimiterHint : 0
; COMPUTE_PGM_RSRC2:SCRATCH_EN: 0
; COMPUTE_PGM_RSRC2:USER_SGPR: 6
; COMPUTE_PGM_RSRC2:TRAP_HANDLER: 0
; COMPUTE_PGM_RSRC2:TGID_X_EN: 1
; COMPUTE_PGM_RSRC2:TGID_Y_EN: 0
; COMPUTE_PGM_RSRC2:TGID_Z_EN: 0
; COMPUTE_PGM_RSRC2:TIDIG_COMP_CNT: 0
; COMPUTE_PGM_RSRC3_GFX90A:ACCUM_OFFSET: 0
; COMPUTE_PGM_RSRC3_GFX90A:TG_SPLIT: 0
	.section	.text._ZN7rocprim17ROCPRIM_400000_NS6detail17trampoline_kernelINS0_13select_configILj256ELj13ELNS0_17block_load_methodE3ELS4_3ELS4_3ELNS0_20block_scan_algorithmE0ELj4294967295EEENS1_25partition_config_selectorILNS1_17partition_subalgoE4EjNS0_10empty_typeEbEEZZNS1_14partition_implILS8_4ELb0ES6_15HIP_vector_typeIjLj2EENS0_17counting_iteratorIjlEEPS9_SG_NS0_5tupleIJPjSI_NS0_16reverse_iteratorISI_EEEEENSH_IJSG_SG_SG_EEES9_SI_JZNS1_25segmented_radix_sort_implINS0_14default_configELb1EPKdPdPKlPlN2at6native12_GLOBAL__N_18offset_tEEE10hipError_tPvRmT1_PNSt15iterator_traitsIS12_E10value_typeET2_T3_PNS13_IS18_E10value_typeET4_jRbjT5_S1E_jjP12ihipStream_tbEUljE_ZNSN_ISO_Lb1ESQ_SR_ST_SU_SY_EESZ_S10_S11_S12_S16_S17_S18_S1B_S1C_jS1D_jS1E_S1E_jjS1G_bEUljE0_EEESZ_S10_S11_S18_S1C_S1E_T6_T7_T9_mT8_S1G_bDpT10_ENKUlT_T0_E_clISt17integral_constantIbLb1EES1T_IbLb0EEEEDaS1P_S1Q_EUlS1P_E_NS1_11comp_targetILNS1_3genE5ELNS1_11target_archE942ELNS1_3gpuE9ELNS1_3repE0EEENS1_30default_config_static_selectorELNS0_4arch9wavefront6targetE1EEEvS12_,"axG",@progbits,_ZN7rocprim17ROCPRIM_400000_NS6detail17trampoline_kernelINS0_13select_configILj256ELj13ELNS0_17block_load_methodE3ELS4_3ELS4_3ELNS0_20block_scan_algorithmE0ELj4294967295EEENS1_25partition_config_selectorILNS1_17partition_subalgoE4EjNS0_10empty_typeEbEEZZNS1_14partition_implILS8_4ELb0ES6_15HIP_vector_typeIjLj2EENS0_17counting_iteratorIjlEEPS9_SG_NS0_5tupleIJPjSI_NS0_16reverse_iteratorISI_EEEEENSH_IJSG_SG_SG_EEES9_SI_JZNS1_25segmented_radix_sort_implINS0_14default_configELb1EPKdPdPKlPlN2at6native12_GLOBAL__N_18offset_tEEE10hipError_tPvRmT1_PNSt15iterator_traitsIS12_E10value_typeET2_T3_PNS13_IS18_E10value_typeET4_jRbjT5_S1E_jjP12ihipStream_tbEUljE_ZNSN_ISO_Lb1ESQ_SR_ST_SU_SY_EESZ_S10_S11_S12_S16_S17_S18_S1B_S1C_jS1D_jS1E_S1E_jjS1G_bEUljE0_EEESZ_S10_S11_S18_S1C_S1E_T6_T7_T9_mT8_S1G_bDpT10_ENKUlT_T0_E_clISt17integral_constantIbLb1EES1T_IbLb0EEEEDaS1P_S1Q_EUlS1P_E_NS1_11comp_targetILNS1_3genE5ELNS1_11target_archE942ELNS1_3gpuE9ELNS1_3repE0EEENS1_30default_config_static_selectorELNS0_4arch9wavefront6targetE1EEEvS12_,comdat
	.globl	_ZN7rocprim17ROCPRIM_400000_NS6detail17trampoline_kernelINS0_13select_configILj256ELj13ELNS0_17block_load_methodE3ELS4_3ELS4_3ELNS0_20block_scan_algorithmE0ELj4294967295EEENS1_25partition_config_selectorILNS1_17partition_subalgoE4EjNS0_10empty_typeEbEEZZNS1_14partition_implILS8_4ELb0ES6_15HIP_vector_typeIjLj2EENS0_17counting_iteratorIjlEEPS9_SG_NS0_5tupleIJPjSI_NS0_16reverse_iteratorISI_EEEEENSH_IJSG_SG_SG_EEES9_SI_JZNS1_25segmented_radix_sort_implINS0_14default_configELb1EPKdPdPKlPlN2at6native12_GLOBAL__N_18offset_tEEE10hipError_tPvRmT1_PNSt15iterator_traitsIS12_E10value_typeET2_T3_PNS13_IS18_E10value_typeET4_jRbjT5_S1E_jjP12ihipStream_tbEUljE_ZNSN_ISO_Lb1ESQ_SR_ST_SU_SY_EESZ_S10_S11_S12_S16_S17_S18_S1B_S1C_jS1D_jS1E_S1E_jjS1G_bEUljE0_EEESZ_S10_S11_S18_S1C_S1E_T6_T7_T9_mT8_S1G_bDpT10_ENKUlT_T0_E_clISt17integral_constantIbLb1EES1T_IbLb0EEEEDaS1P_S1Q_EUlS1P_E_NS1_11comp_targetILNS1_3genE5ELNS1_11target_archE942ELNS1_3gpuE9ELNS1_3repE0EEENS1_30default_config_static_selectorELNS0_4arch9wavefront6targetE1EEEvS12_ ; -- Begin function _ZN7rocprim17ROCPRIM_400000_NS6detail17trampoline_kernelINS0_13select_configILj256ELj13ELNS0_17block_load_methodE3ELS4_3ELS4_3ELNS0_20block_scan_algorithmE0ELj4294967295EEENS1_25partition_config_selectorILNS1_17partition_subalgoE4EjNS0_10empty_typeEbEEZZNS1_14partition_implILS8_4ELb0ES6_15HIP_vector_typeIjLj2EENS0_17counting_iteratorIjlEEPS9_SG_NS0_5tupleIJPjSI_NS0_16reverse_iteratorISI_EEEEENSH_IJSG_SG_SG_EEES9_SI_JZNS1_25segmented_radix_sort_implINS0_14default_configELb1EPKdPdPKlPlN2at6native12_GLOBAL__N_18offset_tEEE10hipError_tPvRmT1_PNSt15iterator_traitsIS12_E10value_typeET2_T3_PNS13_IS18_E10value_typeET4_jRbjT5_S1E_jjP12ihipStream_tbEUljE_ZNSN_ISO_Lb1ESQ_SR_ST_SU_SY_EESZ_S10_S11_S12_S16_S17_S18_S1B_S1C_jS1D_jS1E_S1E_jjS1G_bEUljE0_EEESZ_S10_S11_S18_S1C_S1E_T6_T7_T9_mT8_S1G_bDpT10_ENKUlT_T0_E_clISt17integral_constantIbLb1EES1T_IbLb0EEEEDaS1P_S1Q_EUlS1P_E_NS1_11comp_targetILNS1_3genE5ELNS1_11target_archE942ELNS1_3gpuE9ELNS1_3repE0EEENS1_30default_config_static_selectorELNS0_4arch9wavefront6targetE1EEEvS12_
	.p2align	8
	.type	_ZN7rocprim17ROCPRIM_400000_NS6detail17trampoline_kernelINS0_13select_configILj256ELj13ELNS0_17block_load_methodE3ELS4_3ELS4_3ELNS0_20block_scan_algorithmE0ELj4294967295EEENS1_25partition_config_selectorILNS1_17partition_subalgoE4EjNS0_10empty_typeEbEEZZNS1_14partition_implILS8_4ELb0ES6_15HIP_vector_typeIjLj2EENS0_17counting_iteratorIjlEEPS9_SG_NS0_5tupleIJPjSI_NS0_16reverse_iteratorISI_EEEEENSH_IJSG_SG_SG_EEES9_SI_JZNS1_25segmented_radix_sort_implINS0_14default_configELb1EPKdPdPKlPlN2at6native12_GLOBAL__N_18offset_tEEE10hipError_tPvRmT1_PNSt15iterator_traitsIS12_E10value_typeET2_T3_PNS13_IS18_E10value_typeET4_jRbjT5_S1E_jjP12ihipStream_tbEUljE_ZNSN_ISO_Lb1ESQ_SR_ST_SU_SY_EESZ_S10_S11_S12_S16_S17_S18_S1B_S1C_jS1D_jS1E_S1E_jjS1G_bEUljE0_EEESZ_S10_S11_S18_S1C_S1E_T6_T7_T9_mT8_S1G_bDpT10_ENKUlT_T0_E_clISt17integral_constantIbLb1EES1T_IbLb0EEEEDaS1P_S1Q_EUlS1P_E_NS1_11comp_targetILNS1_3genE5ELNS1_11target_archE942ELNS1_3gpuE9ELNS1_3repE0EEENS1_30default_config_static_selectorELNS0_4arch9wavefront6targetE1EEEvS12_,@function
_ZN7rocprim17ROCPRIM_400000_NS6detail17trampoline_kernelINS0_13select_configILj256ELj13ELNS0_17block_load_methodE3ELS4_3ELS4_3ELNS0_20block_scan_algorithmE0ELj4294967295EEENS1_25partition_config_selectorILNS1_17partition_subalgoE4EjNS0_10empty_typeEbEEZZNS1_14partition_implILS8_4ELb0ES6_15HIP_vector_typeIjLj2EENS0_17counting_iteratorIjlEEPS9_SG_NS0_5tupleIJPjSI_NS0_16reverse_iteratorISI_EEEEENSH_IJSG_SG_SG_EEES9_SI_JZNS1_25segmented_radix_sort_implINS0_14default_configELb1EPKdPdPKlPlN2at6native12_GLOBAL__N_18offset_tEEE10hipError_tPvRmT1_PNSt15iterator_traitsIS12_E10value_typeET2_T3_PNS13_IS18_E10value_typeET4_jRbjT5_S1E_jjP12ihipStream_tbEUljE_ZNSN_ISO_Lb1ESQ_SR_ST_SU_SY_EESZ_S10_S11_S12_S16_S17_S18_S1B_S1C_jS1D_jS1E_S1E_jjS1G_bEUljE0_EEESZ_S10_S11_S18_S1C_S1E_T6_T7_T9_mT8_S1G_bDpT10_ENKUlT_T0_E_clISt17integral_constantIbLb1EES1T_IbLb0EEEEDaS1P_S1Q_EUlS1P_E_NS1_11comp_targetILNS1_3genE5ELNS1_11target_archE942ELNS1_3gpuE9ELNS1_3repE0EEENS1_30default_config_static_selectorELNS0_4arch9wavefront6targetE1EEEvS12_: ; @_ZN7rocprim17ROCPRIM_400000_NS6detail17trampoline_kernelINS0_13select_configILj256ELj13ELNS0_17block_load_methodE3ELS4_3ELS4_3ELNS0_20block_scan_algorithmE0ELj4294967295EEENS1_25partition_config_selectorILNS1_17partition_subalgoE4EjNS0_10empty_typeEbEEZZNS1_14partition_implILS8_4ELb0ES6_15HIP_vector_typeIjLj2EENS0_17counting_iteratorIjlEEPS9_SG_NS0_5tupleIJPjSI_NS0_16reverse_iteratorISI_EEEEENSH_IJSG_SG_SG_EEES9_SI_JZNS1_25segmented_radix_sort_implINS0_14default_configELb1EPKdPdPKlPlN2at6native12_GLOBAL__N_18offset_tEEE10hipError_tPvRmT1_PNSt15iterator_traitsIS12_E10value_typeET2_T3_PNS13_IS18_E10value_typeET4_jRbjT5_S1E_jjP12ihipStream_tbEUljE_ZNSN_ISO_Lb1ESQ_SR_ST_SU_SY_EESZ_S10_S11_S12_S16_S17_S18_S1B_S1C_jS1D_jS1E_S1E_jjS1G_bEUljE0_EEESZ_S10_S11_S18_S1C_S1E_T6_T7_T9_mT8_S1G_bDpT10_ENKUlT_T0_E_clISt17integral_constantIbLb1EES1T_IbLb0EEEEDaS1P_S1Q_EUlS1P_E_NS1_11comp_targetILNS1_3genE5ELNS1_11target_archE942ELNS1_3gpuE9ELNS1_3repE0EEENS1_30default_config_static_selectorELNS0_4arch9wavefront6targetE1EEEvS12_
; %bb.0:
	.section	.rodata,"a",@progbits
	.p2align	6, 0x0
	.amdhsa_kernel _ZN7rocprim17ROCPRIM_400000_NS6detail17trampoline_kernelINS0_13select_configILj256ELj13ELNS0_17block_load_methodE3ELS4_3ELS4_3ELNS0_20block_scan_algorithmE0ELj4294967295EEENS1_25partition_config_selectorILNS1_17partition_subalgoE4EjNS0_10empty_typeEbEEZZNS1_14partition_implILS8_4ELb0ES6_15HIP_vector_typeIjLj2EENS0_17counting_iteratorIjlEEPS9_SG_NS0_5tupleIJPjSI_NS0_16reverse_iteratorISI_EEEEENSH_IJSG_SG_SG_EEES9_SI_JZNS1_25segmented_radix_sort_implINS0_14default_configELb1EPKdPdPKlPlN2at6native12_GLOBAL__N_18offset_tEEE10hipError_tPvRmT1_PNSt15iterator_traitsIS12_E10value_typeET2_T3_PNS13_IS18_E10value_typeET4_jRbjT5_S1E_jjP12ihipStream_tbEUljE_ZNSN_ISO_Lb1ESQ_SR_ST_SU_SY_EESZ_S10_S11_S12_S16_S17_S18_S1B_S1C_jS1D_jS1E_S1E_jjS1G_bEUljE0_EEESZ_S10_S11_S18_S1C_S1E_T6_T7_T9_mT8_S1G_bDpT10_ENKUlT_T0_E_clISt17integral_constantIbLb1EES1T_IbLb0EEEEDaS1P_S1Q_EUlS1P_E_NS1_11comp_targetILNS1_3genE5ELNS1_11target_archE942ELNS1_3gpuE9ELNS1_3repE0EEENS1_30default_config_static_selectorELNS0_4arch9wavefront6targetE1EEEvS12_
		.amdhsa_group_segment_fixed_size 0
		.amdhsa_private_segment_fixed_size 0
		.amdhsa_kernarg_size 176
		.amdhsa_user_sgpr_count 6
		.amdhsa_user_sgpr_private_segment_buffer 1
		.amdhsa_user_sgpr_dispatch_ptr 0
		.amdhsa_user_sgpr_queue_ptr 0
		.amdhsa_user_sgpr_kernarg_segment_ptr 1
		.amdhsa_user_sgpr_dispatch_id 0
		.amdhsa_user_sgpr_flat_scratch_init 0
		.amdhsa_user_sgpr_kernarg_preload_length 0
		.amdhsa_user_sgpr_kernarg_preload_offset 0
		.amdhsa_user_sgpr_private_segment_size 0
		.amdhsa_uses_dynamic_stack 0
		.amdhsa_system_sgpr_private_segment_wavefront_offset 0
		.amdhsa_system_sgpr_workgroup_id_x 1
		.amdhsa_system_sgpr_workgroup_id_y 0
		.amdhsa_system_sgpr_workgroup_id_z 0
		.amdhsa_system_sgpr_workgroup_info 0
		.amdhsa_system_vgpr_workitem_id 0
		.amdhsa_next_free_vgpr 1
		.amdhsa_next_free_sgpr 0
		.amdhsa_accum_offset 4
		.amdhsa_reserve_vcc 0
		.amdhsa_reserve_flat_scratch 0
		.amdhsa_float_round_mode_32 0
		.amdhsa_float_round_mode_16_64 0
		.amdhsa_float_denorm_mode_32 3
		.amdhsa_float_denorm_mode_16_64 3
		.amdhsa_dx10_clamp 1
		.amdhsa_ieee_mode 1
		.amdhsa_fp16_overflow 0
		.amdhsa_tg_split 0
		.amdhsa_exception_fp_ieee_invalid_op 0
		.amdhsa_exception_fp_denorm_src 0
		.amdhsa_exception_fp_ieee_div_zero 0
		.amdhsa_exception_fp_ieee_overflow 0
		.amdhsa_exception_fp_ieee_underflow 0
		.amdhsa_exception_fp_ieee_inexact 0
		.amdhsa_exception_int_div_zero 0
	.end_amdhsa_kernel
	.section	.text._ZN7rocprim17ROCPRIM_400000_NS6detail17trampoline_kernelINS0_13select_configILj256ELj13ELNS0_17block_load_methodE3ELS4_3ELS4_3ELNS0_20block_scan_algorithmE0ELj4294967295EEENS1_25partition_config_selectorILNS1_17partition_subalgoE4EjNS0_10empty_typeEbEEZZNS1_14partition_implILS8_4ELb0ES6_15HIP_vector_typeIjLj2EENS0_17counting_iteratorIjlEEPS9_SG_NS0_5tupleIJPjSI_NS0_16reverse_iteratorISI_EEEEENSH_IJSG_SG_SG_EEES9_SI_JZNS1_25segmented_radix_sort_implINS0_14default_configELb1EPKdPdPKlPlN2at6native12_GLOBAL__N_18offset_tEEE10hipError_tPvRmT1_PNSt15iterator_traitsIS12_E10value_typeET2_T3_PNS13_IS18_E10value_typeET4_jRbjT5_S1E_jjP12ihipStream_tbEUljE_ZNSN_ISO_Lb1ESQ_SR_ST_SU_SY_EESZ_S10_S11_S12_S16_S17_S18_S1B_S1C_jS1D_jS1E_S1E_jjS1G_bEUljE0_EEESZ_S10_S11_S18_S1C_S1E_T6_T7_T9_mT8_S1G_bDpT10_ENKUlT_T0_E_clISt17integral_constantIbLb1EES1T_IbLb0EEEEDaS1P_S1Q_EUlS1P_E_NS1_11comp_targetILNS1_3genE5ELNS1_11target_archE942ELNS1_3gpuE9ELNS1_3repE0EEENS1_30default_config_static_selectorELNS0_4arch9wavefront6targetE1EEEvS12_,"axG",@progbits,_ZN7rocprim17ROCPRIM_400000_NS6detail17trampoline_kernelINS0_13select_configILj256ELj13ELNS0_17block_load_methodE3ELS4_3ELS4_3ELNS0_20block_scan_algorithmE0ELj4294967295EEENS1_25partition_config_selectorILNS1_17partition_subalgoE4EjNS0_10empty_typeEbEEZZNS1_14partition_implILS8_4ELb0ES6_15HIP_vector_typeIjLj2EENS0_17counting_iteratorIjlEEPS9_SG_NS0_5tupleIJPjSI_NS0_16reverse_iteratorISI_EEEEENSH_IJSG_SG_SG_EEES9_SI_JZNS1_25segmented_radix_sort_implINS0_14default_configELb1EPKdPdPKlPlN2at6native12_GLOBAL__N_18offset_tEEE10hipError_tPvRmT1_PNSt15iterator_traitsIS12_E10value_typeET2_T3_PNS13_IS18_E10value_typeET4_jRbjT5_S1E_jjP12ihipStream_tbEUljE_ZNSN_ISO_Lb1ESQ_SR_ST_SU_SY_EESZ_S10_S11_S12_S16_S17_S18_S1B_S1C_jS1D_jS1E_S1E_jjS1G_bEUljE0_EEESZ_S10_S11_S18_S1C_S1E_T6_T7_T9_mT8_S1G_bDpT10_ENKUlT_T0_E_clISt17integral_constantIbLb1EES1T_IbLb0EEEEDaS1P_S1Q_EUlS1P_E_NS1_11comp_targetILNS1_3genE5ELNS1_11target_archE942ELNS1_3gpuE9ELNS1_3repE0EEENS1_30default_config_static_selectorELNS0_4arch9wavefront6targetE1EEEvS12_,comdat
.Lfunc_end1069:
	.size	_ZN7rocprim17ROCPRIM_400000_NS6detail17trampoline_kernelINS0_13select_configILj256ELj13ELNS0_17block_load_methodE3ELS4_3ELS4_3ELNS0_20block_scan_algorithmE0ELj4294967295EEENS1_25partition_config_selectorILNS1_17partition_subalgoE4EjNS0_10empty_typeEbEEZZNS1_14partition_implILS8_4ELb0ES6_15HIP_vector_typeIjLj2EENS0_17counting_iteratorIjlEEPS9_SG_NS0_5tupleIJPjSI_NS0_16reverse_iteratorISI_EEEEENSH_IJSG_SG_SG_EEES9_SI_JZNS1_25segmented_radix_sort_implINS0_14default_configELb1EPKdPdPKlPlN2at6native12_GLOBAL__N_18offset_tEEE10hipError_tPvRmT1_PNSt15iterator_traitsIS12_E10value_typeET2_T3_PNS13_IS18_E10value_typeET4_jRbjT5_S1E_jjP12ihipStream_tbEUljE_ZNSN_ISO_Lb1ESQ_SR_ST_SU_SY_EESZ_S10_S11_S12_S16_S17_S18_S1B_S1C_jS1D_jS1E_S1E_jjS1G_bEUljE0_EEESZ_S10_S11_S18_S1C_S1E_T6_T7_T9_mT8_S1G_bDpT10_ENKUlT_T0_E_clISt17integral_constantIbLb1EES1T_IbLb0EEEEDaS1P_S1Q_EUlS1P_E_NS1_11comp_targetILNS1_3genE5ELNS1_11target_archE942ELNS1_3gpuE9ELNS1_3repE0EEENS1_30default_config_static_selectorELNS0_4arch9wavefront6targetE1EEEvS12_, .Lfunc_end1069-_ZN7rocprim17ROCPRIM_400000_NS6detail17trampoline_kernelINS0_13select_configILj256ELj13ELNS0_17block_load_methodE3ELS4_3ELS4_3ELNS0_20block_scan_algorithmE0ELj4294967295EEENS1_25partition_config_selectorILNS1_17partition_subalgoE4EjNS0_10empty_typeEbEEZZNS1_14partition_implILS8_4ELb0ES6_15HIP_vector_typeIjLj2EENS0_17counting_iteratorIjlEEPS9_SG_NS0_5tupleIJPjSI_NS0_16reverse_iteratorISI_EEEEENSH_IJSG_SG_SG_EEES9_SI_JZNS1_25segmented_radix_sort_implINS0_14default_configELb1EPKdPdPKlPlN2at6native12_GLOBAL__N_18offset_tEEE10hipError_tPvRmT1_PNSt15iterator_traitsIS12_E10value_typeET2_T3_PNS13_IS18_E10value_typeET4_jRbjT5_S1E_jjP12ihipStream_tbEUljE_ZNSN_ISO_Lb1ESQ_SR_ST_SU_SY_EESZ_S10_S11_S12_S16_S17_S18_S1B_S1C_jS1D_jS1E_S1E_jjS1G_bEUljE0_EEESZ_S10_S11_S18_S1C_S1E_T6_T7_T9_mT8_S1G_bDpT10_ENKUlT_T0_E_clISt17integral_constantIbLb1EES1T_IbLb0EEEEDaS1P_S1Q_EUlS1P_E_NS1_11comp_targetILNS1_3genE5ELNS1_11target_archE942ELNS1_3gpuE9ELNS1_3repE0EEENS1_30default_config_static_selectorELNS0_4arch9wavefront6targetE1EEEvS12_
                                        ; -- End function
	.section	.AMDGPU.csdata,"",@progbits
; Kernel info:
; codeLenInByte = 0
; NumSgprs: 4
; NumVgprs: 0
; NumAgprs: 0
; TotalNumVgprs: 0
; ScratchSize: 0
; MemoryBound: 0
; FloatMode: 240
; IeeeMode: 1
; LDSByteSize: 0 bytes/workgroup (compile time only)
; SGPRBlocks: 0
; VGPRBlocks: 0
; NumSGPRsForWavesPerEU: 4
; NumVGPRsForWavesPerEU: 1
; AccumOffset: 4
; Occupancy: 8
; WaveLimiterHint : 0
; COMPUTE_PGM_RSRC2:SCRATCH_EN: 0
; COMPUTE_PGM_RSRC2:USER_SGPR: 6
; COMPUTE_PGM_RSRC2:TRAP_HANDLER: 0
; COMPUTE_PGM_RSRC2:TGID_X_EN: 1
; COMPUTE_PGM_RSRC2:TGID_Y_EN: 0
; COMPUTE_PGM_RSRC2:TGID_Z_EN: 0
; COMPUTE_PGM_RSRC2:TIDIG_COMP_CNT: 0
; COMPUTE_PGM_RSRC3_GFX90A:ACCUM_OFFSET: 0
; COMPUTE_PGM_RSRC3_GFX90A:TG_SPLIT: 0
	.section	.text._ZN7rocprim17ROCPRIM_400000_NS6detail17trampoline_kernelINS0_13select_configILj256ELj13ELNS0_17block_load_methodE3ELS4_3ELS4_3ELNS0_20block_scan_algorithmE0ELj4294967295EEENS1_25partition_config_selectorILNS1_17partition_subalgoE4EjNS0_10empty_typeEbEEZZNS1_14partition_implILS8_4ELb0ES6_15HIP_vector_typeIjLj2EENS0_17counting_iteratorIjlEEPS9_SG_NS0_5tupleIJPjSI_NS0_16reverse_iteratorISI_EEEEENSH_IJSG_SG_SG_EEES9_SI_JZNS1_25segmented_radix_sort_implINS0_14default_configELb1EPKdPdPKlPlN2at6native12_GLOBAL__N_18offset_tEEE10hipError_tPvRmT1_PNSt15iterator_traitsIS12_E10value_typeET2_T3_PNS13_IS18_E10value_typeET4_jRbjT5_S1E_jjP12ihipStream_tbEUljE_ZNSN_ISO_Lb1ESQ_SR_ST_SU_SY_EESZ_S10_S11_S12_S16_S17_S18_S1B_S1C_jS1D_jS1E_S1E_jjS1G_bEUljE0_EEESZ_S10_S11_S18_S1C_S1E_T6_T7_T9_mT8_S1G_bDpT10_ENKUlT_T0_E_clISt17integral_constantIbLb1EES1T_IbLb0EEEEDaS1P_S1Q_EUlS1P_E_NS1_11comp_targetILNS1_3genE4ELNS1_11target_archE910ELNS1_3gpuE8ELNS1_3repE0EEENS1_30default_config_static_selectorELNS0_4arch9wavefront6targetE1EEEvS12_,"axG",@progbits,_ZN7rocprim17ROCPRIM_400000_NS6detail17trampoline_kernelINS0_13select_configILj256ELj13ELNS0_17block_load_methodE3ELS4_3ELS4_3ELNS0_20block_scan_algorithmE0ELj4294967295EEENS1_25partition_config_selectorILNS1_17partition_subalgoE4EjNS0_10empty_typeEbEEZZNS1_14partition_implILS8_4ELb0ES6_15HIP_vector_typeIjLj2EENS0_17counting_iteratorIjlEEPS9_SG_NS0_5tupleIJPjSI_NS0_16reverse_iteratorISI_EEEEENSH_IJSG_SG_SG_EEES9_SI_JZNS1_25segmented_radix_sort_implINS0_14default_configELb1EPKdPdPKlPlN2at6native12_GLOBAL__N_18offset_tEEE10hipError_tPvRmT1_PNSt15iterator_traitsIS12_E10value_typeET2_T3_PNS13_IS18_E10value_typeET4_jRbjT5_S1E_jjP12ihipStream_tbEUljE_ZNSN_ISO_Lb1ESQ_SR_ST_SU_SY_EESZ_S10_S11_S12_S16_S17_S18_S1B_S1C_jS1D_jS1E_S1E_jjS1G_bEUljE0_EEESZ_S10_S11_S18_S1C_S1E_T6_T7_T9_mT8_S1G_bDpT10_ENKUlT_T0_E_clISt17integral_constantIbLb1EES1T_IbLb0EEEEDaS1P_S1Q_EUlS1P_E_NS1_11comp_targetILNS1_3genE4ELNS1_11target_archE910ELNS1_3gpuE8ELNS1_3repE0EEENS1_30default_config_static_selectorELNS0_4arch9wavefront6targetE1EEEvS12_,comdat
	.globl	_ZN7rocprim17ROCPRIM_400000_NS6detail17trampoline_kernelINS0_13select_configILj256ELj13ELNS0_17block_load_methodE3ELS4_3ELS4_3ELNS0_20block_scan_algorithmE0ELj4294967295EEENS1_25partition_config_selectorILNS1_17partition_subalgoE4EjNS0_10empty_typeEbEEZZNS1_14partition_implILS8_4ELb0ES6_15HIP_vector_typeIjLj2EENS0_17counting_iteratorIjlEEPS9_SG_NS0_5tupleIJPjSI_NS0_16reverse_iteratorISI_EEEEENSH_IJSG_SG_SG_EEES9_SI_JZNS1_25segmented_radix_sort_implINS0_14default_configELb1EPKdPdPKlPlN2at6native12_GLOBAL__N_18offset_tEEE10hipError_tPvRmT1_PNSt15iterator_traitsIS12_E10value_typeET2_T3_PNS13_IS18_E10value_typeET4_jRbjT5_S1E_jjP12ihipStream_tbEUljE_ZNSN_ISO_Lb1ESQ_SR_ST_SU_SY_EESZ_S10_S11_S12_S16_S17_S18_S1B_S1C_jS1D_jS1E_S1E_jjS1G_bEUljE0_EEESZ_S10_S11_S18_S1C_S1E_T6_T7_T9_mT8_S1G_bDpT10_ENKUlT_T0_E_clISt17integral_constantIbLb1EES1T_IbLb0EEEEDaS1P_S1Q_EUlS1P_E_NS1_11comp_targetILNS1_3genE4ELNS1_11target_archE910ELNS1_3gpuE8ELNS1_3repE0EEENS1_30default_config_static_selectorELNS0_4arch9wavefront6targetE1EEEvS12_ ; -- Begin function _ZN7rocprim17ROCPRIM_400000_NS6detail17trampoline_kernelINS0_13select_configILj256ELj13ELNS0_17block_load_methodE3ELS4_3ELS4_3ELNS0_20block_scan_algorithmE0ELj4294967295EEENS1_25partition_config_selectorILNS1_17partition_subalgoE4EjNS0_10empty_typeEbEEZZNS1_14partition_implILS8_4ELb0ES6_15HIP_vector_typeIjLj2EENS0_17counting_iteratorIjlEEPS9_SG_NS0_5tupleIJPjSI_NS0_16reverse_iteratorISI_EEEEENSH_IJSG_SG_SG_EEES9_SI_JZNS1_25segmented_radix_sort_implINS0_14default_configELb1EPKdPdPKlPlN2at6native12_GLOBAL__N_18offset_tEEE10hipError_tPvRmT1_PNSt15iterator_traitsIS12_E10value_typeET2_T3_PNS13_IS18_E10value_typeET4_jRbjT5_S1E_jjP12ihipStream_tbEUljE_ZNSN_ISO_Lb1ESQ_SR_ST_SU_SY_EESZ_S10_S11_S12_S16_S17_S18_S1B_S1C_jS1D_jS1E_S1E_jjS1G_bEUljE0_EEESZ_S10_S11_S18_S1C_S1E_T6_T7_T9_mT8_S1G_bDpT10_ENKUlT_T0_E_clISt17integral_constantIbLb1EES1T_IbLb0EEEEDaS1P_S1Q_EUlS1P_E_NS1_11comp_targetILNS1_3genE4ELNS1_11target_archE910ELNS1_3gpuE8ELNS1_3repE0EEENS1_30default_config_static_selectorELNS0_4arch9wavefront6targetE1EEEvS12_
	.p2align	8
	.type	_ZN7rocprim17ROCPRIM_400000_NS6detail17trampoline_kernelINS0_13select_configILj256ELj13ELNS0_17block_load_methodE3ELS4_3ELS4_3ELNS0_20block_scan_algorithmE0ELj4294967295EEENS1_25partition_config_selectorILNS1_17partition_subalgoE4EjNS0_10empty_typeEbEEZZNS1_14partition_implILS8_4ELb0ES6_15HIP_vector_typeIjLj2EENS0_17counting_iteratorIjlEEPS9_SG_NS0_5tupleIJPjSI_NS0_16reverse_iteratorISI_EEEEENSH_IJSG_SG_SG_EEES9_SI_JZNS1_25segmented_radix_sort_implINS0_14default_configELb1EPKdPdPKlPlN2at6native12_GLOBAL__N_18offset_tEEE10hipError_tPvRmT1_PNSt15iterator_traitsIS12_E10value_typeET2_T3_PNS13_IS18_E10value_typeET4_jRbjT5_S1E_jjP12ihipStream_tbEUljE_ZNSN_ISO_Lb1ESQ_SR_ST_SU_SY_EESZ_S10_S11_S12_S16_S17_S18_S1B_S1C_jS1D_jS1E_S1E_jjS1G_bEUljE0_EEESZ_S10_S11_S18_S1C_S1E_T6_T7_T9_mT8_S1G_bDpT10_ENKUlT_T0_E_clISt17integral_constantIbLb1EES1T_IbLb0EEEEDaS1P_S1Q_EUlS1P_E_NS1_11comp_targetILNS1_3genE4ELNS1_11target_archE910ELNS1_3gpuE8ELNS1_3repE0EEENS1_30default_config_static_selectorELNS0_4arch9wavefront6targetE1EEEvS12_,@function
_ZN7rocprim17ROCPRIM_400000_NS6detail17trampoline_kernelINS0_13select_configILj256ELj13ELNS0_17block_load_methodE3ELS4_3ELS4_3ELNS0_20block_scan_algorithmE0ELj4294967295EEENS1_25partition_config_selectorILNS1_17partition_subalgoE4EjNS0_10empty_typeEbEEZZNS1_14partition_implILS8_4ELb0ES6_15HIP_vector_typeIjLj2EENS0_17counting_iteratorIjlEEPS9_SG_NS0_5tupleIJPjSI_NS0_16reverse_iteratorISI_EEEEENSH_IJSG_SG_SG_EEES9_SI_JZNS1_25segmented_radix_sort_implINS0_14default_configELb1EPKdPdPKlPlN2at6native12_GLOBAL__N_18offset_tEEE10hipError_tPvRmT1_PNSt15iterator_traitsIS12_E10value_typeET2_T3_PNS13_IS18_E10value_typeET4_jRbjT5_S1E_jjP12ihipStream_tbEUljE_ZNSN_ISO_Lb1ESQ_SR_ST_SU_SY_EESZ_S10_S11_S12_S16_S17_S18_S1B_S1C_jS1D_jS1E_S1E_jjS1G_bEUljE0_EEESZ_S10_S11_S18_S1C_S1E_T6_T7_T9_mT8_S1G_bDpT10_ENKUlT_T0_E_clISt17integral_constantIbLb1EES1T_IbLb0EEEEDaS1P_S1Q_EUlS1P_E_NS1_11comp_targetILNS1_3genE4ELNS1_11target_archE910ELNS1_3gpuE8ELNS1_3repE0EEENS1_30default_config_static_selectorELNS0_4arch9wavefront6targetE1EEEvS12_: ; @_ZN7rocprim17ROCPRIM_400000_NS6detail17trampoline_kernelINS0_13select_configILj256ELj13ELNS0_17block_load_methodE3ELS4_3ELS4_3ELNS0_20block_scan_algorithmE0ELj4294967295EEENS1_25partition_config_selectorILNS1_17partition_subalgoE4EjNS0_10empty_typeEbEEZZNS1_14partition_implILS8_4ELb0ES6_15HIP_vector_typeIjLj2EENS0_17counting_iteratorIjlEEPS9_SG_NS0_5tupleIJPjSI_NS0_16reverse_iteratorISI_EEEEENSH_IJSG_SG_SG_EEES9_SI_JZNS1_25segmented_radix_sort_implINS0_14default_configELb1EPKdPdPKlPlN2at6native12_GLOBAL__N_18offset_tEEE10hipError_tPvRmT1_PNSt15iterator_traitsIS12_E10value_typeET2_T3_PNS13_IS18_E10value_typeET4_jRbjT5_S1E_jjP12ihipStream_tbEUljE_ZNSN_ISO_Lb1ESQ_SR_ST_SU_SY_EESZ_S10_S11_S12_S16_S17_S18_S1B_S1C_jS1D_jS1E_S1E_jjS1G_bEUljE0_EEESZ_S10_S11_S18_S1C_S1E_T6_T7_T9_mT8_S1G_bDpT10_ENKUlT_T0_E_clISt17integral_constantIbLb1EES1T_IbLb0EEEEDaS1P_S1Q_EUlS1P_E_NS1_11comp_targetILNS1_3genE4ELNS1_11target_archE910ELNS1_3gpuE8ELNS1_3repE0EEENS1_30default_config_static_selectorELNS0_4arch9wavefront6targetE1EEEvS12_
; %bb.0:
	s_load_dwordx2 s[0:1], s[4:5], 0x68
	s_load_dword s7, s[4:5], 0x8
	s_load_dwordx2 s[56:57], s[4:5], 0x10
	s_load_dwordx4 s[44:47], s[4:5], 0x58
	s_mul_i32 s33, s6, 0xd00
	s_waitcnt lgkmcnt(0)
	v_mov_b32_e32 v3, s1
	v_mov_b32_e32 v2, s0
	s_load_dword s1, s[4:5], 0x80
	s_load_dwordx2 s[60:61], s[4:5], 0xa8
	s_load_dwordx8 s[36:43], s[4:5], 0x88
	s_load_dwordx4 s[48:51], s[46:47], 0x0
	s_waitcnt lgkmcnt(0)
	s_add_i32 s8, s1, -1
	s_mulk_i32 s1, 0xd00
	s_add_u32 s2, s56, s1
	s_addc_u32 s3, s57, 0
	s_cmp_eq_u32 s6, s8
	s_cselect_b64 s[30:31], -1, 0
	s_cmp_lg_u32 s6, s8
	v_cmp_lt_u64_e32 vcc, s[2:3], v[2:3]
	s_cselect_b64 s[2:3], -1, 0
	s_add_i32 s7, s7, s33
	s_or_b64 s[2:3], s[2:3], vcc
	s_add_i32 s7, s7, s56
	v_add_u32_e32 v1, s7, v0
	s_mov_b64 s[8:9], -1
	s_and_b64 vcc, exec, s[2:3]
	s_cbranch_vccz .LBB1070_2
; %bb.1:
	v_add_u32_e32 v2, 0x100, v1
	v_lshlrev_b32_e32 v14, 2, v0
	v_add_u32_e32 v3, 0x200, v1
	v_add_u32_e32 v4, 0x300, v1
	;; [unrolled: 1-line block ×11, first 2 shown]
	ds_write2st64_b32 v14, v1, v2 offset1:4
	ds_write2st64_b32 v14, v3, v4 offset0:8 offset1:12
	ds_write2st64_b32 v14, v5, v6 offset0:16 offset1:20
	;; [unrolled: 1-line block ×5, first 2 shown]
	ds_write_b32 v14, v13 offset:12288
	s_waitcnt lgkmcnt(0)
	s_barrier
	s_mov_b64 s[8:9], 0
.LBB1070_2:
	s_andn2_b64 vcc, exec, s[8:9]
	s_add_i32 s1, s1, s56
	s_cbranch_vccnz .LBB1070_4
; %bb.3:
	v_add_u32_e32 v2, 0x100, v1
	v_lshlrev_b32_e32 v14, 2, v0
	v_add_u32_e32 v3, 0x200, v1
	v_add_u32_e32 v4, 0x300, v1
	;; [unrolled: 1-line block ×11, first 2 shown]
	ds_write2st64_b32 v14, v1, v2 offset1:4
	ds_write2st64_b32 v14, v3, v4 offset0:8 offset1:12
	ds_write2st64_b32 v14, v5, v6 offset0:16 offset1:20
	;; [unrolled: 1-line block ×5, first 2 shown]
	ds_write_b32 v14, v13 offset:12288
	s_waitcnt lgkmcnt(0)
	s_barrier
.LBB1070_4:
	v_mul_u32_u24_e32 v31, 13, v0
	v_lshlrev_b32_e32 v1, 2, v31
	s_load_dwordx4 s[52:55], s[4:5], 0x28
	s_load_dwordx2 s[34:35], s[4:5], 0x38
	s_waitcnt lgkmcnt(0)
	ds_read2_b32 v[18:19], v1 offset1:1
	ds_read2_b32 v[16:17], v1 offset0:2 offset1:3
	ds_read2_b32 v[14:15], v1 offset0:4 offset1:5
	;; [unrolled: 1-line block ×5, first 2 shown]
	ds_read_b32 v30, v1 offset:48
	v_cndmask_b32_e64 v1, 0, 1, s[2:3]
	s_sub_i32 s7, s0, s1
	v_cmp_ne_u32_e64 s[0:1], 1, v1
	s_andn2_b64 vcc, exec, s[2:3]
	s_waitcnt lgkmcnt(0)
	s_barrier
	s_cbranch_vccnz .LBB1070_32
; %bb.5:
	v_add_u32_e32 v1, s37, v18
	v_add_u32_e32 v2, s39, v18
	v_mul_lo_u32 v1, v1, s36
	v_mul_lo_u32 v2, v2, s38
	v_sub_u32_e32 v1, v1, v2
	v_cmp_lt_u32_e32 vcc, s40, v1
	v_cmp_ge_u32_e64 s[2:3], s40, v1
	s_mov_b64 s[64:65], 0
	s_mov_b64 s[62:63], 0
	s_and_saveexec_b64 s[8:9], s[2:3]
; %bb.6:
	v_add_u32_e32 v1, s42, v18
	v_add_u32_e32 v2, s60, v18
	v_mul_lo_u32 v1, v1, s41
	v_mul_lo_u32 v2, v2, s43
	v_sub_u32_e32 v1, v1, v2
	v_cmp_lt_u32_e64 s[2:3], s61, v1
	s_and_b64 s[62:63], s[2:3], exec
; %bb.7:
	s_or_b64 exec, exec, s[8:9]
	v_add_u32_e32 v1, s37, v19
	v_add_u32_e32 v2, s39, v19
	v_mul_lo_u32 v1, v1, s36
	v_mul_lo_u32 v2, v2, s38
	v_sub_u32_e32 v1, v1, v2
	v_cmp_lt_u32_e64 s[2:3], s40, v1
	v_cmp_ge_u32_e64 s[8:9], s40, v1
	s_and_saveexec_b64 s[10:11], s[8:9]
; %bb.8:
	v_add_u32_e32 v1, s42, v19
	v_add_u32_e32 v2, s60, v19
	v_mul_lo_u32 v1, v1, s41
	v_mul_lo_u32 v2, v2, s43
	v_sub_u32_e32 v1, v1, v2
	v_cmp_lt_u32_e64 s[8:9], s61, v1
	s_and_b64 s[64:65], s[8:9], exec
; %bb.9:
	s_or_b64 exec, exec, s[10:11]
	v_add_u32_e32 v1, s37, v16
	v_add_u32_e32 v2, s39, v16
	v_mul_lo_u32 v1, v1, s36
	v_mul_lo_u32 v2, v2, s38
	v_sub_u32_e32 v1, v1, v2
	v_cmp_lt_u32_e64 s[26:27], s40, v1
	v_cmp_ge_u32_e64 s[8:9], s40, v1
	s_mov_b64 s[68:69], 0
	s_mov_b64 s[66:67], 0
	s_and_saveexec_b64 s[10:11], s[8:9]
; %bb.10:
	v_add_u32_e32 v1, s42, v16
	v_add_u32_e32 v2, s60, v16
	v_mul_lo_u32 v1, v1, s41
	v_mul_lo_u32 v2, v2, s43
	v_sub_u32_e32 v1, v1, v2
	v_cmp_lt_u32_e64 s[8:9], s61, v1
	s_and_b64 s[66:67], s[8:9], exec
; %bb.11:
	s_or_b64 exec, exec, s[10:11]
	v_add_u32_e32 v1, s37, v17
	v_add_u32_e32 v2, s39, v17
	v_mul_lo_u32 v1, v1, s36
	v_mul_lo_u32 v2, v2, s38
	v_sub_u32_e32 v1, v1, v2
	v_cmp_lt_u32_e64 s[8:9], s40, v1
	v_cmp_ge_u32_e64 s[10:11], s40, v1
	s_and_saveexec_b64 s[12:13], s[10:11]
; %bb.12:
	v_add_u32_e32 v1, s42, v17
	v_add_u32_e32 v2, s60, v17
	v_mul_lo_u32 v1, v1, s41
	v_mul_lo_u32 v2, v2, s43
	v_sub_u32_e32 v1, v1, v2
	v_cmp_lt_u32_e64 s[10:11], s61, v1
	s_and_b64 s[68:69], s[10:11], exec
; %bb.13:
	s_or_b64 exec, exec, s[12:13]
	v_add_u32_e32 v1, s37, v14
	v_add_u32_e32 v2, s39, v14
	v_mul_lo_u32 v1, v1, s36
	v_mul_lo_u32 v2, v2, s38
	v_sub_u32_e32 v1, v1, v2
	v_cmp_lt_u32_e64 s[10:11], s40, v1
	v_cmp_ge_u32_e64 s[12:13], s40, v1
	s_mov_b64 s[72:73], 0
	s_mov_b64 s[70:71], 0
	s_and_saveexec_b64 s[14:15], s[12:13]
; %bb.14:
	v_add_u32_e32 v1, s42, v14
	v_add_u32_e32 v2, s60, v14
	v_mul_lo_u32 v1, v1, s41
	v_mul_lo_u32 v2, v2, s43
	v_sub_u32_e32 v1, v1, v2
	v_cmp_lt_u32_e64 s[12:13], s61, v1
	s_and_b64 s[70:71], s[12:13], exec
; %bb.15:
	s_or_b64 exec, exec, s[14:15]
	v_add_u32_e32 v1, s37, v15
	v_add_u32_e32 v2, s39, v15
	v_mul_lo_u32 v1, v1, s36
	v_mul_lo_u32 v2, v2, s38
	v_sub_u32_e32 v1, v1, v2
	v_cmp_lt_u32_e64 s[12:13], s40, v1
	v_cmp_ge_u32_e64 s[14:15], s40, v1
	s_and_saveexec_b64 s[16:17], s[14:15]
; %bb.16:
	v_add_u32_e32 v1, s42, v15
	v_add_u32_e32 v2, s60, v15
	v_mul_lo_u32 v1, v1, s41
	v_mul_lo_u32 v2, v2, s43
	v_sub_u32_e32 v1, v1, v2
	v_cmp_lt_u32_e64 s[14:15], s61, v1
	s_and_b64 s[72:73], s[14:15], exec
; %bb.17:
	s_or_b64 exec, exec, s[16:17]
	v_add_u32_e32 v1, s37, v12
	v_add_u32_e32 v2, s39, v12
	v_mul_lo_u32 v1, v1, s36
	v_mul_lo_u32 v2, v2, s38
	v_sub_u32_e32 v1, v1, v2
	v_cmp_lt_u32_e64 s[14:15], s40, v1
	v_cmp_ge_u32_e64 s[16:17], s40, v1
	s_mov_b64 s[76:77], 0
	s_mov_b64 s[74:75], 0
	s_and_saveexec_b64 s[18:19], s[16:17]
; %bb.18:
	v_add_u32_e32 v1, s42, v12
	v_add_u32_e32 v2, s60, v12
	v_mul_lo_u32 v1, v1, s41
	v_mul_lo_u32 v2, v2, s43
	v_sub_u32_e32 v1, v1, v2
	v_cmp_lt_u32_e64 s[16:17], s61, v1
	s_and_b64 s[74:75], s[16:17], exec
; %bb.19:
	s_or_b64 exec, exec, s[18:19]
	v_add_u32_e32 v1, s37, v13
	v_add_u32_e32 v2, s39, v13
	v_mul_lo_u32 v1, v1, s36
	v_mul_lo_u32 v2, v2, s38
	v_sub_u32_e32 v1, v1, v2
	v_cmp_lt_u32_e64 s[16:17], s40, v1
	v_cmp_ge_u32_e64 s[18:19], s40, v1
	s_and_saveexec_b64 s[20:21], s[18:19]
; %bb.20:
	v_add_u32_e32 v1, s42, v13
	v_add_u32_e32 v2, s60, v13
	v_mul_lo_u32 v1, v1, s41
	v_mul_lo_u32 v2, v2, s43
	v_sub_u32_e32 v1, v1, v2
	v_cmp_lt_u32_e64 s[18:19], s61, v1
	s_and_b64 s[76:77], s[18:19], exec
; %bb.21:
	s_or_b64 exec, exec, s[20:21]
	v_add_u32_e32 v1, s37, v10
	v_add_u32_e32 v2, s39, v10
	v_mul_lo_u32 v1, v1, s36
	v_mul_lo_u32 v2, v2, s38
	v_sub_u32_e32 v1, v1, v2
	v_cmp_lt_u32_e64 s[18:19], s40, v1
	v_cmp_ge_u32_e64 s[20:21], s40, v1
	s_mov_b64 s[82:83], 0
	s_mov_b64 s[80:81], 0
	s_and_saveexec_b64 s[22:23], s[20:21]
; %bb.22:
	v_add_u32_e32 v1, s42, v10
	v_add_u32_e32 v2, s60, v10
	v_mul_lo_u32 v1, v1, s41
	v_mul_lo_u32 v2, v2, s43
	v_sub_u32_e32 v1, v1, v2
	v_cmp_lt_u32_e64 s[20:21], s61, v1
	s_and_b64 s[80:81], s[20:21], exec
; %bb.23:
	s_or_b64 exec, exec, s[22:23]
	v_add_u32_e32 v1, s37, v11
	v_add_u32_e32 v2, s39, v11
	v_mul_lo_u32 v1, v1, s36
	v_mul_lo_u32 v2, v2, s38
	v_sub_u32_e32 v1, v1, v2
	v_cmp_lt_u32_e64 s[20:21], s40, v1
	v_cmp_ge_u32_e64 s[22:23], s40, v1
	s_and_saveexec_b64 s[24:25], s[22:23]
; %bb.24:
	v_add_u32_e32 v1, s42, v11
	v_add_u32_e32 v2, s60, v11
	v_mul_lo_u32 v1, v1, s41
	v_mul_lo_u32 v2, v2, s43
	v_sub_u32_e32 v1, v1, v2
	v_cmp_lt_u32_e64 s[22:23], s61, v1
	s_and_b64 s[82:83], s[22:23], exec
; %bb.25:
	s_or_b64 exec, exec, s[24:25]
	v_add_u32_e32 v1, s37, v8
	v_add_u32_e32 v2, s39, v8
	v_mul_lo_u32 v1, v1, s36
	v_mul_lo_u32 v2, v2, s38
	v_sub_u32_e32 v1, v1, v2
	v_cmp_lt_u32_e64 s[22:23], s40, v1
	v_cmp_ge_u32_e64 s[24:25], s40, v1
	s_mov_b64 s[84:85], 0
	s_mov_b64 s[86:87], 0
	s_and_saveexec_b64 s[28:29], s[24:25]
; %bb.26:
	v_add_u32_e32 v1, s42, v8
	v_add_u32_e32 v2, s60, v8
	v_mul_lo_u32 v1, v1, s41
	v_mul_lo_u32 v2, v2, s43
	v_sub_u32_e32 v1, v1, v2
	v_cmp_lt_u32_e64 s[24:25], s61, v1
	s_and_b64 s[86:87], s[24:25], exec
; %bb.27:
	s_or_b64 exec, exec, s[28:29]
	v_add_u32_e32 v1, s37, v9
	v_add_u32_e32 v2, s39, v9
	v_mul_lo_u32 v1, v1, s36
	v_mul_lo_u32 v2, v2, s38
	v_sub_u32_e32 v1, v1, v2
	v_cmp_lt_u32_e64 s[24:25], s40, v1
	v_cmp_ge_u32_e64 s[28:29], s40, v1
	s_and_saveexec_b64 s[46:47], s[28:29]
; %bb.28:
	v_add_u32_e32 v1, s42, v9
	v_add_u32_e32 v2, s60, v9
	v_mul_lo_u32 v1, v1, s41
	v_mul_lo_u32 v2, v2, s43
	v_sub_u32_e32 v1, v1, v2
	v_cmp_lt_u32_e64 s[28:29], s61, v1
	s_and_b64 s[84:85], s[28:29], exec
; %bb.29:
	s_or_b64 exec, exec, s[46:47]
	v_add_u32_e32 v1, s37, v30
	v_add_u32_e32 v2, s39, v30
	v_mul_lo_u32 v1, v1, s36
	v_mul_lo_u32 v2, v2, s38
	v_sub_u32_e32 v1, v1, v2
	v_cmp_ge_u32_e64 s[28:29], s40, v1
	s_mov_b64 s[46:47], -1
	s_mov_b64 s[78:79], 0
	s_mov_b64 s[58:59], 0
	s_and_saveexec_b64 s[88:89], s[28:29]
; %bb.30:
	v_add_u32_e32 v1, s42, v30
	v_add_u32_e32 v2, s60, v30
	v_mul_lo_u32 v1, v1, s41
	v_mul_lo_u32 v2, v2, s43
	v_sub_u32_e32 v1, v1, v2
	v_cmp_lt_u32_e64 s[28:29], s61, v1
	s_and_b64 s[58:59], s[28:29], exec
	s_xor_b64 s[46:47], exec, -1
; %bb.31:
	s_or_b64 exec, exec, s[88:89]
	v_cndmask_b32_e64 v52, 0, 1, s[86:87]
	v_cndmask_b32_e64 v55, 0, 1, s[24:25]
	;; [unrolled: 1-line block ×22, first 2 shown]
	v_cndmask_b32_e64 v32, 0, 1, vcc
	v_cndmask_b32_e64 v54, 0, 1, s[84:85]
	s_load_dwordx2 s[12:13], s[4:5], 0x78
	s_add_i32 s18, s7, 0xd00
	s_and_b64 vcc, exec, s[78:79]
	s_cbranch_vccnz .LBB1070_33
	s_branch .LBB1070_86
.LBB1070_32:
                                        ; implicit-def: $sgpr46_sgpr47
                                        ; implicit-def: $sgpr58_sgpr59
                                        ; implicit-def: $vgpr54
                                        ; implicit-def: $vgpr52
                                        ; implicit-def: $vgpr50
                                        ; implicit-def: $vgpr48
                                        ; implicit-def: $vgpr46
                                        ; implicit-def: $vgpr44
                                        ; implicit-def: $vgpr42
                                        ; implicit-def: $vgpr40
                                        ; implicit-def: $vgpr38
                                        ; implicit-def: $vgpr32
                                        ; implicit-def: $vgpr34
                                        ; implicit-def: $vgpr36
                                        ; implicit-def: $vgpr39
                                        ; implicit-def: $vgpr41
                                        ; implicit-def: $vgpr43
                                        ; implicit-def: $vgpr45
                                        ; implicit-def: $vgpr47
                                        ; implicit-def: $vgpr49
                                        ; implicit-def: $vgpr51
                                        ; implicit-def: $vgpr53
                                        ; implicit-def: $vgpr55
                                        ; implicit-def: $vgpr33
                                        ; implicit-def: $vgpr35
                                        ; implicit-def: $vgpr37
	s_load_dwordx2 s[12:13], s[4:5], 0x78
	s_add_i32 s18, s7, 0xd00
	s_cbranch_execz .LBB1070_86
.LBB1070_33:
	v_cmp_gt_u32_e32 vcc, s18, v31
	v_mov_b32_e32 v33, 0
	v_mov_b32_e32 v32, 0
	s_and_saveexec_b64 s[4:5], vcc
	s_cbranch_execz .LBB1070_37
; %bb.34:
	v_add_u32_e32 v1, s37, v18
	v_add_u32_e32 v2, s39, v18
	v_mul_lo_u32 v1, v1, s36
	v_mul_lo_u32 v2, v2, s38
	v_sub_u32_e32 v1, v1, v2
	v_cmp_lt_u32_e32 vcc, s40, v1
	v_cmp_ge_u32_e64 s[2:3], s40, v1
	s_mov_b64 s[10:11], 0
	s_and_saveexec_b64 s[8:9], s[2:3]
; %bb.35:
	v_add_u32_e32 v1, s42, v18
	v_add_u32_e32 v2, s60, v18
	v_mul_lo_u32 v1, v1, s41
	v_mul_lo_u32 v2, v2, s43
	v_sub_u32_e32 v1, v1, v2
	v_cmp_lt_u32_e64 s[2:3], s61, v1
	s_and_b64 s[10:11], s[2:3], exec
; %bb.36:
	s_or_b64 exec, exec, s[8:9]
	v_cndmask_b32_e64 v32, 0, 1, vcc
	v_cndmask_b32_e64 v33, 0, 1, s[10:11]
.LBB1070_37:
	s_or_b64 exec, exec, s[4:5]
	v_add_u32_e32 v1, 1, v31
	v_cmp_gt_u32_e32 vcc, s18, v1
	v_mov_b32_e32 v34, 0
	v_mov_b32_e32 v35, 0
	s_and_saveexec_b64 s[4:5], vcc
	s_cbranch_execz .LBB1070_41
; %bb.38:
	v_add_u32_e32 v1, s37, v19
	v_add_u32_e32 v2, s39, v19
	v_mul_lo_u32 v1, v1, s36
	v_mul_lo_u32 v2, v2, s38
	v_sub_u32_e32 v1, v1, v2
	v_cmp_lt_u32_e32 vcc, s40, v1
	v_cmp_ge_u32_e64 s[2:3], s40, v1
	s_mov_b64 s[10:11], 0
	s_and_saveexec_b64 s[8:9], s[2:3]
; %bb.39:
	v_add_u32_e32 v1, s42, v19
	v_add_u32_e32 v2, s60, v19
	v_mul_lo_u32 v1, v1, s41
	v_mul_lo_u32 v2, v2, s43
	v_sub_u32_e32 v1, v1, v2
	v_cmp_lt_u32_e64 s[2:3], s61, v1
	s_and_b64 s[10:11], s[2:3], exec
; %bb.40:
	s_or_b64 exec, exec, s[8:9]
	v_cndmask_b32_e64 v34, 0, 1, vcc
	v_cndmask_b32_e64 v35, 0, 1, s[10:11]
.LBB1070_41:
	s_or_b64 exec, exec, s[4:5]
	v_add_u32_e32 v1, 2, v31
	;; [unrolled: 30-line block ×12, first 2 shown]
	v_cmp_gt_u32_e32 vcc, s18, v1
	s_mov_b64 s[46:47], 0
	s_mov_b64 s[58:59], 0
	s_and_saveexec_b64 s[2:3], vcc
	s_cbranch_execz .LBB1070_85
; %bb.82:
	v_add_u32_e32 v1, s37, v30
	v_add_u32_e32 v2, s39, v30
	v_mul_lo_u32 v1, v1, s36
	v_mul_lo_u32 v2, v2, s38
	v_sub_u32_e32 v1, v1, v2
	v_cmp_ge_u32_e32 vcc, s40, v1
	s_mov_b64 s[8:9], -1
	s_mov_b64 s[10:11], 0
	s_and_saveexec_b64 s[4:5], vcc
; %bb.83:
	v_add_u32_e32 v1, s42, v30
	v_add_u32_e32 v2, s60, v30
	v_mul_lo_u32 v1, v1, s41
	v_mul_lo_u32 v2, v2, s43
	v_sub_u32_e32 v1, v1, v2
	v_cmp_lt_u32_e32 vcc, s61, v1
	s_and_b64 s[10:11], vcc, exec
	s_xor_b64 s[8:9], exec, -1
; %bb.84:
	s_or_b64 exec, exec, s[4:5]
	s_and_b64 s[58:59], s[10:11], exec
	s_and_b64 s[46:47], s[8:9], exec
.LBB1070_85:
	s_or_b64 exec, exec, s[2:3]
.LBB1070_86:
	v_and_b32_e32 v63, 0xff, v33
	v_and_b32_e32 v74, 0xff, v35
	;; [unrolled: 1-line block ×5, first 2 shown]
	v_add3_u32 v2, v74, v65, v63
	v_and_b32_e32 v76, 0xff, v42
	v_and_b32_e32 v69, 0xff, v44
	v_add3_u32 v2, v2, v75, v67
	v_and_b32_e32 v62, 0xff, v32
	v_and_b32_e32 v56, 0xff, v34
	;; [unrolled: 1-line block ×5, first 2 shown]
	v_add3_u32 v2, v2, v76, v69
	v_and_b32_e32 v57, 0xff, v39
	v_and_b32_e32 v66, 0xff, v41
	;; [unrolled: 1-line block ×4, first 2 shown]
	v_add3_u32 v3, v56, v64, v62
	v_add3_u32 v2, v2, v77, v71
	v_and_b32_e32 v58, 0xff, v43
	v_and_b32_e32 v68, 0xff, v45
	;; [unrolled: 1-line block ×3, first 2 shown]
	v_cndmask_b32_e64 v1, 0, 1, s[58:59]
	v_add3_u32 v3, v3, v57, v66
	v_add3_u32 v2, v2, v78, v73
	v_and_b32_e32 v59, 0xff, v47
	v_and_b32_e32 v70, 0xff, v49
	v_add3_u32 v3, v3, v58, v68
	v_add3_u32 v86, v2, v79, v1
	v_mbcnt_lo_u32_b32 v1, -1, 0
	v_and_b32_e32 v60, 0xff, v51
	v_and_b32_e32 v72, 0xff, v53
	v_add3_u32 v3, v3, v59, v70
	v_mbcnt_hi_u32_b32 v80, -1, v1
	v_and_b32_e32 v61, 0xff, v55
	v_add3_u32 v3, v3, v60, v72
	v_cndmask_b32_e64 v4, 0, 1, s[46:47]
	v_and_b32_e32 v84, 15, v80
	s_cmp_lg_u32 s6, 0
	v_add3_u32 v85, v3, v61, v4
	v_cmp_eq_u32_e64 s[4:5], 0, v84
	v_cmp_lt_u32_e64 s[2:3], 1, v84
	v_cmp_lt_u32_e64 s[8:9], 3, v84
	;; [unrolled: 1-line block ×3, first 2 shown]
	v_and_b32_e32 v83, 16, v80
	v_cmp_lt_u32_e32 vcc, 31, v80
	v_lshrrev_b32_e32 v81, 6, v0
	v_or_b32_e32 v82, 63, v0
	s_cbranch_scc0 .LBB1070_119
; %bb.87:
	v_mov_b32_dpp v1, v85 row_shr:1 row_mask:0xf bank_mask:0xf
	v_mov_b32_dpp v2, v86 row_shr:1 row_mask:0xf bank_mask:0xf
	v_add_u32_e32 v1, v1, v85
	v_add_u32_e32 v2, v2, v86
	v_cndmask_b32_e64 v2, v2, v86, s[4:5]
	v_cndmask_b32_e64 v1, v1, v85, s[4:5]
	s_nop 0
	v_mov_b32_dpp v4, v2 row_shr:2 row_mask:0xf bank_mask:0xf
	v_mov_b32_dpp v3, v1 row_shr:2 row_mask:0xf bank_mask:0xf
	v_add_u32_e32 v3, v1, v3
	v_add_u32_e32 v4, v2, v4
	v_cndmask_b32_e64 v2, v2, v4, s[2:3]
	v_cndmask_b32_e64 v1, v1, v3, s[2:3]
	s_nop 0
	v_mov_b32_dpp v4, v2 row_shr:4 row_mask:0xf bank_mask:0xf
	v_mov_b32_dpp v3, v1 row_shr:4 row_mask:0xf bank_mask:0xf
	v_add_u32_e32 v3, v1, v3
	v_add_u32_e32 v4, v2, v4
	v_cndmask_b32_e64 v2, v2, v4, s[8:9]
	v_cndmask_b32_e64 v1, v1, v3, s[8:9]
	v_cmp_eq_u32_e64 s[8:9], 0, v83
	v_mov_b32_dpp v4, v2 row_shr:8 row_mask:0xf bank_mask:0xf
	v_mov_b32_dpp v3, v1 row_shr:8 row_mask:0xf bank_mask:0xf
	v_add_u32_e32 v3, v1, v3
	v_add_u32_e32 v4, v2, v4
	v_cndmask_b32_e64 v2, v2, v4, s[10:11]
	v_cndmask_b32_e64 v1, v1, v3, s[10:11]
	s_nop 0
	v_mov_b32_dpp v4, v2 row_bcast:15 row_mask:0xf bank_mask:0xf
	v_mov_b32_dpp v3, v1 row_bcast:15 row_mask:0xf bank_mask:0xf
	v_add_u32_e32 v3, v1, v3
	v_add_u32_e32 v4, v2, v4
	v_cndmask_b32_e64 v2, v4, v2, s[8:9]
	v_cndmask_b32_e64 v1, v3, v1, s[8:9]
	s_nop 0
	v_mov_b32_dpp v4, v2 row_bcast:31 row_mask:0xf bank_mask:0xf
	v_mov_b32_dpp v3, v1 row_bcast:31 row_mask:0xf bank_mask:0xf
	v_add_u32_e32 v4, v2, v4
	v_add_u32_e32 v5, v1, v3
	v_cndmask_b32_e32 v3, v2, v4, vcc
	v_cndmask_b32_e32 v2, v1, v5, vcc
	v_cmp_eq_u32_e32 vcc, v82, v0
	s_and_saveexec_b64 s[8:9], vcc
	s_cbranch_execz .LBB1070_89
; %bb.88:
	v_lshlrev_b32_e32 v1, 3, v81
	ds_write_b64 v1, v[2:3]
.LBB1070_89:
	s_or_b64 exec, exec, s[8:9]
	v_cmp_gt_u32_e32 vcc, 4, v0
	s_waitcnt lgkmcnt(0)
	s_barrier
	s_and_saveexec_b64 s[8:9], vcc
	s_cbranch_execz .LBB1070_91
; %bb.90:
	v_lshlrev_b32_e32 v1, 3, v0
	ds_read_b64 v[4:5], v1
	v_and_b32_e32 v6, 3, v80
	v_cmp_eq_u32_e32 vcc, 0, v6
	s_waitcnt lgkmcnt(0)
	v_mov_b32_dpp v7, v4 row_shr:1 row_mask:0xf bank_mask:0xf
	v_mov_b32_dpp v20, v5 row_shr:1 row_mask:0xf bank_mask:0xf
	v_add_u32_e32 v7, v7, v4
	v_add_u32_e32 v20, v20, v5
	v_cndmask_b32_e32 v5, v20, v5, vcc
	v_cndmask_b32_e32 v4, v7, v4, vcc
	v_cmp_lt_u32_e32 vcc, 1, v6
	v_mov_b32_dpp v20, v5 row_shr:2 row_mask:0xf bank_mask:0xf
	v_mov_b32_dpp v7, v4 row_shr:2 row_mask:0xf bank_mask:0xf
	v_cndmask_b32_e32 v6, 0, v7, vcc
	v_cndmask_b32_e32 v7, 0, v20, vcc
	v_add_u32_e32 v5, v7, v5
	v_add_u32_e32 v4, v6, v4
	ds_write_b64 v1, v[4:5]
.LBB1070_91:
	s_or_b64 exec, exec, s[8:9]
	v_cmp_gt_u32_e32 vcc, 64, v0
	v_cmp_lt_u32_e64 s[8:9], 63, v0
	s_waitcnt lgkmcnt(0)
	s_barrier
	s_waitcnt lgkmcnt(0)
                                        ; implicit-def: $vgpr21
	s_and_saveexec_b64 s[10:11], s[8:9]
	s_xor_b64 s[8:9], exec, s[10:11]
	s_cbranch_execz .LBB1070_93
; %bb.92:
	v_lshl_add_u32 v1, v81, 3, -8
	ds_read_b64 v[20:21], v1
	s_waitcnt lgkmcnt(0)
	v_add_u32_e32 v3, v21, v3
	v_add_u32_e32 v2, v20, v2
.LBB1070_93:
	s_andn2_saveexec_b64 s[8:9], s[8:9]
; %bb.94:
                                        ; implicit-def: $vgpr20
; %bb.95:
	s_or_b64 exec, exec, s[8:9]
	v_add_u32_e32 v1, -1, v80
	v_and_b32_e32 v4, 64, v80
	v_cmp_lt_i32_e64 s[8:9], v1, v4
	v_cndmask_b32_e64 v1, v1, v80, s[8:9]
	v_lshlrev_b32_e32 v4, 2, v1
	ds_bpermute_b32 v1, v4, v2
	ds_bpermute_b32 v87, v4, v3
	v_cmp_eq_u32_e64 s[8:9], 0, v80
	s_and_saveexec_b64 s[10:11], vcc
	s_cbranch_execz .LBB1070_118
; %bb.96:
	v_mov_b32_e32 v7, 0
	ds_read_b64 v[22:23], v7 offset:24
	s_and_saveexec_b64 s[14:15], s[8:9]
	s_cbranch_execz .LBB1070_98
; %bb.97:
	s_add_i32 s16, s6, 64
	s_mov_b32 s17, 0
	s_lshl_b64 s[16:17], s[16:17], 4
	s_waitcnt lgkmcnt(0)
	v_and_b32_e32 v2, 0xff000000, v23
	v_and_b32_e32 v3, 0xff0000, v23
	s_add_u32 s16, s12, s16
	v_or_b32_e32 v2, v3, v2
	v_and_b32_e32 v3, 0xff00, v23
	s_addc_u32 s17, s13, s17
	v_or_b32_e32 v2, v2, v3
	v_or_b32_sdwa v5, v2, v23 dst_sel:DWORD dst_unused:UNUSED_PAD src0_sel:DWORD src1_sel:BYTE_0
	v_mov_b32_e32 v6, 1
	v_mov_b32_e32 v4, v22
	v_pk_mov_b32 v[2:3], s[16:17], s[16:17] op_sel:[0,1]
	;;#ASMSTART
	global_store_dwordx4 v[2:3], v[4:7] off	
s_waitcnt vmcnt(0)
	;;#ASMEND
.LBB1070_98:
	s_or_b64 exec, exec, s[14:15]
	v_xad_u32 v24, v80, -1, s6
	v_add_u32_e32 v6, 64, v24
	v_lshlrev_b64 v[2:3], 4, v[6:7]
	v_mov_b32_e32 v4, s13
	v_add_co_u32_e32 v26, vcc, s12, v2
	v_addc_co_u32_e32 v27, vcc, v4, v3, vcc
	;;#ASMSTART
	global_load_dwordx4 v[2:5], v[26:27] off glc	
s_waitcnt vmcnt(0)
	;;#ASMEND
	v_and_b32_e32 v5, 0xff, v3
	v_and_b32_e32 v6, 0xff00, v3
	v_or3_b32 v5, 0, v5, v6
	v_or3_b32 v2, v2, 0, 0
	v_and_b32_e32 v6, 0xff000000, v3
	v_and_b32_e32 v3, 0xff0000, v3
	v_or3_b32 v3, v5, v3, v6
	v_or3_b32 v2, v2, 0, 0
	v_cmp_eq_u16_sdwa s[16:17], v4, v7 src0_sel:BYTE_0 src1_sel:DWORD
	s_and_saveexec_b64 s[14:15], s[16:17]
	s_cbranch_execz .LBB1070_104
; %bb.99:
	s_mov_b32 s7, 1
	s_mov_b64 s[16:17], 0
	v_mov_b32_e32 v6, 0
.LBB1070_100:                           ; =>This Loop Header: Depth=1
                                        ;     Child Loop BB1070_101 Depth 2
	s_max_u32 s19, s7, 1
.LBB1070_101:                           ;   Parent Loop BB1070_100 Depth=1
                                        ; =>  This Inner Loop Header: Depth=2
	s_add_i32 s19, s19, -1
	s_cmp_eq_u32 s19, 0
	s_sleep 1
	s_cbranch_scc0 .LBB1070_101
; %bb.102:                              ;   in Loop: Header=BB1070_100 Depth=1
	s_cmp_lt_u32 s7, 32
	s_cselect_b64 s[20:21], -1, 0
	s_cmp_lg_u64 s[20:21], 0
	s_addc_u32 s7, s7, 0
	;;#ASMSTART
	global_load_dwordx4 v[2:5], v[26:27] off glc	
s_waitcnt vmcnt(0)
	;;#ASMEND
	v_cmp_ne_u16_sdwa s[20:21], v4, v6 src0_sel:BYTE_0 src1_sel:DWORD
	s_or_b64 s[16:17], s[20:21], s[16:17]
	s_andn2_b64 exec, exec, s[16:17]
	s_cbranch_execnz .LBB1070_100
; %bb.103:
	s_or_b64 exec, exec, s[16:17]
.LBB1070_104:
	s_or_b64 exec, exec, s[14:15]
	v_and_b32_e32 v89, 63, v80
	v_cmp_ne_u32_e32 vcc, 63, v89
	v_mov_b32_e32 v88, 2
	v_addc_co_u32_e32 v26, vcc, 0, v80, vcc
	v_cmp_eq_u16_sdwa s[14:15], v4, v88 src0_sel:BYTE_0 src1_sel:DWORD
	v_lshlrev_b64 v[6:7], v80, -1
	v_lshlrev_b32_e32 v90, 2, v26
	v_and_b32_e32 v5, s15, v7
	ds_bpermute_b32 v26, v90, v2
	ds_bpermute_b32 v27, v90, v3
	v_or_b32_e32 v5, 0x80000000, v5
	v_and_b32_e32 v25, s14, v6
	v_ffbl_b32_e32 v5, v5
	v_add_u32_e32 v5, 32, v5
	v_ffbl_b32_e32 v25, v25
	v_min_u32_e32 v5, v25, v5
	s_waitcnt lgkmcnt(1)
	v_add_u32_e32 v25, v26, v2
	s_waitcnt lgkmcnt(0)
	v_add_u32_e32 v26, v27, v3
	v_cmp_lt_u32_e32 vcc, v89, v5
	v_cndmask_b32_e32 v3, v3, v26, vcc
	v_cndmask_b32_e32 v2, v2, v25, vcc
	v_cmp_gt_u32_e32 vcc, 62, v89
	v_cndmask_b32_e64 v25, 0, 1, vcc
	v_lshlrev_b32_e32 v25, 1, v25
	v_add_lshl_u32 v91, v25, v80, 2
	ds_bpermute_b32 v25, v91, v2
	ds_bpermute_b32 v26, v91, v3
	v_add_u32_e32 v92, 2, v89
	v_cmp_gt_u32_e32 vcc, v92, v5
	v_add_u32_e32 v94, 4, v89
	s_waitcnt lgkmcnt(1)
	v_add_u32_e32 v25, v2, v25
	s_waitcnt lgkmcnt(0)
	v_add_u32_e32 v26, v3, v26
	v_cndmask_b32_e32 v3, v26, v3, vcc
	v_cndmask_b32_e32 v2, v25, v2, vcc
	v_cmp_gt_u32_e32 vcc, 60, v89
	v_cndmask_b32_e64 v25, 0, 1, vcc
	v_lshlrev_b32_e32 v25, 2, v25
	v_add_lshl_u32 v93, v25, v80, 2
	ds_bpermute_b32 v25, v93, v2
	ds_bpermute_b32 v26, v93, v3
	v_cmp_gt_u32_e32 vcc, v94, v5
	v_add_u32_e32 v96, 8, v89
	v_add_u32_e32 v98, 16, v89
	s_waitcnt lgkmcnt(1)
	v_add_u32_e32 v25, v2, v25
	s_waitcnt lgkmcnt(0)
	v_add_u32_e32 v26, v3, v26
	v_cndmask_b32_e32 v3, v26, v3, vcc
	v_cndmask_b32_e32 v2, v25, v2, vcc
	v_cmp_gt_u32_e32 vcc, 56, v89
	v_cndmask_b32_e64 v25, 0, 1, vcc
	v_lshlrev_b32_e32 v25, 3, v25
	v_add_lshl_u32 v95, v25, v80, 2
	ds_bpermute_b32 v25, v95, v2
	ds_bpermute_b32 v26, v95, v3
	v_cmp_gt_u32_e32 vcc, v96, v5
	v_add_u32_e32 v100, 32, v89
	s_waitcnt lgkmcnt(1)
	v_add_u32_e32 v25, v2, v25
	s_waitcnt lgkmcnt(0)
	v_add_u32_e32 v26, v3, v26
	v_cndmask_b32_e32 v3, v26, v3, vcc
	v_cndmask_b32_e32 v2, v25, v2, vcc
	v_cmp_gt_u32_e32 vcc, 48, v89
	v_cndmask_b32_e64 v25, 0, 1, vcc
	v_lshlrev_b32_e32 v25, 4, v25
	v_add_lshl_u32 v97, v25, v80, 2
	ds_bpermute_b32 v25, v97, v2
	ds_bpermute_b32 v26, v97, v3
	v_cmp_gt_u32_e32 vcc, v98, v5
	s_waitcnt lgkmcnt(1)
	v_add_u32_e32 v25, v2, v25
	s_waitcnt lgkmcnt(0)
	v_add_u32_e32 v26, v3, v26
	v_cndmask_b32_e32 v3, v26, v3, vcc
	v_cndmask_b32_e32 v2, v25, v2, vcc
	v_cmp_gt_u32_e32 vcc, 32, v89
	v_cndmask_b32_e64 v25, 0, 1, vcc
	v_lshlrev_b32_e32 v25, 5, v25
	v_add_lshl_u32 v99, v25, v80, 2
	ds_bpermute_b32 v25, v99, v2
	ds_bpermute_b32 v26, v99, v3
	v_cmp_le_u32_e32 vcc, v100, v5
	s_waitcnt lgkmcnt(1)
	v_cndmask_b32_e32 v5, 0, v25, vcc
	s_waitcnt lgkmcnt(0)
	v_cndmask_b32_e32 v25, 0, v26, vcc
	v_add_u32_e32 v3, v3, v25
	v_add_u32_e32 v2, v2, v5
	v_mov_b32_e32 v25, 0
	s_branch .LBB1070_106
.LBB1070_105:                           ;   in Loop: Header=BB1070_106 Depth=1
	s_or_b64 exec, exec, s[14:15]
	v_cmp_eq_u16_sdwa s[14:15], v4, v88 src0_sel:BYTE_0 src1_sel:DWORD
	v_and_b32_e32 v5, s15, v7
	ds_bpermute_b32 v29, v90, v2
	ds_bpermute_b32 v101, v90, v3
	v_or_b32_e32 v5, 0x80000000, v5
	v_and_b32_e32 v28, s14, v6
	v_ffbl_b32_e32 v5, v5
	v_add_u32_e32 v5, 32, v5
	v_ffbl_b32_e32 v28, v28
	v_min_u32_e32 v5, v28, v5
	s_waitcnt lgkmcnt(1)
	v_add_u32_e32 v28, v29, v2
	s_waitcnt lgkmcnt(0)
	v_add_u32_e32 v29, v101, v3
	v_cmp_lt_u32_e32 vcc, v89, v5
	v_cndmask_b32_e32 v3, v3, v29, vcc
	v_cndmask_b32_e32 v2, v2, v28, vcc
	ds_bpermute_b32 v28, v91, v2
	ds_bpermute_b32 v29, v91, v3
	v_cmp_gt_u32_e32 vcc, v92, v5
	v_subrev_u32_e32 v24, 64, v24
	s_waitcnt lgkmcnt(1)
	v_add_u32_e32 v28, v2, v28
	s_waitcnt lgkmcnt(0)
	v_add_u32_e32 v29, v3, v29
	v_cndmask_b32_e32 v3, v29, v3, vcc
	v_cndmask_b32_e32 v2, v28, v2, vcc
	ds_bpermute_b32 v28, v93, v2
	ds_bpermute_b32 v29, v93, v3
	v_cmp_gt_u32_e32 vcc, v94, v5
	s_waitcnt lgkmcnt(1)
	v_add_u32_e32 v28, v2, v28
	s_waitcnt lgkmcnt(0)
	v_add_u32_e32 v29, v3, v29
	v_cndmask_b32_e32 v3, v29, v3, vcc
	v_cndmask_b32_e32 v2, v28, v2, vcc
	ds_bpermute_b32 v28, v95, v2
	ds_bpermute_b32 v29, v95, v3
	v_cmp_gt_u32_e32 vcc, v96, v5
	;; [unrolled: 9-line block ×3, first 2 shown]
	s_waitcnt lgkmcnt(1)
	v_add_u32_e32 v28, v2, v28
	s_waitcnt lgkmcnt(0)
	v_add_u32_e32 v29, v3, v29
	v_cndmask_b32_e32 v3, v29, v3, vcc
	v_cndmask_b32_e32 v2, v28, v2, vcc
	ds_bpermute_b32 v28, v99, v2
	ds_bpermute_b32 v29, v99, v3
	v_cmp_le_u32_e32 vcc, v100, v5
	s_waitcnt lgkmcnt(1)
	v_cndmask_b32_e32 v5, 0, v28, vcc
	s_waitcnt lgkmcnt(0)
	v_cndmask_b32_e32 v28, 0, v29, vcc
	v_add3_u32 v3, v28, v27, v3
	v_add3_u32 v2, v5, v26, v2
.LBB1070_106:                           ; =>This Loop Header: Depth=1
                                        ;     Child Loop BB1070_109 Depth 2
                                        ;       Child Loop BB1070_110 Depth 3
	v_cmp_ne_u16_sdwa s[14:15], v4, v88 src0_sel:BYTE_0 src1_sel:DWORD
	v_cndmask_b32_e64 v4, 0, 1, s[14:15]
	;;#ASMSTART
	;;#ASMEND
	v_cmp_ne_u32_e32 vcc, 0, v4
	s_cmp_lg_u64 vcc, exec
	v_pk_mov_b32 v[26:27], v[2:3], v[2:3] op_sel:[0,1]
	s_cbranch_scc1 .LBB1070_113
; %bb.107:                              ;   in Loop: Header=BB1070_106 Depth=1
	v_lshlrev_b64 v[2:3], 4, v[24:25]
	v_mov_b32_e32 v4, s13
	v_add_co_u32_e32 v28, vcc, s12, v2
	v_addc_co_u32_e32 v29, vcc, v4, v3, vcc
	;;#ASMSTART
	global_load_dwordx4 v[2:5], v[28:29] off glc	
s_waitcnt vmcnt(0)
	;;#ASMEND
	v_and_b32_e32 v5, 0xff, v3
	v_and_b32_e32 v101, 0xff00, v3
	v_or3_b32 v5, 0, v5, v101
	v_or3_b32 v2, v2, 0, 0
	v_and_b32_e32 v101, 0xff000000, v3
	v_and_b32_e32 v3, 0xff0000, v3
	v_or3_b32 v3, v5, v3, v101
	v_or3_b32 v2, v2, 0, 0
	v_cmp_eq_u16_sdwa s[16:17], v4, v25 src0_sel:BYTE_0 src1_sel:DWORD
	s_and_saveexec_b64 s[14:15], s[16:17]
	s_cbranch_execz .LBB1070_105
; %bb.108:                              ;   in Loop: Header=BB1070_106 Depth=1
	s_mov_b32 s7, 1
	s_mov_b64 s[16:17], 0
.LBB1070_109:                           ;   Parent Loop BB1070_106 Depth=1
                                        ; =>  This Loop Header: Depth=2
                                        ;       Child Loop BB1070_110 Depth 3
	s_max_u32 s19, s7, 1
.LBB1070_110:                           ;   Parent Loop BB1070_106 Depth=1
                                        ;     Parent Loop BB1070_109 Depth=2
                                        ; =>    This Inner Loop Header: Depth=3
	s_add_i32 s19, s19, -1
	s_cmp_eq_u32 s19, 0
	s_sleep 1
	s_cbranch_scc0 .LBB1070_110
; %bb.111:                              ;   in Loop: Header=BB1070_109 Depth=2
	s_cmp_lt_u32 s7, 32
	s_cselect_b64 s[20:21], -1, 0
	s_cmp_lg_u64 s[20:21], 0
	s_addc_u32 s7, s7, 0
	;;#ASMSTART
	global_load_dwordx4 v[2:5], v[28:29] off glc	
s_waitcnt vmcnt(0)
	;;#ASMEND
	v_cmp_ne_u16_sdwa s[20:21], v4, v25 src0_sel:BYTE_0 src1_sel:DWORD
	s_or_b64 s[16:17], s[20:21], s[16:17]
	s_andn2_b64 exec, exec, s[16:17]
	s_cbranch_execnz .LBB1070_109
; %bb.112:                              ;   in Loop: Header=BB1070_106 Depth=1
	s_or_b64 exec, exec, s[16:17]
	s_branch .LBB1070_105
.LBB1070_113:                           ;   in Loop: Header=BB1070_106 Depth=1
                                        ; implicit-def: $vgpr4
                                        ; implicit-def: $vgpr2_vgpr3
	s_cbranch_execz .LBB1070_106
; %bb.114:
	s_and_saveexec_b64 s[14:15], s[8:9]
	s_cbranch_execz .LBB1070_116
; %bb.115:
	s_add_i32 s6, s6, 64
	s_mov_b32 s7, 0
	v_add_u32_e32 v3, v27, v23
	s_lshl_b64 s[6:7], s[6:7], 4
	s_add_u32 s6, s12, s6
	v_and_b32_e32 v4, 0xff000000, v3
	v_and_b32_e32 v6, 0xff0000, v3
	s_addc_u32 s7, s13, s7
	v_or_b32_e32 v4, v6, v4
	v_and_b32_e32 v6, 0xff00, v3
	v_and_b32_e32 v3, 0xff, v3
	v_add_u32_e32 v2, v26, v22
	v_mov_b32_e32 v5, 0
	v_or3_b32 v3, v4, v6, v3
	v_mov_b32_e32 v4, 2
	v_pk_mov_b32 v[6:7], s[6:7], s[6:7] op_sel:[0,1]
	;;#ASMSTART
	global_store_dwordx4 v[6:7], v[2:5] off	
s_waitcnt vmcnt(0)
	;;#ASMEND
	s_movk_i32 s6, 0x3400
	v_add_u32_e64 v2, s6, 0
	ds_write2_b32 v2, v22, v23 offset1:2
	ds_write2_b32 v2, v26, v27 offset0:4 offset1:6
.LBB1070_116:
	s_or_b64 exec, exec, s[14:15]
	v_cmp_eq_u32_e32 vcc, 0, v0
	s_and_b64 exec, exec, vcc
	s_cbranch_execz .LBB1070_118
; %bb.117:
	v_mov_b32_e32 v2, 0
	ds_write_b64 v2, v[26:27] offset:24
.LBB1070_118:
	s_or_b64 exec, exec, s[10:11]
	v_mov_b32_e32 v2, 0
	s_waitcnt lgkmcnt(0)
	s_barrier
	ds_read_b64 v[6:7], v2 offset:24
	s_movk_i32 s6, 0x3400
	v_cndmask_b32_e64 v2, v87, v21, s[8:9]
	v_cndmask_b32_e64 v1, v1, v20, s[8:9]
	v_add_u32_e64 v4, s6, 0
	s_waitcnt lgkmcnt(0)
	v_add_u32_e32 v20, v6, v1
	v_add_u32_e32 v1, v7, v2
	s_barrier
	ds_read2_b32 v[2:3], v4 offset1:2
	ds_read2_b32 v[4:5], v4 offset0:4 offset1:6
	v_cmp_eq_u32_e32 vcc, 0, v0
	v_cndmask_b32_e32 v1, v1, v7, vcc
	v_cndmask_b32_e32 v20, v20, v6, vcc
	s_branch .LBB1070_129
.LBB1070_119:
                                        ; implicit-def: $vgpr1
                                        ; implicit-def: $vgpr4
                                        ; implicit-def: $vgpr2
                                        ; implicit-def: $vgpr20_vgpr21
	s_cbranch_execz .LBB1070_129
; %bb.120:
	s_nop 0
	v_mov_b32_dpp v1, v85 row_shr:1 row_mask:0xf bank_mask:0xf
	s_waitcnt lgkmcnt(0)
	v_mov_b32_dpp v2, v86 row_shr:1 row_mask:0xf bank_mask:0xf
	v_add_u32_e32 v1, v1, v85
	v_add_u32_e32 v2, v2, v86
	v_cndmask_b32_e64 v2, v2, v86, s[4:5]
	v_cndmask_b32_e64 v1, v1, v85, s[4:5]
	v_cmp_lt_u32_e32 vcc, 3, v84
	v_mov_b32_dpp v4, v2 row_shr:2 row_mask:0xf bank_mask:0xf
	v_mov_b32_dpp v3, v1 row_shr:2 row_mask:0xf bank_mask:0xf
	v_add_u32_e32 v3, v1, v3
	v_add_u32_e32 v4, v2, v4
	v_cndmask_b32_e64 v2, v2, v4, s[2:3]
	v_cndmask_b32_e64 v1, v1, v3, s[2:3]
	s_nop 0
	v_mov_b32_dpp v4, v2 row_shr:4 row_mask:0xf bank_mask:0xf
	v_mov_b32_dpp v3, v1 row_shr:4 row_mask:0xf bank_mask:0xf
	v_add_u32_e32 v3, v1, v3
	v_add_u32_e32 v4, v2, v4
	v_cndmask_b32_e32 v2, v2, v4, vcc
	v_cndmask_b32_e32 v1, v1, v3, vcc
	v_cmp_lt_u32_e32 vcc, 7, v84
	v_mov_b32_dpp v4, v2 row_shr:8 row_mask:0xf bank_mask:0xf
	v_mov_b32_dpp v3, v1 row_shr:8 row_mask:0xf bank_mask:0xf
	v_add_u32_e32 v3, v1, v3
	v_add_u32_e32 v4, v2, v4
	v_cndmask_b32_e32 v2, v2, v4, vcc
	v_cndmask_b32_e32 v1, v1, v3, vcc
	v_cmp_eq_u32_e32 vcc, 0, v83
	v_mov_b32_dpp v4, v2 row_bcast:15 row_mask:0xf bank_mask:0xf
	v_mov_b32_dpp v3, v1 row_bcast:15 row_mask:0xf bank_mask:0xf
	v_add_u32_e32 v3, v1, v3
	v_add_u32_e32 v4, v2, v4
	v_cndmask_b32_e32 v2, v4, v2, vcc
	v_cndmask_b32_e32 v1, v3, v1, vcc
	v_cmp_lt_u32_e32 vcc, 31, v80
	v_mov_b32_dpp v4, v2 row_bcast:31 row_mask:0xf bank_mask:0xf
	v_mov_b32_dpp v3, v1 row_bcast:31 row_mask:0xf bank_mask:0xf
	v_add_u32_e32 v4, v2, v4
	v_add_u32_e32 v5, v1, v3
	v_cndmask_b32_e32 v3, v2, v4, vcc
	v_cndmask_b32_e32 v2, v1, v5, vcc
	v_cmp_eq_u32_e32 vcc, v82, v0
	s_and_saveexec_b64 s[2:3], vcc
	s_cbranch_execz .LBB1070_122
; %bb.121:
	v_lshlrev_b32_e32 v1, 3, v81
	ds_write_b64 v1, v[2:3]
.LBB1070_122:
	s_or_b64 exec, exec, s[2:3]
	v_cmp_gt_u32_e32 vcc, 4, v0
	s_waitcnt lgkmcnt(0)
	s_barrier
	s_and_saveexec_b64 s[2:3], vcc
	s_cbranch_execz .LBB1070_124
; %bb.123:
	v_lshlrev_b32_e32 v1, 3, v0
	ds_read_b64 v[4:5], v1
	v_and_b32_e32 v6, 3, v80
	v_cmp_eq_u32_e32 vcc, 0, v6
	s_waitcnt lgkmcnt(0)
	v_mov_b32_dpp v7, v4 row_shr:1 row_mask:0xf bank_mask:0xf
	v_mov_b32_dpp v20, v5 row_shr:1 row_mask:0xf bank_mask:0xf
	v_add_u32_e32 v7, v7, v4
	v_add_u32_e32 v20, v20, v5
	v_cndmask_b32_e32 v5, v20, v5, vcc
	v_cndmask_b32_e32 v4, v7, v4, vcc
	v_cmp_lt_u32_e32 vcc, 1, v6
	v_mov_b32_dpp v20, v5 row_shr:2 row_mask:0xf bank_mask:0xf
	v_mov_b32_dpp v7, v4 row_shr:2 row_mask:0xf bank_mask:0xf
	v_cndmask_b32_e32 v6, 0, v7, vcc
	v_cndmask_b32_e32 v7, 0, v20, vcc
	v_add_u32_e32 v5, v7, v5
	v_add_u32_e32 v4, v6, v4
	ds_write_b64 v1, v[4:5]
.LBB1070_124:
	s_or_b64 exec, exec, s[2:3]
	v_cmp_lt_u32_e32 vcc, 63, v0
	v_mov_b32_e32 v4, 0
	v_mov_b32_e32 v6, 0
	;; [unrolled: 1-line block ×3, first 2 shown]
	s_waitcnt lgkmcnt(0)
	s_barrier
	s_and_saveexec_b64 s[2:3], vcc
	s_cbranch_execz .LBB1070_126
; %bb.125:
	v_lshl_add_u32 v1, v81, 3, -8
	ds_read_b64 v[6:7], v1
.LBB1070_126:
	s_or_b64 exec, exec, s[2:3]
	s_waitcnt lgkmcnt(0)
	v_add_u32_e32 v5, v7, v3
	v_add_u32_e32 v1, v6, v2
	v_add_u32_e32 v2, -1, v80
	v_and_b32_e32 v3, 64, v80
	v_cmp_lt_i32_e32 vcc, v2, v3
	v_cndmask_b32_e32 v2, v2, v80, vcc
	v_lshlrev_b32_e32 v20, 2, v2
	ds_read_b64 v[2:3], v4 offset:24
	ds_bpermute_b32 v1, v20, v1
	ds_bpermute_b32 v20, v20, v5
	v_cmp_eq_u32_e32 vcc, 0, v0
	s_waitcnt lgkmcnt(2)
	v_readfirstlane_b32 s4, v3
	s_and_saveexec_b64 s[2:3], vcc
	s_cbranch_execz .LBB1070_128
; %bb.127:
	s_add_u32 s6, s12, 0x400
	s_mov_b32 s8, 0
	s_addc_u32 s7, s13, 0
	s_and_b32 s9, s4, 0xff000000
	s_and_b32 s11, s4, 0xff0000
	s_mov_b32 s10, s8
	s_or_b64 s[10:11], s[10:11], s[8:9]
	s_and_b32 s9, s4, 0xff00
	s_or_b64 s[10:11], s[10:11], s[8:9]
	s_and_b32 s9, s4, 0xff
	s_or_b64 s[8:9], s[10:11], s[8:9]
	v_mov_b32_e32 v3, s9
	v_mov_b32_e32 v4, 2
	;; [unrolled: 1-line block ×3, first 2 shown]
	v_pk_mov_b32 v[22:23], s[6:7], s[6:7] op_sel:[0,1]
	;;#ASMSTART
	global_store_dwordx4 v[22:23], v[2:5] off	
s_waitcnt vmcnt(0)
	;;#ASMEND
.LBB1070_128:
	s_or_b64 exec, exec, s[2:3]
	v_cmp_eq_u32_e64 s[2:3], 0, v80
	s_waitcnt lgkmcnt(1)
	v_cndmask_b32_e64 v3, v1, v6, s[2:3]
	s_waitcnt lgkmcnt(0)
	v_cndmask_b32_e64 v1, v20, v7, s[2:3]
	v_mov_b32_e32 v4, 0
	v_cndmask_b32_e64 v1, v1, 0, vcc
	v_cndmask_b32_e64 v20, v3, 0, vcc
	s_barrier
	v_mov_b32_e32 v3, s4
	v_mov_b32_e32 v5, 0
.LBB1070_129:
	v_add_u32_e32 v24, v1, v63
	v_add_u32_e32 v25, v24, v74
	;; [unrolled: 1-line block ×14, first 2 shown]
	v_mov_b32_e32 v7, s49
	s_waitcnt lgkmcnt(0)
	v_add_co_u32_e32 v6, vcc, s48, v4
	v_add_u32_e32 v64, v58, v68
	v_add_u32_e32 v68, v66, v71
	v_addc_co_u32_e32 v7, vcc, 0, v7, vcc
	v_add_u32_e32 v69, v68, v78
	v_mov_b32_e32 v22, s51
	v_sub_co_u32_e32 v23, vcc, s50, v2
	v_add_u32_e32 v71, v69, v73
	v_subbrev_co_u32_e32 v73, vcc, 0, v22, vcc
	v_add_co_u32_e32 v22, vcc, v23, v5
	v_addc_co_u32_e32 v23, vcc, 0, v73, vcc
	v_lshlrev_b32_e32 v73, 1, v2
	v_sub_u32_e32 v1, v1, v5
	v_add_u32_e32 v74, v73, v3
	v_sub_u32_e32 v20, v20, v4
	v_add_u32_e32 v1, v1, v2
	v_add_u32_e32 v31, v74, v31
	v_and_b32_e32 v33, 1, v33
	v_add_u32_e32 v74, v20, v1
	v_and_b32_e32 v32, 1, v32
	v_sub_u32_e32 v74, v31, v74
	v_cmp_eq_u32_e32 vcc, 1, v33
	v_cndmask_b32_e32 v1, v74, v1, vcc
	v_cmp_eq_u32_e32 vcc, 1, v32
	v_cndmask_b32_e32 v1, v1, v20, vcc
	v_lshlrev_b32_e32 v1, 2, v1
	v_sub_u32_e32 v20, v24, v5
	ds_write_b32 v1, v18
	v_sub_u32_e32 v1, v21, v4
	v_add_u32_e32 v20, v20, v2
	v_add_u32_e32 v24, v20, v1
	v_and_b32_e32 v21, 1, v35
	v_sub_u32_e32 v24, v31, v24
	v_and_b32_e32 v18, 1, v34
	v_add_u32_e32 v24, 1, v24
	v_cmp_eq_u32_e32 vcc, 1, v21
	v_cndmask_b32_e32 v20, v24, v20, vcc
	v_cmp_eq_u32_e32 vcc, 1, v18
	v_cndmask_b32_e32 v1, v20, v1, vcc
	v_lshlrev_b32_e32 v1, 2, v1
	ds_write_b32 v1, v19
	v_sub_u32_e32 v19, v25, v5
	v_sub_u32_e32 v1, v26, v4
	v_add_u32_e32 v19, v19, v2
	v_add_u32_e32 v21, v19, v1
	v_and_b32_e32 v20, 1, v37
	v_sub_u32_e32 v21, v31, v21
	v_and_b32_e32 v18, 1, v36
	v_add_u32_e32 v21, 2, v21
	v_cmp_eq_u32_e32 vcc, 1, v20
	v_cndmask_b32_e32 v19, v21, v19, vcc
	v_cmp_eq_u32_e32 vcc, 1, v18
	v_cndmask_b32_e32 v1, v19, v1, vcc
	v_lshlrev_b32_e32 v1, 2, v1
	v_sub_u32_e32 v18, v28, v5
	ds_write_b32 v1, v16
	v_sub_u32_e32 v1, v27, v4
	v_add_u32_e32 v18, v18, v2
	v_add_u32_e32 v20, v1, v18
	v_and_b32_e32 v19, 1, v38
	v_sub_u32_e32 v20, v31, v20
	v_and_b32_e32 v16, 1, v39
	v_add_u32_e32 v20, 3, v20
	v_cmp_eq_u32_e32 vcc, 1, v19
	v_cndmask_b32_e32 v18, v20, v18, vcc
	v_cmp_eq_u32_e32 vcc, 1, v16
	v_cndmask_b32_e32 v1, v18, v1, vcc
	v_lshlrev_b32_e32 v1, 2, v1
	ds_write_b32 v1, v17
	v_sub_u32_e32 v17, v29, v5
	v_sub_u32_e32 v1, v56, v4
	v_add_u32_e32 v17, v17, v2
	v_add_u32_e32 v19, v1, v17
	v_and_b32_e32 v18, 1, v40
	v_sub_u32_e32 v19, v31, v19
	v_and_b32_e32 v16, 1, v41
	v_add_u32_e32 v19, 4, v19
	;; [unrolled: 28-line block ×3, first 2 shown]
	v_cmp_eq_u32_e32 vcc, 1, v16
	v_cndmask_b32_e32 v15, v17, v15, vcc
	v_cmp_eq_u32_e32 vcc, 1, v14
	v_cndmask_b32_e32 v1, v15, v1, vcc
	v_lshlrev_b32_e32 v1, 2, v1
	v_sub_u32_e32 v14, v65, v5
	ds_write_b32 v1, v12
	v_sub_u32_e32 v1, v64, v4
	v_add_u32_e32 v14, v14, v2
	v_add_u32_e32 v16, v1, v14
	v_and_b32_e32 v15, 1, v46
	v_sub_u32_e32 v16, v31, v16
	v_and_b32_e32 v12, 1, v47
	v_add_u32_e32 v16, 7, v16
	v_cmp_eq_u32_e32 vcc, 1, v15
	v_cndmask_b32_e32 v14, v16, v14, vcc
	v_cmp_eq_u32_e32 vcc, 1, v12
	v_cndmask_b32_e32 v1, v14, v1, vcc
	v_lshlrev_b32_e32 v1, 2, v1
	v_add_u32_e32 v59, v64, v59
	ds_write_b32 v1, v13
	v_sub_u32_e32 v13, v66, v5
	v_sub_u32_e32 v1, v59, v4
	v_add_u32_e32 v13, v13, v2
	v_add_u32_e32 v15, v1, v13
	v_and_b32_e32 v14, 1, v48
	v_sub_u32_e32 v15, v31, v15
	v_and_b32_e32 v12, 1, v49
	v_add_u32_e32 v15, 8, v15
	v_cmp_eq_u32_e32 vcc, 1, v14
	v_cndmask_b32_e32 v13, v15, v13, vcc
	v_cmp_eq_u32_e32 vcc, 1, v12
	v_cndmask_b32_e32 v1, v13, v1, vcc
	v_add_u32_e32 v67, v59, v70
	v_lshlrev_b32_e32 v1, 2, v1
	v_sub_u32_e32 v12, v68, v5
	ds_write_b32 v1, v10
	v_sub_u32_e32 v1, v67, v4
	v_add_u32_e32 v12, v12, v2
	v_add_u32_e32 v14, v1, v12
	v_and_b32_e32 v13, 1, v50
	v_sub_u32_e32 v14, v31, v14
	v_and_b32_e32 v10, 1, v51
	v_add_u32_e32 v14, 9, v14
	v_cmp_eq_u32_e32 vcc, 1, v13
	v_cndmask_b32_e32 v12, v14, v12, vcc
	v_cmp_eq_u32_e32 vcc, 1, v10
	v_cndmask_b32_e32 v1, v12, v1, vcc
	v_lshlrev_b32_e32 v1, 2, v1
	v_add_u32_e32 v60, v67, v60
	ds_write_b32 v1, v11
	v_sub_u32_e32 v11, v69, v5
	v_sub_u32_e32 v1, v60, v4
	v_add_u32_e32 v11, v11, v2
	v_add_u32_e32 v13, v1, v11
	v_and_b32_e32 v12, 1, v52
	v_sub_u32_e32 v13, v31, v13
	v_and_b32_e32 v10, 1, v53
	v_add_u32_e32 v13, 10, v13
	v_cmp_eq_u32_e32 vcc, 1, v12
	v_cndmask_b32_e32 v11, v13, v11, vcc
	v_cmp_eq_u32_e32 vcc, 1, v10
	v_cndmask_b32_e32 v1, v11, v1, vcc
	v_add_u32_e32 v70, v60, v72
	v_lshlrev_b32_e32 v1, 2, v1
	v_sub_u32_e32 v10, v71, v5
	ds_write_b32 v1, v8
	v_sub_u32_e32 v1, v70, v4
	v_add_u32_e32 v10, v10, v2
	v_add_u32_e32 v12, v1, v10
	v_and_b32_e32 v11, 1, v54
	v_sub_u32_e32 v12, v31, v12
	v_and_b32_e32 v8, 1, v55
	v_add_u32_e32 v12, 11, v12
	v_cmp_eq_u32_e32 vcc, 1, v11
	v_cndmask_b32_e32 v10, v12, v10, vcc
	v_cmp_eq_u32_e32 vcc, 1, v8
	v_cndmask_b32_e32 v1, v10, v1, vcc
	v_add_u32_e32 v72, v71, v79
	v_add_u32_e32 v61, v70, v61
	v_lshlrev_b32_e32 v1, 2, v1
	ds_write_b32 v1, v9
	v_sub_u32_e32 v1, v61, v4
	v_sub_u32_e32 v4, v72, v5
	v_add_u32_e32 v4, v4, v2
	v_add_u32_e32 v8, v1, v4
	v_sub_u32_e32 v8, v31, v8
	v_add_u32_e32 v8, 12, v8
	v_cndmask_b32_e64 v4, v8, v4, s[58:59]
	v_cndmask_b32_e64 v1, v4, v1, s[46:47]
	v_lshlrev_b32_e32 v1, 2, v1
	ds_write_b32 v1, v30
	v_add_co_u32_e32 v1, vcc, v3, v73
	v_addc_co_u32_e64 v4, s[2:3], 0, 0, vcc
	v_add_co_u32_e32 v1, vcc, v1, v22
	v_addc_co_u32_e32 v4, vcc, v4, v23, vcc
	s_add_u32 s4, s56, s33
	v_add_co_u32_e32 v1, vcc, v1, v6
	s_addc_u32 s5, s57, 0
	v_addc_co_u32_e32 v4, vcc, v4, v7, vcc
	v_mov_b32_e32 v8, s5
	v_sub_co_u32_e32 v1, vcc, s4, v1
	v_subb_co_u32_e32 v4, vcc, v8, v4, vcc
	v_lshlrev_b64 v[8:9], 2, v[22:23]
	v_mov_b32_e32 v10, s55
	v_add_co_u32_e32 v8, vcc, s54, v8
	v_addc_co_u32_e32 v9, vcc, v10, v9, vcc
	v_lshlrev_b64 v[10:11], 2, v[6:7]
	v_mov_b32_e32 v13, s53
	v_add_co_u32_e32 v10, vcc, s52, v10
	s_add_u32 s6, s34, -4
	v_addc_co_u32_e32 v11, vcc, v13, v11, vcc
	s_addc_u32 s7, s35, -1
	v_add_u32_e32 v12, v2, v3
	s_and_b64 vcc, exec, s[0:1]
	s_mov_b64 s[0:1], -1
	s_waitcnt lgkmcnt(0)
	s_barrier
	s_cbranch_vccz .LBB1070_133
; %bb.130:
	s_and_b64 vcc, exec, s[0:1]
	s_cbranch_vccnz .LBB1070_238
.LBB1070_131:
	v_cmp_eq_u32_e32 vcc, 0, v0
	s_and_b64 s[0:1], vcc, s[30:31]
	s_and_saveexec_b64 s[2:3], s[0:1]
	s_cbranch_execnz .LBB1070_356
.LBB1070_132:
	s_endpgm
.LBB1070_133:
	v_cmp_le_u32_e32 vcc, v2, v0
	s_and_saveexec_b64 s[0:1], vcc
	s_xor_b64 s[0:1], exec, s[0:1]
	s_cbranch_execz .LBB1070_139
; %bb.134:
	v_cmp_le_u32_e32 vcc, v12, v0
	s_and_saveexec_b64 s[2:3], vcc
	s_xor_b64 s[2:3], exec, s[2:3]
	s_cbranch_execz .LBB1070_136
; %bb.135:
	v_lshlrev_b32_e32 v13, 2, v0
	v_add_co_u32_e32 v14, vcc, v1, v0
	ds_read_b32 v13, v13
	v_addc_co_u32_e32 v15, vcc, 0, v4, vcc
	v_lshlrev_b64 v[14:15], 2, v[14:15]
	v_mov_b32_e32 v16, s35
	v_sub_co_u32_e32 v14, vcc, s34, v14
	v_subb_co_u32_e32 v15, vcc, v16, v15, vcc
	s_waitcnt lgkmcnt(0)
	global_store_dword v[14:15], v13, off offset:-4
.LBB1070_136:
	s_andn2_saveexec_b64 s[2:3], s[2:3]
	s_cbranch_execz .LBB1070_138
; %bb.137:
	v_lshlrev_b32_e32 v13, 2, v0
	ds_read_b32 v14, v13
	v_readfirstlane_b32 s4, v8
	v_readfirstlane_b32 s5, v9
	s_waitcnt lgkmcnt(0)
	s_nop 3
	global_store_dword v13, v14, s[4:5]
.LBB1070_138:
	s_or_b64 exec, exec, s[2:3]
.LBB1070_139:
	s_andn2_saveexec_b64 s[0:1], s[0:1]
	s_cbranch_execz .LBB1070_141
; %bb.140:
	v_lshlrev_b32_e32 v13, 2, v0
	ds_read_b32 v14, v13
	v_readfirstlane_b32 s2, v10
	v_readfirstlane_b32 s3, v11
	s_waitcnt lgkmcnt(0)
	s_nop 3
	global_store_dword v13, v14, s[2:3]
.LBB1070_141:
	s_or_b64 exec, exec, s[0:1]
	v_or_b32_e32 v13, 0x100, v0
	v_cmp_le_u32_e32 vcc, v2, v13
	s_and_saveexec_b64 s[0:1], vcc
	s_xor_b64 s[0:1], exec, s[0:1]
	s_cbranch_execz .LBB1070_147
; %bb.142:
	v_cmp_le_u32_e32 vcc, v12, v13
	s_and_saveexec_b64 s[2:3], vcc
	s_xor_b64 s[2:3], exec, s[2:3]
	s_cbranch_execz .LBB1070_144
; %bb.143:
	v_lshlrev_b32_e32 v13, 2, v0
	ds_read_b32 v13, v13 offset:1024
	v_add_co_u32_e32 v14, vcc, v1, v0
	v_addc_co_u32_e32 v15, vcc, 0, v4, vcc
	v_lshlrev_b64 v[14:15], 2, v[14:15]
	v_mov_b32_e32 v16, s7
	v_sub_co_u32_e32 v14, vcc, s6, v14
	v_subb_co_u32_e32 v15, vcc, v16, v15, vcc
	s_waitcnt lgkmcnt(0)
	global_store_dword v[14:15], v13, off offset:-1024
.LBB1070_144:
	s_andn2_saveexec_b64 s[2:3], s[2:3]
	s_cbranch_execz .LBB1070_146
; %bb.145:
	v_lshlrev_b32_e32 v13, 2, v0
	ds_read_b32 v14, v13 offset:1024
	v_readfirstlane_b32 s4, v8
	v_readfirstlane_b32 s5, v9
	s_waitcnt lgkmcnt(0)
	s_nop 3
	global_store_dword v13, v14, s[4:5] offset:1024
.LBB1070_146:
	s_or_b64 exec, exec, s[2:3]
.LBB1070_147:
	s_andn2_saveexec_b64 s[0:1], s[0:1]
	s_cbranch_execz .LBB1070_149
; %bb.148:
	v_lshlrev_b32_e32 v13, 2, v0
	ds_read_b32 v14, v13 offset:1024
	v_readfirstlane_b32 s2, v10
	v_readfirstlane_b32 s3, v11
	s_waitcnt lgkmcnt(0)
	s_nop 3
	global_store_dword v13, v14, s[2:3] offset:1024
.LBB1070_149:
	s_or_b64 exec, exec, s[0:1]
	v_or_b32_e32 v13, 0x200, v0
	v_cmp_le_u32_e32 vcc, v2, v13
	s_and_saveexec_b64 s[0:1], vcc
	s_xor_b64 s[0:1], exec, s[0:1]
	s_cbranch_execz .LBB1070_155
; %bb.150:
	v_cmp_le_u32_e32 vcc, v12, v13
	s_and_saveexec_b64 s[2:3], vcc
	s_xor_b64 s[2:3], exec, s[2:3]
	s_cbranch_execz .LBB1070_152
; %bb.151:
	v_lshlrev_b32_e32 v13, 2, v0
	ds_read_b32 v13, v13 offset:2048
	v_add_co_u32_e32 v14, vcc, v1, v0
	v_addc_co_u32_e32 v15, vcc, 0, v4, vcc
	v_lshlrev_b64 v[14:15], 2, v[14:15]
	v_mov_b32_e32 v16, s7
	v_sub_co_u32_e32 v14, vcc, s6, v14
	v_subb_co_u32_e32 v15, vcc, v16, v15, vcc
	s_waitcnt lgkmcnt(0)
	global_store_dword v[14:15], v13, off offset:-2048
.LBB1070_152:
	s_andn2_saveexec_b64 s[2:3], s[2:3]
	s_cbranch_execz .LBB1070_154
; %bb.153:
	v_lshlrev_b32_e32 v13, 2, v0
	ds_read_b32 v14, v13 offset:2048
	v_readfirstlane_b32 s4, v8
	v_readfirstlane_b32 s5, v9
	s_waitcnt lgkmcnt(0)
	s_nop 3
	global_store_dword v13, v14, s[4:5] offset:2048
.LBB1070_154:
	s_or_b64 exec, exec, s[2:3]
.LBB1070_155:
	s_andn2_saveexec_b64 s[0:1], s[0:1]
	s_cbranch_execz .LBB1070_157
; %bb.156:
	v_lshlrev_b32_e32 v13, 2, v0
	ds_read_b32 v14, v13 offset:2048
	v_readfirstlane_b32 s2, v10
	v_readfirstlane_b32 s3, v11
	s_waitcnt lgkmcnt(0)
	s_nop 3
	global_store_dword v13, v14, s[2:3] offset:2048
.LBB1070_157:
	;; [unrolled: 47-line block ×3, first 2 shown]
	s_or_b64 exec, exec, s[0:1]
	v_or_b32_e32 v13, 0x400, v0
	v_cmp_le_u32_e32 vcc, v2, v13
	s_and_saveexec_b64 s[0:1], vcc
	s_xor_b64 s[0:1], exec, s[0:1]
	s_cbranch_execz .LBB1070_171
; %bb.166:
	v_cmp_le_u32_e32 vcc, v12, v13
	s_and_saveexec_b64 s[2:3], vcc
	s_xor_b64 s[2:3], exec, s[2:3]
	s_cbranch_execz .LBB1070_168
; %bb.167:
	v_lshlrev_b32_e32 v13, 2, v0
	ds_read_b32 v13, v13 offset:4096
	v_add_co_u32_e32 v14, vcc, v1, v0
	v_addc_co_u32_e32 v15, vcc, 0, v4, vcc
	v_lshlrev_b64 v[14:15], 2, v[14:15]
	v_mov_b32_e32 v16, s7
	v_sub_co_u32_e32 v14, vcc, s6, v14
	v_subb_co_u32_e32 v15, vcc, v16, v15, vcc
	s_waitcnt lgkmcnt(0)
	global_store_dword v[14:15], v13, off offset:-4096
                                        ; implicit-def: $vgpr13
.LBB1070_168:
	s_andn2_saveexec_b64 s[2:3], s[2:3]
	s_cbranch_execz .LBB1070_170
; %bb.169:
	v_lshlrev_b32_e32 v14, 2, v0
	ds_read_b32 v14, v14 offset:4096
	v_lshlrev_b32_e32 v13, 2, v13
	v_readfirstlane_b32 s4, v8
	v_readfirstlane_b32 s5, v9
	s_waitcnt lgkmcnt(0)
	s_nop 3
	global_store_dword v13, v14, s[4:5]
.LBB1070_170:
	s_or_b64 exec, exec, s[2:3]
                                        ; implicit-def: $vgpr13
.LBB1070_171:
	s_andn2_saveexec_b64 s[0:1], s[0:1]
	s_cbranch_execz .LBB1070_173
; %bb.172:
	v_lshlrev_b32_e32 v14, 2, v0
	ds_read_b32 v14, v14 offset:4096
	v_lshlrev_b32_e32 v13, 2, v13
	v_readfirstlane_b32 s2, v10
	v_readfirstlane_b32 s3, v11
	s_waitcnt lgkmcnt(0)
	s_nop 3
	global_store_dword v13, v14, s[2:3]
.LBB1070_173:
	s_or_b64 exec, exec, s[0:1]
	v_or_b32_e32 v13, 0x500, v0
	v_cmp_le_u32_e32 vcc, v2, v13
	s_and_saveexec_b64 s[0:1], vcc
	s_xor_b64 s[0:1], exec, s[0:1]
	s_cbranch_execz .LBB1070_179
; %bb.174:
	v_cmp_le_u32_e32 vcc, v12, v13
	s_and_saveexec_b64 s[2:3], vcc
	s_xor_b64 s[2:3], exec, s[2:3]
	s_cbranch_execz .LBB1070_176
; %bb.175:
	v_add_co_u32_e32 v14, vcc, v1, v13
	v_lshlrev_b32_e32 v13, 2, v0
	ds_read_b32 v13, v13 offset:5120
	v_addc_co_u32_e32 v15, vcc, 0, v4, vcc
	v_lshlrev_b64 v[14:15], 2, v[14:15]
	v_mov_b32_e32 v16, s7
	v_sub_co_u32_e32 v14, vcc, s6, v14
	v_subb_co_u32_e32 v15, vcc, v16, v15, vcc
	s_waitcnt lgkmcnt(0)
	global_store_dword v[14:15], v13, off
                                        ; implicit-def: $vgpr13
.LBB1070_176:
	s_andn2_saveexec_b64 s[2:3], s[2:3]
	s_cbranch_execz .LBB1070_178
; %bb.177:
	v_lshlrev_b32_e32 v14, 2, v0
	ds_read_b32 v14, v14 offset:5120
	v_lshlrev_b32_e32 v13, 2, v13
	v_readfirstlane_b32 s4, v8
	v_readfirstlane_b32 s5, v9
	s_waitcnt lgkmcnt(0)
	s_nop 3
	global_store_dword v13, v14, s[4:5]
.LBB1070_178:
	s_or_b64 exec, exec, s[2:3]
                                        ; implicit-def: $vgpr13
.LBB1070_179:
	s_andn2_saveexec_b64 s[0:1], s[0:1]
	s_cbranch_execz .LBB1070_181
; %bb.180:
	v_lshlrev_b32_e32 v14, 2, v0
	ds_read_b32 v14, v14 offset:5120
	v_lshlrev_b32_e32 v13, 2, v13
	v_readfirstlane_b32 s2, v10
	v_readfirstlane_b32 s3, v11
	s_waitcnt lgkmcnt(0)
	s_nop 3
	global_store_dword v13, v14, s[2:3]
.LBB1070_181:
	s_or_b64 exec, exec, s[0:1]
	v_or_b32_e32 v13, 0x600, v0
	v_cmp_le_u32_e32 vcc, v2, v13
	s_and_saveexec_b64 s[0:1], vcc
	s_xor_b64 s[0:1], exec, s[0:1]
	s_cbranch_execz .LBB1070_187
; %bb.182:
	v_cmp_le_u32_e32 vcc, v12, v13
	s_and_saveexec_b64 s[2:3], vcc
	s_xor_b64 s[2:3], exec, s[2:3]
	s_cbranch_execz .LBB1070_184
; %bb.183:
	v_add_co_u32_e32 v14, vcc, v1, v13
	v_lshlrev_b32_e32 v13, 2, v0
	ds_read_b32 v13, v13 offset:6144
	v_addc_co_u32_e32 v15, vcc, 0, v4, vcc
	v_lshlrev_b64 v[14:15], 2, v[14:15]
	v_mov_b32_e32 v16, s7
	v_sub_co_u32_e32 v14, vcc, s6, v14
	v_subb_co_u32_e32 v15, vcc, v16, v15, vcc
	s_waitcnt lgkmcnt(0)
	global_store_dword v[14:15], v13, off
                                        ; implicit-def: $vgpr13
.LBB1070_184:
	s_andn2_saveexec_b64 s[2:3], s[2:3]
	s_cbranch_execz .LBB1070_186
; %bb.185:
	v_lshlrev_b32_e32 v14, 2, v0
	ds_read_b32 v14, v14 offset:6144
	v_lshlrev_b32_e32 v13, 2, v13
	v_readfirstlane_b32 s4, v8
	v_readfirstlane_b32 s5, v9
	s_waitcnt lgkmcnt(0)
	s_nop 3
	global_store_dword v13, v14, s[4:5]
.LBB1070_186:
	s_or_b64 exec, exec, s[2:3]
                                        ; implicit-def: $vgpr13
.LBB1070_187:
	;; [unrolled: 51-line block ×8, first 2 shown]
	s_andn2_saveexec_b64 s[0:1], s[0:1]
	s_cbranch_execz .LBB1070_237
; %bb.236:
	v_lshlrev_b32_e32 v14, 2, v0
	ds_read_b32 v14, v14 offset:12288
	v_lshlrev_b32_e32 v13, 2, v13
	v_readfirstlane_b32 s2, v10
	v_readfirstlane_b32 s3, v11
	s_waitcnt lgkmcnt(0)
	s_nop 3
	global_store_dword v13, v14, s[2:3]
.LBB1070_237:
	s_or_b64 exec, exec, s[0:1]
	s_branch .LBB1070_131
.LBB1070_238:
	v_cmp_gt_u32_e32 vcc, s18, v0
	s_and_saveexec_b64 s[0:1], vcc
	s_cbranch_execz .LBB1070_247
; %bb.239:
	v_cmp_le_u32_e32 vcc, v2, v0
	s_and_saveexec_b64 s[2:3], vcc
	s_xor_b64 s[2:3], exec, s[2:3]
	s_cbranch_execz .LBB1070_245
; %bb.240:
	v_cmp_le_u32_e32 vcc, v12, v0
	s_and_saveexec_b64 s[4:5], vcc
	s_xor_b64 s[4:5], exec, s[4:5]
	s_cbranch_execz .LBB1070_242
; %bb.241:
	v_lshlrev_b32_e32 v13, 2, v0
	v_add_co_u32_e32 v14, vcc, v1, v0
	ds_read_b32 v13, v13
	v_addc_co_u32_e32 v15, vcc, 0, v4, vcc
	v_lshlrev_b64 v[14:15], 2, v[14:15]
	v_mov_b32_e32 v16, s35
	v_sub_co_u32_e32 v14, vcc, s34, v14
	v_subb_co_u32_e32 v15, vcc, v16, v15, vcc
	s_waitcnt lgkmcnt(0)
	global_store_dword v[14:15], v13, off offset:-4
.LBB1070_242:
	s_andn2_saveexec_b64 s[4:5], s[4:5]
	s_cbranch_execz .LBB1070_244
; %bb.243:
	v_lshlrev_b32_e32 v13, 2, v0
	ds_read_b32 v14, v13
	v_readfirstlane_b32 s8, v8
	v_readfirstlane_b32 s9, v9
	s_waitcnt lgkmcnt(0)
	s_nop 3
	global_store_dword v13, v14, s[8:9]
.LBB1070_244:
	s_or_b64 exec, exec, s[4:5]
.LBB1070_245:
	s_andn2_saveexec_b64 s[2:3], s[2:3]
	s_cbranch_execz .LBB1070_247
; %bb.246:
	v_lshlrev_b32_e32 v13, 2, v0
	ds_read_b32 v14, v13
	v_readfirstlane_b32 s2, v10
	v_readfirstlane_b32 s3, v11
	s_waitcnt lgkmcnt(0)
	s_nop 3
	global_store_dword v13, v14, s[2:3]
.LBB1070_247:
	s_or_b64 exec, exec, s[0:1]
	v_or_b32_e32 v13, 0x100, v0
	v_cmp_gt_u32_e32 vcc, s18, v13
	s_and_saveexec_b64 s[0:1], vcc
	s_cbranch_execz .LBB1070_256
; %bb.248:
	v_cmp_le_u32_e32 vcc, v2, v13
	s_and_saveexec_b64 s[2:3], vcc
	s_xor_b64 s[2:3], exec, s[2:3]
	s_cbranch_execz .LBB1070_254
; %bb.249:
	v_cmp_le_u32_e32 vcc, v12, v13
	s_and_saveexec_b64 s[4:5], vcc
	s_xor_b64 s[4:5], exec, s[4:5]
	s_cbranch_execz .LBB1070_251
; %bb.250:
	v_lshlrev_b32_e32 v13, 2, v0
	ds_read_b32 v13, v13 offset:1024
	v_add_co_u32_e32 v14, vcc, v1, v0
	v_addc_co_u32_e32 v15, vcc, 0, v4, vcc
	v_lshlrev_b64 v[14:15], 2, v[14:15]
	v_mov_b32_e32 v16, s7
	v_sub_co_u32_e32 v14, vcc, s6, v14
	v_subb_co_u32_e32 v15, vcc, v16, v15, vcc
	s_waitcnt lgkmcnt(0)
	global_store_dword v[14:15], v13, off offset:-1024
.LBB1070_251:
	s_andn2_saveexec_b64 s[4:5], s[4:5]
	s_cbranch_execz .LBB1070_253
; %bb.252:
	v_lshlrev_b32_e32 v13, 2, v0
	ds_read_b32 v14, v13 offset:1024
	v_readfirstlane_b32 s8, v8
	v_readfirstlane_b32 s9, v9
	s_waitcnt lgkmcnt(0)
	s_nop 3
	global_store_dword v13, v14, s[8:9] offset:1024
.LBB1070_253:
	s_or_b64 exec, exec, s[4:5]
.LBB1070_254:
	s_andn2_saveexec_b64 s[2:3], s[2:3]
	s_cbranch_execz .LBB1070_256
; %bb.255:
	v_lshlrev_b32_e32 v13, 2, v0
	ds_read_b32 v14, v13 offset:1024
	v_readfirstlane_b32 s2, v10
	v_readfirstlane_b32 s3, v11
	s_waitcnt lgkmcnt(0)
	s_nop 3
	global_store_dword v13, v14, s[2:3] offset:1024
.LBB1070_256:
	s_or_b64 exec, exec, s[0:1]
	v_or_b32_e32 v13, 0x200, v0
	v_cmp_gt_u32_e32 vcc, s18, v13
	s_and_saveexec_b64 s[0:1], vcc
	s_cbranch_execz .LBB1070_265
; %bb.257:
	v_cmp_le_u32_e32 vcc, v2, v13
	s_and_saveexec_b64 s[2:3], vcc
	s_xor_b64 s[2:3], exec, s[2:3]
	s_cbranch_execz .LBB1070_263
; %bb.258:
	v_cmp_le_u32_e32 vcc, v12, v13
	s_and_saveexec_b64 s[4:5], vcc
	s_xor_b64 s[4:5], exec, s[4:5]
	s_cbranch_execz .LBB1070_260
; %bb.259:
	v_lshlrev_b32_e32 v13, 2, v0
	ds_read_b32 v13, v13 offset:2048
	v_add_co_u32_e32 v14, vcc, v1, v0
	v_addc_co_u32_e32 v15, vcc, 0, v4, vcc
	v_lshlrev_b64 v[14:15], 2, v[14:15]
	v_mov_b32_e32 v16, s7
	v_sub_co_u32_e32 v14, vcc, s6, v14
	v_subb_co_u32_e32 v15, vcc, v16, v15, vcc
	s_waitcnt lgkmcnt(0)
	global_store_dword v[14:15], v13, off offset:-2048
.LBB1070_260:
	s_andn2_saveexec_b64 s[4:5], s[4:5]
	s_cbranch_execz .LBB1070_262
; %bb.261:
	v_lshlrev_b32_e32 v13, 2, v0
	ds_read_b32 v14, v13 offset:2048
	v_readfirstlane_b32 s8, v8
	v_readfirstlane_b32 s9, v9
	s_waitcnt lgkmcnt(0)
	s_nop 3
	global_store_dword v13, v14, s[8:9] offset:2048
.LBB1070_262:
	s_or_b64 exec, exec, s[4:5]
.LBB1070_263:
	s_andn2_saveexec_b64 s[2:3], s[2:3]
	s_cbranch_execz .LBB1070_265
; %bb.264:
	v_lshlrev_b32_e32 v13, 2, v0
	ds_read_b32 v14, v13 offset:2048
	v_readfirstlane_b32 s2, v10
	v_readfirstlane_b32 s3, v11
	s_waitcnt lgkmcnt(0)
	s_nop 3
	global_store_dword v13, v14, s[2:3] offset:2048
.LBB1070_265:
	;; [unrolled: 51-line block ×3, first 2 shown]
	s_or_b64 exec, exec, s[0:1]
	v_or_b32_e32 v13, 0x400, v0
	v_cmp_gt_u32_e32 vcc, s18, v13
	s_and_saveexec_b64 s[0:1], vcc
	s_cbranch_execz .LBB1070_283
; %bb.275:
	v_cmp_le_u32_e32 vcc, v2, v13
	s_and_saveexec_b64 s[2:3], vcc
	s_xor_b64 s[2:3], exec, s[2:3]
	s_cbranch_execz .LBB1070_281
; %bb.276:
	v_cmp_le_u32_e32 vcc, v12, v13
	s_and_saveexec_b64 s[4:5], vcc
	s_xor_b64 s[4:5], exec, s[4:5]
	s_cbranch_execz .LBB1070_278
; %bb.277:
	v_lshlrev_b32_e32 v13, 2, v0
	ds_read_b32 v13, v13 offset:4096
	v_add_co_u32_e32 v14, vcc, v1, v0
	v_addc_co_u32_e32 v15, vcc, 0, v4, vcc
	v_lshlrev_b64 v[14:15], 2, v[14:15]
	v_mov_b32_e32 v16, s7
	v_sub_co_u32_e32 v14, vcc, s6, v14
	v_subb_co_u32_e32 v15, vcc, v16, v15, vcc
	s_waitcnt lgkmcnt(0)
	global_store_dword v[14:15], v13, off offset:-4096
                                        ; implicit-def: $vgpr13
.LBB1070_278:
	s_andn2_saveexec_b64 s[4:5], s[4:5]
	s_cbranch_execz .LBB1070_280
; %bb.279:
	v_lshlrev_b32_e32 v14, 2, v0
	ds_read_b32 v14, v14 offset:4096
	v_lshlrev_b32_e32 v13, 2, v13
	v_readfirstlane_b32 s8, v8
	v_readfirstlane_b32 s9, v9
	s_waitcnt lgkmcnt(0)
	s_nop 3
	global_store_dword v13, v14, s[8:9]
.LBB1070_280:
	s_or_b64 exec, exec, s[4:5]
                                        ; implicit-def: $vgpr13
.LBB1070_281:
	s_andn2_saveexec_b64 s[2:3], s[2:3]
	s_cbranch_execz .LBB1070_283
; %bb.282:
	v_lshlrev_b32_e32 v14, 2, v0
	ds_read_b32 v14, v14 offset:4096
	v_lshlrev_b32_e32 v13, 2, v13
	v_readfirstlane_b32 s2, v10
	v_readfirstlane_b32 s3, v11
	s_waitcnt lgkmcnt(0)
	s_nop 3
	global_store_dword v13, v14, s[2:3]
.LBB1070_283:
	s_or_b64 exec, exec, s[0:1]
	v_or_b32_e32 v13, 0x500, v0
	v_cmp_gt_u32_e32 vcc, s18, v13
	s_and_saveexec_b64 s[0:1], vcc
	s_cbranch_execz .LBB1070_292
; %bb.284:
	v_cmp_le_u32_e32 vcc, v2, v13
	s_and_saveexec_b64 s[2:3], vcc
	s_xor_b64 s[2:3], exec, s[2:3]
	s_cbranch_execz .LBB1070_290
; %bb.285:
	v_cmp_le_u32_e32 vcc, v12, v13
	s_and_saveexec_b64 s[4:5], vcc
	s_xor_b64 s[4:5], exec, s[4:5]
	s_cbranch_execz .LBB1070_287
; %bb.286:
	v_add_co_u32_e32 v14, vcc, v1, v13
	v_lshlrev_b32_e32 v13, 2, v0
	ds_read_b32 v13, v13 offset:5120
	v_addc_co_u32_e32 v15, vcc, 0, v4, vcc
	v_lshlrev_b64 v[14:15], 2, v[14:15]
	v_mov_b32_e32 v16, s7
	v_sub_co_u32_e32 v14, vcc, s6, v14
	v_subb_co_u32_e32 v15, vcc, v16, v15, vcc
	s_waitcnt lgkmcnt(0)
	global_store_dword v[14:15], v13, off
                                        ; implicit-def: $vgpr13
.LBB1070_287:
	s_andn2_saveexec_b64 s[4:5], s[4:5]
	s_cbranch_execz .LBB1070_289
; %bb.288:
	v_lshlrev_b32_e32 v14, 2, v0
	ds_read_b32 v14, v14 offset:5120
	v_lshlrev_b32_e32 v13, 2, v13
	v_readfirstlane_b32 s8, v8
	v_readfirstlane_b32 s9, v9
	s_waitcnt lgkmcnt(0)
	s_nop 3
	global_store_dword v13, v14, s[8:9]
.LBB1070_289:
	s_or_b64 exec, exec, s[4:5]
                                        ; implicit-def: $vgpr13
.LBB1070_290:
	s_andn2_saveexec_b64 s[2:3], s[2:3]
	s_cbranch_execz .LBB1070_292
; %bb.291:
	v_lshlrev_b32_e32 v14, 2, v0
	ds_read_b32 v14, v14 offset:5120
	v_lshlrev_b32_e32 v13, 2, v13
	v_readfirstlane_b32 s2, v10
	v_readfirstlane_b32 s3, v11
	s_waitcnt lgkmcnt(0)
	s_nop 3
	global_store_dword v13, v14, s[2:3]
.LBB1070_292:
	s_or_b64 exec, exec, s[0:1]
	v_or_b32_e32 v13, 0x600, v0
	v_cmp_gt_u32_e32 vcc, s18, v13
	s_and_saveexec_b64 s[0:1], vcc
	s_cbranch_execz .LBB1070_301
; %bb.293:
	v_cmp_le_u32_e32 vcc, v2, v13
	s_and_saveexec_b64 s[2:3], vcc
	s_xor_b64 s[2:3], exec, s[2:3]
	s_cbranch_execz .LBB1070_299
; %bb.294:
	v_cmp_le_u32_e32 vcc, v12, v13
	s_and_saveexec_b64 s[4:5], vcc
	s_xor_b64 s[4:5], exec, s[4:5]
	s_cbranch_execz .LBB1070_296
; %bb.295:
	v_add_co_u32_e32 v14, vcc, v1, v13
	v_lshlrev_b32_e32 v13, 2, v0
	ds_read_b32 v13, v13 offset:6144
	v_addc_co_u32_e32 v15, vcc, 0, v4, vcc
	v_lshlrev_b64 v[14:15], 2, v[14:15]
	v_mov_b32_e32 v16, s7
	v_sub_co_u32_e32 v14, vcc, s6, v14
	v_subb_co_u32_e32 v15, vcc, v16, v15, vcc
	s_waitcnt lgkmcnt(0)
	global_store_dword v[14:15], v13, off
                                        ; implicit-def: $vgpr13
.LBB1070_296:
	s_andn2_saveexec_b64 s[4:5], s[4:5]
	s_cbranch_execz .LBB1070_298
; %bb.297:
	v_lshlrev_b32_e32 v14, 2, v0
	ds_read_b32 v14, v14 offset:6144
	v_lshlrev_b32_e32 v13, 2, v13
	v_readfirstlane_b32 s8, v8
	v_readfirstlane_b32 s9, v9
	s_waitcnt lgkmcnt(0)
	s_nop 3
	global_store_dword v13, v14, s[8:9]
.LBB1070_298:
	s_or_b64 exec, exec, s[4:5]
                                        ; implicit-def: $vgpr13
.LBB1070_299:
	s_andn2_saveexec_b64 s[2:3], s[2:3]
	s_cbranch_execz .LBB1070_301
; %bb.300:
	v_lshlrev_b32_e32 v14, 2, v0
	ds_read_b32 v14, v14 offset:6144
	v_lshlrev_b32_e32 v13, 2, v13
	v_readfirstlane_b32 s2, v10
	v_readfirstlane_b32 s3, v11
	s_waitcnt lgkmcnt(0)
	s_nop 3
	global_store_dword v13, v14, s[2:3]
.LBB1070_301:
	;; [unrolled: 55-line block ×7, first 2 shown]
	s_or_b64 exec, exec, s[0:1]
	v_or_b32_e32 v13, 0xc00, v0
	v_cmp_gt_u32_e32 vcc, s18, v13
	s_and_saveexec_b64 s[0:1], vcc
	s_cbranch_execz .LBB1070_355
; %bb.347:
	v_cmp_le_u32_e32 vcc, v2, v13
	s_and_saveexec_b64 s[2:3], vcc
	s_xor_b64 s[2:3], exec, s[2:3]
	s_cbranch_execz .LBB1070_353
; %bb.348:
	v_cmp_le_u32_e32 vcc, v12, v13
	s_and_saveexec_b64 s[4:5], vcc
	s_xor_b64 s[4:5], exec, s[4:5]
	s_cbranch_execz .LBB1070_350
; %bb.349:
	v_add_co_u32_e32 v8, vcc, v1, v13
	v_lshlrev_b32_e32 v1, 2, v0
	ds_read_b32 v1, v1 offset:12288
	v_addc_co_u32_e32 v9, vcc, 0, v4, vcc
	v_lshlrev_b64 v[8:9], 2, v[8:9]
	v_mov_b32_e32 v4, s7
	v_sub_co_u32_e32 v8, vcc, s6, v8
	v_subb_co_u32_e32 v9, vcc, v4, v9, vcc
	s_waitcnt lgkmcnt(0)
	global_store_dword v[8:9], v1, off
                                        ; implicit-def: $vgpr13
                                        ; implicit-def: $vgpr8_vgpr9
.LBB1070_350:
	s_andn2_saveexec_b64 s[4:5], s[4:5]
	s_cbranch_execz .LBB1070_352
; %bb.351:
	v_lshlrev_b32_e32 v1, 2, v0
	ds_read_b32 v1, v1 offset:12288
	v_lshlrev_b32_e32 v4, 2, v13
	v_readfirstlane_b32 s6, v8
	v_readfirstlane_b32 s7, v9
	s_waitcnt lgkmcnt(0)
	s_nop 3
	global_store_dword v4, v1, s[6:7]
.LBB1070_352:
	s_or_b64 exec, exec, s[4:5]
                                        ; implicit-def: $vgpr13
                                        ; implicit-def: $vgpr10_vgpr11
.LBB1070_353:
	s_andn2_saveexec_b64 s[2:3], s[2:3]
	s_cbranch_execz .LBB1070_355
; %bb.354:
	v_lshlrev_b32_e32 v1, 2, v0
	ds_read_b32 v1, v1 offset:12288
	v_lshlrev_b32_e32 v4, 2, v13
	v_readfirstlane_b32 s2, v10
	v_readfirstlane_b32 s3, v11
	s_waitcnt lgkmcnt(0)
	s_nop 3
	global_store_dword v4, v1, s[2:3]
.LBB1070_355:
	s_or_b64 exec, exec, s[0:1]
	v_cmp_eq_u32_e32 vcc, 0, v0
	s_and_b64 s[0:1], vcc, s[30:31]
	s_and_saveexec_b64 s[2:3], s[0:1]
	s_cbranch_execz .LBB1070_132
.LBB1070_356:
	v_add_co_u32_e32 v0, vcc, v6, v2
	v_addc_co_u32_e32 v1, vcc, 0, v7, vcc
	v_mov_b32_e32 v2, s51
	v_add_co_u32_e32 v3, vcc, s50, v3
	v_addc_co_u32_e32 v6, vcc, 0, v2, vcc
	v_add_co_u32_e32 v2, vcc, v3, v5
	v_mov_b32_e32 v4, 0
	v_addc_co_u32_e32 v3, vcc, 0, v6, vcc
	global_store_dwordx4 v4, v[0:3], s[44:45]
	s_endpgm
	.section	.rodata,"a",@progbits
	.p2align	6, 0x0
	.amdhsa_kernel _ZN7rocprim17ROCPRIM_400000_NS6detail17trampoline_kernelINS0_13select_configILj256ELj13ELNS0_17block_load_methodE3ELS4_3ELS4_3ELNS0_20block_scan_algorithmE0ELj4294967295EEENS1_25partition_config_selectorILNS1_17partition_subalgoE4EjNS0_10empty_typeEbEEZZNS1_14partition_implILS8_4ELb0ES6_15HIP_vector_typeIjLj2EENS0_17counting_iteratorIjlEEPS9_SG_NS0_5tupleIJPjSI_NS0_16reverse_iteratorISI_EEEEENSH_IJSG_SG_SG_EEES9_SI_JZNS1_25segmented_radix_sort_implINS0_14default_configELb1EPKdPdPKlPlN2at6native12_GLOBAL__N_18offset_tEEE10hipError_tPvRmT1_PNSt15iterator_traitsIS12_E10value_typeET2_T3_PNS13_IS18_E10value_typeET4_jRbjT5_S1E_jjP12ihipStream_tbEUljE_ZNSN_ISO_Lb1ESQ_SR_ST_SU_SY_EESZ_S10_S11_S12_S16_S17_S18_S1B_S1C_jS1D_jS1E_S1E_jjS1G_bEUljE0_EEESZ_S10_S11_S18_S1C_S1E_T6_T7_T9_mT8_S1G_bDpT10_ENKUlT_T0_E_clISt17integral_constantIbLb1EES1T_IbLb0EEEEDaS1P_S1Q_EUlS1P_E_NS1_11comp_targetILNS1_3genE4ELNS1_11target_archE910ELNS1_3gpuE8ELNS1_3repE0EEENS1_30default_config_static_selectorELNS0_4arch9wavefront6targetE1EEEvS12_
		.amdhsa_group_segment_fixed_size 13340
		.amdhsa_private_segment_fixed_size 0
		.amdhsa_kernarg_size 176
		.amdhsa_user_sgpr_count 6
		.amdhsa_user_sgpr_private_segment_buffer 1
		.amdhsa_user_sgpr_dispatch_ptr 0
		.amdhsa_user_sgpr_queue_ptr 0
		.amdhsa_user_sgpr_kernarg_segment_ptr 1
		.amdhsa_user_sgpr_dispatch_id 0
		.amdhsa_user_sgpr_flat_scratch_init 0
		.amdhsa_user_sgpr_kernarg_preload_length 0
		.amdhsa_user_sgpr_kernarg_preload_offset 0
		.amdhsa_user_sgpr_private_segment_size 0
		.amdhsa_uses_dynamic_stack 0
		.amdhsa_system_sgpr_private_segment_wavefront_offset 0
		.amdhsa_system_sgpr_workgroup_id_x 1
		.amdhsa_system_sgpr_workgroup_id_y 0
		.amdhsa_system_sgpr_workgroup_id_z 0
		.amdhsa_system_sgpr_workgroup_info 0
		.amdhsa_system_vgpr_workitem_id 0
		.amdhsa_next_free_vgpr 102
		.amdhsa_next_free_sgpr 90
		.amdhsa_accum_offset 104
		.amdhsa_reserve_vcc 1
		.amdhsa_reserve_flat_scratch 0
		.amdhsa_float_round_mode_32 0
		.amdhsa_float_round_mode_16_64 0
		.amdhsa_float_denorm_mode_32 3
		.amdhsa_float_denorm_mode_16_64 3
		.amdhsa_dx10_clamp 1
		.amdhsa_ieee_mode 1
		.amdhsa_fp16_overflow 0
		.amdhsa_tg_split 0
		.amdhsa_exception_fp_ieee_invalid_op 0
		.amdhsa_exception_fp_denorm_src 0
		.amdhsa_exception_fp_ieee_div_zero 0
		.amdhsa_exception_fp_ieee_overflow 0
		.amdhsa_exception_fp_ieee_underflow 0
		.amdhsa_exception_fp_ieee_inexact 0
		.amdhsa_exception_int_div_zero 0
	.end_amdhsa_kernel
	.section	.text._ZN7rocprim17ROCPRIM_400000_NS6detail17trampoline_kernelINS0_13select_configILj256ELj13ELNS0_17block_load_methodE3ELS4_3ELS4_3ELNS0_20block_scan_algorithmE0ELj4294967295EEENS1_25partition_config_selectorILNS1_17partition_subalgoE4EjNS0_10empty_typeEbEEZZNS1_14partition_implILS8_4ELb0ES6_15HIP_vector_typeIjLj2EENS0_17counting_iteratorIjlEEPS9_SG_NS0_5tupleIJPjSI_NS0_16reverse_iteratorISI_EEEEENSH_IJSG_SG_SG_EEES9_SI_JZNS1_25segmented_radix_sort_implINS0_14default_configELb1EPKdPdPKlPlN2at6native12_GLOBAL__N_18offset_tEEE10hipError_tPvRmT1_PNSt15iterator_traitsIS12_E10value_typeET2_T3_PNS13_IS18_E10value_typeET4_jRbjT5_S1E_jjP12ihipStream_tbEUljE_ZNSN_ISO_Lb1ESQ_SR_ST_SU_SY_EESZ_S10_S11_S12_S16_S17_S18_S1B_S1C_jS1D_jS1E_S1E_jjS1G_bEUljE0_EEESZ_S10_S11_S18_S1C_S1E_T6_T7_T9_mT8_S1G_bDpT10_ENKUlT_T0_E_clISt17integral_constantIbLb1EES1T_IbLb0EEEEDaS1P_S1Q_EUlS1P_E_NS1_11comp_targetILNS1_3genE4ELNS1_11target_archE910ELNS1_3gpuE8ELNS1_3repE0EEENS1_30default_config_static_selectorELNS0_4arch9wavefront6targetE1EEEvS12_,"axG",@progbits,_ZN7rocprim17ROCPRIM_400000_NS6detail17trampoline_kernelINS0_13select_configILj256ELj13ELNS0_17block_load_methodE3ELS4_3ELS4_3ELNS0_20block_scan_algorithmE0ELj4294967295EEENS1_25partition_config_selectorILNS1_17partition_subalgoE4EjNS0_10empty_typeEbEEZZNS1_14partition_implILS8_4ELb0ES6_15HIP_vector_typeIjLj2EENS0_17counting_iteratorIjlEEPS9_SG_NS0_5tupleIJPjSI_NS0_16reverse_iteratorISI_EEEEENSH_IJSG_SG_SG_EEES9_SI_JZNS1_25segmented_radix_sort_implINS0_14default_configELb1EPKdPdPKlPlN2at6native12_GLOBAL__N_18offset_tEEE10hipError_tPvRmT1_PNSt15iterator_traitsIS12_E10value_typeET2_T3_PNS13_IS18_E10value_typeET4_jRbjT5_S1E_jjP12ihipStream_tbEUljE_ZNSN_ISO_Lb1ESQ_SR_ST_SU_SY_EESZ_S10_S11_S12_S16_S17_S18_S1B_S1C_jS1D_jS1E_S1E_jjS1G_bEUljE0_EEESZ_S10_S11_S18_S1C_S1E_T6_T7_T9_mT8_S1G_bDpT10_ENKUlT_T0_E_clISt17integral_constantIbLb1EES1T_IbLb0EEEEDaS1P_S1Q_EUlS1P_E_NS1_11comp_targetILNS1_3genE4ELNS1_11target_archE910ELNS1_3gpuE8ELNS1_3repE0EEENS1_30default_config_static_selectorELNS0_4arch9wavefront6targetE1EEEvS12_,comdat
.Lfunc_end1070:
	.size	_ZN7rocprim17ROCPRIM_400000_NS6detail17trampoline_kernelINS0_13select_configILj256ELj13ELNS0_17block_load_methodE3ELS4_3ELS4_3ELNS0_20block_scan_algorithmE0ELj4294967295EEENS1_25partition_config_selectorILNS1_17partition_subalgoE4EjNS0_10empty_typeEbEEZZNS1_14partition_implILS8_4ELb0ES6_15HIP_vector_typeIjLj2EENS0_17counting_iteratorIjlEEPS9_SG_NS0_5tupleIJPjSI_NS0_16reverse_iteratorISI_EEEEENSH_IJSG_SG_SG_EEES9_SI_JZNS1_25segmented_radix_sort_implINS0_14default_configELb1EPKdPdPKlPlN2at6native12_GLOBAL__N_18offset_tEEE10hipError_tPvRmT1_PNSt15iterator_traitsIS12_E10value_typeET2_T3_PNS13_IS18_E10value_typeET4_jRbjT5_S1E_jjP12ihipStream_tbEUljE_ZNSN_ISO_Lb1ESQ_SR_ST_SU_SY_EESZ_S10_S11_S12_S16_S17_S18_S1B_S1C_jS1D_jS1E_S1E_jjS1G_bEUljE0_EEESZ_S10_S11_S18_S1C_S1E_T6_T7_T9_mT8_S1G_bDpT10_ENKUlT_T0_E_clISt17integral_constantIbLb1EES1T_IbLb0EEEEDaS1P_S1Q_EUlS1P_E_NS1_11comp_targetILNS1_3genE4ELNS1_11target_archE910ELNS1_3gpuE8ELNS1_3repE0EEENS1_30default_config_static_selectorELNS0_4arch9wavefront6targetE1EEEvS12_, .Lfunc_end1070-_ZN7rocprim17ROCPRIM_400000_NS6detail17trampoline_kernelINS0_13select_configILj256ELj13ELNS0_17block_load_methodE3ELS4_3ELS4_3ELNS0_20block_scan_algorithmE0ELj4294967295EEENS1_25partition_config_selectorILNS1_17partition_subalgoE4EjNS0_10empty_typeEbEEZZNS1_14partition_implILS8_4ELb0ES6_15HIP_vector_typeIjLj2EENS0_17counting_iteratorIjlEEPS9_SG_NS0_5tupleIJPjSI_NS0_16reverse_iteratorISI_EEEEENSH_IJSG_SG_SG_EEES9_SI_JZNS1_25segmented_radix_sort_implINS0_14default_configELb1EPKdPdPKlPlN2at6native12_GLOBAL__N_18offset_tEEE10hipError_tPvRmT1_PNSt15iterator_traitsIS12_E10value_typeET2_T3_PNS13_IS18_E10value_typeET4_jRbjT5_S1E_jjP12ihipStream_tbEUljE_ZNSN_ISO_Lb1ESQ_SR_ST_SU_SY_EESZ_S10_S11_S12_S16_S17_S18_S1B_S1C_jS1D_jS1E_S1E_jjS1G_bEUljE0_EEESZ_S10_S11_S18_S1C_S1E_T6_T7_T9_mT8_S1G_bDpT10_ENKUlT_T0_E_clISt17integral_constantIbLb1EES1T_IbLb0EEEEDaS1P_S1Q_EUlS1P_E_NS1_11comp_targetILNS1_3genE4ELNS1_11target_archE910ELNS1_3gpuE8ELNS1_3repE0EEENS1_30default_config_static_selectorELNS0_4arch9wavefront6targetE1EEEvS12_
                                        ; -- End function
	.section	.AMDGPU.csdata,"",@progbits
; Kernel info:
; codeLenInByte = 13412
; NumSgprs: 94
; NumVgprs: 102
; NumAgprs: 0
; TotalNumVgprs: 102
; ScratchSize: 0
; MemoryBound: 0
; FloatMode: 240
; IeeeMode: 1
; LDSByteSize: 13340 bytes/workgroup (compile time only)
; SGPRBlocks: 11
; VGPRBlocks: 12
; NumSGPRsForWavesPerEU: 94
; NumVGPRsForWavesPerEU: 102
; AccumOffset: 104
; Occupancy: 4
; WaveLimiterHint : 1
; COMPUTE_PGM_RSRC2:SCRATCH_EN: 0
; COMPUTE_PGM_RSRC2:USER_SGPR: 6
; COMPUTE_PGM_RSRC2:TRAP_HANDLER: 0
; COMPUTE_PGM_RSRC2:TGID_X_EN: 1
; COMPUTE_PGM_RSRC2:TGID_Y_EN: 0
; COMPUTE_PGM_RSRC2:TGID_Z_EN: 0
; COMPUTE_PGM_RSRC2:TIDIG_COMP_CNT: 0
; COMPUTE_PGM_RSRC3_GFX90A:ACCUM_OFFSET: 25
; COMPUTE_PGM_RSRC3_GFX90A:TG_SPLIT: 0
	.section	.text._ZN7rocprim17ROCPRIM_400000_NS6detail17trampoline_kernelINS0_13select_configILj256ELj13ELNS0_17block_load_methodE3ELS4_3ELS4_3ELNS0_20block_scan_algorithmE0ELj4294967295EEENS1_25partition_config_selectorILNS1_17partition_subalgoE4EjNS0_10empty_typeEbEEZZNS1_14partition_implILS8_4ELb0ES6_15HIP_vector_typeIjLj2EENS0_17counting_iteratorIjlEEPS9_SG_NS0_5tupleIJPjSI_NS0_16reverse_iteratorISI_EEEEENSH_IJSG_SG_SG_EEES9_SI_JZNS1_25segmented_radix_sort_implINS0_14default_configELb1EPKdPdPKlPlN2at6native12_GLOBAL__N_18offset_tEEE10hipError_tPvRmT1_PNSt15iterator_traitsIS12_E10value_typeET2_T3_PNS13_IS18_E10value_typeET4_jRbjT5_S1E_jjP12ihipStream_tbEUljE_ZNSN_ISO_Lb1ESQ_SR_ST_SU_SY_EESZ_S10_S11_S12_S16_S17_S18_S1B_S1C_jS1D_jS1E_S1E_jjS1G_bEUljE0_EEESZ_S10_S11_S18_S1C_S1E_T6_T7_T9_mT8_S1G_bDpT10_ENKUlT_T0_E_clISt17integral_constantIbLb1EES1T_IbLb0EEEEDaS1P_S1Q_EUlS1P_E_NS1_11comp_targetILNS1_3genE3ELNS1_11target_archE908ELNS1_3gpuE7ELNS1_3repE0EEENS1_30default_config_static_selectorELNS0_4arch9wavefront6targetE1EEEvS12_,"axG",@progbits,_ZN7rocprim17ROCPRIM_400000_NS6detail17trampoline_kernelINS0_13select_configILj256ELj13ELNS0_17block_load_methodE3ELS4_3ELS4_3ELNS0_20block_scan_algorithmE0ELj4294967295EEENS1_25partition_config_selectorILNS1_17partition_subalgoE4EjNS0_10empty_typeEbEEZZNS1_14partition_implILS8_4ELb0ES6_15HIP_vector_typeIjLj2EENS0_17counting_iteratorIjlEEPS9_SG_NS0_5tupleIJPjSI_NS0_16reverse_iteratorISI_EEEEENSH_IJSG_SG_SG_EEES9_SI_JZNS1_25segmented_radix_sort_implINS0_14default_configELb1EPKdPdPKlPlN2at6native12_GLOBAL__N_18offset_tEEE10hipError_tPvRmT1_PNSt15iterator_traitsIS12_E10value_typeET2_T3_PNS13_IS18_E10value_typeET4_jRbjT5_S1E_jjP12ihipStream_tbEUljE_ZNSN_ISO_Lb1ESQ_SR_ST_SU_SY_EESZ_S10_S11_S12_S16_S17_S18_S1B_S1C_jS1D_jS1E_S1E_jjS1G_bEUljE0_EEESZ_S10_S11_S18_S1C_S1E_T6_T7_T9_mT8_S1G_bDpT10_ENKUlT_T0_E_clISt17integral_constantIbLb1EES1T_IbLb0EEEEDaS1P_S1Q_EUlS1P_E_NS1_11comp_targetILNS1_3genE3ELNS1_11target_archE908ELNS1_3gpuE7ELNS1_3repE0EEENS1_30default_config_static_selectorELNS0_4arch9wavefront6targetE1EEEvS12_,comdat
	.globl	_ZN7rocprim17ROCPRIM_400000_NS6detail17trampoline_kernelINS0_13select_configILj256ELj13ELNS0_17block_load_methodE3ELS4_3ELS4_3ELNS0_20block_scan_algorithmE0ELj4294967295EEENS1_25partition_config_selectorILNS1_17partition_subalgoE4EjNS0_10empty_typeEbEEZZNS1_14partition_implILS8_4ELb0ES6_15HIP_vector_typeIjLj2EENS0_17counting_iteratorIjlEEPS9_SG_NS0_5tupleIJPjSI_NS0_16reverse_iteratorISI_EEEEENSH_IJSG_SG_SG_EEES9_SI_JZNS1_25segmented_radix_sort_implINS0_14default_configELb1EPKdPdPKlPlN2at6native12_GLOBAL__N_18offset_tEEE10hipError_tPvRmT1_PNSt15iterator_traitsIS12_E10value_typeET2_T3_PNS13_IS18_E10value_typeET4_jRbjT5_S1E_jjP12ihipStream_tbEUljE_ZNSN_ISO_Lb1ESQ_SR_ST_SU_SY_EESZ_S10_S11_S12_S16_S17_S18_S1B_S1C_jS1D_jS1E_S1E_jjS1G_bEUljE0_EEESZ_S10_S11_S18_S1C_S1E_T6_T7_T9_mT8_S1G_bDpT10_ENKUlT_T0_E_clISt17integral_constantIbLb1EES1T_IbLb0EEEEDaS1P_S1Q_EUlS1P_E_NS1_11comp_targetILNS1_3genE3ELNS1_11target_archE908ELNS1_3gpuE7ELNS1_3repE0EEENS1_30default_config_static_selectorELNS0_4arch9wavefront6targetE1EEEvS12_ ; -- Begin function _ZN7rocprim17ROCPRIM_400000_NS6detail17trampoline_kernelINS0_13select_configILj256ELj13ELNS0_17block_load_methodE3ELS4_3ELS4_3ELNS0_20block_scan_algorithmE0ELj4294967295EEENS1_25partition_config_selectorILNS1_17partition_subalgoE4EjNS0_10empty_typeEbEEZZNS1_14partition_implILS8_4ELb0ES6_15HIP_vector_typeIjLj2EENS0_17counting_iteratorIjlEEPS9_SG_NS0_5tupleIJPjSI_NS0_16reverse_iteratorISI_EEEEENSH_IJSG_SG_SG_EEES9_SI_JZNS1_25segmented_radix_sort_implINS0_14default_configELb1EPKdPdPKlPlN2at6native12_GLOBAL__N_18offset_tEEE10hipError_tPvRmT1_PNSt15iterator_traitsIS12_E10value_typeET2_T3_PNS13_IS18_E10value_typeET4_jRbjT5_S1E_jjP12ihipStream_tbEUljE_ZNSN_ISO_Lb1ESQ_SR_ST_SU_SY_EESZ_S10_S11_S12_S16_S17_S18_S1B_S1C_jS1D_jS1E_S1E_jjS1G_bEUljE0_EEESZ_S10_S11_S18_S1C_S1E_T6_T7_T9_mT8_S1G_bDpT10_ENKUlT_T0_E_clISt17integral_constantIbLb1EES1T_IbLb0EEEEDaS1P_S1Q_EUlS1P_E_NS1_11comp_targetILNS1_3genE3ELNS1_11target_archE908ELNS1_3gpuE7ELNS1_3repE0EEENS1_30default_config_static_selectorELNS0_4arch9wavefront6targetE1EEEvS12_
	.p2align	8
	.type	_ZN7rocprim17ROCPRIM_400000_NS6detail17trampoline_kernelINS0_13select_configILj256ELj13ELNS0_17block_load_methodE3ELS4_3ELS4_3ELNS0_20block_scan_algorithmE0ELj4294967295EEENS1_25partition_config_selectorILNS1_17partition_subalgoE4EjNS0_10empty_typeEbEEZZNS1_14partition_implILS8_4ELb0ES6_15HIP_vector_typeIjLj2EENS0_17counting_iteratorIjlEEPS9_SG_NS0_5tupleIJPjSI_NS0_16reverse_iteratorISI_EEEEENSH_IJSG_SG_SG_EEES9_SI_JZNS1_25segmented_radix_sort_implINS0_14default_configELb1EPKdPdPKlPlN2at6native12_GLOBAL__N_18offset_tEEE10hipError_tPvRmT1_PNSt15iterator_traitsIS12_E10value_typeET2_T3_PNS13_IS18_E10value_typeET4_jRbjT5_S1E_jjP12ihipStream_tbEUljE_ZNSN_ISO_Lb1ESQ_SR_ST_SU_SY_EESZ_S10_S11_S12_S16_S17_S18_S1B_S1C_jS1D_jS1E_S1E_jjS1G_bEUljE0_EEESZ_S10_S11_S18_S1C_S1E_T6_T7_T9_mT8_S1G_bDpT10_ENKUlT_T0_E_clISt17integral_constantIbLb1EES1T_IbLb0EEEEDaS1P_S1Q_EUlS1P_E_NS1_11comp_targetILNS1_3genE3ELNS1_11target_archE908ELNS1_3gpuE7ELNS1_3repE0EEENS1_30default_config_static_selectorELNS0_4arch9wavefront6targetE1EEEvS12_,@function
_ZN7rocprim17ROCPRIM_400000_NS6detail17trampoline_kernelINS0_13select_configILj256ELj13ELNS0_17block_load_methodE3ELS4_3ELS4_3ELNS0_20block_scan_algorithmE0ELj4294967295EEENS1_25partition_config_selectorILNS1_17partition_subalgoE4EjNS0_10empty_typeEbEEZZNS1_14partition_implILS8_4ELb0ES6_15HIP_vector_typeIjLj2EENS0_17counting_iteratorIjlEEPS9_SG_NS0_5tupleIJPjSI_NS0_16reverse_iteratorISI_EEEEENSH_IJSG_SG_SG_EEES9_SI_JZNS1_25segmented_radix_sort_implINS0_14default_configELb1EPKdPdPKlPlN2at6native12_GLOBAL__N_18offset_tEEE10hipError_tPvRmT1_PNSt15iterator_traitsIS12_E10value_typeET2_T3_PNS13_IS18_E10value_typeET4_jRbjT5_S1E_jjP12ihipStream_tbEUljE_ZNSN_ISO_Lb1ESQ_SR_ST_SU_SY_EESZ_S10_S11_S12_S16_S17_S18_S1B_S1C_jS1D_jS1E_S1E_jjS1G_bEUljE0_EEESZ_S10_S11_S18_S1C_S1E_T6_T7_T9_mT8_S1G_bDpT10_ENKUlT_T0_E_clISt17integral_constantIbLb1EES1T_IbLb0EEEEDaS1P_S1Q_EUlS1P_E_NS1_11comp_targetILNS1_3genE3ELNS1_11target_archE908ELNS1_3gpuE7ELNS1_3repE0EEENS1_30default_config_static_selectorELNS0_4arch9wavefront6targetE1EEEvS12_: ; @_ZN7rocprim17ROCPRIM_400000_NS6detail17trampoline_kernelINS0_13select_configILj256ELj13ELNS0_17block_load_methodE3ELS4_3ELS4_3ELNS0_20block_scan_algorithmE0ELj4294967295EEENS1_25partition_config_selectorILNS1_17partition_subalgoE4EjNS0_10empty_typeEbEEZZNS1_14partition_implILS8_4ELb0ES6_15HIP_vector_typeIjLj2EENS0_17counting_iteratorIjlEEPS9_SG_NS0_5tupleIJPjSI_NS0_16reverse_iteratorISI_EEEEENSH_IJSG_SG_SG_EEES9_SI_JZNS1_25segmented_radix_sort_implINS0_14default_configELb1EPKdPdPKlPlN2at6native12_GLOBAL__N_18offset_tEEE10hipError_tPvRmT1_PNSt15iterator_traitsIS12_E10value_typeET2_T3_PNS13_IS18_E10value_typeET4_jRbjT5_S1E_jjP12ihipStream_tbEUljE_ZNSN_ISO_Lb1ESQ_SR_ST_SU_SY_EESZ_S10_S11_S12_S16_S17_S18_S1B_S1C_jS1D_jS1E_S1E_jjS1G_bEUljE0_EEESZ_S10_S11_S18_S1C_S1E_T6_T7_T9_mT8_S1G_bDpT10_ENKUlT_T0_E_clISt17integral_constantIbLb1EES1T_IbLb0EEEEDaS1P_S1Q_EUlS1P_E_NS1_11comp_targetILNS1_3genE3ELNS1_11target_archE908ELNS1_3gpuE7ELNS1_3repE0EEENS1_30default_config_static_selectorELNS0_4arch9wavefront6targetE1EEEvS12_
; %bb.0:
	.section	.rodata,"a",@progbits
	.p2align	6, 0x0
	.amdhsa_kernel _ZN7rocprim17ROCPRIM_400000_NS6detail17trampoline_kernelINS0_13select_configILj256ELj13ELNS0_17block_load_methodE3ELS4_3ELS4_3ELNS0_20block_scan_algorithmE0ELj4294967295EEENS1_25partition_config_selectorILNS1_17partition_subalgoE4EjNS0_10empty_typeEbEEZZNS1_14partition_implILS8_4ELb0ES6_15HIP_vector_typeIjLj2EENS0_17counting_iteratorIjlEEPS9_SG_NS0_5tupleIJPjSI_NS0_16reverse_iteratorISI_EEEEENSH_IJSG_SG_SG_EEES9_SI_JZNS1_25segmented_radix_sort_implINS0_14default_configELb1EPKdPdPKlPlN2at6native12_GLOBAL__N_18offset_tEEE10hipError_tPvRmT1_PNSt15iterator_traitsIS12_E10value_typeET2_T3_PNS13_IS18_E10value_typeET4_jRbjT5_S1E_jjP12ihipStream_tbEUljE_ZNSN_ISO_Lb1ESQ_SR_ST_SU_SY_EESZ_S10_S11_S12_S16_S17_S18_S1B_S1C_jS1D_jS1E_S1E_jjS1G_bEUljE0_EEESZ_S10_S11_S18_S1C_S1E_T6_T7_T9_mT8_S1G_bDpT10_ENKUlT_T0_E_clISt17integral_constantIbLb1EES1T_IbLb0EEEEDaS1P_S1Q_EUlS1P_E_NS1_11comp_targetILNS1_3genE3ELNS1_11target_archE908ELNS1_3gpuE7ELNS1_3repE0EEENS1_30default_config_static_selectorELNS0_4arch9wavefront6targetE1EEEvS12_
		.amdhsa_group_segment_fixed_size 0
		.amdhsa_private_segment_fixed_size 0
		.amdhsa_kernarg_size 176
		.amdhsa_user_sgpr_count 6
		.amdhsa_user_sgpr_private_segment_buffer 1
		.amdhsa_user_sgpr_dispatch_ptr 0
		.amdhsa_user_sgpr_queue_ptr 0
		.amdhsa_user_sgpr_kernarg_segment_ptr 1
		.amdhsa_user_sgpr_dispatch_id 0
		.amdhsa_user_sgpr_flat_scratch_init 0
		.amdhsa_user_sgpr_kernarg_preload_length 0
		.amdhsa_user_sgpr_kernarg_preload_offset 0
		.amdhsa_user_sgpr_private_segment_size 0
		.amdhsa_uses_dynamic_stack 0
		.amdhsa_system_sgpr_private_segment_wavefront_offset 0
		.amdhsa_system_sgpr_workgroup_id_x 1
		.amdhsa_system_sgpr_workgroup_id_y 0
		.amdhsa_system_sgpr_workgroup_id_z 0
		.amdhsa_system_sgpr_workgroup_info 0
		.amdhsa_system_vgpr_workitem_id 0
		.amdhsa_next_free_vgpr 1
		.amdhsa_next_free_sgpr 0
		.amdhsa_accum_offset 4
		.amdhsa_reserve_vcc 0
		.amdhsa_reserve_flat_scratch 0
		.amdhsa_float_round_mode_32 0
		.amdhsa_float_round_mode_16_64 0
		.amdhsa_float_denorm_mode_32 3
		.amdhsa_float_denorm_mode_16_64 3
		.amdhsa_dx10_clamp 1
		.amdhsa_ieee_mode 1
		.amdhsa_fp16_overflow 0
		.amdhsa_tg_split 0
		.amdhsa_exception_fp_ieee_invalid_op 0
		.amdhsa_exception_fp_denorm_src 0
		.amdhsa_exception_fp_ieee_div_zero 0
		.amdhsa_exception_fp_ieee_overflow 0
		.amdhsa_exception_fp_ieee_underflow 0
		.amdhsa_exception_fp_ieee_inexact 0
		.amdhsa_exception_int_div_zero 0
	.end_amdhsa_kernel
	.section	.text._ZN7rocprim17ROCPRIM_400000_NS6detail17trampoline_kernelINS0_13select_configILj256ELj13ELNS0_17block_load_methodE3ELS4_3ELS4_3ELNS0_20block_scan_algorithmE0ELj4294967295EEENS1_25partition_config_selectorILNS1_17partition_subalgoE4EjNS0_10empty_typeEbEEZZNS1_14partition_implILS8_4ELb0ES6_15HIP_vector_typeIjLj2EENS0_17counting_iteratorIjlEEPS9_SG_NS0_5tupleIJPjSI_NS0_16reverse_iteratorISI_EEEEENSH_IJSG_SG_SG_EEES9_SI_JZNS1_25segmented_radix_sort_implINS0_14default_configELb1EPKdPdPKlPlN2at6native12_GLOBAL__N_18offset_tEEE10hipError_tPvRmT1_PNSt15iterator_traitsIS12_E10value_typeET2_T3_PNS13_IS18_E10value_typeET4_jRbjT5_S1E_jjP12ihipStream_tbEUljE_ZNSN_ISO_Lb1ESQ_SR_ST_SU_SY_EESZ_S10_S11_S12_S16_S17_S18_S1B_S1C_jS1D_jS1E_S1E_jjS1G_bEUljE0_EEESZ_S10_S11_S18_S1C_S1E_T6_T7_T9_mT8_S1G_bDpT10_ENKUlT_T0_E_clISt17integral_constantIbLb1EES1T_IbLb0EEEEDaS1P_S1Q_EUlS1P_E_NS1_11comp_targetILNS1_3genE3ELNS1_11target_archE908ELNS1_3gpuE7ELNS1_3repE0EEENS1_30default_config_static_selectorELNS0_4arch9wavefront6targetE1EEEvS12_,"axG",@progbits,_ZN7rocprim17ROCPRIM_400000_NS6detail17trampoline_kernelINS0_13select_configILj256ELj13ELNS0_17block_load_methodE3ELS4_3ELS4_3ELNS0_20block_scan_algorithmE0ELj4294967295EEENS1_25partition_config_selectorILNS1_17partition_subalgoE4EjNS0_10empty_typeEbEEZZNS1_14partition_implILS8_4ELb0ES6_15HIP_vector_typeIjLj2EENS0_17counting_iteratorIjlEEPS9_SG_NS0_5tupleIJPjSI_NS0_16reverse_iteratorISI_EEEEENSH_IJSG_SG_SG_EEES9_SI_JZNS1_25segmented_radix_sort_implINS0_14default_configELb1EPKdPdPKlPlN2at6native12_GLOBAL__N_18offset_tEEE10hipError_tPvRmT1_PNSt15iterator_traitsIS12_E10value_typeET2_T3_PNS13_IS18_E10value_typeET4_jRbjT5_S1E_jjP12ihipStream_tbEUljE_ZNSN_ISO_Lb1ESQ_SR_ST_SU_SY_EESZ_S10_S11_S12_S16_S17_S18_S1B_S1C_jS1D_jS1E_S1E_jjS1G_bEUljE0_EEESZ_S10_S11_S18_S1C_S1E_T6_T7_T9_mT8_S1G_bDpT10_ENKUlT_T0_E_clISt17integral_constantIbLb1EES1T_IbLb0EEEEDaS1P_S1Q_EUlS1P_E_NS1_11comp_targetILNS1_3genE3ELNS1_11target_archE908ELNS1_3gpuE7ELNS1_3repE0EEENS1_30default_config_static_selectorELNS0_4arch9wavefront6targetE1EEEvS12_,comdat
.Lfunc_end1071:
	.size	_ZN7rocprim17ROCPRIM_400000_NS6detail17trampoline_kernelINS0_13select_configILj256ELj13ELNS0_17block_load_methodE3ELS4_3ELS4_3ELNS0_20block_scan_algorithmE0ELj4294967295EEENS1_25partition_config_selectorILNS1_17partition_subalgoE4EjNS0_10empty_typeEbEEZZNS1_14partition_implILS8_4ELb0ES6_15HIP_vector_typeIjLj2EENS0_17counting_iteratorIjlEEPS9_SG_NS0_5tupleIJPjSI_NS0_16reverse_iteratorISI_EEEEENSH_IJSG_SG_SG_EEES9_SI_JZNS1_25segmented_radix_sort_implINS0_14default_configELb1EPKdPdPKlPlN2at6native12_GLOBAL__N_18offset_tEEE10hipError_tPvRmT1_PNSt15iterator_traitsIS12_E10value_typeET2_T3_PNS13_IS18_E10value_typeET4_jRbjT5_S1E_jjP12ihipStream_tbEUljE_ZNSN_ISO_Lb1ESQ_SR_ST_SU_SY_EESZ_S10_S11_S12_S16_S17_S18_S1B_S1C_jS1D_jS1E_S1E_jjS1G_bEUljE0_EEESZ_S10_S11_S18_S1C_S1E_T6_T7_T9_mT8_S1G_bDpT10_ENKUlT_T0_E_clISt17integral_constantIbLb1EES1T_IbLb0EEEEDaS1P_S1Q_EUlS1P_E_NS1_11comp_targetILNS1_3genE3ELNS1_11target_archE908ELNS1_3gpuE7ELNS1_3repE0EEENS1_30default_config_static_selectorELNS0_4arch9wavefront6targetE1EEEvS12_, .Lfunc_end1071-_ZN7rocprim17ROCPRIM_400000_NS6detail17trampoline_kernelINS0_13select_configILj256ELj13ELNS0_17block_load_methodE3ELS4_3ELS4_3ELNS0_20block_scan_algorithmE0ELj4294967295EEENS1_25partition_config_selectorILNS1_17partition_subalgoE4EjNS0_10empty_typeEbEEZZNS1_14partition_implILS8_4ELb0ES6_15HIP_vector_typeIjLj2EENS0_17counting_iteratorIjlEEPS9_SG_NS0_5tupleIJPjSI_NS0_16reverse_iteratorISI_EEEEENSH_IJSG_SG_SG_EEES9_SI_JZNS1_25segmented_radix_sort_implINS0_14default_configELb1EPKdPdPKlPlN2at6native12_GLOBAL__N_18offset_tEEE10hipError_tPvRmT1_PNSt15iterator_traitsIS12_E10value_typeET2_T3_PNS13_IS18_E10value_typeET4_jRbjT5_S1E_jjP12ihipStream_tbEUljE_ZNSN_ISO_Lb1ESQ_SR_ST_SU_SY_EESZ_S10_S11_S12_S16_S17_S18_S1B_S1C_jS1D_jS1E_S1E_jjS1G_bEUljE0_EEESZ_S10_S11_S18_S1C_S1E_T6_T7_T9_mT8_S1G_bDpT10_ENKUlT_T0_E_clISt17integral_constantIbLb1EES1T_IbLb0EEEEDaS1P_S1Q_EUlS1P_E_NS1_11comp_targetILNS1_3genE3ELNS1_11target_archE908ELNS1_3gpuE7ELNS1_3repE0EEENS1_30default_config_static_selectorELNS0_4arch9wavefront6targetE1EEEvS12_
                                        ; -- End function
	.section	.AMDGPU.csdata,"",@progbits
; Kernel info:
; codeLenInByte = 0
; NumSgprs: 4
; NumVgprs: 0
; NumAgprs: 0
; TotalNumVgprs: 0
; ScratchSize: 0
; MemoryBound: 0
; FloatMode: 240
; IeeeMode: 1
; LDSByteSize: 0 bytes/workgroup (compile time only)
; SGPRBlocks: 0
; VGPRBlocks: 0
; NumSGPRsForWavesPerEU: 4
; NumVGPRsForWavesPerEU: 1
; AccumOffset: 4
; Occupancy: 8
; WaveLimiterHint : 0
; COMPUTE_PGM_RSRC2:SCRATCH_EN: 0
; COMPUTE_PGM_RSRC2:USER_SGPR: 6
; COMPUTE_PGM_RSRC2:TRAP_HANDLER: 0
; COMPUTE_PGM_RSRC2:TGID_X_EN: 1
; COMPUTE_PGM_RSRC2:TGID_Y_EN: 0
; COMPUTE_PGM_RSRC2:TGID_Z_EN: 0
; COMPUTE_PGM_RSRC2:TIDIG_COMP_CNT: 0
; COMPUTE_PGM_RSRC3_GFX90A:ACCUM_OFFSET: 0
; COMPUTE_PGM_RSRC3_GFX90A:TG_SPLIT: 0
	.section	.text._ZN7rocprim17ROCPRIM_400000_NS6detail17trampoline_kernelINS0_13select_configILj256ELj13ELNS0_17block_load_methodE3ELS4_3ELS4_3ELNS0_20block_scan_algorithmE0ELj4294967295EEENS1_25partition_config_selectorILNS1_17partition_subalgoE4EjNS0_10empty_typeEbEEZZNS1_14partition_implILS8_4ELb0ES6_15HIP_vector_typeIjLj2EENS0_17counting_iteratorIjlEEPS9_SG_NS0_5tupleIJPjSI_NS0_16reverse_iteratorISI_EEEEENSH_IJSG_SG_SG_EEES9_SI_JZNS1_25segmented_radix_sort_implINS0_14default_configELb1EPKdPdPKlPlN2at6native12_GLOBAL__N_18offset_tEEE10hipError_tPvRmT1_PNSt15iterator_traitsIS12_E10value_typeET2_T3_PNS13_IS18_E10value_typeET4_jRbjT5_S1E_jjP12ihipStream_tbEUljE_ZNSN_ISO_Lb1ESQ_SR_ST_SU_SY_EESZ_S10_S11_S12_S16_S17_S18_S1B_S1C_jS1D_jS1E_S1E_jjS1G_bEUljE0_EEESZ_S10_S11_S18_S1C_S1E_T6_T7_T9_mT8_S1G_bDpT10_ENKUlT_T0_E_clISt17integral_constantIbLb1EES1T_IbLb0EEEEDaS1P_S1Q_EUlS1P_E_NS1_11comp_targetILNS1_3genE2ELNS1_11target_archE906ELNS1_3gpuE6ELNS1_3repE0EEENS1_30default_config_static_selectorELNS0_4arch9wavefront6targetE1EEEvS12_,"axG",@progbits,_ZN7rocprim17ROCPRIM_400000_NS6detail17trampoline_kernelINS0_13select_configILj256ELj13ELNS0_17block_load_methodE3ELS4_3ELS4_3ELNS0_20block_scan_algorithmE0ELj4294967295EEENS1_25partition_config_selectorILNS1_17partition_subalgoE4EjNS0_10empty_typeEbEEZZNS1_14partition_implILS8_4ELb0ES6_15HIP_vector_typeIjLj2EENS0_17counting_iteratorIjlEEPS9_SG_NS0_5tupleIJPjSI_NS0_16reverse_iteratorISI_EEEEENSH_IJSG_SG_SG_EEES9_SI_JZNS1_25segmented_radix_sort_implINS0_14default_configELb1EPKdPdPKlPlN2at6native12_GLOBAL__N_18offset_tEEE10hipError_tPvRmT1_PNSt15iterator_traitsIS12_E10value_typeET2_T3_PNS13_IS18_E10value_typeET4_jRbjT5_S1E_jjP12ihipStream_tbEUljE_ZNSN_ISO_Lb1ESQ_SR_ST_SU_SY_EESZ_S10_S11_S12_S16_S17_S18_S1B_S1C_jS1D_jS1E_S1E_jjS1G_bEUljE0_EEESZ_S10_S11_S18_S1C_S1E_T6_T7_T9_mT8_S1G_bDpT10_ENKUlT_T0_E_clISt17integral_constantIbLb1EES1T_IbLb0EEEEDaS1P_S1Q_EUlS1P_E_NS1_11comp_targetILNS1_3genE2ELNS1_11target_archE906ELNS1_3gpuE6ELNS1_3repE0EEENS1_30default_config_static_selectorELNS0_4arch9wavefront6targetE1EEEvS12_,comdat
	.globl	_ZN7rocprim17ROCPRIM_400000_NS6detail17trampoline_kernelINS0_13select_configILj256ELj13ELNS0_17block_load_methodE3ELS4_3ELS4_3ELNS0_20block_scan_algorithmE0ELj4294967295EEENS1_25partition_config_selectorILNS1_17partition_subalgoE4EjNS0_10empty_typeEbEEZZNS1_14partition_implILS8_4ELb0ES6_15HIP_vector_typeIjLj2EENS0_17counting_iteratorIjlEEPS9_SG_NS0_5tupleIJPjSI_NS0_16reverse_iteratorISI_EEEEENSH_IJSG_SG_SG_EEES9_SI_JZNS1_25segmented_radix_sort_implINS0_14default_configELb1EPKdPdPKlPlN2at6native12_GLOBAL__N_18offset_tEEE10hipError_tPvRmT1_PNSt15iterator_traitsIS12_E10value_typeET2_T3_PNS13_IS18_E10value_typeET4_jRbjT5_S1E_jjP12ihipStream_tbEUljE_ZNSN_ISO_Lb1ESQ_SR_ST_SU_SY_EESZ_S10_S11_S12_S16_S17_S18_S1B_S1C_jS1D_jS1E_S1E_jjS1G_bEUljE0_EEESZ_S10_S11_S18_S1C_S1E_T6_T7_T9_mT8_S1G_bDpT10_ENKUlT_T0_E_clISt17integral_constantIbLb1EES1T_IbLb0EEEEDaS1P_S1Q_EUlS1P_E_NS1_11comp_targetILNS1_3genE2ELNS1_11target_archE906ELNS1_3gpuE6ELNS1_3repE0EEENS1_30default_config_static_selectorELNS0_4arch9wavefront6targetE1EEEvS12_ ; -- Begin function _ZN7rocprim17ROCPRIM_400000_NS6detail17trampoline_kernelINS0_13select_configILj256ELj13ELNS0_17block_load_methodE3ELS4_3ELS4_3ELNS0_20block_scan_algorithmE0ELj4294967295EEENS1_25partition_config_selectorILNS1_17partition_subalgoE4EjNS0_10empty_typeEbEEZZNS1_14partition_implILS8_4ELb0ES6_15HIP_vector_typeIjLj2EENS0_17counting_iteratorIjlEEPS9_SG_NS0_5tupleIJPjSI_NS0_16reverse_iteratorISI_EEEEENSH_IJSG_SG_SG_EEES9_SI_JZNS1_25segmented_radix_sort_implINS0_14default_configELb1EPKdPdPKlPlN2at6native12_GLOBAL__N_18offset_tEEE10hipError_tPvRmT1_PNSt15iterator_traitsIS12_E10value_typeET2_T3_PNS13_IS18_E10value_typeET4_jRbjT5_S1E_jjP12ihipStream_tbEUljE_ZNSN_ISO_Lb1ESQ_SR_ST_SU_SY_EESZ_S10_S11_S12_S16_S17_S18_S1B_S1C_jS1D_jS1E_S1E_jjS1G_bEUljE0_EEESZ_S10_S11_S18_S1C_S1E_T6_T7_T9_mT8_S1G_bDpT10_ENKUlT_T0_E_clISt17integral_constantIbLb1EES1T_IbLb0EEEEDaS1P_S1Q_EUlS1P_E_NS1_11comp_targetILNS1_3genE2ELNS1_11target_archE906ELNS1_3gpuE6ELNS1_3repE0EEENS1_30default_config_static_selectorELNS0_4arch9wavefront6targetE1EEEvS12_
	.p2align	8
	.type	_ZN7rocprim17ROCPRIM_400000_NS6detail17trampoline_kernelINS0_13select_configILj256ELj13ELNS0_17block_load_methodE3ELS4_3ELS4_3ELNS0_20block_scan_algorithmE0ELj4294967295EEENS1_25partition_config_selectorILNS1_17partition_subalgoE4EjNS0_10empty_typeEbEEZZNS1_14partition_implILS8_4ELb0ES6_15HIP_vector_typeIjLj2EENS0_17counting_iteratorIjlEEPS9_SG_NS0_5tupleIJPjSI_NS0_16reverse_iteratorISI_EEEEENSH_IJSG_SG_SG_EEES9_SI_JZNS1_25segmented_radix_sort_implINS0_14default_configELb1EPKdPdPKlPlN2at6native12_GLOBAL__N_18offset_tEEE10hipError_tPvRmT1_PNSt15iterator_traitsIS12_E10value_typeET2_T3_PNS13_IS18_E10value_typeET4_jRbjT5_S1E_jjP12ihipStream_tbEUljE_ZNSN_ISO_Lb1ESQ_SR_ST_SU_SY_EESZ_S10_S11_S12_S16_S17_S18_S1B_S1C_jS1D_jS1E_S1E_jjS1G_bEUljE0_EEESZ_S10_S11_S18_S1C_S1E_T6_T7_T9_mT8_S1G_bDpT10_ENKUlT_T0_E_clISt17integral_constantIbLb1EES1T_IbLb0EEEEDaS1P_S1Q_EUlS1P_E_NS1_11comp_targetILNS1_3genE2ELNS1_11target_archE906ELNS1_3gpuE6ELNS1_3repE0EEENS1_30default_config_static_selectorELNS0_4arch9wavefront6targetE1EEEvS12_,@function
_ZN7rocprim17ROCPRIM_400000_NS6detail17trampoline_kernelINS0_13select_configILj256ELj13ELNS0_17block_load_methodE3ELS4_3ELS4_3ELNS0_20block_scan_algorithmE0ELj4294967295EEENS1_25partition_config_selectorILNS1_17partition_subalgoE4EjNS0_10empty_typeEbEEZZNS1_14partition_implILS8_4ELb0ES6_15HIP_vector_typeIjLj2EENS0_17counting_iteratorIjlEEPS9_SG_NS0_5tupleIJPjSI_NS0_16reverse_iteratorISI_EEEEENSH_IJSG_SG_SG_EEES9_SI_JZNS1_25segmented_radix_sort_implINS0_14default_configELb1EPKdPdPKlPlN2at6native12_GLOBAL__N_18offset_tEEE10hipError_tPvRmT1_PNSt15iterator_traitsIS12_E10value_typeET2_T3_PNS13_IS18_E10value_typeET4_jRbjT5_S1E_jjP12ihipStream_tbEUljE_ZNSN_ISO_Lb1ESQ_SR_ST_SU_SY_EESZ_S10_S11_S12_S16_S17_S18_S1B_S1C_jS1D_jS1E_S1E_jjS1G_bEUljE0_EEESZ_S10_S11_S18_S1C_S1E_T6_T7_T9_mT8_S1G_bDpT10_ENKUlT_T0_E_clISt17integral_constantIbLb1EES1T_IbLb0EEEEDaS1P_S1Q_EUlS1P_E_NS1_11comp_targetILNS1_3genE2ELNS1_11target_archE906ELNS1_3gpuE6ELNS1_3repE0EEENS1_30default_config_static_selectorELNS0_4arch9wavefront6targetE1EEEvS12_: ; @_ZN7rocprim17ROCPRIM_400000_NS6detail17trampoline_kernelINS0_13select_configILj256ELj13ELNS0_17block_load_methodE3ELS4_3ELS4_3ELNS0_20block_scan_algorithmE0ELj4294967295EEENS1_25partition_config_selectorILNS1_17partition_subalgoE4EjNS0_10empty_typeEbEEZZNS1_14partition_implILS8_4ELb0ES6_15HIP_vector_typeIjLj2EENS0_17counting_iteratorIjlEEPS9_SG_NS0_5tupleIJPjSI_NS0_16reverse_iteratorISI_EEEEENSH_IJSG_SG_SG_EEES9_SI_JZNS1_25segmented_radix_sort_implINS0_14default_configELb1EPKdPdPKlPlN2at6native12_GLOBAL__N_18offset_tEEE10hipError_tPvRmT1_PNSt15iterator_traitsIS12_E10value_typeET2_T3_PNS13_IS18_E10value_typeET4_jRbjT5_S1E_jjP12ihipStream_tbEUljE_ZNSN_ISO_Lb1ESQ_SR_ST_SU_SY_EESZ_S10_S11_S12_S16_S17_S18_S1B_S1C_jS1D_jS1E_S1E_jjS1G_bEUljE0_EEESZ_S10_S11_S18_S1C_S1E_T6_T7_T9_mT8_S1G_bDpT10_ENKUlT_T0_E_clISt17integral_constantIbLb1EES1T_IbLb0EEEEDaS1P_S1Q_EUlS1P_E_NS1_11comp_targetILNS1_3genE2ELNS1_11target_archE906ELNS1_3gpuE6ELNS1_3repE0EEENS1_30default_config_static_selectorELNS0_4arch9wavefront6targetE1EEEvS12_
; %bb.0:
	.section	.rodata,"a",@progbits
	.p2align	6, 0x0
	.amdhsa_kernel _ZN7rocprim17ROCPRIM_400000_NS6detail17trampoline_kernelINS0_13select_configILj256ELj13ELNS0_17block_load_methodE3ELS4_3ELS4_3ELNS0_20block_scan_algorithmE0ELj4294967295EEENS1_25partition_config_selectorILNS1_17partition_subalgoE4EjNS0_10empty_typeEbEEZZNS1_14partition_implILS8_4ELb0ES6_15HIP_vector_typeIjLj2EENS0_17counting_iteratorIjlEEPS9_SG_NS0_5tupleIJPjSI_NS0_16reverse_iteratorISI_EEEEENSH_IJSG_SG_SG_EEES9_SI_JZNS1_25segmented_radix_sort_implINS0_14default_configELb1EPKdPdPKlPlN2at6native12_GLOBAL__N_18offset_tEEE10hipError_tPvRmT1_PNSt15iterator_traitsIS12_E10value_typeET2_T3_PNS13_IS18_E10value_typeET4_jRbjT5_S1E_jjP12ihipStream_tbEUljE_ZNSN_ISO_Lb1ESQ_SR_ST_SU_SY_EESZ_S10_S11_S12_S16_S17_S18_S1B_S1C_jS1D_jS1E_S1E_jjS1G_bEUljE0_EEESZ_S10_S11_S18_S1C_S1E_T6_T7_T9_mT8_S1G_bDpT10_ENKUlT_T0_E_clISt17integral_constantIbLb1EES1T_IbLb0EEEEDaS1P_S1Q_EUlS1P_E_NS1_11comp_targetILNS1_3genE2ELNS1_11target_archE906ELNS1_3gpuE6ELNS1_3repE0EEENS1_30default_config_static_selectorELNS0_4arch9wavefront6targetE1EEEvS12_
		.amdhsa_group_segment_fixed_size 0
		.amdhsa_private_segment_fixed_size 0
		.amdhsa_kernarg_size 176
		.amdhsa_user_sgpr_count 6
		.amdhsa_user_sgpr_private_segment_buffer 1
		.amdhsa_user_sgpr_dispatch_ptr 0
		.amdhsa_user_sgpr_queue_ptr 0
		.amdhsa_user_sgpr_kernarg_segment_ptr 1
		.amdhsa_user_sgpr_dispatch_id 0
		.amdhsa_user_sgpr_flat_scratch_init 0
		.amdhsa_user_sgpr_kernarg_preload_length 0
		.amdhsa_user_sgpr_kernarg_preload_offset 0
		.amdhsa_user_sgpr_private_segment_size 0
		.amdhsa_uses_dynamic_stack 0
		.amdhsa_system_sgpr_private_segment_wavefront_offset 0
		.amdhsa_system_sgpr_workgroup_id_x 1
		.amdhsa_system_sgpr_workgroup_id_y 0
		.amdhsa_system_sgpr_workgroup_id_z 0
		.amdhsa_system_sgpr_workgroup_info 0
		.amdhsa_system_vgpr_workitem_id 0
		.amdhsa_next_free_vgpr 1
		.amdhsa_next_free_sgpr 0
		.amdhsa_accum_offset 4
		.amdhsa_reserve_vcc 0
		.amdhsa_reserve_flat_scratch 0
		.amdhsa_float_round_mode_32 0
		.amdhsa_float_round_mode_16_64 0
		.amdhsa_float_denorm_mode_32 3
		.amdhsa_float_denorm_mode_16_64 3
		.amdhsa_dx10_clamp 1
		.amdhsa_ieee_mode 1
		.amdhsa_fp16_overflow 0
		.amdhsa_tg_split 0
		.amdhsa_exception_fp_ieee_invalid_op 0
		.amdhsa_exception_fp_denorm_src 0
		.amdhsa_exception_fp_ieee_div_zero 0
		.amdhsa_exception_fp_ieee_overflow 0
		.amdhsa_exception_fp_ieee_underflow 0
		.amdhsa_exception_fp_ieee_inexact 0
		.amdhsa_exception_int_div_zero 0
	.end_amdhsa_kernel
	.section	.text._ZN7rocprim17ROCPRIM_400000_NS6detail17trampoline_kernelINS0_13select_configILj256ELj13ELNS0_17block_load_methodE3ELS4_3ELS4_3ELNS0_20block_scan_algorithmE0ELj4294967295EEENS1_25partition_config_selectorILNS1_17partition_subalgoE4EjNS0_10empty_typeEbEEZZNS1_14partition_implILS8_4ELb0ES6_15HIP_vector_typeIjLj2EENS0_17counting_iteratorIjlEEPS9_SG_NS0_5tupleIJPjSI_NS0_16reverse_iteratorISI_EEEEENSH_IJSG_SG_SG_EEES9_SI_JZNS1_25segmented_radix_sort_implINS0_14default_configELb1EPKdPdPKlPlN2at6native12_GLOBAL__N_18offset_tEEE10hipError_tPvRmT1_PNSt15iterator_traitsIS12_E10value_typeET2_T3_PNS13_IS18_E10value_typeET4_jRbjT5_S1E_jjP12ihipStream_tbEUljE_ZNSN_ISO_Lb1ESQ_SR_ST_SU_SY_EESZ_S10_S11_S12_S16_S17_S18_S1B_S1C_jS1D_jS1E_S1E_jjS1G_bEUljE0_EEESZ_S10_S11_S18_S1C_S1E_T6_T7_T9_mT8_S1G_bDpT10_ENKUlT_T0_E_clISt17integral_constantIbLb1EES1T_IbLb0EEEEDaS1P_S1Q_EUlS1P_E_NS1_11comp_targetILNS1_3genE2ELNS1_11target_archE906ELNS1_3gpuE6ELNS1_3repE0EEENS1_30default_config_static_selectorELNS0_4arch9wavefront6targetE1EEEvS12_,"axG",@progbits,_ZN7rocprim17ROCPRIM_400000_NS6detail17trampoline_kernelINS0_13select_configILj256ELj13ELNS0_17block_load_methodE3ELS4_3ELS4_3ELNS0_20block_scan_algorithmE0ELj4294967295EEENS1_25partition_config_selectorILNS1_17partition_subalgoE4EjNS0_10empty_typeEbEEZZNS1_14partition_implILS8_4ELb0ES6_15HIP_vector_typeIjLj2EENS0_17counting_iteratorIjlEEPS9_SG_NS0_5tupleIJPjSI_NS0_16reverse_iteratorISI_EEEEENSH_IJSG_SG_SG_EEES9_SI_JZNS1_25segmented_radix_sort_implINS0_14default_configELb1EPKdPdPKlPlN2at6native12_GLOBAL__N_18offset_tEEE10hipError_tPvRmT1_PNSt15iterator_traitsIS12_E10value_typeET2_T3_PNS13_IS18_E10value_typeET4_jRbjT5_S1E_jjP12ihipStream_tbEUljE_ZNSN_ISO_Lb1ESQ_SR_ST_SU_SY_EESZ_S10_S11_S12_S16_S17_S18_S1B_S1C_jS1D_jS1E_S1E_jjS1G_bEUljE0_EEESZ_S10_S11_S18_S1C_S1E_T6_T7_T9_mT8_S1G_bDpT10_ENKUlT_T0_E_clISt17integral_constantIbLb1EES1T_IbLb0EEEEDaS1P_S1Q_EUlS1P_E_NS1_11comp_targetILNS1_3genE2ELNS1_11target_archE906ELNS1_3gpuE6ELNS1_3repE0EEENS1_30default_config_static_selectorELNS0_4arch9wavefront6targetE1EEEvS12_,comdat
.Lfunc_end1072:
	.size	_ZN7rocprim17ROCPRIM_400000_NS6detail17trampoline_kernelINS0_13select_configILj256ELj13ELNS0_17block_load_methodE3ELS4_3ELS4_3ELNS0_20block_scan_algorithmE0ELj4294967295EEENS1_25partition_config_selectorILNS1_17partition_subalgoE4EjNS0_10empty_typeEbEEZZNS1_14partition_implILS8_4ELb0ES6_15HIP_vector_typeIjLj2EENS0_17counting_iteratorIjlEEPS9_SG_NS0_5tupleIJPjSI_NS0_16reverse_iteratorISI_EEEEENSH_IJSG_SG_SG_EEES9_SI_JZNS1_25segmented_radix_sort_implINS0_14default_configELb1EPKdPdPKlPlN2at6native12_GLOBAL__N_18offset_tEEE10hipError_tPvRmT1_PNSt15iterator_traitsIS12_E10value_typeET2_T3_PNS13_IS18_E10value_typeET4_jRbjT5_S1E_jjP12ihipStream_tbEUljE_ZNSN_ISO_Lb1ESQ_SR_ST_SU_SY_EESZ_S10_S11_S12_S16_S17_S18_S1B_S1C_jS1D_jS1E_S1E_jjS1G_bEUljE0_EEESZ_S10_S11_S18_S1C_S1E_T6_T7_T9_mT8_S1G_bDpT10_ENKUlT_T0_E_clISt17integral_constantIbLb1EES1T_IbLb0EEEEDaS1P_S1Q_EUlS1P_E_NS1_11comp_targetILNS1_3genE2ELNS1_11target_archE906ELNS1_3gpuE6ELNS1_3repE0EEENS1_30default_config_static_selectorELNS0_4arch9wavefront6targetE1EEEvS12_, .Lfunc_end1072-_ZN7rocprim17ROCPRIM_400000_NS6detail17trampoline_kernelINS0_13select_configILj256ELj13ELNS0_17block_load_methodE3ELS4_3ELS4_3ELNS0_20block_scan_algorithmE0ELj4294967295EEENS1_25partition_config_selectorILNS1_17partition_subalgoE4EjNS0_10empty_typeEbEEZZNS1_14partition_implILS8_4ELb0ES6_15HIP_vector_typeIjLj2EENS0_17counting_iteratorIjlEEPS9_SG_NS0_5tupleIJPjSI_NS0_16reverse_iteratorISI_EEEEENSH_IJSG_SG_SG_EEES9_SI_JZNS1_25segmented_radix_sort_implINS0_14default_configELb1EPKdPdPKlPlN2at6native12_GLOBAL__N_18offset_tEEE10hipError_tPvRmT1_PNSt15iterator_traitsIS12_E10value_typeET2_T3_PNS13_IS18_E10value_typeET4_jRbjT5_S1E_jjP12ihipStream_tbEUljE_ZNSN_ISO_Lb1ESQ_SR_ST_SU_SY_EESZ_S10_S11_S12_S16_S17_S18_S1B_S1C_jS1D_jS1E_S1E_jjS1G_bEUljE0_EEESZ_S10_S11_S18_S1C_S1E_T6_T7_T9_mT8_S1G_bDpT10_ENKUlT_T0_E_clISt17integral_constantIbLb1EES1T_IbLb0EEEEDaS1P_S1Q_EUlS1P_E_NS1_11comp_targetILNS1_3genE2ELNS1_11target_archE906ELNS1_3gpuE6ELNS1_3repE0EEENS1_30default_config_static_selectorELNS0_4arch9wavefront6targetE1EEEvS12_
                                        ; -- End function
	.section	.AMDGPU.csdata,"",@progbits
; Kernel info:
; codeLenInByte = 0
; NumSgprs: 4
; NumVgprs: 0
; NumAgprs: 0
; TotalNumVgprs: 0
; ScratchSize: 0
; MemoryBound: 0
; FloatMode: 240
; IeeeMode: 1
; LDSByteSize: 0 bytes/workgroup (compile time only)
; SGPRBlocks: 0
; VGPRBlocks: 0
; NumSGPRsForWavesPerEU: 4
; NumVGPRsForWavesPerEU: 1
; AccumOffset: 4
; Occupancy: 8
; WaveLimiterHint : 0
; COMPUTE_PGM_RSRC2:SCRATCH_EN: 0
; COMPUTE_PGM_RSRC2:USER_SGPR: 6
; COMPUTE_PGM_RSRC2:TRAP_HANDLER: 0
; COMPUTE_PGM_RSRC2:TGID_X_EN: 1
; COMPUTE_PGM_RSRC2:TGID_Y_EN: 0
; COMPUTE_PGM_RSRC2:TGID_Z_EN: 0
; COMPUTE_PGM_RSRC2:TIDIG_COMP_CNT: 0
; COMPUTE_PGM_RSRC3_GFX90A:ACCUM_OFFSET: 0
; COMPUTE_PGM_RSRC3_GFX90A:TG_SPLIT: 0
	.section	.text._ZN7rocprim17ROCPRIM_400000_NS6detail17trampoline_kernelINS0_13select_configILj256ELj13ELNS0_17block_load_methodE3ELS4_3ELS4_3ELNS0_20block_scan_algorithmE0ELj4294967295EEENS1_25partition_config_selectorILNS1_17partition_subalgoE4EjNS0_10empty_typeEbEEZZNS1_14partition_implILS8_4ELb0ES6_15HIP_vector_typeIjLj2EENS0_17counting_iteratorIjlEEPS9_SG_NS0_5tupleIJPjSI_NS0_16reverse_iteratorISI_EEEEENSH_IJSG_SG_SG_EEES9_SI_JZNS1_25segmented_radix_sort_implINS0_14default_configELb1EPKdPdPKlPlN2at6native12_GLOBAL__N_18offset_tEEE10hipError_tPvRmT1_PNSt15iterator_traitsIS12_E10value_typeET2_T3_PNS13_IS18_E10value_typeET4_jRbjT5_S1E_jjP12ihipStream_tbEUljE_ZNSN_ISO_Lb1ESQ_SR_ST_SU_SY_EESZ_S10_S11_S12_S16_S17_S18_S1B_S1C_jS1D_jS1E_S1E_jjS1G_bEUljE0_EEESZ_S10_S11_S18_S1C_S1E_T6_T7_T9_mT8_S1G_bDpT10_ENKUlT_T0_E_clISt17integral_constantIbLb1EES1T_IbLb0EEEEDaS1P_S1Q_EUlS1P_E_NS1_11comp_targetILNS1_3genE10ELNS1_11target_archE1200ELNS1_3gpuE4ELNS1_3repE0EEENS1_30default_config_static_selectorELNS0_4arch9wavefront6targetE1EEEvS12_,"axG",@progbits,_ZN7rocprim17ROCPRIM_400000_NS6detail17trampoline_kernelINS0_13select_configILj256ELj13ELNS0_17block_load_methodE3ELS4_3ELS4_3ELNS0_20block_scan_algorithmE0ELj4294967295EEENS1_25partition_config_selectorILNS1_17partition_subalgoE4EjNS0_10empty_typeEbEEZZNS1_14partition_implILS8_4ELb0ES6_15HIP_vector_typeIjLj2EENS0_17counting_iteratorIjlEEPS9_SG_NS0_5tupleIJPjSI_NS0_16reverse_iteratorISI_EEEEENSH_IJSG_SG_SG_EEES9_SI_JZNS1_25segmented_radix_sort_implINS0_14default_configELb1EPKdPdPKlPlN2at6native12_GLOBAL__N_18offset_tEEE10hipError_tPvRmT1_PNSt15iterator_traitsIS12_E10value_typeET2_T3_PNS13_IS18_E10value_typeET4_jRbjT5_S1E_jjP12ihipStream_tbEUljE_ZNSN_ISO_Lb1ESQ_SR_ST_SU_SY_EESZ_S10_S11_S12_S16_S17_S18_S1B_S1C_jS1D_jS1E_S1E_jjS1G_bEUljE0_EEESZ_S10_S11_S18_S1C_S1E_T6_T7_T9_mT8_S1G_bDpT10_ENKUlT_T0_E_clISt17integral_constantIbLb1EES1T_IbLb0EEEEDaS1P_S1Q_EUlS1P_E_NS1_11comp_targetILNS1_3genE10ELNS1_11target_archE1200ELNS1_3gpuE4ELNS1_3repE0EEENS1_30default_config_static_selectorELNS0_4arch9wavefront6targetE1EEEvS12_,comdat
	.globl	_ZN7rocprim17ROCPRIM_400000_NS6detail17trampoline_kernelINS0_13select_configILj256ELj13ELNS0_17block_load_methodE3ELS4_3ELS4_3ELNS0_20block_scan_algorithmE0ELj4294967295EEENS1_25partition_config_selectorILNS1_17partition_subalgoE4EjNS0_10empty_typeEbEEZZNS1_14partition_implILS8_4ELb0ES6_15HIP_vector_typeIjLj2EENS0_17counting_iteratorIjlEEPS9_SG_NS0_5tupleIJPjSI_NS0_16reverse_iteratorISI_EEEEENSH_IJSG_SG_SG_EEES9_SI_JZNS1_25segmented_radix_sort_implINS0_14default_configELb1EPKdPdPKlPlN2at6native12_GLOBAL__N_18offset_tEEE10hipError_tPvRmT1_PNSt15iterator_traitsIS12_E10value_typeET2_T3_PNS13_IS18_E10value_typeET4_jRbjT5_S1E_jjP12ihipStream_tbEUljE_ZNSN_ISO_Lb1ESQ_SR_ST_SU_SY_EESZ_S10_S11_S12_S16_S17_S18_S1B_S1C_jS1D_jS1E_S1E_jjS1G_bEUljE0_EEESZ_S10_S11_S18_S1C_S1E_T6_T7_T9_mT8_S1G_bDpT10_ENKUlT_T0_E_clISt17integral_constantIbLb1EES1T_IbLb0EEEEDaS1P_S1Q_EUlS1P_E_NS1_11comp_targetILNS1_3genE10ELNS1_11target_archE1200ELNS1_3gpuE4ELNS1_3repE0EEENS1_30default_config_static_selectorELNS0_4arch9wavefront6targetE1EEEvS12_ ; -- Begin function _ZN7rocprim17ROCPRIM_400000_NS6detail17trampoline_kernelINS0_13select_configILj256ELj13ELNS0_17block_load_methodE3ELS4_3ELS4_3ELNS0_20block_scan_algorithmE0ELj4294967295EEENS1_25partition_config_selectorILNS1_17partition_subalgoE4EjNS0_10empty_typeEbEEZZNS1_14partition_implILS8_4ELb0ES6_15HIP_vector_typeIjLj2EENS0_17counting_iteratorIjlEEPS9_SG_NS0_5tupleIJPjSI_NS0_16reverse_iteratorISI_EEEEENSH_IJSG_SG_SG_EEES9_SI_JZNS1_25segmented_radix_sort_implINS0_14default_configELb1EPKdPdPKlPlN2at6native12_GLOBAL__N_18offset_tEEE10hipError_tPvRmT1_PNSt15iterator_traitsIS12_E10value_typeET2_T3_PNS13_IS18_E10value_typeET4_jRbjT5_S1E_jjP12ihipStream_tbEUljE_ZNSN_ISO_Lb1ESQ_SR_ST_SU_SY_EESZ_S10_S11_S12_S16_S17_S18_S1B_S1C_jS1D_jS1E_S1E_jjS1G_bEUljE0_EEESZ_S10_S11_S18_S1C_S1E_T6_T7_T9_mT8_S1G_bDpT10_ENKUlT_T0_E_clISt17integral_constantIbLb1EES1T_IbLb0EEEEDaS1P_S1Q_EUlS1P_E_NS1_11comp_targetILNS1_3genE10ELNS1_11target_archE1200ELNS1_3gpuE4ELNS1_3repE0EEENS1_30default_config_static_selectorELNS0_4arch9wavefront6targetE1EEEvS12_
	.p2align	8
	.type	_ZN7rocprim17ROCPRIM_400000_NS6detail17trampoline_kernelINS0_13select_configILj256ELj13ELNS0_17block_load_methodE3ELS4_3ELS4_3ELNS0_20block_scan_algorithmE0ELj4294967295EEENS1_25partition_config_selectorILNS1_17partition_subalgoE4EjNS0_10empty_typeEbEEZZNS1_14partition_implILS8_4ELb0ES6_15HIP_vector_typeIjLj2EENS0_17counting_iteratorIjlEEPS9_SG_NS0_5tupleIJPjSI_NS0_16reverse_iteratorISI_EEEEENSH_IJSG_SG_SG_EEES9_SI_JZNS1_25segmented_radix_sort_implINS0_14default_configELb1EPKdPdPKlPlN2at6native12_GLOBAL__N_18offset_tEEE10hipError_tPvRmT1_PNSt15iterator_traitsIS12_E10value_typeET2_T3_PNS13_IS18_E10value_typeET4_jRbjT5_S1E_jjP12ihipStream_tbEUljE_ZNSN_ISO_Lb1ESQ_SR_ST_SU_SY_EESZ_S10_S11_S12_S16_S17_S18_S1B_S1C_jS1D_jS1E_S1E_jjS1G_bEUljE0_EEESZ_S10_S11_S18_S1C_S1E_T6_T7_T9_mT8_S1G_bDpT10_ENKUlT_T0_E_clISt17integral_constantIbLb1EES1T_IbLb0EEEEDaS1P_S1Q_EUlS1P_E_NS1_11comp_targetILNS1_3genE10ELNS1_11target_archE1200ELNS1_3gpuE4ELNS1_3repE0EEENS1_30default_config_static_selectorELNS0_4arch9wavefront6targetE1EEEvS12_,@function
_ZN7rocprim17ROCPRIM_400000_NS6detail17trampoline_kernelINS0_13select_configILj256ELj13ELNS0_17block_load_methodE3ELS4_3ELS4_3ELNS0_20block_scan_algorithmE0ELj4294967295EEENS1_25partition_config_selectorILNS1_17partition_subalgoE4EjNS0_10empty_typeEbEEZZNS1_14partition_implILS8_4ELb0ES6_15HIP_vector_typeIjLj2EENS0_17counting_iteratorIjlEEPS9_SG_NS0_5tupleIJPjSI_NS0_16reverse_iteratorISI_EEEEENSH_IJSG_SG_SG_EEES9_SI_JZNS1_25segmented_radix_sort_implINS0_14default_configELb1EPKdPdPKlPlN2at6native12_GLOBAL__N_18offset_tEEE10hipError_tPvRmT1_PNSt15iterator_traitsIS12_E10value_typeET2_T3_PNS13_IS18_E10value_typeET4_jRbjT5_S1E_jjP12ihipStream_tbEUljE_ZNSN_ISO_Lb1ESQ_SR_ST_SU_SY_EESZ_S10_S11_S12_S16_S17_S18_S1B_S1C_jS1D_jS1E_S1E_jjS1G_bEUljE0_EEESZ_S10_S11_S18_S1C_S1E_T6_T7_T9_mT8_S1G_bDpT10_ENKUlT_T0_E_clISt17integral_constantIbLb1EES1T_IbLb0EEEEDaS1P_S1Q_EUlS1P_E_NS1_11comp_targetILNS1_3genE10ELNS1_11target_archE1200ELNS1_3gpuE4ELNS1_3repE0EEENS1_30default_config_static_selectorELNS0_4arch9wavefront6targetE1EEEvS12_: ; @_ZN7rocprim17ROCPRIM_400000_NS6detail17trampoline_kernelINS0_13select_configILj256ELj13ELNS0_17block_load_methodE3ELS4_3ELS4_3ELNS0_20block_scan_algorithmE0ELj4294967295EEENS1_25partition_config_selectorILNS1_17partition_subalgoE4EjNS0_10empty_typeEbEEZZNS1_14partition_implILS8_4ELb0ES6_15HIP_vector_typeIjLj2EENS0_17counting_iteratorIjlEEPS9_SG_NS0_5tupleIJPjSI_NS0_16reverse_iteratorISI_EEEEENSH_IJSG_SG_SG_EEES9_SI_JZNS1_25segmented_radix_sort_implINS0_14default_configELb1EPKdPdPKlPlN2at6native12_GLOBAL__N_18offset_tEEE10hipError_tPvRmT1_PNSt15iterator_traitsIS12_E10value_typeET2_T3_PNS13_IS18_E10value_typeET4_jRbjT5_S1E_jjP12ihipStream_tbEUljE_ZNSN_ISO_Lb1ESQ_SR_ST_SU_SY_EESZ_S10_S11_S12_S16_S17_S18_S1B_S1C_jS1D_jS1E_S1E_jjS1G_bEUljE0_EEESZ_S10_S11_S18_S1C_S1E_T6_T7_T9_mT8_S1G_bDpT10_ENKUlT_T0_E_clISt17integral_constantIbLb1EES1T_IbLb0EEEEDaS1P_S1Q_EUlS1P_E_NS1_11comp_targetILNS1_3genE10ELNS1_11target_archE1200ELNS1_3gpuE4ELNS1_3repE0EEENS1_30default_config_static_selectorELNS0_4arch9wavefront6targetE1EEEvS12_
; %bb.0:
	.section	.rodata,"a",@progbits
	.p2align	6, 0x0
	.amdhsa_kernel _ZN7rocprim17ROCPRIM_400000_NS6detail17trampoline_kernelINS0_13select_configILj256ELj13ELNS0_17block_load_methodE3ELS4_3ELS4_3ELNS0_20block_scan_algorithmE0ELj4294967295EEENS1_25partition_config_selectorILNS1_17partition_subalgoE4EjNS0_10empty_typeEbEEZZNS1_14partition_implILS8_4ELb0ES6_15HIP_vector_typeIjLj2EENS0_17counting_iteratorIjlEEPS9_SG_NS0_5tupleIJPjSI_NS0_16reverse_iteratorISI_EEEEENSH_IJSG_SG_SG_EEES9_SI_JZNS1_25segmented_radix_sort_implINS0_14default_configELb1EPKdPdPKlPlN2at6native12_GLOBAL__N_18offset_tEEE10hipError_tPvRmT1_PNSt15iterator_traitsIS12_E10value_typeET2_T3_PNS13_IS18_E10value_typeET4_jRbjT5_S1E_jjP12ihipStream_tbEUljE_ZNSN_ISO_Lb1ESQ_SR_ST_SU_SY_EESZ_S10_S11_S12_S16_S17_S18_S1B_S1C_jS1D_jS1E_S1E_jjS1G_bEUljE0_EEESZ_S10_S11_S18_S1C_S1E_T6_T7_T9_mT8_S1G_bDpT10_ENKUlT_T0_E_clISt17integral_constantIbLb1EES1T_IbLb0EEEEDaS1P_S1Q_EUlS1P_E_NS1_11comp_targetILNS1_3genE10ELNS1_11target_archE1200ELNS1_3gpuE4ELNS1_3repE0EEENS1_30default_config_static_selectorELNS0_4arch9wavefront6targetE1EEEvS12_
		.amdhsa_group_segment_fixed_size 0
		.amdhsa_private_segment_fixed_size 0
		.amdhsa_kernarg_size 176
		.amdhsa_user_sgpr_count 6
		.amdhsa_user_sgpr_private_segment_buffer 1
		.amdhsa_user_sgpr_dispatch_ptr 0
		.amdhsa_user_sgpr_queue_ptr 0
		.amdhsa_user_sgpr_kernarg_segment_ptr 1
		.amdhsa_user_sgpr_dispatch_id 0
		.amdhsa_user_sgpr_flat_scratch_init 0
		.amdhsa_user_sgpr_kernarg_preload_length 0
		.amdhsa_user_sgpr_kernarg_preload_offset 0
		.amdhsa_user_sgpr_private_segment_size 0
		.amdhsa_uses_dynamic_stack 0
		.amdhsa_system_sgpr_private_segment_wavefront_offset 0
		.amdhsa_system_sgpr_workgroup_id_x 1
		.amdhsa_system_sgpr_workgroup_id_y 0
		.amdhsa_system_sgpr_workgroup_id_z 0
		.amdhsa_system_sgpr_workgroup_info 0
		.amdhsa_system_vgpr_workitem_id 0
		.amdhsa_next_free_vgpr 1
		.amdhsa_next_free_sgpr 0
		.amdhsa_accum_offset 4
		.amdhsa_reserve_vcc 0
		.amdhsa_reserve_flat_scratch 0
		.amdhsa_float_round_mode_32 0
		.amdhsa_float_round_mode_16_64 0
		.amdhsa_float_denorm_mode_32 3
		.amdhsa_float_denorm_mode_16_64 3
		.amdhsa_dx10_clamp 1
		.amdhsa_ieee_mode 1
		.amdhsa_fp16_overflow 0
		.amdhsa_tg_split 0
		.amdhsa_exception_fp_ieee_invalid_op 0
		.amdhsa_exception_fp_denorm_src 0
		.amdhsa_exception_fp_ieee_div_zero 0
		.amdhsa_exception_fp_ieee_overflow 0
		.amdhsa_exception_fp_ieee_underflow 0
		.amdhsa_exception_fp_ieee_inexact 0
		.amdhsa_exception_int_div_zero 0
	.end_amdhsa_kernel
	.section	.text._ZN7rocprim17ROCPRIM_400000_NS6detail17trampoline_kernelINS0_13select_configILj256ELj13ELNS0_17block_load_methodE3ELS4_3ELS4_3ELNS0_20block_scan_algorithmE0ELj4294967295EEENS1_25partition_config_selectorILNS1_17partition_subalgoE4EjNS0_10empty_typeEbEEZZNS1_14partition_implILS8_4ELb0ES6_15HIP_vector_typeIjLj2EENS0_17counting_iteratorIjlEEPS9_SG_NS0_5tupleIJPjSI_NS0_16reverse_iteratorISI_EEEEENSH_IJSG_SG_SG_EEES9_SI_JZNS1_25segmented_radix_sort_implINS0_14default_configELb1EPKdPdPKlPlN2at6native12_GLOBAL__N_18offset_tEEE10hipError_tPvRmT1_PNSt15iterator_traitsIS12_E10value_typeET2_T3_PNS13_IS18_E10value_typeET4_jRbjT5_S1E_jjP12ihipStream_tbEUljE_ZNSN_ISO_Lb1ESQ_SR_ST_SU_SY_EESZ_S10_S11_S12_S16_S17_S18_S1B_S1C_jS1D_jS1E_S1E_jjS1G_bEUljE0_EEESZ_S10_S11_S18_S1C_S1E_T6_T7_T9_mT8_S1G_bDpT10_ENKUlT_T0_E_clISt17integral_constantIbLb1EES1T_IbLb0EEEEDaS1P_S1Q_EUlS1P_E_NS1_11comp_targetILNS1_3genE10ELNS1_11target_archE1200ELNS1_3gpuE4ELNS1_3repE0EEENS1_30default_config_static_selectorELNS0_4arch9wavefront6targetE1EEEvS12_,"axG",@progbits,_ZN7rocprim17ROCPRIM_400000_NS6detail17trampoline_kernelINS0_13select_configILj256ELj13ELNS0_17block_load_methodE3ELS4_3ELS4_3ELNS0_20block_scan_algorithmE0ELj4294967295EEENS1_25partition_config_selectorILNS1_17partition_subalgoE4EjNS0_10empty_typeEbEEZZNS1_14partition_implILS8_4ELb0ES6_15HIP_vector_typeIjLj2EENS0_17counting_iteratorIjlEEPS9_SG_NS0_5tupleIJPjSI_NS0_16reverse_iteratorISI_EEEEENSH_IJSG_SG_SG_EEES9_SI_JZNS1_25segmented_radix_sort_implINS0_14default_configELb1EPKdPdPKlPlN2at6native12_GLOBAL__N_18offset_tEEE10hipError_tPvRmT1_PNSt15iterator_traitsIS12_E10value_typeET2_T3_PNS13_IS18_E10value_typeET4_jRbjT5_S1E_jjP12ihipStream_tbEUljE_ZNSN_ISO_Lb1ESQ_SR_ST_SU_SY_EESZ_S10_S11_S12_S16_S17_S18_S1B_S1C_jS1D_jS1E_S1E_jjS1G_bEUljE0_EEESZ_S10_S11_S18_S1C_S1E_T6_T7_T9_mT8_S1G_bDpT10_ENKUlT_T0_E_clISt17integral_constantIbLb1EES1T_IbLb0EEEEDaS1P_S1Q_EUlS1P_E_NS1_11comp_targetILNS1_3genE10ELNS1_11target_archE1200ELNS1_3gpuE4ELNS1_3repE0EEENS1_30default_config_static_selectorELNS0_4arch9wavefront6targetE1EEEvS12_,comdat
.Lfunc_end1073:
	.size	_ZN7rocprim17ROCPRIM_400000_NS6detail17trampoline_kernelINS0_13select_configILj256ELj13ELNS0_17block_load_methodE3ELS4_3ELS4_3ELNS0_20block_scan_algorithmE0ELj4294967295EEENS1_25partition_config_selectorILNS1_17partition_subalgoE4EjNS0_10empty_typeEbEEZZNS1_14partition_implILS8_4ELb0ES6_15HIP_vector_typeIjLj2EENS0_17counting_iteratorIjlEEPS9_SG_NS0_5tupleIJPjSI_NS0_16reverse_iteratorISI_EEEEENSH_IJSG_SG_SG_EEES9_SI_JZNS1_25segmented_radix_sort_implINS0_14default_configELb1EPKdPdPKlPlN2at6native12_GLOBAL__N_18offset_tEEE10hipError_tPvRmT1_PNSt15iterator_traitsIS12_E10value_typeET2_T3_PNS13_IS18_E10value_typeET4_jRbjT5_S1E_jjP12ihipStream_tbEUljE_ZNSN_ISO_Lb1ESQ_SR_ST_SU_SY_EESZ_S10_S11_S12_S16_S17_S18_S1B_S1C_jS1D_jS1E_S1E_jjS1G_bEUljE0_EEESZ_S10_S11_S18_S1C_S1E_T6_T7_T9_mT8_S1G_bDpT10_ENKUlT_T0_E_clISt17integral_constantIbLb1EES1T_IbLb0EEEEDaS1P_S1Q_EUlS1P_E_NS1_11comp_targetILNS1_3genE10ELNS1_11target_archE1200ELNS1_3gpuE4ELNS1_3repE0EEENS1_30default_config_static_selectorELNS0_4arch9wavefront6targetE1EEEvS12_, .Lfunc_end1073-_ZN7rocprim17ROCPRIM_400000_NS6detail17trampoline_kernelINS0_13select_configILj256ELj13ELNS0_17block_load_methodE3ELS4_3ELS4_3ELNS0_20block_scan_algorithmE0ELj4294967295EEENS1_25partition_config_selectorILNS1_17partition_subalgoE4EjNS0_10empty_typeEbEEZZNS1_14partition_implILS8_4ELb0ES6_15HIP_vector_typeIjLj2EENS0_17counting_iteratorIjlEEPS9_SG_NS0_5tupleIJPjSI_NS0_16reverse_iteratorISI_EEEEENSH_IJSG_SG_SG_EEES9_SI_JZNS1_25segmented_radix_sort_implINS0_14default_configELb1EPKdPdPKlPlN2at6native12_GLOBAL__N_18offset_tEEE10hipError_tPvRmT1_PNSt15iterator_traitsIS12_E10value_typeET2_T3_PNS13_IS18_E10value_typeET4_jRbjT5_S1E_jjP12ihipStream_tbEUljE_ZNSN_ISO_Lb1ESQ_SR_ST_SU_SY_EESZ_S10_S11_S12_S16_S17_S18_S1B_S1C_jS1D_jS1E_S1E_jjS1G_bEUljE0_EEESZ_S10_S11_S18_S1C_S1E_T6_T7_T9_mT8_S1G_bDpT10_ENKUlT_T0_E_clISt17integral_constantIbLb1EES1T_IbLb0EEEEDaS1P_S1Q_EUlS1P_E_NS1_11comp_targetILNS1_3genE10ELNS1_11target_archE1200ELNS1_3gpuE4ELNS1_3repE0EEENS1_30default_config_static_selectorELNS0_4arch9wavefront6targetE1EEEvS12_
                                        ; -- End function
	.section	.AMDGPU.csdata,"",@progbits
; Kernel info:
; codeLenInByte = 0
; NumSgprs: 4
; NumVgprs: 0
; NumAgprs: 0
; TotalNumVgprs: 0
; ScratchSize: 0
; MemoryBound: 0
; FloatMode: 240
; IeeeMode: 1
; LDSByteSize: 0 bytes/workgroup (compile time only)
; SGPRBlocks: 0
; VGPRBlocks: 0
; NumSGPRsForWavesPerEU: 4
; NumVGPRsForWavesPerEU: 1
; AccumOffset: 4
; Occupancy: 8
; WaveLimiterHint : 0
; COMPUTE_PGM_RSRC2:SCRATCH_EN: 0
; COMPUTE_PGM_RSRC2:USER_SGPR: 6
; COMPUTE_PGM_RSRC2:TRAP_HANDLER: 0
; COMPUTE_PGM_RSRC2:TGID_X_EN: 1
; COMPUTE_PGM_RSRC2:TGID_Y_EN: 0
; COMPUTE_PGM_RSRC2:TGID_Z_EN: 0
; COMPUTE_PGM_RSRC2:TIDIG_COMP_CNT: 0
; COMPUTE_PGM_RSRC3_GFX90A:ACCUM_OFFSET: 0
; COMPUTE_PGM_RSRC3_GFX90A:TG_SPLIT: 0
	.section	.text._ZN7rocprim17ROCPRIM_400000_NS6detail17trampoline_kernelINS0_13select_configILj256ELj13ELNS0_17block_load_methodE3ELS4_3ELS4_3ELNS0_20block_scan_algorithmE0ELj4294967295EEENS1_25partition_config_selectorILNS1_17partition_subalgoE4EjNS0_10empty_typeEbEEZZNS1_14partition_implILS8_4ELb0ES6_15HIP_vector_typeIjLj2EENS0_17counting_iteratorIjlEEPS9_SG_NS0_5tupleIJPjSI_NS0_16reverse_iteratorISI_EEEEENSH_IJSG_SG_SG_EEES9_SI_JZNS1_25segmented_radix_sort_implINS0_14default_configELb1EPKdPdPKlPlN2at6native12_GLOBAL__N_18offset_tEEE10hipError_tPvRmT1_PNSt15iterator_traitsIS12_E10value_typeET2_T3_PNS13_IS18_E10value_typeET4_jRbjT5_S1E_jjP12ihipStream_tbEUljE_ZNSN_ISO_Lb1ESQ_SR_ST_SU_SY_EESZ_S10_S11_S12_S16_S17_S18_S1B_S1C_jS1D_jS1E_S1E_jjS1G_bEUljE0_EEESZ_S10_S11_S18_S1C_S1E_T6_T7_T9_mT8_S1G_bDpT10_ENKUlT_T0_E_clISt17integral_constantIbLb1EES1T_IbLb0EEEEDaS1P_S1Q_EUlS1P_E_NS1_11comp_targetILNS1_3genE9ELNS1_11target_archE1100ELNS1_3gpuE3ELNS1_3repE0EEENS1_30default_config_static_selectorELNS0_4arch9wavefront6targetE1EEEvS12_,"axG",@progbits,_ZN7rocprim17ROCPRIM_400000_NS6detail17trampoline_kernelINS0_13select_configILj256ELj13ELNS0_17block_load_methodE3ELS4_3ELS4_3ELNS0_20block_scan_algorithmE0ELj4294967295EEENS1_25partition_config_selectorILNS1_17partition_subalgoE4EjNS0_10empty_typeEbEEZZNS1_14partition_implILS8_4ELb0ES6_15HIP_vector_typeIjLj2EENS0_17counting_iteratorIjlEEPS9_SG_NS0_5tupleIJPjSI_NS0_16reverse_iteratorISI_EEEEENSH_IJSG_SG_SG_EEES9_SI_JZNS1_25segmented_radix_sort_implINS0_14default_configELb1EPKdPdPKlPlN2at6native12_GLOBAL__N_18offset_tEEE10hipError_tPvRmT1_PNSt15iterator_traitsIS12_E10value_typeET2_T3_PNS13_IS18_E10value_typeET4_jRbjT5_S1E_jjP12ihipStream_tbEUljE_ZNSN_ISO_Lb1ESQ_SR_ST_SU_SY_EESZ_S10_S11_S12_S16_S17_S18_S1B_S1C_jS1D_jS1E_S1E_jjS1G_bEUljE0_EEESZ_S10_S11_S18_S1C_S1E_T6_T7_T9_mT8_S1G_bDpT10_ENKUlT_T0_E_clISt17integral_constantIbLb1EES1T_IbLb0EEEEDaS1P_S1Q_EUlS1P_E_NS1_11comp_targetILNS1_3genE9ELNS1_11target_archE1100ELNS1_3gpuE3ELNS1_3repE0EEENS1_30default_config_static_selectorELNS0_4arch9wavefront6targetE1EEEvS12_,comdat
	.globl	_ZN7rocprim17ROCPRIM_400000_NS6detail17trampoline_kernelINS0_13select_configILj256ELj13ELNS0_17block_load_methodE3ELS4_3ELS4_3ELNS0_20block_scan_algorithmE0ELj4294967295EEENS1_25partition_config_selectorILNS1_17partition_subalgoE4EjNS0_10empty_typeEbEEZZNS1_14partition_implILS8_4ELb0ES6_15HIP_vector_typeIjLj2EENS0_17counting_iteratorIjlEEPS9_SG_NS0_5tupleIJPjSI_NS0_16reverse_iteratorISI_EEEEENSH_IJSG_SG_SG_EEES9_SI_JZNS1_25segmented_radix_sort_implINS0_14default_configELb1EPKdPdPKlPlN2at6native12_GLOBAL__N_18offset_tEEE10hipError_tPvRmT1_PNSt15iterator_traitsIS12_E10value_typeET2_T3_PNS13_IS18_E10value_typeET4_jRbjT5_S1E_jjP12ihipStream_tbEUljE_ZNSN_ISO_Lb1ESQ_SR_ST_SU_SY_EESZ_S10_S11_S12_S16_S17_S18_S1B_S1C_jS1D_jS1E_S1E_jjS1G_bEUljE0_EEESZ_S10_S11_S18_S1C_S1E_T6_T7_T9_mT8_S1G_bDpT10_ENKUlT_T0_E_clISt17integral_constantIbLb1EES1T_IbLb0EEEEDaS1P_S1Q_EUlS1P_E_NS1_11comp_targetILNS1_3genE9ELNS1_11target_archE1100ELNS1_3gpuE3ELNS1_3repE0EEENS1_30default_config_static_selectorELNS0_4arch9wavefront6targetE1EEEvS12_ ; -- Begin function _ZN7rocprim17ROCPRIM_400000_NS6detail17trampoline_kernelINS0_13select_configILj256ELj13ELNS0_17block_load_methodE3ELS4_3ELS4_3ELNS0_20block_scan_algorithmE0ELj4294967295EEENS1_25partition_config_selectorILNS1_17partition_subalgoE4EjNS0_10empty_typeEbEEZZNS1_14partition_implILS8_4ELb0ES6_15HIP_vector_typeIjLj2EENS0_17counting_iteratorIjlEEPS9_SG_NS0_5tupleIJPjSI_NS0_16reverse_iteratorISI_EEEEENSH_IJSG_SG_SG_EEES9_SI_JZNS1_25segmented_radix_sort_implINS0_14default_configELb1EPKdPdPKlPlN2at6native12_GLOBAL__N_18offset_tEEE10hipError_tPvRmT1_PNSt15iterator_traitsIS12_E10value_typeET2_T3_PNS13_IS18_E10value_typeET4_jRbjT5_S1E_jjP12ihipStream_tbEUljE_ZNSN_ISO_Lb1ESQ_SR_ST_SU_SY_EESZ_S10_S11_S12_S16_S17_S18_S1B_S1C_jS1D_jS1E_S1E_jjS1G_bEUljE0_EEESZ_S10_S11_S18_S1C_S1E_T6_T7_T9_mT8_S1G_bDpT10_ENKUlT_T0_E_clISt17integral_constantIbLb1EES1T_IbLb0EEEEDaS1P_S1Q_EUlS1P_E_NS1_11comp_targetILNS1_3genE9ELNS1_11target_archE1100ELNS1_3gpuE3ELNS1_3repE0EEENS1_30default_config_static_selectorELNS0_4arch9wavefront6targetE1EEEvS12_
	.p2align	8
	.type	_ZN7rocprim17ROCPRIM_400000_NS6detail17trampoline_kernelINS0_13select_configILj256ELj13ELNS0_17block_load_methodE3ELS4_3ELS4_3ELNS0_20block_scan_algorithmE0ELj4294967295EEENS1_25partition_config_selectorILNS1_17partition_subalgoE4EjNS0_10empty_typeEbEEZZNS1_14partition_implILS8_4ELb0ES6_15HIP_vector_typeIjLj2EENS0_17counting_iteratorIjlEEPS9_SG_NS0_5tupleIJPjSI_NS0_16reverse_iteratorISI_EEEEENSH_IJSG_SG_SG_EEES9_SI_JZNS1_25segmented_radix_sort_implINS0_14default_configELb1EPKdPdPKlPlN2at6native12_GLOBAL__N_18offset_tEEE10hipError_tPvRmT1_PNSt15iterator_traitsIS12_E10value_typeET2_T3_PNS13_IS18_E10value_typeET4_jRbjT5_S1E_jjP12ihipStream_tbEUljE_ZNSN_ISO_Lb1ESQ_SR_ST_SU_SY_EESZ_S10_S11_S12_S16_S17_S18_S1B_S1C_jS1D_jS1E_S1E_jjS1G_bEUljE0_EEESZ_S10_S11_S18_S1C_S1E_T6_T7_T9_mT8_S1G_bDpT10_ENKUlT_T0_E_clISt17integral_constantIbLb1EES1T_IbLb0EEEEDaS1P_S1Q_EUlS1P_E_NS1_11comp_targetILNS1_3genE9ELNS1_11target_archE1100ELNS1_3gpuE3ELNS1_3repE0EEENS1_30default_config_static_selectorELNS0_4arch9wavefront6targetE1EEEvS12_,@function
_ZN7rocprim17ROCPRIM_400000_NS6detail17trampoline_kernelINS0_13select_configILj256ELj13ELNS0_17block_load_methodE3ELS4_3ELS4_3ELNS0_20block_scan_algorithmE0ELj4294967295EEENS1_25partition_config_selectorILNS1_17partition_subalgoE4EjNS0_10empty_typeEbEEZZNS1_14partition_implILS8_4ELb0ES6_15HIP_vector_typeIjLj2EENS0_17counting_iteratorIjlEEPS9_SG_NS0_5tupleIJPjSI_NS0_16reverse_iteratorISI_EEEEENSH_IJSG_SG_SG_EEES9_SI_JZNS1_25segmented_radix_sort_implINS0_14default_configELb1EPKdPdPKlPlN2at6native12_GLOBAL__N_18offset_tEEE10hipError_tPvRmT1_PNSt15iterator_traitsIS12_E10value_typeET2_T3_PNS13_IS18_E10value_typeET4_jRbjT5_S1E_jjP12ihipStream_tbEUljE_ZNSN_ISO_Lb1ESQ_SR_ST_SU_SY_EESZ_S10_S11_S12_S16_S17_S18_S1B_S1C_jS1D_jS1E_S1E_jjS1G_bEUljE0_EEESZ_S10_S11_S18_S1C_S1E_T6_T7_T9_mT8_S1G_bDpT10_ENKUlT_T0_E_clISt17integral_constantIbLb1EES1T_IbLb0EEEEDaS1P_S1Q_EUlS1P_E_NS1_11comp_targetILNS1_3genE9ELNS1_11target_archE1100ELNS1_3gpuE3ELNS1_3repE0EEENS1_30default_config_static_selectorELNS0_4arch9wavefront6targetE1EEEvS12_: ; @_ZN7rocprim17ROCPRIM_400000_NS6detail17trampoline_kernelINS0_13select_configILj256ELj13ELNS0_17block_load_methodE3ELS4_3ELS4_3ELNS0_20block_scan_algorithmE0ELj4294967295EEENS1_25partition_config_selectorILNS1_17partition_subalgoE4EjNS0_10empty_typeEbEEZZNS1_14partition_implILS8_4ELb0ES6_15HIP_vector_typeIjLj2EENS0_17counting_iteratorIjlEEPS9_SG_NS0_5tupleIJPjSI_NS0_16reverse_iteratorISI_EEEEENSH_IJSG_SG_SG_EEES9_SI_JZNS1_25segmented_radix_sort_implINS0_14default_configELb1EPKdPdPKlPlN2at6native12_GLOBAL__N_18offset_tEEE10hipError_tPvRmT1_PNSt15iterator_traitsIS12_E10value_typeET2_T3_PNS13_IS18_E10value_typeET4_jRbjT5_S1E_jjP12ihipStream_tbEUljE_ZNSN_ISO_Lb1ESQ_SR_ST_SU_SY_EESZ_S10_S11_S12_S16_S17_S18_S1B_S1C_jS1D_jS1E_S1E_jjS1G_bEUljE0_EEESZ_S10_S11_S18_S1C_S1E_T6_T7_T9_mT8_S1G_bDpT10_ENKUlT_T0_E_clISt17integral_constantIbLb1EES1T_IbLb0EEEEDaS1P_S1Q_EUlS1P_E_NS1_11comp_targetILNS1_3genE9ELNS1_11target_archE1100ELNS1_3gpuE3ELNS1_3repE0EEENS1_30default_config_static_selectorELNS0_4arch9wavefront6targetE1EEEvS12_
; %bb.0:
	.section	.rodata,"a",@progbits
	.p2align	6, 0x0
	.amdhsa_kernel _ZN7rocprim17ROCPRIM_400000_NS6detail17trampoline_kernelINS0_13select_configILj256ELj13ELNS0_17block_load_methodE3ELS4_3ELS4_3ELNS0_20block_scan_algorithmE0ELj4294967295EEENS1_25partition_config_selectorILNS1_17partition_subalgoE4EjNS0_10empty_typeEbEEZZNS1_14partition_implILS8_4ELb0ES6_15HIP_vector_typeIjLj2EENS0_17counting_iteratorIjlEEPS9_SG_NS0_5tupleIJPjSI_NS0_16reverse_iteratorISI_EEEEENSH_IJSG_SG_SG_EEES9_SI_JZNS1_25segmented_radix_sort_implINS0_14default_configELb1EPKdPdPKlPlN2at6native12_GLOBAL__N_18offset_tEEE10hipError_tPvRmT1_PNSt15iterator_traitsIS12_E10value_typeET2_T3_PNS13_IS18_E10value_typeET4_jRbjT5_S1E_jjP12ihipStream_tbEUljE_ZNSN_ISO_Lb1ESQ_SR_ST_SU_SY_EESZ_S10_S11_S12_S16_S17_S18_S1B_S1C_jS1D_jS1E_S1E_jjS1G_bEUljE0_EEESZ_S10_S11_S18_S1C_S1E_T6_T7_T9_mT8_S1G_bDpT10_ENKUlT_T0_E_clISt17integral_constantIbLb1EES1T_IbLb0EEEEDaS1P_S1Q_EUlS1P_E_NS1_11comp_targetILNS1_3genE9ELNS1_11target_archE1100ELNS1_3gpuE3ELNS1_3repE0EEENS1_30default_config_static_selectorELNS0_4arch9wavefront6targetE1EEEvS12_
		.amdhsa_group_segment_fixed_size 0
		.amdhsa_private_segment_fixed_size 0
		.amdhsa_kernarg_size 176
		.amdhsa_user_sgpr_count 6
		.amdhsa_user_sgpr_private_segment_buffer 1
		.amdhsa_user_sgpr_dispatch_ptr 0
		.amdhsa_user_sgpr_queue_ptr 0
		.amdhsa_user_sgpr_kernarg_segment_ptr 1
		.amdhsa_user_sgpr_dispatch_id 0
		.amdhsa_user_sgpr_flat_scratch_init 0
		.amdhsa_user_sgpr_kernarg_preload_length 0
		.amdhsa_user_sgpr_kernarg_preload_offset 0
		.amdhsa_user_sgpr_private_segment_size 0
		.amdhsa_uses_dynamic_stack 0
		.amdhsa_system_sgpr_private_segment_wavefront_offset 0
		.amdhsa_system_sgpr_workgroup_id_x 1
		.amdhsa_system_sgpr_workgroup_id_y 0
		.amdhsa_system_sgpr_workgroup_id_z 0
		.amdhsa_system_sgpr_workgroup_info 0
		.amdhsa_system_vgpr_workitem_id 0
		.amdhsa_next_free_vgpr 1
		.amdhsa_next_free_sgpr 0
		.amdhsa_accum_offset 4
		.amdhsa_reserve_vcc 0
		.amdhsa_reserve_flat_scratch 0
		.amdhsa_float_round_mode_32 0
		.amdhsa_float_round_mode_16_64 0
		.amdhsa_float_denorm_mode_32 3
		.amdhsa_float_denorm_mode_16_64 3
		.amdhsa_dx10_clamp 1
		.amdhsa_ieee_mode 1
		.amdhsa_fp16_overflow 0
		.amdhsa_tg_split 0
		.amdhsa_exception_fp_ieee_invalid_op 0
		.amdhsa_exception_fp_denorm_src 0
		.amdhsa_exception_fp_ieee_div_zero 0
		.amdhsa_exception_fp_ieee_overflow 0
		.amdhsa_exception_fp_ieee_underflow 0
		.amdhsa_exception_fp_ieee_inexact 0
		.amdhsa_exception_int_div_zero 0
	.end_amdhsa_kernel
	.section	.text._ZN7rocprim17ROCPRIM_400000_NS6detail17trampoline_kernelINS0_13select_configILj256ELj13ELNS0_17block_load_methodE3ELS4_3ELS4_3ELNS0_20block_scan_algorithmE0ELj4294967295EEENS1_25partition_config_selectorILNS1_17partition_subalgoE4EjNS0_10empty_typeEbEEZZNS1_14partition_implILS8_4ELb0ES6_15HIP_vector_typeIjLj2EENS0_17counting_iteratorIjlEEPS9_SG_NS0_5tupleIJPjSI_NS0_16reverse_iteratorISI_EEEEENSH_IJSG_SG_SG_EEES9_SI_JZNS1_25segmented_radix_sort_implINS0_14default_configELb1EPKdPdPKlPlN2at6native12_GLOBAL__N_18offset_tEEE10hipError_tPvRmT1_PNSt15iterator_traitsIS12_E10value_typeET2_T3_PNS13_IS18_E10value_typeET4_jRbjT5_S1E_jjP12ihipStream_tbEUljE_ZNSN_ISO_Lb1ESQ_SR_ST_SU_SY_EESZ_S10_S11_S12_S16_S17_S18_S1B_S1C_jS1D_jS1E_S1E_jjS1G_bEUljE0_EEESZ_S10_S11_S18_S1C_S1E_T6_T7_T9_mT8_S1G_bDpT10_ENKUlT_T0_E_clISt17integral_constantIbLb1EES1T_IbLb0EEEEDaS1P_S1Q_EUlS1P_E_NS1_11comp_targetILNS1_3genE9ELNS1_11target_archE1100ELNS1_3gpuE3ELNS1_3repE0EEENS1_30default_config_static_selectorELNS0_4arch9wavefront6targetE1EEEvS12_,"axG",@progbits,_ZN7rocprim17ROCPRIM_400000_NS6detail17trampoline_kernelINS0_13select_configILj256ELj13ELNS0_17block_load_methodE3ELS4_3ELS4_3ELNS0_20block_scan_algorithmE0ELj4294967295EEENS1_25partition_config_selectorILNS1_17partition_subalgoE4EjNS0_10empty_typeEbEEZZNS1_14partition_implILS8_4ELb0ES6_15HIP_vector_typeIjLj2EENS0_17counting_iteratorIjlEEPS9_SG_NS0_5tupleIJPjSI_NS0_16reverse_iteratorISI_EEEEENSH_IJSG_SG_SG_EEES9_SI_JZNS1_25segmented_radix_sort_implINS0_14default_configELb1EPKdPdPKlPlN2at6native12_GLOBAL__N_18offset_tEEE10hipError_tPvRmT1_PNSt15iterator_traitsIS12_E10value_typeET2_T3_PNS13_IS18_E10value_typeET4_jRbjT5_S1E_jjP12ihipStream_tbEUljE_ZNSN_ISO_Lb1ESQ_SR_ST_SU_SY_EESZ_S10_S11_S12_S16_S17_S18_S1B_S1C_jS1D_jS1E_S1E_jjS1G_bEUljE0_EEESZ_S10_S11_S18_S1C_S1E_T6_T7_T9_mT8_S1G_bDpT10_ENKUlT_T0_E_clISt17integral_constantIbLb1EES1T_IbLb0EEEEDaS1P_S1Q_EUlS1P_E_NS1_11comp_targetILNS1_3genE9ELNS1_11target_archE1100ELNS1_3gpuE3ELNS1_3repE0EEENS1_30default_config_static_selectorELNS0_4arch9wavefront6targetE1EEEvS12_,comdat
.Lfunc_end1074:
	.size	_ZN7rocprim17ROCPRIM_400000_NS6detail17trampoline_kernelINS0_13select_configILj256ELj13ELNS0_17block_load_methodE3ELS4_3ELS4_3ELNS0_20block_scan_algorithmE0ELj4294967295EEENS1_25partition_config_selectorILNS1_17partition_subalgoE4EjNS0_10empty_typeEbEEZZNS1_14partition_implILS8_4ELb0ES6_15HIP_vector_typeIjLj2EENS0_17counting_iteratorIjlEEPS9_SG_NS0_5tupleIJPjSI_NS0_16reverse_iteratorISI_EEEEENSH_IJSG_SG_SG_EEES9_SI_JZNS1_25segmented_radix_sort_implINS0_14default_configELb1EPKdPdPKlPlN2at6native12_GLOBAL__N_18offset_tEEE10hipError_tPvRmT1_PNSt15iterator_traitsIS12_E10value_typeET2_T3_PNS13_IS18_E10value_typeET4_jRbjT5_S1E_jjP12ihipStream_tbEUljE_ZNSN_ISO_Lb1ESQ_SR_ST_SU_SY_EESZ_S10_S11_S12_S16_S17_S18_S1B_S1C_jS1D_jS1E_S1E_jjS1G_bEUljE0_EEESZ_S10_S11_S18_S1C_S1E_T6_T7_T9_mT8_S1G_bDpT10_ENKUlT_T0_E_clISt17integral_constantIbLb1EES1T_IbLb0EEEEDaS1P_S1Q_EUlS1P_E_NS1_11comp_targetILNS1_3genE9ELNS1_11target_archE1100ELNS1_3gpuE3ELNS1_3repE0EEENS1_30default_config_static_selectorELNS0_4arch9wavefront6targetE1EEEvS12_, .Lfunc_end1074-_ZN7rocprim17ROCPRIM_400000_NS6detail17trampoline_kernelINS0_13select_configILj256ELj13ELNS0_17block_load_methodE3ELS4_3ELS4_3ELNS0_20block_scan_algorithmE0ELj4294967295EEENS1_25partition_config_selectorILNS1_17partition_subalgoE4EjNS0_10empty_typeEbEEZZNS1_14partition_implILS8_4ELb0ES6_15HIP_vector_typeIjLj2EENS0_17counting_iteratorIjlEEPS9_SG_NS0_5tupleIJPjSI_NS0_16reverse_iteratorISI_EEEEENSH_IJSG_SG_SG_EEES9_SI_JZNS1_25segmented_radix_sort_implINS0_14default_configELb1EPKdPdPKlPlN2at6native12_GLOBAL__N_18offset_tEEE10hipError_tPvRmT1_PNSt15iterator_traitsIS12_E10value_typeET2_T3_PNS13_IS18_E10value_typeET4_jRbjT5_S1E_jjP12ihipStream_tbEUljE_ZNSN_ISO_Lb1ESQ_SR_ST_SU_SY_EESZ_S10_S11_S12_S16_S17_S18_S1B_S1C_jS1D_jS1E_S1E_jjS1G_bEUljE0_EEESZ_S10_S11_S18_S1C_S1E_T6_T7_T9_mT8_S1G_bDpT10_ENKUlT_T0_E_clISt17integral_constantIbLb1EES1T_IbLb0EEEEDaS1P_S1Q_EUlS1P_E_NS1_11comp_targetILNS1_3genE9ELNS1_11target_archE1100ELNS1_3gpuE3ELNS1_3repE0EEENS1_30default_config_static_selectorELNS0_4arch9wavefront6targetE1EEEvS12_
                                        ; -- End function
	.section	.AMDGPU.csdata,"",@progbits
; Kernel info:
; codeLenInByte = 0
; NumSgprs: 4
; NumVgprs: 0
; NumAgprs: 0
; TotalNumVgprs: 0
; ScratchSize: 0
; MemoryBound: 0
; FloatMode: 240
; IeeeMode: 1
; LDSByteSize: 0 bytes/workgroup (compile time only)
; SGPRBlocks: 0
; VGPRBlocks: 0
; NumSGPRsForWavesPerEU: 4
; NumVGPRsForWavesPerEU: 1
; AccumOffset: 4
; Occupancy: 8
; WaveLimiterHint : 0
; COMPUTE_PGM_RSRC2:SCRATCH_EN: 0
; COMPUTE_PGM_RSRC2:USER_SGPR: 6
; COMPUTE_PGM_RSRC2:TRAP_HANDLER: 0
; COMPUTE_PGM_RSRC2:TGID_X_EN: 1
; COMPUTE_PGM_RSRC2:TGID_Y_EN: 0
; COMPUTE_PGM_RSRC2:TGID_Z_EN: 0
; COMPUTE_PGM_RSRC2:TIDIG_COMP_CNT: 0
; COMPUTE_PGM_RSRC3_GFX90A:ACCUM_OFFSET: 0
; COMPUTE_PGM_RSRC3_GFX90A:TG_SPLIT: 0
	.section	.text._ZN7rocprim17ROCPRIM_400000_NS6detail17trampoline_kernelINS0_13select_configILj256ELj13ELNS0_17block_load_methodE3ELS4_3ELS4_3ELNS0_20block_scan_algorithmE0ELj4294967295EEENS1_25partition_config_selectorILNS1_17partition_subalgoE4EjNS0_10empty_typeEbEEZZNS1_14partition_implILS8_4ELb0ES6_15HIP_vector_typeIjLj2EENS0_17counting_iteratorIjlEEPS9_SG_NS0_5tupleIJPjSI_NS0_16reverse_iteratorISI_EEEEENSH_IJSG_SG_SG_EEES9_SI_JZNS1_25segmented_radix_sort_implINS0_14default_configELb1EPKdPdPKlPlN2at6native12_GLOBAL__N_18offset_tEEE10hipError_tPvRmT1_PNSt15iterator_traitsIS12_E10value_typeET2_T3_PNS13_IS18_E10value_typeET4_jRbjT5_S1E_jjP12ihipStream_tbEUljE_ZNSN_ISO_Lb1ESQ_SR_ST_SU_SY_EESZ_S10_S11_S12_S16_S17_S18_S1B_S1C_jS1D_jS1E_S1E_jjS1G_bEUljE0_EEESZ_S10_S11_S18_S1C_S1E_T6_T7_T9_mT8_S1G_bDpT10_ENKUlT_T0_E_clISt17integral_constantIbLb1EES1T_IbLb0EEEEDaS1P_S1Q_EUlS1P_E_NS1_11comp_targetILNS1_3genE8ELNS1_11target_archE1030ELNS1_3gpuE2ELNS1_3repE0EEENS1_30default_config_static_selectorELNS0_4arch9wavefront6targetE1EEEvS12_,"axG",@progbits,_ZN7rocprim17ROCPRIM_400000_NS6detail17trampoline_kernelINS0_13select_configILj256ELj13ELNS0_17block_load_methodE3ELS4_3ELS4_3ELNS0_20block_scan_algorithmE0ELj4294967295EEENS1_25partition_config_selectorILNS1_17partition_subalgoE4EjNS0_10empty_typeEbEEZZNS1_14partition_implILS8_4ELb0ES6_15HIP_vector_typeIjLj2EENS0_17counting_iteratorIjlEEPS9_SG_NS0_5tupleIJPjSI_NS0_16reverse_iteratorISI_EEEEENSH_IJSG_SG_SG_EEES9_SI_JZNS1_25segmented_radix_sort_implINS0_14default_configELb1EPKdPdPKlPlN2at6native12_GLOBAL__N_18offset_tEEE10hipError_tPvRmT1_PNSt15iterator_traitsIS12_E10value_typeET2_T3_PNS13_IS18_E10value_typeET4_jRbjT5_S1E_jjP12ihipStream_tbEUljE_ZNSN_ISO_Lb1ESQ_SR_ST_SU_SY_EESZ_S10_S11_S12_S16_S17_S18_S1B_S1C_jS1D_jS1E_S1E_jjS1G_bEUljE0_EEESZ_S10_S11_S18_S1C_S1E_T6_T7_T9_mT8_S1G_bDpT10_ENKUlT_T0_E_clISt17integral_constantIbLb1EES1T_IbLb0EEEEDaS1P_S1Q_EUlS1P_E_NS1_11comp_targetILNS1_3genE8ELNS1_11target_archE1030ELNS1_3gpuE2ELNS1_3repE0EEENS1_30default_config_static_selectorELNS0_4arch9wavefront6targetE1EEEvS12_,comdat
	.globl	_ZN7rocprim17ROCPRIM_400000_NS6detail17trampoline_kernelINS0_13select_configILj256ELj13ELNS0_17block_load_methodE3ELS4_3ELS4_3ELNS0_20block_scan_algorithmE0ELj4294967295EEENS1_25partition_config_selectorILNS1_17partition_subalgoE4EjNS0_10empty_typeEbEEZZNS1_14partition_implILS8_4ELb0ES6_15HIP_vector_typeIjLj2EENS0_17counting_iteratorIjlEEPS9_SG_NS0_5tupleIJPjSI_NS0_16reverse_iteratorISI_EEEEENSH_IJSG_SG_SG_EEES9_SI_JZNS1_25segmented_radix_sort_implINS0_14default_configELb1EPKdPdPKlPlN2at6native12_GLOBAL__N_18offset_tEEE10hipError_tPvRmT1_PNSt15iterator_traitsIS12_E10value_typeET2_T3_PNS13_IS18_E10value_typeET4_jRbjT5_S1E_jjP12ihipStream_tbEUljE_ZNSN_ISO_Lb1ESQ_SR_ST_SU_SY_EESZ_S10_S11_S12_S16_S17_S18_S1B_S1C_jS1D_jS1E_S1E_jjS1G_bEUljE0_EEESZ_S10_S11_S18_S1C_S1E_T6_T7_T9_mT8_S1G_bDpT10_ENKUlT_T0_E_clISt17integral_constantIbLb1EES1T_IbLb0EEEEDaS1P_S1Q_EUlS1P_E_NS1_11comp_targetILNS1_3genE8ELNS1_11target_archE1030ELNS1_3gpuE2ELNS1_3repE0EEENS1_30default_config_static_selectorELNS0_4arch9wavefront6targetE1EEEvS12_ ; -- Begin function _ZN7rocprim17ROCPRIM_400000_NS6detail17trampoline_kernelINS0_13select_configILj256ELj13ELNS0_17block_load_methodE3ELS4_3ELS4_3ELNS0_20block_scan_algorithmE0ELj4294967295EEENS1_25partition_config_selectorILNS1_17partition_subalgoE4EjNS0_10empty_typeEbEEZZNS1_14partition_implILS8_4ELb0ES6_15HIP_vector_typeIjLj2EENS0_17counting_iteratorIjlEEPS9_SG_NS0_5tupleIJPjSI_NS0_16reverse_iteratorISI_EEEEENSH_IJSG_SG_SG_EEES9_SI_JZNS1_25segmented_radix_sort_implINS0_14default_configELb1EPKdPdPKlPlN2at6native12_GLOBAL__N_18offset_tEEE10hipError_tPvRmT1_PNSt15iterator_traitsIS12_E10value_typeET2_T3_PNS13_IS18_E10value_typeET4_jRbjT5_S1E_jjP12ihipStream_tbEUljE_ZNSN_ISO_Lb1ESQ_SR_ST_SU_SY_EESZ_S10_S11_S12_S16_S17_S18_S1B_S1C_jS1D_jS1E_S1E_jjS1G_bEUljE0_EEESZ_S10_S11_S18_S1C_S1E_T6_T7_T9_mT8_S1G_bDpT10_ENKUlT_T0_E_clISt17integral_constantIbLb1EES1T_IbLb0EEEEDaS1P_S1Q_EUlS1P_E_NS1_11comp_targetILNS1_3genE8ELNS1_11target_archE1030ELNS1_3gpuE2ELNS1_3repE0EEENS1_30default_config_static_selectorELNS0_4arch9wavefront6targetE1EEEvS12_
	.p2align	8
	.type	_ZN7rocprim17ROCPRIM_400000_NS6detail17trampoline_kernelINS0_13select_configILj256ELj13ELNS0_17block_load_methodE3ELS4_3ELS4_3ELNS0_20block_scan_algorithmE0ELj4294967295EEENS1_25partition_config_selectorILNS1_17partition_subalgoE4EjNS0_10empty_typeEbEEZZNS1_14partition_implILS8_4ELb0ES6_15HIP_vector_typeIjLj2EENS0_17counting_iteratorIjlEEPS9_SG_NS0_5tupleIJPjSI_NS0_16reverse_iteratorISI_EEEEENSH_IJSG_SG_SG_EEES9_SI_JZNS1_25segmented_radix_sort_implINS0_14default_configELb1EPKdPdPKlPlN2at6native12_GLOBAL__N_18offset_tEEE10hipError_tPvRmT1_PNSt15iterator_traitsIS12_E10value_typeET2_T3_PNS13_IS18_E10value_typeET4_jRbjT5_S1E_jjP12ihipStream_tbEUljE_ZNSN_ISO_Lb1ESQ_SR_ST_SU_SY_EESZ_S10_S11_S12_S16_S17_S18_S1B_S1C_jS1D_jS1E_S1E_jjS1G_bEUljE0_EEESZ_S10_S11_S18_S1C_S1E_T6_T7_T9_mT8_S1G_bDpT10_ENKUlT_T0_E_clISt17integral_constantIbLb1EES1T_IbLb0EEEEDaS1P_S1Q_EUlS1P_E_NS1_11comp_targetILNS1_3genE8ELNS1_11target_archE1030ELNS1_3gpuE2ELNS1_3repE0EEENS1_30default_config_static_selectorELNS0_4arch9wavefront6targetE1EEEvS12_,@function
_ZN7rocprim17ROCPRIM_400000_NS6detail17trampoline_kernelINS0_13select_configILj256ELj13ELNS0_17block_load_methodE3ELS4_3ELS4_3ELNS0_20block_scan_algorithmE0ELj4294967295EEENS1_25partition_config_selectorILNS1_17partition_subalgoE4EjNS0_10empty_typeEbEEZZNS1_14partition_implILS8_4ELb0ES6_15HIP_vector_typeIjLj2EENS0_17counting_iteratorIjlEEPS9_SG_NS0_5tupleIJPjSI_NS0_16reverse_iteratorISI_EEEEENSH_IJSG_SG_SG_EEES9_SI_JZNS1_25segmented_radix_sort_implINS0_14default_configELb1EPKdPdPKlPlN2at6native12_GLOBAL__N_18offset_tEEE10hipError_tPvRmT1_PNSt15iterator_traitsIS12_E10value_typeET2_T3_PNS13_IS18_E10value_typeET4_jRbjT5_S1E_jjP12ihipStream_tbEUljE_ZNSN_ISO_Lb1ESQ_SR_ST_SU_SY_EESZ_S10_S11_S12_S16_S17_S18_S1B_S1C_jS1D_jS1E_S1E_jjS1G_bEUljE0_EEESZ_S10_S11_S18_S1C_S1E_T6_T7_T9_mT8_S1G_bDpT10_ENKUlT_T0_E_clISt17integral_constantIbLb1EES1T_IbLb0EEEEDaS1P_S1Q_EUlS1P_E_NS1_11comp_targetILNS1_3genE8ELNS1_11target_archE1030ELNS1_3gpuE2ELNS1_3repE0EEENS1_30default_config_static_selectorELNS0_4arch9wavefront6targetE1EEEvS12_: ; @_ZN7rocprim17ROCPRIM_400000_NS6detail17trampoline_kernelINS0_13select_configILj256ELj13ELNS0_17block_load_methodE3ELS4_3ELS4_3ELNS0_20block_scan_algorithmE0ELj4294967295EEENS1_25partition_config_selectorILNS1_17partition_subalgoE4EjNS0_10empty_typeEbEEZZNS1_14partition_implILS8_4ELb0ES6_15HIP_vector_typeIjLj2EENS0_17counting_iteratorIjlEEPS9_SG_NS0_5tupleIJPjSI_NS0_16reverse_iteratorISI_EEEEENSH_IJSG_SG_SG_EEES9_SI_JZNS1_25segmented_radix_sort_implINS0_14default_configELb1EPKdPdPKlPlN2at6native12_GLOBAL__N_18offset_tEEE10hipError_tPvRmT1_PNSt15iterator_traitsIS12_E10value_typeET2_T3_PNS13_IS18_E10value_typeET4_jRbjT5_S1E_jjP12ihipStream_tbEUljE_ZNSN_ISO_Lb1ESQ_SR_ST_SU_SY_EESZ_S10_S11_S12_S16_S17_S18_S1B_S1C_jS1D_jS1E_S1E_jjS1G_bEUljE0_EEESZ_S10_S11_S18_S1C_S1E_T6_T7_T9_mT8_S1G_bDpT10_ENKUlT_T0_E_clISt17integral_constantIbLb1EES1T_IbLb0EEEEDaS1P_S1Q_EUlS1P_E_NS1_11comp_targetILNS1_3genE8ELNS1_11target_archE1030ELNS1_3gpuE2ELNS1_3repE0EEENS1_30default_config_static_selectorELNS0_4arch9wavefront6targetE1EEEvS12_
; %bb.0:
	.section	.rodata,"a",@progbits
	.p2align	6, 0x0
	.amdhsa_kernel _ZN7rocprim17ROCPRIM_400000_NS6detail17trampoline_kernelINS0_13select_configILj256ELj13ELNS0_17block_load_methodE3ELS4_3ELS4_3ELNS0_20block_scan_algorithmE0ELj4294967295EEENS1_25partition_config_selectorILNS1_17partition_subalgoE4EjNS0_10empty_typeEbEEZZNS1_14partition_implILS8_4ELb0ES6_15HIP_vector_typeIjLj2EENS0_17counting_iteratorIjlEEPS9_SG_NS0_5tupleIJPjSI_NS0_16reverse_iteratorISI_EEEEENSH_IJSG_SG_SG_EEES9_SI_JZNS1_25segmented_radix_sort_implINS0_14default_configELb1EPKdPdPKlPlN2at6native12_GLOBAL__N_18offset_tEEE10hipError_tPvRmT1_PNSt15iterator_traitsIS12_E10value_typeET2_T3_PNS13_IS18_E10value_typeET4_jRbjT5_S1E_jjP12ihipStream_tbEUljE_ZNSN_ISO_Lb1ESQ_SR_ST_SU_SY_EESZ_S10_S11_S12_S16_S17_S18_S1B_S1C_jS1D_jS1E_S1E_jjS1G_bEUljE0_EEESZ_S10_S11_S18_S1C_S1E_T6_T7_T9_mT8_S1G_bDpT10_ENKUlT_T0_E_clISt17integral_constantIbLb1EES1T_IbLb0EEEEDaS1P_S1Q_EUlS1P_E_NS1_11comp_targetILNS1_3genE8ELNS1_11target_archE1030ELNS1_3gpuE2ELNS1_3repE0EEENS1_30default_config_static_selectorELNS0_4arch9wavefront6targetE1EEEvS12_
		.amdhsa_group_segment_fixed_size 0
		.amdhsa_private_segment_fixed_size 0
		.amdhsa_kernarg_size 176
		.amdhsa_user_sgpr_count 6
		.amdhsa_user_sgpr_private_segment_buffer 1
		.amdhsa_user_sgpr_dispatch_ptr 0
		.amdhsa_user_sgpr_queue_ptr 0
		.amdhsa_user_sgpr_kernarg_segment_ptr 1
		.amdhsa_user_sgpr_dispatch_id 0
		.amdhsa_user_sgpr_flat_scratch_init 0
		.amdhsa_user_sgpr_kernarg_preload_length 0
		.amdhsa_user_sgpr_kernarg_preload_offset 0
		.amdhsa_user_sgpr_private_segment_size 0
		.amdhsa_uses_dynamic_stack 0
		.amdhsa_system_sgpr_private_segment_wavefront_offset 0
		.amdhsa_system_sgpr_workgroup_id_x 1
		.amdhsa_system_sgpr_workgroup_id_y 0
		.amdhsa_system_sgpr_workgroup_id_z 0
		.amdhsa_system_sgpr_workgroup_info 0
		.amdhsa_system_vgpr_workitem_id 0
		.amdhsa_next_free_vgpr 1
		.amdhsa_next_free_sgpr 0
		.amdhsa_accum_offset 4
		.amdhsa_reserve_vcc 0
		.amdhsa_reserve_flat_scratch 0
		.amdhsa_float_round_mode_32 0
		.amdhsa_float_round_mode_16_64 0
		.amdhsa_float_denorm_mode_32 3
		.amdhsa_float_denorm_mode_16_64 3
		.amdhsa_dx10_clamp 1
		.amdhsa_ieee_mode 1
		.amdhsa_fp16_overflow 0
		.amdhsa_tg_split 0
		.amdhsa_exception_fp_ieee_invalid_op 0
		.amdhsa_exception_fp_denorm_src 0
		.amdhsa_exception_fp_ieee_div_zero 0
		.amdhsa_exception_fp_ieee_overflow 0
		.amdhsa_exception_fp_ieee_underflow 0
		.amdhsa_exception_fp_ieee_inexact 0
		.amdhsa_exception_int_div_zero 0
	.end_amdhsa_kernel
	.section	.text._ZN7rocprim17ROCPRIM_400000_NS6detail17trampoline_kernelINS0_13select_configILj256ELj13ELNS0_17block_load_methodE3ELS4_3ELS4_3ELNS0_20block_scan_algorithmE0ELj4294967295EEENS1_25partition_config_selectorILNS1_17partition_subalgoE4EjNS0_10empty_typeEbEEZZNS1_14partition_implILS8_4ELb0ES6_15HIP_vector_typeIjLj2EENS0_17counting_iteratorIjlEEPS9_SG_NS0_5tupleIJPjSI_NS0_16reverse_iteratorISI_EEEEENSH_IJSG_SG_SG_EEES9_SI_JZNS1_25segmented_radix_sort_implINS0_14default_configELb1EPKdPdPKlPlN2at6native12_GLOBAL__N_18offset_tEEE10hipError_tPvRmT1_PNSt15iterator_traitsIS12_E10value_typeET2_T3_PNS13_IS18_E10value_typeET4_jRbjT5_S1E_jjP12ihipStream_tbEUljE_ZNSN_ISO_Lb1ESQ_SR_ST_SU_SY_EESZ_S10_S11_S12_S16_S17_S18_S1B_S1C_jS1D_jS1E_S1E_jjS1G_bEUljE0_EEESZ_S10_S11_S18_S1C_S1E_T6_T7_T9_mT8_S1G_bDpT10_ENKUlT_T0_E_clISt17integral_constantIbLb1EES1T_IbLb0EEEEDaS1P_S1Q_EUlS1P_E_NS1_11comp_targetILNS1_3genE8ELNS1_11target_archE1030ELNS1_3gpuE2ELNS1_3repE0EEENS1_30default_config_static_selectorELNS0_4arch9wavefront6targetE1EEEvS12_,"axG",@progbits,_ZN7rocprim17ROCPRIM_400000_NS6detail17trampoline_kernelINS0_13select_configILj256ELj13ELNS0_17block_load_methodE3ELS4_3ELS4_3ELNS0_20block_scan_algorithmE0ELj4294967295EEENS1_25partition_config_selectorILNS1_17partition_subalgoE4EjNS0_10empty_typeEbEEZZNS1_14partition_implILS8_4ELb0ES6_15HIP_vector_typeIjLj2EENS0_17counting_iteratorIjlEEPS9_SG_NS0_5tupleIJPjSI_NS0_16reverse_iteratorISI_EEEEENSH_IJSG_SG_SG_EEES9_SI_JZNS1_25segmented_radix_sort_implINS0_14default_configELb1EPKdPdPKlPlN2at6native12_GLOBAL__N_18offset_tEEE10hipError_tPvRmT1_PNSt15iterator_traitsIS12_E10value_typeET2_T3_PNS13_IS18_E10value_typeET4_jRbjT5_S1E_jjP12ihipStream_tbEUljE_ZNSN_ISO_Lb1ESQ_SR_ST_SU_SY_EESZ_S10_S11_S12_S16_S17_S18_S1B_S1C_jS1D_jS1E_S1E_jjS1G_bEUljE0_EEESZ_S10_S11_S18_S1C_S1E_T6_T7_T9_mT8_S1G_bDpT10_ENKUlT_T0_E_clISt17integral_constantIbLb1EES1T_IbLb0EEEEDaS1P_S1Q_EUlS1P_E_NS1_11comp_targetILNS1_3genE8ELNS1_11target_archE1030ELNS1_3gpuE2ELNS1_3repE0EEENS1_30default_config_static_selectorELNS0_4arch9wavefront6targetE1EEEvS12_,comdat
.Lfunc_end1075:
	.size	_ZN7rocprim17ROCPRIM_400000_NS6detail17trampoline_kernelINS0_13select_configILj256ELj13ELNS0_17block_load_methodE3ELS4_3ELS4_3ELNS0_20block_scan_algorithmE0ELj4294967295EEENS1_25partition_config_selectorILNS1_17partition_subalgoE4EjNS0_10empty_typeEbEEZZNS1_14partition_implILS8_4ELb0ES6_15HIP_vector_typeIjLj2EENS0_17counting_iteratorIjlEEPS9_SG_NS0_5tupleIJPjSI_NS0_16reverse_iteratorISI_EEEEENSH_IJSG_SG_SG_EEES9_SI_JZNS1_25segmented_radix_sort_implINS0_14default_configELb1EPKdPdPKlPlN2at6native12_GLOBAL__N_18offset_tEEE10hipError_tPvRmT1_PNSt15iterator_traitsIS12_E10value_typeET2_T3_PNS13_IS18_E10value_typeET4_jRbjT5_S1E_jjP12ihipStream_tbEUljE_ZNSN_ISO_Lb1ESQ_SR_ST_SU_SY_EESZ_S10_S11_S12_S16_S17_S18_S1B_S1C_jS1D_jS1E_S1E_jjS1G_bEUljE0_EEESZ_S10_S11_S18_S1C_S1E_T6_T7_T9_mT8_S1G_bDpT10_ENKUlT_T0_E_clISt17integral_constantIbLb1EES1T_IbLb0EEEEDaS1P_S1Q_EUlS1P_E_NS1_11comp_targetILNS1_3genE8ELNS1_11target_archE1030ELNS1_3gpuE2ELNS1_3repE0EEENS1_30default_config_static_selectorELNS0_4arch9wavefront6targetE1EEEvS12_, .Lfunc_end1075-_ZN7rocprim17ROCPRIM_400000_NS6detail17trampoline_kernelINS0_13select_configILj256ELj13ELNS0_17block_load_methodE3ELS4_3ELS4_3ELNS0_20block_scan_algorithmE0ELj4294967295EEENS1_25partition_config_selectorILNS1_17partition_subalgoE4EjNS0_10empty_typeEbEEZZNS1_14partition_implILS8_4ELb0ES6_15HIP_vector_typeIjLj2EENS0_17counting_iteratorIjlEEPS9_SG_NS0_5tupleIJPjSI_NS0_16reverse_iteratorISI_EEEEENSH_IJSG_SG_SG_EEES9_SI_JZNS1_25segmented_radix_sort_implINS0_14default_configELb1EPKdPdPKlPlN2at6native12_GLOBAL__N_18offset_tEEE10hipError_tPvRmT1_PNSt15iterator_traitsIS12_E10value_typeET2_T3_PNS13_IS18_E10value_typeET4_jRbjT5_S1E_jjP12ihipStream_tbEUljE_ZNSN_ISO_Lb1ESQ_SR_ST_SU_SY_EESZ_S10_S11_S12_S16_S17_S18_S1B_S1C_jS1D_jS1E_S1E_jjS1G_bEUljE0_EEESZ_S10_S11_S18_S1C_S1E_T6_T7_T9_mT8_S1G_bDpT10_ENKUlT_T0_E_clISt17integral_constantIbLb1EES1T_IbLb0EEEEDaS1P_S1Q_EUlS1P_E_NS1_11comp_targetILNS1_3genE8ELNS1_11target_archE1030ELNS1_3gpuE2ELNS1_3repE0EEENS1_30default_config_static_selectorELNS0_4arch9wavefront6targetE1EEEvS12_
                                        ; -- End function
	.section	.AMDGPU.csdata,"",@progbits
; Kernel info:
; codeLenInByte = 0
; NumSgprs: 4
; NumVgprs: 0
; NumAgprs: 0
; TotalNumVgprs: 0
; ScratchSize: 0
; MemoryBound: 0
; FloatMode: 240
; IeeeMode: 1
; LDSByteSize: 0 bytes/workgroup (compile time only)
; SGPRBlocks: 0
; VGPRBlocks: 0
; NumSGPRsForWavesPerEU: 4
; NumVGPRsForWavesPerEU: 1
; AccumOffset: 4
; Occupancy: 8
; WaveLimiterHint : 0
; COMPUTE_PGM_RSRC2:SCRATCH_EN: 0
; COMPUTE_PGM_RSRC2:USER_SGPR: 6
; COMPUTE_PGM_RSRC2:TRAP_HANDLER: 0
; COMPUTE_PGM_RSRC2:TGID_X_EN: 1
; COMPUTE_PGM_RSRC2:TGID_Y_EN: 0
; COMPUTE_PGM_RSRC2:TGID_Z_EN: 0
; COMPUTE_PGM_RSRC2:TIDIG_COMP_CNT: 0
; COMPUTE_PGM_RSRC3_GFX90A:ACCUM_OFFSET: 0
; COMPUTE_PGM_RSRC3_GFX90A:TG_SPLIT: 0
	.section	.text._ZN7rocprim17ROCPRIM_400000_NS6detail17trampoline_kernelINS0_13select_configILj256ELj13ELNS0_17block_load_methodE3ELS4_3ELS4_3ELNS0_20block_scan_algorithmE0ELj4294967295EEENS1_25partition_config_selectorILNS1_17partition_subalgoE4EjNS0_10empty_typeEbEEZZNS1_14partition_implILS8_4ELb0ES6_15HIP_vector_typeIjLj2EENS0_17counting_iteratorIjlEEPS9_SG_NS0_5tupleIJPjSI_NS0_16reverse_iteratorISI_EEEEENSH_IJSG_SG_SG_EEES9_SI_JZNS1_25segmented_radix_sort_implINS0_14default_configELb1EPKdPdPKlPlN2at6native12_GLOBAL__N_18offset_tEEE10hipError_tPvRmT1_PNSt15iterator_traitsIS12_E10value_typeET2_T3_PNS13_IS18_E10value_typeET4_jRbjT5_S1E_jjP12ihipStream_tbEUljE_ZNSN_ISO_Lb1ESQ_SR_ST_SU_SY_EESZ_S10_S11_S12_S16_S17_S18_S1B_S1C_jS1D_jS1E_S1E_jjS1G_bEUljE0_EEESZ_S10_S11_S18_S1C_S1E_T6_T7_T9_mT8_S1G_bDpT10_ENKUlT_T0_E_clISt17integral_constantIbLb0EES1T_IbLb1EEEEDaS1P_S1Q_EUlS1P_E_NS1_11comp_targetILNS1_3genE0ELNS1_11target_archE4294967295ELNS1_3gpuE0ELNS1_3repE0EEENS1_30default_config_static_selectorELNS0_4arch9wavefront6targetE1EEEvS12_,"axG",@progbits,_ZN7rocprim17ROCPRIM_400000_NS6detail17trampoline_kernelINS0_13select_configILj256ELj13ELNS0_17block_load_methodE3ELS4_3ELS4_3ELNS0_20block_scan_algorithmE0ELj4294967295EEENS1_25partition_config_selectorILNS1_17partition_subalgoE4EjNS0_10empty_typeEbEEZZNS1_14partition_implILS8_4ELb0ES6_15HIP_vector_typeIjLj2EENS0_17counting_iteratorIjlEEPS9_SG_NS0_5tupleIJPjSI_NS0_16reverse_iteratorISI_EEEEENSH_IJSG_SG_SG_EEES9_SI_JZNS1_25segmented_radix_sort_implINS0_14default_configELb1EPKdPdPKlPlN2at6native12_GLOBAL__N_18offset_tEEE10hipError_tPvRmT1_PNSt15iterator_traitsIS12_E10value_typeET2_T3_PNS13_IS18_E10value_typeET4_jRbjT5_S1E_jjP12ihipStream_tbEUljE_ZNSN_ISO_Lb1ESQ_SR_ST_SU_SY_EESZ_S10_S11_S12_S16_S17_S18_S1B_S1C_jS1D_jS1E_S1E_jjS1G_bEUljE0_EEESZ_S10_S11_S18_S1C_S1E_T6_T7_T9_mT8_S1G_bDpT10_ENKUlT_T0_E_clISt17integral_constantIbLb0EES1T_IbLb1EEEEDaS1P_S1Q_EUlS1P_E_NS1_11comp_targetILNS1_3genE0ELNS1_11target_archE4294967295ELNS1_3gpuE0ELNS1_3repE0EEENS1_30default_config_static_selectorELNS0_4arch9wavefront6targetE1EEEvS12_,comdat
	.globl	_ZN7rocprim17ROCPRIM_400000_NS6detail17trampoline_kernelINS0_13select_configILj256ELj13ELNS0_17block_load_methodE3ELS4_3ELS4_3ELNS0_20block_scan_algorithmE0ELj4294967295EEENS1_25partition_config_selectorILNS1_17partition_subalgoE4EjNS0_10empty_typeEbEEZZNS1_14partition_implILS8_4ELb0ES6_15HIP_vector_typeIjLj2EENS0_17counting_iteratorIjlEEPS9_SG_NS0_5tupleIJPjSI_NS0_16reverse_iteratorISI_EEEEENSH_IJSG_SG_SG_EEES9_SI_JZNS1_25segmented_radix_sort_implINS0_14default_configELb1EPKdPdPKlPlN2at6native12_GLOBAL__N_18offset_tEEE10hipError_tPvRmT1_PNSt15iterator_traitsIS12_E10value_typeET2_T3_PNS13_IS18_E10value_typeET4_jRbjT5_S1E_jjP12ihipStream_tbEUljE_ZNSN_ISO_Lb1ESQ_SR_ST_SU_SY_EESZ_S10_S11_S12_S16_S17_S18_S1B_S1C_jS1D_jS1E_S1E_jjS1G_bEUljE0_EEESZ_S10_S11_S18_S1C_S1E_T6_T7_T9_mT8_S1G_bDpT10_ENKUlT_T0_E_clISt17integral_constantIbLb0EES1T_IbLb1EEEEDaS1P_S1Q_EUlS1P_E_NS1_11comp_targetILNS1_3genE0ELNS1_11target_archE4294967295ELNS1_3gpuE0ELNS1_3repE0EEENS1_30default_config_static_selectorELNS0_4arch9wavefront6targetE1EEEvS12_ ; -- Begin function _ZN7rocprim17ROCPRIM_400000_NS6detail17trampoline_kernelINS0_13select_configILj256ELj13ELNS0_17block_load_methodE3ELS4_3ELS4_3ELNS0_20block_scan_algorithmE0ELj4294967295EEENS1_25partition_config_selectorILNS1_17partition_subalgoE4EjNS0_10empty_typeEbEEZZNS1_14partition_implILS8_4ELb0ES6_15HIP_vector_typeIjLj2EENS0_17counting_iteratorIjlEEPS9_SG_NS0_5tupleIJPjSI_NS0_16reverse_iteratorISI_EEEEENSH_IJSG_SG_SG_EEES9_SI_JZNS1_25segmented_radix_sort_implINS0_14default_configELb1EPKdPdPKlPlN2at6native12_GLOBAL__N_18offset_tEEE10hipError_tPvRmT1_PNSt15iterator_traitsIS12_E10value_typeET2_T3_PNS13_IS18_E10value_typeET4_jRbjT5_S1E_jjP12ihipStream_tbEUljE_ZNSN_ISO_Lb1ESQ_SR_ST_SU_SY_EESZ_S10_S11_S12_S16_S17_S18_S1B_S1C_jS1D_jS1E_S1E_jjS1G_bEUljE0_EEESZ_S10_S11_S18_S1C_S1E_T6_T7_T9_mT8_S1G_bDpT10_ENKUlT_T0_E_clISt17integral_constantIbLb0EES1T_IbLb1EEEEDaS1P_S1Q_EUlS1P_E_NS1_11comp_targetILNS1_3genE0ELNS1_11target_archE4294967295ELNS1_3gpuE0ELNS1_3repE0EEENS1_30default_config_static_selectorELNS0_4arch9wavefront6targetE1EEEvS12_
	.p2align	8
	.type	_ZN7rocprim17ROCPRIM_400000_NS6detail17trampoline_kernelINS0_13select_configILj256ELj13ELNS0_17block_load_methodE3ELS4_3ELS4_3ELNS0_20block_scan_algorithmE0ELj4294967295EEENS1_25partition_config_selectorILNS1_17partition_subalgoE4EjNS0_10empty_typeEbEEZZNS1_14partition_implILS8_4ELb0ES6_15HIP_vector_typeIjLj2EENS0_17counting_iteratorIjlEEPS9_SG_NS0_5tupleIJPjSI_NS0_16reverse_iteratorISI_EEEEENSH_IJSG_SG_SG_EEES9_SI_JZNS1_25segmented_radix_sort_implINS0_14default_configELb1EPKdPdPKlPlN2at6native12_GLOBAL__N_18offset_tEEE10hipError_tPvRmT1_PNSt15iterator_traitsIS12_E10value_typeET2_T3_PNS13_IS18_E10value_typeET4_jRbjT5_S1E_jjP12ihipStream_tbEUljE_ZNSN_ISO_Lb1ESQ_SR_ST_SU_SY_EESZ_S10_S11_S12_S16_S17_S18_S1B_S1C_jS1D_jS1E_S1E_jjS1G_bEUljE0_EEESZ_S10_S11_S18_S1C_S1E_T6_T7_T9_mT8_S1G_bDpT10_ENKUlT_T0_E_clISt17integral_constantIbLb0EES1T_IbLb1EEEEDaS1P_S1Q_EUlS1P_E_NS1_11comp_targetILNS1_3genE0ELNS1_11target_archE4294967295ELNS1_3gpuE0ELNS1_3repE0EEENS1_30default_config_static_selectorELNS0_4arch9wavefront6targetE1EEEvS12_,@function
_ZN7rocprim17ROCPRIM_400000_NS6detail17trampoline_kernelINS0_13select_configILj256ELj13ELNS0_17block_load_methodE3ELS4_3ELS4_3ELNS0_20block_scan_algorithmE0ELj4294967295EEENS1_25partition_config_selectorILNS1_17partition_subalgoE4EjNS0_10empty_typeEbEEZZNS1_14partition_implILS8_4ELb0ES6_15HIP_vector_typeIjLj2EENS0_17counting_iteratorIjlEEPS9_SG_NS0_5tupleIJPjSI_NS0_16reverse_iteratorISI_EEEEENSH_IJSG_SG_SG_EEES9_SI_JZNS1_25segmented_radix_sort_implINS0_14default_configELb1EPKdPdPKlPlN2at6native12_GLOBAL__N_18offset_tEEE10hipError_tPvRmT1_PNSt15iterator_traitsIS12_E10value_typeET2_T3_PNS13_IS18_E10value_typeET4_jRbjT5_S1E_jjP12ihipStream_tbEUljE_ZNSN_ISO_Lb1ESQ_SR_ST_SU_SY_EESZ_S10_S11_S12_S16_S17_S18_S1B_S1C_jS1D_jS1E_S1E_jjS1G_bEUljE0_EEESZ_S10_S11_S18_S1C_S1E_T6_T7_T9_mT8_S1G_bDpT10_ENKUlT_T0_E_clISt17integral_constantIbLb0EES1T_IbLb1EEEEDaS1P_S1Q_EUlS1P_E_NS1_11comp_targetILNS1_3genE0ELNS1_11target_archE4294967295ELNS1_3gpuE0ELNS1_3repE0EEENS1_30default_config_static_selectorELNS0_4arch9wavefront6targetE1EEEvS12_: ; @_ZN7rocprim17ROCPRIM_400000_NS6detail17trampoline_kernelINS0_13select_configILj256ELj13ELNS0_17block_load_methodE3ELS4_3ELS4_3ELNS0_20block_scan_algorithmE0ELj4294967295EEENS1_25partition_config_selectorILNS1_17partition_subalgoE4EjNS0_10empty_typeEbEEZZNS1_14partition_implILS8_4ELb0ES6_15HIP_vector_typeIjLj2EENS0_17counting_iteratorIjlEEPS9_SG_NS0_5tupleIJPjSI_NS0_16reverse_iteratorISI_EEEEENSH_IJSG_SG_SG_EEES9_SI_JZNS1_25segmented_radix_sort_implINS0_14default_configELb1EPKdPdPKlPlN2at6native12_GLOBAL__N_18offset_tEEE10hipError_tPvRmT1_PNSt15iterator_traitsIS12_E10value_typeET2_T3_PNS13_IS18_E10value_typeET4_jRbjT5_S1E_jjP12ihipStream_tbEUljE_ZNSN_ISO_Lb1ESQ_SR_ST_SU_SY_EESZ_S10_S11_S12_S16_S17_S18_S1B_S1C_jS1D_jS1E_S1E_jjS1G_bEUljE0_EEESZ_S10_S11_S18_S1C_S1E_T6_T7_T9_mT8_S1G_bDpT10_ENKUlT_T0_E_clISt17integral_constantIbLb0EES1T_IbLb1EEEEDaS1P_S1Q_EUlS1P_E_NS1_11comp_targetILNS1_3genE0ELNS1_11target_archE4294967295ELNS1_3gpuE0ELNS1_3repE0EEENS1_30default_config_static_selectorELNS0_4arch9wavefront6targetE1EEEvS12_
; %bb.0:
	.section	.rodata,"a",@progbits
	.p2align	6, 0x0
	.amdhsa_kernel _ZN7rocprim17ROCPRIM_400000_NS6detail17trampoline_kernelINS0_13select_configILj256ELj13ELNS0_17block_load_methodE3ELS4_3ELS4_3ELNS0_20block_scan_algorithmE0ELj4294967295EEENS1_25partition_config_selectorILNS1_17partition_subalgoE4EjNS0_10empty_typeEbEEZZNS1_14partition_implILS8_4ELb0ES6_15HIP_vector_typeIjLj2EENS0_17counting_iteratorIjlEEPS9_SG_NS0_5tupleIJPjSI_NS0_16reverse_iteratorISI_EEEEENSH_IJSG_SG_SG_EEES9_SI_JZNS1_25segmented_radix_sort_implINS0_14default_configELb1EPKdPdPKlPlN2at6native12_GLOBAL__N_18offset_tEEE10hipError_tPvRmT1_PNSt15iterator_traitsIS12_E10value_typeET2_T3_PNS13_IS18_E10value_typeET4_jRbjT5_S1E_jjP12ihipStream_tbEUljE_ZNSN_ISO_Lb1ESQ_SR_ST_SU_SY_EESZ_S10_S11_S12_S16_S17_S18_S1B_S1C_jS1D_jS1E_S1E_jjS1G_bEUljE0_EEESZ_S10_S11_S18_S1C_S1E_T6_T7_T9_mT8_S1G_bDpT10_ENKUlT_T0_E_clISt17integral_constantIbLb0EES1T_IbLb1EEEEDaS1P_S1Q_EUlS1P_E_NS1_11comp_targetILNS1_3genE0ELNS1_11target_archE4294967295ELNS1_3gpuE0ELNS1_3repE0EEENS1_30default_config_static_selectorELNS0_4arch9wavefront6targetE1EEEvS12_
		.amdhsa_group_segment_fixed_size 0
		.amdhsa_private_segment_fixed_size 0
		.amdhsa_kernarg_size 184
		.amdhsa_user_sgpr_count 6
		.amdhsa_user_sgpr_private_segment_buffer 1
		.amdhsa_user_sgpr_dispatch_ptr 0
		.amdhsa_user_sgpr_queue_ptr 0
		.amdhsa_user_sgpr_kernarg_segment_ptr 1
		.amdhsa_user_sgpr_dispatch_id 0
		.amdhsa_user_sgpr_flat_scratch_init 0
		.amdhsa_user_sgpr_kernarg_preload_length 0
		.amdhsa_user_sgpr_kernarg_preload_offset 0
		.amdhsa_user_sgpr_private_segment_size 0
		.amdhsa_uses_dynamic_stack 0
		.amdhsa_system_sgpr_private_segment_wavefront_offset 0
		.amdhsa_system_sgpr_workgroup_id_x 1
		.amdhsa_system_sgpr_workgroup_id_y 0
		.amdhsa_system_sgpr_workgroup_id_z 0
		.amdhsa_system_sgpr_workgroup_info 0
		.amdhsa_system_vgpr_workitem_id 0
		.amdhsa_next_free_vgpr 1
		.amdhsa_next_free_sgpr 0
		.amdhsa_accum_offset 4
		.amdhsa_reserve_vcc 0
		.amdhsa_reserve_flat_scratch 0
		.amdhsa_float_round_mode_32 0
		.amdhsa_float_round_mode_16_64 0
		.amdhsa_float_denorm_mode_32 3
		.amdhsa_float_denorm_mode_16_64 3
		.amdhsa_dx10_clamp 1
		.amdhsa_ieee_mode 1
		.amdhsa_fp16_overflow 0
		.amdhsa_tg_split 0
		.amdhsa_exception_fp_ieee_invalid_op 0
		.amdhsa_exception_fp_denorm_src 0
		.amdhsa_exception_fp_ieee_div_zero 0
		.amdhsa_exception_fp_ieee_overflow 0
		.amdhsa_exception_fp_ieee_underflow 0
		.amdhsa_exception_fp_ieee_inexact 0
		.amdhsa_exception_int_div_zero 0
	.end_amdhsa_kernel
	.section	.text._ZN7rocprim17ROCPRIM_400000_NS6detail17trampoline_kernelINS0_13select_configILj256ELj13ELNS0_17block_load_methodE3ELS4_3ELS4_3ELNS0_20block_scan_algorithmE0ELj4294967295EEENS1_25partition_config_selectorILNS1_17partition_subalgoE4EjNS0_10empty_typeEbEEZZNS1_14partition_implILS8_4ELb0ES6_15HIP_vector_typeIjLj2EENS0_17counting_iteratorIjlEEPS9_SG_NS0_5tupleIJPjSI_NS0_16reverse_iteratorISI_EEEEENSH_IJSG_SG_SG_EEES9_SI_JZNS1_25segmented_radix_sort_implINS0_14default_configELb1EPKdPdPKlPlN2at6native12_GLOBAL__N_18offset_tEEE10hipError_tPvRmT1_PNSt15iterator_traitsIS12_E10value_typeET2_T3_PNS13_IS18_E10value_typeET4_jRbjT5_S1E_jjP12ihipStream_tbEUljE_ZNSN_ISO_Lb1ESQ_SR_ST_SU_SY_EESZ_S10_S11_S12_S16_S17_S18_S1B_S1C_jS1D_jS1E_S1E_jjS1G_bEUljE0_EEESZ_S10_S11_S18_S1C_S1E_T6_T7_T9_mT8_S1G_bDpT10_ENKUlT_T0_E_clISt17integral_constantIbLb0EES1T_IbLb1EEEEDaS1P_S1Q_EUlS1P_E_NS1_11comp_targetILNS1_3genE0ELNS1_11target_archE4294967295ELNS1_3gpuE0ELNS1_3repE0EEENS1_30default_config_static_selectorELNS0_4arch9wavefront6targetE1EEEvS12_,"axG",@progbits,_ZN7rocprim17ROCPRIM_400000_NS6detail17trampoline_kernelINS0_13select_configILj256ELj13ELNS0_17block_load_methodE3ELS4_3ELS4_3ELNS0_20block_scan_algorithmE0ELj4294967295EEENS1_25partition_config_selectorILNS1_17partition_subalgoE4EjNS0_10empty_typeEbEEZZNS1_14partition_implILS8_4ELb0ES6_15HIP_vector_typeIjLj2EENS0_17counting_iteratorIjlEEPS9_SG_NS0_5tupleIJPjSI_NS0_16reverse_iteratorISI_EEEEENSH_IJSG_SG_SG_EEES9_SI_JZNS1_25segmented_radix_sort_implINS0_14default_configELb1EPKdPdPKlPlN2at6native12_GLOBAL__N_18offset_tEEE10hipError_tPvRmT1_PNSt15iterator_traitsIS12_E10value_typeET2_T3_PNS13_IS18_E10value_typeET4_jRbjT5_S1E_jjP12ihipStream_tbEUljE_ZNSN_ISO_Lb1ESQ_SR_ST_SU_SY_EESZ_S10_S11_S12_S16_S17_S18_S1B_S1C_jS1D_jS1E_S1E_jjS1G_bEUljE0_EEESZ_S10_S11_S18_S1C_S1E_T6_T7_T9_mT8_S1G_bDpT10_ENKUlT_T0_E_clISt17integral_constantIbLb0EES1T_IbLb1EEEEDaS1P_S1Q_EUlS1P_E_NS1_11comp_targetILNS1_3genE0ELNS1_11target_archE4294967295ELNS1_3gpuE0ELNS1_3repE0EEENS1_30default_config_static_selectorELNS0_4arch9wavefront6targetE1EEEvS12_,comdat
.Lfunc_end1076:
	.size	_ZN7rocprim17ROCPRIM_400000_NS6detail17trampoline_kernelINS0_13select_configILj256ELj13ELNS0_17block_load_methodE3ELS4_3ELS4_3ELNS0_20block_scan_algorithmE0ELj4294967295EEENS1_25partition_config_selectorILNS1_17partition_subalgoE4EjNS0_10empty_typeEbEEZZNS1_14partition_implILS8_4ELb0ES6_15HIP_vector_typeIjLj2EENS0_17counting_iteratorIjlEEPS9_SG_NS0_5tupleIJPjSI_NS0_16reverse_iteratorISI_EEEEENSH_IJSG_SG_SG_EEES9_SI_JZNS1_25segmented_radix_sort_implINS0_14default_configELb1EPKdPdPKlPlN2at6native12_GLOBAL__N_18offset_tEEE10hipError_tPvRmT1_PNSt15iterator_traitsIS12_E10value_typeET2_T3_PNS13_IS18_E10value_typeET4_jRbjT5_S1E_jjP12ihipStream_tbEUljE_ZNSN_ISO_Lb1ESQ_SR_ST_SU_SY_EESZ_S10_S11_S12_S16_S17_S18_S1B_S1C_jS1D_jS1E_S1E_jjS1G_bEUljE0_EEESZ_S10_S11_S18_S1C_S1E_T6_T7_T9_mT8_S1G_bDpT10_ENKUlT_T0_E_clISt17integral_constantIbLb0EES1T_IbLb1EEEEDaS1P_S1Q_EUlS1P_E_NS1_11comp_targetILNS1_3genE0ELNS1_11target_archE4294967295ELNS1_3gpuE0ELNS1_3repE0EEENS1_30default_config_static_selectorELNS0_4arch9wavefront6targetE1EEEvS12_, .Lfunc_end1076-_ZN7rocprim17ROCPRIM_400000_NS6detail17trampoline_kernelINS0_13select_configILj256ELj13ELNS0_17block_load_methodE3ELS4_3ELS4_3ELNS0_20block_scan_algorithmE0ELj4294967295EEENS1_25partition_config_selectorILNS1_17partition_subalgoE4EjNS0_10empty_typeEbEEZZNS1_14partition_implILS8_4ELb0ES6_15HIP_vector_typeIjLj2EENS0_17counting_iteratorIjlEEPS9_SG_NS0_5tupleIJPjSI_NS0_16reverse_iteratorISI_EEEEENSH_IJSG_SG_SG_EEES9_SI_JZNS1_25segmented_radix_sort_implINS0_14default_configELb1EPKdPdPKlPlN2at6native12_GLOBAL__N_18offset_tEEE10hipError_tPvRmT1_PNSt15iterator_traitsIS12_E10value_typeET2_T3_PNS13_IS18_E10value_typeET4_jRbjT5_S1E_jjP12ihipStream_tbEUljE_ZNSN_ISO_Lb1ESQ_SR_ST_SU_SY_EESZ_S10_S11_S12_S16_S17_S18_S1B_S1C_jS1D_jS1E_S1E_jjS1G_bEUljE0_EEESZ_S10_S11_S18_S1C_S1E_T6_T7_T9_mT8_S1G_bDpT10_ENKUlT_T0_E_clISt17integral_constantIbLb0EES1T_IbLb1EEEEDaS1P_S1Q_EUlS1P_E_NS1_11comp_targetILNS1_3genE0ELNS1_11target_archE4294967295ELNS1_3gpuE0ELNS1_3repE0EEENS1_30default_config_static_selectorELNS0_4arch9wavefront6targetE1EEEvS12_
                                        ; -- End function
	.section	.AMDGPU.csdata,"",@progbits
; Kernel info:
; codeLenInByte = 0
; NumSgprs: 4
; NumVgprs: 0
; NumAgprs: 0
; TotalNumVgprs: 0
; ScratchSize: 0
; MemoryBound: 0
; FloatMode: 240
; IeeeMode: 1
; LDSByteSize: 0 bytes/workgroup (compile time only)
; SGPRBlocks: 0
; VGPRBlocks: 0
; NumSGPRsForWavesPerEU: 4
; NumVGPRsForWavesPerEU: 1
; AccumOffset: 4
; Occupancy: 8
; WaveLimiterHint : 0
; COMPUTE_PGM_RSRC2:SCRATCH_EN: 0
; COMPUTE_PGM_RSRC2:USER_SGPR: 6
; COMPUTE_PGM_RSRC2:TRAP_HANDLER: 0
; COMPUTE_PGM_RSRC2:TGID_X_EN: 1
; COMPUTE_PGM_RSRC2:TGID_Y_EN: 0
; COMPUTE_PGM_RSRC2:TGID_Z_EN: 0
; COMPUTE_PGM_RSRC2:TIDIG_COMP_CNT: 0
; COMPUTE_PGM_RSRC3_GFX90A:ACCUM_OFFSET: 0
; COMPUTE_PGM_RSRC3_GFX90A:TG_SPLIT: 0
	.section	.text._ZN7rocprim17ROCPRIM_400000_NS6detail17trampoline_kernelINS0_13select_configILj256ELj13ELNS0_17block_load_methodE3ELS4_3ELS4_3ELNS0_20block_scan_algorithmE0ELj4294967295EEENS1_25partition_config_selectorILNS1_17partition_subalgoE4EjNS0_10empty_typeEbEEZZNS1_14partition_implILS8_4ELb0ES6_15HIP_vector_typeIjLj2EENS0_17counting_iteratorIjlEEPS9_SG_NS0_5tupleIJPjSI_NS0_16reverse_iteratorISI_EEEEENSH_IJSG_SG_SG_EEES9_SI_JZNS1_25segmented_radix_sort_implINS0_14default_configELb1EPKdPdPKlPlN2at6native12_GLOBAL__N_18offset_tEEE10hipError_tPvRmT1_PNSt15iterator_traitsIS12_E10value_typeET2_T3_PNS13_IS18_E10value_typeET4_jRbjT5_S1E_jjP12ihipStream_tbEUljE_ZNSN_ISO_Lb1ESQ_SR_ST_SU_SY_EESZ_S10_S11_S12_S16_S17_S18_S1B_S1C_jS1D_jS1E_S1E_jjS1G_bEUljE0_EEESZ_S10_S11_S18_S1C_S1E_T6_T7_T9_mT8_S1G_bDpT10_ENKUlT_T0_E_clISt17integral_constantIbLb0EES1T_IbLb1EEEEDaS1P_S1Q_EUlS1P_E_NS1_11comp_targetILNS1_3genE5ELNS1_11target_archE942ELNS1_3gpuE9ELNS1_3repE0EEENS1_30default_config_static_selectorELNS0_4arch9wavefront6targetE1EEEvS12_,"axG",@progbits,_ZN7rocprim17ROCPRIM_400000_NS6detail17trampoline_kernelINS0_13select_configILj256ELj13ELNS0_17block_load_methodE3ELS4_3ELS4_3ELNS0_20block_scan_algorithmE0ELj4294967295EEENS1_25partition_config_selectorILNS1_17partition_subalgoE4EjNS0_10empty_typeEbEEZZNS1_14partition_implILS8_4ELb0ES6_15HIP_vector_typeIjLj2EENS0_17counting_iteratorIjlEEPS9_SG_NS0_5tupleIJPjSI_NS0_16reverse_iteratorISI_EEEEENSH_IJSG_SG_SG_EEES9_SI_JZNS1_25segmented_radix_sort_implINS0_14default_configELb1EPKdPdPKlPlN2at6native12_GLOBAL__N_18offset_tEEE10hipError_tPvRmT1_PNSt15iterator_traitsIS12_E10value_typeET2_T3_PNS13_IS18_E10value_typeET4_jRbjT5_S1E_jjP12ihipStream_tbEUljE_ZNSN_ISO_Lb1ESQ_SR_ST_SU_SY_EESZ_S10_S11_S12_S16_S17_S18_S1B_S1C_jS1D_jS1E_S1E_jjS1G_bEUljE0_EEESZ_S10_S11_S18_S1C_S1E_T6_T7_T9_mT8_S1G_bDpT10_ENKUlT_T0_E_clISt17integral_constantIbLb0EES1T_IbLb1EEEEDaS1P_S1Q_EUlS1P_E_NS1_11comp_targetILNS1_3genE5ELNS1_11target_archE942ELNS1_3gpuE9ELNS1_3repE0EEENS1_30default_config_static_selectorELNS0_4arch9wavefront6targetE1EEEvS12_,comdat
	.globl	_ZN7rocprim17ROCPRIM_400000_NS6detail17trampoline_kernelINS0_13select_configILj256ELj13ELNS0_17block_load_methodE3ELS4_3ELS4_3ELNS0_20block_scan_algorithmE0ELj4294967295EEENS1_25partition_config_selectorILNS1_17partition_subalgoE4EjNS0_10empty_typeEbEEZZNS1_14partition_implILS8_4ELb0ES6_15HIP_vector_typeIjLj2EENS0_17counting_iteratorIjlEEPS9_SG_NS0_5tupleIJPjSI_NS0_16reverse_iteratorISI_EEEEENSH_IJSG_SG_SG_EEES9_SI_JZNS1_25segmented_radix_sort_implINS0_14default_configELb1EPKdPdPKlPlN2at6native12_GLOBAL__N_18offset_tEEE10hipError_tPvRmT1_PNSt15iterator_traitsIS12_E10value_typeET2_T3_PNS13_IS18_E10value_typeET4_jRbjT5_S1E_jjP12ihipStream_tbEUljE_ZNSN_ISO_Lb1ESQ_SR_ST_SU_SY_EESZ_S10_S11_S12_S16_S17_S18_S1B_S1C_jS1D_jS1E_S1E_jjS1G_bEUljE0_EEESZ_S10_S11_S18_S1C_S1E_T6_T7_T9_mT8_S1G_bDpT10_ENKUlT_T0_E_clISt17integral_constantIbLb0EES1T_IbLb1EEEEDaS1P_S1Q_EUlS1P_E_NS1_11comp_targetILNS1_3genE5ELNS1_11target_archE942ELNS1_3gpuE9ELNS1_3repE0EEENS1_30default_config_static_selectorELNS0_4arch9wavefront6targetE1EEEvS12_ ; -- Begin function _ZN7rocprim17ROCPRIM_400000_NS6detail17trampoline_kernelINS0_13select_configILj256ELj13ELNS0_17block_load_methodE3ELS4_3ELS4_3ELNS0_20block_scan_algorithmE0ELj4294967295EEENS1_25partition_config_selectorILNS1_17partition_subalgoE4EjNS0_10empty_typeEbEEZZNS1_14partition_implILS8_4ELb0ES6_15HIP_vector_typeIjLj2EENS0_17counting_iteratorIjlEEPS9_SG_NS0_5tupleIJPjSI_NS0_16reverse_iteratorISI_EEEEENSH_IJSG_SG_SG_EEES9_SI_JZNS1_25segmented_radix_sort_implINS0_14default_configELb1EPKdPdPKlPlN2at6native12_GLOBAL__N_18offset_tEEE10hipError_tPvRmT1_PNSt15iterator_traitsIS12_E10value_typeET2_T3_PNS13_IS18_E10value_typeET4_jRbjT5_S1E_jjP12ihipStream_tbEUljE_ZNSN_ISO_Lb1ESQ_SR_ST_SU_SY_EESZ_S10_S11_S12_S16_S17_S18_S1B_S1C_jS1D_jS1E_S1E_jjS1G_bEUljE0_EEESZ_S10_S11_S18_S1C_S1E_T6_T7_T9_mT8_S1G_bDpT10_ENKUlT_T0_E_clISt17integral_constantIbLb0EES1T_IbLb1EEEEDaS1P_S1Q_EUlS1P_E_NS1_11comp_targetILNS1_3genE5ELNS1_11target_archE942ELNS1_3gpuE9ELNS1_3repE0EEENS1_30default_config_static_selectorELNS0_4arch9wavefront6targetE1EEEvS12_
	.p2align	8
	.type	_ZN7rocprim17ROCPRIM_400000_NS6detail17trampoline_kernelINS0_13select_configILj256ELj13ELNS0_17block_load_methodE3ELS4_3ELS4_3ELNS0_20block_scan_algorithmE0ELj4294967295EEENS1_25partition_config_selectorILNS1_17partition_subalgoE4EjNS0_10empty_typeEbEEZZNS1_14partition_implILS8_4ELb0ES6_15HIP_vector_typeIjLj2EENS0_17counting_iteratorIjlEEPS9_SG_NS0_5tupleIJPjSI_NS0_16reverse_iteratorISI_EEEEENSH_IJSG_SG_SG_EEES9_SI_JZNS1_25segmented_radix_sort_implINS0_14default_configELb1EPKdPdPKlPlN2at6native12_GLOBAL__N_18offset_tEEE10hipError_tPvRmT1_PNSt15iterator_traitsIS12_E10value_typeET2_T3_PNS13_IS18_E10value_typeET4_jRbjT5_S1E_jjP12ihipStream_tbEUljE_ZNSN_ISO_Lb1ESQ_SR_ST_SU_SY_EESZ_S10_S11_S12_S16_S17_S18_S1B_S1C_jS1D_jS1E_S1E_jjS1G_bEUljE0_EEESZ_S10_S11_S18_S1C_S1E_T6_T7_T9_mT8_S1G_bDpT10_ENKUlT_T0_E_clISt17integral_constantIbLb0EES1T_IbLb1EEEEDaS1P_S1Q_EUlS1P_E_NS1_11comp_targetILNS1_3genE5ELNS1_11target_archE942ELNS1_3gpuE9ELNS1_3repE0EEENS1_30default_config_static_selectorELNS0_4arch9wavefront6targetE1EEEvS12_,@function
_ZN7rocprim17ROCPRIM_400000_NS6detail17trampoline_kernelINS0_13select_configILj256ELj13ELNS0_17block_load_methodE3ELS4_3ELS4_3ELNS0_20block_scan_algorithmE0ELj4294967295EEENS1_25partition_config_selectorILNS1_17partition_subalgoE4EjNS0_10empty_typeEbEEZZNS1_14partition_implILS8_4ELb0ES6_15HIP_vector_typeIjLj2EENS0_17counting_iteratorIjlEEPS9_SG_NS0_5tupleIJPjSI_NS0_16reverse_iteratorISI_EEEEENSH_IJSG_SG_SG_EEES9_SI_JZNS1_25segmented_radix_sort_implINS0_14default_configELb1EPKdPdPKlPlN2at6native12_GLOBAL__N_18offset_tEEE10hipError_tPvRmT1_PNSt15iterator_traitsIS12_E10value_typeET2_T3_PNS13_IS18_E10value_typeET4_jRbjT5_S1E_jjP12ihipStream_tbEUljE_ZNSN_ISO_Lb1ESQ_SR_ST_SU_SY_EESZ_S10_S11_S12_S16_S17_S18_S1B_S1C_jS1D_jS1E_S1E_jjS1G_bEUljE0_EEESZ_S10_S11_S18_S1C_S1E_T6_T7_T9_mT8_S1G_bDpT10_ENKUlT_T0_E_clISt17integral_constantIbLb0EES1T_IbLb1EEEEDaS1P_S1Q_EUlS1P_E_NS1_11comp_targetILNS1_3genE5ELNS1_11target_archE942ELNS1_3gpuE9ELNS1_3repE0EEENS1_30default_config_static_selectorELNS0_4arch9wavefront6targetE1EEEvS12_: ; @_ZN7rocprim17ROCPRIM_400000_NS6detail17trampoline_kernelINS0_13select_configILj256ELj13ELNS0_17block_load_methodE3ELS4_3ELS4_3ELNS0_20block_scan_algorithmE0ELj4294967295EEENS1_25partition_config_selectorILNS1_17partition_subalgoE4EjNS0_10empty_typeEbEEZZNS1_14partition_implILS8_4ELb0ES6_15HIP_vector_typeIjLj2EENS0_17counting_iteratorIjlEEPS9_SG_NS0_5tupleIJPjSI_NS0_16reverse_iteratorISI_EEEEENSH_IJSG_SG_SG_EEES9_SI_JZNS1_25segmented_radix_sort_implINS0_14default_configELb1EPKdPdPKlPlN2at6native12_GLOBAL__N_18offset_tEEE10hipError_tPvRmT1_PNSt15iterator_traitsIS12_E10value_typeET2_T3_PNS13_IS18_E10value_typeET4_jRbjT5_S1E_jjP12ihipStream_tbEUljE_ZNSN_ISO_Lb1ESQ_SR_ST_SU_SY_EESZ_S10_S11_S12_S16_S17_S18_S1B_S1C_jS1D_jS1E_S1E_jjS1G_bEUljE0_EEESZ_S10_S11_S18_S1C_S1E_T6_T7_T9_mT8_S1G_bDpT10_ENKUlT_T0_E_clISt17integral_constantIbLb0EES1T_IbLb1EEEEDaS1P_S1Q_EUlS1P_E_NS1_11comp_targetILNS1_3genE5ELNS1_11target_archE942ELNS1_3gpuE9ELNS1_3repE0EEENS1_30default_config_static_selectorELNS0_4arch9wavefront6targetE1EEEvS12_
; %bb.0:
	.section	.rodata,"a",@progbits
	.p2align	6, 0x0
	.amdhsa_kernel _ZN7rocprim17ROCPRIM_400000_NS6detail17trampoline_kernelINS0_13select_configILj256ELj13ELNS0_17block_load_methodE3ELS4_3ELS4_3ELNS0_20block_scan_algorithmE0ELj4294967295EEENS1_25partition_config_selectorILNS1_17partition_subalgoE4EjNS0_10empty_typeEbEEZZNS1_14partition_implILS8_4ELb0ES6_15HIP_vector_typeIjLj2EENS0_17counting_iteratorIjlEEPS9_SG_NS0_5tupleIJPjSI_NS0_16reverse_iteratorISI_EEEEENSH_IJSG_SG_SG_EEES9_SI_JZNS1_25segmented_radix_sort_implINS0_14default_configELb1EPKdPdPKlPlN2at6native12_GLOBAL__N_18offset_tEEE10hipError_tPvRmT1_PNSt15iterator_traitsIS12_E10value_typeET2_T3_PNS13_IS18_E10value_typeET4_jRbjT5_S1E_jjP12ihipStream_tbEUljE_ZNSN_ISO_Lb1ESQ_SR_ST_SU_SY_EESZ_S10_S11_S12_S16_S17_S18_S1B_S1C_jS1D_jS1E_S1E_jjS1G_bEUljE0_EEESZ_S10_S11_S18_S1C_S1E_T6_T7_T9_mT8_S1G_bDpT10_ENKUlT_T0_E_clISt17integral_constantIbLb0EES1T_IbLb1EEEEDaS1P_S1Q_EUlS1P_E_NS1_11comp_targetILNS1_3genE5ELNS1_11target_archE942ELNS1_3gpuE9ELNS1_3repE0EEENS1_30default_config_static_selectorELNS0_4arch9wavefront6targetE1EEEvS12_
		.amdhsa_group_segment_fixed_size 0
		.amdhsa_private_segment_fixed_size 0
		.amdhsa_kernarg_size 184
		.amdhsa_user_sgpr_count 6
		.amdhsa_user_sgpr_private_segment_buffer 1
		.amdhsa_user_sgpr_dispatch_ptr 0
		.amdhsa_user_sgpr_queue_ptr 0
		.amdhsa_user_sgpr_kernarg_segment_ptr 1
		.amdhsa_user_sgpr_dispatch_id 0
		.amdhsa_user_sgpr_flat_scratch_init 0
		.amdhsa_user_sgpr_kernarg_preload_length 0
		.amdhsa_user_sgpr_kernarg_preload_offset 0
		.amdhsa_user_sgpr_private_segment_size 0
		.amdhsa_uses_dynamic_stack 0
		.amdhsa_system_sgpr_private_segment_wavefront_offset 0
		.amdhsa_system_sgpr_workgroup_id_x 1
		.amdhsa_system_sgpr_workgroup_id_y 0
		.amdhsa_system_sgpr_workgroup_id_z 0
		.amdhsa_system_sgpr_workgroup_info 0
		.amdhsa_system_vgpr_workitem_id 0
		.amdhsa_next_free_vgpr 1
		.amdhsa_next_free_sgpr 0
		.amdhsa_accum_offset 4
		.amdhsa_reserve_vcc 0
		.amdhsa_reserve_flat_scratch 0
		.amdhsa_float_round_mode_32 0
		.amdhsa_float_round_mode_16_64 0
		.amdhsa_float_denorm_mode_32 3
		.amdhsa_float_denorm_mode_16_64 3
		.amdhsa_dx10_clamp 1
		.amdhsa_ieee_mode 1
		.amdhsa_fp16_overflow 0
		.amdhsa_tg_split 0
		.amdhsa_exception_fp_ieee_invalid_op 0
		.amdhsa_exception_fp_denorm_src 0
		.amdhsa_exception_fp_ieee_div_zero 0
		.amdhsa_exception_fp_ieee_overflow 0
		.amdhsa_exception_fp_ieee_underflow 0
		.amdhsa_exception_fp_ieee_inexact 0
		.amdhsa_exception_int_div_zero 0
	.end_amdhsa_kernel
	.section	.text._ZN7rocprim17ROCPRIM_400000_NS6detail17trampoline_kernelINS0_13select_configILj256ELj13ELNS0_17block_load_methodE3ELS4_3ELS4_3ELNS0_20block_scan_algorithmE0ELj4294967295EEENS1_25partition_config_selectorILNS1_17partition_subalgoE4EjNS0_10empty_typeEbEEZZNS1_14partition_implILS8_4ELb0ES6_15HIP_vector_typeIjLj2EENS0_17counting_iteratorIjlEEPS9_SG_NS0_5tupleIJPjSI_NS0_16reverse_iteratorISI_EEEEENSH_IJSG_SG_SG_EEES9_SI_JZNS1_25segmented_radix_sort_implINS0_14default_configELb1EPKdPdPKlPlN2at6native12_GLOBAL__N_18offset_tEEE10hipError_tPvRmT1_PNSt15iterator_traitsIS12_E10value_typeET2_T3_PNS13_IS18_E10value_typeET4_jRbjT5_S1E_jjP12ihipStream_tbEUljE_ZNSN_ISO_Lb1ESQ_SR_ST_SU_SY_EESZ_S10_S11_S12_S16_S17_S18_S1B_S1C_jS1D_jS1E_S1E_jjS1G_bEUljE0_EEESZ_S10_S11_S18_S1C_S1E_T6_T7_T9_mT8_S1G_bDpT10_ENKUlT_T0_E_clISt17integral_constantIbLb0EES1T_IbLb1EEEEDaS1P_S1Q_EUlS1P_E_NS1_11comp_targetILNS1_3genE5ELNS1_11target_archE942ELNS1_3gpuE9ELNS1_3repE0EEENS1_30default_config_static_selectorELNS0_4arch9wavefront6targetE1EEEvS12_,"axG",@progbits,_ZN7rocprim17ROCPRIM_400000_NS6detail17trampoline_kernelINS0_13select_configILj256ELj13ELNS0_17block_load_methodE3ELS4_3ELS4_3ELNS0_20block_scan_algorithmE0ELj4294967295EEENS1_25partition_config_selectorILNS1_17partition_subalgoE4EjNS0_10empty_typeEbEEZZNS1_14partition_implILS8_4ELb0ES6_15HIP_vector_typeIjLj2EENS0_17counting_iteratorIjlEEPS9_SG_NS0_5tupleIJPjSI_NS0_16reverse_iteratorISI_EEEEENSH_IJSG_SG_SG_EEES9_SI_JZNS1_25segmented_radix_sort_implINS0_14default_configELb1EPKdPdPKlPlN2at6native12_GLOBAL__N_18offset_tEEE10hipError_tPvRmT1_PNSt15iterator_traitsIS12_E10value_typeET2_T3_PNS13_IS18_E10value_typeET4_jRbjT5_S1E_jjP12ihipStream_tbEUljE_ZNSN_ISO_Lb1ESQ_SR_ST_SU_SY_EESZ_S10_S11_S12_S16_S17_S18_S1B_S1C_jS1D_jS1E_S1E_jjS1G_bEUljE0_EEESZ_S10_S11_S18_S1C_S1E_T6_T7_T9_mT8_S1G_bDpT10_ENKUlT_T0_E_clISt17integral_constantIbLb0EES1T_IbLb1EEEEDaS1P_S1Q_EUlS1P_E_NS1_11comp_targetILNS1_3genE5ELNS1_11target_archE942ELNS1_3gpuE9ELNS1_3repE0EEENS1_30default_config_static_selectorELNS0_4arch9wavefront6targetE1EEEvS12_,comdat
.Lfunc_end1077:
	.size	_ZN7rocprim17ROCPRIM_400000_NS6detail17trampoline_kernelINS0_13select_configILj256ELj13ELNS0_17block_load_methodE3ELS4_3ELS4_3ELNS0_20block_scan_algorithmE0ELj4294967295EEENS1_25partition_config_selectorILNS1_17partition_subalgoE4EjNS0_10empty_typeEbEEZZNS1_14partition_implILS8_4ELb0ES6_15HIP_vector_typeIjLj2EENS0_17counting_iteratorIjlEEPS9_SG_NS0_5tupleIJPjSI_NS0_16reverse_iteratorISI_EEEEENSH_IJSG_SG_SG_EEES9_SI_JZNS1_25segmented_radix_sort_implINS0_14default_configELb1EPKdPdPKlPlN2at6native12_GLOBAL__N_18offset_tEEE10hipError_tPvRmT1_PNSt15iterator_traitsIS12_E10value_typeET2_T3_PNS13_IS18_E10value_typeET4_jRbjT5_S1E_jjP12ihipStream_tbEUljE_ZNSN_ISO_Lb1ESQ_SR_ST_SU_SY_EESZ_S10_S11_S12_S16_S17_S18_S1B_S1C_jS1D_jS1E_S1E_jjS1G_bEUljE0_EEESZ_S10_S11_S18_S1C_S1E_T6_T7_T9_mT8_S1G_bDpT10_ENKUlT_T0_E_clISt17integral_constantIbLb0EES1T_IbLb1EEEEDaS1P_S1Q_EUlS1P_E_NS1_11comp_targetILNS1_3genE5ELNS1_11target_archE942ELNS1_3gpuE9ELNS1_3repE0EEENS1_30default_config_static_selectorELNS0_4arch9wavefront6targetE1EEEvS12_, .Lfunc_end1077-_ZN7rocprim17ROCPRIM_400000_NS6detail17trampoline_kernelINS0_13select_configILj256ELj13ELNS0_17block_load_methodE3ELS4_3ELS4_3ELNS0_20block_scan_algorithmE0ELj4294967295EEENS1_25partition_config_selectorILNS1_17partition_subalgoE4EjNS0_10empty_typeEbEEZZNS1_14partition_implILS8_4ELb0ES6_15HIP_vector_typeIjLj2EENS0_17counting_iteratorIjlEEPS9_SG_NS0_5tupleIJPjSI_NS0_16reverse_iteratorISI_EEEEENSH_IJSG_SG_SG_EEES9_SI_JZNS1_25segmented_radix_sort_implINS0_14default_configELb1EPKdPdPKlPlN2at6native12_GLOBAL__N_18offset_tEEE10hipError_tPvRmT1_PNSt15iterator_traitsIS12_E10value_typeET2_T3_PNS13_IS18_E10value_typeET4_jRbjT5_S1E_jjP12ihipStream_tbEUljE_ZNSN_ISO_Lb1ESQ_SR_ST_SU_SY_EESZ_S10_S11_S12_S16_S17_S18_S1B_S1C_jS1D_jS1E_S1E_jjS1G_bEUljE0_EEESZ_S10_S11_S18_S1C_S1E_T6_T7_T9_mT8_S1G_bDpT10_ENKUlT_T0_E_clISt17integral_constantIbLb0EES1T_IbLb1EEEEDaS1P_S1Q_EUlS1P_E_NS1_11comp_targetILNS1_3genE5ELNS1_11target_archE942ELNS1_3gpuE9ELNS1_3repE0EEENS1_30default_config_static_selectorELNS0_4arch9wavefront6targetE1EEEvS12_
                                        ; -- End function
	.section	.AMDGPU.csdata,"",@progbits
; Kernel info:
; codeLenInByte = 0
; NumSgprs: 4
; NumVgprs: 0
; NumAgprs: 0
; TotalNumVgprs: 0
; ScratchSize: 0
; MemoryBound: 0
; FloatMode: 240
; IeeeMode: 1
; LDSByteSize: 0 bytes/workgroup (compile time only)
; SGPRBlocks: 0
; VGPRBlocks: 0
; NumSGPRsForWavesPerEU: 4
; NumVGPRsForWavesPerEU: 1
; AccumOffset: 4
; Occupancy: 8
; WaveLimiterHint : 0
; COMPUTE_PGM_RSRC2:SCRATCH_EN: 0
; COMPUTE_PGM_RSRC2:USER_SGPR: 6
; COMPUTE_PGM_RSRC2:TRAP_HANDLER: 0
; COMPUTE_PGM_RSRC2:TGID_X_EN: 1
; COMPUTE_PGM_RSRC2:TGID_Y_EN: 0
; COMPUTE_PGM_RSRC2:TGID_Z_EN: 0
; COMPUTE_PGM_RSRC2:TIDIG_COMP_CNT: 0
; COMPUTE_PGM_RSRC3_GFX90A:ACCUM_OFFSET: 0
; COMPUTE_PGM_RSRC3_GFX90A:TG_SPLIT: 0
	.section	.text._ZN7rocprim17ROCPRIM_400000_NS6detail17trampoline_kernelINS0_13select_configILj256ELj13ELNS0_17block_load_methodE3ELS4_3ELS4_3ELNS0_20block_scan_algorithmE0ELj4294967295EEENS1_25partition_config_selectorILNS1_17partition_subalgoE4EjNS0_10empty_typeEbEEZZNS1_14partition_implILS8_4ELb0ES6_15HIP_vector_typeIjLj2EENS0_17counting_iteratorIjlEEPS9_SG_NS0_5tupleIJPjSI_NS0_16reverse_iteratorISI_EEEEENSH_IJSG_SG_SG_EEES9_SI_JZNS1_25segmented_radix_sort_implINS0_14default_configELb1EPKdPdPKlPlN2at6native12_GLOBAL__N_18offset_tEEE10hipError_tPvRmT1_PNSt15iterator_traitsIS12_E10value_typeET2_T3_PNS13_IS18_E10value_typeET4_jRbjT5_S1E_jjP12ihipStream_tbEUljE_ZNSN_ISO_Lb1ESQ_SR_ST_SU_SY_EESZ_S10_S11_S12_S16_S17_S18_S1B_S1C_jS1D_jS1E_S1E_jjS1G_bEUljE0_EEESZ_S10_S11_S18_S1C_S1E_T6_T7_T9_mT8_S1G_bDpT10_ENKUlT_T0_E_clISt17integral_constantIbLb0EES1T_IbLb1EEEEDaS1P_S1Q_EUlS1P_E_NS1_11comp_targetILNS1_3genE4ELNS1_11target_archE910ELNS1_3gpuE8ELNS1_3repE0EEENS1_30default_config_static_selectorELNS0_4arch9wavefront6targetE1EEEvS12_,"axG",@progbits,_ZN7rocprim17ROCPRIM_400000_NS6detail17trampoline_kernelINS0_13select_configILj256ELj13ELNS0_17block_load_methodE3ELS4_3ELS4_3ELNS0_20block_scan_algorithmE0ELj4294967295EEENS1_25partition_config_selectorILNS1_17partition_subalgoE4EjNS0_10empty_typeEbEEZZNS1_14partition_implILS8_4ELb0ES6_15HIP_vector_typeIjLj2EENS0_17counting_iteratorIjlEEPS9_SG_NS0_5tupleIJPjSI_NS0_16reverse_iteratorISI_EEEEENSH_IJSG_SG_SG_EEES9_SI_JZNS1_25segmented_radix_sort_implINS0_14default_configELb1EPKdPdPKlPlN2at6native12_GLOBAL__N_18offset_tEEE10hipError_tPvRmT1_PNSt15iterator_traitsIS12_E10value_typeET2_T3_PNS13_IS18_E10value_typeET4_jRbjT5_S1E_jjP12ihipStream_tbEUljE_ZNSN_ISO_Lb1ESQ_SR_ST_SU_SY_EESZ_S10_S11_S12_S16_S17_S18_S1B_S1C_jS1D_jS1E_S1E_jjS1G_bEUljE0_EEESZ_S10_S11_S18_S1C_S1E_T6_T7_T9_mT8_S1G_bDpT10_ENKUlT_T0_E_clISt17integral_constantIbLb0EES1T_IbLb1EEEEDaS1P_S1Q_EUlS1P_E_NS1_11comp_targetILNS1_3genE4ELNS1_11target_archE910ELNS1_3gpuE8ELNS1_3repE0EEENS1_30default_config_static_selectorELNS0_4arch9wavefront6targetE1EEEvS12_,comdat
	.globl	_ZN7rocprim17ROCPRIM_400000_NS6detail17trampoline_kernelINS0_13select_configILj256ELj13ELNS0_17block_load_methodE3ELS4_3ELS4_3ELNS0_20block_scan_algorithmE0ELj4294967295EEENS1_25partition_config_selectorILNS1_17partition_subalgoE4EjNS0_10empty_typeEbEEZZNS1_14partition_implILS8_4ELb0ES6_15HIP_vector_typeIjLj2EENS0_17counting_iteratorIjlEEPS9_SG_NS0_5tupleIJPjSI_NS0_16reverse_iteratorISI_EEEEENSH_IJSG_SG_SG_EEES9_SI_JZNS1_25segmented_radix_sort_implINS0_14default_configELb1EPKdPdPKlPlN2at6native12_GLOBAL__N_18offset_tEEE10hipError_tPvRmT1_PNSt15iterator_traitsIS12_E10value_typeET2_T3_PNS13_IS18_E10value_typeET4_jRbjT5_S1E_jjP12ihipStream_tbEUljE_ZNSN_ISO_Lb1ESQ_SR_ST_SU_SY_EESZ_S10_S11_S12_S16_S17_S18_S1B_S1C_jS1D_jS1E_S1E_jjS1G_bEUljE0_EEESZ_S10_S11_S18_S1C_S1E_T6_T7_T9_mT8_S1G_bDpT10_ENKUlT_T0_E_clISt17integral_constantIbLb0EES1T_IbLb1EEEEDaS1P_S1Q_EUlS1P_E_NS1_11comp_targetILNS1_3genE4ELNS1_11target_archE910ELNS1_3gpuE8ELNS1_3repE0EEENS1_30default_config_static_selectorELNS0_4arch9wavefront6targetE1EEEvS12_ ; -- Begin function _ZN7rocprim17ROCPRIM_400000_NS6detail17trampoline_kernelINS0_13select_configILj256ELj13ELNS0_17block_load_methodE3ELS4_3ELS4_3ELNS0_20block_scan_algorithmE0ELj4294967295EEENS1_25partition_config_selectorILNS1_17partition_subalgoE4EjNS0_10empty_typeEbEEZZNS1_14partition_implILS8_4ELb0ES6_15HIP_vector_typeIjLj2EENS0_17counting_iteratorIjlEEPS9_SG_NS0_5tupleIJPjSI_NS0_16reverse_iteratorISI_EEEEENSH_IJSG_SG_SG_EEES9_SI_JZNS1_25segmented_radix_sort_implINS0_14default_configELb1EPKdPdPKlPlN2at6native12_GLOBAL__N_18offset_tEEE10hipError_tPvRmT1_PNSt15iterator_traitsIS12_E10value_typeET2_T3_PNS13_IS18_E10value_typeET4_jRbjT5_S1E_jjP12ihipStream_tbEUljE_ZNSN_ISO_Lb1ESQ_SR_ST_SU_SY_EESZ_S10_S11_S12_S16_S17_S18_S1B_S1C_jS1D_jS1E_S1E_jjS1G_bEUljE0_EEESZ_S10_S11_S18_S1C_S1E_T6_T7_T9_mT8_S1G_bDpT10_ENKUlT_T0_E_clISt17integral_constantIbLb0EES1T_IbLb1EEEEDaS1P_S1Q_EUlS1P_E_NS1_11comp_targetILNS1_3genE4ELNS1_11target_archE910ELNS1_3gpuE8ELNS1_3repE0EEENS1_30default_config_static_selectorELNS0_4arch9wavefront6targetE1EEEvS12_
	.p2align	8
	.type	_ZN7rocprim17ROCPRIM_400000_NS6detail17trampoline_kernelINS0_13select_configILj256ELj13ELNS0_17block_load_methodE3ELS4_3ELS4_3ELNS0_20block_scan_algorithmE0ELj4294967295EEENS1_25partition_config_selectorILNS1_17partition_subalgoE4EjNS0_10empty_typeEbEEZZNS1_14partition_implILS8_4ELb0ES6_15HIP_vector_typeIjLj2EENS0_17counting_iteratorIjlEEPS9_SG_NS0_5tupleIJPjSI_NS0_16reverse_iteratorISI_EEEEENSH_IJSG_SG_SG_EEES9_SI_JZNS1_25segmented_radix_sort_implINS0_14default_configELb1EPKdPdPKlPlN2at6native12_GLOBAL__N_18offset_tEEE10hipError_tPvRmT1_PNSt15iterator_traitsIS12_E10value_typeET2_T3_PNS13_IS18_E10value_typeET4_jRbjT5_S1E_jjP12ihipStream_tbEUljE_ZNSN_ISO_Lb1ESQ_SR_ST_SU_SY_EESZ_S10_S11_S12_S16_S17_S18_S1B_S1C_jS1D_jS1E_S1E_jjS1G_bEUljE0_EEESZ_S10_S11_S18_S1C_S1E_T6_T7_T9_mT8_S1G_bDpT10_ENKUlT_T0_E_clISt17integral_constantIbLb0EES1T_IbLb1EEEEDaS1P_S1Q_EUlS1P_E_NS1_11comp_targetILNS1_3genE4ELNS1_11target_archE910ELNS1_3gpuE8ELNS1_3repE0EEENS1_30default_config_static_selectorELNS0_4arch9wavefront6targetE1EEEvS12_,@function
_ZN7rocprim17ROCPRIM_400000_NS6detail17trampoline_kernelINS0_13select_configILj256ELj13ELNS0_17block_load_methodE3ELS4_3ELS4_3ELNS0_20block_scan_algorithmE0ELj4294967295EEENS1_25partition_config_selectorILNS1_17partition_subalgoE4EjNS0_10empty_typeEbEEZZNS1_14partition_implILS8_4ELb0ES6_15HIP_vector_typeIjLj2EENS0_17counting_iteratorIjlEEPS9_SG_NS0_5tupleIJPjSI_NS0_16reverse_iteratorISI_EEEEENSH_IJSG_SG_SG_EEES9_SI_JZNS1_25segmented_radix_sort_implINS0_14default_configELb1EPKdPdPKlPlN2at6native12_GLOBAL__N_18offset_tEEE10hipError_tPvRmT1_PNSt15iterator_traitsIS12_E10value_typeET2_T3_PNS13_IS18_E10value_typeET4_jRbjT5_S1E_jjP12ihipStream_tbEUljE_ZNSN_ISO_Lb1ESQ_SR_ST_SU_SY_EESZ_S10_S11_S12_S16_S17_S18_S1B_S1C_jS1D_jS1E_S1E_jjS1G_bEUljE0_EEESZ_S10_S11_S18_S1C_S1E_T6_T7_T9_mT8_S1G_bDpT10_ENKUlT_T0_E_clISt17integral_constantIbLb0EES1T_IbLb1EEEEDaS1P_S1Q_EUlS1P_E_NS1_11comp_targetILNS1_3genE4ELNS1_11target_archE910ELNS1_3gpuE8ELNS1_3repE0EEENS1_30default_config_static_selectorELNS0_4arch9wavefront6targetE1EEEvS12_: ; @_ZN7rocprim17ROCPRIM_400000_NS6detail17trampoline_kernelINS0_13select_configILj256ELj13ELNS0_17block_load_methodE3ELS4_3ELS4_3ELNS0_20block_scan_algorithmE0ELj4294967295EEENS1_25partition_config_selectorILNS1_17partition_subalgoE4EjNS0_10empty_typeEbEEZZNS1_14partition_implILS8_4ELb0ES6_15HIP_vector_typeIjLj2EENS0_17counting_iteratorIjlEEPS9_SG_NS0_5tupleIJPjSI_NS0_16reverse_iteratorISI_EEEEENSH_IJSG_SG_SG_EEES9_SI_JZNS1_25segmented_radix_sort_implINS0_14default_configELb1EPKdPdPKlPlN2at6native12_GLOBAL__N_18offset_tEEE10hipError_tPvRmT1_PNSt15iterator_traitsIS12_E10value_typeET2_T3_PNS13_IS18_E10value_typeET4_jRbjT5_S1E_jjP12ihipStream_tbEUljE_ZNSN_ISO_Lb1ESQ_SR_ST_SU_SY_EESZ_S10_S11_S12_S16_S17_S18_S1B_S1C_jS1D_jS1E_S1E_jjS1G_bEUljE0_EEESZ_S10_S11_S18_S1C_S1E_T6_T7_T9_mT8_S1G_bDpT10_ENKUlT_T0_E_clISt17integral_constantIbLb0EES1T_IbLb1EEEEDaS1P_S1Q_EUlS1P_E_NS1_11comp_targetILNS1_3genE4ELNS1_11target_archE910ELNS1_3gpuE8ELNS1_3repE0EEENS1_30default_config_static_selectorELNS0_4arch9wavefront6targetE1EEEvS12_
; %bb.0:
	s_load_dwordx2 s[48:49], s[4:5], 0x10
	s_load_dwordx4 s[44:47], s[4:5], 0x28
	s_load_dwordx2 s[34:35], s[4:5], 0x38
	s_load_dwordx4 s[28:31], s[4:5], 0x58
	s_load_dwordx2 s[2:3], s[4:5], 0x68
	s_load_dwordx2 s[50:51], s[4:5], 0x78
	;; [unrolled: 1-line block ×3, first 2 shown]
	s_load_dwordx8 s[36:43], s[4:5], 0x90
	v_cmp_eq_u32_e64 s[0:1], 0, v0
	s_and_saveexec_b64 s[6:7], s[0:1]
	s_cbranch_execz .LBB1078_4
; %bb.1:
	s_mov_b64 s[10:11], exec
	v_mbcnt_lo_u32_b32 v1, s10, 0
	v_mbcnt_hi_u32_b32 v1, s11, v1
	v_cmp_eq_u32_e32 vcc, 0, v1
                                        ; implicit-def: $vgpr2
	s_and_saveexec_b64 s[8:9], vcc
	s_cbranch_execz .LBB1078_3
; %bb.2:
	s_load_dwordx2 s[12:13], s[4:5], 0x88
	s_bcnt1_i32_b64 s10, s[10:11]
	v_mov_b32_e32 v2, 0
	v_mov_b32_e32 v3, s10
	s_waitcnt lgkmcnt(0)
	global_atomic_add v2, v2, v3, s[12:13] glc
.LBB1078_3:
	s_or_b64 exec, exec, s[8:9]
	s_waitcnt vmcnt(0)
	v_readfirstlane_b32 s8, v2
	v_add_u32_e32 v1, s8, v1
	v_mov_b32_e32 v2, 0
	ds_write_b32 v2, v1
.LBB1078_4:
	s_or_b64 exec, exec, s[6:7]
	v_mov_b32_e32 v1, 0
	s_load_dword s7, s[4:5], 0x8
	s_load_dword s6, s[4:5], 0x80
	s_waitcnt lgkmcnt(0)
	s_barrier
	ds_read_b32 v8, v1
	s_waitcnt lgkmcnt(0)
	s_barrier
	global_load_dwordx4 v[2:5], v1, s[30:31]
	v_mov_b32_e32 v7, s3
	s_movk_i32 s3, 0xd00
	s_add_i32 s8, s7, s48
	v_mul_lo_u32 v34, v8, s3
	s_add_i32 s7, s6, -1
	s_mul_i32 s3, s6, 0xd00
	s_add_u32 s4, s48, s3
	v_readfirstlane_b32 s33, v8
	s_addc_u32 s5, s49, 0
	s_cmp_eq_u32 s33, s7
	v_mov_b32_e32 v6, s2
	s_cselect_b64 s[30:31], -1, 0
	s_cmp_lg_u32 s33, s7
	v_cmp_lt_u64_e32 vcc, s[4:5], v[6:7]
	s_cselect_b64 s[4:5], -1, 0
	s_or_b64 s[4:5], vcc, s[4:5]
	v_add_u32_e32 v1, s8, v34
	s_mov_b64 s[6:7], -1
	s_and_b64 vcc, exec, s[4:5]
	v_add_u32_e32 v1, v1, v0
	s_cbranch_vccz .LBB1078_6
; %bb.5:
	v_add_u32_e32 v6, 0x100, v1
	v_lshlrev_b32_e32 v18, 2, v0
	v_add_u32_e32 v7, 0x200, v1
	v_add_u32_e32 v8, 0x300, v1
	;; [unrolled: 1-line block ×11, first 2 shown]
	ds_write2st64_b32 v18, v1, v6 offset1:4
	ds_write2st64_b32 v18, v7, v8 offset0:8 offset1:12
	ds_write2st64_b32 v18, v9, v10 offset0:16 offset1:20
	;; [unrolled: 1-line block ×5, first 2 shown]
	ds_write_b32 v18, v17 offset:12288
	s_waitcnt lgkmcnt(0)
	s_barrier
	s_mov_b64 s[6:7], 0
.LBB1078_6:
	s_andn2_b64 vcc, exec, s[6:7]
	s_add_i32 s3, s3, s48
	s_cbranch_vccnz .LBB1078_8
; %bb.7:
	v_add_u32_e32 v6, 0x100, v1
	v_lshlrev_b32_e32 v18, 2, v0
	v_add_u32_e32 v7, 0x200, v1
	v_add_u32_e32 v8, 0x300, v1
	;; [unrolled: 1-line block ×11, first 2 shown]
	ds_write2st64_b32 v18, v1, v6 offset1:4
	ds_write2st64_b32 v18, v7, v8 offset0:8 offset1:12
	ds_write2st64_b32 v18, v9, v10 offset0:16 offset1:20
	ds_write2st64_b32 v18, v11, v12 offset0:24 offset1:28
	ds_write2st64_b32 v18, v13, v14 offset0:32 offset1:36
	ds_write2st64_b32 v18, v15, v16 offset0:40 offset1:44
	ds_write_b32 v18, v17 offset:12288
	s_waitcnt lgkmcnt(0)
	s_barrier
.LBB1078_8:
	v_mul_u32_u24_e32 v36, 13, v0
	v_lshlrev_b32_e32 v1, 2, v36
	ds_read2_b32 v[22:23], v1 offset1:1
	ds_read2_b32 v[20:21], v1 offset0:2 offset1:3
	ds_read2_b32 v[18:19], v1 offset0:4 offset1:5
	;; [unrolled: 1-line block ×5, first 2 shown]
	ds_read_b32 v35, v1 offset:48
	v_cndmask_b32_e64 v1, 0, 1, s[4:5]
	s_sub_i32 s86, s2, s3
	v_cmp_ne_u32_e64 s[2:3], 1, v1
	s_andn2_b64 vcc, exec, s[4:5]
	s_waitcnt lgkmcnt(0)
	s_barrier
	s_cbranch_vccnz .LBB1078_36
; %bb.9:
	v_add_u32_e32 v1, s37, v22
	v_add_u32_e32 v6, s39, v22
	v_mul_lo_u32 v1, v1, s36
	v_mul_lo_u32 v6, v6, s38
	v_sub_u32_e32 v1, v1, v6
	v_cmp_lt_u32_e32 vcc, s40, v1
	v_cmp_ge_u32_e64 s[4:5], s40, v1
	s_mov_b64 s[60:61], 0
	s_mov_b64 s[58:59], 0
	s_and_saveexec_b64 s[6:7], s[4:5]
; %bb.10:
	v_add_u32_e32 v1, s42, v22
	v_add_u32_e32 v6, s56, v22
	v_mul_lo_u32 v1, v1, s41
	v_mul_lo_u32 v6, v6, s43
	v_sub_u32_e32 v1, v1, v6
	v_cmp_lt_u32_e64 s[4:5], s57, v1
	s_and_b64 s[58:59], s[4:5], exec
; %bb.11:
	s_or_b64 exec, exec, s[6:7]
	v_add_u32_e32 v1, s37, v23
	v_add_u32_e32 v6, s39, v23
	v_mul_lo_u32 v1, v1, s36
	v_mul_lo_u32 v6, v6, s38
	v_sub_u32_e32 v1, v1, v6
	v_cmp_lt_u32_e64 s[4:5], s40, v1
	v_cmp_ge_u32_e64 s[6:7], s40, v1
	s_and_saveexec_b64 s[8:9], s[6:7]
; %bb.12:
	v_add_u32_e32 v1, s42, v23
	v_add_u32_e32 v6, s56, v23
	v_mul_lo_u32 v1, v1, s41
	v_mul_lo_u32 v6, v6, s43
	v_sub_u32_e32 v1, v1, v6
	v_cmp_lt_u32_e64 s[6:7], s57, v1
	s_and_b64 s[60:61], s[6:7], exec
; %bb.13:
	s_or_b64 exec, exec, s[8:9]
	v_add_u32_e32 v1, s37, v20
	v_add_u32_e32 v6, s39, v20
	v_mul_lo_u32 v1, v1, s36
	v_mul_lo_u32 v6, v6, s38
	v_sub_u32_e32 v1, v1, v6
	v_cmp_lt_u32_e64 s[6:7], s40, v1
	v_cmp_ge_u32_e64 s[8:9], s40, v1
	s_mov_b64 s[64:65], 0
	s_mov_b64 s[62:63], 0
	s_and_saveexec_b64 s[10:11], s[8:9]
; %bb.14:
	v_add_u32_e32 v1, s42, v20
	v_add_u32_e32 v6, s56, v20
	v_mul_lo_u32 v1, v1, s41
	v_mul_lo_u32 v6, v6, s43
	v_sub_u32_e32 v1, v1, v6
	v_cmp_lt_u32_e64 s[8:9], s57, v1
	s_and_b64 s[62:63], s[8:9], exec
; %bb.15:
	s_or_b64 exec, exec, s[10:11]
	v_add_u32_e32 v1, s37, v21
	v_add_u32_e32 v6, s39, v21
	v_mul_lo_u32 v1, v1, s36
	v_mul_lo_u32 v6, v6, s38
	v_sub_u32_e32 v1, v1, v6
	v_cmp_lt_u32_e64 s[8:9], s40, v1
	v_cmp_ge_u32_e64 s[10:11], s40, v1
	s_and_saveexec_b64 s[12:13], s[10:11]
; %bb.16:
	v_add_u32_e32 v1, s42, v21
	v_add_u32_e32 v6, s56, v21
	v_mul_lo_u32 v1, v1, s41
	v_mul_lo_u32 v6, v6, s43
	v_sub_u32_e32 v1, v1, v6
	v_cmp_lt_u32_e64 s[10:11], s57, v1
	s_and_b64 s[64:65], s[10:11], exec
; %bb.17:
	s_or_b64 exec, exec, s[12:13]
	v_add_u32_e32 v1, s37, v18
	v_add_u32_e32 v6, s39, v18
	v_mul_lo_u32 v1, v1, s36
	v_mul_lo_u32 v6, v6, s38
	v_sub_u32_e32 v1, v1, v6
	v_cmp_lt_u32_e64 s[10:11], s40, v1
	;; [unrolled: 38-line block ×5, first 2 shown]
	v_cmp_ge_u32_e64 s[24:25], s40, v1
	s_mov_b64 s[80:81], 0
	s_mov_b64 s[82:83], 0
	s_and_saveexec_b64 s[26:27], s[24:25]
; %bb.30:
	v_add_u32_e32 v1, s42, v12
	v_add_u32_e32 v6, s56, v12
	v_mul_lo_u32 v1, v1, s41
	v_mul_lo_u32 v6, v6, s43
	v_sub_u32_e32 v1, v1, v6
	v_cmp_lt_u32_e64 s[24:25], s57, v1
	s_and_b64 s[82:83], s[24:25], exec
; %bb.31:
	s_or_b64 exec, exec, s[26:27]
	v_add_u32_e32 v1, s37, v13
	v_add_u32_e32 v6, s39, v13
	v_mul_lo_u32 v1, v1, s36
	v_mul_lo_u32 v6, v6, s38
	v_sub_u32_e32 v1, v1, v6
	v_cmp_lt_u32_e64 s[24:25], s40, v1
	v_cmp_ge_u32_e64 s[26:27], s40, v1
	s_and_saveexec_b64 s[52:53], s[26:27]
; %bb.32:
	v_add_u32_e32 v1, s42, v13
	v_add_u32_e32 v6, s56, v13
	v_mul_lo_u32 v1, v1, s41
	v_mul_lo_u32 v6, v6, s43
	v_sub_u32_e32 v1, v1, v6
	v_cmp_lt_u32_e64 s[26:27], s57, v1
	s_and_b64 s[80:81], s[26:27], exec
; %bb.33:
	s_or_b64 exec, exec, s[52:53]
	v_add_u32_e32 v1, s37, v35
	v_add_u32_e32 v6, s39, v35
	v_mul_lo_u32 v1, v1, s36
	v_mul_lo_u32 v6, v6, s38
	v_sub_u32_e32 v1, v1, v6
	v_cmp_ge_u32_e64 s[26:27], s40, v1
	s_mov_b64 s[52:53], -1
	s_mov_b64 s[74:75], 0
	s_mov_b64 s[54:55], 0
	s_and_saveexec_b64 s[84:85], s[26:27]
; %bb.34:
	v_add_u32_e32 v1, s42, v35
	v_add_u32_e32 v6, s56, v35
	v_mul_lo_u32 v1, v1, s41
	v_mul_lo_u32 v6, v6, s43
	v_sub_u32_e32 v1, v1, v6
	v_cmp_lt_u32_e64 s[26:27], s57, v1
	s_and_b64 s[54:55], s[26:27], exec
	s_xor_b64 s[52:53], exec, -1
; %bb.35:
	s_or_b64 exec, exec, s[84:85]
	v_cndmask_b32_e64 v57, 0, 1, s[82:83]
	v_cndmask_b32_e64 v60, 0, 1, s[24:25]
	;; [unrolled: 1-line block ×22, first 2 shown]
	v_cndmask_b32_e64 v37, 0, 1, vcc
	v_cndmask_b32_e64 v59, 0, 1, s[80:81]
	s_add_i32 s16, s86, 0xd00
	s_and_b64 vcc, exec, s[74:75]
	s_cbranch_vccnz .LBB1078_37
	s_branch .LBB1078_90
.LBB1078_36:
                                        ; implicit-def: $sgpr52_sgpr53
                                        ; implicit-def: $sgpr54_sgpr55
                                        ; implicit-def: $vgpr59
                                        ; implicit-def: $vgpr57
                                        ; implicit-def: $vgpr55
                                        ; implicit-def: $vgpr53
                                        ; implicit-def: $vgpr51
                                        ; implicit-def: $vgpr49
                                        ; implicit-def: $vgpr47
                                        ; implicit-def: $vgpr45
                                        ; implicit-def: $vgpr43
                                        ; implicit-def: $vgpr37
                                        ; implicit-def: $vgpr39
                                        ; implicit-def: $vgpr41
                                        ; implicit-def: $vgpr44
                                        ; implicit-def: $vgpr46
                                        ; implicit-def: $vgpr48
                                        ; implicit-def: $vgpr50
                                        ; implicit-def: $vgpr52
                                        ; implicit-def: $vgpr54
                                        ; implicit-def: $vgpr56
                                        ; implicit-def: $vgpr58
                                        ; implicit-def: $vgpr60
                                        ; implicit-def: $vgpr38
                                        ; implicit-def: $vgpr40
                                        ; implicit-def: $vgpr42
	s_add_i32 s16, s86, 0xd00
	s_cbranch_execz .LBB1078_90
.LBB1078_37:
	v_cmp_gt_u32_e32 vcc, s16, v36
	v_mov_b32_e32 v38, 0
	v_mov_b32_e32 v37, 0
	s_and_saveexec_b64 s[6:7], vcc
	s_cbranch_execz .LBB1078_41
; %bb.38:
	v_add_u32_e32 v1, s37, v22
	v_add_u32_e32 v6, s39, v22
	v_mul_lo_u32 v1, v1, s36
	v_mul_lo_u32 v6, v6, s38
	v_sub_u32_e32 v1, v1, v6
	v_cmp_lt_u32_e32 vcc, s40, v1
	v_cmp_ge_u32_e64 s[4:5], s40, v1
	s_mov_b64 s[10:11], 0
	s_and_saveexec_b64 s[8:9], s[4:5]
; %bb.39:
	v_add_u32_e32 v1, s42, v22
	v_add_u32_e32 v6, s56, v22
	v_mul_lo_u32 v1, v1, s41
	v_mul_lo_u32 v6, v6, s43
	v_sub_u32_e32 v1, v1, v6
	v_cmp_lt_u32_e64 s[4:5], s57, v1
	s_and_b64 s[10:11], s[4:5], exec
; %bb.40:
	s_or_b64 exec, exec, s[8:9]
	v_cndmask_b32_e64 v37, 0, 1, vcc
	v_cndmask_b32_e64 v38, 0, 1, s[10:11]
.LBB1078_41:
	s_or_b64 exec, exec, s[6:7]
	v_add_u32_e32 v1, 1, v36
	v_cmp_gt_u32_e32 vcc, s16, v1
	v_mov_b32_e32 v39, 0
	v_mov_b32_e32 v40, 0
	s_and_saveexec_b64 s[6:7], vcc
	s_cbranch_execz .LBB1078_45
; %bb.42:
	v_add_u32_e32 v1, s37, v23
	v_add_u32_e32 v6, s39, v23
	v_mul_lo_u32 v1, v1, s36
	v_mul_lo_u32 v6, v6, s38
	v_sub_u32_e32 v1, v1, v6
	v_cmp_lt_u32_e32 vcc, s40, v1
	v_cmp_ge_u32_e64 s[4:5], s40, v1
	s_mov_b64 s[10:11], 0
	s_and_saveexec_b64 s[8:9], s[4:5]
; %bb.43:
	v_add_u32_e32 v1, s42, v23
	v_add_u32_e32 v6, s56, v23
	v_mul_lo_u32 v1, v1, s41
	v_mul_lo_u32 v6, v6, s43
	v_sub_u32_e32 v1, v1, v6
	v_cmp_lt_u32_e64 s[4:5], s57, v1
	s_and_b64 s[10:11], s[4:5], exec
; %bb.44:
	s_or_b64 exec, exec, s[8:9]
	v_cndmask_b32_e64 v39, 0, 1, vcc
	v_cndmask_b32_e64 v40, 0, 1, s[10:11]
.LBB1078_45:
	s_or_b64 exec, exec, s[6:7]
	v_add_u32_e32 v1, 2, v36
	;; [unrolled: 30-line block ×12, first 2 shown]
	v_cmp_gt_u32_e32 vcc, s16, v1
	s_mov_b64 s[52:53], 0
	s_mov_b64 s[54:55], 0
	s_and_saveexec_b64 s[4:5], vcc
	s_cbranch_execz .LBB1078_89
; %bb.86:
	v_add_u32_e32 v1, s37, v35
	v_add_u32_e32 v6, s39, v35
	v_mul_lo_u32 v1, v1, s36
	v_mul_lo_u32 v6, v6, s38
	v_sub_u32_e32 v1, v1, v6
	v_cmp_ge_u32_e32 vcc, s40, v1
	s_mov_b64 s[8:9], -1
	s_mov_b64 s[10:11], 0
	s_and_saveexec_b64 s[6:7], vcc
; %bb.87:
	v_add_u32_e32 v1, s42, v35
	v_add_u32_e32 v6, s56, v35
	v_mul_lo_u32 v1, v1, s41
	v_mul_lo_u32 v6, v6, s43
	v_sub_u32_e32 v1, v1, v6
	v_cmp_lt_u32_e32 vcc, s57, v1
	s_and_b64 s[10:11], vcc, exec
	s_xor_b64 s[8:9], exec, -1
; %bb.88:
	s_or_b64 exec, exec, s[6:7]
	s_and_b64 s[54:55], s[10:11], exec
	s_and_b64 s[52:53], s[8:9], exec
.LBB1078_89:
	s_or_b64 exec, exec, s[4:5]
.LBB1078_90:
	v_and_b32_e32 v68, 0xff, v38
	v_and_b32_e32 v79, 0xff, v40
	;; [unrolled: 1-line block ×5, first 2 shown]
	v_add3_u32 v6, v79, v70, v68
	v_and_b32_e32 v81, 0xff, v47
	v_and_b32_e32 v74, 0xff, v49
	v_add3_u32 v6, v6, v80, v72
	v_and_b32_e32 v67, 0xff, v37
	v_and_b32_e32 v61, 0xff, v39
	;; [unrolled: 1-line block ×5, first 2 shown]
	v_add3_u32 v6, v6, v81, v74
	v_and_b32_e32 v62, 0xff, v44
	v_and_b32_e32 v71, 0xff, v46
	;; [unrolled: 1-line block ×4, first 2 shown]
	v_add3_u32 v7, v61, v69, v67
	v_add3_u32 v6, v6, v82, v76
	v_and_b32_e32 v63, 0xff, v48
	v_and_b32_e32 v73, 0xff, v50
	;; [unrolled: 1-line block ×3, first 2 shown]
	v_cndmask_b32_e64 v1, 0, 1, s[54:55]
	v_add3_u32 v7, v7, v62, v71
	v_add3_u32 v6, v6, v83, v78
	v_and_b32_e32 v64, 0xff, v52
	v_and_b32_e32 v75, 0xff, v54
	v_add3_u32 v7, v7, v63, v73
	v_add3_u32 v91, v6, v84, v1
	v_mbcnt_lo_u32_b32 v1, -1, 0
	v_and_b32_e32 v65, 0xff, v56
	v_and_b32_e32 v77, 0xff, v58
	v_add3_u32 v7, v7, v64, v75
	v_mbcnt_hi_u32_b32 v85, -1, v1
	v_and_b32_e32 v66, 0xff, v60
	v_add3_u32 v7, v7, v65, v77
	v_cndmask_b32_e64 v8, 0, 1, s[52:53]
	v_and_b32_e32 v89, 15, v85
	s_cmp_lg_u32 s33, 0
	v_add3_u32 v90, v7, v66, v8
	v_cmp_eq_u32_e64 s[6:7], 0, v89
	v_cmp_lt_u32_e64 s[4:5], 1, v89
	v_cmp_lt_u32_e64 s[10:11], 3, v89
	;; [unrolled: 1-line block ×3, first 2 shown]
	v_and_b32_e32 v88, 16, v85
	v_cmp_lt_u32_e32 vcc, 31, v85
	v_lshrrev_b32_e32 v86, 6, v0
	v_or_b32_e32 v87, 63, v0
	s_cbranch_scc0 .LBB1078_119
; %bb.91:
	v_mov_b32_dpp v1, v90 row_shr:1 row_mask:0xf bank_mask:0xf
	v_mov_b32_dpp v6, v91 row_shr:1 row_mask:0xf bank_mask:0xf
	v_add_u32_e32 v1, v1, v90
	v_add_u32_e32 v6, v6, v91
	v_cndmask_b32_e64 v6, v6, v91, s[6:7]
	v_cndmask_b32_e64 v1, v1, v90, s[6:7]
	s_nop 0
	v_mov_b32_dpp v8, v6 row_shr:2 row_mask:0xf bank_mask:0xf
	v_mov_b32_dpp v7, v1 row_shr:2 row_mask:0xf bank_mask:0xf
	v_add_u32_e32 v7, v1, v7
	v_add_u32_e32 v8, v6, v8
	v_cndmask_b32_e64 v6, v6, v8, s[4:5]
	v_cndmask_b32_e64 v1, v1, v7, s[4:5]
	s_nop 0
	;; [unrolled: 7-line block ×3, first 2 shown]
	v_mov_b32_dpp v8, v6 row_shr:8 row_mask:0xf bank_mask:0xf
	v_mov_b32_dpp v7, v1 row_shr:8 row_mask:0xf bank_mask:0xf
	v_add_u32_e32 v7, v1, v7
	v_add_u32_e32 v8, v6, v8
	v_cndmask_b32_e64 v6, v6, v8, s[8:9]
	v_cndmask_b32_e64 v1, v1, v7, s[8:9]
	v_cmp_eq_u32_e64 s[8:9], 0, v88
	v_mov_b32_dpp v8, v6 row_bcast:15 row_mask:0xf bank_mask:0xf
	v_mov_b32_dpp v7, v1 row_bcast:15 row_mask:0xf bank_mask:0xf
	v_add_u32_e32 v7, v1, v7
	v_add_u32_e32 v8, v6, v8
	v_cndmask_b32_e64 v6, v8, v6, s[8:9]
	v_cndmask_b32_e64 v1, v7, v1, s[8:9]
	s_nop 0
	v_mov_b32_dpp v8, v6 row_bcast:31 row_mask:0xf bank_mask:0xf
	v_mov_b32_dpp v7, v1 row_bcast:31 row_mask:0xf bank_mask:0xf
	v_add_u32_e32 v8, v6, v8
	v_add_u32_e32 v9, v1, v7
	v_cndmask_b32_e32 v7, v6, v8, vcc
	v_cndmask_b32_e32 v6, v1, v9, vcc
	v_cmp_eq_u32_e32 vcc, v87, v0
	s_and_saveexec_b64 s[8:9], vcc
	s_cbranch_execz .LBB1078_93
; %bb.92:
	v_lshlrev_b32_e32 v1, 3, v86
	ds_write_b64 v1, v[6:7]
.LBB1078_93:
	s_or_b64 exec, exec, s[8:9]
	v_cmp_gt_u32_e32 vcc, 4, v0
	s_waitcnt lgkmcnt(0)
	s_barrier
	s_and_saveexec_b64 s[8:9], vcc
	s_cbranch_execz .LBB1078_95
; %bb.94:
	v_lshlrev_b32_e32 v1, 3, v0
	ds_read_b64 v[8:9], v1
	v_and_b32_e32 v10, 3, v85
	v_cmp_eq_u32_e32 vcc, 0, v10
	s_waitcnt lgkmcnt(0)
	v_mov_b32_dpp v11, v8 row_shr:1 row_mask:0xf bank_mask:0xf
	v_mov_b32_dpp v24, v9 row_shr:1 row_mask:0xf bank_mask:0xf
	v_add_u32_e32 v11, v11, v8
	v_add_u32_e32 v24, v24, v9
	v_cndmask_b32_e32 v9, v24, v9, vcc
	v_cndmask_b32_e32 v8, v11, v8, vcc
	v_cmp_lt_u32_e32 vcc, 1, v10
	v_mov_b32_dpp v24, v9 row_shr:2 row_mask:0xf bank_mask:0xf
	v_mov_b32_dpp v11, v8 row_shr:2 row_mask:0xf bank_mask:0xf
	v_cndmask_b32_e32 v10, 0, v11, vcc
	v_cndmask_b32_e32 v11, 0, v24, vcc
	v_add_u32_e32 v9, v11, v9
	v_add_u32_e32 v8, v10, v8
	ds_write_b64 v1, v[8:9]
.LBB1078_95:
	s_or_b64 exec, exec, s[8:9]
	v_cmp_gt_u32_e32 vcc, 64, v0
	v_cmp_lt_u32_e64 s[8:9], 63, v0
	s_waitcnt lgkmcnt(0)
	s_barrier
	s_waitcnt lgkmcnt(0)
                                        ; implicit-def: $vgpr25
	s_and_saveexec_b64 s[10:11], s[8:9]
	s_xor_b64 s[8:9], exec, s[10:11]
	s_cbranch_execz .LBB1078_97
; %bb.96:
	v_lshl_add_u32 v1, v86, 3, -8
	ds_read_b64 v[24:25], v1
	s_waitcnt lgkmcnt(0)
	v_add_u32_e32 v7, v25, v7
	v_add_u32_e32 v6, v24, v6
.LBB1078_97:
	s_andn2_saveexec_b64 s[8:9], s[8:9]
; %bb.98:
                                        ; implicit-def: $vgpr24
; %bb.99:
	s_or_b64 exec, exec, s[8:9]
	v_add_u32_e32 v1, -1, v85
	v_and_b32_e32 v8, 64, v85
	v_cmp_lt_i32_e64 s[8:9], v1, v8
	v_cndmask_b32_e64 v1, v1, v85, s[8:9]
	v_lshlrev_b32_e32 v8, 2, v1
	ds_bpermute_b32 v1, v8, v6
	ds_bpermute_b32 v92, v8, v7
	v_cmp_eq_u32_e64 s[8:9], 0, v85
	s_and_saveexec_b64 s[10:11], vcc
	s_cbranch_execz .LBB1078_118
; %bb.100:
	v_mov_b32_e32 v11, 0
	ds_read_b64 v[26:27], v11 offset:24
	s_and_saveexec_b64 s[12:13], s[8:9]
	s_cbranch_execz .LBB1078_102
; %bb.101:
	s_add_i32 s14, s33, 64
	s_mov_b32 s15, 0
	s_lshl_b64 s[14:15], s[14:15], 4
	s_waitcnt lgkmcnt(0)
	v_and_b32_e32 v6, 0xff000000, v27
	v_and_b32_e32 v7, 0xff0000, v27
	s_add_u32 s14, s50, s14
	v_or_b32_e32 v6, v7, v6
	v_and_b32_e32 v7, 0xff00, v27
	s_addc_u32 s15, s51, s15
	v_or_b32_e32 v6, v6, v7
	v_or_b32_sdwa v9, v6, v27 dst_sel:DWORD dst_unused:UNUSED_PAD src0_sel:DWORD src1_sel:BYTE_0
	v_mov_b32_e32 v10, 1
	v_mov_b32_e32 v8, v26
	v_pk_mov_b32 v[6:7], s[14:15], s[14:15] op_sel:[0,1]
	;;#ASMSTART
	global_store_dwordx4 v[6:7], v[8:11] off	
s_waitcnt vmcnt(0)
	;;#ASMEND
.LBB1078_102:
	s_or_b64 exec, exec, s[12:13]
	v_xad_u32 v28, v85, -1, s33
	v_add_u32_e32 v10, 64, v28
	v_lshlrev_b64 v[6:7], 4, v[10:11]
	v_mov_b32_e32 v8, s51
	v_add_co_u32_e32 v30, vcc, s50, v6
	v_addc_co_u32_e32 v31, vcc, v8, v7, vcc
	;;#ASMSTART
	global_load_dwordx4 v[6:9], v[30:31] off glc	
s_waitcnt vmcnt(0)
	;;#ASMEND
	v_and_b32_e32 v9, 0xff, v7
	v_and_b32_e32 v10, 0xff00, v7
	v_or3_b32 v9, 0, v9, v10
	v_or3_b32 v6, v6, 0, 0
	v_and_b32_e32 v10, 0xff000000, v7
	v_and_b32_e32 v7, 0xff0000, v7
	v_or3_b32 v7, v9, v7, v10
	v_or3_b32 v6, v6, 0, 0
	v_cmp_eq_u16_sdwa s[14:15], v8, v11 src0_sel:BYTE_0 src1_sel:DWORD
	s_and_saveexec_b64 s[12:13], s[14:15]
	s_cbranch_execz .LBB1078_106
; %bb.103:
	s_mov_b64 s[14:15], 0
	v_mov_b32_e32 v10, 0
.LBB1078_104:                           ; =>This Inner Loop Header: Depth=1
	;;#ASMSTART
	global_load_dwordx4 v[6:9], v[30:31] off glc	
s_waitcnt vmcnt(0)
	;;#ASMEND
	v_cmp_ne_u16_sdwa s[18:19], v8, v10 src0_sel:BYTE_0 src1_sel:DWORD
	s_or_b64 s[14:15], s[18:19], s[14:15]
	s_andn2_b64 exec, exec, s[14:15]
	s_cbranch_execnz .LBB1078_104
; %bb.105:
	s_or_b64 exec, exec, s[14:15]
.LBB1078_106:
	s_or_b64 exec, exec, s[12:13]
	v_and_b32_e32 v94, 63, v85
	v_cmp_ne_u32_e32 vcc, 63, v94
	v_mov_b32_e32 v93, 2
	v_addc_co_u32_e32 v30, vcc, 0, v85, vcc
	v_cmp_eq_u16_sdwa s[12:13], v8, v93 src0_sel:BYTE_0 src1_sel:DWORD
	v_lshlrev_b64 v[10:11], v85, -1
	v_lshlrev_b32_e32 v95, 2, v30
	v_and_b32_e32 v9, s13, v11
	ds_bpermute_b32 v30, v95, v6
	ds_bpermute_b32 v31, v95, v7
	v_or_b32_e32 v9, 0x80000000, v9
	v_and_b32_e32 v29, s12, v10
	v_ffbl_b32_e32 v9, v9
	v_add_u32_e32 v9, 32, v9
	v_ffbl_b32_e32 v29, v29
	v_min_u32_e32 v9, v29, v9
	s_waitcnt lgkmcnt(1)
	v_add_u32_e32 v29, v30, v6
	s_waitcnt lgkmcnt(0)
	v_add_u32_e32 v30, v31, v7
	v_cmp_lt_u32_e32 vcc, v94, v9
	v_cndmask_b32_e32 v7, v7, v30, vcc
	v_cndmask_b32_e32 v6, v6, v29, vcc
	v_cmp_gt_u32_e32 vcc, 62, v94
	v_cndmask_b32_e64 v29, 0, 1, vcc
	v_lshlrev_b32_e32 v29, 1, v29
	v_add_lshl_u32 v96, v29, v85, 2
	ds_bpermute_b32 v29, v96, v6
	ds_bpermute_b32 v30, v96, v7
	v_add_u32_e32 v97, 2, v94
	v_cmp_gt_u32_e32 vcc, v97, v9
	v_add_u32_e32 v99, 4, v94
	s_waitcnt lgkmcnt(1)
	v_add_u32_e32 v29, v6, v29
	s_waitcnt lgkmcnt(0)
	v_add_u32_e32 v30, v7, v30
	v_cndmask_b32_e32 v7, v30, v7, vcc
	v_cndmask_b32_e32 v6, v29, v6, vcc
	v_cmp_gt_u32_e32 vcc, 60, v94
	v_cndmask_b32_e64 v29, 0, 1, vcc
	v_lshlrev_b32_e32 v29, 2, v29
	v_add_lshl_u32 v98, v29, v85, 2
	ds_bpermute_b32 v29, v98, v6
	ds_bpermute_b32 v30, v98, v7
	v_cmp_gt_u32_e32 vcc, v99, v9
	v_add_u32_e32 v101, 8, v94
	v_add_u32_e32 v103, 16, v94
	s_waitcnt lgkmcnt(1)
	v_add_u32_e32 v29, v6, v29
	s_waitcnt lgkmcnt(0)
	v_add_u32_e32 v30, v7, v30
	v_cndmask_b32_e32 v7, v30, v7, vcc
	v_cndmask_b32_e32 v6, v29, v6, vcc
	v_cmp_gt_u32_e32 vcc, 56, v94
	v_cndmask_b32_e64 v29, 0, 1, vcc
	v_lshlrev_b32_e32 v29, 3, v29
	v_add_lshl_u32 v100, v29, v85, 2
	ds_bpermute_b32 v29, v100, v6
	ds_bpermute_b32 v30, v100, v7
	v_cmp_gt_u32_e32 vcc, v101, v9
	v_add_u32_e32 v105, 32, v94
	s_waitcnt lgkmcnt(1)
	v_add_u32_e32 v29, v6, v29
	s_waitcnt lgkmcnt(0)
	v_add_u32_e32 v30, v7, v30
	v_cndmask_b32_e32 v7, v30, v7, vcc
	v_cndmask_b32_e32 v6, v29, v6, vcc
	v_cmp_gt_u32_e32 vcc, 48, v94
	v_cndmask_b32_e64 v29, 0, 1, vcc
	v_lshlrev_b32_e32 v29, 4, v29
	v_add_lshl_u32 v102, v29, v85, 2
	ds_bpermute_b32 v29, v102, v6
	ds_bpermute_b32 v30, v102, v7
	v_cmp_gt_u32_e32 vcc, v103, v9
	s_waitcnt lgkmcnt(1)
	v_add_u32_e32 v29, v6, v29
	s_waitcnt lgkmcnt(0)
	v_add_u32_e32 v30, v7, v30
	v_cndmask_b32_e32 v7, v30, v7, vcc
	v_cndmask_b32_e32 v6, v29, v6, vcc
	v_cmp_gt_u32_e32 vcc, 32, v94
	v_cndmask_b32_e64 v29, 0, 1, vcc
	v_lshlrev_b32_e32 v29, 5, v29
	v_add_lshl_u32 v104, v29, v85, 2
	ds_bpermute_b32 v29, v104, v6
	ds_bpermute_b32 v30, v104, v7
	v_cmp_le_u32_e32 vcc, v105, v9
	s_waitcnt lgkmcnt(1)
	v_cndmask_b32_e32 v9, 0, v29, vcc
	s_waitcnt lgkmcnt(0)
	v_cndmask_b32_e32 v29, 0, v30, vcc
	v_add_u32_e32 v7, v7, v29
	v_add_u32_e32 v6, v6, v9
	v_mov_b32_e32 v29, 0
	s_branch .LBB1078_108
.LBB1078_107:                           ;   in Loop: Header=BB1078_108 Depth=1
	s_or_b64 exec, exec, s[12:13]
	v_cmp_eq_u16_sdwa s[12:13], v8, v93 src0_sel:BYTE_0 src1_sel:DWORD
	v_and_b32_e32 v9, s13, v11
	ds_bpermute_b32 v33, v95, v6
	ds_bpermute_b32 v106, v95, v7
	v_or_b32_e32 v9, 0x80000000, v9
	v_and_b32_e32 v32, s12, v10
	v_ffbl_b32_e32 v9, v9
	v_add_u32_e32 v9, 32, v9
	v_ffbl_b32_e32 v32, v32
	v_min_u32_e32 v9, v32, v9
	s_waitcnt lgkmcnt(1)
	v_add_u32_e32 v32, v33, v6
	s_waitcnt lgkmcnt(0)
	v_add_u32_e32 v33, v106, v7
	v_cmp_lt_u32_e32 vcc, v94, v9
	v_cndmask_b32_e32 v7, v7, v33, vcc
	v_cndmask_b32_e32 v6, v6, v32, vcc
	ds_bpermute_b32 v32, v96, v6
	ds_bpermute_b32 v33, v96, v7
	v_cmp_gt_u32_e32 vcc, v97, v9
	v_subrev_u32_e32 v28, 64, v28
	s_waitcnt lgkmcnt(1)
	v_add_u32_e32 v32, v6, v32
	s_waitcnt lgkmcnt(0)
	v_add_u32_e32 v33, v7, v33
	v_cndmask_b32_e32 v7, v33, v7, vcc
	v_cndmask_b32_e32 v6, v32, v6, vcc
	ds_bpermute_b32 v32, v98, v6
	ds_bpermute_b32 v33, v98, v7
	v_cmp_gt_u32_e32 vcc, v99, v9
	s_waitcnt lgkmcnt(1)
	v_add_u32_e32 v32, v6, v32
	s_waitcnt lgkmcnt(0)
	v_add_u32_e32 v33, v7, v33
	v_cndmask_b32_e32 v7, v33, v7, vcc
	v_cndmask_b32_e32 v6, v32, v6, vcc
	ds_bpermute_b32 v32, v100, v6
	ds_bpermute_b32 v33, v100, v7
	v_cmp_gt_u32_e32 vcc, v101, v9
	;; [unrolled: 9-line block ×3, first 2 shown]
	s_waitcnt lgkmcnt(1)
	v_add_u32_e32 v32, v6, v32
	s_waitcnt lgkmcnt(0)
	v_add_u32_e32 v33, v7, v33
	v_cndmask_b32_e32 v7, v33, v7, vcc
	v_cndmask_b32_e32 v6, v32, v6, vcc
	ds_bpermute_b32 v32, v104, v6
	ds_bpermute_b32 v33, v104, v7
	v_cmp_le_u32_e32 vcc, v105, v9
	s_waitcnt lgkmcnt(1)
	v_cndmask_b32_e32 v9, 0, v32, vcc
	s_waitcnt lgkmcnt(0)
	v_cndmask_b32_e32 v32, 0, v33, vcc
	v_add3_u32 v7, v32, v31, v7
	v_add3_u32 v6, v9, v30, v6
.LBB1078_108:                           ; =>This Loop Header: Depth=1
                                        ;     Child Loop BB1078_111 Depth 2
	v_cmp_ne_u16_sdwa s[12:13], v8, v93 src0_sel:BYTE_0 src1_sel:DWORD
	v_cndmask_b32_e64 v8, 0, 1, s[12:13]
	;;#ASMSTART
	;;#ASMEND
	v_cmp_ne_u32_e32 vcc, 0, v8
	s_cmp_lg_u64 vcc, exec
	v_pk_mov_b32 v[30:31], v[6:7], v[6:7] op_sel:[0,1]
	s_cbranch_scc1 .LBB1078_113
; %bb.109:                              ;   in Loop: Header=BB1078_108 Depth=1
	v_lshlrev_b64 v[6:7], 4, v[28:29]
	v_mov_b32_e32 v8, s51
	v_add_co_u32_e32 v32, vcc, s50, v6
	v_addc_co_u32_e32 v33, vcc, v8, v7, vcc
	;;#ASMSTART
	global_load_dwordx4 v[6:9], v[32:33] off glc	
s_waitcnt vmcnt(0)
	;;#ASMEND
	v_and_b32_e32 v9, 0xff, v7
	v_and_b32_e32 v106, 0xff00, v7
	v_or3_b32 v9, 0, v9, v106
	v_or3_b32 v6, v6, 0, 0
	v_and_b32_e32 v106, 0xff000000, v7
	v_and_b32_e32 v7, 0xff0000, v7
	v_or3_b32 v7, v9, v7, v106
	v_or3_b32 v6, v6, 0, 0
	v_cmp_eq_u16_sdwa s[14:15], v8, v29 src0_sel:BYTE_0 src1_sel:DWORD
	s_and_saveexec_b64 s[12:13], s[14:15]
	s_cbranch_execz .LBB1078_107
; %bb.110:                              ;   in Loop: Header=BB1078_108 Depth=1
	s_mov_b64 s[14:15], 0
.LBB1078_111:                           ;   Parent Loop BB1078_108 Depth=1
                                        ; =>  This Inner Loop Header: Depth=2
	;;#ASMSTART
	global_load_dwordx4 v[6:9], v[32:33] off glc	
s_waitcnt vmcnt(0)
	;;#ASMEND
	v_cmp_ne_u16_sdwa s[18:19], v8, v29 src0_sel:BYTE_0 src1_sel:DWORD
	s_or_b64 s[14:15], s[18:19], s[14:15]
	s_andn2_b64 exec, exec, s[14:15]
	s_cbranch_execnz .LBB1078_111
; %bb.112:                              ;   in Loop: Header=BB1078_108 Depth=1
	s_or_b64 exec, exec, s[14:15]
	s_branch .LBB1078_107
.LBB1078_113:                           ;   in Loop: Header=BB1078_108 Depth=1
                                        ; implicit-def: $vgpr8
                                        ; implicit-def: $vgpr6_vgpr7
	s_cbranch_execz .LBB1078_108
; %bb.114:
	s_and_saveexec_b64 s[12:13], s[8:9]
	s_cbranch_execz .LBB1078_116
; %bb.115:
	s_add_i32 s14, s33, 64
	s_mov_b32 s15, 0
	v_add_u32_e32 v7, v31, v27
	s_lshl_b64 s[14:15], s[14:15], 4
	s_add_u32 s14, s50, s14
	v_and_b32_e32 v8, 0xff000000, v7
	v_and_b32_e32 v10, 0xff0000, v7
	s_addc_u32 s15, s51, s15
	v_or_b32_e32 v8, v10, v8
	v_and_b32_e32 v10, 0xff00, v7
	v_and_b32_e32 v7, 0xff, v7
	v_add_u32_e32 v6, v30, v26
	v_mov_b32_e32 v9, 0
	v_or3_b32 v7, v8, v10, v7
	v_mov_b32_e32 v8, 2
	v_pk_mov_b32 v[10:11], s[14:15], s[14:15] op_sel:[0,1]
	;;#ASMSTART
	global_store_dwordx4 v[10:11], v[6:9] off	
s_waitcnt vmcnt(0)
	;;#ASMEND
	s_movk_i32 s14, 0x3400
	v_add_u32_e64 v6, s14, 0
	ds_write2_b32 v6, v26, v27 offset1:2
	ds_write2_b32 v6, v30, v31 offset0:4 offset1:6
.LBB1078_116:
	s_or_b64 exec, exec, s[12:13]
	s_and_b64 exec, exec, s[0:1]
	s_cbranch_execz .LBB1078_118
; %bb.117:
	v_mov_b32_e32 v6, 0
	ds_write_b64 v6, v[30:31] offset:24
.LBB1078_118:
	s_or_b64 exec, exec, s[10:11]
	v_mov_b32_e32 v6, 0
	s_waitcnt lgkmcnt(0)
	s_barrier
	ds_read_b64 v[10:11], v6 offset:24
	v_cndmask_b32_e64 v25, v92, v25, s[8:9]
	v_cndmask_b32_e64 v1, v1, v24, s[8:9]
	s_movk_i32 s8, 0x3400
	s_waitcnt lgkmcnt(0)
	v_add_u32_e32 v24, v10, v1
	v_add_u32_e64 v1, s8, 0
	s_barrier
	ds_read2_b32 v[6:7], v1 offset1:2
	ds_read2_b32 v[8:9], v1 offset0:4 offset1:6
	v_add_u32_e32 v1, v11, v25
	v_cndmask_b32_e64 v1, v1, v11, s[0:1]
	v_cndmask_b32_e64 v10, v24, v10, s[0:1]
	s_branch .LBB1078_129
.LBB1078_119:
                                        ; implicit-def: $vgpr1
                                        ; implicit-def: $vgpr8
                                        ; implicit-def: $vgpr6
                                        ; implicit-def: $vgpr10_vgpr11
	s_cbranch_execz .LBB1078_129
; %bb.120:
	s_nop 0
	v_mov_b32_dpp v1, v90 row_shr:1 row_mask:0xf bank_mask:0xf
	s_waitcnt lgkmcnt(1)
	v_mov_b32_dpp v6, v91 row_shr:1 row_mask:0xf bank_mask:0xf
	v_add_u32_e32 v1, v1, v90
	v_add_u32_e32 v6, v6, v91
	v_cndmask_b32_e64 v6, v6, v91, s[6:7]
	v_cndmask_b32_e64 v1, v1, v90, s[6:7]
	v_cmp_lt_u32_e32 vcc, 3, v89
	s_waitcnt lgkmcnt(0)
	v_mov_b32_dpp v8, v6 row_shr:2 row_mask:0xf bank_mask:0xf
	v_mov_b32_dpp v7, v1 row_shr:2 row_mask:0xf bank_mask:0xf
	v_add_u32_e32 v7, v1, v7
	v_add_u32_e32 v8, v6, v8
	v_cndmask_b32_e64 v6, v6, v8, s[4:5]
	v_cndmask_b32_e64 v1, v1, v7, s[4:5]
	s_nop 0
	v_mov_b32_dpp v8, v6 row_shr:4 row_mask:0xf bank_mask:0xf
	v_mov_b32_dpp v7, v1 row_shr:4 row_mask:0xf bank_mask:0xf
	v_add_u32_e32 v7, v1, v7
	v_add_u32_e32 v8, v6, v8
	v_cndmask_b32_e32 v6, v6, v8, vcc
	v_cndmask_b32_e32 v1, v1, v7, vcc
	v_cmp_lt_u32_e32 vcc, 7, v89
	v_mov_b32_dpp v8, v6 row_shr:8 row_mask:0xf bank_mask:0xf
	v_mov_b32_dpp v7, v1 row_shr:8 row_mask:0xf bank_mask:0xf
	v_add_u32_e32 v7, v1, v7
	v_add_u32_e32 v8, v6, v8
	v_cndmask_b32_e32 v6, v6, v8, vcc
	v_cndmask_b32_e32 v1, v1, v7, vcc
	v_cmp_eq_u32_e32 vcc, 0, v88
	v_mov_b32_dpp v8, v6 row_bcast:15 row_mask:0xf bank_mask:0xf
	v_mov_b32_dpp v7, v1 row_bcast:15 row_mask:0xf bank_mask:0xf
	v_add_u32_e32 v7, v1, v7
	v_add_u32_e32 v8, v6, v8
	v_cndmask_b32_e32 v6, v8, v6, vcc
	v_cndmask_b32_e32 v1, v7, v1, vcc
	v_cmp_lt_u32_e32 vcc, 31, v85
	v_mov_b32_dpp v8, v6 row_bcast:31 row_mask:0xf bank_mask:0xf
	v_mov_b32_dpp v7, v1 row_bcast:31 row_mask:0xf bank_mask:0xf
	v_add_u32_e32 v8, v6, v8
	v_add_u32_e32 v9, v1, v7
	v_cndmask_b32_e32 v7, v6, v8, vcc
	v_cndmask_b32_e32 v6, v1, v9, vcc
	v_cmp_eq_u32_e32 vcc, v87, v0
	s_and_saveexec_b64 s[4:5], vcc
	s_cbranch_execz .LBB1078_122
; %bb.121:
	v_lshlrev_b32_e32 v1, 3, v86
	ds_write_b64 v1, v[6:7]
.LBB1078_122:
	s_or_b64 exec, exec, s[4:5]
	v_cmp_gt_u32_e32 vcc, 4, v0
	s_waitcnt lgkmcnt(0)
	s_barrier
	s_and_saveexec_b64 s[4:5], vcc
	s_cbranch_execz .LBB1078_124
; %bb.123:
	v_lshlrev_b32_e32 v1, 3, v0
	ds_read_b64 v[8:9], v1
	v_and_b32_e32 v10, 3, v85
	v_cmp_eq_u32_e32 vcc, 0, v10
	s_waitcnt lgkmcnt(0)
	v_mov_b32_dpp v11, v8 row_shr:1 row_mask:0xf bank_mask:0xf
	v_mov_b32_dpp v24, v9 row_shr:1 row_mask:0xf bank_mask:0xf
	v_add_u32_e32 v11, v11, v8
	v_add_u32_e32 v24, v24, v9
	v_cndmask_b32_e32 v9, v24, v9, vcc
	v_cndmask_b32_e32 v8, v11, v8, vcc
	v_cmp_lt_u32_e32 vcc, 1, v10
	v_mov_b32_dpp v24, v9 row_shr:2 row_mask:0xf bank_mask:0xf
	v_mov_b32_dpp v11, v8 row_shr:2 row_mask:0xf bank_mask:0xf
	v_cndmask_b32_e32 v10, 0, v11, vcc
	v_cndmask_b32_e32 v11, 0, v24, vcc
	v_add_u32_e32 v9, v11, v9
	v_add_u32_e32 v8, v10, v8
	ds_write_b64 v1, v[8:9]
.LBB1078_124:
	s_or_b64 exec, exec, s[4:5]
	v_cmp_lt_u32_e32 vcc, 63, v0
	v_mov_b32_e32 v8, 0
	v_mov_b32_e32 v10, 0
	v_mov_b32_e32 v11, 0
	s_waitcnt lgkmcnt(0)
	s_barrier
	s_and_saveexec_b64 s[4:5], vcc
	s_cbranch_execz .LBB1078_126
; %bb.125:
	v_lshl_add_u32 v1, v86, 3, -8
	ds_read_b64 v[10:11], v1
.LBB1078_126:
	s_or_b64 exec, exec, s[4:5]
	s_waitcnt lgkmcnt(0)
	v_add_u32_e32 v9, v11, v7
	v_add_u32_e32 v1, v10, v6
	v_add_u32_e32 v6, -1, v85
	v_and_b32_e32 v7, 64, v85
	v_cmp_lt_i32_e32 vcc, v6, v7
	v_cndmask_b32_e32 v6, v6, v85, vcc
	v_lshlrev_b32_e32 v24, 2, v6
	ds_read_b64 v[6:7], v8 offset:24
	ds_bpermute_b32 v1, v24, v1
	ds_bpermute_b32 v24, v24, v9
	s_waitcnt lgkmcnt(2)
	v_readfirstlane_b32 s6, v7
	s_and_saveexec_b64 s[4:5], s[0:1]
	s_cbranch_execz .LBB1078_128
; %bb.127:
	s_add_u32 s8, s50, 0x400
	s_mov_b32 s10, 0
	s_addc_u32 s9, s51, 0
	s_and_b32 s11, s6, 0xff000000
	s_and_b32 s13, s6, 0xff0000
	s_mov_b32 s12, s10
	s_or_b64 s[12:13], s[12:13], s[10:11]
	s_and_b32 s11, s6, 0xff00
	s_or_b64 s[12:13], s[12:13], s[10:11]
	s_and_b32 s11, s6, 0xff
	s_or_b64 s[10:11], s[12:13], s[10:11]
	v_mov_b32_e32 v7, s11
	v_mov_b32_e32 v8, 2
	;; [unrolled: 1-line block ×3, first 2 shown]
	v_pk_mov_b32 v[26:27], s[8:9], s[8:9] op_sel:[0,1]
	;;#ASMSTART
	global_store_dwordx4 v[26:27], v[6:9] off	
s_waitcnt vmcnt(0)
	;;#ASMEND
.LBB1078_128:
	s_or_b64 exec, exec, s[4:5]
	v_cmp_eq_u32_e32 vcc, 0, v85
	s_waitcnt lgkmcnt(1)
	v_cndmask_b32_e32 v7, v1, v10, vcc
	s_waitcnt lgkmcnt(0)
	v_cndmask_b32_e32 v1, v24, v11, vcc
	v_mov_b32_e32 v8, 0
	v_cndmask_b32_e64 v1, v1, 0, s[0:1]
	v_cndmask_b32_e64 v10, v7, 0, s[0:1]
	s_barrier
	v_mov_b32_e32 v7, s6
	v_mov_b32_e32 v9, 0
.LBB1078_129:
	v_add_u32_e32 v11, v10, v67
	v_add_u32_e32 v26, v1, v68
	;; [unrolled: 1-line block ×13, first 2 shown]
	s_waitcnt vmcnt(0) lgkmcnt(0)
	v_add_co_u32_e32 v2, vcc, v2, v8
	v_add_u32_e32 v68, v62, v74
	v_add_u32_e32 v64, v67, v64
	v_addc_co_u32_e32 v3, vcc, 0, v3, vcc
	v_add_u32_e32 v69, v68, v82
	v_add_u32_e32 v70, v64, v75
	v_sub_co_u32_e32 v24, vcc, v4, v6
	v_add_u32_e32 v71, v69, v76
	v_add_u32_e32 v65, v70, v65
	v_subbrev_co_u32_e32 v25, vcc, 0, v5, vcc
	v_lshlrev_b32_e32 v76, 1, v6
	v_sub_u32_e32 v1, v1, v9
	v_add_u32_e32 v73, v65, v77
	v_add_co_u32_e32 v24, vcc, v24, v9
	v_add_u32_e32 v77, v76, v7
	v_sub_u32_e32 v10, v10, v8
	v_add_u32_e32 v1, v1, v6
	v_addc_co_u32_e32 v25, vcc, 0, v25, vcc
	v_add_u32_e32 v36, v77, v36
	v_and_b32_e32 v38, 1, v38
	v_add_u32_e32 v77, v10, v1
	v_and_b32_e32 v37, 1, v37
	v_sub_u32_e32 v77, v36, v77
	v_cmp_eq_u32_e32 vcc, 1, v38
	v_cndmask_b32_e32 v1, v77, v1, vcc
	v_cmp_eq_u32_e32 vcc, 1, v37
	v_cndmask_b32_e32 v1, v1, v10, vcc
	v_lshlrev_b32_e32 v1, 2, v1
	ds_write_b32 v1, v22
	v_sub_u32_e32 v1, v11, v8
	v_sub_u32_e32 v11, v26, v9
	v_add_u32_e32 v11, v11, v6
	v_add_u32_e32 v26, v11, v1
	v_and_b32_e32 v22, 1, v40
	v_sub_u32_e32 v26, v36, v26
	v_and_b32_e32 v10, 1, v39
	v_add_u32_e32 v26, 1, v26
	v_cmp_eq_u32_e32 vcc, 1, v22
	v_cndmask_b32_e32 v11, v26, v11, vcc
	v_cmp_eq_u32_e32 vcc, 1, v10
	v_cndmask_b32_e32 v1, v11, v1, vcc
	v_lshlrev_b32_e32 v1, 2, v1
	v_sub_u32_e32 v11, v27, v9
	ds_write_b32 v1, v23
	v_sub_u32_e32 v1, v28, v8
	v_add_u32_e32 v11, v11, v6
	v_add_u32_e32 v23, v11, v1
	v_and_b32_e32 v22, 1, v42
	v_sub_u32_e32 v23, v36, v23
	v_and_b32_e32 v10, 1, v41
	v_add_u32_e32 v23, 2, v23
	v_cmp_eq_u32_e32 vcc, 1, v22
	v_cndmask_b32_e32 v11, v23, v11, vcc
	v_cmp_eq_u32_e32 vcc, 1, v10
	v_cndmask_b32_e32 v1, v11, v1, vcc
	v_lshlrev_b32_e32 v1, 2, v1
	v_sub_u32_e32 v11, v30, v9
	ds_write_b32 v1, v20
	;; [unrolled: 14-line block ×8, first 2 shown]
	v_sub_u32_e32 v1, v70, v8
	v_add_u32_e32 v11, v11, v6
	v_add_u32_e32 v16, v1, v11
	v_and_b32_e32 v14, 1, v55
	v_sub_u32_e32 v16, v36, v16
	v_and_b32_e32 v10, 1, v56
	v_add_u32_e32 v16, 9, v16
	v_cmp_eq_u32_e32 vcc, 1, v14
	v_cndmask_b32_e32 v11, v16, v11, vcc
	v_cmp_eq_u32_e32 vcc, 1, v10
	v_add_u32_e32 v72, v71, v83
	v_cndmask_b32_e32 v1, v11, v1, vcc
	v_lshlrev_b32_e32 v1, 2, v1
	v_sub_u32_e32 v11, v72, v9
	ds_write_b32 v1, v15
	v_sub_u32_e32 v1, v65, v8
	v_add_u32_e32 v11, v11, v6
	v_add_u32_e32 v15, v1, v11
	v_and_b32_e32 v14, 1, v57
	v_sub_u32_e32 v15, v36, v15
	v_and_b32_e32 v10, 1, v58
	v_add_u32_e32 v15, 10, v15
	v_cmp_eq_u32_e32 vcc, 1, v14
	v_cndmask_b32_e32 v11, v15, v11, vcc
	v_cmp_eq_u32_e32 vcc, 1, v10
	v_add_u32_e32 v74, v72, v78
	v_cndmask_b32_e32 v1, v11, v1, vcc
	v_lshlrev_b32_e32 v1, 2, v1
	v_sub_u32_e32 v11, v74, v9
	ds_write_b32 v1, v12
	v_sub_u32_e32 v1, v73, v8
	v_add_u32_e32 v11, v11, v6
	v_add_u32_e32 v14, v1, v11
	v_and_b32_e32 v12, 1, v59
	v_sub_u32_e32 v14, v36, v14
	v_and_b32_e32 v10, 1, v60
	v_add_u32_e32 v14, 11, v14
	v_cmp_eq_u32_e32 vcc, 1, v12
	v_cndmask_b32_e32 v11, v14, v11, vcc
	v_cmp_eq_u32_e32 vcc, 1, v10
	v_cndmask_b32_e32 v1, v11, v1, vcc
	v_add_u32_e32 v75, v74, v84
	v_add_u32_e32 v66, v73, v66
	v_lshlrev_b32_e32 v1, 2, v1
	ds_write_b32 v1, v13
	v_sub_u32_e32 v1, v66, v8
	v_sub_u32_e32 v8, v75, v9
	v_add_u32_e32 v8, v8, v6
	v_add_u32_e32 v10, v1, v8
	v_sub_u32_e32 v10, v36, v10
	v_add_u32_e32 v10, 12, v10
	v_cndmask_b32_e64 v8, v10, v8, s[54:55]
	v_cndmask_b32_e64 v1, v8, v1, s[52:53]
	v_lshlrev_b32_e32 v1, 2, v1
	ds_write_b32 v1, v35
	v_mov_b32_e32 v1, s49
	v_add_co_u32_e32 v8, vcc, s48, v34
	v_addc_co_u32_e32 v10, vcc, 0, v1, vcc
	v_add_co_u32_e32 v1, vcc, v7, v76
	v_addc_co_u32_e64 v11, s[4:5], 0, 0, vcc
	v_add_co_u32_e32 v1, vcc, v1, v24
	v_addc_co_u32_e32 v11, vcc, v11, v25, vcc
	v_add_co_u32_e32 v1, vcc, v1, v2
	v_addc_co_u32_e32 v11, vcc, v11, v3, vcc
	v_sub_co_u32_e32 v1, vcc, v8, v1
	v_subb_co_u32_e32 v8, vcc, v10, v11, vcc
	v_lshlrev_b64 v[10:11], 2, v[24:25]
	v_mov_b32_e32 v12, s47
	v_add_co_u32_e32 v10, vcc, s46, v10
	v_addc_co_u32_e32 v11, vcc, v12, v11, vcc
	v_lshlrev_b64 v[12:13], 2, v[2:3]
	v_mov_b32_e32 v15, s45
	v_add_co_u32_e32 v12, vcc, s44, v12
	s_add_u32 s8, s34, -4
	v_addc_co_u32_e32 v13, vcc, v15, v13, vcc
	s_addc_u32 s9, s35, -1
	v_add_u32_e32 v14, v6, v7
	s_and_b64 vcc, exec, s[2:3]
	s_mov_b64 s[2:3], -1
	s_waitcnt lgkmcnt(0)
	s_barrier
	s_cbranch_vccz .LBB1078_133
; %bb.130:
	s_and_b64 vcc, exec, s[2:3]
	s_cbranch_vccnz .LBB1078_238
.LBB1078_131:
	s_and_b64 s[0:1], s[0:1], s[30:31]
	s_and_saveexec_b64 s[2:3], s[0:1]
	s_cbranch_execnz .LBB1078_356
.LBB1078_132:
	s_endpgm
.LBB1078_133:
	v_cmp_le_u32_e32 vcc, v6, v0
	s_and_saveexec_b64 s[2:3], vcc
	s_xor_b64 s[2:3], exec, s[2:3]
	s_cbranch_execz .LBB1078_139
; %bb.134:
	v_cmp_le_u32_e32 vcc, v14, v0
	s_and_saveexec_b64 s[4:5], vcc
	s_xor_b64 s[4:5], exec, s[4:5]
	s_cbranch_execz .LBB1078_136
; %bb.135:
	v_lshlrev_b32_e32 v15, 2, v0
	v_add_co_u32_e32 v16, vcc, v1, v0
	ds_read_b32 v15, v15
	v_addc_co_u32_e32 v17, vcc, 0, v8, vcc
	v_lshlrev_b64 v[16:17], 2, v[16:17]
	v_mov_b32_e32 v18, s35
	v_sub_co_u32_e32 v16, vcc, s34, v16
	v_subb_co_u32_e32 v17, vcc, v18, v17, vcc
	s_waitcnt lgkmcnt(0)
	global_store_dword v[16:17], v15, off offset:-4
.LBB1078_136:
	s_andn2_saveexec_b64 s[4:5], s[4:5]
	s_cbranch_execz .LBB1078_138
; %bb.137:
	v_lshlrev_b32_e32 v15, 2, v0
	ds_read_b32 v16, v15
	v_readfirstlane_b32 s6, v10
	v_readfirstlane_b32 s7, v11
	s_waitcnt lgkmcnt(0)
	s_nop 3
	global_store_dword v15, v16, s[6:7]
.LBB1078_138:
	s_or_b64 exec, exec, s[4:5]
.LBB1078_139:
	s_andn2_saveexec_b64 s[2:3], s[2:3]
	s_cbranch_execz .LBB1078_141
; %bb.140:
	v_lshlrev_b32_e32 v15, 2, v0
	ds_read_b32 v16, v15
	v_readfirstlane_b32 s4, v12
	v_readfirstlane_b32 s5, v13
	s_waitcnt lgkmcnt(0)
	s_nop 3
	global_store_dword v15, v16, s[4:5]
.LBB1078_141:
	s_or_b64 exec, exec, s[2:3]
	v_or_b32_e32 v15, 0x100, v0
	v_cmp_le_u32_e32 vcc, v6, v15
	s_and_saveexec_b64 s[2:3], vcc
	s_xor_b64 s[2:3], exec, s[2:3]
	s_cbranch_execz .LBB1078_147
; %bb.142:
	v_cmp_le_u32_e32 vcc, v14, v15
	s_and_saveexec_b64 s[4:5], vcc
	s_xor_b64 s[4:5], exec, s[4:5]
	s_cbranch_execz .LBB1078_144
; %bb.143:
	v_lshlrev_b32_e32 v15, 2, v0
	ds_read_b32 v15, v15 offset:1024
	v_add_co_u32_e32 v16, vcc, v1, v0
	v_addc_co_u32_e32 v17, vcc, 0, v8, vcc
	v_lshlrev_b64 v[16:17], 2, v[16:17]
	v_mov_b32_e32 v18, s9
	v_sub_co_u32_e32 v16, vcc, s8, v16
	v_subb_co_u32_e32 v17, vcc, v18, v17, vcc
	s_waitcnt lgkmcnt(0)
	global_store_dword v[16:17], v15, off offset:-1024
.LBB1078_144:
	s_andn2_saveexec_b64 s[4:5], s[4:5]
	s_cbranch_execz .LBB1078_146
; %bb.145:
	v_lshlrev_b32_e32 v15, 2, v0
	ds_read_b32 v16, v15 offset:1024
	v_readfirstlane_b32 s6, v10
	v_readfirstlane_b32 s7, v11
	s_waitcnt lgkmcnt(0)
	s_nop 3
	global_store_dword v15, v16, s[6:7] offset:1024
.LBB1078_146:
	s_or_b64 exec, exec, s[4:5]
.LBB1078_147:
	s_andn2_saveexec_b64 s[2:3], s[2:3]
	s_cbranch_execz .LBB1078_149
; %bb.148:
	v_lshlrev_b32_e32 v15, 2, v0
	ds_read_b32 v16, v15 offset:1024
	v_readfirstlane_b32 s4, v12
	v_readfirstlane_b32 s5, v13
	s_waitcnt lgkmcnt(0)
	s_nop 3
	global_store_dword v15, v16, s[4:5] offset:1024
.LBB1078_149:
	s_or_b64 exec, exec, s[2:3]
	v_or_b32_e32 v15, 0x200, v0
	v_cmp_le_u32_e32 vcc, v6, v15
	s_and_saveexec_b64 s[2:3], vcc
	s_xor_b64 s[2:3], exec, s[2:3]
	s_cbranch_execz .LBB1078_155
; %bb.150:
	v_cmp_le_u32_e32 vcc, v14, v15
	s_and_saveexec_b64 s[4:5], vcc
	s_xor_b64 s[4:5], exec, s[4:5]
	s_cbranch_execz .LBB1078_152
; %bb.151:
	v_lshlrev_b32_e32 v15, 2, v0
	ds_read_b32 v15, v15 offset:2048
	v_add_co_u32_e32 v16, vcc, v1, v0
	v_addc_co_u32_e32 v17, vcc, 0, v8, vcc
	v_lshlrev_b64 v[16:17], 2, v[16:17]
	v_mov_b32_e32 v18, s9
	v_sub_co_u32_e32 v16, vcc, s8, v16
	v_subb_co_u32_e32 v17, vcc, v18, v17, vcc
	s_waitcnt lgkmcnt(0)
	global_store_dword v[16:17], v15, off offset:-2048
.LBB1078_152:
	s_andn2_saveexec_b64 s[4:5], s[4:5]
	s_cbranch_execz .LBB1078_154
; %bb.153:
	v_lshlrev_b32_e32 v15, 2, v0
	ds_read_b32 v16, v15 offset:2048
	v_readfirstlane_b32 s6, v10
	v_readfirstlane_b32 s7, v11
	s_waitcnt lgkmcnt(0)
	s_nop 3
	global_store_dword v15, v16, s[6:7] offset:2048
.LBB1078_154:
	s_or_b64 exec, exec, s[4:5]
.LBB1078_155:
	s_andn2_saveexec_b64 s[2:3], s[2:3]
	s_cbranch_execz .LBB1078_157
; %bb.156:
	v_lshlrev_b32_e32 v15, 2, v0
	ds_read_b32 v16, v15 offset:2048
	v_readfirstlane_b32 s4, v12
	v_readfirstlane_b32 s5, v13
	s_waitcnt lgkmcnt(0)
	s_nop 3
	global_store_dword v15, v16, s[4:5] offset:2048
.LBB1078_157:
	;; [unrolled: 47-line block ×3, first 2 shown]
	s_or_b64 exec, exec, s[2:3]
	v_or_b32_e32 v15, 0x400, v0
	v_cmp_le_u32_e32 vcc, v6, v15
	s_and_saveexec_b64 s[2:3], vcc
	s_xor_b64 s[2:3], exec, s[2:3]
	s_cbranch_execz .LBB1078_171
; %bb.166:
	v_cmp_le_u32_e32 vcc, v14, v15
	s_and_saveexec_b64 s[4:5], vcc
	s_xor_b64 s[4:5], exec, s[4:5]
	s_cbranch_execz .LBB1078_168
; %bb.167:
	v_lshlrev_b32_e32 v15, 2, v0
	ds_read_b32 v15, v15 offset:4096
	v_add_co_u32_e32 v16, vcc, v1, v0
	v_addc_co_u32_e32 v17, vcc, 0, v8, vcc
	v_lshlrev_b64 v[16:17], 2, v[16:17]
	v_mov_b32_e32 v18, s9
	v_sub_co_u32_e32 v16, vcc, s8, v16
	v_subb_co_u32_e32 v17, vcc, v18, v17, vcc
	s_waitcnt lgkmcnt(0)
	global_store_dword v[16:17], v15, off offset:-4096
                                        ; implicit-def: $vgpr15
.LBB1078_168:
	s_andn2_saveexec_b64 s[4:5], s[4:5]
	s_cbranch_execz .LBB1078_170
; %bb.169:
	v_lshlrev_b32_e32 v16, 2, v0
	ds_read_b32 v16, v16 offset:4096
	v_lshlrev_b32_e32 v15, 2, v15
	v_readfirstlane_b32 s6, v10
	v_readfirstlane_b32 s7, v11
	s_waitcnt lgkmcnt(0)
	s_nop 3
	global_store_dword v15, v16, s[6:7]
.LBB1078_170:
	s_or_b64 exec, exec, s[4:5]
                                        ; implicit-def: $vgpr15
.LBB1078_171:
	s_andn2_saveexec_b64 s[2:3], s[2:3]
	s_cbranch_execz .LBB1078_173
; %bb.172:
	v_lshlrev_b32_e32 v16, 2, v0
	ds_read_b32 v16, v16 offset:4096
	v_lshlrev_b32_e32 v15, 2, v15
	v_readfirstlane_b32 s4, v12
	v_readfirstlane_b32 s5, v13
	s_waitcnt lgkmcnt(0)
	s_nop 3
	global_store_dword v15, v16, s[4:5]
.LBB1078_173:
	s_or_b64 exec, exec, s[2:3]
	v_or_b32_e32 v15, 0x500, v0
	v_cmp_le_u32_e32 vcc, v6, v15
	s_and_saveexec_b64 s[2:3], vcc
	s_xor_b64 s[2:3], exec, s[2:3]
	s_cbranch_execz .LBB1078_179
; %bb.174:
	v_cmp_le_u32_e32 vcc, v14, v15
	s_and_saveexec_b64 s[4:5], vcc
	s_xor_b64 s[4:5], exec, s[4:5]
	s_cbranch_execz .LBB1078_176
; %bb.175:
	v_add_co_u32_e32 v16, vcc, v1, v15
	v_lshlrev_b32_e32 v15, 2, v0
	ds_read_b32 v15, v15 offset:5120
	v_addc_co_u32_e32 v17, vcc, 0, v8, vcc
	v_lshlrev_b64 v[16:17], 2, v[16:17]
	v_mov_b32_e32 v18, s9
	v_sub_co_u32_e32 v16, vcc, s8, v16
	v_subb_co_u32_e32 v17, vcc, v18, v17, vcc
	s_waitcnt lgkmcnt(0)
	global_store_dword v[16:17], v15, off
                                        ; implicit-def: $vgpr15
.LBB1078_176:
	s_andn2_saveexec_b64 s[4:5], s[4:5]
	s_cbranch_execz .LBB1078_178
; %bb.177:
	v_lshlrev_b32_e32 v16, 2, v0
	ds_read_b32 v16, v16 offset:5120
	v_lshlrev_b32_e32 v15, 2, v15
	v_readfirstlane_b32 s6, v10
	v_readfirstlane_b32 s7, v11
	s_waitcnt lgkmcnt(0)
	s_nop 3
	global_store_dword v15, v16, s[6:7]
.LBB1078_178:
	s_or_b64 exec, exec, s[4:5]
                                        ; implicit-def: $vgpr15
.LBB1078_179:
	s_andn2_saveexec_b64 s[2:3], s[2:3]
	s_cbranch_execz .LBB1078_181
; %bb.180:
	v_lshlrev_b32_e32 v16, 2, v0
	ds_read_b32 v16, v16 offset:5120
	v_lshlrev_b32_e32 v15, 2, v15
	v_readfirstlane_b32 s4, v12
	v_readfirstlane_b32 s5, v13
	s_waitcnt lgkmcnt(0)
	s_nop 3
	global_store_dword v15, v16, s[4:5]
.LBB1078_181:
	s_or_b64 exec, exec, s[2:3]
	v_or_b32_e32 v15, 0x600, v0
	v_cmp_le_u32_e32 vcc, v6, v15
	s_and_saveexec_b64 s[2:3], vcc
	s_xor_b64 s[2:3], exec, s[2:3]
	s_cbranch_execz .LBB1078_187
; %bb.182:
	v_cmp_le_u32_e32 vcc, v14, v15
	s_and_saveexec_b64 s[4:5], vcc
	s_xor_b64 s[4:5], exec, s[4:5]
	s_cbranch_execz .LBB1078_184
; %bb.183:
	v_add_co_u32_e32 v16, vcc, v1, v15
	v_lshlrev_b32_e32 v15, 2, v0
	ds_read_b32 v15, v15 offset:6144
	v_addc_co_u32_e32 v17, vcc, 0, v8, vcc
	v_lshlrev_b64 v[16:17], 2, v[16:17]
	v_mov_b32_e32 v18, s9
	v_sub_co_u32_e32 v16, vcc, s8, v16
	v_subb_co_u32_e32 v17, vcc, v18, v17, vcc
	s_waitcnt lgkmcnt(0)
	global_store_dword v[16:17], v15, off
                                        ; implicit-def: $vgpr15
.LBB1078_184:
	s_andn2_saveexec_b64 s[4:5], s[4:5]
	s_cbranch_execz .LBB1078_186
; %bb.185:
	v_lshlrev_b32_e32 v16, 2, v0
	ds_read_b32 v16, v16 offset:6144
	v_lshlrev_b32_e32 v15, 2, v15
	v_readfirstlane_b32 s6, v10
	v_readfirstlane_b32 s7, v11
	s_waitcnt lgkmcnt(0)
	s_nop 3
	global_store_dword v15, v16, s[6:7]
.LBB1078_186:
	s_or_b64 exec, exec, s[4:5]
                                        ; implicit-def: $vgpr15
.LBB1078_187:
	;; [unrolled: 51-line block ×8, first 2 shown]
	s_andn2_saveexec_b64 s[2:3], s[2:3]
	s_cbranch_execz .LBB1078_237
; %bb.236:
	v_lshlrev_b32_e32 v16, 2, v0
	ds_read_b32 v16, v16 offset:12288
	v_lshlrev_b32_e32 v15, 2, v15
	v_readfirstlane_b32 s4, v12
	v_readfirstlane_b32 s5, v13
	s_waitcnt lgkmcnt(0)
	s_nop 3
	global_store_dword v15, v16, s[4:5]
.LBB1078_237:
	s_or_b64 exec, exec, s[2:3]
	s_branch .LBB1078_131
.LBB1078_238:
	v_cmp_gt_u32_e32 vcc, s16, v0
	s_and_saveexec_b64 s[2:3], vcc
	s_cbranch_execz .LBB1078_247
; %bb.239:
	v_cmp_le_u32_e32 vcc, v6, v0
	s_and_saveexec_b64 s[4:5], vcc
	s_xor_b64 s[4:5], exec, s[4:5]
	s_cbranch_execz .LBB1078_245
; %bb.240:
	v_cmp_le_u32_e32 vcc, v14, v0
	s_and_saveexec_b64 s[6:7], vcc
	s_xor_b64 s[6:7], exec, s[6:7]
	s_cbranch_execz .LBB1078_242
; %bb.241:
	v_lshlrev_b32_e32 v15, 2, v0
	v_add_co_u32_e32 v16, vcc, v1, v0
	ds_read_b32 v15, v15
	v_addc_co_u32_e32 v17, vcc, 0, v8, vcc
	v_lshlrev_b64 v[16:17], 2, v[16:17]
	v_mov_b32_e32 v18, s35
	v_sub_co_u32_e32 v16, vcc, s34, v16
	v_subb_co_u32_e32 v17, vcc, v18, v17, vcc
	s_waitcnt lgkmcnt(0)
	global_store_dword v[16:17], v15, off offset:-4
.LBB1078_242:
	s_andn2_saveexec_b64 s[6:7], s[6:7]
	s_cbranch_execz .LBB1078_244
; %bb.243:
	v_lshlrev_b32_e32 v15, 2, v0
	ds_read_b32 v16, v15
	v_readfirstlane_b32 s10, v10
	v_readfirstlane_b32 s11, v11
	s_waitcnt lgkmcnt(0)
	s_nop 3
	global_store_dword v15, v16, s[10:11]
.LBB1078_244:
	s_or_b64 exec, exec, s[6:7]
.LBB1078_245:
	s_andn2_saveexec_b64 s[4:5], s[4:5]
	s_cbranch_execz .LBB1078_247
; %bb.246:
	v_lshlrev_b32_e32 v15, 2, v0
	ds_read_b32 v16, v15
	v_readfirstlane_b32 s4, v12
	v_readfirstlane_b32 s5, v13
	s_waitcnt lgkmcnt(0)
	s_nop 3
	global_store_dword v15, v16, s[4:5]
.LBB1078_247:
	s_or_b64 exec, exec, s[2:3]
	v_or_b32_e32 v15, 0x100, v0
	v_cmp_gt_u32_e32 vcc, s16, v15
	s_and_saveexec_b64 s[2:3], vcc
	s_cbranch_execz .LBB1078_256
; %bb.248:
	v_cmp_le_u32_e32 vcc, v6, v15
	s_and_saveexec_b64 s[4:5], vcc
	s_xor_b64 s[4:5], exec, s[4:5]
	s_cbranch_execz .LBB1078_254
; %bb.249:
	v_cmp_le_u32_e32 vcc, v14, v15
	s_and_saveexec_b64 s[6:7], vcc
	s_xor_b64 s[6:7], exec, s[6:7]
	s_cbranch_execz .LBB1078_251
; %bb.250:
	v_lshlrev_b32_e32 v15, 2, v0
	ds_read_b32 v15, v15 offset:1024
	v_add_co_u32_e32 v16, vcc, v1, v0
	v_addc_co_u32_e32 v17, vcc, 0, v8, vcc
	v_lshlrev_b64 v[16:17], 2, v[16:17]
	v_mov_b32_e32 v18, s9
	v_sub_co_u32_e32 v16, vcc, s8, v16
	v_subb_co_u32_e32 v17, vcc, v18, v17, vcc
	s_waitcnt lgkmcnt(0)
	global_store_dword v[16:17], v15, off offset:-1024
.LBB1078_251:
	s_andn2_saveexec_b64 s[6:7], s[6:7]
	s_cbranch_execz .LBB1078_253
; %bb.252:
	v_lshlrev_b32_e32 v15, 2, v0
	ds_read_b32 v16, v15 offset:1024
	v_readfirstlane_b32 s10, v10
	v_readfirstlane_b32 s11, v11
	s_waitcnt lgkmcnt(0)
	s_nop 3
	global_store_dword v15, v16, s[10:11] offset:1024
.LBB1078_253:
	s_or_b64 exec, exec, s[6:7]
.LBB1078_254:
	s_andn2_saveexec_b64 s[4:5], s[4:5]
	s_cbranch_execz .LBB1078_256
; %bb.255:
	v_lshlrev_b32_e32 v15, 2, v0
	ds_read_b32 v16, v15 offset:1024
	v_readfirstlane_b32 s4, v12
	v_readfirstlane_b32 s5, v13
	s_waitcnt lgkmcnt(0)
	s_nop 3
	global_store_dword v15, v16, s[4:5] offset:1024
.LBB1078_256:
	s_or_b64 exec, exec, s[2:3]
	v_or_b32_e32 v15, 0x200, v0
	v_cmp_gt_u32_e32 vcc, s16, v15
	s_and_saveexec_b64 s[2:3], vcc
	s_cbranch_execz .LBB1078_265
; %bb.257:
	v_cmp_le_u32_e32 vcc, v6, v15
	s_and_saveexec_b64 s[4:5], vcc
	s_xor_b64 s[4:5], exec, s[4:5]
	s_cbranch_execz .LBB1078_263
; %bb.258:
	v_cmp_le_u32_e32 vcc, v14, v15
	s_and_saveexec_b64 s[6:7], vcc
	s_xor_b64 s[6:7], exec, s[6:7]
	s_cbranch_execz .LBB1078_260
; %bb.259:
	v_lshlrev_b32_e32 v15, 2, v0
	ds_read_b32 v15, v15 offset:2048
	v_add_co_u32_e32 v16, vcc, v1, v0
	v_addc_co_u32_e32 v17, vcc, 0, v8, vcc
	v_lshlrev_b64 v[16:17], 2, v[16:17]
	v_mov_b32_e32 v18, s9
	v_sub_co_u32_e32 v16, vcc, s8, v16
	v_subb_co_u32_e32 v17, vcc, v18, v17, vcc
	s_waitcnt lgkmcnt(0)
	global_store_dword v[16:17], v15, off offset:-2048
.LBB1078_260:
	s_andn2_saveexec_b64 s[6:7], s[6:7]
	s_cbranch_execz .LBB1078_262
; %bb.261:
	v_lshlrev_b32_e32 v15, 2, v0
	ds_read_b32 v16, v15 offset:2048
	v_readfirstlane_b32 s10, v10
	v_readfirstlane_b32 s11, v11
	s_waitcnt lgkmcnt(0)
	s_nop 3
	global_store_dword v15, v16, s[10:11] offset:2048
.LBB1078_262:
	s_or_b64 exec, exec, s[6:7]
.LBB1078_263:
	s_andn2_saveexec_b64 s[4:5], s[4:5]
	s_cbranch_execz .LBB1078_265
; %bb.264:
	v_lshlrev_b32_e32 v15, 2, v0
	ds_read_b32 v16, v15 offset:2048
	v_readfirstlane_b32 s4, v12
	v_readfirstlane_b32 s5, v13
	s_waitcnt lgkmcnt(0)
	s_nop 3
	global_store_dword v15, v16, s[4:5] offset:2048
.LBB1078_265:
	;; [unrolled: 51-line block ×3, first 2 shown]
	s_or_b64 exec, exec, s[2:3]
	v_or_b32_e32 v15, 0x400, v0
	v_cmp_gt_u32_e32 vcc, s16, v15
	s_and_saveexec_b64 s[2:3], vcc
	s_cbranch_execz .LBB1078_283
; %bb.275:
	v_cmp_le_u32_e32 vcc, v6, v15
	s_and_saveexec_b64 s[4:5], vcc
	s_xor_b64 s[4:5], exec, s[4:5]
	s_cbranch_execz .LBB1078_281
; %bb.276:
	v_cmp_le_u32_e32 vcc, v14, v15
	s_and_saveexec_b64 s[6:7], vcc
	s_xor_b64 s[6:7], exec, s[6:7]
	s_cbranch_execz .LBB1078_278
; %bb.277:
	v_lshlrev_b32_e32 v15, 2, v0
	ds_read_b32 v15, v15 offset:4096
	v_add_co_u32_e32 v16, vcc, v1, v0
	v_addc_co_u32_e32 v17, vcc, 0, v8, vcc
	v_lshlrev_b64 v[16:17], 2, v[16:17]
	v_mov_b32_e32 v18, s9
	v_sub_co_u32_e32 v16, vcc, s8, v16
	v_subb_co_u32_e32 v17, vcc, v18, v17, vcc
	s_waitcnt lgkmcnt(0)
	global_store_dword v[16:17], v15, off offset:-4096
                                        ; implicit-def: $vgpr15
.LBB1078_278:
	s_andn2_saveexec_b64 s[6:7], s[6:7]
	s_cbranch_execz .LBB1078_280
; %bb.279:
	v_lshlrev_b32_e32 v16, 2, v0
	ds_read_b32 v16, v16 offset:4096
	v_lshlrev_b32_e32 v15, 2, v15
	v_readfirstlane_b32 s10, v10
	v_readfirstlane_b32 s11, v11
	s_waitcnt lgkmcnt(0)
	s_nop 3
	global_store_dword v15, v16, s[10:11]
.LBB1078_280:
	s_or_b64 exec, exec, s[6:7]
                                        ; implicit-def: $vgpr15
.LBB1078_281:
	s_andn2_saveexec_b64 s[4:5], s[4:5]
	s_cbranch_execz .LBB1078_283
; %bb.282:
	v_lshlrev_b32_e32 v16, 2, v0
	ds_read_b32 v16, v16 offset:4096
	v_lshlrev_b32_e32 v15, 2, v15
	v_readfirstlane_b32 s4, v12
	v_readfirstlane_b32 s5, v13
	s_waitcnt lgkmcnt(0)
	s_nop 3
	global_store_dword v15, v16, s[4:5]
.LBB1078_283:
	s_or_b64 exec, exec, s[2:3]
	v_or_b32_e32 v15, 0x500, v0
	v_cmp_gt_u32_e32 vcc, s16, v15
	s_and_saveexec_b64 s[2:3], vcc
	s_cbranch_execz .LBB1078_292
; %bb.284:
	v_cmp_le_u32_e32 vcc, v6, v15
	s_and_saveexec_b64 s[4:5], vcc
	s_xor_b64 s[4:5], exec, s[4:5]
	s_cbranch_execz .LBB1078_290
; %bb.285:
	v_cmp_le_u32_e32 vcc, v14, v15
	s_and_saveexec_b64 s[6:7], vcc
	s_xor_b64 s[6:7], exec, s[6:7]
	s_cbranch_execz .LBB1078_287
; %bb.286:
	v_add_co_u32_e32 v16, vcc, v1, v15
	v_lshlrev_b32_e32 v15, 2, v0
	ds_read_b32 v15, v15 offset:5120
	v_addc_co_u32_e32 v17, vcc, 0, v8, vcc
	v_lshlrev_b64 v[16:17], 2, v[16:17]
	v_mov_b32_e32 v18, s9
	v_sub_co_u32_e32 v16, vcc, s8, v16
	v_subb_co_u32_e32 v17, vcc, v18, v17, vcc
	s_waitcnt lgkmcnt(0)
	global_store_dword v[16:17], v15, off
                                        ; implicit-def: $vgpr15
.LBB1078_287:
	s_andn2_saveexec_b64 s[6:7], s[6:7]
	s_cbranch_execz .LBB1078_289
; %bb.288:
	v_lshlrev_b32_e32 v16, 2, v0
	ds_read_b32 v16, v16 offset:5120
	v_lshlrev_b32_e32 v15, 2, v15
	v_readfirstlane_b32 s10, v10
	v_readfirstlane_b32 s11, v11
	s_waitcnt lgkmcnt(0)
	s_nop 3
	global_store_dword v15, v16, s[10:11]
.LBB1078_289:
	s_or_b64 exec, exec, s[6:7]
                                        ; implicit-def: $vgpr15
.LBB1078_290:
	s_andn2_saveexec_b64 s[4:5], s[4:5]
	s_cbranch_execz .LBB1078_292
; %bb.291:
	v_lshlrev_b32_e32 v16, 2, v0
	ds_read_b32 v16, v16 offset:5120
	v_lshlrev_b32_e32 v15, 2, v15
	v_readfirstlane_b32 s4, v12
	v_readfirstlane_b32 s5, v13
	s_waitcnt lgkmcnt(0)
	s_nop 3
	global_store_dword v15, v16, s[4:5]
.LBB1078_292:
	s_or_b64 exec, exec, s[2:3]
	v_or_b32_e32 v15, 0x600, v0
	v_cmp_gt_u32_e32 vcc, s16, v15
	s_and_saveexec_b64 s[2:3], vcc
	s_cbranch_execz .LBB1078_301
; %bb.293:
	v_cmp_le_u32_e32 vcc, v6, v15
	s_and_saveexec_b64 s[4:5], vcc
	s_xor_b64 s[4:5], exec, s[4:5]
	s_cbranch_execz .LBB1078_299
; %bb.294:
	v_cmp_le_u32_e32 vcc, v14, v15
	s_and_saveexec_b64 s[6:7], vcc
	s_xor_b64 s[6:7], exec, s[6:7]
	s_cbranch_execz .LBB1078_296
; %bb.295:
	v_add_co_u32_e32 v16, vcc, v1, v15
	v_lshlrev_b32_e32 v15, 2, v0
	ds_read_b32 v15, v15 offset:6144
	v_addc_co_u32_e32 v17, vcc, 0, v8, vcc
	v_lshlrev_b64 v[16:17], 2, v[16:17]
	v_mov_b32_e32 v18, s9
	v_sub_co_u32_e32 v16, vcc, s8, v16
	v_subb_co_u32_e32 v17, vcc, v18, v17, vcc
	s_waitcnt lgkmcnt(0)
	global_store_dword v[16:17], v15, off
                                        ; implicit-def: $vgpr15
.LBB1078_296:
	s_andn2_saveexec_b64 s[6:7], s[6:7]
	s_cbranch_execz .LBB1078_298
; %bb.297:
	v_lshlrev_b32_e32 v16, 2, v0
	ds_read_b32 v16, v16 offset:6144
	v_lshlrev_b32_e32 v15, 2, v15
	v_readfirstlane_b32 s10, v10
	v_readfirstlane_b32 s11, v11
	s_waitcnt lgkmcnt(0)
	s_nop 3
	global_store_dword v15, v16, s[10:11]
.LBB1078_298:
	s_or_b64 exec, exec, s[6:7]
                                        ; implicit-def: $vgpr15
.LBB1078_299:
	s_andn2_saveexec_b64 s[4:5], s[4:5]
	s_cbranch_execz .LBB1078_301
; %bb.300:
	v_lshlrev_b32_e32 v16, 2, v0
	ds_read_b32 v16, v16 offset:6144
	v_lshlrev_b32_e32 v15, 2, v15
	v_readfirstlane_b32 s4, v12
	v_readfirstlane_b32 s5, v13
	s_waitcnt lgkmcnt(0)
	s_nop 3
	global_store_dword v15, v16, s[4:5]
.LBB1078_301:
	s_or_b64 exec, exec, s[2:3]
	v_or_b32_e32 v15, 0x700, v0
	v_cmp_gt_u32_e32 vcc, s16, v15
	s_and_saveexec_b64 s[2:3], vcc
	s_cbranch_execz .LBB1078_310
; %bb.302:
	v_cmp_le_u32_e32 vcc, v6, v15
	s_and_saveexec_b64 s[4:5], vcc
	s_xor_b64 s[4:5], exec, s[4:5]
	s_cbranch_execz .LBB1078_308
; %bb.303:
	v_cmp_le_u32_e32 vcc, v14, v15
	s_and_saveexec_b64 s[6:7], vcc
	s_xor_b64 s[6:7], exec, s[6:7]
	s_cbranch_execz .LBB1078_305
; %bb.304:
	v_add_co_u32_e32 v16, vcc, v1, v15
	v_lshlrev_b32_e32 v15, 2, v0
	ds_read_b32 v15, v15 offset:7168
	v_addc_co_u32_e32 v17, vcc, 0, v8, vcc
	v_lshlrev_b64 v[16:17], 2, v[16:17]
	v_mov_b32_e32 v18, s9
	v_sub_co_u32_e32 v16, vcc, s8, v16
	v_subb_co_u32_e32 v17, vcc, v18, v17, vcc
	s_waitcnt lgkmcnt(0)
	global_store_dword v[16:17], v15, off
                                        ; implicit-def: $vgpr15
.LBB1078_305:
	s_andn2_saveexec_b64 s[6:7], s[6:7]
	s_cbranch_execz .LBB1078_307
; %bb.306:
	v_lshlrev_b32_e32 v16, 2, v0
	ds_read_b32 v16, v16 offset:7168
	v_lshlrev_b32_e32 v15, 2, v15
	v_readfirstlane_b32 s10, v10
	v_readfirstlane_b32 s11, v11
	s_waitcnt lgkmcnt(0)
	s_nop 3
	global_store_dword v15, v16, s[10:11]
.LBB1078_307:
	s_or_b64 exec, exec, s[6:7]
                                        ; implicit-def: $vgpr15
.LBB1078_308:
	s_andn2_saveexec_b64 s[4:5], s[4:5]
	s_cbranch_execz .LBB1078_310
; %bb.309:
	v_lshlrev_b32_e32 v16, 2, v0
	ds_read_b32 v16, v16 offset:7168
	v_lshlrev_b32_e32 v15, 2, v15
	v_readfirstlane_b32 s4, v12
	v_readfirstlane_b32 s5, v13
	s_waitcnt lgkmcnt(0)
	s_nop 3
	global_store_dword v15, v16, s[4:5]
.LBB1078_310:
	s_or_b64 exec, exec, s[2:3]
	v_or_b32_e32 v15, 0x800, v0
	v_cmp_gt_u32_e32 vcc, s16, v15
	s_and_saveexec_b64 s[2:3], vcc
	s_cbranch_execz .LBB1078_319
; %bb.311:
	v_cmp_le_u32_e32 vcc, v6, v15
	s_and_saveexec_b64 s[4:5], vcc
	s_xor_b64 s[4:5], exec, s[4:5]
	s_cbranch_execz .LBB1078_317
; %bb.312:
	v_cmp_le_u32_e32 vcc, v14, v15
	s_and_saveexec_b64 s[6:7], vcc
	s_xor_b64 s[6:7], exec, s[6:7]
	s_cbranch_execz .LBB1078_314
; %bb.313:
	v_add_co_u32_e32 v16, vcc, v1, v15
	v_lshlrev_b32_e32 v15, 2, v0
	ds_read_b32 v15, v15 offset:8192
	v_addc_co_u32_e32 v17, vcc, 0, v8, vcc
	v_lshlrev_b64 v[16:17], 2, v[16:17]
	v_mov_b32_e32 v18, s9
	v_sub_co_u32_e32 v16, vcc, s8, v16
	v_subb_co_u32_e32 v17, vcc, v18, v17, vcc
	s_waitcnt lgkmcnt(0)
	global_store_dword v[16:17], v15, off
                                        ; implicit-def: $vgpr15
.LBB1078_314:
	s_andn2_saveexec_b64 s[6:7], s[6:7]
	s_cbranch_execz .LBB1078_316
; %bb.315:
	v_lshlrev_b32_e32 v16, 2, v0
	ds_read_b32 v16, v16 offset:8192
	v_lshlrev_b32_e32 v15, 2, v15
	v_readfirstlane_b32 s10, v10
	v_readfirstlane_b32 s11, v11
	s_waitcnt lgkmcnt(0)
	s_nop 3
	global_store_dword v15, v16, s[10:11]
.LBB1078_316:
	s_or_b64 exec, exec, s[6:7]
                                        ; implicit-def: $vgpr15
.LBB1078_317:
	s_andn2_saveexec_b64 s[4:5], s[4:5]
	s_cbranch_execz .LBB1078_319
; %bb.318:
	v_lshlrev_b32_e32 v16, 2, v0
	ds_read_b32 v16, v16 offset:8192
	v_lshlrev_b32_e32 v15, 2, v15
	v_readfirstlane_b32 s4, v12
	v_readfirstlane_b32 s5, v13
	s_waitcnt lgkmcnt(0)
	s_nop 3
	global_store_dword v15, v16, s[4:5]
.LBB1078_319:
	s_or_b64 exec, exec, s[2:3]
	v_or_b32_e32 v15, 0x900, v0
	v_cmp_gt_u32_e32 vcc, s16, v15
	s_and_saveexec_b64 s[2:3], vcc
	s_cbranch_execz .LBB1078_328
; %bb.320:
	v_cmp_le_u32_e32 vcc, v6, v15
	s_and_saveexec_b64 s[4:5], vcc
	s_xor_b64 s[4:5], exec, s[4:5]
	s_cbranch_execz .LBB1078_326
; %bb.321:
	v_cmp_le_u32_e32 vcc, v14, v15
	s_and_saveexec_b64 s[6:7], vcc
	s_xor_b64 s[6:7], exec, s[6:7]
	s_cbranch_execz .LBB1078_323
; %bb.322:
	v_add_co_u32_e32 v16, vcc, v1, v15
	v_lshlrev_b32_e32 v15, 2, v0
	ds_read_b32 v15, v15 offset:9216
	v_addc_co_u32_e32 v17, vcc, 0, v8, vcc
	v_lshlrev_b64 v[16:17], 2, v[16:17]
	v_mov_b32_e32 v18, s9
	v_sub_co_u32_e32 v16, vcc, s8, v16
	v_subb_co_u32_e32 v17, vcc, v18, v17, vcc
	s_waitcnt lgkmcnt(0)
	global_store_dword v[16:17], v15, off
                                        ; implicit-def: $vgpr15
.LBB1078_323:
	s_andn2_saveexec_b64 s[6:7], s[6:7]
	s_cbranch_execz .LBB1078_325
; %bb.324:
	v_lshlrev_b32_e32 v16, 2, v0
	ds_read_b32 v16, v16 offset:9216
	v_lshlrev_b32_e32 v15, 2, v15
	v_readfirstlane_b32 s10, v10
	v_readfirstlane_b32 s11, v11
	s_waitcnt lgkmcnt(0)
	s_nop 3
	global_store_dword v15, v16, s[10:11]
.LBB1078_325:
	s_or_b64 exec, exec, s[6:7]
                                        ; implicit-def: $vgpr15
.LBB1078_326:
	s_andn2_saveexec_b64 s[4:5], s[4:5]
	s_cbranch_execz .LBB1078_328
; %bb.327:
	v_lshlrev_b32_e32 v16, 2, v0
	ds_read_b32 v16, v16 offset:9216
	v_lshlrev_b32_e32 v15, 2, v15
	v_readfirstlane_b32 s4, v12
	v_readfirstlane_b32 s5, v13
	s_waitcnt lgkmcnt(0)
	s_nop 3
	global_store_dword v15, v16, s[4:5]
.LBB1078_328:
	s_or_b64 exec, exec, s[2:3]
	v_or_b32_e32 v15, 0xa00, v0
	v_cmp_gt_u32_e32 vcc, s16, v15
	s_and_saveexec_b64 s[2:3], vcc
	s_cbranch_execz .LBB1078_337
; %bb.329:
	v_cmp_le_u32_e32 vcc, v6, v15
	s_and_saveexec_b64 s[4:5], vcc
	s_xor_b64 s[4:5], exec, s[4:5]
	s_cbranch_execz .LBB1078_335
; %bb.330:
	v_cmp_le_u32_e32 vcc, v14, v15
	s_and_saveexec_b64 s[6:7], vcc
	s_xor_b64 s[6:7], exec, s[6:7]
	s_cbranch_execz .LBB1078_332
; %bb.331:
	v_add_co_u32_e32 v16, vcc, v1, v15
	v_lshlrev_b32_e32 v15, 2, v0
	ds_read_b32 v15, v15 offset:10240
	v_addc_co_u32_e32 v17, vcc, 0, v8, vcc
	v_lshlrev_b64 v[16:17], 2, v[16:17]
	v_mov_b32_e32 v18, s9
	v_sub_co_u32_e32 v16, vcc, s8, v16
	v_subb_co_u32_e32 v17, vcc, v18, v17, vcc
	s_waitcnt lgkmcnt(0)
	global_store_dword v[16:17], v15, off
                                        ; implicit-def: $vgpr15
.LBB1078_332:
	s_andn2_saveexec_b64 s[6:7], s[6:7]
	s_cbranch_execz .LBB1078_334
; %bb.333:
	v_lshlrev_b32_e32 v16, 2, v0
	ds_read_b32 v16, v16 offset:10240
	v_lshlrev_b32_e32 v15, 2, v15
	v_readfirstlane_b32 s10, v10
	v_readfirstlane_b32 s11, v11
	s_waitcnt lgkmcnt(0)
	s_nop 3
	global_store_dword v15, v16, s[10:11]
.LBB1078_334:
	s_or_b64 exec, exec, s[6:7]
                                        ; implicit-def: $vgpr15
.LBB1078_335:
	s_andn2_saveexec_b64 s[4:5], s[4:5]
	s_cbranch_execz .LBB1078_337
; %bb.336:
	v_lshlrev_b32_e32 v16, 2, v0
	ds_read_b32 v16, v16 offset:10240
	v_lshlrev_b32_e32 v15, 2, v15
	v_readfirstlane_b32 s4, v12
	v_readfirstlane_b32 s5, v13
	s_waitcnt lgkmcnt(0)
	s_nop 3
	global_store_dword v15, v16, s[4:5]
.LBB1078_337:
	s_or_b64 exec, exec, s[2:3]
	v_or_b32_e32 v15, 0xb00, v0
	v_cmp_gt_u32_e32 vcc, s16, v15
	s_and_saveexec_b64 s[2:3], vcc
	s_cbranch_execz .LBB1078_346
; %bb.338:
	v_cmp_le_u32_e32 vcc, v6, v15
	s_and_saveexec_b64 s[4:5], vcc
	s_xor_b64 s[4:5], exec, s[4:5]
	s_cbranch_execz .LBB1078_344
; %bb.339:
	v_cmp_le_u32_e32 vcc, v14, v15
	s_and_saveexec_b64 s[6:7], vcc
	s_xor_b64 s[6:7], exec, s[6:7]
	s_cbranch_execz .LBB1078_341
; %bb.340:
	v_add_co_u32_e32 v16, vcc, v1, v15
	v_lshlrev_b32_e32 v15, 2, v0
	ds_read_b32 v15, v15 offset:11264
	v_addc_co_u32_e32 v17, vcc, 0, v8, vcc
	v_lshlrev_b64 v[16:17], 2, v[16:17]
	v_mov_b32_e32 v18, s9
	v_sub_co_u32_e32 v16, vcc, s8, v16
	v_subb_co_u32_e32 v17, vcc, v18, v17, vcc
	s_waitcnt lgkmcnt(0)
	global_store_dword v[16:17], v15, off
                                        ; implicit-def: $vgpr15
.LBB1078_341:
	s_andn2_saveexec_b64 s[6:7], s[6:7]
	s_cbranch_execz .LBB1078_343
; %bb.342:
	v_lshlrev_b32_e32 v16, 2, v0
	ds_read_b32 v16, v16 offset:11264
	v_lshlrev_b32_e32 v15, 2, v15
	v_readfirstlane_b32 s10, v10
	v_readfirstlane_b32 s11, v11
	s_waitcnt lgkmcnt(0)
	s_nop 3
	global_store_dword v15, v16, s[10:11]
.LBB1078_343:
	s_or_b64 exec, exec, s[6:7]
                                        ; implicit-def: $vgpr15
.LBB1078_344:
	s_andn2_saveexec_b64 s[4:5], s[4:5]
	s_cbranch_execz .LBB1078_346
; %bb.345:
	v_lshlrev_b32_e32 v16, 2, v0
	ds_read_b32 v16, v16 offset:11264
	v_lshlrev_b32_e32 v15, 2, v15
	v_readfirstlane_b32 s4, v12
	v_readfirstlane_b32 s5, v13
	s_waitcnt lgkmcnt(0)
	s_nop 3
	global_store_dword v15, v16, s[4:5]
.LBB1078_346:
	s_or_b64 exec, exec, s[2:3]
	v_or_b32_e32 v15, 0xc00, v0
	v_cmp_gt_u32_e32 vcc, s16, v15
	s_and_saveexec_b64 s[2:3], vcc
	s_cbranch_execz .LBB1078_355
; %bb.347:
	v_cmp_le_u32_e32 vcc, v6, v15
	s_and_saveexec_b64 s[4:5], vcc
	s_xor_b64 s[4:5], exec, s[4:5]
	s_cbranch_execz .LBB1078_353
; %bb.348:
	v_cmp_le_u32_e32 vcc, v14, v15
	s_and_saveexec_b64 s[6:7], vcc
	s_xor_b64 s[6:7], exec, s[6:7]
	s_cbranch_execz .LBB1078_350
; %bb.349:
	v_add_co_u32_e32 v10, vcc, v1, v15
	v_lshlrev_b32_e32 v0, 2, v0
	v_addc_co_u32_e32 v11, vcc, 0, v8, vcc
	ds_read_b32 v8, v0 offset:12288
	v_lshlrev_b64 v[0:1], 2, v[10:11]
	v_mov_b32_e32 v10, s9
	v_sub_co_u32_e32 v0, vcc, s8, v0
	v_subb_co_u32_e32 v1, vcc, v10, v1, vcc
	s_waitcnt lgkmcnt(0)
	global_store_dword v[0:1], v8, off
                                        ; implicit-def: $vgpr0
                                        ; implicit-def: $vgpr15
                                        ; implicit-def: $vgpr10_vgpr11
.LBB1078_350:
	s_andn2_saveexec_b64 s[6:7], s[6:7]
	s_cbranch_execz .LBB1078_352
; %bb.351:
	v_lshlrev_b32_e32 v0, 2, v0
	ds_read_b32 v0, v0 offset:12288
	v_lshlrev_b32_e32 v1, 2, v15
	v_readfirstlane_b32 s8, v10
	v_readfirstlane_b32 s9, v11
	s_waitcnt lgkmcnt(0)
	s_nop 3
	global_store_dword v1, v0, s[8:9]
.LBB1078_352:
	s_or_b64 exec, exec, s[6:7]
                                        ; implicit-def: $vgpr0
                                        ; implicit-def: $vgpr15
                                        ; implicit-def: $vgpr12_vgpr13
.LBB1078_353:
	s_andn2_saveexec_b64 s[4:5], s[4:5]
	s_cbranch_execz .LBB1078_355
; %bb.354:
	v_lshlrev_b32_e32 v0, 2, v0
	ds_read_b32 v0, v0 offset:12288
	v_lshlrev_b32_e32 v1, 2, v15
	v_readfirstlane_b32 s4, v12
	v_readfirstlane_b32 s5, v13
	s_waitcnt lgkmcnt(0)
	s_nop 3
	global_store_dword v1, v0, s[4:5]
.LBB1078_355:
	s_or_b64 exec, exec, s[2:3]
	s_and_b64 s[0:1], s[0:1], s[30:31]
	s_and_saveexec_b64 s[2:3], s[0:1]
	s_cbranch_execz .LBB1078_132
.LBB1078_356:
	v_add_co_u32_e32 v0, vcc, v2, v6
	v_addc_co_u32_e32 v1, vcc, 0, v3, vcc
	v_add_co_u32_e32 v2, vcc, v4, v7
	v_addc_co_u32_e32 v3, vcc, 0, v5, vcc
	v_add_co_u32_e32 v2, vcc, v2, v9
	v_mov_b32_e32 v8, 0
	v_addc_co_u32_e32 v3, vcc, 0, v3, vcc
	global_store_dwordx4 v8, v[0:3], s[28:29]
	s_endpgm
	.section	.rodata,"a",@progbits
	.p2align	6, 0x0
	.amdhsa_kernel _ZN7rocprim17ROCPRIM_400000_NS6detail17trampoline_kernelINS0_13select_configILj256ELj13ELNS0_17block_load_methodE3ELS4_3ELS4_3ELNS0_20block_scan_algorithmE0ELj4294967295EEENS1_25partition_config_selectorILNS1_17partition_subalgoE4EjNS0_10empty_typeEbEEZZNS1_14partition_implILS8_4ELb0ES6_15HIP_vector_typeIjLj2EENS0_17counting_iteratorIjlEEPS9_SG_NS0_5tupleIJPjSI_NS0_16reverse_iteratorISI_EEEEENSH_IJSG_SG_SG_EEES9_SI_JZNS1_25segmented_radix_sort_implINS0_14default_configELb1EPKdPdPKlPlN2at6native12_GLOBAL__N_18offset_tEEE10hipError_tPvRmT1_PNSt15iterator_traitsIS12_E10value_typeET2_T3_PNS13_IS18_E10value_typeET4_jRbjT5_S1E_jjP12ihipStream_tbEUljE_ZNSN_ISO_Lb1ESQ_SR_ST_SU_SY_EESZ_S10_S11_S12_S16_S17_S18_S1B_S1C_jS1D_jS1E_S1E_jjS1G_bEUljE0_EEESZ_S10_S11_S18_S1C_S1E_T6_T7_T9_mT8_S1G_bDpT10_ENKUlT_T0_E_clISt17integral_constantIbLb0EES1T_IbLb1EEEEDaS1P_S1Q_EUlS1P_E_NS1_11comp_targetILNS1_3genE4ELNS1_11target_archE910ELNS1_3gpuE8ELNS1_3repE0EEENS1_30default_config_static_selectorELNS0_4arch9wavefront6targetE1EEEvS12_
		.amdhsa_group_segment_fixed_size 13340
		.amdhsa_private_segment_fixed_size 0
		.amdhsa_kernarg_size 184
		.amdhsa_user_sgpr_count 6
		.amdhsa_user_sgpr_private_segment_buffer 1
		.amdhsa_user_sgpr_dispatch_ptr 0
		.amdhsa_user_sgpr_queue_ptr 0
		.amdhsa_user_sgpr_kernarg_segment_ptr 1
		.amdhsa_user_sgpr_dispatch_id 0
		.amdhsa_user_sgpr_flat_scratch_init 0
		.amdhsa_user_sgpr_kernarg_preload_length 0
		.amdhsa_user_sgpr_kernarg_preload_offset 0
		.amdhsa_user_sgpr_private_segment_size 0
		.amdhsa_uses_dynamic_stack 0
		.amdhsa_system_sgpr_private_segment_wavefront_offset 0
		.amdhsa_system_sgpr_workgroup_id_x 1
		.amdhsa_system_sgpr_workgroup_id_y 0
		.amdhsa_system_sgpr_workgroup_id_z 0
		.amdhsa_system_sgpr_workgroup_info 0
		.amdhsa_system_vgpr_workitem_id 0
		.amdhsa_next_free_vgpr 107
		.amdhsa_next_free_sgpr 87
		.amdhsa_accum_offset 108
		.amdhsa_reserve_vcc 1
		.amdhsa_reserve_flat_scratch 0
		.amdhsa_float_round_mode_32 0
		.amdhsa_float_round_mode_16_64 0
		.amdhsa_float_denorm_mode_32 3
		.amdhsa_float_denorm_mode_16_64 3
		.amdhsa_dx10_clamp 1
		.amdhsa_ieee_mode 1
		.amdhsa_fp16_overflow 0
		.amdhsa_tg_split 0
		.amdhsa_exception_fp_ieee_invalid_op 0
		.amdhsa_exception_fp_denorm_src 0
		.amdhsa_exception_fp_ieee_div_zero 0
		.amdhsa_exception_fp_ieee_overflow 0
		.amdhsa_exception_fp_ieee_underflow 0
		.amdhsa_exception_fp_ieee_inexact 0
		.amdhsa_exception_int_div_zero 0
	.end_amdhsa_kernel
	.section	.text._ZN7rocprim17ROCPRIM_400000_NS6detail17trampoline_kernelINS0_13select_configILj256ELj13ELNS0_17block_load_methodE3ELS4_3ELS4_3ELNS0_20block_scan_algorithmE0ELj4294967295EEENS1_25partition_config_selectorILNS1_17partition_subalgoE4EjNS0_10empty_typeEbEEZZNS1_14partition_implILS8_4ELb0ES6_15HIP_vector_typeIjLj2EENS0_17counting_iteratorIjlEEPS9_SG_NS0_5tupleIJPjSI_NS0_16reverse_iteratorISI_EEEEENSH_IJSG_SG_SG_EEES9_SI_JZNS1_25segmented_radix_sort_implINS0_14default_configELb1EPKdPdPKlPlN2at6native12_GLOBAL__N_18offset_tEEE10hipError_tPvRmT1_PNSt15iterator_traitsIS12_E10value_typeET2_T3_PNS13_IS18_E10value_typeET4_jRbjT5_S1E_jjP12ihipStream_tbEUljE_ZNSN_ISO_Lb1ESQ_SR_ST_SU_SY_EESZ_S10_S11_S12_S16_S17_S18_S1B_S1C_jS1D_jS1E_S1E_jjS1G_bEUljE0_EEESZ_S10_S11_S18_S1C_S1E_T6_T7_T9_mT8_S1G_bDpT10_ENKUlT_T0_E_clISt17integral_constantIbLb0EES1T_IbLb1EEEEDaS1P_S1Q_EUlS1P_E_NS1_11comp_targetILNS1_3genE4ELNS1_11target_archE910ELNS1_3gpuE8ELNS1_3repE0EEENS1_30default_config_static_selectorELNS0_4arch9wavefront6targetE1EEEvS12_,"axG",@progbits,_ZN7rocprim17ROCPRIM_400000_NS6detail17trampoline_kernelINS0_13select_configILj256ELj13ELNS0_17block_load_methodE3ELS4_3ELS4_3ELNS0_20block_scan_algorithmE0ELj4294967295EEENS1_25partition_config_selectorILNS1_17partition_subalgoE4EjNS0_10empty_typeEbEEZZNS1_14partition_implILS8_4ELb0ES6_15HIP_vector_typeIjLj2EENS0_17counting_iteratorIjlEEPS9_SG_NS0_5tupleIJPjSI_NS0_16reverse_iteratorISI_EEEEENSH_IJSG_SG_SG_EEES9_SI_JZNS1_25segmented_radix_sort_implINS0_14default_configELb1EPKdPdPKlPlN2at6native12_GLOBAL__N_18offset_tEEE10hipError_tPvRmT1_PNSt15iterator_traitsIS12_E10value_typeET2_T3_PNS13_IS18_E10value_typeET4_jRbjT5_S1E_jjP12ihipStream_tbEUljE_ZNSN_ISO_Lb1ESQ_SR_ST_SU_SY_EESZ_S10_S11_S12_S16_S17_S18_S1B_S1C_jS1D_jS1E_S1E_jjS1G_bEUljE0_EEESZ_S10_S11_S18_S1C_S1E_T6_T7_T9_mT8_S1G_bDpT10_ENKUlT_T0_E_clISt17integral_constantIbLb0EES1T_IbLb1EEEEDaS1P_S1Q_EUlS1P_E_NS1_11comp_targetILNS1_3genE4ELNS1_11target_archE910ELNS1_3gpuE8ELNS1_3repE0EEENS1_30default_config_static_selectorELNS0_4arch9wavefront6targetE1EEEvS12_,comdat
.Lfunc_end1078:
	.size	_ZN7rocprim17ROCPRIM_400000_NS6detail17trampoline_kernelINS0_13select_configILj256ELj13ELNS0_17block_load_methodE3ELS4_3ELS4_3ELNS0_20block_scan_algorithmE0ELj4294967295EEENS1_25partition_config_selectorILNS1_17partition_subalgoE4EjNS0_10empty_typeEbEEZZNS1_14partition_implILS8_4ELb0ES6_15HIP_vector_typeIjLj2EENS0_17counting_iteratorIjlEEPS9_SG_NS0_5tupleIJPjSI_NS0_16reverse_iteratorISI_EEEEENSH_IJSG_SG_SG_EEES9_SI_JZNS1_25segmented_radix_sort_implINS0_14default_configELb1EPKdPdPKlPlN2at6native12_GLOBAL__N_18offset_tEEE10hipError_tPvRmT1_PNSt15iterator_traitsIS12_E10value_typeET2_T3_PNS13_IS18_E10value_typeET4_jRbjT5_S1E_jjP12ihipStream_tbEUljE_ZNSN_ISO_Lb1ESQ_SR_ST_SU_SY_EESZ_S10_S11_S12_S16_S17_S18_S1B_S1C_jS1D_jS1E_S1E_jjS1G_bEUljE0_EEESZ_S10_S11_S18_S1C_S1E_T6_T7_T9_mT8_S1G_bDpT10_ENKUlT_T0_E_clISt17integral_constantIbLb0EES1T_IbLb1EEEEDaS1P_S1Q_EUlS1P_E_NS1_11comp_targetILNS1_3genE4ELNS1_11target_archE910ELNS1_3gpuE8ELNS1_3repE0EEENS1_30default_config_static_selectorELNS0_4arch9wavefront6targetE1EEEvS12_, .Lfunc_end1078-_ZN7rocprim17ROCPRIM_400000_NS6detail17trampoline_kernelINS0_13select_configILj256ELj13ELNS0_17block_load_methodE3ELS4_3ELS4_3ELNS0_20block_scan_algorithmE0ELj4294967295EEENS1_25partition_config_selectorILNS1_17partition_subalgoE4EjNS0_10empty_typeEbEEZZNS1_14partition_implILS8_4ELb0ES6_15HIP_vector_typeIjLj2EENS0_17counting_iteratorIjlEEPS9_SG_NS0_5tupleIJPjSI_NS0_16reverse_iteratorISI_EEEEENSH_IJSG_SG_SG_EEES9_SI_JZNS1_25segmented_radix_sort_implINS0_14default_configELb1EPKdPdPKlPlN2at6native12_GLOBAL__N_18offset_tEEE10hipError_tPvRmT1_PNSt15iterator_traitsIS12_E10value_typeET2_T3_PNS13_IS18_E10value_typeET4_jRbjT5_S1E_jjP12ihipStream_tbEUljE_ZNSN_ISO_Lb1ESQ_SR_ST_SU_SY_EESZ_S10_S11_S12_S16_S17_S18_S1B_S1C_jS1D_jS1E_S1E_jjS1G_bEUljE0_EEESZ_S10_S11_S18_S1C_S1E_T6_T7_T9_mT8_S1G_bDpT10_ENKUlT_T0_E_clISt17integral_constantIbLb0EES1T_IbLb1EEEEDaS1P_S1Q_EUlS1P_E_NS1_11comp_targetILNS1_3genE4ELNS1_11target_archE910ELNS1_3gpuE8ELNS1_3repE0EEENS1_30default_config_static_selectorELNS0_4arch9wavefront6targetE1EEEvS12_
                                        ; -- End function
	.section	.AMDGPU.csdata,"",@progbits
; Kernel info:
; codeLenInByte = 13432
; NumSgprs: 91
; NumVgprs: 107
; NumAgprs: 0
; TotalNumVgprs: 107
; ScratchSize: 0
; MemoryBound: 0
; FloatMode: 240
; IeeeMode: 1
; LDSByteSize: 13340 bytes/workgroup (compile time only)
; SGPRBlocks: 11
; VGPRBlocks: 13
; NumSGPRsForWavesPerEU: 91
; NumVGPRsForWavesPerEU: 107
; AccumOffset: 108
; Occupancy: 4
; WaveLimiterHint : 1
; COMPUTE_PGM_RSRC2:SCRATCH_EN: 0
; COMPUTE_PGM_RSRC2:USER_SGPR: 6
; COMPUTE_PGM_RSRC2:TRAP_HANDLER: 0
; COMPUTE_PGM_RSRC2:TGID_X_EN: 1
; COMPUTE_PGM_RSRC2:TGID_Y_EN: 0
; COMPUTE_PGM_RSRC2:TGID_Z_EN: 0
; COMPUTE_PGM_RSRC2:TIDIG_COMP_CNT: 0
; COMPUTE_PGM_RSRC3_GFX90A:ACCUM_OFFSET: 26
; COMPUTE_PGM_RSRC3_GFX90A:TG_SPLIT: 0
	.section	.text._ZN7rocprim17ROCPRIM_400000_NS6detail17trampoline_kernelINS0_13select_configILj256ELj13ELNS0_17block_load_methodE3ELS4_3ELS4_3ELNS0_20block_scan_algorithmE0ELj4294967295EEENS1_25partition_config_selectorILNS1_17partition_subalgoE4EjNS0_10empty_typeEbEEZZNS1_14partition_implILS8_4ELb0ES6_15HIP_vector_typeIjLj2EENS0_17counting_iteratorIjlEEPS9_SG_NS0_5tupleIJPjSI_NS0_16reverse_iteratorISI_EEEEENSH_IJSG_SG_SG_EEES9_SI_JZNS1_25segmented_radix_sort_implINS0_14default_configELb1EPKdPdPKlPlN2at6native12_GLOBAL__N_18offset_tEEE10hipError_tPvRmT1_PNSt15iterator_traitsIS12_E10value_typeET2_T3_PNS13_IS18_E10value_typeET4_jRbjT5_S1E_jjP12ihipStream_tbEUljE_ZNSN_ISO_Lb1ESQ_SR_ST_SU_SY_EESZ_S10_S11_S12_S16_S17_S18_S1B_S1C_jS1D_jS1E_S1E_jjS1G_bEUljE0_EEESZ_S10_S11_S18_S1C_S1E_T6_T7_T9_mT8_S1G_bDpT10_ENKUlT_T0_E_clISt17integral_constantIbLb0EES1T_IbLb1EEEEDaS1P_S1Q_EUlS1P_E_NS1_11comp_targetILNS1_3genE3ELNS1_11target_archE908ELNS1_3gpuE7ELNS1_3repE0EEENS1_30default_config_static_selectorELNS0_4arch9wavefront6targetE1EEEvS12_,"axG",@progbits,_ZN7rocprim17ROCPRIM_400000_NS6detail17trampoline_kernelINS0_13select_configILj256ELj13ELNS0_17block_load_methodE3ELS4_3ELS4_3ELNS0_20block_scan_algorithmE0ELj4294967295EEENS1_25partition_config_selectorILNS1_17partition_subalgoE4EjNS0_10empty_typeEbEEZZNS1_14partition_implILS8_4ELb0ES6_15HIP_vector_typeIjLj2EENS0_17counting_iteratorIjlEEPS9_SG_NS0_5tupleIJPjSI_NS0_16reverse_iteratorISI_EEEEENSH_IJSG_SG_SG_EEES9_SI_JZNS1_25segmented_radix_sort_implINS0_14default_configELb1EPKdPdPKlPlN2at6native12_GLOBAL__N_18offset_tEEE10hipError_tPvRmT1_PNSt15iterator_traitsIS12_E10value_typeET2_T3_PNS13_IS18_E10value_typeET4_jRbjT5_S1E_jjP12ihipStream_tbEUljE_ZNSN_ISO_Lb1ESQ_SR_ST_SU_SY_EESZ_S10_S11_S12_S16_S17_S18_S1B_S1C_jS1D_jS1E_S1E_jjS1G_bEUljE0_EEESZ_S10_S11_S18_S1C_S1E_T6_T7_T9_mT8_S1G_bDpT10_ENKUlT_T0_E_clISt17integral_constantIbLb0EES1T_IbLb1EEEEDaS1P_S1Q_EUlS1P_E_NS1_11comp_targetILNS1_3genE3ELNS1_11target_archE908ELNS1_3gpuE7ELNS1_3repE0EEENS1_30default_config_static_selectorELNS0_4arch9wavefront6targetE1EEEvS12_,comdat
	.globl	_ZN7rocprim17ROCPRIM_400000_NS6detail17trampoline_kernelINS0_13select_configILj256ELj13ELNS0_17block_load_methodE3ELS4_3ELS4_3ELNS0_20block_scan_algorithmE0ELj4294967295EEENS1_25partition_config_selectorILNS1_17partition_subalgoE4EjNS0_10empty_typeEbEEZZNS1_14partition_implILS8_4ELb0ES6_15HIP_vector_typeIjLj2EENS0_17counting_iteratorIjlEEPS9_SG_NS0_5tupleIJPjSI_NS0_16reverse_iteratorISI_EEEEENSH_IJSG_SG_SG_EEES9_SI_JZNS1_25segmented_radix_sort_implINS0_14default_configELb1EPKdPdPKlPlN2at6native12_GLOBAL__N_18offset_tEEE10hipError_tPvRmT1_PNSt15iterator_traitsIS12_E10value_typeET2_T3_PNS13_IS18_E10value_typeET4_jRbjT5_S1E_jjP12ihipStream_tbEUljE_ZNSN_ISO_Lb1ESQ_SR_ST_SU_SY_EESZ_S10_S11_S12_S16_S17_S18_S1B_S1C_jS1D_jS1E_S1E_jjS1G_bEUljE0_EEESZ_S10_S11_S18_S1C_S1E_T6_T7_T9_mT8_S1G_bDpT10_ENKUlT_T0_E_clISt17integral_constantIbLb0EES1T_IbLb1EEEEDaS1P_S1Q_EUlS1P_E_NS1_11comp_targetILNS1_3genE3ELNS1_11target_archE908ELNS1_3gpuE7ELNS1_3repE0EEENS1_30default_config_static_selectorELNS0_4arch9wavefront6targetE1EEEvS12_ ; -- Begin function _ZN7rocprim17ROCPRIM_400000_NS6detail17trampoline_kernelINS0_13select_configILj256ELj13ELNS0_17block_load_methodE3ELS4_3ELS4_3ELNS0_20block_scan_algorithmE0ELj4294967295EEENS1_25partition_config_selectorILNS1_17partition_subalgoE4EjNS0_10empty_typeEbEEZZNS1_14partition_implILS8_4ELb0ES6_15HIP_vector_typeIjLj2EENS0_17counting_iteratorIjlEEPS9_SG_NS0_5tupleIJPjSI_NS0_16reverse_iteratorISI_EEEEENSH_IJSG_SG_SG_EEES9_SI_JZNS1_25segmented_radix_sort_implINS0_14default_configELb1EPKdPdPKlPlN2at6native12_GLOBAL__N_18offset_tEEE10hipError_tPvRmT1_PNSt15iterator_traitsIS12_E10value_typeET2_T3_PNS13_IS18_E10value_typeET4_jRbjT5_S1E_jjP12ihipStream_tbEUljE_ZNSN_ISO_Lb1ESQ_SR_ST_SU_SY_EESZ_S10_S11_S12_S16_S17_S18_S1B_S1C_jS1D_jS1E_S1E_jjS1G_bEUljE0_EEESZ_S10_S11_S18_S1C_S1E_T6_T7_T9_mT8_S1G_bDpT10_ENKUlT_T0_E_clISt17integral_constantIbLb0EES1T_IbLb1EEEEDaS1P_S1Q_EUlS1P_E_NS1_11comp_targetILNS1_3genE3ELNS1_11target_archE908ELNS1_3gpuE7ELNS1_3repE0EEENS1_30default_config_static_selectorELNS0_4arch9wavefront6targetE1EEEvS12_
	.p2align	8
	.type	_ZN7rocprim17ROCPRIM_400000_NS6detail17trampoline_kernelINS0_13select_configILj256ELj13ELNS0_17block_load_methodE3ELS4_3ELS4_3ELNS0_20block_scan_algorithmE0ELj4294967295EEENS1_25partition_config_selectorILNS1_17partition_subalgoE4EjNS0_10empty_typeEbEEZZNS1_14partition_implILS8_4ELb0ES6_15HIP_vector_typeIjLj2EENS0_17counting_iteratorIjlEEPS9_SG_NS0_5tupleIJPjSI_NS0_16reverse_iteratorISI_EEEEENSH_IJSG_SG_SG_EEES9_SI_JZNS1_25segmented_radix_sort_implINS0_14default_configELb1EPKdPdPKlPlN2at6native12_GLOBAL__N_18offset_tEEE10hipError_tPvRmT1_PNSt15iterator_traitsIS12_E10value_typeET2_T3_PNS13_IS18_E10value_typeET4_jRbjT5_S1E_jjP12ihipStream_tbEUljE_ZNSN_ISO_Lb1ESQ_SR_ST_SU_SY_EESZ_S10_S11_S12_S16_S17_S18_S1B_S1C_jS1D_jS1E_S1E_jjS1G_bEUljE0_EEESZ_S10_S11_S18_S1C_S1E_T6_T7_T9_mT8_S1G_bDpT10_ENKUlT_T0_E_clISt17integral_constantIbLb0EES1T_IbLb1EEEEDaS1P_S1Q_EUlS1P_E_NS1_11comp_targetILNS1_3genE3ELNS1_11target_archE908ELNS1_3gpuE7ELNS1_3repE0EEENS1_30default_config_static_selectorELNS0_4arch9wavefront6targetE1EEEvS12_,@function
_ZN7rocprim17ROCPRIM_400000_NS6detail17trampoline_kernelINS0_13select_configILj256ELj13ELNS0_17block_load_methodE3ELS4_3ELS4_3ELNS0_20block_scan_algorithmE0ELj4294967295EEENS1_25partition_config_selectorILNS1_17partition_subalgoE4EjNS0_10empty_typeEbEEZZNS1_14partition_implILS8_4ELb0ES6_15HIP_vector_typeIjLj2EENS0_17counting_iteratorIjlEEPS9_SG_NS0_5tupleIJPjSI_NS0_16reverse_iteratorISI_EEEEENSH_IJSG_SG_SG_EEES9_SI_JZNS1_25segmented_radix_sort_implINS0_14default_configELb1EPKdPdPKlPlN2at6native12_GLOBAL__N_18offset_tEEE10hipError_tPvRmT1_PNSt15iterator_traitsIS12_E10value_typeET2_T3_PNS13_IS18_E10value_typeET4_jRbjT5_S1E_jjP12ihipStream_tbEUljE_ZNSN_ISO_Lb1ESQ_SR_ST_SU_SY_EESZ_S10_S11_S12_S16_S17_S18_S1B_S1C_jS1D_jS1E_S1E_jjS1G_bEUljE0_EEESZ_S10_S11_S18_S1C_S1E_T6_T7_T9_mT8_S1G_bDpT10_ENKUlT_T0_E_clISt17integral_constantIbLb0EES1T_IbLb1EEEEDaS1P_S1Q_EUlS1P_E_NS1_11comp_targetILNS1_3genE3ELNS1_11target_archE908ELNS1_3gpuE7ELNS1_3repE0EEENS1_30default_config_static_selectorELNS0_4arch9wavefront6targetE1EEEvS12_: ; @_ZN7rocprim17ROCPRIM_400000_NS6detail17trampoline_kernelINS0_13select_configILj256ELj13ELNS0_17block_load_methodE3ELS4_3ELS4_3ELNS0_20block_scan_algorithmE0ELj4294967295EEENS1_25partition_config_selectorILNS1_17partition_subalgoE4EjNS0_10empty_typeEbEEZZNS1_14partition_implILS8_4ELb0ES6_15HIP_vector_typeIjLj2EENS0_17counting_iteratorIjlEEPS9_SG_NS0_5tupleIJPjSI_NS0_16reverse_iteratorISI_EEEEENSH_IJSG_SG_SG_EEES9_SI_JZNS1_25segmented_radix_sort_implINS0_14default_configELb1EPKdPdPKlPlN2at6native12_GLOBAL__N_18offset_tEEE10hipError_tPvRmT1_PNSt15iterator_traitsIS12_E10value_typeET2_T3_PNS13_IS18_E10value_typeET4_jRbjT5_S1E_jjP12ihipStream_tbEUljE_ZNSN_ISO_Lb1ESQ_SR_ST_SU_SY_EESZ_S10_S11_S12_S16_S17_S18_S1B_S1C_jS1D_jS1E_S1E_jjS1G_bEUljE0_EEESZ_S10_S11_S18_S1C_S1E_T6_T7_T9_mT8_S1G_bDpT10_ENKUlT_T0_E_clISt17integral_constantIbLb0EES1T_IbLb1EEEEDaS1P_S1Q_EUlS1P_E_NS1_11comp_targetILNS1_3genE3ELNS1_11target_archE908ELNS1_3gpuE7ELNS1_3repE0EEENS1_30default_config_static_selectorELNS0_4arch9wavefront6targetE1EEEvS12_
; %bb.0:
	.section	.rodata,"a",@progbits
	.p2align	6, 0x0
	.amdhsa_kernel _ZN7rocprim17ROCPRIM_400000_NS6detail17trampoline_kernelINS0_13select_configILj256ELj13ELNS0_17block_load_methodE3ELS4_3ELS4_3ELNS0_20block_scan_algorithmE0ELj4294967295EEENS1_25partition_config_selectorILNS1_17partition_subalgoE4EjNS0_10empty_typeEbEEZZNS1_14partition_implILS8_4ELb0ES6_15HIP_vector_typeIjLj2EENS0_17counting_iteratorIjlEEPS9_SG_NS0_5tupleIJPjSI_NS0_16reverse_iteratorISI_EEEEENSH_IJSG_SG_SG_EEES9_SI_JZNS1_25segmented_radix_sort_implINS0_14default_configELb1EPKdPdPKlPlN2at6native12_GLOBAL__N_18offset_tEEE10hipError_tPvRmT1_PNSt15iterator_traitsIS12_E10value_typeET2_T3_PNS13_IS18_E10value_typeET4_jRbjT5_S1E_jjP12ihipStream_tbEUljE_ZNSN_ISO_Lb1ESQ_SR_ST_SU_SY_EESZ_S10_S11_S12_S16_S17_S18_S1B_S1C_jS1D_jS1E_S1E_jjS1G_bEUljE0_EEESZ_S10_S11_S18_S1C_S1E_T6_T7_T9_mT8_S1G_bDpT10_ENKUlT_T0_E_clISt17integral_constantIbLb0EES1T_IbLb1EEEEDaS1P_S1Q_EUlS1P_E_NS1_11comp_targetILNS1_3genE3ELNS1_11target_archE908ELNS1_3gpuE7ELNS1_3repE0EEENS1_30default_config_static_selectorELNS0_4arch9wavefront6targetE1EEEvS12_
		.amdhsa_group_segment_fixed_size 0
		.amdhsa_private_segment_fixed_size 0
		.amdhsa_kernarg_size 184
		.amdhsa_user_sgpr_count 6
		.amdhsa_user_sgpr_private_segment_buffer 1
		.amdhsa_user_sgpr_dispatch_ptr 0
		.amdhsa_user_sgpr_queue_ptr 0
		.amdhsa_user_sgpr_kernarg_segment_ptr 1
		.amdhsa_user_sgpr_dispatch_id 0
		.amdhsa_user_sgpr_flat_scratch_init 0
		.amdhsa_user_sgpr_kernarg_preload_length 0
		.amdhsa_user_sgpr_kernarg_preload_offset 0
		.amdhsa_user_sgpr_private_segment_size 0
		.amdhsa_uses_dynamic_stack 0
		.amdhsa_system_sgpr_private_segment_wavefront_offset 0
		.amdhsa_system_sgpr_workgroup_id_x 1
		.amdhsa_system_sgpr_workgroup_id_y 0
		.amdhsa_system_sgpr_workgroup_id_z 0
		.amdhsa_system_sgpr_workgroup_info 0
		.amdhsa_system_vgpr_workitem_id 0
		.amdhsa_next_free_vgpr 1
		.amdhsa_next_free_sgpr 0
		.amdhsa_accum_offset 4
		.amdhsa_reserve_vcc 0
		.amdhsa_reserve_flat_scratch 0
		.amdhsa_float_round_mode_32 0
		.amdhsa_float_round_mode_16_64 0
		.amdhsa_float_denorm_mode_32 3
		.amdhsa_float_denorm_mode_16_64 3
		.amdhsa_dx10_clamp 1
		.amdhsa_ieee_mode 1
		.amdhsa_fp16_overflow 0
		.amdhsa_tg_split 0
		.amdhsa_exception_fp_ieee_invalid_op 0
		.amdhsa_exception_fp_denorm_src 0
		.amdhsa_exception_fp_ieee_div_zero 0
		.amdhsa_exception_fp_ieee_overflow 0
		.amdhsa_exception_fp_ieee_underflow 0
		.amdhsa_exception_fp_ieee_inexact 0
		.amdhsa_exception_int_div_zero 0
	.end_amdhsa_kernel
	.section	.text._ZN7rocprim17ROCPRIM_400000_NS6detail17trampoline_kernelINS0_13select_configILj256ELj13ELNS0_17block_load_methodE3ELS4_3ELS4_3ELNS0_20block_scan_algorithmE0ELj4294967295EEENS1_25partition_config_selectorILNS1_17partition_subalgoE4EjNS0_10empty_typeEbEEZZNS1_14partition_implILS8_4ELb0ES6_15HIP_vector_typeIjLj2EENS0_17counting_iteratorIjlEEPS9_SG_NS0_5tupleIJPjSI_NS0_16reverse_iteratorISI_EEEEENSH_IJSG_SG_SG_EEES9_SI_JZNS1_25segmented_radix_sort_implINS0_14default_configELb1EPKdPdPKlPlN2at6native12_GLOBAL__N_18offset_tEEE10hipError_tPvRmT1_PNSt15iterator_traitsIS12_E10value_typeET2_T3_PNS13_IS18_E10value_typeET4_jRbjT5_S1E_jjP12ihipStream_tbEUljE_ZNSN_ISO_Lb1ESQ_SR_ST_SU_SY_EESZ_S10_S11_S12_S16_S17_S18_S1B_S1C_jS1D_jS1E_S1E_jjS1G_bEUljE0_EEESZ_S10_S11_S18_S1C_S1E_T6_T7_T9_mT8_S1G_bDpT10_ENKUlT_T0_E_clISt17integral_constantIbLb0EES1T_IbLb1EEEEDaS1P_S1Q_EUlS1P_E_NS1_11comp_targetILNS1_3genE3ELNS1_11target_archE908ELNS1_3gpuE7ELNS1_3repE0EEENS1_30default_config_static_selectorELNS0_4arch9wavefront6targetE1EEEvS12_,"axG",@progbits,_ZN7rocprim17ROCPRIM_400000_NS6detail17trampoline_kernelINS0_13select_configILj256ELj13ELNS0_17block_load_methodE3ELS4_3ELS4_3ELNS0_20block_scan_algorithmE0ELj4294967295EEENS1_25partition_config_selectorILNS1_17partition_subalgoE4EjNS0_10empty_typeEbEEZZNS1_14partition_implILS8_4ELb0ES6_15HIP_vector_typeIjLj2EENS0_17counting_iteratorIjlEEPS9_SG_NS0_5tupleIJPjSI_NS0_16reverse_iteratorISI_EEEEENSH_IJSG_SG_SG_EEES9_SI_JZNS1_25segmented_radix_sort_implINS0_14default_configELb1EPKdPdPKlPlN2at6native12_GLOBAL__N_18offset_tEEE10hipError_tPvRmT1_PNSt15iterator_traitsIS12_E10value_typeET2_T3_PNS13_IS18_E10value_typeET4_jRbjT5_S1E_jjP12ihipStream_tbEUljE_ZNSN_ISO_Lb1ESQ_SR_ST_SU_SY_EESZ_S10_S11_S12_S16_S17_S18_S1B_S1C_jS1D_jS1E_S1E_jjS1G_bEUljE0_EEESZ_S10_S11_S18_S1C_S1E_T6_T7_T9_mT8_S1G_bDpT10_ENKUlT_T0_E_clISt17integral_constantIbLb0EES1T_IbLb1EEEEDaS1P_S1Q_EUlS1P_E_NS1_11comp_targetILNS1_3genE3ELNS1_11target_archE908ELNS1_3gpuE7ELNS1_3repE0EEENS1_30default_config_static_selectorELNS0_4arch9wavefront6targetE1EEEvS12_,comdat
.Lfunc_end1079:
	.size	_ZN7rocprim17ROCPRIM_400000_NS6detail17trampoline_kernelINS0_13select_configILj256ELj13ELNS0_17block_load_methodE3ELS4_3ELS4_3ELNS0_20block_scan_algorithmE0ELj4294967295EEENS1_25partition_config_selectorILNS1_17partition_subalgoE4EjNS0_10empty_typeEbEEZZNS1_14partition_implILS8_4ELb0ES6_15HIP_vector_typeIjLj2EENS0_17counting_iteratorIjlEEPS9_SG_NS0_5tupleIJPjSI_NS0_16reverse_iteratorISI_EEEEENSH_IJSG_SG_SG_EEES9_SI_JZNS1_25segmented_radix_sort_implINS0_14default_configELb1EPKdPdPKlPlN2at6native12_GLOBAL__N_18offset_tEEE10hipError_tPvRmT1_PNSt15iterator_traitsIS12_E10value_typeET2_T3_PNS13_IS18_E10value_typeET4_jRbjT5_S1E_jjP12ihipStream_tbEUljE_ZNSN_ISO_Lb1ESQ_SR_ST_SU_SY_EESZ_S10_S11_S12_S16_S17_S18_S1B_S1C_jS1D_jS1E_S1E_jjS1G_bEUljE0_EEESZ_S10_S11_S18_S1C_S1E_T6_T7_T9_mT8_S1G_bDpT10_ENKUlT_T0_E_clISt17integral_constantIbLb0EES1T_IbLb1EEEEDaS1P_S1Q_EUlS1P_E_NS1_11comp_targetILNS1_3genE3ELNS1_11target_archE908ELNS1_3gpuE7ELNS1_3repE0EEENS1_30default_config_static_selectorELNS0_4arch9wavefront6targetE1EEEvS12_, .Lfunc_end1079-_ZN7rocprim17ROCPRIM_400000_NS6detail17trampoline_kernelINS0_13select_configILj256ELj13ELNS0_17block_load_methodE3ELS4_3ELS4_3ELNS0_20block_scan_algorithmE0ELj4294967295EEENS1_25partition_config_selectorILNS1_17partition_subalgoE4EjNS0_10empty_typeEbEEZZNS1_14partition_implILS8_4ELb0ES6_15HIP_vector_typeIjLj2EENS0_17counting_iteratorIjlEEPS9_SG_NS0_5tupleIJPjSI_NS0_16reverse_iteratorISI_EEEEENSH_IJSG_SG_SG_EEES9_SI_JZNS1_25segmented_radix_sort_implINS0_14default_configELb1EPKdPdPKlPlN2at6native12_GLOBAL__N_18offset_tEEE10hipError_tPvRmT1_PNSt15iterator_traitsIS12_E10value_typeET2_T3_PNS13_IS18_E10value_typeET4_jRbjT5_S1E_jjP12ihipStream_tbEUljE_ZNSN_ISO_Lb1ESQ_SR_ST_SU_SY_EESZ_S10_S11_S12_S16_S17_S18_S1B_S1C_jS1D_jS1E_S1E_jjS1G_bEUljE0_EEESZ_S10_S11_S18_S1C_S1E_T6_T7_T9_mT8_S1G_bDpT10_ENKUlT_T0_E_clISt17integral_constantIbLb0EES1T_IbLb1EEEEDaS1P_S1Q_EUlS1P_E_NS1_11comp_targetILNS1_3genE3ELNS1_11target_archE908ELNS1_3gpuE7ELNS1_3repE0EEENS1_30default_config_static_selectorELNS0_4arch9wavefront6targetE1EEEvS12_
                                        ; -- End function
	.section	.AMDGPU.csdata,"",@progbits
; Kernel info:
; codeLenInByte = 0
; NumSgprs: 4
; NumVgprs: 0
; NumAgprs: 0
; TotalNumVgprs: 0
; ScratchSize: 0
; MemoryBound: 0
; FloatMode: 240
; IeeeMode: 1
; LDSByteSize: 0 bytes/workgroup (compile time only)
; SGPRBlocks: 0
; VGPRBlocks: 0
; NumSGPRsForWavesPerEU: 4
; NumVGPRsForWavesPerEU: 1
; AccumOffset: 4
; Occupancy: 8
; WaveLimiterHint : 0
; COMPUTE_PGM_RSRC2:SCRATCH_EN: 0
; COMPUTE_PGM_RSRC2:USER_SGPR: 6
; COMPUTE_PGM_RSRC2:TRAP_HANDLER: 0
; COMPUTE_PGM_RSRC2:TGID_X_EN: 1
; COMPUTE_PGM_RSRC2:TGID_Y_EN: 0
; COMPUTE_PGM_RSRC2:TGID_Z_EN: 0
; COMPUTE_PGM_RSRC2:TIDIG_COMP_CNT: 0
; COMPUTE_PGM_RSRC3_GFX90A:ACCUM_OFFSET: 0
; COMPUTE_PGM_RSRC3_GFX90A:TG_SPLIT: 0
	.section	.text._ZN7rocprim17ROCPRIM_400000_NS6detail17trampoline_kernelINS0_13select_configILj256ELj13ELNS0_17block_load_methodE3ELS4_3ELS4_3ELNS0_20block_scan_algorithmE0ELj4294967295EEENS1_25partition_config_selectorILNS1_17partition_subalgoE4EjNS0_10empty_typeEbEEZZNS1_14partition_implILS8_4ELb0ES6_15HIP_vector_typeIjLj2EENS0_17counting_iteratorIjlEEPS9_SG_NS0_5tupleIJPjSI_NS0_16reverse_iteratorISI_EEEEENSH_IJSG_SG_SG_EEES9_SI_JZNS1_25segmented_radix_sort_implINS0_14default_configELb1EPKdPdPKlPlN2at6native12_GLOBAL__N_18offset_tEEE10hipError_tPvRmT1_PNSt15iterator_traitsIS12_E10value_typeET2_T3_PNS13_IS18_E10value_typeET4_jRbjT5_S1E_jjP12ihipStream_tbEUljE_ZNSN_ISO_Lb1ESQ_SR_ST_SU_SY_EESZ_S10_S11_S12_S16_S17_S18_S1B_S1C_jS1D_jS1E_S1E_jjS1G_bEUljE0_EEESZ_S10_S11_S18_S1C_S1E_T6_T7_T9_mT8_S1G_bDpT10_ENKUlT_T0_E_clISt17integral_constantIbLb0EES1T_IbLb1EEEEDaS1P_S1Q_EUlS1P_E_NS1_11comp_targetILNS1_3genE2ELNS1_11target_archE906ELNS1_3gpuE6ELNS1_3repE0EEENS1_30default_config_static_selectorELNS0_4arch9wavefront6targetE1EEEvS12_,"axG",@progbits,_ZN7rocprim17ROCPRIM_400000_NS6detail17trampoline_kernelINS0_13select_configILj256ELj13ELNS0_17block_load_methodE3ELS4_3ELS4_3ELNS0_20block_scan_algorithmE0ELj4294967295EEENS1_25partition_config_selectorILNS1_17partition_subalgoE4EjNS0_10empty_typeEbEEZZNS1_14partition_implILS8_4ELb0ES6_15HIP_vector_typeIjLj2EENS0_17counting_iteratorIjlEEPS9_SG_NS0_5tupleIJPjSI_NS0_16reverse_iteratorISI_EEEEENSH_IJSG_SG_SG_EEES9_SI_JZNS1_25segmented_radix_sort_implINS0_14default_configELb1EPKdPdPKlPlN2at6native12_GLOBAL__N_18offset_tEEE10hipError_tPvRmT1_PNSt15iterator_traitsIS12_E10value_typeET2_T3_PNS13_IS18_E10value_typeET4_jRbjT5_S1E_jjP12ihipStream_tbEUljE_ZNSN_ISO_Lb1ESQ_SR_ST_SU_SY_EESZ_S10_S11_S12_S16_S17_S18_S1B_S1C_jS1D_jS1E_S1E_jjS1G_bEUljE0_EEESZ_S10_S11_S18_S1C_S1E_T6_T7_T9_mT8_S1G_bDpT10_ENKUlT_T0_E_clISt17integral_constantIbLb0EES1T_IbLb1EEEEDaS1P_S1Q_EUlS1P_E_NS1_11comp_targetILNS1_3genE2ELNS1_11target_archE906ELNS1_3gpuE6ELNS1_3repE0EEENS1_30default_config_static_selectorELNS0_4arch9wavefront6targetE1EEEvS12_,comdat
	.globl	_ZN7rocprim17ROCPRIM_400000_NS6detail17trampoline_kernelINS0_13select_configILj256ELj13ELNS0_17block_load_methodE3ELS4_3ELS4_3ELNS0_20block_scan_algorithmE0ELj4294967295EEENS1_25partition_config_selectorILNS1_17partition_subalgoE4EjNS0_10empty_typeEbEEZZNS1_14partition_implILS8_4ELb0ES6_15HIP_vector_typeIjLj2EENS0_17counting_iteratorIjlEEPS9_SG_NS0_5tupleIJPjSI_NS0_16reverse_iteratorISI_EEEEENSH_IJSG_SG_SG_EEES9_SI_JZNS1_25segmented_radix_sort_implINS0_14default_configELb1EPKdPdPKlPlN2at6native12_GLOBAL__N_18offset_tEEE10hipError_tPvRmT1_PNSt15iterator_traitsIS12_E10value_typeET2_T3_PNS13_IS18_E10value_typeET4_jRbjT5_S1E_jjP12ihipStream_tbEUljE_ZNSN_ISO_Lb1ESQ_SR_ST_SU_SY_EESZ_S10_S11_S12_S16_S17_S18_S1B_S1C_jS1D_jS1E_S1E_jjS1G_bEUljE0_EEESZ_S10_S11_S18_S1C_S1E_T6_T7_T9_mT8_S1G_bDpT10_ENKUlT_T0_E_clISt17integral_constantIbLb0EES1T_IbLb1EEEEDaS1P_S1Q_EUlS1P_E_NS1_11comp_targetILNS1_3genE2ELNS1_11target_archE906ELNS1_3gpuE6ELNS1_3repE0EEENS1_30default_config_static_selectorELNS0_4arch9wavefront6targetE1EEEvS12_ ; -- Begin function _ZN7rocprim17ROCPRIM_400000_NS6detail17trampoline_kernelINS0_13select_configILj256ELj13ELNS0_17block_load_methodE3ELS4_3ELS4_3ELNS0_20block_scan_algorithmE0ELj4294967295EEENS1_25partition_config_selectorILNS1_17partition_subalgoE4EjNS0_10empty_typeEbEEZZNS1_14partition_implILS8_4ELb0ES6_15HIP_vector_typeIjLj2EENS0_17counting_iteratorIjlEEPS9_SG_NS0_5tupleIJPjSI_NS0_16reverse_iteratorISI_EEEEENSH_IJSG_SG_SG_EEES9_SI_JZNS1_25segmented_radix_sort_implINS0_14default_configELb1EPKdPdPKlPlN2at6native12_GLOBAL__N_18offset_tEEE10hipError_tPvRmT1_PNSt15iterator_traitsIS12_E10value_typeET2_T3_PNS13_IS18_E10value_typeET4_jRbjT5_S1E_jjP12ihipStream_tbEUljE_ZNSN_ISO_Lb1ESQ_SR_ST_SU_SY_EESZ_S10_S11_S12_S16_S17_S18_S1B_S1C_jS1D_jS1E_S1E_jjS1G_bEUljE0_EEESZ_S10_S11_S18_S1C_S1E_T6_T7_T9_mT8_S1G_bDpT10_ENKUlT_T0_E_clISt17integral_constantIbLb0EES1T_IbLb1EEEEDaS1P_S1Q_EUlS1P_E_NS1_11comp_targetILNS1_3genE2ELNS1_11target_archE906ELNS1_3gpuE6ELNS1_3repE0EEENS1_30default_config_static_selectorELNS0_4arch9wavefront6targetE1EEEvS12_
	.p2align	8
	.type	_ZN7rocprim17ROCPRIM_400000_NS6detail17trampoline_kernelINS0_13select_configILj256ELj13ELNS0_17block_load_methodE3ELS4_3ELS4_3ELNS0_20block_scan_algorithmE0ELj4294967295EEENS1_25partition_config_selectorILNS1_17partition_subalgoE4EjNS0_10empty_typeEbEEZZNS1_14partition_implILS8_4ELb0ES6_15HIP_vector_typeIjLj2EENS0_17counting_iteratorIjlEEPS9_SG_NS0_5tupleIJPjSI_NS0_16reverse_iteratorISI_EEEEENSH_IJSG_SG_SG_EEES9_SI_JZNS1_25segmented_radix_sort_implINS0_14default_configELb1EPKdPdPKlPlN2at6native12_GLOBAL__N_18offset_tEEE10hipError_tPvRmT1_PNSt15iterator_traitsIS12_E10value_typeET2_T3_PNS13_IS18_E10value_typeET4_jRbjT5_S1E_jjP12ihipStream_tbEUljE_ZNSN_ISO_Lb1ESQ_SR_ST_SU_SY_EESZ_S10_S11_S12_S16_S17_S18_S1B_S1C_jS1D_jS1E_S1E_jjS1G_bEUljE0_EEESZ_S10_S11_S18_S1C_S1E_T6_T7_T9_mT8_S1G_bDpT10_ENKUlT_T0_E_clISt17integral_constantIbLb0EES1T_IbLb1EEEEDaS1P_S1Q_EUlS1P_E_NS1_11comp_targetILNS1_3genE2ELNS1_11target_archE906ELNS1_3gpuE6ELNS1_3repE0EEENS1_30default_config_static_selectorELNS0_4arch9wavefront6targetE1EEEvS12_,@function
_ZN7rocprim17ROCPRIM_400000_NS6detail17trampoline_kernelINS0_13select_configILj256ELj13ELNS0_17block_load_methodE3ELS4_3ELS4_3ELNS0_20block_scan_algorithmE0ELj4294967295EEENS1_25partition_config_selectorILNS1_17partition_subalgoE4EjNS0_10empty_typeEbEEZZNS1_14partition_implILS8_4ELb0ES6_15HIP_vector_typeIjLj2EENS0_17counting_iteratorIjlEEPS9_SG_NS0_5tupleIJPjSI_NS0_16reverse_iteratorISI_EEEEENSH_IJSG_SG_SG_EEES9_SI_JZNS1_25segmented_radix_sort_implINS0_14default_configELb1EPKdPdPKlPlN2at6native12_GLOBAL__N_18offset_tEEE10hipError_tPvRmT1_PNSt15iterator_traitsIS12_E10value_typeET2_T3_PNS13_IS18_E10value_typeET4_jRbjT5_S1E_jjP12ihipStream_tbEUljE_ZNSN_ISO_Lb1ESQ_SR_ST_SU_SY_EESZ_S10_S11_S12_S16_S17_S18_S1B_S1C_jS1D_jS1E_S1E_jjS1G_bEUljE0_EEESZ_S10_S11_S18_S1C_S1E_T6_T7_T9_mT8_S1G_bDpT10_ENKUlT_T0_E_clISt17integral_constantIbLb0EES1T_IbLb1EEEEDaS1P_S1Q_EUlS1P_E_NS1_11comp_targetILNS1_3genE2ELNS1_11target_archE906ELNS1_3gpuE6ELNS1_3repE0EEENS1_30default_config_static_selectorELNS0_4arch9wavefront6targetE1EEEvS12_: ; @_ZN7rocprim17ROCPRIM_400000_NS6detail17trampoline_kernelINS0_13select_configILj256ELj13ELNS0_17block_load_methodE3ELS4_3ELS4_3ELNS0_20block_scan_algorithmE0ELj4294967295EEENS1_25partition_config_selectorILNS1_17partition_subalgoE4EjNS0_10empty_typeEbEEZZNS1_14partition_implILS8_4ELb0ES6_15HIP_vector_typeIjLj2EENS0_17counting_iteratorIjlEEPS9_SG_NS0_5tupleIJPjSI_NS0_16reverse_iteratorISI_EEEEENSH_IJSG_SG_SG_EEES9_SI_JZNS1_25segmented_radix_sort_implINS0_14default_configELb1EPKdPdPKlPlN2at6native12_GLOBAL__N_18offset_tEEE10hipError_tPvRmT1_PNSt15iterator_traitsIS12_E10value_typeET2_T3_PNS13_IS18_E10value_typeET4_jRbjT5_S1E_jjP12ihipStream_tbEUljE_ZNSN_ISO_Lb1ESQ_SR_ST_SU_SY_EESZ_S10_S11_S12_S16_S17_S18_S1B_S1C_jS1D_jS1E_S1E_jjS1G_bEUljE0_EEESZ_S10_S11_S18_S1C_S1E_T6_T7_T9_mT8_S1G_bDpT10_ENKUlT_T0_E_clISt17integral_constantIbLb0EES1T_IbLb1EEEEDaS1P_S1Q_EUlS1P_E_NS1_11comp_targetILNS1_3genE2ELNS1_11target_archE906ELNS1_3gpuE6ELNS1_3repE0EEENS1_30default_config_static_selectorELNS0_4arch9wavefront6targetE1EEEvS12_
; %bb.0:
	.section	.rodata,"a",@progbits
	.p2align	6, 0x0
	.amdhsa_kernel _ZN7rocprim17ROCPRIM_400000_NS6detail17trampoline_kernelINS0_13select_configILj256ELj13ELNS0_17block_load_methodE3ELS4_3ELS4_3ELNS0_20block_scan_algorithmE0ELj4294967295EEENS1_25partition_config_selectorILNS1_17partition_subalgoE4EjNS0_10empty_typeEbEEZZNS1_14partition_implILS8_4ELb0ES6_15HIP_vector_typeIjLj2EENS0_17counting_iteratorIjlEEPS9_SG_NS0_5tupleIJPjSI_NS0_16reverse_iteratorISI_EEEEENSH_IJSG_SG_SG_EEES9_SI_JZNS1_25segmented_radix_sort_implINS0_14default_configELb1EPKdPdPKlPlN2at6native12_GLOBAL__N_18offset_tEEE10hipError_tPvRmT1_PNSt15iterator_traitsIS12_E10value_typeET2_T3_PNS13_IS18_E10value_typeET4_jRbjT5_S1E_jjP12ihipStream_tbEUljE_ZNSN_ISO_Lb1ESQ_SR_ST_SU_SY_EESZ_S10_S11_S12_S16_S17_S18_S1B_S1C_jS1D_jS1E_S1E_jjS1G_bEUljE0_EEESZ_S10_S11_S18_S1C_S1E_T6_T7_T9_mT8_S1G_bDpT10_ENKUlT_T0_E_clISt17integral_constantIbLb0EES1T_IbLb1EEEEDaS1P_S1Q_EUlS1P_E_NS1_11comp_targetILNS1_3genE2ELNS1_11target_archE906ELNS1_3gpuE6ELNS1_3repE0EEENS1_30default_config_static_selectorELNS0_4arch9wavefront6targetE1EEEvS12_
		.amdhsa_group_segment_fixed_size 0
		.amdhsa_private_segment_fixed_size 0
		.amdhsa_kernarg_size 184
		.amdhsa_user_sgpr_count 6
		.amdhsa_user_sgpr_private_segment_buffer 1
		.amdhsa_user_sgpr_dispatch_ptr 0
		.amdhsa_user_sgpr_queue_ptr 0
		.amdhsa_user_sgpr_kernarg_segment_ptr 1
		.amdhsa_user_sgpr_dispatch_id 0
		.amdhsa_user_sgpr_flat_scratch_init 0
		.amdhsa_user_sgpr_kernarg_preload_length 0
		.amdhsa_user_sgpr_kernarg_preload_offset 0
		.amdhsa_user_sgpr_private_segment_size 0
		.amdhsa_uses_dynamic_stack 0
		.amdhsa_system_sgpr_private_segment_wavefront_offset 0
		.amdhsa_system_sgpr_workgroup_id_x 1
		.amdhsa_system_sgpr_workgroup_id_y 0
		.amdhsa_system_sgpr_workgroup_id_z 0
		.amdhsa_system_sgpr_workgroup_info 0
		.amdhsa_system_vgpr_workitem_id 0
		.amdhsa_next_free_vgpr 1
		.amdhsa_next_free_sgpr 0
		.amdhsa_accum_offset 4
		.amdhsa_reserve_vcc 0
		.amdhsa_reserve_flat_scratch 0
		.amdhsa_float_round_mode_32 0
		.amdhsa_float_round_mode_16_64 0
		.amdhsa_float_denorm_mode_32 3
		.amdhsa_float_denorm_mode_16_64 3
		.amdhsa_dx10_clamp 1
		.amdhsa_ieee_mode 1
		.amdhsa_fp16_overflow 0
		.amdhsa_tg_split 0
		.amdhsa_exception_fp_ieee_invalid_op 0
		.amdhsa_exception_fp_denorm_src 0
		.amdhsa_exception_fp_ieee_div_zero 0
		.amdhsa_exception_fp_ieee_overflow 0
		.amdhsa_exception_fp_ieee_underflow 0
		.amdhsa_exception_fp_ieee_inexact 0
		.amdhsa_exception_int_div_zero 0
	.end_amdhsa_kernel
	.section	.text._ZN7rocprim17ROCPRIM_400000_NS6detail17trampoline_kernelINS0_13select_configILj256ELj13ELNS0_17block_load_methodE3ELS4_3ELS4_3ELNS0_20block_scan_algorithmE0ELj4294967295EEENS1_25partition_config_selectorILNS1_17partition_subalgoE4EjNS0_10empty_typeEbEEZZNS1_14partition_implILS8_4ELb0ES6_15HIP_vector_typeIjLj2EENS0_17counting_iteratorIjlEEPS9_SG_NS0_5tupleIJPjSI_NS0_16reverse_iteratorISI_EEEEENSH_IJSG_SG_SG_EEES9_SI_JZNS1_25segmented_radix_sort_implINS0_14default_configELb1EPKdPdPKlPlN2at6native12_GLOBAL__N_18offset_tEEE10hipError_tPvRmT1_PNSt15iterator_traitsIS12_E10value_typeET2_T3_PNS13_IS18_E10value_typeET4_jRbjT5_S1E_jjP12ihipStream_tbEUljE_ZNSN_ISO_Lb1ESQ_SR_ST_SU_SY_EESZ_S10_S11_S12_S16_S17_S18_S1B_S1C_jS1D_jS1E_S1E_jjS1G_bEUljE0_EEESZ_S10_S11_S18_S1C_S1E_T6_T7_T9_mT8_S1G_bDpT10_ENKUlT_T0_E_clISt17integral_constantIbLb0EES1T_IbLb1EEEEDaS1P_S1Q_EUlS1P_E_NS1_11comp_targetILNS1_3genE2ELNS1_11target_archE906ELNS1_3gpuE6ELNS1_3repE0EEENS1_30default_config_static_selectorELNS0_4arch9wavefront6targetE1EEEvS12_,"axG",@progbits,_ZN7rocprim17ROCPRIM_400000_NS6detail17trampoline_kernelINS0_13select_configILj256ELj13ELNS0_17block_load_methodE3ELS4_3ELS4_3ELNS0_20block_scan_algorithmE0ELj4294967295EEENS1_25partition_config_selectorILNS1_17partition_subalgoE4EjNS0_10empty_typeEbEEZZNS1_14partition_implILS8_4ELb0ES6_15HIP_vector_typeIjLj2EENS0_17counting_iteratorIjlEEPS9_SG_NS0_5tupleIJPjSI_NS0_16reverse_iteratorISI_EEEEENSH_IJSG_SG_SG_EEES9_SI_JZNS1_25segmented_radix_sort_implINS0_14default_configELb1EPKdPdPKlPlN2at6native12_GLOBAL__N_18offset_tEEE10hipError_tPvRmT1_PNSt15iterator_traitsIS12_E10value_typeET2_T3_PNS13_IS18_E10value_typeET4_jRbjT5_S1E_jjP12ihipStream_tbEUljE_ZNSN_ISO_Lb1ESQ_SR_ST_SU_SY_EESZ_S10_S11_S12_S16_S17_S18_S1B_S1C_jS1D_jS1E_S1E_jjS1G_bEUljE0_EEESZ_S10_S11_S18_S1C_S1E_T6_T7_T9_mT8_S1G_bDpT10_ENKUlT_T0_E_clISt17integral_constantIbLb0EES1T_IbLb1EEEEDaS1P_S1Q_EUlS1P_E_NS1_11comp_targetILNS1_3genE2ELNS1_11target_archE906ELNS1_3gpuE6ELNS1_3repE0EEENS1_30default_config_static_selectorELNS0_4arch9wavefront6targetE1EEEvS12_,comdat
.Lfunc_end1080:
	.size	_ZN7rocprim17ROCPRIM_400000_NS6detail17trampoline_kernelINS0_13select_configILj256ELj13ELNS0_17block_load_methodE3ELS4_3ELS4_3ELNS0_20block_scan_algorithmE0ELj4294967295EEENS1_25partition_config_selectorILNS1_17partition_subalgoE4EjNS0_10empty_typeEbEEZZNS1_14partition_implILS8_4ELb0ES6_15HIP_vector_typeIjLj2EENS0_17counting_iteratorIjlEEPS9_SG_NS0_5tupleIJPjSI_NS0_16reverse_iteratorISI_EEEEENSH_IJSG_SG_SG_EEES9_SI_JZNS1_25segmented_radix_sort_implINS0_14default_configELb1EPKdPdPKlPlN2at6native12_GLOBAL__N_18offset_tEEE10hipError_tPvRmT1_PNSt15iterator_traitsIS12_E10value_typeET2_T3_PNS13_IS18_E10value_typeET4_jRbjT5_S1E_jjP12ihipStream_tbEUljE_ZNSN_ISO_Lb1ESQ_SR_ST_SU_SY_EESZ_S10_S11_S12_S16_S17_S18_S1B_S1C_jS1D_jS1E_S1E_jjS1G_bEUljE0_EEESZ_S10_S11_S18_S1C_S1E_T6_T7_T9_mT8_S1G_bDpT10_ENKUlT_T0_E_clISt17integral_constantIbLb0EES1T_IbLb1EEEEDaS1P_S1Q_EUlS1P_E_NS1_11comp_targetILNS1_3genE2ELNS1_11target_archE906ELNS1_3gpuE6ELNS1_3repE0EEENS1_30default_config_static_selectorELNS0_4arch9wavefront6targetE1EEEvS12_, .Lfunc_end1080-_ZN7rocprim17ROCPRIM_400000_NS6detail17trampoline_kernelINS0_13select_configILj256ELj13ELNS0_17block_load_methodE3ELS4_3ELS4_3ELNS0_20block_scan_algorithmE0ELj4294967295EEENS1_25partition_config_selectorILNS1_17partition_subalgoE4EjNS0_10empty_typeEbEEZZNS1_14partition_implILS8_4ELb0ES6_15HIP_vector_typeIjLj2EENS0_17counting_iteratorIjlEEPS9_SG_NS0_5tupleIJPjSI_NS0_16reverse_iteratorISI_EEEEENSH_IJSG_SG_SG_EEES9_SI_JZNS1_25segmented_radix_sort_implINS0_14default_configELb1EPKdPdPKlPlN2at6native12_GLOBAL__N_18offset_tEEE10hipError_tPvRmT1_PNSt15iterator_traitsIS12_E10value_typeET2_T3_PNS13_IS18_E10value_typeET4_jRbjT5_S1E_jjP12ihipStream_tbEUljE_ZNSN_ISO_Lb1ESQ_SR_ST_SU_SY_EESZ_S10_S11_S12_S16_S17_S18_S1B_S1C_jS1D_jS1E_S1E_jjS1G_bEUljE0_EEESZ_S10_S11_S18_S1C_S1E_T6_T7_T9_mT8_S1G_bDpT10_ENKUlT_T0_E_clISt17integral_constantIbLb0EES1T_IbLb1EEEEDaS1P_S1Q_EUlS1P_E_NS1_11comp_targetILNS1_3genE2ELNS1_11target_archE906ELNS1_3gpuE6ELNS1_3repE0EEENS1_30default_config_static_selectorELNS0_4arch9wavefront6targetE1EEEvS12_
                                        ; -- End function
	.section	.AMDGPU.csdata,"",@progbits
; Kernel info:
; codeLenInByte = 0
; NumSgprs: 4
; NumVgprs: 0
; NumAgprs: 0
; TotalNumVgprs: 0
; ScratchSize: 0
; MemoryBound: 0
; FloatMode: 240
; IeeeMode: 1
; LDSByteSize: 0 bytes/workgroup (compile time only)
; SGPRBlocks: 0
; VGPRBlocks: 0
; NumSGPRsForWavesPerEU: 4
; NumVGPRsForWavesPerEU: 1
; AccumOffset: 4
; Occupancy: 8
; WaveLimiterHint : 0
; COMPUTE_PGM_RSRC2:SCRATCH_EN: 0
; COMPUTE_PGM_RSRC2:USER_SGPR: 6
; COMPUTE_PGM_RSRC2:TRAP_HANDLER: 0
; COMPUTE_PGM_RSRC2:TGID_X_EN: 1
; COMPUTE_PGM_RSRC2:TGID_Y_EN: 0
; COMPUTE_PGM_RSRC2:TGID_Z_EN: 0
; COMPUTE_PGM_RSRC2:TIDIG_COMP_CNT: 0
; COMPUTE_PGM_RSRC3_GFX90A:ACCUM_OFFSET: 0
; COMPUTE_PGM_RSRC3_GFX90A:TG_SPLIT: 0
	.section	.text._ZN7rocprim17ROCPRIM_400000_NS6detail17trampoline_kernelINS0_13select_configILj256ELj13ELNS0_17block_load_methodE3ELS4_3ELS4_3ELNS0_20block_scan_algorithmE0ELj4294967295EEENS1_25partition_config_selectorILNS1_17partition_subalgoE4EjNS0_10empty_typeEbEEZZNS1_14partition_implILS8_4ELb0ES6_15HIP_vector_typeIjLj2EENS0_17counting_iteratorIjlEEPS9_SG_NS0_5tupleIJPjSI_NS0_16reverse_iteratorISI_EEEEENSH_IJSG_SG_SG_EEES9_SI_JZNS1_25segmented_radix_sort_implINS0_14default_configELb1EPKdPdPKlPlN2at6native12_GLOBAL__N_18offset_tEEE10hipError_tPvRmT1_PNSt15iterator_traitsIS12_E10value_typeET2_T3_PNS13_IS18_E10value_typeET4_jRbjT5_S1E_jjP12ihipStream_tbEUljE_ZNSN_ISO_Lb1ESQ_SR_ST_SU_SY_EESZ_S10_S11_S12_S16_S17_S18_S1B_S1C_jS1D_jS1E_S1E_jjS1G_bEUljE0_EEESZ_S10_S11_S18_S1C_S1E_T6_T7_T9_mT8_S1G_bDpT10_ENKUlT_T0_E_clISt17integral_constantIbLb0EES1T_IbLb1EEEEDaS1P_S1Q_EUlS1P_E_NS1_11comp_targetILNS1_3genE10ELNS1_11target_archE1200ELNS1_3gpuE4ELNS1_3repE0EEENS1_30default_config_static_selectorELNS0_4arch9wavefront6targetE1EEEvS12_,"axG",@progbits,_ZN7rocprim17ROCPRIM_400000_NS6detail17trampoline_kernelINS0_13select_configILj256ELj13ELNS0_17block_load_methodE3ELS4_3ELS4_3ELNS0_20block_scan_algorithmE0ELj4294967295EEENS1_25partition_config_selectorILNS1_17partition_subalgoE4EjNS0_10empty_typeEbEEZZNS1_14partition_implILS8_4ELb0ES6_15HIP_vector_typeIjLj2EENS0_17counting_iteratorIjlEEPS9_SG_NS0_5tupleIJPjSI_NS0_16reverse_iteratorISI_EEEEENSH_IJSG_SG_SG_EEES9_SI_JZNS1_25segmented_radix_sort_implINS0_14default_configELb1EPKdPdPKlPlN2at6native12_GLOBAL__N_18offset_tEEE10hipError_tPvRmT1_PNSt15iterator_traitsIS12_E10value_typeET2_T3_PNS13_IS18_E10value_typeET4_jRbjT5_S1E_jjP12ihipStream_tbEUljE_ZNSN_ISO_Lb1ESQ_SR_ST_SU_SY_EESZ_S10_S11_S12_S16_S17_S18_S1B_S1C_jS1D_jS1E_S1E_jjS1G_bEUljE0_EEESZ_S10_S11_S18_S1C_S1E_T6_T7_T9_mT8_S1G_bDpT10_ENKUlT_T0_E_clISt17integral_constantIbLb0EES1T_IbLb1EEEEDaS1P_S1Q_EUlS1P_E_NS1_11comp_targetILNS1_3genE10ELNS1_11target_archE1200ELNS1_3gpuE4ELNS1_3repE0EEENS1_30default_config_static_selectorELNS0_4arch9wavefront6targetE1EEEvS12_,comdat
	.globl	_ZN7rocprim17ROCPRIM_400000_NS6detail17trampoline_kernelINS0_13select_configILj256ELj13ELNS0_17block_load_methodE3ELS4_3ELS4_3ELNS0_20block_scan_algorithmE0ELj4294967295EEENS1_25partition_config_selectorILNS1_17partition_subalgoE4EjNS0_10empty_typeEbEEZZNS1_14partition_implILS8_4ELb0ES6_15HIP_vector_typeIjLj2EENS0_17counting_iteratorIjlEEPS9_SG_NS0_5tupleIJPjSI_NS0_16reverse_iteratorISI_EEEEENSH_IJSG_SG_SG_EEES9_SI_JZNS1_25segmented_radix_sort_implINS0_14default_configELb1EPKdPdPKlPlN2at6native12_GLOBAL__N_18offset_tEEE10hipError_tPvRmT1_PNSt15iterator_traitsIS12_E10value_typeET2_T3_PNS13_IS18_E10value_typeET4_jRbjT5_S1E_jjP12ihipStream_tbEUljE_ZNSN_ISO_Lb1ESQ_SR_ST_SU_SY_EESZ_S10_S11_S12_S16_S17_S18_S1B_S1C_jS1D_jS1E_S1E_jjS1G_bEUljE0_EEESZ_S10_S11_S18_S1C_S1E_T6_T7_T9_mT8_S1G_bDpT10_ENKUlT_T0_E_clISt17integral_constantIbLb0EES1T_IbLb1EEEEDaS1P_S1Q_EUlS1P_E_NS1_11comp_targetILNS1_3genE10ELNS1_11target_archE1200ELNS1_3gpuE4ELNS1_3repE0EEENS1_30default_config_static_selectorELNS0_4arch9wavefront6targetE1EEEvS12_ ; -- Begin function _ZN7rocprim17ROCPRIM_400000_NS6detail17trampoline_kernelINS0_13select_configILj256ELj13ELNS0_17block_load_methodE3ELS4_3ELS4_3ELNS0_20block_scan_algorithmE0ELj4294967295EEENS1_25partition_config_selectorILNS1_17partition_subalgoE4EjNS0_10empty_typeEbEEZZNS1_14partition_implILS8_4ELb0ES6_15HIP_vector_typeIjLj2EENS0_17counting_iteratorIjlEEPS9_SG_NS0_5tupleIJPjSI_NS0_16reverse_iteratorISI_EEEEENSH_IJSG_SG_SG_EEES9_SI_JZNS1_25segmented_radix_sort_implINS0_14default_configELb1EPKdPdPKlPlN2at6native12_GLOBAL__N_18offset_tEEE10hipError_tPvRmT1_PNSt15iterator_traitsIS12_E10value_typeET2_T3_PNS13_IS18_E10value_typeET4_jRbjT5_S1E_jjP12ihipStream_tbEUljE_ZNSN_ISO_Lb1ESQ_SR_ST_SU_SY_EESZ_S10_S11_S12_S16_S17_S18_S1B_S1C_jS1D_jS1E_S1E_jjS1G_bEUljE0_EEESZ_S10_S11_S18_S1C_S1E_T6_T7_T9_mT8_S1G_bDpT10_ENKUlT_T0_E_clISt17integral_constantIbLb0EES1T_IbLb1EEEEDaS1P_S1Q_EUlS1P_E_NS1_11comp_targetILNS1_3genE10ELNS1_11target_archE1200ELNS1_3gpuE4ELNS1_3repE0EEENS1_30default_config_static_selectorELNS0_4arch9wavefront6targetE1EEEvS12_
	.p2align	8
	.type	_ZN7rocprim17ROCPRIM_400000_NS6detail17trampoline_kernelINS0_13select_configILj256ELj13ELNS0_17block_load_methodE3ELS4_3ELS4_3ELNS0_20block_scan_algorithmE0ELj4294967295EEENS1_25partition_config_selectorILNS1_17partition_subalgoE4EjNS0_10empty_typeEbEEZZNS1_14partition_implILS8_4ELb0ES6_15HIP_vector_typeIjLj2EENS0_17counting_iteratorIjlEEPS9_SG_NS0_5tupleIJPjSI_NS0_16reverse_iteratorISI_EEEEENSH_IJSG_SG_SG_EEES9_SI_JZNS1_25segmented_radix_sort_implINS0_14default_configELb1EPKdPdPKlPlN2at6native12_GLOBAL__N_18offset_tEEE10hipError_tPvRmT1_PNSt15iterator_traitsIS12_E10value_typeET2_T3_PNS13_IS18_E10value_typeET4_jRbjT5_S1E_jjP12ihipStream_tbEUljE_ZNSN_ISO_Lb1ESQ_SR_ST_SU_SY_EESZ_S10_S11_S12_S16_S17_S18_S1B_S1C_jS1D_jS1E_S1E_jjS1G_bEUljE0_EEESZ_S10_S11_S18_S1C_S1E_T6_T7_T9_mT8_S1G_bDpT10_ENKUlT_T0_E_clISt17integral_constantIbLb0EES1T_IbLb1EEEEDaS1P_S1Q_EUlS1P_E_NS1_11comp_targetILNS1_3genE10ELNS1_11target_archE1200ELNS1_3gpuE4ELNS1_3repE0EEENS1_30default_config_static_selectorELNS0_4arch9wavefront6targetE1EEEvS12_,@function
_ZN7rocprim17ROCPRIM_400000_NS6detail17trampoline_kernelINS0_13select_configILj256ELj13ELNS0_17block_load_methodE3ELS4_3ELS4_3ELNS0_20block_scan_algorithmE0ELj4294967295EEENS1_25partition_config_selectorILNS1_17partition_subalgoE4EjNS0_10empty_typeEbEEZZNS1_14partition_implILS8_4ELb0ES6_15HIP_vector_typeIjLj2EENS0_17counting_iteratorIjlEEPS9_SG_NS0_5tupleIJPjSI_NS0_16reverse_iteratorISI_EEEEENSH_IJSG_SG_SG_EEES9_SI_JZNS1_25segmented_radix_sort_implINS0_14default_configELb1EPKdPdPKlPlN2at6native12_GLOBAL__N_18offset_tEEE10hipError_tPvRmT1_PNSt15iterator_traitsIS12_E10value_typeET2_T3_PNS13_IS18_E10value_typeET4_jRbjT5_S1E_jjP12ihipStream_tbEUljE_ZNSN_ISO_Lb1ESQ_SR_ST_SU_SY_EESZ_S10_S11_S12_S16_S17_S18_S1B_S1C_jS1D_jS1E_S1E_jjS1G_bEUljE0_EEESZ_S10_S11_S18_S1C_S1E_T6_T7_T9_mT8_S1G_bDpT10_ENKUlT_T0_E_clISt17integral_constantIbLb0EES1T_IbLb1EEEEDaS1P_S1Q_EUlS1P_E_NS1_11comp_targetILNS1_3genE10ELNS1_11target_archE1200ELNS1_3gpuE4ELNS1_3repE0EEENS1_30default_config_static_selectorELNS0_4arch9wavefront6targetE1EEEvS12_: ; @_ZN7rocprim17ROCPRIM_400000_NS6detail17trampoline_kernelINS0_13select_configILj256ELj13ELNS0_17block_load_methodE3ELS4_3ELS4_3ELNS0_20block_scan_algorithmE0ELj4294967295EEENS1_25partition_config_selectorILNS1_17partition_subalgoE4EjNS0_10empty_typeEbEEZZNS1_14partition_implILS8_4ELb0ES6_15HIP_vector_typeIjLj2EENS0_17counting_iteratorIjlEEPS9_SG_NS0_5tupleIJPjSI_NS0_16reverse_iteratorISI_EEEEENSH_IJSG_SG_SG_EEES9_SI_JZNS1_25segmented_radix_sort_implINS0_14default_configELb1EPKdPdPKlPlN2at6native12_GLOBAL__N_18offset_tEEE10hipError_tPvRmT1_PNSt15iterator_traitsIS12_E10value_typeET2_T3_PNS13_IS18_E10value_typeET4_jRbjT5_S1E_jjP12ihipStream_tbEUljE_ZNSN_ISO_Lb1ESQ_SR_ST_SU_SY_EESZ_S10_S11_S12_S16_S17_S18_S1B_S1C_jS1D_jS1E_S1E_jjS1G_bEUljE0_EEESZ_S10_S11_S18_S1C_S1E_T6_T7_T9_mT8_S1G_bDpT10_ENKUlT_T0_E_clISt17integral_constantIbLb0EES1T_IbLb1EEEEDaS1P_S1Q_EUlS1P_E_NS1_11comp_targetILNS1_3genE10ELNS1_11target_archE1200ELNS1_3gpuE4ELNS1_3repE0EEENS1_30default_config_static_selectorELNS0_4arch9wavefront6targetE1EEEvS12_
; %bb.0:
	.section	.rodata,"a",@progbits
	.p2align	6, 0x0
	.amdhsa_kernel _ZN7rocprim17ROCPRIM_400000_NS6detail17trampoline_kernelINS0_13select_configILj256ELj13ELNS0_17block_load_methodE3ELS4_3ELS4_3ELNS0_20block_scan_algorithmE0ELj4294967295EEENS1_25partition_config_selectorILNS1_17partition_subalgoE4EjNS0_10empty_typeEbEEZZNS1_14partition_implILS8_4ELb0ES6_15HIP_vector_typeIjLj2EENS0_17counting_iteratorIjlEEPS9_SG_NS0_5tupleIJPjSI_NS0_16reverse_iteratorISI_EEEEENSH_IJSG_SG_SG_EEES9_SI_JZNS1_25segmented_radix_sort_implINS0_14default_configELb1EPKdPdPKlPlN2at6native12_GLOBAL__N_18offset_tEEE10hipError_tPvRmT1_PNSt15iterator_traitsIS12_E10value_typeET2_T3_PNS13_IS18_E10value_typeET4_jRbjT5_S1E_jjP12ihipStream_tbEUljE_ZNSN_ISO_Lb1ESQ_SR_ST_SU_SY_EESZ_S10_S11_S12_S16_S17_S18_S1B_S1C_jS1D_jS1E_S1E_jjS1G_bEUljE0_EEESZ_S10_S11_S18_S1C_S1E_T6_T7_T9_mT8_S1G_bDpT10_ENKUlT_T0_E_clISt17integral_constantIbLb0EES1T_IbLb1EEEEDaS1P_S1Q_EUlS1P_E_NS1_11comp_targetILNS1_3genE10ELNS1_11target_archE1200ELNS1_3gpuE4ELNS1_3repE0EEENS1_30default_config_static_selectorELNS0_4arch9wavefront6targetE1EEEvS12_
		.amdhsa_group_segment_fixed_size 0
		.amdhsa_private_segment_fixed_size 0
		.amdhsa_kernarg_size 184
		.amdhsa_user_sgpr_count 6
		.amdhsa_user_sgpr_private_segment_buffer 1
		.amdhsa_user_sgpr_dispatch_ptr 0
		.amdhsa_user_sgpr_queue_ptr 0
		.amdhsa_user_sgpr_kernarg_segment_ptr 1
		.amdhsa_user_sgpr_dispatch_id 0
		.amdhsa_user_sgpr_flat_scratch_init 0
		.amdhsa_user_sgpr_kernarg_preload_length 0
		.amdhsa_user_sgpr_kernarg_preload_offset 0
		.amdhsa_user_sgpr_private_segment_size 0
		.amdhsa_uses_dynamic_stack 0
		.amdhsa_system_sgpr_private_segment_wavefront_offset 0
		.amdhsa_system_sgpr_workgroup_id_x 1
		.amdhsa_system_sgpr_workgroup_id_y 0
		.amdhsa_system_sgpr_workgroup_id_z 0
		.amdhsa_system_sgpr_workgroup_info 0
		.amdhsa_system_vgpr_workitem_id 0
		.amdhsa_next_free_vgpr 1
		.amdhsa_next_free_sgpr 0
		.amdhsa_accum_offset 4
		.amdhsa_reserve_vcc 0
		.amdhsa_reserve_flat_scratch 0
		.amdhsa_float_round_mode_32 0
		.amdhsa_float_round_mode_16_64 0
		.amdhsa_float_denorm_mode_32 3
		.amdhsa_float_denorm_mode_16_64 3
		.amdhsa_dx10_clamp 1
		.amdhsa_ieee_mode 1
		.amdhsa_fp16_overflow 0
		.amdhsa_tg_split 0
		.amdhsa_exception_fp_ieee_invalid_op 0
		.amdhsa_exception_fp_denorm_src 0
		.amdhsa_exception_fp_ieee_div_zero 0
		.amdhsa_exception_fp_ieee_overflow 0
		.amdhsa_exception_fp_ieee_underflow 0
		.amdhsa_exception_fp_ieee_inexact 0
		.amdhsa_exception_int_div_zero 0
	.end_amdhsa_kernel
	.section	.text._ZN7rocprim17ROCPRIM_400000_NS6detail17trampoline_kernelINS0_13select_configILj256ELj13ELNS0_17block_load_methodE3ELS4_3ELS4_3ELNS0_20block_scan_algorithmE0ELj4294967295EEENS1_25partition_config_selectorILNS1_17partition_subalgoE4EjNS0_10empty_typeEbEEZZNS1_14partition_implILS8_4ELb0ES6_15HIP_vector_typeIjLj2EENS0_17counting_iteratorIjlEEPS9_SG_NS0_5tupleIJPjSI_NS0_16reverse_iteratorISI_EEEEENSH_IJSG_SG_SG_EEES9_SI_JZNS1_25segmented_radix_sort_implINS0_14default_configELb1EPKdPdPKlPlN2at6native12_GLOBAL__N_18offset_tEEE10hipError_tPvRmT1_PNSt15iterator_traitsIS12_E10value_typeET2_T3_PNS13_IS18_E10value_typeET4_jRbjT5_S1E_jjP12ihipStream_tbEUljE_ZNSN_ISO_Lb1ESQ_SR_ST_SU_SY_EESZ_S10_S11_S12_S16_S17_S18_S1B_S1C_jS1D_jS1E_S1E_jjS1G_bEUljE0_EEESZ_S10_S11_S18_S1C_S1E_T6_T7_T9_mT8_S1G_bDpT10_ENKUlT_T0_E_clISt17integral_constantIbLb0EES1T_IbLb1EEEEDaS1P_S1Q_EUlS1P_E_NS1_11comp_targetILNS1_3genE10ELNS1_11target_archE1200ELNS1_3gpuE4ELNS1_3repE0EEENS1_30default_config_static_selectorELNS0_4arch9wavefront6targetE1EEEvS12_,"axG",@progbits,_ZN7rocprim17ROCPRIM_400000_NS6detail17trampoline_kernelINS0_13select_configILj256ELj13ELNS0_17block_load_methodE3ELS4_3ELS4_3ELNS0_20block_scan_algorithmE0ELj4294967295EEENS1_25partition_config_selectorILNS1_17partition_subalgoE4EjNS0_10empty_typeEbEEZZNS1_14partition_implILS8_4ELb0ES6_15HIP_vector_typeIjLj2EENS0_17counting_iteratorIjlEEPS9_SG_NS0_5tupleIJPjSI_NS0_16reverse_iteratorISI_EEEEENSH_IJSG_SG_SG_EEES9_SI_JZNS1_25segmented_radix_sort_implINS0_14default_configELb1EPKdPdPKlPlN2at6native12_GLOBAL__N_18offset_tEEE10hipError_tPvRmT1_PNSt15iterator_traitsIS12_E10value_typeET2_T3_PNS13_IS18_E10value_typeET4_jRbjT5_S1E_jjP12ihipStream_tbEUljE_ZNSN_ISO_Lb1ESQ_SR_ST_SU_SY_EESZ_S10_S11_S12_S16_S17_S18_S1B_S1C_jS1D_jS1E_S1E_jjS1G_bEUljE0_EEESZ_S10_S11_S18_S1C_S1E_T6_T7_T9_mT8_S1G_bDpT10_ENKUlT_T0_E_clISt17integral_constantIbLb0EES1T_IbLb1EEEEDaS1P_S1Q_EUlS1P_E_NS1_11comp_targetILNS1_3genE10ELNS1_11target_archE1200ELNS1_3gpuE4ELNS1_3repE0EEENS1_30default_config_static_selectorELNS0_4arch9wavefront6targetE1EEEvS12_,comdat
.Lfunc_end1081:
	.size	_ZN7rocprim17ROCPRIM_400000_NS6detail17trampoline_kernelINS0_13select_configILj256ELj13ELNS0_17block_load_methodE3ELS4_3ELS4_3ELNS0_20block_scan_algorithmE0ELj4294967295EEENS1_25partition_config_selectorILNS1_17partition_subalgoE4EjNS0_10empty_typeEbEEZZNS1_14partition_implILS8_4ELb0ES6_15HIP_vector_typeIjLj2EENS0_17counting_iteratorIjlEEPS9_SG_NS0_5tupleIJPjSI_NS0_16reverse_iteratorISI_EEEEENSH_IJSG_SG_SG_EEES9_SI_JZNS1_25segmented_radix_sort_implINS0_14default_configELb1EPKdPdPKlPlN2at6native12_GLOBAL__N_18offset_tEEE10hipError_tPvRmT1_PNSt15iterator_traitsIS12_E10value_typeET2_T3_PNS13_IS18_E10value_typeET4_jRbjT5_S1E_jjP12ihipStream_tbEUljE_ZNSN_ISO_Lb1ESQ_SR_ST_SU_SY_EESZ_S10_S11_S12_S16_S17_S18_S1B_S1C_jS1D_jS1E_S1E_jjS1G_bEUljE0_EEESZ_S10_S11_S18_S1C_S1E_T6_T7_T9_mT8_S1G_bDpT10_ENKUlT_T0_E_clISt17integral_constantIbLb0EES1T_IbLb1EEEEDaS1P_S1Q_EUlS1P_E_NS1_11comp_targetILNS1_3genE10ELNS1_11target_archE1200ELNS1_3gpuE4ELNS1_3repE0EEENS1_30default_config_static_selectorELNS0_4arch9wavefront6targetE1EEEvS12_, .Lfunc_end1081-_ZN7rocprim17ROCPRIM_400000_NS6detail17trampoline_kernelINS0_13select_configILj256ELj13ELNS0_17block_load_methodE3ELS4_3ELS4_3ELNS0_20block_scan_algorithmE0ELj4294967295EEENS1_25partition_config_selectorILNS1_17partition_subalgoE4EjNS0_10empty_typeEbEEZZNS1_14partition_implILS8_4ELb0ES6_15HIP_vector_typeIjLj2EENS0_17counting_iteratorIjlEEPS9_SG_NS0_5tupleIJPjSI_NS0_16reverse_iteratorISI_EEEEENSH_IJSG_SG_SG_EEES9_SI_JZNS1_25segmented_radix_sort_implINS0_14default_configELb1EPKdPdPKlPlN2at6native12_GLOBAL__N_18offset_tEEE10hipError_tPvRmT1_PNSt15iterator_traitsIS12_E10value_typeET2_T3_PNS13_IS18_E10value_typeET4_jRbjT5_S1E_jjP12ihipStream_tbEUljE_ZNSN_ISO_Lb1ESQ_SR_ST_SU_SY_EESZ_S10_S11_S12_S16_S17_S18_S1B_S1C_jS1D_jS1E_S1E_jjS1G_bEUljE0_EEESZ_S10_S11_S18_S1C_S1E_T6_T7_T9_mT8_S1G_bDpT10_ENKUlT_T0_E_clISt17integral_constantIbLb0EES1T_IbLb1EEEEDaS1P_S1Q_EUlS1P_E_NS1_11comp_targetILNS1_3genE10ELNS1_11target_archE1200ELNS1_3gpuE4ELNS1_3repE0EEENS1_30default_config_static_selectorELNS0_4arch9wavefront6targetE1EEEvS12_
                                        ; -- End function
	.section	.AMDGPU.csdata,"",@progbits
; Kernel info:
; codeLenInByte = 0
; NumSgprs: 4
; NumVgprs: 0
; NumAgprs: 0
; TotalNumVgprs: 0
; ScratchSize: 0
; MemoryBound: 0
; FloatMode: 240
; IeeeMode: 1
; LDSByteSize: 0 bytes/workgroup (compile time only)
; SGPRBlocks: 0
; VGPRBlocks: 0
; NumSGPRsForWavesPerEU: 4
; NumVGPRsForWavesPerEU: 1
; AccumOffset: 4
; Occupancy: 8
; WaveLimiterHint : 0
; COMPUTE_PGM_RSRC2:SCRATCH_EN: 0
; COMPUTE_PGM_RSRC2:USER_SGPR: 6
; COMPUTE_PGM_RSRC2:TRAP_HANDLER: 0
; COMPUTE_PGM_RSRC2:TGID_X_EN: 1
; COMPUTE_PGM_RSRC2:TGID_Y_EN: 0
; COMPUTE_PGM_RSRC2:TGID_Z_EN: 0
; COMPUTE_PGM_RSRC2:TIDIG_COMP_CNT: 0
; COMPUTE_PGM_RSRC3_GFX90A:ACCUM_OFFSET: 0
; COMPUTE_PGM_RSRC3_GFX90A:TG_SPLIT: 0
	.section	.text._ZN7rocprim17ROCPRIM_400000_NS6detail17trampoline_kernelINS0_13select_configILj256ELj13ELNS0_17block_load_methodE3ELS4_3ELS4_3ELNS0_20block_scan_algorithmE0ELj4294967295EEENS1_25partition_config_selectorILNS1_17partition_subalgoE4EjNS0_10empty_typeEbEEZZNS1_14partition_implILS8_4ELb0ES6_15HIP_vector_typeIjLj2EENS0_17counting_iteratorIjlEEPS9_SG_NS0_5tupleIJPjSI_NS0_16reverse_iteratorISI_EEEEENSH_IJSG_SG_SG_EEES9_SI_JZNS1_25segmented_radix_sort_implINS0_14default_configELb1EPKdPdPKlPlN2at6native12_GLOBAL__N_18offset_tEEE10hipError_tPvRmT1_PNSt15iterator_traitsIS12_E10value_typeET2_T3_PNS13_IS18_E10value_typeET4_jRbjT5_S1E_jjP12ihipStream_tbEUljE_ZNSN_ISO_Lb1ESQ_SR_ST_SU_SY_EESZ_S10_S11_S12_S16_S17_S18_S1B_S1C_jS1D_jS1E_S1E_jjS1G_bEUljE0_EEESZ_S10_S11_S18_S1C_S1E_T6_T7_T9_mT8_S1G_bDpT10_ENKUlT_T0_E_clISt17integral_constantIbLb0EES1T_IbLb1EEEEDaS1P_S1Q_EUlS1P_E_NS1_11comp_targetILNS1_3genE9ELNS1_11target_archE1100ELNS1_3gpuE3ELNS1_3repE0EEENS1_30default_config_static_selectorELNS0_4arch9wavefront6targetE1EEEvS12_,"axG",@progbits,_ZN7rocprim17ROCPRIM_400000_NS6detail17trampoline_kernelINS0_13select_configILj256ELj13ELNS0_17block_load_methodE3ELS4_3ELS4_3ELNS0_20block_scan_algorithmE0ELj4294967295EEENS1_25partition_config_selectorILNS1_17partition_subalgoE4EjNS0_10empty_typeEbEEZZNS1_14partition_implILS8_4ELb0ES6_15HIP_vector_typeIjLj2EENS0_17counting_iteratorIjlEEPS9_SG_NS0_5tupleIJPjSI_NS0_16reverse_iteratorISI_EEEEENSH_IJSG_SG_SG_EEES9_SI_JZNS1_25segmented_radix_sort_implINS0_14default_configELb1EPKdPdPKlPlN2at6native12_GLOBAL__N_18offset_tEEE10hipError_tPvRmT1_PNSt15iterator_traitsIS12_E10value_typeET2_T3_PNS13_IS18_E10value_typeET4_jRbjT5_S1E_jjP12ihipStream_tbEUljE_ZNSN_ISO_Lb1ESQ_SR_ST_SU_SY_EESZ_S10_S11_S12_S16_S17_S18_S1B_S1C_jS1D_jS1E_S1E_jjS1G_bEUljE0_EEESZ_S10_S11_S18_S1C_S1E_T6_T7_T9_mT8_S1G_bDpT10_ENKUlT_T0_E_clISt17integral_constantIbLb0EES1T_IbLb1EEEEDaS1P_S1Q_EUlS1P_E_NS1_11comp_targetILNS1_3genE9ELNS1_11target_archE1100ELNS1_3gpuE3ELNS1_3repE0EEENS1_30default_config_static_selectorELNS0_4arch9wavefront6targetE1EEEvS12_,comdat
	.globl	_ZN7rocprim17ROCPRIM_400000_NS6detail17trampoline_kernelINS0_13select_configILj256ELj13ELNS0_17block_load_methodE3ELS4_3ELS4_3ELNS0_20block_scan_algorithmE0ELj4294967295EEENS1_25partition_config_selectorILNS1_17partition_subalgoE4EjNS0_10empty_typeEbEEZZNS1_14partition_implILS8_4ELb0ES6_15HIP_vector_typeIjLj2EENS0_17counting_iteratorIjlEEPS9_SG_NS0_5tupleIJPjSI_NS0_16reverse_iteratorISI_EEEEENSH_IJSG_SG_SG_EEES9_SI_JZNS1_25segmented_radix_sort_implINS0_14default_configELb1EPKdPdPKlPlN2at6native12_GLOBAL__N_18offset_tEEE10hipError_tPvRmT1_PNSt15iterator_traitsIS12_E10value_typeET2_T3_PNS13_IS18_E10value_typeET4_jRbjT5_S1E_jjP12ihipStream_tbEUljE_ZNSN_ISO_Lb1ESQ_SR_ST_SU_SY_EESZ_S10_S11_S12_S16_S17_S18_S1B_S1C_jS1D_jS1E_S1E_jjS1G_bEUljE0_EEESZ_S10_S11_S18_S1C_S1E_T6_T7_T9_mT8_S1G_bDpT10_ENKUlT_T0_E_clISt17integral_constantIbLb0EES1T_IbLb1EEEEDaS1P_S1Q_EUlS1P_E_NS1_11comp_targetILNS1_3genE9ELNS1_11target_archE1100ELNS1_3gpuE3ELNS1_3repE0EEENS1_30default_config_static_selectorELNS0_4arch9wavefront6targetE1EEEvS12_ ; -- Begin function _ZN7rocprim17ROCPRIM_400000_NS6detail17trampoline_kernelINS0_13select_configILj256ELj13ELNS0_17block_load_methodE3ELS4_3ELS4_3ELNS0_20block_scan_algorithmE0ELj4294967295EEENS1_25partition_config_selectorILNS1_17partition_subalgoE4EjNS0_10empty_typeEbEEZZNS1_14partition_implILS8_4ELb0ES6_15HIP_vector_typeIjLj2EENS0_17counting_iteratorIjlEEPS9_SG_NS0_5tupleIJPjSI_NS0_16reverse_iteratorISI_EEEEENSH_IJSG_SG_SG_EEES9_SI_JZNS1_25segmented_radix_sort_implINS0_14default_configELb1EPKdPdPKlPlN2at6native12_GLOBAL__N_18offset_tEEE10hipError_tPvRmT1_PNSt15iterator_traitsIS12_E10value_typeET2_T3_PNS13_IS18_E10value_typeET4_jRbjT5_S1E_jjP12ihipStream_tbEUljE_ZNSN_ISO_Lb1ESQ_SR_ST_SU_SY_EESZ_S10_S11_S12_S16_S17_S18_S1B_S1C_jS1D_jS1E_S1E_jjS1G_bEUljE0_EEESZ_S10_S11_S18_S1C_S1E_T6_T7_T9_mT8_S1G_bDpT10_ENKUlT_T0_E_clISt17integral_constantIbLb0EES1T_IbLb1EEEEDaS1P_S1Q_EUlS1P_E_NS1_11comp_targetILNS1_3genE9ELNS1_11target_archE1100ELNS1_3gpuE3ELNS1_3repE0EEENS1_30default_config_static_selectorELNS0_4arch9wavefront6targetE1EEEvS12_
	.p2align	8
	.type	_ZN7rocprim17ROCPRIM_400000_NS6detail17trampoline_kernelINS0_13select_configILj256ELj13ELNS0_17block_load_methodE3ELS4_3ELS4_3ELNS0_20block_scan_algorithmE0ELj4294967295EEENS1_25partition_config_selectorILNS1_17partition_subalgoE4EjNS0_10empty_typeEbEEZZNS1_14partition_implILS8_4ELb0ES6_15HIP_vector_typeIjLj2EENS0_17counting_iteratorIjlEEPS9_SG_NS0_5tupleIJPjSI_NS0_16reverse_iteratorISI_EEEEENSH_IJSG_SG_SG_EEES9_SI_JZNS1_25segmented_radix_sort_implINS0_14default_configELb1EPKdPdPKlPlN2at6native12_GLOBAL__N_18offset_tEEE10hipError_tPvRmT1_PNSt15iterator_traitsIS12_E10value_typeET2_T3_PNS13_IS18_E10value_typeET4_jRbjT5_S1E_jjP12ihipStream_tbEUljE_ZNSN_ISO_Lb1ESQ_SR_ST_SU_SY_EESZ_S10_S11_S12_S16_S17_S18_S1B_S1C_jS1D_jS1E_S1E_jjS1G_bEUljE0_EEESZ_S10_S11_S18_S1C_S1E_T6_T7_T9_mT8_S1G_bDpT10_ENKUlT_T0_E_clISt17integral_constantIbLb0EES1T_IbLb1EEEEDaS1P_S1Q_EUlS1P_E_NS1_11comp_targetILNS1_3genE9ELNS1_11target_archE1100ELNS1_3gpuE3ELNS1_3repE0EEENS1_30default_config_static_selectorELNS0_4arch9wavefront6targetE1EEEvS12_,@function
_ZN7rocprim17ROCPRIM_400000_NS6detail17trampoline_kernelINS0_13select_configILj256ELj13ELNS0_17block_load_methodE3ELS4_3ELS4_3ELNS0_20block_scan_algorithmE0ELj4294967295EEENS1_25partition_config_selectorILNS1_17partition_subalgoE4EjNS0_10empty_typeEbEEZZNS1_14partition_implILS8_4ELb0ES6_15HIP_vector_typeIjLj2EENS0_17counting_iteratorIjlEEPS9_SG_NS0_5tupleIJPjSI_NS0_16reverse_iteratorISI_EEEEENSH_IJSG_SG_SG_EEES9_SI_JZNS1_25segmented_radix_sort_implINS0_14default_configELb1EPKdPdPKlPlN2at6native12_GLOBAL__N_18offset_tEEE10hipError_tPvRmT1_PNSt15iterator_traitsIS12_E10value_typeET2_T3_PNS13_IS18_E10value_typeET4_jRbjT5_S1E_jjP12ihipStream_tbEUljE_ZNSN_ISO_Lb1ESQ_SR_ST_SU_SY_EESZ_S10_S11_S12_S16_S17_S18_S1B_S1C_jS1D_jS1E_S1E_jjS1G_bEUljE0_EEESZ_S10_S11_S18_S1C_S1E_T6_T7_T9_mT8_S1G_bDpT10_ENKUlT_T0_E_clISt17integral_constantIbLb0EES1T_IbLb1EEEEDaS1P_S1Q_EUlS1P_E_NS1_11comp_targetILNS1_3genE9ELNS1_11target_archE1100ELNS1_3gpuE3ELNS1_3repE0EEENS1_30default_config_static_selectorELNS0_4arch9wavefront6targetE1EEEvS12_: ; @_ZN7rocprim17ROCPRIM_400000_NS6detail17trampoline_kernelINS0_13select_configILj256ELj13ELNS0_17block_load_methodE3ELS4_3ELS4_3ELNS0_20block_scan_algorithmE0ELj4294967295EEENS1_25partition_config_selectorILNS1_17partition_subalgoE4EjNS0_10empty_typeEbEEZZNS1_14partition_implILS8_4ELb0ES6_15HIP_vector_typeIjLj2EENS0_17counting_iteratorIjlEEPS9_SG_NS0_5tupleIJPjSI_NS0_16reverse_iteratorISI_EEEEENSH_IJSG_SG_SG_EEES9_SI_JZNS1_25segmented_radix_sort_implINS0_14default_configELb1EPKdPdPKlPlN2at6native12_GLOBAL__N_18offset_tEEE10hipError_tPvRmT1_PNSt15iterator_traitsIS12_E10value_typeET2_T3_PNS13_IS18_E10value_typeET4_jRbjT5_S1E_jjP12ihipStream_tbEUljE_ZNSN_ISO_Lb1ESQ_SR_ST_SU_SY_EESZ_S10_S11_S12_S16_S17_S18_S1B_S1C_jS1D_jS1E_S1E_jjS1G_bEUljE0_EEESZ_S10_S11_S18_S1C_S1E_T6_T7_T9_mT8_S1G_bDpT10_ENKUlT_T0_E_clISt17integral_constantIbLb0EES1T_IbLb1EEEEDaS1P_S1Q_EUlS1P_E_NS1_11comp_targetILNS1_3genE9ELNS1_11target_archE1100ELNS1_3gpuE3ELNS1_3repE0EEENS1_30default_config_static_selectorELNS0_4arch9wavefront6targetE1EEEvS12_
; %bb.0:
	.section	.rodata,"a",@progbits
	.p2align	6, 0x0
	.amdhsa_kernel _ZN7rocprim17ROCPRIM_400000_NS6detail17trampoline_kernelINS0_13select_configILj256ELj13ELNS0_17block_load_methodE3ELS4_3ELS4_3ELNS0_20block_scan_algorithmE0ELj4294967295EEENS1_25partition_config_selectorILNS1_17partition_subalgoE4EjNS0_10empty_typeEbEEZZNS1_14partition_implILS8_4ELb0ES6_15HIP_vector_typeIjLj2EENS0_17counting_iteratorIjlEEPS9_SG_NS0_5tupleIJPjSI_NS0_16reverse_iteratorISI_EEEEENSH_IJSG_SG_SG_EEES9_SI_JZNS1_25segmented_radix_sort_implINS0_14default_configELb1EPKdPdPKlPlN2at6native12_GLOBAL__N_18offset_tEEE10hipError_tPvRmT1_PNSt15iterator_traitsIS12_E10value_typeET2_T3_PNS13_IS18_E10value_typeET4_jRbjT5_S1E_jjP12ihipStream_tbEUljE_ZNSN_ISO_Lb1ESQ_SR_ST_SU_SY_EESZ_S10_S11_S12_S16_S17_S18_S1B_S1C_jS1D_jS1E_S1E_jjS1G_bEUljE0_EEESZ_S10_S11_S18_S1C_S1E_T6_T7_T9_mT8_S1G_bDpT10_ENKUlT_T0_E_clISt17integral_constantIbLb0EES1T_IbLb1EEEEDaS1P_S1Q_EUlS1P_E_NS1_11comp_targetILNS1_3genE9ELNS1_11target_archE1100ELNS1_3gpuE3ELNS1_3repE0EEENS1_30default_config_static_selectorELNS0_4arch9wavefront6targetE1EEEvS12_
		.amdhsa_group_segment_fixed_size 0
		.amdhsa_private_segment_fixed_size 0
		.amdhsa_kernarg_size 184
		.amdhsa_user_sgpr_count 6
		.amdhsa_user_sgpr_private_segment_buffer 1
		.amdhsa_user_sgpr_dispatch_ptr 0
		.amdhsa_user_sgpr_queue_ptr 0
		.amdhsa_user_sgpr_kernarg_segment_ptr 1
		.amdhsa_user_sgpr_dispatch_id 0
		.amdhsa_user_sgpr_flat_scratch_init 0
		.amdhsa_user_sgpr_kernarg_preload_length 0
		.amdhsa_user_sgpr_kernarg_preload_offset 0
		.amdhsa_user_sgpr_private_segment_size 0
		.amdhsa_uses_dynamic_stack 0
		.amdhsa_system_sgpr_private_segment_wavefront_offset 0
		.amdhsa_system_sgpr_workgroup_id_x 1
		.amdhsa_system_sgpr_workgroup_id_y 0
		.amdhsa_system_sgpr_workgroup_id_z 0
		.amdhsa_system_sgpr_workgroup_info 0
		.amdhsa_system_vgpr_workitem_id 0
		.amdhsa_next_free_vgpr 1
		.amdhsa_next_free_sgpr 0
		.amdhsa_accum_offset 4
		.amdhsa_reserve_vcc 0
		.amdhsa_reserve_flat_scratch 0
		.amdhsa_float_round_mode_32 0
		.amdhsa_float_round_mode_16_64 0
		.amdhsa_float_denorm_mode_32 3
		.amdhsa_float_denorm_mode_16_64 3
		.amdhsa_dx10_clamp 1
		.amdhsa_ieee_mode 1
		.amdhsa_fp16_overflow 0
		.amdhsa_tg_split 0
		.amdhsa_exception_fp_ieee_invalid_op 0
		.amdhsa_exception_fp_denorm_src 0
		.amdhsa_exception_fp_ieee_div_zero 0
		.amdhsa_exception_fp_ieee_overflow 0
		.amdhsa_exception_fp_ieee_underflow 0
		.amdhsa_exception_fp_ieee_inexact 0
		.amdhsa_exception_int_div_zero 0
	.end_amdhsa_kernel
	.section	.text._ZN7rocprim17ROCPRIM_400000_NS6detail17trampoline_kernelINS0_13select_configILj256ELj13ELNS0_17block_load_methodE3ELS4_3ELS4_3ELNS0_20block_scan_algorithmE0ELj4294967295EEENS1_25partition_config_selectorILNS1_17partition_subalgoE4EjNS0_10empty_typeEbEEZZNS1_14partition_implILS8_4ELb0ES6_15HIP_vector_typeIjLj2EENS0_17counting_iteratorIjlEEPS9_SG_NS0_5tupleIJPjSI_NS0_16reverse_iteratorISI_EEEEENSH_IJSG_SG_SG_EEES9_SI_JZNS1_25segmented_radix_sort_implINS0_14default_configELb1EPKdPdPKlPlN2at6native12_GLOBAL__N_18offset_tEEE10hipError_tPvRmT1_PNSt15iterator_traitsIS12_E10value_typeET2_T3_PNS13_IS18_E10value_typeET4_jRbjT5_S1E_jjP12ihipStream_tbEUljE_ZNSN_ISO_Lb1ESQ_SR_ST_SU_SY_EESZ_S10_S11_S12_S16_S17_S18_S1B_S1C_jS1D_jS1E_S1E_jjS1G_bEUljE0_EEESZ_S10_S11_S18_S1C_S1E_T6_T7_T9_mT8_S1G_bDpT10_ENKUlT_T0_E_clISt17integral_constantIbLb0EES1T_IbLb1EEEEDaS1P_S1Q_EUlS1P_E_NS1_11comp_targetILNS1_3genE9ELNS1_11target_archE1100ELNS1_3gpuE3ELNS1_3repE0EEENS1_30default_config_static_selectorELNS0_4arch9wavefront6targetE1EEEvS12_,"axG",@progbits,_ZN7rocprim17ROCPRIM_400000_NS6detail17trampoline_kernelINS0_13select_configILj256ELj13ELNS0_17block_load_methodE3ELS4_3ELS4_3ELNS0_20block_scan_algorithmE0ELj4294967295EEENS1_25partition_config_selectorILNS1_17partition_subalgoE4EjNS0_10empty_typeEbEEZZNS1_14partition_implILS8_4ELb0ES6_15HIP_vector_typeIjLj2EENS0_17counting_iteratorIjlEEPS9_SG_NS0_5tupleIJPjSI_NS0_16reverse_iteratorISI_EEEEENSH_IJSG_SG_SG_EEES9_SI_JZNS1_25segmented_radix_sort_implINS0_14default_configELb1EPKdPdPKlPlN2at6native12_GLOBAL__N_18offset_tEEE10hipError_tPvRmT1_PNSt15iterator_traitsIS12_E10value_typeET2_T3_PNS13_IS18_E10value_typeET4_jRbjT5_S1E_jjP12ihipStream_tbEUljE_ZNSN_ISO_Lb1ESQ_SR_ST_SU_SY_EESZ_S10_S11_S12_S16_S17_S18_S1B_S1C_jS1D_jS1E_S1E_jjS1G_bEUljE0_EEESZ_S10_S11_S18_S1C_S1E_T6_T7_T9_mT8_S1G_bDpT10_ENKUlT_T0_E_clISt17integral_constantIbLb0EES1T_IbLb1EEEEDaS1P_S1Q_EUlS1P_E_NS1_11comp_targetILNS1_3genE9ELNS1_11target_archE1100ELNS1_3gpuE3ELNS1_3repE0EEENS1_30default_config_static_selectorELNS0_4arch9wavefront6targetE1EEEvS12_,comdat
.Lfunc_end1082:
	.size	_ZN7rocprim17ROCPRIM_400000_NS6detail17trampoline_kernelINS0_13select_configILj256ELj13ELNS0_17block_load_methodE3ELS4_3ELS4_3ELNS0_20block_scan_algorithmE0ELj4294967295EEENS1_25partition_config_selectorILNS1_17partition_subalgoE4EjNS0_10empty_typeEbEEZZNS1_14partition_implILS8_4ELb0ES6_15HIP_vector_typeIjLj2EENS0_17counting_iteratorIjlEEPS9_SG_NS0_5tupleIJPjSI_NS0_16reverse_iteratorISI_EEEEENSH_IJSG_SG_SG_EEES9_SI_JZNS1_25segmented_radix_sort_implINS0_14default_configELb1EPKdPdPKlPlN2at6native12_GLOBAL__N_18offset_tEEE10hipError_tPvRmT1_PNSt15iterator_traitsIS12_E10value_typeET2_T3_PNS13_IS18_E10value_typeET4_jRbjT5_S1E_jjP12ihipStream_tbEUljE_ZNSN_ISO_Lb1ESQ_SR_ST_SU_SY_EESZ_S10_S11_S12_S16_S17_S18_S1B_S1C_jS1D_jS1E_S1E_jjS1G_bEUljE0_EEESZ_S10_S11_S18_S1C_S1E_T6_T7_T9_mT8_S1G_bDpT10_ENKUlT_T0_E_clISt17integral_constantIbLb0EES1T_IbLb1EEEEDaS1P_S1Q_EUlS1P_E_NS1_11comp_targetILNS1_3genE9ELNS1_11target_archE1100ELNS1_3gpuE3ELNS1_3repE0EEENS1_30default_config_static_selectorELNS0_4arch9wavefront6targetE1EEEvS12_, .Lfunc_end1082-_ZN7rocprim17ROCPRIM_400000_NS6detail17trampoline_kernelINS0_13select_configILj256ELj13ELNS0_17block_load_methodE3ELS4_3ELS4_3ELNS0_20block_scan_algorithmE0ELj4294967295EEENS1_25partition_config_selectorILNS1_17partition_subalgoE4EjNS0_10empty_typeEbEEZZNS1_14partition_implILS8_4ELb0ES6_15HIP_vector_typeIjLj2EENS0_17counting_iteratorIjlEEPS9_SG_NS0_5tupleIJPjSI_NS0_16reverse_iteratorISI_EEEEENSH_IJSG_SG_SG_EEES9_SI_JZNS1_25segmented_radix_sort_implINS0_14default_configELb1EPKdPdPKlPlN2at6native12_GLOBAL__N_18offset_tEEE10hipError_tPvRmT1_PNSt15iterator_traitsIS12_E10value_typeET2_T3_PNS13_IS18_E10value_typeET4_jRbjT5_S1E_jjP12ihipStream_tbEUljE_ZNSN_ISO_Lb1ESQ_SR_ST_SU_SY_EESZ_S10_S11_S12_S16_S17_S18_S1B_S1C_jS1D_jS1E_S1E_jjS1G_bEUljE0_EEESZ_S10_S11_S18_S1C_S1E_T6_T7_T9_mT8_S1G_bDpT10_ENKUlT_T0_E_clISt17integral_constantIbLb0EES1T_IbLb1EEEEDaS1P_S1Q_EUlS1P_E_NS1_11comp_targetILNS1_3genE9ELNS1_11target_archE1100ELNS1_3gpuE3ELNS1_3repE0EEENS1_30default_config_static_selectorELNS0_4arch9wavefront6targetE1EEEvS12_
                                        ; -- End function
	.section	.AMDGPU.csdata,"",@progbits
; Kernel info:
; codeLenInByte = 0
; NumSgprs: 4
; NumVgprs: 0
; NumAgprs: 0
; TotalNumVgprs: 0
; ScratchSize: 0
; MemoryBound: 0
; FloatMode: 240
; IeeeMode: 1
; LDSByteSize: 0 bytes/workgroup (compile time only)
; SGPRBlocks: 0
; VGPRBlocks: 0
; NumSGPRsForWavesPerEU: 4
; NumVGPRsForWavesPerEU: 1
; AccumOffset: 4
; Occupancy: 8
; WaveLimiterHint : 0
; COMPUTE_PGM_RSRC2:SCRATCH_EN: 0
; COMPUTE_PGM_RSRC2:USER_SGPR: 6
; COMPUTE_PGM_RSRC2:TRAP_HANDLER: 0
; COMPUTE_PGM_RSRC2:TGID_X_EN: 1
; COMPUTE_PGM_RSRC2:TGID_Y_EN: 0
; COMPUTE_PGM_RSRC2:TGID_Z_EN: 0
; COMPUTE_PGM_RSRC2:TIDIG_COMP_CNT: 0
; COMPUTE_PGM_RSRC3_GFX90A:ACCUM_OFFSET: 0
; COMPUTE_PGM_RSRC3_GFX90A:TG_SPLIT: 0
	.section	.text._ZN7rocprim17ROCPRIM_400000_NS6detail17trampoline_kernelINS0_13select_configILj256ELj13ELNS0_17block_load_methodE3ELS4_3ELS4_3ELNS0_20block_scan_algorithmE0ELj4294967295EEENS1_25partition_config_selectorILNS1_17partition_subalgoE4EjNS0_10empty_typeEbEEZZNS1_14partition_implILS8_4ELb0ES6_15HIP_vector_typeIjLj2EENS0_17counting_iteratorIjlEEPS9_SG_NS0_5tupleIJPjSI_NS0_16reverse_iteratorISI_EEEEENSH_IJSG_SG_SG_EEES9_SI_JZNS1_25segmented_radix_sort_implINS0_14default_configELb1EPKdPdPKlPlN2at6native12_GLOBAL__N_18offset_tEEE10hipError_tPvRmT1_PNSt15iterator_traitsIS12_E10value_typeET2_T3_PNS13_IS18_E10value_typeET4_jRbjT5_S1E_jjP12ihipStream_tbEUljE_ZNSN_ISO_Lb1ESQ_SR_ST_SU_SY_EESZ_S10_S11_S12_S16_S17_S18_S1B_S1C_jS1D_jS1E_S1E_jjS1G_bEUljE0_EEESZ_S10_S11_S18_S1C_S1E_T6_T7_T9_mT8_S1G_bDpT10_ENKUlT_T0_E_clISt17integral_constantIbLb0EES1T_IbLb1EEEEDaS1P_S1Q_EUlS1P_E_NS1_11comp_targetILNS1_3genE8ELNS1_11target_archE1030ELNS1_3gpuE2ELNS1_3repE0EEENS1_30default_config_static_selectorELNS0_4arch9wavefront6targetE1EEEvS12_,"axG",@progbits,_ZN7rocprim17ROCPRIM_400000_NS6detail17trampoline_kernelINS0_13select_configILj256ELj13ELNS0_17block_load_methodE3ELS4_3ELS4_3ELNS0_20block_scan_algorithmE0ELj4294967295EEENS1_25partition_config_selectorILNS1_17partition_subalgoE4EjNS0_10empty_typeEbEEZZNS1_14partition_implILS8_4ELb0ES6_15HIP_vector_typeIjLj2EENS0_17counting_iteratorIjlEEPS9_SG_NS0_5tupleIJPjSI_NS0_16reverse_iteratorISI_EEEEENSH_IJSG_SG_SG_EEES9_SI_JZNS1_25segmented_radix_sort_implINS0_14default_configELb1EPKdPdPKlPlN2at6native12_GLOBAL__N_18offset_tEEE10hipError_tPvRmT1_PNSt15iterator_traitsIS12_E10value_typeET2_T3_PNS13_IS18_E10value_typeET4_jRbjT5_S1E_jjP12ihipStream_tbEUljE_ZNSN_ISO_Lb1ESQ_SR_ST_SU_SY_EESZ_S10_S11_S12_S16_S17_S18_S1B_S1C_jS1D_jS1E_S1E_jjS1G_bEUljE0_EEESZ_S10_S11_S18_S1C_S1E_T6_T7_T9_mT8_S1G_bDpT10_ENKUlT_T0_E_clISt17integral_constantIbLb0EES1T_IbLb1EEEEDaS1P_S1Q_EUlS1P_E_NS1_11comp_targetILNS1_3genE8ELNS1_11target_archE1030ELNS1_3gpuE2ELNS1_3repE0EEENS1_30default_config_static_selectorELNS0_4arch9wavefront6targetE1EEEvS12_,comdat
	.globl	_ZN7rocprim17ROCPRIM_400000_NS6detail17trampoline_kernelINS0_13select_configILj256ELj13ELNS0_17block_load_methodE3ELS4_3ELS4_3ELNS0_20block_scan_algorithmE0ELj4294967295EEENS1_25partition_config_selectorILNS1_17partition_subalgoE4EjNS0_10empty_typeEbEEZZNS1_14partition_implILS8_4ELb0ES6_15HIP_vector_typeIjLj2EENS0_17counting_iteratorIjlEEPS9_SG_NS0_5tupleIJPjSI_NS0_16reverse_iteratorISI_EEEEENSH_IJSG_SG_SG_EEES9_SI_JZNS1_25segmented_radix_sort_implINS0_14default_configELb1EPKdPdPKlPlN2at6native12_GLOBAL__N_18offset_tEEE10hipError_tPvRmT1_PNSt15iterator_traitsIS12_E10value_typeET2_T3_PNS13_IS18_E10value_typeET4_jRbjT5_S1E_jjP12ihipStream_tbEUljE_ZNSN_ISO_Lb1ESQ_SR_ST_SU_SY_EESZ_S10_S11_S12_S16_S17_S18_S1B_S1C_jS1D_jS1E_S1E_jjS1G_bEUljE0_EEESZ_S10_S11_S18_S1C_S1E_T6_T7_T9_mT8_S1G_bDpT10_ENKUlT_T0_E_clISt17integral_constantIbLb0EES1T_IbLb1EEEEDaS1P_S1Q_EUlS1P_E_NS1_11comp_targetILNS1_3genE8ELNS1_11target_archE1030ELNS1_3gpuE2ELNS1_3repE0EEENS1_30default_config_static_selectorELNS0_4arch9wavefront6targetE1EEEvS12_ ; -- Begin function _ZN7rocprim17ROCPRIM_400000_NS6detail17trampoline_kernelINS0_13select_configILj256ELj13ELNS0_17block_load_methodE3ELS4_3ELS4_3ELNS0_20block_scan_algorithmE0ELj4294967295EEENS1_25partition_config_selectorILNS1_17partition_subalgoE4EjNS0_10empty_typeEbEEZZNS1_14partition_implILS8_4ELb0ES6_15HIP_vector_typeIjLj2EENS0_17counting_iteratorIjlEEPS9_SG_NS0_5tupleIJPjSI_NS0_16reverse_iteratorISI_EEEEENSH_IJSG_SG_SG_EEES9_SI_JZNS1_25segmented_radix_sort_implINS0_14default_configELb1EPKdPdPKlPlN2at6native12_GLOBAL__N_18offset_tEEE10hipError_tPvRmT1_PNSt15iterator_traitsIS12_E10value_typeET2_T3_PNS13_IS18_E10value_typeET4_jRbjT5_S1E_jjP12ihipStream_tbEUljE_ZNSN_ISO_Lb1ESQ_SR_ST_SU_SY_EESZ_S10_S11_S12_S16_S17_S18_S1B_S1C_jS1D_jS1E_S1E_jjS1G_bEUljE0_EEESZ_S10_S11_S18_S1C_S1E_T6_T7_T9_mT8_S1G_bDpT10_ENKUlT_T0_E_clISt17integral_constantIbLb0EES1T_IbLb1EEEEDaS1P_S1Q_EUlS1P_E_NS1_11comp_targetILNS1_3genE8ELNS1_11target_archE1030ELNS1_3gpuE2ELNS1_3repE0EEENS1_30default_config_static_selectorELNS0_4arch9wavefront6targetE1EEEvS12_
	.p2align	8
	.type	_ZN7rocprim17ROCPRIM_400000_NS6detail17trampoline_kernelINS0_13select_configILj256ELj13ELNS0_17block_load_methodE3ELS4_3ELS4_3ELNS0_20block_scan_algorithmE0ELj4294967295EEENS1_25partition_config_selectorILNS1_17partition_subalgoE4EjNS0_10empty_typeEbEEZZNS1_14partition_implILS8_4ELb0ES6_15HIP_vector_typeIjLj2EENS0_17counting_iteratorIjlEEPS9_SG_NS0_5tupleIJPjSI_NS0_16reverse_iteratorISI_EEEEENSH_IJSG_SG_SG_EEES9_SI_JZNS1_25segmented_radix_sort_implINS0_14default_configELb1EPKdPdPKlPlN2at6native12_GLOBAL__N_18offset_tEEE10hipError_tPvRmT1_PNSt15iterator_traitsIS12_E10value_typeET2_T3_PNS13_IS18_E10value_typeET4_jRbjT5_S1E_jjP12ihipStream_tbEUljE_ZNSN_ISO_Lb1ESQ_SR_ST_SU_SY_EESZ_S10_S11_S12_S16_S17_S18_S1B_S1C_jS1D_jS1E_S1E_jjS1G_bEUljE0_EEESZ_S10_S11_S18_S1C_S1E_T6_T7_T9_mT8_S1G_bDpT10_ENKUlT_T0_E_clISt17integral_constantIbLb0EES1T_IbLb1EEEEDaS1P_S1Q_EUlS1P_E_NS1_11comp_targetILNS1_3genE8ELNS1_11target_archE1030ELNS1_3gpuE2ELNS1_3repE0EEENS1_30default_config_static_selectorELNS0_4arch9wavefront6targetE1EEEvS12_,@function
_ZN7rocprim17ROCPRIM_400000_NS6detail17trampoline_kernelINS0_13select_configILj256ELj13ELNS0_17block_load_methodE3ELS4_3ELS4_3ELNS0_20block_scan_algorithmE0ELj4294967295EEENS1_25partition_config_selectorILNS1_17partition_subalgoE4EjNS0_10empty_typeEbEEZZNS1_14partition_implILS8_4ELb0ES6_15HIP_vector_typeIjLj2EENS0_17counting_iteratorIjlEEPS9_SG_NS0_5tupleIJPjSI_NS0_16reverse_iteratorISI_EEEEENSH_IJSG_SG_SG_EEES9_SI_JZNS1_25segmented_radix_sort_implINS0_14default_configELb1EPKdPdPKlPlN2at6native12_GLOBAL__N_18offset_tEEE10hipError_tPvRmT1_PNSt15iterator_traitsIS12_E10value_typeET2_T3_PNS13_IS18_E10value_typeET4_jRbjT5_S1E_jjP12ihipStream_tbEUljE_ZNSN_ISO_Lb1ESQ_SR_ST_SU_SY_EESZ_S10_S11_S12_S16_S17_S18_S1B_S1C_jS1D_jS1E_S1E_jjS1G_bEUljE0_EEESZ_S10_S11_S18_S1C_S1E_T6_T7_T9_mT8_S1G_bDpT10_ENKUlT_T0_E_clISt17integral_constantIbLb0EES1T_IbLb1EEEEDaS1P_S1Q_EUlS1P_E_NS1_11comp_targetILNS1_3genE8ELNS1_11target_archE1030ELNS1_3gpuE2ELNS1_3repE0EEENS1_30default_config_static_selectorELNS0_4arch9wavefront6targetE1EEEvS12_: ; @_ZN7rocprim17ROCPRIM_400000_NS6detail17trampoline_kernelINS0_13select_configILj256ELj13ELNS0_17block_load_methodE3ELS4_3ELS4_3ELNS0_20block_scan_algorithmE0ELj4294967295EEENS1_25partition_config_selectorILNS1_17partition_subalgoE4EjNS0_10empty_typeEbEEZZNS1_14partition_implILS8_4ELb0ES6_15HIP_vector_typeIjLj2EENS0_17counting_iteratorIjlEEPS9_SG_NS0_5tupleIJPjSI_NS0_16reverse_iteratorISI_EEEEENSH_IJSG_SG_SG_EEES9_SI_JZNS1_25segmented_radix_sort_implINS0_14default_configELb1EPKdPdPKlPlN2at6native12_GLOBAL__N_18offset_tEEE10hipError_tPvRmT1_PNSt15iterator_traitsIS12_E10value_typeET2_T3_PNS13_IS18_E10value_typeET4_jRbjT5_S1E_jjP12ihipStream_tbEUljE_ZNSN_ISO_Lb1ESQ_SR_ST_SU_SY_EESZ_S10_S11_S12_S16_S17_S18_S1B_S1C_jS1D_jS1E_S1E_jjS1G_bEUljE0_EEESZ_S10_S11_S18_S1C_S1E_T6_T7_T9_mT8_S1G_bDpT10_ENKUlT_T0_E_clISt17integral_constantIbLb0EES1T_IbLb1EEEEDaS1P_S1Q_EUlS1P_E_NS1_11comp_targetILNS1_3genE8ELNS1_11target_archE1030ELNS1_3gpuE2ELNS1_3repE0EEENS1_30default_config_static_selectorELNS0_4arch9wavefront6targetE1EEEvS12_
; %bb.0:
	.section	.rodata,"a",@progbits
	.p2align	6, 0x0
	.amdhsa_kernel _ZN7rocprim17ROCPRIM_400000_NS6detail17trampoline_kernelINS0_13select_configILj256ELj13ELNS0_17block_load_methodE3ELS4_3ELS4_3ELNS0_20block_scan_algorithmE0ELj4294967295EEENS1_25partition_config_selectorILNS1_17partition_subalgoE4EjNS0_10empty_typeEbEEZZNS1_14partition_implILS8_4ELb0ES6_15HIP_vector_typeIjLj2EENS0_17counting_iteratorIjlEEPS9_SG_NS0_5tupleIJPjSI_NS0_16reverse_iteratorISI_EEEEENSH_IJSG_SG_SG_EEES9_SI_JZNS1_25segmented_radix_sort_implINS0_14default_configELb1EPKdPdPKlPlN2at6native12_GLOBAL__N_18offset_tEEE10hipError_tPvRmT1_PNSt15iterator_traitsIS12_E10value_typeET2_T3_PNS13_IS18_E10value_typeET4_jRbjT5_S1E_jjP12ihipStream_tbEUljE_ZNSN_ISO_Lb1ESQ_SR_ST_SU_SY_EESZ_S10_S11_S12_S16_S17_S18_S1B_S1C_jS1D_jS1E_S1E_jjS1G_bEUljE0_EEESZ_S10_S11_S18_S1C_S1E_T6_T7_T9_mT8_S1G_bDpT10_ENKUlT_T0_E_clISt17integral_constantIbLb0EES1T_IbLb1EEEEDaS1P_S1Q_EUlS1P_E_NS1_11comp_targetILNS1_3genE8ELNS1_11target_archE1030ELNS1_3gpuE2ELNS1_3repE0EEENS1_30default_config_static_selectorELNS0_4arch9wavefront6targetE1EEEvS12_
		.amdhsa_group_segment_fixed_size 0
		.amdhsa_private_segment_fixed_size 0
		.amdhsa_kernarg_size 184
		.amdhsa_user_sgpr_count 6
		.amdhsa_user_sgpr_private_segment_buffer 1
		.amdhsa_user_sgpr_dispatch_ptr 0
		.amdhsa_user_sgpr_queue_ptr 0
		.amdhsa_user_sgpr_kernarg_segment_ptr 1
		.amdhsa_user_sgpr_dispatch_id 0
		.amdhsa_user_sgpr_flat_scratch_init 0
		.amdhsa_user_sgpr_kernarg_preload_length 0
		.amdhsa_user_sgpr_kernarg_preload_offset 0
		.amdhsa_user_sgpr_private_segment_size 0
		.amdhsa_uses_dynamic_stack 0
		.amdhsa_system_sgpr_private_segment_wavefront_offset 0
		.amdhsa_system_sgpr_workgroup_id_x 1
		.amdhsa_system_sgpr_workgroup_id_y 0
		.amdhsa_system_sgpr_workgroup_id_z 0
		.amdhsa_system_sgpr_workgroup_info 0
		.amdhsa_system_vgpr_workitem_id 0
		.amdhsa_next_free_vgpr 1
		.amdhsa_next_free_sgpr 0
		.amdhsa_accum_offset 4
		.amdhsa_reserve_vcc 0
		.amdhsa_reserve_flat_scratch 0
		.amdhsa_float_round_mode_32 0
		.amdhsa_float_round_mode_16_64 0
		.amdhsa_float_denorm_mode_32 3
		.amdhsa_float_denorm_mode_16_64 3
		.amdhsa_dx10_clamp 1
		.amdhsa_ieee_mode 1
		.amdhsa_fp16_overflow 0
		.amdhsa_tg_split 0
		.amdhsa_exception_fp_ieee_invalid_op 0
		.amdhsa_exception_fp_denorm_src 0
		.amdhsa_exception_fp_ieee_div_zero 0
		.amdhsa_exception_fp_ieee_overflow 0
		.amdhsa_exception_fp_ieee_underflow 0
		.amdhsa_exception_fp_ieee_inexact 0
		.amdhsa_exception_int_div_zero 0
	.end_amdhsa_kernel
	.section	.text._ZN7rocprim17ROCPRIM_400000_NS6detail17trampoline_kernelINS0_13select_configILj256ELj13ELNS0_17block_load_methodE3ELS4_3ELS4_3ELNS0_20block_scan_algorithmE0ELj4294967295EEENS1_25partition_config_selectorILNS1_17partition_subalgoE4EjNS0_10empty_typeEbEEZZNS1_14partition_implILS8_4ELb0ES6_15HIP_vector_typeIjLj2EENS0_17counting_iteratorIjlEEPS9_SG_NS0_5tupleIJPjSI_NS0_16reverse_iteratorISI_EEEEENSH_IJSG_SG_SG_EEES9_SI_JZNS1_25segmented_radix_sort_implINS0_14default_configELb1EPKdPdPKlPlN2at6native12_GLOBAL__N_18offset_tEEE10hipError_tPvRmT1_PNSt15iterator_traitsIS12_E10value_typeET2_T3_PNS13_IS18_E10value_typeET4_jRbjT5_S1E_jjP12ihipStream_tbEUljE_ZNSN_ISO_Lb1ESQ_SR_ST_SU_SY_EESZ_S10_S11_S12_S16_S17_S18_S1B_S1C_jS1D_jS1E_S1E_jjS1G_bEUljE0_EEESZ_S10_S11_S18_S1C_S1E_T6_T7_T9_mT8_S1G_bDpT10_ENKUlT_T0_E_clISt17integral_constantIbLb0EES1T_IbLb1EEEEDaS1P_S1Q_EUlS1P_E_NS1_11comp_targetILNS1_3genE8ELNS1_11target_archE1030ELNS1_3gpuE2ELNS1_3repE0EEENS1_30default_config_static_selectorELNS0_4arch9wavefront6targetE1EEEvS12_,"axG",@progbits,_ZN7rocprim17ROCPRIM_400000_NS6detail17trampoline_kernelINS0_13select_configILj256ELj13ELNS0_17block_load_methodE3ELS4_3ELS4_3ELNS0_20block_scan_algorithmE0ELj4294967295EEENS1_25partition_config_selectorILNS1_17partition_subalgoE4EjNS0_10empty_typeEbEEZZNS1_14partition_implILS8_4ELb0ES6_15HIP_vector_typeIjLj2EENS0_17counting_iteratorIjlEEPS9_SG_NS0_5tupleIJPjSI_NS0_16reverse_iteratorISI_EEEEENSH_IJSG_SG_SG_EEES9_SI_JZNS1_25segmented_radix_sort_implINS0_14default_configELb1EPKdPdPKlPlN2at6native12_GLOBAL__N_18offset_tEEE10hipError_tPvRmT1_PNSt15iterator_traitsIS12_E10value_typeET2_T3_PNS13_IS18_E10value_typeET4_jRbjT5_S1E_jjP12ihipStream_tbEUljE_ZNSN_ISO_Lb1ESQ_SR_ST_SU_SY_EESZ_S10_S11_S12_S16_S17_S18_S1B_S1C_jS1D_jS1E_S1E_jjS1G_bEUljE0_EEESZ_S10_S11_S18_S1C_S1E_T6_T7_T9_mT8_S1G_bDpT10_ENKUlT_T0_E_clISt17integral_constantIbLb0EES1T_IbLb1EEEEDaS1P_S1Q_EUlS1P_E_NS1_11comp_targetILNS1_3genE8ELNS1_11target_archE1030ELNS1_3gpuE2ELNS1_3repE0EEENS1_30default_config_static_selectorELNS0_4arch9wavefront6targetE1EEEvS12_,comdat
.Lfunc_end1083:
	.size	_ZN7rocprim17ROCPRIM_400000_NS6detail17trampoline_kernelINS0_13select_configILj256ELj13ELNS0_17block_load_methodE3ELS4_3ELS4_3ELNS0_20block_scan_algorithmE0ELj4294967295EEENS1_25partition_config_selectorILNS1_17partition_subalgoE4EjNS0_10empty_typeEbEEZZNS1_14partition_implILS8_4ELb0ES6_15HIP_vector_typeIjLj2EENS0_17counting_iteratorIjlEEPS9_SG_NS0_5tupleIJPjSI_NS0_16reverse_iteratorISI_EEEEENSH_IJSG_SG_SG_EEES9_SI_JZNS1_25segmented_radix_sort_implINS0_14default_configELb1EPKdPdPKlPlN2at6native12_GLOBAL__N_18offset_tEEE10hipError_tPvRmT1_PNSt15iterator_traitsIS12_E10value_typeET2_T3_PNS13_IS18_E10value_typeET4_jRbjT5_S1E_jjP12ihipStream_tbEUljE_ZNSN_ISO_Lb1ESQ_SR_ST_SU_SY_EESZ_S10_S11_S12_S16_S17_S18_S1B_S1C_jS1D_jS1E_S1E_jjS1G_bEUljE0_EEESZ_S10_S11_S18_S1C_S1E_T6_T7_T9_mT8_S1G_bDpT10_ENKUlT_T0_E_clISt17integral_constantIbLb0EES1T_IbLb1EEEEDaS1P_S1Q_EUlS1P_E_NS1_11comp_targetILNS1_3genE8ELNS1_11target_archE1030ELNS1_3gpuE2ELNS1_3repE0EEENS1_30default_config_static_selectorELNS0_4arch9wavefront6targetE1EEEvS12_, .Lfunc_end1083-_ZN7rocprim17ROCPRIM_400000_NS6detail17trampoline_kernelINS0_13select_configILj256ELj13ELNS0_17block_load_methodE3ELS4_3ELS4_3ELNS0_20block_scan_algorithmE0ELj4294967295EEENS1_25partition_config_selectorILNS1_17partition_subalgoE4EjNS0_10empty_typeEbEEZZNS1_14partition_implILS8_4ELb0ES6_15HIP_vector_typeIjLj2EENS0_17counting_iteratorIjlEEPS9_SG_NS0_5tupleIJPjSI_NS0_16reverse_iteratorISI_EEEEENSH_IJSG_SG_SG_EEES9_SI_JZNS1_25segmented_radix_sort_implINS0_14default_configELb1EPKdPdPKlPlN2at6native12_GLOBAL__N_18offset_tEEE10hipError_tPvRmT1_PNSt15iterator_traitsIS12_E10value_typeET2_T3_PNS13_IS18_E10value_typeET4_jRbjT5_S1E_jjP12ihipStream_tbEUljE_ZNSN_ISO_Lb1ESQ_SR_ST_SU_SY_EESZ_S10_S11_S12_S16_S17_S18_S1B_S1C_jS1D_jS1E_S1E_jjS1G_bEUljE0_EEESZ_S10_S11_S18_S1C_S1E_T6_T7_T9_mT8_S1G_bDpT10_ENKUlT_T0_E_clISt17integral_constantIbLb0EES1T_IbLb1EEEEDaS1P_S1Q_EUlS1P_E_NS1_11comp_targetILNS1_3genE8ELNS1_11target_archE1030ELNS1_3gpuE2ELNS1_3repE0EEENS1_30default_config_static_selectorELNS0_4arch9wavefront6targetE1EEEvS12_
                                        ; -- End function
	.section	.AMDGPU.csdata,"",@progbits
; Kernel info:
; codeLenInByte = 0
; NumSgprs: 4
; NumVgprs: 0
; NumAgprs: 0
; TotalNumVgprs: 0
; ScratchSize: 0
; MemoryBound: 0
; FloatMode: 240
; IeeeMode: 1
; LDSByteSize: 0 bytes/workgroup (compile time only)
; SGPRBlocks: 0
; VGPRBlocks: 0
; NumSGPRsForWavesPerEU: 4
; NumVGPRsForWavesPerEU: 1
; AccumOffset: 4
; Occupancy: 8
; WaveLimiterHint : 0
; COMPUTE_PGM_RSRC2:SCRATCH_EN: 0
; COMPUTE_PGM_RSRC2:USER_SGPR: 6
; COMPUTE_PGM_RSRC2:TRAP_HANDLER: 0
; COMPUTE_PGM_RSRC2:TGID_X_EN: 1
; COMPUTE_PGM_RSRC2:TGID_Y_EN: 0
; COMPUTE_PGM_RSRC2:TGID_Z_EN: 0
; COMPUTE_PGM_RSRC2:TIDIG_COMP_CNT: 0
; COMPUTE_PGM_RSRC3_GFX90A:ACCUM_OFFSET: 0
; COMPUTE_PGM_RSRC3_GFX90A:TG_SPLIT: 0
	.section	.text._ZN7rocprim17ROCPRIM_400000_NS6detail17trampoline_kernelINS0_13select_configILj256ELj13ELNS0_17block_load_methodE3ELS4_3ELS4_3ELNS0_20block_scan_algorithmE0ELj4294967295EEENS1_25partition_config_selectorILNS1_17partition_subalgoE3EjNS0_10empty_typeEbEEZZNS1_14partition_implILS8_3ELb0ES6_jNS0_17counting_iteratorIjlEEPS9_SE_NS0_5tupleIJPjSE_EEENSF_IJSE_SE_EEES9_SG_JZNS1_25segmented_radix_sort_implINS0_14default_configELb1EPKdPdPKlPlN2at6native12_GLOBAL__N_18offset_tEEE10hipError_tPvRmT1_PNSt15iterator_traitsISY_E10value_typeET2_T3_PNSZ_IS14_E10value_typeET4_jRbjT5_S1A_jjP12ihipStream_tbEUljE_EEESV_SW_SX_S14_S18_S1A_T6_T7_T9_mT8_S1C_bDpT10_ENKUlT_T0_E_clISt17integral_constantIbLb0EES1P_EEDaS1K_S1L_EUlS1K_E_NS1_11comp_targetILNS1_3genE0ELNS1_11target_archE4294967295ELNS1_3gpuE0ELNS1_3repE0EEENS1_30default_config_static_selectorELNS0_4arch9wavefront6targetE1EEEvSY_,"axG",@progbits,_ZN7rocprim17ROCPRIM_400000_NS6detail17trampoline_kernelINS0_13select_configILj256ELj13ELNS0_17block_load_methodE3ELS4_3ELS4_3ELNS0_20block_scan_algorithmE0ELj4294967295EEENS1_25partition_config_selectorILNS1_17partition_subalgoE3EjNS0_10empty_typeEbEEZZNS1_14partition_implILS8_3ELb0ES6_jNS0_17counting_iteratorIjlEEPS9_SE_NS0_5tupleIJPjSE_EEENSF_IJSE_SE_EEES9_SG_JZNS1_25segmented_radix_sort_implINS0_14default_configELb1EPKdPdPKlPlN2at6native12_GLOBAL__N_18offset_tEEE10hipError_tPvRmT1_PNSt15iterator_traitsISY_E10value_typeET2_T3_PNSZ_IS14_E10value_typeET4_jRbjT5_S1A_jjP12ihipStream_tbEUljE_EEESV_SW_SX_S14_S18_S1A_T6_T7_T9_mT8_S1C_bDpT10_ENKUlT_T0_E_clISt17integral_constantIbLb0EES1P_EEDaS1K_S1L_EUlS1K_E_NS1_11comp_targetILNS1_3genE0ELNS1_11target_archE4294967295ELNS1_3gpuE0ELNS1_3repE0EEENS1_30default_config_static_selectorELNS0_4arch9wavefront6targetE1EEEvSY_,comdat
	.globl	_ZN7rocprim17ROCPRIM_400000_NS6detail17trampoline_kernelINS0_13select_configILj256ELj13ELNS0_17block_load_methodE3ELS4_3ELS4_3ELNS0_20block_scan_algorithmE0ELj4294967295EEENS1_25partition_config_selectorILNS1_17partition_subalgoE3EjNS0_10empty_typeEbEEZZNS1_14partition_implILS8_3ELb0ES6_jNS0_17counting_iteratorIjlEEPS9_SE_NS0_5tupleIJPjSE_EEENSF_IJSE_SE_EEES9_SG_JZNS1_25segmented_radix_sort_implINS0_14default_configELb1EPKdPdPKlPlN2at6native12_GLOBAL__N_18offset_tEEE10hipError_tPvRmT1_PNSt15iterator_traitsISY_E10value_typeET2_T3_PNSZ_IS14_E10value_typeET4_jRbjT5_S1A_jjP12ihipStream_tbEUljE_EEESV_SW_SX_S14_S18_S1A_T6_T7_T9_mT8_S1C_bDpT10_ENKUlT_T0_E_clISt17integral_constantIbLb0EES1P_EEDaS1K_S1L_EUlS1K_E_NS1_11comp_targetILNS1_3genE0ELNS1_11target_archE4294967295ELNS1_3gpuE0ELNS1_3repE0EEENS1_30default_config_static_selectorELNS0_4arch9wavefront6targetE1EEEvSY_ ; -- Begin function _ZN7rocprim17ROCPRIM_400000_NS6detail17trampoline_kernelINS0_13select_configILj256ELj13ELNS0_17block_load_methodE3ELS4_3ELS4_3ELNS0_20block_scan_algorithmE0ELj4294967295EEENS1_25partition_config_selectorILNS1_17partition_subalgoE3EjNS0_10empty_typeEbEEZZNS1_14partition_implILS8_3ELb0ES6_jNS0_17counting_iteratorIjlEEPS9_SE_NS0_5tupleIJPjSE_EEENSF_IJSE_SE_EEES9_SG_JZNS1_25segmented_radix_sort_implINS0_14default_configELb1EPKdPdPKlPlN2at6native12_GLOBAL__N_18offset_tEEE10hipError_tPvRmT1_PNSt15iterator_traitsISY_E10value_typeET2_T3_PNSZ_IS14_E10value_typeET4_jRbjT5_S1A_jjP12ihipStream_tbEUljE_EEESV_SW_SX_S14_S18_S1A_T6_T7_T9_mT8_S1C_bDpT10_ENKUlT_T0_E_clISt17integral_constantIbLb0EES1P_EEDaS1K_S1L_EUlS1K_E_NS1_11comp_targetILNS1_3genE0ELNS1_11target_archE4294967295ELNS1_3gpuE0ELNS1_3repE0EEENS1_30default_config_static_selectorELNS0_4arch9wavefront6targetE1EEEvSY_
	.p2align	8
	.type	_ZN7rocprim17ROCPRIM_400000_NS6detail17trampoline_kernelINS0_13select_configILj256ELj13ELNS0_17block_load_methodE3ELS4_3ELS4_3ELNS0_20block_scan_algorithmE0ELj4294967295EEENS1_25partition_config_selectorILNS1_17partition_subalgoE3EjNS0_10empty_typeEbEEZZNS1_14partition_implILS8_3ELb0ES6_jNS0_17counting_iteratorIjlEEPS9_SE_NS0_5tupleIJPjSE_EEENSF_IJSE_SE_EEES9_SG_JZNS1_25segmented_radix_sort_implINS0_14default_configELb1EPKdPdPKlPlN2at6native12_GLOBAL__N_18offset_tEEE10hipError_tPvRmT1_PNSt15iterator_traitsISY_E10value_typeET2_T3_PNSZ_IS14_E10value_typeET4_jRbjT5_S1A_jjP12ihipStream_tbEUljE_EEESV_SW_SX_S14_S18_S1A_T6_T7_T9_mT8_S1C_bDpT10_ENKUlT_T0_E_clISt17integral_constantIbLb0EES1P_EEDaS1K_S1L_EUlS1K_E_NS1_11comp_targetILNS1_3genE0ELNS1_11target_archE4294967295ELNS1_3gpuE0ELNS1_3repE0EEENS1_30default_config_static_selectorELNS0_4arch9wavefront6targetE1EEEvSY_,@function
_ZN7rocprim17ROCPRIM_400000_NS6detail17trampoline_kernelINS0_13select_configILj256ELj13ELNS0_17block_load_methodE3ELS4_3ELS4_3ELNS0_20block_scan_algorithmE0ELj4294967295EEENS1_25partition_config_selectorILNS1_17partition_subalgoE3EjNS0_10empty_typeEbEEZZNS1_14partition_implILS8_3ELb0ES6_jNS0_17counting_iteratorIjlEEPS9_SE_NS0_5tupleIJPjSE_EEENSF_IJSE_SE_EEES9_SG_JZNS1_25segmented_radix_sort_implINS0_14default_configELb1EPKdPdPKlPlN2at6native12_GLOBAL__N_18offset_tEEE10hipError_tPvRmT1_PNSt15iterator_traitsISY_E10value_typeET2_T3_PNSZ_IS14_E10value_typeET4_jRbjT5_S1A_jjP12ihipStream_tbEUljE_EEESV_SW_SX_S14_S18_S1A_T6_T7_T9_mT8_S1C_bDpT10_ENKUlT_T0_E_clISt17integral_constantIbLb0EES1P_EEDaS1K_S1L_EUlS1K_E_NS1_11comp_targetILNS1_3genE0ELNS1_11target_archE4294967295ELNS1_3gpuE0ELNS1_3repE0EEENS1_30default_config_static_selectorELNS0_4arch9wavefront6targetE1EEEvSY_: ; @_ZN7rocprim17ROCPRIM_400000_NS6detail17trampoline_kernelINS0_13select_configILj256ELj13ELNS0_17block_load_methodE3ELS4_3ELS4_3ELNS0_20block_scan_algorithmE0ELj4294967295EEENS1_25partition_config_selectorILNS1_17partition_subalgoE3EjNS0_10empty_typeEbEEZZNS1_14partition_implILS8_3ELb0ES6_jNS0_17counting_iteratorIjlEEPS9_SE_NS0_5tupleIJPjSE_EEENSF_IJSE_SE_EEES9_SG_JZNS1_25segmented_radix_sort_implINS0_14default_configELb1EPKdPdPKlPlN2at6native12_GLOBAL__N_18offset_tEEE10hipError_tPvRmT1_PNSt15iterator_traitsISY_E10value_typeET2_T3_PNSZ_IS14_E10value_typeET4_jRbjT5_S1A_jjP12ihipStream_tbEUljE_EEESV_SW_SX_S14_S18_S1A_T6_T7_T9_mT8_S1C_bDpT10_ENKUlT_T0_E_clISt17integral_constantIbLb0EES1P_EEDaS1K_S1L_EUlS1K_E_NS1_11comp_targetILNS1_3genE0ELNS1_11target_archE4294967295ELNS1_3gpuE0ELNS1_3repE0EEENS1_30default_config_static_selectorELNS0_4arch9wavefront6targetE1EEEvSY_
; %bb.0:
	.section	.rodata,"a",@progbits
	.p2align	6, 0x0
	.amdhsa_kernel _ZN7rocprim17ROCPRIM_400000_NS6detail17trampoline_kernelINS0_13select_configILj256ELj13ELNS0_17block_load_methodE3ELS4_3ELS4_3ELNS0_20block_scan_algorithmE0ELj4294967295EEENS1_25partition_config_selectorILNS1_17partition_subalgoE3EjNS0_10empty_typeEbEEZZNS1_14partition_implILS8_3ELb0ES6_jNS0_17counting_iteratorIjlEEPS9_SE_NS0_5tupleIJPjSE_EEENSF_IJSE_SE_EEES9_SG_JZNS1_25segmented_radix_sort_implINS0_14default_configELb1EPKdPdPKlPlN2at6native12_GLOBAL__N_18offset_tEEE10hipError_tPvRmT1_PNSt15iterator_traitsISY_E10value_typeET2_T3_PNSZ_IS14_E10value_typeET4_jRbjT5_S1A_jjP12ihipStream_tbEUljE_EEESV_SW_SX_S14_S18_S1A_T6_T7_T9_mT8_S1C_bDpT10_ENKUlT_T0_E_clISt17integral_constantIbLb0EES1P_EEDaS1K_S1L_EUlS1K_E_NS1_11comp_targetILNS1_3genE0ELNS1_11target_archE4294967295ELNS1_3gpuE0ELNS1_3repE0EEENS1_30default_config_static_selectorELNS0_4arch9wavefront6targetE1EEEvSY_
		.amdhsa_group_segment_fixed_size 0
		.amdhsa_private_segment_fixed_size 0
		.amdhsa_kernarg_size 144
		.amdhsa_user_sgpr_count 6
		.amdhsa_user_sgpr_private_segment_buffer 1
		.amdhsa_user_sgpr_dispatch_ptr 0
		.amdhsa_user_sgpr_queue_ptr 0
		.amdhsa_user_sgpr_kernarg_segment_ptr 1
		.amdhsa_user_sgpr_dispatch_id 0
		.amdhsa_user_sgpr_flat_scratch_init 0
		.amdhsa_user_sgpr_kernarg_preload_length 0
		.amdhsa_user_sgpr_kernarg_preload_offset 0
		.amdhsa_user_sgpr_private_segment_size 0
		.amdhsa_uses_dynamic_stack 0
		.amdhsa_system_sgpr_private_segment_wavefront_offset 0
		.amdhsa_system_sgpr_workgroup_id_x 1
		.amdhsa_system_sgpr_workgroup_id_y 0
		.amdhsa_system_sgpr_workgroup_id_z 0
		.amdhsa_system_sgpr_workgroup_info 0
		.amdhsa_system_vgpr_workitem_id 0
		.amdhsa_next_free_vgpr 1
		.amdhsa_next_free_sgpr 0
		.amdhsa_accum_offset 4
		.amdhsa_reserve_vcc 0
		.amdhsa_reserve_flat_scratch 0
		.amdhsa_float_round_mode_32 0
		.amdhsa_float_round_mode_16_64 0
		.amdhsa_float_denorm_mode_32 3
		.amdhsa_float_denorm_mode_16_64 3
		.amdhsa_dx10_clamp 1
		.amdhsa_ieee_mode 1
		.amdhsa_fp16_overflow 0
		.amdhsa_tg_split 0
		.amdhsa_exception_fp_ieee_invalid_op 0
		.amdhsa_exception_fp_denorm_src 0
		.amdhsa_exception_fp_ieee_div_zero 0
		.amdhsa_exception_fp_ieee_overflow 0
		.amdhsa_exception_fp_ieee_underflow 0
		.amdhsa_exception_fp_ieee_inexact 0
		.amdhsa_exception_int_div_zero 0
	.end_amdhsa_kernel
	.section	.text._ZN7rocprim17ROCPRIM_400000_NS6detail17trampoline_kernelINS0_13select_configILj256ELj13ELNS0_17block_load_methodE3ELS4_3ELS4_3ELNS0_20block_scan_algorithmE0ELj4294967295EEENS1_25partition_config_selectorILNS1_17partition_subalgoE3EjNS0_10empty_typeEbEEZZNS1_14partition_implILS8_3ELb0ES6_jNS0_17counting_iteratorIjlEEPS9_SE_NS0_5tupleIJPjSE_EEENSF_IJSE_SE_EEES9_SG_JZNS1_25segmented_radix_sort_implINS0_14default_configELb1EPKdPdPKlPlN2at6native12_GLOBAL__N_18offset_tEEE10hipError_tPvRmT1_PNSt15iterator_traitsISY_E10value_typeET2_T3_PNSZ_IS14_E10value_typeET4_jRbjT5_S1A_jjP12ihipStream_tbEUljE_EEESV_SW_SX_S14_S18_S1A_T6_T7_T9_mT8_S1C_bDpT10_ENKUlT_T0_E_clISt17integral_constantIbLb0EES1P_EEDaS1K_S1L_EUlS1K_E_NS1_11comp_targetILNS1_3genE0ELNS1_11target_archE4294967295ELNS1_3gpuE0ELNS1_3repE0EEENS1_30default_config_static_selectorELNS0_4arch9wavefront6targetE1EEEvSY_,"axG",@progbits,_ZN7rocprim17ROCPRIM_400000_NS6detail17trampoline_kernelINS0_13select_configILj256ELj13ELNS0_17block_load_methodE3ELS4_3ELS4_3ELNS0_20block_scan_algorithmE0ELj4294967295EEENS1_25partition_config_selectorILNS1_17partition_subalgoE3EjNS0_10empty_typeEbEEZZNS1_14partition_implILS8_3ELb0ES6_jNS0_17counting_iteratorIjlEEPS9_SE_NS0_5tupleIJPjSE_EEENSF_IJSE_SE_EEES9_SG_JZNS1_25segmented_radix_sort_implINS0_14default_configELb1EPKdPdPKlPlN2at6native12_GLOBAL__N_18offset_tEEE10hipError_tPvRmT1_PNSt15iterator_traitsISY_E10value_typeET2_T3_PNSZ_IS14_E10value_typeET4_jRbjT5_S1A_jjP12ihipStream_tbEUljE_EEESV_SW_SX_S14_S18_S1A_T6_T7_T9_mT8_S1C_bDpT10_ENKUlT_T0_E_clISt17integral_constantIbLb0EES1P_EEDaS1K_S1L_EUlS1K_E_NS1_11comp_targetILNS1_3genE0ELNS1_11target_archE4294967295ELNS1_3gpuE0ELNS1_3repE0EEENS1_30default_config_static_selectorELNS0_4arch9wavefront6targetE1EEEvSY_,comdat
.Lfunc_end1084:
	.size	_ZN7rocprim17ROCPRIM_400000_NS6detail17trampoline_kernelINS0_13select_configILj256ELj13ELNS0_17block_load_methodE3ELS4_3ELS4_3ELNS0_20block_scan_algorithmE0ELj4294967295EEENS1_25partition_config_selectorILNS1_17partition_subalgoE3EjNS0_10empty_typeEbEEZZNS1_14partition_implILS8_3ELb0ES6_jNS0_17counting_iteratorIjlEEPS9_SE_NS0_5tupleIJPjSE_EEENSF_IJSE_SE_EEES9_SG_JZNS1_25segmented_radix_sort_implINS0_14default_configELb1EPKdPdPKlPlN2at6native12_GLOBAL__N_18offset_tEEE10hipError_tPvRmT1_PNSt15iterator_traitsISY_E10value_typeET2_T3_PNSZ_IS14_E10value_typeET4_jRbjT5_S1A_jjP12ihipStream_tbEUljE_EEESV_SW_SX_S14_S18_S1A_T6_T7_T9_mT8_S1C_bDpT10_ENKUlT_T0_E_clISt17integral_constantIbLb0EES1P_EEDaS1K_S1L_EUlS1K_E_NS1_11comp_targetILNS1_3genE0ELNS1_11target_archE4294967295ELNS1_3gpuE0ELNS1_3repE0EEENS1_30default_config_static_selectorELNS0_4arch9wavefront6targetE1EEEvSY_, .Lfunc_end1084-_ZN7rocprim17ROCPRIM_400000_NS6detail17trampoline_kernelINS0_13select_configILj256ELj13ELNS0_17block_load_methodE3ELS4_3ELS4_3ELNS0_20block_scan_algorithmE0ELj4294967295EEENS1_25partition_config_selectorILNS1_17partition_subalgoE3EjNS0_10empty_typeEbEEZZNS1_14partition_implILS8_3ELb0ES6_jNS0_17counting_iteratorIjlEEPS9_SE_NS0_5tupleIJPjSE_EEENSF_IJSE_SE_EEES9_SG_JZNS1_25segmented_radix_sort_implINS0_14default_configELb1EPKdPdPKlPlN2at6native12_GLOBAL__N_18offset_tEEE10hipError_tPvRmT1_PNSt15iterator_traitsISY_E10value_typeET2_T3_PNSZ_IS14_E10value_typeET4_jRbjT5_S1A_jjP12ihipStream_tbEUljE_EEESV_SW_SX_S14_S18_S1A_T6_T7_T9_mT8_S1C_bDpT10_ENKUlT_T0_E_clISt17integral_constantIbLb0EES1P_EEDaS1K_S1L_EUlS1K_E_NS1_11comp_targetILNS1_3genE0ELNS1_11target_archE4294967295ELNS1_3gpuE0ELNS1_3repE0EEENS1_30default_config_static_selectorELNS0_4arch9wavefront6targetE1EEEvSY_
                                        ; -- End function
	.section	.AMDGPU.csdata,"",@progbits
; Kernel info:
; codeLenInByte = 0
; NumSgprs: 4
; NumVgprs: 0
; NumAgprs: 0
; TotalNumVgprs: 0
; ScratchSize: 0
; MemoryBound: 0
; FloatMode: 240
; IeeeMode: 1
; LDSByteSize: 0 bytes/workgroup (compile time only)
; SGPRBlocks: 0
; VGPRBlocks: 0
; NumSGPRsForWavesPerEU: 4
; NumVGPRsForWavesPerEU: 1
; AccumOffset: 4
; Occupancy: 8
; WaveLimiterHint : 0
; COMPUTE_PGM_RSRC2:SCRATCH_EN: 0
; COMPUTE_PGM_RSRC2:USER_SGPR: 6
; COMPUTE_PGM_RSRC2:TRAP_HANDLER: 0
; COMPUTE_PGM_RSRC2:TGID_X_EN: 1
; COMPUTE_PGM_RSRC2:TGID_Y_EN: 0
; COMPUTE_PGM_RSRC2:TGID_Z_EN: 0
; COMPUTE_PGM_RSRC2:TIDIG_COMP_CNT: 0
; COMPUTE_PGM_RSRC3_GFX90A:ACCUM_OFFSET: 0
; COMPUTE_PGM_RSRC3_GFX90A:TG_SPLIT: 0
	.section	.text._ZN7rocprim17ROCPRIM_400000_NS6detail17trampoline_kernelINS0_13select_configILj256ELj13ELNS0_17block_load_methodE3ELS4_3ELS4_3ELNS0_20block_scan_algorithmE0ELj4294967295EEENS1_25partition_config_selectorILNS1_17partition_subalgoE3EjNS0_10empty_typeEbEEZZNS1_14partition_implILS8_3ELb0ES6_jNS0_17counting_iteratorIjlEEPS9_SE_NS0_5tupleIJPjSE_EEENSF_IJSE_SE_EEES9_SG_JZNS1_25segmented_radix_sort_implINS0_14default_configELb1EPKdPdPKlPlN2at6native12_GLOBAL__N_18offset_tEEE10hipError_tPvRmT1_PNSt15iterator_traitsISY_E10value_typeET2_T3_PNSZ_IS14_E10value_typeET4_jRbjT5_S1A_jjP12ihipStream_tbEUljE_EEESV_SW_SX_S14_S18_S1A_T6_T7_T9_mT8_S1C_bDpT10_ENKUlT_T0_E_clISt17integral_constantIbLb0EES1P_EEDaS1K_S1L_EUlS1K_E_NS1_11comp_targetILNS1_3genE5ELNS1_11target_archE942ELNS1_3gpuE9ELNS1_3repE0EEENS1_30default_config_static_selectorELNS0_4arch9wavefront6targetE1EEEvSY_,"axG",@progbits,_ZN7rocprim17ROCPRIM_400000_NS6detail17trampoline_kernelINS0_13select_configILj256ELj13ELNS0_17block_load_methodE3ELS4_3ELS4_3ELNS0_20block_scan_algorithmE0ELj4294967295EEENS1_25partition_config_selectorILNS1_17partition_subalgoE3EjNS0_10empty_typeEbEEZZNS1_14partition_implILS8_3ELb0ES6_jNS0_17counting_iteratorIjlEEPS9_SE_NS0_5tupleIJPjSE_EEENSF_IJSE_SE_EEES9_SG_JZNS1_25segmented_radix_sort_implINS0_14default_configELb1EPKdPdPKlPlN2at6native12_GLOBAL__N_18offset_tEEE10hipError_tPvRmT1_PNSt15iterator_traitsISY_E10value_typeET2_T3_PNSZ_IS14_E10value_typeET4_jRbjT5_S1A_jjP12ihipStream_tbEUljE_EEESV_SW_SX_S14_S18_S1A_T6_T7_T9_mT8_S1C_bDpT10_ENKUlT_T0_E_clISt17integral_constantIbLb0EES1P_EEDaS1K_S1L_EUlS1K_E_NS1_11comp_targetILNS1_3genE5ELNS1_11target_archE942ELNS1_3gpuE9ELNS1_3repE0EEENS1_30default_config_static_selectorELNS0_4arch9wavefront6targetE1EEEvSY_,comdat
	.globl	_ZN7rocprim17ROCPRIM_400000_NS6detail17trampoline_kernelINS0_13select_configILj256ELj13ELNS0_17block_load_methodE3ELS4_3ELS4_3ELNS0_20block_scan_algorithmE0ELj4294967295EEENS1_25partition_config_selectorILNS1_17partition_subalgoE3EjNS0_10empty_typeEbEEZZNS1_14partition_implILS8_3ELb0ES6_jNS0_17counting_iteratorIjlEEPS9_SE_NS0_5tupleIJPjSE_EEENSF_IJSE_SE_EEES9_SG_JZNS1_25segmented_radix_sort_implINS0_14default_configELb1EPKdPdPKlPlN2at6native12_GLOBAL__N_18offset_tEEE10hipError_tPvRmT1_PNSt15iterator_traitsISY_E10value_typeET2_T3_PNSZ_IS14_E10value_typeET4_jRbjT5_S1A_jjP12ihipStream_tbEUljE_EEESV_SW_SX_S14_S18_S1A_T6_T7_T9_mT8_S1C_bDpT10_ENKUlT_T0_E_clISt17integral_constantIbLb0EES1P_EEDaS1K_S1L_EUlS1K_E_NS1_11comp_targetILNS1_3genE5ELNS1_11target_archE942ELNS1_3gpuE9ELNS1_3repE0EEENS1_30default_config_static_selectorELNS0_4arch9wavefront6targetE1EEEvSY_ ; -- Begin function _ZN7rocprim17ROCPRIM_400000_NS6detail17trampoline_kernelINS0_13select_configILj256ELj13ELNS0_17block_load_methodE3ELS4_3ELS4_3ELNS0_20block_scan_algorithmE0ELj4294967295EEENS1_25partition_config_selectorILNS1_17partition_subalgoE3EjNS0_10empty_typeEbEEZZNS1_14partition_implILS8_3ELb0ES6_jNS0_17counting_iteratorIjlEEPS9_SE_NS0_5tupleIJPjSE_EEENSF_IJSE_SE_EEES9_SG_JZNS1_25segmented_radix_sort_implINS0_14default_configELb1EPKdPdPKlPlN2at6native12_GLOBAL__N_18offset_tEEE10hipError_tPvRmT1_PNSt15iterator_traitsISY_E10value_typeET2_T3_PNSZ_IS14_E10value_typeET4_jRbjT5_S1A_jjP12ihipStream_tbEUljE_EEESV_SW_SX_S14_S18_S1A_T6_T7_T9_mT8_S1C_bDpT10_ENKUlT_T0_E_clISt17integral_constantIbLb0EES1P_EEDaS1K_S1L_EUlS1K_E_NS1_11comp_targetILNS1_3genE5ELNS1_11target_archE942ELNS1_3gpuE9ELNS1_3repE0EEENS1_30default_config_static_selectorELNS0_4arch9wavefront6targetE1EEEvSY_
	.p2align	8
	.type	_ZN7rocprim17ROCPRIM_400000_NS6detail17trampoline_kernelINS0_13select_configILj256ELj13ELNS0_17block_load_methodE3ELS4_3ELS4_3ELNS0_20block_scan_algorithmE0ELj4294967295EEENS1_25partition_config_selectorILNS1_17partition_subalgoE3EjNS0_10empty_typeEbEEZZNS1_14partition_implILS8_3ELb0ES6_jNS0_17counting_iteratorIjlEEPS9_SE_NS0_5tupleIJPjSE_EEENSF_IJSE_SE_EEES9_SG_JZNS1_25segmented_radix_sort_implINS0_14default_configELb1EPKdPdPKlPlN2at6native12_GLOBAL__N_18offset_tEEE10hipError_tPvRmT1_PNSt15iterator_traitsISY_E10value_typeET2_T3_PNSZ_IS14_E10value_typeET4_jRbjT5_S1A_jjP12ihipStream_tbEUljE_EEESV_SW_SX_S14_S18_S1A_T6_T7_T9_mT8_S1C_bDpT10_ENKUlT_T0_E_clISt17integral_constantIbLb0EES1P_EEDaS1K_S1L_EUlS1K_E_NS1_11comp_targetILNS1_3genE5ELNS1_11target_archE942ELNS1_3gpuE9ELNS1_3repE0EEENS1_30default_config_static_selectorELNS0_4arch9wavefront6targetE1EEEvSY_,@function
_ZN7rocprim17ROCPRIM_400000_NS6detail17trampoline_kernelINS0_13select_configILj256ELj13ELNS0_17block_load_methodE3ELS4_3ELS4_3ELNS0_20block_scan_algorithmE0ELj4294967295EEENS1_25partition_config_selectorILNS1_17partition_subalgoE3EjNS0_10empty_typeEbEEZZNS1_14partition_implILS8_3ELb0ES6_jNS0_17counting_iteratorIjlEEPS9_SE_NS0_5tupleIJPjSE_EEENSF_IJSE_SE_EEES9_SG_JZNS1_25segmented_radix_sort_implINS0_14default_configELb1EPKdPdPKlPlN2at6native12_GLOBAL__N_18offset_tEEE10hipError_tPvRmT1_PNSt15iterator_traitsISY_E10value_typeET2_T3_PNSZ_IS14_E10value_typeET4_jRbjT5_S1A_jjP12ihipStream_tbEUljE_EEESV_SW_SX_S14_S18_S1A_T6_T7_T9_mT8_S1C_bDpT10_ENKUlT_T0_E_clISt17integral_constantIbLb0EES1P_EEDaS1K_S1L_EUlS1K_E_NS1_11comp_targetILNS1_3genE5ELNS1_11target_archE942ELNS1_3gpuE9ELNS1_3repE0EEENS1_30default_config_static_selectorELNS0_4arch9wavefront6targetE1EEEvSY_: ; @_ZN7rocprim17ROCPRIM_400000_NS6detail17trampoline_kernelINS0_13select_configILj256ELj13ELNS0_17block_load_methodE3ELS4_3ELS4_3ELNS0_20block_scan_algorithmE0ELj4294967295EEENS1_25partition_config_selectorILNS1_17partition_subalgoE3EjNS0_10empty_typeEbEEZZNS1_14partition_implILS8_3ELb0ES6_jNS0_17counting_iteratorIjlEEPS9_SE_NS0_5tupleIJPjSE_EEENSF_IJSE_SE_EEES9_SG_JZNS1_25segmented_radix_sort_implINS0_14default_configELb1EPKdPdPKlPlN2at6native12_GLOBAL__N_18offset_tEEE10hipError_tPvRmT1_PNSt15iterator_traitsISY_E10value_typeET2_T3_PNSZ_IS14_E10value_typeET4_jRbjT5_S1A_jjP12ihipStream_tbEUljE_EEESV_SW_SX_S14_S18_S1A_T6_T7_T9_mT8_S1C_bDpT10_ENKUlT_T0_E_clISt17integral_constantIbLb0EES1P_EEDaS1K_S1L_EUlS1K_E_NS1_11comp_targetILNS1_3genE5ELNS1_11target_archE942ELNS1_3gpuE9ELNS1_3repE0EEENS1_30default_config_static_selectorELNS0_4arch9wavefront6targetE1EEEvSY_
; %bb.0:
	.section	.rodata,"a",@progbits
	.p2align	6, 0x0
	.amdhsa_kernel _ZN7rocprim17ROCPRIM_400000_NS6detail17trampoline_kernelINS0_13select_configILj256ELj13ELNS0_17block_load_methodE3ELS4_3ELS4_3ELNS0_20block_scan_algorithmE0ELj4294967295EEENS1_25partition_config_selectorILNS1_17partition_subalgoE3EjNS0_10empty_typeEbEEZZNS1_14partition_implILS8_3ELb0ES6_jNS0_17counting_iteratorIjlEEPS9_SE_NS0_5tupleIJPjSE_EEENSF_IJSE_SE_EEES9_SG_JZNS1_25segmented_radix_sort_implINS0_14default_configELb1EPKdPdPKlPlN2at6native12_GLOBAL__N_18offset_tEEE10hipError_tPvRmT1_PNSt15iterator_traitsISY_E10value_typeET2_T3_PNSZ_IS14_E10value_typeET4_jRbjT5_S1A_jjP12ihipStream_tbEUljE_EEESV_SW_SX_S14_S18_S1A_T6_T7_T9_mT8_S1C_bDpT10_ENKUlT_T0_E_clISt17integral_constantIbLb0EES1P_EEDaS1K_S1L_EUlS1K_E_NS1_11comp_targetILNS1_3genE5ELNS1_11target_archE942ELNS1_3gpuE9ELNS1_3repE0EEENS1_30default_config_static_selectorELNS0_4arch9wavefront6targetE1EEEvSY_
		.amdhsa_group_segment_fixed_size 0
		.amdhsa_private_segment_fixed_size 0
		.amdhsa_kernarg_size 144
		.amdhsa_user_sgpr_count 6
		.amdhsa_user_sgpr_private_segment_buffer 1
		.amdhsa_user_sgpr_dispatch_ptr 0
		.amdhsa_user_sgpr_queue_ptr 0
		.amdhsa_user_sgpr_kernarg_segment_ptr 1
		.amdhsa_user_sgpr_dispatch_id 0
		.amdhsa_user_sgpr_flat_scratch_init 0
		.amdhsa_user_sgpr_kernarg_preload_length 0
		.amdhsa_user_sgpr_kernarg_preload_offset 0
		.amdhsa_user_sgpr_private_segment_size 0
		.amdhsa_uses_dynamic_stack 0
		.amdhsa_system_sgpr_private_segment_wavefront_offset 0
		.amdhsa_system_sgpr_workgroup_id_x 1
		.amdhsa_system_sgpr_workgroup_id_y 0
		.amdhsa_system_sgpr_workgroup_id_z 0
		.amdhsa_system_sgpr_workgroup_info 0
		.amdhsa_system_vgpr_workitem_id 0
		.amdhsa_next_free_vgpr 1
		.amdhsa_next_free_sgpr 0
		.amdhsa_accum_offset 4
		.amdhsa_reserve_vcc 0
		.amdhsa_reserve_flat_scratch 0
		.amdhsa_float_round_mode_32 0
		.amdhsa_float_round_mode_16_64 0
		.amdhsa_float_denorm_mode_32 3
		.amdhsa_float_denorm_mode_16_64 3
		.amdhsa_dx10_clamp 1
		.amdhsa_ieee_mode 1
		.amdhsa_fp16_overflow 0
		.amdhsa_tg_split 0
		.amdhsa_exception_fp_ieee_invalid_op 0
		.amdhsa_exception_fp_denorm_src 0
		.amdhsa_exception_fp_ieee_div_zero 0
		.amdhsa_exception_fp_ieee_overflow 0
		.amdhsa_exception_fp_ieee_underflow 0
		.amdhsa_exception_fp_ieee_inexact 0
		.amdhsa_exception_int_div_zero 0
	.end_amdhsa_kernel
	.section	.text._ZN7rocprim17ROCPRIM_400000_NS6detail17trampoline_kernelINS0_13select_configILj256ELj13ELNS0_17block_load_methodE3ELS4_3ELS4_3ELNS0_20block_scan_algorithmE0ELj4294967295EEENS1_25partition_config_selectorILNS1_17partition_subalgoE3EjNS0_10empty_typeEbEEZZNS1_14partition_implILS8_3ELb0ES6_jNS0_17counting_iteratorIjlEEPS9_SE_NS0_5tupleIJPjSE_EEENSF_IJSE_SE_EEES9_SG_JZNS1_25segmented_radix_sort_implINS0_14default_configELb1EPKdPdPKlPlN2at6native12_GLOBAL__N_18offset_tEEE10hipError_tPvRmT1_PNSt15iterator_traitsISY_E10value_typeET2_T3_PNSZ_IS14_E10value_typeET4_jRbjT5_S1A_jjP12ihipStream_tbEUljE_EEESV_SW_SX_S14_S18_S1A_T6_T7_T9_mT8_S1C_bDpT10_ENKUlT_T0_E_clISt17integral_constantIbLb0EES1P_EEDaS1K_S1L_EUlS1K_E_NS1_11comp_targetILNS1_3genE5ELNS1_11target_archE942ELNS1_3gpuE9ELNS1_3repE0EEENS1_30default_config_static_selectorELNS0_4arch9wavefront6targetE1EEEvSY_,"axG",@progbits,_ZN7rocprim17ROCPRIM_400000_NS6detail17trampoline_kernelINS0_13select_configILj256ELj13ELNS0_17block_load_methodE3ELS4_3ELS4_3ELNS0_20block_scan_algorithmE0ELj4294967295EEENS1_25partition_config_selectorILNS1_17partition_subalgoE3EjNS0_10empty_typeEbEEZZNS1_14partition_implILS8_3ELb0ES6_jNS0_17counting_iteratorIjlEEPS9_SE_NS0_5tupleIJPjSE_EEENSF_IJSE_SE_EEES9_SG_JZNS1_25segmented_radix_sort_implINS0_14default_configELb1EPKdPdPKlPlN2at6native12_GLOBAL__N_18offset_tEEE10hipError_tPvRmT1_PNSt15iterator_traitsISY_E10value_typeET2_T3_PNSZ_IS14_E10value_typeET4_jRbjT5_S1A_jjP12ihipStream_tbEUljE_EEESV_SW_SX_S14_S18_S1A_T6_T7_T9_mT8_S1C_bDpT10_ENKUlT_T0_E_clISt17integral_constantIbLb0EES1P_EEDaS1K_S1L_EUlS1K_E_NS1_11comp_targetILNS1_3genE5ELNS1_11target_archE942ELNS1_3gpuE9ELNS1_3repE0EEENS1_30default_config_static_selectorELNS0_4arch9wavefront6targetE1EEEvSY_,comdat
.Lfunc_end1085:
	.size	_ZN7rocprim17ROCPRIM_400000_NS6detail17trampoline_kernelINS0_13select_configILj256ELj13ELNS0_17block_load_methodE3ELS4_3ELS4_3ELNS0_20block_scan_algorithmE0ELj4294967295EEENS1_25partition_config_selectorILNS1_17partition_subalgoE3EjNS0_10empty_typeEbEEZZNS1_14partition_implILS8_3ELb0ES6_jNS0_17counting_iteratorIjlEEPS9_SE_NS0_5tupleIJPjSE_EEENSF_IJSE_SE_EEES9_SG_JZNS1_25segmented_radix_sort_implINS0_14default_configELb1EPKdPdPKlPlN2at6native12_GLOBAL__N_18offset_tEEE10hipError_tPvRmT1_PNSt15iterator_traitsISY_E10value_typeET2_T3_PNSZ_IS14_E10value_typeET4_jRbjT5_S1A_jjP12ihipStream_tbEUljE_EEESV_SW_SX_S14_S18_S1A_T6_T7_T9_mT8_S1C_bDpT10_ENKUlT_T0_E_clISt17integral_constantIbLb0EES1P_EEDaS1K_S1L_EUlS1K_E_NS1_11comp_targetILNS1_3genE5ELNS1_11target_archE942ELNS1_3gpuE9ELNS1_3repE0EEENS1_30default_config_static_selectorELNS0_4arch9wavefront6targetE1EEEvSY_, .Lfunc_end1085-_ZN7rocprim17ROCPRIM_400000_NS6detail17trampoline_kernelINS0_13select_configILj256ELj13ELNS0_17block_load_methodE3ELS4_3ELS4_3ELNS0_20block_scan_algorithmE0ELj4294967295EEENS1_25partition_config_selectorILNS1_17partition_subalgoE3EjNS0_10empty_typeEbEEZZNS1_14partition_implILS8_3ELb0ES6_jNS0_17counting_iteratorIjlEEPS9_SE_NS0_5tupleIJPjSE_EEENSF_IJSE_SE_EEES9_SG_JZNS1_25segmented_radix_sort_implINS0_14default_configELb1EPKdPdPKlPlN2at6native12_GLOBAL__N_18offset_tEEE10hipError_tPvRmT1_PNSt15iterator_traitsISY_E10value_typeET2_T3_PNSZ_IS14_E10value_typeET4_jRbjT5_S1A_jjP12ihipStream_tbEUljE_EEESV_SW_SX_S14_S18_S1A_T6_T7_T9_mT8_S1C_bDpT10_ENKUlT_T0_E_clISt17integral_constantIbLb0EES1P_EEDaS1K_S1L_EUlS1K_E_NS1_11comp_targetILNS1_3genE5ELNS1_11target_archE942ELNS1_3gpuE9ELNS1_3repE0EEENS1_30default_config_static_selectorELNS0_4arch9wavefront6targetE1EEEvSY_
                                        ; -- End function
	.section	.AMDGPU.csdata,"",@progbits
; Kernel info:
; codeLenInByte = 0
; NumSgprs: 4
; NumVgprs: 0
; NumAgprs: 0
; TotalNumVgprs: 0
; ScratchSize: 0
; MemoryBound: 0
; FloatMode: 240
; IeeeMode: 1
; LDSByteSize: 0 bytes/workgroup (compile time only)
; SGPRBlocks: 0
; VGPRBlocks: 0
; NumSGPRsForWavesPerEU: 4
; NumVGPRsForWavesPerEU: 1
; AccumOffset: 4
; Occupancy: 8
; WaveLimiterHint : 0
; COMPUTE_PGM_RSRC2:SCRATCH_EN: 0
; COMPUTE_PGM_RSRC2:USER_SGPR: 6
; COMPUTE_PGM_RSRC2:TRAP_HANDLER: 0
; COMPUTE_PGM_RSRC2:TGID_X_EN: 1
; COMPUTE_PGM_RSRC2:TGID_Y_EN: 0
; COMPUTE_PGM_RSRC2:TGID_Z_EN: 0
; COMPUTE_PGM_RSRC2:TIDIG_COMP_CNT: 0
; COMPUTE_PGM_RSRC3_GFX90A:ACCUM_OFFSET: 0
; COMPUTE_PGM_RSRC3_GFX90A:TG_SPLIT: 0
	.section	.text._ZN7rocprim17ROCPRIM_400000_NS6detail17trampoline_kernelINS0_13select_configILj256ELj13ELNS0_17block_load_methodE3ELS4_3ELS4_3ELNS0_20block_scan_algorithmE0ELj4294967295EEENS1_25partition_config_selectorILNS1_17partition_subalgoE3EjNS0_10empty_typeEbEEZZNS1_14partition_implILS8_3ELb0ES6_jNS0_17counting_iteratorIjlEEPS9_SE_NS0_5tupleIJPjSE_EEENSF_IJSE_SE_EEES9_SG_JZNS1_25segmented_radix_sort_implINS0_14default_configELb1EPKdPdPKlPlN2at6native12_GLOBAL__N_18offset_tEEE10hipError_tPvRmT1_PNSt15iterator_traitsISY_E10value_typeET2_T3_PNSZ_IS14_E10value_typeET4_jRbjT5_S1A_jjP12ihipStream_tbEUljE_EEESV_SW_SX_S14_S18_S1A_T6_T7_T9_mT8_S1C_bDpT10_ENKUlT_T0_E_clISt17integral_constantIbLb0EES1P_EEDaS1K_S1L_EUlS1K_E_NS1_11comp_targetILNS1_3genE4ELNS1_11target_archE910ELNS1_3gpuE8ELNS1_3repE0EEENS1_30default_config_static_selectorELNS0_4arch9wavefront6targetE1EEEvSY_,"axG",@progbits,_ZN7rocprim17ROCPRIM_400000_NS6detail17trampoline_kernelINS0_13select_configILj256ELj13ELNS0_17block_load_methodE3ELS4_3ELS4_3ELNS0_20block_scan_algorithmE0ELj4294967295EEENS1_25partition_config_selectorILNS1_17partition_subalgoE3EjNS0_10empty_typeEbEEZZNS1_14partition_implILS8_3ELb0ES6_jNS0_17counting_iteratorIjlEEPS9_SE_NS0_5tupleIJPjSE_EEENSF_IJSE_SE_EEES9_SG_JZNS1_25segmented_radix_sort_implINS0_14default_configELb1EPKdPdPKlPlN2at6native12_GLOBAL__N_18offset_tEEE10hipError_tPvRmT1_PNSt15iterator_traitsISY_E10value_typeET2_T3_PNSZ_IS14_E10value_typeET4_jRbjT5_S1A_jjP12ihipStream_tbEUljE_EEESV_SW_SX_S14_S18_S1A_T6_T7_T9_mT8_S1C_bDpT10_ENKUlT_T0_E_clISt17integral_constantIbLb0EES1P_EEDaS1K_S1L_EUlS1K_E_NS1_11comp_targetILNS1_3genE4ELNS1_11target_archE910ELNS1_3gpuE8ELNS1_3repE0EEENS1_30default_config_static_selectorELNS0_4arch9wavefront6targetE1EEEvSY_,comdat
	.globl	_ZN7rocprim17ROCPRIM_400000_NS6detail17trampoline_kernelINS0_13select_configILj256ELj13ELNS0_17block_load_methodE3ELS4_3ELS4_3ELNS0_20block_scan_algorithmE0ELj4294967295EEENS1_25partition_config_selectorILNS1_17partition_subalgoE3EjNS0_10empty_typeEbEEZZNS1_14partition_implILS8_3ELb0ES6_jNS0_17counting_iteratorIjlEEPS9_SE_NS0_5tupleIJPjSE_EEENSF_IJSE_SE_EEES9_SG_JZNS1_25segmented_radix_sort_implINS0_14default_configELb1EPKdPdPKlPlN2at6native12_GLOBAL__N_18offset_tEEE10hipError_tPvRmT1_PNSt15iterator_traitsISY_E10value_typeET2_T3_PNSZ_IS14_E10value_typeET4_jRbjT5_S1A_jjP12ihipStream_tbEUljE_EEESV_SW_SX_S14_S18_S1A_T6_T7_T9_mT8_S1C_bDpT10_ENKUlT_T0_E_clISt17integral_constantIbLb0EES1P_EEDaS1K_S1L_EUlS1K_E_NS1_11comp_targetILNS1_3genE4ELNS1_11target_archE910ELNS1_3gpuE8ELNS1_3repE0EEENS1_30default_config_static_selectorELNS0_4arch9wavefront6targetE1EEEvSY_ ; -- Begin function _ZN7rocprim17ROCPRIM_400000_NS6detail17trampoline_kernelINS0_13select_configILj256ELj13ELNS0_17block_load_methodE3ELS4_3ELS4_3ELNS0_20block_scan_algorithmE0ELj4294967295EEENS1_25partition_config_selectorILNS1_17partition_subalgoE3EjNS0_10empty_typeEbEEZZNS1_14partition_implILS8_3ELb0ES6_jNS0_17counting_iteratorIjlEEPS9_SE_NS0_5tupleIJPjSE_EEENSF_IJSE_SE_EEES9_SG_JZNS1_25segmented_radix_sort_implINS0_14default_configELb1EPKdPdPKlPlN2at6native12_GLOBAL__N_18offset_tEEE10hipError_tPvRmT1_PNSt15iterator_traitsISY_E10value_typeET2_T3_PNSZ_IS14_E10value_typeET4_jRbjT5_S1A_jjP12ihipStream_tbEUljE_EEESV_SW_SX_S14_S18_S1A_T6_T7_T9_mT8_S1C_bDpT10_ENKUlT_T0_E_clISt17integral_constantIbLb0EES1P_EEDaS1K_S1L_EUlS1K_E_NS1_11comp_targetILNS1_3genE4ELNS1_11target_archE910ELNS1_3gpuE8ELNS1_3repE0EEENS1_30default_config_static_selectorELNS0_4arch9wavefront6targetE1EEEvSY_
	.p2align	8
	.type	_ZN7rocprim17ROCPRIM_400000_NS6detail17trampoline_kernelINS0_13select_configILj256ELj13ELNS0_17block_load_methodE3ELS4_3ELS4_3ELNS0_20block_scan_algorithmE0ELj4294967295EEENS1_25partition_config_selectorILNS1_17partition_subalgoE3EjNS0_10empty_typeEbEEZZNS1_14partition_implILS8_3ELb0ES6_jNS0_17counting_iteratorIjlEEPS9_SE_NS0_5tupleIJPjSE_EEENSF_IJSE_SE_EEES9_SG_JZNS1_25segmented_radix_sort_implINS0_14default_configELb1EPKdPdPKlPlN2at6native12_GLOBAL__N_18offset_tEEE10hipError_tPvRmT1_PNSt15iterator_traitsISY_E10value_typeET2_T3_PNSZ_IS14_E10value_typeET4_jRbjT5_S1A_jjP12ihipStream_tbEUljE_EEESV_SW_SX_S14_S18_S1A_T6_T7_T9_mT8_S1C_bDpT10_ENKUlT_T0_E_clISt17integral_constantIbLb0EES1P_EEDaS1K_S1L_EUlS1K_E_NS1_11comp_targetILNS1_3genE4ELNS1_11target_archE910ELNS1_3gpuE8ELNS1_3repE0EEENS1_30default_config_static_selectorELNS0_4arch9wavefront6targetE1EEEvSY_,@function
_ZN7rocprim17ROCPRIM_400000_NS6detail17trampoline_kernelINS0_13select_configILj256ELj13ELNS0_17block_load_methodE3ELS4_3ELS4_3ELNS0_20block_scan_algorithmE0ELj4294967295EEENS1_25partition_config_selectorILNS1_17partition_subalgoE3EjNS0_10empty_typeEbEEZZNS1_14partition_implILS8_3ELb0ES6_jNS0_17counting_iteratorIjlEEPS9_SE_NS0_5tupleIJPjSE_EEENSF_IJSE_SE_EEES9_SG_JZNS1_25segmented_radix_sort_implINS0_14default_configELb1EPKdPdPKlPlN2at6native12_GLOBAL__N_18offset_tEEE10hipError_tPvRmT1_PNSt15iterator_traitsISY_E10value_typeET2_T3_PNSZ_IS14_E10value_typeET4_jRbjT5_S1A_jjP12ihipStream_tbEUljE_EEESV_SW_SX_S14_S18_S1A_T6_T7_T9_mT8_S1C_bDpT10_ENKUlT_T0_E_clISt17integral_constantIbLb0EES1P_EEDaS1K_S1L_EUlS1K_E_NS1_11comp_targetILNS1_3genE4ELNS1_11target_archE910ELNS1_3gpuE8ELNS1_3repE0EEENS1_30default_config_static_selectorELNS0_4arch9wavefront6targetE1EEEvSY_: ; @_ZN7rocprim17ROCPRIM_400000_NS6detail17trampoline_kernelINS0_13select_configILj256ELj13ELNS0_17block_load_methodE3ELS4_3ELS4_3ELNS0_20block_scan_algorithmE0ELj4294967295EEENS1_25partition_config_selectorILNS1_17partition_subalgoE3EjNS0_10empty_typeEbEEZZNS1_14partition_implILS8_3ELb0ES6_jNS0_17counting_iteratorIjlEEPS9_SE_NS0_5tupleIJPjSE_EEENSF_IJSE_SE_EEES9_SG_JZNS1_25segmented_radix_sort_implINS0_14default_configELb1EPKdPdPKlPlN2at6native12_GLOBAL__N_18offset_tEEE10hipError_tPvRmT1_PNSt15iterator_traitsISY_E10value_typeET2_T3_PNSZ_IS14_E10value_typeET4_jRbjT5_S1A_jjP12ihipStream_tbEUljE_EEESV_SW_SX_S14_S18_S1A_T6_T7_T9_mT8_S1C_bDpT10_ENKUlT_T0_E_clISt17integral_constantIbLb0EES1P_EEDaS1K_S1L_EUlS1K_E_NS1_11comp_targetILNS1_3genE4ELNS1_11target_archE910ELNS1_3gpuE8ELNS1_3repE0EEENS1_30default_config_static_selectorELNS0_4arch9wavefront6targetE1EEEvSY_
; %bb.0:
	s_load_dwordx2 s[26:27], s[4:5], 0x58
	s_load_dwordx4 s[20:23], s[4:5], 0x48
	s_load_dword s13, s[4:5], 0x8
	s_load_dwordx2 s[28:29], s[4:5], 0x10
	s_load_dword s12, s[4:5], 0x70
	s_load_dword s7, s[4:5], 0x88
	s_load_dwordx4 s[8:11], s[4:5], 0x78
	s_waitcnt lgkmcnt(0)
	s_load_dwordx2 s[30:31], s[22:23], 0x0
	v_pk_mov_b32 v[2:3], s[26:27], s[26:27] op_sel:[0,1]
	s_add_i32 s2, s12, -1
	s_mulk_i32 s12, 0xd00
	s_add_u32 s0, s28, s12
	s_addc_u32 s1, s29, 0
	s_cmp_eq_u32 s6, s2
	s_cselect_b64 s[22:23], -1, 0
	s_cmp_lg_u32 s6, s2
	s_mul_i32 s42, s6, 0xd00
	v_cmp_lt_u64_e32 vcc, s[0:1], v[2:3]
	s_cselect_b64 s[0:1], -1, 0
	s_or_b64 s[2:3], s[0:1], vcc
	s_add_i32 s0, s13, s42
	s_add_i32 s0, s0, s28
	v_add_u32_e32 v2, s0, v0
	s_mov_b64 s[0:1], -1
	s_and_b64 vcc, exec, s[2:3]
	v_lshlrev_b32_e32 v1, 2, v0
	s_cbranch_vccz .LBB1086_2
; %bb.1:
	v_add_u32_e32 v3, 0x100, v2
	v_add_u32_e32 v4, 0x200, v2
	;; [unrolled: 1-line block ×12, first 2 shown]
	ds_write2st64_b32 v1, v2, v3 offset1:4
	ds_write2st64_b32 v1, v4, v5 offset0:8 offset1:12
	ds_write2st64_b32 v1, v6, v7 offset0:16 offset1:20
	;; [unrolled: 1-line block ×5, first 2 shown]
	ds_write_b32 v1, v14 offset:12288
	s_waitcnt lgkmcnt(0)
	s_barrier
	s_mov_b64 s[0:1], 0
.LBB1086_2:
	s_andn2_b64 vcc, exec, s[0:1]
	s_add_i32 s12, s12, s28
	s_cbranch_vccnz .LBB1086_4
; %bb.3:
	v_add_u32_e32 v3, 0x100, v2
	v_add_u32_e32 v4, 0x200, v2
	;; [unrolled: 1-line block ×12, first 2 shown]
	ds_write2st64_b32 v1, v2, v3 offset1:4
	ds_write2st64_b32 v1, v4, v5 offset0:8 offset1:12
	ds_write2st64_b32 v1, v6, v7 offset0:16 offset1:20
	;; [unrolled: 1-line block ×5, first 2 shown]
	ds_write_b32 v1, v14 offset:12288
	s_waitcnt lgkmcnt(0)
	s_barrier
.LBB1086_4:
	v_mul_u32_u24_e32 v33, 13, v0
	v_lshlrev_b32_e32 v2, 2, v33
	s_waitcnt lgkmcnt(0)
	ds_read2_b32 v[30:31], v2 offset1:1
	ds_read2_b32 v[28:29], v2 offset0:2 offset1:3
	ds_read2_b32 v[26:27], v2 offset0:4 offset1:5
	;; [unrolled: 1-line block ×5, first 2 shown]
	ds_read_b32 v32, v2 offset:48
	v_cndmask_b32_e64 v2, 0, 1, s[2:3]
	s_sub_i32 s33, s26, s12
	v_cmp_ne_u32_e64 s[0:1], 1, v2
	s_andn2_b64 vcc, exec, s[2:3]
	s_waitcnt lgkmcnt(0)
	s_barrier
	s_cbranch_vccnz .LBB1086_6
; %bb.5:
	v_add_u32_e32 v2, s9, v30
	v_add_u32_e32 v3, s11, v30
	v_mul_lo_u32 v2, v2, s8
	v_mul_lo_u32 v3, v3, s10
	v_sub_u32_e32 v2, v2, v3
	v_add_u32_e32 v3, s9, v31
	v_add_u32_e32 v4, s11, v31
	v_mul_lo_u32 v3, v3, s8
	v_mul_lo_u32 v4, v4, s10
	v_sub_u32_e32 v3, v3, v4
	;; [unrolled: 5-line block ×6, first 2 shown]
	v_add_u32_e32 v8, s9, v24
	v_add_u32_e32 v9, s11, v24
	v_mul_lo_u32 v8, v8, s8
	v_mul_lo_u32 v9, v9, s10
	v_cmp_lt_u32_e32 vcc, s7, v2
	v_sub_u32_e32 v8, v8, v9
	v_add_u32_e32 v9, s9, v25
	v_add_u32_e32 v10, s11, v25
	v_cndmask_b32_e64 v2, 0, 1, vcc
	v_cmp_lt_u32_e32 vcc, s7, v3
	v_mul_lo_u32 v9, v9, s8
	v_mul_lo_u32 v10, v10, s10
	v_cndmask_b32_e64 v3, 0, 1, vcc
	v_cmp_lt_u32_e32 vcc, s7, v4
	v_sub_u32_e32 v9, v9, v10
	v_add_u32_e32 v10, s9, v22
	v_add_u32_e32 v11, s11, v22
	v_cndmask_b32_e64 v4, 0, 1, vcc
	v_cmp_lt_u32_e32 vcc, s7, v5
	v_mul_lo_u32 v10, v10, s8
	v_mul_lo_u32 v11, v11, s10
	v_cndmask_b32_e64 v5, 0, 1, vcc
	;; [unrolled: 9-line block ×4, first 2 shown]
	v_cmp_lt_u32_e32 vcc, s7, v10
	v_sub_u32_e32 v12, v12, v13
	v_add_u32_e32 v13, s9, v21
	v_add_u32_e32 v14, s11, v21
	v_lshlrev_b16_e32 v3, 8, v3
	v_cndmask_b32_e64 v10, 0, 1, vcc
	v_cmp_lt_u32_e32 vcc, s7, v11
	v_mul_lo_u32 v13, v13, s8
	v_mul_lo_u32 v14, v14, s10
	v_or_b32_e32 v2, v2, v3
	v_lshlrev_b16_e32 v3, 8, v5
	v_cndmask_b32_e64 v11, 0, 1, vcc
	v_cmp_lt_u32_e32 vcc, s7, v12
	v_sub_u32_e32 v13, v13, v14
	v_or_b32_sdwa v3, v4, v3 dst_sel:WORD_1 dst_unused:UNUSED_PAD src0_sel:DWORD src1_sel:DWORD
	v_cndmask_b32_e64 v12, 0, 1, vcc
	v_cmp_lt_u32_e32 vcc, s7, v13
	v_add_u32_e32 v14, s9, v32
	v_add_u32_e32 v15, s11, v32
	v_or_b32_sdwa v37, v2, v3 dst_sel:DWORD dst_unused:UNUSED_PAD src0_sel:WORD_0 src1_sel:DWORD
	v_lshlrev_b16_e32 v2, 8, v7
	v_lshlrev_b16_e32 v3, 8, v9
	v_cndmask_b32_e64 v13, 0, 1, vcc
	v_mul_lo_u32 v14, v14, s8
	v_mul_lo_u32 v15, v15, s10
	v_or_b32_e32 v2, v6, v2
	v_or_b32_sdwa v3, v8, v3 dst_sel:WORD_1 dst_unused:UNUSED_PAD src0_sel:DWORD src1_sel:DWORD
	v_sub_u32_e32 v14, v14, v15
	v_or_b32_sdwa v36, v2, v3 dst_sel:DWORD dst_unused:UNUSED_PAD src0_sel:WORD_0 src1_sel:DWORD
	v_lshlrev_b16_e32 v2, 8, v11
	v_lshlrev_b16_e32 v3, 8, v13
	v_cmp_lt_u32_e32 vcc, s7, v14
	v_or_b32_e32 v2, v10, v2
	v_or_b32_sdwa v3, v12, v3 dst_sel:WORD_1 dst_unused:UNUSED_PAD src0_sel:DWORD src1_sel:DWORD
	v_cndmask_b32_e64 v34, 0, 1, vcc
	v_or_b32_sdwa v35, v2, v3 dst_sel:DWORD dst_unused:UNUSED_PAD src0_sel:WORD_0 src1_sel:DWORD
	s_mov_b64 s[2:3], 0
	s_branch .LBB1086_7
.LBB1086_6:
	s_mov_b64 s[2:3], -1
                                        ; implicit-def: $vgpr34
                                        ; implicit-def: $vgpr35
                                        ; implicit-def: $vgpr36
                                        ; implicit-def: $vgpr37
.LBB1086_7:
	s_load_dwordx2 s[24:25], s[4:5], 0x28
	s_load_dwordx2 s[34:35], s[4:5], 0x68
	s_andn2_b64 vcc, exec, s[2:3]
	s_addk_i32 s33, 0xd00
	s_cbranch_vccnz .LBB1086_35
; %bb.8:
	v_cmp_gt_u32_e32 vcc, s33, v33
	v_mov_b32_e32 v3, 0
	v_mov_b32_e32 v2, 0
	s_and_saveexec_b64 s[2:3], vcc
; %bb.9:
	v_add_u32_e32 v2, s9, v30
	v_add_u32_e32 v4, s11, v30
	v_mul_lo_u32 v2, v2, s8
	v_mul_lo_u32 v4, v4, s10
	v_sub_u32_e32 v2, v2, v4
	v_cmp_lt_u32_e32 vcc, s7, v2
	v_cndmask_b32_e64 v2, 0, 1, vcc
; %bb.10:
	s_or_b64 exec, exec, s[2:3]
	v_add_u32_e32 v4, 1, v33
	v_cmp_gt_u32_e32 vcc, s33, v4
	s_and_saveexec_b64 s[2:3], vcc
; %bb.11:
	v_add_u32_e32 v3, s9, v31
	v_add_u32_e32 v4, s11, v31
	v_mul_lo_u32 v3, v3, s8
	v_mul_lo_u32 v4, v4, s10
	v_sub_u32_e32 v3, v3, v4
	v_cmp_lt_u32_e32 vcc, s7, v3
	v_cndmask_b32_e64 v3, 0, 1, vcc
; %bb.12:
	s_or_b64 exec, exec, s[2:3]
	v_add_u32_e32 v4, 2, v33
	v_cmp_gt_u32_e32 vcc, s33, v4
	v_mov_b32_e32 v5, 0
	v_mov_b32_e32 v4, 0
	s_and_saveexec_b64 s[2:3], vcc
; %bb.13:
	v_add_u32_e32 v4, s9, v28
	v_add_u32_e32 v6, s11, v28
	v_mul_lo_u32 v4, v4, s8
	v_mul_lo_u32 v6, v6, s10
	v_sub_u32_e32 v4, v4, v6
	v_cmp_lt_u32_e32 vcc, s7, v4
	v_cndmask_b32_e64 v4, 0, 1, vcc
; %bb.14:
	s_or_b64 exec, exec, s[2:3]
	v_add_u32_e32 v6, 3, v33
	v_cmp_gt_u32_e32 vcc, s33, v6
	s_and_saveexec_b64 s[2:3], vcc
; %bb.15:
	v_add_u32_e32 v5, s9, v29
	v_add_u32_e32 v6, s11, v29
	v_mul_lo_u32 v5, v5, s8
	v_mul_lo_u32 v6, v6, s10
	v_sub_u32_e32 v5, v5, v6
	v_cmp_lt_u32_e32 vcc, s7, v5
	v_cndmask_b32_e64 v5, 0, 1, vcc
; %bb.16:
	s_or_b64 exec, exec, s[2:3]
	v_add_u32_e32 v6, 4, v33
	;; [unrolled: 28-line block ×6, first 2 shown]
	v_cmp_gt_u32_e32 vcc, s33, v14
	v_mov_b32_e32 v34, 0
	s_and_saveexec_b64 s[2:3], vcc
; %bb.33:
	v_add_u32_e32 v14, s9, v32
	v_add_u32_e32 v15, s11, v32
	v_mul_lo_u32 v14, v14, s8
	v_mul_lo_u32 v15, v15, s10
	v_sub_u32_e32 v14, v14, v15
	v_cmp_lt_u32_e32 vcc, s7, v14
	v_cndmask_b32_e64 v34, 0, 1, vcc
; %bb.34:
	s_or_b64 exec, exec, s[2:3]
	v_lshlrev_b16_e32 v3, 8, v3
	v_or_b32_e32 v2, v2, v3
	v_lshlrev_b16_e32 v3, 8, v5
	v_or_b32_sdwa v3, v4, v3 dst_sel:WORD_1 dst_unused:UNUSED_PAD src0_sel:DWORD src1_sel:DWORD
	v_or_b32_sdwa v37, v2, v3 dst_sel:DWORD dst_unused:UNUSED_PAD src0_sel:WORD_0 src1_sel:DWORD
	v_lshlrev_b16_e32 v2, 8, v7
	v_lshlrev_b16_e32 v3, 8, v9
	v_or_b32_e32 v2, v6, v2
	v_or_b32_sdwa v3, v8, v3 dst_sel:WORD_1 dst_unused:UNUSED_PAD src0_sel:DWORD src1_sel:DWORD
	v_or_b32_sdwa v36, v2, v3 dst_sel:DWORD dst_unused:UNUSED_PAD src0_sel:WORD_0 src1_sel:DWORD
	v_lshlrev_b16_e32 v2, 8, v11
	v_lshlrev_b16_e32 v3, 8, v13
	v_or_b32_e32 v2, v10, v2
	v_or_b32_sdwa v3, v12, v3 dst_sel:WORD_1 dst_unused:UNUSED_PAD src0_sel:DWORD src1_sel:DWORD
	v_or_b32_sdwa v35, v2, v3 dst_sel:DWORD dst_unused:UNUSED_PAD src0_sel:WORD_0 src1_sel:DWORD
.LBB1086_35:
	v_and_b32_e32 v41, 0xff, v37
	v_bfe_u32 v42, v37, 8, 8
	v_bfe_u32 v43, v37, 16, 8
	v_lshrrev_b32_e32 v40, 24, v37
	v_and_b32_e32 v44, 0xff, v36
	v_add3_u32 v3, v42, v41, v43
	v_bfe_u32 v45, v36, 8, 8
	v_bfe_u32 v46, v36, 16, 8
	v_add3_u32 v3, v3, v40, v44
	v_lshrrev_b32_e32 v39, 24, v36
	v_and_b32_e32 v47, 0xff, v35
	v_add3_u32 v3, v3, v45, v46
	v_bfe_u32 v48, v35, 8, 8
	v_bfe_u32 v49, v35, 16, 8
	v_add3_u32 v3, v3, v39, v47
	v_lshrrev_b32_e32 v38, 24, v35
	v_and_b32_e32 v2, 0xff, v34
	v_add3_u32 v3, v3, v48, v49
	v_add3_u32 v52, v3, v38, v2
	v_mbcnt_lo_u32_b32 v2, -1, 0
	v_mbcnt_hi_u32_b32 v50, -1, v2
	v_and_b32_e32 v2, 15, v50
	v_cmp_eq_u32_e64 s[14:15], 0, v2
	v_cmp_lt_u32_e64 s[12:13], 1, v2
	v_cmp_lt_u32_e64 s[10:11], 3, v2
	;; [unrolled: 1-line block ×3, first 2 shown]
	v_and_b32_e32 v2, 16, v50
	v_cmp_eq_u32_e64 s[18:19], 0, v2
	v_or_b32_e32 v2, 63, v0
	s_cmp_lg_u32 s6, 0
	v_cmp_lt_u32_e64 s[2:3], 31, v50
	v_lshrrev_b32_e32 v51, 6, v0
	v_cmp_eq_u32_e64 s[4:5], v2, v0
	s_cbranch_scc0 .LBB1086_62
; %bb.36:
	v_mov_b32_dpp v2, v52 row_shr:1 row_mask:0xf bank_mask:0xf
	v_cndmask_b32_e64 v2, v2, 0, s[14:15]
	v_add_u32_e32 v2, v2, v52
	s_nop 1
	v_mov_b32_dpp v3, v2 row_shr:2 row_mask:0xf bank_mask:0xf
	v_cndmask_b32_e64 v3, 0, v3, s[12:13]
	v_add_u32_e32 v2, v2, v3
	s_nop 1
	v_mov_b32_dpp v3, v2 row_shr:4 row_mask:0xf bank_mask:0xf
	v_cndmask_b32_e64 v3, 0, v3, s[10:11]
	v_add_u32_e32 v2, v2, v3
	s_nop 1
	v_mov_b32_dpp v3, v2 row_shr:8 row_mask:0xf bank_mask:0xf
	v_cndmask_b32_e64 v3, 0, v3, s[8:9]
	v_add_u32_e32 v2, v2, v3
	s_nop 1
	v_mov_b32_dpp v3, v2 row_bcast:15 row_mask:0xf bank_mask:0xf
	v_cndmask_b32_e64 v3, v3, 0, s[18:19]
	v_add_u32_e32 v2, v2, v3
	s_nop 1
	v_mov_b32_dpp v3, v2 row_bcast:31 row_mask:0xf bank_mask:0xf
	v_cndmask_b32_e64 v3, 0, v3, s[2:3]
	v_add_u32_e32 v2, v2, v3
	s_and_saveexec_b64 s[16:17], s[4:5]
	s_cbranch_execz .LBB1086_38
; %bb.37:
	v_lshlrev_b32_e32 v3, 2, v51
	ds_write_b32 v3, v2
.LBB1086_38:
	s_or_b64 exec, exec, s[16:17]
	v_cmp_gt_u32_e32 vcc, 4, v0
	s_waitcnt lgkmcnt(0)
	s_barrier
	s_and_saveexec_b64 s[16:17], vcc
	s_cbranch_execz .LBB1086_40
; %bb.39:
	ds_read_b32 v3, v1
	v_and_b32_e32 v4, 3, v50
	v_cmp_ne_u32_e32 vcc, 0, v4
	s_waitcnt lgkmcnt(0)
	v_mov_b32_dpp v5, v3 row_shr:1 row_mask:0xf bank_mask:0xf
	v_cndmask_b32_e32 v5, 0, v5, vcc
	v_add_u32_e32 v3, v5, v3
	v_cmp_lt_u32_e32 vcc, 1, v4
	s_nop 0
	v_mov_b32_dpp v5, v3 row_shr:2 row_mask:0xf bank_mask:0xf
	v_cndmask_b32_e32 v4, 0, v5, vcc
	v_add_u32_e32 v3, v3, v4
	ds_write_b32 v1, v3
.LBB1086_40:
	s_or_b64 exec, exec, s[16:17]
	v_cmp_gt_u32_e32 vcc, 64, v0
	v_cmp_lt_u32_e64 s[16:17], 63, v0
	s_waitcnt lgkmcnt(0)
	s_barrier
	s_waitcnt lgkmcnt(0)
                                        ; implicit-def: $vgpr12
	s_and_saveexec_b64 s[36:37], s[16:17]
	s_cbranch_execz .LBB1086_42
; %bb.41:
	v_lshl_add_u32 v3, v51, 2, -4
	ds_read_b32 v12, v3
	s_waitcnt lgkmcnt(0)
	v_add_u32_e32 v2, v12, v2
.LBB1086_42:
	s_or_b64 exec, exec, s[36:37]
	v_add_u32_e32 v3, -1, v50
	v_and_b32_e32 v4, 64, v50
	v_cmp_lt_i32_e64 s[16:17], v3, v4
	v_cndmask_b32_e64 v3, v3, v50, s[16:17]
	v_lshlrev_b32_e32 v3, 2, v3
	ds_bpermute_b32 v13, v3, v2
	v_cmp_eq_u32_e64 s[16:17], 0, v50
	s_and_saveexec_b64 s[36:37], vcc
	s_cbranch_execz .LBB1086_61
; %bb.43:
	v_mov_b32_e32 v9, 0
	ds_read_b32 v2, v9 offset:12
	s_and_saveexec_b64 s[38:39], s[16:17]
	s_cbranch_execz .LBB1086_45
; %bb.44:
	s_add_i32 s40, s6, 64
	s_mov_b32 s41, 0
	s_lshl_b64 s[40:41], s[40:41], 3
	s_add_u32 s40, s34, s40
	v_mov_b32_e32 v3, 1
	s_addc_u32 s41, s35, s41
	s_waitcnt lgkmcnt(0)
	global_store_dwordx2 v9, v[2:3], s[40:41]
.LBB1086_45:
	s_or_b64 exec, exec, s[38:39]
	v_xad_u32 v4, v50, -1, s6
	v_add_u32_e32 v8, 64, v4
	v_lshlrev_b64 v[6:7], 3, v[8:9]
	v_mov_b32_e32 v3, s35
	v_add_co_u32_e32 v10, vcc, s34, v6
	v_addc_co_u32_e32 v11, vcc, v3, v7, vcc
	global_load_dwordx2 v[6:7], v[10:11], off glc
	s_waitcnt vmcnt(0)
	v_cmp_eq_u16_sdwa s[40:41], v7, v9 src0_sel:BYTE_0 src1_sel:DWORD
	s_and_saveexec_b64 s[38:39], s[40:41]
	s_cbranch_execz .LBB1086_49
; %bb.46:
	s_mov_b64 s[40:41], 0
	v_mov_b32_e32 v3, 0
.LBB1086_47:                            ; =>This Inner Loop Header: Depth=1
	global_load_dwordx2 v[6:7], v[10:11], off glc
	s_waitcnt vmcnt(0)
	v_cmp_ne_u16_sdwa s[44:45], v7, v3 src0_sel:BYTE_0 src1_sel:DWORD
	s_or_b64 s[40:41], s[44:45], s[40:41]
	s_andn2_b64 exec, exec, s[40:41]
	s_cbranch_execnz .LBB1086_47
; %bb.48:
	s_or_b64 exec, exec, s[40:41]
.LBB1086_49:
	s_or_b64 exec, exec, s[38:39]
	v_and_b32_e32 v14, 63, v50
	v_mov_b32_e32 v3, 2
	v_cmp_ne_u32_e32 vcc, 63, v14
	v_cmp_eq_u16_sdwa s[38:39], v7, v3 src0_sel:BYTE_0 src1_sel:DWORD
	v_lshlrev_b64 v[8:9], v50, -1
	v_addc_co_u32_e32 v11, vcc, 0, v50, vcc
	v_and_b32_e32 v5, s39, v9
	v_lshlrev_b32_e32 v15, 2, v11
	v_or_b32_e32 v5, 0x80000000, v5
	ds_bpermute_b32 v11, v15, v6
	v_and_b32_e32 v10, s38, v8
	v_ffbl_b32_e32 v5, v5
	v_add_u32_e32 v5, 32, v5
	v_ffbl_b32_e32 v10, v10
	v_min_u32_e32 v5, v10, v5
	v_cmp_lt_u32_e32 vcc, v14, v5
	s_waitcnt lgkmcnt(0)
	v_cndmask_b32_e32 v10, 0, v11, vcc
	v_cmp_gt_u32_e32 vcc, 62, v14
	v_add_u32_e32 v6, v10, v6
	v_cndmask_b32_e64 v10, 0, 1, vcc
	v_lshlrev_b32_e32 v10, 1, v10
	v_add_lshl_u32 v16, v10, v50, 2
	ds_bpermute_b32 v10, v16, v6
	v_add_u32_e32 v17, 2, v14
	v_cmp_le_u32_e32 vcc, v17, v5
	v_add_u32_e32 v19, 4, v14
	v_add_u32_e32 v54, 8, v14
	s_waitcnt lgkmcnt(0)
	v_cndmask_b32_e32 v10, 0, v10, vcc
	v_cmp_gt_u32_e32 vcc, 60, v14
	v_add_u32_e32 v6, v6, v10
	v_cndmask_b32_e64 v10, 0, 1, vcc
	v_lshlrev_b32_e32 v10, 2, v10
	v_add_lshl_u32 v18, v10, v50, 2
	ds_bpermute_b32 v10, v18, v6
	v_cmp_le_u32_e32 vcc, v19, v5
	v_add_u32_e32 v57, 16, v14
	v_add_u32_e32 v59, 32, v14
	s_waitcnt lgkmcnt(0)
	v_cndmask_b32_e32 v10, 0, v10, vcc
	v_cmp_gt_u32_e32 vcc, 56, v14
	v_add_u32_e32 v6, v6, v10
	v_cndmask_b32_e64 v10, 0, 1, vcc
	v_lshlrev_b32_e32 v10, 3, v10
	v_add_lshl_u32 v53, v10, v50, 2
	ds_bpermute_b32 v10, v53, v6
	v_cmp_le_u32_e32 vcc, v54, v5
	s_waitcnt lgkmcnt(0)
	v_cndmask_b32_e32 v10, 0, v10, vcc
	v_cmp_gt_u32_e32 vcc, 48, v14
	v_add_u32_e32 v6, v6, v10
	v_cndmask_b32_e64 v10, 0, 1, vcc
	v_lshlrev_b32_e32 v10, 4, v10
	v_add_lshl_u32 v56, v10, v50, 2
	ds_bpermute_b32 v10, v56, v6
	v_cmp_le_u32_e32 vcc, v57, v5
	;; [unrolled: 9-line block ×3, first 2 shown]
	s_waitcnt lgkmcnt(0)
	v_cndmask_b32_e32 v5, 0, v10, vcc
	v_add_u32_e32 v6, v6, v5
	v_mov_b32_e32 v5, 0
	s_branch .LBB1086_51
.LBB1086_50:                            ;   in Loop: Header=BB1086_51 Depth=1
	s_or_b64 exec, exec, s[38:39]
	v_cmp_eq_u16_sdwa s[38:39], v7, v3 src0_sel:BYTE_0 src1_sel:DWORD
	v_and_b32_e32 v10, s39, v9
	v_or_b32_e32 v10, 0x80000000, v10
	ds_bpermute_b32 v60, v15, v6
	v_and_b32_e32 v11, s38, v8
	v_ffbl_b32_e32 v10, v10
	v_add_u32_e32 v10, 32, v10
	v_ffbl_b32_e32 v11, v11
	v_min_u32_e32 v10, v11, v10
	v_cmp_lt_u32_e32 vcc, v14, v10
	s_waitcnt lgkmcnt(0)
	v_cndmask_b32_e32 v11, 0, v60, vcc
	v_add_u32_e32 v6, v11, v6
	ds_bpermute_b32 v11, v16, v6
	v_cmp_le_u32_e32 vcc, v17, v10
	v_subrev_u32_e32 v4, 64, v4
	s_waitcnt lgkmcnt(0)
	v_cndmask_b32_e32 v11, 0, v11, vcc
	v_add_u32_e32 v6, v6, v11
	ds_bpermute_b32 v11, v18, v6
	v_cmp_le_u32_e32 vcc, v19, v10
	s_waitcnt lgkmcnt(0)
	v_cndmask_b32_e32 v11, 0, v11, vcc
	v_add_u32_e32 v6, v6, v11
	ds_bpermute_b32 v11, v53, v6
	v_cmp_le_u32_e32 vcc, v54, v10
	;; [unrolled: 5-line block ×4, first 2 shown]
	s_waitcnt lgkmcnt(0)
	v_cndmask_b32_e32 v10, 0, v11, vcc
	v_add3_u32 v6, v10, v55, v6
.LBB1086_51:                            ; =>This Loop Header: Depth=1
                                        ;     Child Loop BB1086_54 Depth 2
	v_cmp_ne_u16_sdwa s[38:39], v7, v3 src0_sel:BYTE_0 src1_sel:DWORD
	v_cndmask_b32_e64 v7, 0, 1, s[38:39]
	;;#ASMSTART
	;;#ASMEND
	v_cmp_ne_u32_e32 vcc, 0, v7
	s_cmp_lg_u64 vcc, exec
	v_mov_b32_e32 v55, v6
	s_cbranch_scc1 .LBB1086_56
; %bb.52:                               ;   in Loop: Header=BB1086_51 Depth=1
	v_lshlrev_b64 v[6:7], 3, v[4:5]
	v_mov_b32_e32 v11, s35
	v_add_co_u32_e32 v10, vcc, s34, v6
	v_addc_co_u32_e32 v11, vcc, v11, v7, vcc
	global_load_dwordx2 v[6:7], v[10:11], off glc
	s_waitcnt vmcnt(0)
	v_cmp_eq_u16_sdwa s[40:41], v7, v5 src0_sel:BYTE_0 src1_sel:DWORD
	s_and_saveexec_b64 s[38:39], s[40:41]
	s_cbranch_execz .LBB1086_50
; %bb.53:                               ;   in Loop: Header=BB1086_51 Depth=1
	s_mov_b64 s[40:41], 0
.LBB1086_54:                            ;   Parent Loop BB1086_51 Depth=1
                                        ; =>  This Inner Loop Header: Depth=2
	global_load_dwordx2 v[6:7], v[10:11], off glc
	s_waitcnt vmcnt(0)
	v_cmp_ne_u16_sdwa s[44:45], v7, v5 src0_sel:BYTE_0 src1_sel:DWORD
	s_or_b64 s[40:41], s[44:45], s[40:41]
	s_andn2_b64 exec, exec, s[40:41]
	s_cbranch_execnz .LBB1086_54
; %bb.55:                               ;   in Loop: Header=BB1086_51 Depth=1
	s_or_b64 exec, exec, s[40:41]
	s_branch .LBB1086_50
.LBB1086_56:                            ;   in Loop: Header=BB1086_51 Depth=1
                                        ; implicit-def: $vgpr6
                                        ; implicit-def: $vgpr7
	s_cbranch_execz .LBB1086_51
; %bb.57:
	s_and_saveexec_b64 s[38:39], s[16:17]
	s_cbranch_execz .LBB1086_59
; %bb.58:
	s_add_i32 s6, s6, 64
	s_mov_b32 s7, 0
	s_lshl_b64 s[6:7], s[6:7], 3
	s_add_u32 s6, s34, s6
	v_add_u32_e32 v4, v55, v2
	v_mov_b32_e32 v5, 2
	s_addc_u32 s7, s35, s7
	v_mov_b32_e32 v3, 0
	global_store_dwordx2 v3, v[4:5], s[6:7]
	s_movk_i32 s6, 0x3400
	v_add_u32_e64 v3, s6, 0
	ds_write2_b32 v3, v2, v55 offset1:2
.LBB1086_59:
	s_or_b64 exec, exec, s[38:39]
	v_cmp_eq_u32_e32 vcc, 0, v0
	s_and_b64 exec, exec, vcc
	s_cbranch_execz .LBB1086_61
; %bb.60:
	v_mov_b32_e32 v2, 0
	ds_write_b32 v2, v55 offset:12
.LBB1086_61:
	s_or_b64 exec, exec, s[36:37]
	v_mov_b32_e32 v2, 0
	s_waitcnt lgkmcnt(0)
	s_barrier
	ds_read_b32 v2, v2 offset:12
	v_cndmask_b32_e64 v3, v13, v12, s[16:17]
	v_cmp_ne_u32_e32 vcc, 0, v0
	v_cndmask_b32_e32 v3, 0, v3, vcc
	s_movk_i32 s6, 0x3400
	s_waitcnt lgkmcnt(0)
	v_add_u32_e32 v2, v2, v3
	v_add_u32_e32 v3, v2, v41
	;; [unrolled: 1-line block ×8, first 2 shown]
	v_add_u32_e64 v12, s6, 0
	v_add_u32_e32 v10, v9, v39
	s_barrier
	ds_read2_b32 v[18:19], v12 offset1:2
	v_add_u32_e32 v11, v10, v47
	v_add_u32_e32 v12, v11, v48
	;; [unrolled: 1-line block ×4, first 2 shown]
	s_branch .LBB1086_72
.LBB1086_62:
                                        ; implicit-def: $vgpr19
                                        ; implicit-def: $vgpr2_vgpr3_vgpr4_vgpr5_vgpr6_vgpr7_vgpr8_vgpr9_vgpr10_vgpr11_vgpr12_vgpr13_vgpr14_vgpr15_vgpr16_vgpr17
	s_cbranch_execz .LBB1086_72
; %bb.63:
	s_nop 0
	v_mov_b32_dpp v2, v52 row_shr:1 row_mask:0xf bank_mask:0xf
	v_cndmask_b32_e64 v2, v2, 0, s[14:15]
	v_add_u32_e32 v2, v2, v52
	s_nop 1
	v_mov_b32_dpp v3, v2 row_shr:2 row_mask:0xf bank_mask:0xf
	v_cndmask_b32_e64 v3, 0, v3, s[12:13]
	v_add_u32_e32 v2, v2, v3
	;; [unrolled: 4-line block ×4, first 2 shown]
	s_nop 1
	v_mov_b32_dpp v3, v2 row_bcast:15 row_mask:0xf bank_mask:0xf
	v_cndmask_b32_e64 v3, v3, 0, s[18:19]
	v_add_u32_e32 v2, v2, v3
	s_nop 1
	v_mov_b32_dpp v3, v2 row_bcast:31 row_mask:0xf bank_mask:0xf
	v_cndmask_b32_e64 v3, 0, v3, s[2:3]
	v_add_u32_e32 v2, v2, v3
	s_and_saveexec_b64 s[2:3], s[4:5]
	s_cbranch_execz .LBB1086_65
; %bb.64:
	v_lshlrev_b32_e32 v3, 2, v51
	ds_write_b32 v3, v2
.LBB1086_65:
	s_or_b64 exec, exec, s[2:3]
	v_cmp_gt_u32_e32 vcc, 4, v0
	s_waitcnt lgkmcnt(0)
	s_barrier
	s_and_saveexec_b64 s[2:3], vcc
	s_cbranch_execz .LBB1086_67
; %bb.66:
	ds_read_b32 v3, v1
	v_and_b32_e32 v4, 3, v50
	v_cmp_ne_u32_e32 vcc, 0, v4
	s_waitcnt lgkmcnt(0)
	v_mov_b32_dpp v5, v3 row_shr:1 row_mask:0xf bank_mask:0xf
	v_cndmask_b32_e32 v5, 0, v5, vcc
	v_add_u32_e32 v3, v5, v3
	v_cmp_lt_u32_e32 vcc, 1, v4
	s_nop 0
	v_mov_b32_dpp v5, v3 row_shr:2 row_mask:0xf bank_mask:0xf
	v_cndmask_b32_e32 v4, 0, v5, vcc
	v_add_u32_e32 v3, v3, v4
	ds_write_b32 v1, v3
.LBB1086_67:
	s_or_b64 exec, exec, s[2:3]
	v_cmp_lt_u32_e32 vcc, 63, v0
	v_mov_b32_e32 v4, 0
	v_mov_b32_e32 v3, 0
	s_waitcnt lgkmcnt(0)
	s_barrier
	s_and_saveexec_b64 s[2:3], vcc
	s_cbranch_execz .LBB1086_69
; %bb.68:
	v_lshl_add_u32 v3, v51, 2, -4
	ds_read_b32 v3, v3
.LBB1086_69:
	s_or_b64 exec, exec, s[2:3]
	v_add_u32_e32 v5, -1, v50
	v_and_b32_e32 v6, 64, v50
	v_cmp_lt_i32_e32 vcc, v5, v6
	v_cndmask_b32_e32 v5, v5, v50, vcc
	s_waitcnt lgkmcnt(0)
	v_add_u32_e32 v2, v3, v2
	v_lshlrev_b32_e32 v5, 2, v5
	ds_bpermute_b32 v2, v5, v2
	ds_read_b32 v18, v4 offset:12
	v_cmp_eq_u32_e32 vcc, 0, v0
	s_and_saveexec_b64 s[2:3], vcc
	s_cbranch_execz .LBB1086_71
; %bb.70:
	v_mov_b32_e32 v4, 0
	v_mov_b32_e32 v19, 2
	s_waitcnt lgkmcnt(0)
	global_store_dwordx2 v4, v[18:19], s[34:35] offset:512
.LBB1086_71:
	s_or_b64 exec, exec, s[2:3]
	v_cmp_eq_u32_e64 s[2:3], 0, v50
	s_waitcnt lgkmcnt(1)
	v_cndmask_b32_e64 v2, v2, v3, s[2:3]
	v_cndmask_b32_e64 v2, v2, 0, vcc
	v_add_u32_e32 v3, v2, v41
	v_add_u32_e32 v4, v3, v42
	;; [unrolled: 1-line block ×11, first 2 shown]
	v_mov_b32_e32 v19, 0
	v_add_u32_e32 v14, v13, v38
	s_waitcnt lgkmcnt(0)
	s_barrier
.LBB1086_72:
	s_waitcnt lgkmcnt(0)
	v_add_u32_e32 v33, v18, v33
	v_sub_u32_e32 v2, v2, v19
	v_and_b32_e32 v42, 1, v37
	v_sub_u32_e32 v41, v33, v2
	v_cmp_eq_u32_e32 vcc, 1, v42
	v_cndmask_b32_e32 v2, v41, v2, vcc
	v_lshlrev_b32_e32 v2, 2, v2
	v_lshrrev_b32_e32 v17, 8, v37
	ds_write_b32 v2, v30
	v_sub_u32_e32 v2, v3, v19
	v_sub_u32_e32 v3, v33, v2
	v_and_b32_e32 v17, 1, v17
	v_add_u32_e32 v3, 1, v3
	v_cmp_eq_u32_e32 vcc, 1, v17
	v_cndmask_b32_e32 v2, v3, v2, vcc
	v_lshlrev_b32_e32 v2, 2, v2
	ds_write_b32 v2, v31
	v_sub_u32_e32 v2, v4, v19
	v_mov_b32_e32 v4, 1
	v_sub_u32_e32 v3, v33, v2
	v_and_b32_sdwa v17, v4, v37 dst_sel:DWORD dst_unused:UNUSED_PAD src0_sel:DWORD src1_sel:WORD_1
	v_add_u32_e32 v3, 2, v3
	v_cmp_eq_u32_e32 vcc, 1, v17
	v_cndmask_b32_e32 v2, v3, v2, vcc
	v_lshlrev_b32_e32 v2, 2, v2
	ds_write_b32 v2, v28
	v_sub_u32_e32 v2, v5, v19
	v_sub_u32_e32 v3, v33, v2
	v_and_b32_e32 v5, 1, v40
	v_add_u32_e32 v3, 3, v3
	v_cmp_eq_u32_e32 vcc, 1, v5
	v_cndmask_b32_e32 v2, v3, v2, vcc
	v_lshlrev_b32_e32 v2, 2, v2
	ds_write_b32 v2, v29
	v_sub_u32_e32 v2, v6, v19
	v_sub_u32_e32 v3, v33, v2
	v_and_b32_e32 v5, 1, v36
	v_add_u32_e32 v3, 4, v3
	v_cmp_eq_u32_e32 vcc, 1, v5
	v_cndmask_b32_e32 v2, v3, v2, vcc
	v_lshlrev_b32_e32 v2, 2, v2
	v_lshrrev_b32_e32 v16, 8, v36
	ds_write_b32 v2, v26
	v_sub_u32_e32 v2, v7, v19
	v_sub_u32_e32 v3, v33, v2
	v_and_b32_e32 v5, 1, v16
	v_add_u32_e32 v3, 5, v3
	v_cmp_eq_u32_e32 vcc, 1, v5
	v_cndmask_b32_e32 v2, v3, v2, vcc
	v_lshlrev_b32_e32 v2, 2, v2
	ds_write_b32 v2, v27
	v_sub_u32_e32 v2, v8, v19
	v_sub_u32_e32 v3, v33, v2
	v_and_b32_sdwa v5, v4, v36 dst_sel:DWORD dst_unused:UNUSED_PAD src0_sel:DWORD src1_sel:WORD_1
	v_add_u32_e32 v3, 6, v3
	v_cmp_eq_u32_e32 vcc, 1, v5
	v_cndmask_b32_e32 v2, v3, v2, vcc
	v_lshlrev_b32_e32 v2, 2, v2
	ds_write_b32 v2, v24
	v_sub_u32_e32 v2, v9, v19
	v_sub_u32_e32 v3, v33, v2
	v_and_b32_e32 v5, 1, v39
	v_add_u32_e32 v3, 7, v3
	v_cmp_eq_u32_e32 vcc, 1, v5
	v_cndmask_b32_e32 v2, v3, v2, vcc
	v_lshlrev_b32_e32 v2, 2, v2
	ds_write_b32 v2, v25
	v_sub_u32_e32 v2, v10, v19
	v_sub_u32_e32 v3, v33, v2
	v_and_b32_e32 v5, 1, v35
	v_add_u32_e32 v3, 8, v3
	v_cmp_eq_u32_e32 vcc, 1, v5
	v_cndmask_b32_e32 v2, v3, v2, vcc
	v_lshlrev_b32_e32 v2, 2, v2
	v_lshrrev_b32_e32 v15, 8, v35
	ds_write_b32 v2, v22
	v_sub_u32_e32 v2, v11, v19
	v_sub_u32_e32 v3, v33, v2
	v_and_b32_e32 v5, 1, v15
	v_add_u32_e32 v3, 9, v3
	v_cmp_eq_u32_e32 vcc, 1, v5
	v_cndmask_b32_e32 v2, v3, v2, vcc
	v_lshlrev_b32_e32 v2, 2, v2
	ds_write_b32 v2, v23
	v_sub_u32_e32 v2, v12, v19
	v_sub_u32_e32 v3, v33, v2
	v_and_b32_sdwa v4, v4, v35 dst_sel:DWORD dst_unused:UNUSED_PAD src0_sel:DWORD src1_sel:WORD_1
	v_add_u32_e32 v3, 10, v3
	v_cmp_eq_u32_e32 vcc, 1, v4
	v_cndmask_b32_e32 v2, v3, v2, vcc
	v_lshlrev_b32_e32 v2, 2, v2
	ds_write_b32 v2, v20
	v_sub_u32_e32 v2, v13, v19
	v_sub_u32_e32 v3, v33, v2
	v_and_b32_e32 v4, 1, v38
	v_add_u32_e32 v3, 11, v3
	v_cmp_eq_u32_e32 vcc, 1, v4
	v_cndmask_b32_e32 v2, v3, v2, vcc
	v_lshlrev_b32_e32 v2, 2, v2
	ds_write_b32 v2, v21
	v_sub_u32_e32 v2, v14, v19
	v_sub_u32_e32 v3, v33, v2
	v_and_b32_e32 v4, 1, v34
	v_add_u32_e32 v3, 12, v3
	v_cmp_eq_u32_e32 vcc, 1, v4
	v_cndmask_b32_e32 v2, v3, v2, vcc
	s_add_u32 s2, s28, s42
	v_lshlrev_b32_e32 v2, 2, v2
	s_addc_u32 s3, s29, 0
	ds_write_b32 v2, v32
	s_waitcnt lgkmcnt(0)
	s_barrier
	ds_read2st64_b32 v[12:13], v1 offset1:4
	ds_read2st64_b32 v[10:11], v1 offset0:8 offset1:12
	ds_read2st64_b32 v[8:9], v1 offset0:16 offset1:20
	;; [unrolled: 1-line block ×5, first 2 shown]
	ds_read_b32 v17, v1 offset:12288
	v_mov_b32_e32 v14, s31
	v_add_co_u32_e32 v1, vcc, s30, v19
	s_sub_u32 s2, s26, s2
	v_addc_co_u32_e32 v16, vcc, 0, v14, vcc
	s_subb_u32 s3, s27, s3
	v_mov_b32_e32 v14, s3
	v_add_co_u32_e32 v15, vcc, s2, v18
	v_addc_co_u32_e32 v14, vcc, 0, v14, vcc
	s_and_b64 vcc, exec, s[0:1]
	v_add_co_u32_e64 v19, s[0:1], v15, v1
	v_or_b32_e32 v32, 0x100, v0
	v_or_b32_e32 v31, 0x200, v0
	v_or_b32_e32 v30, 0x300, v0
	v_or_b32_e32 v29, 0x400, v0
	v_or_b32_e32 v28, 0x500, v0
	v_or_b32_e32 v27, 0x600, v0
	v_or_b32_e32 v26, 0x700, v0
	v_or_b32_e32 v25, 0x800, v0
	v_or_b32_e32 v24, 0x900, v0
	v_or_b32_e32 v23, 0xa00, v0
	v_or_b32_e32 v22, 0xb00, v0
	v_or_b32_e32 v20, 0xc00, v0
	v_addc_co_u32_e64 v21, s[0:1], v14, v16, s[0:1]
	s_cbranch_vccnz .LBB1086_126
; %bb.73:
	v_cmp_ge_u32_e32 vcc, v0, v18
                                        ; implicit-def: $vgpr14_vgpr15
	s_and_saveexec_b64 s[0:1], vcc
	s_xor_b64 s[0:1], exec, s[0:1]
; %bb.74:
	v_not_b32_e32 v14, v0
	v_ashrrev_i32_e32 v15, 31, v14
	v_add_co_u32_e32 v14, vcc, v19, v14
	v_addc_co_u32_e32 v15, vcc, v21, v15, vcc
; %bb.75:
	s_andn2_saveexec_b64 s[0:1], s[0:1]
; %bb.76:
	v_add_co_u32_e32 v14, vcc, v1, v0
	v_addc_co_u32_e32 v15, vcc, 0, v16, vcc
; %bb.77:
	s_or_b64 exec, exec, s[0:1]
	v_lshlrev_b64 v[14:15], 2, v[14:15]
	v_mov_b32_e32 v33, s25
	v_add_co_u32_e32 v14, vcc, s24, v14
	v_addc_co_u32_e32 v15, vcc, v33, v15, vcc
	v_cmp_ge_u32_e32 vcc, v32, v18
	s_waitcnt lgkmcnt(6)
	global_store_dword v[14:15], v12, off
                                        ; implicit-def: $vgpr14_vgpr15
	s_and_saveexec_b64 s[0:1], vcc
	s_xor_b64 s[0:1], exec, s[0:1]
; %bb.78:
	v_xor_b32_e32 v14, 0xfffffeff, v0
	v_ashrrev_i32_e32 v15, 31, v14
	v_add_co_u32_e32 v14, vcc, v19, v14
	v_addc_co_u32_e32 v15, vcc, v21, v15, vcc
; %bb.79:
	s_andn2_saveexec_b64 s[0:1], s[0:1]
; %bb.80:
	v_add_co_u32_e32 v14, vcc, v1, v32
	v_addc_co_u32_e32 v15, vcc, 0, v16, vcc
; %bb.81:
	s_or_b64 exec, exec, s[0:1]
	v_lshlrev_b64 v[14:15], 2, v[14:15]
	v_mov_b32_e32 v33, s25
	v_add_co_u32_e32 v14, vcc, s24, v14
	v_addc_co_u32_e32 v15, vcc, v33, v15, vcc
	v_cmp_ge_u32_e32 vcc, v31, v18
	global_store_dword v[14:15], v13, off
                                        ; implicit-def: $vgpr14_vgpr15
	s_and_saveexec_b64 s[0:1], vcc
	s_xor_b64 s[0:1], exec, s[0:1]
; %bb.82:
	v_xor_b32_e32 v14, 0xfffffdff, v0
	v_ashrrev_i32_e32 v15, 31, v14
	v_add_co_u32_e32 v14, vcc, v19, v14
	v_addc_co_u32_e32 v15, vcc, v21, v15, vcc
; %bb.83:
	s_andn2_saveexec_b64 s[0:1], s[0:1]
; %bb.84:
	v_add_co_u32_e32 v14, vcc, v1, v31
	v_addc_co_u32_e32 v15, vcc, 0, v16, vcc
; %bb.85:
	s_or_b64 exec, exec, s[0:1]
	v_lshlrev_b64 v[14:15], 2, v[14:15]
	v_mov_b32_e32 v33, s25
	v_add_co_u32_e32 v14, vcc, s24, v14
	v_addc_co_u32_e32 v15, vcc, v33, v15, vcc
	v_cmp_ge_u32_e32 vcc, v30, v18
	s_waitcnt lgkmcnt(5)
	global_store_dword v[14:15], v10, off
                                        ; implicit-def: $vgpr14_vgpr15
	s_and_saveexec_b64 s[0:1], vcc
	s_xor_b64 s[0:1], exec, s[0:1]
; %bb.86:
	v_xor_b32_e32 v14, 0xfffffcff, v0
	v_ashrrev_i32_e32 v15, 31, v14
	v_add_co_u32_e32 v14, vcc, v19, v14
	v_addc_co_u32_e32 v15, vcc, v21, v15, vcc
; %bb.87:
	s_andn2_saveexec_b64 s[0:1], s[0:1]
; %bb.88:
	v_add_co_u32_e32 v14, vcc, v1, v30
	v_addc_co_u32_e32 v15, vcc, 0, v16, vcc
; %bb.89:
	s_or_b64 exec, exec, s[0:1]
	v_lshlrev_b64 v[14:15], 2, v[14:15]
	v_mov_b32_e32 v33, s25
	v_add_co_u32_e32 v14, vcc, s24, v14
	v_addc_co_u32_e32 v15, vcc, v33, v15, vcc
	v_cmp_ge_u32_e32 vcc, v29, v18
	global_store_dword v[14:15], v11, off
                                        ; implicit-def: $vgpr14_vgpr15
	s_and_saveexec_b64 s[0:1], vcc
	s_xor_b64 s[0:1], exec, s[0:1]
; %bb.90:
	v_xor_b32_e32 v14, 0xfffffbff, v0
	;; [unrolled: 43-line block ×6, first 2 shown]
	v_ashrrev_i32_e32 v15, 31, v14
	v_add_co_u32_e32 v14, vcc, v19, v14
	v_addc_co_u32_e32 v15, vcc, v21, v15, vcc
; %bb.123:
	s_andn2_saveexec_b64 s[0:1], s[0:1]
; %bb.124:
	v_add_co_u32_e32 v14, vcc, v1, v20
	v_addc_co_u32_e32 v15, vcc, 0, v16, vcc
; %bb.125:
	s_or_b64 exec, exec, s[0:1]
	s_mov_b64 s[0:1], -1
	s_branch .LBB1086_206
.LBB1086_126:
	s_mov_b64 s[0:1], 0
                                        ; implicit-def: $vgpr14_vgpr15
	s_cbranch_execz .LBB1086_206
; %bb.127:
	v_cmp_gt_u32_e32 vcc, s33, v0
	s_and_saveexec_b64 s[2:3], vcc
	s_cbranch_execz .LBB1086_163
; %bb.128:
	v_cmp_ge_u32_e32 vcc, v0, v18
                                        ; implicit-def: $vgpr14_vgpr15
	s_and_saveexec_b64 s[4:5], vcc
	s_xor_b64 s[4:5], exec, s[4:5]
; %bb.129:
	v_not_b32_e32 v14, v0
	v_ashrrev_i32_e32 v15, 31, v14
	v_add_co_u32_e32 v14, vcc, v19, v14
	v_addc_co_u32_e32 v15, vcc, v21, v15, vcc
; %bb.130:
	s_andn2_saveexec_b64 s[4:5], s[4:5]
; %bb.131:
	v_add_co_u32_e32 v14, vcc, v1, v0
	v_addc_co_u32_e32 v15, vcc, 0, v16, vcc
; %bb.132:
	s_or_b64 exec, exec, s[4:5]
	v_lshlrev_b64 v[14:15], 2, v[14:15]
	v_mov_b32_e32 v33, s25
	v_add_co_u32_e32 v14, vcc, s24, v14
	v_addc_co_u32_e32 v15, vcc, v33, v15, vcc
	s_waitcnt lgkmcnt(6)
	global_store_dword v[14:15], v12, off
	s_or_b64 exec, exec, s[2:3]
	v_cmp_gt_u32_e32 vcc, s33, v32
	s_and_saveexec_b64 s[2:3], vcc
	s_cbranch_execnz .LBB1086_164
.LBB1086_133:
	s_or_b64 exec, exec, s[2:3]
	v_cmp_gt_u32_e32 vcc, s33, v31
	s_and_saveexec_b64 s[2:3], vcc
	s_cbranch_execz .LBB1086_169
.LBB1086_134:
	v_cmp_ge_u32_e32 vcc, v31, v18
                                        ; implicit-def: $vgpr12_vgpr13
	s_and_saveexec_b64 s[4:5], vcc
	s_xor_b64 s[4:5], exec, s[4:5]
	s_cbranch_execz .LBB1086_136
; %bb.135:
	s_waitcnt lgkmcnt(6)
	v_xor_b32_e32 v12, 0xfffffdff, v0
	v_ashrrev_i32_e32 v13, 31, v12
	v_add_co_u32_e32 v12, vcc, v19, v12
	v_addc_co_u32_e32 v13, vcc, v21, v13, vcc
                                        ; implicit-def: $vgpr31
.LBB1086_136:
	s_andn2_saveexec_b64 s[4:5], s[4:5]
	s_cbranch_execz .LBB1086_138
; %bb.137:
	s_waitcnt lgkmcnt(6)
	v_add_co_u32_e32 v12, vcc, v1, v31
	v_addc_co_u32_e32 v13, vcc, 0, v16, vcc
.LBB1086_138:
	s_or_b64 exec, exec, s[4:5]
	s_waitcnt lgkmcnt(6)
	v_lshlrev_b64 v[12:13], 2, v[12:13]
	v_mov_b32_e32 v14, s25
	v_add_co_u32_e32 v12, vcc, s24, v12
	v_addc_co_u32_e32 v13, vcc, v14, v13, vcc
	s_waitcnt lgkmcnt(5)
	global_store_dword v[12:13], v10, off
	s_or_b64 exec, exec, s[2:3]
	v_cmp_gt_u32_e32 vcc, s33, v30
	s_and_saveexec_b64 s[2:3], vcc
	s_cbranch_execnz .LBB1086_170
.LBB1086_139:
	s_or_b64 exec, exec, s[2:3]
	v_cmp_gt_u32_e32 vcc, s33, v29
	s_and_saveexec_b64 s[2:3], vcc
	s_cbranch_execz .LBB1086_175
.LBB1086_140:
	v_cmp_ge_u32_e32 vcc, v29, v18
                                        ; implicit-def: $vgpr10_vgpr11
	s_and_saveexec_b64 s[4:5], vcc
	s_xor_b64 s[4:5], exec, s[4:5]
	s_cbranch_execz .LBB1086_142
; %bb.141:
	s_waitcnt lgkmcnt(5)
	v_xor_b32_e32 v10, 0xfffffbff, v0
	v_ashrrev_i32_e32 v11, 31, v10
	v_add_co_u32_e32 v10, vcc, v19, v10
	v_addc_co_u32_e32 v11, vcc, v21, v11, vcc
                                        ; implicit-def: $vgpr29
.LBB1086_142:
	s_andn2_saveexec_b64 s[4:5], s[4:5]
	s_cbranch_execz .LBB1086_144
; %bb.143:
	s_waitcnt lgkmcnt(5)
	v_add_co_u32_e32 v10, vcc, v1, v29
	v_addc_co_u32_e32 v11, vcc, 0, v16, vcc
.LBB1086_144:
	s_or_b64 exec, exec, s[4:5]
	s_waitcnt lgkmcnt(5)
	v_lshlrev_b64 v[10:11], 2, v[10:11]
	v_mov_b32_e32 v12, s25
	v_add_co_u32_e32 v10, vcc, s24, v10
	v_addc_co_u32_e32 v11, vcc, v12, v11, vcc
	s_waitcnt lgkmcnt(4)
	global_store_dword v[10:11], v8, off
	s_or_b64 exec, exec, s[2:3]
	v_cmp_gt_u32_e32 vcc, s33, v28
	s_and_saveexec_b64 s[2:3], vcc
	s_cbranch_execnz .LBB1086_176
.LBB1086_145:
	s_or_b64 exec, exec, s[2:3]
	v_cmp_gt_u32_e32 vcc, s33, v27
	s_and_saveexec_b64 s[2:3], vcc
	s_cbranch_execz .LBB1086_181
.LBB1086_146:
	v_cmp_ge_u32_e32 vcc, v27, v18
                                        ; implicit-def: $vgpr8_vgpr9
	s_and_saveexec_b64 s[4:5], vcc
	s_xor_b64 s[4:5], exec, s[4:5]
	s_cbranch_execz .LBB1086_148
; %bb.147:
	s_waitcnt lgkmcnt(4)
	v_xor_b32_e32 v8, 0xfffff9ff, v0
	v_ashrrev_i32_e32 v9, 31, v8
	v_add_co_u32_e32 v8, vcc, v19, v8
	v_addc_co_u32_e32 v9, vcc, v21, v9, vcc
                                        ; implicit-def: $vgpr27
.LBB1086_148:
	s_andn2_saveexec_b64 s[4:5], s[4:5]
	s_cbranch_execz .LBB1086_150
; %bb.149:
	s_waitcnt lgkmcnt(4)
	v_add_co_u32_e32 v8, vcc, v1, v27
	v_addc_co_u32_e32 v9, vcc, 0, v16, vcc
.LBB1086_150:
	s_or_b64 exec, exec, s[4:5]
	s_waitcnt lgkmcnt(4)
	v_lshlrev_b64 v[8:9], 2, v[8:9]
	v_mov_b32_e32 v10, s25
	v_add_co_u32_e32 v8, vcc, s24, v8
	v_addc_co_u32_e32 v9, vcc, v10, v9, vcc
	s_waitcnt lgkmcnt(3)
	global_store_dword v[8:9], v6, off
	s_or_b64 exec, exec, s[2:3]
	v_cmp_gt_u32_e32 vcc, s33, v26
	s_and_saveexec_b64 s[2:3], vcc
	s_cbranch_execnz .LBB1086_182
.LBB1086_151:
	s_or_b64 exec, exec, s[2:3]
	v_cmp_gt_u32_e32 vcc, s33, v25
	s_and_saveexec_b64 s[2:3], vcc
	s_cbranch_execz .LBB1086_187
.LBB1086_152:
	v_cmp_ge_u32_e32 vcc, v25, v18
                                        ; implicit-def: $vgpr6_vgpr7
	s_and_saveexec_b64 s[4:5], vcc
	s_xor_b64 s[4:5], exec, s[4:5]
	s_cbranch_execz .LBB1086_154
; %bb.153:
	s_waitcnt lgkmcnt(3)
	v_xor_b32_e32 v6, 0xfffff7ff, v0
	v_ashrrev_i32_e32 v7, 31, v6
	v_add_co_u32_e32 v6, vcc, v19, v6
	v_addc_co_u32_e32 v7, vcc, v21, v7, vcc
                                        ; implicit-def: $vgpr25
.LBB1086_154:
	s_andn2_saveexec_b64 s[4:5], s[4:5]
	s_cbranch_execz .LBB1086_156
; %bb.155:
	s_waitcnt lgkmcnt(3)
	v_add_co_u32_e32 v6, vcc, v1, v25
	v_addc_co_u32_e32 v7, vcc, 0, v16, vcc
.LBB1086_156:
	s_or_b64 exec, exec, s[4:5]
	s_waitcnt lgkmcnt(3)
	v_lshlrev_b64 v[6:7], 2, v[6:7]
	v_mov_b32_e32 v8, s25
	v_add_co_u32_e32 v6, vcc, s24, v6
	v_addc_co_u32_e32 v7, vcc, v8, v7, vcc
	s_waitcnt lgkmcnt(2)
	global_store_dword v[6:7], v4, off
	s_or_b64 exec, exec, s[2:3]
	v_cmp_gt_u32_e32 vcc, s33, v24
	s_and_saveexec_b64 s[2:3], vcc
	s_cbranch_execnz .LBB1086_188
.LBB1086_157:
	s_or_b64 exec, exec, s[2:3]
	v_cmp_gt_u32_e32 vcc, s33, v23
	s_and_saveexec_b64 s[2:3], vcc
	s_cbranch_execz .LBB1086_193
.LBB1086_158:
	v_cmp_ge_u32_e32 vcc, v23, v18
                                        ; implicit-def: $vgpr4_vgpr5
	s_and_saveexec_b64 s[4:5], vcc
	s_xor_b64 s[4:5], exec, s[4:5]
	s_cbranch_execz .LBB1086_160
; %bb.159:
	s_waitcnt lgkmcnt(2)
	v_xor_b32_e32 v4, 0xfffff5ff, v0
	v_ashrrev_i32_e32 v5, 31, v4
	v_add_co_u32_e32 v4, vcc, v19, v4
	v_addc_co_u32_e32 v5, vcc, v21, v5, vcc
                                        ; implicit-def: $vgpr23
.LBB1086_160:
	s_andn2_saveexec_b64 s[4:5], s[4:5]
	s_cbranch_execz .LBB1086_162
; %bb.161:
	s_waitcnt lgkmcnt(2)
	v_add_co_u32_e32 v4, vcc, v1, v23
	v_addc_co_u32_e32 v5, vcc, 0, v16, vcc
.LBB1086_162:
	s_or_b64 exec, exec, s[4:5]
	s_waitcnt lgkmcnt(2)
	v_lshlrev_b64 v[4:5], 2, v[4:5]
	v_mov_b32_e32 v6, s25
	v_add_co_u32_e32 v4, vcc, s24, v4
	v_addc_co_u32_e32 v5, vcc, v6, v5, vcc
	s_waitcnt lgkmcnt(1)
	global_store_dword v[4:5], v2, off
	s_or_b64 exec, exec, s[2:3]
	v_cmp_gt_u32_e32 vcc, s33, v22
	s_and_saveexec_b64 s[2:3], vcc
	s_cbranch_execz .LBB1086_199
	s_branch .LBB1086_194
.LBB1086_163:
	s_or_b64 exec, exec, s[2:3]
	v_cmp_gt_u32_e32 vcc, s33, v32
	s_and_saveexec_b64 s[2:3], vcc
	s_cbranch_execz .LBB1086_133
.LBB1086_164:
	v_cmp_ge_u32_e32 vcc, v32, v18
                                        ; implicit-def: $vgpr14_vgpr15
	s_and_saveexec_b64 s[4:5], vcc
	s_xor_b64 s[4:5], exec, s[4:5]
	s_cbranch_execz .LBB1086_166
; %bb.165:
	s_waitcnt lgkmcnt(6)
	v_xor_b32_e32 v12, 0xfffffeff, v0
	v_ashrrev_i32_e32 v15, 31, v12
	v_add_co_u32_e32 v14, vcc, v19, v12
	v_addc_co_u32_e32 v15, vcc, v21, v15, vcc
                                        ; implicit-def: $vgpr32
.LBB1086_166:
	s_andn2_saveexec_b64 s[4:5], s[4:5]
; %bb.167:
	v_add_co_u32_e32 v14, vcc, v1, v32
	v_addc_co_u32_e32 v15, vcc, 0, v16, vcc
; %bb.168:
	s_or_b64 exec, exec, s[4:5]
	v_lshlrev_b64 v[14:15], 2, v[14:15]
	s_waitcnt lgkmcnt(6)
	v_mov_b32_e32 v12, s25
	v_add_co_u32_e32 v14, vcc, s24, v14
	v_addc_co_u32_e32 v15, vcc, v12, v15, vcc
	global_store_dword v[14:15], v13, off
	s_or_b64 exec, exec, s[2:3]
	v_cmp_gt_u32_e32 vcc, s33, v31
	s_and_saveexec_b64 s[2:3], vcc
	s_cbranch_execnz .LBB1086_134
.LBB1086_169:
	s_or_b64 exec, exec, s[2:3]
	v_cmp_gt_u32_e32 vcc, s33, v30
	s_and_saveexec_b64 s[2:3], vcc
	s_cbranch_execz .LBB1086_139
.LBB1086_170:
	v_cmp_ge_u32_e32 vcc, v30, v18
                                        ; implicit-def: $vgpr12_vgpr13
	s_and_saveexec_b64 s[4:5], vcc
	s_xor_b64 s[4:5], exec, s[4:5]
	s_cbranch_execz .LBB1086_172
; %bb.171:
	s_waitcnt lgkmcnt(5)
	v_xor_b32_e32 v10, 0xfffffcff, v0
	v_ashrrev_i32_e32 v13, 31, v10
	v_add_co_u32_e32 v12, vcc, v19, v10
	v_addc_co_u32_e32 v13, vcc, v21, v13, vcc
                                        ; implicit-def: $vgpr30
.LBB1086_172:
	s_andn2_saveexec_b64 s[4:5], s[4:5]
	s_cbranch_execz .LBB1086_174
; %bb.173:
	s_waitcnt lgkmcnt(6)
	v_add_co_u32_e32 v12, vcc, v1, v30
	v_addc_co_u32_e32 v13, vcc, 0, v16, vcc
.LBB1086_174:
	s_or_b64 exec, exec, s[4:5]
	s_waitcnt lgkmcnt(6)
	v_lshlrev_b64 v[12:13], 2, v[12:13]
	s_waitcnt lgkmcnt(5)
	v_mov_b32_e32 v10, s25
	v_add_co_u32_e32 v12, vcc, s24, v12
	v_addc_co_u32_e32 v13, vcc, v10, v13, vcc
	global_store_dword v[12:13], v11, off
	s_or_b64 exec, exec, s[2:3]
	v_cmp_gt_u32_e32 vcc, s33, v29
	s_and_saveexec_b64 s[2:3], vcc
	s_cbranch_execnz .LBB1086_140
.LBB1086_175:
	s_or_b64 exec, exec, s[2:3]
	v_cmp_gt_u32_e32 vcc, s33, v28
	s_and_saveexec_b64 s[2:3], vcc
	s_cbranch_execz .LBB1086_145
.LBB1086_176:
	v_cmp_ge_u32_e32 vcc, v28, v18
                                        ; implicit-def: $vgpr10_vgpr11
	s_and_saveexec_b64 s[4:5], vcc
	s_xor_b64 s[4:5], exec, s[4:5]
	s_cbranch_execz .LBB1086_178
; %bb.177:
	s_waitcnt lgkmcnt(4)
	v_xor_b32_e32 v8, 0xfffffaff, v0
	v_ashrrev_i32_e32 v11, 31, v8
	v_add_co_u32_e32 v10, vcc, v19, v8
	v_addc_co_u32_e32 v11, vcc, v21, v11, vcc
                                        ; implicit-def: $vgpr28
.LBB1086_178:
	s_andn2_saveexec_b64 s[4:5], s[4:5]
	s_cbranch_execz .LBB1086_180
; %bb.179:
	s_waitcnt lgkmcnt(5)
	v_add_co_u32_e32 v10, vcc, v1, v28
	v_addc_co_u32_e32 v11, vcc, 0, v16, vcc
.LBB1086_180:
	s_or_b64 exec, exec, s[4:5]
	s_waitcnt lgkmcnt(5)
	v_lshlrev_b64 v[10:11], 2, v[10:11]
	s_waitcnt lgkmcnt(4)
	v_mov_b32_e32 v8, s25
	v_add_co_u32_e32 v10, vcc, s24, v10
	v_addc_co_u32_e32 v11, vcc, v8, v11, vcc
	global_store_dword v[10:11], v9, off
	s_or_b64 exec, exec, s[2:3]
	v_cmp_gt_u32_e32 vcc, s33, v27
	s_and_saveexec_b64 s[2:3], vcc
	s_cbranch_execnz .LBB1086_146
.LBB1086_181:
	s_or_b64 exec, exec, s[2:3]
	v_cmp_gt_u32_e32 vcc, s33, v26
	s_and_saveexec_b64 s[2:3], vcc
	s_cbranch_execz .LBB1086_151
.LBB1086_182:
	v_cmp_ge_u32_e32 vcc, v26, v18
                                        ; implicit-def: $vgpr8_vgpr9
	s_and_saveexec_b64 s[4:5], vcc
	s_xor_b64 s[4:5], exec, s[4:5]
	s_cbranch_execz .LBB1086_184
; %bb.183:
	s_waitcnt lgkmcnt(3)
	v_xor_b32_e32 v6, 0xfffff8ff, v0
	v_ashrrev_i32_e32 v9, 31, v6
	v_add_co_u32_e32 v8, vcc, v19, v6
	v_addc_co_u32_e32 v9, vcc, v21, v9, vcc
                                        ; implicit-def: $vgpr26
.LBB1086_184:
	s_andn2_saveexec_b64 s[4:5], s[4:5]
	s_cbranch_execz .LBB1086_186
; %bb.185:
	s_waitcnt lgkmcnt(4)
	v_add_co_u32_e32 v8, vcc, v1, v26
	v_addc_co_u32_e32 v9, vcc, 0, v16, vcc
.LBB1086_186:
	s_or_b64 exec, exec, s[4:5]
	s_waitcnt lgkmcnt(4)
	v_lshlrev_b64 v[8:9], 2, v[8:9]
	s_waitcnt lgkmcnt(3)
	v_mov_b32_e32 v6, s25
	v_add_co_u32_e32 v8, vcc, s24, v8
	v_addc_co_u32_e32 v9, vcc, v6, v9, vcc
	global_store_dword v[8:9], v7, off
	s_or_b64 exec, exec, s[2:3]
	v_cmp_gt_u32_e32 vcc, s33, v25
	s_and_saveexec_b64 s[2:3], vcc
	s_cbranch_execnz .LBB1086_152
.LBB1086_187:
	s_or_b64 exec, exec, s[2:3]
	v_cmp_gt_u32_e32 vcc, s33, v24
	s_and_saveexec_b64 s[2:3], vcc
	s_cbranch_execz .LBB1086_157
.LBB1086_188:
	v_cmp_ge_u32_e32 vcc, v24, v18
                                        ; implicit-def: $vgpr6_vgpr7
	s_and_saveexec_b64 s[4:5], vcc
	s_xor_b64 s[4:5], exec, s[4:5]
	s_cbranch_execz .LBB1086_190
; %bb.189:
	s_waitcnt lgkmcnt(2)
	v_xor_b32_e32 v4, 0xfffff6ff, v0
	v_ashrrev_i32_e32 v7, 31, v4
	v_add_co_u32_e32 v6, vcc, v19, v4
	v_addc_co_u32_e32 v7, vcc, v21, v7, vcc
                                        ; implicit-def: $vgpr24
.LBB1086_190:
	s_andn2_saveexec_b64 s[4:5], s[4:5]
	s_cbranch_execz .LBB1086_192
; %bb.191:
	s_waitcnt lgkmcnt(3)
	v_add_co_u32_e32 v6, vcc, v1, v24
	v_addc_co_u32_e32 v7, vcc, 0, v16, vcc
.LBB1086_192:
	s_or_b64 exec, exec, s[4:5]
	s_waitcnt lgkmcnt(3)
	v_lshlrev_b64 v[6:7], 2, v[6:7]
	s_waitcnt lgkmcnt(2)
	v_mov_b32_e32 v4, s25
	v_add_co_u32_e32 v6, vcc, s24, v6
	v_addc_co_u32_e32 v7, vcc, v4, v7, vcc
	global_store_dword v[6:7], v5, off
	s_or_b64 exec, exec, s[2:3]
	v_cmp_gt_u32_e32 vcc, s33, v23
	s_and_saveexec_b64 s[2:3], vcc
	s_cbranch_execnz .LBB1086_158
.LBB1086_193:
	s_or_b64 exec, exec, s[2:3]
	v_cmp_gt_u32_e32 vcc, s33, v22
	s_and_saveexec_b64 s[2:3], vcc
	s_cbranch_execz .LBB1086_199
.LBB1086_194:
	v_cmp_ge_u32_e32 vcc, v22, v18
                                        ; implicit-def: $vgpr4_vgpr5
	s_and_saveexec_b64 s[4:5], vcc
	s_xor_b64 s[4:5], exec, s[4:5]
	s_cbranch_execz .LBB1086_196
; %bb.195:
	s_waitcnt lgkmcnt(1)
	v_xor_b32_e32 v2, 0xfffff4ff, v0
	v_ashrrev_i32_e32 v5, 31, v2
	v_add_co_u32_e32 v4, vcc, v19, v2
	v_addc_co_u32_e32 v5, vcc, v21, v5, vcc
                                        ; implicit-def: $vgpr22
.LBB1086_196:
	s_andn2_saveexec_b64 s[4:5], s[4:5]
	s_cbranch_execz .LBB1086_198
; %bb.197:
	s_waitcnt lgkmcnt(2)
	v_add_co_u32_e32 v4, vcc, v1, v22
	v_addc_co_u32_e32 v5, vcc, 0, v16, vcc
.LBB1086_198:
	s_or_b64 exec, exec, s[4:5]
	s_waitcnt lgkmcnt(2)
	v_lshlrev_b64 v[4:5], 2, v[4:5]
	s_waitcnt lgkmcnt(1)
	v_mov_b32_e32 v2, s25
	v_add_co_u32_e32 v4, vcc, s24, v4
	v_addc_co_u32_e32 v5, vcc, v2, v5, vcc
	global_store_dword v[4:5], v3, off
.LBB1086_199:
	s_or_b64 exec, exec, s[2:3]
	v_cmp_gt_u32_e32 vcc, s33, v20
                                        ; implicit-def: $vgpr14_vgpr15
	s_and_saveexec_b64 s[2:3], vcc
	s_cbranch_execz .LBB1086_205
; %bb.200:
	v_cmp_ge_u32_e32 vcc, v20, v18
                                        ; implicit-def: $vgpr14_vgpr15
	s_and_saveexec_b64 s[4:5], vcc
	s_xor_b64 s[4:5], exec, s[4:5]
	s_cbranch_execz .LBB1086_202
; %bb.201:
	s_waitcnt lgkmcnt(1)
	v_xor_b32_e32 v2, 0xfffff3ff, v0
	v_ashrrev_i32_e32 v3, 31, v2
	v_add_co_u32_e32 v14, vcc, v19, v2
	v_addc_co_u32_e32 v15, vcc, v21, v3, vcc
                                        ; implicit-def: $vgpr20
.LBB1086_202:
	s_andn2_saveexec_b64 s[4:5], s[4:5]
; %bb.203:
	v_add_co_u32_e32 v14, vcc, v1, v20
	v_addc_co_u32_e32 v15, vcc, 0, v16, vcc
; %bb.204:
	s_or_b64 exec, exec, s[4:5]
	s_or_b64 s[0:1], s[0:1], exec
.LBB1086_205:
	s_or_b64 exec, exec, s[2:3]
.LBB1086_206:
	s_and_saveexec_b64 s[2:3], s[0:1]
	s_cbranch_execz .LBB1086_208
; %bb.207:
	s_waitcnt lgkmcnt(1)
	v_lshlrev_b64 v[2:3], 2, v[14:15]
	v_mov_b32_e32 v4, s25
	v_add_co_u32_e32 v2, vcc, s24, v2
	v_addc_co_u32_e32 v3, vcc, v4, v3, vcc
	s_waitcnt lgkmcnt(0)
	global_store_dword v[2:3], v17, off
.LBB1086_208:
	s_or_b64 exec, exec, s[2:3]
	v_cmp_eq_u32_e32 vcc, 0, v0
	s_and_b64 s[0:1], vcc, s[22:23]
	s_and_saveexec_b64 s[2:3], s[0:1]
	s_cbranch_execz .LBB1086_210
; %bb.209:
	v_add_co_u32_e32 v0, vcc, v1, v18
	s_waitcnt lgkmcnt(1)
	v_mov_b32_e32 v2, 0
	v_addc_co_u32_e32 v1, vcc, 0, v16, vcc
	global_store_dwordx2 v2, v[0:1], s[20:21]
.LBB1086_210:
	s_endpgm
	.section	.rodata,"a",@progbits
	.p2align	6, 0x0
	.amdhsa_kernel _ZN7rocprim17ROCPRIM_400000_NS6detail17trampoline_kernelINS0_13select_configILj256ELj13ELNS0_17block_load_methodE3ELS4_3ELS4_3ELNS0_20block_scan_algorithmE0ELj4294967295EEENS1_25partition_config_selectorILNS1_17partition_subalgoE3EjNS0_10empty_typeEbEEZZNS1_14partition_implILS8_3ELb0ES6_jNS0_17counting_iteratorIjlEEPS9_SE_NS0_5tupleIJPjSE_EEENSF_IJSE_SE_EEES9_SG_JZNS1_25segmented_radix_sort_implINS0_14default_configELb1EPKdPdPKlPlN2at6native12_GLOBAL__N_18offset_tEEE10hipError_tPvRmT1_PNSt15iterator_traitsISY_E10value_typeET2_T3_PNSZ_IS14_E10value_typeET4_jRbjT5_S1A_jjP12ihipStream_tbEUljE_EEESV_SW_SX_S14_S18_S1A_T6_T7_T9_mT8_S1C_bDpT10_ENKUlT_T0_E_clISt17integral_constantIbLb0EES1P_EEDaS1K_S1L_EUlS1K_E_NS1_11comp_targetILNS1_3genE4ELNS1_11target_archE910ELNS1_3gpuE8ELNS1_3repE0EEENS1_30default_config_static_selectorELNS0_4arch9wavefront6targetE1EEEvSY_
		.amdhsa_group_segment_fixed_size 13324
		.amdhsa_private_segment_fixed_size 0
		.amdhsa_kernarg_size 144
		.amdhsa_user_sgpr_count 6
		.amdhsa_user_sgpr_private_segment_buffer 1
		.amdhsa_user_sgpr_dispatch_ptr 0
		.amdhsa_user_sgpr_queue_ptr 0
		.amdhsa_user_sgpr_kernarg_segment_ptr 1
		.amdhsa_user_sgpr_dispatch_id 0
		.amdhsa_user_sgpr_flat_scratch_init 0
		.amdhsa_user_sgpr_kernarg_preload_length 0
		.amdhsa_user_sgpr_kernarg_preload_offset 0
		.amdhsa_user_sgpr_private_segment_size 0
		.amdhsa_uses_dynamic_stack 0
		.amdhsa_system_sgpr_private_segment_wavefront_offset 0
		.amdhsa_system_sgpr_workgroup_id_x 1
		.amdhsa_system_sgpr_workgroup_id_y 0
		.amdhsa_system_sgpr_workgroup_id_z 0
		.amdhsa_system_sgpr_workgroup_info 0
		.amdhsa_system_vgpr_workitem_id 0
		.amdhsa_next_free_vgpr 61
		.amdhsa_next_free_sgpr 46
		.amdhsa_accum_offset 64
		.amdhsa_reserve_vcc 1
		.amdhsa_reserve_flat_scratch 0
		.amdhsa_float_round_mode_32 0
		.amdhsa_float_round_mode_16_64 0
		.amdhsa_float_denorm_mode_32 3
		.amdhsa_float_denorm_mode_16_64 3
		.amdhsa_dx10_clamp 1
		.amdhsa_ieee_mode 1
		.amdhsa_fp16_overflow 0
		.amdhsa_tg_split 0
		.amdhsa_exception_fp_ieee_invalid_op 0
		.amdhsa_exception_fp_denorm_src 0
		.amdhsa_exception_fp_ieee_div_zero 0
		.amdhsa_exception_fp_ieee_overflow 0
		.amdhsa_exception_fp_ieee_underflow 0
		.amdhsa_exception_fp_ieee_inexact 0
		.amdhsa_exception_int_div_zero 0
	.end_amdhsa_kernel
	.section	.text._ZN7rocprim17ROCPRIM_400000_NS6detail17trampoline_kernelINS0_13select_configILj256ELj13ELNS0_17block_load_methodE3ELS4_3ELS4_3ELNS0_20block_scan_algorithmE0ELj4294967295EEENS1_25partition_config_selectorILNS1_17partition_subalgoE3EjNS0_10empty_typeEbEEZZNS1_14partition_implILS8_3ELb0ES6_jNS0_17counting_iteratorIjlEEPS9_SE_NS0_5tupleIJPjSE_EEENSF_IJSE_SE_EEES9_SG_JZNS1_25segmented_radix_sort_implINS0_14default_configELb1EPKdPdPKlPlN2at6native12_GLOBAL__N_18offset_tEEE10hipError_tPvRmT1_PNSt15iterator_traitsISY_E10value_typeET2_T3_PNSZ_IS14_E10value_typeET4_jRbjT5_S1A_jjP12ihipStream_tbEUljE_EEESV_SW_SX_S14_S18_S1A_T6_T7_T9_mT8_S1C_bDpT10_ENKUlT_T0_E_clISt17integral_constantIbLb0EES1P_EEDaS1K_S1L_EUlS1K_E_NS1_11comp_targetILNS1_3genE4ELNS1_11target_archE910ELNS1_3gpuE8ELNS1_3repE0EEENS1_30default_config_static_selectorELNS0_4arch9wavefront6targetE1EEEvSY_,"axG",@progbits,_ZN7rocprim17ROCPRIM_400000_NS6detail17trampoline_kernelINS0_13select_configILj256ELj13ELNS0_17block_load_methodE3ELS4_3ELS4_3ELNS0_20block_scan_algorithmE0ELj4294967295EEENS1_25partition_config_selectorILNS1_17partition_subalgoE3EjNS0_10empty_typeEbEEZZNS1_14partition_implILS8_3ELb0ES6_jNS0_17counting_iteratorIjlEEPS9_SE_NS0_5tupleIJPjSE_EEENSF_IJSE_SE_EEES9_SG_JZNS1_25segmented_radix_sort_implINS0_14default_configELb1EPKdPdPKlPlN2at6native12_GLOBAL__N_18offset_tEEE10hipError_tPvRmT1_PNSt15iterator_traitsISY_E10value_typeET2_T3_PNSZ_IS14_E10value_typeET4_jRbjT5_S1A_jjP12ihipStream_tbEUljE_EEESV_SW_SX_S14_S18_S1A_T6_T7_T9_mT8_S1C_bDpT10_ENKUlT_T0_E_clISt17integral_constantIbLb0EES1P_EEDaS1K_S1L_EUlS1K_E_NS1_11comp_targetILNS1_3genE4ELNS1_11target_archE910ELNS1_3gpuE8ELNS1_3repE0EEENS1_30default_config_static_selectorELNS0_4arch9wavefront6targetE1EEEvSY_,comdat
.Lfunc_end1086:
	.size	_ZN7rocprim17ROCPRIM_400000_NS6detail17trampoline_kernelINS0_13select_configILj256ELj13ELNS0_17block_load_methodE3ELS4_3ELS4_3ELNS0_20block_scan_algorithmE0ELj4294967295EEENS1_25partition_config_selectorILNS1_17partition_subalgoE3EjNS0_10empty_typeEbEEZZNS1_14partition_implILS8_3ELb0ES6_jNS0_17counting_iteratorIjlEEPS9_SE_NS0_5tupleIJPjSE_EEENSF_IJSE_SE_EEES9_SG_JZNS1_25segmented_radix_sort_implINS0_14default_configELb1EPKdPdPKlPlN2at6native12_GLOBAL__N_18offset_tEEE10hipError_tPvRmT1_PNSt15iterator_traitsISY_E10value_typeET2_T3_PNSZ_IS14_E10value_typeET4_jRbjT5_S1A_jjP12ihipStream_tbEUljE_EEESV_SW_SX_S14_S18_S1A_T6_T7_T9_mT8_S1C_bDpT10_ENKUlT_T0_E_clISt17integral_constantIbLb0EES1P_EEDaS1K_S1L_EUlS1K_E_NS1_11comp_targetILNS1_3genE4ELNS1_11target_archE910ELNS1_3gpuE8ELNS1_3repE0EEENS1_30default_config_static_selectorELNS0_4arch9wavefront6targetE1EEEvSY_, .Lfunc_end1086-_ZN7rocprim17ROCPRIM_400000_NS6detail17trampoline_kernelINS0_13select_configILj256ELj13ELNS0_17block_load_methodE3ELS4_3ELS4_3ELNS0_20block_scan_algorithmE0ELj4294967295EEENS1_25partition_config_selectorILNS1_17partition_subalgoE3EjNS0_10empty_typeEbEEZZNS1_14partition_implILS8_3ELb0ES6_jNS0_17counting_iteratorIjlEEPS9_SE_NS0_5tupleIJPjSE_EEENSF_IJSE_SE_EEES9_SG_JZNS1_25segmented_radix_sort_implINS0_14default_configELb1EPKdPdPKlPlN2at6native12_GLOBAL__N_18offset_tEEE10hipError_tPvRmT1_PNSt15iterator_traitsISY_E10value_typeET2_T3_PNSZ_IS14_E10value_typeET4_jRbjT5_S1A_jjP12ihipStream_tbEUljE_EEESV_SW_SX_S14_S18_S1A_T6_T7_T9_mT8_S1C_bDpT10_ENKUlT_T0_E_clISt17integral_constantIbLb0EES1P_EEDaS1K_S1L_EUlS1K_E_NS1_11comp_targetILNS1_3genE4ELNS1_11target_archE910ELNS1_3gpuE8ELNS1_3repE0EEENS1_30default_config_static_selectorELNS0_4arch9wavefront6targetE1EEEvSY_
                                        ; -- End function
	.section	.AMDGPU.csdata,"",@progbits
; Kernel info:
; codeLenInByte = 7676
; NumSgprs: 50
; NumVgprs: 61
; NumAgprs: 0
; TotalNumVgprs: 61
; ScratchSize: 0
; MemoryBound: 0
; FloatMode: 240
; IeeeMode: 1
; LDSByteSize: 13324 bytes/workgroup (compile time only)
; SGPRBlocks: 6
; VGPRBlocks: 7
; NumSGPRsForWavesPerEU: 50
; NumVGPRsForWavesPerEU: 61
; AccumOffset: 64
; Occupancy: 4
; WaveLimiterHint : 0
; COMPUTE_PGM_RSRC2:SCRATCH_EN: 0
; COMPUTE_PGM_RSRC2:USER_SGPR: 6
; COMPUTE_PGM_RSRC2:TRAP_HANDLER: 0
; COMPUTE_PGM_RSRC2:TGID_X_EN: 1
; COMPUTE_PGM_RSRC2:TGID_Y_EN: 0
; COMPUTE_PGM_RSRC2:TGID_Z_EN: 0
; COMPUTE_PGM_RSRC2:TIDIG_COMP_CNT: 0
; COMPUTE_PGM_RSRC3_GFX90A:ACCUM_OFFSET: 15
; COMPUTE_PGM_RSRC3_GFX90A:TG_SPLIT: 0
	.section	.text._ZN7rocprim17ROCPRIM_400000_NS6detail17trampoline_kernelINS0_13select_configILj256ELj13ELNS0_17block_load_methodE3ELS4_3ELS4_3ELNS0_20block_scan_algorithmE0ELj4294967295EEENS1_25partition_config_selectorILNS1_17partition_subalgoE3EjNS0_10empty_typeEbEEZZNS1_14partition_implILS8_3ELb0ES6_jNS0_17counting_iteratorIjlEEPS9_SE_NS0_5tupleIJPjSE_EEENSF_IJSE_SE_EEES9_SG_JZNS1_25segmented_radix_sort_implINS0_14default_configELb1EPKdPdPKlPlN2at6native12_GLOBAL__N_18offset_tEEE10hipError_tPvRmT1_PNSt15iterator_traitsISY_E10value_typeET2_T3_PNSZ_IS14_E10value_typeET4_jRbjT5_S1A_jjP12ihipStream_tbEUljE_EEESV_SW_SX_S14_S18_S1A_T6_T7_T9_mT8_S1C_bDpT10_ENKUlT_T0_E_clISt17integral_constantIbLb0EES1P_EEDaS1K_S1L_EUlS1K_E_NS1_11comp_targetILNS1_3genE3ELNS1_11target_archE908ELNS1_3gpuE7ELNS1_3repE0EEENS1_30default_config_static_selectorELNS0_4arch9wavefront6targetE1EEEvSY_,"axG",@progbits,_ZN7rocprim17ROCPRIM_400000_NS6detail17trampoline_kernelINS0_13select_configILj256ELj13ELNS0_17block_load_methodE3ELS4_3ELS4_3ELNS0_20block_scan_algorithmE0ELj4294967295EEENS1_25partition_config_selectorILNS1_17partition_subalgoE3EjNS0_10empty_typeEbEEZZNS1_14partition_implILS8_3ELb0ES6_jNS0_17counting_iteratorIjlEEPS9_SE_NS0_5tupleIJPjSE_EEENSF_IJSE_SE_EEES9_SG_JZNS1_25segmented_radix_sort_implINS0_14default_configELb1EPKdPdPKlPlN2at6native12_GLOBAL__N_18offset_tEEE10hipError_tPvRmT1_PNSt15iterator_traitsISY_E10value_typeET2_T3_PNSZ_IS14_E10value_typeET4_jRbjT5_S1A_jjP12ihipStream_tbEUljE_EEESV_SW_SX_S14_S18_S1A_T6_T7_T9_mT8_S1C_bDpT10_ENKUlT_T0_E_clISt17integral_constantIbLb0EES1P_EEDaS1K_S1L_EUlS1K_E_NS1_11comp_targetILNS1_3genE3ELNS1_11target_archE908ELNS1_3gpuE7ELNS1_3repE0EEENS1_30default_config_static_selectorELNS0_4arch9wavefront6targetE1EEEvSY_,comdat
	.globl	_ZN7rocprim17ROCPRIM_400000_NS6detail17trampoline_kernelINS0_13select_configILj256ELj13ELNS0_17block_load_methodE3ELS4_3ELS4_3ELNS0_20block_scan_algorithmE0ELj4294967295EEENS1_25partition_config_selectorILNS1_17partition_subalgoE3EjNS0_10empty_typeEbEEZZNS1_14partition_implILS8_3ELb0ES6_jNS0_17counting_iteratorIjlEEPS9_SE_NS0_5tupleIJPjSE_EEENSF_IJSE_SE_EEES9_SG_JZNS1_25segmented_radix_sort_implINS0_14default_configELb1EPKdPdPKlPlN2at6native12_GLOBAL__N_18offset_tEEE10hipError_tPvRmT1_PNSt15iterator_traitsISY_E10value_typeET2_T3_PNSZ_IS14_E10value_typeET4_jRbjT5_S1A_jjP12ihipStream_tbEUljE_EEESV_SW_SX_S14_S18_S1A_T6_T7_T9_mT8_S1C_bDpT10_ENKUlT_T0_E_clISt17integral_constantIbLb0EES1P_EEDaS1K_S1L_EUlS1K_E_NS1_11comp_targetILNS1_3genE3ELNS1_11target_archE908ELNS1_3gpuE7ELNS1_3repE0EEENS1_30default_config_static_selectorELNS0_4arch9wavefront6targetE1EEEvSY_ ; -- Begin function _ZN7rocprim17ROCPRIM_400000_NS6detail17trampoline_kernelINS0_13select_configILj256ELj13ELNS0_17block_load_methodE3ELS4_3ELS4_3ELNS0_20block_scan_algorithmE0ELj4294967295EEENS1_25partition_config_selectorILNS1_17partition_subalgoE3EjNS0_10empty_typeEbEEZZNS1_14partition_implILS8_3ELb0ES6_jNS0_17counting_iteratorIjlEEPS9_SE_NS0_5tupleIJPjSE_EEENSF_IJSE_SE_EEES9_SG_JZNS1_25segmented_radix_sort_implINS0_14default_configELb1EPKdPdPKlPlN2at6native12_GLOBAL__N_18offset_tEEE10hipError_tPvRmT1_PNSt15iterator_traitsISY_E10value_typeET2_T3_PNSZ_IS14_E10value_typeET4_jRbjT5_S1A_jjP12ihipStream_tbEUljE_EEESV_SW_SX_S14_S18_S1A_T6_T7_T9_mT8_S1C_bDpT10_ENKUlT_T0_E_clISt17integral_constantIbLb0EES1P_EEDaS1K_S1L_EUlS1K_E_NS1_11comp_targetILNS1_3genE3ELNS1_11target_archE908ELNS1_3gpuE7ELNS1_3repE0EEENS1_30default_config_static_selectorELNS0_4arch9wavefront6targetE1EEEvSY_
	.p2align	8
	.type	_ZN7rocprim17ROCPRIM_400000_NS6detail17trampoline_kernelINS0_13select_configILj256ELj13ELNS0_17block_load_methodE3ELS4_3ELS4_3ELNS0_20block_scan_algorithmE0ELj4294967295EEENS1_25partition_config_selectorILNS1_17partition_subalgoE3EjNS0_10empty_typeEbEEZZNS1_14partition_implILS8_3ELb0ES6_jNS0_17counting_iteratorIjlEEPS9_SE_NS0_5tupleIJPjSE_EEENSF_IJSE_SE_EEES9_SG_JZNS1_25segmented_radix_sort_implINS0_14default_configELb1EPKdPdPKlPlN2at6native12_GLOBAL__N_18offset_tEEE10hipError_tPvRmT1_PNSt15iterator_traitsISY_E10value_typeET2_T3_PNSZ_IS14_E10value_typeET4_jRbjT5_S1A_jjP12ihipStream_tbEUljE_EEESV_SW_SX_S14_S18_S1A_T6_T7_T9_mT8_S1C_bDpT10_ENKUlT_T0_E_clISt17integral_constantIbLb0EES1P_EEDaS1K_S1L_EUlS1K_E_NS1_11comp_targetILNS1_3genE3ELNS1_11target_archE908ELNS1_3gpuE7ELNS1_3repE0EEENS1_30default_config_static_selectorELNS0_4arch9wavefront6targetE1EEEvSY_,@function
_ZN7rocprim17ROCPRIM_400000_NS6detail17trampoline_kernelINS0_13select_configILj256ELj13ELNS0_17block_load_methodE3ELS4_3ELS4_3ELNS0_20block_scan_algorithmE0ELj4294967295EEENS1_25partition_config_selectorILNS1_17partition_subalgoE3EjNS0_10empty_typeEbEEZZNS1_14partition_implILS8_3ELb0ES6_jNS0_17counting_iteratorIjlEEPS9_SE_NS0_5tupleIJPjSE_EEENSF_IJSE_SE_EEES9_SG_JZNS1_25segmented_radix_sort_implINS0_14default_configELb1EPKdPdPKlPlN2at6native12_GLOBAL__N_18offset_tEEE10hipError_tPvRmT1_PNSt15iterator_traitsISY_E10value_typeET2_T3_PNSZ_IS14_E10value_typeET4_jRbjT5_S1A_jjP12ihipStream_tbEUljE_EEESV_SW_SX_S14_S18_S1A_T6_T7_T9_mT8_S1C_bDpT10_ENKUlT_T0_E_clISt17integral_constantIbLb0EES1P_EEDaS1K_S1L_EUlS1K_E_NS1_11comp_targetILNS1_3genE3ELNS1_11target_archE908ELNS1_3gpuE7ELNS1_3repE0EEENS1_30default_config_static_selectorELNS0_4arch9wavefront6targetE1EEEvSY_: ; @_ZN7rocprim17ROCPRIM_400000_NS6detail17trampoline_kernelINS0_13select_configILj256ELj13ELNS0_17block_load_methodE3ELS4_3ELS4_3ELNS0_20block_scan_algorithmE0ELj4294967295EEENS1_25partition_config_selectorILNS1_17partition_subalgoE3EjNS0_10empty_typeEbEEZZNS1_14partition_implILS8_3ELb0ES6_jNS0_17counting_iteratorIjlEEPS9_SE_NS0_5tupleIJPjSE_EEENSF_IJSE_SE_EEES9_SG_JZNS1_25segmented_radix_sort_implINS0_14default_configELb1EPKdPdPKlPlN2at6native12_GLOBAL__N_18offset_tEEE10hipError_tPvRmT1_PNSt15iterator_traitsISY_E10value_typeET2_T3_PNSZ_IS14_E10value_typeET4_jRbjT5_S1A_jjP12ihipStream_tbEUljE_EEESV_SW_SX_S14_S18_S1A_T6_T7_T9_mT8_S1C_bDpT10_ENKUlT_T0_E_clISt17integral_constantIbLb0EES1P_EEDaS1K_S1L_EUlS1K_E_NS1_11comp_targetILNS1_3genE3ELNS1_11target_archE908ELNS1_3gpuE7ELNS1_3repE0EEENS1_30default_config_static_selectorELNS0_4arch9wavefront6targetE1EEEvSY_
; %bb.0:
	.section	.rodata,"a",@progbits
	.p2align	6, 0x0
	.amdhsa_kernel _ZN7rocprim17ROCPRIM_400000_NS6detail17trampoline_kernelINS0_13select_configILj256ELj13ELNS0_17block_load_methodE3ELS4_3ELS4_3ELNS0_20block_scan_algorithmE0ELj4294967295EEENS1_25partition_config_selectorILNS1_17partition_subalgoE3EjNS0_10empty_typeEbEEZZNS1_14partition_implILS8_3ELb0ES6_jNS0_17counting_iteratorIjlEEPS9_SE_NS0_5tupleIJPjSE_EEENSF_IJSE_SE_EEES9_SG_JZNS1_25segmented_radix_sort_implINS0_14default_configELb1EPKdPdPKlPlN2at6native12_GLOBAL__N_18offset_tEEE10hipError_tPvRmT1_PNSt15iterator_traitsISY_E10value_typeET2_T3_PNSZ_IS14_E10value_typeET4_jRbjT5_S1A_jjP12ihipStream_tbEUljE_EEESV_SW_SX_S14_S18_S1A_T6_T7_T9_mT8_S1C_bDpT10_ENKUlT_T0_E_clISt17integral_constantIbLb0EES1P_EEDaS1K_S1L_EUlS1K_E_NS1_11comp_targetILNS1_3genE3ELNS1_11target_archE908ELNS1_3gpuE7ELNS1_3repE0EEENS1_30default_config_static_selectorELNS0_4arch9wavefront6targetE1EEEvSY_
		.amdhsa_group_segment_fixed_size 0
		.amdhsa_private_segment_fixed_size 0
		.amdhsa_kernarg_size 144
		.amdhsa_user_sgpr_count 6
		.amdhsa_user_sgpr_private_segment_buffer 1
		.amdhsa_user_sgpr_dispatch_ptr 0
		.amdhsa_user_sgpr_queue_ptr 0
		.amdhsa_user_sgpr_kernarg_segment_ptr 1
		.amdhsa_user_sgpr_dispatch_id 0
		.amdhsa_user_sgpr_flat_scratch_init 0
		.amdhsa_user_sgpr_kernarg_preload_length 0
		.amdhsa_user_sgpr_kernarg_preload_offset 0
		.amdhsa_user_sgpr_private_segment_size 0
		.amdhsa_uses_dynamic_stack 0
		.amdhsa_system_sgpr_private_segment_wavefront_offset 0
		.amdhsa_system_sgpr_workgroup_id_x 1
		.amdhsa_system_sgpr_workgroup_id_y 0
		.amdhsa_system_sgpr_workgroup_id_z 0
		.amdhsa_system_sgpr_workgroup_info 0
		.amdhsa_system_vgpr_workitem_id 0
		.amdhsa_next_free_vgpr 1
		.amdhsa_next_free_sgpr 0
		.amdhsa_accum_offset 4
		.amdhsa_reserve_vcc 0
		.amdhsa_reserve_flat_scratch 0
		.amdhsa_float_round_mode_32 0
		.amdhsa_float_round_mode_16_64 0
		.amdhsa_float_denorm_mode_32 3
		.amdhsa_float_denorm_mode_16_64 3
		.amdhsa_dx10_clamp 1
		.amdhsa_ieee_mode 1
		.amdhsa_fp16_overflow 0
		.amdhsa_tg_split 0
		.amdhsa_exception_fp_ieee_invalid_op 0
		.amdhsa_exception_fp_denorm_src 0
		.amdhsa_exception_fp_ieee_div_zero 0
		.amdhsa_exception_fp_ieee_overflow 0
		.amdhsa_exception_fp_ieee_underflow 0
		.amdhsa_exception_fp_ieee_inexact 0
		.amdhsa_exception_int_div_zero 0
	.end_amdhsa_kernel
	.section	.text._ZN7rocprim17ROCPRIM_400000_NS6detail17trampoline_kernelINS0_13select_configILj256ELj13ELNS0_17block_load_methodE3ELS4_3ELS4_3ELNS0_20block_scan_algorithmE0ELj4294967295EEENS1_25partition_config_selectorILNS1_17partition_subalgoE3EjNS0_10empty_typeEbEEZZNS1_14partition_implILS8_3ELb0ES6_jNS0_17counting_iteratorIjlEEPS9_SE_NS0_5tupleIJPjSE_EEENSF_IJSE_SE_EEES9_SG_JZNS1_25segmented_radix_sort_implINS0_14default_configELb1EPKdPdPKlPlN2at6native12_GLOBAL__N_18offset_tEEE10hipError_tPvRmT1_PNSt15iterator_traitsISY_E10value_typeET2_T3_PNSZ_IS14_E10value_typeET4_jRbjT5_S1A_jjP12ihipStream_tbEUljE_EEESV_SW_SX_S14_S18_S1A_T6_T7_T9_mT8_S1C_bDpT10_ENKUlT_T0_E_clISt17integral_constantIbLb0EES1P_EEDaS1K_S1L_EUlS1K_E_NS1_11comp_targetILNS1_3genE3ELNS1_11target_archE908ELNS1_3gpuE7ELNS1_3repE0EEENS1_30default_config_static_selectorELNS0_4arch9wavefront6targetE1EEEvSY_,"axG",@progbits,_ZN7rocprim17ROCPRIM_400000_NS6detail17trampoline_kernelINS0_13select_configILj256ELj13ELNS0_17block_load_methodE3ELS4_3ELS4_3ELNS0_20block_scan_algorithmE0ELj4294967295EEENS1_25partition_config_selectorILNS1_17partition_subalgoE3EjNS0_10empty_typeEbEEZZNS1_14partition_implILS8_3ELb0ES6_jNS0_17counting_iteratorIjlEEPS9_SE_NS0_5tupleIJPjSE_EEENSF_IJSE_SE_EEES9_SG_JZNS1_25segmented_radix_sort_implINS0_14default_configELb1EPKdPdPKlPlN2at6native12_GLOBAL__N_18offset_tEEE10hipError_tPvRmT1_PNSt15iterator_traitsISY_E10value_typeET2_T3_PNSZ_IS14_E10value_typeET4_jRbjT5_S1A_jjP12ihipStream_tbEUljE_EEESV_SW_SX_S14_S18_S1A_T6_T7_T9_mT8_S1C_bDpT10_ENKUlT_T0_E_clISt17integral_constantIbLb0EES1P_EEDaS1K_S1L_EUlS1K_E_NS1_11comp_targetILNS1_3genE3ELNS1_11target_archE908ELNS1_3gpuE7ELNS1_3repE0EEENS1_30default_config_static_selectorELNS0_4arch9wavefront6targetE1EEEvSY_,comdat
.Lfunc_end1087:
	.size	_ZN7rocprim17ROCPRIM_400000_NS6detail17trampoline_kernelINS0_13select_configILj256ELj13ELNS0_17block_load_methodE3ELS4_3ELS4_3ELNS0_20block_scan_algorithmE0ELj4294967295EEENS1_25partition_config_selectorILNS1_17partition_subalgoE3EjNS0_10empty_typeEbEEZZNS1_14partition_implILS8_3ELb0ES6_jNS0_17counting_iteratorIjlEEPS9_SE_NS0_5tupleIJPjSE_EEENSF_IJSE_SE_EEES9_SG_JZNS1_25segmented_radix_sort_implINS0_14default_configELb1EPKdPdPKlPlN2at6native12_GLOBAL__N_18offset_tEEE10hipError_tPvRmT1_PNSt15iterator_traitsISY_E10value_typeET2_T3_PNSZ_IS14_E10value_typeET4_jRbjT5_S1A_jjP12ihipStream_tbEUljE_EEESV_SW_SX_S14_S18_S1A_T6_T7_T9_mT8_S1C_bDpT10_ENKUlT_T0_E_clISt17integral_constantIbLb0EES1P_EEDaS1K_S1L_EUlS1K_E_NS1_11comp_targetILNS1_3genE3ELNS1_11target_archE908ELNS1_3gpuE7ELNS1_3repE0EEENS1_30default_config_static_selectorELNS0_4arch9wavefront6targetE1EEEvSY_, .Lfunc_end1087-_ZN7rocprim17ROCPRIM_400000_NS6detail17trampoline_kernelINS0_13select_configILj256ELj13ELNS0_17block_load_methodE3ELS4_3ELS4_3ELNS0_20block_scan_algorithmE0ELj4294967295EEENS1_25partition_config_selectorILNS1_17partition_subalgoE3EjNS0_10empty_typeEbEEZZNS1_14partition_implILS8_3ELb0ES6_jNS0_17counting_iteratorIjlEEPS9_SE_NS0_5tupleIJPjSE_EEENSF_IJSE_SE_EEES9_SG_JZNS1_25segmented_radix_sort_implINS0_14default_configELb1EPKdPdPKlPlN2at6native12_GLOBAL__N_18offset_tEEE10hipError_tPvRmT1_PNSt15iterator_traitsISY_E10value_typeET2_T3_PNSZ_IS14_E10value_typeET4_jRbjT5_S1A_jjP12ihipStream_tbEUljE_EEESV_SW_SX_S14_S18_S1A_T6_T7_T9_mT8_S1C_bDpT10_ENKUlT_T0_E_clISt17integral_constantIbLb0EES1P_EEDaS1K_S1L_EUlS1K_E_NS1_11comp_targetILNS1_3genE3ELNS1_11target_archE908ELNS1_3gpuE7ELNS1_3repE0EEENS1_30default_config_static_selectorELNS0_4arch9wavefront6targetE1EEEvSY_
                                        ; -- End function
	.section	.AMDGPU.csdata,"",@progbits
; Kernel info:
; codeLenInByte = 0
; NumSgprs: 4
; NumVgprs: 0
; NumAgprs: 0
; TotalNumVgprs: 0
; ScratchSize: 0
; MemoryBound: 0
; FloatMode: 240
; IeeeMode: 1
; LDSByteSize: 0 bytes/workgroup (compile time only)
; SGPRBlocks: 0
; VGPRBlocks: 0
; NumSGPRsForWavesPerEU: 4
; NumVGPRsForWavesPerEU: 1
; AccumOffset: 4
; Occupancy: 8
; WaveLimiterHint : 0
; COMPUTE_PGM_RSRC2:SCRATCH_EN: 0
; COMPUTE_PGM_RSRC2:USER_SGPR: 6
; COMPUTE_PGM_RSRC2:TRAP_HANDLER: 0
; COMPUTE_PGM_RSRC2:TGID_X_EN: 1
; COMPUTE_PGM_RSRC2:TGID_Y_EN: 0
; COMPUTE_PGM_RSRC2:TGID_Z_EN: 0
; COMPUTE_PGM_RSRC2:TIDIG_COMP_CNT: 0
; COMPUTE_PGM_RSRC3_GFX90A:ACCUM_OFFSET: 0
; COMPUTE_PGM_RSRC3_GFX90A:TG_SPLIT: 0
	.section	.text._ZN7rocprim17ROCPRIM_400000_NS6detail17trampoline_kernelINS0_13select_configILj256ELj13ELNS0_17block_load_methodE3ELS4_3ELS4_3ELNS0_20block_scan_algorithmE0ELj4294967295EEENS1_25partition_config_selectorILNS1_17partition_subalgoE3EjNS0_10empty_typeEbEEZZNS1_14partition_implILS8_3ELb0ES6_jNS0_17counting_iteratorIjlEEPS9_SE_NS0_5tupleIJPjSE_EEENSF_IJSE_SE_EEES9_SG_JZNS1_25segmented_radix_sort_implINS0_14default_configELb1EPKdPdPKlPlN2at6native12_GLOBAL__N_18offset_tEEE10hipError_tPvRmT1_PNSt15iterator_traitsISY_E10value_typeET2_T3_PNSZ_IS14_E10value_typeET4_jRbjT5_S1A_jjP12ihipStream_tbEUljE_EEESV_SW_SX_S14_S18_S1A_T6_T7_T9_mT8_S1C_bDpT10_ENKUlT_T0_E_clISt17integral_constantIbLb0EES1P_EEDaS1K_S1L_EUlS1K_E_NS1_11comp_targetILNS1_3genE2ELNS1_11target_archE906ELNS1_3gpuE6ELNS1_3repE0EEENS1_30default_config_static_selectorELNS0_4arch9wavefront6targetE1EEEvSY_,"axG",@progbits,_ZN7rocprim17ROCPRIM_400000_NS6detail17trampoline_kernelINS0_13select_configILj256ELj13ELNS0_17block_load_methodE3ELS4_3ELS4_3ELNS0_20block_scan_algorithmE0ELj4294967295EEENS1_25partition_config_selectorILNS1_17partition_subalgoE3EjNS0_10empty_typeEbEEZZNS1_14partition_implILS8_3ELb0ES6_jNS0_17counting_iteratorIjlEEPS9_SE_NS0_5tupleIJPjSE_EEENSF_IJSE_SE_EEES9_SG_JZNS1_25segmented_radix_sort_implINS0_14default_configELb1EPKdPdPKlPlN2at6native12_GLOBAL__N_18offset_tEEE10hipError_tPvRmT1_PNSt15iterator_traitsISY_E10value_typeET2_T3_PNSZ_IS14_E10value_typeET4_jRbjT5_S1A_jjP12ihipStream_tbEUljE_EEESV_SW_SX_S14_S18_S1A_T6_T7_T9_mT8_S1C_bDpT10_ENKUlT_T0_E_clISt17integral_constantIbLb0EES1P_EEDaS1K_S1L_EUlS1K_E_NS1_11comp_targetILNS1_3genE2ELNS1_11target_archE906ELNS1_3gpuE6ELNS1_3repE0EEENS1_30default_config_static_selectorELNS0_4arch9wavefront6targetE1EEEvSY_,comdat
	.globl	_ZN7rocprim17ROCPRIM_400000_NS6detail17trampoline_kernelINS0_13select_configILj256ELj13ELNS0_17block_load_methodE3ELS4_3ELS4_3ELNS0_20block_scan_algorithmE0ELj4294967295EEENS1_25partition_config_selectorILNS1_17partition_subalgoE3EjNS0_10empty_typeEbEEZZNS1_14partition_implILS8_3ELb0ES6_jNS0_17counting_iteratorIjlEEPS9_SE_NS0_5tupleIJPjSE_EEENSF_IJSE_SE_EEES9_SG_JZNS1_25segmented_radix_sort_implINS0_14default_configELb1EPKdPdPKlPlN2at6native12_GLOBAL__N_18offset_tEEE10hipError_tPvRmT1_PNSt15iterator_traitsISY_E10value_typeET2_T3_PNSZ_IS14_E10value_typeET4_jRbjT5_S1A_jjP12ihipStream_tbEUljE_EEESV_SW_SX_S14_S18_S1A_T6_T7_T9_mT8_S1C_bDpT10_ENKUlT_T0_E_clISt17integral_constantIbLb0EES1P_EEDaS1K_S1L_EUlS1K_E_NS1_11comp_targetILNS1_3genE2ELNS1_11target_archE906ELNS1_3gpuE6ELNS1_3repE0EEENS1_30default_config_static_selectorELNS0_4arch9wavefront6targetE1EEEvSY_ ; -- Begin function _ZN7rocprim17ROCPRIM_400000_NS6detail17trampoline_kernelINS0_13select_configILj256ELj13ELNS0_17block_load_methodE3ELS4_3ELS4_3ELNS0_20block_scan_algorithmE0ELj4294967295EEENS1_25partition_config_selectorILNS1_17partition_subalgoE3EjNS0_10empty_typeEbEEZZNS1_14partition_implILS8_3ELb0ES6_jNS0_17counting_iteratorIjlEEPS9_SE_NS0_5tupleIJPjSE_EEENSF_IJSE_SE_EEES9_SG_JZNS1_25segmented_radix_sort_implINS0_14default_configELb1EPKdPdPKlPlN2at6native12_GLOBAL__N_18offset_tEEE10hipError_tPvRmT1_PNSt15iterator_traitsISY_E10value_typeET2_T3_PNSZ_IS14_E10value_typeET4_jRbjT5_S1A_jjP12ihipStream_tbEUljE_EEESV_SW_SX_S14_S18_S1A_T6_T7_T9_mT8_S1C_bDpT10_ENKUlT_T0_E_clISt17integral_constantIbLb0EES1P_EEDaS1K_S1L_EUlS1K_E_NS1_11comp_targetILNS1_3genE2ELNS1_11target_archE906ELNS1_3gpuE6ELNS1_3repE0EEENS1_30default_config_static_selectorELNS0_4arch9wavefront6targetE1EEEvSY_
	.p2align	8
	.type	_ZN7rocprim17ROCPRIM_400000_NS6detail17trampoline_kernelINS0_13select_configILj256ELj13ELNS0_17block_load_methodE3ELS4_3ELS4_3ELNS0_20block_scan_algorithmE0ELj4294967295EEENS1_25partition_config_selectorILNS1_17partition_subalgoE3EjNS0_10empty_typeEbEEZZNS1_14partition_implILS8_3ELb0ES6_jNS0_17counting_iteratorIjlEEPS9_SE_NS0_5tupleIJPjSE_EEENSF_IJSE_SE_EEES9_SG_JZNS1_25segmented_radix_sort_implINS0_14default_configELb1EPKdPdPKlPlN2at6native12_GLOBAL__N_18offset_tEEE10hipError_tPvRmT1_PNSt15iterator_traitsISY_E10value_typeET2_T3_PNSZ_IS14_E10value_typeET4_jRbjT5_S1A_jjP12ihipStream_tbEUljE_EEESV_SW_SX_S14_S18_S1A_T6_T7_T9_mT8_S1C_bDpT10_ENKUlT_T0_E_clISt17integral_constantIbLb0EES1P_EEDaS1K_S1L_EUlS1K_E_NS1_11comp_targetILNS1_3genE2ELNS1_11target_archE906ELNS1_3gpuE6ELNS1_3repE0EEENS1_30default_config_static_selectorELNS0_4arch9wavefront6targetE1EEEvSY_,@function
_ZN7rocprim17ROCPRIM_400000_NS6detail17trampoline_kernelINS0_13select_configILj256ELj13ELNS0_17block_load_methodE3ELS4_3ELS4_3ELNS0_20block_scan_algorithmE0ELj4294967295EEENS1_25partition_config_selectorILNS1_17partition_subalgoE3EjNS0_10empty_typeEbEEZZNS1_14partition_implILS8_3ELb0ES6_jNS0_17counting_iteratorIjlEEPS9_SE_NS0_5tupleIJPjSE_EEENSF_IJSE_SE_EEES9_SG_JZNS1_25segmented_radix_sort_implINS0_14default_configELb1EPKdPdPKlPlN2at6native12_GLOBAL__N_18offset_tEEE10hipError_tPvRmT1_PNSt15iterator_traitsISY_E10value_typeET2_T3_PNSZ_IS14_E10value_typeET4_jRbjT5_S1A_jjP12ihipStream_tbEUljE_EEESV_SW_SX_S14_S18_S1A_T6_T7_T9_mT8_S1C_bDpT10_ENKUlT_T0_E_clISt17integral_constantIbLb0EES1P_EEDaS1K_S1L_EUlS1K_E_NS1_11comp_targetILNS1_3genE2ELNS1_11target_archE906ELNS1_3gpuE6ELNS1_3repE0EEENS1_30default_config_static_selectorELNS0_4arch9wavefront6targetE1EEEvSY_: ; @_ZN7rocprim17ROCPRIM_400000_NS6detail17trampoline_kernelINS0_13select_configILj256ELj13ELNS0_17block_load_methodE3ELS4_3ELS4_3ELNS0_20block_scan_algorithmE0ELj4294967295EEENS1_25partition_config_selectorILNS1_17partition_subalgoE3EjNS0_10empty_typeEbEEZZNS1_14partition_implILS8_3ELb0ES6_jNS0_17counting_iteratorIjlEEPS9_SE_NS0_5tupleIJPjSE_EEENSF_IJSE_SE_EEES9_SG_JZNS1_25segmented_radix_sort_implINS0_14default_configELb1EPKdPdPKlPlN2at6native12_GLOBAL__N_18offset_tEEE10hipError_tPvRmT1_PNSt15iterator_traitsISY_E10value_typeET2_T3_PNSZ_IS14_E10value_typeET4_jRbjT5_S1A_jjP12ihipStream_tbEUljE_EEESV_SW_SX_S14_S18_S1A_T6_T7_T9_mT8_S1C_bDpT10_ENKUlT_T0_E_clISt17integral_constantIbLb0EES1P_EEDaS1K_S1L_EUlS1K_E_NS1_11comp_targetILNS1_3genE2ELNS1_11target_archE906ELNS1_3gpuE6ELNS1_3repE0EEENS1_30default_config_static_selectorELNS0_4arch9wavefront6targetE1EEEvSY_
; %bb.0:
	.section	.rodata,"a",@progbits
	.p2align	6, 0x0
	.amdhsa_kernel _ZN7rocprim17ROCPRIM_400000_NS6detail17trampoline_kernelINS0_13select_configILj256ELj13ELNS0_17block_load_methodE3ELS4_3ELS4_3ELNS0_20block_scan_algorithmE0ELj4294967295EEENS1_25partition_config_selectorILNS1_17partition_subalgoE3EjNS0_10empty_typeEbEEZZNS1_14partition_implILS8_3ELb0ES6_jNS0_17counting_iteratorIjlEEPS9_SE_NS0_5tupleIJPjSE_EEENSF_IJSE_SE_EEES9_SG_JZNS1_25segmented_radix_sort_implINS0_14default_configELb1EPKdPdPKlPlN2at6native12_GLOBAL__N_18offset_tEEE10hipError_tPvRmT1_PNSt15iterator_traitsISY_E10value_typeET2_T3_PNSZ_IS14_E10value_typeET4_jRbjT5_S1A_jjP12ihipStream_tbEUljE_EEESV_SW_SX_S14_S18_S1A_T6_T7_T9_mT8_S1C_bDpT10_ENKUlT_T0_E_clISt17integral_constantIbLb0EES1P_EEDaS1K_S1L_EUlS1K_E_NS1_11comp_targetILNS1_3genE2ELNS1_11target_archE906ELNS1_3gpuE6ELNS1_3repE0EEENS1_30default_config_static_selectorELNS0_4arch9wavefront6targetE1EEEvSY_
		.amdhsa_group_segment_fixed_size 0
		.amdhsa_private_segment_fixed_size 0
		.amdhsa_kernarg_size 144
		.amdhsa_user_sgpr_count 6
		.amdhsa_user_sgpr_private_segment_buffer 1
		.amdhsa_user_sgpr_dispatch_ptr 0
		.amdhsa_user_sgpr_queue_ptr 0
		.amdhsa_user_sgpr_kernarg_segment_ptr 1
		.amdhsa_user_sgpr_dispatch_id 0
		.amdhsa_user_sgpr_flat_scratch_init 0
		.amdhsa_user_sgpr_kernarg_preload_length 0
		.amdhsa_user_sgpr_kernarg_preload_offset 0
		.amdhsa_user_sgpr_private_segment_size 0
		.amdhsa_uses_dynamic_stack 0
		.amdhsa_system_sgpr_private_segment_wavefront_offset 0
		.amdhsa_system_sgpr_workgroup_id_x 1
		.amdhsa_system_sgpr_workgroup_id_y 0
		.amdhsa_system_sgpr_workgroup_id_z 0
		.amdhsa_system_sgpr_workgroup_info 0
		.amdhsa_system_vgpr_workitem_id 0
		.amdhsa_next_free_vgpr 1
		.amdhsa_next_free_sgpr 0
		.amdhsa_accum_offset 4
		.amdhsa_reserve_vcc 0
		.amdhsa_reserve_flat_scratch 0
		.amdhsa_float_round_mode_32 0
		.amdhsa_float_round_mode_16_64 0
		.amdhsa_float_denorm_mode_32 3
		.amdhsa_float_denorm_mode_16_64 3
		.amdhsa_dx10_clamp 1
		.amdhsa_ieee_mode 1
		.amdhsa_fp16_overflow 0
		.amdhsa_tg_split 0
		.amdhsa_exception_fp_ieee_invalid_op 0
		.amdhsa_exception_fp_denorm_src 0
		.amdhsa_exception_fp_ieee_div_zero 0
		.amdhsa_exception_fp_ieee_overflow 0
		.amdhsa_exception_fp_ieee_underflow 0
		.amdhsa_exception_fp_ieee_inexact 0
		.amdhsa_exception_int_div_zero 0
	.end_amdhsa_kernel
	.section	.text._ZN7rocprim17ROCPRIM_400000_NS6detail17trampoline_kernelINS0_13select_configILj256ELj13ELNS0_17block_load_methodE3ELS4_3ELS4_3ELNS0_20block_scan_algorithmE0ELj4294967295EEENS1_25partition_config_selectorILNS1_17partition_subalgoE3EjNS0_10empty_typeEbEEZZNS1_14partition_implILS8_3ELb0ES6_jNS0_17counting_iteratorIjlEEPS9_SE_NS0_5tupleIJPjSE_EEENSF_IJSE_SE_EEES9_SG_JZNS1_25segmented_radix_sort_implINS0_14default_configELb1EPKdPdPKlPlN2at6native12_GLOBAL__N_18offset_tEEE10hipError_tPvRmT1_PNSt15iterator_traitsISY_E10value_typeET2_T3_PNSZ_IS14_E10value_typeET4_jRbjT5_S1A_jjP12ihipStream_tbEUljE_EEESV_SW_SX_S14_S18_S1A_T6_T7_T9_mT8_S1C_bDpT10_ENKUlT_T0_E_clISt17integral_constantIbLb0EES1P_EEDaS1K_S1L_EUlS1K_E_NS1_11comp_targetILNS1_3genE2ELNS1_11target_archE906ELNS1_3gpuE6ELNS1_3repE0EEENS1_30default_config_static_selectorELNS0_4arch9wavefront6targetE1EEEvSY_,"axG",@progbits,_ZN7rocprim17ROCPRIM_400000_NS6detail17trampoline_kernelINS0_13select_configILj256ELj13ELNS0_17block_load_methodE3ELS4_3ELS4_3ELNS0_20block_scan_algorithmE0ELj4294967295EEENS1_25partition_config_selectorILNS1_17partition_subalgoE3EjNS0_10empty_typeEbEEZZNS1_14partition_implILS8_3ELb0ES6_jNS0_17counting_iteratorIjlEEPS9_SE_NS0_5tupleIJPjSE_EEENSF_IJSE_SE_EEES9_SG_JZNS1_25segmented_radix_sort_implINS0_14default_configELb1EPKdPdPKlPlN2at6native12_GLOBAL__N_18offset_tEEE10hipError_tPvRmT1_PNSt15iterator_traitsISY_E10value_typeET2_T3_PNSZ_IS14_E10value_typeET4_jRbjT5_S1A_jjP12ihipStream_tbEUljE_EEESV_SW_SX_S14_S18_S1A_T6_T7_T9_mT8_S1C_bDpT10_ENKUlT_T0_E_clISt17integral_constantIbLb0EES1P_EEDaS1K_S1L_EUlS1K_E_NS1_11comp_targetILNS1_3genE2ELNS1_11target_archE906ELNS1_3gpuE6ELNS1_3repE0EEENS1_30default_config_static_selectorELNS0_4arch9wavefront6targetE1EEEvSY_,comdat
.Lfunc_end1088:
	.size	_ZN7rocprim17ROCPRIM_400000_NS6detail17trampoline_kernelINS0_13select_configILj256ELj13ELNS0_17block_load_methodE3ELS4_3ELS4_3ELNS0_20block_scan_algorithmE0ELj4294967295EEENS1_25partition_config_selectorILNS1_17partition_subalgoE3EjNS0_10empty_typeEbEEZZNS1_14partition_implILS8_3ELb0ES6_jNS0_17counting_iteratorIjlEEPS9_SE_NS0_5tupleIJPjSE_EEENSF_IJSE_SE_EEES9_SG_JZNS1_25segmented_radix_sort_implINS0_14default_configELb1EPKdPdPKlPlN2at6native12_GLOBAL__N_18offset_tEEE10hipError_tPvRmT1_PNSt15iterator_traitsISY_E10value_typeET2_T3_PNSZ_IS14_E10value_typeET4_jRbjT5_S1A_jjP12ihipStream_tbEUljE_EEESV_SW_SX_S14_S18_S1A_T6_T7_T9_mT8_S1C_bDpT10_ENKUlT_T0_E_clISt17integral_constantIbLb0EES1P_EEDaS1K_S1L_EUlS1K_E_NS1_11comp_targetILNS1_3genE2ELNS1_11target_archE906ELNS1_3gpuE6ELNS1_3repE0EEENS1_30default_config_static_selectorELNS0_4arch9wavefront6targetE1EEEvSY_, .Lfunc_end1088-_ZN7rocprim17ROCPRIM_400000_NS6detail17trampoline_kernelINS0_13select_configILj256ELj13ELNS0_17block_load_methodE3ELS4_3ELS4_3ELNS0_20block_scan_algorithmE0ELj4294967295EEENS1_25partition_config_selectorILNS1_17partition_subalgoE3EjNS0_10empty_typeEbEEZZNS1_14partition_implILS8_3ELb0ES6_jNS0_17counting_iteratorIjlEEPS9_SE_NS0_5tupleIJPjSE_EEENSF_IJSE_SE_EEES9_SG_JZNS1_25segmented_radix_sort_implINS0_14default_configELb1EPKdPdPKlPlN2at6native12_GLOBAL__N_18offset_tEEE10hipError_tPvRmT1_PNSt15iterator_traitsISY_E10value_typeET2_T3_PNSZ_IS14_E10value_typeET4_jRbjT5_S1A_jjP12ihipStream_tbEUljE_EEESV_SW_SX_S14_S18_S1A_T6_T7_T9_mT8_S1C_bDpT10_ENKUlT_T0_E_clISt17integral_constantIbLb0EES1P_EEDaS1K_S1L_EUlS1K_E_NS1_11comp_targetILNS1_3genE2ELNS1_11target_archE906ELNS1_3gpuE6ELNS1_3repE0EEENS1_30default_config_static_selectorELNS0_4arch9wavefront6targetE1EEEvSY_
                                        ; -- End function
	.section	.AMDGPU.csdata,"",@progbits
; Kernel info:
; codeLenInByte = 0
; NumSgprs: 4
; NumVgprs: 0
; NumAgprs: 0
; TotalNumVgprs: 0
; ScratchSize: 0
; MemoryBound: 0
; FloatMode: 240
; IeeeMode: 1
; LDSByteSize: 0 bytes/workgroup (compile time only)
; SGPRBlocks: 0
; VGPRBlocks: 0
; NumSGPRsForWavesPerEU: 4
; NumVGPRsForWavesPerEU: 1
; AccumOffset: 4
; Occupancy: 8
; WaveLimiterHint : 0
; COMPUTE_PGM_RSRC2:SCRATCH_EN: 0
; COMPUTE_PGM_RSRC2:USER_SGPR: 6
; COMPUTE_PGM_RSRC2:TRAP_HANDLER: 0
; COMPUTE_PGM_RSRC2:TGID_X_EN: 1
; COMPUTE_PGM_RSRC2:TGID_Y_EN: 0
; COMPUTE_PGM_RSRC2:TGID_Z_EN: 0
; COMPUTE_PGM_RSRC2:TIDIG_COMP_CNT: 0
; COMPUTE_PGM_RSRC3_GFX90A:ACCUM_OFFSET: 0
; COMPUTE_PGM_RSRC3_GFX90A:TG_SPLIT: 0
	.section	.text._ZN7rocprim17ROCPRIM_400000_NS6detail17trampoline_kernelINS0_13select_configILj256ELj13ELNS0_17block_load_methodE3ELS4_3ELS4_3ELNS0_20block_scan_algorithmE0ELj4294967295EEENS1_25partition_config_selectorILNS1_17partition_subalgoE3EjNS0_10empty_typeEbEEZZNS1_14partition_implILS8_3ELb0ES6_jNS0_17counting_iteratorIjlEEPS9_SE_NS0_5tupleIJPjSE_EEENSF_IJSE_SE_EEES9_SG_JZNS1_25segmented_radix_sort_implINS0_14default_configELb1EPKdPdPKlPlN2at6native12_GLOBAL__N_18offset_tEEE10hipError_tPvRmT1_PNSt15iterator_traitsISY_E10value_typeET2_T3_PNSZ_IS14_E10value_typeET4_jRbjT5_S1A_jjP12ihipStream_tbEUljE_EEESV_SW_SX_S14_S18_S1A_T6_T7_T9_mT8_S1C_bDpT10_ENKUlT_T0_E_clISt17integral_constantIbLb0EES1P_EEDaS1K_S1L_EUlS1K_E_NS1_11comp_targetILNS1_3genE10ELNS1_11target_archE1200ELNS1_3gpuE4ELNS1_3repE0EEENS1_30default_config_static_selectorELNS0_4arch9wavefront6targetE1EEEvSY_,"axG",@progbits,_ZN7rocprim17ROCPRIM_400000_NS6detail17trampoline_kernelINS0_13select_configILj256ELj13ELNS0_17block_load_methodE3ELS4_3ELS4_3ELNS0_20block_scan_algorithmE0ELj4294967295EEENS1_25partition_config_selectorILNS1_17partition_subalgoE3EjNS0_10empty_typeEbEEZZNS1_14partition_implILS8_3ELb0ES6_jNS0_17counting_iteratorIjlEEPS9_SE_NS0_5tupleIJPjSE_EEENSF_IJSE_SE_EEES9_SG_JZNS1_25segmented_radix_sort_implINS0_14default_configELb1EPKdPdPKlPlN2at6native12_GLOBAL__N_18offset_tEEE10hipError_tPvRmT1_PNSt15iterator_traitsISY_E10value_typeET2_T3_PNSZ_IS14_E10value_typeET4_jRbjT5_S1A_jjP12ihipStream_tbEUljE_EEESV_SW_SX_S14_S18_S1A_T6_T7_T9_mT8_S1C_bDpT10_ENKUlT_T0_E_clISt17integral_constantIbLb0EES1P_EEDaS1K_S1L_EUlS1K_E_NS1_11comp_targetILNS1_3genE10ELNS1_11target_archE1200ELNS1_3gpuE4ELNS1_3repE0EEENS1_30default_config_static_selectorELNS0_4arch9wavefront6targetE1EEEvSY_,comdat
	.globl	_ZN7rocprim17ROCPRIM_400000_NS6detail17trampoline_kernelINS0_13select_configILj256ELj13ELNS0_17block_load_methodE3ELS4_3ELS4_3ELNS0_20block_scan_algorithmE0ELj4294967295EEENS1_25partition_config_selectorILNS1_17partition_subalgoE3EjNS0_10empty_typeEbEEZZNS1_14partition_implILS8_3ELb0ES6_jNS0_17counting_iteratorIjlEEPS9_SE_NS0_5tupleIJPjSE_EEENSF_IJSE_SE_EEES9_SG_JZNS1_25segmented_radix_sort_implINS0_14default_configELb1EPKdPdPKlPlN2at6native12_GLOBAL__N_18offset_tEEE10hipError_tPvRmT1_PNSt15iterator_traitsISY_E10value_typeET2_T3_PNSZ_IS14_E10value_typeET4_jRbjT5_S1A_jjP12ihipStream_tbEUljE_EEESV_SW_SX_S14_S18_S1A_T6_T7_T9_mT8_S1C_bDpT10_ENKUlT_T0_E_clISt17integral_constantIbLb0EES1P_EEDaS1K_S1L_EUlS1K_E_NS1_11comp_targetILNS1_3genE10ELNS1_11target_archE1200ELNS1_3gpuE4ELNS1_3repE0EEENS1_30default_config_static_selectorELNS0_4arch9wavefront6targetE1EEEvSY_ ; -- Begin function _ZN7rocprim17ROCPRIM_400000_NS6detail17trampoline_kernelINS0_13select_configILj256ELj13ELNS0_17block_load_methodE3ELS4_3ELS4_3ELNS0_20block_scan_algorithmE0ELj4294967295EEENS1_25partition_config_selectorILNS1_17partition_subalgoE3EjNS0_10empty_typeEbEEZZNS1_14partition_implILS8_3ELb0ES6_jNS0_17counting_iteratorIjlEEPS9_SE_NS0_5tupleIJPjSE_EEENSF_IJSE_SE_EEES9_SG_JZNS1_25segmented_radix_sort_implINS0_14default_configELb1EPKdPdPKlPlN2at6native12_GLOBAL__N_18offset_tEEE10hipError_tPvRmT1_PNSt15iterator_traitsISY_E10value_typeET2_T3_PNSZ_IS14_E10value_typeET4_jRbjT5_S1A_jjP12ihipStream_tbEUljE_EEESV_SW_SX_S14_S18_S1A_T6_T7_T9_mT8_S1C_bDpT10_ENKUlT_T0_E_clISt17integral_constantIbLb0EES1P_EEDaS1K_S1L_EUlS1K_E_NS1_11comp_targetILNS1_3genE10ELNS1_11target_archE1200ELNS1_3gpuE4ELNS1_3repE0EEENS1_30default_config_static_selectorELNS0_4arch9wavefront6targetE1EEEvSY_
	.p2align	8
	.type	_ZN7rocprim17ROCPRIM_400000_NS6detail17trampoline_kernelINS0_13select_configILj256ELj13ELNS0_17block_load_methodE3ELS4_3ELS4_3ELNS0_20block_scan_algorithmE0ELj4294967295EEENS1_25partition_config_selectorILNS1_17partition_subalgoE3EjNS0_10empty_typeEbEEZZNS1_14partition_implILS8_3ELb0ES6_jNS0_17counting_iteratorIjlEEPS9_SE_NS0_5tupleIJPjSE_EEENSF_IJSE_SE_EEES9_SG_JZNS1_25segmented_radix_sort_implINS0_14default_configELb1EPKdPdPKlPlN2at6native12_GLOBAL__N_18offset_tEEE10hipError_tPvRmT1_PNSt15iterator_traitsISY_E10value_typeET2_T3_PNSZ_IS14_E10value_typeET4_jRbjT5_S1A_jjP12ihipStream_tbEUljE_EEESV_SW_SX_S14_S18_S1A_T6_T7_T9_mT8_S1C_bDpT10_ENKUlT_T0_E_clISt17integral_constantIbLb0EES1P_EEDaS1K_S1L_EUlS1K_E_NS1_11comp_targetILNS1_3genE10ELNS1_11target_archE1200ELNS1_3gpuE4ELNS1_3repE0EEENS1_30default_config_static_selectorELNS0_4arch9wavefront6targetE1EEEvSY_,@function
_ZN7rocprim17ROCPRIM_400000_NS6detail17trampoline_kernelINS0_13select_configILj256ELj13ELNS0_17block_load_methodE3ELS4_3ELS4_3ELNS0_20block_scan_algorithmE0ELj4294967295EEENS1_25partition_config_selectorILNS1_17partition_subalgoE3EjNS0_10empty_typeEbEEZZNS1_14partition_implILS8_3ELb0ES6_jNS0_17counting_iteratorIjlEEPS9_SE_NS0_5tupleIJPjSE_EEENSF_IJSE_SE_EEES9_SG_JZNS1_25segmented_radix_sort_implINS0_14default_configELb1EPKdPdPKlPlN2at6native12_GLOBAL__N_18offset_tEEE10hipError_tPvRmT1_PNSt15iterator_traitsISY_E10value_typeET2_T3_PNSZ_IS14_E10value_typeET4_jRbjT5_S1A_jjP12ihipStream_tbEUljE_EEESV_SW_SX_S14_S18_S1A_T6_T7_T9_mT8_S1C_bDpT10_ENKUlT_T0_E_clISt17integral_constantIbLb0EES1P_EEDaS1K_S1L_EUlS1K_E_NS1_11comp_targetILNS1_3genE10ELNS1_11target_archE1200ELNS1_3gpuE4ELNS1_3repE0EEENS1_30default_config_static_selectorELNS0_4arch9wavefront6targetE1EEEvSY_: ; @_ZN7rocprim17ROCPRIM_400000_NS6detail17trampoline_kernelINS0_13select_configILj256ELj13ELNS0_17block_load_methodE3ELS4_3ELS4_3ELNS0_20block_scan_algorithmE0ELj4294967295EEENS1_25partition_config_selectorILNS1_17partition_subalgoE3EjNS0_10empty_typeEbEEZZNS1_14partition_implILS8_3ELb0ES6_jNS0_17counting_iteratorIjlEEPS9_SE_NS0_5tupleIJPjSE_EEENSF_IJSE_SE_EEES9_SG_JZNS1_25segmented_radix_sort_implINS0_14default_configELb1EPKdPdPKlPlN2at6native12_GLOBAL__N_18offset_tEEE10hipError_tPvRmT1_PNSt15iterator_traitsISY_E10value_typeET2_T3_PNSZ_IS14_E10value_typeET4_jRbjT5_S1A_jjP12ihipStream_tbEUljE_EEESV_SW_SX_S14_S18_S1A_T6_T7_T9_mT8_S1C_bDpT10_ENKUlT_T0_E_clISt17integral_constantIbLb0EES1P_EEDaS1K_S1L_EUlS1K_E_NS1_11comp_targetILNS1_3genE10ELNS1_11target_archE1200ELNS1_3gpuE4ELNS1_3repE0EEENS1_30default_config_static_selectorELNS0_4arch9wavefront6targetE1EEEvSY_
; %bb.0:
	.section	.rodata,"a",@progbits
	.p2align	6, 0x0
	.amdhsa_kernel _ZN7rocprim17ROCPRIM_400000_NS6detail17trampoline_kernelINS0_13select_configILj256ELj13ELNS0_17block_load_methodE3ELS4_3ELS4_3ELNS0_20block_scan_algorithmE0ELj4294967295EEENS1_25partition_config_selectorILNS1_17partition_subalgoE3EjNS0_10empty_typeEbEEZZNS1_14partition_implILS8_3ELb0ES6_jNS0_17counting_iteratorIjlEEPS9_SE_NS0_5tupleIJPjSE_EEENSF_IJSE_SE_EEES9_SG_JZNS1_25segmented_radix_sort_implINS0_14default_configELb1EPKdPdPKlPlN2at6native12_GLOBAL__N_18offset_tEEE10hipError_tPvRmT1_PNSt15iterator_traitsISY_E10value_typeET2_T3_PNSZ_IS14_E10value_typeET4_jRbjT5_S1A_jjP12ihipStream_tbEUljE_EEESV_SW_SX_S14_S18_S1A_T6_T7_T9_mT8_S1C_bDpT10_ENKUlT_T0_E_clISt17integral_constantIbLb0EES1P_EEDaS1K_S1L_EUlS1K_E_NS1_11comp_targetILNS1_3genE10ELNS1_11target_archE1200ELNS1_3gpuE4ELNS1_3repE0EEENS1_30default_config_static_selectorELNS0_4arch9wavefront6targetE1EEEvSY_
		.amdhsa_group_segment_fixed_size 0
		.amdhsa_private_segment_fixed_size 0
		.amdhsa_kernarg_size 144
		.amdhsa_user_sgpr_count 6
		.amdhsa_user_sgpr_private_segment_buffer 1
		.amdhsa_user_sgpr_dispatch_ptr 0
		.amdhsa_user_sgpr_queue_ptr 0
		.amdhsa_user_sgpr_kernarg_segment_ptr 1
		.amdhsa_user_sgpr_dispatch_id 0
		.amdhsa_user_sgpr_flat_scratch_init 0
		.amdhsa_user_sgpr_kernarg_preload_length 0
		.amdhsa_user_sgpr_kernarg_preload_offset 0
		.amdhsa_user_sgpr_private_segment_size 0
		.amdhsa_uses_dynamic_stack 0
		.amdhsa_system_sgpr_private_segment_wavefront_offset 0
		.amdhsa_system_sgpr_workgroup_id_x 1
		.amdhsa_system_sgpr_workgroup_id_y 0
		.amdhsa_system_sgpr_workgroup_id_z 0
		.amdhsa_system_sgpr_workgroup_info 0
		.amdhsa_system_vgpr_workitem_id 0
		.amdhsa_next_free_vgpr 1
		.amdhsa_next_free_sgpr 0
		.amdhsa_accum_offset 4
		.amdhsa_reserve_vcc 0
		.amdhsa_reserve_flat_scratch 0
		.amdhsa_float_round_mode_32 0
		.amdhsa_float_round_mode_16_64 0
		.amdhsa_float_denorm_mode_32 3
		.amdhsa_float_denorm_mode_16_64 3
		.amdhsa_dx10_clamp 1
		.amdhsa_ieee_mode 1
		.amdhsa_fp16_overflow 0
		.amdhsa_tg_split 0
		.amdhsa_exception_fp_ieee_invalid_op 0
		.amdhsa_exception_fp_denorm_src 0
		.amdhsa_exception_fp_ieee_div_zero 0
		.amdhsa_exception_fp_ieee_overflow 0
		.amdhsa_exception_fp_ieee_underflow 0
		.amdhsa_exception_fp_ieee_inexact 0
		.amdhsa_exception_int_div_zero 0
	.end_amdhsa_kernel
	.section	.text._ZN7rocprim17ROCPRIM_400000_NS6detail17trampoline_kernelINS0_13select_configILj256ELj13ELNS0_17block_load_methodE3ELS4_3ELS4_3ELNS0_20block_scan_algorithmE0ELj4294967295EEENS1_25partition_config_selectorILNS1_17partition_subalgoE3EjNS0_10empty_typeEbEEZZNS1_14partition_implILS8_3ELb0ES6_jNS0_17counting_iteratorIjlEEPS9_SE_NS0_5tupleIJPjSE_EEENSF_IJSE_SE_EEES9_SG_JZNS1_25segmented_radix_sort_implINS0_14default_configELb1EPKdPdPKlPlN2at6native12_GLOBAL__N_18offset_tEEE10hipError_tPvRmT1_PNSt15iterator_traitsISY_E10value_typeET2_T3_PNSZ_IS14_E10value_typeET4_jRbjT5_S1A_jjP12ihipStream_tbEUljE_EEESV_SW_SX_S14_S18_S1A_T6_T7_T9_mT8_S1C_bDpT10_ENKUlT_T0_E_clISt17integral_constantIbLb0EES1P_EEDaS1K_S1L_EUlS1K_E_NS1_11comp_targetILNS1_3genE10ELNS1_11target_archE1200ELNS1_3gpuE4ELNS1_3repE0EEENS1_30default_config_static_selectorELNS0_4arch9wavefront6targetE1EEEvSY_,"axG",@progbits,_ZN7rocprim17ROCPRIM_400000_NS6detail17trampoline_kernelINS0_13select_configILj256ELj13ELNS0_17block_load_methodE3ELS4_3ELS4_3ELNS0_20block_scan_algorithmE0ELj4294967295EEENS1_25partition_config_selectorILNS1_17partition_subalgoE3EjNS0_10empty_typeEbEEZZNS1_14partition_implILS8_3ELb0ES6_jNS0_17counting_iteratorIjlEEPS9_SE_NS0_5tupleIJPjSE_EEENSF_IJSE_SE_EEES9_SG_JZNS1_25segmented_radix_sort_implINS0_14default_configELb1EPKdPdPKlPlN2at6native12_GLOBAL__N_18offset_tEEE10hipError_tPvRmT1_PNSt15iterator_traitsISY_E10value_typeET2_T3_PNSZ_IS14_E10value_typeET4_jRbjT5_S1A_jjP12ihipStream_tbEUljE_EEESV_SW_SX_S14_S18_S1A_T6_T7_T9_mT8_S1C_bDpT10_ENKUlT_T0_E_clISt17integral_constantIbLb0EES1P_EEDaS1K_S1L_EUlS1K_E_NS1_11comp_targetILNS1_3genE10ELNS1_11target_archE1200ELNS1_3gpuE4ELNS1_3repE0EEENS1_30default_config_static_selectorELNS0_4arch9wavefront6targetE1EEEvSY_,comdat
.Lfunc_end1089:
	.size	_ZN7rocprim17ROCPRIM_400000_NS6detail17trampoline_kernelINS0_13select_configILj256ELj13ELNS0_17block_load_methodE3ELS4_3ELS4_3ELNS0_20block_scan_algorithmE0ELj4294967295EEENS1_25partition_config_selectorILNS1_17partition_subalgoE3EjNS0_10empty_typeEbEEZZNS1_14partition_implILS8_3ELb0ES6_jNS0_17counting_iteratorIjlEEPS9_SE_NS0_5tupleIJPjSE_EEENSF_IJSE_SE_EEES9_SG_JZNS1_25segmented_radix_sort_implINS0_14default_configELb1EPKdPdPKlPlN2at6native12_GLOBAL__N_18offset_tEEE10hipError_tPvRmT1_PNSt15iterator_traitsISY_E10value_typeET2_T3_PNSZ_IS14_E10value_typeET4_jRbjT5_S1A_jjP12ihipStream_tbEUljE_EEESV_SW_SX_S14_S18_S1A_T6_T7_T9_mT8_S1C_bDpT10_ENKUlT_T0_E_clISt17integral_constantIbLb0EES1P_EEDaS1K_S1L_EUlS1K_E_NS1_11comp_targetILNS1_3genE10ELNS1_11target_archE1200ELNS1_3gpuE4ELNS1_3repE0EEENS1_30default_config_static_selectorELNS0_4arch9wavefront6targetE1EEEvSY_, .Lfunc_end1089-_ZN7rocprim17ROCPRIM_400000_NS6detail17trampoline_kernelINS0_13select_configILj256ELj13ELNS0_17block_load_methodE3ELS4_3ELS4_3ELNS0_20block_scan_algorithmE0ELj4294967295EEENS1_25partition_config_selectorILNS1_17partition_subalgoE3EjNS0_10empty_typeEbEEZZNS1_14partition_implILS8_3ELb0ES6_jNS0_17counting_iteratorIjlEEPS9_SE_NS0_5tupleIJPjSE_EEENSF_IJSE_SE_EEES9_SG_JZNS1_25segmented_radix_sort_implINS0_14default_configELb1EPKdPdPKlPlN2at6native12_GLOBAL__N_18offset_tEEE10hipError_tPvRmT1_PNSt15iterator_traitsISY_E10value_typeET2_T3_PNSZ_IS14_E10value_typeET4_jRbjT5_S1A_jjP12ihipStream_tbEUljE_EEESV_SW_SX_S14_S18_S1A_T6_T7_T9_mT8_S1C_bDpT10_ENKUlT_T0_E_clISt17integral_constantIbLb0EES1P_EEDaS1K_S1L_EUlS1K_E_NS1_11comp_targetILNS1_3genE10ELNS1_11target_archE1200ELNS1_3gpuE4ELNS1_3repE0EEENS1_30default_config_static_selectorELNS0_4arch9wavefront6targetE1EEEvSY_
                                        ; -- End function
	.section	.AMDGPU.csdata,"",@progbits
; Kernel info:
; codeLenInByte = 0
; NumSgprs: 4
; NumVgprs: 0
; NumAgprs: 0
; TotalNumVgprs: 0
; ScratchSize: 0
; MemoryBound: 0
; FloatMode: 240
; IeeeMode: 1
; LDSByteSize: 0 bytes/workgroup (compile time only)
; SGPRBlocks: 0
; VGPRBlocks: 0
; NumSGPRsForWavesPerEU: 4
; NumVGPRsForWavesPerEU: 1
; AccumOffset: 4
; Occupancy: 8
; WaveLimiterHint : 0
; COMPUTE_PGM_RSRC2:SCRATCH_EN: 0
; COMPUTE_PGM_RSRC2:USER_SGPR: 6
; COMPUTE_PGM_RSRC2:TRAP_HANDLER: 0
; COMPUTE_PGM_RSRC2:TGID_X_EN: 1
; COMPUTE_PGM_RSRC2:TGID_Y_EN: 0
; COMPUTE_PGM_RSRC2:TGID_Z_EN: 0
; COMPUTE_PGM_RSRC2:TIDIG_COMP_CNT: 0
; COMPUTE_PGM_RSRC3_GFX90A:ACCUM_OFFSET: 0
; COMPUTE_PGM_RSRC3_GFX90A:TG_SPLIT: 0
	.section	.text._ZN7rocprim17ROCPRIM_400000_NS6detail17trampoline_kernelINS0_13select_configILj256ELj13ELNS0_17block_load_methodE3ELS4_3ELS4_3ELNS0_20block_scan_algorithmE0ELj4294967295EEENS1_25partition_config_selectorILNS1_17partition_subalgoE3EjNS0_10empty_typeEbEEZZNS1_14partition_implILS8_3ELb0ES6_jNS0_17counting_iteratorIjlEEPS9_SE_NS0_5tupleIJPjSE_EEENSF_IJSE_SE_EEES9_SG_JZNS1_25segmented_radix_sort_implINS0_14default_configELb1EPKdPdPKlPlN2at6native12_GLOBAL__N_18offset_tEEE10hipError_tPvRmT1_PNSt15iterator_traitsISY_E10value_typeET2_T3_PNSZ_IS14_E10value_typeET4_jRbjT5_S1A_jjP12ihipStream_tbEUljE_EEESV_SW_SX_S14_S18_S1A_T6_T7_T9_mT8_S1C_bDpT10_ENKUlT_T0_E_clISt17integral_constantIbLb0EES1P_EEDaS1K_S1L_EUlS1K_E_NS1_11comp_targetILNS1_3genE9ELNS1_11target_archE1100ELNS1_3gpuE3ELNS1_3repE0EEENS1_30default_config_static_selectorELNS0_4arch9wavefront6targetE1EEEvSY_,"axG",@progbits,_ZN7rocprim17ROCPRIM_400000_NS6detail17trampoline_kernelINS0_13select_configILj256ELj13ELNS0_17block_load_methodE3ELS4_3ELS4_3ELNS0_20block_scan_algorithmE0ELj4294967295EEENS1_25partition_config_selectorILNS1_17partition_subalgoE3EjNS0_10empty_typeEbEEZZNS1_14partition_implILS8_3ELb0ES6_jNS0_17counting_iteratorIjlEEPS9_SE_NS0_5tupleIJPjSE_EEENSF_IJSE_SE_EEES9_SG_JZNS1_25segmented_radix_sort_implINS0_14default_configELb1EPKdPdPKlPlN2at6native12_GLOBAL__N_18offset_tEEE10hipError_tPvRmT1_PNSt15iterator_traitsISY_E10value_typeET2_T3_PNSZ_IS14_E10value_typeET4_jRbjT5_S1A_jjP12ihipStream_tbEUljE_EEESV_SW_SX_S14_S18_S1A_T6_T7_T9_mT8_S1C_bDpT10_ENKUlT_T0_E_clISt17integral_constantIbLb0EES1P_EEDaS1K_S1L_EUlS1K_E_NS1_11comp_targetILNS1_3genE9ELNS1_11target_archE1100ELNS1_3gpuE3ELNS1_3repE0EEENS1_30default_config_static_selectorELNS0_4arch9wavefront6targetE1EEEvSY_,comdat
	.globl	_ZN7rocprim17ROCPRIM_400000_NS6detail17trampoline_kernelINS0_13select_configILj256ELj13ELNS0_17block_load_methodE3ELS4_3ELS4_3ELNS0_20block_scan_algorithmE0ELj4294967295EEENS1_25partition_config_selectorILNS1_17partition_subalgoE3EjNS0_10empty_typeEbEEZZNS1_14partition_implILS8_3ELb0ES6_jNS0_17counting_iteratorIjlEEPS9_SE_NS0_5tupleIJPjSE_EEENSF_IJSE_SE_EEES9_SG_JZNS1_25segmented_radix_sort_implINS0_14default_configELb1EPKdPdPKlPlN2at6native12_GLOBAL__N_18offset_tEEE10hipError_tPvRmT1_PNSt15iterator_traitsISY_E10value_typeET2_T3_PNSZ_IS14_E10value_typeET4_jRbjT5_S1A_jjP12ihipStream_tbEUljE_EEESV_SW_SX_S14_S18_S1A_T6_T7_T9_mT8_S1C_bDpT10_ENKUlT_T0_E_clISt17integral_constantIbLb0EES1P_EEDaS1K_S1L_EUlS1K_E_NS1_11comp_targetILNS1_3genE9ELNS1_11target_archE1100ELNS1_3gpuE3ELNS1_3repE0EEENS1_30default_config_static_selectorELNS0_4arch9wavefront6targetE1EEEvSY_ ; -- Begin function _ZN7rocprim17ROCPRIM_400000_NS6detail17trampoline_kernelINS0_13select_configILj256ELj13ELNS0_17block_load_methodE3ELS4_3ELS4_3ELNS0_20block_scan_algorithmE0ELj4294967295EEENS1_25partition_config_selectorILNS1_17partition_subalgoE3EjNS0_10empty_typeEbEEZZNS1_14partition_implILS8_3ELb0ES6_jNS0_17counting_iteratorIjlEEPS9_SE_NS0_5tupleIJPjSE_EEENSF_IJSE_SE_EEES9_SG_JZNS1_25segmented_radix_sort_implINS0_14default_configELb1EPKdPdPKlPlN2at6native12_GLOBAL__N_18offset_tEEE10hipError_tPvRmT1_PNSt15iterator_traitsISY_E10value_typeET2_T3_PNSZ_IS14_E10value_typeET4_jRbjT5_S1A_jjP12ihipStream_tbEUljE_EEESV_SW_SX_S14_S18_S1A_T6_T7_T9_mT8_S1C_bDpT10_ENKUlT_T0_E_clISt17integral_constantIbLb0EES1P_EEDaS1K_S1L_EUlS1K_E_NS1_11comp_targetILNS1_3genE9ELNS1_11target_archE1100ELNS1_3gpuE3ELNS1_3repE0EEENS1_30default_config_static_selectorELNS0_4arch9wavefront6targetE1EEEvSY_
	.p2align	8
	.type	_ZN7rocprim17ROCPRIM_400000_NS6detail17trampoline_kernelINS0_13select_configILj256ELj13ELNS0_17block_load_methodE3ELS4_3ELS4_3ELNS0_20block_scan_algorithmE0ELj4294967295EEENS1_25partition_config_selectorILNS1_17partition_subalgoE3EjNS0_10empty_typeEbEEZZNS1_14partition_implILS8_3ELb0ES6_jNS0_17counting_iteratorIjlEEPS9_SE_NS0_5tupleIJPjSE_EEENSF_IJSE_SE_EEES9_SG_JZNS1_25segmented_radix_sort_implINS0_14default_configELb1EPKdPdPKlPlN2at6native12_GLOBAL__N_18offset_tEEE10hipError_tPvRmT1_PNSt15iterator_traitsISY_E10value_typeET2_T3_PNSZ_IS14_E10value_typeET4_jRbjT5_S1A_jjP12ihipStream_tbEUljE_EEESV_SW_SX_S14_S18_S1A_T6_T7_T9_mT8_S1C_bDpT10_ENKUlT_T0_E_clISt17integral_constantIbLb0EES1P_EEDaS1K_S1L_EUlS1K_E_NS1_11comp_targetILNS1_3genE9ELNS1_11target_archE1100ELNS1_3gpuE3ELNS1_3repE0EEENS1_30default_config_static_selectorELNS0_4arch9wavefront6targetE1EEEvSY_,@function
_ZN7rocprim17ROCPRIM_400000_NS6detail17trampoline_kernelINS0_13select_configILj256ELj13ELNS0_17block_load_methodE3ELS4_3ELS4_3ELNS0_20block_scan_algorithmE0ELj4294967295EEENS1_25partition_config_selectorILNS1_17partition_subalgoE3EjNS0_10empty_typeEbEEZZNS1_14partition_implILS8_3ELb0ES6_jNS0_17counting_iteratorIjlEEPS9_SE_NS0_5tupleIJPjSE_EEENSF_IJSE_SE_EEES9_SG_JZNS1_25segmented_radix_sort_implINS0_14default_configELb1EPKdPdPKlPlN2at6native12_GLOBAL__N_18offset_tEEE10hipError_tPvRmT1_PNSt15iterator_traitsISY_E10value_typeET2_T3_PNSZ_IS14_E10value_typeET4_jRbjT5_S1A_jjP12ihipStream_tbEUljE_EEESV_SW_SX_S14_S18_S1A_T6_T7_T9_mT8_S1C_bDpT10_ENKUlT_T0_E_clISt17integral_constantIbLb0EES1P_EEDaS1K_S1L_EUlS1K_E_NS1_11comp_targetILNS1_3genE9ELNS1_11target_archE1100ELNS1_3gpuE3ELNS1_3repE0EEENS1_30default_config_static_selectorELNS0_4arch9wavefront6targetE1EEEvSY_: ; @_ZN7rocprim17ROCPRIM_400000_NS6detail17trampoline_kernelINS0_13select_configILj256ELj13ELNS0_17block_load_methodE3ELS4_3ELS4_3ELNS0_20block_scan_algorithmE0ELj4294967295EEENS1_25partition_config_selectorILNS1_17partition_subalgoE3EjNS0_10empty_typeEbEEZZNS1_14partition_implILS8_3ELb0ES6_jNS0_17counting_iteratorIjlEEPS9_SE_NS0_5tupleIJPjSE_EEENSF_IJSE_SE_EEES9_SG_JZNS1_25segmented_radix_sort_implINS0_14default_configELb1EPKdPdPKlPlN2at6native12_GLOBAL__N_18offset_tEEE10hipError_tPvRmT1_PNSt15iterator_traitsISY_E10value_typeET2_T3_PNSZ_IS14_E10value_typeET4_jRbjT5_S1A_jjP12ihipStream_tbEUljE_EEESV_SW_SX_S14_S18_S1A_T6_T7_T9_mT8_S1C_bDpT10_ENKUlT_T0_E_clISt17integral_constantIbLb0EES1P_EEDaS1K_S1L_EUlS1K_E_NS1_11comp_targetILNS1_3genE9ELNS1_11target_archE1100ELNS1_3gpuE3ELNS1_3repE0EEENS1_30default_config_static_selectorELNS0_4arch9wavefront6targetE1EEEvSY_
; %bb.0:
	.section	.rodata,"a",@progbits
	.p2align	6, 0x0
	.amdhsa_kernel _ZN7rocprim17ROCPRIM_400000_NS6detail17trampoline_kernelINS0_13select_configILj256ELj13ELNS0_17block_load_methodE3ELS4_3ELS4_3ELNS0_20block_scan_algorithmE0ELj4294967295EEENS1_25partition_config_selectorILNS1_17partition_subalgoE3EjNS0_10empty_typeEbEEZZNS1_14partition_implILS8_3ELb0ES6_jNS0_17counting_iteratorIjlEEPS9_SE_NS0_5tupleIJPjSE_EEENSF_IJSE_SE_EEES9_SG_JZNS1_25segmented_radix_sort_implINS0_14default_configELb1EPKdPdPKlPlN2at6native12_GLOBAL__N_18offset_tEEE10hipError_tPvRmT1_PNSt15iterator_traitsISY_E10value_typeET2_T3_PNSZ_IS14_E10value_typeET4_jRbjT5_S1A_jjP12ihipStream_tbEUljE_EEESV_SW_SX_S14_S18_S1A_T6_T7_T9_mT8_S1C_bDpT10_ENKUlT_T0_E_clISt17integral_constantIbLb0EES1P_EEDaS1K_S1L_EUlS1K_E_NS1_11comp_targetILNS1_3genE9ELNS1_11target_archE1100ELNS1_3gpuE3ELNS1_3repE0EEENS1_30default_config_static_selectorELNS0_4arch9wavefront6targetE1EEEvSY_
		.amdhsa_group_segment_fixed_size 0
		.amdhsa_private_segment_fixed_size 0
		.amdhsa_kernarg_size 144
		.amdhsa_user_sgpr_count 6
		.amdhsa_user_sgpr_private_segment_buffer 1
		.amdhsa_user_sgpr_dispatch_ptr 0
		.amdhsa_user_sgpr_queue_ptr 0
		.amdhsa_user_sgpr_kernarg_segment_ptr 1
		.amdhsa_user_sgpr_dispatch_id 0
		.amdhsa_user_sgpr_flat_scratch_init 0
		.amdhsa_user_sgpr_kernarg_preload_length 0
		.amdhsa_user_sgpr_kernarg_preload_offset 0
		.amdhsa_user_sgpr_private_segment_size 0
		.amdhsa_uses_dynamic_stack 0
		.amdhsa_system_sgpr_private_segment_wavefront_offset 0
		.amdhsa_system_sgpr_workgroup_id_x 1
		.amdhsa_system_sgpr_workgroup_id_y 0
		.amdhsa_system_sgpr_workgroup_id_z 0
		.amdhsa_system_sgpr_workgroup_info 0
		.amdhsa_system_vgpr_workitem_id 0
		.amdhsa_next_free_vgpr 1
		.amdhsa_next_free_sgpr 0
		.amdhsa_accum_offset 4
		.amdhsa_reserve_vcc 0
		.amdhsa_reserve_flat_scratch 0
		.amdhsa_float_round_mode_32 0
		.amdhsa_float_round_mode_16_64 0
		.amdhsa_float_denorm_mode_32 3
		.amdhsa_float_denorm_mode_16_64 3
		.amdhsa_dx10_clamp 1
		.amdhsa_ieee_mode 1
		.amdhsa_fp16_overflow 0
		.amdhsa_tg_split 0
		.amdhsa_exception_fp_ieee_invalid_op 0
		.amdhsa_exception_fp_denorm_src 0
		.amdhsa_exception_fp_ieee_div_zero 0
		.amdhsa_exception_fp_ieee_overflow 0
		.amdhsa_exception_fp_ieee_underflow 0
		.amdhsa_exception_fp_ieee_inexact 0
		.amdhsa_exception_int_div_zero 0
	.end_amdhsa_kernel
	.section	.text._ZN7rocprim17ROCPRIM_400000_NS6detail17trampoline_kernelINS0_13select_configILj256ELj13ELNS0_17block_load_methodE3ELS4_3ELS4_3ELNS0_20block_scan_algorithmE0ELj4294967295EEENS1_25partition_config_selectorILNS1_17partition_subalgoE3EjNS0_10empty_typeEbEEZZNS1_14partition_implILS8_3ELb0ES6_jNS0_17counting_iteratorIjlEEPS9_SE_NS0_5tupleIJPjSE_EEENSF_IJSE_SE_EEES9_SG_JZNS1_25segmented_radix_sort_implINS0_14default_configELb1EPKdPdPKlPlN2at6native12_GLOBAL__N_18offset_tEEE10hipError_tPvRmT1_PNSt15iterator_traitsISY_E10value_typeET2_T3_PNSZ_IS14_E10value_typeET4_jRbjT5_S1A_jjP12ihipStream_tbEUljE_EEESV_SW_SX_S14_S18_S1A_T6_T7_T9_mT8_S1C_bDpT10_ENKUlT_T0_E_clISt17integral_constantIbLb0EES1P_EEDaS1K_S1L_EUlS1K_E_NS1_11comp_targetILNS1_3genE9ELNS1_11target_archE1100ELNS1_3gpuE3ELNS1_3repE0EEENS1_30default_config_static_selectorELNS0_4arch9wavefront6targetE1EEEvSY_,"axG",@progbits,_ZN7rocprim17ROCPRIM_400000_NS6detail17trampoline_kernelINS0_13select_configILj256ELj13ELNS0_17block_load_methodE3ELS4_3ELS4_3ELNS0_20block_scan_algorithmE0ELj4294967295EEENS1_25partition_config_selectorILNS1_17partition_subalgoE3EjNS0_10empty_typeEbEEZZNS1_14partition_implILS8_3ELb0ES6_jNS0_17counting_iteratorIjlEEPS9_SE_NS0_5tupleIJPjSE_EEENSF_IJSE_SE_EEES9_SG_JZNS1_25segmented_radix_sort_implINS0_14default_configELb1EPKdPdPKlPlN2at6native12_GLOBAL__N_18offset_tEEE10hipError_tPvRmT1_PNSt15iterator_traitsISY_E10value_typeET2_T3_PNSZ_IS14_E10value_typeET4_jRbjT5_S1A_jjP12ihipStream_tbEUljE_EEESV_SW_SX_S14_S18_S1A_T6_T7_T9_mT8_S1C_bDpT10_ENKUlT_T0_E_clISt17integral_constantIbLb0EES1P_EEDaS1K_S1L_EUlS1K_E_NS1_11comp_targetILNS1_3genE9ELNS1_11target_archE1100ELNS1_3gpuE3ELNS1_3repE0EEENS1_30default_config_static_selectorELNS0_4arch9wavefront6targetE1EEEvSY_,comdat
.Lfunc_end1090:
	.size	_ZN7rocprim17ROCPRIM_400000_NS6detail17trampoline_kernelINS0_13select_configILj256ELj13ELNS0_17block_load_methodE3ELS4_3ELS4_3ELNS0_20block_scan_algorithmE0ELj4294967295EEENS1_25partition_config_selectorILNS1_17partition_subalgoE3EjNS0_10empty_typeEbEEZZNS1_14partition_implILS8_3ELb0ES6_jNS0_17counting_iteratorIjlEEPS9_SE_NS0_5tupleIJPjSE_EEENSF_IJSE_SE_EEES9_SG_JZNS1_25segmented_radix_sort_implINS0_14default_configELb1EPKdPdPKlPlN2at6native12_GLOBAL__N_18offset_tEEE10hipError_tPvRmT1_PNSt15iterator_traitsISY_E10value_typeET2_T3_PNSZ_IS14_E10value_typeET4_jRbjT5_S1A_jjP12ihipStream_tbEUljE_EEESV_SW_SX_S14_S18_S1A_T6_T7_T9_mT8_S1C_bDpT10_ENKUlT_T0_E_clISt17integral_constantIbLb0EES1P_EEDaS1K_S1L_EUlS1K_E_NS1_11comp_targetILNS1_3genE9ELNS1_11target_archE1100ELNS1_3gpuE3ELNS1_3repE0EEENS1_30default_config_static_selectorELNS0_4arch9wavefront6targetE1EEEvSY_, .Lfunc_end1090-_ZN7rocprim17ROCPRIM_400000_NS6detail17trampoline_kernelINS0_13select_configILj256ELj13ELNS0_17block_load_methodE3ELS4_3ELS4_3ELNS0_20block_scan_algorithmE0ELj4294967295EEENS1_25partition_config_selectorILNS1_17partition_subalgoE3EjNS0_10empty_typeEbEEZZNS1_14partition_implILS8_3ELb0ES6_jNS0_17counting_iteratorIjlEEPS9_SE_NS0_5tupleIJPjSE_EEENSF_IJSE_SE_EEES9_SG_JZNS1_25segmented_radix_sort_implINS0_14default_configELb1EPKdPdPKlPlN2at6native12_GLOBAL__N_18offset_tEEE10hipError_tPvRmT1_PNSt15iterator_traitsISY_E10value_typeET2_T3_PNSZ_IS14_E10value_typeET4_jRbjT5_S1A_jjP12ihipStream_tbEUljE_EEESV_SW_SX_S14_S18_S1A_T6_T7_T9_mT8_S1C_bDpT10_ENKUlT_T0_E_clISt17integral_constantIbLb0EES1P_EEDaS1K_S1L_EUlS1K_E_NS1_11comp_targetILNS1_3genE9ELNS1_11target_archE1100ELNS1_3gpuE3ELNS1_3repE0EEENS1_30default_config_static_selectorELNS0_4arch9wavefront6targetE1EEEvSY_
                                        ; -- End function
	.section	.AMDGPU.csdata,"",@progbits
; Kernel info:
; codeLenInByte = 0
; NumSgprs: 4
; NumVgprs: 0
; NumAgprs: 0
; TotalNumVgprs: 0
; ScratchSize: 0
; MemoryBound: 0
; FloatMode: 240
; IeeeMode: 1
; LDSByteSize: 0 bytes/workgroup (compile time only)
; SGPRBlocks: 0
; VGPRBlocks: 0
; NumSGPRsForWavesPerEU: 4
; NumVGPRsForWavesPerEU: 1
; AccumOffset: 4
; Occupancy: 8
; WaveLimiterHint : 0
; COMPUTE_PGM_RSRC2:SCRATCH_EN: 0
; COMPUTE_PGM_RSRC2:USER_SGPR: 6
; COMPUTE_PGM_RSRC2:TRAP_HANDLER: 0
; COMPUTE_PGM_RSRC2:TGID_X_EN: 1
; COMPUTE_PGM_RSRC2:TGID_Y_EN: 0
; COMPUTE_PGM_RSRC2:TGID_Z_EN: 0
; COMPUTE_PGM_RSRC2:TIDIG_COMP_CNT: 0
; COMPUTE_PGM_RSRC3_GFX90A:ACCUM_OFFSET: 0
; COMPUTE_PGM_RSRC3_GFX90A:TG_SPLIT: 0
	.section	.text._ZN7rocprim17ROCPRIM_400000_NS6detail17trampoline_kernelINS0_13select_configILj256ELj13ELNS0_17block_load_methodE3ELS4_3ELS4_3ELNS0_20block_scan_algorithmE0ELj4294967295EEENS1_25partition_config_selectorILNS1_17partition_subalgoE3EjNS0_10empty_typeEbEEZZNS1_14partition_implILS8_3ELb0ES6_jNS0_17counting_iteratorIjlEEPS9_SE_NS0_5tupleIJPjSE_EEENSF_IJSE_SE_EEES9_SG_JZNS1_25segmented_radix_sort_implINS0_14default_configELb1EPKdPdPKlPlN2at6native12_GLOBAL__N_18offset_tEEE10hipError_tPvRmT1_PNSt15iterator_traitsISY_E10value_typeET2_T3_PNSZ_IS14_E10value_typeET4_jRbjT5_S1A_jjP12ihipStream_tbEUljE_EEESV_SW_SX_S14_S18_S1A_T6_T7_T9_mT8_S1C_bDpT10_ENKUlT_T0_E_clISt17integral_constantIbLb0EES1P_EEDaS1K_S1L_EUlS1K_E_NS1_11comp_targetILNS1_3genE8ELNS1_11target_archE1030ELNS1_3gpuE2ELNS1_3repE0EEENS1_30default_config_static_selectorELNS0_4arch9wavefront6targetE1EEEvSY_,"axG",@progbits,_ZN7rocprim17ROCPRIM_400000_NS6detail17trampoline_kernelINS0_13select_configILj256ELj13ELNS0_17block_load_methodE3ELS4_3ELS4_3ELNS0_20block_scan_algorithmE0ELj4294967295EEENS1_25partition_config_selectorILNS1_17partition_subalgoE3EjNS0_10empty_typeEbEEZZNS1_14partition_implILS8_3ELb0ES6_jNS0_17counting_iteratorIjlEEPS9_SE_NS0_5tupleIJPjSE_EEENSF_IJSE_SE_EEES9_SG_JZNS1_25segmented_radix_sort_implINS0_14default_configELb1EPKdPdPKlPlN2at6native12_GLOBAL__N_18offset_tEEE10hipError_tPvRmT1_PNSt15iterator_traitsISY_E10value_typeET2_T3_PNSZ_IS14_E10value_typeET4_jRbjT5_S1A_jjP12ihipStream_tbEUljE_EEESV_SW_SX_S14_S18_S1A_T6_T7_T9_mT8_S1C_bDpT10_ENKUlT_T0_E_clISt17integral_constantIbLb0EES1P_EEDaS1K_S1L_EUlS1K_E_NS1_11comp_targetILNS1_3genE8ELNS1_11target_archE1030ELNS1_3gpuE2ELNS1_3repE0EEENS1_30default_config_static_selectorELNS0_4arch9wavefront6targetE1EEEvSY_,comdat
	.globl	_ZN7rocprim17ROCPRIM_400000_NS6detail17trampoline_kernelINS0_13select_configILj256ELj13ELNS0_17block_load_methodE3ELS4_3ELS4_3ELNS0_20block_scan_algorithmE0ELj4294967295EEENS1_25partition_config_selectorILNS1_17partition_subalgoE3EjNS0_10empty_typeEbEEZZNS1_14partition_implILS8_3ELb0ES6_jNS0_17counting_iteratorIjlEEPS9_SE_NS0_5tupleIJPjSE_EEENSF_IJSE_SE_EEES9_SG_JZNS1_25segmented_radix_sort_implINS0_14default_configELb1EPKdPdPKlPlN2at6native12_GLOBAL__N_18offset_tEEE10hipError_tPvRmT1_PNSt15iterator_traitsISY_E10value_typeET2_T3_PNSZ_IS14_E10value_typeET4_jRbjT5_S1A_jjP12ihipStream_tbEUljE_EEESV_SW_SX_S14_S18_S1A_T6_T7_T9_mT8_S1C_bDpT10_ENKUlT_T0_E_clISt17integral_constantIbLb0EES1P_EEDaS1K_S1L_EUlS1K_E_NS1_11comp_targetILNS1_3genE8ELNS1_11target_archE1030ELNS1_3gpuE2ELNS1_3repE0EEENS1_30default_config_static_selectorELNS0_4arch9wavefront6targetE1EEEvSY_ ; -- Begin function _ZN7rocprim17ROCPRIM_400000_NS6detail17trampoline_kernelINS0_13select_configILj256ELj13ELNS0_17block_load_methodE3ELS4_3ELS4_3ELNS0_20block_scan_algorithmE0ELj4294967295EEENS1_25partition_config_selectorILNS1_17partition_subalgoE3EjNS0_10empty_typeEbEEZZNS1_14partition_implILS8_3ELb0ES6_jNS0_17counting_iteratorIjlEEPS9_SE_NS0_5tupleIJPjSE_EEENSF_IJSE_SE_EEES9_SG_JZNS1_25segmented_radix_sort_implINS0_14default_configELb1EPKdPdPKlPlN2at6native12_GLOBAL__N_18offset_tEEE10hipError_tPvRmT1_PNSt15iterator_traitsISY_E10value_typeET2_T3_PNSZ_IS14_E10value_typeET4_jRbjT5_S1A_jjP12ihipStream_tbEUljE_EEESV_SW_SX_S14_S18_S1A_T6_T7_T9_mT8_S1C_bDpT10_ENKUlT_T0_E_clISt17integral_constantIbLb0EES1P_EEDaS1K_S1L_EUlS1K_E_NS1_11comp_targetILNS1_3genE8ELNS1_11target_archE1030ELNS1_3gpuE2ELNS1_3repE0EEENS1_30default_config_static_selectorELNS0_4arch9wavefront6targetE1EEEvSY_
	.p2align	8
	.type	_ZN7rocprim17ROCPRIM_400000_NS6detail17trampoline_kernelINS0_13select_configILj256ELj13ELNS0_17block_load_methodE3ELS4_3ELS4_3ELNS0_20block_scan_algorithmE0ELj4294967295EEENS1_25partition_config_selectorILNS1_17partition_subalgoE3EjNS0_10empty_typeEbEEZZNS1_14partition_implILS8_3ELb0ES6_jNS0_17counting_iteratorIjlEEPS9_SE_NS0_5tupleIJPjSE_EEENSF_IJSE_SE_EEES9_SG_JZNS1_25segmented_radix_sort_implINS0_14default_configELb1EPKdPdPKlPlN2at6native12_GLOBAL__N_18offset_tEEE10hipError_tPvRmT1_PNSt15iterator_traitsISY_E10value_typeET2_T3_PNSZ_IS14_E10value_typeET4_jRbjT5_S1A_jjP12ihipStream_tbEUljE_EEESV_SW_SX_S14_S18_S1A_T6_T7_T9_mT8_S1C_bDpT10_ENKUlT_T0_E_clISt17integral_constantIbLb0EES1P_EEDaS1K_S1L_EUlS1K_E_NS1_11comp_targetILNS1_3genE8ELNS1_11target_archE1030ELNS1_3gpuE2ELNS1_3repE0EEENS1_30default_config_static_selectorELNS0_4arch9wavefront6targetE1EEEvSY_,@function
_ZN7rocprim17ROCPRIM_400000_NS6detail17trampoline_kernelINS0_13select_configILj256ELj13ELNS0_17block_load_methodE3ELS4_3ELS4_3ELNS0_20block_scan_algorithmE0ELj4294967295EEENS1_25partition_config_selectorILNS1_17partition_subalgoE3EjNS0_10empty_typeEbEEZZNS1_14partition_implILS8_3ELb0ES6_jNS0_17counting_iteratorIjlEEPS9_SE_NS0_5tupleIJPjSE_EEENSF_IJSE_SE_EEES9_SG_JZNS1_25segmented_radix_sort_implINS0_14default_configELb1EPKdPdPKlPlN2at6native12_GLOBAL__N_18offset_tEEE10hipError_tPvRmT1_PNSt15iterator_traitsISY_E10value_typeET2_T3_PNSZ_IS14_E10value_typeET4_jRbjT5_S1A_jjP12ihipStream_tbEUljE_EEESV_SW_SX_S14_S18_S1A_T6_T7_T9_mT8_S1C_bDpT10_ENKUlT_T0_E_clISt17integral_constantIbLb0EES1P_EEDaS1K_S1L_EUlS1K_E_NS1_11comp_targetILNS1_3genE8ELNS1_11target_archE1030ELNS1_3gpuE2ELNS1_3repE0EEENS1_30default_config_static_selectorELNS0_4arch9wavefront6targetE1EEEvSY_: ; @_ZN7rocprim17ROCPRIM_400000_NS6detail17trampoline_kernelINS0_13select_configILj256ELj13ELNS0_17block_load_methodE3ELS4_3ELS4_3ELNS0_20block_scan_algorithmE0ELj4294967295EEENS1_25partition_config_selectorILNS1_17partition_subalgoE3EjNS0_10empty_typeEbEEZZNS1_14partition_implILS8_3ELb0ES6_jNS0_17counting_iteratorIjlEEPS9_SE_NS0_5tupleIJPjSE_EEENSF_IJSE_SE_EEES9_SG_JZNS1_25segmented_radix_sort_implINS0_14default_configELb1EPKdPdPKlPlN2at6native12_GLOBAL__N_18offset_tEEE10hipError_tPvRmT1_PNSt15iterator_traitsISY_E10value_typeET2_T3_PNSZ_IS14_E10value_typeET4_jRbjT5_S1A_jjP12ihipStream_tbEUljE_EEESV_SW_SX_S14_S18_S1A_T6_T7_T9_mT8_S1C_bDpT10_ENKUlT_T0_E_clISt17integral_constantIbLb0EES1P_EEDaS1K_S1L_EUlS1K_E_NS1_11comp_targetILNS1_3genE8ELNS1_11target_archE1030ELNS1_3gpuE2ELNS1_3repE0EEENS1_30default_config_static_selectorELNS0_4arch9wavefront6targetE1EEEvSY_
; %bb.0:
	.section	.rodata,"a",@progbits
	.p2align	6, 0x0
	.amdhsa_kernel _ZN7rocprim17ROCPRIM_400000_NS6detail17trampoline_kernelINS0_13select_configILj256ELj13ELNS0_17block_load_methodE3ELS4_3ELS4_3ELNS0_20block_scan_algorithmE0ELj4294967295EEENS1_25partition_config_selectorILNS1_17partition_subalgoE3EjNS0_10empty_typeEbEEZZNS1_14partition_implILS8_3ELb0ES6_jNS0_17counting_iteratorIjlEEPS9_SE_NS0_5tupleIJPjSE_EEENSF_IJSE_SE_EEES9_SG_JZNS1_25segmented_radix_sort_implINS0_14default_configELb1EPKdPdPKlPlN2at6native12_GLOBAL__N_18offset_tEEE10hipError_tPvRmT1_PNSt15iterator_traitsISY_E10value_typeET2_T3_PNSZ_IS14_E10value_typeET4_jRbjT5_S1A_jjP12ihipStream_tbEUljE_EEESV_SW_SX_S14_S18_S1A_T6_T7_T9_mT8_S1C_bDpT10_ENKUlT_T0_E_clISt17integral_constantIbLb0EES1P_EEDaS1K_S1L_EUlS1K_E_NS1_11comp_targetILNS1_3genE8ELNS1_11target_archE1030ELNS1_3gpuE2ELNS1_3repE0EEENS1_30default_config_static_selectorELNS0_4arch9wavefront6targetE1EEEvSY_
		.amdhsa_group_segment_fixed_size 0
		.amdhsa_private_segment_fixed_size 0
		.amdhsa_kernarg_size 144
		.amdhsa_user_sgpr_count 6
		.amdhsa_user_sgpr_private_segment_buffer 1
		.amdhsa_user_sgpr_dispatch_ptr 0
		.amdhsa_user_sgpr_queue_ptr 0
		.amdhsa_user_sgpr_kernarg_segment_ptr 1
		.amdhsa_user_sgpr_dispatch_id 0
		.amdhsa_user_sgpr_flat_scratch_init 0
		.amdhsa_user_sgpr_kernarg_preload_length 0
		.amdhsa_user_sgpr_kernarg_preload_offset 0
		.amdhsa_user_sgpr_private_segment_size 0
		.amdhsa_uses_dynamic_stack 0
		.amdhsa_system_sgpr_private_segment_wavefront_offset 0
		.amdhsa_system_sgpr_workgroup_id_x 1
		.amdhsa_system_sgpr_workgroup_id_y 0
		.amdhsa_system_sgpr_workgroup_id_z 0
		.amdhsa_system_sgpr_workgroup_info 0
		.amdhsa_system_vgpr_workitem_id 0
		.amdhsa_next_free_vgpr 1
		.amdhsa_next_free_sgpr 0
		.amdhsa_accum_offset 4
		.amdhsa_reserve_vcc 0
		.amdhsa_reserve_flat_scratch 0
		.amdhsa_float_round_mode_32 0
		.amdhsa_float_round_mode_16_64 0
		.amdhsa_float_denorm_mode_32 3
		.amdhsa_float_denorm_mode_16_64 3
		.amdhsa_dx10_clamp 1
		.amdhsa_ieee_mode 1
		.amdhsa_fp16_overflow 0
		.amdhsa_tg_split 0
		.amdhsa_exception_fp_ieee_invalid_op 0
		.amdhsa_exception_fp_denorm_src 0
		.amdhsa_exception_fp_ieee_div_zero 0
		.amdhsa_exception_fp_ieee_overflow 0
		.amdhsa_exception_fp_ieee_underflow 0
		.amdhsa_exception_fp_ieee_inexact 0
		.amdhsa_exception_int_div_zero 0
	.end_amdhsa_kernel
	.section	.text._ZN7rocprim17ROCPRIM_400000_NS6detail17trampoline_kernelINS0_13select_configILj256ELj13ELNS0_17block_load_methodE3ELS4_3ELS4_3ELNS0_20block_scan_algorithmE0ELj4294967295EEENS1_25partition_config_selectorILNS1_17partition_subalgoE3EjNS0_10empty_typeEbEEZZNS1_14partition_implILS8_3ELb0ES6_jNS0_17counting_iteratorIjlEEPS9_SE_NS0_5tupleIJPjSE_EEENSF_IJSE_SE_EEES9_SG_JZNS1_25segmented_radix_sort_implINS0_14default_configELb1EPKdPdPKlPlN2at6native12_GLOBAL__N_18offset_tEEE10hipError_tPvRmT1_PNSt15iterator_traitsISY_E10value_typeET2_T3_PNSZ_IS14_E10value_typeET4_jRbjT5_S1A_jjP12ihipStream_tbEUljE_EEESV_SW_SX_S14_S18_S1A_T6_T7_T9_mT8_S1C_bDpT10_ENKUlT_T0_E_clISt17integral_constantIbLb0EES1P_EEDaS1K_S1L_EUlS1K_E_NS1_11comp_targetILNS1_3genE8ELNS1_11target_archE1030ELNS1_3gpuE2ELNS1_3repE0EEENS1_30default_config_static_selectorELNS0_4arch9wavefront6targetE1EEEvSY_,"axG",@progbits,_ZN7rocprim17ROCPRIM_400000_NS6detail17trampoline_kernelINS0_13select_configILj256ELj13ELNS0_17block_load_methodE3ELS4_3ELS4_3ELNS0_20block_scan_algorithmE0ELj4294967295EEENS1_25partition_config_selectorILNS1_17partition_subalgoE3EjNS0_10empty_typeEbEEZZNS1_14partition_implILS8_3ELb0ES6_jNS0_17counting_iteratorIjlEEPS9_SE_NS0_5tupleIJPjSE_EEENSF_IJSE_SE_EEES9_SG_JZNS1_25segmented_radix_sort_implINS0_14default_configELb1EPKdPdPKlPlN2at6native12_GLOBAL__N_18offset_tEEE10hipError_tPvRmT1_PNSt15iterator_traitsISY_E10value_typeET2_T3_PNSZ_IS14_E10value_typeET4_jRbjT5_S1A_jjP12ihipStream_tbEUljE_EEESV_SW_SX_S14_S18_S1A_T6_T7_T9_mT8_S1C_bDpT10_ENKUlT_T0_E_clISt17integral_constantIbLb0EES1P_EEDaS1K_S1L_EUlS1K_E_NS1_11comp_targetILNS1_3genE8ELNS1_11target_archE1030ELNS1_3gpuE2ELNS1_3repE0EEENS1_30default_config_static_selectorELNS0_4arch9wavefront6targetE1EEEvSY_,comdat
.Lfunc_end1091:
	.size	_ZN7rocprim17ROCPRIM_400000_NS6detail17trampoline_kernelINS0_13select_configILj256ELj13ELNS0_17block_load_methodE3ELS4_3ELS4_3ELNS0_20block_scan_algorithmE0ELj4294967295EEENS1_25partition_config_selectorILNS1_17partition_subalgoE3EjNS0_10empty_typeEbEEZZNS1_14partition_implILS8_3ELb0ES6_jNS0_17counting_iteratorIjlEEPS9_SE_NS0_5tupleIJPjSE_EEENSF_IJSE_SE_EEES9_SG_JZNS1_25segmented_radix_sort_implINS0_14default_configELb1EPKdPdPKlPlN2at6native12_GLOBAL__N_18offset_tEEE10hipError_tPvRmT1_PNSt15iterator_traitsISY_E10value_typeET2_T3_PNSZ_IS14_E10value_typeET4_jRbjT5_S1A_jjP12ihipStream_tbEUljE_EEESV_SW_SX_S14_S18_S1A_T6_T7_T9_mT8_S1C_bDpT10_ENKUlT_T0_E_clISt17integral_constantIbLb0EES1P_EEDaS1K_S1L_EUlS1K_E_NS1_11comp_targetILNS1_3genE8ELNS1_11target_archE1030ELNS1_3gpuE2ELNS1_3repE0EEENS1_30default_config_static_selectorELNS0_4arch9wavefront6targetE1EEEvSY_, .Lfunc_end1091-_ZN7rocprim17ROCPRIM_400000_NS6detail17trampoline_kernelINS0_13select_configILj256ELj13ELNS0_17block_load_methodE3ELS4_3ELS4_3ELNS0_20block_scan_algorithmE0ELj4294967295EEENS1_25partition_config_selectorILNS1_17partition_subalgoE3EjNS0_10empty_typeEbEEZZNS1_14partition_implILS8_3ELb0ES6_jNS0_17counting_iteratorIjlEEPS9_SE_NS0_5tupleIJPjSE_EEENSF_IJSE_SE_EEES9_SG_JZNS1_25segmented_radix_sort_implINS0_14default_configELb1EPKdPdPKlPlN2at6native12_GLOBAL__N_18offset_tEEE10hipError_tPvRmT1_PNSt15iterator_traitsISY_E10value_typeET2_T3_PNSZ_IS14_E10value_typeET4_jRbjT5_S1A_jjP12ihipStream_tbEUljE_EEESV_SW_SX_S14_S18_S1A_T6_T7_T9_mT8_S1C_bDpT10_ENKUlT_T0_E_clISt17integral_constantIbLb0EES1P_EEDaS1K_S1L_EUlS1K_E_NS1_11comp_targetILNS1_3genE8ELNS1_11target_archE1030ELNS1_3gpuE2ELNS1_3repE0EEENS1_30default_config_static_selectorELNS0_4arch9wavefront6targetE1EEEvSY_
                                        ; -- End function
	.section	.AMDGPU.csdata,"",@progbits
; Kernel info:
; codeLenInByte = 0
; NumSgprs: 4
; NumVgprs: 0
; NumAgprs: 0
; TotalNumVgprs: 0
; ScratchSize: 0
; MemoryBound: 0
; FloatMode: 240
; IeeeMode: 1
; LDSByteSize: 0 bytes/workgroup (compile time only)
; SGPRBlocks: 0
; VGPRBlocks: 0
; NumSGPRsForWavesPerEU: 4
; NumVGPRsForWavesPerEU: 1
; AccumOffset: 4
; Occupancy: 8
; WaveLimiterHint : 0
; COMPUTE_PGM_RSRC2:SCRATCH_EN: 0
; COMPUTE_PGM_RSRC2:USER_SGPR: 6
; COMPUTE_PGM_RSRC2:TRAP_HANDLER: 0
; COMPUTE_PGM_RSRC2:TGID_X_EN: 1
; COMPUTE_PGM_RSRC2:TGID_Y_EN: 0
; COMPUTE_PGM_RSRC2:TGID_Z_EN: 0
; COMPUTE_PGM_RSRC2:TIDIG_COMP_CNT: 0
; COMPUTE_PGM_RSRC3_GFX90A:ACCUM_OFFSET: 0
; COMPUTE_PGM_RSRC3_GFX90A:TG_SPLIT: 0
	.section	.text._ZN7rocprim17ROCPRIM_400000_NS6detail17trampoline_kernelINS0_13select_configILj256ELj13ELNS0_17block_load_methodE3ELS4_3ELS4_3ELNS0_20block_scan_algorithmE0ELj4294967295EEENS1_25partition_config_selectorILNS1_17partition_subalgoE3EjNS0_10empty_typeEbEEZZNS1_14partition_implILS8_3ELb0ES6_jNS0_17counting_iteratorIjlEEPS9_SE_NS0_5tupleIJPjSE_EEENSF_IJSE_SE_EEES9_SG_JZNS1_25segmented_radix_sort_implINS0_14default_configELb1EPKdPdPKlPlN2at6native12_GLOBAL__N_18offset_tEEE10hipError_tPvRmT1_PNSt15iterator_traitsISY_E10value_typeET2_T3_PNSZ_IS14_E10value_typeET4_jRbjT5_S1A_jjP12ihipStream_tbEUljE_EEESV_SW_SX_S14_S18_S1A_T6_T7_T9_mT8_S1C_bDpT10_ENKUlT_T0_E_clISt17integral_constantIbLb1EES1P_EEDaS1K_S1L_EUlS1K_E_NS1_11comp_targetILNS1_3genE0ELNS1_11target_archE4294967295ELNS1_3gpuE0ELNS1_3repE0EEENS1_30default_config_static_selectorELNS0_4arch9wavefront6targetE1EEEvSY_,"axG",@progbits,_ZN7rocprim17ROCPRIM_400000_NS6detail17trampoline_kernelINS0_13select_configILj256ELj13ELNS0_17block_load_methodE3ELS4_3ELS4_3ELNS0_20block_scan_algorithmE0ELj4294967295EEENS1_25partition_config_selectorILNS1_17partition_subalgoE3EjNS0_10empty_typeEbEEZZNS1_14partition_implILS8_3ELb0ES6_jNS0_17counting_iteratorIjlEEPS9_SE_NS0_5tupleIJPjSE_EEENSF_IJSE_SE_EEES9_SG_JZNS1_25segmented_radix_sort_implINS0_14default_configELb1EPKdPdPKlPlN2at6native12_GLOBAL__N_18offset_tEEE10hipError_tPvRmT1_PNSt15iterator_traitsISY_E10value_typeET2_T3_PNSZ_IS14_E10value_typeET4_jRbjT5_S1A_jjP12ihipStream_tbEUljE_EEESV_SW_SX_S14_S18_S1A_T6_T7_T9_mT8_S1C_bDpT10_ENKUlT_T0_E_clISt17integral_constantIbLb1EES1P_EEDaS1K_S1L_EUlS1K_E_NS1_11comp_targetILNS1_3genE0ELNS1_11target_archE4294967295ELNS1_3gpuE0ELNS1_3repE0EEENS1_30default_config_static_selectorELNS0_4arch9wavefront6targetE1EEEvSY_,comdat
	.globl	_ZN7rocprim17ROCPRIM_400000_NS6detail17trampoline_kernelINS0_13select_configILj256ELj13ELNS0_17block_load_methodE3ELS4_3ELS4_3ELNS0_20block_scan_algorithmE0ELj4294967295EEENS1_25partition_config_selectorILNS1_17partition_subalgoE3EjNS0_10empty_typeEbEEZZNS1_14partition_implILS8_3ELb0ES6_jNS0_17counting_iteratorIjlEEPS9_SE_NS0_5tupleIJPjSE_EEENSF_IJSE_SE_EEES9_SG_JZNS1_25segmented_radix_sort_implINS0_14default_configELb1EPKdPdPKlPlN2at6native12_GLOBAL__N_18offset_tEEE10hipError_tPvRmT1_PNSt15iterator_traitsISY_E10value_typeET2_T3_PNSZ_IS14_E10value_typeET4_jRbjT5_S1A_jjP12ihipStream_tbEUljE_EEESV_SW_SX_S14_S18_S1A_T6_T7_T9_mT8_S1C_bDpT10_ENKUlT_T0_E_clISt17integral_constantIbLb1EES1P_EEDaS1K_S1L_EUlS1K_E_NS1_11comp_targetILNS1_3genE0ELNS1_11target_archE4294967295ELNS1_3gpuE0ELNS1_3repE0EEENS1_30default_config_static_selectorELNS0_4arch9wavefront6targetE1EEEvSY_ ; -- Begin function _ZN7rocprim17ROCPRIM_400000_NS6detail17trampoline_kernelINS0_13select_configILj256ELj13ELNS0_17block_load_methodE3ELS4_3ELS4_3ELNS0_20block_scan_algorithmE0ELj4294967295EEENS1_25partition_config_selectorILNS1_17partition_subalgoE3EjNS0_10empty_typeEbEEZZNS1_14partition_implILS8_3ELb0ES6_jNS0_17counting_iteratorIjlEEPS9_SE_NS0_5tupleIJPjSE_EEENSF_IJSE_SE_EEES9_SG_JZNS1_25segmented_radix_sort_implINS0_14default_configELb1EPKdPdPKlPlN2at6native12_GLOBAL__N_18offset_tEEE10hipError_tPvRmT1_PNSt15iterator_traitsISY_E10value_typeET2_T3_PNSZ_IS14_E10value_typeET4_jRbjT5_S1A_jjP12ihipStream_tbEUljE_EEESV_SW_SX_S14_S18_S1A_T6_T7_T9_mT8_S1C_bDpT10_ENKUlT_T0_E_clISt17integral_constantIbLb1EES1P_EEDaS1K_S1L_EUlS1K_E_NS1_11comp_targetILNS1_3genE0ELNS1_11target_archE4294967295ELNS1_3gpuE0ELNS1_3repE0EEENS1_30default_config_static_selectorELNS0_4arch9wavefront6targetE1EEEvSY_
	.p2align	8
	.type	_ZN7rocprim17ROCPRIM_400000_NS6detail17trampoline_kernelINS0_13select_configILj256ELj13ELNS0_17block_load_methodE3ELS4_3ELS4_3ELNS0_20block_scan_algorithmE0ELj4294967295EEENS1_25partition_config_selectorILNS1_17partition_subalgoE3EjNS0_10empty_typeEbEEZZNS1_14partition_implILS8_3ELb0ES6_jNS0_17counting_iteratorIjlEEPS9_SE_NS0_5tupleIJPjSE_EEENSF_IJSE_SE_EEES9_SG_JZNS1_25segmented_radix_sort_implINS0_14default_configELb1EPKdPdPKlPlN2at6native12_GLOBAL__N_18offset_tEEE10hipError_tPvRmT1_PNSt15iterator_traitsISY_E10value_typeET2_T3_PNSZ_IS14_E10value_typeET4_jRbjT5_S1A_jjP12ihipStream_tbEUljE_EEESV_SW_SX_S14_S18_S1A_T6_T7_T9_mT8_S1C_bDpT10_ENKUlT_T0_E_clISt17integral_constantIbLb1EES1P_EEDaS1K_S1L_EUlS1K_E_NS1_11comp_targetILNS1_3genE0ELNS1_11target_archE4294967295ELNS1_3gpuE0ELNS1_3repE0EEENS1_30default_config_static_selectorELNS0_4arch9wavefront6targetE1EEEvSY_,@function
_ZN7rocprim17ROCPRIM_400000_NS6detail17trampoline_kernelINS0_13select_configILj256ELj13ELNS0_17block_load_methodE3ELS4_3ELS4_3ELNS0_20block_scan_algorithmE0ELj4294967295EEENS1_25partition_config_selectorILNS1_17partition_subalgoE3EjNS0_10empty_typeEbEEZZNS1_14partition_implILS8_3ELb0ES6_jNS0_17counting_iteratorIjlEEPS9_SE_NS0_5tupleIJPjSE_EEENSF_IJSE_SE_EEES9_SG_JZNS1_25segmented_radix_sort_implINS0_14default_configELb1EPKdPdPKlPlN2at6native12_GLOBAL__N_18offset_tEEE10hipError_tPvRmT1_PNSt15iterator_traitsISY_E10value_typeET2_T3_PNSZ_IS14_E10value_typeET4_jRbjT5_S1A_jjP12ihipStream_tbEUljE_EEESV_SW_SX_S14_S18_S1A_T6_T7_T9_mT8_S1C_bDpT10_ENKUlT_T0_E_clISt17integral_constantIbLb1EES1P_EEDaS1K_S1L_EUlS1K_E_NS1_11comp_targetILNS1_3genE0ELNS1_11target_archE4294967295ELNS1_3gpuE0ELNS1_3repE0EEENS1_30default_config_static_selectorELNS0_4arch9wavefront6targetE1EEEvSY_: ; @_ZN7rocprim17ROCPRIM_400000_NS6detail17trampoline_kernelINS0_13select_configILj256ELj13ELNS0_17block_load_methodE3ELS4_3ELS4_3ELNS0_20block_scan_algorithmE0ELj4294967295EEENS1_25partition_config_selectorILNS1_17partition_subalgoE3EjNS0_10empty_typeEbEEZZNS1_14partition_implILS8_3ELb0ES6_jNS0_17counting_iteratorIjlEEPS9_SE_NS0_5tupleIJPjSE_EEENSF_IJSE_SE_EEES9_SG_JZNS1_25segmented_radix_sort_implINS0_14default_configELb1EPKdPdPKlPlN2at6native12_GLOBAL__N_18offset_tEEE10hipError_tPvRmT1_PNSt15iterator_traitsISY_E10value_typeET2_T3_PNSZ_IS14_E10value_typeET4_jRbjT5_S1A_jjP12ihipStream_tbEUljE_EEESV_SW_SX_S14_S18_S1A_T6_T7_T9_mT8_S1C_bDpT10_ENKUlT_T0_E_clISt17integral_constantIbLb1EES1P_EEDaS1K_S1L_EUlS1K_E_NS1_11comp_targetILNS1_3genE0ELNS1_11target_archE4294967295ELNS1_3gpuE0ELNS1_3repE0EEENS1_30default_config_static_selectorELNS0_4arch9wavefront6targetE1EEEvSY_
; %bb.0:
	.section	.rodata,"a",@progbits
	.p2align	6, 0x0
	.amdhsa_kernel _ZN7rocprim17ROCPRIM_400000_NS6detail17trampoline_kernelINS0_13select_configILj256ELj13ELNS0_17block_load_methodE3ELS4_3ELS4_3ELNS0_20block_scan_algorithmE0ELj4294967295EEENS1_25partition_config_selectorILNS1_17partition_subalgoE3EjNS0_10empty_typeEbEEZZNS1_14partition_implILS8_3ELb0ES6_jNS0_17counting_iteratorIjlEEPS9_SE_NS0_5tupleIJPjSE_EEENSF_IJSE_SE_EEES9_SG_JZNS1_25segmented_radix_sort_implINS0_14default_configELb1EPKdPdPKlPlN2at6native12_GLOBAL__N_18offset_tEEE10hipError_tPvRmT1_PNSt15iterator_traitsISY_E10value_typeET2_T3_PNSZ_IS14_E10value_typeET4_jRbjT5_S1A_jjP12ihipStream_tbEUljE_EEESV_SW_SX_S14_S18_S1A_T6_T7_T9_mT8_S1C_bDpT10_ENKUlT_T0_E_clISt17integral_constantIbLb1EES1P_EEDaS1K_S1L_EUlS1K_E_NS1_11comp_targetILNS1_3genE0ELNS1_11target_archE4294967295ELNS1_3gpuE0ELNS1_3repE0EEENS1_30default_config_static_selectorELNS0_4arch9wavefront6targetE1EEEvSY_
		.amdhsa_group_segment_fixed_size 0
		.amdhsa_private_segment_fixed_size 0
		.amdhsa_kernarg_size 152
		.amdhsa_user_sgpr_count 6
		.amdhsa_user_sgpr_private_segment_buffer 1
		.amdhsa_user_sgpr_dispatch_ptr 0
		.amdhsa_user_sgpr_queue_ptr 0
		.amdhsa_user_sgpr_kernarg_segment_ptr 1
		.amdhsa_user_sgpr_dispatch_id 0
		.amdhsa_user_sgpr_flat_scratch_init 0
		.amdhsa_user_sgpr_kernarg_preload_length 0
		.amdhsa_user_sgpr_kernarg_preload_offset 0
		.amdhsa_user_sgpr_private_segment_size 0
		.amdhsa_uses_dynamic_stack 0
		.amdhsa_system_sgpr_private_segment_wavefront_offset 0
		.amdhsa_system_sgpr_workgroup_id_x 1
		.amdhsa_system_sgpr_workgroup_id_y 0
		.amdhsa_system_sgpr_workgroup_id_z 0
		.amdhsa_system_sgpr_workgroup_info 0
		.amdhsa_system_vgpr_workitem_id 0
		.amdhsa_next_free_vgpr 1
		.amdhsa_next_free_sgpr 0
		.amdhsa_accum_offset 4
		.amdhsa_reserve_vcc 0
		.amdhsa_reserve_flat_scratch 0
		.amdhsa_float_round_mode_32 0
		.amdhsa_float_round_mode_16_64 0
		.amdhsa_float_denorm_mode_32 3
		.amdhsa_float_denorm_mode_16_64 3
		.amdhsa_dx10_clamp 1
		.amdhsa_ieee_mode 1
		.amdhsa_fp16_overflow 0
		.amdhsa_tg_split 0
		.amdhsa_exception_fp_ieee_invalid_op 0
		.amdhsa_exception_fp_denorm_src 0
		.amdhsa_exception_fp_ieee_div_zero 0
		.amdhsa_exception_fp_ieee_overflow 0
		.amdhsa_exception_fp_ieee_underflow 0
		.amdhsa_exception_fp_ieee_inexact 0
		.amdhsa_exception_int_div_zero 0
	.end_amdhsa_kernel
	.section	.text._ZN7rocprim17ROCPRIM_400000_NS6detail17trampoline_kernelINS0_13select_configILj256ELj13ELNS0_17block_load_methodE3ELS4_3ELS4_3ELNS0_20block_scan_algorithmE0ELj4294967295EEENS1_25partition_config_selectorILNS1_17partition_subalgoE3EjNS0_10empty_typeEbEEZZNS1_14partition_implILS8_3ELb0ES6_jNS0_17counting_iteratorIjlEEPS9_SE_NS0_5tupleIJPjSE_EEENSF_IJSE_SE_EEES9_SG_JZNS1_25segmented_radix_sort_implINS0_14default_configELb1EPKdPdPKlPlN2at6native12_GLOBAL__N_18offset_tEEE10hipError_tPvRmT1_PNSt15iterator_traitsISY_E10value_typeET2_T3_PNSZ_IS14_E10value_typeET4_jRbjT5_S1A_jjP12ihipStream_tbEUljE_EEESV_SW_SX_S14_S18_S1A_T6_T7_T9_mT8_S1C_bDpT10_ENKUlT_T0_E_clISt17integral_constantIbLb1EES1P_EEDaS1K_S1L_EUlS1K_E_NS1_11comp_targetILNS1_3genE0ELNS1_11target_archE4294967295ELNS1_3gpuE0ELNS1_3repE0EEENS1_30default_config_static_selectorELNS0_4arch9wavefront6targetE1EEEvSY_,"axG",@progbits,_ZN7rocprim17ROCPRIM_400000_NS6detail17trampoline_kernelINS0_13select_configILj256ELj13ELNS0_17block_load_methodE3ELS4_3ELS4_3ELNS0_20block_scan_algorithmE0ELj4294967295EEENS1_25partition_config_selectorILNS1_17partition_subalgoE3EjNS0_10empty_typeEbEEZZNS1_14partition_implILS8_3ELb0ES6_jNS0_17counting_iteratorIjlEEPS9_SE_NS0_5tupleIJPjSE_EEENSF_IJSE_SE_EEES9_SG_JZNS1_25segmented_radix_sort_implINS0_14default_configELb1EPKdPdPKlPlN2at6native12_GLOBAL__N_18offset_tEEE10hipError_tPvRmT1_PNSt15iterator_traitsISY_E10value_typeET2_T3_PNSZ_IS14_E10value_typeET4_jRbjT5_S1A_jjP12ihipStream_tbEUljE_EEESV_SW_SX_S14_S18_S1A_T6_T7_T9_mT8_S1C_bDpT10_ENKUlT_T0_E_clISt17integral_constantIbLb1EES1P_EEDaS1K_S1L_EUlS1K_E_NS1_11comp_targetILNS1_3genE0ELNS1_11target_archE4294967295ELNS1_3gpuE0ELNS1_3repE0EEENS1_30default_config_static_selectorELNS0_4arch9wavefront6targetE1EEEvSY_,comdat
.Lfunc_end1092:
	.size	_ZN7rocprim17ROCPRIM_400000_NS6detail17trampoline_kernelINS0_13select_configILj256ELj13ELNS0_17block_load_methodE3ELS4_3ELS4_3ELNS0_20block_scan_algorithmE0ELj4294967295EEENS1_25partition_config_selectorILNS1_17partition_subalgoE3EjNS0_10empty_typeEbEEZZNS1_14partition_implILS8_3ELb0ES6_jNS0_17counting_iteratorIjlEEPS9_SE_NS0_5tupleIJPjSE_EEENSF_IJSE_SE_EEES9_SG_JZNS1_25segmented_radix_sort_implINS0_14default_configELb1EPKdPdPKlPlN2at6native12_GLOBAL__N_18offset_tEEE10hipError_tPvRmT1_PNSt15iterator_traitsISY_E10value_typeET2_T3_PNSZ_IS14_E10value_typeET4_jRbjT5_S1A_jjP12ihipStream_tbEUljE_EEESV_SW_SX_S14_S18_S1A_T6_T7_T9_mT8_S1C_bDpT10_ENKUlT_T0_E_clISt17integral_constantIbLb1EES1P_EEDaS1K_S1L_EUlS1K_E_NS1_11comp_targetILNS1_3genE0ELNS1_11target_archE4294967295ELNS1_3gpuE0ELNS1_3repE0EEENS1_30default_config_static_selectorELNS0_4arch9wavefront6targetE1EEEvSY_, .Lfunc_end1092-_ZN7rocprim17ROCPRIM_400000_NS6detail17trampoline_kernelINS0_13select_configILj256ELj13ELNS0_17block_load_methodE3ELS4_3ELS4_3ELNS0_20block_scan_algorithmE0ELj4294967295EEENS1_25partition_config_selectorILNS1_17partition_subalgoE3EjNS0_10empty_typeEbEEZZNS1_14partition_implILS8_3ELb0ES6_jNS0_17counting_iteratorIjlEEPS9_SE_NS0_5tupleIJPjSE_EEENSF_IJSE_SE_EEES9_SG_JZNS1_25segmented_radix_sort_implINS0_14default_configELb1EPKdPdPKlPlN2at6native12_GLOBAL__N_18offset_tEEE10hipError_tPvRmT1_PNSt15iterator_traitsISY_E10value_typeET2_T3_PNSZ_IS14_E10value_typeET4_jRbjT5_S1A_jjP12ihipStream_tbEUljE_EEESV_SW_SX_S14_S18_S1A_T6_T7_T9_mT8_S1C_bDpT10_ENKUlT_T0_E_clISt17integral_constantIbLb1EES1P_EEDaS1K_S1L_EUlS1K_E_NS1_11comp_targetILNS1_3genE0ELNS1_11target_archE4294967295ELNS1_3gpuE0ELNS1_3repE0EEENS1_30default_config_static_selectorELNS0_4arch9wavefront6targetE1EEEvSY_
                                        ; -- End function
	.section	.AMDGPU.csdata,"",@progbits
; Kernel info:
; codeLenInByte = 0
; NumSgprs: 4
; NumVgprs: 0
; NumAgprs: 0
; TotalNumVgprs: 0
; ScratchSize: 0
; MemoryBound: 0
; FloatMode: 240
; IeeeMode: 1
; LDSByteSize: 0 bytes/workgroup (compile time only)
; SGPRBlocks: 0
; VGPRBlocks: 0
; NumSGPRsForWavesPerEU: 4
; NumVGPRsForWavesPerEU: 1
; AccumOffset: 4
; Occupancy: 8
; WaveLimiterHint : 0
; COMPUTE_PGM_RSRC2:SCRATCH_EN: 0
; COMPUTE_PGM_RSRC2:USER_SGPR: 6
; COMPUTE_PGM_RSRC2:TRAP_HANDLER: 0
; COMPUTE_PGM_RSRC2:TGID_X_EN: 1
; COMPUTE_PGM_RSRC2:TGID_Y_EN: 0
; COMPUTE_PGM_RSRC2:TGID_Z_EN: 0
; COMPUTE_PGM_RSRC2:TIDIG_COMP_CNT: 0
; COMPUTE_PGM_RSRC3_GFX90A:ACCUM_OFFSET: 0
; COMPUTE_PGM_RSRC3_GFX90A:TG_SPLIT: 0
	.section	.text._ZN7rocprim17ROCPRIM_400000_NS6detail17trampoline_kernelINS0_13select_configILj256ELj13ELNS0_17block_load_methodE3ELS4_3ELS4_3ELNS0_20block_scan_algorithmE0ELj4294967295EEENS1_25partition_config_selectorILNS1_17partition_subalgoE3EjNS0_10empty_typeEbEEZZNS1_14partition_implILS8_3ELb0ES6_jNS0_17counting_iteratorIjlEEPS9_SE_NS0_5tupleIJPjSE_EEENSF_IJSE_SE_EEES9_SG_JZNS1_25segmented_radix_sort_implINS0_14default_configELb1EPKdPdPKlPlN2at6native12_GLOBAL__N_18offset_tEEE10hipError_tPvRmT1_PNSt15iterator_traitsISY_E10value_typeET2_T3_PNSZ_IS14_E10value_typeET4_jRbjT5_S1A_jjP12ihipStream_tbEUljE_EEESV_SW_SX_S14_S18_S1A_T6_T7_T9_mT8_S1C_bDpT10_ENKUlT_T0_E_clISt17integral_constantIbLb1EES1P_EEDaS1K_S1L_EUlS1K_E_NS1_11comp_targetILNS1_3genE5ELNS1_11target_archE942ELNS1_3gpuE9ELNS1_3repE0EEENS1_30default_config_static_selectorELNS0_4arch9wavefront6targetE1EEEvSY_,"axG",@progbits,_ZN7rocprim17ROCPRIM_400000_NS6detail17trampoline_kernelINS0_13select_configILj256ELj13ELNS0_17block_load_methodE3ELS4_3ELS4_3ELNS0_20block_scan_algorithmE0ELj4294967295EEENS1_25partition_config_selectorILNS1_17partition_subalgoE3EjNS0_10empty_typeEbEEZZNS1_14partition_implILS8_3ELb0ES6_jNS0_17counting_iteratorIjlEEPS9_SE_NS0_5tupleIJPjSE_EEENSF_IJSE_SE_EEES9_SG_JZNS1_25segmented_radix_sort_implINS0_14default_configELb1EPKdPdPKlPlN2at6native12_GLOBAL__N_18offset_tEEE10hipError_tPvRmT1_PNSt15iterator_traitsISY_E10value_typeET2_T3_PNSZ_IS14_E10value_typeET4_jRbjT5_S1A_jjP12ihipStream_tbEUljE_EEESV_SW_SX_S14_S18_S1A_T6_T7_T9_mT8_S1C_bDpT10_ENKUlT_T0_E_clISt17integral_constantIbLb1EES1P_EEDaS1K_S1L_EUlS1K_E_NS1_11comp_targetILNS1_3genE5ELNS1_11target_archE942ELNS1_3gpuE9ELNS1_3repE0EEENS1_30default_config_static_selectorELNS0_4arch9wavefront6targetE1EEEvSY_,comdat
	.globl	_ZN7rocprim17ROCPRIM_400000_NS6detail17trampoline_kernelINS0_13select_configILj256ELj13ELNS0_17block_load_methodE3ELS4_3ELS4_3ELNS0_20block_scan_algorithmE0ELj4294967295EEENS1_25partition_config_selectorILNS1_17partition_subalgoE3EjNS0_10empty_typeEbEEZZNS1_14partition_implILS8_3ELb0ES6_jNS0_17counting_iteratorIjlEEPS9_SE_NS0_5tupleIJPjSE_EEENSF_IJSE_SE_EEES9_SG_JZNS1_25segmented_radix_sort_implINS0_14default_configELb1EPKdPdPKlPlN2at6native12_GLOBAL__N_18offset_tEEE10hipError_tPvRmT1_PNSt15iterator_traitsISY_E10value_typeET2_T3_PNSZ_IS14_E10value_typeET4_jRbjT5_S1A_jjP12ihipStream_tbEUljE_EEESV_SW_SX_S14_S18_S1A_T6_T7_T9_mT8_S1C_bDpT10_ENKUlT_T0_E_clISt17integral_constantIbLb1EES1P_EEDaS1K_S1L_EUlS1K_E_NS1_11comp_targetILNS1_3genE5ELNS1_11target_archE942ELNS1_3gpuE9ELNS1_3repE0EEENS1_30default_config_static_selectorELNS0_4arch9wavefront6targetE1EEEvSY_ ; -- Begin function _ZN7rocprim17ROCPRIM_400000_NS6detail17trampoline_kernelINS0_13select_configILj256ELj13ELNS0_17block_load_methodE3ELS4_3ELS4_3ELNS0_20block_scan_algorithmE0ELj4294967295EEENS1_25partition_config_selectorILNS1_17partition_subalgoE3EjNS0_10empty_typeEbEEZZNS1_14partition_implILS8_3ELb0ES6_jNS0_17counting_iteratorIjlEEPS9_SE_NS0_5tupleIJPjSE_EEENSF_IJSE_SE_EEES9_SG_JZNS1_25segmented_radix_sort_implINS0_14default_configELb1EPKdPdPKlPlN2at6native12_GLOBAL__N_18offset_tEEE10hipError_tPvRmT1_PNSt15iterator_traitsISY_E10value_typeET2_T3_PNSZ_IS14_E10value_typeET4_jRbjT5_S1A_jjP12ihipStream_tbEUljE_EEESV_SW_SX_S14_S18_S1A_T6_T7_T9_mT8_S1C_bDpT10_ENKUlT_T0_E_clISt17integral_constantIbLb1EES1P_EEDaS1K_S1L_EUlS1K_E_NS1_11comp_targetILNS1_3genE5ELNS1_11target_archE942ELNS1_3gpuE9ELNS1_3repE0EEENS1_30default_config_static_selectorELNS0_4arch9wavefront6targetE1EEEvSY_
	.p2align	8
	.type	_ZN7rocprim17ROCPRIM_400000_NS6detail17trampoline_kernelINS0_13select_configILj256ELj13ELNS0_17block_load_methodE3ELS4_3ELS4_3ELNS0_20block_scan_algorithmE0ELj4294967295EEENS1_25partition_config_selectorILNS1_17partition_subalgoE3EjNS0_10empty_typeEbEEZZNS1_14partition_implILS8_3ELb0ES6_jNS0_17counting_iteratorIjlEEPS9_SE_NS0_5tupleIJPjSE_EEENSF_IJSE_SE_EEES9_SG_JZNS1_25segmented_radix_sort_implINS0_14default_configELb1EPKdPdPKlPlN2at6native12_GLOBAL__N_18offset_tEEE10hipError_tPvRmT1_PNSt15iterator_traitsISY_E10value_typeET2_T3_PNSZ_IS14_E10value_typeET4_jRbjT5_S1A_jjP12ihipStream_tbEUljE_EEESV_SW_SX_S14_S18_S1A_T6_T7_T9_mT8_S1C_bDpT10_ENKUlT_T0_E_clISt17integral_constantIbLb1EES1P_EEDaS1K_S1L_EUlS1K_E_NS1_11comp_targetILNS1_3genE5ELNS1_11target_archE942ELNS1_3gpuE9ELNS1_3repE0EEENS1_30default_config_static_selectorELNS0_4arch9wavefront6targetE1EEEvSY_,@function
_ZN7rocprim17ROCPRIM_400000_NS6detail17trampoline_kernelINS0_13select_configILj256ELj13ELNS0_17block_load_methodE3ELS4_3ELS4_3ELNS0_20block_scan_algorithmE0ELj4294967295EEENS1_25partition_config_selectorILNS1_17partition_subalgoE3EjNS0_10empty_typeEbEEZZNS1_14partition_implILS8_3ELb0ES6_jNS0_17counting_iteratorIjlEEPS9_SE_NS0_5tupleIJPjSE_EEENSF_IJSE_SE_EEES9_SG_JZNS1_25segmented_radix_sort_implINS0_14default_configELb1EPKdPdPKlPlN2at6native12_GLOBAL__N_18offset_tEEE10hipError_tPvRmT1_PNSt15iterator_traitsISY_E10value_typeET2_T3_PNSZ_IS14_E10value_typeET4_jRbjT5_S1A_jjP12ihipStream_tbEUljE_EEESV_SW_SX_S14_S18_S1A_T6_T7_T9_mT8_S1C_bDpT10_ENKUlT_T0_E_clISt17integral_constantIbLb1EES1P_EEDaS1K_S1L_EUlS1K_E_NS1_11comp_targetILNS1_3genE5ELNS1_11target_archE942ELNS1_3gpuE9ELNS1_3repE0EEENS1_30default_config_static_selectorELNS0_4arch9wavefront6targetE1EEEvSY_: ; @_ZN7rocprim17ROCPRIM_400000_NS6detail17trampoline_kernelINS0_13select_configILj256ELj13ELNS0_17block_load_methodE3ELS4_3ELS4_3ELNS0_20block_scan_algorithmE0ELj4294967295EEENS1_25partition_config_selectorILNS1_17partition_subalgoE3EjNS0_10empty_typeEbEEZZNS1_14partition_implILS8_3ELb0ES6_jNS0_17counting_iteratorIjlEEPS9_SE_NS0_5tupleIJPjSE_EEENSF_IJSE_SE_EEES9_SG_JZNS1_25segmented_radix_sort_implINS0_14default_configELb1EPKdPdPKlPlN2at6native12_GLOBAL__N_18offset_tEEE10hipError_tPvRmT1_PNSt15iterator_traitsISY_E10value_typeET2_T3_PNSZ_IS14_E10value_typeET4_jRbjT5_S1A_jjP12ihipStream_tbEUljE_EEESV_SW_SX_S14_S18_S1A_T6_T7_T9_mT8_S1C_bDpT10_ENKUlT_T0_E_clISt17integral_constantIbLb1EES1P_EEDaS1K_S1L_EUlS1K_E_NS1_11comp_targetILNS1_3genE5ELNS1_11target_archE942ELNS1_3gpuE9ELNS1_3repE0EEENS1_30default_config_static_selectorELNS0_4arch9wavefront6targetE1EEEvSY_
; %bb.0:
	.section	.rodata,"a",@progbits
	.p2align	6, 0x0
	.amdhsa_kernel _ZN7rocprim17ROCPRIM_400000_NS6detail17trampoline_kernelINS0_13select_configILj256ELj13ELNS0_17block_load_methodE3ELS4_3ELS4_3ELNS0_20block_scan_algorithmE0ELj4294967295EEENS1_25partition_config_selectorILNS1_17partition_subalgoE3EjNS0_10empty_typeEbEEZZNS1_14partition_implILS8_3ELb0ES6_jNS0_17counting_iteratorIjlEEPS9_SE_NS0_5tupleIJPjSE_EEENSF_IJSE_SE_EEES9_SG_JZNS1_25segmented_radix_sort_implINS0_14default_configELb1EPKdPdPKlPlN2at6native12_GLOBAL__N_18offset_tEEE10hipError_tPvRmT1_PNSt15iterator_traitsISY_E10value_typeET2_T3_PNSZ_IS14_E10value_typeET4_jRbjT5_S1A_jjP12ihipStream_tbEUljE_EEESV_SW_SX_S14_S18_S1A_T6_T7_T9_mT8_S1C_bDpT10_ENKUlT_T0_E_clISt17integral_constantIbLb1EES1P_EEDaS1K_S1L_EUlS1K_E_NS1_11comp_targetILNS1_3genE5ELNS1_11target_archE942ELNS1_3gpuE9ELNS1_3repE0EEENS1_30default_config_static_selectorELNS0_4arch9wavefront6targetE1EEEvSY_
		.amdhsa_group_segment_fixed_size 0
		.amdhsa_private_segment_fixed_size 0
		.amdhsa_kernarg_size 152
		.amdhsa_user_sgpr_count 6
		.amdhsa_user_sgpr_private_segment_buffer 1
		.amdhsa_user_sgpr_dispatch_ptr 0
		.amdhsa_user_sgpr_queue_ptr 0
		.amdhsa_user_sgpr_kernarg_segment_ptr 1
		.amdhsa_user_sgpr_dispatch_id 0
		.amdhsa_user_sgpr_flat_scratch_init 0
		.amdhsa_user_sgpr_kernarg_preload_length 0
		.amdhsa_user_sgpr_kernarg_preload_offset 0
		.amdhsa_user_sgpr_private_segment_size 0
		.amdhsa_uses_dynamic_stack 0
		.amdhsa_system_sgpr_private_segment_wavefront_offset 0
		.amdhsa_system_sgpr_workgroup_id_x 1
		.amdhsa_system_sgpr_workgroup_id_y 0
		.amdhsa_system_sgpr_workgroup_id_z 0
		.amdhsa_system_sgpr_workgroup_info 0
		.amdhsa_system_vgpr_workitem_id 0
		.amdhsa_next_free_vgpr 1
		.amdhsa_next_free_sgpr 0
		.amdhsa_accum_offset 4
		.amdhsa_reserve_vcc 0
		.amdhsa_reserve_flat_scratch 0
		.amdhsa_float_round_mode_32 0
		.amdhsa_float_round_mode_16_64 0
		.amdhsa_float_denorm_mode_32 3
		.amdhsa_float_denorm_mode_16_64 3
		.amdhsa_dx10_clamp 1
		.amdhsa_ieee_mode 1
		.amdhsa_fp16_overflow 0
		.amdhsa_tg_split 0
		.amdhsa_exception_fp_ieee_invalid_op 0
		.amdhsa_exception_fp_denorm_src 0
		.amdhsa_exception_fp_ieee_div_zero 0
		.amdhsa_exception_fp_ieee_overflow 0
		.amdhsa_exception_fp_ieee_underflow 0
		.amdhsa_exception_fp_ieee_inexact 0
		.amdhsa_exception_int_div_zero 0
	.end_amdhsa_kernel
	.section	.text._ZN7rocprim17ROCPRIM_400000_NS6detail17trampoline_kernelINS0_13select_configILj256ELj13ELNS0_17block_load_methodE3ELS4_3ELS4_3ELNS0_20block_scan_algorithmE0ELj4294967295EEENS1_25partition_config_selectorILNS1_17partition_subalgoE3EjNS0_10empty_typeEbEEZZNS1_14partition_implILS8_3ELb0ES6_jNS0_17counting_iteratorIjlEEPS9_SE_NS0_5tupleIJPjSE_EEENSF_IJSE_SE_EEES9_SG_JZNS1_25segmented_radix_sort_implINS0_14default_configELb1EPKdPdPKlPlN2at6native12_GLOBAL__N_18offset_tEEE10hipError_tPvRmT1_PNSt15iterator_traitsISY_E10value_typeET2_T3_PNSZ_IS14_E10value_typeET4_jRbjT5_S1A_jjP12ihipStream_tbEUljE_EEESV_SW_SX_S14_S18_S1A_T6_T7_T9_mT8_S1C_bDpT10_ENKUlT_T0_E_clISt17integral_constantIbLb1EES1P_EEDaS1K_S1L_EUlS1K_E_NS1_11comp_targetILNS1_3genE5ELNS1_11target_archE942ELNS1_3gpuE9ELNS1_3repE0EEENS1_30default_config_static_selectorELNS0_4arch9wavefront6targetE1EEEvSY_,"axG",@progbits,_ZN7rocprim17ROCPRIM_400000_NS6detail17trampoline_kernelINS0_13select_configILj256ELj13ELNS0_17block_load_methodE3ELS4_3ELS4_3ELNS0_20block_scan_algorithmE0ELj4294967295EEENS1_25partition_config_selectorILNS1_17partition_subalgoE3EjNS0_10empty_typeEbEEZZNS1_14partition_implILS8_3ELb0ES6_jNS0_17counting_iteratorIjlEEPS9_SE_NS0_5tupleIJPjSE_EEENSF_IJSE_SE_EEES9_SG_JZNS1_25segmented_radix_sort_implINS0_14default_configELb1EPKdPdPKlPlN2at6native12_GLOBAL__N_18offset_tEEE10hipError_tPvRmT1_PNSt15iterator_traitsISY_E10value_typeET2_T3_PNSZ_IS14_E10value_typeET4_jRbjT5_S1A_jjP12ihipStream_tbEUljE_EEESV_SW_SX_S14_S18_S1A_T6_T7_T9_mT8_S1C_bDpT10_ENKUlT_T0_E_clISt17integral_constantIbLb1EES1P_EEDaS1K_S1L_EUlS1K_E_NS1_11comp_targetILNS1_3genE5ELNS1_11target_archE942ELNS1_3gpuE9ELNS1_3repE0EEENS1_30default_config_static_selectorELNS0_4arch9wavefront6targetE1EEEvSY_,comdat
.Lfunc_end1093:
	.size	_ZN7rocprim17ROCPRIM_400000_NS6detail17trampoline_kernelINS0_13select_configILj256ELj13ELNS0_17block_load_methodE3ELS4_3ELS4_3ELNS0_20block_scan_algorithmE0ELj4294967295EEENS1_25partition_config_selectorILNS1_17partition_subalgoE3EjNS0_10empty_typeEbEEZZNS1_14partition_implILS8_3ELb0ES6_jNS0_17counting_iteratorIjlEEPS9_SE_NS0_5tupleIJPjSE_EEENSF_IJSE_SE_EEES9_SG_JZNS1_25segmented_radix_sort_implINS0_14default_configELb1EPKdPdPKlPlN2at6native12_GLOBAL__N_18offset_tEEE10hipError_tPvRmT1_PNSt15iterator_traitsISY_E10value_typeET2_T3_PNSZ_IS14_E10value_typeET4_jRbjT5_S1A_jjP12ihipStream_tbEUljE_EEESV_SW_SX_S14_S18_S1A_T6_T7_T9_mT8_S1C_bDpT10_ENKUlT_T0_E_clISt17integral_constantIbLb1EES1P_EEDaS1K_S1L_EUlS1K_E_NS1_11comp_targetILNS1_3genE5ELNS1_11target_archE942ELNS1_3gpuE9ELNS1_3repE0EEENS1_30default_config_static_selectorELNS0_4arch9wavefront6targetE1EEEvSY_, .Lfunc_end1093-_ZN7rocprim17ROCPRIM_400000_NS6detail17trampoline_kernelINS0_13select_configILj256ELj13ELNS0_17block_load_methodE3ELS4_3ELS4_3ELNS0_20block_scan_algorithmE0ELj4294967295EEENS1_25partition_config_selectorILNS1_17partition_subalgoE3EjNS0_10empty_typeEbEEZZNS1_14partition_implILS8_3ELb0ES6_jNS0_17counting_iteratorIjlEEPS9_SE_NS0_5tupleIJPjSE_EEENSF_IJSE_SE_EEES9_SG_JZNS1_25segmented_radix_sort_implINS0_14default_configELb1EPKdPdPKlPlN2at6native12_GLOBAL__N_18offset_tEEE10hipError_tPvRmT1_PNSt15iterator_traitsISY_E10value_typeET2_T3_PNSZ_IS14_E10value_typeET4_jRbjT5_S1A_jjP12ihipStream_tbEUljE_EEESV_SW_SX_S14_S18_S1A_T6_T7_T9_mT8_S1C_bDpT10_ENKUlT_T0_E_clISt17integral_constantIbLb1EES1P_EEDaS1K_S1L_EUlS1K_E_NS1_11comp_targetILNS1_3genE5ELNS1_11target_archE942ELNS1_3gpuE9ELNS1_3repE0EEENS1_30default_config_static_selectorELNS0_4arch9wavefront6targetE1EEEvSY_
                                        ; -- End function
	.section	.AMDGPU.csdata,"",@progbits
; Kernel info:
; codeLenInByte = 0
; NumSgprs: 4
; NumVgprs: 0
; NumAgprs: 0
; TotalNumVgprs: 0
; ScratchSize: 0
; MemoryBound: 0
; FloatMode: 240
; IeeeMode: 1
; LDSByteSize: 0 bytes/workgroup (compile time only)
; SGPRBlocks: 0
; VGPRBlocks: 0
; NumSGPRsForWavesPerEU: 4
; NumVGPRsForWavesPerEU: 1
; AccumOffset: 4
; Occupancy: 8
; WaveLimiterHint : 0
; COMPUTE_PGM_RSRC2:SCRATCH_EN: 0
; COMPUTE_PGM_RSRC2:USER_SGPR: 6
; COMPUTE_PGM_RSRC2:TRAP_HANDLER: 0
; COMPUTE_PGM_RSRC2:TGID_X_EN: 1
; COMPUTE_PGM_RSRC2:TGID_Y_EN: 0
; COMPUTE_PGM_RSRC2:TGID_Z_EN: 0
; COMPUTE_PGM_RSRC2:TIDIG_COMP_CNT: 0
; COMPUTE_PGM_RSRC3_GFX90A:ACCUM_OFFSET: 0
; COMPUTE_PGM_RSRC3_GFX90A:TG_SPLIT: 0
	.section	.text._ZN7rocprim17ROCPRIM_400000_NS6detail17trampoline_kernelINS0_13select_configILj256ELj13ELNS0_17block_load_methodE3ELS4_3ELS4_3ELNS0_20block_scan_algorithmE0ELj4294967295EEENS1_25partition_config_selectorILNS1_17partition_subalgoE3EjNS0_10empty_typeEbEEZZNS1_14partition_implILS8_3ELb0ES6_jNS0_17counting_iteratorIjlEEPS9_SE_NS0_5tupleIJPjSE_EEENSF_IJSE_SE_EEES9_SG_JZNS1_25segmented_radix_sort_implINS0_14default_configELb1EPKdPdPKlPlN2at6native12_GLOBAL__N_18offset_tEEE10hipError_tPvRmT1_PNSt15iterator_traitsISY_E10value_typeET2_T3_PNSZ_IS14_E10value_typeET4_jRbjT5_S1A_jjP12ihipStream_tbEUljE_EEESV_SW_SX_S14_S18_S1A_T6_T7_T9_mT8_S1C_bDpT10_ENKUlT_T0_E_clISt17integral_constantIbLb1EES1P_EEDaS1K_S1L_EUlS1K_E_NS1_11comp_targetILNS1_3genE4ELNS1_11target_archE910ELNS1_3gpuE8ELNS1_3repE0EEENS1_30default_config_static_selectorELNS0_4arch9wavefront6targetE1EEEvSY_,"axG",@progbits,_ZN7rocprim17ROCPRIM_400000_NS6detail17trampoline_kernelINS0_13select_configILj256ELj13ELNS0_17block_load_methodE3ELS4_3ELS4_3ELNS0_20block_scan_algorithmE0ELj4294967295EEENS1_25partition_config_selectorILNS1_17partition_subalgoE3EjNS0_10empty_typeEbEEZZNS1_14partition_implILS8_3ELb0ES6_jNS0_17counting_iteratorIjlEEPS9_SE_NS0_5tupleIJPjSE_EEENSF_IJSE_SE_EEES9_SG_JZNS1_25segmented_radix_sort_implINS0_14default_configELb1EPKdPdPKlPlN2at6native12_GLOBAL__N_18offset_tEEE10hipError_tPvRmT1_PNSt15iterator_traitsISY_E10value_typeET2_T3_PNSZ_IS14_E10value_typeET4_jRbjT5_S1A_jjP12ihipStream_tbEUljE_EEESV_SW_SX_S14_S18_S1A_T6_T7_T9_mT8_S1C_bDpT10_ENKUlT_T0_E_clISt17integral_constantIbLb1EES1P_EEDaS1K_S1L_EUlS1K_E_NS1_11comp_targetILNS1_3genE4ELNS1_11target_archE910ELNS1_3gpuE8ELNS1_3repE0EEENS1_30default_config_static_selectorELNS0_4arch9wavefront6targetE1EEEvSY_,comdat
	.globl	_ZN7rocprim17ROCPRIM_400000_NS6detail17trampoline_kernelINS0_13select_configILj256ELj13ELNS0_17block_load_methodE3ELS4_3ELS4_3ELNS0_20block_scan_algorithmE0ELj4294967295EEENS1_25partition_config_selectorILNS1_17partition_subalgoE3EjNS0_10empty_typeEbEEZZNS1_14partition_implILS8_3ELb0ES6_jNS0_17counting_iteratorIjlEEPS9_SE_NS0_5tupleIJPjSE_EEENSF_IJSE_SE_EEES9_SG_JZNS1_25segmented_radix_sort_implINS0_14default_configELb1EPKdPdPKlPlN2at6native12_GLOBAL__N_18offset_tEEE10hipError_tPvRmT1_PNSt15iterator_traitsISY_E10value_typeET2_T3_PNSZ_IS14_E10value_typeET4_jRbjT5_S1A_jjP12ihipStream_tbEUljE_EEESV_SW_SX_S14_S18_S1A_T6_T7_T9_mT8_S1C_bDpT10_ENKUlT_T0_E_clISt17integral_constantIbLb1EES1P_EEDaS1K_S1L_EUlS1K_E_NS1_11comp_targetILNS1_3genE4ELNS1_11target_archE910ELNS1_3gpuE8ELNS1_3repE0EEENS1_30default_config_static_selectorELNS0_4arch9wavefront6targetE1EEEvSY_ ; -- Begin function _ZN7rocprim17ROCPRIM_400000_NS6detail17trampoline_kernelINS0_13select_configILj256ELj13ELNS0_17block_load_methodE3ELS4_3ELS4_3ELNS0_20block_scan_algorithmE0ELj4294967295EEENS1_25partition_config_selectorILNS1_17partition_subalgoE3EjNS0_10empty_typeEbEEZZNS1_14partition_implILS8_3ELb0ES6_jNS0_17counting_iteratorIjlEEPS9_SE_NS0_5tupleIJPjSE_EEENSF_IJSE_SE_EEES9_SG_JZNS1_25segmented_radix_sort_implINS0_14default_configELb1EPKdPdPKlPlN2at6native12_GLOBAL__N_18offset_tEEE10hipError_tPvRmT1_PNSt15iterator_traitsISY_E10value_typeET2_T3_PNSZ_IS14_E10value_typeET4_jRbjT5_S1A_jjP12ihipStream_tbEUljE_EEESV_SW_SX_S14_S18_S1A_T6_T7_T9_mT8_S1C_bDpT10_ENKUlT_T0_E_clISt17integral_constantIbLb1EES1P_EEDaS1K_S1L_EUlS1K_E_NS1_11comp_targetILNS1_3genE4ELNS1_11target_archE910ELNS1_3gpuE8ELNS1_3repE0EEENS1_30default_config_static_selectorELNS0_4arch9wavefront6targetE1EEEvSY_
	.p2align	8
	.type	_ZN7rocprim17ROCPRIM_400000_NS6detail17trampoline_kernelINS0_13select_configILj256ELj13ELNS0_17block_load_methodE3ELS4_3ELS4_3ELNS0_20block_scan_algorithmE0ELj4294967295EEENS1_25partition_config_selectorILNS1_17partition_subalgoE3EjNS0_10empty_typeEbEEZZNS1_14partition_implILS8_3ELb0ES6_jNS0_17counting_iteratorIjlEEPS9_SE_NS0_5tupleIJPjSE_EEENSF_IJSE_SE_EEES9_SG_JZNS1_25segmented_radix_sort_implINS0_14default_configELb1EPKdPdPKlPlN2at6native12_GLOBAL__N_18offset_tEEE10hipError_tPvRmT1_PNSt15iterator_traitsISY_E10value_typeET2_T3_PNSZ_IS14_E10value_typeET4_jRbjT5_S1A_jjP12ihipStream_tbEUljE_EEESV_SW_SX_S14_S18_S1A_T6_T7_T9_mT8_S1C_bDpT10_ENKUlT_T0_E_clISt17integral_constantIbLb1EES1P_EEDaS1K_S1L_EUlS1K_E_NS1_11comp_targetILNS1_3genE4ELNS1_11target_archE910ELNS1_3gpuE8ELNS1_3repE0EEENS1_30default_config_static_selectorELNS0_4arch9wavefront6targetE1EEEvSY_,@function
_ZN7rocprim17ROCPRIM_400000_NS6detail17trampoline_kernelINS0_13select_configILj256ELj13ELNS0_17block_load_methodE3ELS4_3ELS4_3ELNS0_20block_scan_algorithmE0ELj4294967295EEENS1_25partition_config_selectorILNS1_17partition_subalgoE3EjNS0_10empty_typeEbEEZZNS1_14partition_implILS8_3ELb0ES6_jNS0_17counting_iteratorIjlEEPS9_SE_NS0_5tupleIJPjSE_EEENSF_IJSE_SE_EEES9_SG_JZNS1_25segmented_radix_sort_implINS0_14default_configELb1EPKdPdPKlPlN2at6native12_GLOBAL__N_18offset_tEEE10hipError_tPvRmT1_PNSt15iterator_traitsISY_E10value_typeET2_T3_PNSZ_IS14_E10value_typeET4_jRbjT5_S1A_jjP12ihipStream_tbEUljE_EEESV_SW_SX_S14_S18_S1A_T6_T7_T9_mT8_S1C_bDpT10_ENKUlT_T0_E_clISt17integral_constantIbLb1EES1P_EEDaS1K_S1L_EUlS1K_E_NS1_11comp_targetILNS1_3genE4ELNS1_11target_archE910ELNS1_3gpuE8ELNS1_3repE0EEENS1_30default_config_static_selectorELNS0_4arch9wavefront6targetE1EEEvSY_: ; @_ZN7rocprim17ROCPRIM_400000_NS6detail17trampoline_kernelINS0_13select_configILj256ELj13ELNS0_17block_load_methodE3ELS4_3ELS4_3ELNS0_20block_scan_algorithmE0ELj4294967295EEENS1_25partition_config_selectorILNS1_17partition_subalgoE3EjNS0_10empty_typeEbEEZZNS1_14partition_implILS8_3ELb0ES6_jNS0_17counting_iteratorIjlEEPS9_SE_NS0_5tupleIJPjSE_EEENSF_IJSE_SE_EEES9_SG_JZNS1_25segmented_radix_sort_implINS0_14default_configELb1EPKdPdPKlPlN2at6native12_GLOBAL__N_18offset_tEEE10hipError_tPvRmT1_PNSt15iterator_traitsISY_E10value_typeET2_T3_PNSZ_IS14_E10value_typeET4_jRbjT5_S1A_jjP12ihipStream_tbEUljE_EEESV_SW_SX_S14_S18_S1A_T6_T7_T9_mT8_S1C_bDpT10_ENKUlT_T0_E_clISt17integral_constantIbLb1EES1P_EEDaS1K_S1L_EUlS1K_E_NS1_11comp_targetILNS1_3genE4ELNS1_11target_archE910ELNS1_3gpuE8ELNS1_3repE0EEENS1_30default_config_static_selectorELNS0_4arch9wavefront6targetE1EEEvSY_
; %bb.0:
	s_load_dwordx2 s[28:29], s[4:5], 0x10
	s_load_dwordx2 s[24:25], s[4:5], 0x28
	;; [unrolled: 1-line block ×3, first 2 shown]
	s_load_dwordx4 s[20:23], s[4:5], 0x48
	s_load_dword s14, s[4:5], 0x90
	s_load_dwordx2 s[30:31], s[4:5], 0x68
	s_load_dwordx4 s[8:11], s[4:5], 0x80
	v_cmp_eq_u32_e64 s[0:1], 0, v0
	s_and_saveexec_b64 s[2:3], s[0:1]
	s_cbranch_execz .LBB1094_4
; %bb.1:
	s_mov_b64 s[12:13], exec
	v_mbcnt_lo_u32_b32 v1, s12, 0
	v_mbcnt_hi_u32_b32 v1, s13, v1
	v_cmp_eq_u32_e32 vcc, 0, v1
                                        ; implicit-def: $vgpr2
	s_and_saveexec_b64 s[6:7], vcc
	s_cbranch_execz .LBB1094_3
; %bb.2:
	s_load_dwordx2 s[16:17], s[4:5], 0x78
	s_bcnt1_i32_b64 s12, s[12:13]
	v_mov_b32_e32 v2, 0
	v_mov_b32_e32 v3, s12
	s_waitcnt lgkmcnt(0)
	global_atomic_add v2, v2, v3, s[16:17] glc
.LBB1094_3:
	s_or_b64 exec, exec, s[6:7]
	s_waitcnt vmcnt(0)
	v_readfirstlane_b32 s6, v2
	v_add_u32_e32 v1, s6, v1
	v_mov_b32_e32 v2, 0
	ds_write_b32 v2, v1
.LBB1094_4:
	s_or_b64 exec, exec, s[2:3]
	v_mov_b32_e32 v1, 0
	s_load_dword s2, s[4:5], 0x8
	s_load_dword s6, s[4:5], 0x70
	s_waitcnt lgkmcnt(0)
	s_barrier
	ds_read_b32 v2, v1
	s_waitcnt lgkmcnt(0)
	s_barrier
	global_load_dwordx2 v[20:21], v1, s[22:23]
	s_add_i32 s7, s2, s28
	s_movk_i32 s2, 0xd00
	s_add_i32 s4, s6, -1
	s_mulk_i32 s6, 0xd00
	v_mul_lo_u32 v1, v2, s2
	s_add_u32 s2, s28, s6
	v_readfirstlane_b32 s40, v2
	s_addc_u32 s3, s29, 0
	s_cmp_eq_u32 s40, s4
	v_pk_mov_b32 v[2:3], s[26:27], s[26:27] op_sel:[0,1]
	s_cselect_b64 s[22:23], -1, 0
	s_cmp_lg_u32 s40, s4
	v_cmp_lt_u64_e32 vcc, s[2:3], v[2:3]
	s_cselect_b64 s[2:3], -1, 0
	s_or_b64 s[4:5], vcc, s[2:3]
	v_add_u32_e32 v2, s7, v1
	s_mov_b64 s[2:3], -1
	s_and_b64 vcc, exec, s[4:5]
	v_add_u32_e32 v2, v2, v0
	v_lshlrev_b32_e32 v34, 2, v0
	s_cbranch_vccz .LBB1094_6
; %bb.5:
	v_add_u32_e32 v3, 0x100, v2
	v_add_u32_e32 v4, 0x200, v2
	;; [unrolled: 1-line block ×12, first 2 shown]
	ds_write2st64_b32 v34, v2, v3 offset1:4
	ds_write2st64_b32 v34, v4, v5 offset0:8 offset1:12
	ds_write2st64_b32 v34, v6, v7 offset0:16 offset1:20
	;; [unrolled: 1-line block ×5, first 2 shown]
	ds_write_b32 v34, v14 offset:12288
	s_waitcnt lgkmcnt(0)
	s_barrier
	s_mov_b64 s[2:3], 0
.LBB1094_6:
	s_andn2_b64 vcc, exec, s[2:3]
	s_add_i32 s6, s6, s28
	s_cbranch_vccnz .LBB1094_8
; %bb.7:
	v_add_u32_e32 v3, 0x100, v2
	v_add_u32_e32 v4, 0x200, v2
	;; [unrolled: 1-line block ×12, first 2 shown]
	ds_write2st64_b32 v34, v2, v3 offset1:4
	ds_write2st64_b32 v34, v4, v5 offset0:8 offset1:12
	ds_write2st64_b32 v34, v6, v7 offset0:16 offset1:20
	;; [unrolled: 1-line block ×5, first 2 shown]
	ds_write_b32 v34, v14 offset:12288
	s_waitcnt lgkmcnt(0)
	s_barrier
.LBB1094_8:
	v_mul_u32_u24_e32 v36, 13, v0
	v_lshlrev_b32_e32 v2, 2, v36
	ds_read2_b32 v[32:33], v2 offset1:1
	ds_read2_b32 v[30:31], v2 offset0:2 offset1:3
	ds_read2_b32 v[28:29], v2 offset0:4 offset1:5
	;; [unrolled: 1-line block ×5, first 2 shown]
	ds_read_b32 v35, v2 offset:48
	v_cndmask_b32_e64 v2, 0, 1, s[4:5]
	s_sub_i32 s33, s26, s6
	v_cmp_ne_u32_e64 s[2:3], 1, v2
	s_andn2_b64 vcc, exec, s[4:5]
	s_waitcnt lgkmcnt(0)
	s_barrier
	s_cbranch_vccnz .LBB1094_10
; %bb.9:
	v_add_u32_e32 v2, s9, v32
	v_add_u32_e32 v3, s11, v32
	v_mul_lo_u32 v2, v2, s8
	v_mul_lo_u32 v3, v3, s10
	v_sub_u32_e32 v2, v2, v3
	v_add_u32_e32 v3, s9, v33
	v_add_u32_e32 v4, s11, v33
	v_mul_lo_u32 v3, v3, s8
	v_mul_lo_u32 v4, v4, s10
	v_sub_u32_e32 v3, v3, v4
	;; [unrolled: 5-line block ×6, first 2 shown]
	v_add_u32_e32 v8, s9, v26
	v_add_u32_e32 v9, s11, v26
	v_mul_lo_u32 v8, v8, s8
	v_mul_lo_u32 v9, v9, s10
	v_cmp_lt_u32_e32 vcc, s14, v2
	v_sub_u32_e32 v8, v8, v9
	v_add_u32_e32 v9, s9, v27
	v_add_u32_e32 v10, s11, v27
	v_cndmask_b32_e64 v2, 0, 1, vcc
	v_cmp_lt_u32_e32 vcc, s14, v3
	v_mul_lo_u32 v9, v9, s8
	v_mul_lo_u32 v10, v10, s10
	v_cndmask_b32_e64 v3, 0, 1, vcc
	v_cmp_lt_u32_e32 vcc, s14, v4
	v_sub_u32_e32 v9, v9, v10
	v_add_u32_e32 v10, s9, v24
	v_add_u32_e32 v11, s11, v24
	v_cndmask_b32_e64 v4, 0, 1, vcc
	v_cmp_lt_u32_e32 vcc, s14, v5
	v_mul_lo_u32 v10, v10, s8
	v_mul_lo_u32 v11, v11, s10
	v_cndmask_b32_e64 v5, 0, 1, vcc
	;; [unrolled: 9-line block ×4, first 2 shown]
	v_cmp_lt_u32_e32 vcc, s14, v10
	v_sub_u32_e32 v12, v12, v13
	v_add_u32_e32 v13, s9, v23
	v_add_u32_e32 v14, s11, v23
	v_lshlrev_b16_e32 v3, 8, v3
	v_cndmask_b32_e64 v10, 0, 1, vcc
	v_cmp_lt_u32_e32 vcc, s14, v11
	v_mul_lo_u32 v13, v13, s8
	v_mul_lo_u32 v14, v14, s10
	v_or_b32_e32 v2, v2, v3
	v_lshlrev_b16_e32 v3, 8, v5
	v_cndmask_b32_e64 v11, 0, 1, vcc
	v_cmp_lt_u32_e32 vcc, s14, v12
	v_sub_u32_e32 v13, v13, v14
	v_or_b32_sdwa v3, v4, v3 dst_sel:WORD_1 dst_unused:UNUSED_PAD src0_sel:DWORD src1_sel:DWORD
	v_cndmask_b32_e64 v12, 0, 1, vcc
	v_cmp_lt_u32_e32 vcc, s14, v13
	v_add_u32_e32 v14, s9, v35
	v_add_u32_e32 v15, s11, v35
	v_or_b32_sdwa v40, v2, v3 dst_sel:DWORD dst_unused:UNUSED_PAD src0_sel:WORD_0 src1_sel:DWORD
	v_lshlrev_b16_e32 v2, 8, v7
	v_lshlrev_b16_e32 v3, 8, v9
	v_cndmask_b32_e64 v13, 0, 1, vcc
	v_mul_lo_u32 v14, v14, s8
	v_mul_lo_u32 v15, v15, s10
	v_or_b32_e32 v2, v6, v2
	v_or_b32_sdwa v3, v8, v3 dst_sel:WORD_1 dst_unused:UNUSED_PAD src0_sel:DWORD src1_sel:DWORD
	v_sub_u32_e32 v14, v14, v15
	v_or_b32_sdwa v39, v2, v3 dst_sel:DWORD dst_unused:UNUSED_PAD src0_sel:WORD_0 src1_sel:DWORD
	v_lshlrev_b16_e32 v2, 8, v11
	v_lshlrev_b16_e32 v3, 8, v13
	v_cmp_lt_u32_e32 vcc, s14, v14
	v_or_b32_e32 v2, v10, v2
	v_or_b32_sdwa v3, v12, v3 dst_sel:WORD_1 dst_unused:UNUSED_PAD src0_sel:DWORD src1_sel:DWORD
	v_cndmask_b32_e64 v37, 0, 1, vcc
	v_or_b32_sdwa v38, v2, v3 dst_sel:DWORD dst_unused:UNUSED_PAD src0_sel:WORD_0 src1_sel:DWORD
	s_addk_i32 s33, 0xd00
	s_cbranch_execz .LBB1094_11
	s_branch .LBB1094_38
.LBB1094_10:
                                        ; implicit-def: $vgpr37
                                        ; implicit-def: $vgpr38
                                        ; implicit-def: $vgpr39
                                        ; implicit-def: $vgpr40
	s_addk_i32 s33, 0xd00
.LBB1094_11:
	v_cmp_gt_u32_e32 vcc, s33, v36
	v_mov_b32_e32 v3, 0
	v_mov_b32_e32 v2, 0
	s_and_saveexec_b64 s[4:5], vcc
; %bb.12:
	v_add_u32_e32 v2, s9, v32
	v_add_u32_e32 v4, s11, v32
	v_mul_lo_u32 v2, v2, s8
	v_mul_lo_u32 v4, v4, s10
	v_sub_u32_e32 v2, v2, v4
	v_cmp_lt_u32_e32 vcc, s14, v2
	v_cndmask_b32_e64 v2, 0, 1, vcc
; %bb.13:
	s_or_b64 exec, exec, s[4:5]
	v_add_u32_e32 v4, 1, v36
	v_cmp_gt_u32_e32 vcc, s33, v4
	s_and_saveexec_b64 s[4:5], vcc
; %bb.14:
	v_add_u32_e32 v3, s9, v33
	v_add_u32_e32 v4, s11, v33
	v_mul_lo_u32 v3, v3, s8
	v_mul_lo_u32 v4, v4, s10
	v_sub_u32_e32 v3, v3, v4
	v_cmp_lt_u32_e32 vcc, s14, v3
	v_cndmask_b32_e64 v3, 0, 1, vcc
; %bb.15:
	s_or_b64 exec, exec, s[4:5]
	v_add_u32_e32 v4, 2, v36
	v_cmp_gt_u32_e32 vcc, s33, v4
	v_mov_b32_e32 v5, 0
	v_mov_b32_e32 v4, 0
	s_and_saveexec_b64 s[4:5], vcc
; %bb.16:
	v_add_u32_e32 v4, s9, v30
	v_add_u32_e32 v6, s11, v30
	v_mul_lo_u32 v4, v4, s8
	v_mul_lo_u32 v6, v6, s10
	v_sub_u32_e32 v4, v4, v6
	v_cmp_lt_u32_e32 vcc, s14, v4
	v_cndmask_b32_e64 v4, 0, 1, vcc
; %bb.17:
	s_or_b64 exec, exec, s[4:5]
	v_add_u32_e32 v6, 3, v36
	v_cmp_gt_u32_e32 vcc, s33, v6
	s_and_saveexec_b64 s[4:5], vcc
; %bb.18:
	v_add_u32_e32 v5, s9, v31
	v_add_u32_e32 v6, s11, v31
	v_mul_lo_u32 v5, v5, s8
	v_mul_lo_u32 v6, v6, s10
	v_sub_u32_e32 v5, v5, v6
	v_cmp_lt_u32_e32 vcc, s14, v5
	v_cndmask_b32_e64 v5, 0, 1, vcc
; %bb.19:
	s_or_b64 exec, exec, s[4:5]
	v_add_u32_e32 v6, 4, v36
	;; [unrolled: 28-line block ×6, first 2 shown]
	v_cmp_gt_u32_e32 vcc, s33, v14
	v_mov_b32_e32 v37, 0
	s_and_saveexec_b64 s[4:5], vcc
; %bb.36:
	v_add_u32_e32 v14, s9, v35
	v_add_u32_e32 v15, s11, v35
	v_mul_lo_u32 v14, v14, s8
	v_mul_lo_u32 v15, v15, s10
	v_sub_u32_e32 v14, v14, v15
	v_cmp_lt_u32_e32 vcc, s14, v14
	v_cndmask_b32_e64 v37, 0, 1, vcc
; %bb.37:
	s_or_b64 exec, exec, s[4:5]
	v_lshlrev_b16_e32 v3, 8, v3
	v_or_b32_e32 v2, v2, v3
	v_lshlrev_b16_e32 v3, 8, v5
	v_or_b32_sdwa v3, v4, v3 dst_sel:WORD_1 dst_unused:UNUSED_PAD src0_sel:DWORD src1_sel:DWORD
	v_or_b32_sdwa v40, v2, v3 dst_sel:DWORD dst_unused:UNUSED_PAD src0_sel:WORD_0 src1_sel:DWORD
	v_lshlrev_b16_e32 v2, 8, v7
	v_lshlrev_b16_e32 v3, 8, v9
	v_or_b32_e32 v2, v6, v2
	v_or_b32_sdwa v3, v8, v3 dst_sel:WORD_1 dst_unused:UNUSED_PAD src0_sel:DWORD src1_sel:DWORD
	v_or_b32_sdwa v39, v2, v3 dst_sel:DWORD dst_unused:UNUSED_PAD src0_sel:WORD_0 src1_sel:DWORD
	v_lshlrev_b16_e32 v2, 8, v11
	v_lshlrev_b16_e32 v3, 8, v13
	v_or_b32_e32 v2, v10, v2
	v_or_b32_sdwa v3, v12, v3 dst_sel:WORD_1 dst_unused:UNUSED_PAD src0_sel:DWORD src1_sel:DWORD
	v_or_b32_sdwa v38, v2, v3 dst_sel:DWORD dst_unused:UNUSED_PAD src0_sel:WORD_0 src1_sel:DWORD
.LBB1094_38:
	v_and_b32_e32 v44, 0xff, v40
	v_bfe_u32 v45, v40, 8, 8
	v_bfe_u32 v46, v40, 16, 8
	v_lshrrev_b32_e32 v43, 24, v40
	v_and_b32_e32 v47, 0xff, v39
	v_add3_u32 v3, v45, v44, v46
	v_bfe_u32 v48, v39, 8, 8
	v_bfe_u32 v49, v39, 16, 8
	v_add3_u32 v3, v3, v43, v47
	v_lshrrev_b32_e32 v42, 24, v39
	v_and_b32_e32 v50, 0xff, v38
	v_add3_u32 v3, v3, v48, v49
	v_bfe_u32 v51, v38, 8, 8
	v_bfe_u32 v52, v38, 16, 8
	v_add3_u32 v3, v3, v42, v50
	v_lshrrev_b32_e32 v41, 24, v38
	v_and_b32_e32 v2, 0xff, v37
	v_add3_u32 v3, v3, v51, v52
	v_add3_u32 v55, v3, v41, v2
	v_mbcnt_lo_u32_b32 v2, -1, 0
	v_mbcnt_hi_u32_b32 v53, -1, v2
	v_and_b32_e32 v2, 15, v53
	v_cmp_eq_u32_e64 s[16:17], 0, v2
	v_cmp_lt_u32_e64 s[14:15], 1, v2
	v_cmp_lt_u32_e64 s[12:13], 3, v2
	;; [unrolled: 1-line block ×3, first 2 shown]
	v_and_b32_e32 v2, 16, v53
	v_cmp_eq_u32_e64 s[8:9], 0, v2
	v_or_b32_e32 v2, 63, v0
	s_cmp_lg_u32 s40, 0
	v_cmp_lt_u32_e64 s[4:5], 31, v53
	v_lshrrev_b32_e32 v54, 6, v0
	v_cmp_eq_u32_e64 s[6:7], v2, v0
	s_cbranch_scc0 .LBB1094_69
; %bb.39:
	v_mov_b32_dpp v2, v55 row_shr:1 row_mask:0xf bank_mask:0xf
	v_cndmask_b32_e64 v2, v2, 0, s[16:17]
	v_add_u32_e32 v2, v2, v55
	s_nop 1
	v_mov_b32_dpp v3, v2 row_shr:2 row_mask:0xf bank_mask:0xf
	v_cndmask_b32_e64 v3, 0, v3, s[14:15]
	v_add_u32_e32 v2, v2, v3
	s_nop 1
	;; [unrolled: 4-line block ×4, first 2 shown]
	v_mov_b32_dpp v3, v2 row_bcast:15 row_mask:0xf bank_mask:0xf
	v_cndmask_b32_e64 v3, v3, 0, s[8:9]
	v_add_u32_e32 v2, v2, v3
	s_nop 1
	v_mov_b32_dpp v3, v2 row_bcast:31 row_mask:0xf bank_mask:0xf
	v_cndmask_b32_e64 v3, 0, v3, s[4:5]
	v_add_u32_e32 v2, v2, v3
	s_and_saveexec_b64 s[18:19], s[6:7]
	s_cbranch_execz .LBB1094_41
; %bb.40:
	v_lshlrev_b32_e32 v3, 2, v54
	ds_write_b32 v3, v2
.LBB1094_41:
	s_or_b64 exec, exec, s[18:19]
	v_cmp_gt_u32_e32 vcc, 4, v0
	s_waitcnt lgkmcnt(0)
	s_barrier
	s_and_saveexec_b64 s[18:19], vcc
	s_cbranch_execz .LBB1094_43
; %bb.42:
	ds_read_b32 v3, v34
	v_and_b32_e32 v4, 3, v53
	v_cmp_ne_u32_e32 vcc, 0, v4
	s_waitcnt lgkmcnt(0)
	v_mov_b32_dpp v5, v3 row_shr:1 row_mask:0xf bank_mask:0xf
	v_cndmask_b32_e32 v5, 0, v5, vcc
	v_add_u32_e32 v3, v5, v3
	v_cmp_lt_u32_e32 vcc, 1, v4
	s_nop 0
	v_mov_b32_dpp v5, v3 row_shr:2 row_mask:0xf bank_mask:0xf
	v_cndmask_b32_e32 v4, 0, v5, vcc
	v_add_u32_e32 v3, v3, v4
	ds_write_b32 v34, v3
.LBB1094_43:
	s_or_b64 exec, exec, s[18:19]
	v_cmp_gt_u32_e32 vcc, 64, v0
	v_cmp_lt_u32_e64 s[18:19], 63, v0
	s_waitcnt lgkmcnt(0)
	s_barrier
	s_waitcnt lgkmcnt(0)
                                        ; implicit-def: $vgpr12
	s_and_saveexec_b64 s[34:35], s[18:19]
	s_cbranch_execz .LBB1094_45
; %bb.44:
	v_lshl_add_u32 v3, v54, 2, -4
	ds_read_b32 v12, v3
	s_waitcnt lgkmcnt(0)
	v_add_u32_e32 v2, v12, v2
.LBB1094_45:
	s_or_b64 exec, exec, s[34:35]
	v_add_u32_e32 v3, -1, v53
	v_and_b32_e32 v4, 64, v53
	v_cmp_lt_i32_e64 s[18:19], v3, v4
	v_cndmask_b32_e64 v3, v3, v53, s[18:19]
	v_lshlrev_b32_e32 v3, 2, v3
	ds_bpermute_b32 v13, v3, v2
	v_cmp_eq_u32_e64 s[18:19], 0, v53
	s_and_saveexec_b64 s[34:35], vcc
	s_cbranch_execz .LBB1094_68
; %bb.46:
	v_mov_b32_e32 v11, 0
	ds_read_b32 v2, v11 offset:12
	s_and_saveexec_b64 s[36:37], s[18:19]
	s_cbranch_execz .LBB1094_48
; %bb.47:
	s_add_i32 s38, s40, 64
	s_mov_b32 s39, 0
	s_lshl_b64 s[38:39], s[38:39], 3
	s_add_u32 s38, s30, s38
	v_mov_b32_e32 v3, 1
	s_addc_u32 s39, s31, s39
	s_waitcnt lgkmcnt(0)
	global_store_dwordx2 v11, v[2:3], s[38:39]
.LBB1094_48:
	s_or_b64 exec, exec, s[36:37]
	v_xad_u32 v4, v53, -1, s40
	v_add_u32_e32 v10, 64, v4
	v_lshlrev_b64 v[6:7], 3, v[10:11]
	v_mov_b32_e32 v3, s31
	v_add_co_u32_e32 v6, vcc, s30, v6
	v_addc_co_u32_e32 v7, vcc, v3, v7, vcc
	global_load_dwordx2 v[8:9], v[6:7], off glc
	s_waitcnt vmcnt(0)
	v_cmp_eq_u16_sdwa s[38:39], v9, v11 src0_sel:BYTE_0 src1_sel:DWORD
	s_and_saveexec_b64 s[36:37], s[38:39]
	s_cbranch_execz .LBB1094_54
; %bb.49:
	s_mov_b32 s41, 1
	s_mov_b64 s[38:39], 0
	v_mov_b32_e32 v3, 0
.LBB1094_50:                            ; =>This Loop Header: Depth=1
                                        ;     Child Loop BB1094_51 Depth 2
	s_max_u32 s42, s41, 1
.LBB1094_51:                            ;   Parent Loop BB1094_50 Depth=1
                                        ; =>  This Inner Loop Header: Depth=2
	s_add_i32 s42, s42, -1
	s_cmp_eq_u32 s42, 0
	s_sleep 1
	s_cbranch_scc0 .LBB1094_51
; %bb.52:                               ;   in Loop: Header=BB1094_50 Depth=1
	global_load_dwordx2 v[8:9], v[6:7], off glc
	s_cmp_lt_u32 s41, 32
	s_cselect_b64 s[42:43], -1, 0
	s_cmp_lg_u64 s[42:43], 0
	s_addc_u32 s41, s41, 0
	s_waitcnt vmcnt(0)
	v_cmp_ne_u16_sdwa s[42:43], v9, v3 src0_sel:BYTE_0 src1_sel:DWORD
	s_or_b64 s[38:39], s[42:43], s[38:39]
	s_andn2_b64 exec, exec, s[38:39]
	s_cbranch_execnz .LBB1094_50
; %bb.53:
	s_or_b64 exec, exec, s[38:39]
.LBB1094_54:
	s_or_b64 exec, exec, s[36:37]
	v_and_b32_e32 v14, 63, v53
	v_mov_b32_e32 v3, 2
	v_cmp_ne_u32_e32 vcc, 63, v14
	v_cmp_eq_u16_sdwa s[36:37], v9, v3 src0_sel:BYTE_0 src1_sel:DWORD
	v_lshlrev_b64 v[6:7], v53, -1
	v_addc_co_u32_e32 v11, vcc, 0, v53, vcc
	v_and_b32_e32 v5, s37, v7
	v_lshlrev_b32_e32 v15, 2, v11
	v_or_b32_e32 v5, 0x80000000, v5
	ds_bpermute_b32 v11, v15, v8
	v_and_b32_e32 v10, s36, v6
	v_ffbl_b32_e32 v5, v5
	v_add_u32_e32 v5, 32, v5
	v_ffbl_b32_e32 v10, v10
	v_min_u32_e32 v5, v10, v5
	v_cmp_lt_u32_e32 vcc, v14, v5
	s_waitcnt lgkmcnt(0)
	v_cndmask_b32_e32 v10, 0, v11, vcc
	v_cmp_gt_u32_e32 vcc, 62, v14
	v_add_u32_e32 v8, v10, v8
	v_cndmask_b32_e64 v10, 0, 1, vcc
	v_lshlrev_b32_e32 v10, 1, v10
	v_add_lshl_u32 v16, v10, v53, 2
	ds_bpermute_b32 v10, v16, v8
	v_add_u32_e32 v17, 2, v14
	v_cmp_le_u32_e32 vcc, v17, v5
	v_add_u32_e32 v19, 4, v14
	v_add_u32_e32 v57, 8, v14
	s_waitcnt lgkmcnt(0)
	v_cndmask_b32_e32 v10, 0, v10, vcc
	v_cmp_gt_u32_e32 vcc, 60, v14
	v_add_u32_e32 v8, v8, v10
	v_cndmask_b32_e64 v10, 0, 1, vcc
	v_lshlrev_b32_e32 v10, 2, v10
	v_add_lshl_u32 v18, v10, v53, 2
	ds_bpermute_b32 v10, v18, v8
	v_cmp_le_u32_e32 vcc, v19, v5
	v_add_u32_e32 v60, 16, v14
	v_add_u32_e32 v62, 32, v14
	s_waitcnt lgkmcnt(0)
	v_cndmask_b32_e32 v10, 0, v10, vcc
	v_cmp_gt_u32_e32 vcc, 56, v14
	v_add_u32_e32 v8, v8, v10
	v_cndmask_b32_e64 v10, 0, 1, vcc
	v_lshlrev_b32_e32 v10, 3, v10
	v_add_lshl_u32 v56, v10, v53, 2
	ds_bpermute_b32 v10, v56, v8
	v_cmp_le_u32_e32 vcc, v57, v5
	s_waitcnt lgkmcnt(0)
	v_cndmask_b32_e32 v10, 0, v10, vcc
	v_cmp_gt_u32_e32 vcc, 48, v14
	v_add_u32_e32 v8, v8, v10
	v_cndmask_b32_e64 v10, 0, 1, vcc
	v_lshlrev_b32_e32 v10, 4, v10
	v_add_lshl_u32 v59, v10, v53, 2
	ds_bpermute_b32 v10, v59, v8
	v_cmp_le_u32_e32 vcc, v60, v5
	;; [unrolled: 9-line block ×3, first 2 shown]
	s_waitcnt lgkmcnt(0)
	v_cndmask_b32_e32 v5, 0, v10, vcc
	v_add_u32_e32 v8, v8, v5
	v_mov_b32_e32 v5, 0
	s_branch .LBB1094_56
.LBB1094_55:                            ;   in Loop: Header=BB1094_56 Depth=1
	s_or_b64 exec, exec, s[36:37]
	v_cmp_eq_u16_sdwa s[36:37], v9, v3 src0_sel:BYTE_0 src1_sel:DWORD
	v_and_b32_e32 v10, s37, v7
	v_or_b32_e32 v10, 0x80000000, v10
	ds_bpermute_b32 v63, v15, v8
	v_and_b32_e32 v11, s36, v6
	v_ffbl_b32_e32 v10, v10
	v_add_u32_e32 v10, 32, v10
	v_ffbl_b32_e32 v11, v11
	v_min_u32_e32 v10, v11, v10
	v_cmp_lt_u32_e32 vcc, v14, v10
	s_waitcnt lgkmcnt(0)
	v_cndmask_b32_e32 v11, 0, v63, vcc
	v_add_u32_e32 v8, v11, v8
	ds_bpermute_b32 v11, v16, v8
	v_cmp_le_u32_e32 vcc, v17, v10
	v_subrev_u32_e32 v4, 64, v4
	s_waitcnt lgkmcnt(0)
	v_cndmask_b32_e32 v11, 0, v11, vcc
	v_add_u32_e32 v8, v8, v11
	ds_bpermute_b32 v11, v18, v8
	v_cmp_le_u32_e32 vcc, v19, v10
	s_waitcnt lgkmcnt(0)
	v_cndmask_b32_e32 v11, 0, v11, vcc
	v_add_u32_e32 v8, v8, v11
	ds_bpermute_b32 v11, v56, v8
	v_cmp_le_u32_e32 vcc, v57, v10
	;; [unrolled: 5-line block ×4, first 2 shown]
	s_waitcnt lgkmcnt(0)
	v_cndmask_b32_e32 v10, 0, v11, vcc
	v_add3_u32 v8, v10, v58, v8
.LBB1094_56:                            ; =>This Loop Header: Depth=1
                                        ;     Child Loop BB1094_59 Depth 2
                                        ;       Child Loop BB1094_60 Depth 3
	v_cmp_ne_u16_sdwa s[36:37], v9, v3 src0_sel:BYTE_0 src1_sel:DWORD
	v_cndmask_b32_e64 v9, 0, 1, s[36:37]
	;;#ASMSTART
	;;#ASMEND
	v_cmp_ne_u32_e32 vcc, 0, v9
	s_cmp_lg_u64 vcc, exec
	v_mov_b32_e32 v58, v8
	s_cbranch_scc1 .LBB1094_63
; %bb.57:                               ;   in Loop: Header=BB1094_56 Depth=1
	v_lshlrev_b64 v[8:9], 3, v[4:5]
	v_mov_b32_e32 v11, s31
	v_add_co_u32_e32 v10, vcc, s30, v8
	v_addc_co_u32_e32 v11, vcc, v11, v9, vcc
	global_load_dwordx2 v[8:9], v[10:11], off glc
	s_waitcnt vmcnt(0)
	v_cmp_eq_u16_sdwa s[38:39], v9, v5 src0_sel:BYTE_0 src1_sel:DWORD
	s_and_saveexec_b64 s[36:37], s[38:39]
	s_cbranch_execz .LBB1094_55
; %bb.58:                               ;   in Loop: Header=BB1094_56 Depth=1
	s_mov_b32 s41, 1
	s_mov_b64 s[38:39], 0
.LBB1094_59:                            ;   Parent Loop BB1094_56 Depth=1
                                        ; =>  This Loop Header: Depth=2
                                        ;       Child Loop BB1094_60 Depth 3
	s_max_u32 s42, s41, 1
.LBB1094_60:                            ;   Parent Loop BB1094_56 Depth=1
                                        ;     Parent Loop BB1094_59 Depth=2
                                        ; =>    This Inner Loop Header: Depth=3
	s_add_i32 s42, s42, -1
	s_cmp_eq_u32 s42, 0
	s_sleep 1
	s_cbranch_scc0 .LBB1094_60
; %bb.61:                               ;   in Loop: Header=BB1094_59 Depth=2
	global_load_dwordx2 v[8:9], v[10:11], off glc
	s_cmp_lt_u32 s41, 32
	s_cselect_b64 s[42:43], -1, 0
	s_cmp_lg_u64 s[42:43], 0
	s_addc_u32 s41, s41, 0
	s_waitcnt vmcnt(0)
	v_cmp_ne_u16_sdwa s[42:43], v9, v5 src0_sel:BYTE_0 src1_sel:DWORD
	s_or_b64 s[38:39], s[42:43], s[38:39]
	s_andn2_b64 exec, exec, s[38:39]
	s_cbranch_execnz .LBB1094_59
; %bb.62:                               ;   in Loop: Header=BB1094_56 Depth=1
	s_or_b64 exec, exec, s[38:39]
	s_branch .LBB1094_55
.LBB1094_63:                            ;   in Loop: Header=BB1094_56 Depth=1
                                        ; implicit-def: $vgpr8
                                        ; implicit-def: $vgpr9
	s_cbranch_execz .LBB1094_56
; %bb.64:
	s_and_saveexec_b64 s[36:37], s[18:19]
	s_cbranch_execz .LBB1094_66
; %bb.65:
	s_add_i32 s38, s40, 64
	s_mov_b32 s39, 0
	s_lshl_b64 s[38:39], s[38:39], 3
	s_add_u32 s38, s30, s38
	v_add_u32_e32 v4, v58, v2
	v_mov_b32_e32 v5, 2
	s_addc_u32 s39, s31, s39
	v_mov_b32_e32 v3, 0
	global_store_dwordx2 v3, v[4:5], s[38:39]
	s_movk_i32 s38, 0x3400
	v_add_u32_e64 v3, s38, 0
	ds_write2_b32 v3, v2, v58 offset1:2
.LBB1094_66:
	s_or_b64 exec, exec, s[36:37]
	s_and_b64 exec, exec, s[0:1]
	s_cbranch_execz .LBB1094_68
; %bb.67:
	v_mov_b32_e32 v2, 0
	ds_write_b32 v2, v58 offset:12
.LBB1094_68:
	s_or_b64 exec, exec, s[34:35]
	v_mov_b32_e32 v2, 0
	s_waitcnt lgkmcnt(0)
	s_barrier
	ds_read_b32 v2, v2 offset:12
	v_cndmask_b32_e64 v3, v13, v12, s[18:19]
	v_cndmask_b32_e64 v3, v3, 0, s[0:1]
	s_movk_i32 s18, 0x3400
	v_add_u32_e64 v12, s18, 0
	s_waitcnt lgkmcnt(0)
	v_add_u32_e32 v2, v2, v3
	v_add_u32_e32 v3, v2, v44
	;; [unrolled: 1-line block ×9, first 2 shown]
	s_barrier
	ds_read2_b32 v[18:19], v12 offset1:2
	v_add_u32_e32 v11, v10, v50
	v_add_u32_e32 v12, v11, v51
	;; [unrolled: 1-line block ×4, first 2 shown]
	s_branch .LBB1094_79
.LBB1094_69:
                                        ; implicit-def: $vgpr19
                                        ; implicit-def: $vgpr2_vgpr3_vgpr4_vgpr5_vgpr6_vgpr7_vgpr8_vgpr9_vgpr10_vgpr11_vgpr12_vgpr13_vgpr14_vgpr15_vgpr16_vgpr17
	s_cbranch_execz .LBB1094_79
; %bb.70:
	s_nop 0
	v_mov_b32_dpp v2, v55 row_shr:1 row_mask:0xf bank_mask:0xf
	v_cndmask_b32_e64 v2, v2, 0, s[16:17]
	v_add_u32_e32 v2, v2, v55
	s_nop 1
	v_mov_b32_dpp v3, v2 row_shr:2 row_mask:0xf bank_mask:0xf
	v_cndmask_b32_e64 v3, 0, v3, s[14:15]
	v_add_u32_e32 v2, v2, v3
	;; [unrolled: 4-line block ×4, first 2 shown]
	s_nop 1
	v_mov_b32_dpp v3, v2 row_bcast:15 row_mask:0xf bank_mask:0xf
	v_cndmask_b32_e64 v3, v3, 0, s[8:9]
	v_add_u32_e32 v2, v2, v3
	s_nop 1
	v_mov_b32_dpp v3, v2 row_bcast:31 row_mask:0xf bank_mask:0xf
	v_cndmask_b32_e64 v3, 0, v3, s[4:5]
	v_add_u32_e32 v2, v2, v3
	s_and_saveexec_b64 s[4:5], s[6:7]
	s_cbranch_execz .LBB1094_72
; %bb.71:
	v_lshlrev_b32_e32 v3, 2, v54
	ds_write_b32 v3, v2
.LBB1094_72:
	s_or_b64 exec, exec, s[4:5]
	v_cmp_gt_u32_e32 vcc, 4, v0
	s_waitcnt lgkmcnt(0)
	s_barrier
	s_and_saveexec_b64 s[4:5], vcc
	s_cbranch_execz .LBB1094_74
; %bb.73:
	ds_read_b32 v3, v34
	v_and_b32_e32 v4, 3, v53
	v_cmp_ne_u32_e32 vcc, 0, v4
	s_waitcnt lgkmcnt(0)
	v_mov_b32_dpp v5, v3 row_shr:1 row_mask:0xf bank_mask:0xf
	v_cndmask_b32_e32 v5, 0, v5, vcc
	v_add_u32_e32 v3, v5, v3
	v_cmp_lt_u32_e32 vcc, 1, v4
	s_nop 0
	v_mov_b32_dpp v5, v3 row_shr:2 row_mask:0xf bank_mask:0xf
	v_cndmask_b32_e32 v4, 0, v5, vcc
	v_add_u32_e32 v3, v3, v4
	ds_write_b32 v34, v3
.LBB1094_74:
	s_or_b64 exec, exec, s[4:5]
	v_cmp_lt_u32_e32 vcc, 63, v0
	v_mov_b32_e32 v4, 0
	v_mov_b32_e32 v3, 0
	s_waitcnt lgkmcnt(0)
	s_barrier
	s_and_saveexec_b64 s[4:5], vcc
	s_cbranch_execz .LBB1094_76
; %bb.75:
	v_lshl_add_u32 v3, v54, 2, -4
	ds_read_b32 v3, v3
.LBB1094_76:
	s_or_b64 exec, exec, s[4:5]
	v_add_u32_e32 v5, -1, v53
	v_and_b32_e32 v6, 64, v53
	v_cmp_lt_i32_e32 vcc, v5, v6
	v_cndmask_b32_e32 v5, v5, v53, vcc
	s_waitcnt lgkmcnt(0)
	v_add_u32_e32 v2, v3, v2
	v_lshlrev_b32_e32 v5, 2, v5
	ds_bpermute_b32 v2, v5, v2
	ds_read_b32 v18, v4 offset:12
	s_and_saveexec_b64 s[4:5], s[0:1]
	s_cbranch_execz .LBB1094_78
; %bb.77:
	v_mov_b32_e32 v4, 0
	v_mov_b32_e32 v19, 2
	s_waitcnt lgkmcnt(0)
	global_store_dwordx2 v4, v[18:19], s[30:31] offset:512
.LBB1094_78:
	s_or_b64 exec, exec, s[4:5]
	v_cmp_eq_u32_e32 vcc, 0, v53
	s_waitcnt lgkmcnt(1)
	v_cndmask_b32_e32 v2, v2, v3, vcc
	v_cndmask_b32_e64 v2, v2, 0, s[0:1]
	v_add_u32_e32 v3, v2, v44
	v_add_u32_e32 v4, v3, v45
	;; [unrolled: 1-line block ×11, first 2 shown]
	v_mov_b32_e32 v19, 0
	v_add_u32_e32 v14, v13, v41
	s_waitcnt lgkmcnt(0)
	s_barrier
.LBB1094_79:
	s_waitcnt lgkmcnt(0)
	v_add_u32_e32 v36, v18, v36
	v_sub_u32_e32 v2, v2, v19
	v_and_b32_e32 v45, 1, v40
	v_sub_u32_e32 v44, v36, v2
	v_cmp_eq_u32_e32 vcc, 1, v45
	v_cndmask_b32_e32 v2, v44, v2, vcc
	v_lshlrev_b32_e32 v2, 2, v2
	v_lshrrev_b32_e32 v17, 8, v40
	ds_write_b32 v2, v32
	v_sub_u32_e32 v2, v3, v19
	v_sub_u32_e32 v3, v36, v2
	v_and_b32_e32 v17, 1, v17
	v_add_u32_e32 v3, 1, v3
	v_cmp_eq_u32_e32 vcc, 1, v17
	v_cndmask_b32_e32 v2, v3, v2, vcc
	v_lshlrev_b32_e32 v2, 2, v2
	ds_write_b32 v2, v33
	v_sub_u32_e32 v2, v4, v19
	v_mov_b32_e32 v4, 1
	v_sub_u32_e32 v3, v36, v2
	v_and_b32_sdwa v17, v4, v40 dst_sel:DWORD dst_unused:UNUSED_PAD src0_sel:DWORD src1_sel:WORD_1
	v_add_u32_e32 v3, 2, v3
	v_cmp_eq_u32_e32 vcc, 1, v17
	v_cndmask_b32_e32 v2, v3, v2, vcc
	v_lshlrev_b32_e32 v2, 2, v2
	ds_write_b32 v2, v30
	v_sub_u32_e32 v2, v5, v19
	v_sub_u32_e32 v3, v36, v2
	v_and_b32_e32 v5, 1, v43
	v_add_u32_e32 v3, 3, v3
	v_cmp_eq_u32_e32 vcc, 1, v5
	v_cndmask_b32_e32 v2, v3, v2, vcc
	v_lshlrev_b32_e32 v2, 2, v2
	ds_write_b32 v2, v31
	v_sub_u32_e32 v2, v6, v19
	v_sub_u32_e32 v3, v36, v2
	v_and_b32_e32 v5, 1, v39
	v_add_u32_e32 v3, 4, v3
	v_cmp_eq_u32_e32 vcc, 1, v5
	v_cndmask_b32_e32 v2, v3, v2, vcc
	v_lshlrev_b32_e32 v2, 2, v2
	v_lshrrev_b32_e32 v16, 8, v39
	ds_write_b32 v2, v28
	v_sub_u32_e32 v2, v7, v19
	v_sub_u32_e32 v3, v36, v2
	v_and_b32_e32 v5, 1, v16
	v_add_u32_e32 v3, 5, v3
	v_cmp_eq_u32_e32 vcc, 1, v5
	v_cndmask_b32_e32 v2, v3, v2, vcc
	v_lshlrev_b32_e32 v2, 2, v2
	ds_write_b32 v2, v29
	v_sub_u32_e32 v2, v8, v19
	v_sub_u32_e32 v3, v36, v2
	v_and_b32_sdwa v5, v4, v39 dst_sel:DWORD dst_unused:UNUSED_PAD src0_sel:DWORD src1_sel:WORD_1
	v_add_u32_e32 v3, 6, v3
	v_cmp_eq_u32_e32 vcc, 1, v5
	v_cndmask_b32_e32 v2, v3, v2, vcc
	v_lshlrev_b32_e32 v2, 2, v2
	ds_write_b32 v2, v26
	v_sub_u32_e32 v2, v9, v19
	v_sub_u32_e32 v3, v36, v2
	v_and_b32_e32 v5, 1, v42
	v_add_u32_e32 v3, 7, v3
	v_cmp_eq_u32_e32 vcc, 1, v5
	v_cndmask_b32_e32 v2, v3, v2, vcc
	v_lshlrev_b32_e32 v2, 2, v2
	ds_write_b32 v2, v27
	v_sub_u32_e32 v2, v10, v19
	v_sub_u32_e32 v3, v36, v2
	v_and_b32_e32 v5, 1, v38
	v_add_u32_e32 v3, 8, v3
	v_cmp_eq_u32_e32 vcc, 1, v5
	v_cndmask_b32_e32 v2, v3, v2, vcc
	v_lshlrev_b32_e32 v2, 2, v2
	v_lshrrev_b32_e32 v15, 8, v38
	ds_write_b32 v2, v24
	v_sub_u32_e32 v2, v11, v19
	v_sub_u32_e32 v3, v36, v2
	v_and_b32_e32 v5, 1, v15
	v_add_u32_e32 v3, 9, v3
	v_cmp_eq_u32_e32 vcc, 1, v5
	v_cndmask_b32_e32 v2, v3, v2, vcc
	v_lshlrev_b32_e32 v2, 2, v2
	ds_write_b32 v2, v25
	v_sub_u32_e32 v2, v12, v19
	v_sub_u32_e32 v3, v36, v2
	v_and_b32_sdwa v4, v4, v38 dst_sel:DWORD dst_unused:UNUSED_PAD src0_sel:DWORD src1_sel:WORD_1
	v_add_u32_e32 v3, 10, v3
	v_cmp_eq_u32_e32 vcc, 1, v4
	v_cndmask_b32_e32 v2, v3, v2, vcc
	v_lshlrev_b32_e32 v2, 2, v2
	ds_write_b32 v2, v22
	v_sub_u32_e32 v2, v13, v19
	v_sub_u32_e32 v3, v36, v2
	v_and_b32_e32 v4, 1, v41
	v_add_u32_e32 v3, 11, v3
	v_cmp_eq_u32_e32 vcc, 1, v4
	v_cndmask_b32_e32 v2, v3, v2, vcc
	v_lshlrev_b32_e32 v2, 2, v2
	ds_write_b32 v2, v23
	v_sub_u32_e32 v2, v14, v19
	v_sub_u32_e32 v3, v36, v2
	v_and_b32_e32 v4, 1, v37
	v_add_u32_e32 v3, 12, v3
	v_cmp_eq_u32_e32 vcc, 1, v4
	v_cndmask_b32_e32 v2, v3, v2, vcc
	s_waitcnt vmcnt(0)
	v_add_co_u32_e32 v16, vcc, v20, v19
	v_addc_co_u32_e32 v17, vcc, 0, v21, vcc
	v_mov_b32_e32 v14, s29
	v_add_co_u32_e32 v1, vcc, s28, v1
	v_addc_co_u32_e32 v14, vcc, 0, v14, vcc
	v_lshlrev_b32_e32 v2, 2, v2
	v_mov_b32_e32 v15, s27
	v_sub_co_u32_e32 v1, vcc, s26, v1
	ds_write_b32 v2, v35
	s_waitcnt lgkmcnt(0)
	s_barrier
	ds_read2st64_b32 v[12:13], v34 offset1:4
	ds_read2st64_b32 v[10:11], v34 offset0:8 offset1:12
	ds_read2st64_b32 v[8:9], v34 offset0:16 offset1:20
	;; [unrolled: 1-line block ×5, first 2 shown]
	ds_read_b32 v22, v34 offset:12288
	v_subb_co_u32_e32 v14, vcc, v15, v14, vcc
	v_add_co_u32_e32 v1, vcc, v1, v18
	v_addc_co_u32_e32 v14, vcc, 0, v14, vcc
	s_and_b64 vcc, exec, s[2:3]
	v_add_co_u32_e64 v1, s[2:3], v1, v16
	v_or_b32_e32 v35, 0x100, v0
	v_or_b32_e32 v33, 0x200, v0
	;; [unrolled: 1-line block ×12, first 2 shown]
	v_addc_co_u32_e64 v19, s[2:3], v14, v17, s[2:3]
	s_cbranch_vccnz .LBB1094_136
; %bb.80:
	v_cmp_ge_u32_e32 vcc, v0, v18
                                        ; implicit-def: $vgpr14_vgpr15
	s_and_saveexec_b64 s[2:3], vcc
	s_xor_b64 s[2:3], exec, s[2:3]
; %bb.81:
	v_not_b32_e32 v14, v0
	v_ashrrev_i32_e32 v15, 31, v14
	v_add_co_u32_e32 v14, vcc, v1, v14
	v_addc_co_u32_e32 v15, vcc, v19, v15, vcc
; %bb.82:
	s_andn2_saveexec_b64 s[2:3], s[2:3]
; %bb.83:
	v_add_co_u32_e32 v14, vcc, v16, v0
	v_addc_co_u32_e32 v15, vcc, 0, v17, vcc
; %bb.84:
	s_or_b64 exec, exec, s[2:3]
	v_lshlrev_b64 v[14:15], 2, v[14:15]
	v_mov_b32_e32 v20, s25
	v_add_co_u32_e32 v14, vcc, s24, v14
	v_addc_co_u32_e32 v15, vcc, v20, v15, vcc
	v_cmp_ge_u32_e32 vcc, v35, v18
	s_waitcnt lgkmcnt(6)
	global_store_dword v[14:15], v12, off
                                        ; implicit-def: $vgpr14_vgpr15
	s_and_saveexec_b64 s[2:3], vcc
	s_xor_b64 s[2:3], exec, s[2:3]
; %bb.85:
	v_xor_b32_e32 v14, 0xfffffeff, v0
	v_ashrrev_i32_e32 v15, 31, v14
	v_add_co_u32_e32 v14, vcc, v1, v14
	v_addc_co_u32_e32 v15, vcc, v19, v15, vcc
; %bb.86:
	s_andn2_saveexec_b64 s[2:3], s[2:3]
; %bb.87:
	v_add_co_u32_e32 v14, vcc, v16, v35
	v_addc_co_u32_e32 v15, vcc, 0, v17, vcc
; %bb.88:
	s_or_b64 exec, exec, s[2:3]
	v_lshlrev_b64 v[14:15], 2, v[14:15]
	v_mov_b32_e32 v20, s25
	v_add_co_u32_e32 v14, vcc, s24, v14
	v_addc_co_u32_e32 v15, vcc, v20, v15, vcc
	v_cmp_ge_u32_e32 vcc, v33, v18
	global_store_dword v[14:15], v13, off
                                        ; implicit-def: $vgpr14_vgpr15
	s_and_saveexec_b64 s[2:3], vcc
	s_xor_b64 s[2:3], exec, s[2:3]
; %bb.89:
	v_xor_b32_e32 v14, 0xfffffdff, v0
	v_ashrrev_i32_e32 v15, 31, v14
	v_add_co_u32_e32 v14, vcc, v1, v14
	v_addc_co_u32_e32 v15, vcc, v19, v15, vcc
; %bb.90:
	s_andn2_saveexec_b64 s[2:3], s[2:3]
; %bb.91:
	v_add_co_u32_e32 v14, vcc, v16, v33
	v_addc_co_u32_e32 v15, vcc, 0, v17, vcc
; %bb.92:
	s_or_b64 exec, exec, s[2:3]
	v_lshlrev_b64 v[14:15], 2, v[14:15]
	v_mov_b32_e32 v20, s25
	v_add_co_u32_e32 v14, vcc, s24, v14
	v_addc_co_u32_e32 v15, vcc, v20, v15, vcc
	v_cmp_ge_u32_e32 vcc, v32, v18
	s_waitcnt lgkmcnt(5)
	global_store_dword v[14:15], v10, off
                                        ; implicit-def: $vgpr14_vgpr15
	s_and_saveexec_b64 s[2:3], vcc
	s_xor_b64 s[2:3], exec, s[2:3]
; %bb.93:
	v_xor_b32_e32 v14, 0xfffffcff, v0
	v_ashrrev_i32_e32 v15, 31, v14
	v_add_co_u32_e32 v14, vcc, v1, v14
	v_addc_co_u32_e32 v15, vcc, v19, v15, vcc
; %bb.94:
	s_andn2_saveexec_b64 s[2:3], s[2:3]
; %bb.95:
	v_add_co_u32_e32 v14, vcc, v16, v32
	v_addc_co_u32_e32 v15, vcc, 0, v17, vcc
; %bb.96:
	s_or_b64 exec, exec, s[2:3]
	v_lshlrev_b64 v[14:15], 2, v[14:15]
	v_mov_b32_e32 v20, s25
	v_add_co_u32_e32 v14, vcc, s24, v14
	v_addc_co_u32_e32 v15, vcc, v20, v15, vcc
	v_cmp_ge_u32_e32 vcc, v31, v18
	global_store_dword v[14:15], v11, off
                                        ; implicit-def: $vgpr14_vgpr15
	s_and_saveexec_b64 s[2:3], vcc
	s_xor_b64 s[2:3], exec, s[2:3]
; %bb.97:
	v_xor_b32_e32 v14, 0xfffffbff, v0
	v_ashrrev_i32_e32 v15, 31, v14
	v_add_co_u32_e32 v14, vcc, v1, v14
	v_addc_co_u32_e32 v15, vcc, v19, v15, vcc
; %bb.98:
	s_andn2_saveexec_b64 s[2:3], s[2:3]
; %bb.99:
	v_add_co_u32_e32 v14, vcc, v16, v31
	v_addc_co_u32_e32 v15, vcc, 0, v17, vcc
; %bb.100:
	s_or_b64 exec, exec, s[2:3]
	v_lshlrev_b64 v[14:15], 2, v[14:15]
	v_mov_b32_e32 v20, s25
	v_add_co_u32_e32 v14, vcc, s24, v14
	v_addc_co_u32_e32 v15, vcc, v20, v15, vcc
	v_cmp_ge_u32_e32 vcc, v30, v18
	s_waitcnt lgkmcnt(4)
	global_store_dword v[14:15], v8, off
                                        ; implicit-def: $vgpr14_vgpr15
	s_and_saveexec_b64 s[2:3], vcc
	s_xor_b64 s[2:3], exec, s[2:3]
; %bb.101:
	v_xor_b32_e32 v14, 0xfffffaff, v0
	v_ashrrev_i32_e32 v15, 31, v14
	v_add_co_u32_e32 v14, vcc, v1, v14
	v_addc_co_u32_e32 v15, vcc, v19, v15, vcc
; %bb.102:
	s_andn2_saveexec_b64 s[2:3], s[2:3]
; %bb.103:
	v_add_co_u32_e32 v14, vcc, v16, v30
	v_addc_co_u32_e32 v15, vcc, 0, v17, vcc
; %bb.104:
	s_or_b64 exec, exec, s[2:3]
	v_lshlrev_b64 v[14:15], 2, v[14:15]
	v_mov_b32_e32 v20, s25
	v_add_co_u32_e32 v14, vcc, s24, v14
	v_addc_co_u32_e32 v15, vcc, v20, v15, vcc
	v_cmp_ge_u32_e32 vcc, v29, v18
	global_store_dword v[14:15], v9, off
                                        ; implicit-def: $vgpr14_vgpr15
	s_and_saveexec_b64 s[2:3], vcc
	s_xor_b64 s[2:3], exec, s[2:3]
; %bb.105:
	v_xor_b32_e32 v14, 0xfffff9ff, v0
	v_ashrrev_i32_e32 v15, 31, v14
	v_add_co_u32_e32 v14, vcc, v1, v14
	v_addc_co_u32_e32 v15, vcc, v19, v15, vcc
; %bb.106:
	s_andn2_saveexec_b64 s[2:3], s[2:3]
; %bb.107:
	v_add_co_u32_e32 v14, vcc, v16, v29
	v_addc_co_u32_e32 v15, vcc, 0, v17, vcc
; %bb.108:
	s_or_b64 exec, exec, s[2:3]
	v_lshlrev_b64 v[14:15], 2, v[14:15]
	v_mov_b32_e32 v20, s25
	v_add_co_u32_e32 v14, vcc, s24, v14
	v_addc_co_u32_e32 v15, vcc, v20, v15, vcc
	v_cmp_ge_u32_e32 vcc, v28, v18
	s_waitcnt lgkmcnt(3)
	global_store_dword v[14:15], v6, off
                                        ; implicit-def: $vgpr14_vgpr15
	s_and_saveexec_b64 s[2:3], vcc
	s_xor_b64 s[2:3], exec, s[2:3]
; %bb.109:
	v_xor_b32_e32 v14, 0xfffff8ff, v0
	v_ashrrev_i32_e32 v15, 31, v14
	v_add_co_u32_e32 v14, vcc, v1, v14
	v_addc_co_u32_e32 v15, vcc, v19, v15, vcc
; %bb.110:
	s_andn2_saveexec_b64 s[2:3], s[2:3]
; %bb.111:
	v_add_co_u32_e32 v14, vcc, v16, v28
	v_addc_co_u32_e32 v15, vcc, 0, v17, vcc
; %bb.112:
	s_or_b64 exec, exec, s[2:3]
	v_lshlrev_b64 v[14:15], 2, v[14:15]
	v_mov_b32_e32 v20, s25
	v_add_co_u32_e32 v14, vcc, s24, v14
	v_addc_co_u32_e32 v15, vcc, v20, v15, vcc
	v_cmp_ge_u32_e32 vcc, v27, v18
	global_store_dword v[14:15], v7, off
                                        ; implicit-def: $vgpr14_vgpr15
	s_and_saveexec_b64 s[2:3], vcc
	s_xor_b64 s[2:3], exec, s[2:3]
; %bb.113:
	v_xor_b32_e32 v14, 0xfffff7ff, v0
	v_ashrrev_i32_e32 v15, 31, v14
	v_add_co_u32_e32 v14, vcc, v1, v14
	v_addc_co_u32_e32 v15, vcc, v19, v15, vcc
; %bb.114:
	s_andn2_saveexec_b64 s[2:3], s[2:3]
; %bb.115:
	v_add_co_u32_e32 v14, vcc, v16, v27
	v_addc_co_u32_e32 v15, vcc, 0, v17, vcc
; %bb.116:
	s_or_b64 exec, exec, s[2:3]
	v_lshlrev_b64 v[14:15], 2, v[14:15]
	v_mov_b32_e32 v20, s25
	v_add_co_u32_e32 v14, vcc, s24, v14
	v_addc_co_u32_e32 v15, vcc, v20, v15, vcc
	v_cmp_ge_u32_e32 vcc, v26, v18
	s_waitcnt lgkmcnt(2)
	global_store_dword v[14:15], v4, off
                                        ; implicit-def: $vgpr14_vgpr15
	s_and_saveexec_b64 s[2:3], vcc
	s_xor_b64 s[2:3], exec, s[2:3]
; %bb.117:
	v_xor_b32_e32 v14, 0xfffff6ff, v0
	v_ashrrev_i32_e32 v15, 31, v14
	v_add_co_u32_e32 v14, vcc, v1, v14
	v_addc_co_u32_e32 v15, vcc, v19, v15, vcc
; %bb.118:
	s_andn2_saveexec_b64 s[2:3], s[2:3]
; %bb.119:
	v_add_co_u32_e32 v14, vcc, v16, v26
	v_addc_co_u32_e32 v15, vcc, 0, v17, vcc
; %bb.120:
	s_or_b64 exec, exec, s[2:3]
	v_lshlrev_b64 v[14:15], 2, v[14:15]
	v_mov_b32_e32 v20, s25
	v_add_co_u32_e32 v14, vcc, s24, v14
	v_addc_co_u32_e32 v15, vcc, v20, v15, vcc
	v_cmp_ge_u32_e32 vcc, v25, v18
	global_store_dword v[14:15], v5, off
                                        ; implicit-def: $vgpr14_vgpr15
	s_and_saveexec_b64 s[2:3], vcc
	s_xor_b64 s[2:3], exec, s[2:3]
; %bb.121:
	v_xor_b32_e32 v14, 0xfffff5ff, v0
	v_ashrrev_i32_e32 v15, 31, v14
	v_add_co_u32_e32 v14, vcc, v1, v14
	v_addc_co_u32_e32 v15, vcc, v19, v15, vcc
; %bb.122:
	s_andn2_saveexec_b64 s[2:3], s[2:3]
; %bb.123:
	v_add_co_u32_e32 v14, vcc, v16, v25
	v_addc_co_u32_e32 v15, vcc, 0, v17, vcc
; %bb.124:
	s_or_b64 exec, exec, s[2:3]
	v_lshlrev_b64 v[14:15], 2, v[14:15]
	v_mov_b32_e32 v20, s25
	v_add_co_u32_e32 v14, vcc, s24, v14
	v_addc_co_u32_e32 v15, vcc, v20, v15, vcc
	v_cmp_ge_u32_e32 vcc, v24, v18
	s_waitcnt lgkmcnt(1)
	global_store_dword v[14:15], v2, off
                                        ; implicit-def: $vgpr14_vgpr15
	s_and_saveexec_b64 s[2:3], vcc
	s_xor_b64 s[2:3], exec, s[2:3]
; %bb.125:
	v_xor_b32_e32 v14, 0xfffff4ff, v0
	v_ashrrev_i32_e32 v15, 31, v14
	v_add_co_u32_e32 v14, vcc, v1, v14
	v_addc_co_u32_e32 v15, vcc, v19, v15, vcc
; %bb.126:
	s_andn2_saveexec_b64 s[2:3], s[2:3]
; %bb.127:
	v_add_co_u32_e32 v14, vcc, v16, v24
	v_addc_co_u32_e32 v15, vcc, 0, v17, vcc
; %bb.128:
	s_or_b64 exec, exec, s[2:3]
	v_lshlrev_b64 v[14:15], 2, v[14:15]
	v_mov_b32_e32 v20, s25
	v_add_co_u32_e32 v14, vcc, s24, v14
	v_addc_co_u32_e32 v15, vcc, v20, v15, vcc
	v_cmp_ge_u32_e32 vcc, v23, v18
	global_store_dword v[14:15], v3, off
                                        ; implicit-def: $vgpr14_vgpr15
	s_and_saveexec_b64 s[2:3], vcc
	s_xor_b64 s[2:3], exec, s[2:3]
; %bb.129:
	v_xor_b32_e32 v14, 0xfffff3ff, v0
	v_ashrrev_i32_e32 v15, 31, v14
	v_add_co_u32_e32 v14, vcc, v1, v14
	v_addc_co_u32_e32 v15, vcc, v19, v15, vcc
; %bb.130:
	s_andn2_saveexec_b64 s[2:3], s[2:3]
; %bb.131:
	v_add_co_u32_e32 v14, vcc, v16, v23
	v_addc_co_u32_e32 v15, vcc, 0, v17, vcc
; %bb.132:
	s_or_b64 exec, exec, s[2:3]
	s_mov_b64 s[2:3], -1
.LBB1094_133:
	s_and_saveexec_b64 s[4:5], s[2:3]
	s_cbranch_execz .LBB1094_216
.LBB1094_134:
	v_lshlrev_b64 v[0:1], 2, v[14:15]
	s_waitcnt lgkmcnt(1)
	v_mov_b32_e32 v2, s25
	v_add_co_u32_e32 v0, vcc, s24, v0
	v_addc_co_u32_e32 v1, vcc, v2, v1, vcc
	s_waitcnt lgkmcnt(0)
	global_store_dword v[0:1], v22, off
	s_or_b64 exec, exec, s[4:5]
	s_and_b64 s[0:1], s[0:1], s[22:23]
	s_and_saveexec_b64 s[2:3], s[0:1]
	s_cbranch_execnz .LBB1094_217
.LBB1094_135:
	s_endpgm
.LBB1094_136:
	s_mov_b64 s[2:3], 0
                                        ; implicit-def: $vgpr14_vgpr15
	s_cbranch_execz .LBB1094_133
; %bb.137:
	v_cmp_gt_u32_e32 vcc, s33, v0
	s_and_saveexec_b64 s[4:5], vcc
	s_cbranch_execz .LBB1094_173
; %bb.138:
	v_cmp_ge_u32_e32 vcc, v0, v18
                                        ; implicit-def: $vgpr14_vgpr15
	s_and_saveexec_b64 s[6:7], vcc
	s_xor_b64 s[6:7], exec, s[6:7]
; %bb.139:
	v_not_b32_e32 v14, v0
	v_ashrrev_i32_e32 v15, 31, v14
	v_add_co_u32_e32 v14, vcc, v1, v14
	v_addc_co_u32_e32 v15, vcc, v19, v15, vcc
; %bb.140:
	s_andn2_saveexec_b64 s[6:7], s[6:7]
; %bb.141:
	v_add_co_u32_e32 v14, vcc, v16, v0
	v_addc_co_u32_e32 v15, vcc, 0, v17, vcc
; %bb.142:
	s_or_b64 exec, exec, s[6:7]
	v_lshlrev_b64 v[14:15], 2, v[14:15]
	v_mov_b32_e32 v20, s25
	v_add_co_u32_e32 v14, vcc, s24, v14
	v_addc_co_u32_e32 v15, vcc, v20, v15, vcc
	s_waitcnt lgkmcnt(6)
	global_store_dword v[14:15], v12, off
	s_or_b64 exec, exec, s[4:5]
	v_cmp_gt_u32_e32 vcc, s33, v35
	s_and_saveexec_b64 s[4:5], vcc
	s_cbranch_execnz .LBB1094_174
.LBB1094_143:
	s_or_b64 exec, exec, s[4:5]
	v_cmp_gt_u32_e32 vcc, s33, v33
	s_and_saveexec_b64 s[4:5], vcc
	s_cbranch_execz .LBB1094_179
.LBB1094_144:
	v_cmp_ge_u32_e32 vcc, v33, v18
                                        ; implicit-def: $vgpr12_vgpr13
	s_and_saveexec_b64 s[6:7], vcc
	s_xor_b64 s[6:7], exec, s[6:7]
	s_cbranch_execz .LBB1094_146
; %bb.145:
	s_waitcnt lgkmcnt(6)
	v_xor_b32_e32 v12, 0xfffffdff, v0
	v_ashrrev_i32_e32 v13, 31, v12
	v_add_co_u32_e32 v12, vcc, v1, v12
	v_addc_co_u32_e32 v13, vcc, v19, v13, vcc
                                        ; implicit-def: $vgpr33
.LBB1094_146:
	s_andn2_saveexec_b64 s[6:7], s[6:7]
	s_cbranch_execz .LBB1094_148
; %bb.147:
	s_waitcnt lgkmcnt(6)
	v_add_co_u32_e32 v12, vcc, v16, v33
	v_addc_co_u32_e32 v13, vcc, 0, v17, vcc
.LBB1094_148:
	s_or_b64 exec, exec, s[6:7]
	s_waitcnt lgkmcnt(6)
	v_lshlrev_b64 v[12:13], 2, v[12:13]
	v_mov_b32_e32 v14, s25
	v_add_co_u32_e32 v12, vcc, s24, v12
	v_addc_co_u32_e32 v13, vcc, v14, v13, vcc
	s_waitcnt lgkmcnt(5)
	global_store_dword v[12:13], v10, off
	s_or_b64 exec, exec, s[4:5]
	v_cmp_gt_u32_e32 vcc, s33, v32
	s_and_saveexec_b64 s[4:5], vcc
	s_cbranch_execnz .LBB1094_180
.LBB1094_149:
	s_or_b64 exec, exec, s[4:5]
	v_cmp_gt_u32_e32 vcc, s33, v31
	s_and_saveexec_b64 s[4:5], vcc
	s_cbranch_execz .LBB1094_185
.LBB1094_150:
	v_cmp_ge_u32_e32 vcc, v31, v18
                                        ; implicit-def: $vgpr10_vgpr11
	s_and_saveexec_b64 s[6:7], vcc
	s_xor_b64 s[6:7], exec, s[6:7]
	s_cbranch_execz .LBB1094_152
; %bb.151:
	s_waitcnt lgkmcnt(5)
	v_xor_b32_e32 v10, 0xfffffbff, v0
	v_ashrrev_i32_e32 v11, 31, v10
	v_add_co_u32_e32 v10, vcc, v1, v10
	v_addc_co_u32_e32 v11, vcc, v19, v11, vcc
                                        ; implicit-def: $vgpr31
.LBB1094_152:
	s_andn2_saveexec_b64 s[6:7], s[6:7]
	s_cbranch_execz .LBB1094_154
; %bb.153:
	s_waitcnt lgkmcnt(5)
	v_add_co_u32_e32 v10, vcc, v16, v31
	v_addc_co_u32_e32 v11, vcc, 0, v17, vcc
.LBB1094_154:
	s_or_b64 exec, exec, s[6:7]
	s_waitcnt lgkmcnt(5)
	v_lshlrev_b64 v[10:11], 2, v[10:11]
	v_mov_b32_e32 v12, s25
	v_add_co_u32_e32 v10, vcc, s24, v10
	v_addc_co_u32_e32 v11, vcc, v12, v11, vcc
	s_waitcnt lgkmcnt(4)
	global_store_dword v[10:11], v8, off
	s_or_b64 exec, exec, s[4:5]
	v_cmp_gt_u32_e32 vcc, s33, v30
	s_and_saveexec_b64 s[4:5], vcc
	s_cbranch_execnz .LBB1094_186
.LBB1094_155:
	s_or_b64 exec, exec, s[4:5]
	v_cmp_gt_u32_e32 vcc, s33, v29
	s_and_saveexec_b64 s[4:5], vcc
	s_cbranch_execz .LBB1094_191
.LBB1094_156:
	v_cmp_ge_u32_e32 vcc, v29, v18
                                        ; implicit-def: $vgpr8_vgpr9
	s_and_saveexec_b64 s[6:7], vcc
	s_xor_b64 s[6:7], exec, s[6:7]
	s_cbranch_execz .LBB1094_158
; %bb.157:
	s_waitcnt lgkmcnt(4)
	v_xor_b32_e32 v8, 0xfffff9ff, v0
	v_ashrrev_i32_e32 v9, 31, v8
	v_add_co_u32_e32 v8, vcc, v1, v8
	v_addc_co_u32_e32 v9, vcc, v19, v9, vcc
                                        ; implicit-def: $vgpr29
.LBB1094_158:
	s_andn2_saveexec_b64 s[6:7], s[6:7]
	s_cbranch_execz .LBB1094_160
; %bb.159:
	s_waitcnt lgkmcnt(4)
	v_add_co_u32_e32 v8, vcc, v16, v29
	v_addc_co_u32_e32 v9, vcc, 0, v17, vcc
.LBB1094_160:
	s_or_b64 exec, exec, s[6:7]
	s_waitcnt lgkmcnt(4)
	v_lshlrev_b64 v[8:9], 2, v[8:9]
	v_mov_b32_e32 v10, s25
	v_add_co_u32_e32 v8, vcc, s24, v8
	v_addc_co_u32_e32 v9, vcc, v10, v9, vcc
	s_waitcnt lgkmcnt(3)
	global_store_dword v[8:9], v6, off
	s_or_b64 exec, exec, s[4:5]
	v_cmp_gt_u32_e32 vcc, s33, v28
	s_and_saveexec_b64 s[4:5], vcc
	s_cbranch_execnz .LBB1094_192
.LBB1094_161:
	s_or_b64 exec, exec, s[4:5]
	v_cmp_gt_u32_e32 vcc, s33, v27
	s_and_saveexec_b64 s[4:5], vcc
	s_cbranch_execz .LBB1094_197
.LBB1094_162:
	v_cmp_ge_u32_e32 vcc, v27, v18
                                        ; implicit-def: $vgpr6_vgpr7
	s_and_saveexec_b64 s[6:7], vcc
	s_xor_b64 s[6:7], exec, s[6:7]
	s_cbranch_execz .LBB1094_164
; %bb.163:
	s_waitcnt lgkmcnt(3)
	v_xor_b32_e32 v6, 0xfffff7ff, v0
	v_ashrrev_i32_e32 v7, 31, v6
	v_add_co_u32_e32 v6, vcc, v1, v6
	v_addc_co_u32_e32 v7, vcc, v19, v7, vcc
                                        ; implicit-def: $vgpr27
.LBB1094_164:
	s_andn2_saveexec_b64 s[6:7], s[6:7]
	s_cbranch_execz .LBB1094_166
; %bb.165:
	s_waitcnt lgkmcnt(3)
	v_add_co_u32_e32 v6, vcc, v16, v27
	v_addc_co_u32_e32 v7, vcc, 0, v17, vcc
.LBB1094_166:
	s_or_b64 exec, exec, s[6:7]
	s_waitcnt lgkmcnt(3)
	v_lshlrev_b64 v[6:7], 2, v[6:7]
	v_mov_b32_e32 v8, s25
	v_add_co_u32_e32 v6, vcc, s24, v6
	v_addc_co_u32_e32 v7, vcc, v8, v7, vcc
	s_waitcnt lgkmcnt(2)
	global_store_dword v[6:7], v4, off
	s_or_b64 exec, exec, s[4:5]
	v_cmp_gt_u32_e32 vcc, s33, v26
	s_and_saveexec_b64 s[4:5], vcc
	s_cbranch_execnz .LBB1094_198
.LBB1094_167:
	s_or_b64 exec, exec, s[4:5]
	v_cmp_gt_u32_e32 vcc, s33, v25
	s_and_saveexec_b64 s[4:5], vcc
	s_cbranch_execz .LBB1094_203
.LBB1094_168:
	v_cmp_ge_u32_e32 vcc, v25, v18
                                        ; implicit-def: $vgpr4_vgpr5
	s_and_saveexec_b64 s[6:7], vcc
	s_xor_b64 s[6:7], exec, s[6:7]
	s_cbranch_execz .LBB1094_170
; %bb.169:
	s_waitcnt lgkmcnt(2)
	v_xor_b32_e32 v4, 0xfffff5ff, v0
	v_ashrrev_i32_e32 v5, 31, v4
	v_add_co_u32_e32 v4, vcc, v1, v4
	v_addc_co_u32_e32 v5, vcc, v19, v5, vcc
                                        ; implicit-def: $vgpr25
.LBB1094_170:
	s_andn2_saveexec_b64 s[6:7], s[6:7]
	s_cbranch_execz .LBB1094_172
; %bb.171:
	s_waitcnt lgkmcnt(2)
	v_add_co_u32_e32 v4, vcc, v16, v25
	v_addc_co_u32_e32 v5, vcc, 0, v17, vcc
.LBB1094_172:
	s_or_b64 exec, exec, s[6:7]
	s_waitcnt lgkmcnt(2)
	v_lshlrev_b64 v[4:5], 2, v[4:5]
	v_mov_b32_e32 v6, s25
	v_add_co_u32_e32 v4, vcc, s24, v4
	v_addc_co_u32_e32 v5, vcc, v6, v5, vcc
	s_waitcnt lgkmcnt(1)
	global_store_dword v[4:5], v2, off
	s_or_b64 exec, exec, s[4:5]
	v_cmp_gt_u32_e32 vcc, s33, v24
	s_and_saveexec_b64 s[4:5], vcc
	s_cbranch_execz .LBB1094_209
	s_branch .LBB1094_204
.LBB1094_173:
	s_or_b64 exec, exec, s[4:5]
	v_cmp_gt_u32_e32 vcc, s33, v35
	s_and_saveexec_b64 s[4:5], vcc
	s_cbranch_execz .LBB1094_143
.LBB1094_174:
	v_cmp_ge_u32_e32 vcc, v35, v18
                                        ; implicit-def: $vgpr14_vgpr15
	s_and_saveexec_b64 s[6:7], vcc
	s_xor_b64 s[6:7], exec, s[6:7]
	s_cbranch_execz .LBB1094_176
; %bb.175:
	s_waitcnt lgkmcnt(6)
	v_xor_b32_e32 v12, 0xfffffeff, v0
	v_ashrrev_i32_e32 v15, 31, v12
	v_add_co_u32_e32 v14, vcc, v1, v12
	v_addc_co_u32_e32 v15, vcc, v19, v15, vcc
                                        ; implicit-def: $vgpr35
.LBB1094_176:
	s_andn2_saveexec_b64 s[6:7], s[6:7]
; %bb.177:
	v_add_co_u32_e32 v14, vcc, v16, v35
	v_addc_co_u32_e32 v15, vcc, 0, v17, vcc
; %bb.178:
	s_or_b64 exec, exec, s[6:7]
	v_lshlrev_b64 v[14:15], 2, v[14:15]
	s_waitcnt lgkmcnt(6)
	v_mov_b32_e32 v12, s25
	v_add_co_u32_e32 v14, vcc, s24, v14
	v_addc_co_u32_e32 v15, vcc, v12, v15, vcc
	global_store_dword v[14:15], v13, off
	s_or_b64 exec, exec, s[4:5]
	v_cmp_gt_u32_e32 vcc, s33, v33
	s_and_saveexec_b64 s[4:5], vcc
	s_cbranch_execnz .LBB1094_144
.LBB1094_179:
	s_or_b64 exec, exec, s[4:5]
	v_cmp_gt_u32_e32 vcc, s33, v32
	s_and_saveexec_b64 s[4:5], vcc
	s_cbranch_execz .LBB1094_149
.LBB1094_180:
	v_cmp_ge_u32_e32 vcc, v32, v18
                                        ; implicit-def: $vgpr12_vgpr13
	s_and_saveexec_b64 s[6:7], vcc
	s_xor_b64 s[6:7], exec, s[6:7]
	s_cbranch_execz .LBB1094_182
; %bb.181:
	s_waitcnt lgkmcnt(5)
	v_xor_b32_e32 v10, 0xfffffcff, v0
	v_ashrrev_i32_e32 v13, 31, v10
	v_add_co_u32_e32 v12, vcc, v1, v10
	v_addc_co_u32_e32 v13, vcc, v19, v13, vcc
                                        ; implicit-def: $vgpr32
.LBB1094_182:
	s_andn2_saveexec_b64 s[6:7], s[6:7]
	s_cbranch_execz .LBB1094_184
; %bb.183:
	s_waitcnt lgkmcnt(6)
	v_add_co_u32_e32 v12, vcc, v16, v32
	v_addc_co_u32_e32 v13, vcc, 0, v17, vcc
.LBB1094_184:
	s_or_b64 exec, exec, s[6:7]
	s_waitcnt lgkmcnt(6)
	v_lshlrev_b64 v[12:13], 2, v[12:13]
	s_waitcnt lgkmcnt(5)
	v_mov_b32_e32 v10, s25
	v_add_co_u32_e32 v12, vcc, s24, v12
	v_addc_co_u32_e32 v13, vcc, v10, v13, vcc
	global_store_dword v[12:13], v11, off
	s_or_b64 exec, exec, s[4:5]
	v_cmp_gt_u32_e32 vcc, s33, v31
	s_and_saveexec_b64 s[4:5], vcc
	s_cbranch_execnz .LBB1094_150
.LBB1094_185:
	s_or_b64 exec, exec, s[4:5]
	v_cmp_gt_u32_e32 vcc, s33, v30
	s_and_saveexec_b64 s[4:5], vcc
	s_cbranch_execz .LBB1094_155
.LBB1094_186:
	v_cmp_ge_u32_e32 vcc, v30, v18
                                        ; implicit-def: $vgpr10_vgpr11
	s_and_saveexec_b64 s[6:7], vcc
	s_xor_b64 s[6:7], exec, s[6:7]
	s_cbranch_execz .LBB1094_188
; %bb.187:
	s_waitcnt lgkmcnt(4)
	v_xor_b32_e32 v8, 0xfffffaff, v0
	v_ashrrev_i32_e32 v11, 31, v8
	v_add_co_u32_e32 v10, vcc, v1, v8
	v_addc_co_u32_e32 v11, vcc, v19, v11, vcc
                                        ; implicit-def: $vgpr30
.LBB1094_188:
	s_andn2_saveexec_b64 s[6:7], s[6:7]
	s_cbranch_execz .LBB1094_190
; %bb.189:
	s_waitcnt lgkmcnt(5)
	v_add_co_u32_e32 v10, vcc, v16, v30
	v_addc_co_u32_e32 v11, vcc, 0, v17, vcc
.LBB1094_190:
	s_or_b64 exec, exec, s[6:7]
	s_waitcnt lgkmcnt(5)
	v_lshlrev_b64 v[10:11], 2, v[10:11]
	s_waitcnt lgkmcnt(4)
	v_mov_b32_e32 v8, s25
	v_add_co_u32_e32 v10, vcc, s24, v10
	v_addc_co_u32_e32 v11, vcc, v8, v11, vcc
	global_store_dword v[10:11], v9, off
	s_or_b64 exec, exec, s[4:5]
	v_cmp_gt_u32_e32 vcc, s33, v29
	s_and_saveexec_b64 s[4:5], vcc
	s_cbranch_execnz .LBB1094_156
.LBB1094_191:
	s_or_b64 exec, exec, s[4:5]
	v_cmp_gt_u32_e32 vcc, s33, v28
	s_and_saveexec_b64 s[4:5], vcc
	s_cbranch_execz .LBB1094_161
.LBB1094_192:
	v_cmp_ge_u32_e32 vcc, v28, v18
                                        ; implicit-def: $vgpr8_vgpr9
	s_and_saveexec_b64 s[6:7], vcc
	s_xor_b64 s[6:7], exec, s[6:7]
	s_cbranch_execz .LBB1094_194
; %bb.193:
	s_waitcnt lgkmcnt(3)
	v_xor_b32_e32 v6, 0xfffff8ff, v0
	v_ashrrev_i32_e32 v9, 31, v6
	v_add_co_u32_e32 v8, vcc, v1, v6
	v_addc_co_u32_e32 v9, vcc, v19, v9, vcc
                                        ; implicit-def: $vgpr28
.LBB1094_194:
	s_andn2_saveexec_b64 s[6:7], s[6:7]
	s_cbranch_execz .LBB1094_196
; %bb.195:
	s_waitcnt lgkmcnt(4)
	v_add_co_u32_e32 v8, vcc, v16, v28
	v_addc_co_u32_e32 v9, vcc, 0, v17, vcc
.LBB1094_196:
	s_or_b64 exec, exec, s[6:7]
	s_waitcnt lgkmcnt(4)
	v_lshlrev_b64 v[8:9], 2, v[8:9]
	s_waitcnt lgkmcnt(3)
	v_mov_b32_e32 v6, s25
	v_add_co_u32_e32 v8, vcc, s24, v8
	v_addc_co_u32_e32 v9, vcc, v6, v9, vcc
	global_store_dword v[8:9], v7, off
	s_or_b64 exec, exec, s[4:5]
	v_cmp_gt_u32_e32 vcc, s33, v27
	s_and_saveexec_b64 s[4:5], vcc
	s_cbranch_execnz .LBB1094_162
.LBB1094_197:
	s_or_b64 exec, exec, s[4:5]
	v_cmp_gt_u32_e32 vcc, s33, v26
	s_and_saveexec_b64 s[4:5], vcc
	s_cbranch_execz .LBB1094_167
.LBB1094_198:
	v_cmp_ge_u32_e32 vcc, v26, v18
                                        ; implicit-def: $vgpr6_vgpr7
	s_and_saveexec_b64 s[6:7], vcc
	s_xor_b64 s[6:7], exec, s[6:7]
	s_cbranch_execz .LBB1094_200
; %bb.199:
	s_waitcnt lgkmcnt(2)
	v_xor_b32_e32 v4, 0xfffff6ff, v0
	v_ashrrev_i32_e32 v7, 31, v4
	v_add_co_u32_e32 v6, vcc, v1, v4
	v_addc_co_u32_e32 v7, vcc, v19, v7, vcc
                                        ; implicit-def: $vgpr26
.LBB1094_200:
	s_andn2_saveexec_b64 s[6:7], s[6:7]
	s_cbranch_execz .LBB1094_202
; %bb.201:
	s_waitcnt lgkmcnt(3)
	v_add_co_u32_e32 v6, vcc, v16, v26
	v_addc_co_u32_e32 v7, vcc, 0, v17, vcc
.LBB1094_202:
	s_or_b64 exec, exec, s[6:7]
	s_waitcnt lgkmcnt(3)
	v_lshlrev_b64 v[6:7], 2, v[6:7]
	s_waitcnt lgkmcnt(2)
	v_mov_b32_e32 v4, s25
	v_add_co_u32_e32 v6, vcc, s24, v6
	v_addc_co_u32_e32 v7, vcc, v4, v7, vcc
	global_store_dword v[6:7], v5, off
	s_or_b64 exec, exec, s[4:5]
	v_cmp_gt_u32_e32 vcc, s33, v25
	s_and_saveexec_b64 s[4:5], vcc
	s_cbranch_execnz .LBB1094_168
.LBB1094_203:
	s_or_b64 exec, exec, s[4:5]
	v_cmp_gt_u32_e32 vcc, s33, v24
	s_and_saveexec_b64 s[4:5], vcc
	s_cbranch_execz .LBB1094_209
.LBB1094_204:
	v_cmp_ge_u32_e32 vcc, v24, v18
                                        ; implicit-def: $vgpr4_vgpr5
	s_and_saveexec_b64 s[6:7], vcc
	s_xor_b64 s[6:7], exec, s[6:7]
	s_cbranch_execz .LBB1094_206
; %bb.205:
	s_waitcnt lgkmcnt(1)
	v_xor_b32_e32 v2, 0xfffff4ff, v0
	v_ashrrev_i32_e32 v5, 31, v2
	v_add_co_u32_e32 v4, vcc, v1, v2
	v_addc_co_u32_e32 v5, vcc, v19, v5, vcc
                                        ; implicit-def: $vgpr24
.LBB1094_206:
	s_andn2_saveexec_b64 s[6:7], s[6:7]
	s_cbranch_execz .LBB1094_208
; %bb.207:
	s_waitcnt lgkmcnt(2)
	v_add_co_u32_e32 v4, vcc, v16, v24
	v_addc_co_u32_e32 v5, vcc, 0, v17, vcc
.LBB1094_208:
	s_or_b64 exec, exec, s[6:7]
	s_waitcnt lgkmcnt(2)
	v_lshlrev_b64 v[4:5], 2, v[4:5]
	s_waitcnt lgkmcnt(1)
	v_mov_b32_e32 v2, s25
	v_add_co_u32_e32 v4, vcc, s24, v4
	v_addc_co_u32_e32 v5, vcc, v2, v5, vcc
	global_store_dword v[4:5], v3, off
.LBB1094_209:
	s_or_b64 exec, exec, s[4:5]
	v_cmp_gt_u32_e32 vcc, s33, v23
                                        ; implicit-def: $vgpr14_vgpr15
	s_and_saveexec_b64 s[4:5], vcc
	s_cbranch_execz .LBB1094_215
; %bb.210:
	v_cmp_ge_u32_e32 vcc, v23, v18
                                        ; implicit-def: $vgpr14_vgpr15
	s_and_saveexec_b64 s[6:7], vcc
	s_xor_b64 s[6:7], exec, s[6:7]
	s_cbranch_execz .LBB1094_212
; %bb.211:
	v_xor_b32_e32 v0, 0xfffff3ff, v0
	s_waitcnt lgkmcnt(1)
	v_ashrrev_i32_e32 v2, 31, v0
	v_add_co_u32_e32 v14, vcc, v1, v0
	v_addc_co_u32_e32 v15, vcc, v19, v2, vcc
                                        ; implicit-def: $vgpr23
.LBB1094_212:
	s_andn2_saveexec_b64 s[6:7], s[6:7]
; %bb.213:
	v_add_co_u32_e32 v14, vcc, v16, v23
	v_addc_co_u32_e32 v15, vcc, 0, v17, vcc
; %bb.214:
	s_or_b64 exec, exec, s[6:7]
	s_or_b64 s[2:3], s[2:3], exec
.LBB1094_215:
	s_or_b64 exec, exec, s[4:5]
	s_and_saveexec_b64 s[4:5], s[2:3]
	s_cbranch_execnz .LBB1094_134
.LBB1094_216:
	s_or_b64 exec, exec, s[4:5]
	s_and_b64 s[0:1], s[0:1], s[22:23]
	s_and_saveexec_b64 s[2:3], s[0:1]
	s_cbranch_execz .LBB1094_135
.LBB1094_217:
	v_add_co_u32_e32 v0, vcc, v16, v18
	s_waitcnt lgkmcnt(1)
	v_mov_b32_e32 v2, 0
	v_addc_co_u32_e32 v1, vcc, 0, v17, vcc
	global_store_dwordx2 v2, v[0:1], s[20:21]
	s_endpgm
	.section	.rodata,"a",@progbits
	.p2align	6, 0x0
	.amdhsa_kernel _ZN7rocprim17ROCPRIM_400000_NS6detail17trampoline_kernelINS0_13select_configILj256ELj13ELNS0_17block_load_methodE3ELS4_3ELS4_3ELNS0_20block_scan_algorithmE0ELj4294967295EEENS1_25partition_config_selectorILNS1_17partition_subalgoE3EjNS0_10empty_typeEbEEZZNS1_14partition_implILS8_3ELb0ES6_jNS0_17counting_iteratorIjlEEPS9_SE_NS0_5tupleIJPjSE_EEENSF_IJSE_SE_EEES9_SG_JZNS1_25segmented_radix_sort_implINS0_14default_configELb1EPKdPdPKlPlN2at6native12_GLOBAL__N_18offset_tEEE10hipError_tPvRmT1_PNSt15iterator_traitsISY_E10value_typeET2_T3_PNSZ_IS14_E10value_typeET4_jRbjT5_S1A_jjP12ihipStream_tbEUljE_EEESV_SW_SX_S14_S18_S1A_T6_T7_T9_mT8_S1C_bDpT10_ENKUlT_T0_E_clISt17integral_constantIbLb1EES1P_EEDaS1K_S1L_EUlS1K_E_NS1_11comp_targetILNS1_3genE4ELNS1_11target_archE910ELNS1_3gpuE8ELNS1_3repE0EEENS1_30default_config_static_selectorELNS0_4arch9wavefront6targetE1EEEvSY_
		.amdhsa_group_segment_fixed_size 13324
		.amdhsa_private_segment_fixed_size 0
		.amdhsa_kernarg_size 152
		.amdhsa_user_sgpr_count 6
		.amdhsa_user_sgpr_private_segment_buffer 1
		.amdhsa_user_sgpr_dispatch_ptr 0
		.amdhsa_user_sgpr_queue_ptr 0
		.amdhsa_user_sgpr_kernarg_segment_ptr 1
		.amdhsa_user_sgpr_dispatch_id 0
		.amdhsa_user_sgpr_flat_scratch_init 0
		.amdhsa_user_sgpr_kernarg_preload_length 0
		.amdhsa_user_sgpr_kernarg_preload_offset 0
		.amdhsa_user_sgpr_private_segment_size 0
		.amdhsa_uses_dynamic_stack 0
		.amdhsa_system_sgpr_private_segment_wavefront_offset 0
		.amdhsa_system_sgpr_workgroup_id_x 1
		.amdhsa_system_sgpr_workgroup_id_y 0
		.amdhsa_system_sgpr_workgroup_id_z 0
		.amdhsa_system_sgpr_workgroup_info 0
		.amdhsa_system_vgpr_workitem_id 0
		.amdhsa_next_free_vgpr 64
		.amdhsa_next_free_sgpr 44
		.amdhsa_accum_offset 64
		.amdhsa_reserve_vcc 1
		.amdhsa_reserve_flat_scratch 0
		.amdhsa_float_round_mode_32 0
		.amdhsa_float_round_mode_16_64 0
		.amdhsa_float_denorm_mode_32 3
		.amdhsa_float_denorm_mode_16_64 3
		.amdhsa_dx10_clamp 1
		.amdhsa_ieee_mode 1
		.amdhsa_fp16_overflow 0
		.amdhsa_tg_split 0
		.amdhsa_exception_fp_ieee_invalid_op 0
		.amdhsa_exception_fp_denorm_src 0
		.amdhsa_exception_fp_ieee_div_zero 0
		.amdhsa_exception_fp_ieee_overflow 0
		.amdhsa_exception_fp_ieee_underflow 0
		.amdhsa_exception_fp_ieee_inexact 0
		.amdhsa_exception_int_div_zero 0
	.end_amdhsa_kernel
	.section	.text._ZN7rocprim17ROCPRIM_400000_NS6detail17trampoline_kernelINS0_13select_configILj256ELj13ELNS0_17block_load_methodE3ELS4_3ELS4_3ELNS0_20block_scan_algorithmE0ELj4294967295EEENS1_25partition_config_selectorILNS1_17partition_subalgoE3EjNS0_10empty_typeEbEEZZNS1_14partition_implILS8_3ELb0ES6_jNS0_17counting_iteratorIjlEEPS9_SE_NS0_5tupleIJPjSE_EEENSF_IJSE_SE_EEES9_SG_JZNS1_25segmented_radix_sort_implINS0_14default_configELb1EPKdPdPKlPlN2at6native12_GLOBAL__N_18offset_tEEE10hipError_tPvRmT1_PNSt15iterator_traitsISY_E10value_typeET2_T3_PNSZ_IS14_E10value_typeET4_jRbjT5_S1A_jjP12ihipStream_tbEUljE_EEESV_SW_SX_S14_S18_S1A_T6_T7_T9_mT8_S1C_bDpT10_ENKUlT_T0_E_clISt17integral_constantIbLb1EES1P_EEDaS1K_S1L_EUlS1K_E_NS1_11comp_targetILNS1_3genE4ELNS1_11target_archE910ELNS1_3gpuE8ELNS1_3repE0EEENS1_30default_config_static_selectorELNS0_4arch9wavefront6targetE1EEEvSY_,"axG",@progbits,_ZN7rocprim17ROCPRIM_400000_NS6detail17trampoline_kernelINS0_13select_configILj256ELj13ELNS0_17block_load_methodE3ELS4_3ELS4_3ELNS0_20block_scan_algorithmE0ELj4294967295EEENS1_25partition_config_selectorILNS1_17partition_subalgoE3EjNS0_10empty_typeEbEEZZNS1_14partition_implILS8_3ELb0ES6_jNS0_17counting_iteratorIjlEEPS9_SE_NS0_5tupleIJPjSE_EEENSF_IJSE_SE_EEES9_SG_JZNS1_25segmented_radix_sort_implINS0_14default_configELb1EPKdPdPKlPlN2at6native12_GLOBAL__N_18offset_tEEE10hipError_tPvRmT1_PNSt15iterator_traitsISY_E10value_typeET2_T3_PNSZ_IS14_E10value_typeET4_jRbjT5_S1A_jjP12ihipStream_tbEUljE_EEESV_SW_SX_S14_S18_S1A_T6_T7_T9_mT8_S1C_bDpT10_ENKUlT_T0_E_clISt17integral_constantIbLb1EES1P_EEDaS1K_S1L_EUlS1K_E_NS1_11comp_targetILNS1_3genE4ELNS1_11target_archE910ELNS1_3gpuE8ELNS1_3repE0EEENS1_30default_config_static_selectorELNS0_4arch9wavefront6targetE1EEEvSY_,comdat
.Lfunc_end1094:
	.size	_ZN7rocprim17ROCPRIM_400000_NS6detail17trampoline_kernelINS0_13select_configILj256ELj13ELNS0_17block_load_methodE3ELS4_3ELS4_3ELNS0_20block_scan_algorithmE0ELj4294967295EEENS1_25partition_config_selectorILNS1_17partition_subalgoE3EjNS0_10empty_typeEbEEZZNS1_14partition_implILS8_3ELb0ES6_jNS0_17counting_iteratorIjlEEPS9_SE_NS0_5tupleIJPjSE_EEENSF_IJSE_SE_EEES9_SG_JZNS1_25segmented_radix_sort_implINS0_14default_configELb1EPKdPdPKlPlN2at6native12_GLOBAL__N_18offset_tEEE10hipError_tPvRmT1_PNSt15iterator_traitsISY_E10value_typeET2_T3_PNSZ_IS14_E10value_typeET4_jRbjT5_S1A_jjP12ihipStream_tbEUljE_EEESV_SW_SX_S14_S18_S1A_T6_T7_T9_mT8_S1C_bDpT10_ENKUlT_T0_E_clISt17integral_constantIbLb1EES1P_EEDaS1K_S1L_EUlS1K_E_NS1_11comp_targetILNS1_3genE4ELNS1_11target_archE910ELNS1_3gpuE8ELNS1_3repE0EEENS1_30default_config_static_selectorELNS0_4arch9wavefront6targetE1EEEvSY_, .Lfunc_end1094-_ZN7rocprim17ROCPRIM_400000_NS6detail17trampoline_kernelINS0_13select_configILj256ELj13ELNS0_17block_load_methodE3ELS4_3ELS4_3ELNS0_20block_scan_algorithmE0ELj4294967295EEENS1_25partition_config_selectorILNS1_17partition_subalgoE3EjNS0_10empty_typeEbEEZZNS1_14partition_implILS8_3ELb0ES6_jNS0_17counting_iteratorIjlEEPS9_SE_NS0_5tupleIJPjSE_EEENSF_IJSE_SE_EEES9_SG_JZNS1_25segmented_radix_sort_implINS0_14default_configELb1EPKdPdPKlPlN2at6native12_GLOBAL__N_18offset_tEEE10hipError_tPvRmT1_PNSt15iterator_traitsISY_E10value_typeET2_T3_PNSZ_IS14_E10value_typeET4_jRbjT5_S1A_jjP12ihipStream_tbEUljE_EEESV_SW_SX_S14_S18_S1A_T6_T7_T9_mT8_S1C_bDpT10_ENKUlT_T0_E_clISt17integral_constantIbLb1EES1P_EEDaS1K_S1L_EUlS1K_E_NS1_11comp_targetILNS1_3genE4ELNS1_11target_archE910ELNS1_3gpuE8ELNS1_3repE0EEENS1_30default_config_static_selectorELNS0_4arch9wavefront6targetE1EEEvSY_
                                        ; -- End function
	.section	.AMDGPU.csdata,"",@progbits
; Kernel info:
; codeLenInByte = 7896
; NumSgprs: 48
; NumVgprs: 64
; NumAgprs: 0
; TotalNumVgprs: 64
; ScratchSize: 0
; MemoryBound: 0
; FloatMode: 240
; IeeeMode: 1
; LDSByteSize: 13324 bytes/workgroup (compile time only)
; SGPRBlocks: 5
; VGPRBlocks: 7
; NumSGPRsForWavesPerEU: 48
; NumVGPRsForWavesPerEU: 64
; AccumOffset: 64
; Occupancy: 4
; WaveLimiterHint : 0
; COMPUTE_PGM_RSRC2:SCRATCH_EN: 0
; COMPUTE_PGM_RSRC2:USER_SGPR: 6
; COMPUTE_PGM_RSRC2:TRAP_HANDLER: 0
; COMPUTE_PGM_RSRC2:TGID_X_EN: 1
; COMPUTE_PGM_RSRC2:TGID_Y_EN: 0
; COMPUTE_PGM_RSRC2:TGID_Z_EN: 0
; COMPUTE_PGM_RSRC2:TIDIG_COMP_CNT: 0
; COMPUTE_PGM_RSRC3_GFX90A:ACCUM_OFFSET: 15
; COMPUTE_PGM_RSRC3_GFX90A:TG_SPLIT: 0
	.section	.text._ZN7rocprim17ROCPRIM_400000_NS6detail17trampoline_kernelINS0_13select_configILj256ELj13ELNS0_17block_load_methodE3ELS4_3ELS4_3ELNS0_20block_scan_algorithmE0ELj4294967295EEENS1_25partition_config_selectorILNS1_17partition_subalgoE3EjNS0_10empty_typeEbEEZZNS1_14partition_implILS8_3ELb0ES6_jNS0_17counting_iteratorIjlEEPS9_SE_NS0_5tupleIJPjSE_EEENSF_IJSE_SE_EEES9_SG_JZNS1_25segmented_radix_sort_implINS0_14default_configELb1EPKdPdPKlPlN2at6native12_GLOBAL__N_18offset_tEEE10hipError_tPvRmT1_PNSt15iterator_traitsISY_E10value_typeET2_T3_PNSZ_IS14_E10value_typeET4_jRbjT5_S1A_jjP12ihipStream_tbEUljE_EEESV_SW_SX_S14_S18_S1A_T6_T7_T9_mT8_S1C_bDpT10_ENKUlT_T0_E_clISt17integral_constantIbLb1EES1P_EEDaS1K_S1L_EUlS1K_E_NS1_11comp_targetILNS1_3genE3ELNS1_11target_archE908ELNS1_3gpuE7ELNS1_3repE0EEENS1_30default_config_static_selectorELNS0_4arch9wavefront6targetE1EEEvSY_,"axG",@progbits,_ZN7rocprim17ROCPRIM_400000_NS6detail17trampoline_kernelINS0_13select_configILj256ELj13ELNS0_17block_load_methodE3ELS4_3ELS4_3ELNS0_20block_scan_algorithmE0ELj4294967295EEENS1_25partition_config_selectorILNS1_17partition_subalgoE3EjNS0_10empty_typeEbEEZZNS1_14partition_implILS8_3ELb0ES6_jNS0_17counting_iteratorIjlEEPS9_SE_NS0_5tupleIJPjSE_EEENSF_IJSE_SE_EEES9_SG_JZNS1_25segmented_radix_sort_implINS0_14default_configELb1EPKdPdPKlPlN2at6native12_GLOBAL__N_18offset_tEEE10hipError_tPvRmT1_PNSt15iterator_traitsISY_E10value_typeET2_T3_PNSZ_IS14_E10value_typeET4_jRbjT5_S1A_jjP12ihipStream_tbEUljE_EEESV_SW_SX_S14_S18_S1A_T6_T7_T9_mT8_S1C_bDpT10_ENKUlT_T0_E_clISt17integral_constantIbLb1EES1P_EEDaS1K_S1L_EUlS1K_E_NS1_11comp_targetILNS1_3genE3ELNS1_11target_archE908ELNS1_3gpuE7ELNS1_3repE0EEENS1_30default_config_static_selectorELNS0_4arch9wavefront6targetE1EEEvSY_,comdat
	.globl	_ZN7rocprim17ROCPRIM_400000_NS6detail17trampoline_kernelINS0_13select_configILj256ELj13ELNS0_17block_load_methodE3ELS4_3ELS4_3ELNS0_20block_scan_algorithmE0ELj4294967295EEENS1_25partition_config_selectorILNS1_17partition_subalgoE3EjNS0_10empty_typeEbEEZZNS1_14partition_implILS8_3ELb0ES6_jNS0_17counting_iteratorIjlEEPS9_SE_NS0_5tupleIJPjSE_EEENSF_IJSE_SE_EEES9_SG_JZNS1_25segmented_radix_sort_implINS0_14default_configELb1EPKdPdPKlPlN2at6native12_GLOBAL__N_18offset_tEEE10hipError_tPvRmT1_PNSt15iterator_traitsISY_E10value_typeET2_T3_PNSZ_IS14_E10value_typeET4_jRbjT5_S1A_jjP12ihipStream_tbEUljE_EEESV_SW_SX_S14_S18_S1A_T6_T7_T9_mT8_S1C_bDpT10_ENKUlT_T0_E_clISt17integral_constantIbLb1EES1P_EEDaS1K_S1L_EUlS1K_E_NS1_11comp_targetILNS1_3genE3ELNS1_11target_archE908ELNS1_3gpuE7ELNS1_3repE0EEENS1_30default_config_static_selectorELNS0_4arch9wavefront6targetE1EEEvSY_ ; -- Begin function _ZN7rocprim17ROCPRIM_400000_NS6detail17trampoline_kernelINS0_13select_configILj256ELj13ELNS0_17block_load_methodE3ELS4_3ELS4_3ELNS0_20block_scan_algorithmE0ELj4294967295EEENS1_25partition_config_selectorILNS1_17partition_subalgoE3EjNS0_10empty_typeEbEEZZNS1_14partition_implILS8_3ELb0ES6_jNS0_17counting_iteratorIjlEEPS9_SE_NS0_5tupleIJPjSE_EEENSF_IJSE_SE_EEES9_SG_JZNS1_25segmented_radix_sort_implINS0_14default_configELb1EPKdPdPKlPlN2at6native12_GLOBAL__N_18offset_tEEE10hipError_tPvRmT1_PNSt15iterator_traitsISY_E10value_typeET2_T3_PNSZ_IS14_E10value_typeET4_jRbjT5_S1A_jjP12ihipStream_tbEUljE_EEESV_SW_SX_S14_S18_S1A_T6_T7_T9_mT8_S1C_bDpT10_ENKUlT_T0_E_clISt17integral_constantIbLb1EES1P_EEDaS1K_S1L_EUlS1K_E_NS1_11comp_targetILNS1_3genE3ELNS1_11target_archE908ELNS1_3gpuE7ELNS1_3repE0EEENS1_30default_config_static_selectorELNS0_4arch9wavefront6targetE1EEEvSY_
	.p2align	8
	.type	_ZN7rocprim17ROCPRIM_400000_NS6detail17trampoline_kernelINS0_13select_configILj256ELj13ELNS0_17block_load_methodE3ELS4_3ELS4_3ELNS0_20block_scan_algorithmE0ELj4294967295EEENS1_25partition_config_selectorILNS1_17partition_subalgoE3EjNS0_10empty_typeEbEEZZNS1_14partition_implILS8_3ELb0ES6_jNS0_17counting_iteratorIjlEEPS9_SE_NS0_5tupleIJPjSE_EEENSF_IJSE_SE_EEES9_SG_JZNS1_25segmented_radix_sort_implINS0_14default_configELb1EPKdPdPKlPlN2at6native12_GLOBAL__N_18offset_tEEE10hipError_tPvRmT1_PNSt15iterator_traitsISY_E10value_typeET2_T3_PNSZ_IS14_E10value_typeET4_jRbjT5_S1A_jjP12ihipStream_tbEUljE_EEESV_SW_SX_S14_S18_S1A_T6_T7_T9_mT8_S1C_bDpT10_ENKUlT_T0_E_clISt17integral_constantIbLb1EES1P_EEDaS1K_S1L_EUlS1K_E_NS1_11comp_targetILNS1_3genE3ELNS1_11target_archE908ELNS1_3gpuE7ELNS1_3repE0EEENS1_30default_config_static_selectorELNS0_4arch9wavefront6targetE1EEEvSY_,@function
_ZN7rocprim17ROCPRIM_400000_NS6detail17trampoline_kernelINS0_13select_configILj256ELj13ELNS0_17block_load_methodE3ELS4_3ELS4_3ELNS0_20block_scan_algorithmE0ELj4294967295EEENS1_25partition_config_selectorILNS1_17partition_subalgoE3EjNS0_10empty_typeEbEEZZNS1_14partition_implILS8_3ELb0ES6_jNS0_17counting_iteratorIjlEEPS9_SE_NS0_5tupleIJPjSE_EEENSF_IJSE_SE_EEES9_SG_JZNS1_25segmented_radix_sort_implINS0_14default_configELb1EPKdPdPKlPlN2at6native12_GLOBAL__N_18offset_tEEE10hipError_tPvRmT1_PNSt15iterator_traitsISY_E10value_typeET2_T3_PNSZ_IS14_E10value_typeET4_jRbjT5_S1A_jjP12ihipStream_tbEUljE_EEESV_SW_SX_S14_S18_S1A_T6_T7_T9_mT8_S1C_bDpT10_ENKUlT_T0_E_clISt17integral_constantIbLb1EES1P_EEDaS1K_S1L_EUlS1K_E_NS1_11comp_targetILNS1_3genE3ELNS1_11target_archE908ELNS1_3gpuE7ELNS1_3repE0EEENS1_30default_config_static_selectorELNS0_4arch9wavefront6targetE1EEEvSY_: ; @_ZN7rocprim17ROCPRIM_400000_NS6detail17trampoline_kernelINS0_13select_configILj256ELj13ELNS0_17block_load_methodE3ELS4_3ELS4_3ELNS0_20block_scan_algorithmE0ELj4294967295EEENS1_25partition_config_selectorILNS1_17partition_subalgoE3EjNS0_10empty_typeEbEEZZNS1_14partition_implILS8_3ELb0ES6_jNS0_17counting_iteratorIjlEEPS9_SE_NS0_5tupleIJPjSE_EEENSF_IJSE_SE_EEES9_SG_JZNS1_25segmented_radix_sort_implINS0_14default_configELb1EPKdPdPKlPlN2at6native12_GLOBAL__N_18offset_tEEE10hipError_tPvRmT1_PNSt15iterator_traitsISY_E10value_typeET2_T3_PNSZ_IS14_E10value_typeET4_jRbjT5_S1A_jjP12ihipStream_tbEUljE_EEESV_SW_SX_S14_S18_S1A_T6_T7_T9_mT8_S1C_bDpT10_ENKUlT_T0_E_clISt17integral_constantIbLb1EES1P_EEDaS1K_S1L_EUlS1K_E_NS1_11comp_targetILNS1_3genE3ELNS1_11target_archE908ELNS1_3gpuE7ELNS1_3repE0EEENS1_30default_config_static_selectorELNS0_4arch9wavefront6targetE1EEEvSY_
; %bb.0:
	.section	.rodata,"a",@progbits
	.p2align	6, 0x0
	.amdhsa_kernel _ZN7rocprim17ROCPRIM_400000_NS6detail17trampoline_kernelINS0_13select_configILj256ELj13ELNS0_17block_load_methodE3ELS4_3ELS4_3ELNS0_20block_scan_algorithmE0ELj4294967295EEENS1_25partition_config_selectorILNS1_17partition_subalgoE3EjNS0_10empty_typeEbEEZZNS1_14partition_implILS8_3ELb0ES6_jNS0_17counting_iteratorIjlEEPS9_SE_NS0_5tupleIJPjSE_EEENSF_IJSE_SE_EEES9_SG_JZNS1_25segmented_radix_sort_implINS0_14default_configELb1EPKdPdPKlPlN2at6native12_GLOBAL__N_18offset_tEEE10hipError_tPvRmT1_PNSt15iterator_traitsISY_E10value_typeET2_T3_PNSZ_IS14_E10value_typeET4_jRbjT5_S1A_jjP12ihipStream_tbEUljE_EEESV_SW_SX_S14_S18_S1A_T6_T7_T9_mT8_S1C_bDpT10_ENKUlT_T0_E_clISt17integral_constantIbLb1EES1P_EEDaS1K_S1L_EUlS1K_E_NS1_11comp_targetILNS1_3genE3ELNS1_11target_archE908ELNS1_3gpuE7ELNS1_3repE0EEENS1_30default_config_static_selectorELNS0_4arch9wavefront6targetE1EEEvSY_
		.amdhsa_group_segment_fixed_size 0
		.amdhsa_private_segment_fixed_size 0
		.amdhsa_kernarg_size 152
		.amdhsa_user_sgpr_count 6
		.amdhsa_user_sgpr_private_segment_buffer 1
		.amdhsa_user_sgpr_dispatch_ptr 0
		.amdhsa_user_sgpr_queue_ptr 0
		.amdhsa_user_sgpr_kernarg_segment_ptr 1
		.amdhsa_user_sgpr_dispatch_id 0
		.amdhsa_user_sgpr_flat_scratch_init 0
		.amdhsa_user_sgpr_kernarg_preload_length 0
		.amdhsa_user_sgpr_kernarg_preload_offset 0
		.amdhsa_user_sgpr_private_segment_size 0
		.amdhsa_uses_dynamic_stack 0
		.amdhsa_system_sgpr_private_segment_wavefront_offset 0
		.amdhsa_system_sgpr_workgroup_id_x 1
		.amdhsa_system_sgpr_workgroup_id_y 0
		.amdhsa_system_sgpr_workgroup_id_z 0
		.amdhsa_system_sgpr_workgroup_info 0
		.amdhsa_system_vgpr_workitem_id 0
		.amdhsa_next_free_vgpr 1
		.amdhsa_next_free_sgpr 0
		.amdhsa_accum_offset 4
		.amdhsa_reserve_vcc 0
		.amdhsa_reserve_flat_scratch 0
		.amdhsa_float_round_mode_32 0
		.amdhsa_float_round_mode_16_64 0
		.amdhsa_float_denorm_mode_32 3
		.amdhsa_float_denorm_mode_16_64 3
		.amdhsa_dx10_clamp 1
		.amdhsa_ieee_mode 1
		.amdhsa_fp16_overflow 0
		.amdhsa_tg_split 0
		.amdhsa_exception_fp_ieee_invalid_op 0
		.amdhsa_exception_fp_denorm_src 0
		.amdhsa_exception_fp_ieee_div_zero 0
		.amdhsa_exception_fp_ieee_overflow 0
		.amdhsa_exception_fp_ieee_underflow 0
		.amdhsa_exception_fp_ieee_inexact 0
		.amdhsa_exception_int_div_zero 0
	.end_amdhsa_kernel
	.section	.text._ZN7rocprim17ROCPRIM_400000_NS6detail17trampoline_kernelINS0_13select_configILj256ELj13ELNS0_17block_load_methodE3ELS4_3ELS4_3ELNS0_20block_scan_algorithmE0ELj4294967295EEENS1_25partition_config_selectorILNS1_17partition_subalgoE3EjNS0_10empty_typeEbEEZZNS1_14partition_implILS8_3ELb0ES6_jNS0_17counting_iteratorIjlEEPS9_SE_NS0_5tupleIJPjSE_EEENSF_IJSE_SE_EEES9_SG_JZNS1_25segmented_radix_sort_implINS0_14default_configELb1EPKdPdPKlPlN2at6native12_GLOBAL__N_18offset_tEEE10hipError_tPvRmT1_PNSt15iterator_traitsISY_E10value_typeET2_T3_PNSZ_IS14_E10value_typeET4_jRbjT5_S1A_jjP12ihipStream_tbEUljE_EEESV_SW_SX_S14_S18_S1A_T6_T7_T9_mT8_S1C_bDpT10_ENKUlT_T0_E_clISt17integral_constantIbLb1EES1P_EEDaS1K_S1L_EUlS1K_E_NS1_11comp_targetILNS1_3genE3ELNS1_11target_archE908ELNS1_3gpuE7ELNS1_3repE0EEENS1_30default_config_static_selectorELNS0_4arch9wavefront6targetE1EEEvSY_,"axG",@progbits,_ZN7rocprim17ROCPRIM_400000_NS6detail17trampoline_kernelINS0_13select_configILj256ELj13ELNS0_17block_load_methodE3ELS4_3ELS4_3ELNS0_20block_scan_algorithmE0ELj4294967295EEENS1_25partition_config_selectorILNS1_17partition_subalgoE3EjNS0_10empty_typeEbEEZZNS1_14partition_implILS8_3ELb0ES6_jNS0_17counting_iteratorIjlEEPS9_SE_NS0_5tupleIJPjSE_EEENSF_IJSE_SE_EEES9_SG_JZNS1_25segmented_radix_sort_implINS0_14default_configELb1EPKdPdPKlPlN2at6native12_GLOBAL__N_18offset_tEEE10hipError_tPvRmT1_PNSt15iterator_traitsISY_E10value_typeET2_T3_PNSZ_IS14_E10value_typeET4_jRbjT5_S1A_jjP12ihipStream_tbEUljE_EEESV_SW_SX_S14_S18_S1A_T6_T7_T9_mT8_S1C_bDpT10_ENKUlT_T0_E_clISt17integral_constantIbLb1EES1P_EEDaS1K_S1L_EUlS1K_E_NS1_11comp_targetILNS1_3genE3ELNS1_11target_archE908ELNS1_3gpuE7ELNS1_3repE0EEENS1_30default_config_static_selectorELNS0_4arch9wavefront6targetE1EEEvSY_,comdat
.Lfunc_end1095:
	.size	_ZN7rocprim17ROCPRIM_400000_NS6detail17trampoline_kernelINS0_13select_configILj256ELj13ELNS0_17block_load_methodE3ELS4_3ELS4_3ELNS0_20block_scan_algorithmE0ELj4294967295EEENS1_25partition_config_selectorILNS1_17partition_subalgoE3EjNS0_10empty_typeEbEEZZNS1_14partition_implILS8_3ELb0ES6_jNS0_17counting_iteratorIjlEEPS9_SE_NS0_5tupleIJPjSE_EEENSF_IJSE_SE_EEES9_SG_JZNS1_25segmented_radix_sort_implINS0_14default_configELb1EPKdPdPKlPlN2at6native12_GLOBAL__N_18offset_tEEE10hipError_tPvRmT1_PNSt15iterator_traitsISY_E10value_typeET2_T3_PNSZ_IS14_E10value_typeET4_jRbjT5_S1A_jjP12ihipStream_tbEUljE_EEESV_SW_SX_S14_S18_S1A_T6_T7_T9_mT8_S1C_bDpT10_ENKUlT_T0_E_clISt17integral_constantIbLb1EES1P_EEDaS1K_S1L_EUlS1K_E_NS1_11comp_targetILNS1_3genE3ELNS1_11target_archE908ELNS1_3gpuE7ELNS1_3repE0EEENS1_30default_config_static_selectorELNS0_4arch9wavefront6targetE1EEEvSY_, .Lfunc_end1095-_ZN7rocprim17ROCPRIM_400000_NS6detail17trampoline_kernelINS0_13select_configILj256ELj13ELNS0_17block_load_methodE3ELS4_3ELS4_3ELNS0_20block_scan_algorithmE0ELj4294967295EEENS1_25partition_config_selectorILNS1_17partition_subalgoE3EjNS0_10empty_typeEbEEZZNS1_14partition_implILS8_3ELb0ES6_jNS0_17counting_iteratorIjlEEPS9_SE_NS0_5tupleIJPjSE_EEENSF_IJSE_SE_EEES9_SG_JZNS1_25segmented_radix_sort_implINS0_14default_configELb1EPKdPdPKlPlN2at6native12_GLOBAL__N_18offset_tEEE10hipError_tPvRmT1_PNSt15iterator_traitsISY_E10value_typeET2_T3_PNSZ_IS14_E10value_typeET4_jRbjT5_S1A_jjP12ihipStream_tbEUljE_EEESV_SW_SX_S14_S18_S1A_T6_T7_T9_mT8_S1C_bDpT10_ENKUlT_T0_E_clISt17integral_constantIbLb1EES1P_EEDaS1K_S1L_EUlS1K_E_NS1_11comp_targetILNS1_3genE3ELNS1_11target_archE908ELNS1_3gpuE7ELNS1_3repE0EEENS1_30default_config_static_selectorELNS0_4arch9wavefront6targetE1EEEvSY_
                                        ; -- End function
	.section	.AMDGPU.csdata,"",@progbits
; Kernel info:
; codeLenInByte = 0
; NumSgprs: 4
; NumVgprs: 0
; NumAgprs: 0
; TotalNumVgprs: 0
; ScratchSize: 0
; MemoryBound: 0
; FloatMode: 240
; IeeeMode: 1
; LDSByteSize: 0 bytes/workgroup (compile time only)
; SGPRBlocks: 0
; VGPRBlocks: 0
; NumSGPRsForWavesPerEU: 4
; NumVGPRsForWavesPerEU: 1
; AccumOffset: 4
; Occupancy: 8
; WaveLimiterHint : 0
; COMPUTE_PGM_RSRC2:SCRATCH_EN: 0
; COMPUTE_PGM_RSRC2:USER_SGPR: 6
; COMPUTE_PGM_RSRC2:TRAP_HANDLER: 0
; COMPUTE_PGM_RSRC2:TGID_X_EN: 1
; COMPUTE_PGM_RSRC2:TGID_Y_EN: 0
; COMPUTE_PGM_RSRC2:TGID_Z_EN: 0
; COMPUTE_PGM_RSRC2:TIDIG_COMP_CNT: 0
; COMPUTE_PGM_RSRC3_GFX90A:ACCUM_OFFSET: 0
; COMPUTE_PGM_RSRC3_GFX90A:TG_SPLIT: 0
	.section	.text._ZN7rocprim17ROCPRIM_400000_NS6detail17trampoline_kernelINS0_13select_configILj256ELj13ELNS0_17block_load_methodE3ELS4_3ELS4_3ELNS0_20block_scan_algorithmE0ELj4294967295EEENS1_25partition_config_selectorILNS1_17partition_subalgoE3EjNS0_10empty_typeEbEEZZNS1_14partition_implILS8_3ELb0ES6_jNS0_17counting_iteratorIjlEEPS9_SE_NS0_5tupleIJPjSE_EEENSF_IJSE_SE_EEES9_SG_JZNS1_25segmented_radix_sort_implINS0_14default_configELb1EPKdPdPKlPlN2at6native12_GLOBAL__N_18offset_tEEE10hipError_tPvRmT1_PNSt15iterator_traitsISY_E10value_typeET2_T3_PNSZ_IS14_E10value_typeET4_jRbjT5_S1A_jjP12ihipStream_tbEUljE_EEESV_SW_SX_S14_S18_S1A_T6_T7_T9_mT8_S1C_bDpT10_ENKUlT_T0_E_clISt17integral_constantIbLb1EES1P_EEDaS1K_S1L_EUlS1K_E_NS1_11comp_targetILNS1_3genE2ELNS1_11target_archE906ELNS1_3gpuE6ELNS1_3repE0EEENS1_30default_config_static_selectorELNS0_4arch9wavefront6targetE1EEEvSY_,"axG",@progbits,_ZN7rocprim17ROCPRIM_400000_NS6detail17trampoline_kernelINS0_13select_configILj256ELj13ELNS0_17block_load_methodE3ELS4_3ELS4_3ELNS0_20block_scan_algorithmE0ELj4294967295EEENS1_25partition_config_selectorILNS1_17partition_subalgoE3EjNS0_10empty_typeEbEEZZNS1_14partition_implILS8_3ELb0ES6_jNS0_17counting_iteratorIjlEEPS9_SE_NS0_5tupleIJPjSE_EEENSF_IJSE_SE_EEES9_SG_JZNS1_25segmented_radix_sort_implINS0_14default_configELb1EPKdPdPKlPlN2at6native12_GLOBAL__N_18offset_tEEE10hipError_tPvRmT1_PNSt15iterator_traitsISY_E10value_typeET2_T3_PNSZ_IS14_E10value_typeET4_jRbjT5_S1A_jjP12ihipStream_tbEUljE_EEESV_SW_SX_S14_S18_S1A_T6_T7_T9_mT8_S1C_bDpT10_ENKUlT_T0_E_clISt17integral_constantIbLb1EES1P_EEDaS1K_S1L_EUlS1K_E_NS1_11comp_targetILNS1_3genE2ELNS1_11target_archE906ELNS1_3gpuE6ELNS1_3repE0EEENS1_30default_config_static_selectorELNS0_4arch9wavefront6targetE1EEEvSY_,comdat
	.globl	_ZN7rocprim17ROCPRIM_400000_NS6detail17trampoline_kernelINS0_13select_configILj256ELj13ELNS0_17block_load_methodE3ELS4_3ELS4_3ELNS0_20block_scan_algorithmE0ELj4294967295EEENS1_25partition_config_selectorILNS1_17partition_subalgoE3EjNS0_10empty_typeEbEEZZNS1_14partition_implILS8_3ELb0ES6_jNS0_17counting_iteratorIjlEEPS9_SE_NS0_5tupleIJPjSE_EEENSF_IJSE_SE_EEES9_SG_JZNS1_25segmented_radix_sort_implINS0_14default_configELb1EPKdPdPKlPlN2at6native12_GLOBAL__N_18offset_tEEE10hipError_tPvRmT1_PNSt15iterator_traitsISY_E10value_typeET2_T3_PNSZ_IS14_E10value_typeET4_jRbjT5_S1A_jjP12ihipStream_tbEUljE_EEESV_SW_SX_S14_S18_S1A_T6_T7_T9_mT8_S1C_bDpT10_ENKUlT_T0_E_clISt17integral_constantIbLb1EES1P_EEDaS1K_S1L_EUlS1K_E_NS1_11comp_targetILNS1_3genE2ELNS1_11target_archE906ELNS1_3gpuE6ELNS1_3repE0EEENS1_30default_config_static_selectorELNS0_4arch9wavefront6targetE1EEEvSY_ ; -- Begin function _ZN7rocprim17ROCPRIM_400000_NS6detail17trampoline_kernelINS0_13select_configILj256ELj13ELNS0_17block_load_methodE3ELS4_3ELS4_3ELNS0_20block_scan_algorithmE0ELj4294967295EEENS1_25partition_config_selectorILNS1_17partition_subalgoE3EjNS0_10empty_typeEbEEZZNS1_14partition_implILS8_3ELb0ES6_jNS0_17counting_iteratorIjlEEPS9_SE_NS0_5tupleIJPjSE_EEENSF_IJSE_SE_EEES9_SG_JZNS1_25segmented_radix_sort_implINS0_14default_configELb1EPKdPdPKlPlN2at6native12_GLOBAL__N_18offset_tEEE10hipError_tPvRmT1_PNSt15iterator_traitsISY_E10value_typeET2_T3_PNSZ_IS14_E10value_typeET4_jRbjT5_S1A_jjP12ihipStream_tbEUljE_EEESV_SW_SX_S14_S18_S1A_T6_T7_T9_mT8_S1C_bDpT10_ENKUlT_T0_E_clISt17integral_constantIbLb1EES1P_EEDaS1K_S1L_EUlS1K_E_NS1_11comp_targetILNS1_3genE2ELNS1_11target_archE906ELNS1_3gpuE6ELNS1_3repE0EEENS1_30default_config_static_selectorELNS0_4arch9wavefront6targetE1EEEvSY_
	.p2align	8
	.type	_ZN7rocprim17ROCPRIM_400000_NS6detail17trampoline_kernelINS0_13select_configILj256ELj13ELNS0_17block_load_methodE3ELS4_3ELS4_3ELNS0_20block_scan_algorithmE0ELj4294967295EEENS1_25partition_config_selectorILNS1_17partition_subalgoE3EjNS0_10empty_typeEbEEZZNS1_14partition_implILS8_3ELb0ES6_jNS0_17counting_iteratorIjlEEPS9_SE_NS0_5tupleIJPjSE_EEENSF_IJSE_SE_EEES9_SG_JZNS1_25segmented_radix_sort_implINS0_14default_configELb1EPKdPdPKlPlN2at6native12_GLOBAL__N_18offset_tEEE10hipError_tPvRmT1_PNSt15iterator_traitsISY_E10value_typeET2_T3_PNSZ_IS14_E10value_typeET4_jRbjT5_S1A_jjP12ihipStream_tbEUljE_EEESV_SW_SX_S14_S18_S1A_T6_T7_T9_mT8_S1C_bDpT10_ENKUlT_T0_E_clISt17integral_constantIbLb1EES1P_EEDaS1K_S1L_EUlS1K_E_NS1_11comp_targetILNS1_3genE2ELNS1_11target_archE906ELNS1_3gpuE6ELNS1_3repE0EEENS1_30default_config_static_selectorELNS0_4arch9wavefront6targetE1EEEvSY_,@function
_ZN7rocprim17ROCPRIM_400000_NS6detail17trampoline_kernelINS0_13select_configILj256ELj13ELNS0_17block_load_methodE3ELS4_3ELS4_3ELNS0_20block_scan_algorithmE0ELj4294967295EEENS1_25partition_config_selectorILNS1_17partition_subalgoE3EjNS0_10empty_typeEbEEZZNS1_14partition_implILS8_3ELb0ES6_jNS0_17counting_iteratorIjlEEPS9_SE_NS0_5tupleIJPjSE_EEENSF_IJSE_SE_EEES9_SG_JZNS1_25segmented_radix_sort_implINS0_14default_configELb1EPKdPdPKlPlN2at6native12_GLOBAL__N_18offset_tEEE10hipError_tPvRmT1_PNSt15iterator_traitsISY_E10value_typeET2_T3_PNSZ_IS14_E10value_typeET4_jRbjT5_S1A_jjP12ihipStream_tbEUljE_EEESV_SW_SX_S14_S18_S1A_T6_T7_T9_mT8_S1C_bDpT10_ENKUlT_T0_E_clISt17integral_constantIbLb1EES1P_EEDaS1K_S1L_EUlS1K_E_NS1_11comp_targetILNS1_3genE2ELNS1_11target_archE906ELNS1_3gpuE6ELNS1_3repE0EEENS1_30default_config_static_selectorELNS0_4arch9wavefront6targetE1EEEvSY_: ; @_ZN7rocprim17ROCPRIM_400000_NS6detail17trampoline_kernelINS0_13select_configILj256ELj13ELNS0_17block_load_methodE3ELS4_3ELS4_3ELNS0_20block_scan_algorithmE0ELj4294967295EEENS1_25partition_config_selectorILNS1_17partition_subalgoE3EjNS0_10empty_typeEbEEZZNS1_14partition_implILS8_3ELb0ES6_jNS0_17counting_iteratorIjlEEPS9_SE_NS0_5tupleIJPjSE_EEENSF_IJSE_SE_EEES9_SG_JZNS1_25segmented_radix_sort_implINS0_14default_configELb1EPKdPdPKlPlN2at6native12_GLOBAL__N_18offset_tEEE10hipError_tPvRmT1_PNSt15iterator_traitsISY_E10value_typeET2_T3_PNSZ_IS14_E10value_typeET4_jRbjT5_S1A_jjP12ihipStream_tbEUljE_EEESV_SW_SX_S14_S18_S1A_T6_T7_T9_mT8_S1C_bDpT10_ENKUlT_T0_E_clISt17integral_constantIbLb1EES1P_EEDaS1K_S1L_EUlS1K_E_NS1_11comp_targetILNS1_3genE2ELNS1_11target_archE906ELNS1_3gpuE6ELNS1_3repE0EEENS1_30default_config_static_selectorELNS0_4arch9wavefront6targetE1EEEvSY_
; %bb.0:
	.section	.rodata,"a",@progbits
	.p2align	6, 0x0
	.amdhsa_kernel _ZN7rocprim17ROCPRIM_400000_NS6detail17trampoline_kernelINS0_13select_configILj256ELj13ELNS0_17block_load_methodE3ELS4_3ELS4_3ELNS0_20block_scan_algorithmE0ELj4294967295EEENS1_25partition_config_selectorILNS1_17partition_subalgoE3EjNS0_10empty_typeEbEEZZNS1_14partition_implILS8_3ELb0ES6_jNS0_17counting_iteratorIjlEEPS9_SE_NS0_5tupleIJPjSE_EEENSF_IJSE_SE_EEES9_SG_JZNS1_25segmented_radix_sort_implINS0_14default_configELb1EPKdPdPKlPlN2at6native12_GLOBAL__N_18offset_tEEE10hipError_tPvRmT1_PNSt15iterator_traitsISY_E10value_typeET2_T3_PNSZ_IS14_E10value_typeET4_jRbjT5_S1A_jjP12ihipStream_tbEUljE_EEESV_SW_SX_S14_S18_S1A_T6_T7_T9_mT8_S1C_bDpT10_ENKUlT_T0_E_clISt17integral_constantIbLb1EES1P_EEDaS1K_S1L_EUlS1K_E_NS1_11comp_targetILNS1_3genE2ELNS1_11target_archE906ELNS1_3gpuE6ELNS1_3repE0EEENS1_30default_config_static_selectorELNS0_4arch9wavefront6targetE1EEEvSY_
		.amdhsa_group_segment_fixed_size 0
		.amdhsa_private_segment_fixed_size 0
		.amdhsa_kernarg_size 152
		.amdhsa_user_sgpr_count 6
		.amdhsa_user_sgpr_private_segment_buffer 1
		.amdhsa_user_sgpr_dispatch_ptr 0
		.amdhsa_user_sgpr_queue_ptr 0
		.amdhsa_user_sgpr_kernarg_segment_ptr 1
		.amdhsa_user_sgpr_dispatch_id 0
		.amdhsa_user_sgpr_flat_scratch_init 0
		.amdhsa_user_sgpr_kernarg_preload_length 0
		.amdhsa_user_sgpr_kernarg_preload_offset 0
		.amdhsa_user_sgpr_private_segment_size 0
		.amdhsa_uses_dynamic_stack 0
		.amdhsa_system_sgpr_private_segment_wavefront_offset 0
		.amdhsa_system_sgpr_workgroup_id_x 1
		.amdhsa_system_sgpr_workgroup_id_y 0
		.amdhsa_system_sgpr_workgroup_id_z 0
		.amdhsa_system_sgpr_workgroup_info 0
		.amdhsa_system_vgpr_workitem_id 0
		.amdhsa_next_free_vgpr 1
		.amdhsa_next_free_sgpr 0
		.amdhsa_accum_offset 4
		.amdhsa_reserve_vcc 0
		.amdhsa_reserve_flat_scratch 0
		.amdhsa_float_round_mode_32 0
		.amdhsa_float_round_mode_16_64 0
		.amdhsa_float_denorm_mode_32 3
		.amdhsa_float_denorm_mode_16_64 3
		.amdhsa_dx10_clamp 1
		.amdhsa_ieee_mode 1
		.amdhsa_fp16_overflow 0
		.amdhsa_tg_split 0
		.amdhsa_exception_fp_ieee_invalid_op 0
		.amdhsa_exception_fp_denorm_src 0
		.amdhsa_exception_fp_ieee_div_zero 0
		.amdhsa_exception_fp_ieee_overflow 0
		.amdhsa_exception_fp_ieee_underflow 0
		.amdhsa_exception_fp_ieee_inexact 0
		.amdhsa_exception_int_div_zero 0
	.end_amdhsa_kernel
	.section	.text._ZN7rocprim17ROCPRIM_400000_NS6detail17trampoline_kernelINS0_13select_configILj256ELj13ELNS0_17block_load_methodE3ELS4_3ELS4_3ELNS0_20block_scan_algorithmE0ELj4294967295EEENS1_25partition_config_selectorILNS1_17partition_subalgoE3EjNS0_10empty_typeEbEEZZNS1_14partition_implILS8_3ELb0ES6_jNS0_17counting_iteratorIjlEEPS9_SE_NS0_5tupleIJPjSE_EEENSF_IJSE_SE_EEES9_SG_JZNS1_25segmented_radix_sort_implINS0_14default_configELb1EPKdPdPKlPlN2at6native12_GLOBAL__N_18offset_tEEE10hipError_tPvRmT1_PNSt15iterator_traitsISY_E10value_typeET2_T3_PNSZ_IS14_E10value_typeET4_jRbjT5_S1A_jjP12ihipStream_tbEUljE_EEESV_SW_SX_S14_S18_S1A_T6_T7_T9_mT8_S1C_bDpT10_ENKUlT_T0_E_clISt17integral_constantIbLb1EES1P_EEDaS1K_S1L_EUlS1K_E_NS1_11comp_targetILNS1_3genE2ELNS1_11target_archE906ELNS1_3gpuE6ELNS1_3repE0EEENS1_30default_config_static_selectorELNS0_4arch9wavefront6targetE1EEEvSY_,"axG",@progbits,_ZN7rocprim17ROCPRIM_400000_NS6detail17trampoline_kernelINS0_13select_configILj256ELj13ELNS0_17block_load_methodE3ELS4_3ELS4_3ELNS0_20block_scan_algorithmE0ELj4294967295EEENS1_25partition_config_selectorILNS1_17partition_subalgoE3EjNS0_10empty_typeEbEEZZNS1_14partition_implILS8_3ELb0ES6_jNS0_17counting_iteratorIjlEEPS9_SE_NS0_5tupleIJPjSE_EEENSF_IJSE_SE_EEES9_SG_JZNS1_25segmented_radix_sort_implINS0_14default_configELb1EPKdPdPKlPlN2at6native12_GLOBAL__N_18offset_tEEE10hipError_tPvRmT1_PNSt15iterator_traitsISY_E10value_typeET2_T3_PNSZ_IS14_E10value_typeET4_jRbjT5_S1A_jjP12ihipStream_tbEUljE_EEESV_SW_SX_S14_S18_S1A_T6_T7_T9_mT8_S1C_bDpT10_ENKUlT_T0_E_clISt17integral_constantIbLb1EES1P_EEDaS1K_S1L_EUlS1K_E_NS1_11comp_targetILNS1_3genE2ELNS1_11target_archE906ELNS1_3gpuE6ELNS1_3repE0EEENS1_30default_config_static_selectorELNS0_4arch9wavefront6targetE1EEEvSY_,comdat
.Lfunc_end1096:
	.size	_ZN7rocprim17ROCPRIM_400000_NS6detail17trampoline_kernelINS0_13select_configILj256ELj13ELNS0_17block_load_methodE3ELS4_3ELS4_3ELNS0_20block_scan_algorithmE0ELj4294967295EEENS1_25partition_config_selectorILNS1_17partition_subalgoE3EjNS0_10empty_typeEbEEZZNS1_14partition_implILS8_3ELb0ES6_jNS0_17counting_iteratorIjlEEPS9_SE_NS0_5tupleIJPjSE_EEENSF_IJSE_SE_EEES9_SG_JZNS1_25segmented_radix_sort_implINS0_14default_configELb1EPKdPdPKlPlN2at6native12_GLOBAL__N_18offset_tEEE10hipError_tPvRmT1_PNSt15iterator_traitsISY_E10value_typeET2_T3_PNSZ_IS14_E10value_typeET4_jRbjT5_S1A_jjP12ihipStream_tbEUljE_EEESV_SW_SX_S14_S18_S1A_T6_T7_T9_mT8_S1C_bDpT10_ENKUlT_T0_E_clISt17integral_constantIbLb1EES1P_EEDaS1K_S1L_EUlS1K_E_NS1_11comp_targetILNS1_3genE2ELNS1_11target_archE906ELNS1_3gpuE6ELNS1_3repE0EEENS1_30default_config_static_selectorELNS0_4arch9wavefront6targetE1EEEvSY_, .Lfunc_end1096-_ZN7rocprim17ROCPRIM_400000_NS6detail17trampoline_kernelINS0_13select_configILj256ELj13ELNS0_17block_load_methodE3ELS4_3ELS4_3ELNS0_20block_scan_algorithmE0ELj4294967295EEENS1_25partition_config_selectorILNS1_17partition_subalgoE3EjNS0_10empty_typeEbEEZZNS1_14partition_implILS8_3ELb0ES6_jNS0_17counting_iteratorIjlEEPS9_SE_NS0_5tupleIJPjSE_EEENSF_IJSE_SE_EEES9_SG_JZNS1_25segmented_radix_sort_implINS0_14default_configELb1EPKdPdPKlPlN2at6native12_GLOBAL__N_18offset_tEEE10hipError_tPvRmT1_PNSt15iterator_traitsISY_E10value_typeET2_T3_PNSZ_IS14_E10value_typeET4_jRbjT5_S1A_jjP12ihipStream_tbEUljE_EEESV_SW_SX_S14_S18_S1A_T6_T7_T9_mT8_S1C_bDpT10_ENKUlT_T0_E_clISt17integral_constantIbLb1EES1P_EEDaS1K_S1L_EUlS1K_E_NS1_11comp_targetILNS1_3genE2ELNS1_11target_archE906ELNS1_3gpuE6ELNS1_3repE0EEENS1_30default_config_static_selectorELNS0_4arch9wavefront6targetE1EEEvSY_
                                        ; -- End function
	.section	.AMDGPU.csdata,"",@progbits
; Kernel info:
; codeLenInByte = 0
; NumSgprs: 4
; NumVgprs: 0
; NumAgprs: 0
; TotalNumVgprs: 0
; ScratchSize: 0
; MemoryBound: 0
; FloatMode: 240
; IeeeMode: 1
; LDSByteSize: 0 bytes/workgroup (compile time only)
; SGPRBlocks: 0
; VGPRBlocks: 0
; NumSGPRsForWavesPerEU: 4
; NumVGPRsForWavesPerEU: 1
; AccumOffset: 4
; Occupancy: 8
; WaveLimiterHint : 0
; COMPUTE_PGM_RSRC2:SCRATCH_EN: 0
; COMPUTE_PGM_RSRC2:USER_SGPR: 6
; COMPUTE_PGM_RSRC2:TRAP_HANDLER: 0
; COMPUTE_PGM_RSRC2:TGID_X_EN: 1
; COMPUTE_PGM_RSRC2:TGID_Y_EN: 0
; COMPUTE_PGM_RSRC2:TGID_Z_EN: 0
; COMPUTE_PGM_RSRC2:TIDIG_COMP_CNT: 0
; COMPUTE_PGM_RSRC3_GFX90A:ACCUM_OFFSET: 0
; COMPUTE_PGM_RSRC3_GFX90A:TG_SPLIT: 0
	.section	.text._ZN7rocprim17ROCPRIM_400000_NS6detail17trampoline_kernelINS0_13select_configILj256ELj13ELNS0_17block_load_methodE3ELS4_3ELS4_3ELNS0_20block_scan_algorithmE0ELj4294967295EEENS1_25partition_config_selectorILNS1_17partition_subalgoE3EjNS0_10empty_typeEbEEZZNS1_14partition_implILS8_3ELb0ES6_jNS0_17counting_iteratorIjlEEPS9_SE_NS0_5tupleIJPjSE_EEENSF_IJSE_SE_EEES9_SG_JZNS1_25segmented_radix_sort_implINS0_14default_configELb1EPKdPdPKlPlN2at6native12_GLOBAL__N_18offset_tEEE10hipError_tPvRmT1_PNSt15iterator_traitsISY_E10value_typeET2_T3_PNSZ_IS14_E10value_typeET4_jRbjT5_S1A_jjP12ihipStream_tbEUljE_EEESV_SW_SX_S14_S18_S1A_T6_T7_T9_mT8_S1C_bDpT10_ENKUlT_T0_E_clISt17integral_constantIbLb1EES1P_EEDaS1K_S1L_EUlS1K_E_NS1_11comp_targetILNS1_3genE10ELNS1_11target_archE1200ELNS1_3gpuE4ELNS1_3repE0EEENS1_30default_config_static_selectorELNS0_4arch9wavefront6targetE1EEEvSY_,"axG",@progbits,_ZN7rocprim17ROCPRIM_400000_NS6detail17trampoline_kernelINS0_13select_configILj256ELj13ELNS0_17block_load_methodE3ELS4_3ELS4_3ELNS0_20block_scan_algorithmE0ELj4294967295EEENS1_25partition_config_selectorILNS1_17partition_subalgoE3EjNS0_10empty_typeEbEEZZNS1_14partition_implILS8_3ELb0ES6_jNS0_17counting_iteratorIjlEEPS9_SE_NS0_5tupleIJPjSE_EEENSF_IJSE_SE_EEES9_SG_JZNS1_25segmented_radix_sort_implINS0_14default_configELb1EPKdPdPKlPlN2at6native12_GLOBAL__N_18offset_tEEE10hipError_tPvRmT1_PNSt15iterator_traitsISY_E10value_typeET2_T3_PNSZ_IS14_E10value_typeET4_jRbjT5_S1A_jjP12ihipStream_tbEUljE_EEESV_SW_SX_S14_S18_S1A_T6_T7_T9_mT8_S1C_bDpT10_ENKUlT_T0_E_clISt17integral_constantIbLb1EES1P_EEDaS1K_S1L_EUlS1K_E_NS1_11comp_targetILNS1_3genE10ELNS1_11target_archE1200ELNS1_3gpuE4ELNS1_3repE0EEENS1_30default_config_static_selectorELNS0_4arch9wavefront6targetE1EEEvSY_,comdat
	.globl	_ZN7rocprim17ROCPRIM_400000_NS6detail17trampoline_kernelINS0_13select_configILj256ELj13ELNS0_17block_load_methodE3ELS4_3ELS4_3ELNS0_20block_scan_algorithmE0ELj4294967295EEENS1_25partition_config_selectorILNS1_17partition_subalgoE3EjNS0_10empty_typeEbEEZZNS1_14partition_implILS8_3ELb0ES6_jNS0_17counting_iteratorIjlEEPS9_SE_NS0_5tupleIJPjSE_EEENSF_IJSE_SE_EEES9_SG_JZNS1_25segmented_radix_sort_implINS0_14default_configELb1EPKdPdPKlPlN2at6native12_GLOBAL__N_18offset_tEEE10hipError_tPvRmT1_PNSt15iterator_traitsISY_E10value_typeET2_T3_PNSZ_IS14_E10value_typeET4_jRbjT5_S1A_jjP12ihipStream_tbEUljE_EEESV_SW_SX_S14_S18_S1A_T6_T7_T9_mT8_S1C_bDpT10_ENKUlT_T0_E_clISt17integral_constantIbLb1EES1P_EEDaS1K_S1L_EUlS1K_E_NS1_11comp_targetILNS1_3genE10ELNS1_11target_archE1200ELNS1_3gpuE4ELNS1_3repE0EEENS1_30default_config_static_selectorELNS0_4arch9wavefront6targetE1EEEvSY_ ; -- Begin function _ZN7rocprim17ROCPRIM_400000_NS6detail17trampoline_kernelINS0_13select_configILj256ELj13ELNS0_17block_load_methodE3ELS4_3ELS4_3ELNS0_20block_scan_algorithmE0ELj4294967295EEENS1_25partition_config_selectorILNS1_17partition_subalgoE3EjNS0_10empty_typeEbEEZZNS1_14partition_implILS8_3ELb0ES6_jNS0_17counting_iteratorIjlEEPS9_SE_NS0_5tupleIJPjSE_EEENSF_IJSE_SE_EEES9_SG_JZNS1_25segmented_radix_sort_implINS0_14default_configELb1EPKdPdPKlPlN2at6native12_GLOBAL__N_18offset_tEEE10hipError_tPvRmT1_PNSt15iterator_traitsISY_E10value_typeET2_T3_PNSZ_IS14_E10value_typeET4_jRbjT5_S1A_jjP12ihipStream_tbEUljE_EEESV_SW_SX_S14_S18_S1A_T6_T7_T9_mT8_S1C_bDpT10_ENKUlT_T0_E_clISt17integral_constantIbLb1EES1P_EEDaS1K_S1L_EUlS1K_E_NS1_11comp_targetILNS1_3genE10ELNS1_11target_archE1200ELNS1_3gpuE4ELNS1_3repE0EEENS1_30default_config_static_selectorELNS0_4arch9wavefront6targetE1EEEvSY_
	.p2align	8
	.type	_ZN7rocprim17ROCPRIM_400000_NS6detail17trampoline_kernelINS0_13select_configILj256ELj13ELNS0_17block_load_methodE3ELS4_3ELS4_3ELNS0_20block_scan_algorithmE0ELj4294967295EEENS1_25partition_config_selectorILNS1_17partition_subalgoE3EjNS0_10empty_typeEbEEZZNS1_14partition_implILS8_3ELb0ES6_jNS0_17counting_iteratorIjlEEPS9_SE_NS0_5tupleIJPjSE_EEENSF_IJSE_SE_EEES9_SG_JZNS1_25segmented_radix_sort_implINS0_14default_configELb1EPKdPdPKlPlN2at6native12_GLOBAL__N_18offset_tEEE10hipError_tPvRmT1_PNSt15iterator_traitsISY_E10value_typeET2_T3_PNSZ_IS14_E10value_typeET4_jRbjT5_S1A_jjP12ihipStream_tbEUljE_EEESV_SW_SX_S14_S18_S1A_T6_T7_T9_mT8_S1C_bDpT10_ENKUlT_T0_E_clISt17integral_constantIbLb1EES1P_EEDaS1K_S1L_EUlS1K_E_NS1_11comp_targetILNS1_3genE10ELNS1_11target_archE1200ELNS1_3gpuE4ELNS1_3repE0EEENS1_30default_config_static_selectorELNS0_4arch9wavefront6targetE1EEEvSY_,@function
_ZN7rocprim17ROCPRIM_400000_NS6detail17trampoline_kernelINS0_13select_configILj256ELj13ELNS0_17block_load_methodE3ELS4_3ELS4_3ELNS0_20block_scan_algorithmE0ELj4294967295EEENS1_25partition_config_selectorILNS1_17partition_subalgoE3EjNS0_10empty_typeEbEEZZNS1_14partition_implILS8_3ELb0ES6_jNS0_17counting_iteratorIjlEEPS9_SE_NS0_5tupleIJPjSE_EEENSF_IJSE_SE_EEES9_SG_JZNS1_25segmented_radix_sort_implINS0_14default_configELb1EPKdPdPKlPlN2at6native12_GLOBAL__N_18offset_tEEE10hipError_tPvRmT1_PNSt15iterator_traitsISY_E10value_typeET2_T3_PNSZ_IS14_E10value_typeET4_jRbjT5_S1A_jjP12ihipStream_tbEUljE_EEESV_SW_SX_S14_S18_S1A_T6_T7_T9_mT8_S1C_bDpT10_ENKUlT_T0_E_clISt17integral_constantIbLb1EES1P_EEDaS1K_S1L_EUlS1K_E_NS1_11comp_targetILNS1_3genE10ELNS1_11target_archE1200ELNS1_3gpuE4ELNS1_3repE0EEENS1_30default_config_static_selectorELNS0_4arch9wavefront6targetE1EEEvSY_: ; @_ZN7rocprim17ROCPRIM_400000_NS6detail17trampoline_kernelINS0_13select_configILj256ELj13ELNS0_17block_load_methodE3ELS4_3ELS4_3ELNS0_20block_scan_algorithmE0ELj4294967295EEENS1_25partition_config_selectorILNS1_17partition_subalgoE3EjNS0_10empty_typeEbEEZZNS1_14partition_implILS8_3ELb0ES6_jNS0_17counting_iteratorIjlEEPS9_SE_NS0_5tupleIJPjSE_EEENSF_IJSE_SE_EEES9_SG_JZNS1_25segmented_radix_sort_implINS0_14default_configELb1EPKdPdPKlPlN2at6native12_GLOBAL__N_18offset_tEEE10hipError_tPvRmT1_PNSt15iterator_traitsISY_E10value_typeET2_T3_PNSZ_IS14_E10value_typeET4_jRbjT5_S1A_jjP12ihipStream_tbEUljE_EEESV_SW_SX_S14_S18_S1A_T6_T7_T9_mT8_S1C_bDpT10_ENKUlT_T0_E_clISt17integral_constantIbLb1EES1P_EEDaS1K_S1L_EUlS1K_E_NS1_11comp_targetILNS1_3genE10ELNS1_11target_archE1200ELNS1_3gpuE4ELNS1_3repE0EEENS1_30default_config_static_selectorELNS0_4arch9wavefront6targetE1EEEvSY_
; %bb.0:
	.section	.rodata,"a",@progbits
	.p2align	6, 0x0
	.amdhsa_kernel _ZN7rocprim17ROCPRIM_400000_NS6detail17trampoline_kernelINS0_13select_configILj256ELj13ELNS0_17block_load_methodE3ELS4_3ELS4_3ELNS0_20block_scan_algorithmE0ELj4294967295EEENS1_25partition_config_selectorILNS1_17partition_subalgoE3EjNS0_10empty_typeEbEEZZNS1_14partition_implILS8_3ELb0ES6_jNS0_17counting_iteratorIjlEEPS9_SE_NS0_5tupleIJPjSE_EEENSF_IJSE_SE_EEES9_SG_JZNS1_25segmented_radix_sort_implINS0_14default_configELb1EPKdPdPKlPlN2at6native12_GLOBAL__N_18offset_tEEE10hipError_tPvRmT1_PNSt15iterator_traitsISY_E10value_typeET2_T3_PNSZ_IS14_E10value_typeET4_jRbjT5_S1A_jjP12ihipStream_tbEUljE_EEESV_SW_SX_S14_S18_S1A_T6_T7_T9_mT8_S1C_bDpT10_ENKUlT_T0_E_clISt17integral_constantIbLb1EES1P_EEDaS1K_S1L_EUlS1K_E_NS1_11comp_targetILNS1_3genE10ELNS1_11target_archE1200ELNS1_3gpuE4ELNS1_3repE0EEENS1_30default_config_static_selectorELNS0_4arch9wavefront6targetE1EEEvSY_
		.amdhsa_group_segment_fixed_size 0
		.amdhsa_private_segment_fixed_size 0
		.amdhsa_kernarg_size 152
		.amdhsa_user_sgpr_count 6
		.amdhsa_user_sgpr_private_segment_buffer 1
		.amdhsa_user_sgpr_dispatch_ptr 0
		.amdhsa_user_sgpr_queue_ptr 0
		.amdhsa_user_sgpr_kernarg_segment_ptr 1
		.amdhsa_user_sgpr_dispatch_id 0
		.amdhsa_user_sgpr_flat_scratch_init 0
		.amdhsa_user_sgpr_kernarg_preload_length 0
		.amdhsa_user_sgpr_kernarg_preload_offset 0
		.amdhsa_user_sgpr_private_segment_size 0
		.amdhsa_uses_dynamic_stack 0
		.amdhsa_system_sgpr_private_segment_wavefront_offset 0
		.amdhsa_system_sgpr_workgroup_id_x 1
		.amdhsa_system_sgpr_workgroup_id_y 0
		.amdhsa_system_sgpr_workgroup_id_z 0
		.amdhsa_system_sgpr_workgroup_info 0
		.amdhsa_system_vgpr_workitem_id 0
		.amdhsa_next_free_vgpr 1
		.amdhsa_next_free_sgpr 0
		.amdhsa_accum_offset 4
		.amdhsa_reserve_vcc 0
		.amdhsa_reserve_flat_scratch 0
		.amdhsa_float_round_mode_32 0
		.amdhsa_float_round_mode_16_64 0
		.amdhsa_float_denorm_mode_32 3
		.amdhsa_float_denorm_mode_16_64 3
		.amdhsa_dx10_clamp 1
		.amdhsa_ieee_mode 1
		.amdhsa_fp16_overflow 0
		.amdhsa_tg_split 0
		.amdhsa_exception_fp_ieee_invalid_op 0
		.amdhsa_exception_fp_denorm_src 0
		.amdhsa_exception_fp_ieee_div_zero 0
		.amdhsa_exception_fp_ieee_overflow 0
		.amdhsa_exception_fp_ieee_underflow 0
		.amdhsa_exception_fp_ieee_inexact 0
		.amdhsa_exception_int_div_zero 0
	.end_amdhsa_kernel
	.section	.text._ZN7rocprim17ROCPRIM_400000_NS6detail17trampoline_kernelINS0_13select_configILj256ELj13ELNS0_17block_load_methodE3ELS4_3ELS4_3ELNS0_20block_scan_algorithmE0ELj4294967295EEENS1_25partition_config_selectorILNS1_17partition_subalgoE3EjNS0_10empty_typeEbEEZZNS1_14partition_implILS8_3ELb0ES6_jNS0_17counting_iteratorIjlEEPS9_SE_NS0_5tupleIJPjSE_EEENSF_IJSE_SE_EEES9_SG_JZNS1_25segmented_radix_sort_implINS0_14default_configELb1EPKdPdPKlPlN2at6native12_GLOBAL__N_18offset_tEEE10hipError_tPvRmT1_PNSt15iterator_traitsISY_E10value_typeET2_T3_PNSZ_IS14_E10value_typeET4_jRbjT5_S1A_jjP12ihipStream_tbEUljE_EEESV_SW_SX_S14_S18_S1A_T6_T7_T9_mT8_S1C_bDpT10_ENKUlT_T0_E_clISt17integral_constantIbLb1EES1P_EEDaS1K_S1L_EUlS1K_E_NS1_11comp_targetILNS1_3genE10ELNS1_11target_archE1200ELNS1_3gpuE4ELNS1_3repE0EEENS1_30default_config_static_selectorELNS0_4arch9wavefront6targetE1EEEvSY_,"axG",@progbits,_ZN7rocprim17ROCPRIM_400000_NS6detail17trampoline_kernelINS0_13select_configILj256ELj13ELNS0_17block_load_methodE3ELS4_3ELS4_3ELNS0_20block_scan_algorithmE0ELj4294967295EEENS1_25partition_config_selectorILNS1_17partition_subalgoE3EjNS0_10empty_typeEbEEZZNS1_14partition_implILS8_3ELb0ES6_jNS0_17counting_iteratorIjlEEPS9_SE_NS0_5tupleIJPjSE_EEENSF_IJSE_SE_EEES9_SG_JZNS1_25segmented_radix_sort_implINS0_14default_configELb1EPKdPdPKlPlN2at6native12_GLOBAL__N_18offset_tEEE10hipError_tPvRmT1_PNSt15iterator_traitsISY_E10value_typeET2_T3_PNSZ_IS14_E10value_typeET4_jRbjT5_S1A_jjP12ihipStream_tbEUljE_EEESV_SW_SX_S14_S18_S1A_T6_T7_T9_mT8_S1C_bDpT10_ENKUlT_T0_E_clISt17integral_constantIbLb1EES1P_EEDaS1K_S1L_EUlS1K_E_NS1_11comp_targetILNS1_3genE10ELNS1_11target_archE1200ELNS1_3gpuE4ELNS1_3repE0EEENS1_30default_config_static_selectorELNS0_4arch9wavefront6targetE1EEEvSY_,comdat
.Lfunc_end1097:
	.size	_ZN7rocprim17ROCPRIM_400000_NS6detail17trampoline_kernelINS0_13select_configILj256ELj13ELNS0_17block_load_methodE3ELS4_3ELS4_3ELNS0_20block_scan_algorithmE0ELj4294967295EEENS1_25partition_config_selectorILNS1_17partition_subalgoE3EjNS0_10empty_typeEbEEZZNS1_14partition_implILS8_3ELb0ES6_jNS0_17counting_iteratorIjlEEPS9_SE_NS0_5tupleIJPjSE_EEENSF_IJSE_SE_EEES9_SG_JZNS1_25segmented_radix_sort_implINS0_14default_configELb1EPKdPdPKlPlN2at6native12_GLOBAL__N_18offset_tEEE10hipError_tPvRmT1_PNSt15iterator_traitsISY_E10value_typeET2_T3_PNSZ_IS14_E10value_typeET4_jRbjT5_S1A_jjP12ihipStream_tbEUljE_EEESV_SW_SX_S14_S18_S1A_T6_T7_T9_mT8_S1C_bDpT10_ENKUlT_T0_E_clISt17integral_constantIbLb1EES1P_EEDaS1K_S1L_EUlS1K_E_NS1_11comp_targetILNS1_3genE10ELNS1_11target_archE1200ELNS1_3gpuE4ELNS1_3repE0EEENS1_30default_config_static_selectorELNS0_4arch9wavefront6targetE1EEEvSY_, .Lfunc_end1097-_ZN7rocprim17ROCPRIM_400000_NS6detail17trampoline_kernelINS0_13select_configILj256ELj13ELNS0_17block_load_methodE3ELS4_3ELS4_3ELNS0_20block_scan_algorithmE0ELj4294967295EEENS1_25partition_config_selectorILNS1_17partition_subalgoE3EjNS0_10empty_typeEbEEZZNS1_14partition_implILS8_3ELb0ES6_jNS0_17counting_iteratorIjlEEPS9_SE_NS0_5tupleIJPjSE_EEENSF_IJSE_SE_EEES9_SG_JZNS1_25segmented_radix_sort_implINS0_14default_configELb1EPKdPdPKlPlN2at6native12_GLOBAL__N_18offset_tEEE10hipError_tPvRmT1_PNSt15iterator_traitsISY_E10value_typeET2_T3_PNSZ_IS14_E10value_typeET4_jRbjT5_S1A_jjP12ihipStream_tbEUljE_EEESV_SW_SX_S14_S18_S1A_T6_T7_T9_mT8_S1C_bDpT10_ENKUlT_T0_E_clISt17integral_constantIbLb1EES1P_EEDaS1K_S1L_EUlS1K_E_NS1_11comp_targetILNS1_3genE10ELNS1_11target_archE1200ELNS1_3gpuE4ELNS1_3repE0EEENS1_30default_config_static_selectorELNS0_4arch9wavefront6targetE1EEEvSY_
                                        ; -- End function
	.section	.AMDGPU.csdata,"",@progbits
; Kernel info:
; codeLenInByte = 0
; NumSgprs: 4
; NumVgprs: 0
; NumAgprs: 0
; TotalNumVgprs: 0
; ScratchSize: 0
; MemoryBound: 0
; FloatMode: 240
; IeeeMode: 1
; LDSByteSize: 0 bytes/workgroup (compile time only)
; SGPRBlocks: 0
; VGPRBlocks: 0
; NumSGPRsForWavesPerEU: 4
; NumVGPRsForWavesPerEU: 1
; AccumOffset: 4
; Occupancy: 8
; WaveLimiterHint : 0
; COMPUTE_PGM_RSRC2:SCRATCH_EN: 0
; COMPUTE_PGM_RSRC2:USER_SGPR: 6
; COMPUTE_PGM_RSRC2:TRAP_HANDLER: 0
; COMPUTE_PGM_RSRC2:TGID_X_EN: 1
; COMPUTE_PGM_RSRC2:TGID_Y_EN: 0
; COMPUTE_PGM_RSRC2:TGID_Z_EN: 0
; COMPUTE_PGM_RSRC2:TIDIG_COMP_CNT: 0
; COMPUTE_PGM_RSRC3_GFX90A:ACCUM_OFFSET: 0
; COMPUTE_PGM_RSRC3_GFX90A:TG_SPLIT: 0
	.section	.text._ZN7rocprim17ROCPRIM_400000_NS6detail17trampoline_kernelINS0_13select_configILj256ELj13ELNS0_17block_load_methodE3ELS4_3ELS4_3ELNS0_20block_scan_algorithmE0ELj4294967295EEENS1_25partition_config_selectorILNS1_17partition_subalgoE3EjNS0_10empty_typeEbEEZZNS1_14partition_implILS8_3ELb0ES6_jNS0_17counting_iteratorIjlEEPS9_SE_NS0_5tupleIJPjSE_EEENSF_IJSE_SE_EEES9_SG_JZNS1_25segmented_radix_sort_implINS0_14default_configELb1EPKdPdPKlPlN2at6native12_GLOBAL__N_18offset_tEEE10hipError_tPvRmT1_PNSt15iterator_traitsISY_E10value_typeET2_T3_PNSZ_IS14_E10value_typeET4_jRbjT5_S1A_jjP12ihipStream_tbEUljE_EEESV_SW_SX_S14_S18_S1A_T6_T7_T9_mT8_S1C_bDpT10_ENKUlT_T0_E_clISt17integral_constantIbLb1EES1P_EEDaS1K_S1L_EUlS1K_E_NS1_11comp_targetILNS1_3genE9ELNS1_11target_archE1100ELNS1_3gpuE3ELNS1_3repE0EEENS1_30default_config_static_selectorELNS0_4arch9wavefront6targetE1EEEvSY_,"axG",@progbits,_ZN7rocprim17ROCPRIM_400000_NS6detail17trampoline_kernelINS0_13select_configILj256ELj13ELNS0_17block_load_methodE3ELS4_3ELS4_3ELNS0_20block_scan_algorithmE0ELj4294967295EEENS1_25partition_config_selectorILNS1_17partition_subalgoE3EjNS0_10empty_typeEbEEZZNS1_14partition_implILS8_3ELb0ES6_jNS0_17counting_iteratorIjlEEPS9_SE_NS0_5tupleIJPjSE_EEENSF_IJSE_SE_EEES9_SG_JZNS1_25segmented_radix_sort_implINS0_14default_configELb1EPKdPdPKlPlN2at6native12_GLOBAL__N_18offset_tEEE10hipError_tPvRmT1_PNSt15iterator_traitsISY_E10value_typeET2_T3_PNSZ_IS14_E10value_typeET4_jRbjT5_S1A_jjP12ihipStream_tbEUljE_EEESV_SW_SX_S14_S18_S1A_T6_T7_T9_mT8_S1C_bDpT10_ENKUlT_T0_E_clISt17integral_constantIbLb1EES1P_EEDaS1K_S1L_EUlS1K_E_NS1_11comp_targetILNS1_3genE9ELNS1_11target_archE1100ELNS1_3gpuE3ELNS1_3repE0EEENS1_30default_config_static_selectorELNS0_4arch9wavefront6targetE1EEEvSY_,comdat
	.globl	_ZN7rocprim17ROCPRIM_400000_NS6detail17trampoline_kernelINS0_13select_configILj256ELj13ELNS0_17block_load_methodE3ELS4_3ELS4_3ELNS0_20block_scan_algorithmE0ELj4294967295EEENS1_25partition_config_selectorILNS1_17partition_subalgoE3EjNS0_10empty_typeEbEEZZNS1_14partition_implILS8_3ELb0ES6_jNS0_17counting_iteratorIjlEEPS9_SE_NS0_5tupleIJPjSE_EEENSF_IJSE_SE_EEES9_SG_JZNS1_25segmented_radix_sort_implINS0_14default_configELb1EPKdPdPKlPlN2at6native12_GLOBAL__N_18offset_tEEE10hipError_tPvRmT1_PNSt15iterator_traitsISY_E10value_typeET2_T3_PNSZ_IS14_E10value_typeET4_jRbjT5_S1A_jjP12ihipStream_tbEUljE_EEESV_SW_SX_S14_S18_S1A_T6_T7_T9_mT8_S1C_bDpT10_ENKUlT_T0_E_clISt17integral_constantIbLb1EES1P_EEDaS1K_S1L_EUlS1K_E_NS1_11comp_targetILNS1_3genE9ELNS1_11target_archE1100ELNS1_3gpuE3ELNS1_3repE0EEENS1_30default_config_static_selectorELNS0_4arch9wavefront6targetE1EEEvSY_ ; -- Begin function _ZN7rocprim17ROCPRIM_400000_NS6detail17trampoline_kernelINS0_13select_configILj256ELj13ELNS0_17block_load_methodE3ELS4_3ELS4_3ELNS0_20block_scan_algorithmE0ELj4294967295EEENS1_25partition_config_selectorILNS1_17partition_subalgoE3EjNS0_10empty_typeEbEEZZNS1_14partition_implILS8_3ELb0ES6_jNS0_17counting_iteratorIjlEEPS9_SE_NS0_5tupleIJPjSE_EEENSF_IJSE_SE_EEES9_SG_JZNS1_25segmented_radix_sort_implINS0_14default_configELb1EPKdPdPKlPlN2at6native12_GLOBAL__N_18offset_tEEE10hipError_tPvRmT1_PNSt15iterator_traitsISY_E10value_typeET2_T3_PNSZ_IS14_E10value_typeET4_jRbjT5_S1A_jjP12ihipStream_tbEUljE_EEESV_SW_SX_S14_S18_S1A_T6_T7_T9_mT8_S1C_bDpT10_ENKUlT_T0_E_clISt17integral_constantIbLb1EES1P_EEDaS1K_S1L_EUlS1K_E_NS1_11comp_targetILNS1_3genE9ELNS1_11target_archE1100ELNS1_3gpuE3ELNS1_3repE0EEENS1_30default_config_static_selectorELNS0_4arch9wavefront6targetE1EEEvSY_
	.p2align	8
	.type	_ZN7rocprim17ROCPRIM_400000_NS6detail17trampoline_kernelINS0_13select_configILj256ELj13ELNS0_17block_load_methodE3ELS4_3ELS4_3ELNS0_20block_scan_algorithmE0ELj4294967295EEENS1_25partition_config_selectorILNS1_17partition_subalgoE3EjNS0_10empty_typeEbEEZZNS1_14partition_implILS8_3ELb0ES6_jNS0_17counting_iteratorIjlEEPS9_SE_NS0_5tupleIJPjSE_EEENSF_IJSE_SE_EEES9_SG_JZNS1_25segmented_radix_sort_implINS0_14default_configELb1EPKdPdPKlPlN2at6native12_GLOBAL__N_18offset_tEEE10hipError_tPvRmT1_PNSt15iterator_traitsISY_E10value_typeET2_T3_PNSZ_IS14_E10value_typeET4_jRbjT5_S1A_jjP12ihipStream_tbEUljE_EEESV_SW_SX_S14_S18_S1A_T6_T7_T9_mT8_S1C_bDpT10_ENKUlT_T0_E_clISt17integral_constantIbLb1EES1P_EEDaS1K_S1L_EUlS1K_E_NS1_11comp_targetILNS1_3genE9ELNS1_11target_archE1100ELNS1_3gpuE3ELNS1_3repE0EEENS1_30default_config_static_selectorELNS0_4arch9wavefront6targetE1EEEvSY_,@function
_ZN7rocprim17ROCPRIM_400000_NS6detail17trampoline_kernelINS0_13select_configILj256ELj13ELNS0_17block_load_methodE3ELS4_3ELS4_3ELNS0_20block_scan_algorithmE0ELj4294967295EEENS1_25partition_config_selectorILNS1_17partition_subalgoE3EjNS0_10empty_typeEbEEZZNS1_14partition_implILS8_3ELb0ES6_jNS0_17counting_iteratorIjlEEPS9_SE_NS0_5tupleIJPjSE_EEENSF_IJSE_SE_EEES9_SG_JZNS1_25segmented_radix_sort_implINS0_14default_configELb1EPKdPdPKlPlN2at6native12_GLOBAL__N_18offset_tEEE10hipError_tPvRmT1_PNSt15iterator_traitsISY_E10value_typeET2_T3_PNSZ_IS14_E10value_typeET4_jRbjT5_S1A_jjP12ihipStream_tbEUljE_EEESV_SW_SX_S14_S18_S1A_T6_T7_T9_mT8_S1C_bDpT10_ENKUlT_T0_E_clISt17integral_constantIbLb1EES1P_EEDaS1K_S1L_EUlS1K_E_NS1_11comp_targetILNS1_3genE9ELNS1_11target_archE1100ELNS1_3gpuE3ELNS1_3repE0EEENS1_30default_config_static_selectorELNS0_4arch9wavefront6targetE1EEEvSY_: ; @_ZN7rocprim17ROCPRIM_400000_NS6detail17trampoline_kernelINS0_13select_configILj256ELj13ELNS0_17block_load_methodE3ELS4_3ELS4_3ELNS0_20block_scan_algorithmE0ELj4294967295EEENS1_25partition_config_selectorILNS1_17partition_subalgoE3EjNS0_10empty_typeEbEEZZNS1_14partition_implILS8_3ELb0ES6_jNS0_17counting_iteratorIjlEEPS9_SE_NS0_5tupleIJPjSE_EEENSF_IJSE_SE_EEES9_SG_JZNS1_25segmented_radix_sort_implINS0_14default_configELb1EPKdPdPKlPlN2at6native12_GLOBAL__N_18offset_tEEE10hipError_tPvRmT1_PNSt15iterator_traitsISY_E10value_typeET2_T3_PNSZ_IS14_E10value_typeET4_jRbjT5_S1A_jjP12ihipStream_tbEUljE_EEESV_SW_SX_S14_S18_S1A_T6_T7_T9_mT8_S1C_bDpT10_ENKUlT_T0_E_clISt17integral_constantIbLb1EES1P_EEDaS1K_S1L_EUlS1K_E_NS1_11comp_targetILNS1_3genE9ELNS1_11target_archE1100ELNS1_3gpuE3ELNS1_3repE0EEENS1_30default_config_static_selectorELNS0_4arch9wavefront6targetE1EEEvSY_
; %bb.0:
	.section	.rodata,"a",@progbits
	.p2align	6, 0x0
	.amdhsa_kernel _ZN7rocprim17ROCPRIM_400000_NS6detail17trampoline_kernelINS0_13select_configILj256ELj13ELNS0_17block_load_methodE3ELS4_3ELS4_3ELNS0_20block_scan_algorithmE0ELj4294967295EEENS1_25partition_config_selectorILNS1_17partition_subalgoE3EjNS0_10empty_typeEbEEZZNS1_14partition_implILS8_3ELb0ES6_jNS0_17counting_iteratorIjlEEPS9_SE_NS0_5tupleIJPjSE_EEENSF_IJSE_SE_EEES9_SG_JZNS1_25segmented_radix_sort_implINS0_14default_configELb1EPKdPdPKlPlN2at6native12_GLOBAL__N_18offset_tEEE10hipError_tPvRmT1_PNSt15iterator_traitsISY_E10value_typeET2_T3_PNSZ_IS14_E10value_typeET4_jRbjT5_S1A_jjP12ihipStream_tbEUljE_EEESV_SW_SX_S14_S18_S1A_T6_T7_T9_mT8_S1C_bDpT10_ENKUlT_T0_E_clISt17integral_constantIbLb1EES1P_EEDaS1K_S1L_EUlS1K_E_NS1_11comp_targetILNS1_3genE9ELNS1_11target_archE1100ELNS1_3gpuE3ELNS1_3repE0EEENS1_30default_config_static_selectorELNS0_4arch9wavefront6targetE1EEEvSY_
		.amdhsa_group_segment_fixed_size 0
		.amdhsa_private_segment_fixed_size 0
		.amdhsa_kernarg_size 152
		.amdhsa_user_sgpr_count 6
		.amdhsa_user_sgpr_private_segment_buffer 1
		.amdhsa_user_sgpr_dispatch_ptr 0
		.amdhsa_user_sgpr_queue_ptr 0
		.amdhsa_user_sgpr_kernarg_segment_ptr 1
		.amdhsa_user_sgpr_dispatch_id 0
		.amdhsa_user_sgpr_flat_scratch_init 0
		.amdhsa_user_sgpr_kernarg_preload_length 0
		.amdhsa_user_sgpr_kernarg_preload_offset 0
		.amdhsa_user_sgpr_private_segment_size 0
		.amdhsa_uses_dynamic_stack 0
		.amdhsa_system_sgpr_private_segment_wavefront_offset 0
		.amdhsa_system_sgpr_workgroup_id_x 1
		.amdhsa_system_sgpr_workgroup_id_y 0
		.amdhsa_system_sgpr_workgroup_id_z 0
		.amdhsa_system_sgpr_workgroup_info 0
		.amdhsa_system_vgpr_workitem_id 0
		.amdhsa_next_free_vgpr 1
		.amdhsa_next_free_sgpr 0
		.amdhsa_accum_offset 4
		.amdhsa_reserve_vcc 0
		.amdhsa_reserve_flat_scratch 0
		.amdhsa_float_round_mode_32 0
		.amdhsa_float_round_mode_16_64 0
		.amdhsa_float_denorm_mode_32 3
		.amdhsa_float_denorm_mode_16_64 3
		.amdhsa_dx10_clamp 1
		.amdhsa_ieee_mode 1
		.amdhsa_fp16_overflow 0
		.amdhsa_tg_split 0
		.amdhsa_exception_fp_ieee_invalid_op 0
		.amdhsa_exception_fp_denorm_src 0
		.amdhsa_exception_fp_ieee_div_zero 0
		.amdhsa_exception_fp_ieee_overflow 0
		.amdhsa_exception_fp_ieee_underflow 0
		.amdhsa_exception_fp_ieee_inexact 0
		.amdhsa_exception_int_div_zero 0
	.end_amdhsa_kernel
	.section	.text._ZN7rocprim17ROCPRIM_400000_NS6detail17trampoline_kernelINS0_13select_configILj256ELj13ELNS0_17block_load_methodE3ELS4_3ELS4_3ELNS0_20block_scan_algorithmE0ELj4294967295EEENS1_25partition_config_selectorILNS1_17partition_subalgoE3EjNS0_10empty_typeEbEEZZNS1_14partition_implILS8_3ELb0ES6_jNS0_17counting_iteratorIjlEEPS9_SE_NS0_5tupleIJPjSE_EEENSF_IJSE_SE_EEES9_SG_JZNS1_25segmented_radix_sort_implINS0_14default_configELb1EPKdPdPKlPlN2at6native12_GLOBAL__N_18offset_tEEE10hipError_tPvRmT1_PNSt15iterator_traitsISY_E10value_typeET2_T3_PNSZ_IS14_E10value_typeET4_jRbjT5_S1A_jjP12ihipStream_tbEUljE_EEESV_SW_SX_S14_S18_S1A_T6_T7_T9_mT8_S1C_bDpT10_ENKUlT_T0_E_clISt17integral_constantIbLb1EES1P_EEDaS1K_S1L_EUlS1K_E_NS1_11comp_targetILNS1_3genE9ELNS1_11target_archE1100ELNS1_3gpuE3ELNS1_3repE0EEENS1_30default_config_static_selectorELNS0_4arch9wavefront6targetE1EEEvSY_,"axG",@progbits,_ZN7rocprim17ROCPRIM_400000_NS6detail17trampoline_kernelINS0_13select_configILj256ELj13ELNS0_17block_load_methodE3ELS4_3ELS4_3ELNS0_20block_scan_algorithmE0ELj4294967295EEENS1_25partition_config_selectorILNS1_17partition_subalgoE3EjNS0_10empty_typeEbEEZZNS1_14partition_implILS8_3ELb0ES6_jNS0_17counting_iteratorIjlEEPS9_SE_NS0_5tupleIJPjSE_EEENSF_IJSE_SE_EEES9_SG_JZNS1_25segmented_radix_sort_implINS0_14default_configELb1EPKdPdPKlPlN2at6native12_GLOBAL__N_18offset_tEEE10hipError_tPvRmT1_PNSt15iterator_traitsISY_E10value_typeET2_T3_PNSZ_IS14_E10value_typeET4_jRbjT5_S1A_jjP12ihipStream_tbEUljE_EEESV_SW_SX_S14_S18_S1A_T6_T7_T9_mT8_S1C_bDpT10_ENKUlT_T0_E_clISt17integral_constantIbLb1EES1P_EEDaS1K_S1L_EUlS1K_E_NS1_11comp_targetILNS1_3genE9ELNS1_11target_archE1100ELNS1_3gpuE3ELNS1_3repE0EEENS1_30default_config_static_selectorELNS0_4arch9wavefront6targetE1EEEvSY_,comdat
.Lfunc_end1098:
	.size	_ZN7rocprim17ROCPRIM_400000_NS6detail17trampoline_kernelINS0_13select_configILj256ELj13ELNS0_17block_load_methodE3ELS4_3ELS4_3ELNS0_20block_scan_algorithmE0ELj4294967295EEENS1_25partition_config_selectorILNS1_17partition_subalgoE3EjNS0_10empty_typeEbEEZZNS1_14partition_implILS8_3ELb0ES6_jNS0_17counting_iteratorIjlEEPS9_SE_NS0_5tupleIJPjSE_EEENSF_IJSE_SE_EEES9_SG_JZNS1_25segmented_radix_sort_implINS0_14default_configELb1EPKdPdPKlPlN2at6native12_GLOBAL__N_18offset_tEEE10hipError_tPvRmT1_PNSt15iterator_traitsISY_E10value_typeET2_T3_PNSZ_IS14_E10value_typeET4_jRbjT5_S1A_jjP12ihipStream_tbEUljE_EEESV_SW_SX_S14_S18_S1A_T6_T7_T9_mT8_S1C_bDpT10_ENKUlT_T0_E_clISt17integral_constantIbLb1EES1P_EEDaS1K_S1L_EUlS1K_E_NS1_11comp_targetILNS1_3genE9ELNS1_11target_archE1100ELNS1_3gpuE3ELNS1_3repE0EEENS1_30default_config_static_selectorELNS0_4arch9wavefront6targetE1EEEvSY_, .Lfunc_end1098-_ZN7rocprim17ROCPRIM_400000_NS6detail17trampoline_kernelINS0_13select_configILj256ELj13ELNS0_17block_load_methodE3ELS4_3ELS4_3ELNS0_20block_scan_algorithmE0ELj4294967295EEENS1_25partition_config_selectorILNS1_17partition_subalgoE3EjNS0_10empty_typeEbEEZZNS1_14partition_implILS8_3ELb0ES6_jNS0_17counting_iteratorIjlEEPS9_SE_NS0_5tupleIJPjSE_EEENSF_IJSE_SE_EEES9_SG_JZNS1_25segmented_radix_sort_implINS0_14default_configELb1EPKdPdPKlPlN2at6native12_GLOBAL__N_18offset_tEEE10hipError_tPvRmT1_PNSt15iterator_traitsISY_E10value_typeET2_T3_PNSZ_IS14_E10value_typeET4_jRbjT5_S1A_jjP12ihipStream_tbEUljE_EEESV_SW_SX_S14_S18_S1A_T6_T7_T9_mT8_S1C_bDpT10_ENKUlT_T0_E_clISt17integral_constantIbLb1EES1P_EEDaS1K_S1L_EUlS1K_E_NS1_11comp_targetILNS1_3genE9ELNS1_11target_archE1100ELNS1_3gpuE3ELNS1_3repE0EEENS1_30default_config_static_selectorELNS0_4arch9wavefront6targetE1EEEvSY_
                                        ; -- End function
	.section	.AMDGPU.csdata,"",@progbits
; Kernel info:
; codeLenInByte = 0
; NumSgprs: 4
; NumVgprs: 0
; NumAgprs: 0
; TotalNumVgprs: 0
; ScratchSize: 0
; MemoryBound: 0
; FloatMode: 240
; IeeeMode: 1
; LDSByteSize: 0 bytes/workgroup (compile time only)
; SGPRBlocks: 0
; VGPRBlocks: 0
; NumSGPRsForWavesPerEU: 4
; NumVGPRsForWavesPerEU: 1
; AccumOffset: 4
; Occupancy: 8
; WaveLimiterHint : 0
; COMPUTE_PGM_RSRC2:SCRATCH_EN: 0
; COMPUTE_PGM_RSRC2:USER_SGPR: 6
; COMPUTE_PGM_RSRC2:TRAP_HANDLER: 0
; COMPUTE_PGM_RSRC2:TGID_X_EN: 1
; COMPUTE_PGM_RSRC2:TGID_Y_EN: 0
; COMPUTE_PGM_RSRC2:TGID_Z_EN: 0
; COMPUTE_PGM_RSRC2:TIDIG_COMP_CNT: 0
; COMPUTE_PGM_RSRC3_GFX90A:ACCUM_OFFSET: 0
; COMPUTE_PGM_RSRC3_GFX90A:TG_SPLIT: 0
	.section	.text._ZN7rocprim17ROCPRIM_400000_NS6detail17trampoline_kernelINS0_13select_configILj256ELj13ELNS0_17block_load_methodE3ELS4_3ELS4_3ELNS0_20block_scan_algorithmE0ELj4294967295EEENS1_25partition_config_selectorILNS1_17partition_subalgoE3EjNS0_10empty_typeEbEEZZNS1_14partition_implILS8_3ELb0ES6_jNS0_17counting_iteratorIjlEEPS9_SE_NS0_5tupleIJPjSE_EEENSF_IJSE_SE_EEES9_SG_JZNS1_25segmented_radix_sort_implINS0_14default_configELb1EPKdPdPKlPlN2at6native12_GLOBAL__N_18offset_tEEE10hipError_tPvRmT1_PNSt15iterator_traitsISY_E10value_typeET2_T3_PNSZ_IS14_E10value_typeET4_jRbjT5_S1A_jjP12ihipStream_tbEUljE_EEESV_SW_SX_S14_S18_S1A_T6_T7_T9_mT8_S1C_bDpT10_ENKUlT_T0_E_clISt17integral_constantIbLb1EES1P_EEDaS1K_S1L_EUlS1K_E_NS1_11comp_targetILNS1_3genE8ELNS1_11target_archE1030ELNS1_3gpuE2ELNS1_3repE0EEENS1_30default_config_static_selectorELNS0_4arch9wavefront6targetE1EEEvSY_,"axG",@progbits,_ZN7rocprim17ROCPRIM_400000_NS6detail17trampoline_kernelINS0_13select_configILj256ELj13ELNS0_17block_load_methodE3ELS4_3ELS4_3ELNS0_20block_scan_algorithmE0ELj4294967295EEENS1_25partition_config_selectorILNS1_17partition_subalgoE3EjNS0_10empty_typeEbEEZZNS1_14partition_implILS8_3ELb0ES6_jNS0_17counting_iteratorIjlEEPS9_SE_NS0_5tupleIJPjSE_EEENSF_IJSE_SE_EEES9_SG_JZNS1_25segmented_radix_sort_implINS0_14default_configELb1EPKdPdPKlPlN2at6native12_GLOBAL__N_18offset_tEEE10hipError_tPvRmT1_PNSt15iterator_traitsISY_E10value_typeET2_T3_PNSZ_IS14_E10value_typeET4_jRbjT5_S1A_jjP12ihipStream_tbEUljE_EEESV_SW_SX_S14_S18_S1A_T6_T7_T9_mT8_S1C_bDpT10_ENKUlT_T0_E_clISt17integral_constantIbLb1EES1P_EEDaS1K_S1L_EUlS1K_E_NS1_11comp_targetILNS1_3genE8ELNS1_11target_archE1030ELNS1_3gpuE2ELNS1_3repE0EEENS1_30default_config_static_selectorELNS0_4arch9wavefront6targetE1EEEvSY_,comdat
	.globl	_ZN7rocprim17ROCPRIM_400000_NS6detail17trampoline_kernelINS0_13select_configILj256ELj13ELNS0_17block_load_methodE3ELS4_3ELS4_3ELNS0_20block_scan_algorithmE0ELj4294967295EEENS1_25partition_config_selectorILNS1_17partition_subalgoE3EjNS0_10empty_typeEbEEZZNS1_14partition_implILS8_3ELb0ES6_jNS0_17counting_iteratorIjlEEPS9_SE_NS0_5tupleIJPjSE_EEENSF_IJSE_SE_EEES9_SG_JZNS1_25segmented_radix_sort_implINS0_14default_configELb1EPKdPdPKlPlN2at6native12_GLOBAL__N_18offset_tEEE10hipError_tPvRmT1_PNSt15iterator_traitsISY_E10value_typeET2_T3_PNSZ_IS14_E10value_typeET4_jRbjT5_S1A_jjP12ihipStream_tbEUljE_EEESV_SW_SX_S14_S18_S1A_T6_T7_T9_mT8_S1C_bDpT10_ENKUlT_T0_E_clISt17integral_constantIbLb1EES1P_EEDaS1K_S1L_EUlS1K_E_NS1_11comp_targetILNS1_3genE8ELNS1_11target_archE1030ELNS1_3gpuE2ELNS1_3repE0EEENS1_30default_config_static_selectorELNS0_4arch9wavefront6targetE1EEEvSY_ ; -- Begin function _ZN7rocprim17ROCPRIM_400000_NS6detail17trampoline_kernelINS0_13select_configILj256ELj13ELNS0_17block_load_methodE3ELS4_3ELS4_3ELNS0_20block_scan_algorithmE0ELj4294967295EEENS1_25partition_config_selectorILNS1_17partition_subalgoE3EjNS0_10empty_typeEbEEZZNS1_14partition_implILS8_3ELb0ES6_jNS0_17counting_iteratorIjlEEPS9_SE_NS0_5tupleIJPjSE_EEENSF_IJSE_SE_EEES9_SG_JZNS1_25segmented_radix_sort_implINS0_14default_configELb1EPKdPdPKlPlN2at6native12_GLOBAL__N_18offset_tEEE10hipError_tPvRmT1_PNSt15iterator_traitsISY_E10value_typeET2_T3_PNSZ_IS14_E10value_typeET4_jRbjT5_S1A_jjP12ihipStream_tbEUljE_EEESV_SW_SX_S14_S18_S1A_T6_T7_T9_mT8_S1C_bDpT10_ENKUlT_T0_E_clISt17integral_constantIbLb1EES1P_EEDaS1K_S1L_EUlS1K_E_NS1_11comp_targetILNS1_3genE8ELNS1_11target_archE1030ELNS1_3gpuE2ELNS1_3repE0EEENS1_30default_config_static_selectorELNS0_4arch9wavefront6targetE1EEEvSY_
	.p2align	8
	.type	_ZN7rocprim17ROCPRIM_400000_NS6detail17trampoline_kernelINS0_13select_configILj256ELj13ELNS0_17block_load_methodE3ELS4_3ELS4_3ELNS0_20block_scan_algorithmE0ELj4294967295EEENS1_25partition_config_selectorILNS1_17partition_subalgoE3EjNS0_10empty_typeEbEEZZNS1_14partition_implILS8_3ELb0ES6_jNS0_17counting_iteratorIjlEEPS9_SE_NS0_5tupleIJPjSE_EEENSF_IJSE_SE_EEES9_SG_JZNS1_25segmented_radix_sort_implINS0_14default_configELb1EPKdPdPKlPlN2at6native12_GLOBAL__N_18offset_tEEE10hipError_tPvRmT1_PNSt15iterator_traitsISY_E10value_typeET2_T3_PNSZ_IS14_E10value_typeET4_jRbjT5_S1A_jjP12ihipStream_tbEUljE_EEESV_SW_SX_S14_S18_S1A_T6_T7_T9_mT8_S1C_bDpT10_ENKUlT_T0_E_clISt17integral_constantIbLb1EES1P_EEDaS1K_S1L_EUlS1K_E_NS1_11comp_targetILNS1_3genE8ELNS1_11target_archE1030ELNS1_3gpuE2ELNS1_3repE0EEENS1_30default_config_static_selectorELNS0_4arch9wavefront6targetE1EEEvSY_,@function
_ZN7rocprim17ROCPRIM_400000_NS6detail17trampoline_kernelINS0_13select_configILj256ELj13ELNS0_17block_load_methodE3ELS4_3ELS4_3ELNS0_20block_scan_algorithmE0ELj4294967295EEENS1_25partition_config_selectorILNS1_17partition_subalgoE3EjNS0_10empty_typeEbEEZZNS1_14partition_implILS8_3ELb0ES6_jNS0_17counting_iteratorIjlEEPS9_SE_NS0_5tupleIJPjSE_EEENSF_IJSE_SE_EEES9_SG_JZNS1_25segmented_radix_sort_implINS0_14default_configELb1EPKdPdPKlPlN2at6native12_GLOBAL__N_18offset_tEEE10hipError_tPvRmT1_PNSt15iterator_traitsISY_E10value_typeET2_T3_PNSZ_IS14_E10value_typeET4_jRbjT5_S1A_jjP12ihipStream_tbEUljE_EEESV_SW_SX_S14_S18_S1A_T6_T7_T9_mT8_S1C_bDpT10_ENKUlT_T0_E_clISt17integral_constantIbLb1EES1P_EEDaS1K_S1L_EUlS1K_E_NS1_11comp_targetILNS1_3genE8ELNS1_11target_archE1030ELNS1_3gpuE2ELNS1_3repE0EEENS1_30default_config_static_selectorELNS0_4arch9wavefront6targetE1EEEvSY_: ; @_ZN7rocprim17ROCPRIM_400000_NS6detail17trampoline_kernelINS0_13select_configILj256ELj13ELNS0_17block_load_methodE3ELS4_3ELS4_3ELNS0_20block_scan_algorithmE0ELj4294967295EEENS1_25partition_config_selectorILNS1_17partition_subalgoE3EjNS0_10empty_typeEbEEZZNS1_14partition_implILS8_3ELb0ES6_jNS0_17counting_iteratorIjlEEPS9_SE_NS0_5tupleIJPjSE_EEENSF_IJSE_SE_EEES9_SG_JZNS1_25segmented_radix_sort_implINS0_14default_configELb1EPKdPdPKlPlN2at6native12_GLOBAL__N_18offset_tEEE10hipError_tPvRmT1_PNSt15iterator_traitsISY_E10value_typeET2_T3_PNSZ_IS14_E10value_typeET4_jRbjT5_S1A_jjP12ihipStream_tbEUljE_EEESV_SW_SX_S14_S18_S1A_T6_T7_T9_mT8_S1C_bDpT10_ENKUlT_T0_E_clISt17integral_constantIbLb1EES1P_EEDaS1K_S1L_EUlS1K_E_NS1_11comp_targetILNS1_3genE8ELNS1_11target_archE1030ELNS1_3gpuE2ELNS1_3repE0EEENS1_30default_config_static_selectorELNS0_4arch9wavefront6targetE1EEEvSY_
; %bb.0:
	.section	.rodata,"a",@progbits
	.p2align	6, 0x0
	.amdhsa_kernel _ZN7rocprim17ROCPRIM_400000_NS6detail17trampoline_kernelINS0_13select_configILj256ELj13ELNS0_17block_load_methodE3ELS4_3ELS4_3ELNS0_20block_scan_algorithmE0ELj4294967295EEENS1_25partition_config_selectorILNS1_17partition_subalgoE3EjNS0_10empty_typeEbEEZZNS1_14partition_implILS8_3ELb0ES6_jNS0_17counting_iteratorIjlEEPS9_SE_NS0_5tupleIJPjSE_EEENSF_IJSE_SE_EEES9_SG_JZNS1_25segmented_radix_sort_implINS0_14default_configELb1EPKdPdPKlPlN2at6native12_GLOBAL__N_18offset_tEEE10hipError_tPvRmT1_PNSt15iterator_traitsISY_E10value_typeET2_T3_PNSZ_IS14_E10value_typeET4_jRbjT5_S1A_jjP12ihipStream_tbEUljE_EEESV_SW_SX_S14_S18_S1A_T6_T7_T9_mT8_S1C_bDpT10_ENKUlT_T0_E_clISt17integral_constantIbLb1EES1P_EEDaS1K_S1L_EUlS1K_E_NS1_11comp_targetILNS1_3genE8ELNS1_11target_archE1030ELNS1_3gpuE2ELNS1_3repE0EEENS1_30default_config_static_selectorELNS0_4arch9wavefront6targetE1EEEvSY_
		.amdhsa_group_segment_fixed_size 0
		.amdhsa_private_segment_fixed_size 0
		.amdhsa_kernarg_size 152
		.amdhsa_user_sgpr_count 6
		.amdhsa_user_sgpr_private_segment_buffer 1
		.amdhsa_user_sgpr_dispatch_ptr 0
		.amdhsa_user_sgpr_queue_ptr 0
		.amdhsa_user_sgpr_kernarg_segment_ptr 1
		.amdhsa_user_sgpr_dispatch_id 0
		.amdhsa_user_sgpr_flat_scratch_init 0
		.amdhsa_user_sgpr_kernarg_preload_length 0
		.amdhsa_user_sgpr_kernarg_preload_offset 0
		.amdhsa_user_sgpr_private_segment_size 0
		.amdhsa_uses_dynamic_stack 0
		.amdhsa_system_sgpr_private_segment_wavefront_offset 0
		.amdhsa_system_sgpr_workgroup_id_x 1
		.amdhsa_system_sgpr_workgroup_id_y 0
		.amdhsa_system_sgpr_workgroup_id_z 0
		.amdhsa_system_sgpr_workgroup_info 0
		.amdhsa_system_vgpr_workitem_id 0
		.amdhsa_next_free_vgpr 1
		.amdhsa_next_free_sgpr 0
		.amdhsa_accum_offset 4
		.amdhsa_reserve_vcc 0
		.amdhsa_reserve_flat_scratch 0
		.amdhsa_float_round_mode_32 0
		.amdhsa_float_round_mode_16_64 0
		.amdhsa_float_denorm_mode_32 3
		.amdhsa_float_denorm_mode_16_64 3
		.amdhsa_dx10_clamp 1
		.amdhsa_ieee_mode 1
		.amdhsa_fp16_overflow 0
		.amdhsa_tg_split 0
		.amdhsa_exception_fp_ieee_invalid_op 0
		.amdhsa_exception_fp_denorm_src 0
		.amdhsa_exception_fp_ieee_div_zero 0
		.amdhsa_exception_fp_ieee_overflow 0
		.amdhsa_exception_fp_ieee_underflow 0
		.amdhsa_exception_fp_ieee_inexact 0
		.amdhsa_exception_int_div_zero 0
	.end_amdhsa_kernel
	.section	.text._ZN7rocprim17ROCPRIM_400000_NS6detail17trampoline_kernelINS0_13select_configILj256ELj13ELNS0_17block_load_methodE3ELS4_3ELS4_3ELNS0_20block_scan_algorithmE0ELj4294967295EEENS1_25partition_config_selectorILNS1_17partition_subalgoE3EjNS0_10empty_typeEbEEZZNS1_14partition_implILS8_3ELb0ES6_jNS0_17counting_iteratorIjlEEPS9_SE_NS0_5tupleIJPjSE_EEENSF_IJSE_SE_EEES9_SG_JZNS1_25segmented_radix_sort_implINS0_14default_configELb1EPKdPdPKlPlN2at6native12_GLOBAL__N_18offset_tEEE10hipError_tPvRmT1_PNSt15iterator_traitsISY_E10value_typeET2_T3_PNSZ_IS14_E10value_typeET4_jRbjT5_S1A_jjP12ihipStream_tbEUljE_EEESV_SW_SX_S14_S18_S1A_T6_T7_T9_mT8_S1C_bDpT10_ENKUlT_T0_E_clISt17integral_constantIbLb1EES1P_EEDaS1K_S1L_EUlS1K_E_NS1_11comp_targetILNS1_3genE8ELNS1_11target_archE1030ELNS1_3gpuE2ELNS1_3repE0EEENS1_30default_config_static_selectorELNS0_4arch9wavefront6targetE1EEEvSY_,"axG",@progbits,_ZN7rocprim17ROCPRIM_400000_NS6detail17trampoline_kernelINS0_13select_configILj256ELj13ELNS0_17block_load_methodE3ELS4_3ELS4_3ELNS0_20block_scan_algorithmE0ELj4294967295EEENS1_25partition_config_selectorILNS1_17partition_subalgoE3EjNS0_10empty_typeEbEEZZNS1_14partition_implILS8_3ELb0ES6_jNS0_17counting_iteratorIjlEEPS9_SE_NS0_5tupleIJPjSE_EEENSF_IJSE_SE_EEES9_SG_JZNS1_25segmented_radix_sort_implINS0_14default_configELb1EPKdPdPKlPlN2at6native12_GLOBAL__N_18offset_tEEE10hipError_tPvRmT1_PNSt15iterator_traitsISY_E10value_typeET2_T3_PNSZ_IS14_E10value_typeET4_jRbjT5_S1A_jjP12ihipStream_tbEUljE_EEESV_SW_SX_S14_S18_S1A_T6_T7_T9_mT8_S1C_bDpT10_ENKUlT_T0_E_clISt17integral_constantIbLb1EES1P_EEDaS1K_S1L_EUlS1K_E_NS1_11comp_targetILNS1_3genE8ELNS1_11target_archE1030ELNS1_3gpuE2ELNS1_3repE0EEENS1_30default_config_static_selectorELNS0_4arch9wavefront6targetE1EEEvSY_,comdat
.Lfunc_end1099:
	.size	_ZN7rocprim17ROCPRIM_400000_NS6detail17trampoline_kernelINS0_13select_configILj256ELj13ELNS0_17block_load_methodE3ELS4_3ELS4_3ELNS0_20block_scan_algorithmE0ELj4294967295EEENS1_25partition_config_selectorILNS1_17partition_subalgoE3EjNS0_10empty_typeEbEEZZNS1_14partition_implILS8_3ELb0ES6_jNS0_17counting_iteratorIjlEEPS9_SE_NS0_5tupleIJPjSE_EEENSF_IJSE_SE_EEES9_SG_JZNS1_25segmented_radix_sort_implINS0_14default_configELb1EPKdPdPKlPlN2at6native12_GLOBAL__N_18offset_tEEE10hipError_tPvRmT1_PNSt15iterator_traitsISY_E10value_typeET2_T3_PNSZ_IS14_E10value_typeET4_jRbjT5_S1A_jjP12ihipStream_tbEUljE_EEESV_SW_SX_S14_S18_S1A_T6_T7_T9_mT8_S1C_bDpT10_ENKUlT_T0_E_clISt17integral_constantIbLb1EES1P_EEDaS1K_S1L_EUlS1K_E_NS1_11comp_targetILNS1_3genE8ELNS1_11target_archE1030ELNS1_3gpuE2ELNS1_3repE0EEENS1_30default_config_static_selectorELNS0_4arch9wavefront6targetE1EEEvSY_, .Lfunc_end1099-_ZN7rocprim17ROCPRIM_400000_NS6detail17trampoline_kernelINS0_13select_configILj256ELj13ELNS0_17block_load_methodE3ELS4_3ELS4_3ELNS0_20block_scan_algorithmE0ELj4294967295EEENS1_25partition_config_selectorILNS1_17partition_subalgoE3EjNS0_10empty_typeEbEEZZNS1_14partition_implILS8_3ELb0ES6_jNS0_17counting_iteratorIjlEEPS9_SE_NS0_5tupleIJPjSE_EEENSF_IJSE_SE_EEES9_SG_JZNS1_25segmented_radix_sort_implINS0_14default_configELb1EPKdPdPKlPlN2at6native12_GLOBAL__N_18offset_tEEE10hipError_tPvRmT1_PNSt15iterator_traitsISY_E10value_typeET2_T3_PNSZ_IS14_E10value_typeET4_jRbjT5_S1A_jjP12ihipStream_tbEUljE_EEESV_SW_SX_S14_S18_S1A_T6_T7_T9_mT8_S1C_bDpT10_ENKUlT_T0_E_clISt17integral_constantIbLb1EES1P_EEDaS1K_S1L_EUlS1K_E_NS1_11comp_targetILNS1_3genE8ELNS1_11target_archE1030ELNS1_3gpuE2ELNS1_3repE0EEENS1_30default_config_static_selectorELNS0_4arch9wavefront6targetE1EEEvSY_
                                        ; -- End function
	.section	.AMDGPU.csdata,"",@progbits
; Kernel info:
; codeLenInByte = 0
; NumSgprs: 4
; NumVgprs: 0
; NumAgprs: 0
; TotalNumVgprs: 0
; ScratchSize: 0
; MemoryBound: 0
; FloatMode: 240
; IeeeMode: 1
; LDSByteSize: 0 bytes/workgroup (compile time only)
; SGPRBlocks: 0
; VGPRBlocks: 0
; NumSGPRsForWavesPerEU: 4
; NumVGPRsForWavesPerEU: 1
; AccumOffset: 4
; Occupancy: 8
; WaveLimiterHint : 0
; COMPUTE_PGM_RSRC2:SCRATCH_EN: 0
; COMPUTE_PGM_RSRC2:USER_SGPR: 6
; COMPUTE_PGM_RSRC2:TRAP_HANDLER: 0
; COMPUTE_PGM_RSRC2:TGID_X_EN: 1
; COMPUTE_PGM_RSRC2:TGID_Y_EN: 0
; COMPUTE_PGM_RSRC2:TGID_Z_EN: 0
; COMPUTE_PGM_RSRC2:TIDIG_COMP_CNT: 0
; COMPUTE_PGM_RSRC3_GFX90A:ACCUM_OFFSET: 0
; COMPUTE_PGM_RSRC3_GFX90A:TG_SPLIT: 0
	.section	.text._ZN7rocprim17ROCPRIM_400000_NS6detail17trampoline_kernelINS0_13select_configILj256ELj13ELNS0_17block_load_methodE3ELS4_3ELS4_3ELNS0_20block_scan_algorithmE0ELj4294967295EEENS1_25partition_config_selectorILNS1_17partition_subalgoE3EjNS0_10empty_typeEbEEZZNS1_14partition_implILS8_3ELb0ES6_jNS0_17counting_iteratorIjlEEPS9_SE_NS0_5tupleIJPjSE_EEENSF_IJSE_SE_EEES9_SG_JZNS1_25segmented_radix_sort_implINS0_14default_configELb1EPKdPdPKlPlN2at6native12_GLOBAL__N_18offset_tEEE10hipError_tPvRmT1_PNSt15iterator_traitsISY_E10value_typeET2_T3_PNSZ_IS14_E10value_typeET4_jRbjT5_S1A_jjP12ihipStream_tbEUljE_EEESV_SW_SX_S14_S18_S1A_T6_T7_T9_mT8_S1C_bDpT10_ENKUlT_T0_E_clISt17integral_constantIbLb1EES1O_IbLb0EEEEDaS1K_S1L_EUlS1K_E_NS1_11comp_targetILNS1_3genE0ELNS1_11target_archE4294967295ELNS1_3gpuE0ELNS1_3repE0EEENS1_30default_config_static_selectorELNS0_4arch9wavefront6targetE1EEEvSY_,"axG",@progbits,_ZN7rocprim17ROCPRIM_400000_NS6detail17trampoline_kernelINS0_13select_configILj256ELj13ELNS0_17block_load_methodE3ELS4_3ELS4_3ELNS0_20block_scan_algorithmE0ELj4294967295EEENS1_25partition_config_selectorILNS1_17partition_subalgoE3EjNS0_10empty_typeEbEEZZNS1_14partition_implILS8_3ELb0ES6_jNS0_17counting_iteratorIjlEEPS9_SE_NS0_5tupleIJPjSE_EEENSF_IJSE_SE_EEES9_SG_JZNS1_25segmented_radix_sort_implINS0_14default_configELb1EPKdPdPKlPlN2at6native12_GLOBAL__N_18offset_tEEE10hipError_tPvRmT1_PNSt15iterator_traitsISY_E10value_typeET2_T3_PNSZ_IS14_E10value_typeET4_jRbjT5_S1A_jjP12ihipStream_tbEUljE_EEESV_SW_SX_S14_S18_S1A_T6_T7_T9_mT8_S1C_bDpT10_ENKUlT_T0_E_clISt17integral_constantIbLb1EES1O_IbLb0EEEEDaS1K_S1L_EUlS1K_E_NS1_11comp_targetILNS1_3genE0ELNS1_11target_archE4294967295ELNS1_3gpuE0ELNS1_3repE0EEENS1_30default_config_static_selectorELNS0_4arch9wavefront6targetE1EEEvSY_,comdat
	.globl	_ZN7rocprim17ROCPRIM_400000_NS6detail17trampoline_kernelINS0_13select_configILj256ELj13ELNS0_17block_load_methodE3ELS4_3ELS4_3ELNS0_20block_scan_algorithmE0ELj4294967295EEENS1_25partition_config_selectorILNS1_17partition_subalgoE3EjNS0_10empty_typeEbEEZZNS1_14partition_implILS8_3ELb0ES6_jNS0_17counting_iteratorIjlEEPS9_SE_NS0_5tupleIJPjSE_EEENSF_IJSE_SE_EEES9_SG_JZNS1_25segmented_radix_sort_implINS0_14default_configELb1EPKdPdPKlPlN2at6native12_GLOBAL__N_18offset_tEEE10hipError_tPvRmT1_PNSt15iterator_traitsISY_E10value_typeET2_T3_PNSZ_IS14_E10value_typeET4_jRbjT5_S1A_jjP12ihipStream_tbEUljE_EEESV_SW_SX_S14_S18_S1A_T6_T7_T9_mT8_S1C_bDpT10_ENKUlT_T0_E_clISt17integral_constantIbLb1EES1O_IbLb0EEEEDaS1K_S1L_EUlS1K_E_NS1_11comp_targetILNS1_3genE0ELNS1_11target_archE4294967295ELNS1_3gpuE0ELNS1_3repE0EEENS1_30default_config_static_selectorELNS0_4arch9wavefront6targetE1EEEvSY_ ; -- Begin function _ZN7rocprim17ROCPRIM_400000_NS6detail17trampoline_kernelINS0_13select_configILj256ELj13ELNS0_17block_load_methodE3ELS4_3ELS4_3ELNS0_20block_scan_algorithmE0ELj4294967295EEENS1_25partition_config_selectorILNS1_17partition_subalgoE3EjNS0_10empty_typeEbEEZZNS1_14partition_implILS8_3ELb0ES6_jNS0_17counting_iteratorIjlEEPS9_SE_NS0_5tupleIJPjSE_EEENSF_IJSE_SE_EEES9_SG_JZNS1_25segmented_radix_sort_implINS0_14default_configELb1EPKdPdPKlPlN2at6native12_GLOBAL__N_18offset_tEEE10hipError_tPvRmT1_PNSt15iterator_traitsISY_E10value_typeET2_T3_PNSZ_IS14_E10value_typeET4_jRbjT5_S1A_jjP12ihipStream_tbEUljE_EEESV_SW_SX_S14_S18_S1A_T6_T7_T9_mT8_S1C_bDpT10_ENKUlT_T0_E_clISt17integral_constantIbLb1EES1O_IbLb0EEEEDaS1K_S1L_EUlS1K_E_NS1_11comp_targetILNS1_3genE0ELNS1_11target_archE4294967295ELNS1_3gpuE0ELNS1_3repE0EEENS1_30default_config_static_selectorELNS0_4arch9wavefront6targetE1EEEvSY_
	.p2align	8
	.type	_ZN7rocprim17ROCPRIM_400000_NS6detail17trampoline_kernelINS0_13select_configILj256ELj13ELNS0_17block_load_methodE3ELS4_3ELS4_3ELNS0_20block_scan_algorithmE0ELj4294967295EEENS1_25partition_config_selectorILNS1_17partition_subalgoE3EjNS0_10empty_typeEbEEZZNS1_14partition_implILS8_3ELb0ES6_jNS0_17counting_iteratorIjlEEPS9_SE_NS0_5tupleIJPjSE_EEENSF_IJSE_SE_EEES9_SG_JZNS1_25segmented_radix_sort_implINS0_14default_configELb1EPKdPdPKlPlN2at6native12_GLOBAL__N_18offset_tEEE10hipError_tPvRmT1_PNSt15iterator_traitsISY_E10value_typeET2_T3_PNSZ_IS14_E10value_typeET4_jRbjT5_S1A_jjP12ihipStream_tbEUljE_EEESV_SW_SX_S14_S18_S1A_T6_T7_T9_mT8_S1C_bDpT10_ENKUlT_T0_E_clISt17integral_constantIbLb1EES1O_IbLb0EEEEDaS1K_S1L_EUlS1K_E_NS1_11comp_targetILNS1_3genE0ELNS1_11target_archE4294967295ELNS1_3gpuE0ELNS1_3repE0EEENS1_30default_config_static_selectorELNS0_4arch9wavefront6targetE1EEEvSY_,@function
_ZN7rocprim17ROCPRIM_400000_NS6detail17trampoline_kernelINS0_13select_configILj256ELj13ELNS0_17block_load_methodE3ELS4_3ELS4_3ELNS0_20block_scan_algorithmE0ELj4294967295EEENS1_25partition_config_selectorILNS1_17partition_subalgoE3EjNS0_10empty_typeEbEEZZNS1_14partition_implILS8_3ELb0ES6_jNS0_17counting_iteratorIjlEEPS9_SE_NS0_5tupleIJPjSE_EEENSF_IJSE_SE_EEES9_SG_JZNS1_25segmented_radix_sort_implINS0_14default_configELb1EPKdPdPKlPlN2at6native12_GLOBAL__N_18offset_tEEE10hipError_tPvRmT1_PNSt15iterator_traitsISY_E10value_typeET2_T3_PNSZ_IS14_E10value_typeET4_jRbjT5_S1A_jjP12ihipStream_tbEUljE_EEESV_SW_SX_S14_S18_S1A_T6_T7_T9_mT8_S1C_bDpT10_ENKUlT_T0_E_clISt17integral_constantIbLb1EES1O_IbLb0EEEEDaS1K_S1L_EUlS1K_E_NS1_11comp_targetILNS1_3genE0ELNS1_11target_archE4294967295ELNS1_3gpuE0ELNS1_3repE0EEENS1_30default_config_static_selectorELNS0_4arch9wavefront6targetE1EEEvSY_: ; @_ZN7rocprim17ROCPRIM_400000_NS6detail17trampoline_kernelINS0_13select_configILj256ELj13ELNS0_17block_load_methodE3ELS4_3ELS4_3ELNS0_20block_scan_algorithmE0ELj4294967295EEENS1_25partition_config_selectorILNS1_17partition_subalgoE3EjNS0_10empty_typeEbEEZZNS1_14partition_implILS8_3ELb0ES6_jNS0_17counting_iteratorIjlEEPS9_SE_NS0_5tupleIJPjSE_EEENSF_IJSE_SE_EEES9_SG_JZNS1_25segmented_radix_sort_implINS0_14default_configELb1EPKdPdPKlPlN2at6native12_GLOBAL__N_18offset_tEEE10hipError_tPvRmT1_PNSt15iterator_traitsISY_E10value_typeET2_T3_PNSZ_IS14_E10value_typeET4_jRbjT5_S1A_jjP12ihipStream_tbEUljE_EEESV_SW_SX_S14_S18_S1A_T6_T7_T9_mT8_S1C_bDpT10_ENKUlT_T0_E_clISt17integral_constantIbLb1EES1O_IbLb0EEEEDaS1K_S1L_EUlS1K_E_NS1_11comp_targetILNS1_3genE0ELNS1_11target_archE4294967295ELNS1_3gpuE0ELNS1_3repE0EEENS1_30default_config_static_selectorELNS0_4arch9wavefront6targetE1EEEvSY_
; %bb.0:
	.section	.rodata,"a",@progbits
	.p2align	6, 0x0
	.amdhsa_kernel _ZN7rocprim17ROCPRIM_400000_NS6detail17trampoline_kernelINS0_13select_configILj256ELj13ELNS0_17block_load_methodE3ELS4_3ELS4_3ELNS0_20block_scan_algorithmE0ELj4294967295EEENS1_25partition_config_selectorILNS1_17partition_subalgoE3EjNS0_10empty_typeEbEEZZNS1_14partition_implILS8_3ELb0ES6_jNS0_17counting_iteratorIjlEEPS9_SE_NS0_5tupleIJPjSE_EEENSF_IJSE_SE_EEES9_SG_JZNS1_25segmented_radix_sort_implINS0_14default_configELb1EPKdPdPKlPlN2at6native12_GLOBAL__N_18offset_tEEE10hipError_tPvRmT1_PNSt15iterator_traitsISY_E10value_typeET2_T3_PNSZ_IS14_E10value_typeET4_jRbjT5_S1A_jjP12ihipStream_tbEUljE_EEESV_SW_SX_S14_S18_S1A_T6_T7_T9_mT8_S1C_bDpT10_ENKUlT_T0_E_clISt17integral_constantIbLb1EES1O_IbLb0EEEEDaS1K_S1L_EUlS1K_E_NS1_11comp_targetILNS1_3genE0ELNS1_11target_archE4294967295ELNS1_3gpuE0ELNS1_3repE0EEENS1_30default_config_static_selectorELNS0_4arch9wavefront6targetE1EEEvSY_
		.amdhsa_group_segment_fixed_size 0
		.amdhsa_private_segment_fixed_size 0
		.amdhsa_kernarg_size 144
		.amdhsa_user_sgpr_count 6
		.amdhsa_user_sgpr_private_segment_buffer 1
		.amdhsa_user_sgpr_dispatch_ptr 0
		.amdhsa_user_sgpr_queue_ptr 0
		.amdhsa_user_sgpr_kernarg_segment_ptr 1
		.amdhsa_user_sgpr_dispatch_id 0
		.amdhsa_user_sgpr_flat_scratch_init 0
		.amdhsa_user_sgpr_kernarg_preload_length 0
		.amdhsa_user_sgpr_kernarg_preload_offset 0
		.amdhsa_user_sgpr_private_segment_size 0
		.amdhsa_uses_dynamic_stack 0
		.amdhsa_system_sgpr_private_segment_wavefront_offset 0
		.amdhsa_system_sgpr_workgroup_id_x 1
		.amdhsa_system_sgpr_workgroup_id_y 0
		.amdhsa_system_sgpr_workgroup_id_z 0
		.amdhsa_system_sgpr_workgroup_info 0
		.amdhsa_system_vgpr_workitem_id 0
		.amdhsa_next_free_vgpr 1
		.amdhsa_next_free_sgpr 0
		.amdhsa_accum_offset 4
		.amdhsa_reserve_vcc 0
		.amdhsa_reserve_flat_scratch 0
		.amdhsa_float_round_mode_32 0
		.amdhsa_float_round_mode_16_64 0
		.amdhsa_float_denorm_mode_32 3
		.amdhsa_float_denorm_mode_16_64 3
		.amdhsa_dx10_clamp 1
		.amdhsa_ieee_mode 1
		.amdhsa_fp16_overflow 0
		.amdhsa_tg_split 0
		.amdhsa_exception_fp_ieee_invalid_op 0
		.amdhsa_exception_fp_denorm_src 0
		.amdhsa_exception_fp_ieee_div_zero 0
		.amdhsa_exception_fp_ieee_overflow 0
		.amdhsa_exception_fp_ieee_underflow 0
		.amdhsa_exception_fp_ieee_inexact 0
		.amdhsa_exception_int_div_zero 0
	.end_amdhsa_kernel
	.section	.text._ZN7rocprim17ROCPRIM_400000_NS6detail17trampoline_kernelINS0_13select_configILj256ELj13ELNS0_17block_load_methodE3ELS4_3ELS4_3ELNS0_20block_scan_algorithmE0ELj4294967295EEENS1_25partition_config_selectorILNS1_17partition_subalgoE3EjNS0_10empty_typeEbEEZZNS1_14partition_implILS8_3ELb0ES6_jNS0_17counting_iteratorIjlEEPS9_SE_NS0_5tupleIJPjSE_EEENSF_IJSE_SE_EEES9_SG_JZNS1_25segmented_radix_sort_implINS0_14default_configELb1EPKdPdPKlPlN2at6native12_GLOBAL__N_18offset_tEEE10hipError_tPvRmT1_PNSt15iterator_traitsISY_E10value_typeET2_T3_PNSZ_IS14_E10value_typeET4_jRbjT5_S1A_jjP12ihipStream_tbEUljE_EEESV_SW_SX_S14_S18_S1A_T6_T7_T9_mT8_S1C_bDpT10_ENKUlT_T0_E_clISt17integral_constantIbLb1EES1O_IbLb0EEEEDaS1K_S1L_EUlS1K_E_NS1_11comp_targetILNS1_3genE0ELNS1_11target_archE4294967295ELNS1_3gpuE0ELNS1_3repE0EEENS1_30default_config_static_selectorELNS0_4arch9wavefront6targetE1EEEvSY_,"axG",@progbits,_ZN7rocprim17ROCPRIM_400000_NS6detail17trampoline_kernelINS0_13select_configILj256ELj13ELNS0_17block_load_methodE3ELS4_3ELS4_3ELNS0_20block_scan_algorithmE0ELj4294967295EEENS1_25partition_config_selectorILNS1_17partition_subalgoE3EjNS0_10empty_typeEbEEZZNS1_14partition_implILS8_3ELb0ES6_jNS0_17counting_iteratorIjlEEPS9_SE_NS0_5tupleIJPjSE_EEENSF_IJSE_SE_EEES9_SG_JZNS1_25segmented_radix_sort_implINS0_14default_configELb1EPKdPdPKlPlN2at6native12_GLOBAL__N_18offset_tEEE10hipError_tPvRmT1_PNSt15iterator_traitsISY_E10value_typeET2_T3_PNSZ_IS14_E10value_typeET4_jRbjT5_S1A_jjP12ihipStream_tbEUljE_EEESV_SW_SX_S14_S18_S1A_T6_T7_T9_mT8_S1C_bDpT10_ENKUlT_T0_E_clISt17integral_constantIbLb1EES1O_IbLb0EEEEDaS1K_S1L_EUlS1K_E_NS1_11comp_targetILNS1_3genE0ELNS1_11target_archE4294967295ELNS1_3gpuE0ELNS1_3repE0EEENS1_30default_config_static_selectorELNS0_4arch9wavefront6targetE1EEEvSY_,comdat
.Lfunc_end1100:
	.size	_ZN7rocprim17ROCPRIM_400000_NS6detail17trampoline_kernelINS0_13select_configILj256ELj13ELNS0_17block_load_methodE3ELS4_3ELS4_3ELNS0_20block_scan_algorithmE0ELj4294967295EEENS1_25partition_config_selectorILNS1_17partition_subalgoE3EjNS0_10empty_typeEbEEZZNS1_14partition_implILS8_3ELb0ES6_jNS0_17counting_iteratorIjlEEPS9_SE_NS0_5tupleIJPjSE_EEENSF_IJSE_SE_EEES9_SG_JZNS1_25segmented_radix_sort_implINS0_14default_configELb1EPKdPdPKlPlN2at6native12_GLOBAL__N_18offset_tEEE10hipError_tPvRmT1_PNSt15iterator_traitsISY_E10value_typeET2_T3_PNSZ_IS14_E10value_typeET4_jRbjT5_S1A_jjP12ihipStream_tbEUljE_EEESV_SW_SX_S14_S18_S1A_T6_T7_T9_mT8_S1C_bDpT10_ENKUlT_T0_E_clISt17integral_constantIbLb1EES1O_IbLb0EEEEDaS1K_S1L_EUlS1K_E_NS1_11comp_targetILNS1_3genE0ELNS1_11target_archE4294967295ELNS1_3gpuE0ELNS1_3repE0EEENS1_30default_config_static_selectorELNS0_4arch9wavefront6targetE1EEEvSY_, .Lfunc_end1100-_ZN7rocprim17ROCPRIM_400000_NS6detail17trampoline_kernelINS0_13select_configILj256ELj13ELNS0_17block_load_methodE3ELS4_3ELS4_3ELNS0_20block_scan_algorithmE0ELj4294967295EEENS1_25partition_config_selectorILNS1_17partition_subalgoE3EjNS0_10empty_typeEbEEZZNS1_14partition_implILS8_3ELb0ES6_jNS0_17counting_iteratorIjlEEPS9_SE_NS0_5tupleIJPjSE_EEENSF_IJSE_SE_EEES9_SG_JZNS1_25segmented_radix_sort_implINS0_14default_configELb1EPKdPdPKlPlN2at6native12_GLOBAL__N_18offset_tEEE10hipError_tPvRmT1_PNSt15iterator_traitsISY_E10value_typeET2_T3_PNSZ_IS14_E10value_typeET4_jRbjT5_S1A_jjP12ihipStream_tbEUljE_EEESV_SW_SX_S14_S18_S1A_T6_T7_T9_mT8_S1C_bDpT10_ENKUlT_T0_E_clISt17integral_constantIbLb1EES1O_IbLb0EEEEDaS1K_S1L_EUlS1K_E_NS1_11comp_targetILNS1_3genE0ELNS1_11target_archE4294967295ELNS1_3gpuE0ELNS1_3repE0EEENS1_30default_config_static_selectorELNS0_4arch9wavefront6targetE1EEEvSY_
                                        ; -- End function
	.section	.AMDGPU.csdata,"",@progbits
; Kernel info:
; codeLenInByte = 0
; NumSgprs: 4
; NumVgprs: 0
; NumAgprs: 0
; TotalNumVgprs: 0
; ScratchSize: 0
; MemoryBound: 0
; FloatMode: 240
; IeeeMode: 1
; LDSByteSize: 0 bytes/workgroup (compile time only)
; SGPRBlocks: 0
; VGPRBlocks: 0
; NumSGPRsForWavesPerEU: 4
; NumVGPRsForWavesPerEU: 1
; AccumOffset: 4
; Occupancy: 8
; WaveLimiterHint : 0
; COMPUTE_PGM_RSRC2:SCRATCH_EN: 0
; COMPUTE_PGM_RSRC2:USER_SGPR: 6
; COMPUTE_PGM_RSRC2:TRAP_HANDLER: 0
; COMPUTE_PGM_RSRC2:TGID_X_EN: 1
; COMPUTE_PGM_RSRC2:TGID_Y_EN: 0
; COMPUTE_PGM_RSRC2:TGID_Z_EN: 0
; COMPUTE_PGM_RSRC2:TIDIG_COMP_CNT: 0
; COMPUTE_PGM_RSRC3_GFX90A:ACCUM_OFFSET: 0
; COMPUTE_PGM_RSRC3_GFX90A:TG_SPLIT: 0
	.section	.text._ZN7rocprim17ROCPRIM_400000_NS6detail17trampoline_kernelINS0_13select_configILj256ELj13ELNS0_17block_load_methodE3ELS4_3ELS4_3ELNS0_20block_scan_algorithmE0ELj4294967295EEENS1_25partition_config_selectorILNS1_17partition_subalgoE3EjNS0_10empty_typeEbEEZZNS1_14partition_implILS8_3ELb0ES6_jNS0_17counting_iteratorIjlEEPS9_SE_NS0_5tupleIJPjSE_EEENSF_IJSE_SE_EEES9_SG_JZNS1_25segmented_radix_sort_implINS0_14default_configELb1EPKdPdPKlPlN2at6native12_GLOBAL__N_18offset_tEEE10hipError_tPvRmT1_PNSt15iterator_traitsISY_E10value_typeET2_T3_PNSZ_IS14_E10value_typeET4_jRbjT5_S1A_jjP12ihipStream_tbEUljE_EEESV_SW_SX_S14_S18_S1A_T6_T7_T9_mT8_S1C_bDpT10_ENKUlT_T0_E_clISt17integral_constantIbLb1EES1O_IbLb0EEEEDaS1K_S1L_EUlS1K_E_NS1_11comp_targetILNS1_3genE5ELNS1_11target_archE942ELNS1_3gpuE9ELNS1_3repE0EEENS1_30default_config_static_selectorELNS0_4arch9wavefront6targetE1EEEvSY_,"axG",@progbits,_ZN7rocprim17ROCPRIM_400000_NS6detail17trampoline_kernelINS0_13select_configILj256ELj13ELNS0_17block_load_methodE3ELS4_3ELS4_3ELNS0_20block_scan_algorithmE0ELj4294967295EEENS1_25partition_config_selectorILNS1_17partition_subalgoE3EjNS0_10empty_typeEbEEZZNS1_14partition_implILS8_3ELb0ES6_jNS0_17counting_iteratorIjlEEPS9_SE_NS0_5tupleIJPjSE_EEENSF_IJSE_SE_EEES9_SG_JZNS1_25segmented_radix_sort_implINS0_14default_configELb1EPKdPdPKlPlN2at6native12_GLOBAL__N_18offset_tEEE10hipError_tPvRmT1_PNSt15iterator_traitsISY_E10value_typeET2_T3_PNSZ_IS14_E10value_typeET4_jRbjT5_S1A_jjP12ihipStream_tbEUljE_EEESV_SW_SX_S14_S18_S1A_T6_T7_T9_mT8_S1C_bDpT10_ENKUlT_T0_E_clISt17integral_constantIbLb1EES1O_IbLb0EEEEDaS1K_S1L_EUlS1K_E_NS1_11comp_targetILNS1_3genE5ELNS1_11target_archE942ELNS1_3gpuE9ELNS1_3repE0EEENS1_30default_config_static_selectorELNS0_4arch9wavefront6targetE1EEEvSY_,comdat
	.globl	_ZN7rocprim17ROCPRIM_400000_NS6detail17trampoline_kernelINS0_13select_configILj256ELj13ELNS0_17block_load_methodE3ELS4_3ELS4_3ELNS0_20block_scan_algorithmE0ELj4294967295EEENS1_25partition_config_selectorILNS1_17partition_subalgoE3EjNS0_10empty_typeEbEEZZNS1_14partition_implILS8_3ELb0ES6_jNS0_17counting_iteratorIjlEEPS9_SE_NS0_5tupleIJPjSE_EEENSF_IJSE_SE_EEES9_SG_JZNS1_25segmented_radix_sort_implINS0_14default_configELb1EPKdPdPKlPlN2at6native12_GLOBAL__N_18offset_tEEE10hipError_tPvRmT1_PNSt15iterator_traitsISY_E10value_typeET2_T3_PNSZ_IS14_E10value_typeET4_jRbjT5_S1A_jjP12ihipStream_tbEUljE_EEESV_SW_SX_S14_S18_S1A_T6_T7_T9_mT8_S1C_bDpT10_ENKUlT_T0_E_clISt17integral_constantIbLb1EES1O_IbLb0EEEEDaS1K_S1L_EUlS1K_E_NS1_11comp_targetILNS1_3genE5ELNS1_11target_archE942ELNS1_3gpuE9ELNS1_3repE0EEENS1_30default_config_static_selectorELNS0_4arch9wavefront6targetE1EEEvSY_ ; -- Begin function _ZN7rocprim17ROCPRIM_400000_NS6detail17trampoline_kernelINS0_13select_configILj256ELj13ELNS0_17block_load_methodE3ELS4_3ELS4_3ELNS0_20block_scan_algorithmE0ELj4294967295EEENS1_25partition_config_selectorILNS1_17partition_subalgoE3EjNS0_10empty_typeEbEEZZNS1_14partition_implILS8_3ELb0ES6_jNS0_17counting_iteratorIjlEEPS9_SE_NS0_5tupleIJPjSE_EEENSF_IJSE_SE_EEES9_SG_JZNS1_25segmented_radix_sort_implINS0_14default_configELb1EPKdPdPKlPlN2at6native12_GLOBAL__N_18offset_tEEE10hipError_tPvRmT1_PNSt15iterator_traitsISY_E10value_typeET2_T3_PNSZ_IS14_E10value_typeET4_jRbjT5_S1A_jjP12ihipStream_tbEUljE_EEESV_SW_SX_S14_S18_S1A_T6_T7_T9_mT8_S1C_bDpT10_ENKUlT_T0_E_clISt17integral_constantIbLb1EES1O_IbLb0EEEEDaS1K_S1L_EUlS1K_E_NS1_11comp_targetILNS1_3genE5ELNS1_11target_archE942ELNS1_3gpuE9ELNS1_3repE0EEENS1_30default_config_static_selectorELNS0_4arch9wavefront6targetE1EEEvSY_
	.p2align	8
	.type	_ZN7rocprim17ROCPRIM_400000_NS6detail17trampoline_kernelINS0_13select_configILj256ELj13ELNS0_17block_load_methodE3ELS4_3ELS4_3ELNS0_20block_scan_algorithmE0ELj4294967295EEENS1_25partition_config_selectorILNS1_17partition_subalgoE3EjNS0_10empty_typeEbEEZZNS1_14partition_implILS8_3ELb0ES6_jNS0_17counting_iteratorIjlEEPS9_SE_NS0_5tupleIJPjSE_EEENSF_IJSE_SE_EEES9_SG_JZNS1_25segmented_radix_sort_implINS0_14default_configELb1EPKdPdPKlPlN2at6native12_GLOBAL__N_18offset_tEEE10hipError_tPvRmT1_PNSt15iterator_traitsISY_E10value_typeET2_T3_PNSZ_IS14_E10value_typeET4_jRbjT5_S1A_jjP12ihipStream_tbEUljE_EEESV_SW_SX_S14_S18_S1A_T6_T7_T9_mT8_S1C_bDpT10_ENKUlT_T0_E_clISt17integral_constantIbLb1EES1O_IbLb0EEEEDaS1K_S1L_EUlS1K_E_NS1_11comp_targetILNS1_3genE5ELNS1_11target_archE942ELNS1_3gpuE9ELNS1_3repE0EEENS1_30default_config_static_selectorELNS0_4arch9wavefront6targetE1EEEvSY_,@function
_ZN7rocprim17ROCPRIM_400000_NS6detail17trampoline_kernelINS0_13select_configILj256ELj13ELNS0_17block_load_methodE3ELS4_3ELS4_3ELNS0_20block_scan_algorithmE0ELj4294967295EEENS1_25partition_config_selectorILNS1_17partition_subalgoE3EjNS0_10empty_typeEbEEZZNS1_14partition_implILS8_3ELb0ES6_jNS0_17counting_iteratorIjlEEPS9_SE_NS0_5tupleIJPjSE_EEENSF_IJSE_SE_EEES9_SG_JZNS1_25segmented_radix_sort_implINS0_14default_configELb1EPKdPdPKlPlN2at6native12_GLOBAL__N_18offset_tEEE10hipError_tPvRmT1_PNSt15iterator_traitsISY_E10value_typeET2_T3_PNSZ_IS14_E10value_typeET4_jRbjT5_S1A_jjP12ihipStream_tbEUljE_EEESV_SW_SX_S14_S18_S1A_T6_T7_T9_mT8_S1C_bDpT10_ENKUlT_T0_E_clISt17integral_constantIbLb1EES1O_IbLb0EEEEDaS1K_S1L_EUlS1K_E_NS1_11comp_targetILNS1_3genE5ELNS1_11target_archE942ELNS1_3gpuE9ELNS1_3repE0EEENS1_30default_config_static_selectorELNS0_4arch9wavefront6targetE1EEEvSY_: ; @_ZN7rocprim17ROCPRIM_400000_NS6detail17trampoline_kernelINS0_13select_configILj256ELj13ELNS0_17block_load_methodE3ELS4_3ELS4_3ELNS0_20block_scan_algorithmE0ELj4294967295EEENS1_25partition_config_selectorILNS1_17partition_subalgoE3EjNS0_10empty_typeEbEEZZNS1_14partition_implILS8_3ELb0ES6_jNS0_17counting_iteratorIjlEEPS9_SE_NS0_5tupleIJPjSE_EEENSF_IJSE_SE_EEES9_SG_JZNS1_25segmented_radix_sort_implINS0_14default_configELb1EPKdPdPKlPlN2at6native12_GLOBAL__N_18offset_tEEE10hipError_tPvRmT1_PNSt15iterator_traitsISY_E10value_typeET2_T3_PNSZ_IS14_E10value_typeET4_jRbjT5_S1A_jjP12ihipStream_tbEUljE_EEESV_SW_SX_S14_S18_S1A_T6_T7_T9_mT8_S1C_bDpT10_ENKUlT_T0_E_clISt17integral_constantIbLb1EES1O_IbLb0EEEEDaS1K_S1L_EUlS1K_E_NS1_11comp_targetILNS1_3genE5ELNS1_11target_archE942ELNS1_3gpuE9ELNS1_3repE0EEENS1_30default_config_static_selectorELNS0_4arch9wavefront6targetE1EEEvSY_
; %bb.0:
	.section	.rodata,"a",@progbits
	.p2align	6, 0x0
	.amdhsa_kernel _ZN7rocprim17ROCPRIM_400000_NS6detail17trampoline_kernelINS0_13select_configILj256ELj13ELNS0_17block_load_methodE3ELS4_3ELS4_3ELNS0_20block_scan_algorithmE0ELj4294967295EEENS1_25partition_config_selectorILNS1_17partition_subalgoE3EjNS0_10empty_typeEbEEZZNS1_14partition_implILS8_3ELb0ES6_jNS0_17counting_iteratorIjlEEPS9_SE_NS0_5tupleIJPjSE_EEENSF_IJSE_SE_EEES9_SG_JZNS1_25segmented_radix_sort_implINS0_14default_configELb1EPKdPdPKlPlN2at6native12_GLOBAL__N_18offset_tEEE10hipError_tPvRmT1_PNSt15iterator_traitsISY_E10value_typeET2_T3_PNSZ_IS14_E10value_typeET4_jRbjT5_S1A_jjP12ihipStream_tbEUljE_EEESV_SW_SX_S14_S18_S1A_T6_T7_T9_mT8_S1C_bDpT10_ENKUlT_T0_E_clISt17integral_constantIbLb1EES1O_IbLb0EEEEDaS1K_S1L_EUlS1K_E_NS1_11comp_targetILNS1_3genE5ELNS1_11target_archE942ELNS1_3gpuE9ELNS1_3repE0EEENS1_30default_config_static_selectorELNS0_4arch9wavefront6targetE1EEEvSY_
		.amdhsa_group_segment_fixed_size 0
		.amdhsa_private_segment_fixed_size 0
		.amdhsa_kernarg_size 144
		.amdhsa_user_sgpr_count 6
		.amdhsa_user_sgpr_private_segment_buffer 1
		.amdhsa_user_sgpr_dispatch_ptr 0
		.amdhsa_user_sgpr_queue_ptr 0
		.amdhsa_user_sgpr_kernarg_segment_ptr 1
		.amdhsa_user_sgpr_dispatch_id 0
		.amdhsa_user_sgpr_flat_scratch_init 0
		.amdhsa_user_sgpr_kernarg_preload_length 0
		.amdhsa_user_sgpr_kernarg_preload_offset 0
		.amdhsa_user_sgpr_private_segment_size 0
		.amdhsa_uses_dynamic_stack 0
		.amdhsa_system_sgpr_private_segment_wavefront_offset 0
		.amdhsa_system_sgpr_workgroup_id_x 1
		.amdhsa_system_sgpr_workgroup_id_y 0
		.amdhsa_system_sgpr_workgroup_id_z 0
		.amdhsa_system_sgpr_workgroup_info 0
		.amdhsa_system_vgpr_workitem_id 0
		.amdhsa_next_free_vgpr 1
		.amdhsa_next_free_sgpr 0
		.amdhsa_accum_offset 4
		.amdhsa_reserve_vcc 0
		.amdhsa_reserve_flat_scratch 0
		.amdhsa_float_round_mode_32 0
		.amdhsa_float_round_mode_16_64 0
		.amdhsa_float_denorm_mode_32 3
		.amdhsa_float_denorm_mode_16_64 3
		.amdhsa_dx10_clamp 1
		.amdhsa_ieee_mode 1
		.amdhsa_fp16_overflow 0
		.amdhsa_tg_split 0
		.amdhsa_exception_fp_ieee_invalid_op 0
		.amdhsa_exception_fp_denorm_src 0
		.amdhsa_exception_fp_ieee_div_zero 0
		.amdhsa_exception_fp_ieee_overflow 0
		.amdhsa_exception_fp_ieee_underflow 0
		.amdhsa_exception_fp_ieee_inexact 0
		.amdhsa_exception_int_div_zero 0
	.end_amdhsa_kernel
	.section	.text._ZN7rocprim17ROCPRIM_400000_NS6detail17trampoline_kernelINS0_13select_configILj256ELj13ELNS0_17block_load_methodE3ELS4_3ELS4_3ELNS0_20block_scan_algorithmE0ELj4294967295EEENS1_25partition_config_selectorILNS1_17partition_subalgoE3EjNS0_10empty_typeEbEEZZNS1_14partition_implILS8_3ELb0ES6_jNS0_17counting_iteratorIjlEEPS9_SE_NS0_5tupleIJPjSE_EEENSF_IJSE_SE_EEES9_SG_JZNS1_25segmented_radix_sort_implINS0_14default_configELb1EPKdPdPKlPlN2at6native12_GLOBAL__N_18offset_tEEE10hipError_tPvRmT1_PNSt15iterator_traitsISY_E10value_typeET2_T3_PNSZ_IS14_E10value_typeET4_jRbjT5_S1A_jjP12ihipStream_tbEUljE_EEESV_SW_SX_S14_S18_S1A_T6_T7_T9_mT8_S1C_bDpT10_ENKUlT_T0_E_clISt17integral_constantIbLb1EES1O_IbLb0EEEEDaS1K_S1L_EUlS1K_E_NS1_11comp_targetILNS1_3genE5ELNS1_11target_archE942ELNS1_3gpuE9ELNS1_3repE0EEENS1_30default_config_static_selectorELNS0_4arch9wavefront6targetE1EEEvSY_,"axG",@progbits,_ZN7rocprim17ROCPRIM_400000_NS6detail17trampoline_kernelINS0_13select_configILj256ELj13ELNS0_17block_load_methodE3ELS4_3ELS4_3ELNS0_20block_scan_algorithmE0ELj4294967295EEENS1_25partition_config_selectorILNS1_17partition_subalgoE3EjNS0_10empty_typeEbEEZZNS1_14partition_implILS8_3ELb0ES6_jNS0_17counting_iteratorIjlEEPS9_SE_NS0_5tupleIJPjSE_EEENSF_IJSE_SE_EEES9_SG_JZNS1_25segmented_radix_sort_implINS0_14default_configELb1EPKdPdPKlPlN2at6native12_GLOBAL__N_18offset_tEEE10hipError_tPvRmT1_PNSt15iterator_traitsISY_E10value_typeET2_T3_PNSZ_IS14_E10value_typeET4_jRbjT5_S1A_jjP12ihipStream_tbEUljE_EEESV_SW_SX_S14_S18_S1A_T6_T7_T9_mT8_S1C_bDpT10_ENKUlT_T0_E_clISt17integral_constantIbLb1EES1O_IbLb0EEEEDaS1K_S1L_EUlS1K_E_NS1_11comp_targetILNS1_3genE5ELNS1_11target_archE942ELNS1_3gpuE9ELNS1_3repE0EEENS1_30default_config_static_selectorELNS0_4arch9wavefront6targetE1EEEvSY_,comdat
.Lfunc_end1101:
	.size	_ZN7rocprim17ROCPRIM_400000_NS6detail17trampoline_kernelINS0_13select_configILj256ELj13ELNS0_17block_load_methodE3ELS4_3ELS4_3ELNS0_20block_scan_algorithmE0ELj4294967295EEENS1_25partition_config_selectorILNS1_17partition_subalgoE3EjNS0_10empty_typeEbEEZZNS1_14partition_implILS8_3ELb0ES6_jNS0_17counting_iteratorIjlEEPS9_SE_NS0_5tupleIJPjSE_EEENSF_IJSE_SE_EEES9_SG_JZNS1_25segmented_radix_sort_implINS0_14default_configELb1EPKdPdPKlPlN2at6native12_GLOBAL__N_18offset_tEEE10hipError_tPvRmT1_PNSt15iterator_traitsISY_E10value_typeET2_T3_PNSZ_IS14_E10value_typeET4_jRbjT5_S1A_jjP12ihipStream_tbEUljE_EEESV_SW_SX_S14_S18_S1A_T6_T7_T9_mT8_S1C_bDpT10_ENKUlT_T0_E_clISt17integral_constantIbLb1EES1O_IbLb0EEEEDaS1K_S1L_EUlS1K_E_NS1_11comp_targetILNS1_3genE5ELNS1_11target_archE942ELNS1_3gpuE9ELNS1_3repE0EEENS1_30default_config_static_selectorELNS0_4arch9wavefront6targetE1EEEvSY_, .Lfunc_end1101-_ZN7rocprim17ROCPRIM_400000_NS6detail17trampoline_kernelINS0_13select_configILj256ELj13ELNS0_17block_load_methodE3ELS4_3ELS4_3ELNS0_20block_scan_algorithmE0ELj4294967295EEENS1_25partition_config_selectorILNS1_17partition_subalgoE3EjNS0_10empty_typeEbEEZZNS1_14partition_implILS8_3ELb0ES6_jNS0_17counting_iteratorIjlEEPS9_SE_NS0_5tupleIJPjSE_EEENSF_IJSE_SE_EEES9_SG_JZNS1_25segmented_radix_sort_implINS0_14default_configELb1EPKdPdPKlPlN2at6native12_GLOBAL__N_18offset_tEEE10hipError_tPvRmT1_PNSt15iterator_traitsISY_E10value_typeET2_T3_PNSZ_IS14_E10value_typeET4_jRbjT5_S1A_jjP12ihipStream_tbEUljE_EEESV_SW_SX_S14_S18_S1A_T6_T7_T9_mT8_S1C_bDpT10_ENKUlT_T0_E_clISt17integral_constantIbLb1EES1O_IbLb0EEEEDaS1K_S1L_EUlS1K_E_NS1_11comp_targetILNS1_3genE5ELNS1_11target_archE942ELNS1_3gpuE9ELNS1_3repE0EEENS1_30default_config_static_selectorELNS0_4arch9wavefront6targetE1EEEvSY_
                                        ; -- End function
	.section	.AMDGPU.csdata,"",@progbits
; Kernel info:
; codeLenInByte = 0
; NumSgprs: 4
; NumVgprs: 0
; NumAgprs: 0
; TotalNumVgprs: 0
; ScratchSize: 0
; MemoryBound: 0
; FloatMode: 240
; IeeeMode: 1
; LDSByteSize: 0 bytes/workgroup (compile time only)
; SGPRBlocks: 0
; VGPRBlocks: 0
; NumSGPRsForWavesPerEU: 4
; NumVGPRsForWavesPerEU: 1
; AccumOffset: 4
; Occupancy: 8
; WaveLimiterHint : 0
; COMPUTE_PGM_RSRC2:SCRATCH_EN: 0
; COMPUTE_PGM_RSRC2:USER_SGPR: 6
; COMPUTE_PGM_RSRC2:TRAP_HANDLER: 0
; COMPUTE_PGM_RSRC2:TGID_X_EN: 1
; COMPUTE_PGM_RSRC2:TGID_Y_EN: 0
; COMPUTE_PGM_RSRC2:TGID_Z_EN: 0
; COMPUTE_PGM_RSRC2:TIDIG_COMP_CNT: 0
; COMPUTE_PGM_RSRC3_GFX90A:ACCUM_OFFSET: 0
; COMPUTE_PGM_RSRC3_GFX90A:TG_SPLIT: 0
	.section	.text._ZN7rocprim17ROCPRIM_400000_NS6detail17trampoline_kernelINS0_13select_configILj256ELj13ELNS0_17block_load_methodE3ELS4_3ELS4_3ELNS0_20block_scan_algorithmE0ELj4294967295EEENS1_25partition_config_selectorILNS1_17partition_subalgoE3EjNS0_10empty_typeEbEEZZNS1_14partition_implILS8_3ELb0ES6_jNS0_17counting_iteratorIjlEEPS9_SE_NS0_5tupleIJPjSE_EEENSF_IJSE_SE_EEES9_SG_JZNS1_25segmented_radix_sort_implINS0_14default_configELb1EPKdPdPKlPlN2at6native12_GLOBAL__N_18offset_tEEE10hipError_tPvRmT1_PNSt15iterator_traitsISY_E10value_typeET2_T3_PNSZ_IS14_E10value_typeET4_jRbjT5_S1A_jjP12ihipStream_tbEUljE_EEESV_SW_SX_S14_S18_S1A_T6_T7_T9_mT8_S1C_bDpT10_ENKUlT_T0_E_clISt17integral_constantIbLb1EES1O_IbLb0EEEEDaS1K_S1L_EUlS1K_E_NS1_11comp_targetILNS1_3genE4ELNS1_11target_archE910ELNS1_3gpuE8ELNS1_3repE0EEENS1_30default_config_static_selectorELNS0_4arch9wavefront6targetE1EEEvSY_,"axG",@progbits,_ZN7rocprim17ROCPRIM_400000_NS6detail17trampoline_kernelINS0_13select_configILj256ELj13ELNS0_17block_load_methodE3ELS4_3ELS4_3ELNS0_20block_scan_algorithmE0ELj4294967295EEENS1_25partition_config_selectorILNS1_17partition_subalgoE3EjNS0_10empty_typeEbEEZZNS1_14partition_implILS8_3ELb0ES6_jNS0_17counting_iteratorIjlEEPS9_SE_NS0_5tupleIJPjSE_EEENSF_IJSE_SE_EEES9_SG_JZNS1_25segmented_radix_sort_implINS0_14default_configELb1EPKdPdPKlPlN2at6native12_GLOBAL__N_18offset_tEEE10hipError_tPvRmT1_PNSt15iterator_traitsISY_E10value_typeET2_T3_PNSZ_IS14_E10value_typeET4_jRbjT5_S1A_jjP12ihipStream_tbEUljE_EEESV_SW_SX_S14_S18_S1A_T6_T7_T9_mT8_S1C_bDpT10_ENKUlT_T0_E_clISt17integral_constantIbLb1EES1O_IbLb0EEEEDaS1K_S1L_EUlS1K_E_NS1_11comp_targetILNS1_3genE4ELNS1_11target_archE910ELNS1_3gpuE8ELNS1_3repE0EEENS1_30default_config_static_selectorELNS0_4arch9wavefront6targetE1EEEvSY_,comdat
	.globl	_ZN7rocprim17ROCPRIM_400000_NS6detail17trampoline_kernelINS0_13select_configILj256ELj13ELNS0_17block_load_methodE3ELS4_3ELS4_3ELNS0_20block_scan_algorithmE0ELj4294967295EEENS1_25partition_config_selectorILNS1_17partition_subalgoE3EjNS0_10empty_typeEbEEZZNS1_14partition_implILS8_3ELb0ES6_jNS0_17counting_iteratorIjlEEPS9_SE_NS0_5tupleIJPjSE_EEENSF_IJSE_SE_EEES9_SG_JZNS1_25segmented_radix_sort_implINS0_14default_configELb1EPKdPdPKlPlN2at6native12_GLOBAL__N_18offset_tEEE10hipError_tPvRmT1_PNSt15iterator_traitsISY_E10value_typeET2_T3_PNSZ_IS14_E10value_typeET4_jRbjT5_S1A_jjP12ihipStream_tbEUljE_EEESV_SW_SX_S14_S18_S1A_T6_T7_T9_mT8_S1C_bDpT10_ENKUlT_T0_E_clISt17integral_constantIbLb1EES1O_IbLb0EEEEDaS1K_S1L_EUlS1K_E_NS1_11comp_targetILNS1_3genE4ELNS1_11target_archE910ELNS1_3gpuE8ELNS1_3repE0EEENS1_30default_config_static_selectorELNS0_4arch9wavefront6targetE1EEEvSY_ ; -- Begin function _ZN7rocprim17ROCPRIM_400000_NS6detail17trampoline_kernelINS0_13select_configILj256ELj13ELNS0_17block_load_methodE3ELS4_3ELS4_3ELNS0_20block_scan_algorithmE0ELj4294967295EEENS1_25partition_config_selectorILNS1_17partition_subalgoE3EjNS0_10empty_typeEbEEZZNS1_14partition_implILS8_3ELb0ES6_jNS0_17counting_iteratorIjlEEPS9_SE_NS0_5tupleIJPjSE_EEENSF_IJSE_SE_EEES9_SG_JZNS1_25segmented_radix_sort_implINS0_14default_configELb1EPKdPdPKlPlN2at6native12_GLOBAL__N_18offset_tEEE10hipError_tPvRmT1_PNSt15iterator_traitsISY_E10value_typeET2_T3_PNSZ_IS14_E10value_typeET4_jRbjT5_S1A_jjP12ihipStream_tbEUljE_EEESV_SW_SX_S14_S18_S1A_T6_T7_T9_mT8_S1C_bDpT10_ENKUlT_T0_E_clISt17integral_constantIbLb1EES1O_IbLb0EEEEDaS1K_S1L_EUlS1K_E_NS1_11comp_targetILNS1_3genE4ELNS1_11target_archE910ELNS1_3gpuE8ELNS1_3repE0EEENS1_30default_config_static_selectorELNS0_4arch9wavefront6targetE1EEEvSY_
	.p2align	8
	.type	_ZN7rocprim17ROCPRIM_400000_NS6detail17trampoline_kernelINS0_13select_configILj256ELj13ELNS0_17block_load_methodE3ELS4_3ELS4_3ELNS0_20block_scan_algorithmE0ELj4294967295EEENS1_25partition_config_selectorILNS1_17partition_subalgoE3EjNS0_10empty_typeEbEEZZNS1_14partition_implILS8_3ELb0ES6_jNS0_17counting_iteratorIjlEEPS9_SE_NS0_5tupleIJPjSE_EEENSF_IJSE_SE_EEES9_SG_JZNS1_25segmented_radix_sort_implINS0_14default_configELb1EPKdPdPKlPlN2at6native12_GLOBAL__N_18offset_tEEE10hipError_tPvRmT1_PNSt15iterator_traitsISY_E10value_typeET2_T3_PNSZ_IS14_E10value_typeET4_jRbjT5_S1A_jjP12ihipStream_tbEUljE_EEESV_SW_SX_S14_S18_S1A_T6_T7_T9_mT8_S1C_bDpT10_ENKUlT_T0_E_clISt17integral_constantIbLb1EES1O_IbLb0EEEEDaS1K_S1L_EUlS1K_E_NS1_11comp_targetILNS1_3genE4ELNS1_11target_archE910ELNS1_3gpuE8ELNS1_3repE0EEENS1_30default_config_static_selectorELNS0_4arch9wavefront6targetE1EEEvSY_,@function
_ZN7rocprim17ROCPRIM_400000_NS6detail17trampoline_kernelINS0_13select_configILj256ELj13ELNS0_17block_load_methodE3ELS4_3ELS4_3ELNS0_20block_scan_algorithmE0ELj4294967295EEENS1_25partition_config_selectorILNS1_17partition_subalgoE3EjNS0_10empty_typeEbEEZZNS1_14partition_implILS8_3ELb0ES6_jNS0_17counting_iteratorIjlEEPS9_SE_NS0_5tupleIJPjSE_EEENSF_IJSE_SE_EEES9_SG_JZNS1_25segmented_radix_sort_implINS0_14default_configELb1EPKdPdPKlPlN2at6native12_GLOBAL__N_18offset_tEEE10hipError_tPvRmT1_PNSt15iterator_traitsISY_E10value_typeET2_T3_PNSZ_IS14_E10value_typeET4_jRbjT5_S1A_jjP12ihipStream_tbEUljE_EEESV_SW_SX_S14_S18_S1A_T6_T7_T9_mT8_S1C_bDpT10_ENKUlT_T0_E_clISt17integral_constantIbLb1EES1O_IbLb0EEEEDaS1K_S1L_EUlS1K_E_NS1_11comp_targetILNS1_3genE4ELNS1_11target_archE910ELNS1_3gpuE8ELNS1_3repE0EEENS1_30default_config_static_selectorELNS0_4arch9wavefront6targetE1EEEvSY_: ; @_ZN7rocprim17ROCPRIM_400000_NS6detail17trampoline_kernelINS0_13select_configILj256ELj13ELNS0_17block_load_methodE3ELS4_3ELS4_3ELNS0_20block_scan_algorithmE0ELj4294967295EEENS1_25partition_config_selectorILNS1_17partition_subalgoE3EjNS0_10empty_typeEbEEZZNS1_14partition_implILS8_3ELb0ES6_jNS0_17counting_iteratorIjlEEPS9_SE_NS0_5tupleIJPjSE_EEENSF_IJSE_SE_EEES9_SG_JZNS1_25segmented_radix_sort_implINS0_14default_configELb1EPKdPdPKlPlN2at6native12_GLOBAL__N_18offset_tEEE10hipError_tPvRmT1_PNSt15iterator_traitsISY_E10value_typeET2_T3_PNSZ_IS14_E10value_typeET4_jRbjT5_S1A_jjP12ihipStream_tbEUljE_EEESV_SW_SX_S14_S18_S1A_T6_T7_T9_mT8_S1C_bDpT10_ENKUlT_T0_E_clISt17integral_constantIbLb1EES1O_IbLb0EEEEDaS1K_S1L_EUlS1K_E_NS1_11comp_targetILNS1_3genE4ELNS1_11target_archE910ELNS1_3gpuE8ELNS1_3repE0EEENS1_30default_config_static_selectorELNS0_4arch9wavefront6targetE1EEEvSY_
; %bb.0:
	s_load_dwordx2 s[26:27], s[4:5], 0x58
	s_load_dwordx4 s[20:23], s[4:5], 0x48
	s_load_dword s13, s[4:5], 0x8
	s_load_dwordx2 s[28:29], s[4:5], 0x10
	s_load_dword s12, s[4:5], 0x70
	s_load_dword s7, s[4:5], 0x88
	s_load_dwordx4 s[8:11], s[4:5], 0x78
	s_waitcnt lgkmcnt(0)
	s_load_dwordx2 s[30:31], s[22:23], 0x0
	v_pk_mov_b32 v[2:3], s[26:27], s[26:27] op_sel:[0,1]
	s_add_i32 s2, s12, -1
	s_mulk_i32 s12, 0xd00
	s_add_u32 s0, s28, s12
	s_addc_u32 s1, s29, 0
	s_cmp_eq_u32 s6, s2
	s_cselect_b64 s[22:23], -1, 0
	s_cmp_lg_u32 s6, s2
	s_mul_i32 s42, s6, 0xd00
	v_cmp_lt_u64_e32 vcc, s[0:1], v[2:3]
	s_cselect_b64 s[0:1], -1, 0
	s_or_b64 s[2:3], s[0:1], vcc
	s_add_i32 s0, s13, s42
	s_add_i32 s0, s0, s28
	v_add_u32_e32 v2, s0, v0
	s_mov_b64 s[0:1], -1
	s_and_b64 vcc, exec, s[2:3]
	v_lshlrev_b32_e32 v1, 2, v0
	s_cbranch_vccz .LBB1102_2
; %bb.1:
	v_add_u32_e32 v3, 0x100, v2
	v_add_u32_e32 v4, 0x200, v2
	;; [unrolled: 1-line block ×12, first 2 shown]
	ds_write2st64_b32 v1, v2, v3 offset1:4
	ds_write2st64_b32 v1, v4, v5 offset0:8 offset1:12
	ds_write2st64_b32 v1, v6, v7 offset0:16 offset1:20
	;; [unrolled: 1-line block ×5, first 2 shown]
	ds_write_b32 v1, v14 offset:12288
	s_waitcnt lgkmcnt(0)
	s_barrier
	s_mov_b64 s[0:1], 0
.LBB1102_2:
	s_andn2_b64 vcc, exec, s[0:1]
	s_add_i32 s12, s12, s28
	s_cbranch_vccnz .LBB1102_4
; %bb.3:
	v_add_u32_e32 v3, 0x100, v2
	v_add_u32_e32 v4, 0x200, v2
	;; [unrolled: 1-line block ×12, first 2 shown]
	ds_write2st64_b32 v1, v2, v3 offset1:4
	ds_write2st64_b32 v1, v4, v5 offset0:8 offset1:12
	ds_write2st64_b32 v1, v6, v7 offset0:16 offset1:20
	ds_write2st64_b32 v1, v8, v9 offset0:24 offset1:28
	ds_write2st64_b32 v1, v10, v11 offset0:32 offset1:36
	ds_write2st64_b32 v1, v12, v13 offset0:40 offset1:44
	ds_write_b32 v1, v14 offset:12288
	s_waitcnt lgkmcnt(0)
	s_barrier
.LBB1102_4:
	v_mul_u32_u24_e32 v33, 13, v0
	v_lshlrev_b32_e32 v2, 2, v33
	s_waitcnt lgkmcnt(0)
	ds_read2_b32 v[30:31], v2 offset1:1
	ds_read2_b32 v[28:29], v2 offset0:2 offset1:3
	ds_read2_b32 v[26:27], v2 offset0:4 offset1:5
	;; [unrolled: 1-line block ×5, first 2 shown]
	ds_read_b32 v32, v2 offset:48
	v_cndmask_b32_e64 v2, 0, 1, s[2:3]
	s_sub_i32 s33, s26, s12
	v_cmp_ne_u32_e64 s[0:1], 1, v2
	s_andn2_b64 vcc, exec, s[2:3]
	s_waitcnt lgkmcnt(0)
	s_barrier
	s_cbranch_vccnz .LBB1102_6
; %bb.5:
	v_add_u32_e32 v2, s9, v30
	v_add_u32_e32 v3, s11, v30
	v_mul_lo_u32 v2, v2, s8
	v_mul_lo_u32 v3, v3, s10
	v_sub_u32_e32 v2, v2, v3
	v_add_u32_e32 v3, s9, v31
	v_add_u32_e32 v4, s11, v31
	v_mul_lo_u32 v3, v3, s8
	v_mul_lo_u32 v4, v4, s10
	v_sub_u32_e32 v3, v3, v4
	;; [unrolled: 5-line block ×6, first 2 shown]
	v_add_u32_e32 v8, s9, v24
	v_add_u32_e32 v9, s11, v24
	v_mul_lo_u32 v8, v8, s8
	v_mul_lo_u32 v9, v9, s10
	v_cmp_lt_u32_e32 vcc, s7, v2
	v_sub_u32_e32 v8, v8, v9
	v_add_u32_e32 v9, s9, v25
	v_add_u32_e32 v10, s11, v25
	v_cndmask_b32_e64 v2, 0, 1, vcc
	v_cmp_lt_u32_e32 vcc, s7, v3
	v_mul_lo_u32 v9, v9, s8
	v_mul_lo_u32 v10, v10, s10
	v_cndmask_b32_e64 v3, 0, 1, vcc
	v_cmp_lt_u32_e32 vcc, s7, v4
	v_sub_u32_e32 v9, v9, v10
	v_add_u32_e32 v10, s9, v22
	v_add_u32_e32 v11, s11, v22
	v_cndmask_b32_e64 v4, 0, 1, vcc
	v_cmp_lt_u32_e32 vcc, s7, v5
	v_mul_lo_u32 v10, v10, s8
	v_mul_lo_u32 v11, v11, s10
	v_cndmask_b32_e64 v5, 0, 1, vcc
	;; [unrolled: 9-line block ×4, first 2 shown]
	v_cmp_lt_u32_e32 vcc, s7, v10
	v_sub_u32_e32 v12, v12, v13
	v_add_u32_e32 v13, s9, v21
	v_add_u32_e32 v14, s11, v21
	v_lshlrev_b16_e32 v3, 8, v3
	v_cndmask_b32_e64 v10, 0, 1, vcc
	v_cmp_lt_u32_e32 vcc, s7, v11
	v_mul_lo_u32 v13, v13, s8
	v_mul_lo_u32 v14, v14, s10
	v_or_b32_e32 v2, v2, v3
	v_lshlrev_b16_e32 v3, 8, v5
	v_cndmask_b32_e64 v11, 0, 1, vcc
	v_cmp_lt_u32_e32 vcc, s7, v12
	v_sub_u32_e32 v13, v13, v14
	v_or_b32_sdwa v3, v4, v3 dst_sel:WORD_1 dst_unused:UNUSED_PAD src0_sel:DWORD src1_sel:DWORD
	v_cndmask_b32_e64 v12, 0, 1, vcc
	v_cmp_lt_u32_e32 vcc, s7, v13
	v_add_u32_e32 v14, s9, v32
	v_add_u32_e32 v15, s11, v32
	v_or_b32_sdwa v37, v2, v3 dst_sel:DWORD dst_unused:UNUSED_PAD src0_sel:WORD_0 src1_sel:DWORD
	v_lshlrev_b16_e32 v2, 8, v7
	v_lshlrev_b16_e32 v3, 8, v9
	v_cndmask_b32_e64 v13, 0, 1, vcc
	v_mul_lo_u32 v14, v14, s8
	v_mul_lo_u32 v15, v15, s10
	v_or_b32_e32 v2, v6, v2
	v_or_b32_sdwa v3, v8, v3 dst_sel:WORD_1 dst_unused:UNUSED_PAD src0_sel:DWORD src1_sel:DWORD
	v_sub_u32_e32 v14, v14, v15
	v_or_b32_sdwa v36, v2, v3 dst_sel:DWORD dst_unused:UNUSED_PAD src0_sel:WORD_0 src1_sel:DWORD
	v_lshlrev_b16_e32 v2, 8, v11
	v_lshlrev_b16_e32 v3, 8, v13
	v_cmp_lt_u32_e32 vcc, s7, v14
	v_or_b32_e32 v2, v10, v2
	v_or_b32_sdwa v3, v12, v3 dst_sel:WORD_1 dst_unused:UNUSED_PAD src0_sel:DWORD src1_sel:DWORD
	v_cndmask_b32_e64 v34, 0, 1, vcc
	v_or_b32_sdwa v35, v2, v3 dst_sel:DWORD dst_unused:UNUSED_PAD src0_sel:WORD_0 src1_sel:DWORD
	s_mov_b64 s[2:3], 0
	s_branch .LBB1102_7
.LBB1102_6:
	s_mov_b64 s[2:3], -1
                                        ; implicit-def: $vgpr34
                                        ; implicit-def: $vgpr35
                                        ; implicit-def: $vgpr36
                                        ; implicit-def: $vgpr37
.LBB1102_7:
	s_load_dwordx2 s[24:25], s[4:5], 0x28
	s_load_dwordx2 s[34:35], s[4:5], 0x68
	s_andn2_b64 vcc, exec, s[2:3]
	s_addk_i32 s33, 0xd00
	s_cbranch_vccnz .LBB1102_35
; %bb.8:
	v_cmp_gt_u32_e32 vcc, s33, v33
	v_mov_b32_e32 v3, 0
	v_mov_b32_e32 v2, 0
	s_and_saveexec_b64 s[2:3], vcc
; %bb.9:
	v_add_u32_e32 v2, s9, v30
	v_add_u32_e32 v4, s11, v30
	v_mul_lo_u32 v2, v2, s8
	v_mul_lo_u32 v4, v4, s10
	v_sub_u32_e32 v2, v2, v4
	v_cmp_lt_u32_e32 vcc, s7, v2
	v_cndmask_b32_e64 v2, 0, 1, vcc
; %bb.10:
	s_or_b64 exec, exec, s[2:3]
	v_add_u32_e32 v4, 1, v33
	v_cmp_gt_u32_e32 vcc, s33, v4
	s_and_saveexec_b64 s[2:3], vcc
; %bb.11:
	v_add_u32_e32 v3, s9, v31
	v_add_u32_e32 v4, s11, v31
	v_mul_lo_u32 v3, v3, s8
	v_mul_lo_u32 v4, v4, s10
	v_sub_u32_e32 v3, v3, v4
	v_cmp_lt_u32_e32 vcc, s7, v3
	v_cndmask_b32_e64 v3, 0, 1, vcc
; %bb.12:
	s_or_b64 exec, exec, s[2:3]
	v_add_u32_e32 v4, 2, v33
	v_cmp_gt_u32_e32 vcc, s33, v4
	v_mov_b32_e32 v5, 0
	v_mov_b32_e32 v4, 0
	s_and_saveexec_b64 s[2:3], vcc
; %bb.13:
	v_add_u32_e32 v4, s9, v28
	v_add_u32_e32 v6, s11, v28
	v_mul_lo_u32 v4, v4, s8
	v_mul_lo_u32 v6, v6, s10
	v_sub_u32_e32 v4, v4, v6
	v_cmp_lt_u32_e32 vcc, s7, v4
	v_cndmask_b32_e64 v4, 0, 1, vcc
; %bb.14:
	s_or_b64 exec, exec, s[2:3]
	v_add_u32_e32 v6, 3, v33
	v_cmp_gt_u32_e32 vcc, s33, v6
	s_and_saveexec_b64 s[2:3], vcc
; %bb.15:
	v_add_u32_e32 v5, s9, v29
	v_add_u32_e32 v6, s11, v29
	v_mul_lo_u32 v5, v5, s8
	v_mul_lo_u32 v6, v6, s10
	v_sub_u32_e32 v5, v5, v6
	v_cmp_lt_u32_e32 vcc, s7, v5
	v_cndmask_b32_e64 v5, 0, 1, vcc
; %bb.16:
	s_or_b64 exec, exec, s[2:3]
	v_add_u32_e32 v6, 4, v33
	;; [unrolled: 28-line block ×6, first 2 shown]
	v_cmp_gt_u32_e32 vcc, s33, v14
	v_mov_b32_e32 v34, 0
	s_and_saveexec_b64 s[2:3], vcc
; %bb.33:
	v_add_u32_e32 v14, s9, v32
	v_add_u32_e32 v15, s11, v32
	v_mul_lo_u32 v14, v14, s8
	v_mul_lo_u32 v15, v15, s10
	v_sub_u32_e32 v14, v14, v15
	v_cmp_lt_u32_e32 vcc, s7, v14
	v_cndmask_b32_e64 v34, 0, 1, vcc
; %bb.34:
	s_or_b64 exec, exec, s[2:3]
	v_lshlrev_b16_e32 v3, 8, v3
	v_or_b32_e32 v2, v2, v3
	v_lshlrev_b16_e32 v3, 8, v5
	v_or_b32_sdwa v3, v4, v3 dst_sel:WORD_1 dst_unused:UNUSED_PAD src0_sel:DWORD src1_sel:DWORD
	v_or_b32_sdwa v37, v2, v3 dst_sel:DWORD dst_unused:UNUSED_PAD src0_sel:WORD_0 src1_sel:DWORD
	v_lshlrev_b16_e32 v2, 8, v7
	v_lshlrev_b16_e32 v3, 8, v9
	v_or_b32_e32 v2, v6, v2
	v_or_b32_sdwa v3, v8, v3 dst_sel:WORD_1 dst_unused:UNUSED_PAD src0_sel:DWORD src1_sel:DWORD
	v_or_b32_sdwa v36, v2, v3 dst_sel:DWORD dst_unused:UNUSED_PAD src0_sel:WORD_0 src1_sel:DWORD
	v_lshlrev_b16_e32 v2, 8, v11
	v_lshlrev_b16_e32 v3, 8, v13
	v_or_b32_e32 v2, v10, v2
	v_or_b32_sdwa v3, v12, v3 dst_sel:WORD_1 dst_unused:UNUSED_PAD src0_sel:DWORD src1_sel:DWORD
	v_or_b32_sdwa v35, v2, v3 dst_sel:DWORD dst_unused:UNUSED_PAD src0_sel:WORD_0 src1_sel:DWORD
.LBB1102_35:
	v_and_b32_e32 v41, 0xff, v37
	v_bfe_u32 v42, v37, 8, 8
	v_bfe_u32 v43, v37, 16, 8
	v_lshrrev_b32_e32 v40, 24, v37
	v_and_b32_e32 v44, 0xff, v36
	v_add3_u32 v3, v42, v41, v43
	v_bfe_u32 v45, v36, 8, 8
	v_bfe_u32 v46, v36, 16, 8
	v_add3_u32 v3, v3, v40, v44
	v_lshrrev_b32_e32 v39, 24, v36
	v_and_b32_e32 v47, 0xff, v35
	v_add3_u32 v3, v3, v45, v46
	v_bfe_u32 v48, v35, 8, 8
	v_bfe_u32 v49, v35, 16, 8
	v_add3_u32 v3, v3, v39, v47
	v_lshrrev_b32_e32 v38, 24, v35
	v_and_b32_e32 v2, 0xff, v34
	v_add3_u32 v3, v3, v48, v49
	v_add3_u32 v52, v3, v38, v2
	v_mbcnt_lo_u32_b32 v2, -1, 0
	v_mbcnt_hi_u32_b32 v50, -1, v2
	v_and_b32_e32 v2, 15, v50
	v_cmp_eq_u32_e64 s[14:15], 0, v2
	v_cmp_lt_u32_e64 s[12:13], 1, v2
	v_cmp_lt_u32_e64 s[10:11], 3, v2
	;; [unrolled: 1-line block ×3, first 2 shown]
	v_and_b32_e32 v2, 16, v50
	v_cmp_eq_u32_e64 s[18:19], 0, v2
	v_or_b32_e32 v2, 63, v0
	s_cmp_lg_u32 s6, 0
	v_cmp_lt_u32_e64 s[2:3], 31, v50
	v_lshrrev_b32_e32 v51, 6, v0
	v_cmp_eq_u32_e64 s[4:5], v2, v0
	s_cbranch_scc0 .LBB1102_66
; %bb.36:
	v_mov_b32_dpp v2, v52 row_shr:1 row_mask:0xf bank_mask:0xf
	v_cndmask_b32_e64 v2, v2, 0, s[14:15]
	v_add_u32_e32 v2, v2, v52
	s_nop 1
	v_mov_b32_dpp v3, v2 row_shr:2 row_mask:0xf bank_mask:0xf
	v_cndmask_b32_e64 v3, 0, v3, s[12:13]
	v_add_u32_e32 v2, v2, v3
	s_nop 1
	;; [unrolled: 4-line block ×4, first 2 shown]
	v_mov_b32_dpp v3, v2 row_bcast:15 row_mask:0xf bank_mask:0xf
	v_cndmask_b32_e64 v3, v3, 0, s[18:19]
	v_add_u32_e32 v2, v2, v3
	s_nop 1
	v_mov_b32_dpp v3, v2 row_bcast:31 row_mask:0xf bank_mask:0xf
	v_cndmask_b32_e64 v3, 0, v3, s[2:3]
	v_add_u32_e32 v2, v2, v3
	s_and_saveexec_b64 s[16:17], s[4:5]
	s_cbranch_execz .LBB1102_38
; %bb.37:
	v_lshlrev_b32_e32 v3, 2, v51
	ds_write_b32 v3, v2
.LBB1102_38:
	s_or_b64 exec, exec, s[16:17]
	v_cmp_gt_u32_e32 vcc, 4, v0
	s_waitcnt lgkmcnt(0)
	s_barrier
	s_and_saveexec_b64 s[16:17], vcc
	s_cbranch_execz .LBB1102_40
; %bb.39:
	ds_read_b32 v3, v1
	v_and_b32_e32 v4, 3, v50
	v_cmp_ne_u32_e32 vcc, 0, v4
	s_waitcnt lgkmcnt(0)
	v_mov_b32_dpp v5, v3 row_shr:1 row_mask:0xf bank_mask:0xf
	v_cndmask_b32_e32 v5, 0, v5, vcc
	v_add_u32_e32 v3, v5, v3
	v_cmp_lt_u32_e32 vcc, 1, v4
	s_nop 0
	v_mov_b32_dpp v5, v3 row_shr:2 row_mask:0xf bank_mask:0xf
	v_cndmask_b32_e32 v4, 0, v5, vcc
	v_add_u32_e32 v3, v3, v4
	ds_write_b32 v1, v3
.LBB1102_40:
	s_or_b64 exec, exec, s[16:17]
	v_cmp_gt_u32_e32 vcc, 64, v0
	v_cmp_lt_u32_e64 s[16:17], 63, v0
	s_waitcnt lgkmcnt(0)
	s_barrier
	s_waitcnt lgkmcnt(0)
                                        ; implicit-def: $vgpr12
	s_and_saveexec_b64 s[36:37], s[16:17]
	s_cbranch_execz .LBB1102_42
; %bb.41:
	v_lshl_add_u32 v3, v51, 2, -4
	ds_read_b32 v12, v3
	s_waitcnt lgkmcnt(0)
	v_add_u32_e32 v2, v12, v2
.LBB1102_42:
	s_or_b64 exec, exec, s[36:37]
	v_add_u32_e32 v3, -1, v50
	v_and_b32_e32 v4, 64, v50
	v_cmp_lt_i32_e64 s[16:17], v3, v4
	v_cndmask_b32_e64 v3, v3, v50, s[16:17]
	v_lshlrev_b32_e32 v3, 2, v3
	ds_bpermute_b32 v13, v3, v2
	v_cmp_eq_u32_e64 s[16:17], 0, v50
	s_and_saveexec_b64 s[36:37], vcc
	s_cbranch_execz .LBB1102_65
; %bb.43:
	v_mov_b32_e32 v11, 0
	ds_read_b32 v2, v11 offset:12
	s_and_saveexec_b64 s[38:39], s[16:17]
	s_cbranch_execz .LBB1102_45
; %bb.44:
	s_add_i32 s40, s6, 64
	s_mov_b32 s41, 0
	s_lshl_b64 s[40:41], s[40:41], 3
	s_add_u32 s40, s34, s40
	v_mov_b32_e32 v3, 1
	s_addc_u32 s41, s35, s41
	s_waitcnt lgkmcnt(0)
	global_store_dwordx2 v11, v[2:3], s[40:41]
.LBB1102_45:
	s_or_b64 exec, exec, s[38:39]
	v_xad_u32 v4, v50, -1, s6
	v_add_u32_e32 v10, 64, v4
	v_lshlrev_b64 v[6:7], 3, v[10:11]
	v_mov_b32_e32 v3, s35
	v_add_co_u32_e32 v6, vcc, s34, v6
	v_addc_co_u32_e32 v7, vcc, v3, v7, vcc
	global_load_dwordx2 v[8:9], v[6:7], off glc
	s_waitcnt vmcnt(0)
	v_cmp_eq_u16_sdwa s[40:41], v9, v11 src0_sel:BYTE_0 src1_sel:DWORD
	s_and_saveexec_b64 s[38:39], s[40:41]
	s_cbranch_execz .LBB1102_51
; %bb.46:
	s_mov_b32 s7, 1
	s_mov_b64 s[40:41], 0
	v_mov_b32_e32 v3, 0
.LBB1102_47:                            ; =>This Loop Header: Depth=1
                                        ;     Child Loop BB1102_48 Depth 2
	s_max_u32 s43, s7, 1
.LBB1102_48:                            ;   Parent Loop BB1102_47 Depth=1
                                        ; =>  This Inner Loop Header: Depth=2
	s_add_i32 s43, s43, -1
	s_cmp_eq_u32 s43, 0
	s_sleep 1
	s_cbranch_scc0 .LBB1102_48
; %bb.49:                               ;   in Loop: Header=BB1102_47 Depth=1
	global_load_dwordx2 v[8:9], v[6:7], off glc
	s_cmp_lt_u32 s7, 32
	s_cselect_b64 s[44:45], -1, 0
	s_cmp_lg_u64 s[44:45], 0
	s_addc_u32 s7, s7, 0
	s_waitcnt vmcnt(0)
	v_cmp_ne_u16_sdwa s[44:45], v9, v3 src0_sel:BYTE_0 src1_sel:DWORD
	s_or_b64 s[40:41], s[44:45], s[40:41]
	s_andn2_b64 exec, exec, s[40:41]
	s_cbranch_execnz .LBB1102_47
; %bb.50:
	s_or_b64 exec, exec, s[40:41]
.LBB1102_51:
	s_or_b64 exec, exec, s[38:39]
	v_and_b32_e32 v14, 63, v50
	v_mov_b32_e32 v3, 2
	v_cmp_ne_u32_e32 vcc, 63, v14
	v_cmp_eq_u16_sdwa s[38:39], v9, v3 src0_sel:BYTE_0 src1_sel:DWORD
	v_lshlrev_b64 v[6:7], v50, -1
	v_addc_co_u32_e32 v11, vcc, 0, v50, vcc
	v_and_b32_e32 v5, s39, v7
	v_lshlrev_b32_e32 v15, 2, v11
	v_or_b32_e32 v5, 0x80000000, v5
	ds_bpermute_b32 v11, v15, v8
	v_and_b32_e32 v10, s38, v6
	v_ffbl_b32_e32 v5, v5
	v_add_u32_e32 v5, 32, v5
	v_ffbl_b32_e32 v10, v10
	v_min_u32_e32 v5, v10, v5
	v_cmp_lt_u32_e32 vcc, v14, v5
	s_waitcnt lgkmcnt(0)
	v_cndmask_b32_e32 v10, 0, v11, vcc
	v_cmp_gt_u32_e32 vcc, 62, v14
	v_add_u32_e32 v8, v10, v8
	v_cndmask_b32_e64 v10, 0, 1, vcc
	v_lshlrev_b32_e32 v10, 1, v10
	v_add_lshl_u32 v16, v10, v50, 2
	ds_bpermute_b32 v10, v16, v8
	v_add_u32_e32 v17, 2, v14
	v_cmp_le_u32_e32 vcc, v17, v5
	v_add_u32_e32 v19, 4, v14
	v_add_u32_e32 v54, 8, v14
	s_waitcnt lgkmcnt(0)
	v_cndmask_b32_e32 v10, 0, v10, vcc
	v_cmp_gt_u32_e32 vcc, 60, v14
	v_add_u32_e32 v8, v8, v10
	v_cndmask_b32_e64 v10, 0, 1, vcc
	v_lshlrev_b32_e32 v10, 2, v10
	v_add_lshl_u32 v18, v10, v50, 2
	ds_bpermute_b32 v10, v18, v8
	v_cmp_le_u32_e32 vcc, v19, v5
	v_add_u32_e32 v57, 16, v14
	v_add_u32_e32 v59, 32, v14
	s_waitcnt lgkmcnt(0)
	v_cndmask_b32_e32 v10, 0, v10, vcc
	v_cmp_gt_u32_e32 vcc, 56, v14
	v_add_u32_e32 v8, v8, v10
	v_cndmask_b32_e64 v10, 0, 1, vcc
	v_lshlrev_b32_e32 v10, 3, v10
	v_add_lshl_u32 v53, v10, v50, 2
	ds_bpermute_b32 v10, v53, v8
	v_cmp_le_u32_e32 vcc, v54, v5
	s_waitcnt lgkmcnt(0)
	v_cndmask_b32_e32 v10, 0, v10, vcc
	v_cmp_gt_u32_e32 vcc, 48, v14
	v_add_u32_e32 v8, v8, v10
	v_cndmask_b32_e64 v10, 0, 1, vcc
	v_lshlrev_b32_e32 v10, 4, v10
	v_add_lshl_u32 v56, v10, v50, 2
	ds_bpermute_b32 v10, v56, v8
	v_cmp_le_u32_e32 vcc, v57, v5
	;; [unrolled: 9-line block ×3, first 2 shown]
	s_waitcnt lgkmcnt(0)
	v_cndmask_b32_e32 v5, 0, v10, vcc
	v_add_u32_e32 v8, v8, v5
	v_mov_b32_e32 v5, 0
	s_branch .LBB1102_53
.LBB1102_52:                            ;   in Loop: Header=BB1102_53 Depth=1
	s_or_b64 exec, exec, s[38:39]
	v_cmp_eq_u16_sdwa s[38:39], v9, v3 src0_sel:BYTE_0 src1_sel:DWORD
	v_and_b32_e32 v10, s39, v7
	v_or_b32_e32 v10, 0x80000000, v10
	ds_bpermute_b32 v60, v15, v8
	v_and_b32_e32 v11, s38, v6
	v_ffbl_b32_e32 v10, v10
	v_add_u32_e32 v10, 32, v10
	v_ffbl_b32_e32 v11, v11
	v_min_u32_e32 v10, v11, v10
	v_cmp_lt_u32_e32 vcc, v14, v10
	s_waitcnt lgkmcnt(0)
	v_cndmask_b32_e32 v11, 0, v60, vcc
	v_add_u32_e32 v8, v11, v8
	ds_bpermute_b32 v11, v16, v8
	v_cmp_le_u32_e32 vcc, v17, v10
	v_subrev_u32_e32 v4, 64, v4
	s_waitcnt lgkmcnt(0)
	v_cndmask_b32_e32 v11, 0, v11, vcc
	v_add_u32_e32 v8, v8, v11
	ds_bpermute_b32 v11, v18, v8
	v_cmp_le_u32_e32 vcc, v19, v10
	s_waitcnt lgkmcnt(0)
	v_cndmask_b32_e32 v11, 0, v11, vcc
	v_add_u32_e32 v8, v8, v11
	ds_bpermute_b32 v11, v53, v8
	v_cmp_le_u32_e32 vcc, v54, v10
	;; [unrolled: 5-line block ×4, first 2 shown]
	s_waitcnt lgkmcnt(0)
	v_cndmask_b32_e32 v10, 0, v11, vcc
	v_add3_u32 v8, v10, v55, v8
.LBB1102_53:                            ; =>This Loop Header: Depth=1
                                        ;     Child Loop BB1102_56 Depth 2
                                        ;       Child Loop BB1102_57 Depth 3
	v_cmp_ne_u16_sdwa s[38:39], v9, v3 src0_sel:BYTE_0 src1_sel:DWORD
	v_cndmask_b32_e64 v9, 0, 1, s[38:39]
	;;#ASMSTART
	;;#ASMEND
	v_cmp_ne_u32_e32 vcc, 0, v9
	s_cmp_lg_u64 vcc, exec
	v_mov_b32_e32 v55, v8
	s_cbranch_scc1 .LBB1102_60
; %bb.54:                               ;   in Loop: Header=BB1102_53 Depth=1
	v_lshlrev_b64 v[8:9], 3, v[4:5]
	v_mov_b32_e32 v11, s35
	v_add_co_u32_e32 v10, vcc, s34, v8
	v_addc_co_u32_e32 v11, vcc, v11, v9, vcc
	global_load_dwordx2 v[8:9], v[10:11], off glc
	s_waitcnt vmcnt(0)
	v_cmp_eq_u16_sdwa s[40:41], v9, v5 src0_sel:BYTE_0 src1_sel:DWORD
	s_and_saveexec_b64 s[38:39], s[40:41]
	s_cbranch_execz .LBB1102_52
; %bb.55:                               ;   in Loop: Header=BB1102_53 Depth=1
	s_mov_b32 s7, 1
	s_mov_b64 s[40:41], 0
.LBB1102_56:                            ;   Parent Loop BB1102_53 Depth=1
                                        ; =>  This Loop Header: Depth=2
                                        ;       Child Loop BB1102_57 Depth 3
	s_max_u32 s43, s7, 1
.LBB1102_57:                            ;   Parent Loop BB1102_53 Depth=1
                                        ;     Parent Loop BB1102_56 Depth=2
                                        ; =>    This Inner Loop Header: Depth=3
	s_add_i32 s43, s43, -1
	s_cmp_eq_u32 s43, 0
	s_sleep 1
	s_cbranch_scc0 .LBB1102_57
; %bb.58:                               ;   in Loop: Header=BB1102_56 Depth=2
	global_load_dwordx2 v[8:9], v[10:11], off glc
	s_cmp_lt_u32 s7, 32
	s_cselect_b64 s[44:45], -1, 0
	s_cmp_lg_u64 s[44:45], 0
	s_addc_u32 s7, s7, 0
	s_waitcnt vmcnt(0)
	v_cmp_ne_u16_sdwa s[44:45], v9, v5 src0_sel:BYTE_0 src1_sel:DWORD
	s_or_b64 s[40:41], s[44:45], s[40:41]
	s_andn2_b64 exec, exec, s[40:41]
	s_cbranch_execnz .LBB1102_56
; %bb.59:                               ;   in Loop: Header=BB1102_53 Depth=1
	s_or_b64 exec, exec, s[40:41]
	s_branch .LBB1102_52
.LBB1102_60:                            ;   in Loop: Header=BB1102_53 Depth=1
                                        ; implicit-def: $vgpr8
                                        ; implicit-def: $vgpr9
	s_cbranch_execz .LBB1102_53
; %bb.61:
	s_and_saveexec_b64 s[38:39], s[16:17]
	s_cbranch_execz .LBB1102_63
; %bb.62:
	s_add_i32 s6, s6, 64
	s_mov_b32 s7, 0
	s_lshl_b64 s[6:7], s[6:7], 3
	s_add_u32 s6, s34, s6
	v_add_u32_e32 v4, v55, v2
	v_mov_b32_e32 v5, 2
	s_addc_u32 s7, s35, s7
	v_mov_b32_e32 v3, 0
	global_store_dwordx2 v3, v[4:5], s[6:7]
	s_movk_i32 s6, 0x3400
	v_add_u32_e64 v3, s6, 0
	ds_write2_b32 v3, v2, v55 offset1:2
.LBB1102_63:
	s_or_b64 exec, exec, s[38:39]
	v_cmp_eq_u32_e32 vcc, 0, v0
	s_and_b64 exec, exec, vcc
	s_cbranch_execz .LBB1102_65
; %bb.64:
	v_mov_b32_e32 v2, 0
	ds_write_b32 v2, v55 offset:12
.LBB1102_65:
	s_or_b64 exec, exec, s[36:37]
	v_mov_b32_e32 v2, 0
	s_waitcnt lgkmcnt(0)
	s_barrier
	ds_read_b32 v2, v2 offset:12
	v_cndmask_b32_e64 v3, v13, v12, s[16:17]
	v_cmp_ne_u32_e32 vcc, 0, v0
	v_cndmask_b32_e32 v3, 0, v3, vcc
	s_movk_i32 s6, 0x3400
	s_waitcnt lgkmcnt(0)
	v_add_u32_e32 v2, v2, v3
	v_add_u32_e32 v3, v2, v41
	;; [unrolled: 1-line block ×8, first 2 shown]
	v_add_u32_e64 v12, s6, 0
	v_add_u32_e32 v10, v9, v39
	s_barrier
	ds_read2_b32 v[18:19], v12 offset1:2
	v_add_u32_e32 v11, v10, v47
	v_add_u32_e32 v12, v11, v48
	;; [unrolled: 1-line block ×4, first 2 shown]
	s_branch .LBB1102_76
.LBB1102_66:
                                        ; implicit-def: $vgpr19
                                        ; implicit-def: $vgpr2_vgpr3_vgpr4_vgpr5_vgpr6_vgpr7_vgpr8_vgpr9_vgpr10_vgpr11_vgpr12_vgpr13_vgpr14_vgpr15_vgpr16_vgpr17
	s_cbranch_execz .LBB1102_76
; %bb.67:
	s_nop 0
	v_mov_b32_dpp v2, v52 row_shr:1 row_mask:0xf bank_mask:0xf
	v_cndmask_b32_e64 v2, v2, 0, s[14:15]
	v_add_u32_e32 v2, v2, v52
	s_nop 1
	v_mov_b32_dpp v3, v2 row_shr:2 row_mask:0xf bank_mask:0xf
	v_cndmask_b32_e64 v3, 0, v3, s[12:13]
	v_add_u32_e32 v2, v2, v3
	;; [unrolled: 4-line block ×4, first 2 shown]
	s_nop 1
	v_mov_b32_dpp v3, v2 row_bcast:15 row_mask:0xf bank_mask:0xf
	v_cndmask_b32_e64 v3, v3, 0, s[18:19]
	v_add_u32_e32 v2, v2, v3
	s_nop 1
	v_mov_b32_dpp v3, v2 row_bcast:31 row_mask:0xf bank_mask:0xf
	v_cndmask_b32_e64 v3, 0, v3, s[2:3]
	v_add_u32_e32 v2, v2, v3
	s_and_saveexec_b64 s[2:3], s[4:5]
	s_cbranch_execz .LBB1102_69
; %bb.68:
	v_lshlrev_b32_e32 v3, 2, v51
	ds_write_b32 v3, v2
.LBB1102_69:
	s_or_b64 exec, exec, s[2:3]
	v_cmp_gt_u32_e32 vcc, 4, v0
	s_waitcnt lgkmcnt(0)
	s_barrier
	s_and_saveexec_b64 s[2:3], vcc
	s_cbranch_execz .LBB1102_71
; %bb.70:
	ds_read_b32 v3, v1
	v_and_b32_e32 v4, 3, v50
	v_cmp_ne_u32_e32 vcc, 0, v4
	s_waitcnt lgkmcnt(0)
	v_mov_b32_dpp v5, v3 row_shr:1 row_mask:0xf bank_mask:0xf
	v_cndmask_b32_e32 v5, 0, v5, vcc
	v_add_u32_e32 v3, v5, v3
	v_cmp_lt_u32_e32 vcc, 1, v4
	s_nop 0
	v_mov_b32_dpp v5, v3 row_shr:2 row_mask:0xf bank_mask:0xf
	v_cndmask_b32_e32 v4, 0, v5, vcc
	v_add_u32_e32 v3, v3, v4
	ds_write_b32 v1, v3
.LBB1102_71:
	s_or_b64 exec, exec, s[2:3]
	v_cmp_lt_u32_e32 vcc, 63, v0
	v_mov_b32_e32 v4, 0
	v_mov_b32_e32 v3, 0
	s_waitcnt lgkmcnt(0)
	s_barrier
	s_and_saveexec_b64 s[2:3], vcc
	s_cbranch_execz .LBB1102_73
; %bb.72:
	v_lshl_add_u32 v3, v51, 2, -4
	ds_read_b32 v3, v3
.LBB1102_73:
	s_or_b64 exec, exec, s[2:3]
	v_add_u32_e32 v5, -1, v50
	v_and_b32_e32 v6, 64, v50
	v_cmp_lt_i32_e32 vcc, v5, v6
	v_cndmask_b32_e32 v5, v5, v50, vcc
	s_waitcnt lgkmcnt(0)
	v_add_u32_e32 v2, v3, v2
	v_lshlrev_b32_e32 v5, 2, v5
	ds_bpermute_b32 v2, v5, v2
	ds_read_b32 v18, v4 offset:12
	v_cmp_eq_u32_e32 vcc, 0, v0
	s_and_saveexec_b64 s[2:3], vcc
	s_cbranch_execz .LBB1102_75
; %bb.74:
	v_mov_b32_e32 v4, 0
	v_mov_b32_e32 v19, 2
	s_waitcnt lgkmcnt(0)
	global_store_dwordx2 v4, v[18:19], s[34:35] offset:512
.LBB1102_75:
	s_or_b64 exec, exec, s[2:3]
	v_cmp_eq_u32_e64 s[2:3], 0, v50
	s_waitcnt lgkmcnt(1)
	v_cndmask_b32_e64 v2, v2, v3, s[2:3]
	v_cndmask_b32_e64 v2, v2, 0, vcc
	v_add_u32_e32 v3, v2, v41
	v_add_u32_e32 v4, v3, v42
	;; [unrolled: 1-line block ×11, first 2 shown]
	v_mov_b32_e32 v19, 0
	v_add_u32_e32 v14, v13, v38
	s_waitcnt lgkmcnt(0)
	s_barrier
.LBB1102_76:
	s_waitcnt lgkmcnt(0)
	v_add_u32_e32 v33, v18, v33
	v_sub_u32_e32 v2, v2, v19
	v_and_b32_e32 v42, 1, v37
	v_sub_u32_e32 v41, v33, v2
	v_cmp_eq_u32_e32 vcc, 1, v42
	v_cndmask_b32_e32 v2, v41, v2, vcc
	v_lshlrev_b32_e32 v2, 2, v2
	v_lshrrev_b32_e32 v17, 8, v37
	ds_write_b32 v2, v30
	v_sub_u32_e32 v2, v3, v19
	v_sub_u32_e32 v3, v33, v2
	v_and_b32_e32 v17, 1, v17
	v_add_u32_e32 v3, 1, v3
	v_cmp_eq_u32_e32 vcc, 1, v17
	v_cndmask_b32_e32 v2, v3, v2, vcc
	v_lshlrev_b32_e32 v2, 2, v2
	ds_write_b32 v2, v31
	v_sub_u32_e32 v2, v4, v19
	v_mov_b32_e32 v4, 1
	v_sub_u32_e32 v3, v33, v2
	v_and_b32_sdwa v17, v4, v37 dst_sel:DWORD dst_unused:UNUSED_PAD src0_sel:DWORD src1_sel:WORD_1
	v_add_u32_e32 v3, 2, v3
	v_cmp_eq_u32_e32 vcc, 1, v17
	v_cndmask_b32_e32 v2, v3, v2, vcc
	v_lshlrev_b32_e32 v2, 2, v2
	ds_write_b32 v2, v28
	v_sub_u32_e32 v2, v5, v19
	v_sub_u32_e32 v3, v33, v2
	v_and_b32_e32 v5, 1, v40
	v_add_u32_e32 v3, 3, v3
	v_cmp_eq_u32_e32 vcc, 1, v5
	v_cndmask_b32_e32 v2, v3, v2, vcc
	v_lshlrev_b32_e32 v2, 2, v2
	ds_write_b32 v2, v29
	v_sub_u32_e32 v2, v6, v19
	v_sub_u32_e32 v3, v33, v2
	v_and_b32_e32 v5, 1, v36
	v_add_u32_e32 v3, 4, v3
	v_cmp_eq_u32_e32 vcc, 1, v5
	v_cndmask_b32_e32 v2, v3, v2, vcc
	v_lshlrev_b32_e32 v2, 2, v2
	v_lshrrev_b32_e32 v16, 8, v36
	ds_write_b32 v2, v26
	v_sub_u32_e32 v2, v7, v19
	v_sub_u32_e32 v3, v33, v2
	v_and_b32_e32 v5, 1, v16
	v_add_u32_e32 v3, 5, v3
	v_cmp_eq_u32_e32 vcc, 1, v5
	v_cndmask_b32_e32 v2, v3, v2, vcc
	v_lshlrev_b32_e32 v2, 2, v2
	ds_write_b32 v2, v27
	v_sub_u32_e32 v2, v8, v19
	v_sub_u32_e32 v3, v33, v2
	v_and_b32_sdwa v5, v4, v36 dst_sel:DWORD dst_unused:UNUSED_PAD src0_sel:DWORD src1_sel:WORD_1
	v_add_u32_e32 v3, 6, v3
	v_cmp_eq_u32_e32 vcc, 1, v5
	v_cndmask_b32_e32 v2, v3, v2, vcc
	v_lshlrev_b32_e32 v2, 2, v2
	ds_write_b32 v2, v24
	v_sub_u32_e32 v2, v9, v19
	v_sub_u32_e32 v3, v33, v2
	v_and_b32_e32 v5, 1, v39
	v_add_u32_e32 v3, 7, v3
	v_cmp_eq_u32_e32 vcc, 1, v5
	v_cndmask_b32_e32 v2, v3, v2, vcc
	v_lshlrev_b32_e32 v2, 2, v2
	ds_write_b32 v2, v25
	v_sub_u32_e32 v2, v10, v19
	v_sub_u32_e32 v3, v33, v2
	v_and_b32_e32 v5, 1, v35
	v_add_u32_e32 v3, 8, v3
	v_cmp_eq_u32_e32 vcc, 1, v5
	v_cndmask_b32_e32 v2, v3, v2, vcc
	v_lshlrev_b32_e32 v2, 2, v2
	v_lshrrev_b32_e32 v15, 8, v35
	ds_write_b32 v2, v22
	v_sub_u32_e32 v2, v11, v19
	v_sub_u32_e32 v3, v33, v2
	v_and_b32_e32 v5, 1, v15
	v_add_u32_e32 v3, 9, v3
	v_cmp_eq_u32_e32 vcc, 1, v5
	v_cndmask_b32_e32 v2, v3, v2, vcc
	v_lshlrev_b32_e32 v2, 2, v2
	ds_write_b32 v2, v23
	v_sub_u32_e32 v2, v12, v19
	v_sub_u32_e32 v3, v33, v2
	v_and_b32_sdwa v4, v4, v35 dst_sel:DWORD dst_unused:UNUSED_PAD src0_sel:DWORD src1_sel:WORD_1
	v_add_u32_e32 v3, 10, v3
	v_cmp_eq_u32_e32 vcc, 1, v4
	v_cndmask_b32_e32 v2, v3, v2, vcc
	v_lshlrev_b32_e32 v2, 2, v2
	ds_write_b32 v2, v20
	v_sub_u32_e32 v2, v13, v19
	v_sub_u32_e32 v3, v33, v2
	v_and_b32_e32 v4, 1, v38
	v_add_u32_e32 v3, 11, v3
	v_cmp_eq_u32_e32 vcc, 1, v4
	v_cndmask_b32_e32 v2, v3, v2, vcc
	v_lshlrev_b32_e32 v2, 2, v2
	ds_write_b32 v2, v21
	v_sub_u32_e32 v2, v14, v19
	v_sub_u32_e32 v3, v33, v2
	v_and_b32_e32 v4, 1, v34
	v_add_u32_e32 v3, 12, v3
	v_cmp_eq_u32_e32 vcc, 1, v4
	v_cndmask_b32_e32 v2, v3, v2, vcc
	s_add_u32 s2, s28, s42
	v_lshlrev_b32_e32 v2, 2, v2
	s_addc_u32 s3, s29, 0
	ds_write_b32 v2, v32
	s_waitcnt lgkmcnt(0)
	s_barrier
	ds_read2st64_b32 v[12:13], v1 offset1:4
	ds_read2st64_b32 v[10:11], v1 offset0:8 offset1:12
	ds_read2st64_b32 v[8:9], v1 offset0:16 offset1:20
	;; [unrolled: 1-line block ×5, first 2 shown]
	ds_read_b32 v17, v1 offset:12288
	v_mov_b32_e32 v14, s31
	v_add_co_u32_e32 v1, vcc, s30, v19
	s_sub_u32 s2, s26, s2
	v_addc_co_u32_e32 v16, vcc, 0, v14, vcc
	s_subb_u32 s3, s27, s3
	v_mov_b32_e32 v14, s3
	v_add_co_u32_e32 v15, vcc, s2, v18
	v_addc_co_u32_e32 v14, vcc, 0, v14, vcc
	s_and_b64 vcc, exec, s[0:1]
	v_add_co_u32_e64 v19, s[0:1], v15, v1
	v_or_b32_e32 v32, 0x100, v0
	v_or_b32_e32 v31, 0x200, v0
	;; [unrolled: 1-line block ×12, first 2 shown]
	v_addc_co_u32_e64 v21, s[0:1], v14, v16, s[0:1]
	s_cbranch_vccnz .LBB1102_130
; %bb.77:
	v_cmp_ge_u32_e32 vcc, v0, v18
                                        ; implicit-def: $vgpr14_vgpr15
	s_and_saveexec_b64 s[0:1], vcc
	s_xor_b64 s[0:1], exec, s[0:1]
; %bb.78:
	v_not_b32_e32 v14, v0
	v_ashrrev_i32_e32 v15, 31, v14
	v_add_co_u32_e32 v14, vcc, v19, v14
	v_addc_co_u32_e32 v15, vcc, v21, v15, vcc
; %bb.79:
	s_andn2_saveexec_b64 s[0:1], s[0:1]
; %bb.80:
	v_add_co_u32_e32 v14, vcc, v1, v0
	v_addc_co_u32_e32 v15, vcc, 0, v16, vcc
; %bb.81:
	s_or_b64 exec, exec, s[0:1]
	v_lshlrev_b64 v[14:15], 2, v[14:15]
	v_mov_b32_e32 v33, s25
	v_add_co_u32_e32 v14, vcc, s24, v14
	v_addc_co_u32_e32 v15, vcc, v33, v15, vcc
	v_cmp_ge_u32_e32 vcc, v32, v18
	s_waitcnt lgkmcnt(6)
	global_store_dword v[14:15], v12, off
                                        ; implicit-def: $vgpr14_vgpr15
	s_and_saveexec_b64 s[0:1], vcc
	s_xor_b64 s[0:1], exec, s[0:1]
; %bb.82:
	v_xor_b32_e32 v14, 0xfffffeff, v0
	v_ashrrev_i32_e32 v15, 31, v14
	v_add_co_u32_e32 v14, vcc, v19, v14
	v_addc_co_u32_e32 v15, vcc, v21, v15, vcc
; %bb.83:
	s_andn2_saveexec_b64 s[0:1], s[0:1]
; %bb.84:
	v_add_co_u32_e32 v14, vcc, v1, v32
	v_addc_co_u32_e32 v15, vcc, 0, v16, vcc
; %bb.85:
	s_or_b64 exec, exec, s[0:1]
	v_lshlrev_b64 v[14:15], 2, v[14:15]
	v_mov_b32_e32 v33, s25
	v_add_co_u32_e32 v14, vcc, s24, v14
	v_addc_co_u32_e32 v15, vcc, v33, v15, vcc
	v_cmp_ge_u32_e32 vcc, v31, v18
	global_store_dword v[14:15], v13, off
                                        ; implicit-def: $vgpr14_vgpr15
	s_and_saveexec_b64 s[0:1], vcc
	s_xor_b64 s[0:1], exec, s[0:1]
; %bb.86:
	v_xor_b32_e32 v14, 0xfffffdff, v0
	v_ashrrev_i32_e32 v15, 31, v14
	v_add_co_u32_e32 v14, vcc, v19, v14
	v_addc_co_u32_e32 v15, vcc, v21, v15, vcc
; %bb.87:
	s_andn2_saveexec_b64 s[0:1], s[0:1]
; %bb.88:
	v_add_co_u32_e32 v14, vcc, v1, v31
	v_addc_co_u32_e32 v15, vcc, 0, v16, vcc
; %bb.89:
	s_or_b64 exec, exec, s[0:1]
	v_lshlrev_b64 v[14:15], 2, v[14:15]
	v_mov_b32_e32 v33, s25
	v_add_co_u32_e32 v14, vcc, s24, v14
	v_addc_co_u32_e32 v15, vcc, v33, v15, vcc
	v_cmp_ge_u32_e32 vcc, v30, v18
	s_waitcnt lgkmcnt(5)
	global_store_dword v[14:15], v10, off
                                        ; implicit-def: $vgpr14_vgpr15
	s_and_saveexec_b64 s[0:1], vcc
	s_xor_b64 s[0:1], exec, s[0:1]
; %bb.90:
	v_xor_b32_e32 v14, 0xfffffcff, v0
	v_ashrrev_i32_e32 v15, 31, v14
	v_add_co_u32_e32 v14, vcc, v19, v14
	v_addc_co_u32_e32 v15, vcc, v21, v15, vcc
; %bb.91:
	s_andn2_saveexec_b64 s[0:1], s[0:1]
; %bb.92:
	v_add_co_u32_e32 v14, vcc, v1, v30
	v_addc_co_u32_e32 v15, vcc, 0, v16, vcc
; %bb.93:
	s_or_b64 exec, exec, s[0:1]
	v_lshlrev_b64 v[14:15], 2, v[14:15]
	v_mov_b32_e32 v33, s25
	v_add_co_u32_e32 v14, vcc, s24, v14
	v_addc_co_u32_e32 v15, vcc, v33, v15, vcc
	v_cmp_ge_u32_e32 vcc, v29, v18
	global_store_dword v[14:15], v11, off
                                        ; implicit-def: $vgpr14_vgpr15
	s_and_saveexec_b64 s[0:1], vcc
	s_xor_b64 s[0:1], exec, s[0:1]
; %bb.94:
	v_xor_b32_e32 v14, 0xfffffbff, v0
	;; [unrolled: 43-line block ×6, first 2 shown]
	v_ashrrev_i32_e32 v15, 31, v14
	v_add_co_u32_e32 v14, vcc, v19, v14
	v_addc_co_u32_e32 v15, vcc, v21, v15, vcc
; %bb.127:
	s_andn2_saveexec_b64 s[0:1], s[0:1]
; %bb.128:
	v_add_co_u32_e32 v14, vcc, v1, v20
	v_addc_co_u32_e32 v15, vcc, 0, v16, vcc
; %bb.129:
	s_or_b64 exec, exec, s[0:1]
	s_mov_b64 s[0:1], -1
	s_branch .LBB1102_210
.LBB1102_130:
	s_mov_b64 s[0:1], 0
                                        ; implicit-def: $vgpr14_vgpr15
	s_cbranch_execz .LBB1102_210
; %bb.131:
	v_cmp_gt_u32_e32 vcc, s33, v0
	s_and_saveexec_b64 s[2:3], vcc
	s_cbranch_execz .LBB1102_167
; %bb.132:
	v_cmp_ge_u32_e32 vcc, v0, v18
                                        ; implicit-def: $vgpr14_vgpr15
	s_and_saveexec_b64 s[4:5], vcc
	s_xor_b64 s[4:5], exec, s[4:5]
; %bb.133:
	v_not_b32_e32 v14, v0
	v_ashrrev_i32_e32 v15, 31, v14
	v_add_co_u32_e32 v14, vcc, v19, v14
	v_addc_co_u32_e32 v15, vcc, v21, v15, vcc
; %bb.134:
	s_andn2_saveexec_b64 s[4:5], s[4:5]
; %bb.135:
	v_add_co_u32_e32 v14, vcc, v1, v0
	v_addc_co_u32_e32 v15, vcc, 0, v16, vcc
; %bb.136:
	s_or_b64 exec, exec, s[4:5]
	v_lshlrev_b64 v[14:15], 2, v[14:15]
	v_mov_b32_e32 v33, s25
	v_add_co_u32_e32 v14, vcc, s24, v14
	v_addc_co_u32_e32 v15, vcc, v33, v15, vcc
	s_waitcnt lgkmcnt(6)
	global_store_dword v[14:15], v12, off
	s_or_b64 exec, exec, s[2:3]
	v_cmp_gt_u32_e32 vcc, s33, v32
	s_and_saveexec_b64 s[2:3], vcc
	s_cbranch_execnz .LBB1102_168
.LBB1102_137:
	s_or_b64 exec, exec, s[2:3]
	v_cmp_gt_u32_e32 vcc, s33, v31
	s_and_saveexec_b64 s[2:3], vcc
	s_cbranch_execz .LBB1102_173
.LBB1102_138:
	v_cmp_ge_u32_e32 vcc, v31, v18
                                        ; implicit-def: $vgpr12_vgpr13
	s_and_saveexec_b64 s[4:5], vcc
	s_xor_b64 s[4:5], exec, s[4:5]
	s_cbranch_execz .LBB1102_140
; %bb.139:
	s_waitcnt lgkmcnt(6)
	v_xor_b32_e32 v12, 0xfffffdff, v0
	v_ashrrev_i32_e32 v13, 31, v12
	v_add_co_u32_e32 v12, vcc, v19, v12
	v_addc_co_u32_e32 v13, vcc, v21, v13, vcc
                                        ; implicit-def: $vgpr31
.LBB1102_140:
	s_andn2_saveexec_b64 s[4:5], s[4:5]
	s_cbranch_execz .LBB1102_142
; %bb.141:
	s_waitcnt lgkmcnt(6)
	v_add_co_u32_e32 v12, vcc, v1, v31
	v_addc_co_u32_e32 v13, vcc, 0, v16, vcc
.LBB1102_142:
	s_or_b64 exec, exec, s[4:5]
	s_waitcnt lgkmcnt(6)
	v_lshlrev_b64 v[12:13], 2, v[12:13]
	v_mov_b32_e32 v14, s25
	v_add_co_u32_e32 v12, vcc, s24, v12
	v_addc_co_u32_e32 v13, vcc, v14, v13, vcc
	s_waitcnt lgkmcnt(5)
	global_store_dword v[12:13], v10, off
	s_or_b64 exec, exec, s[2:3]
	v_cmp_gt_u32_e32 vcc, s33, v30
	s_and_saveexec_b64 s[2:3], vcc
	s_cbranch_execnz .LBB1102_174
.LBB1102_143:
	s_or_b64 exec, exec, s[2:3]
	v_cmp_gt_u32_e32 vcc, s33, v29
	s_and_saveexec_b64 s[2:3], vcc
	s_cbranch_execz .LBB1102_179
.LBB1102_144:
	v_cmp_ge_u32_e32 vcc, v29, v18
                                        ; implicit-def: $vgpr10_vgpr11
	s_and_saveexec_b64 s[4:5], vcc
	s_xor_b64 s[4:5], exec, s[4:5]
	s_cbranch_execz .LBB1102_146
; %bb.145:
	s_waitcnt lgkmcnt(5)
	v_xor_b32_e32 v10, 0xfffffbff, v0
	v_ashrrev_i32_e32 v11, 31, v10
	v_add_co_u32_e32 v10, vcc, v19, v10
	v_addc_co_u32_e32 v11, vcc, v21, v11, vcc
                                        ; implicit-def: $vgpr29
.LBB1102_146:
	s_andn2_saveexec_b64 s[4:5], s[4:5]
	s_cbranch_execz .LBB1102_148
; %bb.147:
	s_waitcnt lgkmcnt(5)
	v_add_co_u32_e32 v10, vcc, v1, v29
	v_addc_co_u32_e32 v11, vcc, 0, v16, vcc
.LBB1102_148:
	s_or_b64 exec, exec, s[4:5]
	s_waitcnt lgkmcnt(5)
	v_lshlrev_b64 v[10:11], 2, v[10:11]
	v_mov_b32_e32 v12, s25
	v_add_co_u32_e32 v10, vcc, s24, v10
	v_addc_co_u32_e32 v11, vcc, v12, v11, vcc
	s_waitcnt lgkmcnt(4)
	global_store_dword v[10:11], v8, off
	s_or_b64 exec, exec, s[2:3]
	v_cmp_gt_u32_e32 vcc, s33, v28
	s_and_saveexec_b64 s[2:3], vcc
	s_cbranch_execnz .LBB1102_180
.LBB1102_149:
	s_or_b64 exec, exec, s[2:3]
	v_cmp_gt_u32_e32 vcc, s33, v27
	s_and_saveexec_b64 s[2:3], vcc
	s_cbranch_execz .LBB1102_185
.LBB1102_150:
	v_cmp_ge_u32_e32 vcc, v27, v18
                                        ; implicit-def: $vgpr8_vgpr9
	s_and_saveexec_b64 s[4:5], vcc
	s_xor_b64 s[4:5], exec, s[4:5]
	s_cbranch_execz .LBB1102_152
; %bb.151:
	s_waitcnt lgkmcnt(4)
	v_xor_b32_e32 v8, 0xfffff9ff, v0
	v_ashrrev_i32_e32 v9, 31, v8
	v_add_co_u32_e32 v8, vcc, v19, v8
	v_addc_co_u32_e32 v9, vcc, v21, v9, vcc
                                        ; implicit-def: $vgpr27
.LBB1102_152:
	s_andn2_saveexec_b64 s[4:5], s[4:5]
	s_cbranch_execz .LBB1102_154
; %bb.153:
	s_waitcnt lgkmcnt(4)
	v_add_co_u32_e32 v8, vcc, v1, v27
	v_addc_co_u32_e32 v9, vcc, 0, v16, vcc
.LBB1102_154:
	s_or_b64 exec, exec, s[4:5]
	s_waitcnt lgkmcnt(4)
	v_lshlrev_b64 v[8:9], 2, v[8:9]
	v_mov_b32_e32 v10, s25
	v_add_co_u32_e32 v8, vcc, s24, v8
	v_addc_co_u32_e32 v9, vcc, v10, v9, vcc
	s_waitcnt lgkmcnt(3)
	global_store_dword v[8:9], v6, off
	s_or_b64 exec, exec, s[2:3]
	v_cmp_gt_u32_e32 vcc, s33, v26
	s_and_saveexec_b64 s[2:3], vcc
	s_cbranch_execnz .LBB1102_186
.LBB1102_155:
	s_or_b64 exec, exec, s[2:3]
	v_cmp_gt_u32_e32 vcc, s33, v25
	s_and_saveexec_b64 s[2:3], vcc
	s_cbranch_execz .LBB1102_191
.LBB1102_156:
	v_cmp_ge_u32_e32 vcc, v25, v18
                                        ; implicit-def: $vgpr6_vgpr7
	s_and_saveexec_b64 s[4:5], vcc
	s_xor_b64 s[4:5], exec, s[4:5]
	s_cbranch_execz .LBB1102_158
; %bb.157:
	s_waitcnt lgkmcnt(3)
	v_xor_b32_e32 v6, 0xfffff7ff, v0
	v_ashrrev_i32_e32 v7, 31, v6
	v_add_co_u32_e32 v6, vcc, v19, v6
	v_addc_co_u32_e32 v7, vcc, v21, v7, vcc
                                        ; implicit-def: $vgpr25
.LBB1102_158:
	s_andn2_saveexec_b64 s[4:5], s[4:5]
	s_cbranch_execz .LBB1102_160
; %bb.159:
	s_waitcnt lgkmcnt(3)
	v_add_co_u32_e32 v6, vcc, v1, v25
	v_addc_co_u32_e32 v7, vcc, 0, v16, vcc
.LBB1102_160:
	s_or_b64 exec, exec, s[4:5]
	s_waitcnt lgkmcnt(3)
	v_lshlrev_b64 v[6:7], 2, v[6:7]
	v_mov_b32_e32 v8, s25
	v_add_co_u32_e32 v6, vcc, s24, v6
	v_addc_co_u32_e32 v7, vcc, v8, v7, vcc
	s_waitcnt lgkmcnt(2)
	global_store_dword v[6:7], v4, off
	s_or_b64 exec, exec, s[2:3]
	v_cmp_gt_u32_e32 vcc, s33, v24
	s_and_saveexec_b64 s[2:3], vcc
	s_cbranch_execnz .LBB1102_192
.LBB1102_161:
	s_or_b64 exec, exec, s[2:3]
	v_cmp_gt_u32_e32 vcc, s33, v23
	s_and_saveexec_b64 s[2:3], vcc
	s_cbranch_execz .LBB1102_197
.LBB1102_162:
	v_cmp_ge_u32_e32 vcc, v23, v18
                                        ; implicit-def: $vgpr4_vgpr5
	s_and_saveexec_b64 s[4:5], vcc
	s_xor_b64 s[4:5], exec, s[4:5]
	s_cbranch_execz .LBB1102_164
; %bb.163:
	s_waitcnt lgkmcnt(2)
	v_xor_b32_e32 v4, 0xfffff5ff, v0
	v_ashrrev_i32_e32 v5, 31, v4
	v_add_co_u32_e32 v4, vcc, v19, v4
	v_addc_co_u32_e32 v5, vcc, v21, v5, vcc
                                        ; implicit-def: $vgpr23
.LBB1102_164:
	s_andn2_saveexec_b64 s[4:5], s[4:5]
	s_cbranch_execz .LBB1102_166
; %bb.165:
	s_waitcnt lgkmcnt(2)
	v_add_co_u32_e32 v4, vcc, v1, v23
	v_addc_co_u32_e32 v5, vcc, 0, v16, vcc
.LBB1102_166:
	s_or_b64 exec, exec, s[4:5]
	s_waitcnt lgkmcnt(2)
	v_lshlrev_b64 v[4:5], 2, v[4:5]
	v_mov_b32_e32 v6, s25
	v_add_co_u32_e32 v4, vcc, s24, v4
	v_addc_co_u32_e32 v5, vcc, v6, v5, vcc
	s_waitcnt lgkmcnt(1)
	global_store_dword v[4:5], v2, off
	s_or_b64 exec, exec, s[2:3]
	v_cmp_gt_u32_e32 vcc, s33, v22
	s_and_saveexec_b64 s[2:3], vcc
	s_cbranch_execz .LBB1102_203
	s_branch .LBB1102_198
.LBB1102_167:
	s_or_b64 exec, exec, s[2:3]
	v_cmp_gt_u32_e32 vcc, s33, v32
	s_and_saveexec_b64 s[2:3], vcc
	s_cbranch_execz .LBB1102_137
.LBB1102_168:
	v_cmp_ge_u32_e32 vcc, v32, v18
                                        ; implicit-def: $vgpr14_vgpr15
	s_and_saveexec_b64 s[4:5], vcc
	s_xor_b64 s[4:5], exec, s[4:5]
	s_cbranch_execz .LBB1102_170
; %bb.169:
	s_waitcnt lgkmcnt(6)
	v_xor_b32_e32 v12, 0xfffffeff, v0
	v_ashrrev_i32_e32 v15, 31, v12
	v_add_co_u32_e32 v14, vcc, v19, v12
	v_addc_co_u32_e32 v15, vcc, v21, v15, vcc
                                        ; implicit-def: $vgpr32
.LBB1102_170:
	s_andn2_saveexec_b64 s[4:5], s[4:5]
; %bb.171:
	v_add_co_u32_e32 v14, vcc, v1, v32
	v_addc_co_u32_e32 v15, vcc, 0, v16, vcc
; %bb.172:
	s_or_b64 exec, exec, s[4:5]
	v_lshlrev_b64 v[14:15], 2, v[14:15]
	s_waitcnt lgkmcnt(6)
	v_mov_b32_e32 v12, s25
	v_add_co_u32_e32 v14, vcc, s24, v14
	v_addc_co_u32_e32 v15, vcc, v12, v15, vcc
	global_store_dword v[14:15], v13, off
	s_or_b64 exec, exec, s[2:3]
	v_cmp_gt_u32_e32 vcc, s33, v31
	s_and_saveexec_b64 s[2:3], vcc
	s_cbranch_execnz .LBB1102_138
.LBB1102_173:
	s_or_b64 exec, exec, s[2:3]
	v_cmp_gt_u32_e32 vcc, s33, v30
	s_and_saveexec_b64 s[2:3], vcc
	s_cbranch_execz .LBB1102_143
.LBB1102_174:
	v_cmp_ge_u32_e32 vcc, v30, v18
                                        ; implicit-def: $vgpr12_vgpr13
	s_and_saveexec_b64 s[4:5], vcc
	s_xor_b64 s[4:5], exec, s[4:5]
	s_cbranch_execz .LBB1102_176
; %bb.175:
	s_waitcnt lgkmcnt(5)
	v_xor_b32_e32 v10, 0xfffffcff, v0
	v_ashrrev_i32_e32 v13, 31, v10
	v_add_co_u32_e32 v12, vcc, v19, v10
	v_addc_co_u32_e32 v13, vcc, v21, v13, vcc
                                        ; implicit-def: $vgpr30
.LBB1102_176:
	s_andn2_saveexec_b64 s[4:5], s[4:5]
	s_cbranch_execz .LBB1102_178
; %bb.177:
	s_waitcnt lgkmcnt(6)
	v_add_co_u32_e32 v12, vcc, v1, v30
	v_addc_co_u32_e32 v13, vcc, 0, v16, vcc
.LBB1102_178:
	s_or_b64 exec, exec, s[4:5]
	s_waitcnt lgkmcnt(6)
	v_lshlrev_b64 v[12:13], 2, v[12:13]
	s_waitcnt lgkmcnt(5)
	v_mov_b32_e32 v10, s25
	v_add_co_u32_e32 v12, vcc, s24, v12
	v_addc_co_u32_e32 v13, vcc, v10, v13, vcc
	global_store_dword v[12:13], v11, off
	s_or_b64 exec, exec, s[2:3]
	v_cmp_gt_u32_e32 vcc, s33, v29
	s_and_saveexec_b64 s[2:3], vcc
	s_cbranch_execnz .LBB1102_144
.LBB1102_179:
	s_or_b64 exec, exec, s[2:3]
	v_cmp_gt_u32_e32 vcc, s33, v28
	s_and_saveexec_b64 s[2:3], vcc
	s_cbranch_execz .LBB1102_149
.LBB1102_180:
	v_cmp_ge_u32_e32 vcc, v28, v18
                                        ; implicit-def: $vgpr10_vgpr11
	s_and_saveexec_b64 s[4:5], vcc
	s_xor_b64 s[4:5], exec, s[4:5]
	s_cbranch_execz .LBB1102_182
; %bb.181:
	s_waitcnt lgkmcnt(4)
	v_xor_b32_e32 v8, 0xfffffaff, v0
	v_ashrrev_i32_e32 v11, 31, v8
	v_add_co_u32_e32 v10, vcc, v19, v8
	v_addc_co_u32_e32 v11, vcc, v21, v11, vcc
                                        ; implicit-def: $vgpr28
.LBB1102_182:
	s_andn2_saveexec_b64 s[4:5], s[4:5]
	s_cbranch_execz .LBB1102_184
; %bb.183:
	s_waitcnt lgkmcnt(5)
	v_add_co_u32_e32 v10, vcc, v1, v28
	v_addc_co_u32_e32 v11, vcc, 0, v16, vcc
.LBB1102_184:
	s_or_b64 exec, exec, s[4:5]
	s_waitcnt lgkmcnt(5)
	v_lshlrev_b64 v[10:11], 2, v[10:11]
	s_waitcnt lgkmcnt(4)
	v_mov_b32_e32 v8, s25
	v_add_co_u32_e32 v10, vcc, s24, v10
	v_addc_co_u32_e32 v11, vcc, v8, v11, vcc
	global_store_dword v[10:11], v9, off
	s_or_b64 exec, exec, s[2:3]
	v_cmp_gt_u32_e32 vcc, s33, v27
	s_and_saveexec_b64 s[2:3], vcc
	s_cbranch_execnz .LBB1102_150
.LBB1102_185:
	s_or_b64 exec, exec, s[2:3]
	v_cmp_gt_u32_e32 vcc, s33, v26
	s_and_saveexec_b64 s[2:3], vcc
	s_cbranch_execz .LBB1102_155
.LBB1102_186:
	v_cmp_ge_u32_e32 vcc, v26, v18
                                        ; implicit-def: $vgpr8_vgpr9
	s_and_saveexec_b64 s[4:5], vcc
	s_xor_b64 s[4:5], exec, s[4:5]
	s_cbranch_execz .LBB1102_188
; %bb.187:
	s_waitcnt lgkmcnt(3)
	v_xor_b32_e32 v6, 0xfffff8ff, v0
	v_ashrrev_i32_e32 v9, 31, v6
	v_add_co_u32_e32 v8, vcc, v19, v6
	v_addc_co_u32_e32 v9, vcc, v21, v9, vcc
                                        ; implicit-def: $vgpr26
.LBB1102_188:
	s_andn2_saveexec_b64 s[4:5], s[4:5]
	s_cbranch_execz .LBB1102_190
; %bb.189:
	s_waitcnt lgkmcnt(4)
	v_add_co_u32_e32 v8, vcc, v1, v26
	v_addc_co_u32_e32 v9, vcc, 0, v16, vcc
.LBB1102_190:
	s_or_b64 exec, exec, s[4:5]
	s_waitcnt lgkmcnt(4)
	v_lshlrev_b64 v[8:9], 2, v[8:9]
	s_waitcnt lgkmcnt(3)
	v_mov_b32_e32 v6, s25
	v_add_co_u32_e32 v8, vcc, s24, v8
	v_addc_co_u32_e32 v9, vcc, v6, v9, vcc
	global_store_dword v[8:9], v7, off
	s_or_b64 exec, exec, s[2:3]
	v_cmp_gt_u32_e32 vcc, s33, v25
	s_and_saveexec_b64 s[2:3], vcc
	s_cbranch_execnz .LBB1102_156
.LBB1102_191:
	s_or_b64 exec, exec, s[2:3]
	v_cmp_gt_u32_e32 vcc, s33, v24
	s_and_saveexec_b64 s[2:3], vcc
	s_cbranch_execz .LBB1102_161
.LBB1102_192:
	v_cmp_ge_u32_e32 vcc, v24, v18
                                        ; implicit-def: $vgpr6_vgpr7
	s_and_saveexec_b64 s[4:5], vcc
	s_xor_b64 s[4:5], exec, s[4:5]
	s_cbranch_execz .LBB1102_194
; %bb.193:
	s_waitcnt lgkmcnt(2)
	v_xor_b32_e32 v4, 0xfffff6ff, v0
	v_ashrrev_i32_e32 v7, 31, v4
	v_add_co_u32_e32 v6, vcc, v19, v4
	v_addc_co_u32_e32 v7, vcc, v21, v7, vcc
                                        ; implicit-def: $vgpr24
.LBB1102_194:
	s_andn2_saveexec_b64 s[4:5], s[4:5]
	s_cbranch_execz .LBB1102_196
; %bb.195:
	s_waitcnt lgkmcnt(3)
	v_add_co_u32_e32 v6, vcc, v1, v24
	v_addc_co_u32_e32 v7, vcc, 0, v16, vcc
.LBB1102_196:
	s_or_b64 exec, exec, s[4:5]
	s_waitcnt lgkmcnt(3)
	v_lshlrev_b64 v[6:7], 2, v[6:7]
	s_waitcnt lgkmcnt(2)
	v_mov_b32_e32 v4, s25
	v_add_co_u32_e32 v6, vcc, s24, v6
	v_addc_co_u32_e32 v7, vcc, v4, v7, vcc
	global_store_dword v[6:7], v5, off
	s_or_b64 exec, exec, s[2:3]
	v_cmp_gt_u32_e32 vcc, s33, v23
	s_and_saveexec_b64 s[2:3], vcc
	s_cbranch_execnz .LBB1102_162
.LBB1102_197:
	s_or_b64 exec, exec, s[2:3]
	v_cmp_gt_u32_e32 vcc, s33, v22
	s_and_saveexec_b64 s[2:3], vcc
	s_cbranch_execz .LBB1102_203
.LBB1102_198:
	v_cmp_ge_u32_e32 vcc, v22, v18
                                        ; implicit-def: $vgpr4_vgpr5
	s_and_saveexec_b64 s[4:5], vcc
	s_xor_b64 s[4:5], exec, s[4:5]
	s_cbranch_execz .LBB1102_200
; %bb.199:
	s_waitcnt lgkmcnt(1)
	v_xor_b32_e32 v2, 0xfffff4ff, v0
	v_ashrrev_i32_e32 v5, 31, v2
	v_add_co_u32_e32 v4, vcc, v19, v2
	v_addc_co_u32_e32 v5, vcc, v21, v5, vcc
                                        ; implicit-def: $vgpr22
.LBB1102_200:
	s_andn2_saveexec_b64 s[4:5], s[4:5]
	s_cbranch_execz .LBB1102_202
; %bb.201:
	s_waitcnt lgkmcnt(2)
	v_add_co_u32_e32 v4, vcc, v1, v22
	v_addc_co_u32_e32 v5, vcc, 0, v16, vcc
.LBB1102_202:
	s_or_b64 exec, exec, s[4:5]
	s_waitcnt lgkmcnt(2)
	v_lshlrev_b64 v[4:5], 2, v[4:5]
	s_waitcnt lgkmcnt(1)
	v_mov_b32_e32 v2, s25
	v_add_co_u32_e32 v4, vcc, s24, v4
	v_addc_co_u32_e32 v5, vcc, v2, v5, vcc
	global_store_dword v[4:5], v3, off
.LBB1102_203:
	s_or_b64 exec, exec, s[2:3]
	v_cmp_gt_u32_e32 vcc, s33, v20
                                        ; implicit-def: $vgpr14_vgpr15
	s_and_saveexec_b64 s[2:3], vcc
	s_cbranch_execz .LBB1102_209
; %bb.204:
	v_cmp_ge_u32_e32 vcc, v20, v18
                                        ; implicit-def: $vgpr14_vgpr15
	s_and_saveexec_b64 s[4:5], vcc
	s_xor_b64 s[4:5], exec, s[4:5]
	s_cbranch_execz .LBB1102_206
; %bb.205:
	s_waitcnt lgkmcnt(1)
	v_xor_b32_e32 v2, 0xfffff3ff, v0
	v_ashrrev_i32_e32 v3, 31, v2
	v_add_co_u32_e32 v14, vcc, v19, v2
	v_addc_co_u32_e32 v15, vcc, v21, v3, vcc
                                        ; implicit-def: $vgpr20
.LBB1102_206:
	s_andn2_saveexec_b64 s[4:5], s[4:5]
; %bb.207:
	v_add_co_u32_e32 v14, vcc, v1, v20
	v_addc_co_u32_e32 v15, vcc, 0, v16, vcc
; %bb.208:
	s_or_b64 exec, exec, s[4:5]
	s_or_b64 s[0:1], s[0:1], exec
.LBB1102_209:
	s_or_b64 exec, exec, s[2:3]
.LBB1102_210:
	s_and_saveexec_b64 s[2:3], s[0:1]
	s_cbranch_execz .LBB1102_212
; %bb.211:
	s_waitcnt lgkmcnt(1)
	v_lshlrev_b64 v[2:3], 2, v[14:15]
	v_mov_b32_e32 v4, s25
	v_add_co_u32_e32 v2, vcc, s24, v2
	v_addc_co_u32_e32 v3, vcc, v4, v3, vcc
	s_waitcnt lgkmcnt(0)
	global_store_dword v[2:3], v17, off
.LBB1102_212:
	s_or_b64 exec, exec, s[2:3]
	v_cmp_eq_u32_e32 vcc, 0, v0
	s_and_b64 s[0:1], vcc, s[22:23]
	s_and_saveexec_b64 s[2:3], s[0:1]
	s_cbranch_execz .LBB1102_214
; %bb.213:
	v_add_co_u32_e32 v0, vcc, v1, v18
	s_waitcnt lgkmcnt(1)
	v_mov_b32_e32 v2, 0
	v_addc_co_u32_e32 v1, vcc, 0, v16, vcc
	global_store_dwordx2 v2, v[0:1], s[20:21]
.LBB1102_214:
	s_endpgm
	.section	.rodata,"a",@progbits
	.p2align	6, 0x0
	.amdhsa_kernel _ZN7rocprim17ROCPRIM_400000_NS6detail17trampoline_kernelINS0_13select_configILj256ELj13ELNS0_17block_load_methodE3ELS4_3ELS4_3ELNS0_20block_scan_algorithmE0ELj4294967295EEENS1_25partition_config_selectorILNS1_17partition_subalgoE3EjNS0_10empty_typeEbEEZZNS1_14partition_implILS8_3ELb0ES6_jNS0_17counting_iteratorIjlEEPS9_SE_NS0_5tupleIJPjSE_EEENSF_IJSE_SE_EEES9_SG_JZNS1_25segmented_radix_sort_implINS0_14default_configELb1EPKdPdPKlPlN2at6native12_GLOBAL__N_18offset_tEEE10hipError_tPvRmT1_PNSt15iterator_traitsISY_E10value_typeET2_T3_PNSZ_IS14_E10value_typeET4_jRbjT5_S1A_jjP12ihipStream_tbEUljE_EEESV_SW_SX_S14_S18_S1A_T6_T7_T9_mT8_S1C_bDpT10_ENKUlT_T0_E_clISt17integral_constantIbLb1EES1O_IbLb0EEEEDaS1K_S1L_EUlS1K_E_NS1_11comp_targetILNS1_3genE4ELNS1_11target_archE910ELNS1_3gpuE8ELNS1_3repE0EEENS1_30default_config_static_selectorELNS0_4arch9wavefront6targetE1EEEvSY_
		.amdhsa_group_segment_fixed_size 13324
		.amdhsa_private_segment_fixed_size 0
		.amdhsa_kernarg_size 144
		.amdhsa_user_sgpr_count 6
		.amdhsa_user_sgpr_private_segment_buffer 1
		.amdhsa_user_sgpr_dispatch_ptr 0
		.amdhsa_user_sgpr_queue_ptr 0
		.amdhsa_user_sgpr_kernarg_segment_ptr 1
		.amdhsa_user_sgpr_dispatch_id 0
		.amdhsa_user_sgpr_flat_scratch_init 0
		.amdhsa_user_sgpr_kernarg_preload_length 0
		.amdhsa_user_sgpr_kernarg_preload_offset 0
		.amdhsa_user_sgpr_private_segment_size 0
		.amdhsa_uses_dynamic_stack 0
		.amdhsa_system_sgpr_private_segment_wavefront_offset 0
		.amdhsa_system_sgpr_workgroup_id_x 1
		.amdhsa_system_sgpr_workgroup_id_y 0
		.amdhsa_system_sgpr_workgroup_id_z 0
		.amdhsa_system_sgpr_workgroup_info 0
		.amdhsa_system_vgpr_workitem_id 0
		.amdhsa_next_free_vgpr 61
		.amdhsa_next_free_sgpr 46
		.amdhsa_accum_offset 64
		.amdhsa_reserve_vcc 1
		.amdhsa_reserve_flat_scratch 0
		.amdhsa_float_round_mode_32 0
		.amdhsa_float_round_mode_16_64 0
		.amdhsa_float_denorm_mode_32 3
		.amdhsa_float_denorm_mode_16_64 3
		.amdhsa_dx10_clamp 1
		.amdhsa_ieee_mode 1
		.amdhsa_fp16_overflow 0
		.amdhsa_tg_split 0
		.amdhsa_exception_fp_ieee_invalid_op 0
		.amdhsa_exception_fp_denorm_src 0
		.amdhsa_exception_fp_ieee_div_zero 0
		.amdhsa_exception_fp_ieee_overflow 0
		.amdhsa_exception_fp_ieee_underflow 0
		.amdhsa_exception_fp_ieee_inexact 0
		.amdhsa_exception_int_div_zero 0
	.end_amdhsa_kernel
	.section	.text._ZN7rocprim17ROCPRIM_400000_NS6detail17trampoline_kernelINS0_13select_configILj256ELj13ELNS0_17block_load_methodE3ELS4_3ELS4_3ELNS0_20block_scan_algorithmE0ELj4294967295EEENS1_25partition_config_selectorILNS1_17partition_subalgoE3EjNS0_10empty_typeEbEEZZNS1_14partition_implILS8_3ELb0ES6_jNS0_17counting_iteratorIjlEEPS9_SE_NS0_5tupleIJPjSE_EEENSF_IJSE_SE_EEES9_SG_JZNS1_25segmented_radix_sort_implINS0_14default_configELb1EPKdPdPKlPlN2at6native12_GLOBAL__N_18offset_tEEE10hipError_tPvRmT1_PNSt15iterator_traitsISY_E10value_typeET2_T3_PNSZ_IS14_E10value_typeET4_jRbjT5_S1A_jjP12ihipStream_tbEUljE_EEESV_SW_SX_S14_S18_S1A_T6_T7_T9_mT8_S1C_bDpT10_ENKUlT_T0_E_clISt17integral_constantIbLb1EES1O_IbLb0EEEEDaS1K_S1L_EUlS1K_E_NS1_11comp_targetILNS1_3genE4ELNS1_11target_archE910ELNS1_3gpuE8ELNS1_3repE0EEENS1_30default_config_static_selectorELNS0_4arch9wavefront6targetE1EEEvSY_,"axG",@progbits,_ZN7rocprim17ROCPRIM_400000_NS6detail17trampoline_kernelINS0_13select_configILj256ELj13ELNS0_17block_load_methodE3ELS4_3ELS4_3ELNS0_20block_scan_algorithmE0ELj4294967295EEENS1_25partition_config_selectorILNS1_17partition_subalgoE3EjNS0_10empty_typeEbEEZZNS1_14partition_implILS8_3ELb0ES6_jNS0_17counting_iteratorIjlEEPS9_SE_NS0_5tupleIJPjSE_EEENSF_IJSE_SE_EEES9_SG_JZNS1_25segmented_radix_sort_implINS0_14default_configELb1EPKdPdPKlPlN2at6native12_GLOBAL__N_18offset_tEEE10hipError_tPvRmT1_PNSt15iterator_traitsISY_E10value_typeET2_T3_PNSZ_IS14_E10value_typeET4_jRbjT5_S1A_jjP12ihipStream_tbEUljE_EEESV_SW_SX_S14_S18_S1A_T6_T7_T9_mT8_S1C_bDpT10_ENKUlT_T0_E_clISt17integral_constantIbLb1EES1O_IbLb0EEEEDaS1K_S1L_EUlS1K_E_NS1_11comp_targetILNS1_3genE4ELNS1_11target_archE910ELNS1_3gpuE8ELNS1_3repE0EEENS1_30default_config_static_selectorELNS0_4arch9wavefront6targetE1EEEvSY_,comdat
.Lfunc_end1102:
	.size	_ZN7rocprim17ROCPRIM_400000_NS6detail17trampoline_kernelINS0_13select_configILj256ELj13ELNS0_17block_load_methodE3ELS4_3ELS4_3ELNS0_20block_scan_algorithmE0ELj4294967295EEENS1_25partition_config_selectorILNS1_17partition_subalgoE3EjNS0_10empty_typeEbEEZZNS1_14partition_implILS8_3ELb0ES6_jNS0_17counting_iteratorIjlEEPS9_SE_NS0_5tupleIJPjSE_EEENSF_IJSE_SE_EEES9_SG_JZNS1_25segmented_radix_sort_implINS0_14default_configELb1EPKdPdPKlPlN2at6native12_GLOBAL__N_18offset_tEEE10hipError_tPvRmT1_PNSt15iterator_traitsISY_E10value_typeET2_T3_PNSZ_IS14_E10value_typeET4_jRbjT5_S1A_jjP12ihipStream_tbEUljE_EEESV_SW_SX_S14_S18_S1A_T6_T7_T9_mT8_S1C_bDpT10_ENKUlT_T0_E_clISt17integral_constantIbLb1EES1O_IbLb0EEEEDaS1K_S1L_EUlS1K_E_NS1_11comp_targetILNS1_3genE4ELNS1_11target_archE910ELNS1_3gpuE8ELNS1_3repE0EEENS1_30default_config_static_selectorELNS0_4arch9wavefront6targetE1EEEvSY_, .Lfunc_end1102-_ZN7rocprim17ROCPRIM_400000_NS6detail17trampoline_kernelINS0_13select_configILj256ELj13ELNS0_17block_load_methodE3ELS4_3ELS4_3ELNS0_20block_scan_algorithmE0ELj4294967295EEENS1_25partition_config_selectorILNS1_17partition_subalgoE3EjNS0_10empty_typeEbEEZZNS1_14partition_implILS8_3ELb0ES6_jNS0_17counting_iteratorIjlEEPS9_SE_NS0_5tupleIJPjSE_EEENSF_IJSE_SE_EEES9_SG_JZNS1_25segmented_radix_sort_implINS0_14default_configELb1EPKdPdPKlPlN2at6native12_GLOBAL__N_18offset_tEEE10hipError_tPvRmT1_PNSt15iterator_traitsISY_E10value_typeET2_T3_PNSZ_IS14_E10value_typeET4_jRbjT5_S1A_jjP12ihipStream_tbEUljE_EEESV_SW_SX_S14_S18_S1A_T6_T7_T9_mT8_S1C_bDpT10_ENKUlT_T0_E_clISt17integral_constantIbLb1EES1O_IbLb0EEEEDaS1K_S1L_EUlS1K_E_NS1_11comp_targetILNS1_3genE4ELNS1_11target_archE910ELNS1_3gpuE8ELNS1_3repE0EEENS1_30default_config_static_selectorELNS0_4arch9wavefront6targetE1EEEvSY_
                                        ; -- End function
	.section	.AMDGPU.csdata,"",@progbits
; Kernel info:
; codeLenInByte = 7756
; NumSgprs: 50
; NumVgprs: 61
; NumAgprs: 0
; TotalNumVgprs: 61
; ScratchSize: 0
; MemoryBound: 0
; FloatMode: 240
; IeeeMode: 1
; LDSByteSize: 13324 bytes/workgroup (compile time only)
; SGPRBlocks: 6
; VGPRBlocks: 7
; NumSGPRsForWavesPerEU: 50
; NumVGPRsForWavesPerEU: 61
; AccumOffset: 64
; Occupancy: 4
; WaveLimiterHint : 0
; COMPUTE_PGM_RSRC2:SCRATCH_EN: 0
; COMPUTE_PGM_RSRC2:USER_SGPR: 6
; COMPUTE_PGM_RSRC2:TRAP_HANDLER: 0
; COMPUTE_PGM_RSRC2:TGID_X_EN: 1
; COMPUTE_PGM_RSRC2:TGID_Y_EN: 0
; COMPUTE_PGM_RSRC2:TGID_Z_EN: 0
; COMPUTE_PGM_RSRC2:TIDIG_COMP_CNT: 0
; COMPUTE_PGM_RSRC3_GFX90A:ACCUM_OFFSET: 15
; COMPUTE_PGM_RSRC3_GFX90A:TG_SPLIT: 0
	.section	.text._ZN7rocprim17ROCPRIM_400000_NS6detail17trampoline_kernelINS0_13select_configILj256ELj13ELNS0_17block_load_methodE3ELS4_3ELS4_3ELNS0_20block_scan_algorithmE0ELj4294967295EEENS1_25partition_config_selectorILNS1_17partition_subalgoE3EjNS0_10empty_typeEbEEZZNS1_14partition_implILS8_3ELb0ES6_jNS0_17counting_iteratorIjlEEPS9_SE_NS0_5tupleIJPjSE_EEENSF_IJSE_SE_EEES9_SG_JZNS1_25segmented_radix_sort_implINS0_14default_configELb1EPKdPdPKlPlN2at6native12_GLOBAL__N_18offset_tEEE10hipError_tPvRmT1_PNSt15iterator_traitsISY_E10value_typeET2_T3_PNSZ_IS14_E10value_typeET4_jRbjT5_S1A_jjP12ihipStream_tbEUljE_EEESV_SW_SX_S14_S18_S1A_T6_T7_T9_mT8_S1C_bDpT10_ENKUlT_T0_E_clISt17integral_constantIbLb1EES1O_IbLb0EEEEDaS1K_S1L_EUlS1K_E_NS1_11comp_targetILNS1_3genE3ELNS1_11target_archE908ELNS1_3gpuE7ELNS1_3repE0EEENS1_30default_config_static_selectorELNS0_4arch9wavefront6targetE1EEEvSY_,"axG",@progbits,_ZN7rocprim17ROCPRIM_400000_NS6detail17trampoline_kernelINS0_13select_configILj256ELj13ELNS0_17block_load_methodE3ELS4_3ELS4_3ELNS0_20block_scan_algorithmE0ELj4294967295EEENS1_25partition_config_selectorILNS1_17partition_subalgoE3EjNS0_10empty_typeEbEEZZNS1_14partition_implILS8_3ELb0ES6_jNS0_17counting_iteratorIjlEEPS9_SE_NS0_5tupleIJPjSE_EEENSF_IJSE_SE_EEES9_SG_JZNS1_25segmented_radix_sort_implINS0_14default_configELb1EPKdPdPKlPlN2at6native12_GLOBAL__N_18offset_tEEE10hipError_tPvRmT1_PNSt15iterator_traitsISY_E10value_typeET2_T3_PNSZ_IS14_E10value_typeET4_jRbjT5_S1A_jjP12ihipStream_tbEUljE_EEESV_SW_SX_S14_S18_S1A_T6_T7_T9_mT8_S1C_bDpT10_ENKUlT_T0_E_clISt17integral_constantIbLb1EES1O_IbLb0EEEEDaS1K_S1L_EUlS1K_E_NS1_11comp_targetILNS1_3genE3ELNS1_11target_archE908ELNS1_3gpuE7ELNS1_3repE0EEENS1_30default_config_static_selectorELNS0_4arch9wavefront6targetE1EEEvSY_,comdat
	.globl	_ZN7rocprim17ROCPRIM_400000_NS6detail17trampoline_kernelINS0_13select_configILj256ELj13ELNS0_17block_load_methodE3ELS4_3ELS4_3ELNS0_20block_scan_algorithmE0ELj4294967295EEENS1_25partition_config_selectorILNS1_17partition_subalgoE3EjNS0_10empty_typeEbEEZZNS1_14partition_implILS8_3ELb0ES6_jNS0_17counting_iteratorIjlEEPS9_SE_NS0_5tupleIJPjSE_EEENSF_IJSE_SE_EEES9_SG_JZNS1_25segmented_radix_sort_implINS0_14default_configELb1EPKdPdPKlPlN2at6native12_GLOBAL__N_18offset_tEEE10hipError_tPvRmT1_PNSt15iterator_traitsISY_E10value_typeET2_T3_PNSZ_IS14_E10value_typeET4_jRbjT5_S1A_jjP12ihipStream_tbEUljE_EEESV_SW_SX_S14_S18_S1A_T6_T7_T9_mT8_S1C_bDpT10_ENKUlT_T0_E_clISt17integral_constantIbLb1EES1O_IbLb0EEEEDaS1K_S1L_EUlS1K_E_NS1_11comp_targetILNS1_3genE3ELNS1_11target_archE908ELNS1_3gpuE7ELNS1_3repE0EEENS1_30default_config_static_selectorELNS0_4arch9wavefront6targetE1EEEvSY_ ; -- Begin function _ZN7rocprim17ROCPRIM_400000_NS6detail17trampoline_kernelINS0_13select_configILj256ELj13ELNS0_17block_load_methodE3ELS4_3ELS4_3ELNS0_20block_scan_algorithmE0ELj4294967295EEENS1_25partition_config_selectorILNS1_17partition_subalgoE3EjNS0_10empty_typeEbEEZZNS1_14partition_implILS8_3ELb0ES6_jNS0_17counting_iteratorIjlEEPS9_SE_NS0_5tupleIJPjSE_EEENSF_IJSE_SE_EEES9_SG_JZNS1_25segmented_radix_sort_implINS0_14default_configELb1EPKdPdPKlPlN2at6native12_GLOBAL__N_18offset_tEEE10hipError_tPvRmT1_PNSt15iterator_traitsISY_E10value_typeET2_T3_PNSZ_IS14_E10value_typeET4_jRbjT5_S1A_jjP12ihipStream_tbEUljE_EEESV_SW_SX_S14_S18_S1A_T6_T7_T9_mT8_S1C_bDpT10_ENKUlT_T0_E_clISt17integral_constantIbLb1EES1O_IbLb0EEEEDaS1K_S1L_EUlS1K_E_NS1_11comp_targetILNS1_3genE3ELNS1_11target_archE908ELNS1_3gpuE7ELNS1_3repE0EEENS1_30default_config_static_selectorELNS0_4arch9wavefront6targetE1EEEvSY_
	.p2align	8
	.type	_ZN7rocprim17ROCPRIM_400000_NS6detail17trampoline_kernelINS0_13select_configILj256ELj13ELNS0_17block_load_methodE3ELS4_3ELS4_3ELNS0_20block_scan_algorithmE0ELj4294967295EEENS1_25partition_config_selectorILNS1_17partition_subalgoE3EjNS0_10empty_typeEbEEZZNS1_14partition_implILS8_3ELb0ES6_jNS0_17counting_iteratorIjlEEPS9_SE_NS0_5tupleIJPjSE_EEENSF_IJSE_SE_EEES9_SG_JZNS1_25segmented_radix_sort_implINS0_14default_configELb1EPKdPdPKlPlN2at6native12_GLOBAL__N_18offset_tEEE10hipError_tPvRmT1_PNSt15iterator_traitsISY_E10value_typeET2_T3_PNSZ_IS14_E10value_typeET4_jRbjT5_S1A_jjP12ihipStream_tbEUljE_EEESV_SW_SX_S14_S18_S1A_T6_T7_T9_mT8_S1C_bDpT10_ENKUlT_T0_E_clISt17integral_constantIbLb1EES1O_IbLb0EEEEDaS1K_S1L_EUlS1K_E_NS1_11comp_targetILNS1_3genE3ELNS1_11target_archE908ELNS1_3gpuE7ELNS1_3repE0EEENS1_30default_config_static_selectorELNS0_4arch9wavefront6targetE1EEEvSY_,@function
_ZN7rocprim17ROCPRIM_400000_NS6detail17trampoline_kernelINS0_13select_configILj256ELj13ELNS0_17block_load_methodE3ELS4_3ELS4_3ELNS0_20block_scan_algorithmE0ELj4294967295EEENS1_25partition_config_selectorILNS1_17partition_subalgoE3EjNS0_10empty_typeEbEEZZNS1_14partition_implILS8_3ELb0ES6_jNS0_17counting_iteratorIjlEEPS9_SE_NS0_5tupleIJPjSE_EEENSF_IJSE_SE_EEES9_SG_JZNS1_25segmented_radix_sort_implINS0_14default_configELb1EPKdPdPKlPlN2at6native12_GLOBAL__N_18offset_tEEE10hipError_tPvRmT1_PNSt15iterator_traitsISY_E10value_typeET2_T3_PNSZ_IS14_E10value_typeET4_jRbjT5_S1A_jjP12ihipStream_tbEUljE_EEESV_SW_SX_S14_S18_S1A_T6_T7_T9_mT8_S1C_bDpT10_ENKUlT_T0_E_clISt17integral_constantIbLb1EES1O_IbLb0EEEEDaS1K_S1L_EUlS1K_E_NS1_11comp_targetILNS1_3genE3ELNS1_11target_archE908ELNS1_3gpuE7ELNS1_3repE0EEENS1_30default_config_static_selectorELNS0_4arch9wavefront6targetE1EEEvSY_: ; @_ZN7rocprim17ROCPRIM_400000_NS6detail17trampoline_kernelINS0_13select_configILj256ELj13ELNS0_17block_load_methodE3ELS4_3ELS4_3ELNS0_20block_scan_algorithmE0ELj4294967295EEENS1_25partition_config_selectorILNS1_17partition_subalgoE3EjNS0_10empty_typeEbEEZZNS1_14partition_implILS8_3ELb0ES6_jNS0_17counting_iteratorIjlEEPS9_SE_NS0_5tupleIJPjSE_EEENSF_IJSE_SE_EEES9_SG_JZNS1_25segmented_radix_sort_implINS0_14default_configELb1EPKdPdPKlPlN2at6native12_GLOBAL__N_18offset_tEEE10hipError_tPvRmT1_PNSt15iterator_traitsISY_E10value_typeET2_T3_PNSZ_IS14_E10value_typeET4_jRbjT5_S1A_jjP12ihipStream_tbEUljE_EEESV_SW_SX_S14_S18_S1A_T6_T7_T9_mT8_S1C_bDpT10_ENKUlT_T0_E_clISt17integral_constantIbLb1EES1O_IbLb0EEEEDaS1K_S1L_EUlS1K_E_NS1_11comp_targetILNS1_3genE3ELNS1_11target_archE908ELNS1_3gpuE7ELNS1_3repE0EEENS1_30default_config_static_selectorELNS0_4arch9wavefront6targetE1EEEvSY_
; %bb.0:
	.section	.rodata,"a",@progbits
	.p2align	6, 0x0
	.amdhsa_kernel _ZN7rocprim17ROCPRIM_400000_NS6detail17trampoline_kernelINS0_13select_configILj256ELj13ELNS0_17block_load_methodE3ELS4_3ELS4_3ELNS0_20block_scan_algorithmE0ELj4294967295EEENS1_25partition_config_selectorILNS1_17partition_subalgoE3EjNS0_10empty_typeEbEEZZNS1_14partition_implILS8_3ELb0ES6_jNS0_17counting_iteratorIjlEEPS9_SE_NS0_5tupleIJPjSE_EEENSF_IJSE_SE_EEES9_SG_JZNS1_25segmented_radix_sort_implINS0_14default_configELb1EPKdPdPKlPlN2at6native12_GLOBAL__N_18offset_tEEE10hipError_tPvRmT1_PNSt15iterator_traitsISY_E10value_typeET2_T3_PNSZ_IS14_E10value_typeET4_jRbjT5_S1A_jjP12ihipStream_tbEUljE_EEESV_SW_SX_S14_S18_S1A_T6_T7_T9_mT8_S1C_bDpT10_ENKUlT_T0_E_clISt17integral_constantIbLb1EES1O_IbLb0EEEEDaS1K_S1L_EUlS1K_E_NS1_11comp_targetILNS1_3genE3ELNS1_11target_archE908ELNS1_3gpuE7ELNS1_3repE0EEENS1_30default_config_static_selectorELNS0_4arch9wavefront6targetE1EEEvSY_
		.amdhsa_group_segment_fixed_size 0
		.amdhsa_private_segment_fixed_size 0
		.amdhsa_kernarg_size 144
		.amdhsa_user_sgpr_count 6
		.amdhsa_user_sgpr_private_segment_buffer 1
		.amdhsa_user_sgpr_dispatch_ptr 0
		.amdhsa_user_sgpr_queue_ptr 0
		.amdhsa_user_sgpr_kernarg_segment_ptr 1
		.amdhsa_user_sgpr_dispatch_id 0
		.amdhsa_user_sgpr_flat_scratch_init 0
		.amdhsa_user_sgpr_kernarg_preload_length 0
		.amdhsa_user_sgpr_kernarg_preload_offset 0
		.amdhsa_user_sgpr_private_segment_size 0
		.amdhsa_uses_dynamic_stack 0
		.amdhsa_system_sgpr_private_segment_wavefront_offset 0
		.amdhsa_system_sgpr_workgroup_id_x 1
		.amdhsa_system_sgpr_workgroup_id_y 0
		.amdhsa_system_sgpr_workgroup_id_z 0
		.amdhsa_system_sgpr_workgroup_info 0
		.amdhsa_system_vgpr_workitem_id 0
		.amdhsa_next_free_vgpr 1
		.amdhsa_next_free_sgpr 0
		.amdhsa_accum_offset 4
		.amdhsa_reserve_vcc 0
		.amdhsa_reserve_flat_scratch 0
		.amdhsa_float_round_mode_32 0
		.amdhsa_float_round_mode_16_64 0
		.amdhsa_float_denorm_mode_32 3
		.amdhsa_float_denorm_mode_16_64 3
		.amdhsa_dx10_clamp 1
		.amdhsa_ieee_mode 1
		.amdhsa_fp16_overflow 0
		.amdhsa_tg_split 0
		.amdhsa_exception_fp_ieee_invalid_op 0
		.amdhsa_exception_fp_denorm_src 0
		.amdhsa_exception_fp_ieee_div_zero 0
		.amdhsa_exception_fp_ieee_overflow 0
		.amdhsa_exception_fp_ieee_underflow 0
		.amdhsa_exception_fp_ieee_inexact 0
		.amdhsa_exception_int_div_zero 0
	.end_amdhsa_kernel
	.section	.text._ZN7rocprim17ROCPRIM_400000_NS6detail17trampoline_kernelINS0_13select_configILj256ELj13ELNS0_17block_load_methodE3ELS4_3ELS4_3ELNS0_20block_scan_algorithmE0ELj4294967295EEENS1_25partition_config_selectorILNS1_17partition_subalgoE3EjNS0_10empty_typeEbEEZZNS1_14partition_implILS8_3ELb0ES6_jNS0_17counting_iteratorIjlEEPS9_SE_NS0_5tupleIJPjSE_EEENSF_IJSE_SE_EEES9_SG_JZNS1_25segmented_radix_sort_implINS0_14default_configELb1EPKdPdPKlPlN2at6native12_GLOBAL__N_18offset_tEEE10hipError_tPvRmT1_PNSt15iterator_traitsISY_E10value_typeET2_T3_PNSZ_IS14_E10value_typeET4_jRbjT5_S1A_jjP12ihipStream_tbEUljE_EEESV_SW_SX_S14_S18_S1A_T6_T7_T9_mT8_S1C_bDpT10_ENKUlT_T0_E_clISt17integral_constantIbLb1EES1O_IbLb0EEEEDaS1K_S1L_EUlS1K_E_NS1_11comp_targetILNS1_3genE3ELNS1_11target_archE908ELNS1_3gpuE7ELNS1_3repE0EEENS1_30default_config_static_selectorELNS0_4arch9wavefront6targetE1EEEvSY_,"axG",@progbits,_ZN7rocprim17ROCPRIM_400000_NS6detail17trampoline_kernelINS0_13select_configILj256ELj13ELNS0_17block_load_methodE3ELS4_3ELS4_3ELNS0_20block_scan_algorithmE0ELj4294967295EEENS1_25partition_config_selectorILNS1_17partition_subalgoE3EjNS0_10empty_typeEbEEZZNS1_14partition_implILS8_3ELb0ES6_jNS0_17counting_iteratorIjlEEPS9_SE_NS0_5tupleIJPjSE_EEENSF_IJSE_SE_EEES9_SG_JZNS1_25segmented_radix_sort_implINS0_14default_configELb1EPKdPdPKlPlN2at6native12_GLOBAL__N_18offset_tEEE10hipError_tPvRmT1_PNSt15iterator_traitsISY_E10value_typeET2_T3_PNSZ_IS14_E10value_typeET4_jRbjT5_S1A_jjP12ihipStream_tbEUljE_EEESV_SW_SX_S14_S18_S1A_T6_T7_T9_mT8_S1C_bDpT10_ENKUlT_T0_E_clISt17integral_constantIbLb1EES1O_IbLb0EEEEDaS1K_S1L_EUlS1K_E_NS1_11comp_targetILNS1_3genE3ELNS1_11target_archE908ELNS1_3gpuE7ELNS1_3repE0EEENS1_30default_config_static_selectorELNS0_4arch9wavefront6targetE1EEEvSY_,comdat
.Lfunc_end1103:
	.size	_ZN7rocprim17ROCPRIM_400000_NS6detail17trampoline_kernelINS0_13select_configILj256ELj13ELNS0_17block_load_methodE3ELS4_3ELS4_3ELNS0_20block_scan_algorithmE0ELj4294967295EEENS1_25partition_config_selectorILNS1_17partition_subalgoE3EjNS0_10empty_typeEbEEZZNS1_14partition_implILS8_3ELb0ES6_jNS0_17counting_iteratorIjlEEPS9_SE_NS0_5tupleIJPjSE_EEENSF_IJSE_SE_EEES9_SG_JZNS1_25segmented_radix_sort_implINS0_14default_configELb1EPKdPdPKlPlN2at6native12_GLOBAL__N_18offset_tEEE10hipError_tPvRmT1_PNSt15iterator_traitsISY_E10value_typeET2_T3_PNSZ_IS14_E10value_typeET4_jRbjT5_S1A_jjP12ihipStream_tbEUljE_EEESV_SW_SX_S14_S18_S1A_T6_T7_T9_mT8_S1C_bDpT10_ENKUlT_T0_E_clISt17integral_constantIbLb1EES1O_IbLb0EEEEDaS1K_S1L_EUlS1K_E_NS1_11comp_targetILNS1_3genE3ELNS1_11target_archE908ELNS1_3gpuE7ELNS1_3repE0EEENS1_30default_config_static_selectorELNS0_4arch9wavefront6targetE1EEEvSY_, .Lfunc_end1103-_ZN7rocprim17ROCPRIM_400000_NS6detail17trampoline_kernelINS0_13select_configILj256ELj13ELNS0_17block_load_methodE3ELS4_3ELS4_3ELNS0_20block_scan_algorithmE0ELj4294967295EEENS1_25partition_config_selectorILNS1_17partition_subalgoE3EjNS0_10empty_typeEbEEZZNS1_14partition_implILS8_3ELb0ES6_jNS0_17counting_iteratorIjlEEPS9_SE_NS0_5tupleIJPjSE_EEENSF_IJSE_SE_EEES9_SG_JZNS1_25segmented_radix_sort_implINS0_14default_configELb1EPKdPdPKlPlN2at6native12_GLOBAL__N_18offset_tEEE10hipError_tPvRmT1_PNSt15iterator_traitsISY_E10value_typeET2_T3_PNSZ_IS14_E10value_typeET4_jRbjT5_S1A_jjP12ihipStream_tbEUljE_EEESV_SW_SX_S14_S18_S1A_T6_T7_T9_mT8_S1C_bDpT10_ENKUlT_T0_E_clISt17integral_constantIbLb1EES1O_IbLb0EEEEDaS1K_S1L_EUlS1K_E_NS1_11comp_targetILNS1_3genE3ELNS1_11target_archE908ELNS1_3gpuE7ELNS1_3repE0EEENS1_30default_config_static_selectorELNS0_4arch9wavefront6targetE1EEEvSY_
                                        ; -- End function
	.section	.AMDGPU.csdata,"",@progbits
; Kernel info:
; codeLenInByte = 0
; NumSgprs: 4
; NumVgprs: 0
; NumAgprs: 0
; TotalNumVgprs: 0
; ScratchSize: 0
; MemoryBound: 0
; FloatMode: 240
; IeeeMode: 1
; LDSByteSize: 0 bytes/workgroup (compile time only)
; SGPRBlocks: 0
; VGPRBlocks: 0
; NumSGPRsForWavesPerEU: 4
; NumVGPRsForWavesPerEU: 1
; AccumOffset: 4
; Occupancy: 8
; WaveLimiterHint : 0
; COMPUTE_PGM_RSRC2:SCRATCH_EN: 0
; COMPUTE_PGM_RSRC2:USER_SGPR: 6
; COMPUTE_PGM_RSRC2:TRAP_HANDLER: 0
; COMPUTE_PGM_RSRC2:TGID_X_EN: 1
; COMPUTE_PGM_RSRC2:TGID_Y_EN: 0
; COMPUTE_PGM_RSRC2:TGID_Z_EN: 0
; COMPUTE_PGM_RSRC2:TIDIG_COMP_CNT: 0
; COMPUTE_PGM_RSRC3_GFX90A:ACCUM_OFFSET: 0
; COMPUTE_PGM_RSRC3_GFX90A:TG_SPLIT: 0
	.section	.text._ZN7rocprim17ROCPRIM_400000_NS6detail17trampoline_kernelINS0_13select_configILj256ELj13ELNS0_17block_load_methodE3ELS4_3ELS4_3ELNS0_20block_scan_algorithmE0ELj4294967295EEENS1_25partition_config_selectorILNS1_17partition_subalgoE3EjNS0_10empty_typeEbEEZZNS1_14partition_implILS8_3ELb0ES6_jNS0_17counting_iteratorIjlEEPS9_SE_NS0_5tupleIJPjSE_EEENSF_IJSE_SE_EEES9_SG_JZNS1_25segmented_radix_sort_implINS0_14default_configELb1EPKdPdPKlPlN2at6native12_GLOBAL__N_18offset_tEEE10hipError_tPvRmT1_PNSt15iterator_traitsISY_E10value_typeET2_T3_PNSZ_IS14_E10value_typeET4_jRbjT5_S1A_jjP12ihipStream_tbEUljE_EEESV_SW_SX_S14_S18_S1A_T6_T7_T9_mT8_S1C_bDpT10_ENKUlT_T0_E_clISt17integral_constantIbLb1EES1O_IbLb0EEEEDaS1K_S1L_EUlS1K_E_NS1_11comp_targetILNS1_3genE2ELNS1_11target_archE906ELNS1_3gpuE6ELNS1_3repE0EEENS1_30default_config_static_selectorELNS0_4arch9wavefront6targetE1EEEvSY_,"axG",@progbits,_ZN7rocprim17ROCPRIM_400000_NS6detail17trampoline_kernelINS0_13select_configILj256ELj13ELNS0_17block_load_methodE3ELS4_3ELS4_3ELNS0_20block_scan_algorithmE0ELj4294967295EEENS1_25partition_config_selectorILNS1_17partition_subalgoE3EjNS0_10empty_typeEbEEZZNS1_14partition_implILS8_3ELb0ES6_jNS0_17counting_iteratorIjlEEPS9_SE_NS0_5tupleIJPjSE_EEENSF_IJSE_SE_EEES9_SG_JZNS1_25segmented_radix_sort_implINS0_14default_configELb1EPKdPdPKlPlN2at6native12_GLOBAL__N_18offset_tEEE10hipError_tPvRmT1_PNSt15iterator_traitsISY_E10value_typeET2_T3_PNSZ_IS14_E10value_typeET4_jRbjT5_S1A_jjP12ihipStream_tbEUljE_EEESV_SW_SX_S14_S18_S1A_T6_T7_T9_mT8_S1C_bDpT10_ENKUlT_T0_E_clISt17integral_constantIbLb1EES1O_IbLb0EEEEDaS1K_S1L_EUlS1K_E_NS1_11comp_targetILNS1_3genE2ELNS1_11target_archE906ELNS1_3gpuE6ELNS1_3repE0EEENS1_30default_config_static_selectorELNS0_4arch9wavefront6targetE1EEEvSY_,comdat
	.globl	_ZN7rocprim17ROCPRIM_400000_NS6detail17trampoline_kernelINS0_13select_configILj256ELj13ELNS0_17block_load_methodE3ELS4_3ELS4_3ELNS0_20block_scan_algorithmE0ELj4294967295EEENS1_25partition_config_selectorILNS1_17partition_subalgoE3EjNS0_10empty_typeEbEEZZNS1_14partition_implILS8_3ELb0ES6_jNS0_17counting_iteratorIjlEEPS9_SE_NS0_5tupleIJPjSE_EEENSF_IJSE_SE_EEES9_SG_JZNS1_25segmented_radix_sort_implINS0_14default_configELb1EPKdPdPKlPlN2at6native12_GLOBAL__N_18offset_tEEE10hipError_tPvRmT1_PNSt15iterator_traitsISY_E10value_typeET2_T3_PNSZ_IS14_E10value_typeET4_jRbjT5_S1A_jjP12ihipStream_tbEUljE_EEESV_SW_SX_S14_S18_S1A_T6_T7_T9_mT8_S1C_bDpT10_ENKUlT_T0_E_clISt17integral_constantIbLb1EES1O_IbLb0EEEEDaS1K_S1L_EUlS1K_E_NS1_11comp_targetILNS1_3genE2ELNS1_11target_archE906ELNS1_3gpuE6ELNS1_3repE0EEENS1_30default_config_static_selectorELNS0_4arch9wavefront6targetE1EEEvSY_ ; -- Begin function _ZN7rocprim17ROCPRIM_400000_NS6detail17trampoline_kernelINS0_13select_configILj256ELj13ELNS0_17block_load_methodE3ELS4_3ELS4_3ELNS0_20block_scan_algorithmE0ELj4294967295EEENS1_25partition_config_selectorILNS1_17partition_subalgoE3EjNS0_10empty_typeEbEEZZNS1_14partition_implILS8_3ELb0ES6_jNS0_17counting_iteratorIjlEEPS9_SE_NS0_5tupleIJPjSE_EEENSF_IJSE_SE_EEES9_SG_JZNS1_25segmented_radix_sort_implINS0_14default_configELb1EPKdPdPKlPlN2at6native12_GLOBAL__N_18offset_tEEE10hipError_tPvRmT1_PNSt15iterator_traitsISY_E10value_typeET2_T3_PNSZ_IS14_E10value_typeET4_jRbjT5_S1A_jjP12ihipStream_tbEUljE_EEESV_SW_SX_S14_S18_S1A_T6_T7_T9_mT8_S1C_bDpT10_ENKUlT_T0_E_clISt17integral_constantIbLb1EES1O_IbLb0EEEEDaS1K_S1L_EUlS1K_E_NS1_11comp_targetILNS1_3genE2ELNS1_11target_archE906ELNS1_3gpuE6ELNS1_3repE0EEENS1_30default_config_static_selectorELNS0_4arch9wavefront6targetE1EEEvSY_
	.p2align	8
	.type	_ZN7rocprim17ROCPRIM_400000_NS6detail17trampoline_kernelINS0_13select_configILj256ELj13ELNS0_17block_load_methodE3ELS4_3ELS4_3ELNS0_20block_scan_algorithmE0ELj4294967295EEENS1_25partition_config_selectorILNS1_17partition_subalgoE3EjNS0_10empty_typeEbEEZZNS1_14partition_implILS8_3ELb0ES6_jNS0_17counting_iteratorIjlEEPS9_SE_NS0_5tupleIJPjSE_EEENSF_IJSE_SE_EEES9_SG_JZNS1_25segmented_radix_sort_implINS0_14default_configELb1EPKdPdPKlPlN2at6native12_GLOBAL__N_18offset_tEEE10hipError_tPvRmT1_PNSt15iterator_traitsISY_E10value_typeET2_T3_PNSZ_IS14_E10value_typeET4_jRbjT5_S1A_jjP12ihipStream_tbEUljE_EEESV_SW_SX_S14_S18_S1A_T6_T7_T9_mT8_S1C_bDpT10_ENKUlT_T0_E_clISt17integral_constantIbLb1EES1O_IbLb0EEEEDaS1K_S1L_EUlS1K_E_NS1_11comp_targetILNS1_3genE2ELNS1_11target_archE906ELNS1_3gpuE6ELNS1_3repE0EEENS1_30default_config_static_selectorELNS0_4arch9wavefront6targetE1EEEvSY_,@function
_ZN7rocprim17ROCPRIM_400000_NS6detail17trampoline_kernelINS0_13select_configILj256ELj13ELNS0_17block_load_methodE3ELS4_3ELS4_3ELNS0_20block_scan_algorithmE0ELj4294967295EEENS1_25partition_config_selectorILNS1_17partition_subalgoE3EjNS0_10empty_typeEbEEZZNS1_14partition_implILS8_3ELb0ES6_jNS0_17counting_iteratorIjlEEPS9_SE_NS0_5tupleIJPjSE_EEENSF_IJSE_SE_EEES9_SG_JZNS1_25segmented_radix_sort_implINS0_14default_configELb1EPKdPdPKlPlN2at6native12_GLOBAL__N_18offset_tEEE10hipError_tPvRmT1_PNSt15iterator_traitsISY_E10value_typeET2_T3_PNSZ_IS14_E10value_typeET4_jRbjT5_S1A_jjP12ihipStream_tbEUljE_EEESV_SW_SX_S14_S18_S1A_T6_T7_T9_mT8_S1C_bDpT10_ENKUlT_T0_E_clISt17integral_constantIbLb1EES1O_IbLb0EEEEDaS1K_S1L_EUlS1K_E_NS1_11comp_targetILNS1_3genE2ELNS1_11target_archE906ELNS1_3gpuE6ELNS1_3repE0EEENS1_30default_config_static_selectorELNS0_4arch9wavefront6targetE1EEEvSY_: ; @_ZN7rocprim17ROCPRIM_400000_NS6detail17trampoline_kernelINS0_13select_configILj256ELj13ELNS0_17block_load_methodE3ELS4_3ELS4_3ELNS0_20block_scan_algorithmE0ELj4294967295EEENS1_25partition_config_selectorILNS1_17partition_subalgoE3EjNS0_10empty_typeEbEEZZNS1_14partition_implILS8_3ELb0ES6_jNS0_17counting_iteratorIjlEEPS9_SE_NS0_5tupleIJPjSE_EEENSF_IJSE_SE_EEES9_SG_JZNS1_25segmented_radix_sort_implINS0_14default_configELb1EPKdPdPKlPlN2at6native12_GLOBAL__N_18offset_tEEE10hipError_tPvRmT1_PNSt15iterator_traitsISY_E10value_typeET2_T3_PNSZ_IS14_E10value_typeET4_jRbjT5_S1A_jjP12ihipStream_tbEUljE_EEESV_SW_SX_S14_S18_S1A_T6_T7_T9_mT8_S1C_bDpT10_ENKUlT_T0_E_clISt17integral_constantIbLb1EES1O_IbLb0EEEEDaS1K_S1L_EUlS1K_E_NS1_11comp_targetILNS1_3genE2ELNS1_11target_archE906ELNS1_3gpuE6ELNS1_3repE0EEENS1_30default_config_static_selectorELNS0_4arch9wavefront6targetE1EEEvSY_
; %bb.0:
	.section	.rodata,"a",@progbits
	.p2align	6, 0x0
	.amdhsa_kernel _ZN7rocprim17ROCPRIM_400000_NS6detail17trampoline_kernelINS0_13select_configILj256ELj13ELNS0_17block_load_methodE3ELS4_3ELS4_3ELNS0_20block_scan_algorithmE0ELj4294967295EEENS1_25partition_config_selectorILNS1_17partition_subalgoE3EjNS0_10empty_typeEbEEZZNS1_14partition_implILS8_3ELb0ES6_jNS0_17counting_iteratorIjlEEPS9_SE_NS0_5tupleIJPjSE_EEENSF_IJSE_SE_EEES9_SG_JZNS1_25segmented_radix_sort_implINS0_14default_configELb1EPKdPdPKlPlN2at6native12_GLOBAL__N_18offset_tEEE10hipError_tPvRmT1_PNSt15iterator_traitsISY_E10value_typeET2_T3_PNSZ_IS14_E10value_typeET4_jRbjT5_S1A_jjP12ihipStream_tbEUljE_EEESV_SW_SX_S14_S18_S1A_T6_T7_T9_mT8_S1C_bDpT10_ENKUlT_T0_E_clISt17integral_constantIbLb1EES1O_IbLb0EEEEDaS1K_S1L_EUlS1K_E_NS1_11comp_targetILNS1_3genE2ELNS1_11target_archE906ELNS1_3gpuE6ELNS1_3repE0EEENS1_30default_config_static_selectorELNS0_4arch9wavefront6targetE1EEEvSY_
		.amdhsa_group_segment_fixed_size 0
		.amdhsa_private_segment_fixed_size 0
		.amdhsa_kernarg_size 144
		.amdhsa_user_sgpr_count 6
		.amdhsa_user_sgpr_private_segment_buffer 1
		.amdhsa_user_sgpr_dispatch_ptr 0
		.amdhsa_user_sgpr_queue_ptr 0
		.amdhsa_user_sgpr_kernarg_segment_ptr 1
		.amdhsa_user_sgpr_dispatch_id 0
		.amdhsa_user_sgpr_flat_scratch_init 0
		.amdhsa_user_sgpr_kernarg_preload_length 0
		.amdhsa_user_sgpr_kernarg_preload_offset 0
		.amdhsa_user_sgpr_private_segment_size 0
		.amdhsa_uses_dynamic_stack 0
		.amdhsa_system_sgpr_private_segment_wavefront_offset 0
		.amdhsa_system_sgpr_workgroup_id_x 1
		.amdhsa_system_sgpr_workgroup_id_y 0
		.amdhsa_system_sgpr_workgroup_id_z 0
		.amdhsa_system_sgpr_workgroup_info 0
		.amdhsa_system_vgpr_workitem_id 0
		.amdhsa_next_free_vgpr 1
		.amdhsa_next_free_sgpr 0
		.amdhsa_accum_offset 4
		.amdhsa_reserve_vcc 0
		.amdhsa_reserve_flat_scratch 0
		.amdhsa_float_round_mode_32 0
		.amdhsa_float_round_mode_16_64 0
		.amdhsa_float_denorm_mode_32 3
		.amdhsa_float_denorm_mode_16_64 3
		.amdhsa_dx10_clamp 1
		.amdhsa_ieee_mode 1
		.amdhsa_fp16_overflow 0
		.amdhsa_tg_split 0
		.amdhsa_exception_fp_ieee_invalid_op 0
		.amdhsa_exception_fp_denorm_src 0
		.amdhsa_exception_fp_ieee_div_zero 0
		.amdhsa_exception_fp_ieee_overflow 0
		.amdhsa_exception_fp_ieee_underflow 0
		.amdhsa_exception_fp_ieee_inexact 0
		.amdhsa_exception_int_div_zero 0
	.end_amdhsa_kernel
	.section	.text._ZN7rocprim17ROCPRIM_400000_NS6detail17trampoline_kernelINS0_13select_configILj256ELj13ELNS0_17block_load_methodE3ELS4_3ELS4_3ELNS0_20block_scan_algorithmE0ELj4294967295EEENS1_25partition_config_selectorILNS1_17partition_subalgoE3EjNS0_10empty_typeEbEEZZNS1_14partition_implILS8_3ELb0ES6_jNS0_17counting_iteratorIjlEEPS9_SE_NS0_5tupleIJPjSE_EEENSF_IJSE_SE_EEES9_SG_JZNS1_25segmented_radix_sort_implINS0_14default_configELb1EPKdPdPKlPlN2at6native12_GLOBAL__N_18offset_tEEE10hipError_tPvRmT1_PNSt15iterator_traitsISY_E10value_typeET2_T3_PNSZ_IS14_E10value_typeET4_jRbjT5_S1A_jjP12ihipStream_tbEUljE_EEESV_SW_SX_S14_S18_S1A_T6_T7_T9_mT8_S1C_bDpT10_ENKUlT_T0_E_clISt17integral_constantIbLb1EES1O_IbLb0EEEEDaS1K_S1L_EUlS1K_E_NS1_11comp_targetILNS1_3genE2ELNS1_11target_archE906ELNS1_3gpuE6ELNS1_3repE0EEENS1_30default_config_static_selectorELNS0_4arch9wavefront6targetE1EEEvSY_,"axG",@progbits,_ZN7rocprim17ROCPRIM_400000_NS6detail17trampoline_kernelINS0_13select_configILj256ELj13ELNS0_17block_load_methodE3ELS4_3ELS4_3ELNS0_20block_scan_algorithmE0ELj4294967295EEENS1_25partition_config_selectorILNS1_17partition_subalgoE3EjNS0_10empty_typeEbEEZZNS1_14partition_implILS8_3ELb0ES6_jNS0_17counting_iteratorIjlEEPS9_SE_NS0_5tupleIJPjSE_EEENSF_IJSE_SE_EEES9_SG_JZNS1_25segmented_radix_sort_implINS0_14default_configELb1EPKdPdPKlPlN2at6native12_GLOBAL__N_18offset_tEEE10hipError_tPvRmT1_PNSt15iterator_traitsISY_E10value_typeET2_T3_PNSZ_IS14_E10value_typeET4_jRbjT5_S1A_jjP12ihipStream_tbEUljE_EEESV_SW_SX_S14_S18_S1A_T6_T7_T9_mT8_S1C_bDpT10_ENKUlT_T0_E_clISt17integral_constantIbLb1EES1O_IbLb0EEEEDaS1K_S1L_EUlS1K_E_NS1_11comp_targetILNS1_3genE2ELNS1_11target_archE906ELNS1_3gpuE6ELNS1_3repE0EEENS1_30default_config_static_selectorELNS0_4arch9wavefront6targetE1EEEvSY_,comdat
.Lfunc_end1104:
	.size	_ZN7rocprim17ROCPRIM_400000_NS6detail17trampoline_kernelINS0_13select_configILj256ELj13ELNS0_17block_load_methodE3ELS4_3ELS4_3ELNS0_20block_scan_algorithmE0ELj4294967295EEENS1_25partition_config_selectorILNS1_17partition_subalgoE3EjNS0_10empty_typeEbEEZZNS1_14partition_implILS8_3ELb0ES6_jNS0_17counting_iteratorIjlEEPS9_SE_NS0_5tupleIJPjSE_EEENSF_IJSE_SE_EEES9_SG_JZNS1_25segmented_radix_sort_implINS0_14default_configELb1EPKdPdPKlPlN2at6native12_GLOBAL__N_18offset_tEEE10hipError_tPvRmT1_PNSt15iterator_traitsISY_E10value_typeET2_T3_PNSZ_IS14_E10value_typeET4_jRbjT5_S1A_jjP12ihipStream_tbEUljE_EEESV_SW_SX_S14_S18_S1A_T6_T7_T9_mT8_S1C_bDpT10_ENKUlT_T0_E_clISt17integral_constantIbLb1EES1O_IbLb0EEEEDaS1K_S1L_EUlS1K_E_NS1_11comp_targetILNS1_3genE2ELNS1_11target_archE906ELNS1_3gpuE6ELNS1_3repE0EEENS1_30default_config_static_selectorELNS0_4arch9wavefront6targetE1EEEvSY_, .Lfunc_end1104-_ZN7rocprim17ROCPRIM_400000_NS6detail17trampoline_kernelINS0_13select_configILj256ELj13ELNS0_17block_load_methodE3ELS4_3ELS4_3ELNS0_20block_scan_algorithmE0ELj4294967295EEENS1_25partition_config_selectorILNS1_17partition_subalgoE3EjNS0_10empty_typeEbEEZZNS1_14partition_implILS8_3ELb0ES6_jNS0_17counting_iteratorIjlEEPS9_SE_NS0_5tupleIJPjSE_EEENSF_IJSE_SE_EEES9_SG_JZNS1_25segmented_radix_sort_implINS0_14default_configELb1EPKdPdPKlPlN2at6native12_GLOBAL__N_18offset_tEEE10hipError_tPvRmT1_PNSt15iterator_traitsISY_E10value_typeET2_T3_PNSZ_IS14_E10value_typeET4_jRbjT5_S1A_jjP12ihipStream_tbEUljE_EEESV_SW_SX_S14_S18_S1A_T6_T7_T9_mT8_S1C_bDpT10_ENKUlT_T0_E_clISt17integral_constantIbLb1EES1O_IbLb0EEEEDaS1K_S1L_EUlS1K_E_NS1_11comp_targetILNS1_3genE2ELNS1_11target_archE906ELNS1_3gpuE6ELNS1_3repE0EEENS1_30default_config_static_selectorELNS0_4arch9wavefront6targetE1EEEvSY_
                                        ; -- End function
	.section	.AMDGPU.csdata,"",@progbits
; Kernel info:
; codeLenInByte = 0
; NumSgprs: 4
; NumVgprs: 0
; NumAgprs: 0
; TotalNumVgprs: 0
; ScratchSize: 0
; MemoryBound: 0
; FloatMode: 240
; IeeeMode: 1
; LDSByteSize: 0 bytes/workgroup (compile time only)
; SGPRBlocks: 0
; VGPRBlocks: 0
; NumSGPRsForWavesPerEU: 4
; NumVGPRsForWavesPerEU: 1
; AccumOffset: 4
; Occupancy: 8
; WaveLimiterHint : 0
; COMPUTE_PGM_RSRC2:SCRATCH_EN: 0
; COMPUTE_PGM_RSRC2:USER_SGPR: 6
; COMPUTE_PGM_RSRC2:TRAP_HANDLER: 0
; COMPUTE_PGM_RSRC2:TGID_X_EN: 1
; COMPUTE_PGM_RSRC2:TGID_Y_EN: 0
; COMPUTE_PGM_RSRC2:TGID_Z_EN: 0
; COMPUTE_PGM_RSRC2:TIDIG_COMP_CNT: 0
; COMPUTE_PGM_RSRC3_GFX90A:ACCUM_OFFSET: 0
; COMPUTE_PGM_RSRC3_GFX90A:TG_SPLIT: 0
	.section	.text._ZN7rocprim17ROCPRIM_400000_NS6detail17trampoline_kernelINS0_13select_configILj256ELj13ELNS0_17block_load_methodE3ELS4_3ELS4_3ELNS0_20block_scan_algorithmE0ELj4294967295EEENS1_25partition_config_selectorILNS1_17partition_subalgoE3EjNS0_10empty_typeEbEEZZNS1_14partition_implILS8_3ELb0ES6_jNS0_17counting_iteratorIjlEEPS9_SE_NS0_5tupleIJPjSE_EEENSF_IJSE_SE_EEES9_SG_JZNS1_25segmented_radix_sort_implINS0_14default_configELb1EPKdPdPKlPlN2at6native12_GLOBAL__N_18offset_tEEE10hipError_tPvRmT1_PNSt15iterator_traitsISY_E10value_typeET2_T3_PNSZ_IS14_E10value_typeET4_jRbjT5_S1A_jjP12ihipStream_tbEUljE_EEESV_SW_SX_S14_S18_S1A_T6_T7_T9_mT8_S1C_bDpT10_ENKUlT_T0_E_clISt17integral_constantIbLb1EES1O_IbLb0EEEEDaS1K_S1L_EUlS1K_E_NS1_11comp_targetILNS1_3genE10ELNS1_11target_archE1200ELNS1_3gpuE4ELNS1_3repE0EEENS1_30default_config_static_selectorELNS0_4arch9wavefront6targetE1EEEvSY_,"axG",@progbits,_ZN7rocprim17ROCPRIM_400000_NS6detail17trampoline_kernelINS0_13select_configILj256ELj13ELNS0_17block_load_methodE3ELS4_3ELS4_3ELNS0_20block_scan_algorithmE0ELj4294967295EEENS1_25partition_config_selectorILNS1_17partition_subalgoE3EjNS0_10empty_typeEbEEZZNS1_14partition_implILS8_3ELb0ES6_jNS0_17counting_iteratorIjlEEPS9_SE_NS0_5tupleIJPjSE_EEENSF_IJSE_SE_EEES9_SG_JZNS1_25segmented_radix_sort_implINS0_14default_configELb1EPKdPdPKlPlN2at6native12_GLOBAL__N_18offset_tEEE10hipError_tPvRmT1_PNSt15iterator_traitsISY_E10value_typeET2_T3_PNSZ_IS14_E10value_typeET4_jRbjT5_S1A_jjP12ihipStream_tbEUljE_EEESV_SW_SX_S14_S18_S1A_T6_T7_T9_mT8_S1C_bDpT10_ENKUlT_T0_E_clISt17integral_constantIbLb1EES1O_IbLb0EEEEDaS1K_S1L_EUlS1K_E_NS1_11comp_targetILNS1_3genE10ELNS1_11target_archE1200ELNS1_3gpuE4ELNS1_3repE0EEENS1_30default_config_static_selectorELNS0_4arch9wavefront6targetE1EEEvSY_,comdat
	.globl	_ZN7rocprim17ROCPRIM_400000_NS6detail17trampoline_kernelINS0_13select_configILj256ELj13ELNS0_17block_load_methodE3ELS4_3ELS4_3ELNS0_20block_scan_algorithmE0ELj4294967295EEENS1_25partition_config_selectorILNS1_17partition_subalgoE3EjNS0_10empty_typeEbEEZZNS1_14partition_implILS8_3ELb0ES6_jNS0_17counting_iteratorIjlEEPS9_SE_NS0_5tupleIJPjSE_EEENSF_IJSE_SE_EEES9_SG_JZNS1_25segmented_radix_sort_implINS0_14default_configELb1EPKdPdPKlPlN2at6native12_GLOBAL__N_18offset_tEEE10hipError_tPvRmT1_PNSt15iterator_traitsISY_E10value_typeET2_T3_PNSZ_IS14_E10value_typeET4_jRbjT5_S1A_jjP12ihipStream_tbEUljE_EEESV_SW_SX_S14_S18_S1A_T6_T7_T9_mT8_S1C_bDpT10_ENKUlT_T0_E_clISt17integral_constantIbLb1EES1O_IbLb0EEEEDaS1K_S1L_EUlS1K_E_NS1_11comp_targetILNS1_3genE10ELNS1_11target_archE1200ELNS1_3gpuE4ELNS1_3repE0EEENS1_30default_config_static_selectorELNS0_4arch9wavefront6targetE1EEEvSY_ ; -- Begin function _ZN7rocprim17ROCPRIM_400000_NS6detail17trampoline_kernelINS0_13select_configILj256ELj13ELNS0_17block_load_methodE3ELS4_3ELS4_3ELNS0_20block_scan_algorithmE0ELj4294967295EEENS1_25partition_config_selectorILNS1_17partition_subalgoE3EjNS0_10empty_typeEbEEZZNS1_14partition_implILS8_3ELb0ES6_jNS0_17counting_iteratorIjlEEPS9_SE_NS0_5tupleIJPjSE_EEENSF_IJSE_SE_EEES9_SG_JZNS1_25segmented_radix_sort_implINS0_14default_configELb1EPKdPdPKlPlN2at6native12_GLOBAL__N_18offset_tEEE10hipError_tPvRmT1_PNSt15iterator_traitsISY_E10value_typeET2_T3_PNSZ_IS14_E10value_typeET4_jRbjT5_S1A_jjP12ihipStream_tbEUljE_EEESV_SW_SX_S14_S18_S1A_T6_T7_T9_mT8_S1C_bDpT10_ENKUlT_T0_E_clISt17integral_constantIbLb1EES1O_IbLb0EEEEDaS1K_S1L_EUlS1K_E_NS1_11comp_targetILNS1_3genE10ELNS1_11target_archE1200ELNS1_3gpuE4ELNS1_3repE0EEENS1_30default_config_static_selectorELNS0_4arch9wavefront6targetE1EEEvSY_
	.p2align	8
	.type	_ZN7rocprim17ROCPRIM_400000_NS6detail17trampoline_kernelINS0_13select_configILj256ELj13ELNS0_17block_load_methodE3ELS4_3ELS4_3ELNS0_20block_scan_algorithmE0ELj4294967295EEENS1_25partition_config_selectorILNS1_17partition_subalgoE3EjNS0_10empty_typeEbEEZZNS1_14partition_implILS8_3ELb0ES6_jNS0_17counting_iteratorIjlEEPS9_SE_NS0_5tupleIJPjSE_EEENSF_IJSE_SE_EEES9_SG_JZNS1_25segmented_radix_sort_implINS0_14default_configELb1EPKdPdPKlPlN2at6native12_GLOBAL__N_18offset_tEEE10hipError_tPvRmT1_PNSt15iterator_traitsISY_E10value_typeET2_T3_PNSZ_IS14_E10value_typeET4_jRbjT5_S1A_jjP12ihipStream_tbEUljE_EEESV_SW_SX_S14_S18_S1A_T6_T7_T9_mT8_S1C_bDpT10_ENKUlT_T0_E_clISt17integral_constantIbLb1EES1O_IbLb0EEEEDaS1K_S1L_EUlS1K_E_NS1_11comp_targetILNS1_3genE10ELNS1_11target_archE1200ELNS1_3gpuE4ELNS1_3repE0EEENS1_30default_config_static_selectorELNS0_4arch9wavefront6targetE1EEEvSY_,@function
_ZN7rocprim17ROCPRIM_400000_NS6detail17trampoline_kernelINS0_13select_configILj256ELj13ELNS0_17block_load_methodE3ELS4_3ELS4_3ELNS0_20block_scan_algorithmE0ELj4294967295EEENS1_25partition_config_selectorILNS1_17partition_subalgoE3EjNS0_10empty_typeEbEEZZNS1_14partition_implILS8_3ELb0ES6_jNS0_17counting_iteratorIjlEEPS9_SE_NS0_5tupleIJPjSE_EEENSF_IJSE_SE_EEES9_SG_JZNS1_25segmented_radix_sort_implINS0_14default_configELb1EPKdPdPKlPlN2at6native12_GLOBAL__N_18offset_tEEE10hipError_tPvRmT1_PNSt15iterator_traitsISY_E10value_typeET2_T3_PNSZ_IS14_E10value_typeET4_jRbjT5_S1A_jjP12ihipStream_tbEUljE_EEESV_SW_SX_S14_S18_S1A_T6_T7_T9_mT8_S1C_bDpT10_ENKUlT_T0_E_clISt17integral_constantIbLb1EES1O_IbLb0EEEEDaS1K_S1L_EUlS1K_E_NS1_11comp_targetILNS1_3genE10ELNS1_11target_archE1200ELNS1_3gpuE4ELNS1_3repE0EEENS1_30default_config_static_selectorELNS0_4arch9wavefront6targetE1EEEvSY_: ; @_ZN7rocprim17ROCPRIM_400000_NS6detail17trampoline_kernelINS0_13select_configILj256ELj13ELNS0_17block_load_methodE3ELS4_3ELS4_3ELNS0_20block_scan_algorithmE0ELj4294967295EEENS1_25partition_config_selectorILNS1_17partition_subalgoE3EjNS0_10empty_typeEbEEZZNS1_14partition_implILS8_3ELb0ES6_jNS0_17counting_iteratorIjlEEPS9_SE_NS0_5tupleIJPjSE_EEENSF_IJSE_SE_EEES9_SG_JZNS1_25segmented_radix_sort_implINS0_14default_configELb1EPKdPdPKlPlN2at6native12_GLOBAL__N_18offset_tEEE10hipError_tPvRmT1_PNSt15iterator_traitsISY_E10value_typeET2_T3_PNSZ_IS14_E10value_typeET4_jRbjT5_S1A_jjP12ihipStream_tbEUljE_EEESV_SW_SX_S14_S18_S1A_T6_T7_T9_mT8_S1C_bDpT10_ENKUlT_T0_E_clISt17integral_constantIbLb1EES1O_IbLb0EEEEDaS1K_S1L_EUlS1K_E_NS1_11comp_targetILNS1_3genE10ELNS1_11target_archE1200ELNS1_3gpuE4ELNS1_3repE0EEENS1_30default_config_static_selectorELNS0_4arch9wavefront6targetE1EEEvSY_
; %bb.0:
	.section	.rodata,"a",@progbits
	.p2align	6, 0x0
	.amdhsa_kernel _ZN7rocprim17ROCPRIM_400000_NS6detail17trampoline_kernelINS0_13select_configILj256ELj13ELNS0_17block_load_methodE3ELS4_3ELS4_3ELNS0_20block_scan_algorithmE0ELj4294967295EEENS1_25partition_config_selectorILNS1_17partition_subalgoE3EjNS0_10empty_typeEbEEZZNS1_14partition_implILS8_3ELb0ES6_jNS0_17counting_iteratorIjlEEPS9_SE_NS0_5tupleIJPjSE_EEENSF_IJSE_SE_EEES9_SG_JZNS1_25segmented_radix_sort_implINS0_14default_configELb1EPKdPdPKlPlN2at6native12_GLOBAL__N_18offset_tEEE10hipError_tPvRmT1_PNSt15iterator_traitsISY_E10value_typeET2_T3_PNSZ_IS14_E10value_typeET4_jRbjT5_S1A_jjP12ihipStream_tbEUljE_EEESV_SW_SX_S14_S18_S1A_T6_T7_T9_mT8_S1C_bDpT10_ENKUlT_T0_E_clISt17integral_constantIbLb1EES1O_IbLb0EEEEDaS1K_S1L_EUlS1K_E_NS1_11comp_targetILNS1_3genE10ELNS1_11target_archE1200ELNS1_3gpuE4ELNS1_3repE0EEENS1_30default_config_static_selectorELNS0_4arch9wavefront6targetE1EEEvSY_
		.amdhsa_group_segment_fixed_size 0
		.amdhsa_private_segment_fixed_size 0
		.amdhsa_kernarg_size 144
		.amdhsa_user_sgpr_count 6
		.amdhsa_user_sgpr_private_segment_buffer 1
		.amdhsa_user_sgpr_dispatch_ptr 0
		.amdhsa_user_sgpr_queue_ptr 0
		.amdhsa_user_sgpr_kernarg_segment_ptr 1
		.amdhsa_user_sgpr_dispatch_id 0
		.amdhsa_user_sgpr_flat_scratch_init 0
		.amdhsa_user_sgpr_kernarg_preload_length 0
		.amdhsa_user_sgpr_kernarg_preload_offset 0
		.amdhsa_user_sgpr_private_segment_size 0
		.amdhsa_uses_dynamic_stack 0
		.amdhsa_system_sgpr_private_segment_wavefront_offset 0
		.amdhsa_system_sgpr_workgroup_id_x 1
		.amdhsa_system_sgpr_workgroup_id_y 0
		.amdhsa_system_sgpr_workgroup_id_z 0
		.amdhsa_system_sgpr_workgroup_info 0
		.amdhsa_system_vgpr_workitem_id 0
		.amdhsa_next_free_vgpr 1
		.amdhsa_next_free_sgpr 0
		.amdhsa_accum_offset 4
		.amdhsa_reserve_vcc 0
		.amdhsa_reserve_flat_scratch 0
		.amdhsa_float_round_mode_32 0
		.amdhsa_float_round_mode_16_64 0
		.amdhsa_float_denorm_mode_32 3
		.amdhsa_float_denorm_mode_16_64 3
		.amdhsa_dx10_clamp 1
		.amdhsa_ieee_mode 1
		.amdhsa_fp16_overflow 0
		.amdhsa_tg_split 0
		.amdhsa_exception_fp_ieee_invalid_op 0
		.amdhsa_exception_fp_denorm_src 0
		.amdhsa_exception_fp_ieee_div_zero 0
		.amdhsa_exception_fp_ieee_overflow 0
		.amdhsa_exception_fp_ieee_underflow 0
		.amdhsa_exception_fp_ieee_inexact 0
		.amdhsa_exception_int_div_zero 0
	.end_amdhsa_kernel
	.section	.text._ZN7rocprim17ROCPRIM_400000_NS6detail17trampoline_kernelINS0_13select_configILj256ELj13ELNS0_17block_load_methodE3ELS4_3ELS4_3ELNS0_20block_scan_algorithmE0ELj4294967295EEENS1_25partition_config_selectorILNS1_17partition_subalgoE3EjNS0_10empty_typeEbEEZZNS1_14partition_implILS8_3ELb0ES6_jNS0_17counting_iteratorIjlEEPS9_SE_NS0_5tupleIJPjSE_EEENSF_IJSE_SE_EEES9_SG_JZNS1_25segmented_radix_sort_implINS0_14default_configELb1EPKdPdPKlPlN2at6native12_GLOBAL__N_18offset_tEEE10hipError_tPvRmT1_PNSt15iterator_traitsISY_E10value_typeET2_T3_PNSZ_IS14_E10value_typeET4_jRbjT5_S1A_jjP12ihipStream_tbEUljE_EEESV_SW_SX_S14_S18_S1A_T6_T7_T9_mT8_S1C_bDpT10_ENKUlT_T0_E_clISt17integral_constantIbLb1EES1O_IbLb0EEEEDaS1K_S1L_EUlS1K_E_NS1_11comp_targetILNS1_3genE10ELNS1_11target_archE1200ELNS1_3gpuE4ELNS1_3repE0EEENS1_30default_config_static_selectorELNS0_4arch9wavefront6targetE1EEEvSY_,"axG",@progbits,_ZN7rocprim17ROCPRIM_400000_NS6detail17trampoline_kernelINS0_13select_configILj256ELj13ELNS0_17block_load_methodE3ELS4_3ELS4_3ELNS0_20block_scan_algorithmE0ELj4294967295EEENS1_25partition_config_selectorILNS1_17partition_subalgoE3EjNS0_10empty_typeEbEEZZNS1_14partition_implILS8_3ELb0ES6_jNS0_17counting_iteratorIjlEEPS9_SE_NS0_5tupleIJPjSE_EEENSF_IJSE_SE_EEES9_SG_JZNS1_25segmented_radix_sort_implINS0_14default_configELb1EPKdPdPKlPlN2at6native12_GLOBAL__N_18offset_tEEE10hipError_tPvRmT1_PNSt15iterator_traitsISY_E10value_typeET2_T3_PNSZ_IS14_E10value_typeET4_jRbjT5_S1A_jjP12ihipStream_tbEUljE_EEESV_SW_SX_S14_S18_S1A_T6_T7_T9_mT8_S1C_bDpT10_ENKUlT_T0_E_clISt17integral_constantIbLb1EES1O_IbLb0EEEEDaS1K_S1L_EUlS1K_E_NS1_11comp_targetILNS1_3genE10ELNS1_11target_archE1200ELNS1_3gpuE4ELNS1_3repE0EEENS1_30default_config_static_selectorELNS0_4arch9wavefront6targetE1EEEvSY_,comdat
.Lfunc_end1105:
	.size	_ZN7rocprim17ROCPRIM_400000_NS6detail17trampoline_kernelINS0_13select_configILj256ELj13ELNS0_17block_load_methodE3ELS4_3ELS4_3ELNS0_20block_scan_algorithmE0ELj4294967295EEENS1_25partition_config_selectorILNS1_17partition_subalgoE3EjNS0_10empty_typeEbEEZZNS1_14partition_implILS8_3ELb0ES6_jNS0_17counting_iteratorIjlEEPS9_SE_NS0_5tupleIJPjSE_EEENSF_IJSE_SE_EEES9_SG_JZNS1_25segmented_radix_sort_implINS0_14default_configELb1EPKdPdPKlPlN2at6native12_GLOBAL__N_18offset_tEEE10hipError_tPvRmT1_PNSt15iterator_traitsISY_E10value_typeET2_T3_PNSZ_IS14_E10value_typeET4_jRbjT5_S1A_jjP12ihipStream_tbEUljE_EEESV_SW_SX_S14_S18_S1A_T6_T7_T9_mT8_S1C_bDpT10_ENKUlT_T0_E_clISt17integral_constantIbLb1EES1O_IbLb0EEEEDaS1K_S1L_EUlS1K_E_NS1_11comp_targetILNS1_3genE10ELNS1_11target_archE1200ELNS1_3gpuE4ELNS1_3repE0EEENS1_30default_config_static_selectorELNS0_4arch9wavefront6targetE1EEEvSY_, .Lfunc_end1105-_ZN7rocprim17ROCPRIM_400000_NS6detail17trampoline_kernelINS0_13select_configILj256ELj13ELNS0_17block_load_methodE3ELS4_3ELS4_3ELNS0_20block_scan_algorithmE0ELj4294967295EEENS1_25partition_config_selectorILNS1_17partition_subalgoE3EjNS0_10empty_typeEbEEZZNS1_14partition_implILS8_3ELb0ES6_jNS0_17counting_iteratorIjlEEPS9_SE_NS0_5tupleIJPjSE_EEENSF_IJSE_SE_EEES9_SG_JZNS1_25segmented_radix_sort_implINS0_14default_configELb1EPKdPdPKlPlN2at6native12_GLOBAL__N_18offset_tEEE10hipError_tPvRmT1_PNSt15iterator_traitsISY_E10value_typeET2_T3_PNSZ_IS14_E10value_typeET4_jRbjT5_S1A_jjP12ihipStream_tbEUljE_EEESV_SW_SX_S14_S18_S1A_T6_T7_T9_mT8_S1C_bDpT10_ENKUlT_T0_E_clISt17integral_constantIbLb1EES1O_IbLb0EEEEDaS1K_S1L_EUlS1K_E_NS1_11comp_targetILNS1_3genE10ELNS1_11target_archE1200ELNS1_3gpuE4ELNS1_3repE0EEENS1_30default_config_static_selectorELNS0_4arch9wavefront6targetE1EEEvSY_
                                        ; -- End function
	.section	.AMDGPU.csdata,"",@progbits
; Kernel info:
; codeLenInByte = 0
; NumSgprs: 4
; NumVgprs: 0
; NumAgprs: 0
; TotalNumVgprs: 0
; ScratchSize: 0
; MemoryBound: 0
; FloatMode: 240
; IeeeMode: 1
; LDSByteSize: 0 bytes/workgroup (compile time only)
; SGPRBlocks: 0
; VGPRBlocks: 0
; NumSGPRsForWavesPerEU: 4
; NumVGPRsForWavesPerEU: 1
; AccumOffset: 4
; Occupancy: 8
; WaveLimiterHint : 0
; COMPUTE_PGM_RSRC2:SCRATCH_EN: 0
; COMPUTE_PGM_RSRC2:USER_SGPR: 6
; COMPUTE_PGM_RSRC2:TRAP_HANDLER: 0
; COMPUTE_PGM_RSRC2:TGID_X_EN: 1
; COMPUTE_PGM_RSRC2:TGID_Y_EN: 0
; COMPUTE_PGM_RSRC2:TGID_Z_EN: 0
; COMPUTE_PGM_RSRC2:TIDIG_COMP_CNT: 0
; COMPUTE_PGM_RSRC3_GFX90A:ACCUM_OFFSET: 0
; COMPUTE_PGM_RSRC3_GFX90A:TG_SPLIT: 0
	.section	.text._ZN7rocprim17ROCPRIM_400000_NS6detail17trampoline_kernelINS0_13select_configILj256ELj13ELNS0_17block_load_methodE3ELS4_3ELS4_3ELNS0_20block_scan_algorithmE0ELj4294967295EEENS1_25partition_config_selectorILNS1_17partition_subalgoE3EjNS0_10empty_typeEbEEZZNS1_14partition_implILS8_3ELb0ES6_jNS0_17counting_iteratorIjlEEPS9_SE_NS0_5tupleIJPjSE_EEENSF_IJSE_SE_EEES9_SG_JZNS1_25segmented_radix_sort_implINS0_14default_configELb1EPKdPdPKlPlN2at6native12_GLOBAL__N_18offset_tEEE10hipError_tPvRmT1_PNSt15iterator_traitsISY_E10value_typeET2_T3_PNSZ_IS14_E10value_typeET4_jRbjT5_S1A_jjP12ihipStream_tbEUljE_EEESV_SW_SX_S14_S18_S1A_T6_T7_T9_mT8_S1C_bDpT10_ENKUlT_T0_E_clISt17integral_constantIbLb1EES1O_IbLb0EEEEDaS1K_S1L_EUlS1K_E_NS1_11comp_targetILNS1_3genE9ELNS1_11target_archE1100ELNS1_3gpuE3ELNS1_3repE0EEENS1_30default_config_static_selectorELNS0_4arch9wavefront6targetE1EEEvSY_,"axG",@progbits,_ZN7rocprim17ROCPRIM_400000_NS6detail17trampoline_kernelINS0_13select_configILj256ELj13ELNS0_17block_load_methodE3ELS4_3ELS4_3ELNS0_20block_scan_algorithmE0ELj4294967295EEENS1_25partition_config_selectorILNS1_17partition_subalgoE3EjNS0_10empty_typeEbEEZZNS1_14partition_implILS8_3ELb0ES6_jNS0_17counting_iteratorIjlEEPS9_SE_NS0_5tupleIJPjSE_EEENSF_IJSE_SE_EEES9_SG_JZNS1_25segmented_radix_sort_implINS0_14default_configELb1EPKdPdPKlPlN2at6native12_GLOBAL__N_18offset_tEEE10hipError_tPvRmT1_PNSt15iterator_traitsISY_E10value_typeET2_T3_PNSZ_IS14_E10value_typeET4_jRbjT5_S1A_jjP12ihipStream_tbEUljE_EEESV_SW_SX_S14_S18_S1A_T6_T7_T9_mT8_S1C_bDpT10_ENKUlT_T0_E_clISt17integral_constantIbLb1EES1O_IbLb0EEEEDaS1K_S1L_EUlS1K_E_NS1_11comp_targetILNS1_3genE9ELNS1_11target_archE1100ELNS1_3gpuE3ELNS1_3repE0EEENS1_30default_config_static_selectorELNS0_4arch9wavefront6targetE1EEEvSY_,comdat
	.globl	_ZN7rocprim17ROCPRIM_400000_NS6detail17trampoline_kernelINS0_13select_configILj256ELj13ELNS0_17block_load_methodE3ELS4_3ELS4_3ELNS0_20block_scan_algorithmE0ELj4294967295EEENS1_25partition_config_selectorILNS1_17partition_subalgoE3EjNS0_10empty_typeEbEEZZNS1_14partition_implILS8_3ELb0ES6_jNS0_17counting_iteratorIjlEEPS9_SE_NS0_5tupleIJPjSE_EEENSF_IJSE_SE_EEES9_SG_JZNS1_25segmented_radix_sort_implINS0_14default_configELb1EPKdPdPKlPlN2at6native12_GLOBAL__N_18offset_tEEE10hipError_tPvRmT1_PNSt15iterator_traitsISY_E10value_typeET2_T3_PNSZ_IS14_E10value_typeET4_jRbjT5_S1A_jjP12ihipStream_tbEUljE_EEESV_SW_SX_S14_S18_S1A_T6_T7_T9_mT8_S1C_bDpT10_ENKUlT_T0_E_clISt17integral_constantIbLb1EES1O_IbLb0EEEEDaS1K_S1L_EUlS1K_E_NS1_11comp_targetILNS1_3genE9ELNS1_11target_archE1100ELNS1_3gpuE3ELNS1_3repE0EEENS1_30default_config_static_selectorELNS0_4arch9wavefront6targetE1EEEvSY_ ; -- Begin function _ZN7rocprim17ROCPRIM_400000_NS6detail17trampoline_kernelINS0_13select_configILj256ELj13ELNS0_17block_load_methodE3ELS4_3ELS4_3ELNS0_20block_scan_algorithmE0ELj4294967295EEENS1_25partition_config_selectorILNS1_17partition_subalgoE3EjNS0_10empty_typeEbEEZZNS1_14partition_implILS8_3ELb0ES6_jNS0_17counting_iteratorIjlEEPS9_SE_NS0_5tupleIJPjSE_EEENSF_IJSE_SE_EEES9_SG_JZNS1_25segmented_radix_sort_implINS0_14default_configELb1EPKdPdPKlPlN2at6native12_GLOBAL__N_18offset_tEEE10hipError_tPvRmT1_PNSt15iterator_traitsISY_E10value_typeET2_T3_PNSZ_IS14_E10value_typeET4_jRbjT5_S1A_jjP12ihipStream_tbEUljE_EEESV_SW_SX_S14_S18_S1A_T6_T7_T9_mT8_S1C_bDpT10_ENKUlT_T0_E_clISt17integral_constantIbLb1EES1O_IbLb0EEEEDaS1K_S1L_EUlS1K_E_NS1_11comp_targetILNS1_3genE9ELNS1_11target_archE1100ELNS1_3gpuE3ELNS1_3repE0EEENS1_30default_config_static_selectorELNS0_4arch9wavefront6targetE1EEEvSY_
	.p2align	8
	.type	_ZN7rocprim17ROCPRIM_400000_NS6detail17trampoline_kernelINS0_13select_configILj256ELj13ELNS0_17block_load_methodE3ELS4_3ELS4_3ELNS0_20block_scan_algorithmE0ELj4294967295EEENS1_25partition_config_selectorILNS1_17partition_subalgoE3EjNS0_10empty_typeEbEEZZNS1_14partition_implILS8_3ELb0ES6_jNS0_17counting_iteratorIjlEEPS9_SE_NS0_5tupleIJPjSE_EEENSF_IJSE_SE_EEES9_SG_JZNS1_25segmented_radix_sort_implINS0_14default_configELb1EPKdPdPKlPlN2at6native12_GLOBAL__N_18offset_tEEE10hipError_tPvRmT1_PNSt15iterator_traitsISY_E10value_typeET2_T3_PNSZ_IS14_E10value_typeET4_jRbjT5_S1A_jjP12ihipStream_tbEUljE_EEESV_SW_SX_S14_S18_S1A_T6_T7_T9_mT8_S1C_bDpT10_ENKUlT_T0_E_clISt17integral_constantIbLb1EES1O_IbLb0EEEEDaS1K_S1L_EUlS1K_E_NS1_11comp_targetILNS1_3genE9ELNS1_11target_archE1100ELNS1_3gpuE3ELNS1_3repE0EEENS1_30default_config_static_selectorELNS0_4arch9wavefront6targetE1EEEvSY_,@function
_ZN7rocprim17ROCPRIM_400000_NS6detail17trampoline_kernelINS0_13select_configILj256ELj13ELNS0_17block_load_methodE3ELS4_3ELS4_3ELNS0_20block_scan_algorithmE0ELj4294967295EEENS1_25partition_config_selectorILNS1_17partition_subalgoE3EjNS0_10empty_typeEbEEZZNS1_14partition_implILS8_3ELb0ES6_jNS0_17counting_iteratorIjlEEPS9_SE_NS0_5tupleIJPjSE_EEENSF_IJSE_SE_EEES9_SG_JZNS1_25segmented_radix_sort_implINS0_14default_configELb1EPKdPdPKlPlN2at6native12_GLOBAL__N_18offset_tEEE10hipError_tPvRmT1_PNSt15iterator_traitsISY_E10value_typeET2_T3_PNSZ_IS14_E10value_typeET4_jRbjT5_S1A_jjP12ihipStream_tbEUljE_EEESV_SW_SX_S14_S18_S1A_T6_T7_T9_mT8_S1C_bDpT10_ENKUlT_T0_E_clISt17integral_constantIbLb1EES1O_IbLb0EEEEDaS1K_S1L_EUlS1K_E_NS1_11comp_targetILNS1_3genE9ELNS1_11target_archE1100ELNS1_3gpuE3ELNS1_3repE0EEENS1_30default_config_static_selectorELNS0_4arch9wavefront6targetE1EEEvSY_: ; @_ZN7rocprim17ROCPRIM_400000_NS6detail17trampoline_kernelINS0_13select_configILj256ELj13ELNS0_17block_load_methodE3ELS4_3ELS4_3ELNS0_20block_scan_algorithmE0ELj4294967295EEENS1_25partition_config_selectorILNS1_17partition_subalgoE3EjNS0_10empty_typeEbEEZZNS1_14partition_implILS8_3ELb0ES6_jNS0_17counting_iteratorIjlEEPS9_SE_NS0_5tupleIJPjSE_EEENSF_IJSE_SE_EEES9_SG_JZNS1_25segmented_radix_sort_implINS0_14default_configELb1EPKdPdPKlPlN2at6native12_GLOBAL__N_18offset_tEEE10hipError_tPvRmT1_PNSt15iterator_traitsISY_E10value_typeET2_T3_PNSZ_IS14_E10value_typeET4_jRbjT5_S1A_jjP12ihipStream_tbEUljE_EEESV_SW_SX_S14_S18_S1A_T6_T7_T9_mT8_S1C_bDpT10_ENKUlT_T0_E_clISt17integral_constantIbLb1EES1O_IbLb0EEEEDaS1K_S1L_EUlS1K_E_NS1_11comp_targetILNS1_3genE9ELNS1_11target_archE1100ELNS1_3gpuE3ELNS1_3repE0EEENS1_30default_config_static_selectorELNS0_4arch9wavefront6targetE1EEEvSY_
; %bb.0:
	.section	.rodata,"a",@progbits
	.p2align	6, 0x0
	.amdhsa_kernel _ZN7rocprim17ROCPRIM_400000_NS6detail17trampoline_kernelINS0_13select_configILj256ELj13ELNS0_17block_load_methodE3ELS4_3ELS4_3ELNS0_20block_scan_algorithmE0ELj4294967295EEENS1_25partition_config_selectorILNS1_17partition_subalgoE3EjNS0_10empty_typeEbEEZZNS1_14partition_implILS8_3ELb0ES6_jNS0_17counting_iteratorIjlEEPS9_SE_NS0_5tupleIJPjSE_EEENSF_IJSE_SE_EEES9_SG_JZNS1_25segmented_radix_sort_implINS0_14default_configELb1EPKdPdPKlPlN2at6native12_GLOBAL__N_18offset_tEEE10hipError_tPvRmT1_PNSt15iterator_traitsISY_E10value_typeET2_T3_PNSZ_IS14_E10value_typeET4_jRbjT5_S1A_jjP12ihipStream_tbEUljE_EEESV_SW_SX_S14_S18_S1A_T6_T7_T9_mT8_S1C_bDpT10_ENKUlT_T0_E_clISt17integral_constantIbLb1EES1O_IbLb0EEEEDaS1K_S1L_EUlS1K_E_NS1_11comp_targetILNS1_3genE9ELNS1_11target_archE1100ELNS1_3gpuE3ELNS1_3repE0EEENS1_30default_config_static_selectorELNS0_4arch9wavefront6targetE1EEEvSY_
		.amdhsa_group_segment_fixed_size 0
		.amdhsa_private_segment_fixed_size 0
		.amdhsa_kernarg_size 144
		.amdhsa_user_sgpr_count 6
		.amdhsa_user_sgpr_private_segment_buffer 1
		.amdhsa_user_sgpr_dispatch_ptr 0
		.amdhsa_user_sgpr_queue_ptr 0
		.amdhsa_user_sgpr_kernarg_segment_ptr 1
		.amdhsa_user_sgpr_dispatch_id 0
		.amdhsa_user_sgpr_flat_scratch_init 0
		.amdhsa_user_sgpr_kernarg_preload_length 0
		.amdhsa_user_sgpr_kernarg_preload_offset 0
		.amdhsa_user_sgpr_private_segment_size 0
		.amdhsa_uses_dynamic_stack 0
		.amdhsa_system_sgpr_private_segment_wavefront_offset 0
		.amdhsa_system_sgpr_workgroup_id_x 1
		.amdhsa_system_sgpr_workgroup_id_y 0
		.amdhsa_system_sgpr_workgroup_id_z 0
		.amdhsa_system_sgpr_workgroup_info 0
		.amdhsa_system_vgpr_workitem_id 0
		.amdhsa_next_free_vgpr 1
		.amdhsa_next_free_sgpr 0
		.amdhsa_accum_offset 4
		.amdhsa_reserve_vcc 0
		.amdhsa_reserve_flat_scratch 0
		.amdhsa_float_round_mode_32 0
		.amdhsa_float_round_mode_16_64 0
		.amdhsa_float_denorm_mode_32 3
		.amdhsa_float_denorm_mode_16_64 3
		.amdhsa_dx10_clamp 1
		.amdhsa_ieee_mode 1
		.amdhsa_fp16_overflow 0
		.amdhsa_tg_split 0
		.amdhsa_exception_fp_ieee_invalid_op 0
		.amdhsa_exception_fp_denorm_src 0
		.amdhsa_exception_fp_ieee_div_zero 0
		.amdhsa_exception_fp_ieee_overflow 0
		.amdhsa_exception_fp_ieee_underflow 0
		.amdhsa_exception_fp_ieee_inexact 0
		.amdhsa_exception_int_div_zero 0
	.end_amdhsa_kernel
	.section	.text._ZN7rocprim17ROCPRIM_400000_NS6detail17trampoline_kernelINS0_13select_configILj256ELj13ELNS0_17block_load_methodE3ELS4_3ELS4_3ELNS0_20block_scan_algorithmE0ELj4294967295EEENS1_25partition_config_selectorILNS1_17partition_subalgoE3EjNS0_10empty_typeEbEEZZNS1_14partition_implILS8_3ELb0ES6_jNS0_17counting_iteratorIjlEEPS9_SE_NS0_5tupleIJPjSE_EEENSF_IJSE_SE_EEES9_SG_JZNS1_25segmented_radix_sort_implINS0_14default_configELb1EPKdPdPKlPlN2at6native12_GLOBAL__N_18offset_tEEE10hipError_tPvRmT1_PNSt15iterator_traitsISY_E10value_typeET2_T3_PNSZ_IS14_E10value_typeET4_jRbjT5_S1A_jjP12ihipStream_tbEUljE_EEESV_SW_SX_S14_S18_S1A_T6_T7_T9_mT8_S1C_bDpT10_ENKUlT_T0_E_clISt17integral_constantIbLb1EES1O_IbLb0EEEEDaS1K_S1L_EUlS1K_E_NS1_11comp_targetILNS1_3genE9ELNS1_11target_archE1100ELNS1_3gpuE3ELNS1_3repE0EEENS1_30default_config_static_selectorELNS0_4arch9wavefront6targetE1EEEvSY_,"axG",@progbits,_ZN7rocprim17ROCPRIM_400000_NS6detail17trampoline_kernelINS0_13select_configILj256ELj13ELNS0_17block_load_methodE3ELS4_3ELS4_3ELNS0_20block_scan_algorithmE0ELj4294967295EEENS1_25partition_config_selectorILNS1_17partition_subalgoE3EjNS0_10empty_typeEbEEZZNS1_14partition_implILS8_3ELb0ES6_jNS0_17counting_iteratorIjlEEPS9_SE_NS0_5tupleIJPjSE_EEENSF_IJSE_SE_EEES9_SG_JZNS1_25segmented_radix_sort_implINS0_14default_configELb1EPKdPdPKlPlN2at6native12_GLOBAL__N_18offset_tEEE10hipError_tPvRmT1_PNSt15iterator_traitsISY_E10value_typeET2_T3_PNSZ_IS14_E10value_typeET4_jRbjT5_S1A_jjP12ihipStream_tbEUljE_EEESV_SW_SX_S14_S18_S1A_T6_T7_T9_mT8_S1C_bDpT10_ENKUlT_T0_E_clISt17integral_constantIbLb1EES1O_IbLb0EEEEDaS1K_S1L_EUlS1K_E_NS1_11comp_targetILNS1_3genE9ELNS1_11target_archE1100ELNS1_3gpuE3ELNS1_3repE0EEENS1_30default_config_static_selectorELNS0_4arch9wavefront6targetE1EEEvSY_,comdat
.Lfunc_end1106:
	.size	_ZN7rocprim17ROCPRIM_400000_NS6detail17trampoline_kernelINS0_13select_configILj256ELj13ELNS0_17block_load_methodE3ELS4_3ELS4_3ELNS0_20block_scan_algorithmE0ELj4294967295EEENS1_25partition_config_selectorILNS1_17partition_subalgoE3EjNS0_10empty_typeEbEEZZNS1_14partition_implILS8_3ELb0ES6_jNS0_17counting_iteratorIjlEEPS9_SE_NS0_5tupleIJPjSE_EEENSF_IJSE_SE_EEES9_SG_JZNS1_25segmented_radix_sort_implINS0_14default_configELb1EPKdPdPKlPlN2at6native12_GLOBAL__N_18offset_tEEE10hipError_tPvRmT1_PNSt15iterator_traitsISY_E10value_typeET2_T3_PNSZ_IS14_E10value_typeET4_jRbjT5_S1A_jjP12ihipStream_tbEUljE_EEESV_SW_SX_S14_S18_S1A_T6_T7_T9_mT8_S1C_bDpT10_ENKUlT_T0_E_clISt17integral_constantIbLb1EES1O_IbLb0EEEEDaS1K_S1L_EUlS1K_E_NS1_11comp_targetILNS1_3genE9ELNS1_11target_archE1100ELNS1_3gpuE3ELNS1_3repE0EEENS1_30default_config_static_selectorELNS0_4arch9wavefront6targetE1EEEvSY_, .Lfunc_end1106-_ZN7rocprim17ROCPRIM_400000_NS6detail17trampoline_kernelINS0_13select_configILj256ELj13ELNS0_17block_load_methodE3ELS4_3ELS4_3ELNS0_20block_scan_algorithmE0ELj4294967295EEENS1_25partition_config_selectorILNS1_17partition_subalgoE3EjNS0_10empty_typeEbEEZZNS1_14partition_implILS8_3ELb0ES6_jNS0_17counting_iteratorIjlEEPS9_SE_NS0_5tupleIJPjSE_EEENSF_IJSE_SE_EEES9_SG_JZNS1_25segmented_radix_sort_implINS0_14default_configELb1EPKdPdPKlPlN2at6native12_GLOBAL__N_18offset_tEEE10hipError_tPvRmT1_PNSt15iterator_traitsISY_E10value_typeET2_T3_PNSZ_IS14_E10value_typeET4_jRbjT5_S1A_jjP12ihipStream_tbEUljE_EEESV_SW_SX_S14_S18_S1A_T6_T7_T9_mT8_S1C_bDpT10_ENKUlT_T0_E_clISt17integral_constantIbLb1EES1O_IbLb0EEEEDaS1K_S1L_EUlS1K_E_NS1_11comp_targetILNS1_3genE9ELNS1_11target_archE1100ELNS1_3gpuE3ELNS1_3repE0EEENS1_30default_config_static_selectorELNS0_4arch9wavefront6targetE1EEEvSY_
                                        ; -- End function
	.section	.AMDGPU.csdata,"",@progbits
; Kernel info:
; codeLenInByte = 0
; NumSgprs: 4
; NumVgprs: 0
; NumAgprs: 0
; TotalNumVgprs: 0
; ScratchSize: 0
; MemoryBound: 0
; FloatMode: 240
; IeeeMode: 1
; LDSByteSize: 0 bytes/workgroup (compile time only)
; SGPRBlocks: 0
; VGPRBlocks: 0
; NumSGPRsForWavesPerEU: 4
; NumVGPRsForWavesPerEU: 1
; AccumOffset: 4
; Occupancy: 8
; WaveLimiterHint : 0
; COMPUTE_PGM_RSRC2:SCRATCH_EN: 0
; COMPUTE_PGM_RSRC2:USER_SGPR: 6
; COMPUTE_PGM_RSRC2:TRAP_HANDLER: 0
; COMPUTE_PGM_RSRC2:TGID_X_EN: 1
; COMPUTE_PGM_RSRC2:TGID_Y_EN: 0
; COMPUTE_PGM_RSRC2:TGID_Z_EN: 0
; COMPUTE_PGM_RSRC2:TIDIG_COMP_CNT: 0
; COMPUTE_PGM_RSRC3_GFX90A:ACCUM_OFFSET: 0
; COMPUTE_PGM_RSRC3_GFX90A:TG_SPLIT: 0
	.section	.text._ZN7rocprim17ROCPRIM_400000_NS6detail17trampoline_kernelINS0_13select_configILj256ELj13ELNS0_17block_load_methodE3ELS4_3ELS4_3ELNS0_20block_scan_algorithmE0ELj4294967295EEENS1_25partition_config_selectorILNS1_17partition_subalgoE3EjNS0_10empty_typeEbEEZZNS1_14partition_implILS8_3ELb0ES6_jNS0_17counting_iteratorIjlEEPS9_SE_NS0_5tupleIJPjSE_EEENSF_IJSE_SE_EEES9_SG_JZNS1_25segmented_radix_sort_implINS0_14default_configELb1EPKdPdPKlPlN2at6native12_GLOBAL__N_18offset_tEEE10hipError_tPvRmT1_PNSt15iterator_traitsISY_E10value_typeET2_T3_PNSZ_IS14_E10value_typeET4_jRbjT5_S1A_jjP12ihipStream_tbEUljE_EEESV_SW_SX_S14_S18_S1A_T6_T7_T9_mT8_S1C_bDpT10_ENKUlT_T0_E_clISt17integral_constantIbLb1EES1O_IbLb0EEEEDaS1K_S1L_EUlS1K_E_NS1_11comp_targetILNS1_3genE8ELNS1_11target_archE1030ELNS1_3gpuE2ELNS1_3repE0EEENS1_30default_config_static_selectorELNS0_4arch9wavefront6targetE1EEEvSY_,"axG",@progbits,_ZN7rocprim17ROCPRIM_400000_NS6detail17trampoline_kernelINS0_13select_configILj256ELj13ELNS0_17block_load_methodE3ELS4_3ELS4_3ELNS0_20block_scan_algorithmE0ELj4294967295EEENS1_25partition_config_selectorILNS1_17partition_subalgoE3EjNS0_10empty_typeEbEEZZNS1_14partition_implILS8_3ELb0ES6_jNS0_17counting_iteratorIjlEEPS9_SE_NS0_5tupleIJPjSE_EEENSF_IJSE_SE_EEES9_SG_JZNS1_25segmented_radix_sort_implINS0_14default_configELb1EPKdPdPKlPlN2at6native12_GLOBAL__N_18offset_tEEE10hipError_tPvRmT1_PNSt15iterator_traitsISY_E10value_typeET2_T3_PNSZ_IS14_E10value_typeET4_jRbjT5_S1A_jjP12ihipStream_tbEUljE_EEESV_SW_SX_S14_S18_S1A_T6_T7_T9_mT8_S1C_bDpT10_ENKUlT_T0_E_clISt17integral_constantIbLb1EES1O_IbLb0EEEEDaS1K_S1L_EUlS1K_E_NS1_11comp_targetILNS1_3genE8ELNS1_11target_archE1030ELNS1_3gpuE2ELNS1_3repE0EEENS1_30default_config_static_selectorELNS0_4arch9wavefront6targetE1EEEvSY_,comdat
	.globl	_ZN7rocprim17ROCPRIM_400000_NS6detail17trampoline_kernelINS0_13select_configILj256ELj13ELNS0_17block_load_methodE3ELS4_3ELS4_3ELNS0_20block_scan_algorithmE0ELj4294967295EEENS1_25partition_config_selectorILNS1_17partition_subalgoE3EjNS0_10empty_typeEbEEZZNS1_14partition_implILS8_3ELb0ES6_jNS0_17counting_iteratorIjlEEPS9_SE_NS0_5tupleIJPjSE_EEENSF_IJSE_SE_EEES9_SG_JZNS1_25segmented_radix_sort_implINS0_14default_configELb1EPKdPdPKlPlN2at6native12_GLOBAL__N_18offset_tEEE10hipError_tPvRmT1_PNSt15iterator_traitsISY_E10value_typeET2_T3_PNSZ_IS14_E10value_typeET4_jRbjT5_S1A_jjP12ihipStream_tbEUljE_EEESV_SW_SX_S14_S18_S1A_T6_T7_T9_mT8_S1C_bDpT10_ENKUlT_T0_E_clISt17integral_constantIbLb1EES1O_IbLb0EEEEDaS1K_S1L_EUlS1K_E_NS1_11comp_targetILNS1_3genE8ELNS1_11target_archE1030ELNS1_3gpuE2ELNS1_3repE0EEENS1_30default_config_static_selectorELNS0_4arch9wavefront6targetE1EEEvSY_ ; -- Begin function _ZN7rocprim17ROCPRIM_400000_NS6detail17trampoline_kernelINS0_13select_configILj256ELj13ELNS0_17block_load_methodE3ELS4_3ELS4_3ELNS0_20block_scan_algorithmE0ELj4294967295EEENS1_25partition_config_selectorILNS1_17partition_subalgoE3EjNS0_10empty_typeEbEEZZNS1_14partition_implILS8_3ELb0ES6_jNS0_17counting_iteratorIjlEEPS9_SE_NS0_5tupleIJPjSE_EEENSF_IJSE_SE_EEES9_SG_JZNS1_25segmented_radix_sort_implINS0_14default_configELb1EPKdPdPKlPlN2at6native12_GLOBAL__N_18offset_tEEE10hipError_tPvRmT1_PNSt15iterator_traitsISY_E10value_typeET2_T3_PNSZ_IS14_E10value_typeET4_jRbjT5_S1A_jjP12ihipStream_tbEUljE_EEESV_SW_SX_S14_S18_S1A_T6_T7_T9_mT8_S1C_bDpT10_ENKUlT_T0_E_clISt17integral_constantIbLb1EES1O_IbLb0EEEEDaS1K_S1L_EUlS1K_E_NS1_11comp_targetILNS1_3genE8ELNS1_11target_archE1030ELNS1_3gpuE2ELNS1_3repE0EEENS1_30default_config_static_selectorELNS0_4arch9wavefront6targetE1EEEvSY_
	.p2align	8
	.type	_ZN7rocprim17ROCPRIM_400000_NS6detail17trampoline_kernelINS0_13select_configILj256ELj13ELNS0_17block_load_methodE3ELS4_3ELS4_3ELNS0_20block_scan_algorithmE0ELj4294967295EEENS1_25partition_config_selectorILNS1_17partition_subalgoE3EjNS0_10empty_typeEbEEZZNS1_14partition_implILS8_3ELb0ES6_jNS0_17counting_iteratorIjlEEPS9_SE_NS0_5tupleIJPjSE_EEENSF_IJSE_SE_EEES9_SG_JZNS1_25segmented_radix_sort_implINS0_14default_configELb1EPKdPdPKlPlN2at6native12_GLOBAL__N_18offset_tEEE10hipError_tPvRmT1_PNSt15iterator_traitsISY_E10value_typeET2_T3_PNSZ_IS14_E10value_typeET4_jRbjT5_S1A_jjP12ihipStream_tbEUljE_EEESV_SW_SX_S14_S18_S1A_T6_T7_T9_mT8_S1C_bDpT10_ENKUlT_T0_E_clISt17integral_constantIbLb1EES1O_IbLb0EEEEDaS1K_S1L_EUlS1K_E_NS1_11comp_targetILNS1_3genE8ELNS1_11target_archE1030ELNS1_3gpuE2ELNS1_3repE0EEENS1_30default_config_static_selectorELNS0_4arch9wavefront6targetE1EEEvSY_,@function
_ZN7rocprim17ROCPRIM_400000_NS6detail17trampoline_kernelINS0_13select_configILj256ELj13ELNS0_17block_load_methodE3ELS4_3ELS4_3ELNS0_20block_scan_algorithmE0ELj4294967295EEENS1_25partition_config_selectorILNS1_17partition_subalgoE3EjNS0_10empty_typeEbEEZZNS1_14partition_implILS8_3ELb0ES6_jNS0_17counting_iteratorIjlEEPS9_SE_NS0_5tupleIJPjSE_EEENSF_IJSE_SE_EEES9_SG_JZNS1_25segmented_radix_sort_implINS0_14default_configELb1EPKdPdPKlPlN2at6native12_GLOBAL__N_18offset_tEEE10hipError_tPvRmT1_PNSt15iterator_traitsISY_E10value_typeET2_T3_PNSZ_IS14_E10value_typeET4_jRbjT5_S1A_jjP12ihipStream_tbEUljE_EEESV_SW_SX_S14_S18_S1A_T6_T7_T9_mT8_S1C_bDpT10_ENKUlT_T0_E_clISt17integral_constantIbLb1EES1O_IbLb0EEEEDaS1K_S1L_EUlS1K_E_NS1_11comp_targetILNS1_3genE8ELNS1_11target_archE1030ELNS1_3gpuE2ELNS1_3repE0EEENS1_30default_config_static_selectorELNS0_4arch9wavefront6targetE1EEEvSY_: ; @_ZN7rocprim17ROCPRIM_400000_NS6detail17trampoline_kernelINS0_13select_configILj256ELj13ELNS0_17block_load_methodE3ELS4_3ELS4_3ELNS0_20block_scan_algorithmE0ELj4294967295EEENS1_25partition_config_selectorILNS1_17partition_subalgoE3EjNS0_10empty_typeEbEEZZNS1_14partition_implILS8_3ELb0ES6_jNS0_17counting_iteratorIjlEEPS9_SE_NS0_5tupleIJPjSE_EEENSF_IJSE_SE_EEES9_SG_JZNS1_25segmented_radix_sort_implINS0_14default_configELb1EPKdPdPKlPlN2at6native12_GLOBAL__N_18offset_tEEE10hipError_tPvRmT1_PNSt15iterator_traitsISY_E10value_typeET2_T3_PNSZ_IS14_E10value_typeET4_jRbjT5_S1A_jjP12ihipStream_tbEUljE_EEESV_SW_SX_S14_S18_S1A_T6_T7_T9_mT8_S1C_bDpT10_ENKUlT_T0_E_clISt17integral_constantIbLb1EES1O_IbLb0EEEEDaS1K_S1L_EUlS1K_E_NS1_11comp_targetILNS1_3genE8ELNS1_11target_archE1030ELNS1_3gpuE2ELNS1_3repE0EEENS1_30default_config_static_selectorELNS0_4arch9wavefront6targetE1EEEvSY_
; %bb.0:
	.section	.rodata,"a",@progbits
	.p2align	6, 0x0
	.amdhsa_kernel _ZN7rocprim17ROCPRIM_400000_NS6detail17trampoline_kernelINS0_13select_configILj256ELj13ELNS0_17block_load_methodE3ELS4_3ELS4_3ELNS0_20block_scan_algorithmE0ELj4294967295EEENS1_25partition_config_selectorILNS1_17partition_subalgoE3EjNS0_10empty_typeEbEEZZNS1_14partition_implILS8_3ELb0ES6_jNS0_17counting_iteratorIjlEEPS9_SE_NS0_5tupleIJPjSE_EEENSF_IJSE_SE_EEES9_SG_JZNS1_25segmented_radix_sort_implINS0_14default_configELb1EPKdPdPKlPlN2at6native12_GLOBAL__N_18offset_tEEE10hipError_tPvRmT1_PNSt15iterator_traitsISY_E10value_typeET2_T3_PNSZ_IS14_E10value_typeET4_jRbjT5_S1A_jjP12ihipStream_tbEUljE_EEESV_SW_SX_S14_S18_S1A_T6_T7_T9_mT8_S1C_bDpT10_ENKUlT_T0_E_clISt17integral_constantIbLb1EES1O_IbLb0EEEEDaS1K_S1L_EUlS1K_E_NS1_11comp_targetILNS1_3genE8ELNS1_11target_archE1030ELNS1_3gpuE2ELNS1_3repE0EEENS1_30default_config_static_selectorELNS0_4arch9wavefront6targetE1EEEvSY_
		.amdhsa_group_segment_fixed_size 0
		.amdhsa_private_segment_fixed_size 0
		.amdhsa_kernarg_size 144
		.amdhsa_user_sgpr_count 6
		.amdhsa_user_sgpr_private_segment_buffer 1
		.amdhsa_user_sgpr_dispatch_ptr 0
		.amdhsa_user_sgpr_queue_ptr 0
		.amdhsa_user_sgpr_kernarg_segment_ptr 1
		.amdhsa_user_sgpr_dispatch_id 0
		.amdhsa_user_sgpr_flat_scratch_init 0
		.amdhsa_user_sgpr_kernarg_preload_length 0
		.amdhsa_user_sgpr_kernarg_preload_offset 0
		.amdhsa_user_sgpr_private_segment_size 0
		.amdhsa_uses_dynamic_stack 0
		.amdhsa_system_sgpr_private_segment_wavefront_offset 0
		.amdhsa_system_sgpr_workgroup_id_x 1
		.amdhsa_system_sgpr_workgroup_id_y 0
		.amdhsa_system_sgpr_workgroup_id_z 0
		.amdhsa_system_sgpr_workgroup_info 0
		.amdhsa_system_vgpr_workitem_id 0
		.amdhsa_next_free_vgpr 1
		.amdhsa_next_free_sgpr 0
		.amdhsa_accum_offset 4
		.amdhsa_reserve_vcc 0
		.amdhsa_reserve_flat_scratch 0
		.amdhsa_float_round_mode_32 0
		.amdhsa_float_round_mode_16_64 0
		.amdhsa_float_denorm_mode_32 3
		.amdhsa_float_denorm_mode_16_64 3
		.amdhsa_dx10_clamp 1
		.amdhsa_ieee_mode 1
		.amdhsa_fp16_overflow 0
		.amdhsa_tg_split 0
		.amdhsa_exception_fp_ieee_invalid_op 0
		.amdhsa_exception_fp_denorm_src 0
		.amdhsa_exception_fp_ieee_div_zero 0
		.amdhsa_exception_fp_ieee_overflow 0
		.amdhsa_exception_fp_ieee_underflow 0
		.amdhsa_exception_fp_ieee_inexact 0
		.amdhsa_exception_int_div_zero 0
	.end_amdhsa_kernel
	.section	.text._ZN7rocprim17ROCPRIM_400000_NS6detail17trampoline_kernelINS0_13select_configILj256ELj13ELNS0_17block_load_methodE3ELS4_3ELS4_3ELNS0_20block_scan_algorithmE0ELj4294967295EEENS1_25partition_config_selectorILNS1_17partition_subalgoE3EjNS0_10empty_typeEbEEZZNS1_14partition_implILS8_3ELb0ES6_jNS0_17counting_iteratorIjlEEPS9_SE_NS0_5tupleIJPjSE_EEENSF_IJSE_SE_EEES9_SG_JZNS1_25segmented_radix_sort_implINS0_14default_configELb1EPKdPdPKlPlN2at6native12_GLOBAL__N_18offset_tEEE10hipError_tPvRmT1_PNSt15iterator_traitsISY_E10value_typeET2_T3_PNSZ_IS14_E10value_typeET4_jRbjT5_S1A_jjP12ihipStream_tbEUljE_EEESV_SW_SX_S14_S18_S1A_T6_T7_T9_mT8_S1C_bDpT10_ENKUlT_T0_E_clISt17integral_constantIbLb1EES1O_IbLb0EEEEDaS1K_S1L_EUlS1K_E_NS1_11comp_targetILNS1_3genE8ELNS1_11target_archE1030ELNS1_3gpuE2ELNS1_3repE0EEENS1_30default_config_static_selectorELNS0_4arch9wavefront6targetE1EEEvSY_,"axG",@progbits,_ZN7rocprim17ROCPRIM_400000_NS6detail17trampoline_kernelINS0_13select_configILj256ELj13ELNS0_17block_load_methodE3ELS4_3ELS4_3ELNS0_20block_scan_algorithmE0ELj4294967295EEENS1_25partition_config_selectorILNS1_17partition_subalgoE3EjNS0_10empty_typeEbEEZZNS1_14partition_implILS8_3ELb0ES6_jNS0_17counting_iteratorIjlEEPS9_SE_NS0_5tupleIJPjSE_EEENSF_IJSE_SE_EEES9_SG_JZNS1_25segmented_radix_sort_implINS0_14default_configELb1EPKdPdPKlPlN2at6native12_GLOBAL__N_18offset_tEEE10hipError_tPvRmT1_PNSt15iterator_traitsISY_E10value_typeET2_T3_PNSZ_IS14_E10value_typeET4_jRbjT5_S1A_jjP12ihipStream_tbEUljE_EEESV_SW_SX_S14_S18_S1A_T6_T7_T9_mT8_S1C_bDpT10_ENKUlT_T0_E_clISt17integral_constantIbLb1EES1O_IbLb0EEEEDaS1K_S1L_EUlS1K_E_NS1_11comp_targetILNS1_3genE8ELNS1_11target_archE1030ELNS1_3gpuE2ELNS1_3repE0EEENS1_30default_config_static_selectorELNS0_4arch9wavefront6targetE1EEEvSY_,comdat
.Lfunc_end1107:
	.size	_ZN7rocprim17ROCPRIM_400000_NS6detail17trampoline_kernelINS0_13select_configILj256ELj13ELNS0_17block_load_methodE3ELS4_3ELS4_3ELNS0_20block_scan_algorithmE0ELj4294967295EEENS1_25partition_config_selectorILNS1_17partition_subalgoE3EjNS0_10empty_typeEbEEZZNS1_14partition_implILS8_3ELb0ES6_jNS0_17counting_iteratorIjlEEPS9_SE_NS0_5tupleIJPjSE_EEENSF_IJSE_SE_EEES9_SG_JZNS1_25segmented_radix_sort_implINS0_14default_configELb1EPKdPdPKlPlN2at6native12_GLOBAL__N_18offset_tEEE10hipError_tPvRmT1_PNSt15iterator_traitsISY_E10value_typeET2_T3_PNSZ_IS14_E10value_typeET4_jRbjT5_S1A_jjP12ihipStream_tbEUljE_EEESV_SW_SX_S14_S18_S1A_T6_T7_T9_mT8_S1C_bDpT10_ENKUlT_T0_E_clISt17integral_constantIbLb1EES1O_IbLb0EEEEDaS1K_S1L_EUlS1K_E_NS1_11comp_targetILNS1_3genE8ELNS1_11target_archE1030ELNS1_3gpuE2ELNS1_3repE0EEENS1_30default_config_static_selectorELNS0_4arch9wavefront6targetE1EEEvSY_, .Lfunc_end1107-_ZN7rocprim17ROCPRIM_400000_NS6detail17trampoline_kernelINS0_13select_configILj256ELj13ELNS0_17block_load_methodE3ELS4_3ELS4_3ELNS0_20block_scan_algorithmE0ELj4294967295EEENS1_25partition_config_selectorILNS1_17partition_subalgoE3EjNS0_10empty_typeEbEEZZNS1_14partition_implILS8_3ELb0ES6_jNS0_17counting_iteratorIjlEEPS9_SE_NS0_5tupleIJPjSE_EEENSF_IJSE_SE_EEES9_SG_JZNS1_25segmented_radix_sort_implINS0_14default_configELb1EPKdPdPKlPlN2at6native12_GLOBAL__N_18offset_tEEE10hipError_tPvRmT1_PNSt15iterator_traitsISY_E10value_typeET2_T3_PNSZ_IS14_E10value_typeET4_jRbjT5_S1A_jjP12ihipStream_tbEUljE_EEESV_SW_SX_S14_S18_S1A_T6_T7_T9_mT8_S1C_bDpT10_ENKUlT_T0_E_clISt17integral_constantIbLb1EES1O_IbLb0EEEEDaS1K_S1L_EUlS1K_E_NS1_11comp_targetILNS1_3genE8ELNS1_11target_archE1030ELNS1_3gpuE2ELNS1_3repE0EEENS1_30default_config_static_selectorELNS0_4arch9wavefront6targetE1EEEvSY_
                                        ; -- End function
	.section	.AMDGPU.csdata,"",@progbits
; Kernel info:
; codeLenInByte = 0
; NumSgprs: 4
; NumVgprs: 0
; NumAgprs: 0
; TotalNumVgprs: 0
; ScratchSize: 0
; MemoryBound: 0
; FloatMode: 240
; IeeeMode: 1
; LDSByteSize: 0 bytes/workgroup (compile time only)
; SGPRBlocks: 0
; VGPRBlocks: 0
; NumSGPRsForWavesPerEU: 4
; NumVGPRsForWavesPerEU: 1
; AccumOffset: 4
; Occupancy: 8
; WaveLimiterHint : 0
; COMPUTE_PGM_RSRC2:SCRATCH_EN: 0
; COMPUTE_PGM_RSRC2:USER_SGPR: 6
; COMPUTE_PGM_RSRC2:TRAP_HANDLER: 0
; COMPUTE_PGM_RSRC2:TGID_X_EN: 1
; COMPUTE_PGM_RSRC2:TGID_Y_EN: 0
; COMPUTE_PGM_RSRC2:TGID_Z_EN: 0
; COMPUTE_PGM_RSRC2:TIDIG_COMP_CNT: 0
; COMPUTE_PGM_RSRC3_GFX90A:ACCUM_OFFSET: 0
; COMPUTE_PGM_RSRC3_GFX90A:TG_SPLIT: 0
	.section	.text._ZN7rocprim17ROCPRIM_400000_NS6detail17trampoline_kernelINS0_13select_configILj256ELj13ELNS0_17block_load_methodE3ELS4_3ELS4_3ELNS0_20block_scan_algorithmE0ELj4294967295EEENS1_25partition_config_selectorILNS1_17partition_subalgoE3EjNS0_10empty_typeEbEEZZNS1_14partition_implILS8_3ELb0ES6_jNS0_17counting_iteratorIjlEEPS9_SE_NS0_5tupleIJPjSE_EEENSF_IJSE_SE_EEES9_SG_JZNS1_25segmented_radix_sort_implINS0_14default_configELb1EPKdPdPKlPlN2at6native12_GLOBAL__N_18offset_tEEE10hipError_tPvRmT1_PNSt15iterator_traitsISY_E10value_typeET2_T3_PNSZ_IS14_E10value_typeET4_jRbjT5_S1A_jjP12ihipStream_tbEUljE_EEESV_SW_SX_S14_S18_S1A_T6_T7_T9_mT8_S1C_bDpT10_ENKUlT_T0_E_clISt17integral_constantIbLb0EES1O_IbLb1EEEEDaS1K_S1L_EUlS1K_E_NS1_11comp_targetILNS1_3genE0ELNS1_11target_archE4294967295ELNS1_3gpuE0ELNS1_3repE0EEENS1_30default_config_static_selectorELNS0_4arch9wavefront6targetE1EEEvSY_,"axG",@progbits,_ZN7rocprim17ROCPRIM_400000_NS6detail17trampoline_kernelINS0_13select_configILj256ELj13ELNS0_17block_load_methodE3ELS4_3ELS4_3ELNS0_20block_scan_algorithmE0ELj4294967295EEENS1_25partition_config_selectorILNS1_17partition_subalgoE3EjNS0_10empty_typeEbEEZZNS1_14partition_implILS8_3ELb0ES6_jNS0_17counting_iteratorIjlEEPS9_SE_NS0_5tupleIJPjSE_EEENSF_IJSE_SE_EEES9_SG_JZNS1_25segmented_radix_sort_implINS0_14default_configELb1EPKdPdPKlPlN2at6native12_GLOBAL__N_18offset_tEEE10hipError_tPvRmT1_PNSt15iterator_traitsISY_E10value_typeET2_T3_PNSZ_IS14_E10value_typeET4_jRbjT5_S1A_jjP12ihipStream_tbEUljE_EEESV_SW_SX_S14_S18_S1A_T6_T7_T9_mT8_S1C_bDpT10_ENKUlT_T0_E_clISt17integral_constantIbLb0EES1O_IbLb1EEEEDaS1K_S1L_EUlS1K_E_NS1_11comp_targetILNS1_3genE0ELNS1_11target_archE4294967295ELNS1_3gpuE0ELNS1_3repE0EEENS1_30default_config_static_selectorELNS0_4arch9wavefront6targetE1EEEvSY_,comdat
	.globl	_ZN7rocprim17ROCPRIM_400000_NS6detail17trampoline_kernelINS0_13select_configILj256ELj13ELNS0_17block_load_methodE3ELS4_3ELS4_3ELNS0_20block_scan_algorithmE0ELj4294967295EEENS1_25partition_config_selectorILNS1_17partition_subalgoE3EjNS0_10empty_typeEbEEZZNS1_14partition_implILS8_3ELb0ES6_jNS0_17counting_iteratorIjlEEPS9_SE_NS0_5tupleIJPjSE_EEENSF_IJSE_SE_EEES9_SG_JZNS1_25segmented_radix_sort_implINS0_14default_configELb1EPKdPdPKlPlN2at6native12_GLOBAL__N_18offset_tEEE10hipError_tPvRmT1_PNSt15iterator_traitsISY_E10value_typeET2_T3_PNSZ_IS14_E10value_typeET4_jRbjT5_S1A_jjP12ihipStream_tbEUljE_EEESV_SW_SX_S14_S18_S1A_T6_T7_T9_mT8_S1C_bDpT10_ENKUlT_T0_E_clISt17integral_constantIbLb0EES1O_IbLb1EEEEDaS1K_S1L_EUlS1K_E_NS1_11comp_targetILNS1_3genE0ELNS1_11target_archE4294967295ELNS1_3gpuE0ELNS1_3repE0EEENS1_30default_config_static_selectorELNS0_4arch9wavefront6targetE1EEEvSY_ ; -- Begin function _ZN7rocprim17ROCPRIM_400000_NS6detail17trampoline_kernelINS0_13select_configILj256ELj13ELNS0_17block_load_methodE3ELS4_3ELS4_3ELNS0_20block_scan_algorithmE0ELj4294967295EEENS1_25partition_config_selectorILNS1_17partition_subalgoE3EjNS0_10empty_typeEbEEZZNS1_14partition_implILS8_3ELb0ES6_jNS0_17counting_iteratorIjlEEPS9_SE_NS0_5tupleIJPjSE_EEENSF_IJSE_SE_EEES9_SG_JZNS1_25segmented_radix_sort_implINS0_14default_configELb1EPKdPdPKlPlN2at6native12_GLOBAL__N_18offset_tEEE10hipError_tPvRmT1_PNSt15iterator_traitsISY_E10value_typeET2_T3_PNSZ_IS14_E10value_typeET4_jRbjT5_S1A_jjP12ihipStream_tbEUljE_EEESV_SW_SX_S14_S18_S1A_T6_T7_T9_mT8_S1C_bDpT10_ENKUlT_T0_E_clISt17integral_constantIbLb0EES1O_IbLb1EEEEDaS1K_S1L_EUlS1K_E_NS1_11comp_targetILNS1_3genE0ELNS1_11target_archE4294967295ELNS1_3gpuE0ELNS1_3repE0EEENS1_30default_config_static_selectorELNS0_4arch9wavefront6targetE1EEEvSY_
	.p2align	8
	.type	_ZN7rocprim17ROCPRIM_400000_NS6detail17trampoline_kernelINS0_13select_configILj256ELj13ELNS0_17block_load_methodE3ELS4_3ELS4_3ELNS0_20block_scan_algorithmE0ELj4294967295EEENS1_25partition_config_selectorILNS1_17partition_subalgoE3EjNS0_10empty_typeEbEEZZNS1_14partition_implILS8_3ELb0ES6_jNS0_17counting_iteratorIjlEEPS9_SE_NS0_5tupleIJPjSE_EEENSF_IJSE_SE_EEES9_SG_JZNS1_25segmented_radix_sort_implINS0_14default_configELb1EPKdPdPKlPlN2at6native12_GLOBAL__N_18offset_tEEE10hipError_tPvRmT1_PNSt15iterator_traitsISY_E10value_typeET2_T3_PNSZ_IS14_E10value_typeET4_jRbjT5_S1A_jjP12ihipStream_tbEUljE_EEESV_SW_SX_S14_S18_S1A_T6_T7_T9_mT8_S1C_bDpT10_ENKUlT_T0_E_clISt17integral_constantIbLb0EES1O_IbLb1EEEEDaS1K_S1L_EUlS1K_E_NS1_11comp_targetILNS1_3genE0ELNS1_11target_archE4294967295ELNS1_3gpuE0ELNS1_3repE0EEENS1_30default_config_static_selectorELNS0_4arch9wavefront6targetE1EEEvSY_,@function
_ZN7rocprim17ROCPRIM_400000_NS6detail17trampoline_kernelINS0_13select_configILj256ELj13ELNS0_17block_load_methodE3ELS4_3ELS4_3ELNS0_20block_scan_algorithmE0ELj4294967295EEENS1_25partition_config_selectorILNS1_17partition_subalgoE3EjNS0_10empty_typeEbEEZZNS1_14partition_implILS8_3ELb0ES6_jNS0_17counting_iteratorIjlEEPS9_SE_NS0_5tupleIJPjSE_EEENSF_IJSE_SE_EEES9_SG_JZNS1_25segmented_radix_sort_implINS0_14default_configELb1EPKdPdPKlPlN2at6native12_GLOBAL__N_18offset_tEEE10hipError_tPvRmT1_PNSt15iterator_traitsISY_E10value_typeET2_T3_PNSZ_IS14_E10value_typeET4_jRbjT5_S1A_jjP12ihipStream_tbEUljE_EEESV_SW_SX_S14_S18_S1A_T6_T7_T9_mT8_S1C_bDpT10_ENKUlT_T0_E_clISt17integral_constantIbLb0EES1O_IbLb1EEEEDaS1K_S1L_EUlS1K_E_NS1_11comp_targetILNS1_3genE0ELNS1_11target_archE4294967295ELNS1_3gpuE0ELNS1_3repE0EEENS1_30default_config_static_selectorELNS0_4arch9wavefront6targetE1EEEvSY_: ; @_ZN7rocprim17ROCPRIM_400000_NS6detail17trampoline_kernelINS0_13select_configILj256ELj13ELNS0_17block_load_methodE3ELS4_3ELS4_3ELNS0_20block_scan_algorithmE0ELj4294967295EEENS1_25partition_config_selectorILNS1_17partition_subalgoE3EjNS0_10empty_typeEbEEZZNS1_14partition_implILS8_3ELb0ES6_jNS0_17counting_iteratorIjlEEPS9_SE_NS0_5tupleIJPjSE_EEENSF_IJSE_SE_EEES9_SG_JZNS1_25segmented_radix_sort_implINS0_14default_configELb1EPKdPdPKlPlN2at6native12_GLOBAL__N_18offset_tEEE10hipError_tPvRmT1_PNSt15iterator_traitsISY_E10value_typeET2_T3_PNSZ_IS14_E10value_typeET4_jRbjT5_S1A_jjP12ihipStream_tbEUljE_EEESV_SW_SX_S14_S18_S1A_T6_T7_T9_mT8_S1C_bDpT10_ENKUlT_T0_E_clISt17integral_constantIbLb0EES1O_IbLb1EEEEDaS1K_S1L_EUlS1K_E_NS1_11comp_targetILNS1_3genE0ELNS1_11target_archE4294967295ELNS1_3gpuE0ELNS1_3repE0EEENS1_30default_config_static_selectorELNS0_4arch9wavefront6targetE1EEEvSY_
; %bb.0:
	.section	.rodata,"a",@progbits
	.p2align	6, 0x0
	.amdhsa_kernel _ZN7rocprim17ROCPRIM_400000_NS6detail17trampoline_kernelINS0_13select_configILj256ELj13ELNS0_17block_load_methodE3ELS4_3ELS4_3ELNS0_20block_scan_algorithmE0ELj4294967295EEENS1_25partition_config_selectorILNS1_17partition_subalgoE3EjNS0_10empty_typeEbEEZZNS1_14partition_implILS8_3ELb0ES6_jNS0_17counting_iteratorIjlEEPS9_SE_NS0_5tupleIJPjSE_EEENSF_IJSE_SE_EEES9_SG_JZNS1_25segmented_radix_sort_implINS0_14default_configELb1EPKdPdPKlPlN2at6native12_GLOBAL__N_18offset_tEEE10hipError_tPvRmT1_PNSt15iterator_traitsISY_E10value_typeET2_T3_PNSZ_IS14_E10value_typeET4_jRbjT5_S1A_jjP12ihipStream_tbEUljE_EEESV_SW_SX_S14_S18_S1A_T6_T7_T9_mT8_S1C_bDpT10_ENKUlT_T0_E_clISt17integral_constantIbLb0EES1O_IbLb1EEEEDaS1K_S1L_EUlS1K_E_NS1_11comp_targetILNS1_3genE0ELNS1_11target_archE4294967295ELNS1_3gpuE0ELNS1_3repE0EEENS1_30default_config_static_selectorELNS0_4arch9wavefront6targetE1EEEvSY_
		.amdhsa_group_segment_fixed_size 0
		.amdhsa_private_segment_fixed_size 0
		.amdhsa_kernarg_size 152
		.amdhsa_user_sgpr_count 6
		.amdhsa_user_sgpr_private_segment_buffer 1
		.amdhsa_user_sgpr_dispatch_ptr 0
		.amdhsa_user_sgpr_queue_ptr 0
		.amdhsa_user_sgpr_kernarg_segment_ptr 1
		.amdhsa_user_sgpr_dispatch_id 0
		.amdhsa_user_sgpr_flat_scratch_init 0
		.amdhsa_user_sgpr_kernarg_preload_length 0
		.amdhsa_user_sgpr_kernarg_preload_offset 0
		.amdhsa_user_sgpr_private_segment_size 0
		.amdhsa_uses_dynamic_stack 0
		.amdhsa_system_sgpr_private_segment_wavefront_offset 0
		.amdhsa_system_sgpr_workgroup_id_x 1
		.amdhsa_system_sgpr_workgroup_id_y 0
		.amdhsa_system_sgpr_workgroup_id_z 0
		.amdhsa_system_sgpr_workgroup_info 0
		.amdhsa_system_vgpr_workitem_id 0
		.amdhsa_next_free_vgpr 1
		.amdhsa_next_free_sgpr 0
		.amdhsa_accum_offset 4
		.amdhsa_reserve_vcc 0
		.amdhsa_reserve_flat_scratch 0
		.amdhsa_float_round_mode_32 0
		.amdhsa_float_round_mode_16_64 0
		.amdhsa_float_denorm_mode_32 3
		.amdhsa_float_denorm_mode_16_64 3
		.amdhsa_dx10_clamp 1
		.amdhsa_ieee_mode 1
		.amdhsa_fp16_overflow 0
		.amdhsa_tg_split 0
		.amdhsa_exception_fp_ieee_invalid_op 0
		.amdhsa_exception_fp_denorm_src 0
		.amdhsa_exception_fp_ieee_div_zero 0
		.amdhsa_exception_fp_ieee_overflow 0
		.amdhsa_exception_fp_ieee_underflow 0
		.amdhsa_exception_fp_ieee_inexact 0
		.amdhsa_exception_int_div_zero 0
	.end_amdhsa_kernel
	.section	.text._ZN7rocprim17ROCPRIM_400000_NS6detail17trampoline_kernelINS0_13select_configILj256ELj13ELNS0_17block_load_methodE3ELS4_3ELS4_3ELNS0_20block_scan_algorithmE0ELj4294967295EEENS1_25partition_config_selectorILNS1_17partition_subalgoE3EjNS0_10empty_typeEbEEZZNS1_14partition_implILS8_3ELb0ES6_jNS0_17counting_iteratorIjlEEPS9_SE_NS0_5tupleIJPjSE_EEENSF_IJSE_SE_EEES9_SG_JZNS1_25segmented_radix_sort_implINS0_14default_configELb1EPKdPdPKlPlN2at6native12_GLOBAL__N_18offset_tEEE10hipError_tPvRmT1_PNSt15iterator_traitsISY_E10value_typeET2_T3_PNSZ_IS14_E10value_typeET4_jRbjT5_S1A_jjP12ihipStream_tbEUljE_EEESV_SW_SX_S14_S18_S1A_T6_T7_T9_mT8_S1C_bDpT10_ENKUlT_T0_E_clISt17integral_constantIbLb0EES1O_IbLb1EEEEDaS1K_S1L_EUlS1K_E_NS1_11comp_targetILNS1_3genE0ELNS1_11target_archE4294967295ELNS1_3gpuE0ELNS1_3repE0EEENS1_30default_config_static_selectorELNS0_4arch9wavefront6targetE1EEEvSY_,"axG",@progbits,_ZN7rocprim17ROCPRIM_400000_NS6detail17trampoline_kernelINS0_13select_configILj256ELj13ELNS0_17block_load_methodE3ELS4_3ELS4_3ELNS0_20block_scan_algorithmE0ELj4294967295EEENS1_25partition_config_selectorILNS1_17partition_subalgoE3EjNS0_10empty_typeEbEEZZNS1_14partition_implILS8_3ELb0ES6_jNS0_17counting_iteratorIjlEEPS9_SE_NS0_5tupleIJPjSE_EEENSF_IJSE_SE_EEES9_SG_JZNS1_25segmented_radix_sort_implINS0_14default_configELb1EPKdPdPKlPlN2at6native12_GLOBAL__N_18offset_tEEE10hipError_tPvRmT1_PNSt15iterator_traitsISY_E10value_typeET2_T3_PNSZ_IS14_E10value_typeET4_jRbjT5_S1A_jjP12ihipStream_tbEUljE_EEESV_SW_SX_S14_S18_S1A_T6_T7_T9_mT8_S1C_bDpT10_ENKUlT_T0_E_clISt17integral_constantIbLb0EES1O_IbLb1EEEEDaS1K_S1L_EUlS1K_E_NS1_11comp_targetILNS1_3genE0ELNS1_11target_archE4294967295ELNS1_3gpuE0ELNS1_3repE0EEENS1_30default_config_static_selectorELNS0_4arch9wavefront6targetE1EEEvSY_,comdat
.Lfunc_end1108:
	.size	_ZN7rocprim17ROCPRIM_400000_NS6detail17trampoline_kernelINS0_13select_configILj256ELj13ELNS0_17block_load_methodE3ELS4_3ELS4_3ELNS0_20block_scan_algorithmE0ELj4294967295EEENS1_25partition_config_selectorILNS1_17partition_subalgoE3EjNS0_10empty_typeEbEEZZNS1_14partition_implILS8_3ELb0ES6_jNS0_17counting_iteratorIjlEEPS9_SE_NS0_5tupleIJPjSE_EEENSF_IJSE_SE_EEES9_SG_JZNS1_25segmented_radix_sort_implINS0_14default_configELb1EPKdPdPKlPlN2at6native12_GLOBAL__N_18offset_tEEE10hipError_tPvRmT1_PNSt15iterator_traitsISY_E10value_typeET2_T3_PNSZ_IS14_E10value_typeET4_jRbjT5_S1A_jjP12ihipStream_tbEUljE_EEESV_SW_SX_S14_S18_S1A_T6_T7_T9_mT8_S1C_bDpT10_ENKUlT_T0_E_clISt17integral_constantIbLb0EES1O_IbLb1EEEEDaS1K_S1L_EUlS1K_E_NS1_11comp_targetILNS1_3genE0ELNS1_11target_archE4294967295ELNS1_3gpuE0ELNS1_3repE0EEENS1_30default_config_static_selectorELNS0_4arch9wavefront6targetE1EEEvSY_, .Lfunc_end1108-_ZN7rocprim17ROCPRIM_400000_NS6detail17trampoline_kernelINS0_13select_configILj256ELj13ELNS0_17block_load_methodE3ELS4_3ELS4_3ELNS0_20block_scan_algorithmE0ELj4294967295EEENS1_25partition_config_selectorILNS1_17partition_subalgoE3EjNS0_10empty_typeEbEEZZNS1_14partition_implILS8_3ELb0ES6_jNS0_17counting_iteratorIjlEEPS9_SE_NS0_5tupleIJPjSE_EEENSF_IJSE_SE_EEES9_SG_JZNS1_25segmented_radix_sort_implINS0_14default_configELb1EPKdPdPKlPlN2at6native12_GLOBAL__N_18offset_tEEE10hipError_tPvRmT1_PNSt15iterator_traitsISY_E10value_typeET2_T3_PNSZ_IS14_E10value_typeET4_jRbjT5_S1A_jjP12ihipStream_tbEUljE_EEESV_SW_SX_S14_S18_S1A_T6_T7_T9_mT8_S1C_bDpT10_ENKUlT_T0_E_clISt17integral_constantIbLb0EES1O_IbLb1EEEEDaS1K_S1L_EUlS1K_E_NS1_11comp_targetILNS1_3genE0ELNS1_11target_archE4294967295ELNS1_3gpuE0ELNS1_3repE0EEENS1_30default_config_static_selectorELNS0_4arch9wavefront6targetE1EEEvSY_
                                        ; -- End function
	.section	.AMDGPU.csdata,"",@progbits
; Kernel info:
; codeLenInByte = 0
; NumSgprs: 4
; NumVgprs: 0
; NumAgprs: 0
; TotalNumVgprs: 0
; ScratchSize: 0
; MemoryBound: 0
; FloatMode: 240
; IeeeMode: 1
; LDSByteSize: 0 bytes/workgroup (compile time only)
; SGPRBlocks: 0
; VGPRBlocks: 0
; NumSGPRsForWavesPerEU: 4
; NumVGPRsForWavesPerEU: 1
; AccumOffset: 4
; Occupancy: 8
; WaveLimiterHint : 0
; COMPUTE_PGM_RSRC2:SCRATCH_EN: 0
; COMPUTE_PGM_RSRC2:USER_SGPR: 6
; COMPUTE_PGM_RSRC2:TRAP_HANDLER: 0
; COMPUTE_PGM_RSRC2:TGID_X_EN: 1
; COMPUTE_PGM_RSRC2:TGID_Y_EN: 0
; COMPUTE_PGM_RSRC2:TGID_Z_EN: 0
; COMPUTE_PGM_RSRC2:TIDIG_COMP_CNT: 0
; COMPUTE_PGM_RSRC3_GFX90A:ACCUM_OFFSET: 0
; COMPUTE_PGM_RSRC3_GFX90A:TG_SPLIT: 0
	.section	.text._ZN7rocprim17ROCPRIM_400000_NS6detail17trampoline_kernelINS0_13select_configILj256ELj13ELNS0_17block_load_methodE3ELS4_3ELS4_3ELNS0_20block_scan_algorithmE0ELj4294967295EEENS1_25partition_config_selectorILNS1_17partition_subalgoE3EjNS0_10empty_typeEbEEZZNS1_14partition_implILS8_3ELb0ES6_jNS0_17counting_iteratorIjlEEPS9_SE_NS0_5tupleIJPjSE_EEENSF_IJSE_SE_EEES9_SG_JZNS1_25segmented_radix_sort_implINS0_14default_configELb1EPKdPdPKlPlN2at6native12_GLOBAL__N_18offset_tEEE10hipError_tPvRmT1_PNSt15iterator_traitsISY_E10value_typeET2_T3_PNSZ_IS14_E10value_typeET4_jRbjT5_S1A_jjP12ihipStream_tbEUljE_EEESV_SW_SX_S14_S18_S1A_T6_T7_T9_mT8_S1C_bDpT10_ENKUlT_T0_E_clISt17integral_constantIbLb0EES1O_IbLb1EEEEDaS1K_S1L_EUlS1K_E_NS1_11comp_targetILNS1_3genE5ELNS1_11target_archE942ELNS1_3gpuE9ELNS1_3repE0EEENS1_30default_config_static_selectorELNS0_4arch9wavefront6targetE1EEEvSY_,"axG",@progbits,_ZN7rocprim17ROCPRIM_400000_NS6detail17trampoline_kernelINS0_13select_configILj256ELj13ELNS0_17block_load_methodE3ELS4_3ELS4_3ELNS0_20block_scan_algorithmE0ELj4294967295EEENS1_25partition_config_selectorILNS1_17partition_subalgoE3EjNS0_10empty_typeEbEEZZNS1_14partition_implILS8_3ELb0ES6_jNS0_17counting_iteratorIjlEEPS9_SE_NS0_5tupleIJPjSE_EEENSF_IJSE_SE_EEES9_SG_JZNS1_25segmented_radix_sort_implINS0_14default_configELb1EPKdPdPKlPlN2at6native12_GLOBAL__N_18offset_tEEE10hipError_tPvRmT1_PNSt15iterator_traitsISY_E10value_typeET2_T3_PNSZ_IS14_E10value_typeET4_jRbjT5_S1A_jjP12ihipStream_tbEUljE_EEESV_SW_SX_S14_S18_S1A_T6_T7_T9_mT8_S1C_bDpT10_ENKUlT_T0_E_clISt17integral_constantIbLb0EES1O_IbLb1EEEEDaS1K_S1L_EUlS1K_E_NS1_11comp_targetILNS1_3genE5ELNS1_11target_archE942ELNS1_3gpuE9ELNS1_3repE0EEENS1_30default_config_static_selectorELNS0_4arch9wavefront6targetE1EEEvSY_,comdat
	.globl	_ZN7rocprim17ROCPRIM_400000_NS6detail17trampoline_kernelINS0_13select_configILj256ELj13ELNS0_17block_load_methodE3ELS4_3ELS4_3ELNS0_20block_scan_algorithmE0ELj4294967295EEENS1_25partition_config_selectorILNS1_17partition_subalgoE3EjNS0_10empty_typeEbEEZZNS1_14partition_implILS8_3ELb0ES6_jNS0_17counting_iteratorIjlEEPS9_SE_NS0_5tupleIJPjSE_EEENSF_IJSE_SE_EEES9_SG_JZNS1_25segmented_radix_sort_implINS0_14default_configELb1EPKdPdPKlPlN2at6native12_GLOBAL__N_18offset_tEEE10hipError_tPvRmT1_PNSt15iterator_traitsISY_E10value_typeET2_T3_PNSZ_IS14_E10value_typeET4_jRbjT5_S1A_jjP12ihipStream_tbEUljE_EEESV_SW_SX_S14_S18_S1A_T6_T7_T9_mT8_S1C_bDpT10_ENKUlT_T0_E_clISt17integral_constantIbLb0EES1O_IbLb1EEEEDaS1K_S1L_EUlS1K_E_NS1_11comp_targetILNS1_3genE5ELNS1_11target_archE942ELNS1_3gpuE9ELNS1_3repE0EEENS1_30default_config_static_selectorELNS0_4arch9wavefront6targetE1EEEvSY_ ; -- Begin function _ZN7rocprim17ROCPRIM_400000_NS6detail17trampoline_kernelINS0_13select_configILj256ELj13ELNS0_17block_load_methodE3ELS4_3ELS4_3ELNS0_20block_scan_algorithmE0ELj4294967295EEENS1_25partition_config_selectorILNS1_17partition_subalgoE3EjNS0_10empty_typeEbEEZZNS1_14partition_implILS8_3ELb0ES6_jNS0_17counting_iteratorIjlEEPS9_SE_NS0_5tupleIJPjSE_EEENSF_IJSE_SE_EEES9_SG_JZNS1_25segmented_radix_sort_implINS0_14default_configELb1EPKdPdPKlPlN2at6native12_GLOBAL__N_18offset_tEEE10hipError_tPvRmT1_PNSt15iterator_traitsISY_E10value_typeET2_T3_PNSZ_IS14_E10value_typeET4_jRbjT5_S1A_jjP12ihipStream_tbEUljE_EEESV_SW_SX_S14_S18_S1A_T6_T7_T9_mT8_S1C_bDpT10_ENKUlT_T0_E_clISt17integral_constantIbLb0EES1O_IbLb1EEEEDaS1K_S1L_EUlS1K_E_NS1_11comp_targetILNS1_3genE5ELNS1_11target_archE942ELNS1_3gpuE9ELNS1_3repE0EEENS1_30default_config_static_selectorELNS0_4arch9wavefront6targetE1EEEvSY_
	.p2align	8
	.type	_ZN7rocprim17ROCPRIM_400000_NS6detail17trampoline_kernelINS0_13select_configILj256ELj13ELNS0_17block_load_methodE3ELS4_3ELS4_3ELNS0_20block_scan_algorithmE0ELj4294967295EEENS1_25partition_config_selectorILNS1_17partition_subalgoE3EjNS0_10empty_typeEbEEZZNS1_14partition_implILS8_3ELb0ES6_jNS0_17counting_iteratorIjlEEPS9_SE_NS0_5tupleIJPjSE_EEENSF_IJSE_SE_EEES9_SG_JZNS1_25segmented_radix_sort_implINS0_14default_configELb1EPKdPdPKlPlN2at6native12_GLOBAL__N_18offset_tEEE10hipError_tPvRmT1_PNSt15iterator_traitsISY_E10value_typeET2_T3_PNSZ_IS14_E10value_typeET4_jRbjT5_S1A_jjP12ihipStream_tbEUljE_EEESV_SW_SX_S14_S18_S1A_T6_T7_T9_mT8_S1C_bDpT10_ENKUlT_T0_E_clISt17integral_constantIbLb0EES1O_IbLb1EEEEDaS1K_S1L_EUlS1K_E_NS1_11comp_targetILNS1_3genE5ELNS1_11target_archE942ELNS1_3gpuE9ELNS1_3repE0EEENS1_30default_config_static_selectorELNS0_4arch9wavefront6targetE1EEEvSY_,@function
_ZN7rocprim17ROCPRIM_400000_NS6detail17trampoline_kernelINS0_13select_configILj256ELj13ELNS0_17block_load_methodE3ELS4_3ELS4_3ELNS0_20block_scan_algorithmE0ELj4294967295EEENS1_25partition_config_selectorILNS1_17partition_subalgoE3EjNS0_10empty_typeEbEEZZNS1_14partition_implILS8_3ELb0ES6_jNS0_17counting_iteratorIjlEEPS9_SE_NS0_5tupleIJPjSE_EEENSF_IJSE_SE_EEES9_SG_JZNS1_25segmented_radix_sort_implINS0_14default_configELb1EPKdPdPKlPlN2at6native12_GLOBAL__N_18offset_tEEE10hipError_tPvRmT1_PNSt15iterator_traitsISY_E10value_typeET2_T3_PNSZ_IS14_E10value_typeET4_jRbjT5_S1A_jjP12ihipStream_tbEUljE_EEESV_SW_SX_S14_S18_S1A_T6_T7_T9_mT8_S1C_bDpT10_ENKUlT_T0_E_clISt17integral_constantIbLb0EES1O_IbLb1EEEEDaS1K_S1L_EUlS1K_E_NS1_11comp_targetILNS1_3genE5ELNS1_11target_archE942ELNS1_3gpuE9ELNS1_3repE0EEENS1_30default_config_static_selectorELNS0_4arch9wavefront6targetE1EEEvSY_: ; @_ZN7rocprim17ROCPRIM_400000_NS6detail17trampoline_kernelINS0_13select_configILj256ELj13ELNS0_17block_load_methodE3ELS4_3ELS4_3ELNS0_20block_scan_algorithmE0ELj4294967295EEENS1_25partition_config_selectorILNS1_17partition_subalgoE3EjNS0_10empty_typeEbEEZZNS1_14partition_implILS8_3ELb0ES6_jNS0_17counting_iteratorIjlEEPS9_SE_NS0_5tupleIJPjSE_EEENSF_IJSE_SE_EEES9_SG_JZNS1_25segmented_radix_sort_implINS0_14default_configELb1EPKdPdPKlPlN2at6native12_GLOBAL__N_18offset_tEEE10hipError_tPvRmT1_PNSt15iterator_traitsISY_E10value_typeET2_T3_PNSZ_IS14_E10value_typeET4_jRbjT5_S1A_jjP12ihipStream_tbEUljE_EEESV_SW_SX_S14_S18_S1A_T6_T7_T9_mT8_S1C_bDpT10_ENKUlT_T0_E_clISt17integral_constantIbLb0EES1O_IbLb1EEEEDaS1K_S1L_EUlS1K_E_NS1_11comp_targetILNS1_3genE5ELNS1_11target_archE942ELNS1_3gpuE9ELNS1_3repE0EEENS1_30default_config_static_selectorELNS0_4arch9wavefront6targetE1EEEvSY_
; %bb.0:
	.section	.rodata,"a",@progbits
	.p2align	6, 0x0
	.amdhsa_kernel _ZN7rocprim17ROCPRIM_400000_NS6detail17trampoline_kernelINS0_13select_configILj256ELj13ELNS0_17block_load_methodE3ELS4_3ELS4_3ELNS0_20block_scan_algorithmE0ELj4294967295EEENS1_25partition_config_selectorILNS1_17partition_subalgoE3EjNS0_10empty_typeEbEEZZNS1_14partition_implILS8_3ELb0ES6_jNS0_17counting_iteratorIjlEEPS9_SE_NS0_5tupleIJPjSE_EEENSF_IJSE_SE_EEES9_SG_JZNS1_25segmented_radix_sort_implINS0_14default_configELb1EPKdPdPKlPlN2at6native12_GLOBAL__N_18offset_tEEE10hipError_tPvRmT1_PNSt15iterator_traitsISY_E10value_typeET2_T3_PNSZ_IS14_E10value_typeET4_jRbjT5_S1A_jjP12ihipStream_tbEUljE_EEESV_SW_SX_S14_S18_S1A_T6_T7_T9_mT8_S1C_bDpT10_ENKUlT_T0_E_clISt17integral_constantIbLb0EES1O_IbLb1EEEEDaS1K_S1L_EUlS1K_E_NS1_11comp_targetILNS1_3genE5ELNS1_11target_archE942ELNS1_3gpuE9ELNS1_3repE0EEENS1_30default_config_static_selectorELNS0_4arch9wavefront6targetE1EEEvSY_
		.amdhsa_group_segment_fixed_size 0
		.amdhsa_private_segment_fixed_size 0
		.amdhsa_kernarg_size 152
		.amdhsa_user_sgpr_count 6
		.amdhsa_user_sgpr_private_segment_buffer 1
		.amdhsa_user_sgpr_dispatch_ptr 0
		.amdhsa_user_sgpr_queue_ptr 0
		.amdhsa_user_sgpr_kernarg_segment_ptr 1
		.amdhsa_user_sgpr_dispatch_id 0
		.amdhsa_user_sgpr_flat_scratch_init 0
		.amdhsa_user_sgpr_kernarg_preload_length 0
		.amdhsa_user_sgpr_kernarg_preload_offset 0
		.amdhsa_user_sgpr_private_segment_size 0
		.amdhsa_uses_dynamic_stack 0
		.amdhsa_system_sgpr_private_segment_wavefront_offset 0
		.amdhsa_system_sgpr_workgroup_id_x 1
		.amdhsa_system_sgpr_workgroup_id_y 0
		.amdhsa_system_sgpr_workgroup_id_z 0
		.amdhsa_system_sgpr_workgroup_info 0
		.amdhsa_system_vgpr_workitem_id 0
		.amdhsa_next_free_vgpr 1
		.amdhsa_next_free_sgpr 0
		.amdhsa_accum_offset 4
		.amdhsa_reserve_vcc 0
		.amdhsa_reserve_flat_scratch 0
		.amdhsa_float_round_mode_32 0
		.amdhsa_float_round_mode_16_64 0
		.amdhsa_float_denorm_mode_32 3
		.amdhsa_float_denorm_mode_16_64 3
		.amdhsa_dx10_clamp 1
		.amdhsa_ieee_mode 1
		.amdhsa_fp16_overflow 0
		.amdhsa_tg_split 0
		.amdhsa_exception_fp_ieee_invalid_op 0
		.amdhsa_exception_fp_denorm_src 0
		.amdhsa_exception_fp_ieee_div_zero 0
		.amdhsa_exception_fp_ieee_overflow 0
		.amdhsa_exception_fp_ieee_underflow 0
		.amdhsa_exception_fp_ieee_inexact 0
		.amdhsa_exception_int_div_zero 0
	.end_amdhsa_kernel
	.section	.text._ZN7rocprim17ROCPRIM_400000_NS6detail17trampoline_kernelINS0_13select_configILj256ELj13ELNS0_17block_load_methodE3ELS4_3ELS4_3ELNS0_20block_scan_algorithmE0ELj4294967295EEENS1_25partition_config_selectorILNS1_17partition_subalgoE3EjNS0_10empty_typeEbEEZZNS1_14partition_implILS8_3ELb0ES6_jNS0_17counting_iteratorIjlEEPS9_SE_NS0_5tupleIJPjSE_EEENSF_IJSE_SE_EEES9_SG_JZNS1_25segmented_radix_sort_implINS0_14default_configELb1EPKdPdPKlPlN2at6native12_GLOBAL__N_18offset_tEEE10hipError_tPvRmT1_PNSt15iterator_traitsISY_E10value_typeET2_T3_PNSZ_IS14_E10value_typeET4_jRbjT5_S1A_jjP12ihipStream_tbEUljE_EEESV_SW_SX_S14_S18_S1A_T6_T7_T9_mT8_S1C_bDpT10_ENKUlT_T0_E_clISt17integral_constantIbLb0EES1O_IbLb1EEEEDaS1K_S1L_EUlS1K_E_NS1_11comp_targetILNS1_3genE5ELNS1_11target_archE942ELNS1_3gpuE9ELNS1_3repE0EEENS1_30default_config_static_selectorELNS0_4arch9wavefront6targetE1EEEvSY_,"axG",@progbits,_ZN7rocprim17ROCPRIM_400000_NS6detail17trampoline_kernelINS0_13select_configILj256ELj13ELNS0_17block_load_methodE3ELS4_3ELS4_3ELNS0_20block_scan_algorithmE0ELj4294967295EEENS1_25partition_config_selectorILNS1_17partition_subalgoE3EjNS0_10empty_typeEbEEZZNS1_14partition_implILS8_3ELb0ES6_jNS0_17counting_iteratorIjlEEPS9_SE_NS0_5tupleIJPjSE_EEENSF_IJSE_SE_EEES9_SG_JZNS1_25segmented_radix_sort_implINS0_14default_configELb1EPKdPdPKlPlN2at6native12_GLOBAL__N_18offset_tEEE10hipError_tPvRmT1_PNSt15iterator_traitsISY_E10value_typeET2_T3_PNSZ_IS14_E10value_typeET4_jRbjT5_S1A_jjP12ihipStream_tbEUljE_EEESV_SW_SX_S14_S18_S1A_T6_T7_T9_mT8_S1C_bDpT10_ENKUlT_T0_E_clISt17integral_constantIbLb0EES1O_IbLb1EEEEDaS1K_S1L_EUlS1K_E_NS1_11comp_targetILNS1_3genE5ELNS1_11target_archE942ELNS1_3gpuE9ELNS1_3repE0EEENS1_30default_config_static_selectorELNS0_4arch9wavefront6targetE1EEEvSY_,comdat
.Lfunc_end1109:
	.size	_ZN7rocprim17ROCPRIM_400000_NS6detail17trampoline_kernelINS0_13select_configILj256ELj13ELNS0_17block_load_methodE3ELS4_3ELS4_3ELNS0_20block_scan_algorithmE0ELj4294967295EEENS1_25partition_config_selectorILNS1_17partition_subalgoE3EjNS0_10empty_typeEbEEZZNS1_14partition_implILS8_3ELb0ES6_jNS0_17counting_iteratorIjlEEPS9_SE_NS0_5tupleIJPjSE_EEENSF_IJSE_SE_EEES9_SG_JZNS1_25segmented_radix_sort_implINS0_14default_configELb1EPKdPdPKlPlN2at6native12_GLOBAL__N_18offset_tEEE10hipError_tPvRmT1_PNSt15iterator_traitsISY_E10value_typeET2_T3_PNSZ_IS14_E10value_typeET4_jRbjT5_S1A_jjP12ihipStream_tbEUljE_EEESV_SW_SX_S14_S18_S1A_T6_T7_T9_mT8_S1C_bDpT10_ENKUlT_T0_E_clISt17integral_constantIbLb0EES1O_IbLb1EEEEDaS1K_S1L_EUlS1K_E_NS1_11comp_targetILNS1_3genE5ELNS1_11target_archE942ELNS1_3gpuE9ELNS1_3repE0EEENS1_30default_config_static_selectorELNS0_4arch9wavefront6targetE1EEEvSY_, .Lfunc_end1109-_ZN7rocprim17ROCPRIM_400000_NS6detail17trampoline_kernelINS0_13select_configILj256ELj13ELNS0_17block_load_methodE3ELS4_3ELS4_3ELNS0_20block_scan_algorithmE0ELj4294967295EEENS1_25partition_config_selectorILNS1_17partition_subalgoE3EjNS0_10empty_typeEbEEZZNS1_14partition_implILS8_3ELb0ES6_jNS0_17counting_iteratorIjlEEPS9_SE_NS0_5tupleIJPjSE_EEENSF_IJSE_SE_EEES9_SG_JZNS1_25segmented_radix_sort_implINS0_14default_configELb1EPKdPdPKlPlN2at6native12_GLOBAL__N_18offset_tEEE10hipError_tPvRmT1_PNSt15iterator_traitsISY_E10value_typeET2_T3_PNSZ_IS14_E10value_typeET4_jRbjT5_S1A_jjP12ihipStream_tbEUljE_EEESV_SW_SX_S14_S18_S1A_T6_T7_T9_mT8_S1C_bDpT10_ENKUlT_T0_E_clISt17integral_constantIbLb0EES1O_IbLb1EEEEDaS1K_S1L_EUlS1K_E_NS1_11comp_targetILNS1_3genE5ELNS1_11target_archE942ELNS1_3gpuE9ELNS1_3repE0EEENS1_30default_config_static_selectorELNS0_4arch9wavefront6targetE1EEEvSY_
                                        ; -- End function
	.section	.AMDGPU.csdata,"",@progbits
; Kernel info:
; codeLenInByte = 0
; NumSgprs: 4
; NumVgprs: 0
; NumAgprs: 0
; TotalNumVgprs: 0
; ScratchSize: 0
; MemoryBound: 0
; FloatMode: 240
; IeeeMode: 1
; LDSByteSize: 0 bytes/workgroup (compile time only)
; SGPRBlocks: 0
; VGPRBlocks: 0
; NumSGPRsForWavesPerEU: 4
; NumVGPRsForWavesPerEU: 1
; AccumOffset: 4
; Occupancy: 8
; WaveLimiterHint : 0
; COMPUTE_PGM_RSRC2:SCRATCH_EN: 0
; COMPUTE_PGM_RSRC2:USER_SGPR: 6
; COMPUTE_PGM_RSRC2:TRAP_HANDLER: 0
; COMPUTE_PGM_RSRC2:TGID_X_EN: 1
; COMPUTE_PGM_RSRC2:TGID_Y_EN: 0
; COMPUTE_PGM_RSRC2:TGID_Z_EN: 0
; COMPUTE_PGM_RSRC2:TIDIG_COMP_CNT: 0
; COMPUTE_PGM_RSRC3_GFX90A:ACCUM_OFFSET: 0
; COMPUTE_PGM_RSRC3_GFX90A:TG_SPLIT: 0
	.section	.text._ZN7rocprim17ROCPRIM_400000_NS6detail17trampoline_kernelINS0_13select_configILj256ELj13ELNS0_17block_load_methodE3ELS4_3ELS4_3ELNS0_20block_scan_algorithmE0ELj4294967295EEENS1_25partition_config_selectorILNS1_17partition_subalgoE3EjNS0_10empty_typeEbEEZZNS1_14partition_implILS8_3ELb0ES6_jNS0_17counting_iteratorIjlEEPS9_SE_NS0_5tupleIJPjSE_EEENSF_IJSE_SE_EEES9_SG_JZNS1_25segmented_radix_sort_implINS0_14default_configELb1EPKdPdPKlPlN2at6native12_GLOBAL__N_18offset_tEEE10hipError_tPvRmT1_PNSt15iterator_traitsISY_E10value_typeET2_T3_PNSZ_IS14_E10value_typeET4_jRbjT5_S1A_jjP12ihipStream_tbEUljE_EEESV_SW_SX_S14_S18_S1A_T6_T7_T9_mT8_S1C_bDpT10_ENKUlT_T0_E_clISt17integral_constantIbLb0EES1O_IbLb1EEEEDaS1K_S1L_EUlS1K_E_NS1_11comp_targetILNS1_3genE4ELNS1_11target_archE910ELNS1_3gpuE8ELNS1_3repE0EEENS1_30default_config_static_selectorELNS0_4arch9wavefront6targetE1EEEvSY_,"axG",@progbits,_ZN7rocprim17ROCPRIM_400000_NS6detail17trampoline_kernelINS0_13select_configILj256ELj13ELNS0_17block_load_methodE3ELS4_3ELS4_3ELNS0_20block_scan_algorithmE0ELj4294967295EEENS1_25partition_config_selectorILNS1_17partition_subalgoE3EjNS0_10empty_typeEbEEZZNS1_14partition_implILS8_3ELb0ES6_jNS0_17counting_iteratorIjlEEPS9_SE_NS0_5tupleIJPjSE_EEENSF_IJSE_SE_EEES9_SG_JZNS1_25segmented_radix_sort_implINS0_14default_configELb1EPKdPdPKlPlN2at6native12_GLOBAL__N_18offset_tEEE10hipError_tPvRmT1_PNSt15iterator_traitsISY_E10value_typeET2_T3_PNSZ_IS14_E10value_typeET4_jRbjT5_S1A_jjP12ihipStream_tbEUljE_EEESV_SW_SX_S14_S18_S1A_T6_T7_T9_mT8_S1C_bDpT10_ENKUlT_T0_E_clISt17integral_constantIbLb0EES1O_IbLb1EEEEDaS1K_S1L_EUlS1K_E_NS1_11comp_targetILNS1_3genE4ELNS1_11target_archE910ELNS1_3gpuE8ELNS1_3repE0EEENS1_30default_config_static_selectorELNS0_4arch9wavefront6targetE1EEEvSY_,comdat
	.globl	_ZN7rocprim17ROCPRIM_400000_NS6detail17trampoline_kernelINS0_13select_configILj256ELj13ELNS0_17block_load_methodE3ELS4_3ELS4_3ELNS0_20block_scan_algorithmE0ELj4294967295EEENS1_25partition_config_selectorILNS1_17partition_subalgoE3EjNS0_10empty_typeEbEEZZNS1_14partition_implILS8_3ELb0ES6_jNS0_17counting_iteratorIjlEEPS9_SE_NS0_5tupleIJPjSE_EEENSF_IJSE_SE_EEES9_SG_JZNS1_25segmented_radix_sort_implINS0_14default_configELb1EPKdPdPKlPlN2at6native12_GLOBAL__N_18offset_tEEE10hipError_tPvRmT1_PNSt15iterator_traitsISY_E10value_typeET2_T3_PNSZ_IS14_E10value_typeET4_jRbjT5_S1A_jjP12ihipStream_tbEUljE_EEESV_SW_SX_S14_S18_S1A_T6_T7_T9_mT8_S1C_bDpT10_ENKUlT_T0_E_clISt17integral_constantIbLb0EES1O_IbLb1EEEEDaS1K_S1L_EUlS1K_E_NS1_11comp_targetILNS1_3genE4ELNS1_11target_archE910ELNS1_3gpuE8ELNS1_3repE0EEENS1_30default_config_static_selectorELNS0_4arch9wavefront6targetE1EEEvSY_ ; -- Begin function _ZN7rocprim17ROCPRIM_400000_NS6detail17trampoline_kernelINS0_13select_configILj256ELj13ELNS0_17block_load_methodE3ELS4_3ELS4_3ELNS0_20block_scan_algorithmE0ELj4294967295EEENS1_25partition_config_selectorILNS1_17partition_subalgoE3EjNS0_10empty_typeEbEEZZNS1_14partition_implILS8_3ELb0ES6_jNS0_17counting_iteratorIjlEEPS9_SE_NS0_5tupleIJPjSE_EEENSF_IJSE_SE_EEES9_SG_JZNS1_25segmented_radix_sort_implINS0_14default_configELb1EPKdPdPKlPlN2at6native12_GLOBAL__N_18offset_tEEE10hipError_tPvRmT1_PNSt15iterator_traitsISY_E10value_typeET2_T3_PNSZ_IS14_E10value_typeET4_jRbjT5_S1A_jjP12ihipStream_tbEUljE_EEESV_SW_SX_S14_S18_S1A_T6_T7_T9_mT8_S1C_bDpT10_ENKUlT_T0_E_clISt17integral_constantIbLb0EES1O_IbLb1EEEEDaS1K_S1L_EUlS1K_E_NS1_11comp_targetILNS1_3genE4ELNS1_11target_archE910ELNS1_3gpuE8ELNS1_3repE0EEENS1_30default_config_static_selectorELNS0_4arch9wavefront6targetE1EEEvSY_
	.p2align	8
	.type	_ZN7rocprim17ROCPRIM_400000_NS6detail17trampoline_kernelINS0_13select_configILj256ELj13ELNS0_17block_load_methodE3ELS4_3ELS4_3ELNS0_20block_scan_algorithmE0ELj4294967295EEENS1_25partition_config_selectorILNS1_17partition_subalgoE3EjNS0_10empty_typeEbEEZZNS1_14partition_implILS8_3ELb0ES6_jNS0_17counting_iteratorIjlEEPS9_SE_NS0_5tupleIJPjSE_EEENSF_IJSE_SE_EEES9_SG_JZNS1_25segmented_radix_sort_implINS0_14default_configELb1EPKdPdPKlPlN2at6native12_GLOBAL__N_18offset_tEEE10hipError_tPvRmT1_PNSt15iterator_traitsISY_E10value_typeET2_T3_PNSZ_IS14_E10value_typeET4_jRbjT5_S1A_jjP12ihipStream_tbEUljE_EEESV_SW_SX_S14_S18_S1A_T6_T7_T9_mT8_S1C_bDpT10_ENKUlT_T0_E_clISt17integral_constantIbLb0EES1O_IbLb1EEEEDaS1K_S1L_EUlS1K_E_NS1_11comp_targetILNS1_3genE4ELNS1_11target_archE910ELNS1_3gpuE8ELNS1_3repE0EEENS1_30default_config_static_selectorELNS0_4arch9wavefront6targetE1EEEvSY_,@function
_ZN7rocprim17ROCPRIM_400000_NS6detail17trampoline_kernelINS0_13select_configILj256ELj13ELNS0_17block_load_methodE3ELS4_3ELS4_3ELNS0_20block_scan_algorithmE0ELj4294967295EEENS1_25partition_config_selectorILNS1_17partition_subalgoE3EjNS0_10empty_typeEbEEZZNS1_14partition_implILS8_3ELb0ES6_jNS0_17counting_iteratorIjlEEPS9_SE_NS0_5tupleIJPjSE_EEENSF_IJSE_SE_EEES9_SG_JZNS1_25segmented_radix_sort_implINS0_14default_configELb1EPKdPdPKlPlN2at6native12_GLOBAL__N_18offset_tEEE10hipError_tPvRmT1_PNSt15iterator_traitsISY_E10value_typeET2_T3_PNSZ_IS14_E10value_typeET4_jRbjT5_S1A_jjP12ihipStream_tbEUljE_EEESV_SW_SX_S14_S18_S1A_T6_T7_T9_mT8_S1C_bDpT10_ENKUlT_T0_E_clISt17integral_constantIbLb0EES1O_IbLb1EEEEDaS1K_S1L_EUlS1K_E_NS1_11comp_targetILNS1_3genE4ELNS1_11target_archE910ELNS1_3gpuE8ELNS1_3repE0EEENS1_30default_config_static_selectorELNS0_4arch9wavefront6targetE1EEEvSY_: ; @_ZN7rocprim17ROCPRIM_400000_NS6detail17trampoline_kernelINS0_13select_configILj256ELj13ELNS0_17block_load_methodE3ELS4_3ELS4_3ELNS0_20block_scan_algorithmE0ELj4294967295EEENS1_25partition_config_selectorILNS1_17partition_subalgoE3EjNS0_10empty_typeEbEEZZNS1_14partition_implILS8_3ELb0ES6_jNS0_17counting_iteratorIjlEEPS9_SE_NS0_5tupleIJPjSE_EEENSF_IJSE_SE_EEES9_SG_JZNS1_25segmented_radix_sort_implINS0_14default_configELb1EPKdPdPKlPlN2at6native12_GLOBAL__N_18offset_tEEE10hipError_tPvRmT1_PNSt15iterator_traitsISY_E10value_typeET2_T3_PNSZ_IS14_E10value_typeET4_jRbjT5_S1A_jjP12ihipStream_tbEUljE_EEESV_SW_SX_S14_S18_S1A_T6_T7_T9_mT8_S1C_bDpT10_ENKUlT_T0_E_clISt17integral_constantIbLb0EES1O_IbLb1EEEEDaS1K_S1L_EUlS1K_E_NS1_11comp_targetILNS1_3genE4ELNS1_11target_archE910ELNS1_3gpuE8ELNS1_3repE0EEENS1_30default_config_static_selectorELNS0_4arch9wavefront6targetE1EEEvSY_
; %bb.0:
	s_load_dwordx2 s[28:29], s[4:5], 0x10
	s_load_dwordx2 s[24:25], s[4:5], 0x28
	;; [unrolled: 1-line block ×3, first 2 shown]
	s_load_dwordx4 s[20:23], s[4:5], 0x48
	s_load_dword s14, s[4:5], 0x90
	s_load_dwordx2 s[30:31], s[4:5], 0x68
	s_load_dwordx4 s[8:11], s[4:5], 0x80
	v_cmp_eq_u32_e64 s[0:1], 0, v0
	s_and_saveexec_b64 s[2:3], s[0:1]
	s_cbranch_execz .LBB1110_4
; %bb.1:
	s_mov_b64 s[12:13], exec
	v_mbcnt_lo_u32_b32 v1, s12, 0
	v_mbcnt_hi_u32_b32 v1, s13, v1
	v_cmp_eq_u32_e32 vcc, 0, v1
                                        ; implicit-def: $vgpr2
	s_and_saveexec_b64 s[6:7], vcc
	s_cbranch_execz .LBB1110_3
; %bb.2:
	s_load_dwordx2 s[16:17], s[4:5], 0x78
	s_bcnt1_i32_b64 s12, s[12:13]
	v_mov_b32_e32 v2, 0
	v_mov_b32_e32 v3, s12
	s_waitcnt lgkmcnt(0)
	global_atomic_add v2, v2, v3, s[16:17] glc
.LBB1110_3:
	s_or_b64 exec, exec, s[6:7]
	s_waitcnt vmcnt(0)
	v_readfirstlane_b32 s6, v2
	v_add_u32_e32 v1, s6, v1
	v_mov_b32_e32 v2, 0
	ds_write_b32 v2, v1
.LBB1110_4:
	s_or_b64 exec, exec, s[2:3]
	v_mov_b32_e32 v1, 0
	s_load_dword s2, s[4:5], 0x8
	s_load_dword s6, s[4:5], 0x70
	s_waitcnt lgkmcnt(0)
	s_barrier
	ds_read_b32 v2, v1
	s_waitcnt lgkmcnt(0)
	s_barrier
	global_load_dwordx2 v[20:21], v1, s[22:23]
	s_add_i32 s7, s2, s28
	s_movk_i32 s2, 0xd00
	s_add_i32 s4, s6, -1
	s_mulk_i32 s6, 0xd00
	v_mul_lo_u32 v34, v2, s2
	s_add_u32 s2, s28, s6
	v_readfirstlane_b32 s40, v2
	s_addc_u32 s3, s29, 0
	s_cmp_eq_u32 s40, s4
	v_pk_mov_b32 v[2:3], s[26:27], s[26:27] op_sel:[0,1]
	s_cselect_b64 s[22:23], -1, 0
	s_cmp_lg_u32 s40, s4
	v_cmp_lt_u64_e32 vcc, s[2:3], v[2:3]
	s_cselect_b64 s[2:3], -1, 0
	s_or_b64 s[4:5], vcc, s[2:3]
	v_add_u32_e32 v1, s7, v34
	s_mov_b64 s[2:3], -1
	s_and_b64 vcc, exec, s[4:5]
	v_add_u32_e32 v2, v1, v0
	v_lshlrev_b32_e32 v1, 2, v0
	s_cbranch_vccz .LBB1110_6
; %bb.5:
	v_add_u32_e32 v3, 0x100, v2
	v_add_u32_e32 v4, 0x200, v2
	;; [unrolled: 1-line block ×12, first 2 shown]
	ds_write2st64_b32 v1, v2, v3 offset1:4
	ds_write2st64_b32 v1, v4, v5 offset0:8 offset1:12
	ds_write2st64_b32 v1, v6, v7 offset0:16 offset1:20
	;; [unrolled: 1-line block ×5, first 2 shown]
	ds_write_b32 v1, v14 offset:12288
	s_waitcnt lgkmcnt(0)
	s_barrier
	s_mov_b64 s[2:3], 0
.LBB1110_6:
	s_andn2_b64 vcc, exec, s[2:3]
	s_add_i32 s6, s6, s28
	s_cbranch_vccnz .LBB1110_8
; %bb.7:
	v_add_u32_e32 v3, 0x100, v2
	v_add_u32_e32 v4, 0x200, v2
	;; [unrolled: 1-line block ×12, first 2 shown]
	ds_write2st64_b32 v1, v2, v3 offset1:4
	ds_write2st64_b32 v1, v4, v5 offset0:8 offset1:12
	ds_write2st64_b32 v1, v6, v7 offset0:16 offset1:20
	ds_write2st64_b32 v1, v8, v9 offset0:24 offset1:28
	ds_write2st64_b32 v1, v10, v11 offset0:32 offset1:36
	ds_write2st64_b32 v1, v12, v13 offset0:40 offset1:44
	ds_write_b32 v1, v14 offset:12288
	s_waitcnt lgkmcnt(0)
	s_barrier
.LBB1110_8:
	v_mul_u32_u24_e32 v36, 13, v0
	v_lshlrev_b32_e32 v2, 2, v36
	ds_read2_b32 v[32:33], v2 offset1:1
	ds_read2_b32 v[30:31], v2 offset0:2 offset1:3
	ds_read2_b32 v[28:29], v2 offset0:4 offset1:5
	;; [unrolled: 1-line block ×5, first 2 shown]
	ds_read_b32 v35, v2 offset:48
	v_cndmask_b32_e64 v2, 0, 1, s[4:5]
	s_sub_i32 s33, s26, s6
	v_cmp_ne_u32_e64 s[2:3], 1, v2
	s_andn2_b64 vcc, exec, s[4:5]
	s_waitcnt lgkmcnt(0)
	s_barrier
	s_cbranch_vccnz .LBB1110_10
; %bb.9:
	v_add_u32_e32 v2, s9, v32
	v_add_u32_e32 v3, s11, v32
	v_mul_lo_u32 v2, v2, s8
	v_mul_lo_u32 v3, v3, s10
	v_sub_u32_e32 v2, v2, v3
	v_add_u32_e32 v3, s9, v33
	v_add_u32_e32 v4, s11, v33
	v_mul_lo_u32 v3, v3, s8
	v_mul_lo_u32 v4, v4, s10
	v_sub_u32_e32 v3, v3, v4
	;; [unrolled: 5-line block ×6, first 2 shown]
	v_add_u32_e32 v8, s9, v26
	v_add_u32_e32 v9, s11, v26
	v_mul_lo_u32 v8, v8, s8
	v_mul_lo_u32 v9, v9, s10
	v_cmp_lt_u32_e32 vcc, s14, v2
	v_sub_u32_e32 v8, v8, v9
	v_add_u32_e32 v9, s9, v27
	v_add_u32_e32 v10, s11, v27
	v_cndmask_b32_e64 v2, 0, 1, vcc
	v_cmp_lt_u32_e32 vcc, s14, v3
	v_mul_lo_u32 v9, v9, s8
	v_mul_lo_u32 v10, v10, s10
	v_cndmask_b32_e64 v3, 0, 1, vcc
	v_cmp_lt_u32_e32 vcc, s14, v4
	v_sub_u32_e32 v9, v9, v10
	v_add_u32_e32 v10, s9, v24
	v_add_u32_e32 v11, s11, v24
	v_cndmask_b32_e64 v4, 0, 1, vcc
	v_cmp_lt_u32_e32 vcc, s14, v5
	v_mul_lo_u32 v10, v10, s8
	v_mul_lo_u32 v11, v11, s10
	v_cndmask_b32_e64 v5, 0, 1, vcc
	;; [unrolled: 9-line block ×4, first 2 shown]
	v_cmp_lt_u32_e32 vcc, s14, v10
	v_sub_u32_e32 v12, v12, v13
	v_add_u32_e32 v13, s9, v23
	v_add_u32_e32 v14, s11, v23
	v_lshlrev_b16_e32 v3, 8, v3
	v_cndmask_b32_e64 v10, 0, 1, vcc
	v_cmp_lt_u32_e32 vcc, s14, v11
	v_mul_lo_u32 v13, v13, s8
	v_mul_lo_u32 v14, v14, s10
	v_or_b32_e32 v2, v2, v3
	v_lshlrev_b16_e32 v3, 8, v5
	v_cndmask_b32_e64 v11, 0, 1, vcc
	v_cmp_lt_u32_e32 vcc, s14, v12
	v_sub_u32_e32 v13, v13, v14
	v_or_b32_sdwa v3, v4, v3 dst_sel:WORD_1 dst_unused:UNUSED_PAD src0_sel:DWORD src1_sel:DWORD
	v_cndmask_b32_e64 v12, 0, 1, vcc
	v_cmp_lt_u32_e32 vcc, s14, v13
	v_add_u32_e32 v14, s9, v35
	v_add_u32_e32 v15, s11, v35
	v_or_b32_sdwa v40, v2, v3 dst_sel:DWORD dst_unused:UNUSED_PAD src0_sel:WORD_0 src1_sel:DWORD
	v_lshlrev_b16_e32 v2, 8, v7
	v_lshlrev_b16_e32 v3, 8, v9
	v_cndmask_b32_e64 v13, 0, 1, vcc
	v_mul_lo_u32 v14, v14, s8
	v_mul_lo_u32 v15, v15, s10
	v_or_b32_e32 v2, v6, v2
	v_or_b32_sdwa v3, v8, v3 dst_sel:WORD_1 dst_unused:UNUSED_PAD src0_sel:DWORD src1_sel:DWORD
	v_sub_u32_e32 v14, v14, v15
	v_or_b32_sdwa v39, v2, v3 dst_sel:DWORD dst_unused:UNUSED_PAD src0_sel:WORD_0 src1_sel:DWORD
	v_lshlrev_b16_e32 v2, 8, v11
	v_lshlrev_b16_e32 v3, 8, v13
	v_cmp_lt_u32_e32 vcc, s14, v14
	v_or_b32_e32 v2, v10, v2
	v_or_b32_sdwa v3, v12, v3 dst_sel:WORD_1 dst_unused:UNUSED_PAD src0_sel:DWORD src1_sel:DWORD
	v_cndmask_b32_e64 v37, 0, 1, vcc
	v_or_b32_sdwa v38, v2, v3 dst_sel:DWORD dst_unused:UNUSED_PAD src0_sel:WORD_0 src1_sel:DWORD
	s_addk_i32 s33, 0xd00
	s_cbranch_execz .LBB1110_11
	s_branch .LBB1110_38
.LBB1110_10:
                                        ; implicit-def: $vgpr37
                                        ; implicit-def: $vgpr38
                                        ; implicit-def: $vgpr39
                                        ; implicit-def: $vgpr40
	s_addk_i32 s33, 0xd00
.LBB1110_11:
	v_cmp_gt_u32_e32 vcc, s33, v36
	v_mov_b32_e32 v3, 0
	v_mov_b32_e32 v2, 0
	s_and_saveexec_b64 s[4:5], vcc
; %bb.12:
	v_add_u32_e32 v2, s9, v32
	v_add_u32_e32 v4, s11, v32
	v_mul_lo_u32 v2, v2, s8
	v_mul_lo_u32 v4, v4, s10
	v_sub_u32_e32 v2, v2, v4
	v_cmp_lt_u32_e32 vcc, s14, v2
	v_cndmask_b32_e64 v2, 0, 1, vcc
; %bb.13:
	s_or_b64 exec, exec, s[4:5]
	v_add_u32_e32 v4, 1, v36
	v_cmp_gt_u32_e32 vcc, s33, v4
	s_and_saveexec_b64 s[4:5], vcc
; %bb.14:
	v_add_u32_e32 v3, s9, v33
	v_add_u32_e32 v4, s11, v33
	v_mul_lo_u32 v3, v3, s8
	v_mul_lo_u32 v4, v4, s10
	v_sub_u32_e32 v3, v3, v4
	v_cmp_lt_u32_e32 vcc, s14, v3
	v_cndmask_b32_e64 v3, 0, 1, vcc
; %bb.15:
	s_or_b64 exec, exec, s[4:5]
	v_add_u32_e32 v4, 2, v36
	v_cmp_gt_u32_e32 vcc, s33, v4
	v_mov_b32_e32 v5, 0
	v_mov_b32_e32 v4, 0
	s_and_saveexec_b64 s[4:5], vcc
; %bb.16:
	v_add_u32_e32 v4, s9, v30
	v_add_u32_e32 v6, s11, v30
	v_mul_lo_u32 v4, v4, s8
	v_mul_lo_u32 v6, v6, s10
	v_sub_u32_e32 v4, v4, v6
	v_cmp_lt_u32_e32 vcc, s14, v4
	v_cndmask_b32_e64 v4, 0, 1, vcc
; %bb.17:
	s_or_b64 exec, exec, s[4:5]
	v_add_u32_e32 v6, 3, v36
	v_cmp_gt_u32_e32 vcc, s33, v6
	s_and_saveexec_b64 s[4:5], vcc
; %bb.18:
	v_add_u32_e32 v5, s9, v31
	v_add_u32_e32 v6, s11, v31
	v_mul_lo_u32 v5, v5, s8
	v_mul_lo_u32 v6, v6, s10
	v_sub_u32_e32 v5, v5, v6
	v_cmp_lt_u32_e32 vcc, s14, v5
	v_cndmask_b32_e64 v5, 0, 1, vcc
; %bb.19:
	s_or_b64 exec, exec, s[4:5]
	v_add_u32_e32 v6, 4, v36
	;; [unrolled: 28-line block ×6, first 2 shown]
	v_cmp_gt_u32_e32 vcc, s33, v14
	v_mov_b32_e32 v37, 0
	s_and_saveexec_b64 s[4:5], vcc
; %bb.36:
	v_add_u32_e32 v14, s9, v35
	v_add_u32_e32 v15, s11, v35
	v_mul_lo_u32 v14, v14, s8
	v_mul_lo_u32 v15, v15, s10
	v_sub_u32_e32 v14, v14, v15
	v_cmp_lt_u32_e32 vcc, s14, v14
	v_cndmask_b32_e64 v37, 0, 1, vcc
; %bb.37:
	s_or_b64 exec, exec, s[4:5]
	v_lshlrev_b16_e32 v3, 8, v3
	v_or_b32_e32 v2, v2, v3
	v_lshlrev_b16_e32 v3, 8, v5
	v_or_b32_sdwa v3, v4, v3 dst_sel:WORD_1 dst_unused:UNUSED_PAD src0_sel:DWORD src1_sel:DWORD
	v_or_b32_sdwa v40, v2, v3 dst_sel:DWORD dst_unused:UNUSED_PAD src0_sel:WORD_0 src1_sel:DWORD
	v_lshlrev_b16_e32 v2, 8, v7
	v_lshlrev_b16_e32 v3, 8, v9
	v_or_b32_e32 v2, v6, v2
	v_or_b32_sdwa v3, v8, v3 dst_sel:WORD_1 dst_unused:UNUSED_PAD src0_sel:DWORD src1_sel:DWORD
	v_or_b32_sdwa v39, v2, v3 dst_sel:DWORD dst_unused:UNUSED_PAD src0_sel:WORD_0 src1_sel:DWORD
	v_lshlrev_b16_e32 v2, 8, v11
	v_lshlrev_b16_e32 v3, 8, v13
	v_or_b32_e32 v2, v10, v2
	v_or_b32_sdwa v3, v12, v3 dst_sel:WORD_1 dst_unused:UNUSED_PAD src0_sel:DWORD src1_sel:DWORD
	v_or_b32_sdwa v38, v2, v3 dst_sel:DWORD dst_unused:UNUSED_PAD src0_sel:WORD_0 src1_sel:DWORD
.LBB1110_38:
	v_and_b32_e32 v44, 0xff, v40
	v_bfe_u32 v45, v40, 8, 8
	v_bfe_u32 v46, v40, 16, 8
	v_lshrrev_b32_e32 v43, 24, v40
	v_and_b32_e32 v47, 0xff, v39
	v_add3_u32 v3, v45, v44, v46
	v_bfe_u32 v48, v39, 8, 8
	v_bfe_u32 v49, v39, 16, 8
	v_add3_u32 v3, v3, v43, v47
	v_lshrrev_b32_e32 v42, 24, v39
	v_and_b32_e32 v50, 0xff, v38
	v_add3_u32 v3, v3, v48, v49
	v_bfe_u32 v51, v38, 8, 8
	v_bfe_u32 v52, v38, 16, 8
	v_add3_u32 v3, v3, v42, v50
	v_lshrrev_b32_e32 v41, 24, v38
	v_and_b32_e32 v2, 0xff, v37
	v_add3_u32 v3, v3, v51, v52
	v_add3_u32 v55, v3, v41, v2
	v_mbcnt_lo_u32_b32 v2, -1, 0
	v_mbcnt_hi_u32_b32 v53, -1, v2
	v_and_b32_e32 v2, 15, v53
	v_cmp_eq_u32_e64 s[16:17], 0, v2
	v_cmp_lt_u32_e64 s[14:15], 1, v2
	v_cmp_lt_u32_e64 s[12:13], 3, v2
	;; [unrolled: 1-line block ×3, first 2 shown]
	v_and_b32_e32 v2, 16, v53
	v_cmp_eq_u32_e64 s[8:9], 0, v2
	v_or_b32_e32 v2, 63, v0
	s_cmp_lg_u32 s40, 0
	v_cmp_lt_u32_e64 s[4:5], 31, v53
	v_lshrrev_b32_e32 v54, 6, v0
	v_cmp_eq_u32_e64 s[6:7], v2, v0
	s_cbranch_scc0 .LBB1110_65
; %bb.39:
	v_mov_b32_dpp v2, v55 row_shr:1 row_mask:0xf bank_mask:0xf
	v_cndmask_b32_e64 v2, v2, 0, s[16:17]
	v_add_u32_e32 v2, v2, v55
	s_nop 1
	v_mov_b32_dpp v3, v2 row_shr:2 row_mask:0xf bank_mask:0xf
	v_cndmask_b32_e64 v3, 0, v3, s[14:15]
	v_add_u32_e32 v2, v2, v3
	s_nop 1
	;; [unrolled: 4-line block ×4, first 2 shown]
	v_mov_b32_dpp v3, v2 row_bcast:15 row_mask:0xf bank_mask:0xf
	v_cndmask_b32_e64 v3, v3, 0, s[8:9]
	v_add_u32_e32 v2, v2, v3
	s_nop 1
	v_mov_b32_dpp v3, v2 row_bcast:31 row_mask:0xf bank_mask:0xf
	v_cndmask_b32_e64 v3, 0, v3, s[4:5]
	v_add_u32_e32 v2, v2, v3
	s_and_saveexec_b64 s[18:19], s[6:7]
	s_cbranch_execz .LBB1110_41
; %bb.40:
	v_lshlrev_b32_e32 v3, 2, v54
	ds_write_b32 v3, v2
.LBB1110_41:
	s_or_b64 exec, exec, s[18:19]
	v_cmp_gt_u32_e32 vcc, 4, v0
	s_waitcnt lgkmcnt(0)
	s_barrier
	s_and_saveexec_b64 s[18:19], vcc
	s_cbranch_execz .LBB1110_43
; %bb.42:
	ds_read_b32 v3, v1
	v_and_b32_e32 v4, 3, v53
	v_cmp_ne_u32_e32 vcc, 0, v4
	s_waitcnt lgkmcnt(0)
	v_mov_b32_dpp v5, v3 row_shr:1 row_mask:0xf bank_mask:0xf
	v_cndmask_b32_e32 v5, 0, v5, vcc
	v_add_u32_e32 v3, v5, v3
	v_cmp_lt_u32_e32 vcc, 1, v4
	s_nop 0
	v_mov_b32_dpp v5, v3 row_shr:2 row_mask:0xf bank_mask:0xf
	v_cndmask_b32_e32 v4, 0, v5, vcc
	v_add_u32_e32 v3, v3, v4
	ds_write_b32 v1, v3
.LBB1110_43:
	s_or_b64 exec, exec, s[18:19]
	v_cmp_gt_u32_e32 vcc, 64, v0
	v_cmp_lt_u32_e64 s[18:19], 63, v0
	s_waitcnt lgkmcnt(0)
	s_barrier
	s_waitcnt lgkmcnt(0)
                                        ; implicit-def: $vgpr12
	s_and_saveexec_b64 s[34:35], s[18:19]
	s_cbranch_execz .LBB1110_45
; %bb.44:
	v_lshl_add_u32 v3, v54, 2, -4
	ds_read_b32 v12, v3
	s_waitcnt lgkmcnt(0)
	v_add_u32_e32 v2, v12, v2
.LBB1110_45:
	s_or_b64 exec, exec, s[34:35]
	v_add_u32_e32 v3, -1, v53
	v_and_b32_e32 v4, 64, v53
	v_cmp_lt_i32_e64 s[18:19], v3, v4
	v_cndmask_b32_e64 v3, v3, v53, s[18:19]
	v_lshlrev_b32_e32 v3, 2, v3
	ds_bpermute_b32 v13, v3, v2
	v_cmp_eq_u32_e64 s[18:19], 0, v53
	s_and_saveexec_b64 s[34:35], vcc
	s_cbranch_execz .LBB1110_64
; %bb.46:
	v_mov_b32_e32 v9, 0
	ds_read_b32 v2, v9 offset:12
	s_and_saveexec_b64 s[36:37], s[18:19]
	s_cbranch_execz .LBB1110_48
; %bb.47:
	s_add_i32 s38, s40, 64
	s_mov_b32 s39, 0
	s_lshl_b64 s[38:39], s[38:39], 3
	s_add_u32 s38, s30, s38
	v_mov_b32_e32 v3, 1
	s_addc_u32 s39, s31, s39
	s_waitcnt lgkmcnt(0)
	global_store_dwordx2 v9, v[2:3], s[38:39]
.LBB1110_48:
	s_or_b64 exec, exec, s[36:37]
	v_xad_u32 v4, v53, -1, s40
	v_add_u32_e32 v8, 64, v4
	v_lshlrev_b64 v[6:7], 3, v[8:9]
	v_mov_b32_e32 v3, s31
	v_add_co_u32_e32 v10, vcc, s30, v6
	v_addc_co_u32_e32 v11, vcc, v3, v7, vcc
	global_load_dwordx2 v[6:7], v[10:11], off glc
	s_waitcnt vmcnt(0)
	v_cmp_eq_u16_sdwa s[38:39], v7, v9 src0_sel:BYTE_0 src1_sel:DWORD
	s_and_saveexec_b64 s[36:37], s[38:39]
	s_cbranch_execz .LBB1110_52
; %bb.49:
	s_mov_b64 s[38:39], 0
	v_mov_b32_e32 v3, 0
.LBB1110_50:                            ; =>This Inner Loop Header: Depth=1
	global_load_dwordx2 v[6:7], v[10:11], off glc
	s_waitcnt vmcnt(0)
	v_cmp_ne_u16_sdwa s[42:43], v7, v3 src0_sel:BYTE_0 src1_sel:DWORD
	s_or_b64 s[38:39], s[42:43], s[38:39]
	s_andn2_b64 exec, exec, s[38:39]
	s_cbranch_execnz .LBB1110_50
; %bb.51:
	s_or_b64 exec, exec, s[38:39]
.LBB1110_52:
	s_or_b64 exec, exec, s[36:37]
	v_and_b32_e32 v14, 63, v53
	v_mov_b32_e32 v3, 2
	v_cmp_ne_u32_e32 vcc, 63, v14
	v_cmp_eq_u16_sdwa s[36:37], v7, v3 src0_sel:BYTE_0 src1_sel:DWORD
	v_lshlrev_b64 v[8:9], v53, -1
	v_addc_co_u32_e32 v11, vcc, 0, v53, vcc
	v_and_b32_e32 v5, s37, v9
	v_lshlrev_b32_e32 v15, 2, v11
	v_or_b32_e32 v5, 0x80000000, v5
	ds_bpermute_b32 v11, v15, v6
	v_and_b32_e32 v10, s36, v8
	v_ffbl_b32_e32 v5, v5
	v_add_u32_e32 v5, 32, v5
	v_ffbl_b32_e32 v10, v10
	v_min_u32_e32 v5, v10, v5
	v_cmp_lt_u32_e32 vcc, v14, v5
	s_waitcnt lgkmcnt(0)
	v_cndmask_b32_e32 v10, 0, v11, vcc
	v_cmp_gt_u32_e32 vcc, 62, v14
	v_add_u32_e32 v6, v10, v6
	v_cndmask_b32_e64 v10, 0, 1, vcc
	v_lshlrev_b32_e32 v10, 1, v10
	v_add_lshl_u32 v16, v10, v53, 2
	ds_bpermute_b32 v10, v16, v6
	v_add_u32_e32 v17, 2, v14
	v_cmp_le_u32_e32 vcc, v17, v5
	v_add_u32_e32 v19, 4, v14
	v_add_u32_e32 v57, 8, v14
	s_waitcnt lgkmcnt(0)
	v_cndmask_b32_e32 v10, 0, v10, vcc
	v_cmp_gt_u32_e32 vcc, 60, v14
	v_add_u32_e32 v6, v6, v10
	v_cndmask_b32_e64 v10, 0, 1, vcc
	v_lshlrev_b32_e32 v10, 2, v10
	v_add_lshl_u32 v18, v10, v53, 2
	ds_bpermute_b32 v10, v18, v6
	v_cmp_le_u32_e32 vcc, v19, v5
	v_add_u32_e32 v60, 16, v14
	v_add_u32_e32 v62, 32, v14
	s_waitcnt lgkmcnt(0)
	v_cndmask_b32_e32 v10, 0, v10, vcc
	v_cmp_gt_u32_e32 vcc, 56, v14
	v_add_u32_e32 v6, v6, v10
	v_cndmask_b32_e64 v10, 0, 1, vcc
	v_lshlrev_b32_e32 v10, 3, v10
	v_add_lshl_u32 v56, v10, v53, 2
	ds_bpermute_b32 v10, v56, v6
	v_cmp_le_u32_e32 vcc, v57, v5
	s_waitcnt lgkmcnt(0)
	v_cndmask_b32_e32 v10, 0, v10, vcc
	v_cmp_gt_u32_e32 vcc, 48, v14
	v_add_u32_e32 v6, v6, v10
	v_cndmask_b32_e64 v10, 0, 1, vcc
	v_lshlrev_b32_e32 v10, 4, v10
	v_add_lshl_u32 v59, v10, v53, 2
	ds_bpermute_b32 v10, v59, v6
	v_cmp_le_u32_e32 vcc, v60, v5
	;; [unrolled: 9-line block ×3, first 2 shown]
	s_waitcnt lgkmcnt(0)
	v_cndmask_b32_e32 v5, 0, v10, vcc
	v_add_u32_e32 v6, v6, v5
	v_mov_b32_e32 v5, 0
	s_branch .LBB1110_54
.LBB1110_53:                            ;   in Loop: Header=BB1110_54 Depth=1
	s_or_b64 exec, exec, s[36:37]
	v_cmp_eq_u16_sdwa s[36:37], v7, v3 src0_sel:BYTE_0 src1_sel:DWORD
	v_and_b32_e32 v10, s37, v9
	v_or_b32_e32 v10, 0x80000000, v10
	ds_bpermute_b32 v63, v15, v6
	v_and_b32_e32 v11, s36, v8
	v_ffbl_b32_e32 v10, v10
	v_add_u32_e32 v10, 32, v10
	v_ffbl_b32_e32 v11, v11
	v_min_u32_e32 v10, v11, v10
	v_cmp_lt_u32_e32 vcc, v14, v10
	s_waitcnt lgkmcnt(0)
	v_cndmask_b32_e32 v11, 0, v63, vcc
	v_add_u32_e32 v6, v11, v6
	ds_bpermute_b32 v11, v16, v6
	v_cmp_le_u32_e32 vcc, v17, v10
	v_subrev_u32_e32 v4, 64, v4
	s_waitcnt lgkmcnt(0)
	v_cndmask_b32_e32 v11, 0, v11, vcc
	v_add_u32_e32 v6, v6, v11
	ds_bpermute_b32 v11, v18, v6
	v_cmp_le_u32_e32 vcc, v19, v10
	s_waitcnt lgkmcnt(0)
	v_cndmask_b32_e32 v11, 0, v11, vcc
	v_add_u32_e32 v6, v6, v11
	ds_bpermute_b32 v11, v56, v6
	v_cmp_le_u32_e32 vcc, v57, v10
	;; [unrolled: 5-line block ×4, first 2 shown]
	s_waitcnt lgkmcnt(0)
	v_cndmask_b32_e32 v10, 0, v11, vcc
	v_add3_u32 v6, v10, v58, v6
.LBB1110_54:                            ; =>This Loop Header: Depth=1
                                        ;     Child Loop BB1110_57 Depth 2
	v_cmp_ne_u16_sdwa s[36:37], v7, v3 src0_sel:BYTE_0 src1_sel:DWORD
	v_cndmask_b32_e64 v7, 0, 1, s[36:37]
	;;#ASMSTART
	;;#ASMEND
	v_cmp_ne_u32_e32 vcc, 0, v7
	s_cmp_lg_u64 vcc, exec
	v_mov_b32_e32 v58, v6
	s_cbranch_scc1 .LBB1110_59
; %bb.55:                               ;   in Loop: Header=BB1110_54 Depth=1
	v_lshlrev_b64 v[6:7], 3, v[4:5]
	v_mov_b32_e32 v11, s31
	v_add_co_u32_e32 v10, vcc, s30, v6
	v_addc_co_u32_e32 v11, vcc, v11, v7, vcc
	global_load_dwordx2 v[6:7], v[10:11], off glc
	s_waitcnt vmcnt(0)
	v_cmp_eq_u16_sdwa s[38:39], v7, v5 src0_sel:BYTE_0 src1_sel:DWORD
	s_and_saveexec_b64 s[36:37], s[38:39]
	s_cbranch_execz .LBB1110_53
; %bb.56:                               ;   in Loop: Header=BB1110_54 Depth=1
	s_mov_b64 s[38:39], 0
.LBB1110_57:                            ;   Parent Loop BB1110_54 Depth=1
                                        ; =>  This Inner Loop Header: Depth=2
	global_load_dwordx2 v[6:7], v[10:11], off glc
	s_waitcnt vmcnt(0)
	v_cmp_ne_u16_sdwa s[42:43], v7, v5 src0_sel:BYTE_0 src1_sel:DWORD
	s_or_b64 s[38:39], s[42:43], s[38:39]
	s_andn2_b64 exec, exec, s[38:39]
	s_cbranch_execnz .LBB1110_57
; %bb.58:                               ;   in Loop: Header=BB1110_54 Depth=1
	s_or_b64 exec, exec, s[38:39]
	s_branch .LBB1110_53
.LBB1110_59:                            ;   in Loop: Header=BB1110_54 Depth=1
                                        ; implicit-def: $vgpr6
                                        ; implicit-def: $vgpr7
	s_cbranch_execz .LBB1110_54
; %bb.60:
	s_and_saveexec_b64 s[36:37], s[18:19]
	s_cbranch_execz .LBB1110_62
; %bb.61:
	s_add_i32 s38, s40, 64
	s_mov_b32 s39, 0
	s_lshl_b64 s[38:39], s[38:39], 3
	s_add_u32 s38, s30, s38
	v_add_u32_e32 v4, v58, v2
	v_mov_b32_e32 v5, 2
	s_addc_u32 s39, s31, s39
	v_mov_b32_e32 v3, 0
	global_store_dwordx2 v3, v[4:5], s[38:39]
	s_movk_i32 s38, 0x3400
	v_add_u32_e64 v3, s38, 0
	ds_write2_b32 v3, v2, v58 offset1:2
.LBB1110_62:
	s_or_b64 exec, exec, s[36:37]
	s_and_b64 exec, exec, s[0:1]
	s_cbranch_execz .LBB1110_64
; %bb.63:
	v_mov_b32_e32 v2, 0
	ds_write_b32 v2, v58 offset:12
.LBB1110_64:
	s_or_b64 exec, exec, s[34:35]
	v_mov_b32_e32 v2, 0
	s_waitcnt lgkmcnt(0)
	s_barrier
	ds_read_b32 v2, v2 offset:12
	v_cndmask_b32_e64 v3, v13, v12, s[18:19]
	v_cndmask_b32_e64 v3, v3, 0, s[0:1]
	s_movk_i32 s18, 0x3400
	v_add_u32_e64 v12, s18, 0
	s_waitcnt lgkmcnt(0)
	v_add_u32_e32 v2, v2, v3
	v_add_u32_e32 v3, v2, v44
	;; [unrolled: 1-line block ×9, first 2 shown]
	s_barrier
	ds_read2_b32 v[18:19], v12 offset1:2
	v_add_u32_e32 v11, v10, v50
	v_add_u32_e32 v12, v11, v51
	;; [unrolled: 1-line block ×4, first 2 shown]
	s_branch .LBB1110_75
.LBB1110_65:
                                        ; implicit-def: $vgpr19
                                        ; implicit-def: $vgpr2_vgpr3_vgpr4_vgpr5_vgpr6_vgpr7_vgpr8_vgpr9_vgpr10_vgpr11_vgpr12_vgpr13_vgpr14_vgpr15_vgpr16_vgpr17
	s_cbranch_execz .LBB1110_75
; %bb.66:
	s_nop 0
	v_mov_b32_dpp v2, v55 row_shr:1 row_mask:0xf bank_mask:0xf
	v_cndmask_b32_e64 v2, v2, 0, s[16:17]
	v_add_u32_e32 v2, v2, v55
	s_nop 1
	v_mov_b32_dpp v3, v2 row_shr:2 row_mask:0xf bank_mask:0xf
	v_cndmask_b32_e64 v3, 0, v3, s[14:15]
	v_add_u32_e32 v2, v2, v3
	s_nop 1
	v_mov_b32_dpp v3, v2 row_shr:4 row_mask:0xf bank_mask:0xf
	v_cndmask_b32_e64 v3, 0, v3, s[12:13]
	v_add_u32_e32 v2, v2, v3
	s_nop 1
	v_mov_b32_dpp v3, v2 row_shr:8 row_mask:0xf bank_mask:0xf
	v_cndmask_b32_e64 v3, 0, v3, s[10:11]
	v_add_u32_e32 v2, v2, v3
	s_nop 1
	v_mov_b32_dpp v3, v2 row_bcast:15 row_mask:0xf bank_mask:0xf
	v_cndmask_b32_e64 v3, v3, 0, s[8:9]
	v_add_u32_e32 v2, v2, v3
	s_nop 1
	v_mov_b32_dpp v3, v2 row_bcast:31 row_mask:0xf bank_mask:0xf
	v_cndmask_b32_e64 v3, 0, v3, s[4:5]
	v_add_u32_e32 v2, v2, v3
	s_and_saveexec_b64 s[4:5], s[6:7]
	s_cbranch_execz .LBB1110_68
; %bb.67:
	v_lshlrev_b32_e32 v3, 2, v54
	ds_write_b32 v3, v2
.LBB1110_68:
	s_or_b64 exec, exec, s[4:5]
	v_cmp_gt_u32_e32 vcc, 4, v0
	s_waitcnt lgkmcnt(0)
	s_barrier
	s_and_saveexec_b64 s[4:5], vcc
	s_cbranch_execz .LBB1110_70
; %bb.69:
	ds_read_b32 v3, v1
	v_and_b32_e32 v4, 3, v53
	v_cmp_ne_u32_e32 vcc, 0, v4
	s_waitcnt lgkmcnt(0)
	v_mov_b32_dpp v5, v3 row_shr:1 row_mask:0xf bank_mask:0xf
	v_cndmask_b32_e32 v5, 0, v5, vcc
	v_add_u32_e32 v3, v5, v3
	v_cmp_lt_u32_e32 vcc, 1, v4
	s_nop 0
	v_mov_b32_dpp v5, v3 row_shr:2 row_mask:0xf bank_mask:0xf
	v_cndmask_b32_e32 v4, 0, v5, vcc
	v_add_u32_e32 v3, v3, v4
	ds_write_b32 v1, v3
.LBB1110_70:
	s_or_b64 exec, exec, s[4:5]
	v_cmp_lt_u32_e32 vcc, 63, v0
	v_mov_b32_e32 v4, 0
	v_mov_b32_e32 v3, 0
	s_waitcnt lgkmcnt(0)
	s_barrier
	s_and_saveexec_b64 s[4:5], vcc
	s_cbranch_execz .LBB1110_72
; %bb.71:
	v_lshl_add_u32 v3, v54, 2, -4
	ds_read_b32 v3, v3
.LBB1110_72:
	s_or_b64 exec, exec, s[4:5]
	v_add_u32_e32 v5, -1, v53
	v_and_b32_e32 v6, 64, v53
	v_cmp_lt_i32_e32 vcc, v5, v6
	v_cndmask_b32_e32 v5, v5, v53, vcc
	s_waitcnt lgkmcnt(0)
	v_add_u32_e32 v2, v3, v2
	v_lshlrev_b32_e32 v5, 2, v5
	ds_bpermute_b32 v2, v5, v2
	ds_read_b32 v18, v4 offset:12
	s_and_saveexec_b64 s[4:5], s[0:1]
	s_cbranch_execz .LBB1110_74
; %bb.73:
	v_mov_b32_e32 v4, 0
	v_mov_b32_e32 v19, 2
	s_waitcnt lgkmcnt(0)
	global_store_dwordx2 v4, v[18:19], s[30:31] offset:512
.LBB1110_74:
	s_or_b64 exec, exec, s[4:5]
	v_cmp_eq_u32_e32 vcc, 0, v53
	s_waitcnt lgkmcnt(1)
	v_cndmask_b32_e32 v2, v2, v3, vcc
	v_cndmask_b32_e64 v2, v2, 0, s[0:1]
	v_add_u32_e32 v3, v2, v44
	v_add_u32_e32 v4, v3, v45
	;; [unrolled: 1-line block ×11, first 2 shown]
	v_mov_b32_e32 v19, 0
	v_add_u32_e32 v14, v13, v41
	s_waitcnt lgkmcnt(0)
	s_barrier
.LBB1110_75:
	s_waitcnt lgkmcnt(0)
	v_add_u32_e32 v36, v18, v36
	v_sub_u32_e32 v2, v2, v19
	v_and_b32_e32 v45, 1, v40
	v_sub_u32_e32 v44, v36, v2
	v_cmp_eq_u32_e32 vcc, 1, v45
	v_cndmask_b32_e32 v2, v44, v2, vcc
	v_lshlrev_b32_e32 v2, 2, v2
	v_lshrrev_b32_e32 v17, 8, v40
	ds_write_b32 v2, v32
	v_sub_u32_e32 v2, v3, v19
	v_sub_u32_e32 v3, v36, v2
	v_and_b32_e32 v17, 1, v17
	v_add_u32_e32 v3, 1, v3
	v_cmp_eq_u32_e32 vcc, 1, v17
	v_cndmask_b32_e32 v2, v3, v2, vcc
	v_lshlrev_b32_e32 v2, 2, v2
	ds_write_b32 v2, v33
	v_sub_u32_e32 v2, v4, v19
	v_mov_b32_e32 v4, 1
	v_sub_u32_e32 v3, v36, v2
	v_and_b32_sdwa v17, v4, v40 dst_sel:DWORD dst_unused:UNUSED_PAD src0_sel:DWORD src1_sel:WORD_1
	v_add_u32_e32 v3, 2, v3
	v_cmp_eq_u32_e32 vcc, 1, v17
	v_cndmask_b32_e32 v2, v3, v2, vcc
	v_lshlrev_b32_e32 v2, 2, v2
	ds_write_b32 v2, v30
	v_sub_u32_e32 v2, v5, v19
	v_sub_u32_e32 v3, v36, v2
	v_and_b32_e32 v5, 1, v43
	v_add_u32_e32 v3, 3, v3
	v_cmp_eq_u32_e32 vcc, 1, v5
	v_cndmask_b32_e32 v2, v3, v2, vcc
	v_lshlrev_b32_e32 v2, 2, v2
	ds_write_b32 v2, v31
	v_sub_u32_e32 v2, v6, v19
	v_sub_u32_e32 v3, v36, v2
	v_and_b32_e32 v5, 1, v39
	v_add_u32_e32 v3, 4, v3
	v_cmp_eq_u32_e32 vcc, 1, v5
	v_cndmask_b32_e32 v2, v3, v2, vcc
	v_lshlrev_b32_e32 v2, 2, v2
	v_lshrrev_b32_e32 v16, 8, v39
	ds_write_b32 v2, v28
	v_sub_u32_e32 v2, v7, v19
	v_sub_u32_e32 v3, v36, v2
	v_and_b32_e32 v5, 1, v16
	v_add_u32_e32 v3, 5, v3
	v_cmp_eq_u32_e32 vcc, 1, v5
	v_cndmask_b32_e32 v2, v3, v2, vcc
	v_lshlrev_b32_e32 v2, 2, v2
	ds_write_b32 v2, v29
	v_sub_u32_e32 v2, v8, v19
	v_sub_u32_e32 v3, v36, v2
	v_and_b32_sdwa v5, v4, v39 dst_sel:DWORD dst_unused:UNUSED_PAD src0_sel:DWORD src1_sel:WORD_1
	v_add_u32_e32 v3, 6, v3
	v_cmp_eq_u32_e32 vcc, 1, v5
	v_cndmask_b32_e32 v2, v3, v2, vcc
	v_lshlrev_b32_e32 v2, 2, v2
	ds_write_b32 v2, v26
	v_sub_u32_e32 v2, v9, v19
	v_sub_u32_e32 v3, v36, v2
	v_and_b32_e32 v5, 1, v42
	v_add_u32_e32 v3, 7, v3
	v_cmp_eq_u32_e32 vcc, 1, v5
	v_cndmask_b32_e32 v2, v3, v2, vcc
	v_lshlrev_b32_e32 v2, 2, v2
	ds_write_b32 v2, v27
	v_sub_u32_e32 v2, v10, v19
	v_sub_u32_e32 v3, v36, v2
	v_and_b32_e32 v5, 1, v38
	v_add_u32_e32 v3, 8, v3
	v_cmp_eq_u32_e32 vcc, 1, v5
	v_cndmask_b32_e32 v2, v3, v2, vcc
	v_lshlrev_b32_e32 v2, 2, v2
	v_lshrrev_b32_e32 v15, 8, v38
	ds_write_b32 v2, v24
	v_sub_u32_e32 v2, v11, v19
	v_sub_u32_e32 v3, v36, v2
	v_and_b32_e32 v5, 1, v15
	v_add_u32_e32 v3, 9, v3
	v_cmp_eq_u32_e32 vcc, 1, v5
	v_cndmask_b32_e32 v2, v3, v2, vcc
	v_lshlrev_b32_e32 v2, 2, v2
	ds_write_b32 v2, v25
	v_sub_u32_e32 v2, v12, v19
	v_sub_u32_e32 v3, v36, v2
	v_and_b32_sdwa v4, v4, v38 dst_sel:DWORD dst_unused:UNUSED_PAD src0_sel:DWORD src1_sel:WORD_1
	v_add_u32_e32 v3, 10, v3
	v_cmp_eq_u32_e32 vcc, 1, v4
	v_cndmask_b32_e32 v2, v3, v2, vcc
	v_lshlrev_b32_e32 v2, 2, v2
	ds_write_b32 v2, v22
	v_sub_u32_e32 v2, v13, v19
	v_sub_u32_e32 v3, v36, v2
	v_and_b32_e32 v4, 1, v41
	v_add_u32_e32 v3, 11, v3
	v_cmp_eq_u32_e32 vcc, 1, v4
	v_cndmask_b32_e32 v2, v3, v2, vcc
	v_lshlrev_b32_e32 v2, 2, v2
	ds_write_b32 v2, v23
	v_sub_u32_e32 v2, v14, v19
	v_sub_u32_e32 v3, v36, v2
	v_and_b32_e32 v4, 1, v37
	v_add_u32_e32 v3, 12, v3
	v_cmp_eq_u32_e32 vcc, 1, v4
	v_cndmask_b32_e32 v2, v3, v2, vcc
	v_lshlrev_b32_e32 v2, 2, v2
	ds_write_b32 v2, v35
	s_waitcnt lgkmcnt(0)
	s_barrier
	ds_read2st64_b32 v[12:13], v1 offset1:4
	ds_read2st64_b32 v[10:11], v1 offset0:8 offset1:12
	ds_read2st64_b32 v[8:9], v1 offset0:16 offset1:20
	;; [unrolled: 1-line block ×5, first 2 shown]
	ds_read_b32 v17, v1 offset:12288
	s_waitcnt vmcnt(0)
	v_add_co_u32_e32 v1, vcc, v20, v19
	v_addc_co_u32_e32 v16, vcc, 0, v21, vcc
	v_mov_b32_e32 v14, s29
	v_add_co_u32_e32 v15, vcc, s28, v34
	v_addc_co_u32_e32 v14, vcc, 0, v14, vcc
	v_mov_b32_e32 v19, s27
	v_sub_co_u32_e32 v15, vcc, s26, v15
	v_subb_co_u32_e32 v14, vcc, v19, v14, vcc
	v_add_co_u32_e32 v15, vcc, v15, v18
	v_addc_co_u32_e32 v14, vcc, 0, v14, vcc
	s_and_b64 vcc, exec, s[2:3]
	v_add_co_u32_e64 v19, s[2:3], v15, v1
	v_or_b32_e32 v33, 0x100, v0
	v_or_b32_e32 v32, 0x200, v0
	;; [unrolled: 1-line block ×12, first 2 shown]
	v_addc_co_u32_e64 v20, s[2:3], v14, v16, s[2:3]
	s_cbranch_vccnz .LBB1110_132
; %bb.76:
	v_cmp_ge_u32_e32 vcc, v0, v18
                                        ; implicit-def: $vgpr14_vgpr15
	s_and_saveexec_b64 s[2:3], vcc
	s_xor_b64 s[2:3], exec, s[2:3]
; %bb.77:
	v_not_b32_e32 v14, v0
	v_ashrrev_i32_e32 v15, 31, v14
	v_add_co_u32_e32 v14, vcc, v19, v14
	v_addc_co_u32_e32 v15, vcc, v20, v15, vcc
; %bb.78:
	s_andn2_saveexec_b64 s[2:3], s[2:3]
; %bb.79:
	v_add_co_u32_e32 v14, vcc, v1, v0
	v_addc_co_u32_e32 v15, vcc, 0, v16, vcc
; %bb.80:
	s_or_b64 exec, exec, s[2:3]
	v_lshlrev_b64 v[14:15], 2, v[14:15]
	v_mov_b32_e32 v21, s25
	v_add_co_u32_e32 v14, vcc, s24, v14
	v_addc_co_u32_e32 v15, vcc, v21, v15, vcc
	v_cmp_ge_u32_e32 vcc, v33, v18
	s_waitcnt lgkmcnt(6)
	global_store_dword v[14:15], v12, off
                                        ; implicit-def: $vgpr14_vgpr15
	s_and_saveexec_b64 s[2:3], vcc
	s_xor_b64 s[2:3], exec, s[2:3]
; %bb.81:
	v_xor_b32_e32 v14, 0xfffffeff, v0
	v_ashrrev_i32_e32 v15, 31, v14
	v_add_co_u32_e32 v14, vcc, v19, v14
	v_addc_co_u32_e32 v15, vcc, v20, v15, vcc
; %bb.82:
	s_andn2_saveexec_b64 s[2:3], s[2:3]
; %bb.83:
	v_add_co_u32_e32 v14, vcc, v1, v33
	v_addc_co_u32_e32 v15, vcc, 0, v16, vcc
; %bb.84:
	s_or_b64 exec, exec, s[2:3]
	v_lshlrev_b64 v[14:15], 2, v[14:15]
	v_mov_b32_e32 v21, s25
	v_add_co_u32_e32 v14, vcc, s24, v14
	v_addc_co_u32_e32 v15, vcc, v21, v15, vcc
	v_cmp_ge_u32_e32 vcc, v32, v18
	global_store_dword v[14:15], v13, off
                                        ; implicit-def: $vgpr14_vgpr15
	s_and_saveexec_b64 s[2:3], vcc
	s_xor_b64 s[2:3], exec, s[2:3]
; %bb.85:
	v_xor_b32_e32 v14, 0xfffffdff, v0
	v_ashrrev_i32_e32 v15, 31, v14
	v_add_co_u32_e32 v14, vcc, v19, v14
	v_addc_co_u32_e32 v15, vcc, v20, v15, vcc
; %bb.86:
	s_andn2_saveexec_b64 s[2:3], s[2:3]
; %bb.87:
	v_add_co_u32_e32 v14, vcc, v1, v32
	v_addc_co_u32_e32 v15, vcc, 0, v16, vcc
; %bb.88:
	s_or_b64 exec, exec, s[2:3]
	v_lshlrev_b64 v[14:15], 2, v[14:15]
	v_mov_b32_e32 v21, s25
	v_add_co_u32_e32 v14, vcc, s24, v14
	v_addc_co_u32_e32 v15, vcc, v21, v15, vcc
	v_cmp_ge_u32_e32 vcc, v31, v18
	s_waitcnt lgkmcnt(5)
	global_store_dword v[14:15], v10, off
                                        ; implicit-def: $vgpr14_vgpr15
	s_and_saveexec_b64 s[2:3], vcc
	s_xor_b64 s[2:3], exec, s[2:3]
; %bb.89:
	v_xor_b32_e32 v14, 0xfffffcff, v0
	v_ashrrev_i32_e32 v15, 31, v14
	v_add_co_u32_e32 v14, vcc, v19, v14
	v_addc_co_u32_e32 v15, vcc, v20, v15, vcc
; %bb.90:
	s_andn2_saveexec_b64 s[2:3], s[2:3]
; %bb.91:
	v_add_co_u32_e32 v14, vcc, v1, v31
	v_addc_co_u32_e32 v15, vcc, 0, v16, vcc
; %bb.92:
	s_or_b64 exec, exec, s[2:3]
	v_lshlrev_b64 v[14:15], 2, v[14:15]
	v_mov_b32_e32 v21, s25
	v_add_co_u32_e32 v14, vcc, s24, v14
	v_addc_co_u32_e32 v15, vcc, v21, v15, vcc
	v_cmp_ge_u32_e32 vcc, v30, v18
	global_store_dword v[14:15], v11, off
                                        ; implicit-def: $vgpr14_vgpr15
	s_and_saveexec_b64 s[2:3], vcc
	s_xor_b64 s[2:3], exec, s[2:3]
; %bb.93:
	v_xor_b32_e32 v14, 0xfffffbff, v0
	;; [unrolled: 43-line block ×6, first 2 shown]
	v_ashrrev_i32_e32 v15, 31, v14
	v_add_co_u32_e32 v14, vcc, v19, v14
	v_addc_co_u32_e32 v15, vcc, v20, v15, vcc
; %bb.126:
	s_andn2_saveexec_b64 s[2:3], s[2:3]
; %bb.127:
	v_add_co_u32_e32 v14, vcc, v1, v22
	v_addc_co_u32_e32 v15, vcc, 0, v16, vcc
; %bb.128:
	s_or_b64 exec, exec, s[2:3]
	s_mov_b64 s[2:3], -1
.LBB1110_129:
	s_and_saveexec_b64 s[4:5], s[2:3]
	s_cbranch_execz .LBB1110_212
.LBB1110_130:
	s_waitcnt lgkmcnt(1)
	v_lshlrev_b64 v[2:3], 2, v[14:15]
	v_mov_b32_e32 v0, s25
	v_add_co_u32_e32 v2, vcc, s24, v2
	v_addc_co_u32_e32 v3, vcc, v0, v3, vcc
	s_waitcnt lgkmcnt(0)
	global_store_dword v[2:3], v17, off
	s_or_b64 exec, exec, s[4:5]
	s_and_b64 s[0:1], s[0:1], s[22:23]
	s_and_saveexec_b64 s[2:3], s[0:1]
	s_cbranch_execnz .LBB1110_213
.LBB1110_131:
	s_endpgm
.LBB1110_132:
	s_mov_b64 s[2:3], 0
                                        ; implicit-def: $vgpr14_vgpr15
	s_cbranch_execz .LBB1110_129
; %bb.133:
	v_cmp_gt_u32_e32 vcc, s33, v0
	s_and_saveexec_b64 s[4:5], vcc
	s_cbranch_execz .LBB1110_169
; %bb.134:
	v_cmp_ge_u32_e32 vcc, v0, v18
                                        ; implicit-def: $vgpr14_vgpr15
	s_and_saveexec_b64 s[6:7], vcc
	s_xor_b64 s[6:7], exec, s[6:7]
; %bb.135:
	v_not_b32_e32 v14, v0
	v_ashrrev_i32_e32 v15, 31, v14
	v_add_co_u32_e32 v14, vcc, v19, v14
	v_addc_co_u32_e32 v15, vcc, v20, v15, vcc
; %bb.136:
	s_andn2_saveexec_b64 s[6:7], s[6:7]
; %bb.137:
	v_add_co_u32_e32 v14, vcc, v1, v0
	v_addc_co_u32_e32 v15, vcc, 0, v16, vcc
; %bb.138:
	s_or_b64 exec, exec, s[6:7]
	v_lshlrev_b64 v[14:15], 2, v[14:15]
	v_mov_b32_e32 v21, s25
	v_add_co_u32_e32 v14, vcc, s24, v14
	v_addc_co_u32_e32 v15, vcc, v21, v15, vcc
	s_waitcnt lgkmcnt(6)
	global_store_dword v[14:15], v12, off
	s_or_b64 exec, exec, s[4:5]
	v_cmp_gt_u32_e32 vcc, s33, v33
	s_and_saveexec_b64 s[4:5], vcc
	s_cbranch_execnz .LBB1110_170
.LBB1110_139:
	s_or_b64 exec, exec, s[4:5]
	v_cmp_gt_u32_e32 vcc, s33, v32
	s_and_saveexec_b64 s[4:5], vcc
	s_cbranch_execz .LBB1110_175
.LBB1110_140:
	v_cmp_ge_u32_e32 vcc, v32, v18
                                        ; implicit-def: $vgpr12_vgpr13
	s_and_saveexec_b64 s[6:7], vcc
	s_xor_b64 s[6:7], exec, s[6:7]
	s_cbranch_execz .LBB1110_142
; %bb.141:
	s_waitcnt lgkmcnt(6)
	v_xor_b32_e32 v12, 0xfffffdff, v0
	v_ashrrev_i32_e32 v13, 31, v12
	v_add_co_u32_e32 v12, vcc, v19, v12
	v_addc_co_u32_e32 v13, vcc, v20, v13, vcc
                                        ; implicit-def: $vgpr32
.LBB1110_142:
	s_andn2_saveexec_b64 s[6:7], s[6:7]
	s_cbranch_execz .LBB1110_144
; %bb.143:
	s_waitcnt lgkmcnt(6)
	v_add_co_u32_e32 v12, vcc, v1, v32
	v_addc_co_u32_e32 v13, vcc, 0, v16, vcc
.LBB1110_144:
	s_or_b64 exec, exec, s[6:7]
	s_waitcnt lgkmcnt(6)
	v_lshlrev_b64 v[12:13], 2, v[12:13]
	v_mov_b32_e32 v14, s25
	v_add_co_u32_e32 v12, vcc, s24, v12
	v_addc_co_u32_e32 v13, vcc, v14, v13, vcc
	s_waitcnt lgkmcnt(5)
	global_store_dword v[12:13], v10, off
	s_or_b64 exec, exec, s[4:5]
	v_cmp_gt_u32_e32 vcc, s33, v31
	s_and_saveexec_b64 s[4:5], vcc
	s_cbranch_execnz .LBB1110_176
.LBB1110_145:
	s_or_b64 exec, exec, s[4:5]
	v_cmp_gt_u32_e32 vcc, s33, v30
	s_and_saveexec_b64 s[4:5], vcc
	s_cbranch_execz .LBB1110_181
.LBB1110_146:
	v_cmp_ge_u32_e32 vcc, v30, v18
                                        ; implicit-def: $vgpr10_vgpr11
	s_and_saveexec_b64 s[6:7], vcc
	s_xor_b64 s[6:7], exec, s[6:7]
	s_cbranch_execz .LBB1110_148
; %bb.147:
	s_waitcnt lgkmcnt(5)
	v_xor_b32_e32 v10, 0xfffffbff, v0
	v_ashrrev_i32_e32 v11, 31, v10
	v_add_co_u32_e32 v10, vcc, v19, v10
	v_addc_co_u32_e32 v11, vcc, v20, v11, vcc
                                        ; implicit-def: $vgpr30
.LBB1110_148:
	s_andn2_saveexec_b64 s[6:7], s[6:7]
	s_cbranch_execz .LBB1110_150
; %bb.149:
	s_waitcnt lgkmcnt(5)
	v_add_co_u32_e32 v10, vcc, v1, v30
	v_addc_co_u32_e32 v11, vcc, 0, v16, vcc
.LBB1110_150:
	s_or_b64 exec, exec, s[6:7]
	s_waitcnt lgkmcnt(5)
	v_lshlrev_b64 v[10:11], 2, v[10:11]
	v_mov_b32_e32 v12, s25
	v_add_co_u32_e32 v10, vcc, s24, v10
	v_addc_co_u32_e32 v11, vcc, v12, v11, vcc
	s_waitcnt lgkmcnt(4)
	global_store_dword v[10:11], v8, off
	s_or_b64 exec, exec, s[4:5]
	v_cmp_gt_u32_e32 vcc, s33, v29
	s_and_saveexec_b64 s[4:5], vcc
	s_cbranch_execnz .LBB1110_182
.LBB1110_151:
	s_or_b64 exec, exec, s[4:5]
	v_cmp_gt_u32_e32 vcc, s33, v28
	s_and_saveexec_b64 s[4:5], vcc
	s_cbranch_execz .LBB1110_187
.LBB1110_152:
	v_cmp_ge_u32_e32 vcc, v28, v18
                                        ; implicit-def: $vgpr8_vgpr9
	s_and_saveexec_b64 s[6:7], vcc
	s_xor_b64 s[6:7], exec, s[6:7]
	s_cbranch_execz .LBB1110_154
; %bb.153:
	s_waitcnt lgkmcnt(4)
	v_xor_b32_e32 v8, 0xfffff9ff, v0
	v_ashrrev_i32_e32 v9, 31, v8
	v_add_co_u32_e32 v8, vcc, v19, v8
	v_addc_co_u32_e32 v9, vcc, v20, v9, vcc
                                        ; implicit-def: $vgpr28
.LBB1110_154:
	s_andn2_saveexec_b64 s[6:7], s[6:7]
	s_cbranch_execz .LBB1110_156
; %bb.155:
	s_waitcnt lgkmcnt(4)
	v_add_co_u32_e32 v8, vcc, v1, v28
	v_addc_co_u32_e32 v9, vcc, 0, v16, vcc
.LBB1110_156:
	s_or_b64 exec, exec, s[6:7]
	s_waitcnt lgkmcnt(4)
	v_lshlrev_b64 v[8:9], 2, v[8:9]
	v_mov_b32_e32 v10, s25
	v_add_co_u32_e32 v8, vcc, s24, v8
	v_addc_co_u32_e32 v9, vcc, v10, v9, vcc
	s_waitcnt lgkmcnt(3)
	global_store_dword v[8:9], v6, off
	s_or_b64 exec, exec, s[4:5]
	v_cmp_gt_u32_e32 vcc, s33, v27
	s_and_saveexec_b64 s[4:5], vcc
	s_cbranch_execnz .LBB1110_188
.LBB1110_157:
	s_or_b64 exec, exec, s[4:5]
	v_cmp_gt_u32_e32 vcc, s33, v26
	s_and_saveexec_b64 s[4:5], vcc
	s_cbranch_execz .LBB1110_193
.LBB1110_158:
	v_cmp_ge_u32_e32 vcc, v26, v18
                                        ; implicit-def: $vgpr6_vgpr7
	s_and_saveexec_b64 s[6:7], vcc
	s_xor_b64 s[6:7], exec, s[6:7]
	s_cbranch_execz .LBB1110_160
; %bb.159:
	s_waitcnt lgkmcnt(3)
	v_xor_b32_e32 v6, 0xfffff7ff, v0
	v_ashrrev_i32_e32 v7, 31, v6
	v_add_co_u32_e32 v6, vcc, v19, v6
	v_addc_co_u32_e32 v7, vcc, v20, v7, vcc
                                        ; implicit-def: $vgpr26
.LBB1110_160:
	s_andn2_saveexec_b64 s[6:7], s[6:7]
	s_cbranch_execz .LBB1110_162
; %bb.161:
	s_waitcnt lgkmcnt(3)
	v_add_co_u32_e32 v6, vcc, v1, v26
	v_addc_co_u32_e32 v7, vcc, 0, v16, vcc
.LBB1110_162:
	s_or_b64 exec, exec, s[6:7]
	s_waitcnt lgkmcnt(3)
	v_lshlrev_b64 v[6:7], 2, v[6:7]
	v_mov_b32_e32 v8, s25
	v_add_co_u32_e32 v6, vcc, s24, v6
	v_addc_co_u32_e32 v7, vcc, v8, v7, vcc
	s_waitcnt lgkmcnt(2)
	global_store_dword v[6:7], v4, off
	s_or_b64 exec, exec, s[4:5]
	v_cmp_gt_u32_e32 vcc, s33, v25
	s_and_saveexec_b64 s[4:5], vcc
	s_cbranch_execnz .LBB1110_194
.LBB1110_163:
	s_or_b64 exec, exec, s[4:5]
	v_cmp_gt_u32_e32 vcc, s33, v24
	s_and_saveexec_b64 s[4:5], vcc
	s_cbranch_execz .LBB1110_199
.LBB1110_164:
	v_cmp_ge_u32_e32 vcc, v24, v18
                                        ; implicit-def: $vgpr4_vgpr5
	s_and_saveexec_b64 s[6:7], vcc
	s_xor_b64 s[6:7], exec, s[6:7]
	s_cbranch_execz .LBB1110_166
; %bb.165:
	s_waitcnt lgkmcnt(2)
	v_xor_b32_e32 v4, 0xfffff5ff, v0
	v_ashrrev_i32_e32 v5, 31, v4
	v_add_co_u32_e32 v4, vcc, v19, v4
	v_addc_co_u32_e32 v5, vcc, v20, v5, vcc
                                        ; implicit-def: $vgpr24
.LBB1110_166:
	s_andn2_saveexec_b64 s[6:7], s[6:7]
	s_cbranch_execz .LBB1110_168
; %bb.167:
	s_waitcnt lgkmcnt(2)
	v_add_co_u32_e32 v4, vcc, v1, v24
	v_addc_co_u32_e32 v5, vcc, 0, v16, vcc
.LBB1110_168:
	s_or_b64 exec, exec, s[6:7]
	s_waitcnt lgkmcnt(2)
	v_lshlrev_b64 v[4:5], 2, v[4:5]
	v_mov_b32_e32 v6, s25
	v_add_co_u32_e32 v4, vcc, s24, v4
	v_addc_co_u32_e32 v5, vcc, v6, v5, vcc
	s_waitcnt lgkmcnt(1)
	global_store_dword v[4:5], v2, off
	s_or_b64 exec, exec, s[4:5]
	v_cmp_gt_u32_e32 vcc, s33, v23
	s_and_saveexec_b64 s[4:5], vcc
	s_cbranch_execz .LBB1110_205
	s_branch .LBB1110_200
.LBB1110_169:
	s_or_b64 exec, exec, s[4:5]
	v_cmp_gt_u32_e32 vcc, s33, v33
	s_and_saveexec_b64 s[4:5], vcc
	s_cbranch_execz .LBB1110_139
.LBB1110_170:
	v_cmp_ge_u32_e32 vcc, v33, v18
                                        ; implicit-def: $vgpr14_vgpr15
	s_and_saveexec_b64 s[6:7], vcc
	s_xor_b64 s[6:7], exec, s[6:7]
	s_cbranch_execz .LBB1110_172
; %bb.171:
	s_waitcnt lgkmcnt(6)
	v_xor_b32_e32 v12, 0xfffffeff, v0
	v_ashrrev_i32_e32 v15, 31, v12
	v_add_co_u32_e32 v14, vcc, v19, v12
	v_addc_co_u32_e32 v15, vcc, v20, v15, vcc
                                        ; implicit-def: $vgpr33
.LBB1110_172:
	s_andn2_saveexec_b64 s[6:7], s[6:7]
; %bb.173:
	v_add_co_u32_e32 v14, vcc, v1, v33
	v_addc_co_u32_e32 v15, vcc, 0, v16, vcc
; %bb.174:
	s_or_b64 exec, exec, s[6:7]
	v_lshlrev_b64 v[14:15], 2, v[14:15]
	s_waitcnt lgkmcnt(6)
	v_mov_b32_e32 v12, s25
	v_add_co_u32_e32 v14, vcc, s24, v14
	v_addc_co_u32_e32 v15, vcc, v12, v15, vcc
	global_store_dword v[14:15], v13, off
	s_or_b64 exec, exec, s[4:5]
	v_cmp_gt_u32_e32 vcc, s33, v32
	s_and_saveexec_b64 s[4:5], vcc
	s_cbranch_execnz .LBB1110_140
.LBB1110_175:
	s_or_b64 exec, exec, s[4:5]
	v_cmp_gt_u32_e32 vcc, s33, v31
	s_and_saveexec_b64 s[4:5], vcc
	s_cbranch_execz .LBB1110_145
.LBB1110_176:
	v_cmp_ge_u32_e32 vcc, v31, v18
                                        ; implicit-def: $vgpr12_vgpr13
	s_and_saveexec_b64 s[6:7], vcc
	s_xor_b64 s[6:7], exec, s[6:7]
	s_cbranch_execz .LBB1110_178
; %bb.177:
	s_waitcnt lgkmcnt(5)
	v_xor_b32_e32 v10, 0xfffffcff, v0
	v_ashrrev_i32_e32 v13, 31, v10
	v_add_co_u32_e32 v12, vcc, v19, v10
	v_addc_co_u32_e32 v13, vcc, v20, v13, vcc
                                        ; implicit-def: $vgpr31
.LBB1110_178:
	s_andn2_saveexec_b64 s[6:7], s[6:7]
	s_cbranch_execz .LBB1110_180
; %bb.179:
	s_waitcnt lgkmcnt(6)
	v_add_co_u32_e32 v12, vcc, v1, v31
	v_addc_co_u32_e32 v13, vcc, 0, v16, vcc
.LBB1110_180:
	s_or_b64 exec, exec, s[6:7]
	s_waitcnt lgkmcnt(6)
	v_lshlrev_b64 v[12:13], 2, v[12:13]
	s_waitcnt lgkmcnt(5)
	v_mov_b32_e32 v10, s25
	v_add_co_u32_e32 v12, vcc, s24, v12
	v_addc_co_u32_e32 v13, vcc, v10, v13, vcc
	global_store_dword v[12:13], v11, off
	s_or_b64 exec, exec, s[4:5]
	v_cmp_gt_u32_e32 vcc, s33, v30
	s_and_saveexec_b64 s[4:5], vcc
	s_cbranch_execnz .LBB1110_146
.LBB1110_181:
	s_or_b64 exec, exec, s[4:5]
	v_cmp_gt_u32_e32 vcc, s33, v29
	s_and_saveexec_b64 s[4:5], vcc
	s_cbranch_execz .LBB1110_151
.LBB1110_182:
	v_cmp_ge_u32_e32 vcc, v29, v18
                                        ; implicit-def: $vgpr10_vgpr11
	s_and_saveexec_b64 s[6:7], vcc
	s_xor_b64 s[6:7], exec, s[6:7]
	s_cbranch_execz .LBB1110_184
; %bb.183:
	s_waitcnt lgkmcnt(4)
	v_xor_b32_e32 v8, 0xfffffaff, v0
	v_ashrrev_i32_e32 v11, 31, v8
	v_add_co_u32_e32 v10, vcc, v19, v8
	v_addc_co_u32_e32 v11, vcc, v20, v11, vcc
                                        ; implicit-def: $vgpr29
.LBB1110_184:
	s_andn2_saveexec_b64 s[6:7], s[6:7]
	s_cbranch_execz .LBB1110_186
; %bb.185:
	s_waitcnt lgkmcnt(5)
	v_add_co_u32_e32 v10, vcc, v1, v29
	v_addc_co_u32_e32 v11, vcc, 0, v16, vcc
.LBB1110_186:
	s_or_b64 exec, exec, s[6:7]
	s_waitcnt lgkmcnt(5)
	v_lshlrev_b64 v[10:11], 2, v[10:11]
	s_waitcnt lgkmcnt(4)
	v_mov_b32_e32 v8, s25
	v_add_co_u32_e32 v10, vcc, s24, v10
	v_addc_co_u32_e32 v11, vcc, v8, v11, vcc
	global_store_dword v[10:11], v9, off
	s_or_b64 exec, exec, s[4:5]
	v_cmp_gt_u32_e32 vcc, s33, v28
	s_and_saveexec_b64 s[4:5], vcc
	s_cbranch_execnz .LBB1110_152
.LBB1110_187:
	s_or_b64 exec, exec, s[4:5]
	v_cmp_gt_u32_e32 vcc, s33, v27
	s_and_saveexec_b64 s[4:5], vcc
	s_cbranch_execz .LBB1110_157
.LBB1110_188:
	v_cmp_ge_u32_e32 vcc, v27, v18
                                        ; implicit-def: $vgpr8_vgpr9
	s_and_saveexec_b64 s[6:7], vcc
	s_xor_b64 s[6:7], exec, s[6:7]
	s_cbranch_execz .LBB1110_190
; %bb.189:
	s_waitcnt lgkmcnt(3)
	v_xor_b32_e32 v6, 0xfffff8ff, v0
	v_ashrrev_i32_e32 v9, 31, v6
	v_add_co_u32_e32 v8, vcc, v19, v6
	v_addc_co_u32_e32 v9, vcc, v20, v9, vcc
                                        ; implicit-def: $vgpr27
.LBB1110_190:
	s_andn2_saveexec_b64 s[6:7], s[6:7]
	s_cbranch_execz .LBB1110_192
; %bb.191:
	s_waitcnt lgkmcnt(4)
	v_add_co_u32_e32 v8, vcc, v1, v27
	v_addc_co_u32_e32 v9, vcc, 0, v16, vcc
.LBB1110_192:
	s_or_b64 exec, exec, s[6:7]
	s_waitcnt lgkmcnt(4)
	v_lshlrev_b64 v[8:9], 2, v[8:9]
	s_waitcnt lgkmcnt(3)
	v_mov_b32_e32 v6, s25
	v_add_co_u32_e32 v8, vcc, s24, v8
	v_addc_co_u32_e32 v9, vcc, v6, v9, vcc
	global_store_dword v[8:9], v7, off
	s_or_b64 exec, exec, s[4:5]
	v_cmp_gt_u32_e32 vcc, s33, v26
	s_and_saveexec_b64 s[4:5], vcc
	s_cbranch_execnz .LBB1110_158
.LBB1110_193:
	s_or_b64 exec, exec, s[4:5]
	v_cmp_gt_u32_e32 vcc, s33, v25
	s_and_saveexec_b64 s[4:5], vcc
	s_cbranch_execz .LBB1110_163
.LBB1110_194:
	v_cmp_ge_u32_e32 vcc, v25, v18
                                        ; implicit-def: $vgpr6_vgpr7
	s_and_saveexec_b64 s[6:7], vcc
	s_xor_b64 s[6:7], exec, s[6:7]
	s_cbranch_execz .LBB1110_196
; %bb.195:
	s_waitcnt lgkmcnt(2)
	v_xor_b32_e32 v4, 0xfffff6ff, v0
	v_ashrrev_i32_e32 v7, 31, v4
	v_add_co_u32_e32 v6, vcc, v19, v4
	v_addc_co_u32_e32 v7, vcc, v20, v7, vcc
                                        ; implicit-def: $vgpr25
.LBB1110_196:
	s_andn2_saveexec_b64 s[6:7], s[6:7]
	s_cbranch_execz .LBB1110_198
; %bb.197:
	s_waitcnt lgkmcnt(3)
	v_add_co_u32_e32 v6, vcc, v1, v25
	v_addc_co_u32_e32 v7, vcc, 0, v16, vcc
.LBB1110_198:
	s_or_b64 exec, exec, s[6:7]
	s_waitcnt lgkmcnt(3)
	v_lshlrev_b64 v[6:7], 2, v[6:7]
	s_waitcnt lgkmcnt(2)
	v_mov_b32_e32 v4, s25
	v_add_co_u32_e32 v6, vcc, s24, v6
	v_addc_co_u32_e32 v7, vcc, v4, v7, vcc
	global_store_dword v[6:7], v5, off
	s_or_b64 exec, exec, s[4:5]
	v_cmp_gt_u32_e32 vcc, s33, v24
	s_and_saveexec_b64 s[4:5], vcc
	s_cbranch_execnz .LBB1110_164
.LBB1110_199:
	s_or_b64 exec, exec, s[4:5]
	v_cmp_gt_u32_e32 vcc, s33, v23
	s_and_saveexec_b64 s[4:5], vcc
	s_cbranch_execz .LBB1110_205
.LBB1110_200:
	v_cmp_ge_u32_e32 vcc, v23, v18
                                        ; implicit-def: $vgpr4_vgpr5
	s_and_saveexec_b64 s[6:7], vcc
	s_xor_b64 s[6:7], exec, s[6:7]
	s_cbranch_execz .LBB1110_202
; %bb.201:
	s_waitcnt lgkmcnt(1)
	v_xor_b32_e32 v2, 0xfffff4ff, v0
	v_ashrrev_i32_e32 v5, 31, v2
	v_add_co_u32_e32 v4, vcc, v19, v2
	v_addc_co_u32_e32 v5, vcc, v20, v5, vcc
                                        ; implicit-def: $vgpr23
.LBB1110_202:
	s_andn2_saveexec_b64 s[6:7], s[6:7]
	s_cbranch_execz .LBB1110_204
; %bb.203:
	s_waitcnt lgkmcnt(2)
	v_add_co_u32_e32 v4, vcc, v1, v23
	v_addc_co_u32_e32 v5, vcc, 0, v16, vcc
.LBB1110_204:
	s_or_b64 exec, exec, s[6:7]
	s_waitcnt lgkmcnt(2)
	v_lshlrev_b64 v[4:5], 2, v[4:5]
	s_waitcnt lgkmcnt(1)
	v_mov_b32_e32 v2, s25
	v_add_co_u32_e32 v4, vcc, s24, v4
	v_addc_co_u32_e32 v5, vcc, v2, v5, vcc
	global_store_dword v[4:5], v3, off
.LBB1110_205:
	s_or_b64 exec, exec, s[4:5]
	v_cmp_gt_u32_e32 vcc, s33, v22
                                        ; implicit-def: $vgpr14_vgpr15
	s_and_saveexec_b64 s[4:5], vcc
	s_cbranch_execz .LBB1110_211
; %bb.206:
	v_cmp_ge_u32_e32 vcc, v22, v18
                                        ; implicit-def: $vgpr14_vgpr15
	s_and_saveexec_b64 s[6:7], vcc
	s_xor_b64 s[6:7], exec, s[6:7]
	s_cbranch_execz .LBB1110_208
; %bb.207:
	v_xor_b32_e32 v0, 0xfffff3ff, v0
	s_waitcnt lgkmcnt(1)
	v_ashrrev_i32_e32 v2, 31, v0
	v_add_co_u32_e32 v14, vcc, v19, v0
	v_addc_co_u32_e32 v15, vcc, v20, v2, vcc
                                        ; implicit-def: $vgpr22
.LBB1110_208:
	s_andn2_saveexec_b64 s[6:7], s[6:7]
; %bb.209:
	v_add_co_u32_e32 v14, vcc, v1, v22
	v_addc_co_u32_e32 v15, vcc, 0, v16, vcc
; %bb.210:
	s_or_b64 exec, exec, s[6:7]
	s_or_b64 s[2:3], s[2:3], exec
.LBB1110_211:
	s_or_b64 exec, exec, s[4:5]
	s_and_saveexec_b64 s[4:5], s[2:3]
	s_cbranch_execnz .LBB1110_130
.LBB1110_212:
	s_or_b64 exec, exec, s[4:5]
	s_and_b64 s[0:1], s[0:1], s[22:23]
	s_and_saveexec_b64 s[2:3], s[0:1]
	s_cbranch_execz .LBB1110_131
.LBB1110_213:
	v_add_co_u32_e32 v0, vcc, v1, v18
	s_waitcnt lgkmcnt(1)
	v_mov_b32_e32 v2, 0
	v_addc_co_u32_e32 v1, vcc, 0, v16, vcc
	global_store_dwordx2 v2, v[0:1], s[20:21]
	s_endpgm
	.section	.rodata,"a",@progbits
	.p2align	6, 0x0
	.amdhsa_kernel _ZN7rocprim17ROCPRIM_400000_NS6detail17trampoline_kernelINS0_13select_configILj256ELj13ELNS0_17block_load_methodE3ELS4_3ELS4_3ELNS0_20block_scan_algorithmE0ELj4294967295EEENS1_25partition_config_selectorILNS1_17partition_subalgoE3EjNS0_10empty_typeEbEEZZNS1_14partition_implILS8_3ELb0ES6_jNS0_17counting_iteratorIjlEEPS9_SE_NS0_5tupleIJPjSE_EEENSF_IJSE_SE_EEES9_SG_JZNS1_25segmented_radix_sort_implINS0_14default_configELb1EPKdPdPKlPlN2at6native12_GLOBAL__N_18offset_tEEE10hipError_tPvRmT1_PNSt15iterator_traitsISY_E10value_typeET2_T3_PNSZ_IS14_E10value_typeET4_jRbjT5_S1A_jjP12ihipStream_tbEUljE_EEESV_SW_SX_S14_S18_S1A_T6_T7_T9_mT8_S1C_bDpT10_ENKUlT_T0_E_clISt17integral_constantIbLb0EES1O_IbLb1EEEEDaS1K_S1L_EUlS1K_E_NS1_11comp_targetILNS1_3genE4ELNS1_11target_archE910ELNS1_3gpuE8ELNS1_3repE0EEENS1_30default_config_static_selectorELNS0_4arch9wavefront6targetE1EEEvSY_
		.amdhsa_group_segment_fixed_size 13324
		.amdhsa_private_segment_fixed_size 0
		.amdhsa_kernarg_size 152
		.amdhsa_user_sgpr_count 6
		.amdhsa_user_sgpr_private_segment_buffer 1
		.amdhsa_user_sgpr_dispatch_ptr 0
		.amdhsa_user_sgpr_queue_ptr 0
		.amdhsa_user_sgpr_kernarg_segment_ptr 1
		.amdhsa_user_sgpr_dispatch_id 0
		.amdhsa_user_sgpr_flat_scratch_init 0
		.amdhsa_user_sgpr_kernarg_preload_length 0
		.amdhsa_user_sgpr_kernarg_preload_offset 0
		.amdhsa_user_sgpr_private_segment_size 0
		.amdhsa_uses_dynamic_stack 0
		.amdhsa_system_sgpr_private_segment_wavefront_offset 0
		.amdhsa_system_sgpr_workgroup_id_x 1
		.amdhsa_system_sgpr_workgroup_id_y 0
		.amdhsa_system_sgpr_workgroup_id_z 0
		.amdhsa_system_sgpr_workgroup_info 0
		.amdhsa_system_vgpr_workitem_id 0
		.amdhsa_next_free_vgpr 64
		.amdhsa_next_free_sgpr 44
		.amdhsa_accum_offset 64
		.amdhsa_reserve_vcc 1
		.amdhsa_reserve_flat_scratch 0
		.amdhsa_float_round_mode_32 0
		.amdhsa_float_round_mode_16_64 0
		.amdhsa_float_denorm_mode_32 3
		.amdhsa_float_denorm_mode_16_64 3
		.amdhsa_dx10_clamp 1
		.amdhsa_ieee_mode 1
		.amdhsa_fp16_overflow 0
		.amdhsa_tg_split 0
		.amdhsa_exception_fp_ieee_invalid_op 0
		.amdhsa_exception_fp_denorm_src 0
		.amdhsa_exception_fp_ieee_div_zero 0
		.amdhsa_exception_fp_ieee_overflow 0
		.amdhsa_exception_fp_ieee_underflow 0
		.amdhsa_exception_fp_ieee_inexact 0
		.amdhsa_exception_int_div_zero 0
	.end_amdhsa_kernel
	.section	.text._ZN7rocprim17ROCPRIM_400000_NS6detail17trampoline_kernelINS0_13select_configILj256ELj13ELNS0_17block_load_methodE3ELS4_3ELS4_3ELNS0_20block_scan_algorithmE0ELj4294967295EEENS1_25partition_config_selectorILNS1_17partition_subalgoE3EjNS0_10empty_typeEbEEZZNS1_14partition_implILS8_3ELb0ES6_jNS0_17counting_iteratorIjlEEPS9_SE_NS0_5tupleIJPjSE_EEENSF_IJSE_SE_EEES9_SG_JZNS1_25segmented_radix_sort_implINS0_14default_configELb1EPKdPdPKlPlN2at6native12_GLOBAL__N_18offset_tEEE10hipError_tPvRmT1_PNSt15iterator_traitsISY_E10value_typeET2_T3_PNSZ_IS14_E10value_typeET4_jRbjT5_S1A_jjP12ihipStream_tbEUljE_EEESV_SW_SX_S14_S18_S1A_T6_T7_T9_mT8_S1C_bDpT10_ENKUlT_T0_E_clISt17integral_constantIbLb0EES1O_IbLb1EEEEDaS1K_S1L_EUlS1K_E_NS1_11comp_targetILNS1_3genE4ELNS1_11target_archE910ELNS1_3gpuE8ELNS1_3repE0EEENS1_30default_config_static_selectorELNS0_4arch9wavefront6targetE1EEEvSY_,"axG",@progbits,_ZN7rocprim17ROCPRIM_400000_NS6detail17trampoline_kernelINS0_13select_configILj256ELj13ELNS0_17block_load_methodE3ELS4_3ELS4_3ELNS0_20block_scan_algorithmE0ELj4294967295EEENS1_25partition_config_selectorILNS1_17partition_subalgoE3EjNS0_10empty_typeEbEEZZNS1_14partition_implILS8_3ELb0ES6_jNS0_17counting_iteratorIjlEEPS9_SE_NS0_5tupleIJPjSE_EEENSF_IJSE_SE_EEES9_SG_JZNS1_25segmented_radix_sort_implINS0_14default_configELb1EPKdPdPKlPlN2at6native12_GLOBAL__N_18offset_tEEE10hipError_tPvRmT1_PNSt15iterator_traitsISY_E10value_typeET2_T3_PNSZ_IS14_E10value_typeET4_jRbjT5_S1A_jjP12ihipStream_tbEUljE_EEESV_SW_SX_S14_S18_S1A_T6_T7_T9_mT8_S1C_bDpT10_ENKUlT_T0_E_clISt17integral_constantIbLb0EES1O_IbLb1EEEEDaS1K_S1L_EUlS1K_E_NS1_11comp_targetILNS1_3genE4ELNS1_11target_archE910ELNS1_3gpuE8ELNS1_3repE0EEENS1_30default_config_static_selectorELNS0_4arch9wavefront6targetE1EEEvSY_,comdat
.Lfunc_end1110:
	.size	_ZN7rocprim17ROCPRIM_400000_NS6detail17trampoline_kernelINS0_13select_configILj256ELj13ELNS0_17block_load_methodE3ELS4_3ELS4_3ELNS0_20block_scan_algorithmE0ELj4294967295EEENS1_25partition_config_selectorILNS1_17partition_subalgoE3EjNS0_10empty_typeEbEEZZNS1_14partition_implILS8_3ELb0ES6_jNS0_17counting_iteratorIjlEEPS9_SE_NS0_5tupleIJPjSE_EEENSF_IJSE_SE_EEES9_SG_JZNS1_25segmented_radix_sort_implINS0_14default_configELb1EPKdPdPKlPlN2at6native12_GLOBAL__N_18offset_tEEE10hipError_tPvRmT1_PNSt15iterator_traitsISY_E10value_typeET2_T3_PNSZ_IS14_E10value_typeET4_jRbjT5_S1A_jjP12ihipStream_tbEUljE_EEESV_SW_SX_S14_S18_S1A_T6_T7_T9_mT8_S1C_bDpT10_ENKUlT_T0_E_clISt17integral_constantIbLb0EES1O_IbLb1EEEEDaS1K_S1L_EUlS1K_E_NS1_11comp_targetILNS1_3genE4ELNS1_11target_archE910ELNS1_3gpuE8ELNS1_3repE0EEENS1_30default_config_static_selectorELNS0_4arch9wavefront6targetE1EEEvSY_, .Lfunc_end1110-_ZN7rocprim17ROCPRIM_400000_NS6detail17trampoline_kernelINS0_13select_configILj256ELj13ELNS0_17block_load_methodE3ELS4_3ELS4_3ELNS0_20block_scan_algorithmE0ELj4294967295EEENS1_25partition_config_selectorILNS1_17partition_subalgoE3EjNS0_10empty_typeEbEEZZNS1_14partition_implILS8_3ELb0ES6_jNS0_17counting_iteratorIjlEEPS9_SE_NS0_5tupleIJPjSE_EEENSF_IJSE_SE_EEES9_SG_JZNS1_25segmented_radix_sort_implINS0_14default_configELb1EPKdPdPKlPlN2at6native12_GLOBAL__N_18offset_tEEE10hipError_tPvRmT1_PNSt15iterator_traitsISY_E10value_typeET2_T3_PNSZ_IS14_E10value_typeET4_jRbjT5_S1A_jjP12ihipStream_tbEUljE_EEESV_SW_SX_S14_S18_S1A_T6_T7_T9_mT8_S1C_bDpT10_ENKUlT_T0_E_clISt17integral_constantIbLb0EES1O_IbLb1EEEEDaS1K_S1L_EUlS1K_E_NS1_11comp_targetILNS1_3genE4ELNS1_11target_archE910ELNS1_3gpuE8ELNS1_3repE0EEENS1_30default_config_static_selectorELNS0_4arch9wavefront6targetE1EEEvSY_
                                        ; -- End function
	.section	.AMDGPU.csdata,"",@progbits
; Kernel info:
; codeLenInByte = 7816
; NumSgprs: 48
; NumVgprs: 64
; NumAgprs: 0
; TotalNumVgprs: 64
; ScratchSize: 0
; MemoryBound: 0
; FloatMode: 240
; IeeeMode: 1
; LDSByteSize: 13324 bytes/workgroup (compile time only)
; SGPRBlocks: 5
; VGPRBlocks: 7
; NumSGPRsForWavesPerEU: 48
; NumVGPRsForWavesPerEU: 64
; AccumOffset: 64
; Occupancy: 4
; WaveLimiterHint : 0
; COMPUTE_PGM_RSRC2:SCRATCH_EN: 0
; COMPUTE_PGM_RSRC2:USER_SGPR: 6
; COMPUTE_PGM_RSRC2:TRAP_HANDLER: 0
; COMPUTE_PGM_RSRC2:TGID_X_EN: 1
; COMPUTE_PGM_RSRC2:TGID_Y_EN: 0
; COMPUTE_PGM_RSRC2:TGID_Z_EN: 0
; COMPUTE_PGM_RSRC2:TIDIG_COMP_CNT: 0
; COMPUTE_PGM_RSRC3_GFX90A:ACCUM_OFFSET: 15
; COMPUTE_PGM_RSRC3_GFX90A:TG_SPLIT: 0
	.section	.text._ZN7rocprim17ROCPRIM_400000_NS6detail17trampoline_kernelINS0_13select_configILj256ELj13ELNS0_17block_load_methodE3ELS4_3ELS4_3ELNS0_20block_scan_algorithmE0ELj4294967295EEENS1_25partition_config_selectorILNS1_17partition_subalgoE3EjNS0_10empty_typeEbEEZZNS1_14partition_implILS8_3ELb0ES6_jNS0_17counting_iteratorIjlEEPS9_SE_NS0_5tupleIJPjSE_EEENSF_IJSE_SE_EEES9_SG_JZNS1_25segmented_radix_sort_implINS0_14default_configELb1EPKdPdPKlPlN2at6native12_GLOBAL__N_18offset_tEEE10hipError_tPvRmT1_PNSt15iterator_traitsISY_E10value_typeET2_T3_PNSZ_IS14_E10value_typeET4_jRbjT5_S1A_jjP12ihipStream_tbEUljE_EEESV_SW_SX_S14_S18_S1A_T6_T7_T9_mT8_S1C_bDpT10_ENKUlT_T0_E_clISt17integral_constantIbLb0EES1O_IbLb1EEEEDaS1K_S1L_EUlS1K_E_NS1_11comp_targetILNS1_3genE3ELNS1_11target_archE908ELNS1_3gpuE7ELNS1_3repE0EEENS1_30default_config_static_selectorELNS0_4arch9wavefront6targetE1EEEvSY_,"axG",@progbits,_ZN7rocprim17ROCPRIM_400000_NS6detail17trampoline_kernelINS0_13select_configILj256ELj13ELNS0_17block_load_methodE3ELS4_3ELS4_3ELNS0_20block_scan_algorithmE0ELj4294967295EEENS1_25partition_config_selectorILNS1_17partition_subalgoE3EjNS0_10empty_typeEbEEZZNS1_14partition_implILS8_3ELb0ES6_jNS0_17counting_iteratorIjlEEPS9_SE_NS0_5tupleIJPjSE_EEENSF_IJSE_SE_EEES9_SG_JZNS1_25segmented_radix_sort_implINS0_14default_configELb1EPKdPdPKlPlN2at6native12_GLOBAL__N_18offset_tEEE10hipError_tPvRmT1_PNSt15iterator_traitsISY_E10value_typeET2_T3_PNSZ_IS14_E10value_typeET4_jRbjT5_S1A_jjP12ihipStream_tbEUljE_EEESV_SW_SX_S14_S18_S1A_T6_T7_T9_mT8_S1C_bDpT10_ENKUlT_T0_E_clISt17integral_constantIbLb0EES1O_IbLb1EEEEDaS1K_S1L_EUlS1K_E_NS1_11comp_targetILNS1_3genE3ELNS1_11target_archE908ELNS1_3gpuE7ELNS1_3repE0EEENS1_30default_config_static_selectorELNS0_4arch9wavefront6targetE1EEEvSY_,comdat
	.globl	_ZN7rocprim17ROCPRIM_400000_NS6detail17trampoline_kernelINS0_13select_configILj256ELj13ELNS0_17block_load_methodE3ELS4_3ELS4_3ELNS0_20block_scan_algorithmE0ELj4294967295EEENS1_25partition_config_selectorILNS1_17partition_subalgoE3EjNS0_10empty_typeEbEEZZNS1_14partition_implILS8_3ELb0ES6_jNS0_17counting_iteratorIjlEEPS9_SE_NS0_5tupleIJPjSE_EEENSF_IJSE_SE_EEES9_SG_JZNS1_25segmented_radix_sort_implINS0_14default_configELb1EPKdPdPKlPlN2at6native12_GLOBAL__N_18offset_tEEE10hipError_tPvRmT1_PNSt15iterator_traitsISY_E10value_typeET2_T3_PNSZ_IS14_E10value_typeET4_jRbjT5_S1A_jjP12ihipStream_tbEUljE_EEESV_SW_SX_S14_S18_S1A_T6_T7_T9_mT8_S1C_bDpT10_ENKUlT_T0_E_clISt17integral_constantIbLb0EES1O_IbLb1EEEEDaS1K_S1L_EUlS1K_E_NS1_11comp_targetILNS1_3genE3ELNS1_11target_archE908ELNS1_3gpuE7ELNS1_3repE0EEENS1_30default_config_static_selectorELNS0_4arch9wavefront6targetE1EEEvSY_ ; -- Begin function _ZN7rocprim17ROCPRIM_400000_NS6detail17trampoline_kernelINS0_13select_configILj256ELj13ELNS0_17block_load_methodE3ELS4_3ELS4_3ELNS0_20block_scan_algorithmE0ELj4294967295EEENS1_25partition_config_selectorILNS1_17partition_subalgoE3EjNS0_10empty_typeEbEEZZNS1_14partition_implILS8_3ELb0ES6_jNS0_17counting_iteratorIjlEEPS9_SE_NS0_5tupleIJPjSE_EEENSF_IJSE_SE_EEES9_SG_JZNS1_25segmented_radix_sort_implINS0_14default_configELb1EPKdPdPKlPlN2at6native12_GLOBAL__N_18offset_tEEE10hipError_tPvRmT1_PNSt15iterator_traitsISY_E10value_typeET2_T3_PNSZ_IS14_E10value_typeET4_jRbjT5_S1A_jjP12ihipStream_tbEUljE_EEESV_SW_SX_S14_S18_S1A_T6_T7_T9_mT8_S1C_bDpT10_ENKUlT_T0_E_clISt17integral_constantIbLb0EES1O_IbLb1EEEEDaS1K_S1L_EUlS1K_E_NS1_11comp_targetILNS1_3genE3ELNS1_11target_archE908ELNS1_3gpuE7ELNS1_3repE0EEENS1_30default_config_static_selectorELNS0_4arch9wavefront6targetE1EEEvSY_
	.p2align	8
	.type	_ZN7rocprim17ROCPRIM_400000_NS6detail17trampoline_kernelINS0_13select_configILj256ELj13ELNS0_17block_load_methodE3ELS4_3ELS4_3ELNS0_20block_scan_algorithmE0ELj4294967295EEENS1_25partition_config_selectorILNS1_17partition_subalgoE3EjNS0_10empty_typeEbEEZZNS1_14partition_implILS8_3ELb0ES6_jNS0_17counting_iteratorIjlEEPS9_SE_NS0_5tupleIJPjSE_EEENSF_IJSE_SE_EEES9_SG_JZNS1_25segmented_radix_sort_implINS0_14default_configELb1EPKdPdPKlPlN2at6native12_GLOBAL__N_18offset_tEEE10hipError_tPvRmT1_PNSt15iterator_traitsISY_E10value_typeET2_T3_PNSZ_IS14_E10value_typeET4_jRbjT5_S1A_jjP12ihipStream_tbEUljE_EEESV_SW_SX_S14_S18_S1A_T6_T7_T9_mT8_S1C_bDpT10_ENKUlT_T0_E_clISt17integral_constantIbLb0EES1O_IbLb1EEEEDaS1K_S1L_EUlS1K_E_NS1_11comp_targetILNS1_3genE3ELNS1_11target_archE908ELNS1_3gpuE7ELNS1_3repE0EEENS1_30default_config_static_selectorELNS0_4arch9wavefront6targetE1EEEvSY_,@function
_ZN7rocprim17ROCPRIM_400000_NS6detail17trampoline_kernelINS0_13select_configILj256ELj13ELNS0_17block_load_methodE3ELS4_3ELS4_3ELNS0_20block_scan_algorithmE0ELj4294967295EEENS1_25partition_config_selectorILNS1_17partition_subalgoE3EjNS0_10empty_typeEbEEZZNS1_14partition_implILS8_3ELb0ES6_jNS0_17counting_iteratorIjlEEPS9_SE_NS0_5tupleIJPjSE_EEENSF_IJSE_SE_EEES9_SG_JZNS1_25segmented_radix_sort_implINS0_14default_configELb1EPKdPdPKlPlN2at6native12_GLOBAL__N_18offset_tEEE10hipError_tPvRmT1_PNSt15iterator_traitsISY_E10value_typeET2_T3_PNSZ_IS14_E10value_typeET4_jRbjT5_S1A_jjP12ihipStream_tbEUljE_EEESV_SW_SX_S14_S18_S1A_T6_T7_T9_mT8_S1C_bDpT10_ENKUlT_T0_E_clISt17integral_constantIbLb0EES1O_IbLb1EEEEDaS1K_S1L_EUlS1K_E_NS1_11comp_targetILNS1_3genE3ELNS1_11target_archE908ELNS1_3gpuE7ELNS1_3repE0EEENS1_30default_config_static_selectorELNS0_4arch9wavefront6targetE1EEEvSY_: ; @_ZN7rocprim17ROCPRIM_400000_NS6detail17trampoline_kernelINS0_13select_configILj256ELj13ELNS0_17block_load_methodE3ELS4_3ELS4_3ELNS0_20block_scan_algorithmE0ELj4294967295EEENS1_25partition_config_selectorILNS1_17partition_subalgoE3EjNS0_10empty_typeEbEEZZNS1_14partition_implILS8_3ELb0ES6_jNS0_17counting_iteratorIjlEEPS9_SE_NS0_5tupleIJPjSE_EEENSF_IJSE_SE_EEES9_SG_JZNS1_25segmented_radix_sort_implINS0_14default_configELb1EPKdPdPKlPlN2at6native12_GLOBAL__N_18offset_tEEE10hipError_tPvRmT1_PNSt15iterator_traitsISY_E10value_typeET2_T3_PNSZ_IS14_E10value_typeET4_jRbjT5_S1A_jjP12ihipStream_tbEUljE_EEESV_SW_SX_S14_S18_S1A_T6_T7_T9_mT8_S1C_bDpT10_ENKUlT_T0_E_clISt17integral_constantIbLb0EES1O_IbLb1EEEEDaS1K_S1L_EUlS1K_E_NS1_11comp_targetILNS1_3genE3ELNS1_11target_archE908ELNS1_3gpuE7ELNS1_3repE0EEENS1_30default_config_static_selectorELNS0_4arch9wavefront6targetE1EEEvSY_
; %bb.0:
	.section	.rodata,"a",@progbits
	.p2align	6, 0x0
	.amdhsa_kernel _ZN7rocprim17ROCPRIM_400000_NS6detail17trampoline_kernelINS0_13select_configILj256ELj13ELNS0_17block_load_methodE3ELS4_3ELS4_3ELNS0_20block_scan_algorithmE0ELj4294967295EEENS1_25partition_config_selectorILNS1_17partition_subalgoE3EjNS0_10empty_typeEbEEZZNS1_14partition_implILS8_3ELb0ES6_jNS0_17counting_iteratorIjlEEPS9_SE_NS0_5tupleIJPjSE_EEENSF_IJSE_SE_EEES9_SG_JZNS1_25segmented_radix_sort_implINS0_14default_configELb1EPKdPdPKlPlN2at6native12_GLOBAL__N_18offset_tEEE10hipError_tPvRmT1_PNSt15iterator_traitsISY_E10value_typeET2_T3_PNSZ_IS14_E10value_typeET4_jRbjT5_S1A_jjP12ihipStream_tbEUljE_EEESV_SW_SX_S14_S18_S1A_T6_T7_T9_mT8_S1C_bDpT10_ENKUlT_T0_E_clISt17integral_constantIbLb0EES1O_IbLb1EEEEDaS1K_S1L_EUlS1K_E_NS1_11comp_targetILNS1_3genE3ELNS1_11target_archE908ELNS1_3gpuE7ELNS1_3repE0EEENS1_30default_config_static_selectorELNS0_4arch9wavefront6targetE1EEEvSY_
		.amdhsa_group_segment_fixed_size 0
		.amdhsa_private_segment_fixed_size 0
		.amdhsa_kernarg_size 152
		.amdhsa_user_sgpr_count 6
		.amdhsa_user_sgpr_private_segment_buffer 1
		.amdhsa_user_sgpr_dispatch_ptr 0
		.amdhsa_user_sgpr_queue_ptr 0
		.amdhsa_user_sgpr_kernarg_segment_ptr 1
		.amdhsa_user_sgpr_dispatch_id 0
		.amdhsa_user_sgpr_flat_scratch_init 0
		.amdhsa_user_sgpr_kernarg_preload_length 0
		.amdhsa_user_sgpr_kernarg_preload_offset 0
		.amdhsa_user_sgpr_private_segment_size 0
		.amdhsa_uses_dynamic_stack 0
		.amdhsa_system_sgpr_private_segment_wavefront_offset 0
		.amdhsa_system_sgpr_workgroup_id_x 1
		.amdhsa_system_sgpr_workgroup_id_y 0
		.amdhsa_system_sgpr_workgroup_id_z 0
		.amdhsa_system_sgpr_workgroup_info 0
		.amdhsa_system_vgpr_workitem_id 0
		.amdhsa_next_free_vgpr 1
		.amdhsa_next_free_sgpr 0
		.amdhsa_accum_offset 4
		.amdhsa_reserve_vcc 0
		.amdhsa_reserve_flat_scratch 0
		.amdhsa_float_round_mode_32 0
		.amdhsa_float_round_mode_16_64 0
		.amdhsa_float_denorm_mode_32 3
		.amdhsa_float_denorm_mode_16_64 3
		.amdhsa_dx10_clamp 1
		.amdhsa_ieee_mode 1
		.amdhsa_fp16_overflow 0
		.amdhsa_tg_split 0
		.amdhsa_exception_fp_ieee_invalid_op 0
		.amdhsa_exception_fp_denorm_src 0
		.amdhsa_exception_fp_ieee_div_zero 0
		.amdhsa_exception_fp_ieee_overflow 0
		.amdhsa_exception_fp_ieee_underflow 0
		.amdhsa_exception_fp_ieee_inexact 0
		.amdhsa_exception_int_div_zero 0
	.end_amdhsa_kernel
	.section	.text._ZN7rocprim17ROCPRIM_400000_NS6detail17trampoline_kernelINS0_13select_configILj256ELj13ELNS0_17block_load_methodE3ELS4_3ELS4_3ELNS0_20block_scan_algorithmE0ELj4294967295EEENS1_25partition_config_selectorILNS1_17partition_subalgoE3EjNS0_10empty_typeEbEEZZNS1_14partition_implILS8_3ELb0ES6_jNS0_17counting_iteratorIjlEEPS9_SE_NS0_5tupleIJPjSE_EEENSF_IJSE_SE_EEES9_SG_JZNS1_25segmented_radix_sort_implINS0_14default_configELb1EPKdPdPKlPlN2at6native12_GLOBAL__N_18offset_tEEE10hipError_tPvRmT1_PNSt15iterator_traitsISY_E10value_typeET2_T3_PNSZ_IS14_E10value_typeET4_jRbjT5_S1A_jjP12ihipStream_tbEUljE_EEESV_SW_SX_S14_S18_S1A_T6_T7_T9_mT8_S1C_bDpT10_ENKUlT_T0_E_clISt17integral_constantIbLb0EES1O_IbLb1EEEEDaS1K_S1L_EUlS1K_E_NS1_11comp_targetILNS1_3genE3ELNS1_11target_archE908ELNS1_3gpuE7ELNS1_3repE0EEENS1_30default_config_static_selectorELNS0_4arch9wavefront6targetE1EEEvSY_,"axG",@progbits,_ZN7rocprim17ROCPRIM_400000_NS6detail17trampoline_kernelINS0_13select_configILj256ELj13ELNS0_17block_load_methodE3ELS4_3ELS4_3ELNS0_20block_scan_algorithmE0ELj4294967295EEENS1_25partition_config_selectorILNS1_17partition_subalgoE3EjNS0_10empty_typeEbEEZZNS1_14partition_implILS8_3ELb0ES6_jNS0_17counting_iteratorIjlEEPS9_SE_NS0_5tupleIJPjSE_EEENSF_IJSE_SE_EEES9_SG_JZNS1_25segmented_radix_sort_implINS0_14default_configELb1EPKdPdPKlPlN2at6native12_GLOBAL__N_18offset_tEEE10hipError_tPvRmT1_PNSt15iterator_traitsISY_E10value_typeET2_T3_PNSZ_IS14_E10value_typeET4_jRbjT5_S1A_jjP12ihipStream_tbEUljE_EEESV_SW_SX_S14_S18_S1A_T6_T7_T9_mT8_S1C_bDpT10_ENKUlT_T0_E_clISt17integral_constantIbLb0EES1O_IbLb1EEEEDaS1K_S1L_EUlS1K_E_NS1_11comp_targetILNS1_3genE3ELNS1_11target_archE908ELNS1_3gpuE7ELNS1_3repE0EEENS1_30default_config_static_selectorELNS0_4arch9wavefront6targetE1EEEvSY_,comdat
.Lfunc_end1111:
	.size	_ZN7rocprim17ROCPRIM_400000_NS6detail17trampoline_kernelINS0_13select_configILj256ELj13ELNS0_17block_load_methodE3ELS4_3ELS4_3ELNS0_20block_scan_algorithmE0ELj4294967295EEENS1_25partition_config_selectorILNS1_17partition_subalgoE3EjNS0_10empty_typeEbEEZZNS1_14partition_implILS8_3ELb0ES6_jNS0_17counting_iteratorIjlEEPS9_SE_NS0_5tupleIJPjSE_EEENSF_IJSE_SE_EEES9_SG_JZNS1_25segmented_radix_sort_implINS0_14default_configELb1EPKdPdPKlPlN2at6native12_GLOBAL__N_18offset_tEEE10hipError_tPvRmT1_PNSt15iterator_traitsISY_E10value_typeET2_T3_PNSZ_IS14_E10value_typeET4_jRbjT5_S1A_jjP12ihipStream_tbEUljE_EEESV_SW_SX_S14_S18_S1A_T6_T7_T9_mT8_S1C_bDpT10_ENKUlT_T0_E_clISt17integral_constantIbLb0EES1O_IbLb1EEEEDaS1K_S1L_EUlS1K_E_NS1_11comp_targetILNS1_3genE3ELNS1_11target_archE908ELNS1_3gpuE7ELNS1_3repE0EEENS1_30default_config_static_selectorELNS0_4arch9wavefront6targetE1EEEvSY_, .Lfunc_end1111-_ZN7rocprim17ROCPRIM_400000_NS6detail17trampoline_kernelINS0_13select_configILj256ELj13ELNS0_17block_load_methodE3ELS4_3ELS4_3ELNS0_20block_scan_algorithmE0ELj4294967295EEENS1_25partition_config_selectorILNS1_17partition_subalgoE3EjNS0_10empty_typeEbEEZZNS1_14partition_implILS8_3ELb0ES6_jNS0_17counting_iteratorIjlEEPS9_SE_NS0_5tupleIJPjSE_EEENSF_IJSE_SE_EEES9_SG_JZNS1_25segmented_radix_sort_implINS0_14default_configELb1EPKdPdPKlPlN2at6native12_GLOBAL__N_18offset_tEEE10hipError_tPvRmT1_PNSt15iterator_traitsISY_E10value_typeET2_T3_PNSZ_IS14_E10value_typeET4_jRbjT5_S1A_jjP12ihipStream_tbEUljE_EEESV_SW_SX_S14_S18_S1A_T6_T7_T9_mT8_S1C_bDpT10_ENKUlT_T0_E_clISt17integral_constantIbLb0EES1O_IbLb1EEEEDaS1K_S1L_EUlS1K_E_NS1_11comp_targetILNS1_3genE3ELNS1_11target_archE908ELNS1_3gpuE7ELNS1_3repE0EEENS1_30default_config_static_selectorELNS0_4arch9wavefront6targetE1EEEvSY_
                                        ; -- End function
	.section	.AMDGPU.csdata,"",@progbits
; Kernel info:
; codeLenInByte = 0
; NumSgprs: 4
; NumVgprs: 0
; NumAgprs: 0
; TotalNumVgprs: 0
; ScratchSize: 0
; MemoryBound: 0
; FloatMode: 240
; IeeeMode: 1
; LDSByteSize: 0 bytes/workgroup (compile time only)
; SGPRBlocks: 0
; VGPRBlocks: 0
; NumSGPRsForWavesPerEU: 4
; NumVGPRsForWavesPerEU: 1
; AccumOffset: 4
; Occupancy: 8
; WaveLimiterHint : 0
; COMPUTE_PGM_RSRC2:SCRATCH_EN: 0
; COMPUTE_PGM_RSRC2:USER_SGPR: 6
; COMPUTE_PGM_RSRC2:TRAP_HANDLER: 0
; COMPUTE_PGM_RSRC2:TGID_X_EN: 1
; COMPUTE_PGM_RSRC2:TGID_Y_EN: 0
; COMPUTE_PGM_RSRC2:TGID_Z_EN: 0
; COMPUTE_PGM_RSRC2:TIDIG_COMP_CNT: 0
; COMPUTE_PGM_RSRC3_GFX90A:ACCUM_OFFSET: 0
; COMPUTE_PGM_RSRC3_GFX90A:TG_SPLIT: 0
	.section	.text._ZN7rocprim17ROCPRIM_400000_NS6detail17trampoline_kernelINS0_13select_configILj256ELj13ELNS0_17block_load_methodE3ELS4_3ELS4_3ELNS0_20block_scan_algorithmE0ELj4294967295EEENS1_25partition_config_selectorILNS1_17partition_subalgoE3EjNS0_10empty_typeEbEEZZNS1_14partition_implILS8_3ELb0ES6_jNS0_17counting_iteratorIjlEEPS9_SE_NS0_5tupleIJPjSE_EEENSF_IJSE_SE_EEES9_SG_JZNS1_25segmented_radix_sort_implINS0_14default_configELb1EPKdPdPKlPlN2at6native12_GLOBAL__N_18offset_tEEE10hipError_tPvRmT1_PNSt15iterator_traitsISY_E10value_typeET2_T3_PNSZ_IS14_E10value_typeET4_jRbjT5_S1A_jjP12ihipStream_tbEUljE_EEESV_SW_SX_S14_S18_S1A_T6_T7_T9_mT8_S1C_bDpT10_ENKUlT_T0_E_clISt17integral_constantIbLb0EES1O_IbLb1EEEEDaS1K_S1L_EUlS1K_E_NS1_11comp_targetILNS1_3genE2ELNS1_11target_archE906ELNS1_3gpuE6ELNS1_3repE0EEENS1_30default_config_static_selectorELNS0_4arch9wavefront6targetE1EEEvSY_,"axG",@progbits,_ZN7rocprim17ROCPRIM_400000_NS6detail17trampoline_kernelINS0_13select_configILj256ELj13ELNS0_17block_load_methodE3ELS4_3ELS4_3ELNS0_20block_scan_algorithmE0ELj4294967295EEENS1_25partition_config_selectorILNS1_17partition_subalgoE3EjNS0_10empty_typeEbEEZZNS1_14partition_implILS8_3ELb0ES6_jNS0_17counting_iteratorIjlEEPS9_SE_NS0_5tupleIJPjSE_EEENSF_IJSE_SE_EEES9_SG_JZNS1_25segmented_radix_sort_implINS0_14default_configELb1EPKdPdPKlPlN2at6native12_GLOBAL__N_18offset_tEEE10hipError_tPvRmT1_PNSt15iterator_traitsISY_E10value_typeET2_T3_PNSZ_IS14_E10value_typeET4_jRbjT5_S1A_jjP12ihipStream_tbEUljE_EEESV_SW_SX_S14_S18_S1A_T6_T7_T9_mT8_S1C_bDpT10_ENKUlT_T0_E_clISt17integral_constantIbLb0EES1O_IbLb1EEEEDaS1K_S1L_EUlS1K_E_NS1_11comp_targetILNS1_3genE2ELNS1_11target_archE906ELNS1_3gpuE6ELNS1_3repE0EEENS1_30default_config_static_selectorELNS0_4arch9wavefront6targetE1EEEvSY_,comdat
	.globl	_ZN7rocprim17ROCPRIM_400000_NS6detail17trampoline_kernelINS0_13select_configILj256ELj13ELNS0_17block_load_methodE3ELS4_3ELS4_3ELNS0_20block_scan_algorithmE0ELj4294967295EEENS1_25partition_config_selectorILNS1_17partition_subalgoE3EjNS0_10empty_typeEbEEZZNS1_14partition_implILS8_3ELb0ES6_jNS0_17counting_iteratorIjlEEPS9_SE_NS0_5tupleIJPjSE_EEENSF_IJSE_SE_EEES9_SG_JZNS1_25segmented_radix_sort_implINS0_14default_configELb1EPKdPdPKlPlN2at6native12_GLOBAL__N_18offset_tEEE10hipError_tPvRmT1_PNSt15iterator_traitsISY_E10value_typeET2_T3_PNSZ_IS14_E10value_typeET4_jRbjT5_S1A_jjP12ihipStream_tbEUljE_EEESV_SW_SX_S14_S18_S1A_T6_T7_T9_mT8_S1C_bDpT10_ENKUlT_T0_E_clISt17integral_constantIbLb0EES1O_IbLb1EEEEDaS1K_S1L_EUlS1K_E_NS1_11comp_targetILNS1_3genE2ELNS1_11target_archE906ELNS1_3gpuE6ELNS1_3repE0EEENS1_30default_config_static_selectorELNS0_4arch9wavefront6targetE1EEEvSY_ ; -- Begin function _ZN7rocprim17ROCPRIM_400000_NS6detail17trampoline_kernelINS0_13select_configILj256ELj13ELNS0_17block_load_methodE3ELS4_3ELS4_3ELNS0_20block_scan_algorithmE0ELj4294967295EEENS1_25partition_config_selectorILNS1_17partition_subalgoE3EjNS0_10empty_typeEbEEZZNS1_14partition_implILS8_3ELb0ES6_jNS0_17counting_iteratorIjlEEPS9_SE_NS0_5tupleIJPjSE_EEENSF_IJSE_SE_EEES9_SG_JZNS1_25segmented_radix_sort_implINS0_14default_configELb1EPKdPdPKlPlN2at6native12_GLOBAL__N_18offset_tEEE10hipError_tPvRmT1_PNSt15iterator_traitsISY_E10value_typeET2_T3_PNSZ_IS14_E10value_typeET4_jRbjT5_S1A_jjP12ihipStream_tbEUljE_EEESV_SW_SX_S14_S18_S1A_T6_T7_T9_mT8_S1C_bDpT10_ENKUlT_T0_E_clISt17integral_constantIbLb0EES1O_IbLb1EEEEDaS1K_S1L_EUlS1K_E_NS1_11comp_targetILNS1_3genE2ELNS1_11target_archE906ELNS1_3gpuE6ELNS1_3repE0EEENS1_30default_config_static_selectorELNS0_4arch9wavefront6targetE1EEEvSY_
	.p2align	8
	.type	_ZN7rocprim17ROCPRIM_400000_NS6detail17trampoline_kernelINS0_13select_configILj256ELj13ELNS0_17block_load_methodE3ELS4_3ELS4_3ELNS0_20block_scan_algorithmE0ELj4294967295EEENS1_25partition_config_selectorILNS1_17partition_subalgoE3EjNS0_10empty_typeEbEEZZNS1_14partition_implILS8_3ELb0ES6_jNS0_17counting_iteratorIjlEEPS9_SE_NS0_5tupleIJPjSE_EEENSF_IJSE_SE_EEES9_SG_JZNS1_25segmented_radix_sort_implINS0_14default_configELb1EPKdPdPKlPlN2at6native12_GLOBAL__N_18offset_tEEE10hipError_tPvRmT1_PNSt15iterator_traitsISY_E10value_typeET2_T3_PNSZ_IS14_E10value_typeET4_jRbjT5_S1A_jjP12ihipStream_tbEUljE_EEESV_SW_SX_S14_S18_S1A_T6_T7_T9_mT8_S1C_bDpT10_ENKUlT_T0_E_clISt17integral_constantIbLb0EES1O_IbLb1EEEEDaS1K_S1L_EUlS1K_E_NS1_11comp_targetILNS1_3genE2ELNS1_11target_archE906ELNS1_3gpuE6ELNS1_3repE0EEENS1_30default_config_static_selectorELNS0_4arch9wavefront6targetE1EEEvSY_,@function
_ZN7rocprim17ROCPRIM_400000_NS6detail17trampoline_kernelINS0_13select_configILj256ELj13ELNS0_17block_load_methodE3ELS4_3ELS4_3ELNS0_20block_scan_algorithmE0ELj4294967295EEENS1_25partition_config_selectorILNS1_17partition_subalgoE3EjNS0_10empty_typeEbEEZZNS1_14partition_implILS8_3ELb0ES6_jNS0_17counting_iteratorIjlEEPS9_SE_NS0_5tupleIJPjSE_EEENSF_IJSE_SE_EEES9_SG_JZNS1_25segmented_radix_sort_implINS0_14default_configELb1EPKdPdPKlPlN2at6native12_GLOBAL__N_18offset_tEEE10hipError_tPvRmT1_PNSt15iterator_traitsISY_E10value_typeET2_T3_PNSZ_IS14_E10value_typeET4_jRbjT5_S1A_jjP12ihipStream_tbEUljE_EEESV_SW_SX_S14_S18_S1A_T6_T7_T9_mT8_S1C_bDpT10_ENKUlT_T0_E_clISt17integral_constantIbLb0EES1O_IbLb1EEEEDaS1K_S1L_EUlS1K_E_NS1_11comp_targetILNS1_3genE2ELNS1_11target_archE906ELNS1_3gpuE6ELNS1_3repE0EEENS1_30default_config_static_selectorELNS0_4arch9wavefront6targetE1EEEvSY_: ; @_ZN7rocprim17ROCPRIM_400000_NS6detail17trampoline_kernelINS0_13select_configILj256ELj13ELNS0_17block_load_methodE3ELS4_3ELS4_3ELNS0_20block_scan_algorithmE0ELj4294967295EEENS1_25partition_config_selectorILNS1_17partition_subalgoE3EjNS0_10empty_typeEbEEZZNS1_14partition_implILS8_3ELb0ES6_jNS0_17counting_iteratorIjlEEPS9_SE_NS0_5tupleIJPjSE_EEENSF_IJSE_SE_EEES9_SG_JZNS1_25segmented_radix_sort_implINS0_14default_configELb1EPKdPdPKlPlN2at6native12_GLOBAL__N_18offset_tEEE10hipError_tPvRmT1_PNSt15iterator_traitsISY_E10value_typeET2_T3_PNSZ_IS14_E10value_typeET4_jRbjT5_S1A_jjP12ihipStream_tbEUljE_EEESV_SW_SX_S14_S18_S1A_T6_T7_T9_mT8_S1C_bDpT10_ENKUlT_T0_E_clISt17integral_constantIbLb0EES1O_IbLb1EEEEDaS1K_S1L_EUlS1K_E_NS1_11comp_targetILNS1_3genE2ELNS1_11target_archE906ELNS1_3gpuE6ELNS1_3repE0EEENS1_30default_config_static_selectorELNS0_4arch9wavefront6targetE1EEEvSY_
; %bb.0:
	.section	.rodata,"a",@progbits
	.p2align	6, 0x0
	.amdhsa_kernel _ZN7rocprim17ROCPRIM_400000_NS6detail17trampoline_kernelINS0_13select_configILj256ELj13ELNS0_17block_load_methodE3ELS4_3ELS4_3ELNS0_20block_scan_algorithmE0ELj4294967295EEENS1_25partition_config_selectorILNS1_17partition_subalgoE3EjNS0_10empty_typeEbEEZZNS1_14partition_implILS8_3ELb0ES6_jNS0_17counting_iteratorIjlEEPS9_SE_NS0_5tupleIJPjSE_EEENSF_IJSE_SE_EEES9_SG_JZNS1_25segmented_radix_sort_implINS0_14default_configELb1EPKdPdPKlPlN2at6native12_GLOBAL__N_18offset_tEEE10hipError_tPvRmT1_PNSt15iterator_traitsISY_E10value_typeET2_T3_PNSZ_IS14_E10value_typeET4_jRbjT5_S1A_jjP12ihipStream_tbEUljE_EEESV_SW_SX_S14_S18_S1A_T6_T7_T9_mT8_S1C_bDpT10_ENKUlT_T0_E_clISt17integral_constantIbLb0EES1O_IbLb1EEEEDaS1K_S1L_EUlS1K_E_NS1_11comp_targetILNS1_3genE2ELNS1_11target_archE906ELNS1_3gpuE6ELNS1_3repE0EEENS1_30default_config_static_selectorELNS0_4arch9wavefront6targetE1EEEvSY_
		.amdhsa_group_segment_fixed_size 0
		.amdhsa_private_segment_fixed_size 0
		.amdhsa_kernarg_size 152
		.amdhsa_user_sgpr_count 6
		.amdhsa_user_sgpr_private_segment_buffer 1
		.amdhsa_user_sgpr_dispatch_ptr 0
		.amdhsa_user_sgpr_queue_ptr 0
		.amdhsa_user_sgpr_kernarg_segment_ptr 1
		.amdhsa_user_sgpr_dispatch_id 0
		.amdhsa_user_sgpr_flat_scratch_init 0
		.amdhsa_user_sgpr_kernarg_preload_length 0
		.amdhsa_user_sgpr_kernarg_preload_offset 0
		.amdhsa_user_sgpr_private_segment_size 0
		.amdhsa_uses_dynamic_stack 0
		.amdhsa_system_sgpr_private_segment_wavefront_offset 0
		.amdhsa_system_sgpr_workgroup_id_x 1
		.amdhsa_system_sgpr_workgroup_id_y 0
		.amdhsa_system_sgpr_workgroup_id_z 0
		.amdhsa_system_sgpr_workgroup_info 0
		.amdhsa_system_vgpr_workitem_id 0
		.amdhsa_next_free_vgpr 1
		.amdhsa_next_free_sgpr 0
		.amdhsa_accum_offset 4
		.amdhsa_reserve_vcc 0
		.amdhsa_reserve_flat_scratch 0
		.amdhsa_float_round_mode_32 0
		.amdhsa_float_round_mode_16_64 0
		.amdhsa_float_denorm_mode_32 3
		.amdhsa_float_denorm_mode_16_64 3
		.amdhsa_dx10_clamp 1
		.amdhsa_ieee_mode 1
		.amdhsa_fp16_overflow 0
		.amdhsa_tg_split 0
		.amdhsa_exception_fp_ieee_invalid_op 0
		.amdhsa_exception_fp_denorm_src 0
		.amdhsa_exception_fp_ieee_div_zero 0
		.amdhsa_exception_fp_ieee_overflow 0
		.amdhsa_exception_fp_ieee_underflow 0
		.amdhsa_exception_fp_ieee_inexact 0
		.amdhsa_exception_int_div_zero 0
	.end_amdhsa_kernel
	.section	.text._ZN7rocprim17ROCPRIM_400000_NS6detail17trampoline_kernelINS0_13select_configILj256ELj13ELNS0_17block_load_methodE3ELS4_3ELS4_3ELNS0_20block_scan_algorithmE0ELj4294967295EEENS1_25partition_config_selectorILNS1_17partition_subalgoE3EjNS0_10empty_typeEbEEZZNS1_14partition_implILS8_3ELb0ES6_jNS0_17counting_iteratorIjlEEPS9_SE_NS0_5tupleIJPjSE_EEENSF_IJSE_SE_EEES9_SG_JZNS1_25segmented_radix_sort_implINS0_14default_configELb1EPKdPdPKlPlN2at6native12_GLOBAL__N_18offset_tEEE10hipError_tPvRmT1_PNSt15iterator_traitsISY_E10value_typeET2_T3_PNSZ_IS14_E10value_typeET4_jRbjT5_S1A_jjP12ihipStream_tbEUljE_EEESV_SW_SX_S14_S18_S1A_T6_T7_T9_mT8_S1C_bDpT10_ENKUlT_T0_E_clISt17integral_constantIbLb0EES1O_IbLb1EEEEDaS1K_S1L_EUlS1K_E_NS1_11comp_targetILNS1_3genE2ELNS1_11target_archE906ELNS1_3gpuE6ELNS1_3repE0EEENS1_30default_config_static_selectorELNS0_4arch9wavefront6targetE1EEEvSY_,"axG",@progbits,_ZN7rocprim17ROCPRIM_400000_NS6detail17trampoline_kernelINS0_13select_configILj256ELj13ELNS0_17block_load_methodE3ELS4_3ELS4_3ELNS0_20block_scan_algorithmE0ELj4294967295EEENS1_25partition_config_selectorILNS1_17partition_subalgoE3EjNS0_10empty_typeEbEEZZNS1_14partition_implILS8_3ELb0ES6_jNS0_17counting_iteratorIjlEEPS9_SE_NS0_5tupleIJPjSE_EEENSF_IJSE_SE_EEES9_SG_JZNS1_25segmented_radix_sort_implINS0_14default_configELb1EPKdPdPKlPlN2at6native12_GLOBAL__N_18offset_tEEE10hipError_tPvRmT1_PNSt15iterator_traitsISY_E10value_typeET2_T3_PNSZ_IS14_E10value_typeET4_jRbjT5_S1A_jjP12ihipStream_tbEUljE_EEESV_SW_SX_S14_S18_S1A_T6_T7_T9_mT8_S1C_bDpT10_ENKUlT_T0_E_clISt17integral_constantIbLb0EES1O_IbLb1EEEEDaS1K_S1L_EUlS1K_E_NS1_11comp_targetILNS1_3genE2ELNS1_11target_archE906ELNS1_3gpuE6ELNS1_3repE0EEENS1_30default_config_static_selectorELNS0_4arch9wavefront6targetE1EEEvSY_,comdat
.Lfunc_end1112:
	.size	_ZN7rocprim17ROCPRIM_400000_NS6detail17trampoline_kernelINS0_13select_configILj256ELj13ELNS0_17block_load_methodE3ELS4_3ELS4_3ELNS0_20block_scan_algorithmE0ELj4294967295EEENS1_25partition_config_selectorILNS1_17partition_subalgoE3EjNS0_10empty_typeEbEEZZNS1_14partition_implILS8_3ELb0ES6_jNS0_17counting_iteratorIjlEEPS9_SE_NS0_5tupleIJPjSE_EEENSF_IJSE_SE_EEES9_SG_JZNS1_25segmented_radix_sort_implINS0_14default_configELb1EPKdPdPKlPlN2at6native12_GLOBAL__N_18offset_tEEE10hipError_tPvRmT1_PNSt15iterator_traitsISY_E10value_typeET2_T3_PNSZ_IS14_E10value_typeET4_jRbjT5_S1A_jjP12ihipStream_tbEUljE_EEESV_SW_SX_S14_S18_S1A_T6_T7_T9_mT8_S1C_bDpT10_ENKUlT_T0_E_clISt17integral_constantIbLb0EES1O_IbLb1EEEEDaS1K_S1L_EUlS1K_E_NS1_11comp_targetILNS1_3genE2ELNS1_11target_archE906ELNS1_3gpuE6ELNS1_3repE0EEENS1_30default_config_static_selectorELNS0_4arch9wavefront6targetE1EEEvSY_, .Lfunc_end1112-_ZN7rocprim17ROCPRIM_400000_NS6detail17trampoline_kernelINS0_13select_configILj256ELj13ELNS0_17block_load_methodE3ELS4_3ELS4_3ELNS0_20block_scan_algorithmE0ELj4294967295EEENS1_25partition_config_selectorILNS1_17partition_subalgoE3EjNS0_10empty_typeEbEEZZNS1_14partition_implILS8_3ELb0ES6_jNS0_17counting_iteratorIjlEEPS9_SE_NS0_5tupleIJPjSE_EEENSF_IJSE_SE_EEES9_SG_JZNS1_25segmented_radix_sort_implINS0_14default_configELb1EPKdPdPKlPlN2at6native12_GLOBAL__N_18offset_tEEE10hipError_tPvRmT1_PNSt15iterator_traitsISY_E10value_typeET2_T3_PNSZ_IS14_E10value_typeET4_jRbjT5_S1A_jjP12ihipStream_tbEUljE_EEESV_SW_SX_S14_S18_S1A_T6_T7_T9_mT8_S1C_bDpT10_ENKUlT_T0_E_clISt17integral_constantIbLb0EES1O_IbLb1EEEEDaS1K_S1L_EUlS1K_E_NS1_11comp_targetILNS1_3genE2ELNS1_11target_archE906ELNS1_3gpuE6ELNS1_3repE0EEENS1_30default_config_static_selectorELNS0_4arch9wavefront6targetE1EEEvSY_
                                        ; -- End function
	.section	.AMDGPU.csdata,"",@progbits
; Kernel info:
; codeLenInByte = 0
; NumSgprs: 4
; NumVgprs: 0
; NumAgprs: 0
; TotalNumVgprs: 0
; ScratchSize: 0
; MemoryBound: 0
; FloatMode: 240
; IeeeMode: 1
; LDSByteSize: 0 bytes/workgroup (compile time only)
; SGPRBlocks: 0
; VGPRBlocks: 0
; NumSGPRsForWavesPerEU: 4
; NumVGPRsForWavesPerEU: 1
; AccumOffset: 4
; Occupancy: 8
; WaveLimiterHint : 0
; COMPUTE_PGM_RSRC2:SCRATCH_EN: 0
; COMPUTE_PGM_RSRC2:USER_SGPR: 6
; COMPUTE_PGM_RSRC2:TRAP_HANDLER: 0
; COMPUTE_PGM_RSRC2:TGID_X_EN: 1
; COMPUTE_PGM_RSRC2:TGID_Y_EN: 0
; COMPUTE_PGM_RSRC2:TGID_Z_EN: 0
; COMPUTE_PGM_RSRC2:TIDIG_COMP_CNT: 0
; COMPUTE_PGM_RSRC3_GFX90A:ACCUM_OFFSET: 0
; COMPUTE_PGM_RSRC3_GFX90A:TG_SPLIT: 0
	.section	.text._ZN7rocprim17ROCPRIM_400000_NS6detail17trampoline_kernelINS0_13select_configILj256ELj13ELNS0_17block_load_methodE3ELS4_3ELS4_3ELNS0_20block_scan_algorithmE0ELj4294967295EEENS1_25partition_config_selectorILNS1_17partition_subalgoE3EjNS0_10empty_typeEbEEZZNS1_14partition_implILS8_3ELb0ES6_jNS0_17counting_iteratorIjlEEPS9_SE_NS0_5tupleIJPjSE_EEENSF_IJSE_SE_EEES9_SG_JZNS1_25segmented_radix_sort_implINS0_14default_configELb1EPKdPdPKlPlN2at6native12_GLOBAL__N_18offset_tEEE10hipError_tPvRmT1_PNSt15iterator_traitsISY_E10value_typeET2_T3_PNSZ_IS14_E10value_typeET4_jRbjT5_S1A_jjP12ihipStream_tbEUljE_EEESV_SW_SX_S14_S18_S1A_T6_T7_T9_mT8_S1C_bDpT10_ENKUlT_T0_E_clISt17integral_constantIbLb0EES1O_IbLb1EEEEDaS1K_S1L_EUlS1K_E_NS1_11comp_targetILNS1_3genE10ELNS1_11target_archE1200ELNS1_3gpuE4ELNS1_3repE0EEENS1_30default_config_static_selectorELNS0_4arch9wavefront6targetE1EEEvSY_,"axG",@progbits,_ZN7rocprim17ROCPRIM_400000_NS6detail17trampoline_kernelINS0_13select_configILj256ELj13ELNS0_17block_load_methodE3ELS4_3ELS4_3ELNS0_20block_scan_algorithmE0ELj4294967295EEENS1_25partition_config_selectorILNS1_17partition_subalgoE3EjNS0_10empty_typeEbEEZZNS1_14partition_implILS8_3ELb0ES6_jNS0_17counting_iteratorIjlEEPS9_SE_NS0_5tupleIJPjSE_EEENSF_IJSE_SE_EEES9_SG_JZNS1_25segmented_radix_sort_implINS0_14default_configELb1EPKdPdPKlPlN2at6native12_GLOBAL__N_18offset_tEEE10hipError_tPvRmT1_PNSt15iterator_traitsISY_E10value_typeET2_T3_PNSZ_IS14_E10value_typeET4_jRbjT5_S1A_jjP12ihipStream_tbEUljE_EEESV_SW_SX_S14_S18_S1A_T6_T7_T9_mT8_S1C_bDpT10_ENKUlT_T0_E_clISt17integral_constantIbLb0EES1O_IbLb1EEEEDaS1K_S1L_EUlS1K_E_NS1_11comp_targetILNS1_3genE10ELNS1_11target_archE1200ELNS1_3gpuE4ELNS1_3repE0EEENS1_30default_config_static_selectorELNS0_4arch9wavefront6targetE1EEEvSY_,comdat
	.globl	_ZN7rocprim17ROCPRIM_400000_NS6detail17trampoline_kernelINS0_13select_configILj256ELj13ELNS0_17block_load_methodE3ELS4_3ELS4_3ELNS0_20block_scan_algorithmE0ELj4294967295EEENS1_25partition_config_selectorILNS1_17partition_subalgoE3EjNS0_10empty_typeEbEEZZNS1_14partition_implILS8_3ELb0ES6_jNS0_17counting_iteratorIjlEEPS9_SE_NS0_5tupleIJPjSE_EEENSF_IJSE_SE_EEES9_SG_JZNS1_25segmented_radix_sort_implINS0_14default_configELb1EPKdPdPKlPlN2at6native12_GLOBAL__N_18offset_tEEE10hipError_tPvRmT1_PNSt15iterator_traitsISY_E10value_typeET2_T3_PNSZ_IS14_E10value_typeET4_jRbjT5_S1A_jjP12ihipStream_tbEUljE_EEESV_SW_SX_S14_S18_S1A_T6_T7_T9_mT8_S1C_bDpT10_ENKUlT_T0_E_clISt17integral_constantIbLb0EES1O_IbLb1EEEEDaS1K_S1L_EUlS1K_E_NS1_11comp_targetILNS1_3genE10ELNS1_11target_archE1200ELNS1_3gpuE4ELNS1_3repE0EEENS1_30default_config_static_selectorELNS0_4arch9wavefront6targetE1EEEvSY_ ; -- Begin function _ZN7rocprim17ROCPRIM_400000_NS6detail17trampoline_kernelINS0_13select_configILj256ELj13ELNS0_17block_load_methodE3ELS4_3ELS4_3ELNS0_20block_scan_algorithmE0ELj4294967295EEENS1_25partition_config_selectorILNS1_17partition_subalgoE3EjNS0_10empty_typeEbEEZZNS1_14partition_implILS8_3ELb0ES6_jNS0_17counting_iteratorIjlEEPS9_SE_NS0_5tupleIJPjSE_EEENSF_IJSE_SE_EEES9_SG_JZNS1_25segmented_radix_sort_implINS0_14default_configELb1EPKdPdPKlPlN2at6native12_GLOBAL__N_18offset_tEEE10hipError_tPvRmT1_PNSt15iterator_traitsISY_E10value_typeET2_T3_PNSZ_IS14_E10value_typeET4_jRbjT5_S1A_jjP12ihipStream_tbEUljE_EEESV_SW_SX_S14_S18_S1A_T6_T7_T9_mT8_S1C_bDpT10_ENKUlT_T0_E_clISt17integral_constantIbLb0EES1O_IbLb1EEEEDaS1K_S1L_EUlS1K_E_NS1_11comp_targetILNS1_3genE10ELNS1_11target_archE1200ELNS1_3gpuE4ELNS1_3repE0EEENS1_30default_config_static_selectorELNS0_4arch9wavefront6targetE1EEEvSY_
	.p2align	8
	.type	_ZN7rocprim17ROCPRIM_400000_NS6detail17trampoline_kernelINS0_13select_configILj256ELj13ELNS0_17block_load_methodE3ELS4_3ELS4_3ELNS0_20block_scan_algorithmE0ELj4294967295EEENS1_25partition_config_selectorILNS1_17partition_subalgoE3EjNS0_10empty_typeEbEEZZNS1_14partition_implILS8_3ELb0ES6_jNS0_17counting_iteratorIjlEEPS9_SE_NS0_5tupleIJPjSE_EEENSF_IJSE_SE_EEES9_SG_JZNS1_25segmented_radix_sort_implINS0_14default_configELb1EPKdPdPKlPlN2at6native12_GLOBAL__N_18offset_tEEE10hipError_tPvRmT1_PNSt15iterator_traitsISY_E10value_typeET2_T3_PNSZ_IS14_E10value_typeET4_jRbjT5_S1A_jjP12ihipStream_tbEUljE_EEESV_SW_SX_S14_S18_S1A_T6_T7_T9_mT8_S1C_bDpT10_ENKUlT_T0_E_clISt17integral_constantIbLb0EES1O_IbLb1EEEEDaS1K_S1L_EUlS1K_E_NS1_11comp_targetILNS1_3genE10ELNS1_11target_archE1200ELNS1_3gpuE4ELNS1_3repE0EEENS1_30default_config_static_selectorELNS0_4arch9wavefront6targetE1EEEvSY_,@function
_ZN7rocprim17ROCPRIM_400000_NS6detail17trampoline_kernelINS0_13select_configILj256ELj13ELNS0_17block_load_methodE3ELS4_3ELS4_3ELNS0_20block_scan_algorithmE0ELj4294967295EEENS1_25partition_config_selectorILNS1_17partition_subalgoE3EjNS0_10empty_typeEbEEZZNS1_14partition_implILS8_3ELb0ES6_jNS0_17counting_iteratorIjlEEPS9_SE_NS0_5tupleIJPjSE_EEENSF_IJSE_SE_EEES9_SG_JZNS1_25segmented_radix_sort_implINS0_14default_configELb1EPKdPdPKlPlN2at6native12_GLOBAL__N_18offset_tEEE10hipError_tPvRmT1_PNSt15iterator_traitsISY_E10value_typeET2_T3_PNSZ_IS14_E10value_typeET4_jRbjT5_S1A_jjP12ihipStream_tbEUljE_EEESV_SW_SX_S14_S18_S1A_T6_T7_T9_mT8_S1C_bDpT10_ENKUlT_T0_E_clISt17integral_constantIbLb0EES1O_IbLb1EEEEDaS1K_S1L_EUlS1K_E_NS1_11comp_targetILNS1_3genE10ELNS1_11target_archE1200ELNS1_3gpuE4ELNS1_3repE0EEENS1_30default_config_static_selectorELNS0_4arch9wavefront6targetE1EEEvSY_: ; @_ZN7rocprim17ROCPRIM_400000_NS6detail17trampoline_kernelINS0_13select_configILj256ELj13ELNS0_17block_load_methodE3ELS4_3ELS4_3ELNS0_20block_scan_algorithmE0ELj4294967295EEENS1_25partition_config_selectorILNS1_17partition_subalgoE3EjNS0_10empty_typeEbEEZZNS1_14partition_implILS8_3ELb0ES6_jNS0_17counting_iteratorIjlEEPS9_SE_NS0_5tupleIJPjSE_EEENSF_IJSE_SE_EEES9_SG_JZNS1_25segmented_radix_sort_implINS0_14default_configELb1EPKdPdPKlPlN2at6native12_GLOBAL__N_18offset_tEEE10hipError_tPvRmT1_PNSt15iterator_traitsISY_E10value_typeET2_T3_PNSZ_IS14_E10value_typeET4_jRbjT5_S1A_jjP12ihipStream_tbEUljE_EEESV_SW_SX_S14_S18_S1A_T6_T7_T9_mT8_S1C_bDpT10_ENKUlT_T0_E_clISt17integral_constantIbLb0EES1O_IbLb1EEEEDaS1K_S1L_EUlS1K_E_NS1_11comp_targetILNS1_3genE10ELNS1_11target_archE1200ELNS1_3gpuE4ELNS1_3repE0EEENS1_30default_config_static_selectorELNS0_4arch9wavefront6targetE1EEEvSY_
; %bb.0:
	.section	.rodata,"a",@progbits
	.p2align	6, 0x0
	.amdhsa_kernel _ZN7rocprim17ROCPRIM_400000_NS6detail17trampoline_kernelINS0_13select_configILj256ELj13ELNS0_17block_load_methodE3ELS4_3ELS4_3ELNS0_20block_scan_algorithmE0ELj4294967295EEENS1_25partition_config_selectorILNS1_17partition_subalgoE3EjNS0_10empty_typeEbEEZZNS1_14partition_implILS8_3ELb0ES6_jNS0_17counting_iteratorIjlEEPS9_SE_NS0_5tupleIJPjSE_EEENSF_IJSE_SE_EEES9_SG_JZNS1_25segmented_radix_sort_implINS0_14default_configELb1EPKdPdPKlPlN2at6native12_GLOBAL__N_18offset_tEEE10hipError_tPvRmT1_PNSt15iterator_traitsISY_E10value_typeET2_T3_PNSZ_IS14_E10value_typeET4_jRbjT5_S1A_jjP12ihipStream_tbEUljE_EEESV_SW_SX_S14_S18_S1A_T6_T7_T9_mT8_S1C_bDpT10_ENKUlT_T0_E_clISt17integral_constantIbLb0EES1O_IbLb1EEEEDaS1K_S1L_EUlS1K_E_NS1_11comp_targetILNS1_3genE10ELNS1_11target_archE1200ELNS1_3gpuE4ELNS1_3repE0EEENS1_30default_config_static_selectorELNS0_4arch9wavefront6targetE1EEEvSY_
		.amdhsa_group_segment_fixed_size 0
		.amdhsa_private_segment_fixed_size 0
		.amdhsa_kernarg_size 152
		.amdhsa_user_sgpr_count 6
		.amdhsa_user_sgpr_private_segment_buffer 1
		.amdhsa_user_sgpr_dispatch_ptr 0
		.amdhsa_user_sgpr_queue_ptr 0
		.amdhsa_user_sgpr_kernarg_segment_ptr 1
		.amdhsa_user_sgpr_dispatch_id 0
		.amdhsa_user_sgpr_flat_scratch_init 0
		.amdhsa_user_sgpr_kernarg_preload_length 0
		.amdhsa_user_sgpr_kernarg_preload_offset 0
		.amdhsa_user_sgpr_private_segment_size 0
		.amdhsa_uses_dynamic_stack 0
		.amdhsa_system_sgpr_private_segment_wavefront_offset 0
		.amdhsa_system_sgpr_workgroup_id_x 1
		.amdhsa_system_sgpr_workgroup_id_y 0
		.amdhsa_system_sgpr_workgroup_id_z 0
		.amdhsa_system_sgpr_workgroup_info 0
		.amdhsa_system_vgpr_workitem_id 0
		.amdhsa_next_free_vgpr 1
		.amdhsa_next_free_sgpr 0
		.amdhsa_accum_offset 4
		.amdhsa_reserve_vcc 0
		.amdhsa_reserve_flat_scratch 0
		.amdhsa_float_round_mode_32 0
		.amdhsa_float_round_mode_16_64 0
		.amdhsa_float_denorm_mode_32 3
		.amdhsa_float_denorm_mode_16_64 3
		.amdhsa_dx10_clamp 1
		.amdhsa_ieee_mode 1
		.amdhsa_fp16_overflow 0
		.amdhsa_tg_split 0
		.amdhsa_exception_fp_ieee_invalid_op 0
		.amdhsa_exception_fp_denorm_src 0
		.amdhsa_exception_fp_ieee_div_zero 0
		.amdhsa_exception_fp_ieee_overflow 0
		.amdhsa_exception_fp_ieee_underflow 0
		.amdhsa_exception_fp_ieee_inexact 0
		.amdhsa_exception_int_div_zero 0
	.end_amdhsa_kernel
	.section	.text._ZN7rocprim17ROCPRIM_400000_NS6detail17trampoline_kernelINS0_13select_configILj256ELj13ELNS0_17block_load_methodE3ELS4_3ELS4_3ELNS0_20block_scan_algorithmE0ELj4294967295EEENS1_25partition_config_selectorILNS1_17partition_subalgoE3EjNS0_10empty_typeEbEEZZNS1_14partition_implILS8_3ELb0ES6_jNS0_17counting_iteratorIjlEEPS9_SE_NS0_5tupleIJPjSE_EEENSF_IJSE_SE_EEES9_SG_JZNS1_25segmented_radix_sort_implINS0_14default_configELb1EPKdPdPKlPlN2at6native12_GLOBAL__N_18offset_tEEE10hipError_tPvRmT1_PNSt15iterator_traitsISY_E10value_typeET2_T3_PNSZ_IS14_E10value_typeET4_jRbjT5_S1A_jjP12ihipStream_tbEUljE_EEESV_SW_SX_S14_S18_S1A_T6_T7_T9_mT8_S1C_bDpT10_ENKUlT_T0_E_clISt17integral_constantIbLb0EES1O_IbLb1EEEEDaS1K_S1L_EUlS1K_E_NS1_11comp_targetILNS1_3genE10ELNS1_11target_archE1200ELNS1_3gpuE4ELNS1_3repE0EEENS1_30default_config_static_selectorELNS0_4arch9wavefront6targetE1EEEvSY_,"axG",@progbits,_ZN7rocprim17ROCPRIM_400000_NS6detail17trampoline_kernelINS0_13select_configILj256ELj13ELNS0_17block_load_methodE3ELS4_3ELS4_3ELNS0_20block_scan_algorithmE0ELj4294967295EEENS1_25partition_config_selectorILNS1_17partition_subalgoE3EjNS0_10empty_typeEbEEZZNS1_14partition_implILS8_3ELb0ES6_jNS0_17counting_iteratorIjlEEPS9_SE_NS0_5tupleIJPjSE_EEENSF_IJSE_SE_EEES9_SG_JZNS1_25segmented_radix_sort_implINS0_14default_configELb1EPKdPdPKlPlN2at6native12_GLOBAL__N_18offset_tEEE10hipError_tPvRmT1_PNSt15iterator_traitsISY_E10value_typeET2_T3_PNSZ_IS14_E10value_typeET4_jRbjT5_S1A_jjP12ihipStream_tbEUljE_EEESV_SW_SX_S14_S18_S1A_T6_T7_T9_mT8_S1C_bDpT10_ENKUlT_T0_E_clISt17integral_constantIbLb0EES1O_IbLb1EEEEDaS1K_S1L_EUlS1K_E_NS1_11comp_targetILNS1_3genE10ELNS1_11target_archE1200ELNS1_3gpuE4ELNS1_3repE0EEENS1_30default_config_static_selectorELNS0_4arch9wavefront6targetE1EEEvSY_,comdat
.Lfunc_end1113:
	.size	_ZN7rocprim17ROCPRIM_400000_NS6detail17trampoline_kernelINS0_13select_configILj256ELj13ELNS0_17block_load_methodE3ELS4_3ELS4_3ELNS0_20block_scan_algorithmE0ELj4294967295EEENS1_25partition_config_selectorILNS1_17partition_subalgoE3EjNS0_10empty_typeEbEEZZNS1_14partition_implILS8_3ELb0ES6_jNS0_17counting_iteratorIjlEEPS9_SE_NS0_5tupleIJPjSE_EEENSF_IJSE_SE_EEES9_SG_JZNS1_25segmented_radix_sort_implINS0_14default_configELb1EPKdPdPKlPlN2at6native12_GLOBAL__N_18offset_tEEE10hipError_tPvRmT1_PNSt15iterator_traitsISY_E10value_typeET2_T3_PNSZ_IS14_E10value_typeET4_jRbjT5_S1A_jjP12ihipStream_tbEUljE_EEESV_SW_SX_S14_S18_S1A_T6_T7_T9_mT8_S1C_bDpT10_ENKUlT_T0_E_clISt17integral_constantIbLb0EES1O_IbLb1EEEEDaS1K_S1L_EUlS1K_E_NS1_11comp_targetILNS1_3genE10ELNS1_11target_archE1200ELNS1_3gpuE4ELNS1_3repE0EEENS1_30default_config_static_selectorELNS0_4arch9wavefront6targetE1EEEvSY_, .Lfunc_end1113-_ZN7rocprim17ROCPRIM_400000_NS6detail17trampoline_kernelINS0_13select_configILj256ELj13ELNS0_17block_load_methodE3ELS4_3ELS4_3ELNS0_20block_scan_algorithmE0ELj4294967295EEENS1_25partition_config_selectorILNS1_17partition_subalgoE3EjNS0_10empty_typeEbEEZZNS1_14partition_implILS8_3ELb0ES6_jNS0_17counting_iteratorIjlEEPS9_SE_NS0_5tupleIJPjSE_EEENSF_IJSE_SE_EEES9_SG_JZNS1_25segmented_radix_sort_implINS0_14default_configELb1EPKdPdPKlPlN2at6native12_GLOBAL__N_18offset_tEEE10hipError_tPvRmT1_PNSt15iterator_traitsISY_E10value_typeET2_T3_PNSZ_IS14_E10value_typeET4_jRbjT5_S1A_jjP12ihipStream_tbEUljE_EEESV_SW_SX_S14_S18_S1A_T6_T7_T9_mT8_S1C_bDpT10_ENKUlT_T0_E_clISt17integral_constantIbLb0EES1O_IbLb1EEEEDaS1K_S1L_EUlS1K_E_NS1_11comp_targetILNS1_3genE10ELNS1_11target_archE1200ELNS1_3gpuE4ELNS1_3repE0EEENS1_30default_config_static_selectorELNS0_4arch9wavefront6targetE1EEEvSY_
                                        ; -- End function
	.section	.AMDGPU.csdata,"",@progbits
; Kernel info:
; codeLenInByte = 0
; NumSgprs: 4
; NumVgprs: 0
; NumAgprs: 0
; TotalNumVgprs: 0
; ScratchSize: 0
; MemoryBound: 0
; FloatMode: 240
; IeeeMode: 1
; LDSByteSize: 0 bytes/workgroup (compile time only)
; SGPRBlocks: 0
; VGPRBlocks: 0
; NumSGPRsForWavesPerEU: 4
; NumVGPRsForWavesPerEU: 1
; AccumOffset: 4
; Occupancy: 8
; WaveLimiterHint : 0
; COMPUTE_PGM_RSRC2:SCRATCH_EN: 0
; COMPUTE_PGM_RSRC2:USER_SGPR: 6
; COMPUTE_PGM_RSRC2:TRAP_HANDLER: 0
; COMPUTE_PGM_RSRC2:TGID_X_EN: 1
; COMPUTE_PGM_RSRC2:TGID_Y_EN: 0
; COMPUTE_PGM_RSRC2:TGID_Z_EN: 0
; COMPUTE_PGM_RSRC2:TIDIG_COMP_CNT: 0
; COMPUTE_PGM_RSRC3_GFX90A:ACCUM_OFFSET: 0
; COMPUTE_PGM_RSRC3_GFX90A:TG_SPLIT: 0
	.section	.text._ZN7rocprim17ROCPRIM_400000_NS6detail17trampoline_kernelINS0_13select_configILj256ELj13ELNS0_17block_load_methodE3ELS4_3ELS4_3ELNS0_20block_scan_algorithmE0ELj4294967295EEENS1_25partition_config_selectorILNS1_17partition_subalgoE3EjNS0_10empty_typeEbEEZZNS1_14partition_implILS8_3ELb0ES6_jNS0_17counting_iteratorIjlEEPS9_SE_NS0_5tupleIJPjSE_EEENSF_IJSE_SE_EEES9_SG_JZNS1_25segmented_radix_sort_implINS0_14default_configELb1EPKdPdPKlPlN2at6native12_GLOBAL__N_18offset_tEEE10hipError_tPvRmT1_PNSt15iterator_traitsISY_E10value_typeET2_T3_PNSZ_IS14_E10value_typeET4_jRbjT5_S1A_jjP12ihipStream_tbEUljE_EEESV_SW_SX_S14_S18_S1A_T6_T7_T9_mT8_S1C_bDpT10_ENKUlT_T0_E_clISt17integral_constantIbLb0EES1O_IbLb1EEEEDaS1K_S1L_EUlS1K_E_NS1_11comp_targetILNS1_3genE9ELNS1_11target_archE1100ELNS1_3gpuE3ELNS1_3repE0EEENS1_30default_config_static_selectorELNS0_4arch9wavefront6targetE1EEEvSY_,"axG",@progbits,_ZN7rocprim17ROCPRIM_400000_NS6detail17trampoline_kernelINS0_13select_configILj256ELj13ELNS0_17block_load_methodE3ELS4_3ELS4_3ELNS0_20block_scan_algorithmE0ELj4294967295EEENS1_25partition_config_selectorILNS1_17partition_subalgoE3EjNS0_10empty_typeEbEEZZNS1_14partition_implILS8_3ELb0ES6_jNS0_17counting_iteratorIjlEEPS9_SE_NS0_5tupleIJPjSE_EEENSF_IJSE_SE_EEES9_SG_JZNS1_25segmented_radix_sort_implINS0_14default_configELb1EPKdPdPKlPlN2at6native12_GLOBAL__N_18offset_tEEE10hipError_tPvRmT1_PNSt15iterator_traitsISY_E10value_typeET2_T3_PNSZ_IS14_E10value_typeET4_jRbjT5_S1A_jjP12ihipStream_tbEUljE_EEESV_SW_SX_S14_S18_S1A_T6_T7_T9_mT8_S1C_bDpT10_ENKUlT_T0_E_clISt17integral_constantIbLb0EES1O_IbLb1EEEEDaS1K_S1L_EUlS1K_E_NS1_11comp_targetILNS1_3genE9ELNS1_11target_archE1100ELNS1_3gpuE3ELNS1_3repE0EEENS1_30default_config_static_selectorELNS0_4arch9wavefront6targetE1EEEvSY_,comdat
	.globl	_ZN7rocprim17ROCPRIM_400000_NS6detail17trampoline_kernelINS0_13select_configILj256ELj13ELNS0_17block_load_methodE3ELS4_3ELS4_3ELNS0_20block_scan_algorithmE0ELj4294967295EEENS1_25partition_config_selectorILNS1_17partition_subalgoE3EjNS0_10empty_typeEbEEZZNS1_14partition_implILS8_3ELb0ES6_jNS0_17counting_iteratorIjlEEPS9_SE_NS0_5tupleIJPjSE_EEENSF_IJSE_SE_EEES9_SG_JZNS1_25segmented_radix_sort_implINS0_14default_configELb1EPKdPdPKlPlN2at6native12_GLOBAL__N_18offset_tEEE10hipError_tPvRmT1_PNSt15iterator_traitsISY_E10value_typeET2_T3_PNSZ_IS14_E10value_typeET4_jRbjT5_S1A_jjP12ihipStream_tbEUljE_EEESV_SW_SX_S14_S18_S1A_T6_T7_T9_mT8_S1C_bDpT10_ENKUlT_T0_E_clISt17integral_constantIbLb0EES1O_IbLb1EEEEDaS1K_S1L_EUlS1K_E_NS1_11comp_targetILNS1_3genE9ELNS1_11target_archE1100ELNS1_3gpuE3ELNS1_3repE0EEENS1_30default_config_static_selectorELNS0_4arch9wavefront6targetE1EEEvSY_ ; -- Begin function _ZN7rocprim17ROCPRIM_400000_NS6detail17trampoline_kernelINS0_13select_configILj256ELj13ELNS0_17block_load_methodE3ELS4_3ELS4_3ELNS0_20block_scan_algorithmE0ELj4294967295EEENS1_25partition_config_selectorILNS1_17partition_subalgoE3EjNS0_10empty_typeEbEEZZNS1_14partition_implILS8_3ELb0ES6_jNS0_17counting_iteratorIjlEEPS9_SE_NS0_5tupleIJPjSE_EEENSF_IJSE_SE_EEES9_SG_JZNS1_25segmented_radix_sort_implINS0_14default_configELb1EPKdPdPKlPlN2at6native12_GLOBAL__N_18offset_tEEE10hipError_tPvRmT1_PNSt15iterator_traitsISY_E10value_typeET2_T3_PNSZ_IS14_E10value_typeET4_jRbjT5_S1A_jjP12ihipStream_tbEUljE_EEESV_SW_SX_S14_S18_S1A_T6_T7_T9_mT8_S1C_bDpT10_ENKUlT_T0_E_clISt17integral_constantIbLb0EES1O_IbLb1EEEEDaS1K_S1L_EUlS1K_E_NS1_11comp_targetILNS1_3genE9ELNS1_11target_archE1100ELNS1_3gpuE3ELNS1_3repE0EEENS1_30default_config_static_selectorELNS0_4arch9wavefront6targetE1EEEvSY_
	.p2align	8
	.type	_ZN7rocprim17ROCPRIM_400000_NS6detail17trampoline_kernelINS0_13select_configILj256ELj13ELNS0_17block_load_methodE3ELS4_3ELS4_3ELNS0_20block_scan_algorithmE0ELj4294967295EEENS1_25partition_config_selectorILNS1_17partition_subalgoE3EjNS0_10empty_typeEbEEZZNS1_14partition_implILS8_3ELb0ES6_jNS0_17counting_iteratorIjlEEPS9_SE_NS0_5tupleIJPjSE_EEENSF_IJSE_SE_EEES9_SG_JZNS1_25segmented_radix_sort_implINS0_14default_configELb1EPKdPdPKlPlN2at6native12_GLOBAL__N_18offset_tEEE10hipError_tPvRmT1_PNSt15iterator_traitsISY_E10value_typeET2_T3_PNSZ_IS14_E10value_typeET4_jRbjT5_S1A_jjP12ihipStream_tbEUljE_EEESV_SW_SX_S14_S18_S1A_T6_T7_T9_mT8_S1C_bDpT10_ENKUlT_T0_E_clISt17integral_constantIbLb0EES1O_IbLb1EEEEDaS1K_S1L_EUlS1K_E_NS1_11comp_targetILNS1_3genE9ELNS1_11target_archE1100ELNS1_3gpuE3ELNS1_3repE0EEENS1_30default_config_static_selectorELNS0_4arch9wavefront6targetE1EEEvSY_,@function
_ZN7rocprim17ROCPRIM_400000_NS6detail17trampoline_kernelINS0_13select_configILj256ELj13ELNS0_17block_load_methodE3ELS4_3ELS4_3ELNS0_20block_scan_algorithmE0ELj4294967295EEENS1_25partition_config_selectorILNS1_17partition_subalgoE3EjNS0_10empty_typeEbEEZZNS1_14partition_implILS8_3ELb0ES6_jNS0_17counting_iteratorIjlEEPS9_SE_NS0_5tupleIJPjSE_EEENSF_IJSE_SE_EEES9_SG_JZNS1_25segmented_radix_sort_implINS0_14default_configELb1EPKdPdPKlPlN2at6native12_GLOBAL__N_18offset_tEEE10hipError_tPvRmT1_PNSt15iterator_traitsISY_E10value_typeET2_T3_PNSZ_IS14_E10value_typeET4_jRbjT5_S1A_jjP12ihipStream_tbEUljE_EEESV_SW_SX_S14_S18_S1A_T6_T7_T9_mT8_S1C_bDpT10_ENKUlT_T0_E_clISt17integral_constantIbLb0EES1O_IbLb1EEEEDaS1K_S1L_EUlS1K_E_NS1_11comp_targetILNS1_3genE9ELNS1_11target_archE1100ELNS1_3gpuE3ELNS1_3repE0EEENS1_30default_config_static_selectorELNS0_4arch9wavefront6targetE1EEEvSY_: ; @_ZN7rocprim17ROCPRIM_400000_NS6detail17trampoline_kernelINS0_13select_configILj256ELj13ELNS0_17block_load_methodE3ELS4_3ELS4_3ELNS0_20block_scan_algorithmE0ELj4294967295EEENS1_25partition_config_selectorILNS1_17partition_subalgoE3EjNS0_10empty_typeEbEEZZNS1_14partition_implILS8_3ELb0ES6_jNS0_17counting_iteratorIjlEEPS9_SE_NS0_5tupleIJPjSE_EEENSF_IJSE_SE_EEES9_SG_JZNS1_25segmented_radix_sort_implINS0_14default_configELb1EPKdPdPKlPlN2at6native12_GLOBAL__N_18offset_tEEE10hipError_tPvRmT1_PNSt15iterator_traitsISY_E10value_typeET2_T3_PNSZ_IS14_E10value_typeET4_jRbjT5_S1A_jjP12ihipStream_tbEUljE_EEESV_SW_SX_S14_S18_S1A_T6_T7_T9_mT8_S1C_bDpT10_ENKUlT_T0_E_clISt17integral_constantIbLb0EES1O_IbLb1EEEEDaS1K_S1L_EUlS1K_E_NS1_11comp_targetILNS1_3genE9ELNS1_11target_archE1100ELNS1_3gpuE3ELNS1_3repE0EEENS1_30default_config_static_selectorELNS0_4arch9wavefront6targetE1EEEvSY_
; %bb.0:
	.section	.rodata,"a",@progbits
	.p2align	6, 0x0
	.amdhsa_kernel _ZN7rocprim17ROCPRIM_400000_NS6detail17trampoline_kernelINS0_13select_configILj256ELj13ELNS0_17block_load_methodE3ELS4_3ELS4_3ELNS0_20block_scan_algorithmE0ELj4294967295EEENS1_25partition_config_selectorILNS1_17partition_subalgoE3EjNS0_10empty_typeEbEEZZNS1_14partition_implILS8_3ELb0ES6_jNS0_17counting_iteratorIjlEEPS9_SE_NS0_5tupleIJPjSE_EEENSF_IJSE_SE_EEES9_SG_JZNS1_25segmented_radix_sort_implINS0_14default_configELb1EPKdPdPKlPlN2at6native12_GLOBAL__N_18offset_tEEE10hipError_tPvRmT1_PNSt15iterator_traitsISY_E10value_typeET2_T3_PNSZ_IS14_E10value_typeET4_jRbjT5_S1A_jjP12ihipStream_tbEUljE_EEESV_SW_SX_S14_S18_S1A_T6_T7_T9_mT8_S1C_bDpT10_ENKUlT_T0_E_clISt17integral_constantIbLb0EES1O_IbLb1EEEEDaS1K_S1L_EUlS1K_E_NS1_11comp_targetILNS1_3genE9ELNS1_11target_archE1100ELNS1_3gpuE3ELNS1_3repE0EEENS1_30default_config_static_selectorELNS0_4arch9wavefront6targetE1EEEvSY_
		.amdhsa_group_segment_fixed_size 0
		.amdhsa_private_segment_fixed_size 0
		.amdhsa_kernarg_size 152
		.amdhsa_user_sgpr_count 6
		.amdhsa_user_sgpr_private_segment_buffer 1
		.amdhsa_user_sgpr_dispatch_ptr 0
		.amdhsa_user_sgpr_queue_ptr 0
		.amdhsa_user_sgpr_kernarg_segment_ptr 1
		.amdhsa_user_sgpr_dispatch_id 0
		.amdhsa_user_sgpr_flat_scratch_init 0
		.amdhsa_user_sgpr_kernarg_preload_length 0
		.amdhsa_user_sgpr_kernarg_preload_offset 0
		.amdhsa_user_sgpr_private_segment_size 0
		.amdhsa_uses_dynamic_stack 0
		.amdhsa_system_sgpr_private_segment_wavefront_offset 0
		.amdhsa_system_sgpr_workgroup_id_x 1
		.amdhsa_system_sgpr_workgroup_id_y 0
		.amdhsa_system_sgpr_workgroup_id_z 0
		.amdhsa_system_sgpr_workgroup_info 0
		.amdhsa_system_vgpr_workitem_id 0
		.amdhsa_next_free_vgpr 1
		.amdhsa_next_free_sgpr 0
		.amdhsa_accum_offset 4
		.amdhsa_reserve_vcc 0
		.amdhsa_reserve_flat_scratch 0
		.amdhsa_float_round_mode_32 0
		.amdhsa_float_round_mode_16_64 0
		.amdhsa_float_denorm_mode_32 3
		.amdhsa_float_denorm_mode_16_64 3
		.amdhsa_dx10_clamp 1
		.amdhsa_ieee_mode 1
		.amdhsa_fp16_overflow 0
		.amdhsa_tg_split 0
		.amdhsa_exception_fp_ieee_invalid_op 0
		.amdhsa_exception_fp_denorm_src 0
		.amdhsa_exception_fp_ieee_div_zero 0
		.amdhsa_exception_fp_ieee_overflow 0
		.amdhsa_exception_fp_ieee_underflow 0
		.amdhsa_exception_fp_ieee_inexact 0
		.amdhsa_exception_int_div_zero 0
	.end_amdhsa_kernel
	.section	.text._ZN7rocprim17ROCPRIM_400000_NS6detail17trampoline_kernelINS0_13select_configILj256ELj13ELNS0_17block_load_methodE3ELS4_3ELS4_3ELNS0_20block_scan_algorithmE0ELj4294967295EEENS1_25partition_config_selectorILNS1_17partition_subalgoE3EjNS0_10empty_typeEbEEZZNS1_14partition_implILS8_3ELb0ES6_jNS0_17counting_iteratorIjlEEPS9_SE_NS0_5tupleIJPjSE_EEENSF_IJSE_SE_EEES9_SG_JZNS1_25segmented_radix_sort_implINS0_14default_configELb1EPKdPdPKlPlN2at6native12_GLOBAL__N_18offset_tEEE10hipError_tPvRmT1_PNSt15iterator_traitsISY_E10value_typeET2_T3_PNSZ_IS14_E10value_typeET4_jRbjT5_S1A_jjP12ihipStream_tbEUljE_EEESV_SW_SX_S14_S18_S1A_T6_T7_T9_mT8_S1C_bDpT10_ENKUlT_T0_E_clISt17integral_constantIbLb0EES1O_IbLb1EEEEDaS1K_S1L_EUlS1K_E_NS1_11comp_targetILNS1_3genE9ELNS1_11target_archE1100ELNS1_3gpuE3ELNS1_3repE0EEENS1_30default_config_static_selectorELNS0_4arch9wavefront6targetE1EEEvSY_,"axG",@progbits,_ZN7rocprim17ROCPRIM_400000_NS6detail17trampoline_kernelINS0_13select_configILj256ELj13ELNS0_17block_load_methodE3ELS4_3ELS4_3ELNS0_20block_scan_algorithmE0ELj4294967295EEENS1_25partition_config_selectorILNS1_17partition_subalgoE3EjNS0_10empty_typeEbEEZZNS1_14partition_implILS8_3ELb0ES6_jNS0_17counting_iteratorIjlEEPS9_SE_NS0_5tupleIJPjSE_EEENSF_IJSE_SE_EEES9_SG_JZNS1_25segmented_radix_sort_implINS0_14default_configELb1EPKdPdPKlPlN2at6native12_GLOBAL__N_18offset_tEEE10hipError_tPvRmT1_PNSt15iterator_traitsISY_E10value_typeET2_T3_PNSZ_IS14_E10value_typeET4_jRbjT5_S1A_jjP12ihipStream_tbEUljE_EEESV_SW_SX_S14_S18_S1A_T6_T7_T9_mT8_S1C_bDpT10_ENKUlT_T0_E_clISt17integral_constantIbLb0EES1O_IbLb1EEEEDaS1K_S1L_EUlS1K_E_NS1_11comp_targetILNS1_3genE9ELNS1_11target_archE1100ELNS1_3gpuE3ELNS1_3repE0EEENS1_30default_config_static_selectorELNS0_4arch9wavefront6targetE1EEEvSY_,comdat
.Lfunc_end1114:
	.size	_ZN7rocprim17ROCPRIM_400000_NS6detail17trampoline_kernelINS0_13select_configILj256ELj13ELNS0_17block_load_methodE3ELS4_3ELS4_3ELNS0_20block_scan_algorithmE0ELj4294967295EEENS1_25partition_config_selectorILNS1_17partition_subalgoE3EjNS0_10empty_typeEbEEZZNS1_14partition_implILS8_3ELb0ES6_jNS0_17counting_iteratorIjlEEPS9_SE_NS0_5tupleIJPjSE_EEENSF_IJSE_SE_EEES9_SG_JZNS1_25segmented_radix_sort_implINS0_14default_configELb1EPKdPdPKlPlN2at6native12_GLOBAL__N_18offset_tEEE10hipError_tPvRmT1_PNSt15iterator_traitsISY_E10value_typeET2_T3_PNSZ_IS14_E10value_typeET4_jRbjT5_S1A_jjP12ihipStream_tbEUljE_EEESV_SW_SX_S14_S18_S1A_T6_T7_T9_mT8_S1C_bDpT10_ENKUlT_T0_E_clISt17integral_constantIbLb0EES1O_IbLb1EEEEDaS1K_S1L_EUlS1K_E_NS1_11comp_targetILNS1_3genE9ELNS1_11target_archE1100ELNS1_3gpuE3ELNS1_3repE0EEENS1_30default_config_static_selectorELNS0_4arch9wavefront6targetE1EEEvSY_, .Lfunc_end1114-_ZN7rocprim17ROCPRIM_400000_NS6detail17trampoline_kernelINS0_13select_configILj256ELj13ELNS0_17block_load_methodE3ELS4_3ELS4_3ELNS0_20block_scan_algorithmE0ELj4294967295EEENS1_25partition_config_selectorILNS1_17partition_subalgoE3EjNS0_10empty_typeEbEEZZNS1_14partition_implILS8_3ELb0ES6_jNS0_17counting_iteratorIjlEEPS9_SE_NS0_5tupleIJPjSE_EEENSF_IJSE_SE_EEES9_SG_JZNS1_25segmented_radix_sort_implINS0_14default_configELb1EPKdPdPKlPlN2at6native12_GLOBAL__N_18offset_tEEE10hipError_tPvRmT1_PNSt15iterator_traitsISY_E10value_typeET2_T3_PNSZ_IS14_E10value_typeET4_jRbjT5_S1A_jjP12ihipStream_tbEUljE_EEESV_SW_SX_S14_S18_S1A_T6_T7_T9_mT8_S1C_bDpT10_ENKUlT_T0_E_clISt17integral_constantIbLb0EES1O_IbLb1EEEEDaS1K_S1L_EUlS1K_E_NS1_11comp_targetILNS1_3genE9ELNS1_11target_archE1100ELNS1_3gpuE3ELNS1_3repE0EEENS1_30default_config_static_selectorELNS0_4arch9wavefront6targetE1EEEvSY_
                                        ; -- End function
	.section	.AMDGPU.csdata,"",@progbits
; Kernel info:
; codeLenInByte = 0
; NumSgprs: 4
; NumVgprs: 0
; NumAgprs: 0
; TotalNumVgprs: 0
; ScratchSize: 0
; MemoryBound: 0
; FloatMode: 240
; IeeeMode: 1
; LDSByteSize: 0 bytes/workgroup (compile time only)
; SGPRBlocks: 0
; VGPRBlocks: 0
; NumSGPRsForWavesPerEU: 4
; NumVGPRsForWavesPerEU: 1
; AccumOffset: 4
; Occupancy: 8
; WaveLimiterHint : 0
; COMPUTE_PGM_RSRC2:SCRATCH_EN: 0
; COMPUTE_PGM_RSRC2:USER_SGPR: 6
; COMPUTE_PGM_RSRC2:TRAP_HANDLER: 0
; COMPUTE_PGM_RSRC2:TGID_X_EN: 1
; COMPUTE_PGM_RSRC2:TGID_Y_EN: 0
; COMPUTE_PGM_RSRC2:TGID_Z_EN: 0
; COMPUTE_PGM_RSRC2:TIDIG_COMP_CNT: 0
; COMPUTE_PGM_RSRC3_GFX90A:ACCUM_OFFSET: 0
; COMPUTE_PGM_RSRC3_GFX90A:TG_SPLIT: 0
	.section	.text._ZN7rocprim17ROCPRIM_400000_NS6detail17trampoline_kernelINS0_13select_configILj256ELj13ELNS0_17block_load_methodE3ELS4_3ELS4_3ELNS0_20block_scan_algorithmE0ELj4294967295EEENS1_25partition_config_selectorILNS1_17partition_subalgoE3EjNS0_10empty_typeEbEEZZNS1_14partition_implILS8_3ELb0ES6_jNS0_17counting_iteratorIjlEEPS9_SE_NS0_5tupleIJPjSE_EEENSF_IJSE_SE_EEES9_SG_JZNS1_25segmented_radix_sort_implINS0_14default_configELb1EPKdPdPKlPlN2at6native12_GLOBAL__N_18offset_tEEE10hipError_tPvRmT1_PNSt15iterator_traitsISY_E10value_typeET2_T3_PNSZ_IS14_E10value_typeET4_jRbjT5_S1A_jjP12ihipStream_tbEUljE_EEESV_SW_SX_S14_S18_S1A_T6_T7_T9_mT8_S1C_bDpT10_ENKUlT_T0_E_clISt17integral_constantIbLb0EES1O_IbLb1EEEEDaS1K_S1L_EUlS1K_E_NS1_11comp_targetILNS1_3genE8ELNS1_11target_archE1030ELNS1_3gpuE2ELNS1_3repE0EEENS1_30default_config_static_selectorELNS0_4arch9wavefront6targetE1EEEvSY_,"axG",@progbits,_ZN7rocprim17ROCPRIM_400000_NS6detail17trampoline_kernelINS0_13select_configILj256ELj13ELNS0_17block_load_methodE3ELS4_3ELS4_3ELNS0_20block_scan_algorithmE0ELj4294967295EEENS1_25partition_config_selectorILNS1_17partition_subalgoE3EjNS0_10empty_typeEbEEZZNS1_14partition_implILS8_3ELb0ES6_jNS0_17counting_iteratorIjlEEPS9_SE_NS0_5tupleIJPjSE_EEENSF_IJSE_SE_EEES9_SG_JZNS1_25segmented_radix_sort_implINS0_14default_configELb1EPKdPdPKlPlN2at6native12_GLOBAL__N_18offset_tEEE10hipError_tPvRmT1_PNSt15iterator_traitsISY_E10value_typeET2_T3_PNSZ_IS14_E10value_typeET4_jRbjT5_S1A_jjP12ihipStream_tbEUljE_EEESV_SW_SX_S14_S18_S1A_T6_T7_T9_mT8_S1C_bDpT10_ENKUlT_T0_E_clISt17integral_constantIbLb0EES1O_IbLb1EEEEDaS1K_S1L_EUlS1K_E_NS1_11comp_targetILNS1_3genE8ELNS1_11target_archE1030ELNS1_3gpuE2ELNS1_3repE0EEENS1_30default_config_static_selectorELNS0_4arch9wavefront6targetE1EEEvSY_,comdat
	.globl	_ZN7rocprim17ROCPRIM_400000_NS6detail17trampoline_kernelINS0_13select_configILj256ELj13ELNS0_17block_load_methodE3ELS4_3ELS4_3ELNS0_20block_scan_algorithmE0ELj4294967295EEENS1_25partition_config_selectorILNS1_17partition_subalgoE3EjNS0_10empty_typeEbEEZZNS1_14partition_implILS8_3ELb0ES6_jNS0_17counting_iteratorIjlEEPS9_SE_NS0_5tupleIJPjSE_EEENSF_IJSE_SE_EEES9_SG_JZNS1_25segmented_radix_sort_implINS0_14default_configELb1EPKdPdPKlPlN2at6native12_GLOBAL__N_18offset_tEEE10hipError_tPvRmT1_PNSt15iterator_traitsISY_E10value_typeET2_T3_PNSZ_IS14_E10value_typeET4_jRbjT5_S1A_jjP12ihipStream_tbEUljE_EEESV_SW_SX_S14_S18_S1A_T6_T7_T9_mT8_S1C_bDpT10_ENKUlT_T0_E_clISt17integral_constantIbLb0EES1O_IbLb1EEEEDaS1K_S1L_EUlS1K_E_NS1_11comp_targetILNS1_3genE8ELNS1_11target_archE1030ELNS1_3gpuE2ELNS1_3repE0EEENS1_30default_config_static_selectorELNS0_4arch9wavefront6targetE1EEEvSY_ ; -- Begin function _ZN7rocprim17ROCPRIM_400000_NS6detail17trampoline_kernelINS0_13select_configILj256ELj13ELNS0_17block_load_methodE3ELS4_3ELS4_3ELNS0_20block_scan_algorithmE0ELj4294967295EEENS1_25partition_config_selectorILNS1_17partition_subalgoE3EjNS0_10empty_typeEbEEZZNS1_14partition_implILS8_3ELb0ES6_jNS0_17counting_iteratorIjlEEPS9_SE_NS0_5tupleIJPjSE_EEENSF_IJSE_SE_EEES9_SG_JZNS1_25segmented_radix_sort_implINS0_14default_configELb1EPKdPdPKlPlN2at6native12_GLOBAL__N_18offset_tEEE10hipError_tPvRmT1_PNSt15iterator_traitsISY_E10value_typeET2_T3_PNSZ_IS14_E10value_typeET4_jRbjT5_S1A_jjP12ihipStream_tbEUljE_EEESV_SW_SX_S14_S18_S1A_T6_T7_T9_mT8_S1C_bDpT10_ENKUlT_T0_E_clISt17integral_constantIbLb0EES1O_IbLb1EEEEDaS1K_S1L_EUlS1K_E_NS1_11comp_targetILNS1_3genE8ELNS1_11target_archE1030ELNS1_3gpuE2ELNS1_3repE0EEENS1_30default_config_static_selectorELNS0_4arch9wavefront6targetE1EEEvSY_
	.p2align	8
	.type	_ZN7rocprim17ROCPRIM_400000_NS6detail17trampoline_kernelINS0_13select_configILj256ELj13ELNS0_17block_load_methodE3ELS4_3ELS4_3ELNS0_20block_scan_algorithmE0ELj4294967295EEENS1_25partition_config_selectorILNS1_17partition_subalgoE3EjNS0_10empty_typeEbEEZZNS1_14partition_implILS8_3ELb0ES6_jNS0_17counting_iteratorIjlEEPS9_SE_NS0_5tupleIJPjSE_EEENSF_IJSE_SE_EEES9_SG_JZNS1_25segmented_radix_sort_implINS0_14default_configELb1EPKdPdPKlPlN2at6native12_GLOBAL__N_18offset_tEEE10hipError_tPvRmT1_PNSt15iterator_traitsISY_E10value_typeET2_T3_PNSZ_IS14_E10value_typeET4_jRbjT5_S1A_jjP12ihipStream_tbEUljE_EEESV_SW_SX_S14_S18_S1A_T6_T7_T9_mT8_S1C_bDpT10_ENKUlT_T0_E_clISt17integral_constantIbLb0EES1O_IbLb1EEEEDaS1K_S1L_EUlS1K_E_NS1_11comp_targetILNS1_3genE8ELNS1_11target_archE1030ELNS1_3gpuE2ELNS1_3repE0EEENS1_30default_config_static_selectorELNS0_4arch9wavefront6targetE1EEEvSY_,@function
_ZN7rocprim17ROCPRIM_400000_NS6detail17trampoline_kernelINS0_13select_configILj256ELj13ELNS0_17block_load_methodE3ELS4_3ELS4_3ELNS0_20block_scan_algorithmE0ELj4294967295EEENS1_25partition_config_selectorILNS1_17partition_subalgoE3EjNS0_10empty_typeEbEEZZNS1_14partition_implILS8_3ELb0ES6_jNS0_17counting_iteratorIjlEEPS9_SE_NS0_5tupleIJPjSE_EEENSF_IJSE_SE_EEES9_SG_JZNS1_25segmented_radix_sort_implINS0_14default_configELb1EPKdPdPKlPlN2at6native12_GLOBAL__N_18offset_tEEE10hipError_tPvRmT1_PNSt15iterator_traitsISY_E10value_typeET2_T3_PNSZ_IS14_E10value_typeET4_jRbjT5_S1A_jjP12ihipStream_tbEUljE_EEESV_SW_SX_S14_S18_S1A_T6_T7_T9_mT8_S1C_bDpT10_ENKUlT_T0_E_clISt17integral_constantIbLb0EES1O_IbLb1EEEEDaS1K_S1L_EUlS1K_E_NS1_11comp_targetILNS1_3genE8ELNS1_11target_archE1030ELNS1_3gpuE2ELNS1_3repE0EEENS1_30default_config_static_selectorELNS0_4arch9wavefront6targetE1EEEvSY_: ; @_ZN7rocprim17ROCPRIM_400000_NS6detail17trampoline_kernelINS0_13select_configILj256ELj13ELNS0_17block_load_methodE3ELS4_3ELS4_3ELNS0_20block_scan_algorithmE0ELj4294967295EEENS1_25partition_config_selectorILNS1_17partition_subalgoE3EjNS0_10empty_typeEbEEZZNS1_14partition_implILS8_3ELb0ES6_jNS0_17counting_iteratorIjlEEPS9_SE_NS0_5tupleIJPjSE_EEENSF_IJSE_SE_EEES9_SG_JZNS1_25segmented_radix_sort_implINS0_14default_configELb1EPKdPdPKlPlN2at6native12_GLOBAL__N_18offset_tEEE10hipError_tPvRmT1_PNSt15iterator_traitsISY_E10value_typeET2_T3_PNSZ_IS14_E10value_typeET4_jRbjT5_S1A_jjP12ihipStream_tbEUljE_EEESV_SW_SX_S14_S18_S1A_T6_T7_T9_mT8_S1C_bDpT10_ENKUlT_T0_E_clISt17integral_constantIbLb0EES1O_IbLb1EEEEDaS1K_S1L_EUlS1K_E_NS1_11comp_targetILNS1_3genE8ELNS1_11target_archE1030ELNS1_3gpuE2ELNS1_3repE0EEENS1_30default_config_static_selectorELNS0_4arch9wavefront6targetE1EEEvSY_
; %bb.0:
	.section	.rodata,"a",@progbits
	.p2align	6, 0x0
	.amdhsa_kernel _ZN7rocprim17ROCPRIM_400000_NS6detail17trampoline_kernelINS0_13select_configILj256ELj13ELNS0_17block_load_methodE3ELS4_3ELS4_3ELNS0_20block_scan_algorithmE0ELj4294967295EEENS1_25partition_config_selectorILNS1_17partition_subalgoE3EjNS0_10empty_typeEbEEZZNS1_14partition_implILS8_3ELb0ES6_jNS0_17counting_iteratorIjlEEPS9_SE_NS0_5tupleIJPjSE_EEENSF_IJSE_SE_EEES9_SG_JZNS1_25segmented_radix_sort_implINS0_14default_configELb1EPKdPdPKlPlN2at6native12_GLOBAL__N_18offset_tEEE10hipError_tPvRmT1_PNSt15iterator_traitsISY_E10value_typeET2_T3_PNSZ_IS14_E10value_typeET4_jRbjT5_S1A_jjP12ihipStream_tbEUljE_EEESV_SW_SX_S14_S18_S1A_T6_T7_T9_mT8_S1C_bDpT10_ENKUlT_T0_E_clISt17integral_constantIbLb0EES1O_IbLb1EEEEDaS1K_S1L_EUlS1K_E_NS1_11comp_targetILNS1_3genE8ELNS1_11target_archE1030ELNS1_3gpuE2ELNS1_3repE0EEENS1_30default_config_static_selectorELNS0_4arch9wavefront6targetE1EEEvSY_
		.amdhsa_group_segment_fixed_size 0
		.amdhsa_private_segment_fixed_size 0
		.amdhsa_kernarg_size 152
		.amdhsa_user_sgpr_count 6
		.amdhsa_user_sgpr_private_segment_buffer 1
		.amdhsa_user_sgpr_dispatch_ptr 0
		.amdhsa_user_sgpr_queue_ptr 0
		.amdhsa_user_sgpr_kernarg_segment_ptr 1
		.amdhsa_user_sgpr_dispatch_id 0
		.amdhsa_user_sgpr_flat_scratch_init 0
		.amdhsa_user_sgpr_kernarg_preload_length 0
		.amdhsa_user_sgpr_kernarg_preload_offset 0
		.amdhsa_user_sgpr_private_segment_size 0
		.amdhsa_uses_dynamic_stack 0
		.amdhsa_system_sgpr_private_segment_wavefront_offset 0
		.amdhsa_system_sgpr_workgroup_id_x 1
		.amdhsa_system_sgpr_workgroup_id_y 0
		.amdhsa_system_sgpr_workgroup_id_z 0
		.amdhsa_system_sgpr_workgroup_info 0
		.amdhsa_system_vgpr_workitem_id 0
		.amdhsa_next_free_vgpr 1
		.amdhsa_next_free_sgpr 0
		.amdhsa_accum_offset 4
		.amdhsa_reserve_vcc 0
		.amdhsa_reserve_flat_scratch 0
		.amdhsa_float_round_mode_32 0
		.amdhsa_float_round_mode_16_64 0
		.amdhsa_float_denorm_mode_32 3
		.amdhsa_float_denorm_mode_16_64 3
		.amdhsa_dx10_clamp 1
		.amdhsa_ieee_mode 1
		.amdhsa_fp16_overflow 0
		.amdhsa_tg_split 0
		.amdhsa_exception_fp_ieee_invalid_op 0
		.amdhsa_exception_fp_denorm_src 0
		.amdhsa_exception_fp_ieee_div_zero 0
		.amdhsa_exception_fp_ieee_overflow 0
		.amdhsa_exception_fp_ieee_underflow 0
		.amdhsa_exception_fp_ieee_inexact 0
		.amdhsa_exception_int_div_zero 0
	.end_amdhsa_kernel
	.section	.text._ZN7rocprim17ROCPRIM_400000_NS6detail17trampoline_kernelINS0_13select_configILj256ELj13ELNS0_17block_load_methodE3ELS4_3ELS4_3ELNS0_20block_scan_algorithmE0ELj4294967295EEENS1_25partition_config_selectorILNS1_17partition_subalgoE3EjNS0_10empty_typeEbEEZZNS1_14partition_implILS8_3ELb0ES6_jNS0_17counting_iteratorIjlEEPS9_SE_NS0_5tupleIJPjSE_EEENSF_IJSE_SE_EEES9_SG_JZNS1_25segmented_radix_sort_implINS0_14default_configELb1EPKdPdPKlPlN2at6native12_GLOBAL__N_18offset_tEEE10hipError_tPvRmT1_PNSt15iterator_traitsISY_E10value_typeET2_T3_PNSZ_IS14_E10value_typeET4_jRbjT5_S1A_jjP12ihipStream_tbEUljE_EEESV_SW_SX_S14_S18_S1A_T6_T7_T9_mT8_S1C_bDpT10_ENKUlT_T0_E_clISt17integral_constantIbLb0EES1O_IbLb1EEEEDaS1K_S1L_EUlS1K_E_NS1_11comp_targetILNS1_3genE8ELNS1_11target_archE1030ELNS1_3gpuE2ELNS1_3repE0EEENS1_30default_config_static_selectorELNS0_4arch9wavefront6targetE1EEEvSY_,"axG",@progbits,_ZN7rocprim17ROCPRIM_400000_NS6detail17trampoline_kernelINS0_13select_configILj256ELj13ELNS0_17block_load_methodE3ELS4_3ELS4_3ELNS0_20block_scan_algorithmE0ELj4294967295EEENS1_25partition_config_selectorILNS1_17partition_subalgoE3EjNS0_10empty_typeEbEEZZNS1_14partition_implILS8_3ELb0ES6_jNS0_17counting_iteratorIjlEEPS9_SE_NS0_5tupleIJPjSE_EEENSF_IJSE_SE_EEES9_SG_JZNS1_25segmented_radix_sort_implINS0_14default_configELb1EPKdPdPKlPlN2at6native12_GLOBAL__N_18offset_tEEE10hipError_tPvRmT1_PNSt15iterator_traitsISY_E10value_typeET2_T3_PNSZ_IS14_E10value_typeET4_jRbjT5_S1A_jjP12ihipStream_tbEUljE_EEESV_SW_SX_S14_S18_S1A_T6_T7_T9_mT8_S1C_bDpT10_ENKUlT_T0_E_clISt17integral_constantIbLb0EES1O_IbLb1EEEEDaS1K_S1L_EUlS1K_E_NS1_11comp_targetILNS1_3genE8ELNS1_11target_archE1030ELNS1_3gpuE2ELNS1_3repE0EEENS1_30default_config_static_selectorELNS0_4arch9wavefront6targetE1EEEvSY_,comdat
.Lfunc_end1115:
	.size	_ZN7rocprim17ROCPRIM_400000_NS6detail17trampoline_kernelINS0_13select_configILj256ELj13ELNS0_17block_load_methodE3ELS4_3ELS4_3ELNS0_20block_scan_algorithmE0ELj4294967295EEENS1_25partition_config_selectorILNS1_17partition_subalgoE3EjNS0_10empty_typeEbEEZZNS1_14partition_implILS8_3ELb0ES6_jNS0_17counting_iteratorIjlEEPS9_SE_NS0_5tupleIJPjSE_EEENSF_IJSE_SE_EEES9_SG_JZNS1_25segmented_radix_sort_implINS0_14default_configELb1EPKdPdPKlPlN2at6native12_GLOBAL__N_18offset_tEEE10hipError_tPvRmT1_PNSt15iterator_traitsISY_E10value_typeET2_T3_PNSZ_IS14_E10value_typeET4_jRbjT5_S1A_jjP12ihipStream_tbEUljE_EEESV_SW_SX_S14_S18_S1A_T6_T7_T9_mT8_S1C_bDpT10_ENKUlT_T0_E_clISt17integral_constantIbLb0EES1O_IbLb1EEEEDaS1K_S1L_EUlS1K_E_NS1_11comp_targetILNS1_3genE8ELNS1_11target_archE1030ELNS1_3gpuE2ELNS1_3repE0EEENS1_30default_config_static_selectorELNS0_4arch9wavefront6targetE1EEEvSY_, .Lfunc_end1115-_ZN7rocprim17ROCPRIM_400000_NS6detail17trampoline_kernelINS0_13select_configILj256ELj13ELNS0_17block_load_methodE3ELS4_3ELS4_3ELNS0_20block_scan_algorithmE0ELj4294967295EEENS1_25partition_config_selectorILNS1_17partition_subalgoE3EjNS0_10empty_typeEbEEZZNS1_14partition_implILS8_3ELb0ES6_jNS0_17counting_iteratorIjlEEPS9_SE_NS0_5tupleIJPjSE_EEENSF_IJSE_SE_EEES9_SG_JZNS1_25segmented_radix_sort_implINS0_14default_configELb1EPKdPdPKlPlN2at6native12_GLOBAL__N_18offset_tEEE10hipError_tPvRmT1_PNSt15iterator_traitsISY_E10value_typeET2_T3_PNSZ_IS14_E10value_typeET4_jRbjT5_S1A_jjP12ihipStream_tbEUljE_EEESV_SW_SX_S14_S18_S1A_T6_T7_T9_mT8_S1C_bDpT10_ENKUlT_T0_E_clISt17integral_constantIbLb0EES1O_IbLb1EEEEDaS1K_S1L_EUlS1K_E_NS1_11comp_targetILNS1_3genE8ELNS1_11target_archE1030ELNS1_3gpuE2ELNS1_3repE0EEENS1_30default_config_static_selectorELNS0_4arch9wavefront6targetE1EEEvSY_
                                        ; -- End function
	.section	.AMDGPU.csdata,"",@progbits
; Kernel info:
; codeLenInByte = 0
; NumSgprs: 4
; NumVgprs: 0
; NumAgprs: 0
; TotalNumVgprs: 0
; ScratchSize: 0
; MemoryBound: 0
; FloatMode: 240
; IeeeMode: 1
; LDSByteSize: 0 bytes/workgroup (compile time only)
; SGPRBlocks: 0
; VGPRBlocks: 0
; NumSGPRsForWavesPerEU: 4
; NumVGPRsForWavesPerEU: 1
; AccumOffset: 4
; Occupancy: 8
; WaveLimiterHint : 0
; COMPUTE_PGM_RSRC2:SCRATCH_EN: 0
; COMPUTE_PGM_RSRC2:USER_SGPR: 6
; COMPUTE_PGM_RSRC2:TRAP_HANDLER: 0
; COMPUTE_PGM_RSRC2:TGID_X_EN: 1
; COMPUTE_PGM_RSRC2:TGID_Y_EN: 0
; COMPUTE_PGM_RSRC2:TGID_Z_EN: 0
; COMPUTE_PGM_RSRC2:TIDIG_COMP_CNT: 0
; COMPUTE_PGM_RSRC3_GFX90A:ACCUM_OFFSET: 0
; COMPUTE_PGM_RSRC3_GFX90A:TG_SPLIT: 0
	.section	.text._ZN7rocprim17ROCPRIM_400000_NS6detail17trampoline_kernelINS0_14default_configENS1_36segmented_radix_sort_config_selectorIdlEEZNS1_25segmented_radix_sort_implIS3_Lb1EPKdPdPKlPlN2at6native12_GLOBAL__N_18offset_tEEE10hipError_tPvRmT1_PNSt15iterator_traitsISK_E10value_typeET2_T3_PNSL_ISQ_E10value_typeET4_jRbjT5_SW_jjP12ihipStream_tbEUlT_E_NS1_11comp_targetILNS1_3genE0ELNS1_11target_archE4294967295ELNS1_3gpuE0ELNS1_3repE0EEENS1_30default_config_static_selectorELNS0_4arch9wavefront6targetE1EEEvSK_,"axG",@progbits,_ZN7rocprim17ROCPRIM_400000_NS6detail17trampoline_kernelINS0_14default_configENS1_36segmented_radix_sort_config_selectorIdlEEZNS1_25segmented_radix_sort_implIS3_Lb1EPKdPdPKlPlN2at6native12_GLOBAL__N_18offset_tEEE10hipError_tPvRmT1_PNSt15iterator_traitsISK_E10value_typeET2_T3_PNSL_ISQ_E10value_typeET4_jRbjT5_SW_jjP12ihipStream_tbEUlT_E_NS1_11comp_targetILNS1_3genE0ELNS1_11target_archE4294967295ELNS1_3gpuE0ELNS1_3repE0EEENS1_30default_config_static_selectorELNS0_4arch9wavefront6targetE1EEEvSK_,comdat
	.globl	_ZN7rocprim17ROCPRIM_400000_NS6detail17trampoline_kernelINS0_14default_configENS1_36segmented_radix_sort_config_selectorIdlEEZNS1_25segmented_radix_sort_implIS3_Lb1EPKdPdPKlPlN2at6native12_GLOBAL__N_18offset_tEEE10hipError_tPvRmT1_PNSt15iterator_traitsISK_E10value_typeET2_T3_PNSL_ISQ_E10value_typeET4_jRbjT5_SW_jjP12ihipStream_tbEUlT_E_NS1_11comp_targetILNS1_3genE0ELNS1_11target_archE4294967295ELNS1_3gpuE0ELNS1_3repE0EEENS1_30default_config_static_selectorELNS0_4arch9wavefront6targetE1EEEvSK_ ; -- Begin function _ZN7rocprim17ROCPRIM_400000_NS6detail17trampoline_kernelINS0_14default_configENS1_36segmented_radix_sort_config_selectorIdlEEZNS1_25segmented_radix_sort_implIS3_Lb1EPKdPdPKlPlN2at6native12_GLOBAL__N_18offset_tEEE10hipError_tPvRmT1_PNSt15iterator_traitsISK_E10value_typeET2_T3_PNSL_ISQ_E10value_typeET4_jRbjT5_SW_jjP12ihipStream_tbEUlT_E_NS1_11comp_targetILNS1_3genE0ELNS1_11target_archE4294967295ELNS1_3gpuE0ELNS1_3repE0EEENS1_30default_config_static_selectorELNS0_4arch9wavefront6targetE1EEEvSK_
	.p2align	8
	.type	_ZN7rocprim17ROCPRIM_400000_NS6detail17trampoline_kernelINS0_14default_configENS1_36segmented_radix_sort_config_selectorIdlEEZNS1_25segmented_radix_sort_implIS3_Lb1EPKdPdPKlPlN2at6native12_GLOBAL__N_18offset_tEEE10hipError_tPvRmT1_PNSt15iterator_traitsISK_E10value_typeET2_T3_PNSL_ISQ_E10value_typeET4_jRbjT5_SW_jjP12ihipStream_tbEUlT_E_NS1_11comp_targetILNS1_3genE0ELNS1_11target_archE4294967295ELNS1_3gpuE0ELNS1_3repE0EEENS1_30default_config_static_selectorELNS0_4arch9wavefront6targetE1EEEvSK_,@function
_ZN7rocprim17ROCPRIM_400000_NS6detail17trampoline_kernelINS0_14default_configENS1_36segmented_radix_sort_config_selectorIdlEEZNS1_25segmented_radix_sort_implIS3_Lb1EPKdPdPKlPlN2at6native12_GLOBAL__N_18offset_tEEE10hipError_tPvRmT1_PNSt15iterator_traitsISK_E10value_typeET2_T3_PNSL_ISQ_E10value_typeET4_jRbjT5_SW_jjP12ihipStream_tbEUlT_E_NS1_11comp_targetILNS1_3genE0ELNS1_11target_archE4294967295ELNS1_3gpuE0ELNS1_3repE0EEENS1_30default_config_static_selectorELNS0_4arch9wavefront6targetE1EEEvSK_: ; @_ZN7rocprim17ROCPRIM_400000_NS6detail17trampoline_kernelINS0_14default_configENS1_36segmented_radix_sort_config_selectorIdlEEZNS1_25segmented_radix_sort_implIS3_Lb1EPKdPdPKlPlN2at6native12_GLOBAL__N_18offset_tEEE10hipError_tPvRmT1_PNSt15iterator_traitsISK_E10value_typeET2_T3_PNSL_ISQ_E10value_typeET4_jRbjT5_SW_jjP12ihipStream_tbEUlT_E_NS1_11comp_targetILNS1_3genE0ELNS1_11target_archE4294967295ELNS1_3gpuE0ELNS1_3repE0EEENS1_30default_config_static_selectorELNS0_4arch9wavefront6targetE1EEEvSK_
; %bb.0:
	.section	.rodata,"a",@progbits
	.p2align	6, 0x0
	.amdhsa_kernel _ZN7rocprim17ROCPRIM_400000_NS6detail17trampoline_kernelINS0_14default_configENS1_36segmented_radix_sort_config_selectorIdlEEZNS1_25segmented_radix_sort_implIS3_Lb1EPKdPdPKlPlN2at6native12_GLOBAL__N_18offset_tEEE10hipError_tPvRmT1_PNSt15iterator_traitsISK_E10value_typeET2_T3_PNSL_ISQ_E10value_typeET4_jRbjT5_SW_jjP12ihipStream_tbEUlT_E_NS1_11comp_targetILNS1_3genE0ELNS1_11target_archE4294967295ELNS1_3gpuE0ELNS1_3repE0EEENS1_30default_config_static_selectorELNS0_4arch9wavefront6targetE1EEEvSK_
		.amdhsa_group_segment_fixed_size 0
		.amdhsa_private_segment_fixed_size 0
		.amdhsa_kernarg_size 96
		.amdhsa_user_sgpr_count 6
		.amdhsa_user_sgpr_private_segment_buffer 1
		.amdhsa_user_sgpr_dispatch_ptr 0
		.amdhsa_user_sgpr_queue_ptr 0
		.amdhsa_user_sgpr_kernarg_segment_ptr 1
		.amdhsa_user_sgpr_dispatch_id 0
		.amdhsa_user_sgpr_flat_scratch_init 0
		.amdhsa_user_sgpr_kernarg_preload_length 0
		.amdhsa_user_sgpr_kernarg_preload_offset 0
		.amdhsa_user_sgpr_private_segment_size 0
		.amdhsa_uses_dynamic_stack 0
		.amdhsa_system_sgpr_private_segment_wavefront_offset 0
		.amdhsa_system_sgpr_workgroup_id_x 1
		.amdhsa_system_sgpr_workgroup_id_y 0
		.amdhsa_system_sgpr_workgroup_id_z 0
		.amdhsa_system_sgpr_workgroup_info 0
		.amdhsa_system_vgpr_workitem_id 0
		.amdhsa_next_free_vgpr 1
		.amdhsa_next_free_sgpr 0
		.amdhsa_accum_offset 4
		.amdhsa_reserve_vcc 0
		.amdhsa_reserve_flat_scratch 0
		.amdhsa_float_round_mode_32 0
		.amdhsa_float_round_mode_16_64 0
		.amdhsa_float_denorm_mode_32 3
		.amdhsa_float_denorm_mode_16_64 3
		.amdhsa_dx10_clamp 1
		.amdhsa_ieee_mode 1
		.amdhsa_fp16_overflow 0
		.amdhsa_tg_split 0
		.amdhsa_exception_fp_ieee_invalid_op 0
		.amdhsa_exception_fp_denorm_src 0
		.amdhsa_exception_fp_ieee_div_zero 0
		.amdhsa_exception_fp_ieee_overflow 0
		.amdhsa_exception_fp_ieee_underflow 0
		.amdhsa_exception_fp_ieee_inexact 0
		.amdhsa_exception_int_div_zero 0
	.end_amdhsa_kernel
	.section	.text._ZN7rocprim17ROCPRIM_400000_NS6detail17trampoline_kernelINS0_14default_configENS1_36segmented_radix_sort_config_selectorIdlEEZNS1_25segmented_radix_sort_implIS3_Lb1EPKdPdPKlPlN2at6native12_GLOBAL__N_18offset_tEEE10hipError_tPvRmT1_PNSt15iterator_traitsISK_E10value_typeET2_T3_PNSL_ISQ_E10value_typeET4_jRbjT5_SW_jjP12ihipStream_tbEUlT_E_NS1_11comp_targetILNS1_3genE0ELNS1_11target_archE4294967295ELNS1_3gpuE0ELNS1_3repE0EEENS1_30default_config_static_selectorELNS0_4arch9wavefront6targetE1EEEvSK_,"axG",@progbits,_ZN7rocprim17ROCPRIM_400000_NS6detail17trampoline_kernelINS0_14default_configENS1_36segmented_radix_sort_config_selectorIdlEEZNS1_25segmented_radix_sort_implIS3_Lb1EPKdPdPKlPlN2at6native12_GLOBAL__N_18offset_tEEE10hipError_tPvRmT1_PNSt15iterator_traitsISK_E10value_typeET2_T3_PNSL_ISQ_E10value_typeET4_jRbjT5_SW_jjP12ihipStream_tbEUlT_E_NS1_11comp_targetILNS1_3genE0ELNS1_11target_archE4294967295ELNS1_3gpuE0ELNS1_3repE0EEENS1_30default_config_static_selectorELNS0_4arch9wavefront6targetE1EEEvSK_,comdat
.Lfunc_end1116:
	.size	_ZN7rocprim17ROCPRIM_400000_NS6detail17trampoline_kernelINS0_14default_configENS1_36segmented_radix_sort_config_selectorIdlEEZNS1_25segmented_radix_sort_implIS3_Lb1EPKdPdPKlPlN2at6native12_GLOBAL__N_18offset_tEEE10hipError_tPvRmT1_PNSt15iterator_traitsISK_E10value_typeET2_T3_PNSL_ISQ_E10value_typeET4_jRbjT5_SW_jjP12ihipStream_tbEUlT_E_NS1_11comp_targetILNS1_3genE0ELNS1_11target_archE4294967295ELNS1_3gpuE0ELNS1_3repE0EEENS1_30default_config_static_selectorELNS0_4arch9wavefront6targetE1EEEvSK_, .Lfunc_end1116-_ZN7rocprim17ROCPRIM_400000_NS6detail17trampoline_kernelINS0_14default_configENS1_36segmented_radix_sort_config_selectorIdlEEZNS1_25segmented_radix_sort_implIS3_Lb1EPKdPdPKlPlN2at6native12_GLOBAL__N_18offset_tEEE10hipError_tPvRmT1_PNSt15iterator_traitsISK_E10value_typeET2_T3_PNSL_ISQ_E10value_typeET4_jRbjT5_SW_jjP12ihipStream_tbEUlT_E_NS1_11comp_targetILNS1_3genE0ELNS1_11target_archE4294967295ELNS1_3gpuE0ELNS1_3repE0EEENS1_30default_config_static_selectorELNS0_4arch9wavefront6targetE1EEEvSK_
                                        ; -- End function
	.section	.AMDGPU.csdata,"",@progbits
; Kernel info:
; codeLenInByte = 0
; NumSgprs: 4
; NumVgprs: 0
; NumAgprs: 0
; TotalNumVgprs: 0
; ScratchSize: 0
; MemoryBound: 0
; FloatMode: 240
; IeeeMode: 1
; LDSByteSize: 0 bytes/workgroup (compile time only)
; SGPRBlocks: 0
; VGPRBlocks: 0
; NumSGPRsForWavesPerEU: 4
; NumVGPRsForWavesPerEU: 1
; AccumOffset: 4
; Occupancy: 8
; WaveLimiterHint : 0
; COMPUTE_PGM_RSRC2:SCRATCH_EN: 0
; COMPUTE_PGM_RSRC2:USER_SGPR: 6
; COMPUTE_PGM_RSRC2:TRAP_HANDLER: 0
; COMPUTE_PGM_RSRC2:TGID_X_EN: 1
; COMPUTE_PGM_RSRC2:TGID_Y_EN: 0
; COMPUTE_PGM_RSRC2:TGID_Z_EN: 0
; COMPUTE_PGM_RSRC2:TIDIG_COMP_CNT: 0
; COMPUTE_PGM_RSRC3_GFX90A:ACCUM_OFFSET: 0
; COMPUTE_PGM_RSRC3_GFX90A:TG_SPLIT: 0
	.section	.text._ZN7rocprim17ROCPRIM_400000_NS6detail17trampoline_kernelINS0_14default_configENS1_36segmented_radix_sort_config_selectorIdlEEZNS1_25segmented_radix_sort_implIS3_Lb1EPKdPdPKlPlN2at6native12_GLOBAL__N_18offset_tEEE10hipError_tPvRmT1_PNSt15iterator_traitsISK_E10value_typeET2_T3_PNSL_ISQ_E10value_typeET4_jRbjT5_SW_jjP12ihipStream_tbEUlT_E_NS1_11comp_targetILNS1_3genE5ELNS1_11target_archE942ELNS1_3gpuE9ELNS1_3repE0EEENS1_30default_config_static_selectorELNS0_4arch9wavefront6targetE1EEEvSK_,"axG",@progbits,_ZN7rocprim17ROCPRIM_400000_NS6detail17trampoline_kernelINS0_14default_configENS1_36segmented_radix_sort_config_selectorIdlEEZNS1_25segmented_radix_sort_implIS3_Lb1EPKdPdPKlPlN2at6native12_GLOBAL__N_18offset_tEEE10hipError_tPvRmT1_PNSt15iterator_traitsISK_E10value_typeET2_T3_PNSL_ISQ_E10value_typeET4_jRbjT5_SW_jjP12ihipStream_tbEUlT_E_NS1_11comp_targetILNS1_3genE5ELNS1_11target_archE942ELNS1_3gpuE9ELNS1_3repE0EEENS1_30default_config_static_selectorELNS0_4arch9wavefront6targetE1EEEvSK_,comdat
	.globl	_ZN7rocprim17ROCPRIM_400000_NS6detail17trampoline_kernelINS0_14default_configENS1_36segmented_radix_sort_config_selectorIdlEEZNS1_25segmented_radix_sort_implIS3_Lb1EPKdPdPKlPlN2at6native12_GLOBAL__N_18offset_tEEE10hipError_tPvRmT1_PNSt15iterator_traitsISK_E10value_typeET2_T3_PNSL_ISQ_E10value_typeET4_jRbjT5_SW_jjP12ihipStream_tbEUlT_E_NS1_11comp_targetILNS1_3genE5ELNS1_11target_archE942ELNS1_3gpuE9ELNS1_3repE0EEENS1_30default_config_static_selectorELNS0_4arch9wavefront6targetE1EEEvSK_ ; -- Begin function _ZN7rocprim17ROCPRIM_400000_NS6detail17trampoline_kernelINS0_14default_configENS1_36segmented_radix_sort_config_selectorIdlEEZNS1_25segmented_radix_sort_implIS3_Lb1EPKdPdPKlPlN2at6native12_GLOBAL__N_18offset_tEEE10hipError_tPvRmT1_PNSt15iterator_traitsISK_E10value_typeET2_T3_PNSL_ISQ_E10value_typeET4_jRbjT5_SW_jjP12ihipStream_tbEUlT_E_NS1_11comp_targetILNS1_3genE5ELNS1_11target_archE942ELNS1_3gpuE9ELNS1_3repE0EEENS1_30default_config_static_selectorELNS0_4arch9wavefront6targetE1EEEvSK_
	.p2align	8
	.type	_ZN7rocprim17ROCPRIM_400000_NS6detail17trampoline_kernelINS0_14default_configENS1_36segmented_radix_sort_config_selectorIdlEEZNS1_25segmented_radix_sort_implIS3_Lb1EPKdPdPKlPlN2at6native12_GLOBAL__N_18offset_tEEE10hipError_tPvRmT1_PNSt15iterator_traitsISK_E10value_typeET2_T3_PNSL_ISQ_E10value_typeET4_jRbjT5_SW_jjP12ihipStream_tbEUlT_E_NS1_11comp_targetILNS1_3genE5ELNS1_11target_archE942ELNS1_3gpuE9ELNS1_3repE0EEENS1_30default_config_static_selectorELNS0_4arch9wavefront6targetE1EEEvSK_,@function
_ZN7rocprim17ROCPRIM_400000_NS6detail17trampoline_kernelINS0_14default_configENS1_36segmented_radix_sort_config_selectorIdlEEZNS1_25segmented_radix_sort_implIS3_Lb1EPKdPdPKlPlN2at6native12_GLOBAL__N_18offset_tEEE10hipError_tPvRmT1_PNSt15iterator_traitsISK_E10value_typeET2_T3_PNSL_ISQ_E10value_typeET4_jRbjT5_SW_jjP12ihipStream_tbEUlT_E_NS1_11comp_targetILNS1_3genE5ELNS1_11target_archE942ELNS1_3gpuE9ELNS1_3repE0EEENS1_30default_config_static_selectorELNS0_4arch9wavefront6targetE1EEEvSK_: ; @_ZN7rocprim17ROCPRIM_400000_NS6detail17trampoline_kernelINS0_14default_configENS1_36segmented_radix_sort_config_selectorIdlEEZNS1_25segmented_radix_sort_implIS3_Lb1EPKdPdPKlPlN2at6native12_GLOBAL__N_18offset_tEEE10hipError_tPvRmT1_PNSt15iterator_traitsISK_E10value_typeET2_T3_PNSL_ISQ_E10value_typeET4_jRbjT5_SW_jjP12ihipStream_tbEUlT_E_NS1_11comp_targetILNS1_3genE5ELNS1_11target_archE942ELNS1_3gpuE9ELNS1_3repE0EEENS1_30default_config_static_selectorELNS0_4arch9wavefront6targetE1EEEvSK_
; %bb.0:
	.section	.rodata,"a",@progbits
	.p2align	6, 0x0
	.amdhsa_kernel _ZN7rocprim17ROCPRIM_400000_NS6detail17trampoline_kernelINS0_14default_configENS1_36segmented_radix_sort_config_selectorIdlEEZNS1_25segmented_radix_sort_implIS3_Lb1EPKdPdPKlPlN2at6native12_GLOBAL__N_18offset_tEEE10hipError_tPvRmT1_PNSt15iterator_traitsISK_E10value_typeET2_T3_PNSL_ISQ_E10value_typeET4_jRbjT5_SW_jjP12ihipStream_tbEUlT_E_NS1_11comp_targetILNS1_3genE5ELNS1_11target_archE942ELNS1_3gpuE9ELNS1_3repE0EEENS1_30default_config_static_selectorELNS0_4arch9wavefront6targetE1EEEvSK_
		.amdhsa_group_segment_fixed_size 0
		.amdhsa_private_segment_fixed_size 0
		.amdhsa_kernarg_size 96
		.amdhsa_user_sgpr_count 6
		.amdhsa_user_sgpr_private_segment_buffer 1
		.amdhsa_user_sgpr_dispatch_ptr 0
		.amdhsa_user_sgpr_queue_ptr 0
		.amdhsa_user_sgpr_kernarg_segment_ptr 1
		.amdhsa_user_sgpr_dispatch_id 0
		.amdhsa_user_sgpr_flat_scratch_init 0
		.amdhsa_user_sgpr_kernarg_preload_length 0
		.amdhsa_user_sgpr_kernarg_preload_offset 0
		.amdhsa_user_sgpr_private_segment_size 0
		.amdhsa_uses_dynamic_stack 0
		.amdhsa_system_sgpr_private_segment_wavefront_offset 0
		.amdhsa_system_sgpr_workgroup_id_x 1
		.amdhsa_system_sgpr_workgroup_id_y 0
		.amdhsa_system_sgpr_workgroup_id_z 0
		.amdhsa_system_sgpr_workgroup_info 0
		.amdhsa_system_vgpr_workitem_id 0
		.amdhsa_next_free_vgpr 1
		.amdhsa_next_free_sgpr 0
		.amdhsa_accum_offset 4
		.amdhsa_reserve_vcc 0
		.amdhsa_reserve_flat_scratch 0
		.amdhsa_float_round_mode_32 0
		.amdhsa_float_round_mode_16_64 0
		.amdhsa_float_denorm_mode_32 3
		.amdhsa_float_denorm_mode_16_64 3
		.amdhsa_dx10_clamp 1
		.amdhsa_ieee_mode 1
		.amdhsa_fp16_overflow 0
		.amdhsa_tg_split 0
		.amdhsa_exception_fp_ieee_invalid_op 0
		.amdhsa_exception_fp_denorm_src 0
		.amdhsa_exception_fp_ieee_div_zero 0
		.amdhsa_exception_fp_ieee_overflow 0
		.amdhsa_exception_fp_ieee_underflow 0
		.amdhsa_exception_fp_ieee_inexact 0
		.amdhsa_exception_int_div_zero 0
	.end_amdhsa_kernel
	.section	.text._ZN7rocprim17ROCPRIM_400000_NS6detail17trampoline_kernelINS0_14default_configENS1_36segmented_radix_sort_config_selectorIdlEEZNS1_25segmented_radix_sort_implIS3_Lb1EPKdPdPKlPlN2at6native12_GLOBAL__N_18offset_tEEE10hipError_tPvRmT1_PNSt15iterator_traitsISK_E10value_typeET2_T3_PNSL_ISQ_E10value_typeET4_jRbjT5_SW_jjP12ihipStream_tbEUlT_E_NS1_11comp_targetILNS1_3genE5ELNS1_11target_archE942ELNS1_3gpuE9ELNS1_3repE0EEENS1_30default_config_static_selectorELNS0_4arch9wavefront6targetE1EEEvSK_,"axG",@progbits,_ZN7rocprim17ROCPRIM_400000_NS6detail17trampoline_kernelINS0_14default_configENS1_36segmented_radix_sort_config_selectorIdlEEZNS1_25segmented_radix_sort_implIS3_Lb1EPKdPdPKlPlN2at6native12_GLOBAL__N_18offset_tEEE10hipError_tPvRmT1_PNSt15iterator_traitsISK_E10value_typeET2_T3_PNSL_ISQ_E10value_typeET4_jRbjT5_SW_jjP12ihipStream_tbEUlT_E_NS1_11comp_targetILNS1_3genE5ELNS1_11target_archE942ELNS1_3gpuE9ELNS1_3repE0EEENS1_30default_config_static_selectorELNS0_4arch9wavefront6targetE1EEEvSK_,comdat
.Lfunc_end1117:
	.size	_ZN7rocprim17ROCPRIM_400000_NS6detail17trampoline_kernelINS0_14default_configENS1_36segmented_radix_sort_config_selectorIdlEEZNS1_25segmented_radix_sort_implIS3_Lb1EPKdPdPKlPlN2at6native12_GLOBAL__N_18offset_tEEE10hipError_tPvRmT1_PNSt15iterator_traitsISK_E10value_typeET2_T3_PNSL_ISQ_E10value_typeET4_jRbjT5_SW_jjP12ihipStream_tbEUlT_E_NS1_11comp_targetILNS1_3genE5ELNS1_11target_archE942ELNS1_3gpuE9ELNS1_3repE0EEENS1_30default_config_static_selectorELNS0_4arch9wavefront6targetE1EEEvSK_, .Lfunc_end1117-_ZN7rocprim17ROCPRIM_400000_NS6detail17trampoline_kernelINS0_14default_configENS1_36segmented_radix_sort_config_selectorIdlEEZNS1_25segmented_radix_sort_implIS3_Lb1EPKdPdPKlPlN2at6native12_GLOBAL__N_18offset_tEEE10hipError_tPvRmT1_PNSt15iterator_traitsISK_E10value_typeET2_T3_PNSL_ISQ_E10value_typeET4_jRbjT5_SW_jjP12ihipStream_tbEUlT_E_NS1_11comp_targetILNS1_3genE5ELNS1_11target_archE942ELNS1_3gpuE9ELNS1_3repE0EEENS1_30default_config_static_selectorELNS0_4arch9wavefront6targetE1EEEvSK_
                                        ; -- End function
	.section	.AMDGPU.csdata,"",@progbits
; Kernel info:
; codeLenInByte = 0
; NumSgprs: 4
; NumVgprs: 0
; NumAgprs: 0
; TotalNumVgprs: 0
; ScratchSize: 0
; MemoryBound: 0
; FloatMode: 240
; IeeeMode: 1
; LDSByteSize: 0 bytes/workgroup (compile time only)
; SGPRBlocks: 0
; VGPRBlocks: 0
; NumSGPRsForWavesPerEU: 4
; NumVGPRsForWavesPerEU: 1
; AccumOffset: 4
; Occupancy: 8
; WaveLimiterHint : 0
; COMPUTE_PGM_RSRC2:SCRATCH_EN: 0
; COMPUTE_PGM_RSRC2:USER_SGPR: 6
; COMPUTE_PGM_RSRC2:TRAP_HANDLER: 0
; COMPUTE_PGM_RSRC2:TGID_X_EN: 1
; COMPUTE_PGM_RSRC2:TGID_Y_EN: 0
; COMPUTE_PGM_RSRC2:TGID_Z_EN: 0
; COMPUTE_PGM_RSRC2:TIDIG_COMP_CNT: 0
; COMPUTE_PGM_RSRC3_GFX90A:ACCUM_OFFSET: 0
; COMPUTE_PGM_RSRC3_GFX90A:TG_SPLIT: 0
	.text
	.p2align	2                               ; -- Begin function _ZN7rocprim17ROCPRIM_400000_NS6detail40segmented_radix_sort_single_block_helperIdlLj256ELj16ELb1EE4sortIPKdPdPKlPlEEbT_T0_T1_T2_jjjjRNS3_12storage_typeE
	.type	_ZN7rocprim17ROCPRIM_400000_NS6detail40segmented_radix_sort_single_block_helperIdlLj256ELj16ELb1EE4sortIPKdPdPKlPlEEbT_T0_T1_T2_jjjjRNS3_12storage_typeE,@function
_ZN7rocprim17ROCPRIM_400000_NS6detail40segmented_radix_sort_single_block_helperIdlLj256ELj16ELb1EE4sortIPKdPdPKlPlEEbT_T0_T1_T2_jjjjRNS3_12storage_typeE: ; @_ZN7rocprim17ROCPRIM_400000_NS6detail40segmented_radix_sort_single_block_helperIdlLj256ELj16ELb1EE4sortIPKdPdPKlPlEEbT_T0_T1_T2_jjjjRNS3_12storage_typeE
; %bb.0:
	s_waitcnt vmcnt(0) expcnt(0) lgkmcnt(0)
	s_or_saveexec_b64 s[4:5], -1
	buffer_store_dword v157, off, s[0:3], s32 offset:124 ; 4-byte Folded Spill
	s_mov_b64 exec, s[4:5]
	v_accvgpr_write_b32 a2, v40             ;  Reload Reuse
	v_accvgpr_write_b32 a3, v41             ;  Reload Reuse
	;; [unrolled: 1-line block ×8, first 2 shown]
	v_accvgpr_write_b32 a10, v56            ;  Reload Reuse
	v_accvgpr_write_b32 a11, v57            ;  Reload Reuse
	;; [unrolled: 1-line block ×22, first 2 shown]
	buffer_store_dword v94, off, s[0:3], s32 offset:120 ; 4-byte Folded Spill
	buffer_store_dword v95, off, s[0:3], s32 offset:116 ; 4-byte Folded Spill
	;; [unrolled: 1-line block ×30, first 2 shown]
	buffer_store_dword v156, off, s[0:3], s32 ; 4-byte Folded Spill
	v_writelane_b32 v157, s34, 0
	v_writelane_b32 v157, s35, 1
	;; [unrolled: 1-line block ×17, first 2 shown]
	v_sub_u32_e32 v152, v9, v8
	s_movk_i32 s4, 0x1001
	v_cmp_gt_u32_e32 vcc, s4, v152
	s_and_saveexec_b64 s[42:43], vcc
	s_cbranch_execz .LBB1118_372
; %bb.1:
	s_movk_i32 s4, 0x800
	v_cmp_lt_u32_e32 vcc, s4, v152
	v_bfe_u32 v16, v31, 10, 10
	v_bfe_u32 v17, v31, 20, 10
	v_mbcnt_lo_u32_b32 v14, -1, 0
	s_and_saveexec_b64 s[4:5], vcc
	s_xor_b64 s[44:45], exec, s[4:5]
	s_cbranch_execz .LBB1118_143
; %bb.2:
	s_load_dwordx2 s[4:5], s[8:9], 0x0
	v_mov_b32_e32 v9, 0
	v_mbcnt_hi_u32_b32 v68, -1, v14
	v_lshlrev_b64 v[20:21], 3, v[8:9]
	v_and_b32_e32 v69, 63, v68
	s_waitcnt lgkmcnt(0)
	s_cmp_lt_u32 s12, s4
	s_cselect_b32 s6, 12, 18
	s_cmp_lt_u32 s13, s5
	s_cselect_b32 s4, 14, 20
	s_add_u32 s4, s8, s4
	s_addc_u32 s5, s9, 0
	s_add_u32 s6, s8, s6
	global_load_ushort v18, v9, s[4:5]
	s_addc_u32 s7, s9, 0
	global_load_ushort v19, v9, s[6:7]
	v_add_co_u32_e32 v0, vcc, v0, v20
	v_addc_co_u32_e32 v1, vcc, v1, v21, vcc
	v_lshlrev_b32_e32 v23, 3, v69
	v_and_b32_e32 v22, 0x3ff, v31
	v_add_co_u32_e32 v24, vcc, v0, v23
	v_addc_co_u32_e32 v25, vcc, 0, v1, vcc
	v_pk_mov_b32 v[14:15], -1, -1
	s_waitcnt vmcnt(1)
	v_mad_u32_u24 v0, v17, v18, v16
	s_waitcnt vmcnt(0)
	v_mad_u64_u32 v[0:1], s[4:5], v0, v19, v[22:23]
	v_lshlrev_b32_e32 v1, 4, v0
	v_and_b32_e32 v8, 0xfffffc00, v1
	v_lshlrev_b64 v[16:17], 3, v[8:9]
	v_or_b32_e32 v1, v8, v69
	v_add_co_u32_e32 v18, vcc, v24, v16
	v_addc_co_u32_e32 v19, vcc, v25, v17, vcc
	v_cmp_lt_u32_e64 s[4:5], v1, v152
	v_pk_mov_b32 v[8:9], v[14:15], v[14:15] op_sel:[0,1]
	s_and_saveexec_b64 s[6:7], s[4:5]
	s_cbranch_execz .LBB1118_4
; %bb.3:
	flat_load_dwordx2 v[8:9], v[18:19]
.LBB1118_4:
	s_or_b64 exec, exec, s[6:7]
	v_or_b32_e32 v24, 64, v1
	v_cmp_lt_u32_e64 s[6:7], v24, v152
	s_and_saveexec_b64 s[10:11], s[6:7]
	s_cbranch_execz .LBB1118_6
; %bb.5:
	flat_load_dwordx2 v[14:15], v[18:19] offset:512
.LBB1118_6:
	s_or_b64 exec, exec, s[10:11]
	v_or_b32_e32 v24, 0x80, v1
	v_cmp_lt_u32_e64 s[10:11], v24, v152
	v_pk_mov_b32 v[24:25], -1, -1
	v_pk_mov_b32 v[26:27], v[24:25], v[24:25] op_sel:[0,1]
	s_and_saveexec_b64 s[14:15], s[10:11]
	s_cbranch_execz .LBB1118_8
; %bb.7:
	flat_load_dwordx2 v[26:27], v[18:19] offset:1024
.LBB1118_8:
	s_or_b64 exec, exec, s[14:15]
	v_or_b32_e32 v28, 0xc0, v1
	v_cmp_lt_u32_e64 s[40:41], v28, v152
	s_and_saveexec_b64 s[14:15], s[40:41]
	s_cbranch_execz .LBB1118_10
; %bb.9:
	flat_load_dwordx2 v[24:25], v[18:19] offset:1536
.LBB1118_10:
	s_or_b64 exec, exec, s[14:15]
	v_or_b32_e32 v28, 0x100, v1
	v_cmp_lt_u32_e64 s[14:15], v28, v152
	v_pk_mov_b32 v[28:29], -1, -1
	v_pk_mov_b32 v[30:31], v[28:29], v[28:29] op_sel:[0,1]
	s_and_saveexec_b64 s[16:17], s[14:15]
	s_cbranch_execz .LBB1118_12
; %bb.11:
	flat_load_dwordx2 v[30:31], v[18:19] offset:2048
.LBB1118_12:
	s_or_b64 exec, exec, s[16:17]
	v_or_b32_e32 v32, 0x140, v1
	v_cmp_lt_u32_e64 s[16:17], v32, v152
	s_and_saveexec_b64 s[18:19], s[16:17]
	s_cbranch_execz .LBB1118_14
; %bb.13:
	flat_load_dwordx2 v[28:29], v[18:19] offset:2560
.LBB1118_14:
	s_or_b64 exec, exec, s[18:19]
	v_or_b32_e32 v32, 0x180, v1
	v_cmp_lt_u32_e64 s[18:19], v32, v152
	v_pk_mov_b32 v[32:33], -1, -1
	v_pk_mov_b32 v[34:35], v[32:33], v[32:33] op_sel:[0,1]
	s_and_saveexec_b64 s[20:21], s[18:19]
	s_cbranch_execz .LBB1118_16
; %bb.15:
	flat_load_dwordx2 v[34:35], v[18:19] offset:3072
.LBB1118_16:
	s_or_b64 exec, exec, s[20:21]
	v_or_b32_e32 v36, 0x1c0, v1
	v_cmp_lt_u32_e64 s[20:21], v36, v152
	s_and_saveexec_b64 s[22:23], s[20:21]
	s_cbranch_execz .LBB1118_18
; %bb.17:
	flat_load_dwordx2 v[32:33], v[18:19] offset:3584
.LBB1118_18:
	s_or_b64 exec, exec, s[22:23]
	v_or_b32_e32 v36, 0x200, v1
	v_cmp_lt_u32_e64 s[22:23], v36, v152
	v_pk_mov_b32 v[36:37], -1, -1
	v_pk_mov_b32 v[38:39], v[36:37], v[36:37] op_sel:[0,1]
	s_and_saveexec_b64 s[24:25], s[22:23]
	s_cbranch_execz .LBB1118_20
; %bb.19:
	v_add_co_u32_e32 v38, vcc, 0x1000, v18
	v_addc_co_u32_e32 v39, vcc, 0, v19, vcc
	flat_load_dwordx2 v[38:39], v[38:39]
.LBB1118_20:
	s_or_b64 exec, exec, s[24:25]
	v_or_b32_e32 v48, 0x240, v1
	v_cmp_lt_u32_e64 s[24:25], v48, v152
	s_and_saveexec_b64 s[26:27], s[24:25]
	s_cbranch_execz .LBB1118_22
; %bb.21:
	v_add_co_u32_e32 v36, vcc, 0x1000, v18
	v_addc_co_u32_e32 v37, vcc, 0, v19, vcc
	flat_load_dwordx2 v[36:37], v[36:37] offset:512
.LBB1118_22:
	s_or_b64 exec, exec, s[26:27]
	v_or_b32_e32 v48, 0x280, v1
	v_cmp_lt_u32_e64 s[26:27], v48, v152
	v_pk_mov_b32 v[48:49], -1, -1
	v_pk_mov_b32 v[50:51], v[48:49], v[48:49] op_sel:[0,1]
	s_and_saveexec_b64 s[28:29], s[26:27]
	s_cbranch_execz .LBB1118_24
; %bb.23:
	v_add_co_u32_e32 v50, vcc, 0x1000, v18
	v_addc_co_u32_e32 v51, vcc, 0, v19, vcc
	flat_load_dwordx2 v[50:51], v[50:51] offset:1024
.LBB1118_24:
	s_or_b64 exec, exec, s[28:29]
	v_or_b32_e32 v52, 0x2c0, v1
	v_cmp_lt_u32_e64 s[28:29], v52, v152
	s_and_saveexec_b64 s[30:31], s[28:29]
	s_cbranch_execz .LBB1118_26
; %bb.25:
	v_add_co_u32_e32 v48, vcc, 0x1000, v18
	v_addc_co_u32_e32 v49, vcc, 0, v19, vcc
	flat_load_dwordx2 v[48:49], v[48:49] offset:1536
.LBB1118_26:
	s_or_b64 exec, exec, s[30:31]
	v_or_b32_e32 v52, 0x300, v1
	v_cmp_lt_u32_e64 s[30:31], v52, v152
	v_pk_mov_b32 v[52:53], -1, -1
	v_pk_mov_b32 v[54:55], v[52:53], v[52:53] op_sel:[0,1]
	s_and_saveexec_b64 s[34:35], s[30:31]
	s_cbranch_execz .LBB1118_28
; %bb.27:
	v_add_co_u32_e32 v54, vcc, 0x1000, v18
	v_addc_co_u32_e32 v55, vcc, 0, v19, vcc
	flat_load_dwordx2 v[54:55], v[54:55] offset:2048
.LBB1118_28:
	;; [unrolled: 22-line block ×3, first 2 shown]
	s_or_b64 exec, exec, s[38:39]
	v_or_b32_e32 v1, 0x3c0, v1
	v_cmp_lt_u32_e64 s[38:39], v1, v152
	s_and_saveexec_b64 s[46:47], s[38:39]
	s_cbranch_execz .LBB1118_34
; %bb.33:
	v_add_co_u32_e32 v18, vcc, 0x1000, v18
	v_addc_co_u32_e32 v19, vcc, 0, v19, vcc
	flat_load_dwordx2 v[64:65], v[18:19] offset:3584
.LBB1118_34:
	s_or_b64 exec, exec, s[46:47]
	v_add_co_u32_e32 v1, vcc, v4, v20
	v_addc_co_u32_e32 v4, vcc, v5, v21, vcc
	v_add_co_u32_e32 v1, vcc, v1, v23
	v_addc_co_u32_e32 v5, vcc, 0, v4, vcc
	;; [unrolled: 2-line block ×3, first 2 shown]
                                        ; implicit-def: $vgpr16_vgpr17
	s_and_saveexec_b64 vcc, s[4:5]
	s_cbranch_execnz .LBB1118_196
; %bb.35:
	s_or_b64 exec, exec, vcc
                                        ; implicit-def: $vgpr18_vgpr19
	s_and_saveexec_b64 s[4:5], s[6:7]
	s_cbranch_execnz .LBB1118_197
.LBB1118_36:
	s_or_b64 exec, exec, s[4:5]
                                        ; implicit-def: $vgpr182_vgpr183
	s_and_saveexec_b64 s[4:5], s[10:11]
	s_cbranch_execnz .LBB1118_198
.LBB1118_37:
	s_or_b64 exec, exec, s[4:5]
                                        ; implicit-def: $vgpr192_vgpr193
	s_and_saveexec_b64 s[4:5], s[40:41]
	s_cbranch_execnz .LBB1118_199
.LBB1118_38:
	s_or_b64 exec, exec, s[4:5]
                                        ; implicit-def: $vgpr194_vgpr195
	s_and_saveexec_b64 s[4:5], s[14:15]
	s_cbranch_execnz .LBB1118_200
.LBB1118_39:
	s_or_b64 exec, exec, s[4:5]
                                        ; implicit-def: $vgpr196_vgpr197
	s_and_saveexec_b64 s[4:5], s[16:17]
	s_cbranch_execnz .LBB1118_201
.LBB1118_40:
	s_or_b64 exec, exec, s[4:5]
                                        ; implicit-def: $vgpr198_vgpr199
	s_and_saveexec_b64 s[4:5], s[18:19]
	s_cbranch_execnz .LBB1118_202
.LBB1118_41:
	s_or_b64 exec, exec, s[4:5]
                                        ; implicit-def: $vgpr208_vgpr209
	s_and_saveexec_b64 s[4:5], s[20:21]
	s_cbranch_execnz .LBB1118_203
.LBB1118_42:
	s_or_b64 exec, exec, s[4:5]
                                        ; implicit-def: $vgpr210_vgpr211
	s_and_saveexec_b64 s[4:5], s[22:23]
	s_cbranch_execnz .LBB1118_204
.LBB1118_43:
	s_or_b64 exec, exec, s[4:5]
                                        ; implicit-def: $vgpr212_vgpr213
	s_and_saveexec_b64 s[4:5], s[24:25]
	s_cbranch_execnz .LBB1118_205
.LBB1118_44:
	s_or_b64 exec, exec, s[4:5]
                                        ; implicit-def: $vgpr214_vgpr215
	s_and_saveexec_b64 s[4:5], s[26:27]
	s_cbranch_execnz .LBB1118_206
.LBB1118_45:
	s_or_b64 exec, exec, s[4:5]
                                        ; implicit-def: $vgpr224_vgpr225
	s_and_saveexec_b64 s[4:5], s[28:29]
	s_cbranch_execnz .LBB1118_207
.LBB1118_46:
	s_or_b64 exec, exec, s[4:5]
                                        ; implicit-def: $vgpr226_vgpr227
	s_and_saveexec_b64 s[4:5], s[30:31]
	s_cbranch_execnz .LBB1118_208
.LBB1118_47:
	s_or_b64 exec, exec, s[4:5]
                                        ; implicit-def: $vgpr228_vgpr229
	s_and_saveexec_b64 s[4:5], s[34:35]
	s_cbranch_execnz .LBB1118_209
.LBB1118_48:
	s_or_b64 exec, exec, s[4:5]
                                        ; implicit-def: $vgpr242_vgpr243
	s_and_saveexec_b64 s[4:5], s[36:37]
	s_cbranch_execnz .LBB1118_210
.LBB1118_49:
	s_or_b64 exec, exec, s[4:5]
                                        ; implicit-def: $agpr0_agpr1
	s_and_saveexec_b64 s[4:5], s[38:39]
	s_cbranch_execz .LBB1118_51
.LBB1118_50:
	v_add_co_u32_e32 v4, vcc, 0x1000, v4
	v_addc_co_u32_e32 v5, vcc, 0, v5, vcc
	flat_load_dwordx2 a[0:1], v[4:5] offset:3584
.LBB1118_51:
	s_or_b64 exec, exec, s[4:5]
	s_waitcnt vmcnt(0) lgkmcnt(0)
	v_ashrrev_i32_e32 v5, 31, v9
	v_not_b32_e32 v5, v5
	v_xor_b32_e32 v230, v5, v8
	v_ashrrev_i32_e32 v5, 31, v15
	v_not_b32_e32 v5, v5
	v_xor_b32_e32 v240, v5, v14
	;; [unrolled: 3-line block ×6, first 2 shown]
	v_ashrrev_i32_e32 v5, 31, v35
	v_bfrev_b32_e32 v1, -2
	v_cmp_gt_i64_e32 vcc, 0, v[8:9]
	v_not_b32_e32 v5, v5
	v_cndmask_b32_e64 v4, v1, 0, vcc
	v_cmp_gt_i64_e32 vcc, 0, v[14:15]
	v_xor_b32_e32 v44, v5, v34
	v_ashrrev_i32_e32 v5, 31, v33
	v_xor_b32_e32 v231, v4, v9
	v_cndmask_b32_e64 v4, v1, 0, vcc
	v_cmp_gt_i64_e32 vcc, 0, v[26:27]
	v_not_b32_e32 v5, v5
	v_xor_b32_e32 v241, v4, v15
	v_cndmask_b32_e64 v4, v1, 0, vcc
	v_cmp_gt_i64_e32 vcc, 0, v[24:25]
	v_xor_b32_e32 v46, v5, v32
	v_ashrrev_i32_e32 v5, 31, v39
	v_xor_b32_e32 v245, v4, v27
	v_cndmask_b32_e64 v4, v1, 0, vcc
	v_cmp_gt_i64_e32 vcc, 0, v[30:31]
	v_not_b32_e32 v5, v5
	v_xor_b32_e32 v247, v4, v25
	;; [unrolled: 9-line block ×6, first 2 shown]
	v_cndmask_b32_e64 v4, v1, 0, vcc
	v_xor_b32_e32 v124, v5, v54
	v_cmp_gt_i64_e32 vcc, 0, v[52:53]
	v_ashrrev_i32_e32 v5, 31, v53
	v_xor_b32_e32 v125, v4, v55
	v_cndmask_b32_e64 v4, v1, 0, vcc
	v_not_b32_e32 v5, v5
	v_cmp_gt_i64_e32 vcc, 0, v[66:67]
	v_xor_b32_e32 v137, v4, v53
	v_xor_b32_e32 v136, v5, v52
	v_cndmask_b32_e64 v4, v1, 0, vcc
	v_ashrrev_i32_e32 v5, 31, v67
	v_cmp_gt_i64_e32 vcc, 0, v[64:65]
	v_not_b32_e32 v5, v5
	v_xor_b32_e32 v141, v4, v67
	v_cndmask_b32_e64 v4, v1, 0, vcc
	v_add_co_u32_e32 v23, vcc, 16, v12
	v_and_b32_e32 v24, 0x3c0, v22
	v_xor_b32_e32 v140, v5, v66
	v_ashrrev_i32_e32 v5, 31, v65
	v_addc_co_u32_e32 v153, vcc, 0, v13, vcc
	v_lshlrev_b32_e32 v15, 4, v22
	v_min_u32_e32 v24, 0xc0, v24
	v_not_b32_e32 v5, v5
	v_xor_b32_e32 v143, v4, v65
	v_add_co_u32_e32 v4, vcc, v12, v15
	v_or_b32_e32 v24, 63, v24
	v_xor_b32_e32 v142, v5, v64
	s_getpc_b64 s[4:5]
	s_add_u32 s4, s4, _ZN7rocprim17ROCPRIM_400000_NS16block_radix_sortIdLj256ELj16ElLj1ELj1ELj8ELNS0_26block_radix_rank_algorithmE2ELNS0_18block_padding_hintE2ELNS0_4arch9wavefront6targetE1EE19radix_bits_per_passE@rel32@lo+4
	s_addc_u32 s5, s5, _ZN7rocprim17ROCPRIM_400000_NS16block_radix_sortIdLj256ELj16ElLj1ELj1ELj8ELNS0_26block_radix_rank_algorithmE2ELNS0_18block_padding_hintE2ELNS0_4arch9wavefront6targetE1EE19radix_bits_per_passE@rel32@hi+12
	v_addc_co_u32_e32 v5, vcc, 0, v13, vcc
	v_and_b32_e32 v9, 15, v68
	v_cmp_eq_u32_e64 s[16:17], v24, v22
	v_add_u32_e32 v24, -1, v68
	v_and_b32_e32 v25, 64, v68
	s_load_dword s48, s[4:5], 0x0
	v_cmp_eq_u32_e32 vcc, 0, v9
	v_cmp_lt_u32_e64 s[4:5], 1, v9
	v_cmp_lt_u32_e64 s[6:7], 3, v9
	;; [unrolled: 1-line block ×3, first 2 shown]
	v_and_b32_e32 v9, 16, v68
	v_cmp_lt_i32_e64 s[22:23], v24, v25
	v_cmp_eq_u32_e64 s[34:35], 0, v9
	v_lshrrev_b32_e32 v9, 6, v22
	v_cndmask_b32_e64 v24, v24, v68, s[22:23]
	v_lshlrev_b32_e32 v155, 2, v24
	v_lshlrev_b32_e32 v24, 2, v9
	v_add_co_u32_e64 v70, s[26:27], v12, v24
	v_lshlrev_b32_e32 v8, 2, v22
	v_addc_co_u32_e64 v71, s[26:27], 0, v13, s[26:27]
	v_add_co_u32_e64 v80, s[26:27], v12, v8
	v_mov_b32_e32 v14, 0
	v_addc_co_u32_e64 v81, s[26:27], 0, v13, s[26:27]
	v_and_b32_e32 v8, 3, v68
	v_cmp_eq_u32_e64 s[26:27], 0, v8
	v_cmp_lt_u32_e64 s[28:29], 1, v8
	v_add_u32_e32 v8, -1, v9
	v_mov_b32_e32 v9, v14
	v_lshlrev_b64 v[8:9], 2, v[8:9]
	v_add_co_u32_e64 v82, s[30:31], v12, v8
	v_addc_co_u32_e64 v83, s[30:31], v13, v9, s[30:31]
	s_movk_i32 s30, 0x3c00
	v_and_or_b32 v8, v15, s30, v69
	v_lshlrev_b32_e32 v8, 3, v8
	v_add_co_u32_e64 v84, s[30:31], v12, v8
	v_addc_co_u32_e64 v85, s[30:31], 0, v13, s[30:31]
	v_or_b32_e32 v9, 0x1000, v8
	v_add_co_u32_e64 v86, s[30:31], v12, v9
	v_addc_co_u32_e64 v87, s[30:31], 0, v13, s[30:31]
	v_or_b32_e32 v9, 0x1200, v8
	;; [unrolled: 3-line block ×8, first 2 shown]
	s_mov_b32 s40, 0
	v_add_co_u32_e64 v116, s[30:31], v12, v8
	s_mov_b64 s[38:39], 0
	s_brev_b32 s41, 1
	v_lshrrev_b32_e32 v154, 6, v0
	v_cmp_lt_u32_e64 s[14:15], 31, v68
	v_cmp_gt_u32_e64 s[18:19], 4, v22
	v_cmp_lt_u32_e64 s[20:21], 63, v22
	v_cmp_eq_u32_e64 s[22:23], 0, v68
	v_cmp_eq_u32_e64 s[24:25], 0, v22
	v_addc_co_u32_e64 v117, s[30:31], 0, v13, s[30:31]
	v_sub_u32_e32 v156, v11, v10
	s_waitcnt lgkmcnt(0)
	s_barrier
	s_branch .LBB1118_53
.LBB1118_52:                            ;   in Loop: Header=BB1118_53 Depth=1
	s_or_b64 exec, exec, s[36:37]
	s_and_b64 s[30:31], exec, s[46:47]
	s_or_b64 s[38:39], s[30:31], s[38:39]
	s_andn2_b64 exec, exec, s[38:39]
	s_cbranch_execz .LBB1118_93
.LBB1118_53:                            ; =>This Inner Loop Header: Depth=1
	s_waitcnt vmcnt(0)
	v_pk_mov_b32 v[180:181], v[230:231], v[230:231] op_sel:[0,1]
	v_pk_mov_b32 v[68:69], v[16:17], v[16:17] op_sel:[0,1]
	;; [unrolled: 1-line block ×3, first 2 shown]
	v_min_u32_e32 v18, s48, v156
	v_mov_b32_e32 v15, v14
	v_mov_b32_e32 v16, v14
	;; [unrolled: 1-line block ×3, first 2 shown]
	v_cmp_ne_u64_e64 s[30:31], s[40:41], v[180:181]
	flat_store_dwordx4 v[4:5], v[14:17] offset:16
	v_pk_mov_b32 v[64:65], v[182:183], v[182:183] op_sel:[0,1]
	v_lshlrev_b32_e64 v15, v18, -1
	v_cndmask_b32_e64 v17, v1, v181, s[30:31]
	v_cndmask_b32_e64 v16, -1, v180, s[30:31]
	v_not_b32_e32 v18, v15
	v_lshrrev_b64 v[16:17], v10, v[16:17]
	v_and_b32_e32 v19, v16, v18
	v_lshl_add_u32 v16, v19, 2, v154
	v_mov_b32_e32 v17, v14
	v_lshlrev_b64 v[16:17], 2, v[16:17]
	v_add_co_u32_e64 v182, s[30:31], v23, v16
	v_addc_co_u32_e64 v183, s[30:31], v153, v17, s[30:31]
	v_and_b32_e32 v15, 1, v19
	v_add_co_u32_e64 v16, s[30:31], -1, v15
	v_addc_co_u32_e64 v17, s[30:31], 0, -1, s[30:31]
	v_cmp_ne_u32_e64 s[30:31], 0, v15
	v_xor_b32_e32 v15, s31, v17
	v_and_b32_e32 v17, exec_hi, v15
	v_lshlrev_b32_e32 v15, 30, v19
	v_xor_b32_e32 v16, s30, v16
	v_cmp_gt_i64_e64 s[30:31], 0, v[14:15]
	v_not_b32_e32 v15, v15
	v_ashrrev_i32_e32 v15, 31, v15
	v_pk_mov_b32 v[54:55], v[192:193], v[192:193] op_sel:[0,1]
	v_and_b32_e32 v16, exec_lo, v16
	v_xor_b32_e32 v192, s31, v15
	v_xor_b32_e32 v15, s30, v15
	v_and_b32_e32 v16, v16, v15
	v_lshlrev_b32_e32 v15, 29, v19
	v_cmp_gt_i64_e64 s[30:31], 0, v[14:15]
	v_not_b32_e32 v15, v15
	v_ashrrev_i32_e32 v15, 31, v15
	v_and_b32_e32 v17, v17, v192
	v_xor_b32_e32 v192, s31, v15
	v_xor_b32_e32 v15, s30, v15
	v_and_b32_e32 v16, v16, v15
	v_lshlrev_b32_e32 v15, 28, v19
	v_cmp_gt_i64_e64 s[30:31], 0, v[14:15]
	v_not_b32_e32 v15, v15
	v_ashrrev_i32_e32 v15, 31, v15
	v_and_b32_e32 v17, v17, v192
	;; [unrolled: 8-line block ×5, first 2 shown]
	v_xor_b32_e32 v192, s31, v15
	v_xor_b32_e32 v15, s30, v15
	v_and_b32_e32 v16, v16, v15
	v_lshlrev_b32_e32 v15, 24, v19
	v_cmp_gt_i64_e64 s[30:31], 0, v[14:15]
	v_not_b32_e32 v15, v15
	v_ashrrev_i32_e32 v15, 31, v15
	v_xor_b32_e32 v19, s31, v15
	v_xor_b32_e32 v15, s30, v15
	v_and_b32_e32 v17, v17, v192
	v_and_b32_e32 v16, v16, v15
	;; [unrolled: 1-line block ×3, first 2 shown]
	v_mbcnt_lo_u32_b32 v15, v16, 0
	v_pk_mov_b32 v[166:167], v[246:247], v[246:247] op_sel:[0,1]
	v_mbcnt_hi_u32_b32 v246, v17, v15
	v_accvgpr_read_b32 v9, a1
	v_cmp_eq_u32_e64 s[30:31], 0, v246
	v_cmp_ne_u64_e64 s[36:37], 0, v[16:17]
	v_pk_mov_b32 v[52:53], v[194:195], v[194:195] op_sel:[0,1]
	v_pk_mov_b32 v[50:51], v[196:197], v[196:197] op_sel:[0,1]
	;; [unrolled: 1-line block ×11, first 2 shown]
	v_accvgpr_read_b32 v8, a0
	v_pk_mov_b32 v[178:179], v[240:241], v[240:241] op_sel:[0,1]
	v_pk_mov_b32 v[176:177], v[244:245], v[244:245] op_sel:[0,1]
	;; [unrolled: 1-line block ×14, first 2 shown]
	s_and_b64 s[36:37], s[36:37], s[30:31]
	s_waitcnt lgkmcnt(0)
	s_barrier
	s_waitcnt lgkmcnt(0)
	; wave barrier
	s_and_saveexec_b64 s[30:31], s[36:37]
	s_cbranch_execz .LBB1118_55
; %bb.54:                               ;   in Loop: Header=BB1118_53 Depth=1
	v_bcnt_u32_b32 v15, v16, 0
	v_bcnt_u32_b32 v15, v17, v15
	flat_store_dword v[182:183], v15
.LBB1118_55:                            ;   in Loop: Header=BB1118_53 Depth=1
	s_or_b64 exec, exec, s[30:31]
	v_cmp_ne_u64_e64 s[30:31], s[40:41], v[178:179]
	v_cndmask_b32_e64 v17, v1, v179, s[30:31]
	v_cndmask_b32_e64 v16, -1, v178, s[30:31]
	v_lshrrev_b64 v[16:17], v10, v[16:17]
	v_and_b32_e32 v19, v16, v18
	v_lshl_add_u32 v16, v19, 2, v154
	v_mov_b32_e32 v17, v14
	v_lshlrev_b64 v[16:17], 2, v[16:17]
	v_add_co_u32_e64 v192, s[30:31], v23, v16
	v_addc_co_u32_e64 v193, s[30:31], v153, v17, s[30:31]
	; wave barrier
	flat_load_dword v247, v[192:193]
	v_and_b32_e32 v15, 1, v19
	v_add_co_u32_e64 v16, s[30:31], -1, v15
	v_addc_co_u32_e64 v17, s[30:31], 0, -1, s[30:31]
	v_cmp_ne_u32_e64 s[30:31], 0, v15
	v_xor_b32_e32 v15, s31, v17
	v_and_b32_e32 v17, exec_hi, v15
	v_lshlrev_b32_e32 v15, 30, v19
	v_xor_b32_e32 v16, s30, v16
	v_cmp_gt_i64_e64 s[30:31], 0, v[14:15]
	v_not_b32_e32 v15, v15
	v_ashrrev_i32_e32 v15, 31, v15
	v_and_b32_e32 v16, exec_lo, v16
	v_xor_b32_e32 v194, s31, v15
	v_xor_b32_e32 v15, s30, v15
	v_and_b32_e32 v16, v16, v15
	v_lshlrev_b32_e32 v15, 29, v19
	v_cmp_gt_i64_e64 s[30:31], 0, v[14:15]
	v_not_b32_e32 v15, v15
	v_ashrrev_i32_e32 v15, 31, v15
	v_and_b32_e32 v17, v17, v194
	v_xor_b32_e32 v194, s31, v15
	v_xor_b32_e32 v15, s30, v15
	v_and_b32_e32 v16, v16, v15
	v_lshlrev_b32_e32 v15, 28, v19
	v_cmp_gt_i64_e64 s[30:31], 0, v[14:15]
	v_not_b32_e32 v15, v15
	v_ashrrev_i32_e32 v15, 31, v15
	v_and_b32_e32 v17, v17, v194
	;; [unrolled: 8-line block ×5, first 2 shown]
	v_xor_b32_e32 v194, s31, v15
	v_xor_b32_e32 v15, s30, v15
	v_and_b32_e32 v16, v16, v15
	v_lshlrev_b32_e32 v15, 24, v19
	v_cmp_gt_i64_e64 s[30:31], 0, v[14:15]
	v_not_b32_e32 v15, v15
	v_ashrrev_i32_e32 v15, 31, v15
	v_xor_b32_e32 v19, s31, v15
	v_xor_b32_e32 v15, s30, v15
	v_and_b32_e32 v17, v17, v194
	v_and_b32_e32 v16, v16, v15
	;; [unrolled: 1-line block ×3, first 2 shown]
	v_mbcnt_lo_u32_b32 v15, v16, 0
	v_mbcnt_hi_u32_b32 v40, v17, v15
	v_cmp_eq_u32_e64 s[30:31], 0, v40
	v_cmp_ne_u64_e64 s[36:37], 0, v[16:17]
	s_and_b64 s[36:37], s[36:37], s[30:31]
	; wave barrier
	s_and_saveexec_b64 s[30:31], s[36:37]
	s_cbranch_execz .LBB1118_57
; %bb.56:                               ;   in Loop: Header=BB1118_53 Depth=1
	v_bcnt_u32_b32 v15, v16, 0
	v_bcnt_u32_b32 v15, v17, v15
	s_waitcnt vmcnt(0) lgkmcnt(0)
	v_add_u32_e32 v15, v247, v15
	flat_store_dword v[192:193], v15
.LBB1118_57:                            ;   in Loop: Header=BB1118_53 Depth=1
	s_or_b64 exec, exec, s[30:31]
	v_cmp_ne_u64_e64 s[30:31], s[40:41], v[176:177]
	v_cndmask_b32_e64 v17, v1, v177, s[30:31]
	v_cndmask_b32_e64 v16, -1, v176, s[30:31]
	v_lshrrev_b64 v[16:17], v10, v[16:17]
	v_and_b32_e32 v19, v16, v18
	v_lshl_add_u32 v16, v19, 2, v154
	v_mov_b32_e32 v17, v14
	v_lshlrev_b64 v[16:17], 2, v[16:17]
	v_add_co_u32_e64 v194, s[30:31], v23, v16
	v_addc_co_u32_e64 v195, s[30:31], v153, v17, s[30:31]
	; wave barrier
	flat_load_dword v41, v[194:195]
	v_and_b32_e32 v15, 1, v19
	v_add_co_u32_e64 v16, s[30:31], -1, v15
	v_addc_co_u32_e64 v17, s[30:31], 0, -1, s[30:31]
	v_cmp_ne_u32_e64 s[30:31], 0, v15
	v_xor_b32_e32 v15, s31, v17
	v_and_b32_e32 v17, exec_hi, v15
	v_lshlrev_b32_e32 v15, 30, v19
	v_xor_b32_e32 v16, s30, v16
	v_cmp_gt_i64_e64 s[30:31], 0, v[14:15]
	v_not_b32_e32 v15, v15
	v_ashrrev_i32_e32 v15, 31, v15
	v_and_b32_e32 v16, exec_lo, v16
	v_xor_b32_e32 v196, s31, v15
	v_xor_b32_e32 v15, s30, v15
	v_and_b32_e32 v16, v16, v15
	v_lshlrev_b32_e32 v15, 29, v19
	v_cmp_gt_i64_e64 s[30:31], 0, v[14:15]
	v_not_b32_e32 v15, v15
	v_ashrrev_i32_e32 v15, 31, v15
	v_and_b32_e32 v17, v17, v196
	v_xor_b32_e32 v196, s31, v15
	v_xor_b32_e32 v15, s30, v15
	v_and_b32_e32 v16, v16, v15
	v_lshlrev_b32_e32 v15, 28, v19
	v_cmp_gt_i64_e64 s[30:31], 0, v[14:15]
	v_not_b32_e32 v15, v15
	v_ashrrev_i32_e32 v15, 31, v15
	v_and_b32_e32 v17, v17, v196
	;; [unrolled: 8-line block ×5, first 2 shown]
	v_xor_b32_e32 v196, s31, v15
	v_xor_b32_e32 v15, s30, v15
	v_and_b32_e32 v16, v16, v15
	v_lshlrev_b32_e32 v15, 24, v19
	v_cmp_gt_i64_e64 s[30:31], 0, v[14:15]
	v_not_b32_e32 v15, v15
	v_ashrrev_i32_e32 v15, 31, v15
	v_xor_b32_e32 v19, s31, v15
	v_xor_b32_e32 v15, s30, v15
	v_and_b32_e32 v17, v17, v196
	v_and_b32_e32 v16, v16, v15
	;; [unrolled: 1-line block ×3, first 2 shown]
	v_mbcnt_lo_u32_b32 v15, v16, 0
	v_mbcnt_hi_u32_b32 v42, v17, v15
	v_cmp_eq_u32_e64 s[30:31], 0, v42
	v_cmp_ne_u64_e64 s[36:37], 0, v[16:17]
	s_and_b64 s[36:37], s[36:37], s[30:31]
	; wave barrier
	s_and_saveexec_b64 s[30:31], s[36:37]
	s_cbranch_execz .LBB1118_59
; %bb.58:                               ;   in Loop: Header=BB1118_53 Depth=1
	v_bcnt_u32_b32 v15, v16, 0
	v_bcnt_u32_b32 v15, v17, v15
	s_waitcnt vmcnt(0) lgkmcnt(0)
	v_add_u32_e32 v15, v41, v15
	flat_store_dword v[194:195], v15
.LBB1118_59:                            ;   in Loop: Header=BB1118_53 Depth=1
	s_or_b64 exec, exec, s[30:31]
	v_cmp_ne_u64_e64 s[30:31], s[40:41], v[166:167]
	v_cndmask_b32_e64 v17, v1, v167, s[30:31]
	v_cndmask_b32_e64 v16, -1, v166, s[30:31]
	v_lshrrev_b64 v[16:17], v10, v[16:17]
	v_and_b32_e32 v19, v16, v18
	v_lshl_add_u32 v16, v19, 2, v154
	v_mov_b32_e32 v17, v14
	v_lshlrev_b64 v[16:17], 2, v[16:17]
	v_add_co_u32_e64 v196, s[30:31], v23, v16
	v_addc_co_u32_e64 v197, s[30:31], v153, v17, s[30:31]
	; wave barrier
	flat_load_dword v43, v[196:197]
	v_and_b32_e32 v15, 1, v19
	v_add_co_u32_e64 v16, s[30:31], -1, v15
	v_addc_co_u32_e64 v17, s[30:31], 0, -1, s[30:31]
	v_cmp_ne_u32_e64 s[30:31], 0, v15
	v_xor_b32_e32 v15, s31, v17
	v_and_b32_e32 v17, exec_hi, v15
	v_lshlrev_b32_e32 v15, 30, v19
	v_xor_b32_e32 v16, s30, v16
	v_cmp_gt_i64_e64 s[30:31], 0, v[14:15]
	v_not_b32_e32 v15, v15
	v_ashrrev_i32_e32 v15, 31, v15
	v_and_b32_e32 v16, exec_lo, v16
	v_xor_b32_e32 v198, s31, v15
	v_xor_b32_e32 v15, s30, v15
	v_and_b32_e32 v16, v16, v15
	v_lshlrev_b32_e32 v15, 29, v19
	v_cmp_gt_i64_e64 s[30:31], 0, v[14:15]
	v_not_b32_e32 v15, v15
	v_ashrrev_i32_e32 v15, 31, v15
	v_and_b32_e32 v17, v17, v198
	v_xor_b32_e32 v198, s31, v15
	v_xor_b32_e32 v15, s30, v15
	v_and_b32_e32 v16, v16, v15
	v_lshlrev_b32_e32 v15, 28, v19
	v_cmp_gt_i64_e64 s[30:31], 0, v[14:15]
	v_not_b32_e32 v15, v15
	v_ashrrev_i32_e32 v15, 31, v15
	v_and_b32_e32 v17, v17, v198
	;; [unrolled: 8-line block ×5, first 2 shown]
	v_xor_b32_e32 v198, s31, v15
	v_xor_b32_e32 v15, s30, v15
	v_and_b32_e32 v16, v16, v15
	v_lshlrev_b32_e32 v15, 24, v19
	v_cmp_gt_i64_e64 s[30:31], 0, v[14:15]
	v_not_b32_e32 v15, v15
	v_ashrrev_i32_e32 v15, 31, v15
	v_xor_b32_e32 v19, s31, v15
	v_xor_b32_e32 v15, s30, v15
	v_and_b32_e32 v17, v17, v198
	v_and_b32_e32 v16, v16, v15
	;; [unrolled: 1-line block ×3, first 2 shown]
	v_mbcnt_lo_u32_b32 v15, v16, 0
	v_mbcnt_hi_u32_b32 v44, v17, v15
	v_cmp_eq_u32_e64 s[30:31], 0, v44
	v_cmp_ne_u64_e64 s[36:37], 0, v[16:17]
	s_and_b64 s[36:37], s[36:37], s[30:31]
	; wave barrier
	s_and_saveexec_b64 s[30:31], s[36:37]
	s_cbranch_execz .LBB1118_61
; %bb.60:                               ;   in Loop: Header=BB1118_53 Depth=1
	v_bcnt_u32_b32 v15, v16, 0
	v_bcnt_u32_b32 v15, v17, v15
	s_waitcnt vmcnt(0) lgkmcnt(0)
	v_add_u32_e32 v15, v43, v15
	flat_store_dword v[196:197], v15
.LBB1118_61:                            ;   in Loop: Header=BB1118_53 Depth=1
	s_or_b64 exec, exec, s[30:31]
	v_cmp_ne_u64_e64 s[30:31], s[40:41], v[164:165]
	v_cndmask_b32_e64 v17, v1, v165, s[30:31]
	v_cndmask_b32_e64 v16, -1, v164, s[30:31]
	v_lshrrev_b64 v[16:17], v10, v[16:17]
	v_and_b32_e32 v19, v16, v18
	v_lshl_add_u32 v16, v19, 2, v154
	v_mov_b32_e32 v17, v14
	v_lshlrev_b64 v[16:17], 2, v[16:17]
	v_add_co_u32_e64 v198, s[30:31], v23, v16
	v_addc_co_u32_e64 v199, s[30:31], v153, v17, s[30:31]
	; wave barrier
	flat_load_dword v45, v[198:199]
	v_and_b32_e32 v15, 1, v19
	v_add_co_u32_e64 v16, s[30:31], -1, v15
	v_addc_co_u32_e64 v17, s[30:31], 0, -1, s[30:31]
	v_cmp_ne_u32_e64 s[30:31], 0, v15
	v_xor_b32_e32 v15, s31, v17
	v_and_b32_e32 v17, exec_hi, v15
	v_lshlrev_b32_e32 v15, 30, v19
	v_xor_b32_e32 v16, s30, v16
	v_cmp_gt_i64_e64 s[30:31], 0, v[14:15]
	v_not_b32_e32 v15, v15
	v_ashrrev_i32_e32 v15, 31, v15
	v_and_b32_e32 v16, exec_lo, v16
	v_xor_b32_e32 v208, s31, v15
	v_xor_b32_e32 v15, s30, v15
	v_and_b32_e32 v16, v16, v15
	v_lshlrev_b32_e32 v15, 29, v19
	v_cmp_gt_i64_e64 s[30:31], 0, v[14:15]
	v_not_b32_e32 v15, v15
	v_ashrrev_i32_e32 v15, 31, v15
	v_and_b32_e32 v17, v17, v208
	v_xor_b32_e32 v208, s31, v15
	v_xor_b32_e32 v15, s30, v15
	v_and_b32_e32 v16, v16, v15
	v_lshlrev_b32_e32 v15, 28, v19
	v_cmp_gt_i64_e64 s[30:31], 0, v[14:15]
	v_not_b32_e32 v15, v15
	v_ashrrev_i32_e32 v15, 31, v15
	v_and_b32_e32 v17, v17, v208
	;; [unrolled: 8-line block ×5, first 2 shown]
	v_xor_b32_e32 v208, s31, v15
	v_xor_b32_e32 v15, s30, v15
	v_and_b32_e32 v16, v16, v15
	v_lshlrev_b32_e32 v15, 24, v19
	v_cmp_gt_i64_e64 s[30:31], 0, v[14:15]
	v_not_b32_e32 v15, v15
	v_ashrrev_i32_e32 v15, 31, v15
	v_xor_b32_e32 v19, s31, v15
	v_xor_b32_e32 v15, s30, v15
	v_and_b32_e32 v17, v17, v208
	v_and_b32_e32 v16, v16, v15
	;; [unrolled: 1-line block ×3, first 2 shown]
	v_mbcnt_lo_u32_b32 v15, v16, 0
	v_mbcnt_hi_u32_b32 v46, v17, v15
	v_cmp_eq_u32_e64 s[30:31], 0, v46
	v_cmp_ne_u64_e64 s[36:37], 0, v[16:17]
	s_and_b64 s[36:37], s[36:37], s[30:31]
	; wave barrier
	s_and_saveexec_b64 s[30:31], s[36:37]
	s_cbranch_execz .LBB1118_63
; %bb.62:                               ;   in Loop: Header=BB1118_53 Depth=1
	v_bcnt_u32_b32 v15, v16, 0
	v_bcnt_u32_b32 v15, v17, v15
	s_waitcnt vmcnt(0) lgkmcnt(0)
	v_add_u32_e32 v15, v45, v15
	flat_store_dword v[198:199], v15
.LBB1118_63:                            ;   in Loop: Header=BB1118_53 Depth=1
	s_or_b64 exec, exec, s[30:31]
	v_cmp_ne_u64_e64 s[30:31], s[40:41], v[162:163]
	v_cndmask_b32_e64 v17, v1, v163, s[30:31]
	v_cndmask_b32_e64 v16, -1, v162, s[30:31]
	v_lshrrev_b64 v[16:17], v10, v[16:17]
	v_and_b32_e32 v19, v16, v18
	v_lshl_add_u32 v16, v19, 2, v154
	v_mov_b32_e32 v17, v14
	v_lshlrev_b64 v[16:17], 2, v[16:17]
	v_add_co_u32_e64 v208, s[30:31], v23, v16
	v_addc_co_u32_e64 v209, s[30:31], v153, v17, s[30:31]
	; wave barrier
	flat_load_dword v47, v[208:209]
	v_and_b32_e32 v15, 1, v19
	v_add_co_u32_e64 v16, s[30:31], -1, v15
	v_addc_co_u32_e64 v17, s[30:31], 0, -1, s[30:31]
	v_cmp_ne_u32_e64 s[30:31], 0, v15
	v_xor_b32_e32 v15, s31, v17
	v_and_b32_e32 v17, exec_hi, v15
	v_lshlrev_b32_e32 v15, 30, v19
	v_xor_b32_e32 v16, s30, v16
	v_cmp_gt_i64_e64 s[30:31], 0, v[14:15]
	v_not_b32_e32 v15, v15
	v_ashrrev_i32_e32 v15, 31, v15
	v_and_b32_e32 v16, exec_lo, v16
	v_xor_b32_e32 v210, s31, v15
	v_xor_b32_e32 v15, s30, v15
	v_and_b32_e32 v16, v16, v15
	v_lshlrev_b32_e32 v15, 29, v19
	v_cmp_gt_i64_e64 s[30:31], 0, v[14:15]
	v_not_b32_e32 v15, v15
	v_ashrrev_i32_e32 v15, 31, v15
	v_and_b32_e32 v17, v17, v210
	v_xor_b32_e32 v210, s31, v15
	v_xor_b32_e32 v15, s30, v15
	v_and_b32_e32 v16, v16, v15
	v_lshlrev_b32_e32 v15, 28, v19
	v_cmp_gt_i64_e64 s[30:31], 0, v[14:15]
	v_not_b32_e32 v15, v15
	v_ashrrev_i32_e32 v15, 31, v15
	v_and_b32_e32 v17, v17, v210
	;; [unrolled: 8-line block ×5, first 2 shown]
	v_xor_b32_e32 v210, s31, v15
	v_xor_b32_e32 v15, s30, v15
	v_and_b32_e32 v16, v16, v15
	v_lshlrev_b32_e32 v15, 24, v19
	v_cmp_gt_i64_e64 s[30:31], 0, v[14:15]
	v_not_b32_e32 v15, v15
	v_ashrrev_i32_e32 v15, 31, v15
	v_xor_b32_e32 v19, s31, v15
	v_xor_b32_e32 v15, s30, v15
	v_and_b32_e32 v17, v17, v210
	v_and_b32_e32 v16, v16, v15
	;; [unrolled: 1-line block ×3, first 2 shown]
	v_mbcnt_lo_u32_b32 v15, v16, 0
	v_mbcnt_hi_u32_b32 v56, v17, v15
	v_cmp_eq_u32_e64 s[30:31], 0, v56
	v_cmp_ne_u64_e64 s[36:37], 0, v[16:17]
	s_and_b64 s[36:37], s[36:37], s[30:31]
	; wave barrier
	s_and_saveexec_b64 s[30:31], s[36:37]
	s_cbranch_execz .LBB1118_65
; %bb.64:                               ;   in Loop: Header=BB1118_53 Depth=1
	v_bcnt_u32_b32 v15, v16, 0
	v_bcnt_u32_b32 v15, v17, v15
	s_waitcnt vmcnt(0) lgkmcnt(0)
	v_add_u32_e32 v15, v47, v15
	flat_store_dword v[208:209], v15
.LBB1118_65:                            ;   in Loop: Header=BB1118_53 Depth=1
	s_or_b64 exec, exec, s[30:31]
	v_cmp_ne_u64_e64 s[30:31], s[40:41], v[160:161]
	v_cndmask_b32_e64 v17, v1, v161, s[30:31]
	v_cndmask_b32_e64 v16, -1, v160, s[30:31]
	v_lshrrev_b64 v[16:17], v10, v[16:17]
	v_and_b32_e32 v19, v16, v18
	v_lshl_add_u32 v16, v19, 2, v154
	v_mov_b32_e32 v17, v14
	v_lshlrev_b64 v[16:17], 2, v[16:17]
	v_add_co_u32_e64 v210, s[30:31], v23, v16
	v_addc_co_u32_e64 v211, s[30:31], v153, v17, s[30:31]
	; wave barrier
	flat_load_dword v57, v[210:211]
	v_and_b32_e32 v15, 1, v19
	v_add_co_u32_e64 v16, s[30:31], -1, v15
	v_addc_co_u32_e64 v17, s[30:31], 0, -1, s[30:31]
	v_cmp_ne_u32_e64 s[30:31], 0, v15
	v_xor_b32_e32 v15, s31, v17
	v_and_b32_e32 v17, exec_hi, v15
	v_lshlrev_b32_e32 v15, 30, v19
	v_xor_b32_e32 v16, s30, v16
	v_cmp_gt_i64_e64 s[30:31], 0, v[14:15]
	v_not_b32_e32 v15, v15
	v_ashrrev_i32_e32 v15, 31, v15
	v_and_b32_e32 v16, exec_lo, v16
	v_xor_b32_e32 v212, s31, v15
	v_xor_b32_e32 v15, s30, v15
	v_and_b32_e32 v16, v16, v15
	v_lshlrev_b32_e32 v15, 29, v19
	v_cmp_gt_i64_e64 s[30:31], 0, v[14:15]
	v_not_b32_e32 v15, v15
	v_ashrrev_i32_e32 v15, 31, v15
	v_and_b32_e32 v17, v17, v212
	v_xor_b32_e32 v212, s31, v15
	v_xor_b32_e32 v15, s30, v15
	v_and_b32_e32 v16, v16, v15
	v_lshlrev_b32_e32 v15, 28, v19
	v_cmp_gt_i64_e64 s[30:31], 0, v[14:15]
	v_not_b32_e32 v15, v15
	v_ashrrev_i32_e32 v15, 31, v15
	v_and_b32_e32 v17, v17, v212
	v_xor_b32_e32 v212, s31, v15
	v_xor_b32_e32 v15, s30, v15
	v_and_b32_e32 v16, v16, v15
	v_lshlrev_b32_e32 v15, 27, v19
	v_cmp_gt_i64_e64 s[30:31], 0, v[14:15]
	v_not_b32_e32 v15, v15
	v_ashrrev_i32_e32 v15, 31, v15
	v_and_b32_e32 v17, v17, v212
	v_xor_b32_e32 v212, s31, v15
	v_xor_b32_e32 v15, s30, v15
	v_and_b32_e32 v16, v16, v15
	v_lshlrev_b32_e32 v15, 26, v19
	v_cmp_gt_i64_e64 s[30:31], 0, v[14:15]
	v_not_b32_e32 v15, v15
	v_ashrrev_i32_e32 v15, 31, v15
	v_and_b32_e32 v17, v17, v212
	v_xor_b32_e32 v212, s31, v15
	v_xor_b32_e32 v15, s30, v15
	v_and_b32_e32 v16, v16, v15
	v_lshlrev_b32_e32 v15, 25, v19
	v_cmp_gt_i64_e64 s[30:31], 0, v[14:15]
	v_not_b32_e32 v15, v15
	v_ashrrev_i32_e32 v15, 31, v15
	v_and_b32_e32 v17, v17, v212
	v_xor_b32_e32 v212, s31, v15
	v_xor_b32_e32 v15, s30, v15
	v_and_b32_e32 v16, v16, v15
	v_lshlrev_b32_e32 v15, 24, v19
	v_cmp_gt_i64_e64 s[30:31], 0, v[14:15]
	v_not_b32_e32 v15, v15
	v_ashrrev_i32_e32 v15, 31, v15
	v_xor_b32_e32 v19, s31, v15
	v_xor_b32_e32 v15, s30, v15
	v_and_b32_e32 v17, v17, v212
	v_and_b32_e32 v16, v16, v15
	;; [unrolled: 1-line block ×3, first 2 shown]
	v_mbcnt_lo_u32_b32 v15, v16, 0
	v_mbcnt_hi_u32_b32 v58, v17, v15
	v_cmp_eq_u32_e64 s[30:31], 0, v58
	v_cmp_ne_u64_e64 s[36:37], 0, v[16:17]
	s_and_b64 s[36:37], s[36:37], s[30:31]
	; wave barrier
	s_and_saveexec_b64 s[30:31], s[36:37]
	s_cbranch_execz .LBB1118_67
; %bb.66:                               ;   in Loop: Header=BB1118_53 Depth=1
	v_bcnt_u32_b32 v15, v16, 0
	v_bcnt_u32_b32 v15, v17, v15
	s_waitcnt vmcnt(0) lgkmcnt(0)
	v_add_u32_e32 v15, v57, v15
	flat_store_dword v[210:211], v15
.LBB1118_67:                            ;   in Loop: Header=BB1118_53 Depth=1
	s_or_b64 exec, exec, s[30:31]
	v_cmp_ne_u64_e64 s[30:31], s[40:41], v[150:151]
	v_cndmask_b32_e64 v17, v1, v151, s[30:31]
	v_cndmask_b32_e64 v16, -1, v150, s[30:31]
	v_lshrrev_b64 v[16:17], v10, v[16:17]
	v_and_b32_e32 v19, v16, v18
	v_lshl_add_u32 v16, v19, 2, v154
	v_mov_b32_e32 v17, v14
	v_lshlrev_b64 v[16:17], 2, v[16:17]
	v_add_co_u32_e64 v212, s[30:31], v23, v16
	v_addc_co_u32_e64 v213, s[30:31], v153, v17, s[30:31]
	; wave barrier
	flat_load_dword v59, v[212:213]
	v_and_b32_e32 v15, 1, v19
	v_add_co_u32_e64 v16, s[30:31], -1, v15
	v_addc_co_u32_e64 v17, s[30:31], 0, -1, s[30:31]
	v_cmp_ne_u32_e64 s[30:31], 0, v15
	v_xor_b32_e32 v15, s31, v17
	v_and_b32_e32 v17, exec_hi, v15
	v_lshlrev_b32_e32 v15, 30, v19
	v_xor_b32_e32 v16, s30, v16
	v_cmp_gt_i64_e64 s[30:31], 0, v[14:15]
	v_not_b32_e32 v15, v15
	v_ashrrev_i32_e32 v15, 31, v15
	v_and_b32_e32 v16, exec_lo, v16
	v_xor_b32_e32 v214, s31, v15
	v_xor_b32_e32 v15, s30, v15
	v_and_b32_e32 v16, v16, v15
	v_lshlrev_b32_e32 v15, 29, v19
	v_cmp_gt_i64_e64 s[30:31], 0, v[14:15]
	v_not_b32_e32 v15, v15
	v_ashrrev_i32_e32 v15, 31, v15
	v_and_b32_e32 v17, v17, v214
	v_xor_b32_e32 v214, s31, v15
	v_xor_b32_e32 v15, s30, v15
	v_and_b32_e32 v16, v16, v15
	v_lshlrev_b32_e32 v15, 28, v19
	v_cmp_gt_i64_e64 s[30:31], 0, v[14:15]
	v_not_b32_e32 v15, v15
	v_ashrrev_i32_e32 v15, 31, v15
	v_and_b32_e32 v17, v17, v214
	;; [unrolled: 8-line block ×5, first 2 shown]
	v_xor_b32_e32 v214, s31, v15
	v_xor_b32_e32 v15, s30, v15
	v_and_b32_e32 v16, v16, v15
	v_lshlrev_b32_e32 v15, 24, v19
	v_cmp_gt_i64_e64 s[30:31], 0, v[14:15]
	v_not_b32_e32 v15, v15
	v_ashrrev_i32_e32 v15, 31, v15
	v_xor_b32_e32 v19, s31, v15
	v_xor_b32_e32 v15, s30, v15
	v_and_b32_e32 v17, v17, v214
	v_and_b32_e32 v16, v16, v15
	v_and_b32_e32 v17, v17, v19
	v_mbcnt_lo_u32_b32 v15, v16, 0
	v_mbcnt_hi_u32_b32 v60, v17, v15
	v_cmp_eq_u32_e64 s[30:31], 0, v60
	v_cmp_ne_u64_e64 s[36:37], 0, v[16:17]
	s_and_b64 s[36:37], s[36:37], s[30:31]
	; wave barrier
	s_and_saveexec_b64 s[30:31], s[36:37]
	s_cbranch_execz .LBB1118_69
; %bb.68:                               ;   in Loop: Header=BB1118_53 Depth=1
	v_bcnt_u32_b32 v15, v16, 0
	v_bcnt_u32_b32 v15, v17, v15
	s_waitcnt vmcnt(0) lgkmcnt(0)
	v_add_u32_e32 v15, v59, v15
	flat_store_dword v[212:213], v15
.LBB1118_69:                            ;   in Loop: Header=BB1118_53 Depth=1
	s_or_b64 exec, exec, s[30:31]
	v_cmp_ne_u64_e64 s[30:31], s[40:41], v[148:149]
	v_cndmask_b32_e64 v17, v1, v149, s[30:31]
	v_cndmask_b32_e64 v16, -1, v148, s[30:31]
	v_lshrrev_b64 v[16:17], v10, v[16:17]
	v_and_b32_e32 v19, v16, v18
	v_lshl_add_u32 v16, v19, 2, v154
	v_mov_b32_e32 v17, v14
	v_lshlrev_b64 v[16:17], 2, v[16:17]
	v_add_co_u32_e64 v214, s[30:31], v23, v16
	v_addc_co_u32_e64 v215, s[30:31], v153, v17, s[30:31]
	; wave barrier
	flat_load_dword v61, v[214:215]
	v_and_b32_e32 v15, 1, v19
	v_add_co_u32_e64 v16, s[30:31], -1, v15
	v_addc_co_u32_e64 v17, s[30:31], 0, -1, s[30:31]
	v_cmp_ne_u32_e64 s[30:31], 0, v15
	v_xor_b32_e32 v15, s31, v17
	v_and_b32_e32 v17, exec_hi, v15
	v_lshlrev_b32_e32 v15, 30, v19
	v_xor_b32_e32 v16, s30, v16
	v_cmp_gt_i64_e64 s[30:31], 0, v[14:15]
	v_not_b32_e32 v15, v15
	v_ashrrev_i32_e32 v15, 31, v15
	v_and_b32_e32 v16, exec_lo, v16
	v_xor_b32_e32 v224, s31, v15
	v_xor_b32_e32 v15, s30, v15
	v_and_b32_e32 v16, v16, v15
	v_lshlrev_b32_e32 v15, 29, v19
	v_cmp_gt_i64_e64 s[30:31], 0, v[14:15]
	v_not_b32_e32 v15, v15
	v_ashrrev_i32_e32 v15, 31, v15
	v_and_b32_e32 v17, v17, v224
	v_xor_b32_e32 v224, s31, v15
	v_xor_b32_e32 v15, s30, v15
	v_and_b32_e32 v16, v16, v15
	v_lshlrev_b32_e32 v15, 28, v19
	v_cmp_gt_i64_e64 s[30:31], 0, v[14:15]
	v_not_b32_e32 v15, v15
	v_ashrrev_i32_e32 v15, 31, v15
	v_and_b32_e32 v17, v17, v224
	;; [unrolled: 8-line block ×5, first 2 shown]
	v_xor_b32_e32 v224, s31, v15
	v_xor_b32_e32 v15, s30, v15
	v_and_b32_e32 v16, v16, v15
	v_lshlrev_b32_e32 v15, 24, v19
	v_cmp_gt_i64_e64 s[30:31], 0, v[14:15]
	v_not_b32_e32 v15, v15
	v_ashrrev_i32_e32 v15, 31, v15
	v_xor_b32_e32 v19, s31, v15
	v_xor_b32_e32 v15, s30, v15
	v_and_b32_e32 v17, v17, v224
	v_and_b32_e32 v16, v16, v15
	;; [unrolled: 1-line block ×3, first 2 shown]
	v_mbcnt_lo_u32_b32 v15, v16, 0
	v_mbcnt_hi_u32_b32 v62, v17, v15
	v_cmp_eq_u32_e64 s[30:31], 0, v62
	v_cmp_ne_u64_e64 s[36:37], 0, v[16:17]
	s_and_b64 s[36:37], s[36:37], s[30:31]
	; wave barrier
	s_and_saveexec_b64 s[30:31], s[36:37]
	s_cbranch_execz .LBB1118_71
; %bb.70:                               ;   in Loop: Header=BB1118_53 Depth=1
	v_bcnt_u32_b32 v15, v16, 0
	v_bcnt_u32_b32 v15, v17, v15
	s_waitcnt vmcnt(0) lgkmcnt(0)
	v_add_u32_e32 v15, v61, v15
	flat_store_dword v[214:215], v15
.LBB1118_71:                            ;   in Loop: Header=BB1118_53 Depth=1
	s_or_b64 exec, exec, s[30:31]
	v_cmp_ne_u64_e64 s[30:31], s[40:41], v[146:147]
	v_cndmask_b32_e64 v17, v1, v147, s[30:31]
	v_cndmask_b32_e64 v16, -1, v146, s[30:31]
	v_lshrrev_b64 v[16:17], v10, v[16:17]
	v_and_b32_e32 v19, v16, v18
	v_lshl_add_u32 v16, v19, 2, v154
	v_mov_b32_e32 v17, v14
	v_lshlrev_b64 v[16:17], 2, v[16:17]
	v_add_co_u32_e64 v224, s[30:31], v23, v16
	v_addc_co_u32_e64 v225, s[30:31], v153, v17, s[30:31]
	; wave barrier
	flat_load_dword v63, v[224:225]
	v_and_b32_e32 v15, 1, v19
	v_add_co_u32_e64 v16, s[30:31], -1, v15
	v_addc_co_u32_e64 v17, s[30:31], 0, -1, s[30:31]
	v_cmp_ne_u32_e64 s[30:31], 0, v15
	v_xor_b32_e32 v15, s31, v17
	v_and_b32_e32 v17, exec_hi, v15
	v_lshlrev_b32_e32 v15, 30, v19
	v_xor_b32_e32 v16, s30, v16
	v_cmp_gt_i64_e64 s[30:31], 0, v[14:15]
	v_not_b32_e32 v15, v15
	v_ashrrev_i32_e32 v15, 31, v15
	v_and_b32_e32 v16, exec_lo, v16
	v_xor_b32_e32 v226, s31, v15
	v_xor_b32_e32 v15, s30, v15
	v_and_b32_e32 v16, v16, v15
	v_lshlrev_b32_e32 v15, 29, v19
	v_cmp_gt_i64_e64 s[30:31], 0, v[14:15]
	v_not_b32_e32 v15, v15
	v_ashrrev_i32_e32 v15, 31, v15
	v_and_b32_e32 v17, v17, v226
	v_xor_b32_e32 v226, s31, v15
	v_xor_b32_e32 v15, s30, v15
	v_and_b32_e32 v16, v16, v15
	v_lshlrev_b32_e32 v15, 28, v19
	v_cmp_gt_i64_e64 s[30:31], 0, v[14:15]
	v_not_b32_e32 v15, v15
	v_ashrrev_i32_e32 v15, 31, v15
	v_and_b32_e32 v17, v17, v226
	;; [unrolled: 8-line block ×5, first 2 shown]
	v_xor_b32_e32 v226, s31, v15
	v_xor_b32_e32 v15, s30, v15
	v_and_b32_e32 v16, v16, v15
	v_lshlrev_b32_e32 v15, 24, v19
	v_cmp_gt_i64_e64 s[30:31], 0, v[14:15]
	v_not_b32_e32 v15, v15
	v_ashrrev_i32_e32 v15, 31, v15
	v_xor_b32_e32 v19, s31, v15
	v_xor_b32_e32 v15, s30, v15
	v_and_b32_e32 v17, v17, v226
	v_and_b32_e32 v16, v16, v15
	;; [unrolled: 1-line block ×3, first 2 shown]
	v_mbcnt_lo_u32_b32 v15, v16, 0
	v_mbcnt_hi_u32_b32 v72, v17, v15
	v_cmp_eq_u32_e64 s[30:31], 0, v72
	v_cmp_ne_u64_e64 s[36:37], 0, v[16:17]
	s_and_b64 s[36:37], s[36:37], s[30:31]
	; wave barrier
	s_and_saveexec_b64 s[30:31], s[36:37]
	s_cbranch_execz .LBB1118_73
; %bb.72:                               ;   in Loop: Header=BB1118_53 Depth=1
	v_bcnt_u32_b32 v15, v16, 0
	v_bcnt_u32_b32 v15, v17, v15
	s_waitcnt vmcnt(0) lgkmcnt(0)
	v_add_u32_e32 v15, v63, v15
	flat_store_dword v[224:225], v15
.LBB1118_73:                            ;   in Loop: Header=BB1118_53 Depth=1
	s_or_b64 exec, exec, s[30:31]
	v_cmp_ne_u64_e64 s[30:31], s[40:41], v[144:145]
	v_cndmask_b32_e64 v17, v1, v145, s[30:31]
	v_cndmask_b32_e64 v16, -1, v144, s[30:31]
	v_lshrrev_b64 v[16:17], v10, v[16:17]
	v_and_b32_e32 v19, v16, v18
	v_lshl_add_u32 v16, v19, 2, v154
	v_mov_b32_e32 v17, v14
	v_lshlrev_b64 v[16:17], 2, v[16:17]
	v_add_co_u32_e64 v226, s[30:31], v23, v16
	v_addc_co_u32_e64 v227, s[30:31], v153, v17, s[30:31]
	; wave barrier
	flat_load_dword v73, v[226:227]
	v_and_b32_e32 v15, 1, v19
	v_add_co_u32_e64 v16, s[30:31], -1, v15
	v_addc_co_u32_e64 v17, s[30:31], 0, -1, s[30:31]
	v_cmp_ne_u32_e64 s[30:31], 0, v15
	v_xor_b32_e32 v15, s31, v17
	v_and_b32_e32 v17, exec_hi, v15
	v_lshlrev_b32_e32 v15, 30, v19
	v_xor_b32_e32 v16, s30, v16
	v_cmp_gt_i64_e64 s[30:31], 0, v[14:15]
	v_not_b32_e32 v15, v15
	v_ashrrev_i32_e32 v15, 31, v15
	v_and_b32_e32 v16, exec_lo, v16
	v_xor_b32_e32 v228, s31, v15
	v_xor_b32_e32 v15, s30, v15
	v_and_b32_e32 v16, v16, v15
	v_lshlrev_b32_e32 v15, 29, v19
	v_cmp_gt_i64_e64 s[30:31], 0, v[14:15]
	v_not_b32_e32 v15, v15
	v_ashrrev_i32_e32 v15, 31, v15
	v_and_b32_e32 v17, v17, v228
	v_xor_b32_e32 v228, s31, v15
	v_xor_b32_e32 v15, s30, v15
	v_and_b32_e32 v16, v16, v15
	v_lshlrev_b32_e32 v15, 28, v19
	v_cmp_gt_i64_e64 s[30:31], 0, v[14:15]
	v_not_b32_e32 v15, v15
	v_ashrrev_i32_e32 v15, 31, v15
	v_and_b32_e32 v17, v17, v228
	;; [unrolled: 8-line block ×5, first 2 shown]
	v_xor_b32_e32 v228, s31, v15
	v_xor_b32_e32 v15, s30, v15
	v_and_b32_e32 v16, v16, v15
	v_lshlrev_b32_e32 v15, 24, v19
	v_cmp_gt_i64_e64 s[30:31], 0, v[14:15]
	v_not_b32_e32 v15, v15
	v_ashrrev_i32_e32 v15, 31, v15
	v_xor_b32_e32 v19, s31, v15
	v_xor_b32_e32 v15, s30, v15
	v_and_b32_e32 v17, v17, v228
	v_and_b32_e32 v16, v16, v15
	;; [unrolled: 1-line block ×3, first 2 shown]
	v_mbcnt_lo_u32_b32 v15, v16, 0
	v_mbcnt_hi_u32_b32 v74, v17, v15
	v_cmp_eq_u32_e64 s[30:31], 0, v74
	v_cmp_ne_u64_e64 s[36:37], 0, v[16:17]
	s_and_b64 s[36:37], s[36:37], s[30:31]
	; wave barrier
	s_and_saveexec_b64 s[30:31], s[36:37]
	s_cbranch_execz .LBB1118_75
; %bb.74:                               ;   in Loop: Header=BB1118_53 Depth=1
	v_bcnt_u32_b32 v15, v16, 0
	v_bcnt_u32_b32 v15, v17, v15
	s_waitcnt vmcnt(0) lgkmcnt(0)
	v_add_u32_e32 v15, v73, v15
	flat_store_dword v[226:227], v15
.LBB1118_75:                            ;   in Loop: Header=BB1118_53 Depth=1
	s_or_b64 exec, exec, s[30:31]
	v_cmp_ne_u64_e64 s[30:31], s[40:41], v[134:135]
	v_cndmask_b32_e64 v17, v1, v135, s[30:31]
	v_cndmask_b32_e64 v16, -1, v134, s[30:31]
	v_lshrrev_b64 v[16:17], v10, v[16:17]
	v_and_b32_e32 v19, v16, v18
	v_lshl_add_u32 v16, v19, 2, v154
	v_mov_b32_e32 v17, v14
	v_lshlrev_b64 v[16:17], 2, v[16:17]
	v_add_co_u32_e64 v228, s[30:31], v23, v16
	v_addc_co_u32_e64 v229, s[30:31], v153, v17, s[30:31]
	; wave barrier
	flat_load_dword v75, v[228:229]
	v_and_b32_e32 v15, 1, v19
	v_add_co_u32_e64 v16, s[30:31], -1, v15
	v_addc_co_u32_e64 v17, s[30:31], 0, -1, s[30:31]
	v_cmp_ne_u32_e64 s[30:31], 0, v15
	v_xor_b32_e32 v15, s31, v17
	v_and_b32_e32 v17, exec_hi, v15
	v_lshlrev_b32_e32 v15, 30, v19
	v_xor_b32_e32 v16, s30, v16
	v_cmp_gt_i64_e64 s[30:31], 0, v[14:15]
	v_not_b32_e32 v15, v15
	v_ashrrev_i32_e32 v15, 31, v15
	v_and_b32_e32 v16, exec_lo, v16
	v_xor_b32_e32 v230, s31, v15
	v_xor_b32_e32 v15, s30, v15
	v_and_b32_e32 v16, v16, v15
	v_lshlrev_b32_e32 v15, 29, v19
	v_cmp_gt_i64_e64 s[30:31], 0, v[14:15]
	v_not_b32_e32 v15, v15
	v_ashrrev_i32_e32 v15, 31, v15
	v_and_b32_e32 v17, v17, v230
	v_xor_b32_e32 v230, s31, v15
	v_xor_b32_e32 v15, s30, v15
	v_and_b32_e32 v16, v16, v15
	v_lshlrev_b32_e32 v15, 28, v19
	v_cmp_gt_i64_e64 s[30:31], 0, v[14:15]
	v_not_b32_e32 v15, v15
	v_ashrrev_i32_e32 v15, 31, v15
	v_and_b32_e32 v17, v17, v230
	;; [unrolled: 8-line block ×5, first 2 shown]
	v_xor_b32_e32 v230, s31, v15
	v_xor_b32_e32 v15, s30, v15
	v_and_b32_e32 v16, v16, v15
	v_lshlrev_b32_e32 v15, 24, v19
	v_cmp_gt_i64_e64 s[30:31], 0, v[14:15]
	v_not_b32_e32 v15, v15
	v_ashrrev_i32_e32 v15, 31, v15
	v_xor_b32_e32 v19, s31, v15
	v_xor_b32_e32 v15, s30, v15
	v_and_b32_e32 v17, v17, v230
	v_and_b32_e32 v16, v16, v15
	v_and_b32_e32 v17, v17, v19
	v_mbcnt_lo_u32_b32 v15, v16, 0
	v_mbcnt_hi_u32_b32 v76, v17, v15
	v_cmp_eq_u32_e64 s[30:31], 0, v76
	v_cmp_ne_u64_e64 s[36:37], 0, v[16:17]
	s_and_b64 s[36:37], s[36:37], s[30:31]
	; wave barrier
	s_and_saveexec_b64 s[30:31], s[36:37]
	s_cbranch_execz .LBB1118_77
; %bb.76:                               ;   in Loop: Header=BB1118_53 Depth=1
	v_bcnt_u32_b32 v15, v16, 0
	v_bcnt_u32_b32 v15, v17, v15
	s_waitcnt vmcnt(0) lgkmcnt(0)
	v_add_u32_e32 v15, v75, v15
	flat_store_dword v[228:229], v15
.LBB1118_77:                            ;   in Loop: Header=BB1118_53 Depth=1
	s_or_b64 exec, exec, s[30:31]
	v_cmp_ne_u64_e64 s[30:31], s[40:41], v[132:133]
	v_cndmask_b32_e64 v17, v1, v133, s[30:31]
	v_cndmask_b32_e64 v16, -1, v132, s[30:31]
	v_lshrrev_b64 v[16:17], v10, v[16:17]
	v_and_b32_e32 v19, v16, v18
	v_lshl_add_u32 v16, v19, 2, v154
	v_mov_b32_e32 v17, v14
	v_lshlrev_b64 v[16:17], 2, v[16:17]
	v_add_co_u32_e64 v230, s[30:31], v23, v16
	v_addc_co_u32_e64 v231, s[30:31], v153, v17, s[30:31]
	; wave barrier
	flat_load_dword v77, v[230:231]
	v_and_b32_e32 v15, 1, v19
	v_add_co_u32_e64 v16, s[30:31], -1, v15
	v_addc_co_u32_e64 v17, s[30:31], 0, -1, s[30:31]
	v_cmp_ne_u32_e64 s[30:31], 0, v15
	v_xor_b32_e32 v15, s31, v17
	v_and_b32_e32 v17, exec_hi, v15
	v_lshlrev_b32_e32 v15, 30, v19
	v_xor_b32_e32 v16, s30, v16
	v_cmp_gt_i64_e64 s[30:31], 0, v[14:15]
	v_not_b32_e32 v15, v15
	v_ashrrev_i32_e32 v15, 31, v15
	v_and_b32_e32 v16, exec_lo, v16
	v_xor_b32_e32 v240, s31, v15
	v_xor_b32_e32 v15, s30, v15
	v_and_b32_e32 v16, v16, v15
	v_lshlrev_b32_e32 v15, 29, v19
	v_cmp_gt_i64_e64 s[30:31], 0, v[14:15]
	v_not_b32_e32 v15, v15
	v_ashrrev_i32_e32 v15, 31, v15
	v_and_b32_e32 v17, v17, v240
	v_xor_b32_e32 v240, s31, v15
	v_xor_b32_e32 v15, s30, v15
	v_and_b32_e32 v16, v16, v15
	v_lshlrev_b32_e32 v15, 28, v19
	v_cmp_gt_i64_e64 s[30:31], 0, v[14:15]
	v_not_b32_e32 v15, v15
	v_ashrrev_i32_e32 v15, 31, v15
	v_and_b32_e32 v17, v17, v240
	;; [unrolled: 8-line block ×5, first 2 shown]
	v_xor_b32_e32 v240, s31, v15
	v_xor_b32_e32 v15, s30, v15
	v_and_b32_e32 v16, v16, v15
	v_lshlrev_b32_e32 v15, 24, v19
	v_cmp_gt_i64_e64 s[30:31], 0, v[14:15]
	v_not_b32_e32 v15, v15
	v_ashrrev_i32_e32 v15, 31, v15
	v_xor_b32_e32 v19, s31, v15
	v_xor_b32_e32 v15, s30, v15
	v_and_b32_e32 v17, v17, v240
	v_and_b32_e32 v16, v16, v15
	;; [unrolled: 1-line block ×3, first 2 shown]
	v_mbcnt_lo_u32_b32 v15, v16, 0
	v_mbcnt_hi_u32_b32 v78, v17, v15
	v_cmp_eq_u32_e64 s[30:31], 0, v78
	v_cmp_ne_u64_e64 s[36:37], 0, v[16:17]
	s_and_b64 s[36:37], s[36:37], s[30:31]
	; wave barrier
	s_and_saveexec_b64 s[30:31], s[36:37]
	s_cbranch_execz .LBB1118_79
; %bb.78:                               ;   in Loop: Header=BB1118_53 Depth=1
	v_bcnt_u32_b32 v15, v16, 0
	v_bcnt_u32_b32 v15, v17, v15
	s_waitcnt vmcnt(0) lgkmcnt(0)
	v_add_u32_e32 v15, v77, v15
	flat_store_dword v[230:231], v15
.LBB1118_79:                            ;   in Loop: Header=BB1118_53 Depth=1
	s_or_b64 exec, exec, s[30:31]
	v_cmp_ne_u64_e64 s[30:31], s[40:41], v[130:131]
	v_cndmask_b32_e64 v17, v1, v131, s[30:31]
	v_cndmask_b32_e64 v16, -1, v130, s[30:31]
	v_lshrrev_b64 v[16:17], v10, v[16:17]
	v_and_b32_e32 v19, v16, v18
	v_lshl_add_u32 v16, v19, 2, v154
	v_mov_b32_e32 v17, v14
	v_lshlrev_b64 v[16:17], 2, v[16:17]
	v_add_co_u32_e64 v240, s[30:31], v23, v16
	v_addc_co_u32_e64 v241, s[30:31], v153, v17, s[30:31]
	; wave barrier
	flat_load_dword v79, v[240:241]
	v_and_b32_e32 v15, 1, v19
	v_add_co_u32_e64 v16, s[30:31], -1, v15
	v_addc_co_u32_e64 v17, s[30:31], 0, -1, s[30:31]
	v_cmp_ne_u32_e64 s[30:31], 0, v15
	v_xor_b32_e32 v15, s31, v17
	v_and_b32_e32 v17, exec_hi, v15
	v_lshlrev_b32_e32 v15, 30, v19
	v_xor_b32_e32 v16, s30, v16
	v_cmp_gt_i64_e64 s[30:31], 0, v[14:15]
	v_not_b32_e32 v15, v15
	v_ashrrev_i32_e32 v15, 31, v15
	v_and_b32_e32 v16, exec_lo, v16
	v_xor_b32_e32 v242, s31, v15
	v_xor_b32_e32 v15, s30, v15
	v_and_b32_e32 v16, v16, v15
	v_lshlrev_b32_e32 v15, 29, v19
	v_cmp_gt_i64_e64 s[30:31], 0, v[14:15]
	v_not_b32_e32 v15, v15
	v_ashrrev_i32_e32 v15, 31, v15
	v_and_b32_e32 v17, v17, v242
	v_xor_b32_e32 v242, s31, v15
	v_xor_b32_e32 v15, s30, v15
	v_and_b32_e32 v16, v16, v15
	v_lshlrev_b32_e32 v15, 28, v19
	v_cmp_gt_i64_e64 s[30:31], 0, v[14:15]
	v_not_b32_e32 v15, v15
	v_ashrrev_i32_e32 v15, 31, v15
	v_and_b32_e32 v17, v17, v242
	;; [unrolled: 8-line block ×5, first 2 shown]
	v_xor_b32_e32 v242, s31, v15
	v_xor_b32_e32 v15, s30, v15
	v_and_b32_e32 v16, v16, v15
	v_lshlrev_b32_e32 v15, 24, v19
	v_cmp_gt_i64_e64 s[30:31], 0, v[14:15]
	v_not_b32_e32 v15, v15
	v_ashrrev_i32_e32 v15, 31, v15
	v_xor_b32_e32 v19, s31, v15
	v_xor_b32_e32 v15, s30, v15
	v_and_b32_e32 v17, v17, v242
	v_and_b32_e32 v16, v16, v15
	;; [unrolled: 1-line block ×3, first 2 shown]
	v_mbcnt_lo_u32_b32 v15, v16, 0
	v_mbcnt_hi_u32_b32 v88, v17, v15
	v_cmp_eq_u32_e64 s[30:31], 0, v88
	v_cmp_ne_u64_e64 s[36:37], 0, v[16:17]
	s_and_b64 s[36:37], s[36:37], s[30:31]
	; wave barrier
	s_and_saveexec_b64 s[30:31], s[36:37]
	s_cbranch_execz .LBB1118_81
; %bb.80:                               ;   in Loop: Header=BB1118_53 Depth=1
	v_bcnt_u32_b32 v15, v16, 0
	v_bcnt_u32_b32 v15, v17, v15
	s_waitcnt vmcnt(0) lgkmcnt(0)
	v_add_u32_e32 v15, v79, v15
	flat_store_dword v[240:241], v15
.LBB1118_81:                            ;   in Loop: Header=BB1118_53 Depth=1
	s_or_b64 exec, exec, s[30:31]
	v_cmp_ne_u64_e64 s[30:31], s[40:41], v[128:129]
	v_cndmask_b32_e64 v17, v1, v129, s[30:31]
	v_cndmask_b32_e64 v16, -1, v128, s[30:31]
	v_lshrrev_b64 v[16:17], v10, v[16:17]
	v_and_b32_e32 v19, v16, v18
	v_lshl_add_u32 v16, v19, 2, v154
	v_mov_b32_e32 v17, v14
	v_lshlrev_b64 v[16:17], 2, v[16:17]
	v_add_co_u32_e64 v242, s[30:31], v23, v16
	v_addc_co_u32_e64 v243, s[30:31], v153, v17, s[30:31]
	; wave barrier
	flat_load_dword v89, v[242:243]
	v_and_b32_e32 v15, 1, v19
	v_add_co_u32_e64 v16, s[30:31], -1, v15
	v_addc_co_u32_e64 v17, s[30:31], 0, -1, s[30:31]
	v_cmp_ne_u32_e64 s[30:31], 0, v15
	v_xor_b32_e32 v15, s31, v17
	v_and_b32_e32 v17, exec_hi, v15
	v_lshlrev_b32_e32 v15, 30, v19
	v_xor_b32_e32 v16, s30, v16
	v_cmp_gt_i64_e64 s[30:31], 0, v[14:15]
	v_not_b32_e32 v15, v15
	v_ashrrev_i32_e32 v15, 31, v15
	v_and_b32_e32 v16, exec_lo, v16
	v_xor_b32_e32 v244, s31, v15
	v_xor_b32_e32 v15, s30, v15
	v_and_b32_e32 v16, v16, v15
	v_lshlrev_b32_e32 v15, 29, v19
	v_cmp_gt_i64_e64 s[30:31], 0, v[14:15]
	v_not_b32_e32 v15, v15
	v_ashrrev_i32_e32 v15, 31, v15
	v_and_b32_e32 v17, v17, v244
	v_xor_b32_e32 v244, s31, v15
	v_xor_b32_e32 v15, s30, v15
	v_and_b32_e32 v16, v16, v15
	v_lshlrev_b32_e32 v15, 28, v19
	v_cmp_gt_i64_e64 s[30:31], 0, v[14:15]
	v_not_b32_e32 v15, v15
	v_ashrrev_i32_e32 v15, 31, v15
	v_and_b32_e32 v17, v17, v244
	;; [unrolled: 8-line block ×5, first 2 shown]
	v_xor_b32_e32 v244, s31, v15
	v_xor_b32_e32 v15, s30, v15
	v_and_b32_e32 v16, v16, v15
	v_lshlrev_b32_e32 v15, 24, v19
	v_cmp_gt_i64_e64 s[30:31], 0, v[14:15]
	v_not_b32_e32 v15, v15
	v_ashrrev_i32_e32 v15, 31, v15
	v_xor_b32_e32 v19, s31, v15
	v_xor_b32_e32 v15, s30, v15
	v_and_b32_e32 v17, v17, v244
	v_and_b32_e32 v16, v16, v15
	;; [unrolled: 1-line block ×3, first 2 shown]
	v_mbcnt_lo_u32_b32 v15, v16, 0
	v_mbcnt_hi_u32_b32 v90, v17, v15
	v_cmp_eq_u32_e64 s[30:31], 0, v90
	v_cmp_ne_u64_e64 s[36:37], 0, v[16:17]
	s_and_b64 s[36:37], s[36:37], s[30:31]
	; wave barrier
	s_and_saveexec_b64 s[30:31], s[36:37]
	s_cbranch_execz .LBB1118_83
; %bb.82:                               ;   in Loop: Header=BB1118_53 Depth=1
	v_bcnt_u32_b32 v15, v16, 0
	v_bcnt_u32_b32 v15, v17, v15
	s_waitcnt vmcnt(0) lgkmcnt(0)
	v_add_u32_e32 v15, v89, v15
	flat_store_dword v[242:243], v15
.LBB1118_83:                            ;   in Loop: Header=BB1118_53 Depth=1
	s_or_b64 exec, exec, s[30:31]
	v_cmp_ne_u64_e64 s[30:31], s[40:41], v[118:119]
	v_cndmask_b32_e64 v17, v1, v119, s[30:31]
	v_cndmask_b32_e64 v16, -1, v118, s[30:31]
	v_lshrrev_b64 v[16:17], v10, v[16:17]
	v_and_b32_e32 v18, v16, v18
	v_lshl_add_u32 v16, v18, 2, v154
	v_mov_b32_e32 v17, v14
	v_lshlrev_b64 v[16:17], 2, v[16:17]
	v_add_co_u32_e64 v244, s[30:31], v23, v16
	v_addc_co_u32_e64 v245, s[30:31], v153, v17, s[30:31]
	; wave barrier
	flat_load_dword v91, v[244:245]
	v_and_b32_e32 v15, 1, v18
	v_add_co_u32_e64 v16, s[30:31], -1, v15
	v_addc_co_u32_e64 v17, s[30:31], 0, -1, s[30:31]
	v_cmp_ne_u32_e64 s[30:31], 0, v15
	v_xor_b32_e32 v15, s31, v17
	v_and_b32_e32 v17, exec_hi, v15
	v_lshlrev_b32_e32 v15, 30, v18
	v_xor_b32_e32 v16, s30, v16
	v_cmp_gt_i64_e64 s[30:31], 0, v[14:15]
	v_not_b32_e32 v15, v15
	v_ashrrev_i32_e32 v15, 31, v15
	v_and_b32_e32 v16, exec_lo, v16
	v_xor_b32_e32 v19, s31, v15
	v_xor_b32_e32 v15, s30, v15
	v_and_b32_e32 v16, v16, v15
	v_lshlrev_b32_e32 v15, 29, v18
	v_cmp_gt_i64_e64 s[30:31], 0, v[14:15]
	v_not_b32_e32 v15, v15
	v_ashrrev_i32_e32 v15, 31, v15
	v_and_b32_e32 v17, v17, v19
	v_xor_b32_e32 v19, s31, v15
	v_xor_b32_e32 v15, s30, v15
	v_and_b32_e32 v16, v16, v15
	v_lshlrev_b32_e32 v15, 28, v18
	v_cmp_gt_i64_e64 s[30:31], 0, v[14:15]
	v_not_b32_e32 v15, v15
	v_ashrrev_i32_e32 v15, 31, v15
	v_and_b32_e32 v17, v17, v19
	;; [unrolled: 8-line block ×5, first 2 shown]
	v_xor_b32_e32 v19, s31, v15
	v_xor_b32_e32 v15, s30, v15
	v_and_b32_e32 v16, v16, v15
	v_lshlrev_b32_e32 v15, 24, v18
	v_cmp_gt_i64_e64 s[30:31], 0, v[14:15]
	v_not_b32_e32 v15, v15
	v_ashrrev_i32_e32 v15, 31, v15
	v_xor_b32_e32 v18, s31, v15
	v_xor_b32_e32 v15, s30, v15
	v_and_b32_e32 v17, v17, v19
	v_and_b32_e32 v16, v16, v15
	;; [unrolled: 1-line block ×3, first 2 shown]
	v_mbcnt_lo_u32_b32 v15, v16, 0
	v_mbcnt_hi_u32_b32 v15, v17, v15
	v_cmp_eq_u32_e64 s[30:31], 0, v15
	v_cmp_ne_u64_e64 s[36:37], 0, v[16:17]
	s_and_b64 s[36:37], s[36:37], s[30:31]
	; wave barrier
	s_and_saveexec_b64 s[30:31], s[36:37]
	s_cbranch_execz .LBB1118_85
; %bb.84:                               ;   in Loop: Header=BB1118_53 Depth=1
	v_bcnt_u32_b32 v16, v16, 0
	v_bcnt_u32_b32 v16, v17, v16
	s_waitcnt vmcnt(0) lgkmcnt(0)
	v_add_u32_e32 v16, v91, v16
	flat_store_dword v[244:245], v16
.LBB1118_85:                            ;   in Loop: Header=BB1118_53 Depth=1
	s_or_b64 exec, exec, s[30:31]
	; wave barrier
	s_waitcnt lgkmcnt(0)
	s_barrier
	flat_load_dwordx4 v[16:19], v[4:5] offset:16
	s_waitcnt vmcnt(0) lgkmcnt(0)
	v_add_u32_e32 v92, v17, v16
	v_add3_u32 v19, v92, v18, v19
	s_nop 1
	v_mov_b32_dpp v92, v19 row_shr:1 row_mask:0xf bank_mask:0xf
	v_cndmask_b32_e64 v92, v92, 0, vcc
	v_add_u32_e32 v19, v92, v19
	s_nop 1
	v_mov_b32_dpp v92, v19 row_shr:2 row_mask:0xf bank_mask:0xf
	v_cndmask_b32_e64 v92, 0, v92, s[4:5]
	v_add_u32_e32 v19, v19, v92
	s_nop 1
	v_mov_b32_dpp v92, v19 row_shr:4 row_mask:0xf bank_mask:0xf
	v_cndmask_b32_e64 v92, 0, v92, s[6:7]
	;; [unrolled: 4-line block ×3, first 2 shown]
	v_add_u32_e32 v19, v19, v92
	s_nop 1
	v_mov_b32_dpp v92, v19 row_bcast:15 row_mask:0xf bank_mask:0xf
	v_cndmask_b32_e64 v92, v92, 0, s[34:35]
	v_add_u32_e32 v19, v19, v92
	s_nop 1
	v_mov_b32_dpp v92, v19 row_bcast:31 row_mask:0xf bank_mask:0xf
	v_cndmask_b32_e64 v92, 0, v92, s[14:15]
	v_add_u32_e32 v19, v19, v92
	s_and_saveexec_b64 s[30:31], s[16:17]
	s_cbranch_execz .LBB1118_87
; %bb.86:                               ;   in Loop: Header=BB1118_53 Depth=1
	flat_store_dword v[70:71], v19
.LBB1118_87:                            ;   in Loop: Header=BB1118_53 Depth=1
	s_or_b64 exec, exec, s[30:31]
	s_waitcnt lgkmcnt(0)
	s_barrier
	s_and_saveexec_b64 s[30:31], s[18:19]
	s_cbranch_execz .LBB1118_89
; %bb.88:                               ;   in Loop: Header=BB1118_53 Depth=1
	flat_load_dword v92, v[80:81]
	s_waitcnt vmcnt(0) lgkmcnt(0)
	s_nop 0
	v_mov_b32_dpp v93, v92 row_shr:1 row_mask:0xf bank_mask:0xf
	v_cndmask_b32_e64 v93, v93, 0, s[26:27]
	v_add_u32_e32 v92, v93, v92
	s_nop 1
	v_mov_b32_dpp v93, v92 row_shr:2 row_mask:0xf bank_mask:0xf
	v_cndmask_b32_e64 v93, 0, v93, s[28:29]
	v_add_u32_e32 v92, v92, v93
	flat_store_dword v[80:81], v92
.LBB1118_89:                            ;   in Loop: Header=BB1118_53 Depth=1
	s_or_b64 exec, exec, s[30:31]
	v_mov_b32_e32 v92, 0
	s_waitcnt lgkmcnt(0)
	s_barrier
	s_and_saveexec_b64 s[30:31], s[20:21]
	s_cbranch_execz .LBB1118_91
; %bb.90:                               ;   in Loop: Header=BB1118_53 Depth=1
	flat_load_dword v92, v[82:83]
.LBB1118_91:                            ;   in Loop: Header=BB1118_53 Depth=1
	s_or_b64 exec, exec, s[30:31]
	s_waitcnt vmcnt(0) lgkmcnt(0)
	v_add_u32_e32 v19, v92, v19
	ds_bpermute_b32 v19, v155, v19
	v_add_u32_e32 v10, 8, v10
	v_cmp_lt_u32_e64 s[30:31], v10, v11
	s_mov_b64 s[46:47], -1
                                        ; implicit-def: $agpr0_agpr1
                                        ; implicit-def: $vgpr104_vgpr105
                                        ; implicit-def: $vgpr110_vgpr111
                                        ; implicit-def: $vgpr124_vgpr125
                                        ; implicit-def: $vgpr136_vgpr137
                                        ; implicit-def: $vgpr140_vgpr141
                                        ; implicit-def: $vgpr142_vgpr143
	s_waitcnt lgkmcnt(0)
	v_cndmask_b32_e64 v19, v19, v92, s[22:23]
	v_cndmask_b32_e64 v92, v19, 0, s[24:25]
	v_add_u32_e32 v93, v92, v16
	v_add_u32_e32 v94, v93, v17
	;; [unrolled: 1-line block ×3, first 2 shown]
	flat_store_dwordx4 v[4:5], v[92:95] offset:16
	s_waitcnt lgkmcnt(0)
	s_barrier
	flat_load_dword v16, v[182:183]
	flat_load_dword v18, v[192:193]
	s_nop 0
	flat_load_dword v182, v[194:195]
	flat_load_dword v192, v[196:197]
	s_nop 0
	;; [unrolled: 3-line block ×4, first 2 shown]
	flat_load_dword v210, v[214:215]
	flat_load_dword v211, v[224:225]
	;; [unrolled: 1-line block ×3, first 2 shown]
	s_nop 0
	flat_load_dword v215, v[228:229]
	flat_load_dword v225, v[230:231]
	;; [unrolled: 1-line block ×3, first 2 shown]
	s_nop 0
	flat_load_dword v229, v[242:243]
	flat_load_dword v231, v[244:245]
	v_mov_b32_e32 v17, v14
	v_mov_b32_e32 v19, v14
	;; [unrolled: 1-line block ×9, first 2 shown]
	s_waitcnt lgkmcnt(0)
                                        ; implicit-def: $vgpr242_vgpr243
                                        ; implicit-def: $vgpr244_vgpr245
                                        ; implicit-def: $vgpr92_vgpr93
	s_waitcnt vmcnt(0) lgkmcnt(0)
	v_add_u32_e32 v16, v16, v246
	v_lshlrev_b64 v[16:17], 3, v[16:17]
	v_add3_u32 v18, v40, v247, v18
	v_lshlrev_b64 v[18:19], 3, v[18:19]
	v_add3_u32 v182, v42, v41, v182
	v_add3_u32 v196, v56, v47, v196
	v_add_co_u32_e64 v56, s[36:37], v12, v16
	v_add3_u32 v198, v58, v57, v198
	v_addc_co_u32_e64 v57, s[36:37], v13, v17, s[36:37]
	v_add_co_u32_e64 v58, s[36:37], v12, v18
	v_add3_u32 v208, v60, v59, v208
	v_lshlrev_b64 v[182:183], 3, v[182:183]
	v_addc_co_u32_e64 v59, s[36:37], v13, v19, s[36:37]
	v_add3_u32 v192, v44, v43, v192
	v_add_co_u32_e64 v60, s[36:37], v12, v182
	v_add3_u32 v210, v62, v61, v210
	v_lshlrev_b64 v[192:193], 3, v[192:193]
	v_addc_co_u32_e64 v61, s[36:37], v13, v183, s[36:37]
	v_add3_u32 v194, v46, v45, v194
	v_add_co_u32_e64 v62, s[36:37], v12, v192
	v_add3_u32 v212, v72, v63, v211
	v_lshlrev_b64 v[194:195], 3, v[194:195]
	v_addc_co_u32_e64 v63, s[36:37], v13, v193, s[36:37]
	v_add_co_u32_e64 v72, s[36:37], v12, v194
	v_add3_u32 v214, v74, v73, v213
	v_lshlrev_b64 v[196:197], 3, v[196:197]
	v_addc_co_u32_e64 v73, s[36:37], v13, v195, s[36:37]
	v_add3_u32 v224, v76, v75, v215
	v_add_co_u32_e64 v76, s[36:37], v12, v196
	v_add3_u32 v226, v78, v77, v225
	v_lshlrev_b64 v[198:199], 3, v[198:199]
	v_addc_co_u32_e64 v77, s[36:37], v13, v197, s[36:37]
	v_add_co_u32_e64 v78, s[36:37], v12, v198
	v_add3_u32 v228, v88, v79, v227
	v_lshlrev_b64 v[208:209], 3, v[208:209]
	v_addc_co_u32_e64 v79, s[36:37], v13, v199, s[36:37]
	v_add_co_u32_e64 v88, s[36:37], v12, v208
	v_mov_b32_e32 v211, v14
	v_add3_u32 v230, v90, v89, v229
	v_addc_co_u32_e64 v89, s[36:37], v13, v209, s[36:37]
	v_lshlrev_b64 v[16:17], 3, v[210:211]
	v_add_co_u32_e64 v90, s[36:37], v12, v16
	v_mov_b32_e32 v213, v14
	v_add3_u32 v240, v15, v91, v231
	v_addc_co_u32_e64 v91, s[36:37], v13, v17, s[36:37]
	v_lshlrev_b64 v[16:17], 3, v[212:213]
	v_add_co_u32_e64 v94, s[36:37], v12, v16
	v_mov_b32_e32 v215, v14
	v_addc_co_u32_e64 v95, s[36:37], v13, v17, s[36:37]
	v_lshlrev_b64 v[16:17], 3, v[214:215]
	v_add_co_u32_e64 v106, s[36:37], v12, v16
	v_mov_b32_e32 v225, v14
	v_addc_co_u32_e64 v107, s[36:37], v13, v17, s[36:37]
	v_lshlrev_b64 v[16:17], 3, v[224:225]
	v_add_co_u32_e64 v108, s[36:37], v12, v16
	v_mov_b32_e32 v227, v14
	v_addc_co_u32_e64 v109, s[36:37], v13, v17, s[36:37]
	v_lshlrev_b64 v[16:17], 3, v[226:227]
	v_add_co_u32_e64 v120, s[36:37], v12, v16
	v_mov_b32_e32 v229, v14
	v_addc_co_u32_e64 v121, s[36:37], v13, v17, s[36:37]
	v_lshlrev_b64 v[16:17], 3, v[228:229]
	v_add_co_u32_e64 v122, s[36:37], v12, v16
	v_mov_b32_e32 v231, v14
	v_addc_co_u32_e64 v123, s[36:37], v13, v17, s[36:37]
	v_lshlrev_b64 v[16:17], 3, v[230:231]
	v_add_co_u32_e64 v126, s[36:37], v12, v16
	v_addc_co_u32_e64 v127, s[36:37], v13, v17, s[36:37]
	v_lshlrev_b64 v[16:17], 3, v[240:241]
	v_add_co_u32_e64 v138, s[36:37], v12, v16
	v_addc_co_u32_e64 v139, s[36:37], v13, v17, s[36:37]
                                        ; implicit-def: $vgpr16_vgpr17
                                        ; implicit-def: $vgpr18_vgpr19
                                        ; implicit-def: $vgpr182_vgpr183
                                        ; implicit-def: $vgpr192_vgpr193
                                        ; implicit-def: $vgpr194_vgpr195
                                        ; implicit-def: $vgpr196_vgpr197
                                        ; implicit-def: $vgpr198_vgpr199
                                        ; implicit-def: $vgpr208_vgpr209
                                        ; implicit-def: $vgpr210_vgpr211
                                        ; implicit-def: $vgpr212_vgpr213
                                        ; implicit-def: $vgpr214_vgpr215
                                        ; implicit-def: $vgpr224_vgpr225
                                        ; implicit-def: $vgpr226_vgpr227
                                        ; implicit-def: $vgpr228_vgpr229
                                        ; implicit-def: $vgpr230_vgpr231
                                        ; implicit-def: $vgpr240_vgpr241
                                        ; implicit-def: $vgpr246_vgpr247
                                        ; implicit-def: $vgpr40_vgpr41
                                        ; implicit-def: $vgpr42_vgpr43
                                        ; implicit-def: $vgpr44_vgpr45
                                        ; implicit-def: $vgpr46_vgpr47
                                        ; implicit-def: $vgpr74_vgpr75
	s_and_saveexec_b64 s[36:37], s[30:31]
	s_cbranch_execz .LBB1118_52
; %bb.92:                               ;   in Loop: Header=BB1118_53 Depth=1
	s_barrier
	flat_store_dwordx2 v[56:57], v[180:181]
	flat_store_dwordx2 v[58:59], v[178:179]
	flat_store_dwordx2 v[60:61], v[176:177]
	flat_store_dwordx2 v[62:63], v[166:167]
	flat_store_dwordx2 v[72:73], v[164:165]
	flat_store_dwordx2 v[76:77], v[162:163]
	flat_store_dwordx2 v[78:79], v[160:161]
	flat_store_dwordx2 v[88:89], v[150:151]
	flat_store_dwordx2 v[90:91], v[148:149]
	flat_store_dwordx2 v[94:95], v[146:147]
	flat_store_dwordx2 v[106:107], v[144:145]
	flat_store_dwordx2 v[108:109], v[134:135]
	flat_store_dwordx2 v[120:121], v[132:133]
	flat_store_dwordx2 v[122:123], v[130:131]
	flat_store_dwordx2 v[126:127], v[128:129]
	flat_store_dwordx2 v[138:139], v[118:119]
	s_waitcnt lgkmcnt(0)
	s_barrier
	flat_load_dwordx2 v[230:231], v[84:85]
	flat_load_dwordx2 v[240:241], v[84:85] offset:512
	flat_load_dwordx2 v[244:245], v[84:85] offset:1024
	;; [unrolled: 1-line block ×7, first 2 shown]
	flat_load_dwordx2 v[74:75], v[86:87]
	flat_load_dwordx2 v[92:93], v[96:97]
	;; [unrolled: 1-line block ×8, first 2 shown]
	s_waitcnt lgkmcnt(0)
	s_barrier
	flat_store_dwordx2 v[56:57], v[68:69]
	flat_store_dwordx2 v[58:59], v[66:67]
	;; [unrolled: 1-line block ×16, first 2 shown]
	s_waitcnt lgkmcnt(0)
	s_barrier
	flat_load_dwordx2 v[16:17], v[84:85]
	flat_load_dwordx2 v[18:19], v[84:85] offset:512
	flat_load_dwordx2 v[182:183], v[84:85] offset:1024
	;; [unrolled: 1-line block ×7, first 2 shown]
	flat_load_dwordx2 v[210:211], v[86:87]
	flat_load_dwordx2 v[212:213], v[96:97]
	;; [unrolled: 1-line block ×8, first 2 shown]
	v_add_u32_e32 v156, -8, v156
	s_xor_b64 s[46:47], exec, -1
	s_waitcnt lgkmcnt(0)
	s_barrier
	s_branch .LBB1118_52
.LBB1118_93:
	s_or_b64 exec, exec, s[38:39]
	v_lshlrev_b32_e32 v1, 3, v22
	v_add_co_u32_e32 v4, vcc, v12, v1
	v_addc_co_u32_e32 v5, vcc, 0, v13, vcc
	s_movk_i32 s4, 0x1000
	s_barrier
	flat_store_dwordx2 v[56:57], v[180:181]
	flat_store_dwordx2 v[58:59], v[178:179]
	;; [unrolled: 1-line block ×16, first 2 shown]
	v_add_co_u32_e32 v134, vcc, s4, v4
	v_lshlrev_b32_e32 v1, 3, v22
	v_addc_co_u32_e32 v135, vcc, 0, v5, vcc
	v_or_b32_e32 v10, 0x2000, v1
	v_add_co_u32_e32 v144, vcc, v12, v10
	s_movk_i32 s4, 0x2000
	v_addc_co_u32_e32 v145, vcc, 0, v13, vcc
	v_add_co_u32_e32 v146, vcc, s4, v4
	v_addc_co_u32_e32 v147, vcc, 0, v5, vcc
	s_movk_i32 s4, 0x3000
	v_add_co_u32_e32 v148, vcc, s4, v4
	v_addc_co_u32_e32 v149, vcc, 0, v5, vcc
	v_or_b32_e32 v10, 0x4000, v1
	v_add_co_u32_e32 v150, vcc, v12, v10
	s_movk_i32 s4, 0x4000
	v_addc_co_u32_e32 v151, vcc, 0, v13, vcc
	v_add_co_u32_e32 v160, vcc, s4, v4
	v_addc_co_u32_e32 v161, vcc, 0, v5, vcc
	s_movk_i32 s4, 0x5000
	v_add_co_u32_e32 v162, vcc, s4, v4
	;; [unrolled: 9-line block ×3, first 2 shown]
	s_waitcnt lgkmcnt(0)
	s_barrier
	flat_load_dwordx2 v[132:133], v[4:5]
	flat_load_dwordx2 v[130:131], v[4:5] offset:2048
	flat_load_dwordx2 v[128:129], v[134:135]
	flat_load_dwordx2 v[118:119], v[134:135] offset:2048
	;; [unrolled: 2-line block ×6, first 2 shown]
	v_addc_co_u32_e32 v177, vcc, 0, v5, vcc
	flat_load_dwordx2 v[84:85], v[164:165]
	flat_load_dwordx2 v[82:83], v[166:167] offset:2048
	flat_load_dwordx2 v[80:81], v[176:177]
	flat_load_dwordx2 v[70:71], v[176:177] offset:2048
	s_waitcnt lgkmcnt(0)
	s_barrier
	flat_store_dwordx2 v[56:57], v[68:69]
	flat_store_dwordx2 v[58:59], v[66:67]
	;; [unrolled: 1-line block ×16, first 2 shown]
	s_waitcnt lgkmcnt(0)
	s_barrier
	flat_load_dwordx2 v[38:39], v[4:5]
	flat_load_dwordx2 v[36:37], v[4:5] offset:2048
	flat_load_dwordx2 v[34:35], v[134:135]
	flat_load_dwordx2 v[32:33], v[134:135] offset:2048
	;; [unrolled: 2-line block ×4, first 2 shown]
	flat_load_dwordx2 v[22:23], v[150:151]
	s_waitcnt vmcnt(0)
	flat_load_dwordx2 v[18:19], v[160:161] offset:2048
	flat_load_dwordx2 v[16:17], v[162:163]
	flat_load_dwordx2 v[14:15], v[162:163] offset:2048
	flat_load_dwordx2 v[12:13], v[164:165]
	;; [unrolled: 2-line block ×3, first 2 shown]
                                        ; kill: killed $vgpr164 killed $vgpr165
                                        ; kill: killed $vgpr148 killed $vgpr149
                                        ; kill: killed $vgpr146 killed $vgpr147
                                        ; kill: killed $vgpr162 killed $vgpr163
                                        ; kill: killed $vgpr4 killed $vgpr5
                                        ; kill: killed $vgpr160 killed $vgpr161
                                        ; kill: killed $vgpr166 killed $vgpr167
                                        ; kill: killed $vgpr134 killed $vgpr135
                                        ; kill: killed $vgpr144 killed $vgpr145
                                        ; kill: killed $vgpr150 killed $vgpr151
	flat_load_dwordx2 v[4:5], v[176:177] offset:2048
	v_mov_b32_e32 v1, 0
	v_add_co_u32_e32 v48, vcc, v2, v20
	v_addc_co_u32_e32 v49, vcc, v3, v21, vcc
	v_lshlrev_b64 v[2:3], 3, v[0:1]
	v_add_co_u32_e32 v48, vcc, v48, v2
	v_addc_co_u32_e32 v49, vcc, v49, v3, vcc
	v_cmp_lt_u32_e64 s[4:5], v0, v152
	s_waitcnt lgkmcnt(0)
	s_barrier
	s_and_saveexec_b64 s[6:7], s[4:5]
	s_cbranch_execz .LBB1118_95
; %bb.94:
	v_bfrev_b32_e32 v1, -2
	v_cmp_gt_i64_e32 vcc, 0, v[132:133]
	v_ashrrev_i32_e32 v50, 31, v133
	v_cndmask_b32_e64 v1, v1, 0, vcc
	v_not_b32_e32 v50, v50
	v_xor_b32_e32 v51, v1, v133
	v_xor_b32_e32 v50, v50, v132
	flat_store_dwordx2 v[48:49], v[50:51]
.LBB1118_95:
	s_or_b64 exec, exec, s[6:7]
	v_add_u32_e32 v1, 0x100, v0
	v_cmp_lt_u32_e64 s[6:7], v1, v152
	s_and_saveexec_b64 s[10:11], s[6:7]
	s_cbranch_execz .LBB1118_97
; %bb.96:
	v_bfrev_b32_e32 v1, -2
	v_cmp_gt_i64_e32 vcc, 0, v[130:131]
	v_ashrrev_i32_e32 v50, 31, v131
	v_cndmask_b32_e64 v1, v1, 0, vcc
	v_not_b32_e32 v50, v50
	v_xor_b32_e32 v51, v1, v131
	v_xor_b32_e32 v50, v50, v130
	flat_store_dwordx2 v[48:49], v[50:51] offset:2048
.LBB1118_97:
	s_or_b64 exec, exec, s[10:11]
	v_add_u32_e32 v1, 0x200, v0
	v_cmp_lt_u32_e64 s[10:11], v1, v152
	s_and_saveexec_b64 s[14:15], s[10:11]
	s_cbranch_execz .LBB1118_99
; %bb.98:
	v_bfrev_b32_e32 v1, -2
	v_cmp_gt_i64_e32 vcc, 0, v[128:129]
	v_ashrrev_i32_e32 v50, 31, v129
	v_cndmask_b32_e64 v1, v1, 0, vcc
	v_not_b32_e32 v50, v50
	v_add_co_u32_e32 v52, vcc, 0x1000, v48
	v_xor_b32_e32 v51, v1, v129
	v_xor_b32_e32 v50, v50, v128
	v_addc_co_u32_e32 v53, vcc, 0, v49, vcc
	flat_store_dwordx2 v[52:53], v[50:51]
.LBB1118_99:
	s_or_b64 exec, exec, s[14:15]
	v_add_u32_e32 v1, 0x300, v0
	v_cmp_lt_u32_e64 s[40:41], v1, v152
	s_and_saveexec_b64 s[14:15], s[40:41]
	s_cbranch_execz .LBB1118_101
; %bb.100:
	v_bfrev_b32_e32 v1, -2
	v_cmp_gt_i64_e32 vcc, 0, v[118:119]
	v_ashrrev_i32_e32 v50, 31, v119
	v_cndmask_b32_e64 v1, v1, 0, vcc
	v_not_b32_e32 v50, v50
	v_add_co_u32_e32 v52, vcc, 0x1000, v48
	v_xor_b32_e32 v51, v1, v119
	v_xor_b32_e32 v50, v50, v118
	v_addc_co_u32_e32 v53, vcc, 0, v49, vcc
	flat_store_dwordx2 v[52:53], v[50:51] offset:2048
.LBB1118_101:
	s_or_b64 exec, exec, s[14:15]
	v_add_u32_e32 v1, 0x400, v0
	v_cmp_lt_u32_e64 s[14:15], v1, v152
	s_and_saveexec_b64 s[16:17], s[14:15]
	s_cbranch_execz .LBB1118_103
; %bb.102:
	v_bfrev_b32_e32 v1, -2
	v_cmp_gt_i64_e32 vcc, 0, v[116:117]
	v_ashrrev_i32_e32 v50, 31, v117
	v_cndmask_b32_e64 v1, v1, 0, vcc
	v_not_b32_e32 v50, v50
	v_add_co_u32_e32 v52, vcc, 0x2000, v48
	v_xor_b32_e32 v51, v1, v117
	v_xor_b32_e32 v50, v50, v116
	v_addc_co_u32_e32 v53, vcc, 0, v49, vcc
	flat_store_dwordx2 v[52:53], v[50:51]
.LBB1118_103:
	s_or_b64 exec, exec, s[16:17]
	v_add_u32_e32 v1, 0x500, v0
	v_cmp_lt_u32_e64 s[16:17], v1, v152
	s_and_saveexec_b64 s[18:19], s[16:17]
	s_cbranch_execz .LBB1118_105
; %bb.104:
	v_bfrev_b32_e32 v1, -2
	v_cmp_gt_i64_e32 vcc, 0, v[114:115]
	v_ashrrev_i32_e32 v50, 31, v115
	v_cndmask_b32_e64 v1, v1, 0, vcc
	v_not_b32_e32 v50, v50
	v_add_co_u32_e32 v52, vcc, 0x2000, v48
	v_xor_b32_e32 v51, v1, v115
	v_xor_b32_e32 v50, v50, v114
	v_addc_co_u32_e32 v53, vcc, 0, v49, vcc
	flat_store_dwordx2 v[52:53], v[50:51] offset:2048
.LBB1118_105:
	s_or_b64 exec, exec, s[18:19]
	v_add_u32_e32 v1, 0x600, v0
	v_cmp_lt_u32_e64 s[18:19], v1, v152
	s_and_saveexec_b64 s[20:21], s[18:19]
	s_cbranch_execz .LBB1118_107
; %bb.106:
	v_bfrev_b32_e32 v1, -2
	v_cmp_gt_i64_e32 vcc, 0, v[112:113]
	v_ashrrev_i32_e32 v50, 31, v113
	v_cndmask_b32_e64 v1, v1, 0, vcc
	v_not_b32_e32 v50, v50
	v_add_co_u32_e32 v52, vcc, 0x3000, v48
	v_xor_b32_e32 v51, v1, v113
	v_xor_b32_e32 v50, v50, v112
	v_addc_co_u32_e32 v53, vcc, 0, v49, vcc
	flat_store_dwordx2 v[52:53], v[50:51]
.LBB1118_107:
	s_or_b64 exec, exec, s[20:21]
	v_add_u32_e32 v1, 0x700, v0
	v_cmp_lt_u32_e64 s[20:21], v1, v152
	s_and_saveexec_b64 s[22:23], s[20:21]
	s_cbranch_execz .LBB1118_109
; %bb.108:
	v_bfrev_b32_e32 v1, -2
	v_cmp_gt_i64_e32 vcc, 0, v[102:103]
	v_ashrrev_i32_e32 v50, 31, v103
	v_cndmask_b32_e64 v1, v1, 0, vcc
	v_not_b32_e32 v50, v50
	v_add_co_u32_e32 v52, vcc, 0x3000, v48
	v_xor_b32_e32 v51, v1, v103
	v_xor_b32_e32 v50, v50, v102
	v_addc_co_u32_e32 v53, vcc, 0, v49, vcc
	flat_store_dwordx2 v[52:53], v[50:51] offset:2048
.LBB1118_109:
	s_or_b64 exec, exec, s[22:23]
	v_add_u32_e32 v1, 0x800, v0
	v_cmp_lt_u32_e64 s[22:23], v1, v152
	s_and_saveexec_b64 s[24:25], s[22:23]
	s_cbranch_execz .LBB1118_111
; %bb.110:
	v_bfrev_b32_e32 v1, -2
	v_cmp_gt_i64_e32 vcc, 0, v[100:101]
	v_ashrrev_i32_e32 v50, 31, v101
	v_cndmask_b32_e64 v1, v1, 0, vcc
	v_not_b32_e32 v50, v50
	v_add_co_u32_e32 v52, vcc, 0x4000, v48
	v_xor_b32_e32 v51, v1, v101
	v_xor_b32_e32 v50, v50, v100
	v_addc_co_u32_e32 v53, vcc, 0, v49, vcc
	flat_store_dwordx2 v[52:53], v[50:51]
.LBB1118_111:
	s_or_b64 exec, exec, s[24:25]
	v_add_u32_e32 v1, 0x900, v0
	v_cmp_lt_u32_e64 s[24:25], v1, v152
	s_and_saveexec_b64 s[26:27], s[24:25]
	s_cbranch_execz .LBB1118_113
; %bb.112:
	v_bfrev_b32_e32 v1, -2
	v_cmp_gt_i64_e32 vcc, 0, v[98:99]
	v_ashrrev_i32_e32 v50, 31, v99
	v_cndmask_b32_e64 v1, v1, 0, vcc
	v_not_b32_e32 v50, v50
	v_add_co_u32_e32 v52, vcc, 0x4000, v48
	v_xor_b32_e32 v51, v1, v99
	v_xor_b32_e32 v50, v50, v98
	v_addc_co_u32_e32 v53, vcc, 0, v49, vcc
	flat_store_dwordx2 v[52:53], v[50:51] offset:2048
.LBB1118_113:
	s_or_b64 exec, exec, s[26:27]
	v_add_u32_e32 v1, 0xa00, v0
	v_cmp_lt_u32_e64 s[26:27], v1, v152
	s_and_saveexec_b64 s[28:29], s[26:27]
	s_cbranch_execz .LBB1118_115
; %bb.114:
	v_bfrev_b32_e32 v1, -2
	v_cmp_gt_i64_e32 vcc, 0, v[96:97]
	v_ashrrev_i32_e32 v50, 31, v97
	v_cndmask_b32_e64 v1, v1, 0, vcc
	v_not_b32_e32 v50, v50
	v_add_co_u32_e32 v52, vcc, 0x5000, v48
	v_xor_b32_e32 v51, v1, v97
	v_xor_b32_e32 v50, v50, v96
	v_addc_co_u32_e32 v53, vcc, 0, v49, vcc
	flat_store_dwordx2 v[52:53], v[50:51]
.LBB1118_115:
	s_or_b64 exec, exec, s[28:29]
	v_add_u32_e32 v1, 0xb00, v0
	v_cmp_lt_u32_e64 s[28:29], v1, v152
	s_and_saveexec_b64 s[30:31], s[28:29]
	s_cbranch_execz .LBB1118_117
; %bb.116:
	v_bfrev_b32_e32 v1, -2
	v_cmp_gt_i64_e32 vcc, 0, v[86:87]
	v_ashrrev_i32_e32 v50, 31, v87
	v_cndmask_b32_e64 v1, v1, 0, vcc
	v_not_b32_e32 v50, v50
	v_add_co_u32_e32 v52, vcc, 0x5000, v48
	v_xor_b32_e32 v51, v1, v87
	v_xor_b32_e32 v50, v50, v86
	v_addc_co_u32_e32 v53, vcc, 0, v49, vcc
	flat_store_dwordx2 v[52:53], v[50:51] offset:2048
.LBB1118_117:
	s_or_b64 exec, exec, s[30:31]
	v_add_u32_e32 v1, 0xc00, v0
	v_cmp_lt_u32_e64 s[30:31], v1, v152
	s_and_saveexec_b64 s[34:35], s[30:31]
	s_cbranch_execz .LBB1118_119
; %bb.118:
	v_bfrev_b32_e32 v1, -2
	v_cmp_gt_i64_e32 vcc, 0, v[84:85]
	v_ashrrev_i32_e32 v50, 31, v85
	v_cndmask_b32_e64 v1, v1, 0, vcc
	v_not_b32_e32 v50, v50
	v_add_co_u32_e32 v52, vcc, 0x6000, v48
	v_xor_b32_e32 v51, v1, v85
	v_xor_b32_e32 v50, v50, v84
	v_addc_co_u32_e32 v53, vcc, 0, v49, vcc
	flat_store_dwordx2 v[52:53], v[50:51]
.LBB1118_119:
	s_or_b64 exec, exec, s[34:35]
	v_add_u32_e32 v1, 0xd00, v0
	v_cmp_lt_u32_e64 s[34:35], v1, v152
	s_and_saveexec_b64 s[36:37], s[34:35]
	s_cbranch_execz .LBB1118_121
; %bb.120:
	v_bfrev_b32_e32 v1, -2
	v_cmp_gt_i64_e32 vcc, 0, v[82:83]
	v_ashrrev_i32_e32 v50, 31, v83
	v_cndmask_b32_e64 v1, v1, 0, vcc
	v_not_b32_e32 v50, v50
	v_add_co_u32_e32 v52, vcc, 0x6000, v48
	v_xor_b32_e32 v51, v1, v83
	v_xor_b32_e32 v50, v50, v82
	v_addc_co_u32_e32 v53, vcc, 0, v49, vcc
	flat_store_dwordx2 v[52:53], v[50:51] offset:2048
.LBB1118_121:
	s_or_b64 exec, exec, s[36:37]
	v_add_u32_e32 v1, 0xe00, v0
	v_cmp_lt_u32_e64 s[36:37], v1, v152
	s_and_saveexec_b64 s[38:39], s[36:37]
	s_cbranch_execz .LBB1118_123
; %bb.122:
	v_bfrev_b32_e32 v1, -2
	v_cmp_gt_i64_e32 vcc, 0, v[80:81]
	v_ashrrev_i32_e32 v50, 31, v81
	v_cndmask_b32_e64 v1, v1, 0, vcc
	v_not_b32_e32 v50, v50
	v_add_co_u32_e32 v52, vcc, 0x7000, v48
	v_xor_b32_e32 v51, v1, v81
	v_xor_b32_e32 v50, v50, v80
	v_addc_co_u32_e32 v53, vcc, 0, v49, vcc
	flat_store_dwordx2 v[52:53], v[50:51]
.LBB1118_123:
	s_or_b64 exec, exec, s[38:39]
	v_add_u32_e32 v0, 0xf00, v0
	v_cmp_lt_u32_e64 s[38:39], v0, v152
	s_and_saveexec_b64 s[46:47], s[38:39]
	s_cbranch_execz .LBB1118_125
; %bb.124:
	v_bfrev_b32_e32 v0, -2
	v_cmp_gt_i64_e32 vcc, 0, v[70:71]
	v_ashrrev_i32_e32 v1, 31, v71
	v_cndmask_b32_e64 v0, v0, 0, vcc
	v_not_b32_e32 v50, v1
	v_add_co_u32_e32 v48, vcc, 0x7000, v48
	v_xor_b32_e32 v1, v0, v71
	v_xor_b32_e32 v0, v50, v70
	v_addc_co_u32_e32 v49, vcc, 0, v49, vcc
	flat_store_dwordx2 v[48:49], v[0:1] offset:2048
.LBB1118_125:
	s_or_b64 exec, exec, s[46:47]
	v_add_co_u32_e32 v0, vcc, v6, v20
	v_addc_co_u32_e32 v1, vcc, v7, v21, vcc
	v_add_co_u32_e32 v0, vcc, v0, v2
	v_addc_co_u32_e32 v1, vcc, v1, v3, vcc
	s_and_saveexec_b64 vcc, s[4:5]
	s_cbranch_execnz .LBB1118_211
; %bb.126:
	s_or_b64 exec, exec, vcc
	s_and_saveexec_b64 s[4:5], s[6:7]
	s_cbranch_execnz .LBB1118_212
.LBB1118_127:
	s_or_b64 exec, exec, s[4:5]
	s_and_saveexec_b64 s[4:5], s[10:11]
	s_cbranch_execnz .LBB1118_213
.LBB1118_128:
	s_or_b64 exec, exec, s[4:5]
	s_and_saveexec_b64 s[4:5], s[40:41]
	s_cbranch_execnz .LBB1118_214
.LBB1118_129:
	s_or_b64 exec, exec, s[4:5]
	s_and_saveexec_b64 s[4:5], s[14:15]
	s_cbranch_execnz .LBB1118_215
.LBB1118_130:
	s_or_b64 exec, exec, s[4:5]
	s_and_saveexec_b64 s[4:5], s[16:17]
	s_cbranch_execnz .LBB1118_216
.LBB1118_131:
	s_or_b64 exec, exec, s[4:5]
	s_and_saveexec_b64 s[4:5], s[18:19]
	s_cbranch_execnz .LBB1118_217
.LBB1118_132:
	s_or_b64 exec, exec, s[4:5]
	s_and_saveexec_b64 s[4:5], s[20:21]
	s_cbranch_execnz .LBB1118_218
.LBB1118_133:
	s_or_b64 exec, exec, s[4:5]
	s_and_saveexec_b64 s[4:5], s[22:23]
	s_cbranch_execnz .LBB1118_219
.LBB1118_134:
	s_or_b64 exec, exec, s[4:5]
	s_and_saveexec_b64 s[4:5], s[24:25]
	s_cbranch_execnz .LBB1118_220
.LBB1118_135:
	s_or_b64 exec, exec, s[4:5]
	s_and_saveexec_b64 s[4:5], s[26:27]
	s_cbranch_execnz .LBB1118_221
.LBB1118_136:
	s_or_b64 exec, exec, s[4:5]
	s_and_saveexec_b64 s[4:5], s[28:29]
	s_cbranch_execnz .LBB1118_222
.LBB1118_137:
	s_or_b64 exec, exec, s[4:5]
	s_and_saveexec_b64 s[4:5], s[30:31]
	s_cbranch_execnz .LBB1118_223
.LBB1118_138:
	s_or_b64 exec, exec, s[4:5]
	s_and_saveexec_b64 s[4:5], s[34:35]
	s_cbranch_execnz .LBB1118_224
.LBB1118_139:
	s_or_b64 exec, exec, s[4:5]
	s_and_saveexec_b64 s[4:5], s[36:37]
	s_cbranch_execnz .LBB1118_225
.LBB1118_140:
	s_or_b64 exec, exec, s[4:5]
	s_and_saveexec_b64 s[4:5], s[38:39]
	s_cbranch_execz .LBB1118_142
.LBB1118_141:
	v_add_co_u32_e32 v0, vcc, 0x7000, v0
	v_addc_co_u32_e32 v1, vcc, 0, v1, vcc
	s_waitcnt vmcnt(0)
	flat_store_dwordx2 v[0:1], v[4:5] offset:2048
.LBB1118_142:
	s_or_b64 exec, exec, s[4:5]
                                        ; implicit-def: $vgpr152
                                        ; implicit-def: $vgpr0
                                        ; implicit-def: $vgpr1
                                        ; implicit-def: $vgpr2
                                        ; implicit-def: $vgpr3
                                        ; implicit-def: $vgpr4
                                        ; implicit-def: $vgpr5
                                        ; implicit-def: $vgpr6
                                        ; implicit-def: $vgpr7
                                        ; implicit-def: $vgpr8
                                        ; implicit-def: $vgpr10
                                        ; implicit-def: $vgpr11
                                        ; implicit-def: $vgpr12
                                        ; implicit-def: $vgpr13
                                        ; implicit-def: $vgpr31
                                        ; implicit-def: $vgpr16
                                        ; implicit-def: $vgpr17
                                        ; implicit-def: $vgpr14
.LBB1118_143:
	s_andn2_saveexec_b64 s[4:5], s[44:45]
	s_cbranch_execz .LBB1118_372
; %bb.144:
	s_movk_i32 s4, 0x400
	v_cmp_lt_u32_e32 vcc, s4, v152
	s_and_saveexec_b64 s[4:5], vcc
	s_xor_b64 s[38:39], exec, s[4:5]
	s_cbranch_execz .LBB1118_252
; %bb.145:
	s_load_dwordx2 s[4:5], s[8:9], 0x0
	s_waitcnt vmcnt(0)
	v_mov_b32_e32 v9, 0
	v_mbcnt_hi_u32_b32 v36, -1, v14
	v_lshlrev_b64 v[20:21], 3, v[8:9]
	v_and_b32_e32 v37, 63, v36
	s_waitcnt lgkmcnt(0)
	s_cmp_lt_u32 s12, s4
	s_cselect_b32 s6, 12, 18
	s_cmp_lt_u32 s13, s5
	s_cselect_b32 s4, 14, 20
	s_add_u32 s4, s8, s4
	s_addc_u32 s5, s9, 0
	s_add_u32 s6, s8, s6
	global_load_ushort v18, v9, s[4:5]
	s_addc_u32 s7, s9, 0
	global_load_ushort v19, v9, s[6:7]
	v_add_co_u32_e32 v0, vcc, v0, v20
	v_addc_co_u32_e32 v1, vcc, v1, v21, vcc
	v_lshlrev_b32_e32 v23, 3, v37
	v_and_b32_e32 v22, 0x3ff, v31
	v_add_co_u32_e32 v24, vcc, v0, v23
	v_addc_co_u32_e32 v25, vcc, 0, v1, vcc
	v_pk_mov_b32 v[14:15], -1, -1
	s_waitcnt vmcnt(1)
	v_mad_u32_u24 v0, v17, v18, v16
	s_waitcnt vmcnt(0)
	v_mad_u64_u32 v[0:1], s[4:5], v0, v19, v[22:23]
	v_lshlrev_b32_e32 v1, 3, v0
	v_and_b32_e32 v8, 0xfffffe00, v1
	v_lshlrev_b64 v[16:17], 3, v[8:9]
	v_add_co_u32_e32 v18, vcc, v24, v16
	v_or_b32_e32 v1, v8, v37
	v_addc_co_u32_e32 v19, vcc, v25, v17, vcc
	v_cmp_lt_u32_e32 vcc, v1, v152
	v_pk_mov_b32 v[8:9], v[14:15], v[14:15] op_sel:[0,1]
	s_and_saveexec_b64 s[4:5], vcc
	s_cbranch_execz .LBB1118_147
; %bb.146:
	flat_load_dwordx2 v[8:9], v[18:19]
.LBB1118_147:
	s_or_b64 exec, exec, s[4:5]
	v_or_b32_e32 v24, 64, v1
	v_cmp_lt_u32_e64 s[4:5], v24, v152
	s_and_saveexec_b64 s[6:7], s[4:5]
	s_cbranch_execz .LBB1118_149
; %bb.148:
	flat_load_dwordx2 v[14:15], v[18:19] offset:512
.LBB1118_149:
	s_or_b64 exec, exec, s[6:7]
	v_or_b32_e32 v24, 0x80, v1
	v_cmp_lt_u32_e64 s[6:7], v24, v152
	v_pk_mov_b32 v[24:25], -1, -1
	v_pk_mov_b32 v[26:27], v[24:25], v[24:25] op_sel:[0,1]
	s_and_saveexec_b64 s[10:11], s[6:7]
	s_cbranch_execz .LBB1118_151
; %bb.150:
	flat_load_dwordx2 v[26:27], v[18:19] offset:1024
.LBB1118_151:
	s_or_b64 exec, exec, s[10:11]
	v_or_b32_e32 v28, 0xc0, v1
	v_cmp_lt_u32_e64 s[10:11], v28, v152
	s_and_saveexec_b64 s[14:15], s[10:11]
	s_cbranch_execz .LBB1118_153
; %bb.152:
	flat_load_dwordx2 v[24:25], v[18:19] offset:1536
.LBB1118_153:
	s_or_b64 exec, exec, s[14:15]
	v_or_b32_e32 v28, 0x100, v1
	v_cmp_lt_u32_e64 s[20:21], v28, v152
	v_pk_mov_b32 v[28:29], -1, -1
	v_pk_mov_b32 v[30:31], v[28:29], v[28:29] op_sel:[0,1]
	s_and_saveexec_b64 s[14:15], s[20:21]
	s_cbranch_execz .LBB1118_155
; %bb.154:
	flat_load_dwordx2 v[30:31], v[18:19] offset:2048
.LBB1118_155:
	;; [unrolled: 18-line block ×3, first 2 shown]
	s_or_b64 exec, exec, s[18:19]
	v_or_b32_e32 v1, 0x1c0, v1
	v_cmp_lt_u32_e64 s[18:19], v1, v152
	s_and_saveexec_b64 s[22:23], s[18:19]
	s_cbranch_execz .LBB1118_161
; %bb.160:
	flat_load_dwordx2 v[32:33], v[18:19] offset:3584
.LBB1118_161:
	s_or_b64 exec, exec, s[22:23]
	v_add_co_u32_e64 v1, s[22:23], v4, v20
	v_addc_co_u32_e64 v4, s[22:23], v5, v21, s[22:23]
	v_add_co_u32_e64 v1, s[22:23], v1, v23
	v_addc_co_u32_e64 v5, s[22:23], 0, v4, s[22:23]
	;; [unrolled: 2-line block ×3, first 2 shown]
                                        ; implicit-def: $vgpr16_vgpr17
	s_and_saveexec_b64 s[22:23], vcc
	s_cbranch_execnz .LBB1118_285
; %bb.162:
	s_or_b64 exec, exec, s[22:23]
                                        ; implicit-def: $vgpr18_vgpr19
	s_and_saveexec_b64 s[22:23], s[4:5]
	s_cbranch_execnz .LBB1118_286
.LBB1118_163:
	s_or_b64 exec, exec, s[22:23]
                                        ; implicit-def: $vgpr86_vgpr87
	s_and_saveexec_b64 s[4:5], s[6:7]
	s_cbranch_execnz .LBB1118_287
.LBB1118_164:
	s_or_b64 exec, exec, s[4:5]
                                        ; implicit-def: $vgpr96_vgpr97
	s_and_saveexec_b64 s[4:5], s[10:11]
	s_cbranch_execnz .LBB1118_288
.LBB1118_165:
	s_or_b64 exec, exec, s[4:5]
                                        ; implicit-def: $vgpr98_vgpr99
	s_and_saveexec_b64 s[4:5], s[20:21]
	s_cbranch_execnz .LBB1118_289
.LBB1118_166:
	s_or_b64 exec, exec, s[4:5]
                                        ; implicit-def: $vgpr100_vgpr101
	s_and_saveexec_b64 s[4:5], s[14:15]
	s_cbranch_execnz .LBB1118_290
.LBB1118_167:
	s_or_b64 exec, exec, s[4:5]
                                        ; implicit-def: $vgpr102_vgpr103
	s_and_saveexec_b64 s[4:5], s[16:17]
	s_cbranch_execnz .LBB1118_291
.LBB1118_168:
	s_or_b64 exec, exec, s[4:5]
                                        ; implicit-def: $vgpr114_vgpr115
	s_and_saveexec_b64 s[4:5], s[18:19]
	s_cbranch_execz .LBB1118_170
.LBB1118_169:
	flat_load_dwordx2 v[114:115], v[4:5] offset:3584
.LBB1118_170:
	s_or_b64 exec, exec, s[4:5]
	s_waitcnt vmcnt(0) lgkmcnt(0)
	v_ashrrev_i32_e32 v5, 31, v9
	v_not_b32_e32 v5, v5
	v_xor_b32_e32 v112, v5, v8
	v_ashrrev_i32_e32 v5, 31, v15
	v_not_b32_e32 v5, v5
	v_xor_b32_e32 v116, v5, v14
	v_ashrrev_i32_e32 v5, 31, v27
	v_bfrev_b32_e32 v1, -2
	v_cmp_gt_i64_e32 vcc, 0, v[8:9]
	v_not_b32_e32 v5, v5
	v_cndmask_b32_e64 v4, v1, 0, vcc
	v_cmp_gt_i64_e32 vcc, 0, v[14:15]
	v_xor_b32_e32 v118, v5, v26
	v_ashrrev_i32_e32 v5, 31, v25
	v_xor_b32_e32 v113, v4, v9
	v_cndmask_b32_e64 v4, v1, 0, vcc
	v_cmp_gt_i64_e32 vcc, 0, v[26:27]
	v_not_b32_e32 v5, v5
	v_xor_b32_e32 v117, v4, v15
	v_cndmask_b32_e64 v4, v1, 0, vcc
	v_cmp_gt_i64_e32 vcc, 0, v[24:25]
	v_xor_b32_e32 v128, v5, v24
	v_ashrrev_i32_e32 v5, 31, v31
	v_xor_b32_e32 v119, v4, v27
	v_cndmask_b32_e64 v4, v1, 0, vcc
	v_cmp_gt_i64_e32 vcc, 0, v[30:31]
	v_not_b32_e32 v5, v5
	v_xor_b32_e32 v129, v4, v25
	v_cndmask_b32_e64 v4, v1, 0, vcc
	v_xor_b32_e32 v130, v5, v30
	v_cmp_gt_i64_e32 vcc, 0, v[28:29]
	v_ashrrev_i32_e32 v5, 31, v29
	v_xor_b32_e32 v131, v4, v31
	v_cndmask_b32_e64 v4, v1, 0, vcc
	v_not_b32_e32 v5, v5
	v_cmp_gt_i64_e32 vcc, 0, v[34:35]
	v_xor_b32_e32 v133, v4, v29
	v_xor_b32_e32 v132, v5, v28
	v_cndmask_b32_e64 v4, v1, 0, vcc
	v_ashrrev_i32_e32 v5, 31, v35
	v_cmp_gt_i64_e32 vcc, 0, v[32:33]
	v_not_b32_e32 v5, v5
	v_xor_b32_e32 v135, v4, v35
	v_cndmask_b32_e64 v4, v1, 0, vcc
	v_add_co_u32_e32 v23, vcc, 16, v12
	v_and_b32_e32 v15, 0x3c0, v22
	v_xor_b32_e32 v134, v5, v34
	v_ashrrev_i32_e32 v5, 31, v33
	v_xor_b32_e32 v177, v4, v33
	v_addc_co_u32_e32 v178, vcc, 0, v13, vcc
	v_lshlrev_b32_e32 v4, 4, v22
	v_min_u32_e32 v15, 0xc0, v15
	v_not_b32_e32 v5, v5
	v_add_co_u32_e32 v4, vcc, v12, v4
	v_or_b32_e32 v15, 63, v15
	v_xor_b32_e32 v176, v5, v32
	s_getpc_b64 s[4:5]
	s_add_u32 s4, s4, _ZN7rocprim17ROCPRIM_400000_NS16block_radix_sortIdLj256ELj8ElLj1ELj1ELj8ELNS0_26block_radix_rank_algorithmE2ELNS0_18block_padding_hintE2ELNS0_4arch9wavefront6targetE1EE19radix_bits_per_passE@rel32@lo+4
	s_addc_u32 s5, s5, _ZN7rocprim17ROCPRIM_400000_NS16block_radix_sortIdLj256ELj8ElLj1ELj1ELj8ELNS0_26block_radix_rank_algorithmE2ELNS0_18block_padding_hintE2ELNS0_4arch9wavefront6targetE1EE19radix_bits_per_passE@rel32@hi+12
	v_addc_co_u32_e32 v5, vcc, 0, v13, vcc
	v_and_b32_e32 v9, 15, v36
	v_cmp_eq_u32_e64 s[16:17], v15, v22
	v_add_u32_e32 v15, -1, v36
	v_and_b32_e32 v24, 64, v36
	s_load_dword s48, s[4:5], 0x0
	v_cmp_eq_u32_e32 vcc, 0, v9
	v_cmp_lt_u32_e64 s[4:5], 1, v9
	v_cmp_lt_u32_e64 s[6:7], 3, v9
	;; [unrolled: 1-line block ×3, first 2 shown]
	v_and_b32_e32 v9, 16, v36
	v_cmp_lt_i32_e64 s[22:23], v15, v24
	v_cmp_eq_u32_e64 s[30:31], 0, v9
	v_lshrrev_b32_e32 v9, 6, v22
	v_cndmask_b32_e64 v15, v15, v36, s[22:23]
	v_lshlrev_b32_e32 v180, 2, v15
	v_lshlrev_b32_e32 v15, 2, v9
	v_add_co_u32_e64 v38, s[26:27], v12, v15
	v_lshlrev_b32_e32 v8, 2, v22
	v_addc_co_u32_e64 v39, s[26:27], 0, v13, s[26:27]
	v_add_co_u32_e64 v48, s[26:27], v12, v8
	v_mov_b32_e32 v14, 0
	v_addc_co_u32_e64 v49, s[26:27], 0, v13, s[26:27]
	v_and_b32_e32 v8, 3, v36
	v_cmp_eq_u32_e64 s[26:27], 0, v8
	v_cmp_lt_u32_e64 s[28:29], 1, v8
	v_add_u32_e32 v8, -1, v9
	v_mov_b32_e32 v9, v14
	v_lshlrev_b64 v[8:9], 2, v[8:9]
	v_add_co_u32_e64 v50, s[34:35], v12, v8
	v_addc_co_u32_e64 v51, s[34:35], v13, v9, s[34:35]
	v_lshlrev_b32_e32 v8, 3, v22
	s_movk_i32 s34, 0x1e00
	v_and_or_b32 v8, v8, s34, v37
	v_lshlrev_b32_e32 v8, 3, v8
	s_mov_b32 s44, 0
	v_add_co_u32_e64 v52, s[34:35], v12, v8
	s_mov_b64 s[40:41], 0
	s_brev_b32 s45, 1
	v_lshrrev_b32_e32 v179, 6, v0
	v_cmp_lt_u32_e64 s[14:15], 31, v36
	v_cmp_gt_u32_e64 s[18:19], 4, v22
	v_cmp_lt_u32_e64 s[20:21], 63, v22
	v_cmp_eq_u32_e64 s[22:23], 0, v36
	v_cmp_eq_u32_e64 s[24:25], 0, v22
	v_addc_co_u32_e64 v53, s[34:35], 0, v13, s[34:35]
	v_sub_u32_e32 v181, v11, v10
	s_waitcnt lgkmcnt(0)
	s_barrier
	s_branch .LBB1118_172
.LBB1118_171:                           ;   in Loop: Header=BB1118_172 Depth=1
	s_or_b64 exec, exec, s[36:37]
	s_and_b64 s[34:35], exec, s[46:47]
	s_or_b64 s[40:41], s[34:35], s[40:41]
	s_andn2_b64 exec, exec, s[40:41]
	s_cbranch_execz .LBB1118_226
.LBB1118_172:                           ; =>This Inner Loop Header: Depth=1
	s_waitcnt vmcnt(0)
	v_pk_mov_b32 v[84:85], v[112:113], v[112:113] op_sel:[0,1]
	v_pk_mov_b32 v[36:37], v[16:17], v[16:17] op_sel:[0,1]
	;; [unrolled: 1-line block ×3, first 2 shown]
	v_min_u32_e32 v18, s48, v181
	v_mov_b32_e32 v15, v14
	v_mov_b32_e32 v16, v14
	;; [unrolled: 1-line block ×3, first 2 shown]
	v_cmp_ne_u64_e64 s[34:35], s[44:45], v[84:85]
	flat_store_dwordx4 v[4:5], v[14:17] offset:16
	v_pk_mov_b32 v[32:33], v[86:87], v[86:87] op_sel:[0,1]
	v_lshlrev_b32_e64 v15, v18, -1
	v_cndmask_b32_e64 v17, v1, v85, s[34:35]
	v_cndmask_b32_e64 v16, -1, v84, s[34:35]
	v_not_b32_e32 v18, v15
	v_lshrrev_b64 v[16:17], v10, v[16:17]
	v_and_b32_e32 v19, v16, v18
	v_lshl_add_u32 v16, v19, 2, v179
	v_mov_b32_e32 v17, v14
	v_lshlrev_b64 v[16:17], 2, v[16:17]
	v_add_co_u32_e64 v86, s[34:35], v23, v16
	v_addc_co_u32_e64 v87, s[34:35], v178, v17, s[34:35]
	v_and_b32_e32 v15, 1, v19
	v_add_co_u32_e64 v16, s[34:35], -1, v15
	v_addc_co_u32_e64 v17, s[34:35], 0, -1, s[34:35]
	v_cmp_ne_u32_e64 s[34:35], 0, v15
	v_xor_b32_e32 v15, s35, v17
	v_and_b32_e32 v17, exec_hi, v15
	v_lshlrev_b32_e32 v15, 30, v19
	v_xor_b32_e32 v16, s34, v16
	v_cmp_gt_i64_e64 s[34:35], 0, v[14:15]
	v_not_b32_e32 v15, v15
	v_ashrrev_i32_e32 v15, 31, v15
	v_pk_mov_b32 v[30:31], v[96:97], v[96:97] op_sel:[0,1]
	v_and_b32_e32 v16, exec_lo, v16
	v_xor_b32_e32 v96, s35, v15
	v_xor_b32_e32 v15, s34, v15
	v_and_b32_e32 v16, v16, v15
	v_lshlrev_b32_e32 v15, 29, v19
	v_cmp_gt_i64_e64 s[34:35], 0, v[14:15]
	v_not_b32_e32 v15, v15
	v_ashrrev_i32_e32 v15, 31, v15
	v_and_b32_e32 v17, v17, v96
	v_xor_b32_e32 v96, s35, v15
	v_xor_b32_e32 v15, s34, v15
	v_and_b32_e32 v16, v16, v15
	v_lshlrev_b32_e32 v15, 28, v19
	v_cmp_gt_i64_e64 s[34:35], 0, v[14:15]
	v_not_b32_e32 v15, v15
	v_ashrrev_i32_e32 v15, 31, v15
	v_and_b32_e32 v17, v17, v96
	;; [unrolled: 8-line block ×5, first 2 shown]
	v_xor_b32_e32 v96, s35, v15
	v_xor_b32_e32 v15, s34, v15
	v_and_b32_e32 v16, v16, v15
	v_lshlrev_b32_e32 v15, 24, v19
	v_cmp_gt_i64_e64 s[34:35], 0, v[14:15]
	v_not_b32_e32 v15, v15
	v_ashrrev_i32_e32 v15, 31, v15
	v_xor_b32_e32 v19, s35, v15
	v_xor_b32_e32 v15, s34, v15
	v_and_b32_e32 v17, v17, v96
	v_and_b32_e32 v16, v16, v15
	;; [unrolled: 1-line block ×3, first 2 shown]
	v_mbcnt_lo_u32_b32 v15, v16, 0
	v_pk_mov_b32 v[80:81], v[118:119], v[118:119] op_sel:[0,1]
	v_mbcnt_hi_u32_b32 v118, v17, v15
	v_cmp_eq_u32_e64 s[34:35], 0, v118
	v_cmp_ne_u64_e64 s[36:37], 0, v[16:17]
	v_pk_mov_b32 v[28:29], v[98:99], v[98:99] op_sel:[0,1]
	v_pk_mov_b32 v[26:27], v[100:101], v[100:101] op_sel:[0,1]
	;; [unrolled: 1-line block ×10, first 2 shown]
	s_and_b64 s[36:37], s[36:37], s[34:35]
	s_waitcnt lgkmcnt(0)
	s_barrier
	s_waitcnt lgkmcnt(0)
	; wave barrier
	s_and_saveexec_b64 s[34:35], s[36:37]
	s_cbranch_execz .LBB1118_174
; %bb.173:                              ;   in Loop: Header=BB1118_172 Depth=1
	v_bcnt_u32_b32 v15, v16, 0
	v_bcnt_u32_b32 v15, v17, v15
	flat_store_dword v[86:87], v15
.LBB1118_174:                           ;   in Loop: Header=BB1118_172 Depth=1
	s_or_b64 exec, exec, s[34:35]
	v_cmp_ne_u64_e64 s[34:35], s[44:45], v[82:83]
	v_cndmask_b32_e64 v17, v1, v83, s[34:35]
	v_cndmask_b32_e64 v16, -1, v82, s[34:35]
	v_lshrrev_b64 v[16:17], v10, v[16:17]
	v_and_b32_e32 v19, v16, v18
	v_lshl_add_u32 v16, v19, 2, v179
	v_mov_b32_e32 v17, v14
	v_lshlrev_b64 v[16:17], 2, v[16:17]
	v_add_co_u32_e64 v96, s[34:35], v23, v16
	v_addc_co_u32_e64 v97, s[34:35], v178, v17, s[34:35]
	; wave barrier
	flat_load_dword v119, v[96:97]
	v_and_b32_e32 v15, 1, v19
	v_add_co_u32_e64 v16, s[34:35], -1, v15
	v_addc_co_u32_e64 v17, s[34:35], 0, -1, s[34:35]
	v_cmp_ne_u32_e64 s[34:35], 0, v15
	v_xor_b32_e32 v15, s35, v17
	v_and_b32_e32 v17, exec_hi, v15
	v_lshlrev_b32_e32 v15, 30, v19
	v_xor_b32_e32 v16, s34, v16
	v_cmp_gt_i64_e64 s[34:35], 0, v[14:15]
	v_not_b32_e32 v15, v15
	v_ashrrev_i32_e32 v15, 31, v15
	v_and_b32_e32 v16, exec_lo, v16
	v_xor_b32_e32 v98, s35, v15
	v_xor_b32_e32 v15, s34, v15
	v_and_b32_e32 v16, v16, v15
	v_lshlrev_b32_e32 v15, 29, v19
	v_cmp_gt_i64_e64 s[34:35], 0, v[14:15]
	v_not_b32_e32 v15, v15
	v_ashrrev_i32_e32 v15, 31, v15
	v_and_b32_e32 v17, v17, v98
	v_xor_b32_e32 v98, s35, v15
	v_xor_b32_e32 v15, s34, v15
	v_and_b32_e32 v16, v16, v15
	v_lshlrev_b32_e32 v15, 28, v19
	v_cmp_gt_i64_e64 s[34:35], 0, v[14:15]
	v_not_b32_e32 v15, v15
	v_ashrrev_i32_e32 v15, 31, v15
	v_and_b32_e32 v17, v17, v98
	;; [unrolled: 8-line block ×5, first 2 shown]
	v_xor_b32_e32 v98, s35, v15
	v_xor_b32_e32 v15, s34, v15
	v_and_b32_e32 v16, v16, v15
	v_lshlrev_b32_e32 v15, 24, v19
	v_cmp_gt_i64_e64 s[34:35], 0, v[14:15]
	v_not_b32_e32 v15, v15
	v_ashrrev_i32_e32 v15, 31, v15
	v_xor_b32_e32 v19, s35, v15
	v_xor_b32_e32 v15, s34, v15
	v_and_b32_e32 v17, v17, v98
	v_and_b32_e32 v16, v16, v15
	;; [unrolled: 1-line block ×3, first 2 shown]
	v_mbcnt_lo_u32_b32 v15, v16, 0
	v_mbcnt_hi_u32_b32 v128, v17, v15
	v_cmp_eq_u32_e64 s[34:35], 0, v128
	v_cmp_ne_u64_e64 s[36:37], 0, v[16:17]
	s_and_b64 s[36:37], s[36:37], s[34:35]
	; wave barrier
	s_and_saveexec_b64 s[34:35], s[36:37]
	s_cbranch_execz .LBB1118_176
; %bb.175:                              ;   in Loop: Header=BB1118_172 Depth=1
	v_bcnt_u32_b32 v15, v16, 0
	v_bcnt_u32_b32 v15, v17, v15
	s_waitcnt vmcnt(0) lgkmcnt(0)
	v_add_u32_e32 v15, v119, v15
	flat_store_dword v[96:97], v15
.LBB1118_176:                           ;   in Loop: Header=BB1118_172 Depth=1
	s_or_b64 exec, exec, s[34:35]
	v_cmp_ne_u64_e64 s[34:35], s[44:45], v[80:81]
	v_cndmask_b32_e64 v17, v1, v81, s[34:35]
	v_cndmask_b32_e64 v16, -1, v80, s[34:35]
	v_lshrrev_b64 v[16:17], v10, v[16:17]
	v_and_b32_e32 v19, v16, v18
	v_lshl_add_u32 v16, v19, 2, v179
	v_mov_b32_e32 v17, v14
	v_lshlrev_b64 v[16:17], 2, v[16:17]
	v_add_co_u32_e64 v98, s[34:35], v23, v16
	v_addc_co_u32_e64 v99, s[34:35], v178, v17, s[34:35]
	; wave barrier
	flat_load_dword v129, v[98:99]
	v_and_b32_e32 v15, 1, v19
	v_add_co_u32_e64 v16, s[34:35], -1, v15
	v_addc_co_u32_e64 v17, s[34:35], 0, -1, s[34:35]
	v_cmp_ne_u32_e64 s[34:35], 0, v15
	v_xor_b32_e32 v15, s35, v17
	v_and_b32_e32 v17, exec_hi, v15
	v_lshlrev_b32_e32 v15, 30, v19
	v_xor_b32_e32 v16, s34, v16
	v_cmp_gt_i64_e64 s[34:35], 0, v[14:15]
	v_not_b32_e32 v15, v15
	v_ashrrev_i32_e32 v15, 31, v15
	v_and_b32_e32 v16, exec_lo, v16
	v_xor_b32_e32 v100, s35, v15
	v_xor_b32_e32 v15, s34, v15
	v_and_b32_e32 v16, v16, v15
	v_lshlrev_b32_e32 v15, 29, v19
	v_cmp_gt_i64_e64 s[34:35], 0, v[14:15]
	v_not_b32_e32 v15, v15
	v_ashrrev_i32_e32 v15, 31, v15
	v_and_b32_e32 v17, v17, v100
	v_xor_b32_e32 v100, s35, v15
	v_xor_b32_e32 v15, s34, v15
	v_and_b32_e32 v16, v16, v15
	v_lshlrev_b32_e32 v15, 28, v19
	v_cmp_gt_i64_e64 s[34:35], 0, v[14:15]
	v_not_b32_e32 v15, v15
	v_ashrrev_i32_e32 v15, 31, v15
	v_and_b32_e32 v17, v17, v100
	;; [unrolled: 8-line block ×5, first 2 shown]
	v_xor_b32_e32 v100, s35, v15
	v_xor_b32_e32 v15, s34, v15
	v_and_b32_e32 v16, v16, v15
	v_lshlrev_b32_e32 v15, 24, v19
	v_cmp_gt_i64_e64 s[34:35], 0, v[14:15]
	v_not_b32_e32 v15, v15
	v_ashrrev_i32_e32 v15, 31, v15
	v_xor_b32_e32 v19, s35, v15
	v_xor_b32_e32 v15, s34, v15
	v_and_b32_e32 v17, v17, v100
	v_and_b32_e32 v16, v16, v15
	;; [unrolled: 1-line block ×3, first 2 shown]
	v_mbcnt_lo_u32_b32 v15, v16, 0
	v_mbcnt_hi_u32_b32 v130, v17, v15
	v_cmp_eq_u32_e64 s[34:35], 0, v130
	v_cmp_ne_u64_e64 s[36:37], 0, v[16:17]
	s_and_b64 s[36:37], s[36:37], s[34:35]
	; wave barrier
	s_and_saveexec_b64 s[34:35], s[36:37]
	s_cbranch_execz .LBB1118_178
; %bb.177:                              ;   in Loop: Header=BB1118_172 Depth=1
	v_bcnt_u32_b32 v15, v16, 0
	v_bcnt_u32_b32 v15, v17, v15
	s_waitcnt vmcnt(0) lgkmcnt(0)
	v_add_u32_e32 v15, v129, v15
	flat_store_dword v[98:99], v15
.LBB1118_178:                           ;   in Loop: Header=BB1118_172 Depth=1
	s_or_b64 exec, exec, s[34:35]
	v_cmp_ne_u64_e64 s[34:35], s[44:45], v[70:71]
	v_cndmask_b32_e64 v17, v1, v71, s[34:35]
	v_cndmask_b32_e64 v16, -1, v70, s[34:35]
	v_lshrrev_b64 v[16:17], v10, v[16:17]
	v_and_b32_e32 v19, v16, v18
	v_lshl_add_u32 v16, v19, 2, v179
	v_mov_b32_e32 v17, v14
	v_lshlrev_b64 v[16:17], 2, v[16:17]
	v_add_co_u32_e64 v100, s[34:35], v23, v16
	v_addc_co_u32_e64 v101, s[34:35], v178, v17, s[34:35]
	; wave barrier
	flat_load_dword v131, v[100:101]
	v_and_b32_e32 v15, 1, v19
	v_add_co_u32_e64 v16, s[34:35], -1, v15
	v_addc_co_u32_e64 v17, s[34:35], 0, -1, s[34:35]
	v_cmp_ne_u32_e64 s[34:35], 0, v15
	v_xor_b32_e32 v15, s35, v17
	v_and_b32_e32 v17, exec_hi, v15
	v_lshlrev_b32_e32 v15, 30, v19
	v_xor_b32_e32 v16, s34, v16
	v_cmp_gt_i64_e64 s[34:35], 0, v[14:15]
	v_not_b32_e32 v15, v15
	v_ashrrev_i32_e32 v15, 31, v15
	v_and_b32_e32 v16, exec_lo, v16
	v_xor_b32_e32 v102, s35, v15
	v_xor_b32_e32 v15, s34, v15
	v_and_b32_e32 v16, v16, v15
	v_lshlrev_b32_e32 v15, 29, v19
	v_cmp_gt_i64_e64 s[34:35], 0, v[14:15]
	v_not_b32_e32 v15, v15
	v_ashrrev_i32_e32 v15, 31, v15
	v_and_b32_e32 v17, v17, v102
	v_xor_b32_e32 v102, s35, v15
	v_xor_b32_e32 v15, s34, v15
	v_and_b32_e32 v16, v16, v15
	v_lshlrev_b32_e32 v15, 28, v19
	v_cmp_gt_i64_e64 s[34:35], 0, v[14:15]
	v_not_b32_e32 v15, v15
	v_ashrrev_i32_e32 v15, 31, v15
	v_and_b32_e32 v17, v17, v102
	;; [unrolled: 8-line block ×5, first 2 shown]
	v_xor_b32_e32 v102, s35, v15
	v_xor_b32_e32 v15, s34, v15
	v_and_b32_e32 v16, v16, v15
	v_lshlrev_b32_e32 v15, 24, v19
	v_cmp_gt_i64_e64 s[34:35], 0, v[14:15]
	v_not_b32_e32 v15, v15
	v_ashrrev_i32_e32 v15, 31, v15
	v_xor_b32_e32 v19, s35, v15
	v_xor_b32_e32 v15, s34, v15
	v_and_b32_e32 v17, v17, v102
	v_and_b32_e32 v16, v16, v15
	;; [unrolled: 1-line block ×3, first 2 shown]
	v_mbcnt_lo_u32_b32 v15, v16, 0
	v_mbcnt_hi_u32_b32 v132, v17, v15
	v_cmp_eq_u32_e64 s[34:35], 0, v132
	v_cmp_ne_u64_e64 s[36:37], 0, v[16:17]
	s_and_b64 s[36:37], s[36:37], s[34:35]
	; wave barrier
	s_and_saveexec_b64 s[34:35], s[36:37]
	s_cbranch_execz .LBB1118_180
; %bb.179:                              ;   in Loop: Header=BB1118_172 Depth=1
	v_bcnt_u32_b32 v15, v16, 0
	v_bcnt_u32_b32 v15, v17, v15
	s_waitcnt vmcnt(0) lgkmcnt(0)
	v_add_u32_e32 v15, v131, v15
	flat_store_dword v[100:101], v15
.LBB1118_180:                           ;   in Loop: Header=BB1118_172 Depth=1
	s_or_b64 exec, exec, s[34:35]
	v_cmp_ne_u64_e64 s[34:35], s[44:45], v[68:69]
	v_cndmask_b32_e64 v17, v1, v69, s[34:35]
	v_cndmask_b32_e64 v16, -1, v68, s[34:35]
	v_lshrrev_b64 v[16:17], v10, v[16:17]
	v_and_b32_e32 v19, v16, v18
	v_lshl_add_u32 v16, v19, 2, v179
	v_mov_b32_e32 v17, v14
	v_lshlrev_b64 v[16:17], 2, v[16:17]
	v_add_co_u32_e64 v102, s[34:35], v23, v16
	v_addc_co_u32_e64 v103, s[34:35], v178, v17, s[34:35]
	; wave barrier
	flat_load_dword v133, v[102:103]
	v_and_b32_e32 v15, 1, v19
	v_add_co_u32_e64 v16, s[34:35], -1, v15
	v_addc_co_u32_e64 v17, s[34:35], 0, -1, s[34:35]
	v_cmp_ne_u32_e64 s[34:35], 0, v15
	v_xor_b32_e32 v15, s35, v17
	v_and_b32_e32 v17, exec_hi, v15
	v_lshlrev_b32_e32 v15, 30, v19
	v_xor_b32_e32 v16, s34, v16
	v_cmp_gt_i64_e64 s[34:35], 0, v[14:15]
	v_not_b32_e32 v15, v15
	v_ashrrev_i32_e32 v15, 31, v15
	v_and_b32_e32 v16, exec_lo, v16
	v_xor_b32_e32 v112, s35, v15
	v_xor_b32_e32 v15, s34, v15
	v_and_b32_e32 v16, v16, v15
	v_lshlrev_b32_e32 v15, 29, v19
	v_cmp_gt_i64_e64 s[34:35], 0, v[14:15]
	v_not_b32_e32 v15, v15
	v_ashrrev_i32_e32 v15, 31, v15
	v_and_b32_e32 v17, v17, v112
	v_xor_b32_e32 v112, s35, v15
	v_xor_b32_e32 v15, s34, v15
	v_and_b32_e32 v16, v16, v15
	v_lshlrev_b32_e32 v15, 28, v19
	v_cmp_gt_i64_e64 s[34:35], 0, v[14:15]
	v_not_b32_e32 v15, v15
	v_ashrrev_i32_e32 v15, 31, v15
	v_and_b32_e32 v17, v17, v112
	v_xor_b32_e32 v112, s35, v15
	v_xor_b32_e32 v15, s34, v15
	v_and_b32_e32 v16, v16, v15
	v_lshlrev_b32_e32 v15, 27, v19
	v_cmp_gt_i64_e64 s[34:35], 0, v[14:15]
	v_not_b32_e32 v15, v15
	v_ashrrev_i32_e32 v15, 31, v15
	v_and_b32_e32 v17, v17, v112
	v_xor_b32_e32 v112, s35, v15
	v_xor_b32_e32 v15, s34, v15
	v_and_b32_e32 v16, v16, v15
	v_lshlrev_b32_e32 v15, 26, v19
	v_cmp_gt_i64_e64 s[34:35], 0, v[14:15]
	v_not_b32_e32 v15, v15
	v_ashrrev_i32_e32 v15, 31, v15
	v_and_b32_e32 v17, v17, v112
	v_xor_b32_e32 v112, s35, v15
	v_xor_b32_e32 v15, s34, v15
	v_and_b32_e32 v16, v16, v15
	v_lshlrev_b32_e32 v15, 25, v19
	v_cmp_gt_i64_e64 s[34:35], 0, v[14:15]
	v_not_b32_e32 v15, v15
	v_ashrrev_i32_e32 v15, 31, v15
	v_and_b32_e32 v17, v17, v112
	v_xor_b32_e32 v112, s35, v15
	v_xor_b32_e32 v15, s34, v15
	v_and_b32_e32 v16, v16, v15
	v_lshlrev_b32_e32 v15, 24, v19
	v_cmp_gt_i64_e64 s[34:35], 0, v[14:15]
	v_not_b32_e32 v15, v15
	v_ashrrev_i32_e32 v15, 31, v15
	v_xor_b32_e32 v19, s35, v15
	v_xor_b32_e32 v15, s34, v15
	v_and_b32_e32 v17, v17, v112
	v_and_b32_e32 v16, v16, v15
	;; [unrolled: 1-line block ×3, first 2 shown]
	v_mbcnt_lo_u32_b32 v15, v16, 0
	v_mbcnt_hi_u32_b32 v134, v17, v15
	v_cmp_eq_u32_e64 s[34:35], 0, v134
	v_cmp_ne_u64_e64 s[36:37], 0, v[16:17]
	s_and_b64 s[36:37], s[36:37], s[34:35]
	; wave barrier
	s_and_saveexec_b64 s[34:35], s[36:37]
	s_cbranch_execz .LBB1118_182
; %bb.181:                              ;   in Loop: Header=BB1118_172 Depth=1
	v_bcnt_u32_b32 v15, v16, 0
	v_bcnt_u32_b32 v15, v17, v15
	s_waitcnt vmcnt(0) lgkmcnt(0)
	v_add_u32_e32 v15, v133, v15
	flat_store_dword v[102:103], v15
.LBB1118_182:                           ;   in Loop: Header=BB1118_172 Depth=1
	s_or_b64 exec, exec, s[34:35]
	v_cmp_ne_u64_e64 s[34:35], s[44:45], v[66:67]
	v_cndmask_b32_e64 v17, v1, v67, s[34:35]
	v_cndmask_b32_e64 v16, -1, v66, s[34:35]
	v_lshrrev_b64 v[16:17], v10, v[16:17]
	v_and_b32_e32 v19, v16, v18
	v_lshl_add_u32 v16, v19, 2, v179
	v_mov_b32_e32 v17, v14
	v_lshlrev_b64 v[16:17], 2, v[16:17]
	v_add_co_u32_e64 v112, s[34:35], v23, v16
	v_addc_co_u32_e64 v113, s[34:35], v178, v17, s[34:35]
	; wave barrier
	flat_load_dword v135, v[112:113]
	v_and_b32_e32 v15, 1, v19
	v_add_co_u32_e64 v16, s[34:35], -1, v15
	v_addc_co_u32_e64 v17, s[34:35], 0, -1, s[34:35]
	v_cmp_ne_u32_e64 s[34:35], 0, v15
	v_xor_b32_e32 v15, s35, v17
	v_and_b32_e32 v17, exec_hi, v15
	v_lshlrev_b32_e32 v15, 30, v19
	v_xor_b32_e32 v16, s34, v16
	v_cmp_gt_i64_e64 s[34:35], 0, v[14:15]
	v_not_b32_e32 v15, v15
	v_ashrrev_i32_e32 v15, 31, v15
	v_and_b32_e32 v16, exec_lo, v16
	v_xor_b32_e32 v114, s35, v15
	v_xor_b32_e32 v15, s34, v15
	v_and_b32_e32 v16, v16, v15
	v_lshlrev_b32_e32 v15, 29, v19
	v_cmp_gt_i64_e64 s[34:35], 0, v[14:15]
	v_not_b32_e32 v15, v15
	v_ashrrev_i32_e32 v15, 31, v15
	v_and_b32_e32 v17, v17, v114
	v_xor_b32_e32 v114, s35, v15
	v_xor_b32_e32 v15, s34, v15
	v_and_b32_e32 v16, v16, v15
	v_lshlrev_b32_e32 v15, 28, v19
	v_cmp_gt_i64_e64 s[34:35], 0, v[14:15]
	v_not_b32_e32 v15, v15
	v_ashrrev_i32_e32 v15, 31, v15
	v_and_b32_e32 v17, v17, v114
	;; [unrolled: 8-line block ×5, first 2 shown]
	v_xor_b32_e32 v114, s35, v15
	v_xor_b32_e32 v15, s34, v15
	v_and_b32_e32 v16, v16, v15
	v_lshlrev_b32_e32 v15, 24, v19
	v_cmp_gt_i64_e64 s[34:35], 0, v[14:15]
	v_not_b32_e32 v15, v15
	v_ashrrev_i32_e32 v15, 31, v15
	v_xor_b32_e32 v19, s35, v15
	v_xor_b32_e32 v15, s34, v15
	v_and_b32_e32 v17, v17, v114
	v_and_b32_e32 v16, v16, v15
	;; [unrolled: 1-line block ×3, first 2 shown]
	v_mbcnt_lo_u32_b32 v15, v16, 0
	v_mbcnt_hi_u32_b32 v144, v17, v15
	v_cmp_eq_u32_e64 s[34:35], 0, v144
	v_cmp_ne_u64_e64 s[36:37], 0, v[16:17]
	s_and_b64 s[36:37], s[36:37], s[34:35]
	; wave barrier
	s_and_saveexec_b64 s[34:35], s[36:37]
	s_cbranch_execz .LBB1118_184
; %bb.183:                              ;   in Loop: Header=BB1118_172 Depth=1
	v_bcnt_u32_b32 v15, v16, 0
	v_bcnt_u32_b32 v15, v17, v15
	s_waitcnt vmcnt(0) lgkmcnt(0)
	v_add_u32_e32 v15, v135, v15
	flat_store_dword v[112:113], v15
.LBB1118_184:                           ;   in Loop: Header=BB1118_172 Depth=1
	s_or_b64 exec, exec, s[34:35]
	v_cmp_ne_u64_e64 s[34:35], s[44:45], v[64:65]
	v_cndmask_b32_e64 v17, v1, v65, s[34:35]
	v_cndmask_b32_e64 v16, -1, v64, s[34:35]
	v_lshrrev_b64 v[16:17], v10, v[16:17]
	v_and_b32_e32 v19, v16, v18
	v_lshl_add_u32 v16, v19, 2, v179
	v_mov_b32_e32 v17, v14
	v_lshlrev_b64 v[16:17], 2, v[16:17]
	v_add_co_u32_e64 v114, s[34:35], v23, v16
	v_addc_co_u32_e64 v115, s[34:35], v178, v17, s[34:35]
	; wave barrier
	flat_load_dword v145, v[114:115]
	v_and_b32_e32 v15, 1, v19
	v_add_co_u32_e64 v16, s[34:35], -1, v15
	v_addc_co_u32_e64 v17, s[34:35], 0, -1, s[34:35]
	v_cmp_ne_u32_e64 s[34:35], 0, v15
	v_xor_b32_e32 v15, s35, v17
	v_and_b32_e32 v17, exec_hi, v15
	v_lshlrev_b32_e32 v15, 30, v19
	v_xor_b32_e32 v16, s34, v16
	v_cmp_gt_i64_e64 s[34:35], 0, v[14:15]
	v_not_b32_e32 v15, v15
	v_ashrrev_i32_e32 v15, 31, v15
	v_and_b32_e32 v16, exec_lo, v16
	v_xor_b32_e32 v116, s35, v15
	v_xor_b32_e32 v15, s34, v15
	v_and_b32_e32 v16, v16, v15
	v_lshlrev_b32_e32 v15, 29, v19
	v_cmp_gt_i64_e64 s[34:35], 0, v[14:15]
	v_not_b32_e32 v15, v15
	v_ashrrev_i32_e32 v15, 31, v15
	v_and_b32_e32 v17, v17, v116
	v_xor_b32_e32 v116, s35, v15
	v_xor_b32_e32 v15, s34, v15
	v_and_b32_e32 v16, v16, v15
	v_lshlrev_b32_e32 v15, 28, v19
	v_cmp_gt_i64_e64 s[34:35], 0, v[14:15]
	v_not_b32_e32 v15, v15
	v_ashrrev_i32_e32 v15, 31, v15
	v_and_b32_e32 v17, v17, v116
	;; [unrolled: 8-line block ×5, first 2 shown]
	v_xor_b32_e32 v116, s35, v15
	v_xor_b32_e32 v15, s34, v15
	v_and_b32_e32 v16, v16, v15
	v_lshlrev_b32_e32 v15, 24, v19
	v_cmp_gt_i64_e64 s[34:35], 0, v[14:15]
	v_not_b32_e32 v15, v15
	v_ashrrev_i32_e32 v15, 31, v15
	v_xor_b32_e32 v19, s35, v15
	v_xor_b32_e32 v15, s34, v15
	v_and_b32_e32 v17, v17, v116
	v_and_b32_e32 v16, v16, v15
	;; [unrolled: 1-line block ×3, first 2 shown]
	v_mbcnt_lo_u32_b32 v15, v16, 0
	v_mbcnt_hi_u32_b32 v146, v17, v15
	v_cmp_eq_u32_e64 s[34:35], 0, v146
	v_cmp_ne_u64_e64 s[36:37], 0, v[16:17]
	s_and_b64 s[36:37], s[36:37], s[34:35]
	; wave barrier
	s_and_saveexec_b64 s[34:35], s[36:37]
	s_cbranch_execz .LBB1118_186
; %bb.185:                              ;   in Loop: Header=BB1118_172 Depth=1
	v_bcnt_u32_b32 v15, v16, 0
	v_bcnt_u32_b32 v15, v17, v15
	s_waitcnt vmcnt(0) lgkmcnt(0)
	v_add_u32_e32 v15, v145, v15
	flat_store_dword v[114:115], v15
.LBB1118_186:                           ;   in Loop: Header=BB1118_172 Depth=1
	s_or_b64 exec, exec, s[34:35]
	v_cmp_ne_u64_e64 s[34:35], s[44:45], v[54:55]
	v_cndmask_b32_e64 v17, v1, v55, s[34:35]
	v_cndmask_b32_e64 v16, -1, v54, s[34:35]
	v_lshrrev_b64 v[16:17], v10, v[16:17]
	v_and_b32_e32 v18, v16, v18
	v_lshl_add_u32 v16, v18, 2, v179
	v_mov_b32_e32 v17, v14
	v_lshlrev_b64 v[16:17], 2, v[16:17]
	v_add_co_u32_e64 v116, s[34:35], v23, v16
	v_addc_co_u32_e64 v117, s[34:35], v178, v17, s[34:35]
	; wave barrier
	flat_load_dword v147, v[116:117]
	v_and_b32_e32 v15, 1, v18
	v_add_co_u32_e64 v16, s[34:35], -1, v15
	v_addc_co_u32_e64 v17, s[34:35], 0, -1, s[34:35]
	v_cmp_ne_u32_e64 s[34:35], 0, v15
	v_xor_b32_e32 v15, s35, v17
	v_and_b32_e32 v17, exec_hi, v15
	v_lshlrev_b32_e32 v15, 30, v18
	v_xor_b32_e32 v16, s34, v16
	v_cmp_gt_i64_e64 s[34:35], 0, v[14:15]
	v_not_b32_e32 v15, v15
	v_ashrrev_i32_e32 v15, 31, v15
	v_and_b32_e32 v16, exec_lo, v16
	v_xor_b32_e32 v19, s35, v15
	v_xor_b32_e32 v15, s34, v15
	v_and_b32_e32 v16, v16, v15
	v_lshlrev_b32_e32 v15, 29, v18
	v_cmp_gt_i64_e64 s[34:35], 0, v[14:15]
	v_not_b32_e32 v15, v15
	v_ashrrev_i32_e32 v15, 31, v15
	v_and_b32_e32 v17, v17, v19
	v_xor_b32_e32 v19, s35, v15
	v_xor_b32_e32 v15, s34, v15
	v_and_b32_e32 v16, v16, v15
	v_lshlrev_b32_e32 v15, 28, v18
	v_cmp_gt_i64_e64 s[34:35], 0, v[14:15]
	v_not_b32_e32 v15, v15
	v_ashrrev_i32_e32 v15, 31, v15
	v_and_b32_e32 v17, v17, v19
	v_xor_b32_e32 v19, s35, v15
	v_xor_b32_e32 v15, s34, v15
	v_and_b32_e32 v16, v16, v15
	v_lshlrev_b32_e32 v15, 27, v18
	v_cmp_gt_i64_e64 s[34:35], 0, v[14:15]
	v_not_b32_e32 v15, v15
	v_ashrrev_i32_e32 v15, 31, v15
	v_and_b32_e32 v17, v17, v19
	v_xor_b32_e32 v19, s35, v15
	v_xor_b32_e32 v15, s34, v15
	v_and_b32_e32 v16, v16, v15
	v_lshlrev_b32_e32 v15, 26, v18
	v_cmp_gt_i64_e64 s[34:35], 0, v[14:15]
	v_not_b32_e32 v15, v15
	v_ashrrev_i32_e32 v15, 31, v15
	v_and_b32_e32 v17, v17, v19
	v_xor_b32_e32 v19, s35, v15
	v_xor_b32_e32 v15, s34, v15
	v_and_b32_e32 v16, v16, v15
	v_lshlrev_b32_e32 v15, 25, v18
	v_cmp_gt_i64_e64 s[34:35], 0, v[14:15]
	v_not_b32_e32 v15, v15
	v_ashrrev_i32_e32 v15, 31, v15
	v_and_b32_e32 v17, v17, v19
	v_xor_b32_e32 v19, s35, v15
	v_xor_b32_e32 v15, s34, v15
	v_and_b32_e32 v16, v16, v15
	v_lshlrev_b32_e32 v15, 24, v18
	v_cmp_gt_i64_e64 s[34:35], 0, v[14:15]
	v_not_b32_e32 v15, v15
	v_ashrrev_i32_e32 v15, 31, v15
	v_xor_b32_e32 v18, s35, v15
	v_xor_b32_e32 v15, s34, v15
	v_and_b32_e32 v17, v17, v19
	v_and_b32_e32 v16, v16, v15
	;; [unrolled: 1-line block ×3, first 2 shown]
	v_mbcnt_lo_u32_b32 v15, v16, 0
	v_mbcnt_hi_u32_b32 v15, v17, v15
	v_cmp_eq_u32_e64 s[34:35], 0, v15
	v_cmp_ne_u64_e64 s[36:37], 0, v[16:17]
	s_and_b64 s[36:37], s[36:37], s[34:35]
	; wave barrier
	s_and_saveexec_b64 s[34:35], s[36:37]
	s_cbranch_execz .LBB1118_188
; %bb.187:                              ;   in Loop: Header=BB1118_172 Depth=1
	v_bcnt_u32_b32 v16, v16, 0
	v_bcnt_u32_b32 v16, v17, v16
	s_waitcnt vmcnt(0) lgkmcnt(0)
	v_add_u32_e32 v16, v147, v16
	flat_store_dword v[116:117], v16
.LBB1118_188:                           ;   in Loop: Header=BB1118_172 Depth=1
	s_or_b64 exec, exec, s[34:35]
	; wave barrier
	s_waitcnt lgkmcnt(0)
	s_barrier
	flat_load_dwordx4 v[16:19], v[4:5] offset:16
	s_waitcnt vmcnt(0) lgkmcnt(0)
	v_add_u32_e32 v148, v17, v16
	v_add3_u32 v19, v148, v18, v19
	s_nop 1
	v_mov_b32_dpp v148, v19 row_shr:1 row_mask:0xf bank_mask:0xf
	v_cndmask_b32_e64 v148, v148, 0, vcc
	v_add_u32_e32 v19, v148, v19
	s_nop 1
	v_mov_b32_dpp v148, v19 row_shr:2 row_mask:0xf bank_mask:0xf
	v_cndmask_b32_e64 v148, 0, v148, s[4:5]
	v_add_u32_e32 v19, v19, v148
	s_nop 1
	v_mov_b32_dpp v148, v19 row_shr:4 row_mask:0xf bank_mask:0xf
	v_cndmask_b32_e64 v148, 0, v148, s[6:7]
	;; [unrolled: 4-line block ×3, first 2 shown]
	v_add_u32_e32 v19, v19, v148
	s_nop 1
	v_mov_b32_dpp v148, v19 row_bcast:15 row_mask:0xf bank_mask:0xf
	v_cndmask_b32_e64 v148, v148, 0, s[30:31]
	v_add_u32_e32 v19, v19, v148
	s_nop 1
	v_mov_b32_dpp v148, v19 row_bcast:31 row_mask:0xf bank_mask:0xf
	v_cndmask_b32_e64 v148, 0, v148, s[14:15]
	v_add_u32_e32 v19, v19, v148
	s_and_saveexec_b64 s[34:35], s[16:17]
	s_cbranch_execz .LBB1118_190
; %bb.189:                              ;   in Loop: Header=BB1118_172 Depth=1
	flat_store_dword v[38:39], v19
.LBB1118_190:                           ;   in Loop: Header=BB1118_172 Depth=1
	s_or_b64 exec, exec, s[34:35]
	s_waitcnt lgkmcnt(0)
	s_barrier
	s_and_saveexec_b64 s[34:35], s[18:19]
	s_cbranch_execz .LBB1118_192
; %bb.191:                              ;   in Loop: Header=BB1118_172 Depth=1
	flat_load_dword v148, v[48:49]
	s_waitcnt vmcnt(0) lgkmcnt(0)
	s_nop 0
	v_mov_b32_dpp v149, v148 row_shr:1 row_mask:0xf bank_mask:0xf
	v_cndmask_b32_e64 v149, v149, 0, s[26:27]
	v_add_u32_e32 v148, v149, v148
	s_nop 1
	v_mov_b32_dpp v149, v148 row_shr:2 row_mask:0xf bank_mask:0xf
	v_cndmask_b32_e64 v149, 0, v149, s[28:29]
	v_add_u32_e32 v148, v148, v149
	flat_store_dword v[48:49], v148
.LBB1118_192:                           ;   in Loop: Header=BB1118_172 Depth=1
	s_or_b64 exec, exec, s[34:35]
	v_mov_b32_e32 v148, 0
	s_waitcnt lgkmcnt(0)
	s_barrier
	s_and_saveexec_b64 s[34:35], s[20:21]
	s_cbranch_execz .LBB1118_194
; %bb.193:                              ;   in Loop: Header=BB1118_172 Depth=1
	flat_load_dword v148, v[50:51]
.LBB1118_194:                           ;   in Loop: Header=BB1118_172 Depth=1
	s_or_b64 exec, exec, s[34:35]
	s_waitcnt vmcnt(0) lgkmcnt(0)
	v_add_u32_e32 v19, v148, v19
	ds_bpermute_b32 v19, v180, v19
	v_add_u32_e32 v10, 8, v10
	v_cmp_lt_u32_e64 s[34:35], v10, v11
	s_mov_b64 s[46:47], -1
                                        ; implicit-def: $vgpr176_vgpr177
	s_waitcnt lgkmcnt(0)
	v_cndmask_b32_e64 v19, v19, v148, s[22:23]
	v_cndmask_b32_e64 v148, v19, 0, s[24:25]
	v_add_u32_e32 v149, v148, v16
	v_add_u32_e32 v150, v149, v17
	;; [unrolled: 1-line block ×3, first 2 shown]
	flat_store_dwordx4 v[4:5], v[148:151] offset:16
	s_waitcnt lgkmcnt(0)
	s_barrier
	flat_load_dword v16, v[86:87]
	flat_load_dword v18, v[96:97]
	;; [unrolled: 1-line block ×8, first 2 shown]
	v_mov_b32_e32 v17, v14
	v_mov_b32_e32 v19, v14
	;; [unrolled: 1-line block ×8, first 2 shown]
	s_waitcnt lgkmcnt(0)
                                        ; implicit-def: $vgpr114_vgpr115
                                        ; implicit-def: $vgpr116_vgpr117
	s_waitcnt vmcnt(0) lgkmcnt(0)
	v_add_u32_e32 v16, v16, v118
	v_lshlrev_b64 v[16:17], 3, v[16:17]
	v_add3_u32 v18, v128, v119, v18
	v_lshlrev_b64 v[18:19], 3, v[18:19]
	v_add3_u32 v86, v130, v129, v148
	v_add3_u32 v100, v144, v135, v151
	v_add_co_u32_e64 v144, s[36:37], v12, v16
	v_add3_u32 v102, v146, v145, v160
	v_addc_co_u32_e64 v145, s[36:37], v13, v17, s[36:37]
	v_add_co_u32_e64 v146, s[36:37], v12, v18
	v_add3_u32 v112, v15, v147, v161
	v_lshlrev_b64 v[86:87], 3, v[86:87]
	v_addc_co_u32_e64 v147, s[36:37], v13, v19, s[36:37]
	v_add3_u32 v96, v132, v131, v149
	v_add_co_u32_e64 v148, s[36:37], v12, v86
	v_lshlrev_b64 v[96:97], 3, v[96:97]
	v_addc_co_u32_e64 v149, s[36:37], v13, v87, s[36:37]
	v_add3_u32 v98, v134, v133, v150
	v_add_co_u32_e64 v150, s[36:37], v12, v96
	v_lshlrev_b64 v[98:99], 3, v[98:99]
	v_addc_co_u32_e64 v151, s[36:37], v13, v97, s[36:37]
	v_add_co_u32_e64 v160, s[36:37], v12, v98
	v_lshlrev_b64 v[100:101], 3, v[100:101]
	v_addc_co_u32_e64 v161, s[36:37], v13, v99, s[36:37]
	v_add_co_u32_e64 v162, s[36:37], v12, v100
	v_lshlrev_b64 v[102:103], 3, v[102:103]
	v_addc_co_u32_e64 v163, s[36:37], v13, v101, s[36:37]
	v_add_co_u32_e64 v164, s[36:37], v12, v102
	v_lshlrev_b64 v[112:113], 3, v[112:113]
	v_addc_co_u32_e64 v165, s[36:37], v13, v103, s[36:37]
	v_add_co_u32_e64 v166, s[36:37], v12, v112
	v_addc_co_u32_e64 v167, s[36:37], v13, v113, s[36:37]
                                        ; implicit-def: $vgpr16_vgpr17
                                        ; implicit-def: $vgpr18_vgpr19
                                        ; implicit-def: $vgpr86_vgpr87
                                        ; implicit-def: $vgpr96_vgpr97
                                        ; implicit-def: $vgpr98_vgpr99
                                        ; implicit-def: $vgpr100_vgpr101
                                        ; implicit-def: $vgpr102_vgpr103
                                        ; implicit-def: $vgpr112_vgpr113
                                        ; implicit-def: $vgpr118_vgpr119
                                        ; implicit-def: $vgpr128_vgpr129
                                        ; implicit-def: $vgpr130_vgpr131
                                        ; implicit-def: $vgpr132_vgpr133
                                        ; implicit-def: $vgpr134_vgpr135
	s_and_saveexec_b64 s[36:37], s[34:35]
	s_cbranch_execz .LBB1118_171
; %bb.195:                              ;   in Loop: Header=BB1118_172 Depth=1
	s_barrier
	flat_store_dwordx2 v[144:145], v[84:85]
	flat_store_dwordx2 v[146:147], v[82:83]
	;; [unrolled: 1-line block ×8, first 2 shown]
	s_waitcnt lgkmcnt(0)
	s_barrier
	flat_load_dwordx2 v[112:113], v[52:53]
	flat_load_dwordx2 v[116:117], v[52:53] offset:512
	flat_load_dwordx2 v[118:119], v[52:53] offset:1024
	;; [unrolled: 1-line block ×7, first 2 shown]
	s_waitcnt lgkmcnt(0)
	s_barrier
	flat_store_dwordx2 v[144:145], v[36:37]
	flat_store_dwordx2 v[146:147], v[34:35]
	;; [unrolled: 1-line block ×8, first 2 shown]
	s_waitcnt lgkmcnt(0)
	s_barrier
	flat_load_dwordx2 v[16:17], v[52:53]
	flat_load_dwordx2 v[18:19], v[52:53] offset:512
	flat_load_dwordx2 v[86:87], v[52:53] offset:1024
	;; [unrolled: 1-line block ×7, first 2 shown]
	v_add_u32_e32 v181, -8, v181
	s_xor_b64 s[46:47], exec, -1
	s_waitcnt lgkmcnt(0)
	s_barrier
	s_branch .LBB1118_171
.LBB1118_196:
	flat_load_dwordx2 v[16:17], v[4:5]
	s_or_b64 exec, exec, vcc
                                        ; implicit-def: $vgpr18_vgpr19
	s_and_saveexec_b64 s[4:5], s[6:7]
	s_cbranch_execz .LBB1118_36
.LBB1118_197:
	flat_load_dwordx2 v[18:19], v[4:5] offset:512
	s_or_b64 exec, exec, s[4:5]
                                        ; implicit-def: $vgpr182_vgpr183
	s_and_saveexec_b64 s[4:5], s[10:11]
	s_cbranch_execz .LBB1118_37
.LBB1118_198:
	flat_load_dwordx2 v[182:183], v[4:5] offset:1024
	s_or_b64 exec, exec, s[4:5]
                                        ; implicit-def: $vgpr192_vgpr193
	s_and_saveexec_b64 s[4:5], s[40:41]
	s_cbranch_execz .LBB1118_38
.LBB1118_199:
	flat_load_dwordx2 v[192:193], v[4:5] offset:1536
	s_or_b64 exec, exec, s[4:5]
                                        ; implicit-def: $vgpr194_vgpr195
	s_and_saveexec_b64 s[4:5], s[14:15]
	s_cbranch_execz .LBB1118_39
.LBB1118_200:
	flat_load_dwordx2 v[194:195], v[4:5] offset:2048
	s_or_b64 exec, exec, s[4:5]
                                        ; implicit-def: $vgpr196_vgpr197
	s_and_saveexec_b64 s[4:5], s[16:17]
	s_cbranch_execz .LBB1118_40
.LBB1118_201:
	flat_load_dwordx2 v[196:197], v[4:5] offset:2560
	s_or_b64 exec, exec, s[4:5]
                                        ; implicit-def: $vgpr198_vgpr199
	s_and_saveexec_b64 s[4:5], s[18:19]
	s_cbranch_execz .LBB1118_41
.LBB1118_202:
	flat_load_dwordx2 v[198:199], v[4:5] offset:3072
	s_or_b64 exec, exec, s[4:5]
                                        ; implicit-def: $vgpr208_vgpr209
	s_and_saveexec_b64 s[4:5], s[20:21]
	s_cbranch_execz .LBB1118_42
.LBB1118_203:
	flat_load_dwordx2 v[208:209], v[4:5] offset:3584
	s_or_b64 exec, exec, s[4:5]
                                        ; implicit-def: $vgpr210_vgpr211
	s_and_saveexec_b64 s[4:5], s[22:23]
	s_cbranch_execz .LBB1118_43
.LBB1118_204:
	v_add_co_u32_e32 v70, vcc, 0x1000, v4
	v_addc_co_u32_e32 v71, vcc, 0, v5, vcc
	flat_load_dwordx2 v[210:211], v[70:71]
	s_or_b64 exec, exec, s[4:5]
                                        ; implicit-def: $vgpr212_vgpr213
	s_and_saveexec_b64 s[4:5], s[24:25]
	s_cbranch_execz .LBB1118_44
.LBB1118_205:
	v_add_co_u32_e32 v70, vcc, 0x1000, v4
	v_addc_co_u32_e32 v71, vcc, 0, v5, vcc
	flat_load_dwordx2 v[212:213], v[70:71] offset:512
	s_or_b64 exec, exec, s[4:5]
                                        ; implicit-def: $vgpr214_vgpr215
	s_and_saveexec_b64 s[4:5], s[26:27]
	s_cbranch_execz .LBB1118_45
.LBB1118_206:
	v_add_co_u32_e32 v70, vcc, 0x1000, v4
	v_addc_co_u32_e32 v71, vcc, 0, v5, vcc
	flat_load_dwordx2 v[214:215], v[70:71] offset:1024
	s_or_b64 exec, exec, s[4:5]
                                        ; implicit-def: $vgpr224_vgpr225
	s_and_saveexec_b64 s[4:5], s[28:29]
	s_cbranch_execz .LBB1118_46
.LBB1118_207:
	v_add_co_u32_e32 v70, vcc, 0x1000, v4
	v_addc_co_u32_e32 v71, vcc, 0, v5, vcc
	flat_load_dwordx2 v[224:225], v[70:71] offset:1536
	s_or_b64 exec, exec, s[4:5]
                                        ; implicit-def: $vgpr226_vgpr227
	s_and_saveexec_b64 s[4:5], s[30:31]
	s_cbranch_execz .LBB1118_47
.LBB1118_208:
	v_add_co_u32_e32 v70, vcc, 0x1000, v4
	v_addc_co_u32_e32 v71, vcc, 0, v5, vcc
	flat_load_dwordx2 v[226:227], v[70:71] offset:2048
	s_or_b64 exec, exec, s[4:5]
                                        ; implicit-def: $vgpr228_vgpr229
	s_and_saveexec_b64 s[4:5], s[34:35]
	s_cbranch_execz .LBB1118_48
.LBB1118_209:
	v_add_co_u32_e32 v70, vcc, 0x1000, v4
	v_addc_co_u32_e32 v71, vcc, 0, v5, vcc
	flat_load_dwordx2 v[228:229], v[70:71] offset:2560
	s_or_b64 exec, exec, s[4:5]
                                        ; implicit-def: $vgpr242_vgpr243
	s_and_saveexec_b64 s[4:5], s[36:37]
	s_cbranch_execz .LBB1118_49
.LBB1118_210:
	v_add_co_u32_e32 v70, vcc, 0x1000, v4
	v_addc_co_u32_e32 v71, vcc, 0, v5, vcc
	flat_load_dwordx2 v[242:243], v[70:71] offset:3072
	s_or_b64 exec, exec, s[4:5]
                                        ; implicit-def: $agpr0_agpr1
	s_and_saveexec_b64 s[4:5], s[38:39]
	s_cbranch_execnz .LBB1118_50
	s_branch .LBB1118_51
.LBB1118_211:
	flat_store_dwordx2 v[0:1], v[38:39]
	s_or_b64 exec, exec, vcc
	s_and_saveexec_b64 s[4:5], s[6:7]
	s_cbranch_execz .LBB1118_127
.LBB1118_212:
	flat_store_dwordx2 v[0:1], v[36:37] offset:2048
	s_or_b64 exec, exec, s[4:5]
	s_and_saveexec_b64 s[4:5], s[10:11]
	s_cbranch_execz .LBB1118_128
.LBB1118_213:
	v_add_co_u32_e32 v2, vcc, 0x1000, v0
	v_addc_co_u32_e32 v3, vcc, 0, v1, vcc
	flat_store_dwordx2 v[2:3], v[34:35]
	s_or_b64 exec, exec, s[4:5]
	s_and_saveexec_b64 s[4:5], s[40:41]
	s_cbranch_execz .LBB1118_129
.LBB1118_214:
	v_add_co_u32_e32 v2, vcc, 0x1000, v0
	v_addc_co_u32_e32 v3, vcc, 0, v1, vcc
	flat_store_dwordx2 v[2:3], v[32:33] offset:2048
	s_or_b64 exec, exec, s[4:5]
	s_and_saveexec_b64 s[4:5], s[14:15]
	s_cbranch_execz .LBB1118_130
.LBB1118_215:
	v_add_co_u32_e32 v2, vcc, 0x2000, v0
	v_addc_co_u32_e32 v3, vcc, 0, v1, vcc
	flat_store_dwordx2 v[2:3], v[30:31]
	s_or_b64 exec, exec, s[4:5]
	s_and_saveexec_b64 s[4:5], s[16:17]
	s_cbranch_execz .LBB1118_131
.LBB1118_216:
	v_add_co_u32_e32 v2, vcc, 0x2000, v0
	v_addc_co_u32_e32 v3, vcc, 0, v1, vcc
	flat_store_dwordx2 v[2:3], v[28:29] offset:2048
	s_or_b64 exec, exec, s[4:5]
	s_and_saveexec_b64 s[4:5], s[18:19]
	s_cbranch_execz .LBB1118_132
.LBB1118_217:
	v_add_co_u32_e32 v2, vcc, 0x3000, v0
	v_addc_co_u32_e32 v3, vcc, 0, v1, vcc
	flat_store_dwordx2 v[2:3], v[26:27]
	s_or_b64 exec, exec, s[4:5]
	s_and_saveexec_b64 s[4:5], s[20:21]
	s_cbranch_execz .LBB1118_133
.LBB1118_218:
	v_add_co_u32_e32 v2, vcc, 0x3000, v0
	v_addc_co_u32_e32 v3, vcc, 0, v1, vcc
	flat_store_dwordx2 v[2:3], v[24:25] offset:2048
	s_or_b64 exec, exec, s[4:5]
	s_and_saveexec_b64 s[4:5], s[22:23]
	s_cbranch_execz .LBB1118_134
.LBB1118_219:
	v_add_co_u32_e32 v2, vcc, 0x4000, v0
	v_addc_co_u32_e32 v3, vcc, 0, v1, vcc
	flat_store_dwordx2 v[2:3], v[22:23]
	s_or_b64 exec, exec, s[4:5]
	s_and_saveexec_b64 s[4:5], s[24:25]
	s_cbranch_execz .LBB1118_135
.LBB1118_220:
	v_add_co_u32_e32 v2, vcc, 0x4000, v0
	v_addc_co_u32_e32 v3, vcc, 0, v1, vcc
	s_waitcnt vmcnt(0)
	flat_store_dwordx2 v[2:3], v[18:19] offset:2048
	s_or_b64 exec, exec, s[4:5]
	s_and_saveexec_b64 s[4:5], s[26:27]
	s_cbranch_execz .LBB1118_136
.LBB1118_221:
	v_add_co_u32_e32 v2, vcc, 0x5000, v0
	v_addc_co_u32_e32 v3, vcc, 0, v1, vcc
	s_waitcnt vmcnt(0)
	flat_store_dwordx2 v[2:3], v[16:17]
	s_or_b64 exec, exec, s[4:5]
	s_and_saveexec_b64 s[4:5], s[28:29]
	s_cbranch_execz .LBB1118_137
.LBB1118_222:
	v_add_co_u32_e32 v2, vcc, 0x5000, v0
	v_addc_co_u32_e32 v3, vcc, 0, v1, vcc
	s_waitcnt vmcnt(0)
	flat_store_dwordx2 v[2:3], v[14:15] offset:2048
	s_or_b64 exec, exec, s[4:5]
	s_and_saveexec_b64 s[4:5], s[30:31]
	s_cbranch_execz .LBB1118_138
.LBB1118_223:
	v_add_co_u32_e32 v2, vcc, 0x6000, v0
	v_addc_co_u32_e32 v3, vcc, 0, v1, vcc
	s_waitcnt vmcnt(0)
	flat_store_dwordx2 v[2:3], v[12:13]
	s_or_b64 exec, exec, s[4:5]
	s_and_saveexec_b64 s[4:5], s[34:35]
	s_cbranch_execz .LBB1118_139
.LBB1118_224:
	v_add_co_u32_e32 v2, vcc, 0x6000, v0
	v_addc_co_u32_e32 v3, vcc, 0, v1, vcc
	s_waitcnt vmcnt(0)
	flat_store_dwordx2 v[2:3], v[10:11] offset:2048
	s_or_b64 exec, exec, s[4:5]
	s_and_saveexec_b64 s[4:5], s[36:37]
	s_cbranch_execz .LBB1118_140
.LBB1118_225:
	v_add_co_u32_e32 v2, vcc, 0x7000, v0
	v_addc_co_u32_e32 v3, vcc, 0, v1, vcc
	s_waitcnt vmcnt(0)
	flat_store_dwordx2 v[2:3], v[8:9]
	s_or_b64 exec, exec, s[4:5]
	s_and_saveexec_b64 s[4:5], s[38:39]
	s_cbranch_execnz .LBB1118_141
	s_branch .LBB1118_142
.LBB1118_226:
	s_or_b64 exec, exec, s[40:41]
	v_lshlrev_b32_e32 v1, 3, v22
	s_barrier
	flat_store_dwordx2 v[144:145], v[84:85]
	flat_store_dwordx2 v[146:147], v[82:83]
	;; [unrolled: 1-line block ×8, first 2 shown]
	v_add_co_u32_e32 v70, vcc, v12, v1
	v_addc_co_u32_e32 v71, vcc, 0, v13, vcc
	s_movk_i32 s4, 0x1000
	v_add_co_u32_e32 v80, vcc, s4, v70
	v_mov_b32_e32 v1, 0x2000
	v_addc_co_u32_e32 v81, vcc, 0, v71, vcc
	v_lshl_or_b32 v1, v22, 3, v1
	v_add_co_u32_e32 v82, vcc, v12, v1
	s_movk_i32 s4, 0x2000
	v_addc_co_u32_e32 v83, vcc, 0, v13, vcc
	v_add_co_u32_e32 v84, vcc, s4, v70
	v_addc_co_u32_e32 v85, vcc, 0, v71, vcc
	s_movk_i32 s4, 0x3000
	s_waitcnt vmcnt(0)
	v_add_co_u32_e32 v86, vcc, s4, v70
	s_waitcnt lgkmcnt(0)
	s_barrier
	flat_load_dwordx2 v[68:69], v[70:71]
	flat_load_dwordx2 v[66:67], v[70:71] offset:2048
	flat_load_dwordx2 v[64:65], v[80:81]
	flat_load_dwordx2 v[54:55], v[80:81] offset:2048
	v_addc_co_u32_e32 v87, vcc, 0, v71, vcc
	flat_load_dwordx2 v[52:53], v[82:83]
	flat_load_dwordx2 v[50:51], v[84:85] offset:2048
	flat_load_dwordx2 v[48:49], v[86:87]
	flat_load_dwordx2 v[38:39], v[86:87] offset:2048
	s_waitcnt lgkmcnt(0)
	s_barrier
	flat_store_dwordx2 v[144:145], v[36:37]
	flat_store_dwordx2 v[146:147], v[34:35]
	flat_store_dwordx2 v[148:149], v[32:33]
	flat_store_dwordx2 v[150:151], v[30:31]
	flat_store_dwordx2 v[160:161], v[28:29]
	flat_store_dwordx2 v[162:163], v[26:27]
	flat_store_dwordx2 v[164:165], v[24:25]
	flat_store_dwordx2 v[166:167], v[8:9]
	s_waitcnt lgkmcnt(0)
	s_barrier
	flat_load_dwordx2 v[22:23], v[70:71]
	flat_load_dwordx2 v[18:19], v[70:71] offset:2048
	flat_load_dwordx2 v[16:17], v[80:81]
	flat_load_dwordx2 v[14:15], v[80:81] offset:2048
	flat_load_dwordx2 v[12:13], v[82:83]
	flat_load_dwordx2 v[10:11], v[84:85] offset:2048
	flat_load_dwordx2 v[8:9], v[86:87]
	flat_load_dwordx2 v[4:5], v[86:87] offset:2048
	v_mov_b32_e32 v1, 0
	v_add_co_u32_e32 v24, vcc, v2, v20
	v_addc_co_u32_e32 v25, vcc, v3, v21, vcc
	v_lshlrev_b64 v[2:3], 3, v[0:1]
	v_add_co_u32_e32 v24, vcc, v24, v2
	v_addc_co_u32_e32 v25, vcc, v25, v3, vcc
	v_cmp_lt_u32_e64 s[4:5], v0, v152
	s_waitcnt lgkmcnt(0)
	s_barrier
	s_and_saveexec_b64 s[6:7], s[4:5]
	s_cbranch_execz .LBB1118_228
; %bb.227:
	v_bfrev_b32_e32 v1, -2
	s_waitcnt vmcnt(0)
	v_cmp_gt_i64_e32 vcc, 0, v[68:69]
	v_ashrrev_i32_e32 v26, 31, v69
	v_cndmask_b32_e64 v1, v1, 0, vcc
	v_not_b32_e32 v26, v26
	v_xor_b32_e32 v27, v1, v69
	v_xor_b32_e32 v26, v26, v68
	flat_store_dwordx2 v[24:25], v[26:27]
.LBB1118_228:
	s_or_b64 exec, exec, s[6:7]
	v_add_u32_e32 v1, 0x100, v0
	v_cmp_lt_u32_e64 s[6:7], v1, v152
	s_and_saveexec_b64 s[10:11], s[6:7]
	s_cbranch_execz .LBB1118_230
; %bb.229:
	v_bfrev_b32_e32 v1, -2
	s_waitcnt vmcnt(0)
	v_cmp_gt_i64_e32 vcc, 0, v[66:67]
	v_ashrrev_i32_e32 v26, 31, v67
	v_cndmask_b32_e64 v1, v1, 0, vcc
	v_not_b32_e32 v26, v26
	v_xor_b32_e32 v27, v1, v67
	v_xor_b32_e32 v26, v26, v66
	flat_store_dwordx2 v[24:25], v[26:27] offset:2048
.LBB1118_230:
	s_or_b64 exec, exec, s[10:11]
	v_add_u32_e32 v1, 0x200, v0
	v_cmp_lt_u32_e64 s[10:11], v1, v152
	s_and_saveexec_b64 s[14:15], s[10:11]
	s_cbranch_execz .LBB1118_232
; %bb.231:
	v_bfrev_b32_e32 v1, -2
	s_waitcnt vmcnt(0)
	v_cmp_gt_i64_e32 vcc, 0, v[64:65]
	v_ashrrev_i32_e32 v26, 31, v65
	v_cndmask_b32_e64 v1, v1, 0, vcc
	v_not_b32_e32 v26, v26
	v_add_co_u32_e32 v28, vcc, 0x1000, v24
	v_xor_b32_e32 v27, v1, v65
	v_xor_b32_e32 v26, v26, v64
	v_addc_co_u32_e32 v29, vcc, 0, v25, vcc
	flat_store_dwordx2 v[28:29], v[26:27]
.LBB1118_232:
	s_or_b64 exec, exec, s[14:15]
	v_add_u32_e32 v1, 0x300, v0
	v_cmp_lt_u32_e64 s[22:23], v1, v152
	s_and_saveexec_b64 s[14:15], s[22:23]
	s_cbranch_execz .LBB1118_234
; %bb.233:
	v_bfrev_b32_e32 v1, -2
	s_waitcnt vmcnt(0)
	v_cmp_gt_i64_e32 vcc, 0, v[54:55]
	v_ashrrev_i32_e32 v26, 31, v55
	v_cndmask_b32_e64 v1, v1, 0, vcc
	v_not_b32_e32 v26, v26
	v_add_co_u32_e32 v28, vcc, 0x1000, v24
	v_xor_b32_e32 v27, v1, v55
	v_xor_b32_e32 v26, v26, v54
	v_addc_co_u32_e32 v29, vcc, 0, v25, vcc
	flat_store_dwordx2 v[28:29], v[26:27] offset:2048
.LBB1118_234:
	s_or_b64 exec, exec, s[14:15]
	v_add_u32_e32 v1, 0x400, v0
	v_cmp_lt_u32_e64 s[14:15], v1, v152
	s_and_saveexec_b64 s[16:17], s[14:15]
	s_cbranch_execz .LBB1118_236
; %bb.235:
	v_bfrev_b32_e32 v1, -2
	s_waitcnt vmcnt(0)
	v_cmp_gt_i64_e32 vcc, 0, v[52:53]
	v_ashrrev_i32_e32 v26, 31, v53
	v_cndmask_b32_e64 v1, v1, 0, vcc
	v_not_b32_e32 v26, v26
	v_add_co_u32_e32 v28, vcc, 0x2000, v24
	v_xor_b32_e32 v27, v1, v53
	v_xor_b32_e32 v26, v26, v52
	v_addc_co_u32_e32 v29, vcc, 0, v25, vcc
	flat_store_dwordx2 v[28:29], v[26:27]
.LBB1118_236:
	s_or_b64 exec, exec, s[16:17]
	v_add_u32_e32 v1, 0x500, v0
	v_cmp_lt_u32_e64 s[16:17], v1, v152
	s_and_saveexec_b64 s[18:19], s[16:17]
	s_cbranch_execz .LBB1118_238
; %bb.237:
	v_bfrev_b32_e32 v1, -2
	s_waitcnt vmcnt(0)
	v_cmp_gt_i64_e32 vcc, 0, v[50:51]
	v_ashrrev_i32_e32 v26, 31, v51
	v_cndmask_b32_e64 v1, v1, 0, vcc
	v_not_b32_e32 v26, v26
	v_add_co_u32_e32 v28, vcc, 0x2000, v24
	v_xor_b32_e32 v27, v1, v51
	v_xor_b32_e32 v26, v26, v50
	v_addc_co_u32_e32 v29, vcc, 0, v25, vcc
	flat_store_dwordx2 v[28:29], v[26:27] offset:2048
.LBB1118_238:
	;; [unrolled: 36-line block ×3, first 2 shown]
	s_or_b64 exec, exec, s[24:25]
	v_add_co_u32_e32 v0, vcc, v6, v20
	v_addc_co_u32_e32 v1, vcc, v7, v21, vcc
	v_add_co_u32_e32 v0, vcc, v0, v2
	v_addc_co_u32_e32 v1, vcc, v1, v3, vcc
	s_and_saveexec_b64 s[24:25], s[4:5]
	s_cbranch_execnz .LBB1118_292
; %bb.243:
	s_or_b64 exec, exec, s[24:25]
	s_and_saveexec_b64 s[4:5], s[6:7]
	s_cbranch_execnz .LBB1118_293
.LBB1118_244:
	s_or_b64 exec, exec, s[4:5]
	s_and_saveexec_b64 s[4:5], s[10:11]
	s_cbranch_execnz .LBB1118_294
.LBB1118_245:
	s_or_b64 exec, exec, s[4:5]
	s_and_saveexec_b64 s[4:5], s[22:23]
	s_cbranch_execnz .LBB1118_295
.LBB1118_246:
	s_or_b64 exec, exec, s[4:5]
	s_and_saveexec_b64 s[4:5], s[14:15]
	s_cbranch_execnz .LBB1118_296
.LBB1118_247:
	s_or_b64 exec, exec, s[4:5]
	s_and_saveexec_b64 s[4:5], s[16:17]
	s_cbranch_execnz .LBB1118_297
.LBB1118_248:
	s_or_b64 exec, exec, s[4:5]
	s_and_saveexec_b64 s[4:5], s[18:19]
	s_cbranch_execnz .LBB1118_298
.LBB1118_249:
	s_or_b64 exec, exec, s[4:5]
	s_and_saveexec_b64 s[4:5], s[20:21]
	s_cbranch_execz .LBB1118_251
.LBB1118_250:
	v_add_co_u32_e32 v0, vcc, 0x3000, v0
	v_addc_co_u32_e32 v1, vcc, 0, v1, vcc
	s_waitcnt vmcnt(0)
	flat_store_dwordx2 v[0:1], v[4:5] offset:2048
.LBB1118_251:
	s_or_b64 exec, exec, s[4:5]
                                        ; implicit-def: $vgpr152
                                        ; implicit-def: $vgpr0
                                        ; implicit-def: $vgpr1
                                        ; implicit-def: $vgpr2
                                        ; implicit-def: $vgpr3
                                        ; implicit-def: $vgpr4
                                        ; implicit-def: $vgpr5
                                        ; implicit-def: $vgpr6
                                        ; implicit-def: $vgpr7
                                        ; implicit-def: $vgpr8
                                        ; implicit-def: $vgpr10
                                        ; implicit-def: $vgpr11
                                        ; implicit-def: $vgpr12
                                        ; implicit-def: $vgpr13
                                        ; implicit-def: $vgpr31
                                        ; implicit-def: $vgpr16
                                        ; implicit-def: $vgpr17
                                        ; implicit-def: $vgpr14
.LBB1118_252:
	s_andn2_saveexec_b64 s[4:5], s[38:39]
	s_cbranch_execz .LBB1118_372
; %bb.253:
	s_movk_i32 s4, 0x200
	v_cmp_lt_u32_e32 vcc, s4, v152
	s_and_saveexec_b64 s[4:5], vcc
	s_xor_b64 s[38:39], exec, s[4:5]
	s_cbranch_execz .LBB1118_313
; %bb.254:
	s_load_dwordx2 s[4:5], s[8:9], 0x0
	s_waitcnt vmcnt(0)
	v_mov_b32_e32 v9, 0
	v_mbcnt_hi_u32_b32 v29, -1, v14
	v_lshlrev_b64 v[22:23], 3, v[8:9]
	v_and_b32_e32 v28, 63, v29
	s_waitcnt lgkmcnt(0)
	s_cmp_lt_u32 s12, s4
	s_cselect_b32 s6, 12, 18
	s_cmp_lt_u32 s13, s5
	s_cselect_b32 s4, 14, 20
	s_add_u32 s4, s8, s4
	s_addc_u32 s5, s9, 0
	s_add_u32 s6, s8, s6
	global_load_ushort v15, v9, s[4:5]
	s_addc_u32 s7, s9, 0
	global_load_ushort v18, v9, s[6:7]
	v_add_co_u32_e32 v0, vcc, v0, v22
	v_addc_co_u32_e32 v1, vcc, v1, v23, vcc
	v_lshlrev_b32_e32 v25, 3, v28
	v_and_b32_e32 v24, 0x3ff, v31
	v_add_co_u32_e32 v14, vcc, v0, v25
	v_addc_co_u32_e32 v19, vcc, 0, v1, vcc
	s_mov_b32 s16, -1
	s_mov_b32 s17, s16
	s_mov_b32 s18, s16
	;; [unrolled: 1-line block ×7, first 2 shown]
	s_waitcnt vmcnt(1)
	v_mad_u32_u24 v0, v17, v15, v16
	s_waitcnt vmcnt(0)
	v_mad_u64_u32 v[0:1], s[4:5], v0, v18, v[24:25]
	v_lshlrev_b32_e32 v1, 2, v0
	v_and_b32_e32 v8, 0xffffff00, v1
	v_lshlrev_b64 v[26:27], 3, v[8:9]
	v_or_b32_e32 v1, v8, v28
	v_add_co_u32_e32 v8, vcc, v14, v26
	v_addc_co_u32_e32 v9, vcc, v19, v27, vcc
	v_pk_mov_b32 v[14:15], s[16:17], s[16:17] op_sel:[0,1]
	v_cmp_lt_u32_e32 vcc, v1, v152
	v_pk_mov_b32 v[16:17], s[18:19], s[18:19] op_sel:[0,1]
	v_pk_mov_b32 v[18:19], s[20:21], s[20:21] op_sel:[0,1]
	;; [unrolled: 1-line block ×3, first 2 shown]
	s_and_saveexec_b64 s[4:5], vcc
	s_cbranch_execz .LBB1118_256
; %bb.255:
	flat_load_dwordx2 v[14:15], v[8:9]
	v_mov_b32_e32 v16, -1
	v_mov_b32_e32 v17, v16
	v_mov_b32_e32 v18, v16
	;; [unrolled: 1-line block ×5, first 2 shown]
.LBB1118_256:
	s_or_b64 exec, exec, s[4:5]
	v_or_b32_e32 v30, 64, v1
	v_cmp_lt_u32_e64 s[4:5], v30, v152
	s_and_saveexec_b64 s[6:7], s[4:5]
	s_cbranch_execz .LBB1118_258
; %bb.257:
	flat_load_dwordx2 v[16:17], v[8:9] offset:512
.LBB1118_258:
	s_or_b64 exec, exec, s[6:7]
	v_or_b32_e32 v30, 0x80, v1
	v_cmp_lt_u32_e64 s[6:7], v30, v152
	s_and_saveexec_b64 s[10:11], s[6:7]
	s_cbranch_execz .LBB1118_260
; %bb.259:
	flat_load_dwordx2 v[18:19], v[8:9] offset:1024
.LBB1118_260:
	;; [unrolled: 8-line block ×3, first 2 shown]
	s_or_b64 exec, exec, s[14:15]
	v_add_co_u32_e64 v1, s[14:15], v4, v22
	v_addc_co_u32_e64 v4, s[14:15], v5, v23, s[14:15]
	v_add_co_u32_e64 v1, s[14:15], v1, v25
	v_addc_co_u32_e64 v5, s[14:15], 0, v4, s[14:15]
	;; [unrolled: 2-line block ×3, first 2 shown]
                                        ; implicit-def: $vgpr54_vgpr55
	s_and_saveexec_b64 s[14:15], vcc
	s_cbranch_execnz .LBB1118_337
; %bb.263:
	s_or_b64 exec, exec, s[14:15]
                                        ; implicit-def: $vgpr64_vgpr65
	s_and_saveexec_b64 s[14:15], s[4:5]
	s_cbranch_execnz .LBB1118_338
.LBB1118_264:
	s_or_b64 exec, exec, s[14:15]
                                        ; implicit-def: $vgpr66_vgpr67
	s_and_saveexec_b64 s[4:5], s[6:7]
	s_cbranch_execnz .LBB1118_339
.LBB1118_265:
	s_or_b64 exec, exec, s[4:5]
                                        ; implicit-def: $vgpr68_vgpr69
	s_and_saveexec_b64 s[4:5], s[10:11]
	s_cbranch_execz .LBB1118_267
.LBB1118_266:
	flat_load_dwordx2 v[68:69], v[4:5] offset:1536
.LBB1118_267:
	s_or_b64 exec, exec, s[4:5]
	s_waitcnt vmcnt(0) lgkmcnt(0)
	v_ashrrev_i32_e32 v5, 31, v15
	v_bfrev_b32_e32 v1, -2
	v_cmp_gt_i64_e32 vcc, 0, v[14:15]
	v_not_b32_e32 v5, v5
	v_cndmask_b32_e64 v4, v1, 0, vcc
	v_xor_b32_e32 v70, v5, v14
	v_cmp_gt_i64_e32 vcc, 0, v[16:17]
	v_ashrrev_i32_e32 v5, 31, v17
	v_xor_b32_e32 v71, v4, v15
	v_cndmask_b32_e64 v4, v1, 0, vcc
	v_not_b32_e32 v5, v5
	v_cmp_gt_i64_e32 vcc, 0, v[18:19]
	v_xor_b32_e32 v17, v4, v17
	v_xor_b32_e32 v16, v5, v16
	v_cndmask_b32_e64 v4, v1, 0, vcc
	v_ashrrev_i32_e32 v5, 31, v19
	v_cmp_gt_i64_e32 vcc, 0, v[20:21]
	v_not_b32_e32 v5, v5
	v_xor_b32_e32 v19, v4, v19
	v_cndmask_b32_e64 v4, v1, 0, vcc
	v_add_co_u32_e32 v25, vcc, 16, v12
	v_xor_b32_e32 v18, v5, v18
	v_ashrrev_i32_e32 v5, 31, v21
	v_xor_b32_e32 v81, v4, v21
	v_addc_co_u32_e32 v98, vcc, 0, v13, vcc
	v_lshlrev_b32_e32 v4, 4, v24
	v_not_b32_e32 v5, v5
	v_add_co_u32_e32 v4, vcc, v12, v4
	v_xor_b32_e32 v80, v5, v20
	s_getpc_b64 s[4:5]
	s_add_u32 s4, s4, _ZN7rocprim17ROCPRIM_400000_NS16block_radix_sortIdLj256ELj4ElLj1ELj1ELj8ELNS0_26block_radix_rank_algorithmE2ELNS0_18block_padding_hintE2ELNS0_4arch9wavefront6targetE1EE19radix_bits_per_passE@rel32@lo+4
	s_addc_u32 s5, s5, _ZN7rocprim17ROCPRIM_400000_NS16block_radix_sortIdLj256ELj4ElLj1ELj1ELj8ELNS0_26block_radix_rank_algorithmE2ELNS0_18block_padding_hintE2ELNS0_4arch9wavefront6targetE1EE19radix_bits_per_passE@rel32@hi+12
	v_addc_co_u32_e32 v5, vcc, 0, v13, vcc
	v_and_b32_e32 v8, 15, v29
	s_load_dword s48, s[4:5], 0x0
	v_cmp_eq_u32_e32 vcc, 0, v8
	v_cmp_lt_u32_e64 s[4:5], 1, v8
	v_cmp_lt_u32_e64 s[6:7], 3, v8
	;; [unrolled: 1-line block ×3, first 2 shown]
	v_and_b32_e32 v8, 16, v29
	v_cmp_eq_u32_e64 s[30:31], 0, v8
	v_and_b32_e32 v8, 0x3c0, v24
	v_min_u32_e32 v8, 0xc0, v8
	v_or_b32_e32 v8, 63, v8
	v_cmp_eq_u32_e64 s[16:17], v8, v24
	v_add_u32_e32 v8, -1, v29
	v_and_b32_e32 v9, 64, v29
	v_cmp_lt_i32_e64 s[22:23], v8, v9
	v_lshrrev_b32_e32 v26, 6, v24
	v_cndmask_b32_e64 v8, v8, v29, s[22:23]
	v_lshlrev_b32_e32 v100, 2, v8
	v_lshlrev_b32_e32 v8, 2, v26
	v_add_co_u32_e64 v8, s[26:27], v12, v8
	v_lshlrev_b32_e32 v15, 2, v24
	v_addc_co_u32_e64 v9, s[26:27], 0, v13, s[26:27]
	v_add_co_u32_e64 v20, s[26:27], v12, v15
	v_mov_b32_e32 v14, 0
	v_addc_co_u32_e64 v21, s[26:27], 0, v13, s[26:27]
	v_and_b32_e32 v27, 3, v29
	v_cmp_eq_u32_e64 s[26:27], 0, v27
	v_cmp_lt_u32_e64 s[28:29], 1, v27
	v_add_u32_e32 v26, -1, v26
	v_mov_b32_e32 v27, v14
	v_lshlrev_b64 v[26:27], 2, v[26:27]
	v_add_co_u32_e64 v26, s[34:35], v12, v26
	v_addc_co_u32_e64 v27, s[34:35], v13, v27, s[34:35]
	s_movk_i32 s34, 0xf00
	v_and_or_b32 v15, v15, s34, v28
	v_lshlrev_b32_e32 v15, 3, v15
	s_mov_b32 s44, 0
	v_add_co_u32_e64 v36, s[34:35], v12, v15
	s_mov_b64 s[40:41], 0
	s_brev_b32 s45, 1
	v_lshrrev_b32_e32 v99, 6, v0
	v_cmp_lt_u32_e64 s[14:15], 31, v29
	v_cmp_gt_u32_e64 s[18:19], 4, v24
	v_cmp_lt_u32_e64 s[20:21], 63, v24
	v_cmp_eq_u32_e64 s[22:23], 0, v29
	v_cmp_eq_u32_e64 s[24:25], 0, v24
	v_addc_co_u32_e64 v37, s[34:35], 0, v13, s[34:35]
	v_sub_u32_e32 v101, v11, v10
	s_waitcnt lgkmcnt(0)
	s_barrier
	s_branch .LBB1118_269
.LBB1118_268:                           ;   in Loop: Header=BB1118_269 Depth=1
	s_or_b64 exec, exec, s[36:37]
	s_and_b64 s[34:35], exec, s[46:47]
	s_or_b64 s[40:41], s[34:35], s[40:41]
	s_andn2_b64 exec, exec, s[40:41]
	s_cbranch_execz .LBB1118_299
.LBB1118_269:                           ; =>This Inner Loop Header: Depth=1
	s_waitcnt vmcnt(0)
	v_pk_mov_b32 v[52:53], v[70:71], v[70:71] op_sel:[0,1]
	v_pk_mov_b32 v[48:49], v[18:19], v[18:19] op_sel:[0,1]
	;; [unrolled: 1-line block ×3, first 2 shown]
	v_min_u32_e32 v18, s48, v101
	v_mov_b32_e32 v15, v14
	v_mov_b32_e32 v16, v14
	;; [unrolled: 1-line block ×3, first 2 shown]
	v_cmp_ne_u64_e64 s[34:35], s[44:45], v[52:53]
	flat_store_dwordx4 v[4:5], v[14:17] offset:16
	v_pk_mov_b32 v[34:35], v[54:55], v[54:55] op_sel:[0,1]
	v_lshlrev_b32_e64 v15, v18, -1
	v_cndmask_b32_e64 v17, v1, v53, s[34:35]
	v_cndmask_b32_e64 v16, -1, v52, s[34:35]
	v_not_b32_e32 v18, v15
	v_lshrrev_b64 v[16:17], v10, v[16:17]
	v_and_b32_e32 v19, v16, v18
	v_lshl_add_u32 v16, v19, 2, v99
	v_mov_b32_e32 v17, v14
	v_lshlrev_b64 v[16:17], 2, v[16:17]
	v_add_co_u32_e64 v54, s[34:35], v25, v16
	v_addc_co_u32_e64 v55, s[34:35], v98, v17, s[34:35]
	v_and_b32_e32 v15, 1, v19
	v_add_co_u32_e64 v16, s[34:35], -1, v15
	v_addc_co_u32_e64 v17, s[34:35], 0, -1, s[34:35]
	v_cmp_ne_u32_e64 s[34:35], 0, v15
	v_xor_b32_e32 v15, s35, v17
	v_and_b32_e32 v17, exec_hi, v15
	v_lshlrev_b32_e32 v15, 30, v19
	v_xor_b32_e32 v16, s34, v16
	v_cmp_gt_i64_e64 s[34:35], 0, v[14:15]
	v_not_b32_e32 v15, v15
	v_ashrrev_i32_e32 v15, 31, v15
	v_pk_mov_b32 v[32:33], v[64:65], v[64:65] op_sel:[0,1]
	v_and_b32_e32 v16, exec_lo, v16
	v_xor_b32_e32 v64, s35, v15
	v_xor_b32_e32 v15, s34, v15
	v_and_b32_e32 v16, v16, v15
	v_lshlrev_b32_e32 v15, 29, v19
	v_cmp_gt_i64_e64 s[34:35], 0, v[14:15]
	v_not_b32_e32 v15, v15
	v_ashrrev_i32_e32 v15, 31, v15
	v_and_b32_e32 v17, v17, v64
	v_xor_b32_e32 v64, s35, v15
	v_xor_b32_e32 v15, s34, v15
	v_and_b32_e32 v16, v16, v15
	v_lshlrev_b32_e32 v15, 28, v19
	v_cmp_gt_i64_e64 s[34:35], 0, v[14:15]
	v_not_b32_e32 v15, v15
	v_ashrrev_i32_e32 v15, 31, v15
	v_and_b32_e32 v17, v17, v64
	;; [unrolled: 8-line block ×5, first 2 shown]
	v_xor_b32_e32 v64, s35, v15
	v_xor_b32_e32 v15, s34, v15
	v_and_b32_e32 v16, v16, v15
	v_lshlrev_b32_e32 v15, 24, v19
	v_cmp_gt_i64_e64 s[34:35], 0, v[14:15]
	v_not_b32_e32 v15, v15
	v_ashrrev_i32_e32 v15, 31, v15
	v_xor_b32_e32 v19, s35, v15
	v_xor_b32_e32 v15, s34, v15
	v_and_b32_e32 v17, v17, v64
	v_and_b32_e32 v16, v16, v15
	v_and_b32_e32 v17, v17, v19
	v_mbcnt_lo_u32_b32 v15, v16, 0
	v_mbcnt_hi_u32_b32 v70, v17, v15
	v_cmp_eq_u32_e64 s[34:35], 0, v70
	v_cmp_ne_u64_e64 s[36:37], 0, v[16:17]
	v_pk_mov_b32 v[38:39], v[80:81], v[80:81] op_sel:[0,1]
	v_pk_mov_b32 v[30:31], v[66:67], v[66:67] op_sel:[0,1]
	;; [unrolled: 1-line block ×3, first 2 shown]
	s_and_b64 s[36:37], s[36:37], s[34:35]
	s_waitcnt lgkmcnt(0)
	s_barrier
	s_waitcnt lgkmcnt(0)
	; wave barrier
	s_and_saveexec_b64 s[34:35], s[36:37]
	s_cbranch_execz .LBB1118_271
; %bb.270:                              ;   in Loop: Header=BB1118_269 Depth=1
	v_bcnt_u32_b32 v15, v16, 0
	v_bcnt_u32_b32 v15, v17, v15
	flat_store_dword v[54:55], v15
.LBB1118_271:                           ;   in Loop: Header=BB1118_269 Depth=1
	s_or_b64 exec, exec, s[34:35]
	v_cmp_ne_u64_e64 s[34:35], s[44:45], v[50:51]
	v_cndmask_b32_e64 v17, v1, v51, s[34:35]
	v_cndmask_b32_e64 v16, -1, v50, s[34:35]
	v_lshrrev_b64 v[16:17], v10, v[16:17]
	v_and_b32_e32 v19, v16, v18
	v_lshl_add_u32 v16, v19, 2, v99
	v_mov_b32_e32 v17, v14
	v_lshlrev_b64 v[16:17], 2, v[16:17]
	v_add_co_u32_e64 v64, s[34:35], v25, v16
	v_addc_co_u32_e64 v65, s[34:35], v98, v17, s[34:35]
	; wave barrier
	flat_load_dword v71, v[64:65]
	v_and_b32_e32 v15, 1, v19
	v_add_co_u32_e64 v16, s[34:35], -1, v15
	v_addc_co_u32_e64 v17, s[34:35], 0, -1, s[34:35]
	v_cmp_ne_u32_e64 s[34:35], 0, v15
	v_xor_b32_e32 v15, s35, v17
	v_and_b32_e32 v17, exec_hi, v15
	v_lshlrev_b32_e32 v15, 30, v19
	v_xor_b32_e32 v16, s34, v16
	v_cmp_gt_i64_e64 s[34:35], 0, v[14:15]
	v_not_b32_e32 v15, v15
	v_ashrrev_i32_e32 v15, 31, v15
	v_and_b32_e32 v16, exec_lo, v16
	v_xor_b32_e32 v66, s35, v15
	v_xor_b32_e32 v15, s34, v15
	v_and_b32_e32 v16, v16, v15
	v_lshlrev_b32_e32 v15, 29, v19
	v_cmp_gt_i64_e64 s[34:35], 0, v[14:15]
	v_not_b32_e32 v15, v15
	v_ashrrev_i32_e32 v15, 31, v15
	v_and_b32_e32 v17, v17, v66
	v_xor_b32_e32 v66, s35, v15
	v_xor_b32_e32 v15, s34, v15
	v_and_b32_e32 v16, v16, v15
	v_lshlrev_b32_e32 v15, 28, v19
	v_cmp_gt_i64_e64 s[34:35], 0, v[14:15]
	v_not_b32_e32 v15, v15
	v_ashrrev_i32_e32 v15, 31, v15
	v_and_b32_e32 v17, v17, v66
	;; [unrolled: 8-line block ×5, first 2 shown]
	v_xor_b32_e32 v66, s35, v15
	v_xor_b32_e32 v15, s34, v15
	v_and_b32_e32 v16, v16, v15
	v_lshlrev_b32_e32 v15, 24, v19
	v_cmp_gt_i64_e64 s[34:35], 0, v[14:15]
	v_not_b32_e32 v15, v15
	v_ashrrev_i32_e32 v15, 31, v15
	v_xor_b32_e32 v19, s35, v15
	v_xor_b32_e32 v15, s34, v15
	v_and_b32_e32 v17, v17, v66
	v_and_b32_e32 v16, v16, v15
	;; [unrolled: 1-line block ×3, first 2 shown]
	v_mbcnt_lo_u32_b32 v15, v16, 0
	v_mbcnt_hi_u32_b32 v80, v17, v15
	v_cmp_eq_u32_e64 s[34:35], 0, v80
	v_cmp_ne_u64_e64 s[36:37], 0, v[16:17]
	s_and_b64 s[36:37], s[36:37], s[34:35]
	; wave barrier
	s_and_saveexec_b64 s[34:35], s[36:37]
	s_cbranch_execz .LBB1118_273
; %bb.272:                              ;   in Loop: Header=BB1118_269 Depth=1
	v_bcnt_u32_b32 v15, v16, 0
	v_bcnt_u32_b32 v15, v17, v15
	s_waitcnt vmcnt(0) lgkmcnt(0)
	v_add_u32_e32 v15, v71, v15
	flat_store_dword v[64:65], v15
.LBB1118_273:                           ;   in Loop: Header=BB1118_269 Depth=1
	s_or_b64 exec, exec, s[34:35]
	v_cmp_ne_u64_e64 s[34:35], s[44:45], v[48:49]
	v_cndmask_b32_e64 v17, v1, v49, s[34:35]
	v_cndmask_b32_e64 v16, -1, v48, s[34:35]
	v_lshrrev_b64 v[16:17], v10, v[16:17]
	v_and_b32_e32 v19, v16, v18
	v_lshl_add_u32 v16, v19, 2, v99
	v_mov_b32_e32 v17, v14
	v_lshlrev_b64 v[16:17], 2, v[16:17]
	v_add_co_u32_e64 v66, s[34:35], v25, v16
	v_addc_co_u32_e64 v67, s[34:35], v98, v17, s[34:35]
	; wave barrier
	flat_load_dword v81, v[66:67]
	v_and_b32_e32 v15, 1, v19
	v_add_co_u32_e64 v16, s[34:35], -1, v15
	v_addc_co_u32_e64 v17, s[34:35], 0, -1, s[34:35]
	v_cmp_ne_u32_e64 s[34:35], 0, v15
	v_xor_b32_e32 v15, s35, v17
	v_and_b32_e32 v17, exec_hi, v15
	v_lshlrev_b32_e32 v15, 30, v19
	v_xor_b32_e32 v16, s34, v16
	v_cmp_gt_i64_e64 s[34:35], 0, v[14:15]
	v_not_b32_e32 v15, v15
	v_ashrrev_i32_e32 v15, 31, v15
	v_and_b32_e32 v16, exec_lo, v16
	v_xor_b32_e32 v68, s35, v15
	v_xor_b32_e32 v15, s34, v15
	v_and_b32_e32 v16, v16, v15
	v_lshlrev_b32_e32 v15, 29, v19
	v_cmp_gt_i64_e64 s[34:35], 0, v[14:15]
	v_not_b32_e32 v15, v15
	v_ashrrev_i32_e32 v15, 31, v15
	v_and_b32_e32 v17, v17, v68
	v_xor_b32_e32 v68, s35, v15
	v_xor_b32_e32 v15, s34, v15
	v_and_b32_e32 v16, v16, v15
	v_lshlrev_b32_e32 v15, 28, v19
	v_cmp_gt_i64_e64 s[34:35], 0, v[14:15]
	v_not_b32_e32 v15, v15
	v_ashrrev_i32_e32 v15, 31, v15
	v_and_b32_e32 v17, v17, v68
	v_xor_b32_e32 v68, s35, v15
	v_xor_b32_e32 v15, s34, v15
	v_and_b32_e32 v16, v16, v15
	v_lshlrev_b32_e32 v15, 27, v19
	v_cmp_gt_i64_e64 s[34:35], 0, v[14:15]
	v_not_b32_e32 v15, v15
	v_ashrrev_i32_e32 v15, 31, v15
	v_and_b32_e32 v17, v17, v68
	v_xor_b32_e32 v68, s35, v15
	v_xor_b32_e32 v15, s34, v15
	v_and_b32_e32 v16, v16, v15
	v_lshlrev_b32_e32 v15, 26, v19
	v_cmp_gt_i64_e64 s[34:35], 0, v[14:15]
	v_not_b32_e32 v15, v15
	v_ashrrev_i32_e32 v15, 31, v15
	v_and_b32_e32 v17, v17, v68
	v_xor_b32_e32 v68, s35, v15
	v_xor_b32_e32 v15, s34, v15
	v_and_b32_e32 v16, v16, v15
	v_lshlrev_b32_e32 v15, 25, v19
	v_cmp_gt_i64_e64 s[34:35], 0, v[14:15]
	v_not_b32_e32 v15, v15
	v_ashrrev_i32_e32 v15, 31, v15
	v_and_b32_e32 v17, v17, v68
	v_xor_b32_e32 v68, s35, v15
	v_xor_b32_e32 v15, s34, v15
	v_and_b32_e32 v16, v16, v15
	v_lshlrev_b32_e32 v15, 24, v19
	v_cmp_gt_i64_e64 s[34:35], 0, v[14:15]
	v_not_b32_e32 v15, v15
	v_ashrrev_i32_e32 v15, 31, v15
	v_xor_b32_e32 v19, s35, v15
	v_xor_b32_e32 v15, s34, v15
	v_and_b32_e32 v17, v17, v68
	v_and_b32_e32 v16, v16, v15
	;; [unrolled: 1-line block ×3, first 2 shown]
	v_mbcnt_lo_u32_b32 v15, v16, 0
	v_mbcnt_hi_u32_b32 v82, v17, v15
	v_cmp_eq_u32_e64 s[34:35], 0, v82
	v_cmp_ne_u64_e64 s[36:37], 0, v[16:17]
	s_and_b64 s[36:37], s[36:37], s[34:35]
	; wave barrier
	s_and_saveexec_b64 s[34:35], s[36:37]
	s_cbranch_execz .LBB1118_275
; %bb.274:                              ;   in Loop: Header=BB1118_269 Depth=1
	v_bcnt_u32_b32 v15, v16, 0
	v_bcnt_u32_b32 v15, v17, v15
	s_waitcnt vmcnt(0) lgkmcnt(0)
	v_add_u32_e32 v15, v81, v15
	flat_store_dword v[66:67], v15
.LBB1118_275:                           ;   in Loop: Header=BB1118_269 Depth=1
	s_or_b64 exec, exec, s[34:35]
	v_cmp_ne_u64_e64 s[34:35], s[44:45], v[38:39]
	v_cndmask_b32_e64 v17, v1, v39, s[34:35]
	v_cndmask_b32_e64 v16, -1, v38, s[34:35]
	v_lshrrev_b64 v[16:17], v10, v[16:17]
	v_and_b32_e32 v18, v16, v18
	v_lshl_add_u32 v16, v18, 2, v99
	v_mov_b32_e32 v17, v14
	v_lshlrev_b64 v[16:17], 2, v[16:17]
	v_add_co_u32_e64 v68, s[34:35], v25, v16
	v_addc_co_u32_e64 v69, s[34:35], v98, v17, s[34:35]
	; wave barrier
	flat_load_dword v83, v[68:69]
	v_and_b32_e32 v15, 1, v18
	v_add_co_u32_e64 v16, s[34:35], -1, v15
	v_addc_co_u32_e64 v17, s[34:35], 0, -1, s[34:35]
	v_cmp_ne_u32_e64 s[34:35], 0, v15
	v_xor_b32_e32 v15, s35, v17
	v_and_b32_e32 v17, exec_hi, v15
	v_lshlrev_b32_e32 v15, 30, v18
	v_xor_b32_e32 v16, s34, v16
	v_cmp_gt_i64_e64 s[34:35], 0, v[14:15]
	v_not_b32_e32 v15, v15
	v_ashrrev_i32_e32 v15, 31, v15
	v_and_b32_e32 v16, exec_lo, v16
	v_xor_b32_e32 v19, s35, v15
	v_xor_b32_e32 v15, s34, v15
	v_and_b32_e32 v16, v16, v15
	v_lshlrev_b32_e32 v15, 29, v18
	v_cmp_gt_i64_e64 s[34:35], 0, v[14:15]
	v_not_b32_e32 v15, v15
	v_ashrrev_i32_e32 v15, 31, v15
	v_and_b32_e32 v17, v17, v19
	v_xor_b32_e32 v19, s35, v15
	v_xor_b32_e32 v15, s34, v15
	v_and_b32_e32 v16, v16, v15
	v_lshlrev_b32_e32 v15, 28, v18
	v_cmp_gt_i64_e64 s[34:35], 0, v[14:15]
	v_not_b32_e32 v15, v15
	v_ashrrev_i32_e32 v15, 31, v15
	v_and_b32_e32 v17, v17, v19
	;; [unrolled: 8-line block ×5, first 2 shown]
	v_xor_b32_e32 v19, s35, v15
	v_xor_b32_e32 v15, s34, v15
	v_and_b32_e32 v16, v16, v15
	v_lshlrev_b32_e32 v15, 24, v18
	v_cmp_gt_i64_e64 s[34:35], 0, v[14:15]
	v_not_b32_e32 v15, v15
	v_ashrrev_i32_e32 v15, 31, v15
	v_xor_b32_e32 v18, s35, v15
	v_xor_b32_e32 v15, s34, v15
	v_and_b32_e32 v17, v17, v19
	v_and_b32_e32 v16, v16, v15
	;; [unrolled: 1-line block ×3, first 2 shown]
	v_mbcnt_lo_u32_b32 v15, v16, 0
	v_mbcnt_hi_u32_b32 v15, v17, v15
	v_cmp_eq_u32_e64 s[34:35], 0, v15
	v_cmp_ne_u64_e64 s[36:37], 0, v[16:17]
	s_and_b64 s[36:37], s[36:37], s[34:35]
	; wave barrier
	s_and_saveexec_b64 s[34:35], s[36:37]
	s_cbranch_execz .LBB1118_277
; %bb.276:                              ;   in Loop: Header=BB1118_269 Depth=1
	v_bcnt_u32_b32 v16, v16, 0
	v_bcnt_u32_b32 v16, v17, v16
	s_waitcnt vmcnt(0) lgkmcnt(0)
	v_add_u32_e32 v16, v83, v16
	flat_store_dword v[68:69], v16
.LBB1118_277:                           ;   in Loop: Header=BB1118_269 Depth=1
	s_or_b64 exec, exec, s[34:35]
	; wave barrier
	s_waitcnt lgkmcnt(0)
	s_barrier
	flat_load_dwordx4 v[16:19], v[4:5] offset:16
	s_waitcnt vmcnt(0) lgkmcnt(0)
	v_add_u32_e32 v84, v17, v16
	v_add3_u32 v19, v84, v18, v19
	s_nop 1
	v_mov_b32_dpp v84, v19 row_shr:1 row_mask:0xf bank_mask:0xf
	v_cndmask_b32_e64 v84, v84, 0, vcc
	v_add_u32_e32 v19, v84, v19
	s_nop 1
	v_mov_b32_dpp v84, v19 row_shr:2 row_mask:0xf bank_mask:0xf
	v_cndmask_b32_e64 v84, 0, v84, s[4:5]
	v_add_u32_e32 v19, v19, v84
	s_nop 1
	v_mov_b32_dpp v84, v19 row_shr:4 row_mask:0xf bank_mask:0xf
	v_cndmask_b32_e64 v84, 0, v84, s[6:7]
	;; [unrolled: 4-line block ×3, first 2 shown]
	v_add_u32_e32 v19, v19, v84
	s_nop 1
	v_mov_b32_dpp v84, v19 row_bcast:15 row_mask:0xf bank_mask:0xf
	v_cndmask_b32_e64 v84, v84, 0, s[30:31]
	v_add_u32_e32 v19, v19, v84
	s_nop 1
	v_mov_b32_dpp v84, v19 row_bcast:31 row_mask:0xf bank_mask:0xf
	v_cndmask_b32_e64 v84, 0, v84, s[14:15]
	v_add_u32_e32 v19, v19, v84
	s_and_saveexec_b64 s[34:35], s[16:17]
	s_cbranch_execz .LBB1118_279
; %bb.278:                              ;   in Loop: Header=BB1118_269 Depth=1
	flat_store_dword v[8:9], v19
.LBB1118_279:                           ;   in Loop: Header=BB1118_269 Depth=1
	s_or_b64 exec, exec, s[34:35]
	s_waitcnt lgkmcnt(0)
	s_barrier
	s_and_saveexec_b64 s[34:35], s[18:19]
	s_cbranch_execz .LBB1118_281
; %bb.280:                              ;   in Loop: Header=BB1118_269 Depth=1
	flat_load_dword v84, v[20:21]
	s_waitcnt vmcnt(0) lgkmcnt(0)
	s_nop 0
	v_mov_b32_dpp v85, v84 row_shr:1 row_mask:0xf bank_mask:0xf
	v_cndmask_b32_e64 v85, v85, 0, s[26:27]
	v_add_u32_e32 v84, v85, v84
	s_nop 1
	v_mov_b32_dpp v85, v84 row_shr:2 row_mask:0xf bank_mask:0xf
	v_cndmask_b32_e64 v85, 0, v85, s[28:29]
	v_add_u32_e32 v84, v84, v85
	flat_store_dword v[20:21], v84
.LBB1118_281:                           ;   in Loop: Header=BB1118_269 Depth=1
	s_or_b64 exec, exec, s[34:35]
	v_mov_b32_e32 v84, 0
	s_waitcnt lgkmcnt(0)
	s_barrier
	s_and_saveexec_b64 s[34:35], s[20:21]
	s_cbranch_execz .LBB1118_283
; %bb.282:                              ;   in Loop: Header=BB1118_269 Depth=1
	flat_load_dword v84, v[26:27]
.LBB1118_283:                           ;   in Loop: Header=BB1118_269 Depth=1
	s_or_b64 exec, exec, s[34:35]
	s_waitcnt vmcnt(0) lgkmcnt(0)
	v_add_u32_e32 v19, v84, v19
	ds_bpermute_b32 v19, v100, v19
	v_add_u32_e32 v10, 8, v10
	v_cmp_lt_u32_e64 s[34:35], v10, v11
	s_mov_b64 s[46:47], -1
	s_waitcnt lgkmcnt(0)
	v_cndmask_b32_e64 v19, v19, v84, s[22:23]
	v_cndmask_b32_e64 v84, v19, 0, s[24:25]
	v_add_u32_e32 v85, v84, v16
	v_add_u32_e32 v86, v85, v17
	;; [unrolled: 1-line block ×3, first 2 shown]
	flat_store_dwordx4 v[4:5], v[84:87] offset:16
	s_waitcnt lgkmcnt(0)
	s_barrier
	flat_load_dword v16, v[54:55]
	flat_load_dword v18, v[64:65]
	;; [unrolled: 1-line block ×4, first 2 shown]
	v_mov_b32_e32 v17, v14
	v_mov_b32_e32 v19, v14
	;; [unrolled: 1-line block ×4, first 2 shown]
	s_waitcnt lgkmcnt(0)
                                        ; implicit-def: $vgpr66_vgpr67
                                        ; implicit-def: $vgpr68_vgpr69
	s_waitcnt vmcnt(0) lgkmcnt(0)
	v_add_u32_e32 v16, v16, v70
	v_lshlrev_b64 v[16:17], 3, v[16:17]
	v_add3_u32 v18, v80, v71, v18
	v_add3_u32 v54, v82, v81, v84
	v_add_co_u32_e64 v82, s[36:37], v12, v16
	v_add3_u32 v64, v15, v83, v85
	v_lshlrev_b64 v[18:19], 3, v[18:19]
	v_addc_co_u32_e64 v83, s[36:37], v13, v17, s[36:37]
	v_add_co_u32_e64 v84, s[36:37], v12, v18
	v_lshlrev_b64 v[54:55], 3, v[54:55]
	v_addc_co_u32_e64 v85, s[36:37], v13, v19, s[36:37]
	v_add_co_u32_e64 v86, s[36:37], v12, v54
	;; [unrolled: 3-line block ×3, first 2 shown]
	v_addc_co_u32_e64 v97, s[36:37], v13, v65, s[36:37]
                                        ; implicit-def: $vgpr80_vgpr81
                                        ; implicit-def: $vgpr18_vgpr19
                                        ; implicit-def: $vgpr16_vgpr17
                                        ; implicit-def: $vgpr70_vgpr71
                                        ; implicit-def: $vgpr54_vgpr55
                                        ; implicit-def: $vgpr64_vgpr65
	s_and_saveexec_b64 s[36:37], s[34:35]
	s_cbranch_execz .LBB1118_268
; %bb.284:                              ;   in Loop: Header=BB1118_269 Depth=1
	s_barrier
	flat_store_dwordx2 v[82:83], v[52:53]
	flat_store_dwordx2 v[84:85], v[50:51]
	;; [unrolled: 1-line block ×4, first 2 shown]
	s_waitcnt lgkmcnt(0)
	s_barrier
	flat_load_dwordx2 v[70:71], v[36:37]
	flat_load_dwordx2 v[16:17], v[36:37] offset:512
	flat_load_dwordx2 v[18:19], v[36:37] offset:1024
	;; [unrolled: 1-line block ×3, first 2 shown]
	s_waitcnt lgkmcnt(0)
	s_barrier
	flat_store_dwordx2 v[82:83], v[34:35]
	flat_store_dwordx2 v[84:85], v[32:33]
	;; [unrolled: 1-line block ×4, first 2 shown]
	s_waitcnt lgkmcnt(0)
	s_barrier
	flat_load_dwordx2 v[54:55], v[36:37]
	flat_load_dwordx2 v[64:65], v[36:37] offset:512
	flat_load_dwordx2 v[66:67], v[36:37] offset:1024
	;; [unrolled: 1-line block ×3, first 2 shown]
	v_add_u32_e32 v101, -8, v101
	s_xor_b64 s[46:47], exec, -1
	s_waitcnt lgkmcnt(0)
	s_barrier
	s_branch .LBB1118_268
.LBB1118_285:
	flat_load_dwordx2 v[16:17], v[4:5]
	s_or_b64 exec, exec, s[22:23]
                                        ; implicit-def: $vgpr18_vgpr19
	s_and_saveexec_b64 s[22:23], s[4:5]
	s_cbranch_execz .LBB1118_163
.LBB1118_286:
	flat_load_dwordx2 v[18:19], v[4:5] offset:512
	s_or_b64 exec, exec, s[22:23]
                                        ; implicit-def: $vgpr86_vgpr87
	s_and_saveexec_b64 s[4:5], s[6:7]
	s_cbranch_execz .LBB1118_164
.LBB1118_287:
	flat_load_dwordx2 v[86:87], v[4:5] offset:1024
	s_or_b64 exec, exec, s[4:5]
                                        ; implicit-def: $vgpr96_vgpr97
	s_and_saveexec_b64 s[4:5], s[10:11]
	s_cbranch_execz .LBB1118_165
.LBB1118_288:
	flat_load_dwordx2 v[96:97], v[4:5] offset:1536
	s_or_b64 exec, exec, s[4:5]
                                        ; implicit-def: $vgpr98_vgpr99
	s_and_saveexec_b64 s[4:5], s[20:21]
	s_cbranch_execz .LBB1118_166
.LBB1118_289:
	flat_load_dwordx2 v[98:99], v[4:5] offset:2048
	s_or_b64 exec, exec, s[4:5]
                                        ; implicit-def: $vgpr100_vgpr101
	s_and_saveexec_b64 s[4:5], s[14:15]
	s_cbranch_execz .LBB1118_167
.LBB1118_290:
	flat_load_dwordx2 v[100:101], v[4:5] offset:2560
	s_or_b64 exec, exec, s[4:5]
                                        ; implicit-def: $vgpr102_vgpr103
	s_and_saveexec_b64 s[4:5], s[16:17]
	s_cbranch_execz .LBB1118_168
.LBB1118_291:
	flat_load_dwordx2 v[102:103], v[4:5] offset:3072
	s_or_b64 exec, exec, s[4:5]
                                        ; implicit-def: $vgpr114_vgpr115
	s_and_saveexec_b64 s[4:5], s[18:19]
	s_cbranch_execnz .LBB1118_169
	s_branch .LBB1118_170
.LBB1118_292:
	s_waitcnt vmcnt(0)
	flat_store_dwordx2 v[0:1], v[22:23]
	s_or_b64 exec, exec, s[24:25]
	s_and_saveexec_b64 s[4:5], s[6:7]
	s_cbranch_execz .LBB1118_244
.LBB1118_293:
	s_waitcnt vmcnt(0)
	flat_store_dwordx2 v[0:1], v[18:19] offset:2048
	s_or_b64 exec, exec, s[4:5]
	s_and_saveexec_b64 s[4:5], s[10:11]
	s_cbranch_execz .LBB1118_245
.LBB1118_294:
	v_add_co_u32_e32 v2, vcc, 0x1000, v0
	v_addc_co_u32_e32 v3, vcc, 0, v1, vcc
	s_waitcnt vmcnt(0)
	flat_store_dwordx2 v[2:3], v[16:17]
	s_or_b64 exec, exec, s[4:5]
	s_and_saveexec_b64 s[4:5], s[22:23]
	s_cbranch_execz .LBB1118_246
.LBB1118_295:
	v_add_co_u32_e32 v2, vcc, 0x1000, v0
	v_addc_co_u32_e32 v3, vcc, 0, v1, vcc
	s_waitcnt vmcnt(0)
	flat_store_dwordx2 v[2:3], v[14:15] offset:2048
	s_or_b64 exec, exec, s[4:5]
	s_and_saveexec_b64 s[4:5], s[14:15]
	s_cbranch_execz .LBB1118_247
.LBB1118_296:
	v_add_co_u32_e32 v2, vcc, 0x2000, v0
	v_addc_co_u32_e32 v3, vcc, 0, v1, vcc
	s_waitcnt vmcnt(0)
	flat_store_dwordx2 v[2:3], v[12:13]
	s_or_b64 exec, exec, s[4:5]
	s_and_saveexec_b64 s[4:5], s[16:17]
	s_cbranch_execz .LBB1118_248
.LBB1118_297:
	v_add_co_u32_e32 v2, vcc, 0x2000, v0
	v_addc_co_u32_e32 v3, vcc, 0, v1, vcc
	s_waitcnt vmcnt(0)
	flat_store_dwordx2 v[2:3], v[10:11] offset:2048
	s_or_b64 exec, exec, s[4:5]
	s_and_saveexec_b64 s[4:5], s[18:19]
	s_cbranch_execz .LBB1118_249
.LBB1118_298:
	v_add_co_u32_e32 v2, vcc, 0x3000, v0
	v_addc_co_u32_e32 v3, vcc, 0, v1, vcc
	s_waitcnt vmcnt(0)
	flat_store_dwordx2 v[2:3], v[8:9]
	s_or_b64 exec, exec, s[4:5]
	s_and_saveexec_b64 s[4:5], s[20:21]
	s_cbranch_execnz .LBB1118_250
	s_branch .LBB1118_251
.LBB1118_299:
	s_or_b64 exec, exec, s[40:41]
	v_lshlrev_b32_e32 v1, 3, v24
	s_waitcnt vmcnt(0)
	v_add_co_u32_e32 v16, vcc, v12, v1
	v_addc_co_u32_e32 v17, vcc, 0, v13, vcc
	s_movk_i32 s4, 0x1000
	v_add_co_u32_e32 v26, vcc, s4, v16
	s_barrier
	flat_store_dwordx2 v[82:83], v[52:53]
	flat_store_dwordx2 v[84:85], v[50:51]
	;; [unrolled: 1-line block ×4, first 2 shown]
	s_waitcnt lgkmcnt(0)
	s_barrier
	v_addc_co_u32_e32 v27, vcc, 0, v17, vcc
	flat_load_dwordx2 v[24:25], v[16:17]
	flat_load_dwordx2 v[20:21], v[16:17] offset:2048
	flat_load_dwordx2 v[18:19], v[26:27]
	flat_load_dwordx2 v[14:15], v[26:27] offset:2048
	s_waitcnt lgkmcnt(0)
	s_barrier
	flat_store_dwordx2 v[82:83], v[34:35]
	flat_store_dwordx2 v[84:85], v[32:33]
	flat_store_dwordx2 v[86:87], v[30:31]
	flat_store_dwordx2 v[96:97], v[28:29]
	s_waitcnt lgkmcnt(0)
	s_barrier
	flat_load_dwordx2 v[12:13], v[16:17]
	flat_load_dwordx2 v[10:11], v[16:17] offset:2048
	flat_load_dwordx2 v[8:9], v[26:27]
	flat_load_dwordx2 v[4:5], v[26:27] offset:2048
	v_mov_b32_e32 v1, 0
	v_add_co_u32_e32 v16, vcc, v2, v22
	v_addc_co_u32_e32 v17, vcc, v3, v23, vcc
	v_lshlrev_b64 v[2:3], 3, v[0:1]
	v_add_co_u32_e32 v16, vcc, v16, v2
	v_addc_co_u32_e32 v17, vcc, v17, v3, vcc
	v_cmp_lt_u32_e64 s[4:5], v0, v152
	s_waitcnt lgkmcnt(0)
	s_barrier
	s_and_saveexec_b64 s[6:7], s[4:5]
	s_cbranch_execz .LBB1118_301
; %bb.300:
	v_bfrev_b32_e32 v1, -2
	s_waitcnt vmcnt(0)
	v_cmp_gt_i64_e32 vcc, 0, v[24:25]
	v_ashrrev_i32_e32 v26, 31, v25
	v_cndmask_b32_e64 v1, v1, 0, vcc
	v_not_b32_e32 v26, v26
	v_xor_b32_e32 v25, v1, v25
	v_xor_b32_e32 v24, v26, v24
	flat_store_dwordx2 v[16:17], v[24:25]
.LBB1118_301:
	s_or_b64 exec, exec, s[6:7]
	v_add_u32_e32 v1, 0x100, v0
	v_cmp_lt_u32_e64 s[6:7], v1, v152
	s_and_saveexec_b64 s[10:11], s[6:7]
	s_cbranch_execz .LBB1118_303
; %bb.302:
	v_bfrev_b32_e32 v1, -2
	s_waitcnt vmcnt(0)
	v_cmp_gt_i64_e32 vcc, 0, v[20:21]
	v_ashrrev_i32_e32 v24, 31, v21
	v_cndmask_b32_e64 v1, v1, 0, vcc
	v_not_b32_e32 v24, v24
	v_xor_b32_e32 v21, v1, v21
	v_xor_b32_e32 v20, v24, v20
	flat_store_dwordx2 v[16:17], v[20:21] offset:2048
.LBB1118_303:
	s_or_b64 exec, exec, s[10:11]
	v_add_u32_e32 v1, 0x200, v0
	v_cmp_lt_u32_e64 s[10:11], v1, v152
	s_and_saveexec_b64 s[14:15], s[10:11]
	s_cbranch_execz .LBB1118_305
; %bb.304:
	s_waitcnt vmcnt(0)
	v_ashrrev_i32_e32 v20, 31, v19
	v_bfrev_b32_e32 v1, -2
	v_cmp_gt_i64_e32 vcc, 0, v[18:19]
	v_not_b32_e32 v20, v20
	v_cndmask_b32_e64 v1, v1, 0, vcc
	v_xor_b32_e32 v18, v20, v18
	v_add_co_u32_e32 v20, vcc, 0x1000, v16
	v_xor_b32_e32 v19, v1, v19
	v_addc_co_u32_e32 v21, vcc, 0, v17, vcc
	flat_store_dwordx2 v[20:21], v[18:19]
.LBB1118_305:
	s_or_b64 exec, exec, s[14:15]
	v_add_u32_e32 v0, 0x300, v0
	v_cmp_lt_u32_e64 s[14:15], v0, v152
	s_and_saveexec_b64 s[16:17], s[14:15]
	s_cbranch_execz .LBB1118_307
; %bb.306:
	v_bfrev_b32_e32 v0, -2
	s_waitcnt vmcnt(0)
	v_cmp_gt_i64_e32 vcc, 0, v[14:15]
	v_ashrrev_i32_e32 v1, 31, v15
	v_cndmask_b32_e64 v0, v0, 0, vcc
	v_not_b32_e32 v18, v1
	v_xor_b32_e32 v1, v0, v15
	v_xor_b32_e32 v0, v18, v14
	v_add_co_u32_e32 v14, vcc, 0x1000, v16
	v_addc_co_u32_e32 v15, vcc, 0, v17, vcc
	flat_store_dwordx2 v[14:15], v[0:1] offset:2048
.LBB1118_307:
	s_or_b64 exec, exec, s[16:17]
	v_add_co_u32_e32 v0, vcc, v6, v22
	v_addc_co_u32_e32 v1, vcc, v7, v23, vcc
	v_add_co_u32_e32 v0, vcc, v0, v2
	v_addc_co_u32_e32 v1, vcc, v1, v3, vcc
	s_and_saveexec_b64 s[16:17], s[4:5]
	s_cbranch_execnz .LBB1118_340
; %bb.308:
	s_or_b64 exec, exec, s[16:17]
	s_and_saveexec_b64 s[4:5], s[6:7]
	s_cbranch_execnz .LBB1118_341
.LBB1118_309:
	s_or_b64 exec, exec, s[4:5]
	s_and_saveexec_b64 s[4:5], s[10:11]
	s_cbranch_execnz .LBB1118_342
.LBB1118_310:
	s_or_b64 exec, exec, s[4:5]
	s_and_saveexec_b64 s[4:5], s[14:15]
	s_cbranch_execz .LBB1118_312
.LBB1118_311:
	v_add_co_u32_e32 v0, vcc, 0x1000, v0
	v_addc_co_u32_e32 v1, vcc, 0, v1, vcc
	s_waitcnt vmcnt(0)
	flat_store_dwordx2 v[0:1], v[4:5] offset:2048
.LBB1118_312:
	s_or_b64 exec, exec, s[4:5]
                                        ; implicit-def: $vgpr152
                                        ; implicit-def: $vgpr0
                                        ; implicit-def: $vgpr1
                                        ; implicit-def: $vgpr2
                                        ; implicit-def: $vgpr3
                                        ; implicit-def: $vgpr4
                                        ; implicit-def: $vgpr5
                                        ; implicit-def: $vgpr6
                                        ; implicit-def: $vgpr7
                                        ; implicit-def: $vgpr8
                                        ; implicit-def: $vgpr10
                                        ; implicit-def: $vgpr11
                                        ; implicit-def: $vgpr12
                                        ; implicit-def: $vgpr13
                                        ; implicit-def: $vgpr31
                                        ; implicit-def: $vgpr16
                                        ; implicit-def: $vgpr17
                                        ; implicit-def: $vgpr14
.LBB1118_313:
	s_andn2_saveexec_b64 s[4:5], s[38:39]
	s_cbranch_execz .LBB1118_372
; %bb.314:
	s_load_dwordx2 s[4:5], s[8:9], 0x0
	s_waitcnt vmcnt(0)
	v_mov_b32_e32 v9, 0
	v_and_b32_e32 v26, 0x3ff, v31
	v_lshlrev_b64 v[22:23], 3, v[8:9]
	s_waitcnt lgkmcnt(0)
	s_cmp_lt_u32 s12, s4
	s_cselect_b32 s6, 12, 18
	s_cmp_lt_u32 s13, s5
	s_cselect_b32 s4, 14, 20
	s_add_u32 s4, s8, s4
	s_addc_u32 s5, s9, 0
	s_add_u32 s6, s8, s6
	global_load_ushort v15, v9, s[4:5]
	s_addc_u32 s7, s9, 0
	global_load_ushort v18, v9, s[6:7]
	s_movk_i32 s4, 0x100
	v_cmp_lt_u32_e32 vcc, s4, v152
	s_waitcnt vmcnt(1)
	v_mad_u32_u24 v15, v17, v15, v16
	s_waitcnt vmcnt(0)
	v_mad_u64_u32 v[24:25], s[4:5], v15, v18, v[26:27]
	s_and_saveexec_b64 s[4:5], vcc
	s_xor_b64 s[34:35], exec, s[4:5]
	s_cbranch_execz .LBB1118_352
; %bb.315:
	v_mbcnt_hi_u32_b32 v30, -1, v14
	v_add_co_u32_e32 v0, vcc, v0, v22
	v_and_b32_e32 v32, 63, v30
	v_addc_co_u32_e32 v1, vcc, v1, v23, vcc
	v_lshlrev_b32_e32 v8, 1, v24
	v_lshlrev_b32_e32 v20, 3, v32
	v_and_b32_e32 v8, 0xffffff80, v8
	v_add_co_u32_e32 v14, vcc, v0, v20
	s_mov_b32 s4, -1
	v_addc_co_u32_e32 v15, vcc, 0, v1, vcc
	v_lshlrev_b64 v[0:1], 3, v[8:9]
	v_add_co_u32_e32 v18, vcc, v14, v0
	s_mov_b32 s6, s4
	s_mov_b32 s7, s4
	v_addc_co_u32_e32 v19, vcc, v15, v1, vcc
	v_or_b32_e32 v8, v32, v8
	s_mov_b32 s5, s4
	v_pk_mov_b32 v[16:17], s[6:7], s[6:7] op_sel:[0,1]
	v_cmp_lt_u32_e32 vcc, v8, v152
	v_pk_mov_b32 v[14:15], s[4:5], s[4:5] op_sel:[0,1]
	s_and_saveexec_b64 s[4:5], vcc
	s_cbranch_execz .LBB1118_317
; %bb.316:
	flat_load_dwordx2 v[14:15], v[18:19]
	v_mov_b32_e32 v16, -1
	v_mov_b32_e32 v17, v16
.LBB1118_317:
	s_or_b64 exec, exec, s[4:5]
	v_or_b32_e32 v8, 64, v8
	v_cmp_lt_u32_e64 s[4:5], v8, v152
	s_and_saveexec_b64 s[6:7], s[4:5]
	s_cbranch_execz .LBB1118_319
; %bb.318:
	flat_load_dwordx2 v[16:17], v[18:19] offset:512
.LBB1118_319:
	s_or_b64 exec, exec, s[6:7]
	v_add_co_u32_e64 v4, s[6:7], v4, v22
	v_addc_co_u32_e64 v5, s[6:7], v5, v23, s[6:7]
	v_add_co_u32_e64 v4, s[6:7], v4, v20
	v_addc_co_u32_e64 v5, s[6:7], 0, v5, s[6:7]
	;; [unrolled: 2-line block ×3, first 2 shown]
                                        ; implicit-def: $vgpr18_vgpr19
	s_and_saveexec_b64 s[6:7], vcc
	s_cbranch_execz .LBB1118_321
; %bb.320:
	flat_load_dwordx2 v[18:19], v[0:1]
.LBB1118_321:
	s_or_b64 exec, exec, s[6:7]
                                        ; implicit-def: $vgpr20_vgpr21
	s_and_saveexec_b64 s[6:7], s[4:5]
	s_cbranch_execz .LBB1118_323
; %bb.322:
	flat_load_dwordx2 v[20:21], v[0:1] offset:512
.LBB1118_323:
	s_or_b64 exec, exec, s[6:7]
	v_bfrev_b32_e32 v25, -2
	s_waitcnt vmcnt(0) lgkmcnt(0)
	v_cmp_gt_i64_e32 vcc, 0, v[14:15]
	v_cndmask_b32_e64 v0, v25, 0, vcc
	v_cmp_gt_i64_e32 vcc, 0, v[16:17]
	v_xor_b32_e32 v51, v0, v15
	v_cndmask_b32_e64 v0, v25, 0, vcc
	v_add_co_u32_e32 v27, vcc, 16, v12
	v_addc_co_u32_e32 v66, vcc, 0, v13, vcc
	v_lshlrev_b32_e32 v4, 4, v26
	v_add_co_u32_e32 v4, vcc, v12, v4
	s_getpc_b64 s[4:5]
	s_add_u32 s4, s4, _ZN7rocprim17ROCPRIM_400000_NS16block_radix_sortIdLj256ELj2ElLj1ELj1ELj8ELNS0_26block_radix_rank_algorithmE2ELNS0_18block_padding_hintE2ELNS0_4arch9wavefront6targetE1EE19radix_bits_per_passE@rel32@lo+4
	s_addc_u32 s5, s5, _ZN7rocprim17ROCPRIM_400000_NS16block_radix_sortIdLj256ELj2ElLj1ELj1ELj8ELNS0_26block_radix_rank_algorithmE2ELNS0_18block_padding_hintE2ELNS0_4arch9wavefront6targetE1EE19radix_bits_per_passE@rel32@hi+12
	v_addc_co_u32_e32 v5, vcc, 0, v13, vcc
	v_and_b32_e32 v8, 15, v30
	s_load_dword s44, s[4:5], 0x0
	v_cmp_eq_u32_e32 vcc, 0, v8
	v_cmp_lt_u32_e64 s[4:5], 1, v8
	v_cmp_lt_u32_e64 s[6:7], 3, v8
	;; [unrolled: 1-line block ×3, first 2 shown]
	v_and_b32_e32 v8, 16, v30
	v_cmp_eq_u32_e64 s[10:11], 0, v8
	v_and_b32_e32 v8, 0x3c0, v26
	v_min_u32_e32 v8, 0xc0, v8
	v_or_b32_e32 v8, 63, v8
	v_ashrrev_i32_e32 v1, 31, v15
	v_cmp_eq_u32_e64 s[14:15], v8, v26
	v_add_u32_e32 v8, -1, v30
	v_and_b32_e32 v9, 64, v30
	v_not_b32_e32 v1, v1
	v_cmp_lt_i32_e64 s[20:21], v8, v9
	v_xor_b32_e32 v50, v1, v14
	v_lshrrev_b32_e32 v14, 6, v26
	v_cndmask_b32_e64 v8, v8, v30, s[20:21]
	v_lshlrev_b32_e32 v68, 2, v8
	v_lshlrev_b32_e32 v8, 2, v14
	v_add_co_u32_e64 v8, s[24:25], v12, v8
	v_xor_b32_e32 v53, v0, v17
	v_lshlrev_b32_e32 v0, 2, v26
	v_addc_co_u32_e64 v9, s[24:25], 0, v13, s[24:25]
	v_ashrrev_i32_e32 v1, 31, v17
	v_add_co_u32_e64 v28, s[24:25], v12, v0
	v_not_b32_e32 v1, v1
	v_addc_co_u32_e64 v29, s[24:25], 0, v13, s[24:25]
	v_and_b32_e32 v0, 3, v30
	v_xor_b32_e32 v52, v1, v16
	v_mov_b32_e32 v1, 0
	v_cmp_eq_u32_e64 s[24:25], 0, v0
	v_cmp_lt_u32_e64 s[26:27], 1, v0
	v_add_u32_e32 v0, -1, v14
	v_lshlrev_b64 v[14:15], 2, v[0:1]
	v_cmp_lt_u32_e64 s[12:13], 31, v30
	v_cmp_eq_u32_e64 s[20:21], 0, v30
	v_add_co_u32_e64 v30, s[28:29], v12, v14
	v_addc_co_u32_e64 v31, s[28:29], v13, v15, s[28:29]
	v_lshlrev_b32_e32 v0, 1, v26
	s_movk_i32 s28, 0x780
	v_and_or_b32 v0, v0, s28, v32
	v_lshlrev_b32_e32 v0, 3, v0
	s_mov_b32 s38, 0
	v_add_co_u32_e64 v32, s[28:29], v12, v0
	s_mov_b64 s[36:37], 0
	s_brev_b32 s39, 1
	v_lshrrev_b32_e32 v67, 6, v24
	v_cmp_gt_u32_e64 s[16:17], 4, v26
	v_cmp_lt_u32_e64 s[18:19], 63, v26
	v_cmp_eq_u32_e64 s[22:23], 0, v26
	v_addc_co_u32_e64 v33, s[28:29], 0, v13, s[28:29]
	v_sub_u32_e32 v69, v11, v10
	v_mov_b32_e32 v14, v1
	v_mov_b32_e32 v15, v1
	;; [unrolled: 1-line block ×4, first 2 shown]
	s_waitcnt lgkmcnt(0)
	s_barrier
	s_branch .LBB1118_325
.LBB1118_324:                           ;   in Loop: Header=BB1118_325 Depth=1
	s_or_b64 exec, exec, s[30:31]
	s_and_b64 s[28:29], exec, s[40:41]
	s_or_b64 s[36:37], s[28:29], s[36:37]
	s_andn2_b64 exec, exec, s[36:37]
	s_cbranch_execz .LBB1118_343
.LBB1118_325:                           ; =>This Inner Loop Header: Depth=1
	s_waitcnt vmcnt(0)
	v_pk_mov_b32 v[48:49], v[50:51], v[50:51] op_sel:[0,1]
	v_min_u32_e32 v0, s44, v69
	v_cmp_ne_u64_e64 s[28:29], s[38:39], v[48:49]
	v_pk_mov_b32 v[36:37], v[18:19], v[18:19] op_sel:[0,1]
	v_lshlrev_b32_e64 v0, v0, -1
	v_cndmask_b32_e64 v19, v25, v49, s[28:29]
	v_cndmask_b32_e64 v18, -1, v48, s[28:29]
	v_pk_mov_b32 v[34:35], v[20:21], v[20:21] op_sel:[0,1]
	v_not_b32_e32 v20, v0
	v_lshrrev_b64 v[18:19], v10, v[18:19]
	v_and_b32_e32 v21, v18, v20
	v_lshl_add_u32 v0, v21, 2, v67
	v_lshlrev_b64 v[18:19], 2, v[0:1]
	v_add_co_u32_e64 v50, s[28:29], v27, v18
	v_addc_co_u32_e64 v51, s[28:29], v66, v19, s[28:29]
	v_and_b32_e32 v0, 1, v21
	v_add_co_u32_e64 v18, s[28:29], -1, v0
	v_addc_co_u32_e64 v19, s[28:29], 0, -1, s[28:29]
	v_cmp_ne_u32_e64 s[28:29], 0, v0
	v_xor_b32_e32 v18, s28, v18
	v_pk_mov_b32 v[38:39], v[52:53], v[52:53] op_sel:[0,1]
	v_xor_b32_e32 v0, s29, v19
	v_and_b32_e32 v52, exec_lo, v18
	v_lshlrev_b32_e32 v19, 30, v21
	v_mov_b32_e32 v18, v1
	v_cmp_gt_i64_e64 s[28:29], 0, v[18:19]
	v_not_b32_e32 v18, v19
	v_ashrrev_i32_e32 v18, 31, v18
	v_and_b32_e32 v0, exec_hi, v0
	v_xor_b32_e32 v19, s29, v18
	v_xor_b32_e32 v18, s28, v18
	v_and_b32_e32 v0, v0, v19
	v_and_b32_e32 v52, v52, v18
	v_lshlrev_b32_e32 v19, 29, v21
	v_mov_b32_e32 v18, v1
	v_cmp_gt_i64_e64 s[28:29], 0, v[18:19]
	v_not_b32_e32 v18, v19
	v_ashrrev_i32_e32 v18, 31, v18
	v_xor_b32_e32 v19, s29, v18
	v_xor_b32_e32 v18, s28, v18
	v_and_b32_e32 v0, v0, v19
	v_and_b32_e32 v52, v52, v18
	v_lshlrev_b32_e32 v19, 28, v21
	v_mov_b32_e32 v18, v1
	v_cmp_gt_i64_e64 s[28:29], 0, v[18:19]
	v_not_b32_e32 v18, v19
	v_ashrrev_i32_e32 v18, 31, v18
	;; [unrolled: 9-line block ×6, first 2 shown]
	v_xor_b32_e32 v19, s29, v18
	v_xor_b32_e32 v18, s28, v18
	v_and_b32_e32 v18, v52, v18
	v_and_b32_e32 v19, v0, v19
	v_mbcnt_lo_u32_b32 v0, v18, 0
	v_mbcnt_hi_u32_b32 v54, v19, v0
	v_cmp_eq_u32_e64 s[28:29], 0, v54
	v_cmp_ne_u64_e64 s[30:31], 0, v[18:19]
	s_and_b64 s[30:31], s[30:31], s[28:29]
	flat_store_dwordx4 v[4:5], v[14:17] offset:16
	s_waitcnt lgkmcnt(0)
	s_barrier
	s_waitcnt lgkmcnt(0)
	; wave barrier
	s_and_saveexec_b64 s[28:29], s[30:31]
	s_cbranch_execz .LBB1118_327
; %bb.326:                              ;   in Loop: Header=BB1118_325 Depth=1
	v_bcnt_u32_b32 v0, v18, 0
	v_bcnt_u32_b32 v0, v19, v0
	flat_store_dword v[50:51], v0
.LBB1118_327:                           ;   in Loop: Header=BB1118_325 Depth=1
	s_or_b64 exec, exec, s[28:29]
	v_cmp_ne_u64_e64 s[28:29], s[38:39], v[38:39]
	v_cndmask_b32_e64 v19, v25, v39, s[28:29]
	v_cndmask_b32_e64 v18, -1, v38, s[28:29]
	v_lshrrev_b64 v[18:19], v10, v[18:19]
	v_and_b32_e32 v20, v18, v20
	v_lshl_add_u32 v0, v20, 2, v67
	v_lshlrev_b64 v[18:19], 2, v[0:1]
	v_add_co_u32_e64 v52, s[28:29], v27, v18
	v_addc_co_u32_e64 v53, s[28:29], v66, v19, s[28:29]
	; wave barrier
	flat_load_dword v55, v[52:53]
	v_and_b32_e32 v0, 1, v20
	v_add_co_u32_e64 v18, s[28:29], -1, v0
	v_addc_co_u32_e64 v19, s[28:29], 0, -1, s[28:29]
	v_cmp_ne_u32_e64 s[28:29], 0, v0
	v_xor_b32_e32 v18, s28, v18
	v_xor_b32_e32 v0, s29, v19
	v_and_b32_e32 v21, exec_lo, v18
	v_lshlrev_b32_e32 v19, 30, v20
	v_mov_b32_e32 v18, v1
	v_cmp_gt_i64_e64 s[28:29], 0, v[18:19]
	v_not_b32_e32 v18, v19
	v_ashrrev_i32_e32 v18, 31, v18
	v_and_b32_e32 v0, exec_hi, v0
	v_xor_b32_e32 v19, s29, v18
	v_xor_b32_e32 v18, s28, v18
	v_and_b32_e32 v0, v0, v19
	v_and_b32_e32 v21, v21, v18
	v_lshlrev_b32_e32 v19, 29, v20
	v_mov_b32_e32 v18, v1
	v_cmp_gt_i64_e64 s[28:29], 0, v[18:19]
	v_not_b32_e32 v18, v19
	v_ashrrev_i32_e32 v18, 31, v18
	v_xor_b32_e32 v19, s29, v18
	v_xor_b32_e32 v18, s28, v18
	v_and_b32_e32 v0, v0, v19
	v_and_b32_e32 v21, v21, v18
	v_lshlrev_b32_e32 v19, 28, v20
	v_mov_b32_e32 v18, v1
	v_cmp_gt_i64_e64 s[28:29], 0, v[18:19]
	v_not_b32_e32 v18, v19
	v_ashrrev_i32_e32 v18, 31, v18
	;; [unrolled: 9-line block ×6, first 2 shown]
	v_xor_b32_e32 v19, s29, v18
	v_xor_b32_e32 v18, s28, v18
	v_and_b32_e32 v18, v21, v18
	v_and_b32_e32 v19, v0, v19
	v_mbcnt_lo_u32_b32 v0, v18, 0
	v_mbcnt_hi_u32_b32 v64, v19, v0
	v_cmp_eq_u32_e64 s[28:29], 0, v64
	v_cmp_ne_u64_e64 s[30:31], 0, v[18:19]
	s_and_b64 s[30:31], s[30:31], s[28:29]
	; wave barrier
	s_and_saveexec_b64 s[28:29], s[30:31]
	s_cbranch_execz .LBB1118_329
; %bb.328:                              ;   in Loop: Header=BB1118_325 Depth=1
	v_bcnt_u32_b32 v0, v18, 0
	v_bcnt_u32_b32 v0, v19, v0
	s_waitcnt vmcnt(0) lgkmcnt(0)
	v_add_u32_e32 v0, v55, v0
	flat_store_dword v[52:53], v0
.LBB1118_329:                           ;   in Loop: Header=BB1118_325 Depth=1
	s_or_b64 exec, exec, s[28:29]
	; wave barrier
	s_waitcnt lgkmcnt(0)
	s_barrier
	flat_load_dwordx4 v[18:21], v[4:5] offset:16
	s_waitcnt vmcnt(0) lgkmcnt(0)
	v_add_u32_e32 v0, v19, v18
	v_add3_u32 v0, v0, v20, v21
	s_nop 1
	v_mov_b32_dpp v21, v0 row_shr:1 row_mask:0xf bank_mask:0xf
	v_cndmask_b32_e64 v21, v21, 0, vcc
	v_add_u32_e32 v0, v21, v0
	s_nop 1
	v_mov_b32_dpp v21, v0 row_shr:2 row_mask:0xf bank_mask:0xf
	v_cndmask_b32_e64 v21, 0, v21, s[4:5]
	v_add_u32_e32 v0, v0, v21
	s_nop 1
	v_mov_b32_dpp v21, v0 row_shr:4 row_mask:0xf bank_mask:0xf
	v_cndmask_b32_e64 v21, 0, v21, s[6:7]
	;; [unrolled: 4-line block ×3, first 2 shown]
	v_add_u32_e32 v0, v0, v21
	s_nop 1
	v_mov_b32_dpp v21, v0 row_bcast:15 row_mask:0xf bank_mask:0xf
	v_cndmask_b32_e64 v21, v21, 0, s[10:11]
	v_add_u32_e32 v0, v0, v21
	s_nop 1
	v_mov_b32_dpp v21, v0 row_bcast:31 row_mask:0xf bank_mask:0xf
	v_cndmask_b32_e64 v21, 0, v21, s[12:13]
	v_add_u32_e32 v0, v0, v21
	s_and_saveexec_b64 s[28:29], s[14:15]
	s_cbranch_execz .LBB1118_331
; %bb.330:                              ;   in Loop: Header=BB1118_325 Depth=1
	flat_store_dword v[8:9], v0
.LBB1118_331:                           ;   in Loop: Header=BB1118_325 Depth=1
	s_or_b64 exec, exec, s[28:29]
	s_waitcnt lgkmcnt(0)
	s_barrier
	s_and_saveexec_b64 s[28:29], s[16:17]
	s_cbranch_execz .LBB1118_333
; %bb.332:                              ;   in Loop: Header=BB1118_325 Depth=1
	flat_load_dword v21, v[28:29]
	s_waitcnt vmcnt(0) lgkmcnt(0)
	s_nop 0
	v_mov_b32_dpp v65, v21 row_shr:1 row_mask:0xf bank_mask:0xf
	v_cndmask_b32_e64 v65, v65, 0, s[24:25]
	v_add_u32_e32 v21, v65, v21
	s_nop 1
	v_mov_b32_dpp v65, v21 row_shr:2 row_mask:0xf bank_mask:0xf
	v_cndmask_b32_e64 v65, 0, v65, s[26:27]
	v_add_u32_e32 v21, v21, v65
	flat_store_dword v[28:29], v21
.LBB1118_333:                           ;   in Loop: Header=BB1118_325 Depth=1
	s_or_b64 exec, exec, s[28:29]
	v_mov_b32_e32 v21, 0
	s_waitcnt lgkmcnt(0)
	s_barrier
	s_and_saveexec_b64 s[28:29], s[18:19]
	s_cbranch_execz .LBB1118_335
; %bb.334:                              ;   in Loop: Header=BB1118_325 Depth=1
	flat_load_dword v21, v[30:31]
.LBB1118_335:                           ;   in Loop: Header=BB1118_325 Depth=1
	s_or_b64 exec, exec, s[28:29]
	s_waitcnt vmcnt(0) lgkmcnt(0)
	v_add_u32_e32 v0, v21, v0
	ds_bpermute_b32 v0, v68, v0
	v_add_u32_e32 v10, 8, v10
	v_cmp_lt_u32_e64 s[28:29], v10, v11
	s_mov_b64 s[40:41], -1
	s_waitcnt lgkmcnt(0)
	v_cndmask_b32_e64 v0, v0, v21, s[20:21]
	v_cndmask_b32_e64 v80, v0, 0, s[22:23]
	v_add_u32_e32 v81, v80, v18
	v_add_u32_e32 v82, v81, v19
	;; [unrolled: 1-line block ×3, first 2 shown]
	flat_store_dwordx4 v[4:5], v[80:83] offset:16
	s_waitcnt lgkmcnt(0)
	s_barrier
	flat_load_dword v0, v[50:51]
	flat_load_dword v18, v[52:53]
	v_mov_b32_e32 v19, v1
	s_waitcnt lgkmcnt(0)
                                        ; implicit-def: $vgpr52_vgpr53
                                        ; implicit-def: $vgpr50_vgpr51
	s_waitcnt vmcnt(0) lgkmcnt(0)
	v_add_u32_e32 v0, v0, v54
	v_lshlrev_b64 v[20:21], 3, v[0:1]
	v_add3_u32 v18, v64, v55, v18
	v_add_co_u32_e64 v54, s[30:31], v12, v20
	v_lshlrev_b64 v[18:19], 3, v[18:19]
	v_addc_co_u32_e64 v55, s[30:31], v13, v21, s[30:31]
	v_add_co_u32_e64 v64, s[30:31], v12, v18
	v_addc_co_u32_e64 v65, s[30:31], v13, v19, s[30:31]
                                        ; implicit-def: $vgpr20_vgpr21
                                        ; implicit-def: $vgpr18_vgpr19
	s_and_saveexec_b64 s[30:31], s[28:29]
	s_cbranch_execz .LBB1118_324
; %bb.336:                              ;   in Loop: Header=BB1118_325 Depth=1
	s_barrier
	flat_store_dwordx2 v[54:55], v[48:49]
	flat_store_dwordx2 v[64:65], v[38:39]
	s_waitcnt lgkmcnt(0)
	s_barrier
	flat_load_dwordx2 v[50:51], v[32:33]
	flat_load_dwordx2 v[52:53], v[32:33] offset:512
	s_waitcnt lgkmcnt(0)
	s_barrier
	flat_store_dwordx2 v[54:55], v[36:37]
	flat_store_dwordx2 v[64:65], v[34:35]
	s_waitcnt lgkmcnt(0)
	s_barrier
	flat_load_dwordx2 v[18:19], v[32:33]
	flat_load_dwordx2 v[20:21], v[32:33] offset:512
	v_add_u32_e32 v69, -8, v69
	s_xor_b64 s[40:41], exec, -1
	s_waitcnt lgkmcnt(0)
	s_barrier
	s_branch .LBB1118_324
.LBB1118_337:
	flat_load_dwordx2 v[54:55], v[4:5]
	s_or_b64 exec, exec, s[14:15]
                                        ; implicit-def: $vgpr64_vgpr65
	s_and_saveexec_b64 s[14:15], s[4:5]
	s_cbranch_execz .LBB1118_264
.LBB1118_338:
	flat_load_dwordx2 v[64:65], v[4:5] offset:512
	s_or_b64 exec, exec, s[14:15]
                                        ; implicit-def: $vgpr66_vgpr67
	s_and_saveexec_b64 s[4:5], s[6:7]
	s_cbranch_execz .LBB1118_265
.LBB1118_339:
	flat_load_dwordx2 v[66:67], v[4:5] offset:1024
	s_or_b64 exec, exec, s[4:5]
                                        ; implicit-def: $vgpr68_vgpr69
	s_and_saveexec_b64 s[4:5], s[10:11]
	s_cbranch_execnz .LBB1118_266
	s_branch .LBB1118_267
.LBB1118_340:
	s_waitcnt vmcnt(0)
	flat_store_dwordx2 v[0:1], v[12:13]
	s_or_b64 exec, exec, s[16:17]
	s_and_saveexec_b64 s[4:5], s[6:7]
	s_cbranch_execz .LBB1118_309
.LBB1118_341:
	s_waitcnt vmcnt(0)
	flat_store_dwordx2 v[0:1], v[10:11] offset:2048
	s_or_b64 exec, exec, s[4:5]
	s_and_saveexec_b64 s[4:5], s[10:11]
	s_cbranch_execz .LBB1118_310
.LBB1118_342:
	v_add_co_u32_e32 v2, vcc, 0x1000, v0
	v_addc_co_u32_e32 v3, vcc, 0, v1, vcc
	s_waitcnt vmcnt(0)
	flat_store_dwordx2 v[2:3], v[8:9]
	s_or_b64 exec, exec, s[4:5]
	s_and_saveexec_b64 s[4:5], s[14:15]
	s_cbranch_execnz .LBB1118_311
	s_branch .LBB1118_312
.LBB1118_343:
	s_or_b64 exec, exec, s[36:37]
	v_lshlrev_b32_e32 v0, 3, v26
	v_add_co_u32_e32 v10, vcc, v12, v0
	v_addc_co_u32_e32 v11, vcc, 0, v13, vcc
	s_barrier
	flat_store_dwordx2 v[54:55], v[48:49]
	flat_store_dwordx2 v[64:65], v[38:39]
	s_waitcnt lgkmcnt(0)
	s_barrier
	flat_load_dwordx2 v[12:13], v[10:11]
	flat_load_dwordx2 v[8:9], v[10:11] offset:2048
	s_waitcnt lgkmcnt(0)
	s_barrier
	flat_store_dwordx2 v[54:55], v[36:37]
	flat_store_dwordx2 v[64:65], v[34:35]
	s_waitcnt lgkmcnt(0)
	s_barrier
	flat_load_dwordx2 v[4:5], v[10:11]
	flat_load_dwordx2 v[0:1], v[10:11] offset:2048
	v_mov_b32_e32 v25, 0
	v_add_co_u32_e32 v10, vcc, v2, v22
	v_addc_co_u32_e32 v11, vcc, v3, v23, vcc
	v_lshlrev_b64 v[2:3], 3, v[24:25]
	v_add_co_u32_e32 v10, vcc, v10, v2
	v_addc_co_u32_e32 v11, vcc, v11, v3, vcc
	v_cmp_lt_u32_e32 vcc, v24, v152
	s_waitcnt lgkmcnt(0)
	s_barrier
	s_and_saveexec_b64 s[6:7], vcc
	s_cbranch_execz .LBB1118_345
; %bb.344:
	v_bfrev_b32_e32 v14, -2
	s_waitcnt vmcnt(0)
	v_cmp_gt_i64_e64 s[4:5], 0, v[12:13]
	v_ashrrev_i32_e32 v15, 31, v13
	v_cndmask_b32_e64 v14, v14, 0, s[4:5]
	v_not_b32_e32 v15, v15
	v_xor_b32_e32 v13, v14, v13
	v_xor_b32_e32 v12, v15, v12
	flat_store_dwordx2 v[10:11], v[12:13]
.LBB1118_345:
	s_or_b64 exec, exec, s[6:7]
	s_waitcnt vmcnt(0)
	v_add_u32_e32 v12, 0x100, v24
	v_cmp_lt_u32_e64 s[4:5], v12, v152
	s_and_saveexec_b64 s[8:9], s[4:5]
	s_cbranch_execz .LBB1118_347
; %bb.346:
	v_bfrev_b32_e32 v12, -2
	v_cmp_gt_i64_e64 s[6:7], 0, v[8:9]
	v_ashrrev_i32_e32 v13, 31, v9
	v_cndmask_b32_e64 v12, v12, 0, s[6:7]
	v_not_b32_e32 v13, v13
	v_xor_b32_e32 v9, v12, v9
	v_xor_b32_e32 v8, v13, v8
	flat_store_dwordx2 v[10:11], v[8:9] offset:2048
.LBB1118_347:
	s_or_b64 exec, exec, s[8:9]
	v_add_co_u32_e64 v6, s[6:7], v6, v22
	v_addc_co_u32_e64 v7, s[6:7], v7, v23, s[6:7]
	v_add_co_u32_e64 v2, s[6:7], v6, v2
	v_addc_co_u32_e64 v3, s[6:7], v7, v3, s[6:7]
	s_and_saveexec_b64 s[6:7], vcc
	s_cbranch_execz .LBB1118_349
; %bb.348:
	flat_store_dwordx2 v[2:3], v[4:5]
.LBB1118_349:
	s_or_b64 exec, exec, s[6:7]
	s_and_saveexec_b64 s[6:7], s[4:5]
	s_cbranch_execz .LBB1118_351
; %bb.350:
	flat_store_dwordx2 v[2:3], v[0:1] offset:2048
.LBB1118_351:
	s_or_b64 exec, exec, s[6:7]
                                        ; implicit-def: $vgpr26
                                        ; implicit-def: $vgpr24_vgpr25
                                        ; implicit-def: $vgpr22_vgpr23
                                        ; implicit-def: $vgpr152
                                        ; implicit-def: $vgpr0
                                        ; implicit-def: $vgpr1
                                        ; implicit-def: $vgpr2
                                        ; implicit-def: $vgpr3
                                        ; implicit-def: $vgpr4
                                        ; implicit-def: $vgpr5
                                        ; implicit-def: $vgpr6
                                        ; implicit-def: $vgpr7
                                        ; implicit-def: $vgpr10
                                        ; implicit-def: $vgpr11
                                        ; implicit-def: $vgpr12
                                        ; implicit-def: $vgpr13
                                        ; implicit-def: $vgpr14
.LBB1118_352:
	s_andn2_saveexec_b64 s[4:5], s[34:35]
	s_cbranch_execz .LBB1118_372
; %bb.353:
	v_mbcnt_hi_u32_b32 v17, -1, v14
	v_and_b32_e32 v16, 63, v17
	v_bfi_b32 v8, 63, v17, v24
	v_and_b32_e32 v14, 0xffffffc0, v24
	v_cmp_lt_u32_e32 vcc, v8, v152
	v_pk_mov_b32 v[8:9], -1, -1
	v_lshlrev_b32_e32 v20, 3, v16
	s_and_saveexec_b64 s[6:7], vcc
	s_cbranch_execz .LBB1118_355
; %bb.354:
	v_add_co_u32_e64 v0, s[4:5], v0, v22
	v_addc_co_u32_e64 v1, s[4:5], v1, v23, s[4:5]
	v_mov_b32_e32 v15, 0
	v_add_co_u32_e64 v8, s[4:5], v0, v20
	v_addc_co_u32_e64 v9, s[4:5], 0, v1, s[4:5]
	v_lshlrev_b64 v[0:1], 3, v[14:15]
	v_add_co_u32_e64 v0, s[4:5], v8, v0
	v_addc_co_u32_e64 v1, s[4:5], v9, v1, s[4:5]
	flat_load_dwordx2 v[8:9], v[0:1]
.LBB1118_355:
	s_or_b64 exec, exec, s[6:7]
                                        ; implicit-def: $vgpr18_vgpr19
	s_and_saveexec_b64 s[4:5], vcc
	s_cbranch_execz .LBB1118_357
; %bb.356:
	v_add_co_u32_e32 v0, vcc, v4, v22
	v_addc_co_u32_e32 v1, vcc, v5, v23, vcc
	v_mov_b32_e32 v15, 0
	v_add_co_u32_e32 v4, vcc, v0, v20
	v_addc_co_u32_e32 v5, vcc, 0, v1, vcc
	v_lshlrev_b64 v[0:1], 3, v[14:15]
	v_add_co_u32_e32 v0, vcc, v4, v0
	v_addc_co_u32_e32 v1, vcc, v5, v1, vcc
	flat_load_dwordx2 v[18:19], v[0:1]
.LBB1118_357:
	s_or_b64 exec, exec, s[4:5]
	v_bfrev_b32_e32 v25, -2
	s_waitcnt vmcnt(0) lgkmcnt(0)
	v_cmp_gt_i64_e32 vcc, 0, v[8:9]
	v_cndmask_b32_e64 v0, v25, 0, vcc
	v_add_co_u32_e32 v27, vcc, 16, v12
	v_ashrrev_i32_e32 v1, 31, v9
	v_addc_co_u32_e32 v48, vcc, 0, v13, vcc
	v_lshlrev_b32_e32 v4, 4, v26
	v_not_b32_e32 v1, v1
	v_add_co_u32_e32 v4, vcc, v12, v4
	v_xor_b32_e32 v20, v1, v8
	s_getpc_b64 s[4:5]
	s_add_u32 s4, s4, _ZN7rocprim17ROCPRIM_400000_NS16block_radix_sortIdLj256ELj1ElLj1ELj1ELj8ELNS0_26block_radix_rank_algorithmE2ELNS0_18block_padding_hintE2ELNS0_4arch9wavefront6targetE1EE19radix_bits_per_passE@rel32@lo+4
	s_addc_u32 s5, s5, _ZN7rocprim17ROCPRIM_400000_NS16block_radix_sortIdLj256ELj1ElLj1ELj1ELj8ELNS0_26block_radix_rank_algorithmE2ELNS0_18block_padding_hintE2ELNS0_4arch9wavefront6targetE1EE19radix_bits_per_passE@rel32@hi+12
	v_addc_co_u32_e32 v5, vcc, 0, v13, vcc
	v_and_b32_e32 v8, 15, v17
	s_load_dword s40, s[4:5], 0x0
	v_cmp_eq_u32_e32 vcc, 0, v8
	v_cmp_lt_u32_e64 s[4:5], 1, v8
	v_cmp_lt_u32_e64 s[6:7], 3, v8
	;; [unrolled: 1-line block ×3, first 2 shown]
	v_and_b32_e32 v8, 16, v17
	v_and_b32_e32 v32, 0x3c0, v26
	v_cmp_eq_u32_e64 s[10:11], 0, v8
	v_min_u32_e32 v8, 0xc0, v32
	v_or_b32_e32 v8, 63, v8
	v_xor_b32_e32 v21, v0, v9
	v_cmp_eq_u32_e64 s[14:15], v8, v26
	v_add_u32_e32 v8, -1, v17
	v_and_b32_e32 v9, 64, v17
	v_cmp_lt_i32_e64 s[20:21], v8, v9
	v_lshrrev_b32_e32 v14, 6, v26
	v_cndmask_b32_e64 v8, v8, v17, s[20:21]
	v_lshlrev_b32_e32 v50, 2, v8
	v_lshlrev_b32_e32 v8, 2, v14
	v_add_co_u32_e64 v28, s[24:25], v12, v8
	v_lshlrev_b32_e32 v0, 2, v26
	v_addc_co_u32_e64 v29, s[24:25], 0, v13, s[24:25]
	v_add_co_u32_e64 v8, s[24:25], v12, v0
	v_addc_co_u32_e64 v9, s[24:25], 0, v13, s[24:25]
	v_and_b32_e32 v0, 3, v17
	v_mov_b32_e32 v1, 0
	v_cmp_eq_u32_e64 s[24:25], 0, v0
	v_cmp_lt_u32_e64 s[26:27], 1, v0
	v_add_u32_e32 v0, -1, v14
	v_lshlrev_b64 v[14:15], 2, v[0:1]
	v_add_co_u32_e64 v30, s[28:29], v12, v14
	v_or_b32_e32 v0, v16, v32
	v_addc_co_u32_e64 v31, s[28:29], v13, v15, s[28:29]
	v_lshlrev_b32_e32 v0, 3, v0
	s_mov_b32 s36, 0
	v_add_co_u32_e64 v34, s[28:29], v12, v0
	s_mov_b64 s[34:35], 0
	s_brev_b32 s37, 1
	v_lshrrev_b32_e32 v49, 6, v24
	v_cmp_lt_u32_e64 s[12:13], 31, v17
	v_cmp_gt_u32_e64 s[16:17], 4, v26
	v_cmp_lt_u32_e64 s[18:19], 63, v26
	v_cmp_eq_u32_e64 s[20:21], 0, v17
	v_cmp_eq_u32_e64 s[22:23], 0, v26
	v_addc_co_u32_e64 v35, s[28:29], 0, v13, s[28:29]
	v_sub_u32_e32 v51, v11, v10
	v_mov_b32_e32 v14, v1
	v_mov_b32_e32 v15, v1
	;; [unrolled: 1-line block ×4, first 2 shown]
	s_waitcnt lgkmcnt(0)
	s_barrier
	s_branch .LBB1118_359
.LBB1118_358:                           ;   in Loop: Header=BB1118_359 Depth=1
	s_or_b64 exec, exec, s[30:31]
	s_and_b64 s[28:29], exec, s[38:39]
	s_or_b64 s[34:35], s[28:29], s[34:35]
	s_andn2_b64 exec, exec, s[34:35]
	s_cbranch_execz .LBB1118_369
.LBB1118_359:                           ; =>This Inner Loop Header: Depth=1
	s_waitcnt vmcnt(0)
	v_pk_mov_b32 v[36:37], v[20:21], v[20:21] op_sel:[0,1]
	v_cmp_ne_u64_e64 s[28:29], s[36:37], v[36:37]
	v_pk_mov_b32 v[32:33], v[18:19], v[18:19] op_sel:[0,1]
	v_cndmask_b32_e64 v19, v25, v37, s[28:29]
	v_cndmask_b32_e64 v18, -1, v36, s[28:29]
	v_min_u32_e32 v0, s40, v51
	v_lshrrev_b64 v[18:19], v10, v[18:19]
	v_bfe_u32 v20, v18, 0, v0
	v_lshl_add_u32 v0, v20, 2, v49
	v_lshlrev_b64 v[18:19], 2, v[0:1]
	v_add_co_u32_e64 v38, s[28:29], v27, v18
	v_addc_co_u32_e64 v39, s[28:29], v48, v19, s[28:29]
	v_and_b32_e32 v0, 1, v20
	v_add_co_u32_e64 v18, s[28:29], -1, v0
	v_addc_co_u32_e64 v19, s[28:29], 0, -1, s[28:29]
	v_cmp_ne_u32_e64 s[28:29], 0, v0
	v_xor_b32_e32 v18, s28, v18
	v_xor_b32_e32 v0, s29, v19
	v_and_b32_e32 v21, exec_lo, v18
	v_lshlrev_b32_e32 v19, 30, v20
	v_mov_b32_e32 v18, v1
	v_cmp_gt_i64_e64 s[28:29], 0, v[18:19]
	v_not_b32_e32 v18, v19
	v_ashrrev_i32_e32 v18, 31, v18
	v_and_b32_e32 v0, exec_hi, v0
	v_xor_b32_e32 v19, s29, v18
	v_xor_b32_e32 v18, s28, v18
	v_and_b32_e32 v0, v0, v19
	v_and_b32_e32 v21, v21, v18
	v_lshlrev_b32_e32 v19, 29, v20
	v_mov_b32_e32 v18, v1
	v_cmp_gt_i64_e64 s[28:29], 0, v[18:19]
	v_not_b32_e32 v18, v19
	v_ashrrev_i32_e32 v18, 31, v18
	v_xor_b32_e32 v19, s29, v18
	v_xor_b32_e32 v18, s28, v18
	v_and_b32_e32 v0, v0, v19
	v_and_b32_e32 v21, v21, v18
	v_lshlrev_b32_e32 v19, 28, v20
	v_mov_b32_e32 v18, v1
	v_cmp_gt_i64_e64 s[28:29], 0, v[18:19]
	v_not_b32_e32 v18, v19
	v_ashrrev_i32_e32 v18, 31, v18
	;; [unrolled: 9-line block ×6, first 2 shown]
	v_xor_b32_e32 v19, s29, v18
	v_xor_b32_e32 v18, s28, v18
	v_and_b32_e32 v18, v21, v18
	v_and_b32_e32 v19, v0, v19
	v_mbcnt_lo_u32_b32 v0, v18, 0
	v_mbcnt_hi_u32_b32 v0, v19, v0
	v_cmp_eq_u32_e64 s[28:29], 0, v0
	v_cmp_ne_u64_e64 s[30:31], 0, v[18:19]
	s_and_b64 s[30:31], s[30:31], s[28:29]
	flat_store_dwordx4 v[4:5], v[14:17] offset:16
	s_waitcnt lgkmcnt(0)
	s_barrier
	s_waitcnt lgkmcnt(0)
	; wave barrier
	s_and_saveexec_b64 s[28:29], s[30:31]
	s_cbranch_execz .LBB1118_361
; %bb.360:                              ;   in Loop: Header=BB1118_359 Depth=1
	v_bcnt_u32_b32 v18, v18, 0
	v_bcnt_u32_b32 v18, v19, v18
	flat_store_dword v[38:39], v18
.LBB1118_361:                           ;   in Loop: Header=BB1118_359 Depth=1
	s_or_b64 exec, exec, s[28:29]
	; wave barrier
	s_waitcnt lgkmcnt(0)
	s_barrier
	flat_load_dwordx4 v[18:21], v[4:5] offset:16
	s_waitcnt vmcnt(0) lgkmcnt(0)
	v_add_u32_e32 v52, v19, v18
	v_add3_u32 v21, v52, v20, v21
	s_nop 1
	v_mov_b32_dpp v52, v21 row_shr:1 row_mask:0xf bank_mask:0xf
	v_cndmask_b32_e64 v52, v52, 0, vcc
	v_add_u32_e32 v21, v52, v21
	s_nop 1
	v_mov_b32_dpp v52, v21 row_shr:2 row_mask:0xf bank_mask:0xf
	v_cndmask_b32_e64 v52, 0, v52, s[4:5]
	v_add_u32_e32 v21, v21, v52
	s_nop 1
	v_mov_b32_dpp v52, v21 row_shr:4 row_mask:0xf bank_mask:0xf
	v_cndmask_b32_e64 v52, 0, v52, s[6:7]
	;; [unrolled: 4-line block ×3, first 2 shown]
	v_add_u32_e32 v21, v21, v52
	s_nop 1
	v_mov_b32_dpp v52, v21 row_bcast:15 row_mask:0xf bank_mask:0xf
	v_cndmask_b32_e64 v52, v52, 0, s[10:11]
	v_add_u32_e32 v21, v21, v52
	s_nop 1
	v_mov_b32_dpp v52, v21 row_bcast:31 row_mask:0xf bank_mask:0xf
	v_cndmask_b32_e64 v52, 0, v52, s[12:13]
	v_add_u32_e32 v21, v21, v52
	s_and_saveexec_b64 s[28:29], s[14:15]
	s_cbranch_execz .LBB1118_363
; %bb.362:                              ;   in Loop: Header=BB1118_359 Depth=1
	flat_store_dword v[28:29], v21
.LBB1118_363:                           ;   in Loop: Header=BB1118_359 Depth=1
	s_or_b64 exec, exec, s[28:29]
	s_waitcnt lgkmcnt(0)
	s_barrier
	s_and_saveexec_b64 s[28:29], s[16:17]
	s_cbranch_execz .LBB1118_365
; %bb.364:                              ;   in Loop: Header=BB1118_359 Depth=1
	flat_load_dword v52, v[8:9]
	s_waitcnt vmcnt(0) lgkmcnt(0)
	s_nop 0
	v_mov_b32_dpp v53, v52 row_shr:1 row_mask:0xf bank_mask:0xf
	v_cndmask_b32_e64 v53, v53, 0, s[24:25]
	v_add_u32_e32 v52, v53, v52
	s_nop 1
	v_mov_b32_dpp v53, v52 row_shr:2 row_mask:0xf bank_mask:0xf
	v_cndmask_b32_e64 v53, 0, v53, s[26:27]
	v_add_u32_e32 v52, v52, v53
	flat_store_dword v[8:9], v52
.LBB1118_365:                           ;   in Loop: Header=BB1118_359 Depth=1
	s_or_b64 exec, exec, s[28:29]
	v_mov_b32_e32 v52, 0
	s_waitcnt lgkmcnt(0)
	s_barrier
	s_and_saveexec_b64 s[28:29], s[18:19]
	s_cbranch_execz .LBB1118_367
; %bb.366:                              ;   in Loop: Header=BB1118_359 Depth=1
	flat_load_dword v52, v[30:31]
.LBB1118_367:                           ;   in Loop: Header=BB1118_359 Depth=1
	s_or_b64 exec, exec, s[28:29]
	s_waitcnt vmcnt(0) lgkmcnt(0)
	v_add_u32_e32 v21, v52, v21
	ds_bpermute_b32 v21, v50, v21
	v_add_u32_e32 v10, 8, v10
	v_cmp_lt_u32_e64 s[28:29], v10, v11
	s_mov_b64 s[38:39], -1
	s_waitcnt lgkmcnt(0)
	v_cndmask_b32_e64 v21, v21, v52, s[20:21]
	v_cndmask_b32_e64 v52, v21, 0, s[22:23]
	v_add_u32_e32 v53, v52, v18
	v_add_u32_e32 v54, v53, v19
	;; [unrolled: 1-line block ×3, first 2 shown]
	flat_store_dwordx4 v[4:5], v[52:55] offset:16
	s_waitcnt lgkmcnt(0)
	s_barrier
	flat_load_dword v18, v[38:39]
	s_waitcnt lgkmcnt(0)
                                        ; implicit-def: $vgpr20_vgpr21
	s_waitcnt vmcnt(0) lgkmcnt(0)
	v_add_u32_e32 v0, v18, v0
	v_lshlrev_b64 v[18:19], 3, v[0:1]
	v_add_co_u32_e64 v38, s[30:31], v12, v18
	v_addc_co_u32_e64 v39, s[30:31], v13, v19, s[30:31]
                                        ; implicit-def: $vgpr18_vgpr19
	s_and_saveexec_b64 s[30:31], s[28:29]
	s_cbranch_execz .LBB1118_358
; %bb.368:                              ;   in Loop: Header=BB1118_359 Depth=1
	s_barrier
	flat_store_dwordx2 v[38:39], v[36:37]
	s_waitcnt lgkmcnt(0)
	s_barrier
	flat_load_dwordx2 v[20:21], v[34:35]
	s_waitcnt lgkmcnt(0)
	s_barrier
	flat_store_dwordx2 v[38:39], v[32:33]
	s_waitcnt lgkmcnt(0)
	s_barrier
	flat_load_dwordx2 v[18:19], v[34:35]
	v_add_u32_e32 v51, -8, v51
	s_xor_b64 s[38:39], exec, -1
	s_waitcnt lgkmcnt(0)
	s_barrier
	s_branch .LBB1118_358
.LBB1118_369:
	s_or_b64 exec, exec, s[34:35]
	v_lshlrev_b32_e32 v0, 2, v26
	v_add_co_u32_e32 v0, vcc, v8, v0
	v_addc_co_u32_e32 v1, vcc, 0, v9, vcc
	s_barrier
	flat_store_dwordx2 v[38:39], v[36:37]
	s_waitcnt lgkmcnt(0)
	s_barrier
	flat_load_dwordx2 v[4:5], v[0:1]
	s_waitcnt lgkmcnt(0)
	s_barrier
	flat_store_dwordx2 v[38:39], v[32:33]
	s_waitcnt lgkmcnt(0)
	s_barrier
	flat_load_dwordx2 v[0:1], v[0:1]
	v_mov_b32_e32 v25, 0
	v_cmp_lt_u32_e32 vcc, v24, v152
	s_waitcnt lgkmcnt(0)
	s_barrier
	s_and_saveexec_b64 s[4:5], vcc
	s_cbranch_execz .LBB1118_371
; %bb.370:
	v_add_co_u32_e32 v8, vcc, v2, v22
	v_addc_co_u32_e32 v9, vcc, v3, v23, vcc
	v_lshlrev_b64 v[2:3], 3, v[24:25]
	v_add_co_u32_e32 v8, vcc, v8, v2
	v_addc_co_u32_e32 v9, vcc, v9, v3, vcc
	v_bfrev_b32_e32 v10, -2
	s_waitcnt vmcnt(0)
	v_cmp_gt_i64_e32 vcc, 0, v[4:5]
	v_ashrrev_i32_e32 v11, 31, v5
	v_cndmask_b32_e64 v10, v10, 0, vcc
	v_not_b32_e32 v11, v11
	v_xor_b32_e32 v5, v10, v5
	v_xor_b32_e32 v4, v11, v4
	flat_store_dwordx2 v[8:9], v[4:5]
	v_add_co_u32_e32 v4, vcc, v6, v22
	v_addc_co_u32_e32 v5, vcc, v7, v23, vcc
	v_add_co_u32_e32 v2, vcc, v4, v2
	v_addc_co_u32_e32 v3, vcc, v5, v3, vcc
	flat_store_dwordx2 v[2:3], v[0:1]
.LBB1118_371:
	s_or_b64 exec, exec, s[4:5]
.LBB1118_372:
	s_or_b64 exec, exec, s[42:43]
	buffer_load_dword v156, off, s[0:3], s32 ; 4-byte Folded Reload
	buffer_load_dword v155, off, s[0:3], s32 offset:4 ; 4-byte Folded Reload
	buffer_load_dword v154, off, s[0:3], s32 offset:8 ; 4-byte Folded Reload
	;; [unrolled: 1-line block ×30, first 2 shown]
	v_readlane_b32 s30, v157, 15
	v_readlane_b32 s31, v157, 16
	;; [unrolled: 1-line block ×17, first 2 shown]
	v_accvgpr_read_b32 v93, a31             ;  Reload Reuse
	v_accvgpr_read_b32 v92, a30             ;  Reload Reuse
	;; [unrolled: 1-line block ×22, first 2 shown]
	v_accvgpr_read_b32 v47, a9              ;  Reload Reuse
	v_accvgpr_read_b32 v46, a8              ;  Reload Reuse
	;; [unrolled: 1-line block ×8, first 2 shown]
	s_or_saveexec_b64 s[4:5], -1
	buffer_load_dword v157, off, s[0:3], s32 offset:124 ; 4-byte Folded Reload
	s_mov_b64 exec, s[4:5]
	s_waitcnt vmcnt(0) lgkmcnt(0)
	s_setpc_b64 s[30:31]
.Lfunc_end1118:
	.size	_ZN7rocprim17ROCPRIM_400000_NS6detail40segmented_radix_sort_single_block_helperIdlLj256ELj16ELb1EE4sortIPKdPdPKlPlEEbT_T0_T1_T2_jjjjRNS3_12storage_typeE, .Lfunc_end1118-_ZN7rocprim17ROCPRIM_400000_NS6detail40segmented_radix_sort_single_block_helperIdlLj256ELj16ELb1EE4sortIPKdPdPKlPlEEbT_T0_T1_T2_jjjjRNS3_12storage_typeE
                                        ; -- End function
	.section	.AMDGPU.csdata,"",@progbits
; Function info:
; codeLenInByte = 32784
; NumSgprs: 53
; NumVgprs: 248
; NumAgprs: 32
; TotalNumVgprs: 280
; ScratchSize: 132
; MemoryBound: 1
	.section	.text._ZN7rocprim17ROCPRIM_400000_NS6detail17trampoline_kernelINS0_14default_configENS1_36segmented_radix_sort_config_selectorIdlEEZNS1_25segmented_radix_sort_implIS3_Lb1EPKdPdPKlPlN2at6native12_GLOBAL__N_18offset_tEEE10hipError_tPvRmT1_PNSt15iterator_traitsISK_E10value_typeET2_T3_PNSL_ISQ_E10value_typeET4_jRbjT5_SW_jjP12ihipStream_tbEUlT_E_NS1_11comp_targetILNS1_3genE4ELNS1_11target_archE910ELNS1_3gpuE8ELNS1_3repE0EEENS1_30default_config_static_selectorELNS0_4arch9wavefront6targetE1EEEvSK_,"axG",@progbits,_ZN7rocprim17ROCPRIM_400000_NS6detail17trampoline_kernelINS0_14default_configENS1_36segmented_radix_sort_config_selectorIdlEEZNS1_25segmented_radix_sort_implIS3_Lb1EPKdPdPKlPlN2at6native12_GLOBAL__N_18offset_tEEE10hipError_tPvRmT1_PNSt15iterator_traitsISK_E10value_typeET2_T3_PNSL_ISQ_E10value_typeET4_jRbjT5_SW_jjP12ihipStream_tbEUlT_E_NS1_11comp_targetILNS1_3genE4ELNS1_11target_archE910ELNS1_3gpuE8ELNS1_3repE0EEENS1_30default_config_static_selectorELNS0_4arch9wavefront6targetE1EEEvSK_,comdat
	.globl	_ZN7rocprim17ROCPRIM_400000_NS6detail17trampoline_kernelINS0_14default_configENS1_36segmented_radix_sort_config_selectorIdlEEZNS1_25segmented_radix_sort_implIS3_Lb1EPKdPdPKlPlN2at6native12_GLOBAL__N_18offset_tEEE10hipError_tPvRmT1_PNSt15iterator_traitsISK_E10value_typeET2_T3_PNSL_ISQ_E10value_typeET4_jRbjT5_SW_jjP12ihipStream_tbEUlT_E_NS1_11comp_targetILNS1_3genE4ELNS1_11target_archE910ELNS1_3gpuE8ELNS1_3repE0EEENS1_30default_config_static_selectorELNS0_4arch9wavefront6targetE1EEEvSK_ ; -- Begin function _ZN7rocprim17ROCPRIM_400000_NS6detail17trampoline_kernelINS0_14default_configENS1_36segmented_radix_sort_config_selectorIdlEEZNS1_25segmented_radix_sort_implIS3_Lb1EPKdPdPKlPlN2at6native12_GLOBAL__N_18offset_tEEE10hipError_tPvRmT1_PNSt15iterator_traitsISK_E10value_typeET2_T3_PNSL_ISQ_E10value_typeET4_jRbjT5_SW_jjP12ihipStream_tbEUlT_E_NS1_11comp_targetILNS1_3genE4ELNS1_11target_archE910ELNS1_3gpuE8ELNS1_3repE0EEENS1_30default_config_static_selectorELNS0_4arch9wavefront6targetE1EEEvSK_
	.p2align	8
	.type	_ZN7rocprim17ROCPRIM_400000_NS6detail17trampoline_kernelINS0_14default_configENS1_36segmented_radix_sort_config_selectorIdlEEZNS1_25segmented_radix_sort_implIS3_Lb1EPKdPdPKlPlN2at6native12_GLOBAL__N_18offset_tEEE10hipError_tPvRmT1_PNSt15iterator_traitsISK_E10value_typeET2_T3_PNSL_ISQ_E10value_typeET4_jRbjT5_SW_jjP12ihipStream_tbEUlT_E_NS1_11comp_targetILNS1_3genE4ELNS1_11target_archE910ELNS1_3gpuE8ELNS1_3repE0EEENS1_30default_config_static_selectorELNS0_4arch9wavefront6targetE1EEEvSK_,@function
_ZN7rocprim17ROCPRIM_400000_NS6detail17trampoline_kernelINS0_14default_configENS1_36segmented_radix_sort_config_selectorIdlEEZNS1_25segmented_radix_sort_implIS3_Lb1EPKdPdPKlPlN2at6native12_GLOBAL__N_18offset_tEEE10hipError_tPvRmT1_PNSt15iterator_traitsISK_E10value_typeET2_T3_PNSL_ISQ_E10value_typeET4_jRbjT5_SW_jjP12ihipStream_tbEUlT_E_NS1_11comp_targetILNS1_3genE4ELNS1_11target_archE910ELNS1_3gpuE8ELNS1_3repE0EEENS1_30default_config_static_selectorELNS0_4arch9wavefront6targetE1EEEvSK_: ; @_ZN7rocprim17ROCPRIM_400000_NS6detail17trampoline_kernelINS0_14default_configENS1_36segmented_radix_sort_config_selectorIdlEEZNS1_25segmented_radix_sort_implIS3_Lb1EPKdPdPKlPlN2at6native12_GLOBAL__N_18offset_tEEE10hipError_tPvRmT1_PNSt15iterator_traitsISK_E10value_typeET2_T3_PNSL_ISQ_E10value_typeET4_jRbjT5_SW_jjP12ihipStream_tbEUlT_E_NS1_11comp_targetILNS1_3genE4ELNS1_11target_archE910ELNS1_3gpuE8ELNS1_3repE0EEENS1_30default_config_static_selectorELNS0_4arch9wavefront6targetE1EEEvSK_
; %bb.0:
	s_add_u32 flat_scratch_lo, s6, s10
	s_addc_u32 flat_scratch_hi, s7, 0
	s_mov_b64 s[50:51], s[4:5]
	s_load_dwordx2 s[12:13], s[4:5], 0x38
	s_nop 0
	s_load_dwordx4 s[4:7], s[4:5], 0x40
	s_add_u32 s0, s0, s10
                                        ; implicit-def: $vgpr236 : SGPR spill to VGPR lane
	s_mov_b32 s11, 0
	s_mov_b32 s10, s8
	s_addc_u32 s1, s1, 0
	v_writelane_b32 v236, s9, 0
	s_lshl_b64 s[10:11], s[10:11], 2
	v_writelane_b32 v236, s8, 1
	s_waitcnt lgkmcnt(0)
	s_add_u32 s8, s12, s10
	s_addc_u32 s9, s13, s11
	s_load_dword s8, s[8:9], 0x0
	s_mov_b32 s32, 0
	s_waitcnt lgkmcnt(0)
	s_add_i32 s5, s8, s5
	s_add_i32 s96, s8, s7
	s_mul_i32 s33, s5, s4
	s_mul_i32 s96, s96, s6
	s_cmp_le_u32 s96, s33
	s_cbranch_scc1 .LBB1119_1190
; %bb.1:
	s_load_dword s4, s[50:51], 0x30
	s_load_dwordx4 s[80:83], s[50:51], 0x20
	s_load_dwordx4 s[52:55], s[50:51], 0x50
	s_load_dwordx8 s[72:79], s[50:51], 0x0
	s_waitcnt lgkmcnt(0)
	s_bitcmp1_b32 s4, 0
	s_cselect_b64 s[88:89], -1, 0
	s_sub_i32 s4, s96, s33
	v_writelane_b32 v236, s4, 2
	s_cmpk_lt_u32 s4, 0x1001
	s_mov_b64 s[4:5], -1
	s_cbranch_scc0 .LBB1119_7
; %bb.2:
	s_and_b32 s4, s52, 1
	v_cndmask_b32_e64 v1, 0, 1, s[88:89]
	v_cmp_ne_u32_e32 vcc, s4, v1
	s_mov_b64 s[4:5], -1
	s_cbranch_vccnz .LBB1119_4
; %bb.3:
	s_add_u32 s8, s50, 0x60
	s_mov_b64 s[4:5], src_shared_base
	s_addc_u32 s9, s51, 0
	v_readlane_b32 s12, v236, 1
	v_readlane_b32 s13, v236, 0
	v_mov_b32_e32 v31, v0
	v_mov_b32_e32 v40, v0
	;; [unrolled: 1-line block ×16, first 2 shown]
	s_getpc_b64 s[6:7]
	s_add_u32 s6, s6, _ZN7rocprim17ROCPRIM_400000_NS6detail40segmented_radix_sort_single_block_helperIdlLj256ELj16ELb1EE4sortIPKdPdPKlPlEEbT_T0_T1_T2_jjjjRNS3_12storage_typeE@rel32@lo+4
	s_addc_u32 s7, s7, _ZN7rocprim17ROCPRIM_400000_NS6detail40segmented_radix_sort_single_block_helperIdlLj256ELj16ELb1EE4sortIPKdPdPKlPlEEbT_T0_T1_T2_jjjjRNS3_12storage_typeE@rel32@hi+12
	s_swappc_b64 s[30:31], s[6:7]
	v_mov_b32_e32 v0, v40
	s_mov_b64 s[4:5], 0
.LBB1119_4:
	s_andn2_b64 vcc, exec, s[4:5]
	s_cbranch_vccnz .LBB1119_6
; %bb.5:
	s_add_u32 s8, s50, 0x60
	s_mov_b64 s[4:5], src_shared_base
	s_addc_u32 s9, s51, 0
	v_readlane_b32 s12, v236, 1
	v_readlane_b32 s13, v236, 0
	v_mov_b32_e32 v31, v0
	v_mov_b32_e32 v40, v0
	;; [unrolled: 1-line block ×16, first 2 shown]
	s_getpc_b64 s[6:7]
	s_add_u32 s6, s6, _ZN7rocprim17ROCPRIM_400000_NS6detail40segmented_radix_sort_single_block_helperIdlLj256ELj16ELb1EE4sortIPKdPdPKlPlEEbT_T0_T1_T2_jjjjRNS3_12storage_typeE@rel32@lo+4
	s_addc_u32 s7, s7, _ZN7rocprim17ROCPRIM_400000_NS6detail40segmented_radix_sort_single_block_helperIdlLj256ELj16ELb1EE4sortIPKdPdPKlPlEEbT_T0_T1_T2_jjjjRNS3_12storage_typeE@rel32@hi+12
	s_swappc_b64 s[30:31], s[6:7]
	v_mov_b32_e32 v0, v40
.LBB1119_6:
	s_mov_b64 s[4:5], 0
.LBB1119_7:
	s_andn2_b64 vcc, exec, s[4:5]
	s_cbranch_vccnz .LBB1119_1190
; %bb.8:
	s_cmp_ge_u32 s53, s54
	s_cbranch_scc1 .LBB1119_1190
; %bb.9:
	v_and_b32_e32 v2, 0x3ff, v0
	v_lshlrev_b32_e32 v5, 3, v2
	v_lshlrev_b32_e32 v33, 4, v2
	v_mov_b32_e32 v10, s77
	v_add_co_u32_e32 v9, vcc, s76, v5
	v_and_b32_e32 v34, 0xc00, v33
	v_bfe_u32 v23, v0, 20, 10
	v_bfe_u32 v25, v0, 10, 10
	v_mul_u32_u24_e32 v0, 5, v2
	v_mov_b32_e32 v29, 0x410
	v_addc_co_u32_e32 v11, vcc, 0, v10, vcc
	v_lshl_add_u32 v31, v0, 2, v29
	v_lshlrev_b32_e32 v0, 3, v34
	v_mov_b32_e32 v35, s83
	v_add_co_u32_e32 v100, vcc, s82, v0
	v_addc_co_u32_e32 v101, vcc, 0, v35, vcc
	v_mov_b32_e32 v35, s77
	v_add_co_u32_e32 v102, vcc, s76, v0
	v_addc_co_u32_e32 v103, vcc, 0, v35, vcc
	;; [unrolled: 3-line block ×6, first 2 shown]
	v_add_u32_e32 v104, 0x400, v5
	v_mov_b32_e32 v5, s79
	v_add_co_u32_e32 v113, vcc, s78, v0
	v_addc_co_u32_e32 v114, vcc, 0, v5, vcc
	v_add_co_u32_e32 v115, vcc, s72, v0
	v_mbcnt_lo_u32_b32 v0, -1, 0
	v_writelane_b32 v236, s33, 3
	v_lshlrev_b32_e32 v3, 2, v2
	v_or_b32_e32 v15, 63, v2
	v_mbcnt_hi_u32_b32 v135, -1, v0
	v_mad_u32_u24 v13, v2, 12, v3
	v_cmp_eq_u32_e64 s[6:7], v15, v2
	v_lshrrev_b32_e32 v15, 4, v2
	s_mov_b32 s84, s53
	v_and_b32_e32 v0, 63, v135
	s_mov_b32 s69, s53
	v_writelane_b32 v236, s52, 4
	s_mov_b32 s90, 0
	s_movk_i32 s4, 0x100
	v_or_b32_e32 v6, 0x200, v2
	v_or_b32_e32 v8, 0x300, v2
	v_and_b32_e32 v1, 3, v2
	v_or_b32_e32 v10, 0x400, v2
	v_or_b32_e32 v12, 0x500, v2
	;; [unrolled: 1-line block ×12, first 2 shown]
	v_and_b32_e32 v15, 12, v15
	s_add_u32 s92, s50, 0x60
	v_add_u32_e32 v27, v13, v3
	s_movk_i32 s14, 0xff
	v_mov_b32_e32 v5, s73
	v_or_b32_e32 v143, v0, v34
	v_writelane_b32 v236, s53, 5
	s_brev_b32 s91, 1
	v_mov_b32_e32 v4, 0
	v_or_b32_e32 v7, 0x100, v2
	v_cmp_gt_u32_e64 s[4:5], s4, v2
	v_or_b32_e32 v17, 0x8400, v15
	v_cmp_gt_u32_e64 s[8:9], 4, v2
	v_add_u32_e32 v19, 0x8400, v3
	v_cmp_lt_u32_e64 s[10:11], 63, v2
	v_add_u32_e32 v21, 0x83fc, v15
	s_addc_u32 s93, s51, 0
	v_sub_u32_e32 v33, v27, v33
	v_cmp_eq_u32_e64 s[12:13], 0, v2
	v_cmp_ne_u32_e64 s[14:15], s14, v2
	v_addc_co_u32_e32 v116, vcc, 0, v5, vcc
	s_movk_i32 s97, 0x2000
	s_movk_i32 s98, 0x3000
	;; [unrolled: 1-line block ×5, first 2 shown]
	v_mov_b32_e32 v117, 1
	v_lshlrev_b32_e32 v118, 3, v2
	v_lshlrev_b32_e32 v119, 3, v6
	v_lshlrev_b32_e32 v120, 3, v8
	v_lshlrev_b32_e32 v121, 3, v10
	v_lshlrev_b32_e32 v122, 3, v12
	v_lshlrev_b32_e32 v123, 3, v14
	v_lshlrev_b32_e32 v124, 3, v16
	v_lshlrev_b32_e32 v125, 3, v18
	v_lshlrev_b32_e32 v126, 3, v20
	v_lshlrev_b32_e32 v127, 3, v22
	v_lshlrev_b32_e32 v128, 3, v24
	v_lshlrev_b32_e32 v129, 3, v26
	v_lshlrev_b32_e32 v130, 3, v28
	v_lshlrev_b32_e32 v131, 3, v30
	v_lshlrev_b32_e32 v132, 3, v32
	v_bfrev_b32_e32 v133, -2
	v_lshlrev_b32_e32 v134, 2, v1
	v_and_b32_e32 v136, 15, v135
	v_bfe_i32 v137, v135, 4, 1
	v_and_b32_e32 v138, 16, v135
	v_and_b32_e32 v139, 3, v135
	v_add_u32_e32 v140, -1, v135
	v_and_b32_e32 v141, 64, v135
	v_lshlrev_b32_e32 v142, 3, v0
	v_or_b32_e32 v144, 64, v143
	v_or_b32_e32 v145, 0x80, v143
	;; [unrolled: 1-line block ×15, first 2 shown]
	v_writelane_b32 v236, s54, 6
	v_writelane_b32 v236, s55, 7
	s_branch .LBB1119_12
.LBB1119_10:                            ;   in Loop: Header=BB1119_12 Depth=1
	s_waitcnt lgkmcnt(0)
	s_barrier
.LBB1119_11:                            ;   in Loop: Header=BB1119_12 Depth=1
	v_readlane_b32 s52, v236, 4
	s_add_i32 s69, s69, 8
	v_readlane_b32 s54, v236, 6
	v_readlane_b32 s53, v236, 5
	s_cmp_ge_u32 s69, s54
	v_readlane_b32 s55, v236, 7
	s_cbranch_scc1 .LBB1119_1190
.LBB1119_12:                            ; =>This Loop Header: Depth=1
                                        ;     Child Loop BB1119_16 Depth 2
                                        ;     Child Loop BB1119_98 Depth 2
	;; [unrolled: 1-line block ×8, first 2 shown]
	s_sub_i32 s16, s54, s69
	s_xor_b64 s[88:89], s[88:89], -1
	s_min_u32 s94, s16, 8
	s_cmp_lg_u32 s69, s53
	s_mov_b64 s[16:17], -1
	ds_write2st64_b32 v3, v4, v4 offset1:4
	ds_write2st64_b32 v3, v4, v4 offset0:8 offset1:12
	s_waitcnt lgkmcnt(0)
	s_cbranch_scc0 .LBB1119_602
; %bb.13:                               ;   in Loop: Header=BB1119_12 Depth=1
	s_lshl_b32 s16, -1, s94
	s_not_b32 s95, s16
	s_mov_b64 s[16:17], -1
	s_and_b64 vcc, exec, s[88:89]
	s_cbranch_vccz .LBB1119_307
; %bb.14:                               ;   in Loop: Header=BB1119_12 Depth=1
	v_readlane_b32 s16, v236, 3
	v_readlane_b32 s24, v236, 2
	s_mov_b32 s18, s16
	s_barrier
	s_waitcnt lgkmcnt(0)
                                        ; implicit-def: $vgpr62_vgpr63
                                        ; implicit-def: $vgpr0_vgpr1
                                        ; implicit-def: $vgpr34_vgpr35
                                        ; implicit-def: $vgpr36_vgpr37
                                        ; implicit-def: $vgpr38_vgpr39
                                        ; implicit-def: $vgpr40_vgpr41
                                        ; implicit-def: $vgpr42_vgpr43
                                        ; implicit-def: $vgpr44_vgpr45
                                        ; implicit-def: $vgpr46_vgpr47
                                        ; implicit-def: $vgpr48_vgpr49
                                        ; implicit-def: $vgpr50_vgpr51
                                        ; implicit-def: $vgpr52_vgpr53
                                        ; implicit-def: $vgpr54_vgpr55
                                        ; implicit-def: $vgpr56_vgpr57
                                        ; implicit-def: $vgpr58_vgpr59
                                        ; implicit-def: $vgpr60_vgpr61
	s_branch .LBB1119_16
.LBB1119_15:                            ;   in Loop: Header=BB1119_16 Depth=2
	s_or_b64 exec, exec, s[16:17]
	s_addk_i32 s24, 0xf000
	s_cmp_ge_u32 s25, s96
	s_mov_b32 s18, s25
	s_cbranch_scc1 .LBB1119_86
.LBB1119_16:                            ;   Parent Loop BB1119_12 Depth=1
                                        ; =>  This Inner Loop Header: Depth=2
	s_add_i32 s25, s18, 0x1000
	s_cmp_gt_u32 s25, s96
	s_cbranch_scc1 .LBB1119_19
; %bb.17:                               ;   in Loop: Header=BB1119_16 Depth=2
	s_mov_b32 s19, s90
	s_lshl_b64 s[16:17], s[18:19], 3
	v_mov_b32_e32 v5, s17
	v_add_co_u32_e32 v64, vcc, s16, v9
	v_addc_co_u32_e32 v65, vcc, v11, v5, vcc
	s_waitcnt vmcnt(11)
	v_add_co_u32_e32 v72, vcc, 0x1000, v64
	v_addc_co_u32_e32 v73, vcc, 0, v65, vcc
	s_waitcnt vmcnt(5)
	;; [unrolled: 3-line block ×3, first 2 shown]
	v_add_co_u32_e32 v82, vcc, s98, v64
	v_addc_co_u32_e32 v83, vcc, 0, v65, vcc
	v_add_co_u32_e32 v86, vcc, s99, v64
	v_addc_co_u32_e32 v87, vcc, 0, v65, vcc
	;; [unrolled: 2-line block ×4, first 2 shown]
	global_load_dwordx2 v[66:67], v[64:65], off
	global_load_dwordx2 v[68:69], v[64:65], off offset:2048
	global_load_dwordx2 v[70:71], v[72:73], off
	s_nop 0
	global_load_dwordx2 v[72:73], v[72:73], off offset:2048
	s_nop 0
	global_load_dwordx2 v[74:75], v[82:83], off
	global_load_dwordx2 v[76:77], v[82:83], off offset:2048
	global_load_dwordx2 v[80:81], v[88:89], off offset:-4096
	global_load_dwordx2 v[84:85], v[88:89], off
	s_nop 0
	global_load_dwordx2 v[88:89], v[88:89], off offset:2048
	s_nop 0
	global_load_dwordx2 v[78:79], v[78:79], off offset:2048
	;; [unrolled: 2-line block ×3, first 2 shown]
	s_nop 0
	global_load_dwordx2 v[90:91], v[92:93], off
	s_nop 0
	global_load_dwordx2 v[92:93], v[92:93], off offset:2048
	s_waitcnt vmcnt(13)
	v_add_co_u32_e32 v94, vcc, 0x7000, v64
	v_addc_co_u32_e32 v95, vcc, 0, v65, vcc
	global_load_dwordx2 v[82:83], v[82:83], off offset:-4096
	s_nop 0
	global_load_dwordx2 v[94:95], v[94:95], off
	v_add_co_u32_e32 v64, vcc, 0x7800, v64
	s_movk_i32 s26, 0x1000
	v_addc_co_u32_e32 v65, vcc, 0, v65, vcc
	s_mov_b64 s[16:17], -1
	s_cbranch_execz .LBB1119_20
; %bb.18:                               ;   in Loop: Header=BB1119_16 Depth=2
                                        ; implicit-def: $vgpr60_vgpr61
                                        ; implicit-def: $vgpr58_vgpr59
                                        ; implicit-def: $vgpr56_vgpr57
                                        ; implicit-def: $vgpr54_vgpr55
                                        ; implicit-def: $vgpr52_vgpr53
                                        ; implicit-def: $vgpr50_vgpr51
                                        ; implicit-def: $vgpr48_vgpr49
                                        ; implicit-def: $vgpr46_vgpr47
                                        ; implicit-def: $vgpr44_vgpr45
                                        ; implicit-def: $vgpr42_vgpr43
                                        ; implicit-def: $vgpr40_vgpr41
                                        ; implicit-def: $vgpr38_vgpr39
                                        ; implicit-def: $vgpr36_vgpr37
                                        ; implicit-def: $vgpr34_vgpr35
                                        ; implicit-def: $vgpr0_vgpr1
                                        ; implicit-def: $vgpr62_vgpr63
	v_mov_b32_e32 v5, s24
	s_and_saveexec_b64 s[18:19], s[16:17]
	s_cbranch_execnz .LBB1119_39
	s_branch .LBB1119_40
.LBB1119_19:                            ;   in Loop: Header=BB1119_16 Depth=2
	s_mov_b64 s[16:17], 0
                                        ; implicit-def: $sgpr26
                                        ; implicit-def: $vgpr66_vgpr67
                                        ; implicit-def: $vgpr68_vgpr69
                                        ; implicit-def: $vgpr70_vgpr71
                                        ; implicit-def: $vgpr72_vgpr73
                                        ; implicit-def: $vgpr82_vgpr83
                                        ; implicit-def: $vgpr78_vgpr79
                                        ; implicit-def: $vgpr74_vgpr75
                                        ; implicit-def: $vgpr76_vgpr77
                                        ; implicit-def: $vgpr80_vgpr81
                                        ; implicit-def: $vgpr86_vgpr87
                                        ; implicit-def: $vgpr84_vgpr85
                                        ; implicit-def: $vgpr88_vgpr89
                                        ; implicit-def: $vgpr90_vgpr91
                                        ; implicit-def: $vgpr92_vgpr93
                                        ; implicit-def: $vgpr94_vgpr95
                                        ; implicit-def: $vgpr64_vgpr65
.LBB1119_20:                            ;   in Loop: Header=BB1119_16 Depth=2
	s_mov_b32 s19, s90
	s_lshl_b64 s[20:21], s[18:19], 3
	s_add_u32 s20, s76, s20
	s_addc_u32 s21, s77, s21
	v_cmp_gt_u32_e32 vcc, s24, v2
	s_and_saveexec_b64 s[22:23], vcc
	s_cbranch_execz .LBB1119_72
; %bb.21:                               ;   in Loop: Header=BB1119_16 Depth=2
	global_load_dwordx2 v[60:61], v118, s[20:21]
	s_or_b64 exec, exec, s[22:23]
	v_cmp_gt_u32_e32 vcc, s24, v7
	s_and_saveexec_b64 s[22:23], vcc
	s_cbranch_execnz .LBB1119_73
.LBB1119_22:                            ;   in Loop: Header=BB1119_16 Depth=2
	s_or_b64 exec, exec, s[22:23]
	v_cmp_gt_u32_e32 vcc, s24, v6
	s_and_saveexec_b64 s[22:23], vcc
	s_cbranch_execz .LBB1119_74
.LBB1119_23:                            ;   in Loop: Header=BB1119_16 Depth=2
	global_load_dwordx2 v[56:57], v119, s[20:21]
	s_or_b64 exec, exec, s[22:23]
	v_cmp_gt_u32_e32 vcc, s24, v8
	s_and_saveexec_b64 s[22:23], vcc
	s_cbranch_execnz .LBB1119_75
.LBB1119_24:                            ;   in Loop: Header=BB1119_16 Depth=2
	s_or_b64 exec, exec, s[22:23]
	v_cmp_gt_u32_e32 vcc, s24, v10
	s_and_saveexec_b64 s[22:23], vcc
	s_cbranch_execz .LBB1119_76
.LBB1119_25:                            ;   in Loop: Header=BB1119_16 Depth=2
	global_load_dwordx2 v[52:53], v121, s[20:21]
	s_or_b64 exec, exec, s[22:23]
	v_cmp_gt_u32_e32 vcc, s24, v12
	s_and_saveexec_b64 s[22:23], vcc
	s_cbranch_execnz .LBB1119_77
.LBB1119_26:                            ;   in Loop: Header=BB1119_16 Depth=2
	s_or_b64 exec, exec, s[22:23]
	v_cmp_gt_u32_e32 vcc, s24, v14
	s_and_saveexec_b64 s[22:23], vcc
	s_cbranch_execz .LBB1119_78
.LBB1119_27:                            ;   in Loop: Header=BB1119_16 Depth=2
	global_load_dwordx2 v[48:49], v123, s[20:21]
	s_or_b64 exec, exec, s[22:23]
	v_cmp_gt_u32_e32 vcc, s24, v16
	s_and_saveexec_b64 s[22:23], vcc
	s_cbranch_execnz .LBB1119_79
.LBB1119_28:                            ;   in Loop: Header=BB1119_16 Depth=2
	s_or_b64 exec, exec, s[22:23]
	v_cmp_gt_u32_e32 vcc, s24, v18
	s_and_saveexec_b64 s[22:23], vcc
	s_cbranch_execz .LBB1119_80
.LBB1119_29:                            ;   in Loop: Header=BB1119_16 Depth=2
	global_load_dwordx2 v[44:45], v125, s[20:21]
	s_or_b64 exec, exec, s[22:23]
	v_cmp_gt_u32_e32 vcc, s24, v20
	s_and_saveexec_b64 s[22:23], vcc
	s_cbranch_execnz .LBB1119_81
.LBB1119_30:                            ;   in Loop: Header=BB1119_16 Depth=2
	s_or_b64 exec, exec, s[22:23]
	v_cmp_gt_u32_e32 vcc, s24, v22
	s_and_saveexec_b64 s[22:23], vcc
	s_cbranch_execz .LBB1119_82
.LBB1119_31:                            ;   in Loop: Header=BB1119_16 Depth=2
	global_load_dwordx2 v[40:41], v127, s[20:21]
	s_or_b64 exec, exec, s[22:23]
	v_cmp_gt_u32_e32 vcc, s24, v24
	s_and_saveexec_b64 s[22:23], vcc
	s_cbranch_execnz .LBB1119_83
.LBB1119_32:                            ;   in Loop: Header=BB1119_16 Depth=2
	s_or_b64 exec, exec, s[22:23]
	v_cmp_gt_u32_e32 vcc, s24, v26
	s_and_saveexec_b64 s[22:23], vcc
	s_cbranch_execz .LBB1119_84
.LBB1119_33:                            ;   in Loop: Header=BB1119_16 Depth=2
	global_load_dwordx2 v[36:37], v129, s[20:21]
	s_or_b64 exec, exec, s[22:23]
	v_cmp_gt_u32_e32 vcc, s24, v28
	s_and_saveexec_b64 s[22:23], vcc
	s_cbranch_execnz .LBB1119_85
.LBB1119_34:                            ;   in Loop: Header=BB1119_16 Depth=2
	s_or_b64 exec, exec, s[22:23]
	v_cmp_gt_u32_e32 vcc, s24, v30
	s_and_saveexec_b64 s[22:23], vcc
	s_cbranch_execz .LBB1119_36
.LBB1119_35:                            ;   in Loop: Header=BB1119_16 Depth=2
	global_load_dwordx2 v[0:1], v131, s[20:21]
.LBB1119_36:                            ;   in Loop: Header=BB1119_16 Depth=2
	s_or_b64 exec, exec, s[22:23]
	v_cmp_gt_u32_e32 vcc, s24, v32
                                        ; implicit-def: $sgpr26
                                        ; implicit-def: $vgpr64_vgpr65
	s_and_saveexec_b64 s[22:23], vcc
; %bb.37:                               ;   in Loop: Header=BB1119_16 Depth=2
	v_mov_b32_e32 v5, s21
	v_add_co_u32_e32 v64, vcc, s20, v132
	s_sub_i32 s26, s96, s18
	v_addc_co_u32_e32 v65, vcc, 0, v5, vcc
	s_or_b64 s[16:17], s[16:17], exec
                                        ; implicit-def: $vgpr62_vgpr63
; %bb.38:                               ;   in Loop: Header=BB1119_16 Depth=2
	s_or_b64 exec, exec, s[22:23]
	s_waitcnt vmcnt(0)
	v_pk_mov_b32 v[66:67], v[60:61], v[60:61] op_sel:[0,1]
	v_pk_mov_b32 v[68:69], v[58:59], v[58:59] op_sel:[0,1]
	;; [unrolled: 1-line block ×15, first 2 shown]
	v_mov_b32_e32 v5, s24
	s_and_saveexec_b64 s[18:19], s[16:17]
	s_cbranch_execz .LBB1119_40
.LBB1119_39:                            ;   in Loop: Header=BB1119_16 Depth=2
	global_load_dwordx2 v[62:63], v[64:65], off
	v_mov_b32_e32 v5, s26
	s_waitcnt vmcnt(1)
	v_pk_mov_b32 v[0:1], v[94:95], v[94:95] op_sel:[0,1]
	v_pk_mov_b32 v[34:35], v[92:93], v[92:93] op_sel:[0,1]
	v_pk_mov_b32 v[36:37], v[90:91], v[90:91] op_sel:[0,1]
	v_pk_mov_b32 v[38:39], v[88:89], v[88:89] op_sel:[0,1]
	v_pk_mov_b32 v[40:41], v[84:85], v[84:85] op_sel:[0,1]
	v_pk_mov_b32 v[42:43], v[86:87], v[86:87] op_sel:[0,1]
	v_pk_mov_b32 v[44:45], v[80:81], v[80:81] op_sel:[0,1]
	v_pk_mov_b32 v[46:47], v[76:77], v[76:77] op_sel:[0,1]
	v_pk_mov_b32 v[48:49], v[74:75], v[74:75] op_sel:[0,1]
	v_pk_mov_b32 v[50:51], v[78:79], v[78:79] op_sel:[0,1]
	v_pk_mov_b32 v[52:53], v[82:83], v[82:83] op_sel:[0,1]
	v_pk_mov_b32 v[54:55], v[72:73], v[72:73] op_sel:[0,1]
	v_pk_mov_b32 v[56:57], v[70:71], v[70:71] op_sel:[0,1]
	v_pk_mov_b32 v[58:59], v[68:69], v[68:69] op_sel:[0,1]
	v_pk_mov_b32 v[60:61], v[66:67], v[66:67] op_sel:[0,1]
.LBB1119_40:                            ;   in Loop: Header=BB1119_16 Depth=2
	s_or_b64 exec, exec, s[18:19]
	v_cmp_lt_u32_e32 vcc, v2, v5
	s_and_saveexec_b64 s[16:17], vcc
	s_cbranch_execz .LBB1119_56
; %bb.41:                               ;   in Loop: Header=BB1119_16 Depth=2
	v_cmp_gt_i64_e32 vcc, 0, v[60:61]
	v_ashrrev_i32_e32 v65, 31, v61
	v_cndmask_b32_e64 v64, v133, 0, vcc
	s_waitcnt vmcnt(14)
	v_not_b32_e32 v66, v65
	v_xor_b32_e32 v65, v64, v61
	v_xor_b32_e32 v64, v66, v60
	v_cmp_ne_u64_e32 vcc, s[90:91], v[64:65]
	v_cndmask_b32_e32 v65, v133, v65, vcc
	v_cndmask_b32_e32 v64, -1, v64, vcc
	v_lshrrev_b64 v[64:65], s69, v[64:65]
	v_and_b32_e32 v64, s95, v64
	v_lshl_or_b32 v64, v64, 4, v134
	ds_add_u32 v64, v117
	s_or_b64 exec, exec, s[16:17]
	v_cmp_lt_u32_e32 vcc, v7, v5
	s_and_saveexec_b64 s[16:17], vcc
	s_cbranch_execnz .LBB1119_57
.LBB1119_42:                            ;   in Loop: Header=BB1119_16 Depth=2
	s_or_b64 exec, exec, s[16:17]
	v_cmp_lt_u32_e32 vcc, v6, v5
	s_and_saveexec_b64 s[16:17], vcc
	s_cbranch_execz .LBB1119_58
.LBB1119_43:                            ;   in Loop: Header=BB1119_16 Depth=2
	v_cmp_gt_i64_e32 vcc, 0, v[56:57]
	v_ashrrev_i32_e32 v65, 31, v57
	v_cndmask_b32_e64 v64, v133, 0, vcc
	s_waitcnt vmcnt(14)
	v_not_b32_e32 v66, v65
	v_xor_b32_e32 v65, v64, v57
	v_xor_b32_e32 v64, v66, v56
	v_cmp_ne_u64_e32 vcc, s[90:91], v[64:65]
	v_cndmask_b32_e32 v65, v133, v65, vcc
	v_cndmask_b32_e32 v64, -1, v64, vcc
	v_lshrrev_b64 v[64:65], s69, v[64:65]
	v_and_b32_e32 v64, s95, v64
	v_lshl_or_b32 v64, v64, 4, v134
	ds_add_u32 v64, v117
	s_or_b64 exec, exec, s[16:17]
	v_cmp_lt_u32_e32 vcc, v8, v5
	s_and_saveexec_b64 s[16:17], vcc
	s_cbranch_execnz .LBB1119_59
.LBB1119_44:                            ;   in Loop: Header=BB1119_16 Depth=2
	s_or_b64 exec, exec, s[16:17]
	v_cmp_lt_u32_e32 vcc, v10, v5
	s_and_saveexec_b64 s[16:17], vcc
	s_cbranch_execz .LBB1119_60
.LBB1119_45:                            ;   in Loop: Header=BB1119_16 Depth=2
	v_cmp_gt_i64_e32 vcc, 0, v[52:53]
	v_ashrrev_i32_e32 v65, 31, v53
	v_cndmask_b32_e64 v64, v133, 0, vcc
	s_waitcnt vmcnt(14)
	v_not_b32_e32 v66, v65
	v_xor_b32_e32 v65, v64, v53
	v_xor_b32_e32 v64, v66, v52
	v_cmp_ne_u64_e32 vcc, s[90:91], v[64:65]
	v_cndmask_b32_e32 v65, v133, v65, vcc
	v_cndmask_b32_e32 v64, -1, v64, vcc
	v_lshrrev_b64 v[64:65], s69, v[64:65]
	v_and_b32_e32 v64, s95, v64
	v_lshl_or_b32 v64, v64, 4, v134
	ds_add_u32 v64, v117
	s_or_b64 exec, exec, s[16:17]
	v_cmp_lt_u32_e32 vcc, v12, v5
	s_and_saveexec_b64 s[16:17], vcc
	s_cbranch_execnz .LBB1119_61
.LBB1119_46:                            ;   in Loop: Header=BB1119_16 Depth=2
	s_or_b64 exec, exec, s[16:17]
	v_cmp_lt_u32_e32 vcc, v14, v5
	s_and_saveexec_b64 s[16:17], vcc
	s_cbranch_execz .LBB1119_62
.LBB1119_47:                            ;   in Loop: Header=BB1119_16 Depth=2
	v_cmp_gt_i64_e32 vcc, 0, v[48:49]
	v_ashrrev_i32_e32 v65, 31, v49
	v_cndmask_b32_e64 v64, v133, 0, vcc
	s_waitcnt vmcnt(14)
	v_not_b32_e32 v66, v65
	v_xor_b32_e32 v65, v64, v49
	v_xor_b32_e32 v64, v66, v48
	v_cmp_ne_u64_e32 vcc, s[90:91], v[64:65]
	v_cndmask_b32_e32 v65, v133, v65, vcc
	v_cndmask_b32_e32 v64, -1, v64, vcc
	v_lshrrev_b64 v[64:65], s69, v[64:65]
	v_and_b32_e32 v64, s95, v64
	v_lshl_or_b32 v64, v64, 4, v134
	ds_add_u32 v64, v117
	s_or_b64 exec, exec, s[16:17]
	v_cmp_lt_u32_e32 vcc, v16, v5
	s_and_saveexec_b64 s[16:17], vcc
	s_cbranch_execnz .LBB1119_63
.LBB1119_48:                            ;   in Loop: Header=BB1119_16 Depth=2
	s_or_b64 exec, exec, s[16:17]
	v_cmp_lt_u32_e32 vcc, v18, v5
	s_and_saveexec_b64 s[16:17], vcc
	s_cbranch_execz .LBB1119_64
.LBB1119_49:                            ;   in Loop: Header=BB1119_16 Depth=2
	v_cmp_gt_i64_e32 vcc, 0, v[44:45]
	v_ashrrev_i32_e32 v65, 31, v45
	v_cndmask_b32_e64 v64, v133, 0, vcc
	s_waitcnt vmcnt(14)
	v_not_b32_e32 v66, v65
	v_xor_b32_e32 v65, v64, v45
	v_xor_b32_e32 v64, v66, v44
	v_cmp_ne_u64_e32 vcc, s[90:91], v[64:65]
	v_cndmask_b32_e32 v65, v133, v65, vcc
	v_cndmask_b32_e32 v64, -1, v64, vcc
	v_lshrrev_b64 v[64:65], s69, v[64:65]
	v_and_b32_e32 v64, s95, v64
	v_lshl_or_b32 v64, v64, 4, v134
	ds_add_u32 v64, v117
	s_or_b64 exec, exec, s[16:17]
	v_cmp_lt_u32_e32 vcc, v20, v5
	s_and_saveexec_b64 s[16:17], vcc
	s_cbranch_execnz .LBB1119_65
.LBB1119_50:                            ;   in Loop: Header=BB1119_16 Depth=2
	s_or_b64 exec, exec, s[16:17]
	v_cmp_lt_u32_e32 vcc, v22, v5
	s_and_saveexec_b64 s[16:17], vcc
	s_cbranch_execz .LBB1119_66
.LBB1119_51:                            ;   in Loop: Header=BB1119_16 Depth=2
	v_cmp_gt_i64_e32 vcc, 0, v[40:41]
	v_ashrrev_i32_e32 v65, 31, v41
	v_cndmask_b32_e64 v64, v133, 0, vcc
	s_waitcnt vmcnt(14)
	v_not_b32_e32 v66, v65
	v_xor_b32_e32 v65, v64, v41
	v_xor_b32_e32 v64, v66, v40
	v_cmp_ne_u64_e32 vcc, s[90:91], v[64:65]
	v_cndmask_b32_e32 v65, v133, v65, vcc
	v_cndmask_b32_e32 v64, -1, v64, vcc
	v_lshrrev_b64 v[64:65], s69, v[64:65]
	v_and_b32_e32 v64, s95, v64
	v_lshl_or_b32 v64, v64, 4, v134
	ds_add_u32 v64, v117
	s_or_b64 exec, exec, s[16:17]
	v_cmp_lt_u32_e32 vcc, v24, v5
	s_and_saveexec_b64 s[16:17], vcc
	s_cbranch_execnz .LBB1119_67
.LBB1119_52:                            ;   in Loop: Header=BB1119_16 Depth=2
	s_or_b64 exec, exec, s[16:17]
	v_cmp_lt_u32_e32 vcc, v26, v5
	s_and_saveexec_b64 s[16:17], vcc
	s_cbranch_execz .LBB1119_68
.LBB1119_53:                            ;   in Loop: Header=BB1119_16 Depth=2
	v_cmp_gt_i64_e32 vcc, 0, v[36:37]
	v_ashrrev_i32_e32 v65, 31, v37
	v_cndmask_b32_e64 v64, v133, 0, vcc
	s_waitcnt vmcnt(14)
	v_not_b32_e32 v66, v65
	v_xor_b32_e32 v65, v64, v37
	v_xor_b32_e32 v64, v66, v36
	v_cmp_ne_u64_e32 vcc, s[90:91], v[64:65]
	v_cndmask_b32_e32 v65, v133, v65, vcc
	v_cndmask_b32_e32 v64, -1, v64, vcc
	v_lshrrev_b64 v[64:65], s69, v[64:65]
	v_and_b32_e32 v64, s95, v64
	v_lshl_or_b32 v64, v64, 4, v134
	ds_add_u32 v64, v117
	s_or_b64 exec, exec, s[16:17]
	v_cmp_lt_u32_e32 vcc, v28, v5
	s_and_saveexec_b64 s[16:17], vcc
	s_cbranch_execnz .LBB1119_69
.LBB1119_54:                            ;   in Loop: Header=BB1119_16 Depth=2
	s_or_b64 exec, exec, s[16:17]
	v_cmp_lt_u32_e32 vcc, v30, v5
	s_and_saveexec_b64 s[16:17], vcc
	s_cbranch_execz .LBB1119_70
.LBB1119_55:                            ;   in Loop: Header=BB1119_16 Depth=2
	v_cmp_gt_i64_e32 vcc, 0, v[0:1]
	v_ashrrev_i32_e32 v65, 31, v1
	v_cndmask_b32_e64 v64, v133, 0, vcc
	s_waitcnt vmcnt(14)
	v_not_b32_e32 v66, v65
	v_xor_b32_e32 v65, v64, v1
	v_xor_b32_e32 v64, v66, v0
	v_cmp_ne_u64_e32 vcc, s[90:91], v[64:65]
	v_cndmask_b32_e32 v65, v133, v65, vcc
	v_cndmask_b32_e32 v64, -1, v64, vcc
	v_lshrrev_b64 v[64:65], s69, v[64:65]
	v_and_b32_e32 v64, s95, v64
	v_lshl_or_b32 v64, v64, 4, v134
	ds_add_u32 v64, v117
	s_or_b64 exec, exec, s[16:17]
	v_cmp_lt_u32_e32 vcc, v32, v5
	s_and_saveexec_b64 s[16:17], vcc
	s_cbranch_execz .LBB1119_15
	s_branch .LBB1119_71
.LBB1119_56:                            ;   in Loop: Header=BB1119_16 Depth=2
	s_or_b64 exec, exec, s[16:17]
	v_cmp_lt_u32_e32 vcc, v7, v5
	s_and_saveexec_b64 s[16:17], vcc
	s_cbranch_execz .LBB1119_42
.LBB1119_57:                            ;   in Loop: Header=BB1119_16 Depth=2
	v_cmp_gt_i64_e32 vcc, 0, v[58:59]
	v_ashrrev_i32_e32 v65, 31, v59
	v_cndmask_b32_e64 v64, v133, 0, vcc
	s_waitcnt vmcnt(14)
	v_not_b32_e32 v66, v65
	v_xor_b32_e32 v65, v64, v59
	v_xor_b32_e32 v64, v66, v58
	v_cmp_ne_u64_e32 vcc, s[90:91], v[64:65]
	v_cndmask_b32_e32 v65, v133, v65, vcc
	v_cndmask_b32_e32 v64, -1, v64, vcc
	v_lshrrev_b64 v[64:65], s69, v[64:65]
	v_and_b32_e32 v64, s95, v64
	v_lshl_or_b32 v64, v64, 4, v134
	ds_add_u32 v64, v117
	s_or_b64 exec, exec, s[16:17]
	v_cmp_lt_u32_e32 vcc, v6, v5
	s_and_saveexec_b64 s[16:17], vcc
	s_cbranch_execnz .LBB1119_43
.LBB1119_58:                            ;   in Loop: Header=BB1119_16 Depth=2
	s_or_b64 exec, exec, s[16:17]
	v_cmp_lt_u32_e32 vcc, v8, v5
	s_and_saveexec_b64 s[16:17], vcc
	s_cbranch_execz .LBB1119_44
.LBB1119_59:                            ;   in Loop: Header=BB1119_16 Depth=2
	v_cmp_gt_i64_e32 vcc, 0, v[54:55]
	v_ashrrev_i32_e32 v65, 31, v55
	v_cndmask_b32_e64 v64, v133, 0, vcc
	s_waitcnt vmcnt(14)
	v_not_b32_e32 v66, v65
	v_xor_b32_e32 v65, v64, v55
	v_xor_b32_e32 v64, v66, v54
	v_cmp_ne_u64_e32 vcc, s[90:91], v[64:65]
	v_cndmask_b32_e32 v65, v133, v65, vcc
	v_cndmask_b32_e32 v64, -1, v64, vcc
	v_lshrrev_b64 v[64:65], s69, v[64:65]
	v_and_b32_e32 v64, s95, v64
	v_lshl_or_b32 v64, v64, 4, v134
	ds_add_u32 v64, v117
	s_or_b64 exec, exec, s[16:17]
	v_cmp_lt_u32_e32 vcc, v10, v5
	s_and_saveexec_b64 s[16:17], vcc
	s_cbranch_execnz .LBB1119_45
.LBB1119_60:                            ;   in Loop: Header=BB1119_16 Depth=2
	s_or_b64 exec, exec, s[16:17]
	v_cmp_lt_u32_e32 vcc, v12, v5
	s_and_saveexec_b64 s[16:17], vcc
	s_cbranch_execz .LBB1119_46
.LBB1119_61:                            ;   in Loop: Header=BB1119_16 Depth=2
	v_cmp_gt_i64_e32 vcc, 0, v[50:51]
	v_ashrrev_i32_e32 v65, 31, v51
	v_cndmask_b32_e64 v64, v133, 0, vcc
	s_waitcnt vmcnt(14)
	v_not_b32_e32 v66, v65
	v_xor_b32_e32 v65, v64, v51
	v_xor_b32_e32 v64, v66, v50
	v_cmp_ne_u64_e32 vcc, s[90:91], v[64:65]
	v_cndmask_b32_e32 v65, v133, v65, vcc
	v_cndmask_b32_e32 v64, -1, v64, vcc
	v_lshrrev_b64 v[64:65], s69, v[64:65]
	v_and_b32_e32 v64, s95, v64
	v_lshl_or_b32 v64, v64, 4, v134
	ds_add_u32 v64, v117
	s_or_b64 exec, exec, s[16:17]
	v_cmp_lt_u32_e32 vcc, v14, v5
	s_and_saveexec_b64 s[16:17], vcc
	s_cbranch_execnz .LBB1119_47
.LBB1119_62:                            ;   in Loop: Header=BB1119_16 Depth=2
	s_or_b64 exec, exec, s[16:17]
	v_cmp_lt_u32_e32 vcc, v16, v5
	s_and_saveexec_b64 s[16:17], vcc
	s_cbranch_execz .LBB1119_48
.LBB1119_63:                            ;   in Loop: Header=BB1119_16 Depth=2
	v_cmp_gt_i64_e32 vcc, 0, v[46:47]
	v_ashrrev_i32_e32 v65, 31, v47
	v_cndmask_b32_e64 v64, v133, 0, vcc
	s_waitcnt vmcnt(14)
	v_not_b32_e32 v66, v65
	v_xor_b32_e32 v65, v64, v47
	v_xor_b32_e32 v64, v66, v46
	v_cmp_ne_u64_e32 vcc, s[90:91], v[64:65]
	v_cndmask_b32_e32 v65, v133, v65, vcc
	v_cndmask_b32_e32 v64, -1, v64, vcc
	v_lshrrev_b64 v[64:65], s69, v[64:65]
	v_and_b32_e32 v64, s95, v64
	v_lshl_or_b32 v64, v64, 4, v134
	ds_add_u32 v64, v117
	s_or_b64 exec, exec, s[16:17]
	v_cmp_lt_u32_e32 vcc, v18, v5
	s_and_saveexec_b64 s[16:17], vcc
	s_cbranch_execnz .LBB1119_49
.LBB1119_64:                            ;   in Loop: Header=BB1119_16 Depth=2
	s_or_b64 exec, exec, s[16:17]
	v_cmp_lt_u32_e32 vcc, v20, v5
	s_and_saveexec_b64 s[16:17], vcc
	s_cbranch_execz .LBB1119_50
.LBB1119_65:                            ;   in Loop: Header=BB1119_16 Depth=2
	v_cmp_gt_i64_e32 vcc, 0, v[42:43]
	v_ashrrev_i32_e32 v65, 31, v43
	v_cndmask_b32_e64 v64, v133, 0, vcc
	s_waitcnt vmcnt(14)
	v_not_b32_e32 v66, v65
	v_xor_b32_e32 v65, v64, v43
	v_xor_b32_e32 v64, v66, v42
	v_cmp_ne_u64_e32 vcc, s[90:91], v[64:65]
	v_cndmask_b32_e32 v65, v133, v65, vcc
	v_cndmask_b32_e32 v64, -1, v64, vcc
	v_lshrrev_b64 v[64:65], s69, v[64:65]
	v_and_b32_e32 v64, s95, v64
	v_lshl_or_b32 v64, v64, 4, v134
	ds_add_u32 v64, v117
	s_or_b64 exec, exec, s[16:17]
	v_cmp_lt_u32_e32 vcc, v22, v5
	s_and_saveexec_b64 s[16:17], vcc
	s_cbranch_execnz .LBB1119_51
.LBB1119_66:                            ;   in Loop: Header=BB1119_16 Depth=2
	s_or_b64 exec, exec, s[16:17]
	v_cmp_lt_u32_e32 vcc, v24, v5
	s_and_saveexec_b64 s[16:17], vcc
	s_cbranch_execz .LBB1119_52
.LBB1119_67:                            ;   in Loop: Header=BB1119_16 Depth=2
	v_cmp_gt_i64_e32 vcc, 0, v[38:39]
	v_ashrrev_i32_e32 v65, 31, v39
	v_cndmask_b32_e64 v64, v133, 0, vcc
	s_waitcnt vmcnt(14)
	v_not_b32_e32 v66, v65
	v_xor_b32_e32 v65, v64, v39
	v_xor_b32_e32 v64, v66, v38
	v_cmp_ne_u64_e32 vcc, s[90:91], v[64:65]
	v_cndmask_b32_e32 v65, v133, v65, vcc
	v_cndmask_b32_e32 v64, -1, v64, vcc
	v_lshrrev_b64 v[64:65], s69, v[64:65]
	v_and_b32_e32 v64, s95, v64
	v_lshl_or_b32 v64, v64, 4, v134
	ds_add_u32 v64, v117
	s_or_b64 exec, exec, s[16:17]
	v_cmp_lt_u32_e32 vcc, v26, v5
	s_and_saveexec_b64 s[16:17], vcc
	s_cbranch_execnz .LBB1119_53
.LBB1119_68:                            ;   in Loop: Header=BB1119_16 Depth=2
	s_or_b64 exec, exec, s[16:17]
	v_cmp_lt_u32_e32 vcc, v28, v5
	s_and_saveexec_b64 s[16:17], vcc
	s_cbranch_execz .LBB1119_54
.LBB1119_69:                            ;   in Loop: Header=BB1119_16 Depth=2
	v_cmp_gt_i64_e32 vcc, 0, v[34:35]
	v_ashrrev_i32_e32 v65, 31, v35
	v_cndmask_b32_e64 v64, v133, 0, vcc
	s_waitcnt vmcnt(14)
	v_not_b32_e32 v66, v65
	v_xor_b32_e32 v65, v64, v35
	v_xor_b32_e32 v64, v66, v34
	v_cmp_ne_u64_e32 vcc, s[90:91], v[64:65]
	v_cndmask_b32_e32 v65, v133, v65, vcc
	v_cndmask_b32_e32 v64, -1, v64, vcc
	v_lshrrev_b64 v[64:65], s69, v[64:65]
	v_and_b32_e32 v64, s95, v64
	v_lshl_or_b32 v64, v64, 4, v134
	ds_add_u32 v64, v117
	s_or_b64 exec, exec, s[16:17]
	v_cmp_lt_u32_e32 vcc, v30, v5
	s_and_saveexec_b64 s[16:17], vcc
	s_cbranch_execnz .LBB1119_55
.LBB1119_70:                            ;   in Loop: Header=BB1119_16 Depth=2
	s_or_b64 exec, exec, s[16:17]
	v_cmp_lt_u32_e32 vcc, v32, v5
	s_and_saveexec_b64 s[16:17], vcc
	s_cbranch_execz .LBB1119_15
.LBB1119_71:                            ;   in Loop: Header=BB1119_16 Depth=2
	s_waitcnt vmcnt(0)
	v_cmp_gt_i64_e32 vcc, 0, v[62:63]
	v_ashrrev_i32_e32 v64, 31, v63
	v_cndmask_b32_e64 v5, v133, 0, vcc
	v_not_b32_e32 v64, v64
	v_xor_b32_e32 v65, v5, v63
	v_xor_b32_e32 v64, v64, v62
	v_cmp_ne_u64_e32 vcc, s[90:91], v[64:65]
	v_cndmask_b32_e32 v65, v133, v65, vcc
	v_cndmask_b32_e32 v64, -1, v64, vcc
	v_lshrrev_b64 v[64:65], s69, v[64:65]
	v_and_b32_e32 v5, s95, v64
	v_lshl_or_b32 v5, v5, 4, v134
	ds_add_u32 v5, v117
	s_branch .LBB1119_15
.LBB1119_72:                            ;   in Loop: Header=BB1119_16 Depth=2
	s_or_b64 exec, exec, s[22:23]
	v_cmp_gt_u32_e32 vcc, s24, v7
	s_and_saveexec_b64 s[22:23], vcc
	s_cbranch_execz .LBB1119_22
.LBB1119_73:                            ;   in Loop: Header=BB1119_16 Depth=2
	global_load_dwordx2 v[58:59], v118, s[20:21] offset:2048
	s_or_b64 exec, exec, s[22:23]
	v_cmp_gt_u32_e32 vcc, s24, v6
	s_and_saveexec_b64 s[22:23], vcc
	s_cbranch_execnz .LBB1119_23
.LBB1119_74:                            ;   in Loop: Header=BB1119_16 Depth=2
	s_or_b64 exec, exec, s[22:23]
	v_cmp_gt_u32_e32 vcc, s24, v8
	s_and_saveexec_b64 s[22:23], vcc
	s_cbranch_execz .LBB1119_24
.LBB1119_75:                            ;   in Loop: Header=BB1119_16 Depth=2
	global_load_dwordx2 v[54:55], v120, s[20:21]
	s_or_b64 exec, exec, s[22:23]
	v_cmp_gt_u32_e32 vcc, s24, v10
	s_and_saveexec_b64 s[22:23], vcc
	s_cbranch_execnz .LBB1119_25
.LBB1119_76:                            ;   in Loop: Header=BB1119_16 Depth=2
	s_or_b64 exec, exec, s[22:23]
	v_cmp_gt_u32_e32 vcc, s24, v12
	s_and_saveexec_b64 s[22:23], vcc
	s_cbranch_execz .LBB1119_26
.LBB1119_77:                            ;   in Loop: Header=BB1119_16 Depth=2
	global_load_dwordx2 v[50:51], v122, s[20:21]
	s_or_b64 exec, exec, s[22:23]
	v_cmp_gt_u32_e32 vcc, s24, v14
	s_and_saveexec_b64 s[22:23], vcc
	s_cbranch_execnz .LBB1119_27
.LBB1119_78:                            ;   in Loop: Header=BB1119_16 Depth=2
	s_or_b64 exec, exec, s[22:23]
	v_cmp_gt_u32_e32 vcc, s24, v16
	s_and_saveexec_b64 s[22:23], vcc
	s_cbranch_execz .LBB1119_28
.LBB1119_79:                            ;   in Loop: Header=BB1119_16 Depth=2
	global_load_dwordx2 v[46:47], v124, s[20:21]
	s_or_b64 exec, exec, s[22:23]
	v_cmp_gt_u32_e32 vcc, s24, v18
	s_and_saveexec_b64 s[22:23], vcc
	s_cbranch_execnz .LBB1119_29
.LBB1119_80:                            ;   in Loop: Header=BB1119_16 Depth=2
	s_or_b64 exec, exec, s[22:23]
	v_cmp_gt_u32_e32 vcc, s24, v20
	s_and_saveexec_b64 s[22:23], vcc
	s_cbranch_execz .LBB1119_30
.LBB1119_81:                            ;   in Loop: Header=BB1119_16 Depth=2
	global_load_dwordx2 v[42:43], v126, s[20:21]
	s_or_b64 exec, exec, s[22:23]
	v_cmp_gt_u32_e32 vcc, s24, v22
	s_and_saveexec_b64 s[22:23], vcc
	s_cbranch_execnz .LBB1119_31
.LBB1119_82:                            ;   in Loop: Header=BB1119_16 Depth=2
	s_or_b64 exec, exec, s[22:23]
	v_cmp_gt_u32_e32 vcc, s24, v24
	s_and_saveexec_b64 s[22:23], vcc
	s_cbranch_execz .LBB1119_32
.LBB1119_83:                            ;   in Loop: Header=BB1119_16 Depth=2
	global_load_dwordx2 v[38:39], v128, s[20:21]
	s_or_b64 exec, exec, s[22:23]
	v_cmp_gt_u32_e32 vcc, s24, v26
	s_and_saveexec_b64 s[22:23], vcc
	s_cbranch_execnz .LBB1119_33
.LBB1119_84:                            ;   in Loop: Header=BB1119_16 Depth=2
	s_or_b64 exec, exec, s[22:23]
	v_cmp_gt_u32_e32 vcc, s24, v28
	s_and_saveexec_b64 s[22:23], vcc
	s_cbranch_execz .LBB1119_34
.LBB1119_85:                            ;   in Loop: Header=BB1119_16 Depth=2
	global_load_dwordx2 v[34:35], v130, s[20:21]
	s_or_b64 exec, exec, s[22:23]
	v_cmp_gt_u32_e32 vcc, s24, v30
	s_and_saveexec_b64 s[22:23], vcc
	s_cbranch_execz .LBB1119_36
	s_branch .LBB1119_35
.LBB1119_86:                            ;   in Loop: Header=BB1119_12 Depth=1
	v_mov_b32_e32 v0, 0
	s_waitcnt lgkmcnt(0)
	s_barrier
	s_and_saveexec_b64 s[16:17], s[4:5]
	s_cbranch_execz .LBB1119_88
; %bb.87:                               ;   in Loop: Header=BB1119_12 Depth=1
	ds_read2_b64 v[34:37], v13 offset1:1
	s_waitcnt lgkmcnt(0)
	v_add_u32_e32 v0, v35, v34
	v_add3_u32 v0, v0, v36, v37
.LBB1119_88:                            ;   in Loop: Header=BB1119_12 Depth=1
	s_or_b64 exec, exec, s[16:17]
	s_nop 0
	v_mov_b32_dpp v1, v0 row_shr:1 row_mask:0xf bank_mask:0xf
	v_cmp_eq_u32_e64 s[16:17], 0, v136
	v_cndmask_b32_e64 v1, v1, 0, s[16:17]
	v_add_u32_e32 v0, v1, v0
	v_cmp_lt_u32_e64 s[18:19], 1, v136
	v_cmp_lt_u32_e64 s[20:21], 3, v136
	v_mov_b32_dpp v1, v0 row_shr:2 row_mask:0xf bank_mask:0xf
	v_cndmask_b32_e64 v1, 0, v1, s[18:19]
	v_add_u32_e32 v0, v0, v1
	v_cmp_lt_u32_e64 s[22:23], 7, v136
	v_cmp_lt_u32_e64 s[26:27], 31, v135
	v_mov_b32_dpp v1, v0 row_shr:4 row_mask:0xf bank_mask:0xf
	v_cndmask_b32_e64 v1, 0, v1, s[20:21]
	v_add_u32_e32 v0, v0, v1
	v_cmp_eq_u32_e64 s[24:25], 0, v138
	s_nop 0
	v_mov_b32_dpp v1, v0 row_shr:8 row_mask:0xf bank_mask:0xf
	v_cndmask_b32_e64 v1, 0, v1, s[22:23]
	v_add_u32_e32 v0, v0, v1
	s_nop 1
	v_mov_b32_dpp v1, v0 row_bcast:15 row_mask:0xf bank_mask:0xf
	v_and_b32_e32 v1, v137, v1
	v_add_u32_e32 v0, v0, v1
	s_nop 1
	v_mov_b32_dpp v1, v0 row_bcast:31 row_mask:0xf bank_mask:0xf
	v_cndmask_b32_e64 v1, 0, v1, s[26:27]
	v_add_u32_e32 v0, v0, v1
	s_and_saveexec_b64 s[28:29], s[6:7]
	s_cbranch_execz .LBB1119_90
; %bb.89:                               ;   in Loop: Header=BB1119_12 Depth=1
	ds_write_b32 v17, v0
.LBB1119_90:                            ;   in Loop: Header=BB1119_12 Depth=1
	s_or_b64 exec, exec, s[28:29]
	s_waitcnt lgkmcnt(0)
	s_barrier
	s_and_saveexec_b64 s[28:29], s[8:9]
	s_cbranch_execz .LBB1119_92
; %bb.91:                               ;   in Loop: Header=BB1119_12 Depth=1
	ds_read_b32 v1, v19
	v_cmp_ne_u32_e32 vcc, 0, v139
	s_waitcnt lgkmcnt(0)
	v_mov_b32_dpp v5, v1 row_shr:1 row_mask:0xf bank_mask:0xf
	v_cndmask_b32_e32 v5, 0, v5, vcc
	v_add_u32_e32 v1, v5, v1
	v_cmp_lt_u32_e32 vcc, 1, v139
	s_nop 0
	v_mov_b32_dpp v5, v1 row_shr:2 row_mask:0xf bank_mask:0xf
	v_cndmask_b32_e32 v5, 0, v5, vcc
	v_add_u32_e32 v1, v1, v5
	ds_write_b32 v19, v1
.LBB1119_92:                            ;   in Loop: Header=BB1119_12 Depth=1
	s_or_b64 exec, exec, s[28:29]
	v_mov_b32_e32 v1, 0
	s_waitcnt lgkmcnt(0)
	s_barrier
	s_and_saveexec_b64 s[28:29], s[10:11]
	s_cbranch_execz .LBB1119_94
; %bb.93:                               ;   in Loop: Header=BB1119_12 Depth=1
	ds_read_b32 v1, v21
.LBB1119_94:                            ;   in Loop: Header=BB1119_12 Depth=1
	s_or_b64 exec, exec, s[28:29]
	v_cmp_lt_i32_e32 vcc, v140, v141
	v_cndmask_b32_e32 v5, v140, v135, vcc
	s_waitcnt lgkmcnt(0)
	v_add_u32_e32 v0, v1, v0
	v_lshlrev_b32_e32 v159, 2, v5
	ds_bpermute_b32 v0, v159, v0
	v_cmp_eq_u32_e64 s[28:29], 0, v135
	s_waitcnt lgkmcnt(0)
	s_barrier
	s_and_saveexec_b64 s[30:31], s[4:5]
	s_cbranch_execz .LBB1119_96
; %bb.95:                               ;   in Loop: Header=BB1119_12 Depth=1
	v_cndmask_b32_e64 v0, v0, v1, s[28:29]
	v_readlane_b32 s34, v236, 3
	v_add_u32_e32 v0, s34, v0
	ds_write_b32 v3, v0
.LBB1119_96:                            ;   in Loop: Header=BB1119_12 Depth=1
	s_or_b64 exec, exec, s[30:31]
	s_load_dword s30, s[92:93], 0x4
	s_load_dword s36, s[92:93], 0xc
	v_readlane_b32 s31, v236, 0
	v_add_co_u32_e32 v160, vcc, v100, v142
	s_waitcnt lgkmcnt(0)
	s_cmp_lt_u32 s31, s30
	s_cselect_b32 s30, 14, 20
	s_add_u32 s30, s92, s30
	s_addc_u32 s31, s93, 0
	global_load_ushort v5, v4, s[30:31]
	v_addc_co_u32_e32 v161, vcc, 0, v101, vcc
	v_add_co_u32_e32 v162, vcc, v102, v142
	s_and_b32 s36, s36, 0xffff
	v_addc_co_u32_e32 v163, vcc, 0, v103, vcc
	v_add_co_u32_e32 v170, vcc, 0x1e00, v162
	v_cmp_eq_u32_e64 s[30:31], 0, v139
	v_cmp_lt_u32_e64 s[34:35], 1, v139
	v_readlane_b32 s85, v236, 2
	v_addc_co_u32_e32 v173, vcc, 0, v163, vcc
                                        ; implicit-def: $vgpr0_vgpr1
                                        ; implicit-def: $vgpr34_vgpr35
                                        ; implicit-def: $vgpr36_vgpr37
                                        ; implicit-def: $vgpr40_vgpr41
                                        ; implicit-def: $vgpr44_vgpr45
                                        ; implicit-def: $vgpr48_vgpr49
                                        ; implicit-def: $vgpr52_vgpr53
                                        ; implicit-def: $vgpr56_vgpr57
                                        ; implicit-def: $vgpr38_vgpr39
                                        ; implicit-def: $vgpr42_vgpr43
                                        ; implicit-def: $vgpr46_vgpr47
                                        ; implicit-def: $vgpr50_vgpr51
                                        ; implicit-def: $vgpr54_vgpr55
                                        ; implicit-def: $vgpr58_vgpr59
                                        ; implicit-def: $vgpr60_vgpr61
                                        ; implicit-def: $vgpr62_vgpr63
                                        ; implicit-def: $vgpr164
                                        ; implicit-def: $vgpr165
                                        ; implicit-def: $vgpr166
                                        ; implicit-def: $vgpr167
                                        ; implicit-def: $vgpr168
                                        ; implicit-def: $vgpr169
                                        ; implicit-def: $vgpr171
                                        ; implicit-def: $vgpr172
                                        ; implicit-def: $vgpr174
                                        ; implicit-def: $vgpr175
                                        ; implicit-def: $vgpr176
                                        ; implicit-def: $vgpr177
                                        ; implicit-def: $vgpr179
                                        ; implicit-def: $vgpr180
                                        ; implicit-def: $vgpr181
                                        ; implicit-def: $vgpr182
	s_waitcnt vmcnt(0)
	v_mad_u32_u24 v5, v23, v5, v25
	v_mad_u64_u32 v[64:65], s[36:37], v5, s36, v[2:3]
	v_readlane_b32 s36, v236, 3
	v_lshrrev_b32_e32 v178, 6, v64
	s_mov_b32 s70, s36
	s_branch .LBB1119_98
.LBB1119_97:                            ;   in Loop: Header=BB1119_98 Depth=2
	s_or_b64 exec, exec, s[36:37]
	s_addk_i32 s85, 0xf000
	s_cmp_lt_u32 s86, s96
	s_mov_b32 s70, s86
	s_cbranch_scc0 .LBB1119_306
.LBB1119_98:                            ;   Parent Loop BB1119_12 Depth=1
                                        ; =>  This Inner Loop Header: Depth=2
	s_add_i32 s86, s70, 0x1000
	s_cmp_gt_u32 s86, s96
	s_cbranch_scc1 .LBB1119_101
; %bb.99:                               ;   in Loop: Header=BB1119_98 Depth=2
	s_mov_b32 s71, s90
	s_lshl_b64 s[36:37], s[70:71], 3
	v_mov_b32_e32 v5, s37
	v_add_co_u32_e32 v68, vcc, s36, v162
	v_addc_co_u32_e32 v69, vcc, v163, v5, vcc
	global_load_dwordx2 v[64:65], v[68:69], off
	global_load_dwordx2 v[66:67], v[68:69], off offset:512
	global_load_dwordx2 v[74:75], v[68:69], off offset:1024
	;; [unrolled: 1-line block ×7, first 2 shown]
	v_add_co_u32_e32 v68, vcc, 0x1000, v68
	v_addc_co_u32_e32 v69, vcc, 0, v69, vcc
	global_load_dwordx2 v[92:93], v[68:69], off
	global_load_dwordx2 v[88:89], v[68:69], off offset:512
	global_load_dwordx2 v[84:85], v[68:69], off offset:1024
	global_load_dwordx2 v[80:81], v[68:69], off offset:1536
	global_load_dwordx2 v[76:77], v[68:69], off offset:2048
	global_load_dwordx2 v[72:73], v[68:69], off offset:2560
	s_nop 0
	global_load_dwordx2 v[68:69], v[68:69], off offset:3072
	s_movk_i32 s40, 0x1000
	s_mov_b64 s[36:37], -1
	s_cbranch_execz .LBB1119_102
; %bb.100:                              ;   in Loop: Header=BB1119_98 Depth=2
                                        ; implicit-def: $sgpr38_sgpr39
	v_pk_mov_b32 v[70:71], s[38:39], s[38:39] op_sel:[0,1]
	v_mov_b32_e32 v183, s85
	s_and_saveexec_b64 s[38:39], s[36:37]
	s_cbranch_execnz .LBB1119_133
	s_branch .LBB1119_134
.LBB1119_101:                           ;   in Loop: Header=BB1119_98 Depth=2
	s_mov_b64 s[36:37], 0
                                        ; implicit-def: $sgpr40
                                        ; implicit-def: $vgpr64_vgpr65
                                        ; implicit-def: $vgpr66_vgpr67
                                        ; implicit-def: $vgpr74_vgpr75
                                        ; implicit-def: $vgpr78_vgpr79
                                        ; implicit-def: $vgpr82_vgpr83
                                        ; implicit-def: $vgpr86_vgpr87
                                        ; implicit-def: $vgpr90_vgpr91
                                        ; implicit-def: $vgpr94_vgpr95
                                        ; implicit-def: $vgpr92_vgpr93
                                        ; implicit-def: $vgpr88_vgpr89
                                        ; implicit-def: $vgpr84_vgpr85
                                        ; implicit-def: $vgpr80_vgpr81
                                        ; implicit-def: $vgpr76_vgpr77
                                        ; implicit-def: $vgpr72_vgpr73
                                        ; implicit-def: $vgpr68_vgpr69
.LBB1119_102:                           ;   in Loop: Header=BB1119_98 Depth=2
	s_mov_b32 s71, s90
	s_lshl_b64 s[36:37], s[70:71], 3
	v_mov_b32_e32 v5, s37
	v_add_co_u32_e32 v70, vcc, s36, v162
	v_addc_co_u32_e32 v71, vcc, v163, v5, vcc
	s_waitcnt vmcnt(13)
	v_pk_mov_b32 v[66:67], -1, -1
	v_cmp_gt_u32_e32 vcc, s85, v143
	v_pk_mov_b32 v[64:65], v[66:67], v[66:67] op_sel:[0,1]
	s_and_saveexec_b64 s[36:37], vcc
	s_cbranch_execz .LBB1119_104
; %bb.103:                              ;   in Loop: Header=BB1119_98 Depth=2
	global_load_dwordx2 v[64:65], v[70:71], off
.LBB1119_104:                           ;   in Loop: Header=BB1119_98 Depth=2
	s_or_b64 exec, exec, s[36:37]
	v_cmp_gt_u32_e32 vcc, s85, v144
	s_and_saveexec_b64 s[36:37], vcc
	s_cbranch_execz .LBB1119_106
; %bb.105:                              ;   in Loop: Header=BB1119_98 Depth=2
	global_load_dwordx2 v[66:67], v[70:71], off offset:512
.LBB1119_106:                           ;   in Loop: Header=BB1119_98 Depth=2
	s_or_b64 exec, exec, s[36:37]
	s_waitcnt vmcnt(11)
	v_pk_mov_b32 v[78:79], -1, -1
	v_cmp_gt_u32_e32 vcc, s85, v145
	v_pk_mov_b32 v[74:75], v[78:79], v[78:79] op_sel:[0,1]
	s_and_saveexec_b64 s[36:37], vcc
	s_cbranch_execz .LBB1119_108
; %bb.107:                              ;   in Loop: Header=BB1119_98 Depth=2
	global_load_dwordx2 v[74:75], v[70:71], off offset:1024
.LBB1119_108:                           ;   in Loop: Header=BB1119_98 Depth=2
	s_or_b64 exec, exec, s[36:37]
	v_cmp_gt_u32_e32 vcc, s85, v146
	s_and_saveexec_b64 s[36:37], vcc
	s_cbranch_execz .LBB1119_110
; %bb.109:                              ;   in Loop: Header=BB1119_98 Depth=2
	global_load_dwordx2 v[78:79], v[70:71], off offset:1536
.LBB1119_110:                           ;   in Loop: Header=BB1119_98 Depth=2
	s_or_b64 exec, exec, s[36:37]
	s_waitcnt vmcnt(9)
	v_pk_mov_b32 v[86:87], -1, -1
	v_cmp_gt_u32_e32 vcc, s85, v147
	v_pk_mov_b32 v[82:83], v[86:87], v[86:87] op_sel:[0,1]
	s_and_saveexec_b64 s[36:37], vcc
	s_cbranch_execz .LBB1119_112
; %bb.111:                              ;   in Loop: Header=BB1119_98 Depth=2
	global_load_dwordx2 v[82:83], v[70:71], off offset:2048
.LBB1119_112:                           ;   in Loop: Header=BB1119_98 Depth=2
	;; [unrolled: 17-line block ×3, first 2 shown]
	s_or_b64 exec, exec, s[36:37]
	v_cmp_gt_u32_e32 vcc, s85, v150
	s_and_saveexec_b64 s[36:37], vcc
	s_cbranch_execz .LBB1119_118
; %bb.117:                              ;   in Loop: Header=BB1119_98 Depth=2
	global_load_dwordx2 v[94:95], v[70:71], off offset:3584
.LBB1119_118:                           ;   in Loop: Header=BB1119_98 Depth=2
	s_or_b64 exec, exec, s[36:37]
	s_waitcnt vmcnt(5)
	v_pk_mov_b32 v[88:89], -1, -1
	v_cmp_gt_u32_e32 vcc, s85, v151
	v_pk_mov_b32 v[92:93], v[88:89], v[88:89] op_sel:[0,1]
	s_and_saveexec_b64 s[36:37], vcc
	s_cbranch_execz .LBB1119_120
; %bb.119:                              ;   in Loop: Header=BB1119_98 Depth=2
	s_waitcnt vmcnt(0)
	v_add_co_u32_e32 v68, vcc, 0x1000, v70
	v_addc_co_u32_e32 v69, vcc, 0, v71, vcc
	global_load_dwordx2 v[92:93], v[68:69], off
.LBB1119_120:                           ;   in Loop: Header=BB1119_98 Depth=2
	s_or_b64 exec, exec, s[36:37]
	v_cmp_gt_u32_e32 vcc, s85, v152
	s_and_saveexec_b64 s[36:37], vcc
	s_cbranch_execz .LBB1119_122
; %bb.121:                              ;   in Loop: Header=BB1119_98 Depth=2
	s_waitcnt vmcnt(0)
	v_add_co_u32_e32 v68, vcc, 0x1000, v70
	v_addc_co_u32_e32 v69, vcc, 0, v71, vcc
	global_load_dwordx2 v[88:89], v[68:69], off offset:512
.LBB1119_122:                           ;   in Loop: Header=BB1119_98 Depth=2
	s_or_b64 exec, exec, s[36:37]
	s_waitcnt vmcnt(3)
	v_pk_mov_b32 v[80:81], -1, -1
	v_cmp_gt_u32_e32 vcc, s85, v153
	v_pk_mov_b32 v[84:85], v[80:81], v[80:81] op_sel:[0,1]
	s_and_saveexec_b64 s[36:37], vcc
	s_cbranch_execz .LBB1119_124
; %bb.123:                              ;   in Loop: Header=BB1119_98 Depth=2
	s_waitcnt vmcnt(0)
	v_add_co_u32_e32 v68, vcc, 0x1000, v70
	v_addc_co_u32_e32 v69, vcc, 0, v71, vcc
	global_load_dwordx2 v[84:85], v[68:69], off offset:1024
.LBB1119_124:                           ;   in Loop: Header=BB1119_98 Depth=2
	s_or_b64 exec, exec, s[36:37]
	v_cmp_gt_u32_e32 vcc, s85, v154
	s_and_saveexec_b64 s[36:37], vcc
	s_cbranch_execz .LBB1119_126
; %bb.125:                              ;   in Loop: Header=BB1119_98 Depth=2
	s_waitcnt vmcnt(0)
	v_add_co_u32_e32 v68, vcc, 0x1000, v70
	v_addc_co_u32_e32 v69, vcc, 0, v71, vcc
	global_load_dwordx2 v[80:81], v[68:69], off offset:1536
.LBB1119_126:                           ;   in Loop: Header=BB1119_98 Depth=2
	s_or_b64 exec, exec, s[36:37]
	s_waitcnt vmcnt(1)
	v_pk_mov_b32 v[72:73], -1, -1
	v_cmp_gt_u32_e32 vcc, s85, v155
	v_pk_mov_b32 v[76:77], v[72:73], v[72:73] op_sel:[0,1]
	s_and_saveexec_b64 s[36:37], vcc
	s_cbranch_execz .LBB1119_128
; %bb.127:                              ;   in Loop: Header=BB1119_98 Depth=2
	s_waitcnt vmcnt(0)
	v_add_co_u32_e32 v68, vcc, 0x1000, v70
	v_addc_co_u32_e32 v69, vcc, 0, v71, vcc
	global_load_dwordx2 v[76:77], v[68:69], off offset:2048
.LBB1119_128:                           ;   in Loop: Header=BB1119_98 Depth=2
	s_or_b64 exec, exec, s[36:37]
	v_cmp_gt_u32_e32 vcc, s85, v156
	s_and_saveexec_b64 s[36:37], vcc
	s_cbranch_execz .LBB1119_130
; %bb.129:                              ;   in Loop: Header=BB1119_98 Depth=2
	s_waitcnt vmcnt(0)
	v_add_co_u32_e32 v68, vcc, 0x1000, v70
	v_addc_co_u32_e32 v69, vcc, 0, v71, vcc
	global_load_dwordx2 v[72:73], v[68:69], off offset:2560
.LBB1119_130:                           ;   in Loop: Header=BB1119_98 Depth=2
	s_or_b64 exec, exec, s[36:37]
	v_cmp_gt_u32_e32 vcc, s85, v157
	s_waitcnt vmcnt(0)
	v_pk_mov_b32 v[68:69], -1, -1
	s_and_saveexec_b64 s[36:37], vcc
	s_cbranch_execz .LBB1119_132
; %bb.131:                              ;   in Loop: Header=BB1119_98 Depth=2
	v_add_co_u32_e32 v68, vcc, 0x1000, v70
	v_addc_co_u32_e32 v69, vcc, 0, v71, vcc
	global_load_dwordx2 v[68:69], v[68:69], off offset:3072
.LBB1119_132:                           ;   in Loop: Header=BB1119_98 Depth=2
	s_or_b64 exec, exec, s[36:37]
	s_sub_i32 s40, s96, s70
	v_cmp_gt_u32_e64 s[36:37], s85, v158
	s_mov_b64 s[38:39], -1
	v_pk_mov_b32 v[70:71], s[38:39], s[38:39] op_sel:[0,1]
	v_mov_b32_e32 v183, s85
	s_and_saveexec_b64 s[38:39], s[36:37]
	s_cbranch_execz .LBB1119_134
.LBB1119_133:                           ;   in Loop: Header=BB1119_98 Depth=2
	s_lshl_b64 s[36:37], s[70:71], 3
	v_mov_b32_e32 v5, s37
	v_add_co_u32_e32 v70, vcc, s36, v170
	v_addc_co_u32_e32 v71, vcc, v173, v5, vcc
	global_load_dwordx2 v[70:71], v[70:71], off
	v_mov_b32_e32 v183, s40
.LBB1119_134:                           ;   in Loop: Header=BB1119_98 Depth=2
	s_or_b64 exec, exec, s[38:39]
	s_waitcnt vmcnt(14)
	v_cmp_gt_i64_e32 vcc, 0, v[64:65]
	v_ashrrev_i32_e32 v96, 31, v65
	v_cndmask_b32_e64 v5, v133, 0, vcc
	v_not_b32_e32 v96, v96
	v_xor_b32_e32 v65, v5, v65
	v_xor_b32_e32 v64, v96, v64
	v_cmp_ne_u64_e32 vcc, s[90:91], v[64:65]
	v_cndmask_b32_e32 v97, v133, v65, vcc
	v_cndmask_b32_e32 v96, -1, v64, vcc
	v_lshrrev_b64 v[96:97], s69, v[96:97]
	v_add_u32_e32 v5, 0x410, v27
	v_and_b32_e32 v96, s95, v96
	ds_write2_b32 v5, v4, v4 offset1:1
	ds_write2_b32 v31, v4, v4 offset0:2 offset1:3
	ds_write_b32 v31, v4 offset:16
	v_mad_u32_u24 v5, v96, 5, v178
	v_lshl_add_u32 v184, v5, 2, v29
	v_and_b32_e32 v5, 1, v96
	v_add_co_u32_e32 v97, vcc, -1, v5
	v_addc_co_u32_e64 v98, s[36:37], 0, -1, vcc
	v_cmp_ne_u32_e32 vcc, 0, v5
	v_xor_b32_e32 v5, vcc_hi, v98
	v_and_b32_e32 v98, exec_hi, v5
	v_lshlrev_b32_e32 v5, 30, v96
	v_xor_b32_e32 v97, vcc_lo, v97
	v_cmp_gt_i64_e32 vcc, 0, v[4:5]
	v_not_b32_e32 v5, v5
	v_ashrrev_i32_e32 v5, 31, v5
	v_and_b32_e32 v97, exec_lo, v97
	v_xor_b32_e32 v99, vcc_hi, v5
	v_xor_b32_e32 v5, vcc_lo, v5
	v_and_b32_e32 v97, v97, v5
	v_lshlrev_b32_e32 v5, 29, v96
	v_cmp_gt_i64_e32 vcc, 0, v[4:5]
	v_not_b32_e32 v5, v5
	v_ashrrev_i32_e32 v5, 31, v5
	v_and_b32_e32 v98, v98, v99
	v_xor_b32_e32 v99, vcc_hi, v5
	v_xor_b32_e32 v5, vcc_lo, v5
	v_and_b32_e32 v97, v97, v5
	v_lshlrev_b32_e32 v5, 28, v96
	v_cmp_gt_i64_e32 vcc, 0, v[4:5]
	v_not_b32_e32 v5, v5
	v_ashrrev_i32_e32 v5, 31, v5
	v_and_b32_e32 v98, v98, v99
	;; [unrolled: 8-line block ×5, first 2 shown]
	v_xor_b32_e32 v99, vcc_hi, v5
	v_xor_b32_e32 v5, vcc_lo, v5
	v_and_b32_e32 v98, v98, v99
	v_and_b32_e32 v99, v97, v5
	v_lshlrev_b32_e32 v5, 24, v96
	v_cmp_gt_i64_e32 vcc, 0, v[4:5]
	v_not_b32_e32 v5, v5
	v_ashrrev_i32_e32 v5, 31, v5
	v_xor_b32_e32 v96, vcc_hi, v5
	v_xor_b32_e32 v5, vcc_lo, v5
	v_and_b32_e32 v97, v98, v96
	v_and_b32_e32 v96, v99, v5
	v_mbcnt_lo_u32_b32 v5, v96, 0
	v_mbcnt_hi_u32_b32 v185, v97, v5
	v_cmp_eq_u32_e32 vcc, 0, v185
	v_cmp_ne_u64_e64 s[36:37], 0, v[96:97]
	s_and_b64 s[38:39], s[36:37], vcc
	s_waitcnt lgkmcnt(0)
	s_barrier
	s_waitcnt lgkmcnt(0)
	; wave barrier
	s_and_saveexec_b64 s[36:37], s[38:39]
	s_cbranch_execz .LBB1119_136
; %bb.135:                              ;   in Loop: Header=BB1119_98 Depth=2
	v_bcnt_u32_b32 v5, v96, 0
	v_bcnt_u32_b32 v5, v97, v5
	ds_write_b32 v184, v5
.LBB1119_136:                           ;   in Loop: Header=BB1119_98 Depth=2
	s_or_b64 exec, exec, s[36:37]
	s_waitcnt vmcnt(13)
	v_cmp_gt_i64_e32 vcc, 0, v[66:67]
	v_ashrrev_i32_e32 v96, 31, v67
	v_cndmask_b32_e64 v5, v133, 0, vcc
	v_not_b32_e32 v96, v96
	v_xor_b32_e32 v67, v5, v67
	v_xor_b32_e32 v66, v96, v66
	v_cmp_ne_u64_e32 vcc, s[90:91], v[66:67]
	v_cndmask_b32_e32 v97, v133, v67, vcc
	v_cndmask_b32_e32 v96, -1, v66, vcc
	v_lshrrev_b64 v[96:97], s69, v[96:97]
	v_and_b32_e32 v96, s95, v96
	v_mul_u32_u24_e32 v5, 5, v96
	v_add_lshl_u32 v5, v5, v178, 2
	; wave barrier
	v_add_u32_e32 v187, 0x410, v5
	ds_read_b32 v186, v5 offset:1040
	v_and_b32_e32 v5, 1, v96
	v_add_co_u32_e32 v97, vcc, -1, v5
	v_addc_co_u32_e64 v98, s[36:37], 0, -1, vcc
	v_cmp_ne_u32_e32 vcc, 0, v5
	v_xor_b32_e32 v5, vcc_hi, v98
	v_and_b32_e32 v98, exec_hi, v5
	v_lshlrev_b32_e32 v5, 30, v96
	v_xor_b32_e32 v97, vcc_lo, v97
	v_cmp_gt_i64_e32 vcc, 0, v[4:5]
	v_not_b32_e32 v5, v5
	v_ashrrev_i32_e32 v5, 31, v5
	v_and_b32_e32 v97, exec_lo, v97
	v_xor_b32_e32 v99, vcc_hi, v5
	v_xor_b32_e32 v5, vcc_lo, v5
	v_and_b32_e32 v97, v97, v5
	v_lshlrev_b32_e32 v5, 29, v96
	v_cmp_gt_i64_e32 vcc, 0, v[4:5]
	v_not_b32_e32 v5, v5
	v_ashrrev_i32_e32 v5, 31, v5
	v_and_b32_e32 v98, v98, v99
	v_xor_b32_e32 v99, vcc_hi, v5
	v_xor_b32_e32 v5, vcc_lo, v5
	v_and_b32_e32 v97, v97, v5
	v_lshlrev_b32_e32 v5, 28, v96
	v_cmp_gt_i64_e32 vcc, 0, v[4:5]
	v_not_b32_e32 v5, v5
	v_ashrrev_i32_e32 v5, 31, v5
	v_and_b32_e32 v98, v98, v99
	;; [unrolled: 8-line block ×5, first 2 shown]
	v_xor_b32_e32 v99, vcc_hi, v5
	v_xor_b32_e32 v5, vcc_lo, v5
	v_and_b32_e32 v98, v98, v99
	v_and_b32_e32 v99, v97, v5
	v_lshlrev_b32_e32 v5, 24, v96
	v_cmp_gt_i64_e32 vcc, 0, v[4:5]
	v_not_b32_e32 v5, v5
	v_ashrrev_i32_e32 v5, 31, v5
	v_xor_b32_e32 v96, vcc_hi, v5
	v_xor_b32_e32 v5, vcc_lo, v5
	v_and_b32_e32 v97, v98, v96
	v_and_b32_e32 v96, v99, v5
	v_mbcnt_lo_u32_b32 v5, v96, 0
	v_mbcnt_hi_u32_b32 v188, v97, v5
	v_cmp_eq_u32_e32 vcc, 0, v188
	v_cmp_ne_u64_e64 s[36:37], 0, v[96:97]
	s_and_b64 s[38:39], s[36:37], vcc
	; wave barrier
	s_and_saveexec_b64 s[36:37], s[38:39]
	s_cbranch_execz .LBB1119_138
; %bb.137:                              ;   in Loop: Header=BB1119_98 Depth=2
	v_bcnt_u32_b32 v5, v96, 0
	v_bcnt_u32_b32 v5, v97, v5
	s_waitcnt lgkmcnt(0)
	v_add_u32_e32 v5, v186, v5
	ds_write_b32 v187, v5
.LBB1119_138:                           ;   in Loop: Header=BB1119_98 Depth=2
	s_or_b64 exec, exec, s[36:37]
	s_waitcnt vmcnt(12)
	v_cmp_gt_i64_e32 vcc, 0, v[74:75]
	v_ashrrev_i32_e32 v96, 31, v75
	v_cndmask_b32_e64 v5, v133, 0, vcc
	v_not_b32_e32 v96, v96
	v_xor_b32_e32 v75, v5, v75
	v_xor_b32_e32 v74, v96, v74
	v_cmp_ne_u64_e32 vcc, s[90:91], v[74:75]
	v_cndmask_b32_e32 v97, v133, v75, vcc
	v_cndmask_b32_e32 v96, -1, v74, vcc
	v_lshrrev_b64 v[96:97], s69, v[96:97]
	v_and_b32_e32 v96, s95, v96
	v_mul_u32_u24_e32 v5, 5, v96
	v_add_lshl_u32 v5, v5, v178, 2
	; wave barrier
	v_add_u32_e32 v190, 0x410, v5
	ds_read_b32 v189, v5 offset:1040
	v_and_b32_e32 v5, 1, v96
	v_add_co_u32_e32 v97, vcc, -1, v5
	v_addc_co_u32_e64 v98, s[36:37], 0, -1, vcc
	v_cmp_ne_u32_e32 vcc, 0, v5
	v_xor_b32_e32 v5, vcc_hi, v98
	v_and_b32_e32 v98, exec_hi, v5
	v_lshlrev_b32_e32 v5, 30, v96
	v_xor_b32_e32 v97, vcc_lo, v97
	v_cmp_gt_i64_e32 vcc, 0, v[4:5]
	v_not_b32_e32 v5, v5
	v_ashrrev_i32_e32 v5, 31, v5
	v_and_b32_e32 v97, exec_lo, v97
	v_xor_b32_e32 v99, vcc_hi, v5
	v_xor_b32_e32 v5, vcc_lo, v5
	v_and_b32_e32 v97, v97, v5
	v_lshlrev_b32_e32 v5, 29, v96
	v_cmp_gt_i64_e32 vcc, 0, v[4:5]
	v_not_b32_e32 v5, v5
	v_ashrrev_i32_e32 v5, 31, v5
	v_and_b32_e32 v98, v98, v99
	v_xor_b32_e32 v99, vcc_hi, v5
	v_xor_b32_e32 v5, vcc_lo, v5
	v_and_b32_e32 v97, v97, v5
	v_lshlrev_b32_e32 v5, 28, v96
	v_cmp_gt_i64_e32 vcc, 0, v[4:5]
	v_not_b32_e32 v5, v5
	v_ashrrev_i32_e32 v5, 31, v5
	v_and_b32_e32 v98, v98, v99
	;; [unrolled: 8-line block ×5, first 2 shown]
	v_xor_b32_e32 v99, vcc_hi, v5
	v_xor_b32_e32 v5, vcc_lo, v5
	v_and_b32_e32 v98, v98, v99
	v_and_b32_e32 v99, v97, v5
	v_lshlrev_b32_e32 v5, 24, v96
	v_cmp_gt_i64_e32 vcc, 0, v[4:5]
	v_not_b32_e32 v5, v5
	v_ashrrev_i32_e32 v5, 31, v5
	v_xor_b32_e32 v96, vcc_hi, v5
	v_xor_b32_e32 v5, vcc_lo, v5
	v_and_b32_e32 v97, v98, v96
	v_and_b32_e32 v96, v99, v5
	v_mbcnt_lo_u32_b32 v5, v96, 0
	v_mbcnt_hi_u32_b32 v191, v97, v5
	v_cmp_eq_u32_e32 vcc, 0, v191
	v_cmp_ne_u64_e64 s[36:37], 0, v[96:97]
	s_and_b64 s[38:39], s[36:37], vcc
	; wave barrier
	s_and_saveexec_b64 s[36:37], s[38:39]
	s_cbranch_execz .LBB1119_140
; %bb.139:                              ;   in Loop: Header=BB1119_98 Depth=2
	v_bcnt_u32_b32 v5, v96, 0
	v_bcnt_u32_b32 v5, v97, v5
	s_waitcnt lgkmcnt(0)
	v_add_u32_e32 v5, v189, v5
	ds_write_b32 v190, v5
.LBB1119_140:                           ;   in Loop: Header=BB1119_98 Depth=2
	s_or_b64 exec, exec, s[36:37]
	s_waitcnt vmcnt(11)
	v_cmp_gt_i64_e32 vcc, 0, v[78:79]
	v_ashrrev_i32_e32 v96, 31, v79
	v_cndmask_b32_e64 v5, v133, 0, vcc
	v_not_b32_e32 v96, v96
	v_xor_b32_e32 v79, v5, v79
	v_xor_b32_e32 v78, v96, v78
	v_cmp_ne_u64_e32 vcc, s[90:91], v[78:79]
	v_cndmask_b32_e32 v97, v133, v79, vcc
	v_cndmask_b32_e32 v96, -1, v78, vcc
	v_lshrrev_b64 v[96:97], s69, v[96:97]
	v_and_b32_e32 v96, s95, v96
	v_mul_u32_u24_e32 v5, 5, v96
	v_add_lshl_u32 v5, v5, v178, 2
	; wave barrier
	v_add_u32_e32 v193, 0x410, v5
	ds_read_b32 v192, v5 offset:1040
	v_and_b32_e32 v5, 1, v96
	v_add_co_u32_e32 v97, vcc, -1, v5
	v_addc_co_u32_e64 v98, s[36:37], 0, -1, vcc
	v_cmp_ne_u32_e32 vcc, 0, v5
	v_xor_b32_e32 v5, vcc_hi, v98
	v_and_b32_e32 v98, exec_hi, v5
	v_lshlrev_b32_e32 v5, 30, v96
	v_xor_b32_e32 v97, vcc_lo, v97
	v_cmp_gt_i64_e32 vcc, 0, v[4:5]
	v_not_b32_e32 v5, v5
	v_ashrrev_i32_e32 v5, 31, v5
	v_and_b32_e32 v97, exec_lo, v97
	v_xor_b32_e32 v99, vcc_hi, v5
	v_xor_b32_e32 v5, vcc_lo, v5
	v_and_b32_e32 v97, v97, v5
	v_lshlrev_b32_e32 v5, 29, v96
	v_cmp_gt_i64_e32 vcc, 0, v[4:5]
	v_not_b32_e32 v5, v5
	v_ashrrev_i32_e32 v5, 31, v5
	v_and_b32_e32 v98, v98, v99
	v_xor_b32_e32 v99, vcc_hi, v5
	v_xor_b32_e32 v5, vcc_lo, v5
	v_and_b32_e32 v97, v97, v5
	v_lshlrev_b32_e32 v5, 28, v96
	v_cmp_gt_i64_e32 vcc, 0, v[4:5]
	v_not_b32_e32 v5, v5
	v_ashrrev_i32_e32 v5, 31, v5
	v_and_b32_e32 v98, v98, v99
	;; [unrolled: 8-line block ×5, first 2 shown]
	v_xor_b32_e32 v99, vcc_hi, v5
	v_xor_b32_e32 v5, vcc_lo, v5
	v_and_b32_e32 v98, v98, v99
	v_and_b32_e32 v99, v97, v5
	v_lshlrev_b32_e32 v5, 24, v96
	v_cmp_gt_i64_e32 vcc, 0, v[4:5]
	v_not_b32_e32 v5, v5
	v_ashrrev_i32_e32 v5, 31, v5
	v_xor_b32_e32 v96, vcc_hi, v5
	v_xor_b32_e32 v5, vcc_lo, v5
	v_and_b32_e32 v97, v98, v96
	v_and_b32_e32 v96, v99, v5
	v_mbcnt_lo_u32_b32 v5, v96, 0
	v_mbcnt_hi_u32_b32 v194, v97, v5
	v_cmp_eq_u32_e32 vcc, 0, v194
	v_cmp_ne_u64_e64 s[36:37], 0, v[96:97]
	s_and_b64 s[38:39], s[36:37], vcc
	; wave barrier
	s_and_saveexec_b64 s[36:37], s[38:39]
	s_cbranch_execz .LBB1119_142
; %bb.141:                              ;   in Loop: Header=BB1119_98 Depth=2
	v_bcnt_u32_b32 v5, v96, 0
	v_bcnt_u32_b32 v5, v97, v5
	s_waitcnt lgkmcnt(0)
	v_add_u32_e32 v5, v192, v5
	ds_write_b32 v193, v5
.LBB1119_142:                           ;   in Loop: Header=BB1119_98 Depth=2
	s_or_b64 exec, exec, s[36:37]
	s_waitcnt vmcnt(10)
	v_cmp_gt_i64_e32 vcc, 0, v[82:83]
	v_ashrrev_i32_e32 v96, 31, v83
	v_cndmask_b32_e64 v5, v133, 0, vcc
	v_not_b32_e32 v96, v96
	v_xor_b32_e32 v83, v5, v83
	v_xor_b32_e32 v82, v96, v82
	v_cmp_ne_u64_e32 vcc, s[90:91], v[82:83]
	v_cndmask_b32_e32 v97, v133, v83, vcc
	v_cndmask_b32_e32 v96, -1, v82, vcc
	v_lshrrev_b64 v[96:97], s69, v[96:97]
	v_and_b32_e32 v96, s95, v96
	v_mul_u32_u24_e32 v5, 5, v96
	v_add_lshl_u32 v5, v5, v178, 2
	; wave barrier
	v_add_u32_e32 v196, 0x410, v5
	ds_read_b32 v195, v5 offset:1040
	v_and_b32_e32 v5, 1, v96
	v_add_co_u32_e32 v97, vcc, -1, v5
	v_addc_co_u32_e64 v98, s[36:37], 0, -1, vcc
	v_cmp_ne_u32_e32 vcc, 0, v5
	v_xor_b32_e32 v5, vcc_hi, v98
	v_and_b32_e32 v98, exec_hi, v5
	v_lshlrev_b32_e32 v5, 30, v96
	v_xor_b32_e32 v97, vcc_lo, v97
	v_cmp_gt_i64_e32 vcc, 0, v[4:5]
	v_not_b32_e32 v5, v5
	v_ashrrev_i32_e32 v5, 31, v5
	v_and_b32_e32 v97, exec_lo, v97
	v_xor_b32_e32 v99, vcc_hi, v5
	v_xor_b32_e32 v5, vcc_lo, v5
	v_and_b32_e32 v97, v97, v5
	v_lshlrev_b32_e32 v5, 29, v96
	v_cmp_gt_i64_e32 vcc, 0, v[4:5]
	v_not_b32_e32 v5, v5
	v_ashrrev_i32_e32 v5, 31, v5
	v_and_b32_e32 v98, v98, v99
	v_xor_b32_e32 v99, vcc_hi, v5
	v_xor_b32_e32 v5, vcc_lo, v5
	v_and_b32_e32 v97, v97, v5
	v_lshlrev_b32_e32 v5, 28, v96
	v_cmp_gt_i64_e32 vcc, 0, v[4:5]
	v_not_b32_e32 v5, v5
	v_ashrrev_i32_e32 v5, 31, v5
	v_and_b32_e32 v98, v98, v99
	;; [unrolled: 8-line block ×5, first 2 shown]
	v_xor_b32_e32 v99, vcc_hi, v5
	v_xor_b32_e32 v5, vcc_lo, v5
	v_and_b32_e32 v98, v98, v99
	v_and_b32_e32 v99, v97, v5
	v_lshlrev_b32_e32 v5, 24, v96
	v_cmp_gt_i64_e32 vcc, 0, v[4:5]
	v_not_b32_e32 v5, v5
	v_ashrrev_i32_e32 v5, 31, v5
	v_xor_b32_e32 v96, vcc_hi, v5
	v_xor_b32_e32 v5, vcc_lo, v5
	v_and_b32_e32 v97, v98, v96
	v_and_b32_e32 v96, v99, v5
	v_mbcnt_lo_u32_b32 v5, v96, 0
	v_mbcnt_hi_u32_b32 v197, v97, v5
	v_cmp_eq_u32_e32 vcc, 0, v197
	v_cmp_ne_u64_e64 s[36:37], 0, v[96:97]
	s_and_b64 s[38:39], s[36:37], vcc
	; wave barrier
	s_and_saveexec_b64 s[36:37], s[38:39]
	s_cbranch_execz .LBB1119_144
; %bb.143:                              ;   in Loop: Header=BB1119_98 Depth=2
	v_bcnt_u32_b32 v5, v96, 0
	v_bcnt_u32_b32 v5, v97, v5
	s_waitcnt lgkmcnt(0)
	v_add_u32_e32 v5, v195, v5
	ds_write_b32 v196, v5
.LBB1119_144:                           ;   in Loop: Header=BB1119_98 Depth=2
	s_or_b64 exec, exec, s[36:37]
	s_waitcnt vmcnt(9)
	v_cmp_gt_i64_e32 vcc, 0, v[86:87]
	v_ashrrev_i32_e32 v96, 31, v87
	v_cndmask_b32_e64 v5, v133, 0, vcc
	v_not_b32_e32 v96, v96
	v_xor_b32_e32 v87, v5, v87
	v_xor_b32_e32 v86, v96, v86
	v_cmp_ne_u64_e32 vcc, s[90:91], v[86:87]
	v_cndmask_b32_e32 v97, v133, v87, vcc
	v_cndmask_b32_e32 v96, -1, v86, vcc
	v_lshrrev_b64 v[96:97], s69, v[96:97]
	v_and_b32_e32 v96, s95, v96
	v_mul_u32_u24_e32 v5, 5, v96
	v_add_lshl_u32 v5, v5, v178, 2
	; wave barrier
	v_add_u32_e32 v199, 0x410, v5
	ds_read_b32 v198, v5 offset:1040
	v_and_b32_e32 v5, 1, v96
	v_add_co_u32_e32 v97, vcc, -1, v5
	v_addc_co_u32_e64 v98, s[36:37], 0, -1, vcc
	v_cmp_ne_u32_e32 vcc, 0, v5
	v_xor_b32_e32 v5, vcc_hi, v98
	v_and_b32_e32 v98, exec_hi, v5
	v_lshlrev_b32_e32 v5, 30, v96
	v_xor_b32_e32 v97, vcc_lo, v97
	v_cmp_gt_i64_e32 vcc, 0, v[4:5]
	v_not_b32_e32 v5, v5
	v_ashrrev_i32_e32 v5, 31, v5
	v_and_b32_e32 v97, exec_lo, v97
	v_xor_b32_e32 v99, vcc_hi, v5
	v_xor_b32_e32 v5, vcc_lo, v5
	v_and_b32_e32 v97, v97, v5
	v_lshlrev_b32_e32 v5, 29, v96
	v_cmp_gt_i64_e32 vcc, 0, v[4:5]
	v_not_b32_e32 v5, v5
	v_ashrrev_i32_e32 v5, 31, v5
	v_and_b32_e32 v98, v98, v99
	v_xor_b32_e32 v99, vcc_hi, v5
	v_xor_b32_e32 v5, vcc_lo, v5
	v_and_b32_e32 v97, v97, v5
	v_lshlrev_b32_e32 v5, 28, v96
	v_cmp_gt_i64_e32 vcc, 0, v[4:5]
	v_not_b32_e32 v5, v5
	v_ashrrev_i32_e32 v5, 31, v5
	v_and_b32_e32 v98, v98, v99
	;; [unrolled: 8-line block ×5, first 2 shown]
	v_xor_b32_e32 v99, vcc_hi, v5
	v_xor_b32_e32 v5, vcc_lo, v5
	v_and_b32_e32 v98, v98, v99
	v_and_b32_e32 v99, v97, v5
	v_lshlrev_b32_e32 v5, 24, v96
	v_cmp_gt_i64_e32 vcc, 0, v[4:5]
	v_not_b32_e32 v5, v5
	v_ashrrev_i32_e32 v5, 31, v5
	v_xor_b32_e32 v96, vcc_hi, v5
	v_xor_b32_e32 v5, vcc_lo, v5
	v_and_b32_e32 v97, v98, v96
	v_and_b32_e32 v96, v99, v5
	v_mbcnt_lo_u32_b32 v5, v96, 0
	v_mbcnt_hi_u32_b32 v200, v97, v5
	v_cmp_eq_u32_e32 vcc, 0, v200
	v_cmp_ne_u64_e64 s[36:37], 0, v[96:97]
	s_and_b64 s[38:39], s[36:37], vcc
	; wave barrier
	s_and_saveexec_b64 s[36:37], s[38:39]
	s_cbranch_execz .LBB1119_146
; %bb.145:                              ;   in Loop: Header=BB1119_98 Depth=2
	v_bcnt_u32_b32 v5, v96, 0
	v_bcnt_u32_b32 v5, v97, v5
	s_waitcnt lgkmcnt(0)
	v_add_u32_e32 v5, v198, v5
	ds_write_b32 v199, v5
.LBB1119_146:                           ;   in Loop: Header=BB1119_98 Depth=2
	s_or_b64 exec, exec, s[36:37]
	s_waitcnt vmcnt(8)
	v_cmp_gt_i64_e32 vcc, 0, v[90:91]
	v_ashrrev_i32_e32 v96, 31, v91
	v_cndmask_b32_e64 v5, v133, 0, vcc
	v_not_b32_e32 v96, v96
	v_xor_b32_e32 v91, v5, v91
	v_xor_b32_e32 v90, v96, v90
	v_cmp_ne_u64_e32 vcc, s[90:91], v[90:91]
	v_cndmask_b32_e32 v97, v133, v91, vcc
	v_cndmask_b32_e32 v96, -1, v90, vcc
	v_lshrrev_b64 v[96:97], s69, v[96:97]
	v_and_b32_e32 v96, s95, v96
	v_mul_u32_u24_e32 v5, 5, v96
	v_add_lshl_u32 v5, v5, v178, 2
	; wave barrier
	v_add_u32_e32 v202, 0x410, v5
	ds_read_b32 v201, v5 offset:1040
	v_and_b32_e32 v5, 1, v96
	v_add_co_u32_e32 v97, vcc, -1, v5
	v_addc_co_u32_e64 v98, s[36:37], 0, -1, vcc
	v_cmp_ne_u32_e32 vcc, 0, v5
	v_xor_b32_e32 v5, vcc_hi, v98
	v_and_b32_e32 v98, exec_hi, v5
	v_lshlrev_b32_e32 v5, 30, v96
	v_xor_b32_e32 v97, vcc_lo, v97
	v_cmp_gt_i64_e32 vcc, 0, v[4:5]
	v_not_b32_e32 v5, v5
	v_ashrrev_i32_e32 v5, 31, v5
	v_and_b32_e32 v97, exec_lo, v97
	v_xor_b32_e32 v99, vcc_hi, v5
	v_xor_b32_e32 v5, vcc_lo, v5
	v_and_b32_e32 v97, v97, v5
	v_lshlrev_b32_e32 v5, 29, v96
	v_cmp_gt_i64_e32 vcc, 0, v[4:5]
	v_not_b32_e32 v5, v5
	v_ashrrev_i32_e32 v5, 31, v5
	v_and_b32_e32 v98, v98, v99
	v_xor_b32_e32 v99, vcc_hi, v5
	v_xor_b32_e32 v5, vcc_lo, v5
	v_and_b32_e32 v97, v97, v5
	v_lshlrev_b32_e32 v5, 28, v96
	v_cmp_gt_i64_e32 vcc, 0, v[4:5]
	v_not_b32_e32 v5, v5
	v_ashrrev_i32_e32 v5, 31, v5
	v_and_b32_e32 v98, v98, v99
	;; [unrolled: 8-line block ×5, first 2 shown]
	v_xor_b32_e32 v99, vcc_hi, v5
	v_xor_b32_e32 v5, vcc_lo, v5
	v_and_b32_e32 v98, v98, v99
	v_and_b32_e32 v99, v97, v5
	v_lshlrev_b32_e32 v5, 24, v96
	v_cmp_gt_i64_e32 vcc, 0, v[4:5]
	v_not_b32_e32 v5, v5
	v_ashrrev_i32_e32 v5, 31, v5
	v_xor_b32_e32 v96, vcc_hi, v5
	v_xor_b32_e32 v5, vcc_lo, v5
	v_and_b32_e32 v97, v98, v96
	v_and_b32_e32 v96, v99, v5
	v_mbcnt_lo_u32_b32 v5, v96, 0
	v_mbcnt_hi_u32_b32 v203, v97, v5
	v_cmp_eq_u32_e32 vcc, 0, v203
	v_cmp_ne_u64_e64 s[36:37], 0, v[96:97]
	s_and_b64 s[38:39], s[36:37], vcc
	; wave barrier
	s_and_saveexec_b64 s[36:37], s[38:39]
	s_cbranch_execz .LBB1119_148
; %bb.147:                              ;   in Loop: Header=BB1119_98 Depth=2
	v_bcnt_u32_b32 v5, v96, 0
	v_bcnt_u32_b32 v5, v97, v5
	s_waitcnt lgkmcnt(0)
	v_add_u32_e32 v5, v201, v5
	ds_write_b32 v202, v5
.LBB1119_148:                           ;   in Loop: Header=BB1119_98 Depth=2
	s_or_b64 exec, exec, s[36:37]
	s_waitcnt vmcnt(7)
	v_cmp_gt_i64_e32 vcc, 0, v[94:95]
	v_ashrrev_i32_e32 v96, 31, v95
	v_cndmask_b32_e64 v5, v133, 0, vcc
	v_not_b32_e32 v96, v96
	v_xor_b32_e32 v95, v5, v95
	v_xor_b32_e32 v94, v96, v94
	v_cmp_ne_u64_e32 vcc, s[90:91], v[94:95]
	v_cndmask_b32_e32 v97, v133, v95, vcc
	v_cndmask_b32_e32 v96, -1, v94, vcc
	v_lshrrev_b64 v[96:97], s69, v[96:97]
	v_and_b32_e32 v96, s95, v96
	v_mul_u32_u24_e32 v5, 5, v96
	v_add_lshl_u32 v5, v5, v178, 2
	; wave barrier
	v_add_u32_e32 v205, 0x410, v5
	ds_read_b32 v204, v5 offset:1040
	v_and_b32_e32 v5, 1, v96
	v_add_co_u32_e32 v97, vcc, -1, v5
	v_addc_co_u32_e64 v98, s[36:37], 0, -1, vcc
	v_cmp_ne_u32_e32 vcc, 0, v5
	v_xor_b32_e32 v5, vcc_hi, v98
	v_and_b32_e32 v98, exec_hi, v5
	v_lshlrev_b32_e32 v5, 30, v96
	v_xor_b32_e32 v97, vcc_lo, v97
	v_cmp_gt_i64_e32 vcc, 0, v[4:5]
	v_not_b32_e32 v5, v5
	v_ashrrev_i32_e32 v5, 31, v5
	v_and_b32_e32 v97, exec_lo, v97
	v_xor_b32_e32 v99, vcc_hi, v5
	v_xor_b32_e32 v5, vcc_lo, v5
	v_and_b32_e32 v97, v97, v5
	v_lshlrev_b32_e32 v5, 29, v96
	v_cmp_gt_i64_e32 vcc, 0, v[4:5]
	v_not_b32_e32 v5, v5
	v_ashrrev_i32_e32 v5, 31, v5
	v_and_b32_e32 v98, v98, v99
	v_xor_b32_e32 v99, vcc_hi, v5
	v_xor_b32_e32 v5, vcc_lo, v5
	v_and_b32_e32 v97, v97, v5
	v_lshlrev_b32_e32 v5, 28, v96
	v_cmp_gt_i64_e32 vcc, 0, v[4:5]
	v_not_b32_e32 v5, v5
	v_ashrrev_i32_e32 v5, 31, v5
	v_and_b32_e32 v98, v98, v99
	;; [unrolled: 8-line block ×5, first 2 shown]
	v_xor_b32_e32 v99, vcc_hi, v5
	v_xor_b32_e32 v5, vcc_lo, v5
	v_and_b32_e32 v98, v98, v99
	v_and_b32_e32 v99, v97, v5
	v_lshlrev_b32_e32 v5, 24, v96
	v_cmp_gt_i64_e32 vcc, 0, v[4:5]
	v_not_b32_e32 v5, v5
	v_ashrrev_i32_e32 v5, 31, v5
	v_xor_b32_e32 v96, vcc_hi, v5
	v_xor_b32_e32 v5, vcc_lo, v5
	v_and_b32_e32 v97, v98, v96
	v_and_b32_e32 v96, v99, v5
	v_mbcnt_lo_u32_b32 v5, v96, 0
	v_mbcnt_hi_u32_b32 v206, v97, v5
	v_cmp_eq_u32_e32 vcc, 0, v206
	v_cmp_ne_u64_e64 s[36:37], 0, v[96:97]
	s_and_b64 s[38:39], s[36:37], vcc
	; wave barrier
	s_and_saveexec_b64 s[36:37], s[38:39]
	s_cbranch_execz .LBB1119_150
; %bb.149:                              ;   in Loop: Header=BB1119_98 Depth=2
	v_bcnt_u32_b32 v5, v96, 0
	v_bcnt_u32_b32 v5, v97, v5
	s_waitcnt lgkmcnt(0)
	v_add_u32_e32 v5, v204, v5
	ds_write_b32 v205, v5
.LBB1119_150:                           ;   in Loop: Header=BB1119_98 Depth=2
	s_or_b64 exec, exec, s[36:37]
	s_waitcnt vmcnt(6)
	v_cmp_gt_i64_e32 vcc, 0, v[92:93]
	v_ashrrev_i32_e32 v96, 31, v93
	v_cndmask_b32_e64 v5, v133, 0, vcc
	v_not_b32_e32 v96, v96
	v_xor_b32_e32 v93, v5, v93
	v_xor_b32_e32 v92, v96, v92
	v_cmp_ne_u64_e32 vcc, s[90:91], v[92:93]
	v_cndmask_b32_e32 v97, v133, v93, vcc
	v_cndmask_b32_e32 v96, -1, v92, vcc
	v_lshrrev_b64 v[96:97], s69, v[96:97]
	v_and_b32_e32 v96, s95, v96
	v_mul_u32_u24_e32 v5, 5, v96
	v_add_lshl_u32 v5, v5, v178, 2
	; wave barrier
	v_add_u32_e32 v208, 0x410, v5
	ds_read_b32 v207, v5 offset:1040
	v_and_b32_e32 v5, 1, v96
	v_add_co_u32_e32 v97, vcc, -1, v5
	v_addc_co_u32_e64 v98, s[36:37], 0, -1, vcc
	v_cmp_ne_u32_e32 vcc, 0, v5
	v_xor_b32_e32 v5, vcc_hi, v98
	v_and_b32_e32 v98, exec_hi, v5
	v_lshlrev_b32_e32 v5, 30, v96
	v_xor_b32_e32 v97, vcc_lo, v97
	v_cmp_gt_i64_e32 vcc, 0, v[4:5]
	v_not_b32_e32 v5, v5
	v_ashrrev_i32_e32 v5, 31, v5
	v_and_b32_e32 v97, exec_lo, v97
	v_xor_b32_e32 v99, vcc_hi, v5
	v_xor_b32_e32 v5, vcc_lo, v5
	v_and_b32_e32 v97, v97, v5
	v_lshlrev_b32_e32 v5, 29, v96
	v_cmp_gt_i64_e32 vcc, 0, v[4:5]
	v_not_b32_e32 v5, v5
	v_ashrrev_i32_e32 v5, 31, v5
	v_and_b32_e32 v98, v98, v99
	v_xor_b32_e32 v99, vcc_hi, v5
	v_xor_b32_e32 v5, vcc_lo, v5
	v_and_b32_e32 v97, v97, v5
	v_lshlrev_b32_e32 v5, 28, v96
	v_cmp_gt_i64_e32 vcc, 0, v[4:5]
	v_not_b32_e32 v5, v5
	v_ashrrev_i32_e32 v5, 31, v5
	v_and_b32_e32 v98, v98, v99
	;; [unrolled: 8-line block ×5, first 2 shown]
	v_xor_b32_e32 v99, vcc_hi, v5
	v_xor_b32_e32 v5, vcc_lo, v5
	v_and_b32_e32 v98, v98, v99
	v_and_b32_e32 v99, v97, v5
	v_lshlrev_b32_e32 v5, 24, v96
	v_cmp_gt_i64_e32 vcc, 0, v[4:5]
	v_not_b32_e32 v5, v5
	v_ashrrev_i32_e32 v5, 31, v5
	v_xor_b32_e32 v96, vcc_hi, v5
	v_xor_b32_e32 v5, vcc_lo, v5
	v_and_b32_e32 v97, v98, v96
	v_and_b32_e32 v96, v99, v5
	v_mbcnt_lo_u32_b32 v5, v96, 0
	v_mbcnt_hi_u32_b32 v209, v97, v5
	v_cmp_eq_u32_e32 vcc, 0, v209
	v_cmp_ne_u64_e64 s[36:37], 0, v[96:97]
	s_and_b64 s[38:39], s[36:37], vcc
	; wave barrier
	s_and_saveexec_b64 s[36:37], s[38:39]
	s_cbranch_execz .LBB1119_152
; %bb.151:                              ;   in Loop: Header=BB1119_98 Depth=2
	v_bcnt_u32_b32 v5, v96, 0
	v_bcnt_u32_b32 v5, v97, v5
	s_waitcnt lgkmcnt(0)
	v_add_u32_e32 v5, v207, v5
	ds_write_b32 v208, v5
.LBB1119_152:                           ;   in Loop: Header=BB1119_98 Depth=2
	s_or_b64 exec, exec, s[36:37]
	s_waitcnt vmcnt(5)
	v_cmp_gt_i64_e32 vcc, 0, v[88:89]
	v_ashrrev_i32_e32 v96, 31, v89
	v_cndmask_b32_e64 v5, v133, 0, vcc
	v_not_b32_e32 v96, v96
	v_xor_b32_e32 v89, v5, v89
	v_xor_b32_e32 v88, v96, v88
	v_cmp_ne_u64_e32 vcc, s[90:91], v[88:89]
	v_cndmask_b32_e32 v97, v133, v89, vcc
	v_cndmask_b32_e32 v96, -1, v88, vcc
	v_lshrrev_b64 v[96:97], s69, v[96:97]
	v_and_b32_e32 v96, s95, v96
	v_mul_u32_u24_e32 v5, 5, v96
	v_add_lshl_u32 v5, v5, v178, 2
	; wave barrier
	v_add_u32_e32 v211, 0x410, v5
	ds_read_b32 v210, v5 offset:1040
	v_and_b32_e32 v5, 1, v96
	v_add_co_u32_e32 v97, vcc, -1, v5
	v_addc_co_u32_e64 v98, s[36:37], 0, -1, vcc
	v_cmp_ne_u32_e32 vcc, 0, v5
	v_xor_b32_e32 v5, vcc_hi, v98
	v_and_b32_e32 v98, exec_hi, v5
	v_lshlrev_b32_e32 v5, 30, v96
	v_xor_b32_e32 v97, vcc_lo, v97
	v_cmp_gt_i64_e32 vcc, 0, v[4:5]
	v_not_b32_e32 v5, v5
	v_ashrrev_i32_e32 v5, 31, v5
	v_and_b32_e32 v97, exec_lo, v97
	v_xor_b32_e32 v99, vcc_hi, v5
	v_xor_b32_e32 v5, vcc_lo, v5
	v_and_b32_e32 v97, v97, v5
	v_lshlrev_b32_e32 v5, 29, v96
	v_cmp_gt_i64_e32 vcc, 0, v[4:5]
	v_not_b32_e32 v5, v5
	v_ashrrev_i32_e32 v5, 31, v5
	v_and_b32_e32 v98, v98, v99
	v_xor_b32_e32 v99, vcc_hi, v5
	v_xor_b32_e32 v5, vcc_lo, v5
	v_and_b32_e32 v97, v97, v5
	v_lshlrev_b32_e32 v5, 28, v96
	v_cmp_gt_i64_e32 vcc, 0, v[4:5]
	v_not_b32_e32 v5, v5
	v_ashrrev_i32_e32 v5, 31, v5
	v_and_b32_e32 v98, v98, v99
	v_xor_b32_e32 v99, vcc_hi, v5
	v_xor_b32_e32 v5, vcc_lo, v5
	v_and_b32_e32 v97, v97, v5
	v_lshlrev_b32_e32 v5, 27, v96
	v_cmp_gt_i64_e32 vcc, 0, v[4:5]
	v_not_b32_e32 v5, v5
	v_ashrrev_i32_e32 v5, 31, v5
	v_and_b32_e32 v98, v98, v99
	v_xor_b32_e32 v99, vcc_hi, v5
	v_xor_b32_e32 v5, vcc_lo, v5
	v_and_b32_e32 v97, v97, v5
	v_lshlrev_b32_e32 v5, 26, v96
	v_cmp_gt_i64_e32 vcc, 0, v[4:5]
	v_not_b32_e32 v5, v5
	v_ashrrev_i32_e32 v5, 31, v5
	v_and_b32_e32 v98, v98, v99
	v_xor_b32_e32 v99, vcc_hi, v5
	v_xor_b32_e32 v5, vcc_lo, v5
	v_and_b32_e32 v97, v97, v5
	v_lshlrev_b32_e32 v5, 25, v96
	v_cmp_gt_i64_e32 vcc, 0, v[4:5]
	v_not_b32_e32 v5, v5
	v_ashrrev_i32_e32 v5, 31, v5
	v_and_b32_e32 v98, v98, v99
	v_xor_b32_e32 v99, vcc_hi, v5
	v_xor_b32_e32 v5, vcc_lo, v5
	v_and_b32_e32 v98, v98, v99
	v_and_b32_e32 v99, v97, v5
	v_lshlrev_b32_e32 v5, 24, v96
	v_cmp_gt_i64_e32 vcc, 0, v[4:5]
	v_not_b32_e32 v5, v5
	v_ashrrev_i32_e32 v5, 31, v5
	v_xor_b32_e32 v96, vcc_hi, v5
	v_xor_b32_e32 v5, vcc_lo, v5
	v_and_b32_e32 v97, v98, v96
	v_and_b32_e32 v96, v99, v5
	v_mbcnt_lo_u32_b32 v5, v96, 0
	v_mbcnt_hi_u32_b32 v212, v97, v5
	v_cmp_eq_u32_e32 vcc, 0, v212
	v_cmp_ne_u64_e64 s[36:37], 0, v[96:97]
	s_and_b64 s[38:39], s[36:37], vcc
	; wave barrier
	s_and_saveexec_b64 s[36:37], s[38:39]
	s_cbranch_execz .LBB1119_154
; %bb.153:                              ;   in Loop: Header=BB1119_98 Depth=2
	v_bcnt_u32_b32 v5, v96, 0
	v_bcnt_u32_b32 v5, v97, v5
	s_waitcnt lgkmcnt(0)
	v_add_u32_e32 v5, v210, v5
	ds_write_b32 v211, v5
.LBB1119_154:                           ;   in Loop: Header=BB1119_98 Depth=2
	s_or_b64 exec, exec, s[36:37]
	s_waitcnt vmcnt(4)
	v_cmp_gt_i64_e32 vcc, 0, v[84:85]
	v_ashrrev_i32_e32 v96, 31, v85
	v_cndmask_b32_e64 v5, v133, 0, vcc
	v_not_b32_e32 v96, v96
	v_xor_b32_e32 v85, v5, v85
	v_xor_b32_e32 v84, v96, v84
	v_cmp_ne_u64_e32 vcc, s[90:91], v[84:85]
	v_cndmask_b32_e32 v97, v133, v85, vcc
	v_cndmask_b32_e32 v96, -1, v84, vcc
	v_lshrrev_b64 v[96:97], s69, v[96:97]
	v_and_b32_e32 v96, s95, v96
	v_mul_u32_u24_e32 v5, 5, v96
	v_add_lshl_u32 v5, v5, v178, 2
	; wave barrier
	v_add_u32_e32 v214, 0x410, v5
	ds_read_b32 v213, v5 offset:1040
	v_and_b32_e32 v5, 1, v96
	v_add_co_u32_e32 v97, vcc, -1, v5
	v_addc_co_u32_e64 v98, s[36:37], 0, -1, vcc
	v_cmp_ne_u32_e32 vcc, 0, v5
	v_xor_b32_e32 v5, vcc_hi, v98
	v_and_b32_e32 v98, exec_hi, v5
	v_lshlrev_b32_e32 v5, 30, v96
	v_xor_b32_e32 v97, vcc_lo, v97
	v_cmp_gt_i64_e32 vcc, 0, v[4:5]
	v_not_b32_e32 v5, v5
	v_ashrrev_i32_e32 v5, 31, v5
	v_and_b32_e32 v97, exec_lo, v97
	v_xor_b32_e32 v99, vcc_hi, v5
	v_xor_b32_e32 v5, vcc_lo, v5
	v_and_b32_e32 v97, v97, v5
	v_lshlrev_b32_e32 v5, 29, v96
	v_cmp_gt_i64_e32 vcc, 0, v[4:5]
	v_not_b32_e32 v5, v5
	v_ashrrev_i32_e32 v5, 31, v5
	v_and_b32_e32 v98, v98, v99
	v_xor_b32_e32 v99, vcc_hi, v5
	v_xor_b32_e32 v5, vcc_lo, v5
	v_and_b32_e32 v97, v97, v5
	v_lshlrev_b32_e32 v5, 28, v96
	v_cmp_gt_i64_e32 vcc, 0, v[4:5]
	v_not_b32_e32 v5, v5
	v_ashrrev_i32_e32 v5, 31, v5
	v_and_b32_e32 v98, v98, v99
	v_xor_b32_e32 v99, vcc_hi, v5
	v_xor_b32_e32 v5, vcc_lo, v5
	v_and_b32_e32 v97, v97, v5
	v_lshlrev_b32_e32 v5, 27, v96
	v_cmp_gt_i64_e32 vcc, 0, v[4:5]
	v_not_b32_e32 v5, v5
	v_ashrrev_i32_e32 v5, 31, v5
	v_and_b32_e32 v98, v98, v99
	v_xor_b32_e32 v99, vcc_hi, v5
	v_xor_b32_e32 v5, vcc_lo, v5
	v_and_b32_e32 v97, v97, v5
	v_lshlrev_b32_e32 v5, 26, v96
	v_cmp_gt_i64_e32 vcc, 0, v[4:5]
	v_not_b32_e32 v5, v5
	v_ashrrev_i32_e32 v5, 31, v5
	v_and_b32_e32 v98, v98, v99
	v_xor_b32_e32 v99, vcc_hi, v5
	v_xor_b32_e32 v5, vcc_lo, v5
	v_and_b32_e32 v97, v97, v5
	v_lshlrev_b32_e32 v5, 25, v96
	v_cmp_gt_i64_e32 vcc, 0, v[4:5]
	v_not_b32_e32 v5, v5
	v_ashrrev_i32_e32 v5, 31, v5
	v_and_b32_e32 v98, v98, v99
	v_xor_b32_e32 v99, vcc_hi, v5
	v_xor_b32_e32 v5, vcc_lo, v5
	v_and_b32_e32 v98, v98, v99
	v_and_b32_e32 v99, v97, v5
	v_lshlrev_b32_e32 v5, 24, v96
	v_cmp_gt_i64_e32 vcc, 0, v[4:5]
	v_not_b32_e32 v5, v5
	v_ashrrev_i32_e32 v5, 31, v5
	v_xor_b32_e32 v96, vcc_hi, v5
	v_xor_b32_e32 v5, vcc_lo, v5
	v_and_b32_e32 v97, v98, v96
	v_and_b32_e32 v96, v99, v5
	v_mbcnt_lo_u32_b32 v5, v96, 0
	v_mbcnt_hi_u32_b32 v215, v97, v5
	v_cmp_eq_u32_e32 vcc, 0, v215
	v_cmp_ne_u64_e64 s[36:37], 0, v[96:97]
	s_and_b64 s[38:39], s[36:37], vcc
	; wave barrier
	s_and_saveexec_b64 s[36:37], s[38:39]
	s_cbranch_execz .LBB1119_156
; %bb.155:                              ;   in Loop: Header=BB1119_98 Depth=2
	v_bcnt_u32_b32 v5, v96, 0
	v_bcnt_u32_b32 v5, v97, v5
	s_waitcnt lgkmcnt(0)
	v_add_u32_e32 v5, v213, v5
	ds_write_b32 v214, v5
.LBB1119_156:                           ;   in Loop: Header=BB1119_98 Depth=2
	s_or_b64 exec, exec, s[36:37]
	s_waitcnt vmcnt(3)
	v_cmp_gt_i64_e32 vcc, 0, v[80:81]
	v_ashrrev_i32_e32 v96, 31, v81
	v_cndmask_b32_e64 v5, v133, 0, vcc
	v_not_b32_e32 v96, v96
	v_xor_b32_e32 v81, v5, v81
	v_xor_b32_e32 v80, v96, v80
	v_cmp_ne_u64_e32 vcc, s[90:91], v[80:81]
	v_cndmask_b32_e32 v97, v133, v81, vcc
	v_cndmask_b32_e32 v96, -1, v80, vcc
	v_lshrrev_b64 v[96:97], s69, v[96:97]
	v_and_b32_e32 v96, s95, v96
	v_mul_u32_u24_e32 v5, 5, v96
	v_add_lshl_u32 v5, v5, v178, 2
	; wave barrier
	v_add_u32_e32 v217, 0x410, v5
	ds_read_b32 v216, v5 offset:1040
	v_and_b32_e32 v5, 1, v96
	v_add_co_u32_e32 v97, vcc, -1, v5
	v_addc_co_u32_e64 v98, s[36:37], 0, -1, vcc
	v_cmp_ne_u32_e32 vcc, 0, v5
	v_xor_b32_e32 v5, vcc_hi, v98
	v_and_b32_e32 v98, exec_hi, v5
	v_lshlrev_b32_e32 v5, 30, v96
	v_xor_b32_e32 v97, vcc_lo, v97
	v_cmp_gt_i64_e32 vcc, 0, v[4:5]
	v_not_b32_e32 v5, v5
	v_ashrrev_i32_e32 v5, 31, v5
	v_and_b32_e32 v97, exec_lo, v97
	v_xor_b32_e32 v99, vcc_hi, v5
	v_xor_b32_e32 v5, vcc_lo, v5
	v_and_b32_e32 v97, v97, v5
	v_lshlrev_b32_e32 v5, 29, v96
	v_cmp_gt_i64_e32 vcc, 0, v[4:5]
	v_not_b32_e32 v5, v5
	v_ashrrev_i32_e32 v5, 31, v5
	v_and_b32_e32 v98, v98, v99
	v_xor_b32_e32 v99, vcc_hi, v5
	v_xor_b32_e32 v5, vcc_lo, v5
	v_and_b32_e32 v97, v97, v5
	v_lshlrev_b32_e32 v5, 28, v96
	v_cmp_gt_i64_e32 vcc, 0, v[4:5]
	v_not_b32_e32 v5, v5
	v_ashrrev_i32_e32 v5, 31, v5
	v_and_b32_e32 v98, v98, v99
	;; [unrolled: 8-line block ×5, first 2 shown]
	v_xor_b32_e32 v99, vcc_hi, v5
	v_xor_b32_e32 v5, vcc_lo, v5
	v_and_b32_e32 v98, v98, v99
	v_and_b32_e32 v99, v97, v5
	v_lshlrev_b32_e32 v5, 24, v96
	v_cmp_gt_i64_e32 vcc, 0, v[4:5]
	v_not_b32_e32 v5, v5
	v_ashrrev_i32_e32 v5, 31, v5
	v_xor_b32_e32 v96, vcc_hi, v5
	v_xor_b32_e32 v5, vcc_lo, v5
	v_and_b32_e32 v97, v98, v96
	v_and_b32_e32 v96, v99, v5
	v_mbcnt_lo_u32_b32 v5, v96, 0
	v_mbcnt_hi_u32_b32 v218, v97, v5
	v_cmp_eq_u32_e32 vcc, 0, v218
	v_cmp_ne_u64_e64 s[36:37], 0, v[96:97]
	s_and_b64 s[38:39], s[36:37], vcc
	; wave barrier
	s_and_saveexec_b64 s[36:37], s[38:39]
	s_cbranch_execz .LBB1119_158
; %bb.157:                              ;   in Loop: Header=BB1119_98 Depth=2
	v_bcnt_u32_b32 v5, v96, 0
	v_bcnt_u32_b32 v5, v97, v5
	s_waitcnt lgkmcnt(0)
	v_add_u32_e32 v5, v216, v5
	ds_write_b32 v217, v5
.LBB1119_158:                           ;   in Loop: Header=BB1119_98 Depth=2
	s_or_b64 exec, exec, s[36:37]
	s_waitcnt vmcnt(2)
	v_cmp_gt_i64_e32 vcc, 0, v[76:77]
	v_ashrrev_i32_e32 v96, 31, v77
	v_cndmask_b32_e64 v5, v133, 0, vcc
	v_not_b32_e32 v96, v96
	v_xor_b32_e32 v77, v5, v77
	v_xor_b32_e32 v76, v96, v76
	v_cmp_ne_u64_e32 vcc, s[90:91], v[76:77]
	v_cndmask_b32_e32 v97, v133, v77, vcc
	v_cndmask_b32_e32 v96, -1, v76, vcc
	v_lshrrev_b64 v[96:97], s69, v[96:97]
	v_and_b32_e32 v96, s95, v96
	v_mul_u32_u24_e32 v5, 5, v96
	v_add_lshl_u32 v5, v5, v178, 2
	; wave barrier
	v_add_u32_e32 v220, 0x410, v5
	ds_read_b32 v219, v5 offset:1040
	v_and_b32_e32 v5, 1, v96
	v_add_co_u32_e32 v97, vcc, -1, v5
	v_addc_co_u32_e64 v98, s[36:37], 0, -1, vcc
	v_cmp_ne_u32_e32 vcc, 0, v5
	v_xor_b32_e32 v5, vcc_hi, v98
	v_and_b32_e32 v98, exec_hi, v5
	v_lshlrev_b32_e32 v5, 30, v96
	v_xor_b32_e32 v97, vcc_lo, v97
	v_cmp_gt_i64_e32 vcc, 0, v[4:5]
	v_not_b32_e32 v5, v5
	v_ashrrev_i32_e32 v5, 31, v5
	v_and_b32_e32 v97, exec_lo, v97
	v_xor_b32_e32 v99, vcc_hi, v5
	v_xor_b32_e32 v5, vcc_lo, v5
	v_and_b32_e32 v97, v97, v5
	v_lshlrev_b32_e32 v5, 29, v96
	v_cmp_gt_i64_e32 vcc, 0, v[4:5]
	v_not_b32_e32 v5, v5
	v_ashrrev_i32_e32 v5, 31, v5
	v_and_b32_e32 v98, v98, v99
	v_xor_b32_e32 v99, vcc_hi, v5
	v_xor_b32_e32 v5, vcc_lo, v5
	v_and_b32_e32 v97, v97, v5
	v_lshlrev_b32_e32 v5, 28, v96
	v_cmp_gt_i64_e32 vcc, 0, v[4:5]
	v_not_b32_e32 v5, v5
	v_ashrrev_i32_e32 v5, 31, v5
	v_and_b32_e32 v98, v98, v99
	;; [unrolled: 8-line block ×5, first 2 shown]
	v_xor_b32_e32 v99, vcc_hi, v5
	v_xor_b32_e32 v5, vcc_lo, v5
	v_and_b32_e32 v98, v98, v99
	v_and_b32_e32 v99, v97, v5
	v_lshlrev_b32_e32 v5, 24, v96
	v_cmp_gt_i64_e32 vcc, 0, v[4:5]
	v_not_b32_e32 v5, v5
	v_ashrrev_i32_e32 v5, 31, v5
	v_xor_b32_e32 v96, vcc_hi, v5
	v_xor_b32_e32 v5, vcc_lo, v5
	v_and_b32_e32 v97, v98, v96
	v_and_b32_e32 v96, v99, v5
	v_mbcnt_lo_u32_b32 v5, v96, 0
	v_mbcnt_hi_u32_b32 v221, v97, v5
	v_cmp_eq_u32_e32 vcc, 0, v221
	v_cmp_ne_u64_e64 s[36:37], 0, v[96:97]
	s_and_b64 s[38:39], s[36:37], vcc
	; wave barrier
	s_and_saveexec_b64 s[36:37], s[38:39]
	s_cbranch_execz .LBB1119_160
; %bb.159:                              ;   in Loop: Header=BB1119_98 Depth=2
	v_bcnt_u32_b32 v5, v96, 0
	v_bcnt_u32_b32 v5, v97, v5
	s_waitcnt lgkmcnt(0)
	v_add_u32_e32 v5, v219, v5
	ds_write_b32 v220, v5
.LBB1119_160:                           ;   in Loop: Header=BB1119_98 Depth=2
	s_or_b64 exec, exec, s[36:37]
	s_waitcnt vmcnt(1)
	v_cmp_gt_i64_e32 vcc, 0, v[72:73]
	v_ashrrev_i32_e32 v96, 31, v73
	v_cndmask_b32_e64 v5, v133, 0, vcc
	v_not_b32_e32 v96, v96
	v_xor_b32_e32 v73, v5, v73
	v_xor_b32_e32 v72, v96, v72
	v_cmp_ne_u64_e32 vcc, s[90:91], v[72:73]
	v_cndmask_b32_e32 v97, v133, v73, vcc
	v_cndmask_b32_e32 v96, -1, v72, vcc
	v_lshrrev_b64 v[96:97], s69, v[96:97]
	v_and_b32_e32 v96, s95, v96
	v_mul_u32_u24_e32 v5, 5, v96
	v_add_lshl_u32 v5, v5, v178, 2
	; wave barrier
	v_add_u32_e32 v223, 0x410, v5
	ds_read_b32 v222, v5 offset:1040
	v_and_b32_e32 v5, 1, v96
	v_add_co_u32_e32 v97, vcc, -1, v5
	v_addc_co_u32_e64 v98, s[36:37], 0, -1, vcc
	v_cmp_ne_u32_e32 vcc, 0, v5
	v_xor_b32_e32 v5, vcc_hi, v98
	v_and_b32_e32 v98, exec_hi, v5
	v_lshlrev_b32_e32 v5, 30, v96
	v_xor_b32_e32 v97, vcc_lo, v97
	v_cmp_gt_i64_e32 vcc, 0, v[4:5]
	v_not_b32_e32 v5, v5
	v_ashrrev_i32_e32 v5, 31, v5
	v_and_b32_e32 v97, exec_lo, v97
	v_xor_b32_e32 v99, vcc_hi, v5
	v_xor_b32_e32 v5, vcc_lo, v5
	v_and_b32_e32 v97, v97, v5
	v_lshlrev_b32_e32 v5, 29, v96
	v_cmp_gt_i64_e32 vcc, 0, v[4:5]
	v_not_b32_e32 v5, v5
	v_ashrrev_i32_e32 v5, 31, v5
	v_and_b32_e32 v98, v98, v99
	v_xor_b32_e32 v99, vcc_hi, v5
	v_xor_b32_e32 v5, vcc_lo, v5
	v_and_b32_e32 v97, v97, v5
	v_lshlrev_b32_e32 v5, 28, v96
	v_cmp_gt_i64_e32 vcc, 0, v[4:5]
	v_not_b32_e32 v5, v5
	v_ashrrev_i32_e32 v5, 31, v5
	v_and_b32_e32 v98, v98, v99
	;; [unrolled: 8-line block ×5, first 2 shown]
	v_xor_b32_e32 v99, vcc_hi, v5
	v_xor_b32_e32 v5, vcc_lo, v5
	v_and_b32_e32 v98, v98, v99
	v_and_b32_e32 v99, v97, v5
	v_lshlrev_b32_e32 v5, 24, v96
	v_cmp_gt_i64_e32 vcc, 0, v[4:5]
	v_not_b32_e32 v5, v5
	v_ashrrev_i32_e32 v5, 31, v5
	v_xor_b32_e32 v96, vcc_hi, v5
	v_xor_b32_e32 v5, vcc_lo, v5
	v_and_b32_e32 v97, v98, v96
	v_and_b32_e32 v96, v99, v5
	v_mbcnt_lo_u32_b32 v5, v96, 0
	v_mbcnt_hi_u32_b32 v224, v97, v5
	v_cmp_eq_u32_e32 vcc, 0, v224
	v_cmp_ne_u64_e64 s[36:37], 0, v[96:97]
	s_and_b64 s[38:39], s[36:37], vcc
	; wave barrier
	s_and_saveexec_b64 s[36:37], s[38:39]
	s_cbranch_execz .LBB1119_162
; %bb.161:                              ;   in Loop: Header=BB1119_98 Depth=2
	v_bcnt_u32_b32 v5, v96, 0
	v_bcnt_u32_b32 v5, v97, v5
	s_waitcnt lgkmcnt(0)
	v_add_u32_e32 v5, v222, v5
	ds_write_b32 v223, v5
.LBB1119_162:                           ;   in Loop: Header=BB1119_98 Depth=2
	s_or_b64 exec, exec, s[36:37]
	s_waitcnt vmcnt(0)
	v_cmp_gt_i64_e32 vcc, 0, v[68:69]
	v_ashrrev_i32_e32 v96, 31, v69
	v_cndmask_b32_e64 v5, v133, 0, vcc
	v_not_b32_e32 v96, v96
	v_xor_b32_e32 v69, v5, v69
	v_xor_b32_e32 v68, v96, v68
	v_cmp_ne_u64_e32 vcc, s[90:91], v[68:69]
	v_cndmask_b32_e32 v97, v133, v69, vcc
	v_cndmask_b32_e32 v96, -1, v68, vcc
	v_lshrrev_b64 v[96:97], s69, v[96:97]
	v_and_b32_e32 v96, s95, v96
	v_mul_u32_u24_e32 v5, 5, v96
	v_add_lshl_u32 v5, v5, v178, 2
	; wave barrier
	v_add_u32_e32 v226, 0x410, v5
	ds_read_b32 v225, v5 offset:1040
	v_and_b32_e32 v5, 1, v96
	v_add_co_u32_e32 v97, vcc, -1, v5
	v_addc_co_u32_e64 v98, s[36:37], 0, -1, vcc
	v_cmp_ne_u32_e32 vcc, 0, v5
	v_xor_b32_e32 v5, vcc_hi, v98
	v_and_b32_e32 v98, exec_hi, v5
	v_lshlrev_b32_e32 v5, 30, v96
	v_xor_b32_e32 v97, vcc_lo, v97
	v_cmp_gt_i64_e32 vcc, 0, v[4:5]
	v_not_b32_e32 v5, v5
	v_ashrrev_i32_e32 v5, 31, v5
	v_and_b32_e32 v97, exec_lo, v97
	v_xor_b32_e32 v99, vcc_hi, v5
	v_xor_b32_e32 v5, vcc_lo, v5
	v_and_b32_e32 v97, v97, v5
	v_lshlrev_b32_e32 v5, 29, v96
	v_cmp_gt_i64_e32 vcc, 0, v[4:5]
	v_not_b32_e32 v5, v5
	v_ashrrev_i32_e32 v5, 31, v5
	v_and_b32_e32 v98, v98, v99
	v_xor_b32_e32 v99, vcc_hi, v5
	v_xor_b32_e32 v5, vcc_lo, v5
	v_and_b32_e32 v97, v97, v5
	v_lshlrev_b32_e32 v5, 28, v96
	v_cmp_gt_i64_e32 vcc, 0, v[4:5]
	v_not_b32_e32 v5, v5
	v_ashrrev_i32_e32 v5, 31, v5
	v_and_b32_e32 v98, v98, v99
	;; [unrolled: 8-line block ×5, first 2 shown]
	v_xor_b32_e32 v99, vcc_hi, v5
	v_xor_b32_e32 v5, vcc_lo, v5
	v_and_b32_e32 v98, v98, v99
	v_and_b32_e32 v99, v97, v5
	v_lshlrev_b32_e32 v5, 24, v96
	v_cmp_gt_i64_e32 vcc, 0, v[4:5]
	v_not_b32_e32 v5, v5
	v_ashrrev_i32_e32 v5, 31, v5
	v_xor_b32_e32 v96, vcc_hi, v5
	v_xor_b32_e32 v5, vcc_lo, v5
	v_and_b32_e32 v97, v98, v96
	v_and_b32_e32 v96, v99, v5
	v_mbcnt_lo_u32_b32 v5, v96, 0
	v_mbcnt_hi_u32_b32 v227, v97, v5
	v_cmp_eq_u32_e32 vcc, 0, v227
	v_cmp_ne_u64_e64 s[36:37], 0, v[96:97]
	s_and_b64 s[38:39], s[36:37], vcc
	; wave barrier
	s_and_saveexec_b64 s[36:37], s[38:39]
	s_cbranch_execz .LBB1119_164
; %bb.163:                              ;   in Loop: Header=BB1119_98 Depth=2
	v_bcnt_u32_b32 v5, v96, 0
	v_bcnt_u32_b32 v5, v97, v5
	s_waitcnt lgkmcnt(0)
	v_add_u32_e32 v5, v225, v5
	ds_write_b32 v226, v5
.LBB1119_164:                           ;   in Loop: Header=BB1119_98 Depth=2
	s_or_b64 exec, exec, s[36:37]
	v_cmp_gt_i64_e32 vcc, 0, v[70:71]
	v_ashrrev_i32_e32 v96, 31, v71
	v_cndmask_b32_e64 v5, v133, 0, vcc
	v_not_b32_e32 v96, v96
	v_xor_b32_e32 v71, v5, v71
	v_xor_b32_e32 v70, v96, v70
	v_cmp_ne_u64_e32 vcc, s[90:91], v[70:71]
	v_cndmask_b32_e32 v97, v133, v71, vcc
	v_cndmask_b32_e32 v96, -1, v70, vcc
	v_lshrrev_b64 v[96:97], s69, v[96:97]
	v_and_b32_e32 v96, s95, v96
	v_mul_u32_u24_e32 v5, 5, v96
	v_add_lshl_u32 v5, v5, v178, 2
	; wave barrier
	v_add_u32_e32 v229, 0x410, v5
	ds_read_b32 v228, v5 offset:1040
	v_and_b32_e32 v5, 1, v96
	v_add_co_u32_e32 v97, vcc, -1, v5
	v_addc_co_u32_e64 v98, s[36:37], 0, -1, vcc
	v_cmp_ne_u32_e32 vcc, 0, v5
	v_xor_b32_e32 v5, vcc_hi, v98
	v_and_b32_e32 v98, exec_hi, v5
	v_lshlrev_b32_e32 v5, 30, v96
	v_xor_b32_e32 v97, vcc_lo, v97
	v_cmp_gt_i64_e32 vcc, 0, v[4:5]
	v_not_b32_e32 v5, v5
	v_ashrrev_i32_e32 v5, 31, v5
	v_and_b32_e32 v97, exec_lo, v97
	v_xor_b32_e32 v99, vcc_hi, v5
	v_xor_b32_e32 v5, vcc_lo, v5
	v_and_b32_e32 v97, v97, v5
	v_lshlrev_b32_e32 v5, 29, v96
	v_cmp_gt_i64_e32 vcc, 0, v[4:5]
	v_not_b32_e32 v5, v5
	v_ashrrev_i32_e32 v5, 31, v5
	v_and_b32_e32 v98, v98, v99
	v_xor_b32_e32 v99, vcc_hi, v5
	v_xor_b32_e32 v5, vcc_lo, v5
	v_and_b32_e32 v97, v97, v5
	v_lshlrev_b32_e32 v5, 28, v96
	v_cmp_gt_i64_e32 vcc, 0, v[4:5]
	v_not_b32_e32 v5, v5
	v_ashrrev_i32_e32 v5, 31, v5
	v_and_b32_e32 v98, v98, v99
	;; [unrolled: 8-line block ×5, first 2 shown]
	v_xor_b32_e32 v99, vcc_hi, v5
	v_xor_b32_e32 v5, vcc_lo, v5
	v_and_b32_e32 v98, v98, v99
	v_and_b32_e32 v99, v97, v5
	v_lshlrev_b32_e32 v5, 24, v96
	v_cmp_gt_i64_e32 vcc, 0, v[4:5]
	v_not_b32_e32 v5, v5
	v_ashrrev_i32_e32 v5, 31, v5
	v_xor_b32_e32 v96, vcc_hi, v5
	v_xor_b32_e32 v5, vcc_lo, v5
	v_and_b32_e32 v97, v98, v96
	v_and_b32_e32 v96, v99, v5
	v_mbcnt_lo_u32_b32 v5, v96, 0
	v_mbcnt_hi_u32_b32 v230, v97, v5
	v_cmp_eq_u32_e32 vcc, 0, v230
	v_cmp_ne_u64_e64 s[36:37], 0, v[96:97]
	s_and_b64 s[38:39], s[36:37], vcc
	; wave barrier
	s_and_saveexec_b64 s[36:37], s[38:39]
	s_cbranch_execz .LBB1119_166
; %bb.165:                              ;   in Loop: Header=BB1119_98 Depth=2
	v_bcnt_u32_b32 v5, v96, 0
	v_bcnt_u32_b32 v5, v97, v5
	s_waitcnt lgkmcnt(0)
	v_add_u32_e32 v5, v228, v5
	ds_write_b32 v229, v5
.LBB1119_166:                           ;   in Loop: Header=BB1119_98 Depth=2
	s_or_b64 exec, exec, s[36:37]
	; wave barrier
	s_waitcnt lgkmcnt(0)
	s_barrier
	ds_read_b32 v5, v27 offset:1040
	ds_read2_b32 v[98:99], v31 offset0:1 offset1:2
	ds_read2_b32 v[96:97], v31 offset0:3 offset1:4
	s_waitcnt lgkmcnt(1)
	v_add3_u32 v231, v98, v5, v99
	s_waitcnt lgkmcnt(0)
	v_add3_u32 v97, v231, v96, v97
	s_nop 1
	v_mov_b32_dpp v231, v97 row_shr:1 row_mask:0xf bank_mask:0xf
	v_cndmask_b32_e64 v231, v231, 0, s[16:17]
	v_add_u32_e32 v97, v231, v97
	s_nop 1
	v_mov_b32_dpp v231, v97 row_shr:2 row_mask:0xf bank_mask:0xf
	v_cndmask_b32_e64 v231, 0, v231, s[18:19]
	v_add_u32_e32 v97, v97, v231
	;; [unrolled: 4-line block ×4, first 2 shown]
	s_nop 1
	v_mov_b32_dpp v231, v97 row_bcast:15 row_mask:0xf bank_mask:0xf
	v_cndmask_b32_e64 v231, v231, 0, s[24:25]
	v_add_u32_e32 v97, v97, v231
	s_nop 1
	v_mov_b32_dpp v231, v97 row_bcast:31 row_mask:0xf bank_mask:0xf
	v_cndmask_b32_e64 v231, 0, v231, s[26:27]
	v_add_u32_e32 v97, v97, v231
	s_and_saveexec_b64 s[36:37], s[6:7]
	s_cbranch_execz .LBB1119_168
; %bb.167:                              ;   in Loop: Header=BB1119_98 Depth=2
	ds_write_b32 v15, v97 offset:1024
.LBB1119_168:                           ;   in Loop: Header=BB1119_98 Depth=2
	s_or_b64 exec, exec, s[36:37]
	s_waitcnt lgkmcnt(0)
	s_barrier
	s_and_saveexec_b64 s[36:37], s[8:9]
	s_cbranch_execz .LBB1119_170
; %bb.169:                              ;   in Loop: Header=BB1119_98 Depth=2
	ds_read_b32 v231, v33 offset:1024
	s_waitcnt lgkmcnt(0)
	s_nop 0
	v_mov_b32_dpp v232, v231 row_shr:1 row_mask:0xf bank_mask:0xf
	v_cndmask_b32_e64 v232, v232, 0, s[30:31]
	v_add_u32_e32 v231, v232, v231
	s_nop 1
	v_mov_b32_dpp v232, v231 row_shr:2 row_mask:0xf bank_mask:0xf
	v_cndmask_b32_e64 v232, 0, v232, s[34:35]
	v_add_u32_e32 v231, v231, v232
	ds_write_b32 v33, v231 offset:1024
.LBB1119_170:                           ;   in Loop: Header=BB1119_98 Depth=2
	s_or_b64 exec, exec, s[36:37]
	v_mov_b32_e32 v231, 0
	s_waitcnt lgkmcnt(0)
	s_barrier
	s_and_saveexec_b64 s[36:37], s[10:11]
	s_cbranch_execz .LBB1119_172
; %bb.171:                              ;   in Loop: Header=BB1119_98 Depth=2
	ds_read_b32 v231, v15 offset:1020
.LBB1119_172:                           ;   in Loop: Header=BB1119_98 Depth=2
	s_or_b64 exec, exec, s[36:37]
	s_waitcnt lgkmcnt(0)
	v_add_u32_e32 v97, v231, v97
	ds_bpermute_b32 v97, v159, v97
	s_waitcnt lgkmcnt(0)
	v_cndmask_b32_e64 v97, v97, v231, s[28:29]
	v_cndmask_b32_e64 v97, v97, 0, s[12:13]
	v_add_u32_e32 v5, v97, v5
	ds_write_b32 v27, v97 offset:1040
	v_add_u32_e32 v97, v5, v98
	v_add_u32_e32 v98, v97, v99
	ds_write2_b32 v31, v5, v97 offset0:1 offset1:2
	v_add_u32_e32 v5, v98, v96
	ds_write2_b32 v31, v98, v5 offset0:3 offset1:4
	s_waitcnt lgkmcnt(0)
	s_barrier
	ds_read_b32 v97, v187
	ds_read_b32 v235, v190
	;; [unrolled: 1-line block ×16, first 2 shown]
	ds_read_b32 v184, v27 offset:1040
	v_mov_b32_e32 v5, 0x1000
	s_and_saveexec_b64 s[36:37], s[14:15]
	s_cbranch_execz .LBB1119_174
; %bb.173:                              ;   in Loop: Header=BB1119_98 Depth=2
	ds_read_b32 v5, v27 offset:1060
.LBB1119_174:                           ;   in Loop: Header=BB1119_98 Depth=2
	s_or_b64 exec, exec, s[36:37]
	s_waitcnt lgkmcnt(0)
	s_barrier
	s_and_saveexec_b64 s[36:37], s[4:5]
	s_cbranch_execz .LBB1119_176
; %bb.175:                              ;   in Loop: Header=BB1119_98 Depth=2
	ds_read_b32 v208, v3
	s_waitcnt lgkmcnt(0)
	v_sub_u32_e32 v184, v208, v184
	ds_write_b32 v3, v184
.LBB1119_176:                           ;   in Loop: Header=BB1119_98 Depth=2
	s_or_b64 exec, exec, s[36:37]
	v_add_u32_e32 v186, v188, v186
	v_add_u32_e32 v189, v191, v189
	v_add_lshl_u32 v96, v96, v185, 3
	v_add_lshl_u32 v97, v186, v97, 3
	v_add_u32_e32 v198, v200, v198
	v_add_u32_e32 v195, v197, v195
	v_add_u32_e32 v192, v194, v192
	ds_write_b64 v96, v[64:65] offset:1024
	ds_write_b64 v97, v[66:67] offset:1024
	v_add_lshl_u32 v66, v189, v235, 3
	v_add_u32_e32 v213, v215, v213
	v_add_u32_e32 v210, v212, v210
	;; [unrolled: 1-line block ×5, first 2 shown]
	ds_write_b64 v66, v[74:75] offset:1024
	v_add_lshl_u32 v67, v192, v234, 3
	v_add_lshl_u32 v74, v195, v233, 3
	;; [unrolled: 1-line block ×3, first 2 shown]
	v_add_u32_e32 v216, v218, v216
	ds_write_b64 v67, v[78:79] offset:1024
	ds_write_b64 v74, v[82:83] offset:1024
	;; [unrolled: 1-line block ×3, first 2 shown]
	v_add_lshl_u32 v78, v201, v231, 3
	v_add_lshl_u32 v79, v204, v205, 3
	;; [unrolled: 1-line block ×5, first 2 shown]
	v_add_u32_e32 v214, v221, v219
	ds_write_b64 v78, v[90:91] offset:1024
	ds_write_b64 v79, v[94:95] offset:1024
	;; [unrolled: 1-line block ×5, first 2 shown]
	v_add_lshl_u32 v84, v216, v193, 3
	v_add_u32_e32 v211, v224, v222
	ds_write_b64 v84, v[80:81] offset:1024
	v_add_lshl_u32 v80, v214, v190, 3
	v_add_u32_e32 v208, v227, v225
	ds_write_b64 v80, v[76:77] offset:1024
	;; [unrolled: 3-line block ×3, first 2 shown]
	v_add_lshl_u32 v72, v208, v99, 3
	ds_write_b64 v72, v[68:69] offset:1024
	v_add_lshl_u32 v68, v184, v98, 3
	v_cmp_lt_u32_e64 s[36:37], v2, v183
	ds_write_b64 v68, v[70:71] offset:1024
	s_waitcnt lgkmcnt(0)
	s_barrier
	s_and_saveexec_b64 s[40:41], s[36:37]
	s_cbranch_execz .LBB1119_192
; %bb.177:                              ;   in Loop: Header=BB1119_98 Depth=2
	v_add_u32_e32 v64, v33, v3
	ds_read_b64 v[64:65], v64 offset:1024
	v_mov_b32_e32 v71, v4
	s_waitcnt lgkmcnt(0)
	v_cmp_ne_u64_e32 vcc, s[90:91], v[64:65]
	v_cndmask_b32_e32 v89, v133, v65, vcc
	v_cndmask_b32_e32 v88, -1, v64, vcc
	v_lshrrev_b64 v[88:89], s69, v[88:89]
	v_and_b32_e32 v70, s95, v88
	v_lshlrev_b32_e32 v70, 2, v70
	ds_read_b32 v70, v70
	v_cmp_gt_i64_e64 s[38:39], 0, v[64:65]
	v_cndmask_b32_e64 v69, v133, 0, s[38:39]
	v_ashrrev_i32_e32 v73, 31, v65
	v_not_b32_e32 v73, v73
	s_waitcnt lgkmcnt(0)
	v_add_u32_e32 v70, v70, v2
	v_lshlrev_b64 v[70:71], 3, v[70:71]
	v_xor_b32_e32 v65, v69, v65
	v_mov_b32_e32 v69, s75
	v_add_co_u32_e32 v70, vcc, s74, v70
	v_xor_b32_e32 v64, v73, v64
	v_addc_co_u32_e32 v71, vcc, v69, v71, vcc
	global_store_dwordx2 v[70:71], v[64:65], off
	s_or_b64 exec, exec, s[40:41]
	v_cmp_lt_u32_e64 s[38:39], v7, v183
	s_and_saveexec_b64 s[42:43], s[38:39]
	s_cbranch_execnz .LBB1119_193
.LBB1119_178:                           ;   in Loop: Header=BB1119_98 Depth=2
	s_or_b64 exec, exec, s[42:43]
	v_cmp_lt_u32_e64 s[40:41], v6, v183
	s_and_saveexec_b64 s[44:45], s[40:41]
	s_cbranch_execz .LBB1119_194
.LBB1119_179:                           ;   in Loop: Header=BB1119_98 Depth=2
	ds_read_b64 v[64:65], v104 offset:4096
	v_mov_b32_e32 v71, v4
	s_waitcnt lgkmcnt(0)
	v_cmp_ne_u64_e32 vcc, s[90:91], v[64:65]
	v_cndmask_b32_e32 v89, v133, v65, vcc
	v_cndmask_b32_e32 v88, -1, v64, vcc
	v_lshrrev_b64 v[88:89], s69, v[88:89]
	v_and_b32_e32 v70, s95, v88
	v_lshlrev_b32_e32 v70, 2, v70
	ds_read_b32 v70, v70
	v_cmp_gt_i64_e64 s[42:43], 0, v[64:65]
	v_cndmask_b32_e64 v69, v133, 0, s[42:43]
	v_ashrrev_i32_e32 v73, 31, v65
	v_not_b32_e32 v73, v73
	s_waitcnt lgkmcnt(0)
	v_add_u32_e32 v70, v70, v6
	v_lshlrev_b64 v[70:71], 3, v[70:71]
	v_xor_b32_e32 v65, v69, v65
	v_mov_b32_e32 v69, s75
	v_add_co_u32_e32 v70, vcc, s74, v70
	v_xor_b32_e32 v64, v73, v64
	v_addc_co_u32_e32 v71, vcc, v69, v71, vcc
	global_store_dwordx2 v[70:71], v[64:65], off
	s_or_b64 exec, exec, s[44:45]
	v_cmp_lt_u32_e64 s[42:43], v8, v183
	s_and_saveexec_b64 s[46:47], s[42:43]
	s_cbranch_execnz .LBB1119_195
.LBB1119_180:                           ;   in Loop: Header=BB1119_98 Depth=2
	s_or_b64 exec, exec, s[46:47]
	v_cmp_lt_u32_e64 s[44:45], v10, v183
	s_and_saveexec_b64 s[48:49], s[44:45]
	s_cbranch_execz .LBB1119_196
.LBB1119_181:                           ;   in Loop: Header=BB1119_98 Depth=2
	ds_read_b64 v[64:65], v104 offset:8192
	v_mov_b32_e32 v71, v4
	s_waitcnt lgkmcnt(0)
	v_cmp_ne_u64_e32 vcc, s[90:91], v[64:65]
	v_cndmask_b32_e32 v89, v133, v65, vcc
	v_cndmask_b32_e32 v88, -1, v64, vcc
	v_lshrrev_b64 v[88:89], s69, v[88:89]
	v_and_b32_e32 v70, s95, v88
	v_lshlrev_b32_e32 v70, 2, v70
	ds_read_b32 v70, v70
	v_cmp_gt_i64_e64 s[46:47], 0, v[64:65]
	v_cndmask_b32_e64 v69, v133, 0, s[46:47]
	v_ashrrev_i32_e32 v73, 31, v65
	v_not_b32_e32 v73, v73
	s_waitcnt lgkmcnt(0)
	v_add_u32_e32 v70, v70, v10
	v_lshlrev_b64 v[70:71], 3, v[70:71]
	v_xor_b32_e32 v65, v69, v65
	v_mov_b32_e32 v69, s75
	v_add_co_u32_e32 v70, vcc, s74, v70
	v_xor_b32_e32 v64, v73, v64
	v_addc_co_u32_e32 v71, vcc, v69, v71, vcc
	global_store_dwordx2 v[70:71], v[64:65], off
	s_or_b64 exec, exec, s[48:49]
	v_cmp_lt_u32_e64 s[46:47], v12, v183
	s_and_saveexec_b64 s[50:51], s[46:47]
	s_cbranch_execnz .LBB1119_197
.LBB1119_182:                           ;   in Loop: Header=BB1119_98 Depth=2
	s_or_b64 exec, exec, s[50:51]
	v_cmp_lt_u32_e64 s[48:49], v14, v183
	s_and_saveexec_b64 s[52:53], s[48:49]
	s_cbranch_execz .LBB1119_198
.LBB1119_183:                           ;   in Loop: Header=BB1119_98 Depth=2
	ds_read_b64 v[64:65], v104 offset:12288
	v_mov_b32_e32 v71, v4
	s_waitcnt lgkmcnt(0)
	v_cmp_ne_u64_e32 vcc, s[90:91], v[64:65]
	v_cndmask_b32_e32 v89, v133, v65, vcc
	v_cndmask_b32_e32 v88, -1, v64, vcc
	v_lshrrev_b64 v[88:89], s69, v[88:89]
	v_and_b32_e32 v70, s95, v88
	v_lshlrev_b32_e32 v70, 2, v70
	ds_read_b32 v70, v70
	v_cmp_gt_i64_e64 s[50:51], 0, v[64:65]
	v_cndmask_b32_e64 v69, v133, 0, s[50:51]
	v_ashrrev_i32_e32 v73, 31, v65
	v_not_b32_e32 v73, v73
	s_waitcnt lgkmcnt(0)
	v_add_u32_e32 v70, v70, v14
	v_lshlrev_b64 v[70:71], 3, v[70:71]
	v_xor_b32_e32 v65, v69, v65
	v_mov_b32_e32 v69, s75
	v_add_co_u32_e32 v70, vcc, s74, v70
	v_xor_b32_e32 v64, v73, v64
	v_addc_co_u32_e32 v71, vcc, v69, v71, vcc
	global_store_dwordx2 v[70:71], v[64:65], off
	s_or_b64 exec, exec, s[52:53]
	v_cmp_lt_u32_e64 s[50:51], v16, v183
	s_and_saveexec_b64 s[54:55], s[50:51]
	s_cbranch_execnz .LBB1119_199
.LBB1119_184:                           ;   in Loop: Header=BB1119_98 Depth=2
	s_or_b64 exec, exec, s[54:55]
	v_cmp_lt_u32_e64 s[52:53], v18, v183
	s_and_saveexec_b64 s[56:57], s[52:53]
	s_cbranch_execz .LBB1119_200
.LBB1119_185:                           ;   in Loop: Header=BB1119_98 Depth=2
	ds_read_b64 v[64:65], v104 offset:16384
	v_mov_b32_e32 v71, v4
	s_waitcnt lgkmcnt(0)
	v_cmp_ne_u64_e32 vcc, s[90:91], v[64:65]
	v_cndmask_b32_e32 v89, v133, v65, vcc
	v_cndmask_b32_e32 v88, -1, v64, vcc
	v_lshrrev_b64 v[88:89], s69, v[88:89]
	v_and_b32_e32 v70, s95, v88
	v_lshlrev_b32_e32 v70, 2, v70
	ds_read_b32 v70, v70
	v_cmp_gt_i64_e64 s[54:55], 0, v[64:65]
	v_cndmask_b32_e64 v69, v133, 0, s[54:55]
	v_ashrrev_i32_e32 v73, 31, v65
	v_not_b32_e32 v73, v73
	s_waitcnt lgkmcnt(0)
	v_add_u32_e32 v70, v70, v18
	v_lshlrev_b64 v[70:71], 3, v[70:71]
	v_xor_b32_e32 v65, v69, v65
	v_mov_b32_e32 v69, s75
	v_add_co_u32_e32 v70, vcc, s74, v70
	v_xor_b32_e32 v64, v73, v64
	v_addc_co_u32_e32 v71, vcc, v69, v71, vcc
	global_store_dwordx2 v[70:71], v[64:65], off
	s_or_b64 exec, exec, s[56:57]
	v_cmp_lt_u32_e64 s[54:55], v20, v183
	s_and_saveexec_b64 s[58:59], s[54:55]
	s_cbranch_execnz .LBB1119_201
.LBB1119_186:                           ;   in Loop: Header=BB1119_98 Depth=2
	s_or_b64 exec, exec, s[58:59]
	v_cmp_lt_u32_e64 s[56:57], v22, v183
	s_and_saveexec_b64 s[60:61], s[56:57]
	s_cbranch_execz .LBB1119_202
.LBB1119_187:                           ;   in Loop: Header=BB1119_98 Depth=2
	ds_read_b64 v[64:65], v104 offset:20480
	v_mov_b32_e32 v71, v4
	s_waitcnt lgkmcnt(0)
	v_cmp_ne_u64_e32 vcc, s[90:91], v[64:65]
	v_cndmask_b32_e32 v89, v133, v65, vcc
	v_cndmask_b32_e32 v88, -1, v64, vcc
	v_lshrrev_b64 v[88:89], s69, v[88:89]
	v_and_b32_e32 v70, s95, v88
	v_lshlrev_b32_e32 v70, 2, v70
	ds_read_b32 v70, v70
	v_cmp_gt_i64_e64 s[58:59], 0, v[64:65]
	v_cndmask_b32_e64 v69, v133, 0, s[58:59]
	v_ashrrev_i32_e32 v73, 31, v65
	v_not_b32_e32 v73, v73
	s_waitcnt lgkmcnt(0)
	v_add_u32_e32 v70, v70, v22
	v_lshlrev_b64 v[70:71], 3, v[70:71]
	v_xor_b32_e32 v65, v69, v65
	v_mov_b32_e32 v69, s75
	v_add_co_u32_e32 v70, vcc, s74, v70
	v_xor_b32_e32 v64, v73, v64
	v_addc_co_u32_e32 v71, vcc, v69, v71, vcc
	global_store_dwordx2 v[70:71], v[64:65], off
	s_or_b64 exec, exec, s[60:61]
	v_cmp_lt_u32_e64 s[58:59], v24, v183
	s_and_saveexec_b64 s[62:63], s[58:59]
	s_cbranch_execnz .LBB1119_203
.LBB1119_188:                           ;   in Loop: Header=BB1119_98 Depth=2
	s_or_b64 exec, exec, s[62:63]
	v_cmp_lt_u32_e64 s[60:61], v26, v183
	s_and_saveexec_b64 s[64:65], s[60:61]
	s_cbranch_execz .LBB1119_204
.LBB1119_189:                           ;   in Loop: Header=BB1119_98 Depth=2
	ds_read_b64 v[64:65], v104 offset:24576
	v_mov_b32_e32 v71, v4
	s_waitcnt lgkmcnt(0)
	v_cmp_ne_u64_e32 vcc, s[90:91], v[64:65]
	v_cndmask_b32_e32 v89, v133, v65, vcc
	v_cndmask_b32_e32 v88, -1, v64, vcc
	v_lshrrev_b64 v[88:89], s69, v[88:89]
	v_and_b32_e32 v70, s95, v88
	v_lshlrev_b32_e32 v70, 2, v70
	ds_read_b32 v70, v70
	v_cmp_gt_i64_e64 s[62:63], 0, v[64:65]
	v_cndmask_b32_e64 v69, v133, 0, s[62:63]
	v_ashrrev_i32_e32 v73, 31, v65
	v_not_b32_e32 v73, v73
	s_waitcnt lgkmcnt(0)
	v_add_u32_e32 v70, v70, v26
	v_lshlrev_b64 v[70:71], 3, v[70:71]
	v_xor_b32_e32 v65, v69, v65
	v_mov_b32_e32 v69, s75
	v_add_co_u32_e32 v70, vcc, s74, v70
	v_xor_b32_e32 v64, v73, v64
	v_addc_co_u32_e32 v71, vcc, v69, v71, vcc
	global_store_dwordx2 v[70:71], v[64:65], off
	s_or_b64 exec, exec, s[64:65]
	v_cmp_lt_u32_e64 s[62:63], v28, v183
	s_and_saveexec_b64 s[66:67], s[62:63]
	s_cbranch_execnz .LBB1119_205
.LBB1119_190:                           ;   in Loop: Header=BB1119_98 Depth=2
	s_or_b64 exec, exec, s[66:67]
	v_cmp_lt_u32_e64 s[64:65], v30, v183
	s_and_saveexec_b64 s[78:79], s[64:65]
	s_cbranch_execz .LBB1119_206
.LBB1119_191:                           ;   in Loop: Header=BB1119_98 Depth=2
	ds_read_b64 v[64:65], v104 offset:28672
	v_mov_b32_e32 v71, v4
	s_waitcnt lgkmcnt(0)
	v_cmp_ne_u64_e32 vcc, s[90:91], v[64:65]
	v_cndmask_b32_e32 v89, v133, v65, vcc
	v_cndmask_b32_e32 v88, -1, v64, vcc
	v_lshrrev_b64 v[88:89], s69, v[88:89]
	v_and_b32_e32 v70, s95, v88
	v_lshlrev_b32_e32 v70, 2, v70
	ds_read_b32 v70, v70
	v_cmp_gt_i64_e64 s[66:67], 0, v[64:65]
	v_cndmask_b32_e64 v69, v133, 0, s[66:67]
	v_ashrrev_i32_e32 v73, 31, v65
	v_not_b32_e32 v73, v73
	s_waitcnt lgkmcnt(0)
	v_add_u32_e32 v70, v70, v30
	v_lshlrev_b64 v[70:71], 3, v[70:71]
	v_xor_b32_e32 v65, v69, v65
	v_mov_b32_e32 v69, s75
	v_add_co_u32_e32 v70, vcc, s74, v70
	v_xor_b32_e32 v64, v73, v64
	v_addc_co_u32_e32 v71, vcc, v69, v71, vcc
	global_store_dwordx2 v[70:71], v[64:65], off
	s_or_b64 exec, exec, s[78:79]
	v_cmp_lt_u32_e64 s[66:67], v32, v183
	s_and_saveexec_b64 s[78:79], s[66:67]
	s_cbranch_execnz .LBB1119_207
	s_branch .LBB1119_208
.LBB1119_192:                           ;   in Loop: Header=BB1119_98 Depth=2
	s_or_b64 exec, exec, s[40:41]
	v_cmp_lt_u32_e64 s[38:39], v7, v183
	s_and_saveexec_b64 s[42:43], s[38:39]
	s_cbranch_execz .LBB1119_178
.LBB1119_193:                           ;   in Loop: Header=BB1119_98 Depth=2
	ds_read_b64 v[64:65], v104 offset:2048
	v_mov_b32_e32 v71, v4
	s_waitcnt lgkmcnt(0)
	v_cmp_ne_u64_e32 vcc, s[90:91], v[64:65]
	v_cndmask_b32_e32 v89, v133, v65, vcc
	v_cndmask_b32_e32 v88, -1, v64, vcc
	v_lshrrev_b64 v[88:89], s69, v[88:89]
	v_and_b32_e32 v70, s95, v88
	v_lshlrev_b32_e32 v70, 2, v70
	ds_read_b32 v70, v70
	v_cmp_gt_i64_e64 s[40:41], 0, v[64:65]
	v_cndmask_b32_e64 v69, v133, 0, s[40:41]
	v_ashrrev_i32_e32 v73, 31, v65
	v_not_b32_e32 v73, v73
	s_waitcnt lgkmcnt(0)
	v_add_u32_e32 v70, v70, v7
	v_lshlrev_b64 v[70:71], 3, v[70:71]
	v_xor_b32_e32 v65, v69, v65
	v_mov_b32_e32 v69, s75
	v_add_co_u32_e32 v70, vcc, s74, v70
	v_xor_b32_e32 v64, v73, v64
	v_addc_co_u32_e32 v71, vcc, v69, v71, vcc
	global_store_dwordx2 v[70:71], v[64:65], off
	s_or_b64 exec, exec, s[42:43]
	v_cmp_lt_u32_e64 s[40:41], v6, v183
	s_and_saveexec_b64 s[44:45], s[40:41]
	s_cbranch_execnz .LBB1119_179
.LBB1119_194:                           ;   in Loop: Header=BB1119_98 Depth=2
	s_or_b64 exec, exec, s[44:45]
	v_cmp_lt_u32_e64 s[42:43], v8, v183
	s_and_saveexec_b64 s[46:47], s[42:43]
	s_cbranch_execz .LBB1119_180
.LBB1119_195:                           ;   in Loop: Header=BB1119_98 Depth=2
	ds_read_b64 v[64:65], v104 offset:6144
	v_mov_b32_e32 v71, v4
	s_waitcnt lgkmcnt(0)
	v_cmp_ne_u64_e32 vcc, s[90:91], v[64:65]
	v_cndmask_b32_e32 v89, v133, v65, vcc
	v_cndmask_b32_e32 v88, -1, v64, vcc
	v_lshrrev_b64 v[88:89], s69, v[88:89]
	v_and_b32_e32 v70, s95, v88
	v_lshlrev_b32_e32 v70, 2, v70
	ds_read_b32 v70, v70
	v_cmp_gt_i64_e64 s[44:45], 0, v[64:65]
	v_cndmask_b32_e64 v69, v133, 0, s[44:45]
	v_ashrrev_i32_e32 v73, 31, v65
	v_not_b32_e32 v73, v73
	s_waitcnt lgkmcnt(0)
	v_add_u32_e32 v70, v70, v8
	v_lshlrev_b64 v[70:71], 3, v[70:71]
	v_xor_b32_e32 v65, v69, v65
	v_mov_b32_e32 v69, s75
	v_add_co_u32_e32 v70, vcc, s74, v70
	v_xor_b32_e32 v64, v73, v64
	v_addc_co_u32_e32 v71, vcc, v69, v71, vcc
	global_store_dwordx2 v[70:71], v[64:65], off
	s_or_b64 exec, exec, s[46:47]
	v_cmp_lt_u32_e64 s[44:45], v10, v183
	s_and_saveexec_b64 s[48:49], s[44:45]
	s_cbranch_execnz .LBB1119_181
.LBB1119_196:                           ;   in Loop: Header=BB1119_98 Depth=2
	s_or_b64 exec, exec, s[48:49]
	v_cmp_lt_u32_e64 s[46:47], v12, v183
	s_and_saveexec_b64 s[50:51], s[46:47]
	s_cbranch_execz .LBB1119_182
.LBB1119_197:                           ;   in Loop: Header=BB1119_98 Depth=2
	ds_read_b64 v[64:65], v104 offset:10240
	v_mov_b32_e32 v71, v4
	s_waitcnt lgkmcnt(0)
	v_cmp_ne_u64_e32 vcc, s[90:91], v[64:65]
	v_cndmask_b32_e32 v89, v133, v65, vcc
	v_cndmask_b32_e32 v88, -1, v64, vcc
	v_lshrrev_b64 v[88:89], s69, v[88:89]
	v_and_b32_e32 v70, s95, v88
	v_lshlrev_b32_e32 v70, 2, v70
	ds_read_b32 v70, v70
	v_cmp_gt_i64_e64 s[48:49], 0, v[64:65]
	v_cndmask_b32_e64 v69, v133, 0, s[48:49]
	v_ashrrev_i32_e32 v73, 31, v65
	v_not_b32_e32 v73, v73
	s_waitcnt lgkmcnt(0)
	v_add_u32_e32 v70, v70, v12
	v_lshlrev_b64 v[70:71], 3, v[70:71]
	v_xor_b32_e32 v65, v69, v65
	v_mov_b32_e32 v69, s75
	v_add_co_u32_e32 v70, vcc, s74, v70
	v_xor_b32_e32 v64, v73, v64
	v_addc_co_u32_e32 v71, vcc, v69, v71, vcc
	global_store_dwordx2 v[70:71], v[64:65], off
	s_or_b64 exec, exec, s[50:51]
	v_cmp_lt_u32_e64 s[48:49], v14, v183
	s_and_saveexec_b64 s[52:53], s[48:49]
	s_cbranch_execnz .LBB1119_183
.LBB1119_198:                           ;   in Loop: Header=BB1119_98 Depth=2
	s_or_b64 exec, exec, s[52:53]
	v_cmp_lt_u32_e64 s[50:51], v16, v183
	s_and_saveexec_b64 s[54:55], s[50:51]
	s_cbranch_execz .LBB1119_184
.LBB1119_199:                           ;   in Loop: Header=BB1119_98 Depth=2
	ds_read_b64 v[64:65], v104 offset:14336
	v_mov_b32_e32 v71, v4
	s_waitcnt lgkmcnt(0)
	v_cmp_ne_u64_e32 vcc, s[90:91], v[64:65]
	v_cndmask_b32_e32 v89, v133, v65, vcc
	v_cndmask_b32_e32 v88, -1, v64, vcc
	v_lshrrev_b64 v[88:89], s69, v[88:89]
	v_and_b32_e32 v70, s95, v88
	v_lshlrev_b32_e32 v70, 2, v70
	ds_read_b32 v70, v70
	v_cmp_gt_i64_e64 s[52:53], 0, v[64:65]
	v_cndmask_b32_e64 v69, v133, 0, s[52:53]
	v_ashrrev_i32_e32 v73, 31, v65
	v_not_b32_e32 v73, v73
	s_waitcnt lgkmcnt(0)
	v_add_u32_e32 v70, v70, v16
	v_lshlrev_b64 v[70:71], 3, v[70:71]
	v_xor_b32_e32 v65, v69, v65
	v_mov_b32_e32 v69, s75
	v_add_co_u32_e32 v70, vcc, s74, v70
	v_xor_b32_e32 v64, v73, v64
	v_addc_co_u32_e32 v71, vcc, v69, v71, vcc
	global_store_dwordx2 v[70:71], v[64:65], off
	s_or_b64 exec, exec, s[54:55]
	v_cmp_lt_u32_e64 s[52:53], v18, v183
	s_and_saveexec_b64 s[56:57], s[52:53]
	s_cbranch_execnz .LBB1119_185
.LBB1119_200:                           ;   in Loop: Header=BB1119_98 Depth=2
	s_or_b64 exec, exec, s[56:57]
	v_cmp_lt_u32_e64 s[54:55], v20, v183
	s_and_saveexec_b64 s[58:59], s[54:55]
	s_cbranch_execz .LBB1119_186
.LBB1119_201:                           ;   in Loop: Header=BB1119_98 Depth=2
	ds_read_b64 v[64:65], v104 offset:18432
	v_mov_b32_e32 v71, v4
	s_waitcnt lgkmcnt(0)
	v_cmp_ne_u64_e32 vcc, s[90:91], v[64:65]
	v_cndmask_b32_e32 v89, v133, v65, vcc
	v_cndmask_b32_e32 v88, -1, v64, vcc
	v_lshrrev_b64 v[88:89], s69, v[88:89]
	v_and_b32_e32 v70, s95, v88
	v_lshlrev_b32_e32 v70, 2, v70
	ds_read_b32 v70, v70
	v_cmp_gt_i64_e64 s[56:57], 0, v[64:65]
	v_cndmask_b32_e64 v69, v133, 0, s[56:57]
	v_ashrrev_i32_e32 v73, 31, v65
	v_not_b32_e32 v73, v73
	s_waitcnt lgkmcnt(0)
	v_add_u32_e32 v70, v70, v20
	v_lshlrev_b64 v[70:71], 3, v[70:71]
	v_xor_b32_e32 v65, v69, v65
	v_mov_b32_e32 v69, s75
	v_add_co_u32_e32 v70, vcc, s74, v70
	v_xor_b32_e32 v64, v73, v64
	v_addc_co_u32_e32 v71, vcc, v69, v71, vcc
	global_store_dwordx2 v[70:71], v[64:65], off
	s_or_b64 exec, exec, s[58:59]
	v_cmp_lt_u32_e64 s[56:57], v22, v183
	s_and_saveexec_b64 s[60:61], s[56:57]
	s_cbranch_execnz .LBB1119_187
.LBB1119_202:                           ;   in Loop: Header=BB1119_98 Depth=2
	s_or_b64 exec, exec, s[60:61]
	v_cmp_lt_u32_e64 s[58:59], v24, v183
	s_and_saveexec_b64 s[62:63], s[58:59]
	s_cbranch_execz .LBB1119_188
.LBB1119_203:                           ;   in Loop: Header=BB1119_98 Depth=2
	ds_read_b64 v[64:65], v104 offset:22528
	v_mov_b32_e32 v71, v4
	s_waitcnt lgkmcnt(0)
	v_cmp_ne_u64_e32 vcc, s[90:91], v[64:65]
	v_cndmask_b32_e32 v89, v133, v65, vcc
	v_cndmask_b32_e32 v88, -1, v64, vcc
	v_lshrrev_b64 v[88:89], s69, v[88:89]
	v_and_b32_e32 v70, s95, v88
	v_lshlrev_b32_e32 v70, 2, v70
	ds_read_b32 v70, v70
	v_cmp_gt_i64_e64 s[60:61], 0, v[64:65]
	v_cndmask_b32_e64 v69, v133, 0, s[60:61]
	v_ashrrev_i32_e32 v73, 31, v65
	v_not_b32_e32 v73, v73
	s_waitcnt lgkmcnt(0)
	v_add_u32_e32 v70, v70, v24
	v_lshlrev_b64 v[70:71], 3, v[70:71]
	v_xor_b32_e32 v65, v69, v65
	v_mov_b32_e32 v69, s75
	v_add_co_u32_e32 v70, vcc, s74, v70
	v_xor_b32_e32 v64, v73, v64
	v_addc_co_u32_e32 v71, vcc, v69, v71, vcc
	global_store_dwordx2 v[70:71], v[64:65], off
	s_or_b64 exec, exec, s[62:63]
	v_cmp_lt_u32_e64 s[60:61], v26, v183
	s_and_saveexec_b64 s[64:65], s[60:61]
	s_cbranch_execnz .LBB1119_189
.LBB1119_204:                           ;   in Loop: Header=BB1119_98 Depth=2
	s_or_b64 exec, exec, s[64:65]
	v_cmp_lt_u32_e64 s[62:63], v28, v183
	s_and_saveexec_b64 s[66:67], s[62:63]
	s_cbranch_execz .LBB1119_190
.LBB1119_205:                           ;   in Loop: Header=BB1119_98 Depth=2
	ds_read_b64 v[64:65], v104 offset:26624
	v_mov_b32_e32 v71, v4
	s_waitcnt lgkmcnt(0)
	v_cmp_ne_u64_e32 vcc, s[90:91], v[64:65]
	v_cndmask_b32_e32 v89, v133, v65, vcc
	v_cndmask_b32_e32 v88, -1, v64, vcc
	v_lshrrev_b64 v[88:89], s69, v[88:89]
	v_and_b32_e32 v70, s95, v88
	v_lshlrev_b32_e32 v70, 2, v70
	ds_read_b32 v70, v70
	v_cmp_gt_i64_e64 s[64:65], 0, v[64:65]
	v_cndmask_b32_e64 v69, v133, 0, s[64:65]
	v_ashrrev_i32_e32 v73, 31, v65
	v_not_b32_e32 v73, v73
	s_waitcnt lgkmcnt(0)
	v_add_u32_e32 v70, v70, v28
	v_lshlrev_b64 v[70:71], 3, v[70:71]
	v_xor_b32_e32 v65, v69, v65
	v_mov_b32_e32 v69, s75
	v_add_co_u32_e32 v70, vcc, s74, v70
	v_xor_b32_e32 v64, v73, v64
	v_addc_co_u32_e32 v71, vcc, v69, v71, vcc
	global_store_dwordx2 v[70:71], v[64:65], off
	s_or_b64 exec, exec, s[66:67]
	v_cmp_lt_u32_e64 s[64:65], v30, v183
	s_and_saveexec_b64 s[78:79], s[64:65]
	s_cbranch_execnz .LBB1119_191
.LBB1119_206:                           ;   in Loop: Header=BB1119_98 Depth=2
	s_or_b64 exec, exec, s[78:79]
	v_cmp_lt_u32_e64 s[66:67], v32, v183
	s_and_saveexec_b64 s[78:79], s[66:67]
	s_cbranch_execz .LBB1119_208
.LBB1119_207:                           ;   in Loop: Header=BB1119_98 Depth=2
	ds_read_b64 v[64:65], v104 offset:30720
	s_waitcnt lgkmcnt(0)
	v_cmp_ne_u64_e32 vcc, s[90:91], v[64:65]
	v_cndmask_b32_e32 v71, v133, v65, vcc
	v_cndmask_b32_e32 v70, -1, v64, vcc
	v_lshrrev_b64 v[70:71], s69, v[70:71]
	v_and_b32_e32 v69, s95, v70
	v_lshlrev_b32_e32 v69, 2, v69
	ds_read_b32 v69, v69
	v_cmp_gt_i64_e32 vcc, 0, v[64:65]
	v_ashrrev_i32_e32 v71, 31, v65
	v_cndmask_b32_e64 v70, v133, 0, vcc
	v_not_b32_e32 v71, v71
	v_xor_b32_e32 v65, v70, v65
	v_xor_b32_e32 v64, v71, v64
	s_waitcnt lgkmcnt(0)
	v_add_u32_e32 v70, v69, v32
	v_mov_b32_e32 v71, v4
	v_lshlrev_b64 v[70:71], 3, v[70:71]
	v_add_co_u32_e32 v70, vcc, s74, v70
	v_mov_b32_e32 v69, s75
	v_addc_co_u32_e32 v71, vcc, v69, v71, vcc
	global_store_dwordx2 v[70:71], v[64:65], off
.LBB1119_208:                           ;   in Loop: Header=BB1119_98 Depth=2
	s_or_b64 exec, exec, s[78:79]
	s_mov_b32 s71, s90
	s_lshl_b64 s[70:71], s[70:71], 3
	v_mov_b32_e32 v65, s71
	v_add_co_u32_e32 v64, vcc, s70, v160
	v_addc_co_u32_e32 v65, vcc, v161, v65, vcc
	v_cmp_lt_u32_e32 vcc, v143, v183
	s_and_saveexec_b64 s[70:71], vcc
	s_xor_b64 s[70:71], exec, s[70:71]
	s_cbranch_execz .LBB1119_240
; %bb.209:                              ;   in Loop: Header=BB1119_98 Depth=2
	global_load_dwordx2 v[62:63], v[64:65], off
	s_or_b64 exec, exec, s[70:71]
	v_cmp_lt_u32_e32 vcc, v144, v183
	s_and_saveexec_b64 s[70:71], vcc
	s_cbranch_execnz .LBB1119_241
.LBB1119_210:                           ;   in Loop: Header=BB1119_98 Depth=2
	s_or_b64 exec, exec, s[70:71]
	v_cmp_lt_u32_e32 vcc, v145, v183
	s_and_saveexec_b64 s[70:71], vcc
	s_cbranch_execz .LBB1119_242
.LBB1119_211:                           ;   in Loop: Header=BB1119_98 Depth=2
	global_load_dwordx2 v[58:59], v[64:65], off offset:1024
	s_or_b64 exec, exec, s[70:71]
	v_cmp_lt_u32_e32 vcc, v146, v183
	s_and_saveexec_b64 s[70:71], vcc
	s_cbranch_execnz .LBB1119_243
.LBB1119_212:                           ;   in Loop: Header=BB1119_98 Depth=2
	s_or_b64 exec, exec, s[70:71]
	v_cmp_lt_u32_e32 vcc, v147, v183
	s_and_saveexec_b64 s[70:71], vcc
	s_cbranch_execz .LBB1119_244
.LBB1119_213:                           ;   in Loop: Header=BB1119_98 Depth=2
	global_load_dwordx2 v[50:51], v[64:65], off offset:2048
	s_or_b64 exec, exec, s[70:71]
	v_cmp_lt_u32_e32 vcc, v148, v183
	s_and_saveexec_b64 s[70:71], vcc
	s_cbranch_execnz .LBB1119_245
.LBB1119_214:                           ;   in Loop: Header=BB1119_98 Depth=2
	s_or_b64 exec, exec, s[70:71]
	v_cmp_lt_u32_e32 vcc, v149, v183
	s_and_saveexec_b64 s[70:71], vcc
	s_cbranch_execz .LBB1119_246
.LBB1119_215:                           ;   in Loop: Header=BB1119_98 Depth=2
	global_load_dwordx2 v[42:43], v[64:65], off offset:3072
	s_or_b64 exec, exec, s[70:71]
	v_cmp_lt_u32_e32 vcc, v150, v183
	s_and_saveexec_b64 s[70:71], vcc
	s_cbranch_execnz .LBB1119_247
.LBB1119_216:                           ;   in Loop: Header=BB1119_98 Depth=2
	s_or_b64 exec, exec, s[70:71]
	v_cmp_lt_u32_e32 vcc, v151, v183
	s_and_saveexec_b64 s[70:71], vcc
	s_cbranch_execz .LBB1119_248
.LBB1119_217:                           ;   in Loop: Header=BB1119_98 Depth=2
	v_add_co_u32_e32 v56, vcc, 0x1000, v64
	v_addc_co_u32_e32 v57, vcc, 0, v65, vcc
	global_load_dwordx2 v[56:57], v[56:57], off
	s_or_b64 exec, exec, s[70:71]
	v_cmp_lt_u32_e32 vcc, v152, v183
	s_and_saveexec_b64 s[70:71], vcc
	s_cbranch_execnz .LBB1119_249
.LBB1119_218:                           ;   in Loop: Header=BB1119_98 Depth=2
	s_or_b64 exec, exec, s[70:71]
	v_cmp_lt_u32_e32 vcc, v153, v183
	s_and_saveexec_b64 s[70:71], vcc
	s_cbranch_execz .LBB1119_250
.LBB1119_219:                           ;   in Loop: Header=BB1119_98 Depth=2
	v_add_co_u32_e32 v48, vcc, 0x1000, v64
	v_addc_co_u32_e32 v49, vcc, 0, v65, vcc
	global_load_dwordx2 v[48:49], v[48:49], off offset:1024
	s_or_b64 exec, exec, s[70:71]
	v_cmp_lt_u32_e32 vcc, v154, v183
	s_and_saveexec_b64 s[70:71], vcc
	s_cbranch_execnz .LBB1119_251
.LBB1119_220:                           ;   in Loop: Header=BB1119_98 Depth=2
	s_or_b64 exec, exec, s[70:71]
	v_cmp_lt_u32_e32 vcc, v155, v183
	s_and_saveexec_b64 s[70:71], vcc
	s_cbranch_execz .LBB1119_252
.LBB1119_221:                           ;   in Loop: Header=BB1119_98 Depth=2
	v_add_co_u32_e32 v40, vcc, 0x1000, v64
	v_addc_co_u32_e32 v41, vcc, 0, v65, vcc
	global_load_dwordx2 v[40:41], v[40:41], off offset:2048
	s_or_b64 exec, exec, s[70:71]
	v_cmp_lt_u32_e32 vcc, v156, v183
	s_and_saveexec_b64 s[70:71], vcc
	s_cbranch_execnz .LBB1119_253
.LBB1119_222:                           ;   in Loop: Header=BB1119_98 Depth=2
	s_or_b64 exec, exec, s[70:71]
	v_cmp_lt_u32_e32 vcc, v157, v183
	s_and_saveexec_b64 s[70:71], vcc
	s_cbranch_execz .LBB1119_254
.LBB1119_223:                           ;   in Loop: Header=BB1119_98 Depth=2
	v_add_co_u32_e32 v34, vcc, 0x1000, v64
	v_addc_co_u32_e32 v35, vcc, 0, v65, vcc
	global_load_dwordx2 v[34:35], v[34:35], off offset:3072
	s_or_b64 exec, exec, s[70:71]
	v_cmp_lt_u32_e32 vcc, v158, v183
	s_and_saveexec_b64 s[70:71], vcc
	s_cbranch_execnz .LBB1119_255
.LBB1119_224:                           ;   in Loop: Header=BB1119_98 Depth=2
	s_or_b64 exec, exec, s[70:71]
	s_and_saveexec_b64 s[70:71], s[36:37]
	s_cbranch_execz .LBB1119_256
.LBB1119_225:                           ;   in Loop: Header=BB1119_98 Depth=2
	v_add_u32_e32 v64, v33, v3
	ds_read_b64 v[64:65], v64 offset:1024
	s_waitcnt lgkmcnt(0)
	v_cmp_ne_u64_e32 vcc, s[90:91], v[64:65]
	v_cndmask_b32_e32 v65, v133, v65, vcc
	v_cndmask_b32_e32 v64, -1, v64, vcc
	v_lshrrev_b64 v[64:65], s69, v[64:65]
	v_and_b32_e32 v182, s95, v64
	s_or_b64 exec, exec, s[70:71]
	s_and_saveexec_b64 s[70:71], s[38:39]
	s_cbranch_execnz .LBB1119_257
.LBB1119_226:                           ;   in Loop: Header=BB1119_98 Depth=2
	s_or_b64 exec, exec, s[70:71]
	s_and_saveexec_b64 s[70:71], s[40:41]
	s_cbranch_execz .LBB1119_258
.LBB1119_227:                           ;   in Loop: Header=BB1119_98 Depth=2
	ds_read_b64 v[64:65], v104 offset:4096
	s_waitcnt lgkmcnt(0)
	v_cmp_ne_u64_e32 vcc, s[90:91], v[64:65]
	v_cndmask_b32_e32 v65, v133, v65, vcc
	v_cndmask_b32_e32 v64, -1, v64, vcc
	v_lshrrev_b64 v[64:65], s69, v[64:65]
	v_and_b32_e32 v180, s95, v64
	s_or_b64 exec, exec, s[70:71]
	s_and_saveexec_b64 s[70:71], s[42:43]
	s_cbranch_execnz .LBB1119_259
.LBB1119_228:                           ;   in Loop: Header=BB1119_98 Depth=2
	s_or_b64 exec, exec, s[70:71]
	s_and_saveexec_b64 s[70:71], s[44:45]
	s_cbranch_execz .LBB1119_260
.LBB1119_229:                           ;   in Loop: Header=BB1119_98 Depth=2
	ds_read_b64 v[64:65], v104 offset:8192
	s_waitcnt lgkmcnt(0)
	v_cmp_ne_u64_e32 vcc, s[90:91], v[64:65]
	v_cndmask_b32_e32 v65, v133, v65, vcc
	v_cndmask_b32_e32 v64, -1, v64, vcc
	v_lshrrev_b64 v[64:65], s69, v[64:65]
	v_and_b32_e32 v177, s95, v64
	s_or_b64 exec, exec, s[70:71]
	s_and_saveexec_b64 s[70:71], s[46:47]
	s_cbranch_execnz .LBB1119_261
.LBB1119_230:                           ;   in Loop: Header=BB1119_98 Depth=2
	s_or_b64 exec, exec, s[70:71]
	s_and_saveexec_b64 s[70:71], s[48:49]
	s_cbranch_execz .LBB1119_262
.LBB1119_231:                           ;   in Loop: Header=BB1119_98 Depth=2
	ds_read_b64 v[64:65], v104 offset:12288
	s_waitcnt lgkmcnt(0)
	v_cmp_ne_u64_e32 vcc, s[90:91], v[64:65]
	v_cndmask_b32_e32 v65, v133, v65, vcc
	v_cndmask_b32_e32 v64, -1, v64, vcc
	v_lshrrev_b64 v[64:65], s69, v[64:65]
	v_and_b32_e32 v175, s95, v64
	s_or_b64 exec, exec, s[70:71]
	s_and_saveexec_b64 s[70:71], s[50:51]
	s_cbranch_execnz .LBB1119_263
.LBB1119_232:                           ;   in Loop: Header=BB1119_98 Depth=2
	s_or_b64 exec, exec, s[70:71]
	s_and_saveexec_b64 s[70:71], s[52:53]
	s_cbranch_execz .LBB1119_264
.LBB1119_233:                           ;   in Loop: Header=BB1119_98 Depth=2
	ds_read_b64 v[64:65], v104 offset:16384
	s_waitcnt lgkmcnt(0)
	v_cmp_ne_u64_e32 vcc, s[90:91], v[64:65]
	v_cndmask_b32_e32 v65, v133, v65, vcc
	v_cndmask_b32_e32 v64, -1, v64, vcc
	v_lshrrev_b64 v[64:65], s69, v[64:65]
	v_and_b32_e32 v172, s95, v64
	s_or_b64 exec, exec, s[70:71]
	s_and_saveexec_b64 s[70:71], s[54:55]
	s_cbranch_execnz .LBB1119_265
.LBB1119_234:                           ;   in Loop: Header=BB1119_98 Depth=2
	s_or_b64 exec, exec, s[70:71]
	s_and_saveexec_b64 s[70:71], s[56:57]
	s_cbranch_execz .LBB1119_266
.LBB1119_235:                           ;   in Loop: Header=BB1119_98 Depth=2
	ds_read_b64 v[64:65], v104 offset:20480
	s_waitcnt lgkmcnt(0)
	v_cmp_ne_u64_e32 vcc, s[90:91], v[64:65]
	v_cndmask_b32_e32 v65, v133, v65, vcc
	v_cndmask_b32_e32 v64, -1, v64, vcc
	v_lshrrev_b64 v[64:65], s69, v[64:65]
	v_and_b32_e32 v169, s95, v64
	s_or_b64 exec, exec, s[70:71]
	s_and_saveexec_b64 s[70:71], s[58:59]
	s_cbranch_execnz .LBB1119_267
.LBB1119_236:                           ;   in Loop: Header=BB1119_98 Depth=2
	s_or_b64 exec, exec, s[70:71]
	s_and_saveexec_b64 s[70:71], s[60:61]
	s_cbranch_execz .LBB1119_268
.LBB1119_237:                           ;   in Loop: Header=BB1119_98 Depth=2
	ds_read_b64 v[64:65], v104 offset:24576
	s_waitcnt lgkmcnt(0)
	v_cmp_ne_u64_e32 vcc, s[90:91], v[64:65]
	v_cndmask_b32_e32 v65, v133, v65, vcc
	v_cndmask_b32_e32 v64, -1, v64, vcc
	v_lshrrev_b64 v[64:65], s69, v[64:65]
	v_and_b32_e32 v167, s95, v64
	s_or_b64 exec, exec, s[70:71]
	s_and_saveexec_b64 s[70:71], s[62:63]
	s_cbranch_execnz .LBB1119_269
.LBB1119_238:                           ;   in Loop: Header=BB1119_98 Depth=2
	s_or_b64 exec, exec, s[70:71]
	s_and_saveexec_b64 s[70:71], s[64:65]
	s_cbranch_execz .LBB1119_270
.LBB1119_239:                           ;   in Loop: Header=BB1119_98 Depth=2
	ds_read_b64 v[64:65], v104 offset:28672
	s_waitcnt lgkmcnt(0)
	v_cmp_ne_u64_e32 vcc, s[90:91], v[64:65]
	v_cndmask_b32_e32 v65, v133, v65, vcc
	v_cndmask_b32_e32 v64, -1, v64, vcc
	v_lshrrev_b64 v[64:65], s69, v[64:65]
	v_and_b32_e32 v165, s95, v64
	s_or_b64 exec, exec, s[70:71]
	s_and_saveexec_b64 s[70:71], s[66:67]
	s_cbranch_execnz .LBB1119_271
	s_branch .LBB1119_272
.LBB1119_240:                           ;   in Loop: Header=BB1119_98 Depth=2
	s_or_b64 exec, exec, s[70:71]
	v_cmp_lt_u32_e32 vcc, v144, v183
	s_and_saveexec_b64 s[70:71], vcc
	s_cbranch_execz .LBB1119_210
.LBB1119_241:                           ;   in Loop: Header=BB1119_98 Depth=2
	global_load_dwordx2 v[60:61], v[64:65], off offset:512
	s_or_b64 exec, exec, s[70:71]
	v_cmp_lt_u32_e32 vcc, v145, v183
	s_and_saveexec_b64 s[70:71], vcc
	s_cbranch_execnz .LBB1119_211
.LBB1119_242:                           ;   in Loop: Header=BB1119_98 Depth=2
	s_or_b64 exec, exec, s[70:71]
	v_cmp_lt_u32_e32 vcc, v146, v183
	s_and_saveexec_b64 s[70:71], vcc
	s_cbranch_execz .LBB1119_212
.LBB1119_243:                           ;   in Loop: Header=BB1119_98 Depth=2
	global_load_dwordx2 v[54:55], v[64:65], off offset:1536
	s_or_b64 exec, exec, s[70:71]
	v_cmp_lt_u32_e32 vcc, v147, v183
	s_and_saveexec_b64 s[70:71], vcc
	s_cbranch_execnz .LBB1119_213
.LBB1119_244:                           ;   in Loop: Header=BB1119_98 Depth=2
	s_or_b64 exec, exec, s[70:71]
	v_cmp_lt_u32_e32 vcc, v148, v183
	s_and_saveexec_b64 s[70:71], vcc
	s_cbranch_execz .LBB1119_214
.LBB1119_245:                           ;   in Loop: Header=BB1119_98 Depth=2
	global_load_dwordx2 v[46:47], v[64:65], off offset:2560
	s_or_b64 exec, exec, s[70:71]
	v_cmp_lt_u32_e32 vcc, v149, v183
	s_and_saveexec_b64 s[70:71], vcc
	s_cbranch_execnz .LBB1119_215
.LBB1119_246:                           ;   in Loop: Header=BB1119_98 Depth=2
	s_or_b64 exec, exec, s[70:71]
	v_cmp_lt_u32_e32 vcc, v150, v183
	s_and_saveexec_b64 s[70:71], vcc
	s_cbranch_execz .LBB1119_216
.LBB1119_247:                           ;   in Loop: Header=BB1119_98 Depth=2
	global_load_dwordx2 v[38:39], v[64:65], off offset:3584
	s_or_b64 exec, exec, s[70:71]
	v_cmp_lt_u32_e32 vcc, v151, v183
	s_and_saveexec_b64 s[70:71], vcc
	s_cbranch_execnz .LBB1119_217
.LBB1119_248:                           ;   in Loop: Header=BB1119_98 Depth=2
	s_or_b64 exec, exec, s[70:71]
	v_cmp_lt_u32_e32 vcc, v152, v183
	s_and_saveexec_b64 s[70:71], vcc
	s_cbranch_execz .LBB1119_218
.LBB1119_249:                           ;   in Loop: Header=BB1119_98 Depth=2
	v_add_co_u32_e32 v52, vcc, 0x1000, v64
	v_addc_co_u32_e32 v53, vcc, 0, v65, vcc
	global_load_dwordx2 v[52:53], v[52:53], off offset:512
	s_or_b64 exec, exec, s[70:71]
	v_cmp_lt_u32_e32 vcc, v153, v183
	s_and_saveexec_b64 s[70:71], vcc
	s_cbranch_execnz .LBB1119_219
.LBB1119_250:                           ;   in Loop: Header=BB1119_98 Depth=2
	s_or_b64 exec, exec, s[70:71]
	v_cmp_lt_u32_e32 vcc, v154, v183
	s_and_saveexec_b64 s[70:71], vcc
	s_cbranch_execz .LBB1119_220
.LBB1119_251:                           ;   in Loop: Header=BB1119_98 Depth=2
	v_add_co_u32_e32 v44, vcc, 0x1000, v64
	v_addc_co_u32_e32 v45, vcc, 0, v65, vcc
	global_load_dwordx2 v[44:45], v[44:45], off offset:1536
	s_or_b64 exec, exec, s[70:71]
	v_cmp_lt_u32_e32 vcc, v155, v183
	s_and_saveexec_b64 s[70:71], vcc
	s_cbranch_execnz .LBB1119_221
.LBB1119_252:                           ;   in Loop: Header=BB1119_98 Depth=2
	s_or_b64 exec, exec, s[70:71]
	v_cmp_lt_u32_e32 vcc, v156, v183
	s_and_saveexec_b64 s[70:71], vcc
	s_cbranch_execz .LBB1119_222
.LBB1119_253:                           ;   in Loop: Header=BB1119_98 Depth=2
	v_add_co_u32_e32 v36, vcc, 0x1000, v64
	v_addc_co_u32_e32 v37, vcc, 0, v65, vcc
	global_load_dwordx2 v[36:37], v[36:37], off offset:2560
	s_or_b64 exec, exec, s[70:71]
	v_cmp_lt_u32_e32 vcc, v157, v183
	s_and_saveexec_b64 s[70:71], vcc
	s_cbranch_execnz .LBB1119_223
.LBB1119_254:                           ;   in Loop: Header=BB1119_98 Depth=2
	s_or_b64 exec, exec, s[70:71]
	v_cmp_lt_u32_e32 vcc, v158, v183
	s_and_saveexec_b64 s[70:71], vcc
	s_cbranch_execz .LBB1119_224
.LBB1119_255:                           ;   in Loop: Header=BB1119_98 Depth=2
	v_add_co_u32_e32 v0, vcc, 0x1000, v64
	v_addc_co_u32_e32 v1, vcc, 0, v65, vcc
	global_load_dwordx2 v[0:1], v[0:1], off offset:3584
	s_or_b64 exec, exec, s[70:71]
	s_and_saveexec_b64 s[70:71], s[36:37]
	s_cbranch_execnz .LBB1119_225
.LBB1119_256:                           ;   in Loop: Header=BB1119_98 Depth=2
	s_or_b64 exec, exec, s[70:71]
	s_and_saveexec_b64 s[70:71], s[38:39]
	s_cbranch_execz .LBB1119_226
.LBB1119_257:                           ;   in Loop: Header=BB1119_98 Depth=2
	ds_read_b64 v[64:65], v104 offset:2048
	s_waitcnt lgkmcnt(0)
	v_cmp_ne_u64_e32 vcc, s[90:91], v[64:65]
	v_cndmask_b32_e32 v65, v133, v65, vcc
	v_cndmask_b32_e32 v64, -1, v64, vcc
	v_lshrrev_b64 v[64:65], s69, v[64:65]
	v_and_b32_e32 v181, s95, v64
	s_or_b64 exec, exec, s[70:71]
	s_and_saveexec_b64 s[70:71], s[40:41]
	s_cbranch_execnz .LBB1119_227
.LBB1119_258:                           ;   in Loop: Header=BB1119_98 Depth=2
	s_or_b64 exec, exec, s[70:71]
	s_and_saveexec_b64 s[70:71], s[42:43]
	s_cbranch_execz .LBB1119_228
.LBB1119_259:                           ;   in Loop: Header=BB1119_98 Depth=2
	ds_read_b64 v[64:65], v104 offset:6144
	s_waitcnt lgkmcnt(0)
	v_cmp_ne_u64_e32 vcc, s[90:91], v[64:65]
	v_cndmask_b32_e32 v65, v133, v65, vcc
	v_cndmask_b32_e32 v64, -1, v64, vcc
	v_lshrrev_b64 v[64:65], s69, v[64:65]
	v_and_b32_e32 v179, s95, v64
	s_or_b64 exec, exec, s[70:71]
	s_and_saveexec_b64 s[70:71], s[44:45]
	s_cbranch_execnz .LBB1119_229
.LBB1119_260:                           ;   in Loop: Header=BB1119_98 Depth=2
	s_or_b64 exec, exec, s[70:71]
	s_and_saveexec_b64 s[70:71], s[46:47]
	s_cbranch_execz .LBB1119_230
.LBB1119_261:                           ;   in Loop: Header=BB1119_98 Depth=2
	ds_read_b64 v[64:65], v104 offset:10240
	s_waitcnt lgkmcnt(0)
	v_cmp_ne_u64_e32 vcc, s[90:91], v[64:65]
	v_cndmask_b32_e32 v65, v133, v65, vcc
	v_cndmask_b32_e32 v64, -1, v64, vcc
	v_lshrrev_b64 v[64:65], s69, v[64:65]
	v_and_b32_e32 v176, s95, v64
	s_or_b64 exec, exec, s[70:71]
	s_and_saveexec_b64 s[70:71], s[48:49]
	s_cbranch_execnz .LBB1119_231
.LBB1119_262:                           ;   in Loop: Header=BB1119_98 Depth=2
	s_or_b64 exec, exec, s[70:71]
	s_and_saveexec_b64 s[70:71], s[50:51]
	s_cbranch_execz .LBB1119_232
.LBB1119_263:                           ;   in Loop: Header=BB1119_98 Depth=2
	ds_read_b64 v[64:65], v104 offset:14336
	s_waitcnt lgkmcnt(0)
	v_cmp_ne_u64_e32 vcc, s[90:91], v[64:65]
	v_cndmask_b32_e32 v65, v133, v65, vcc
	v_cndmask_b32_e32 v64, -1, v64, vcc
	v_lshrrev_b64 v[64:65], s69, v[64:65]
	v_and_b32_e32 v174, s95, v64
	s_or_b64 exec, exec, s[70:71]
	s_and_saveexec_b64 s[70:71], s[52:53]
	s_cbranch_execnz .LBB1119_233
.LBB1119_264:                           ;   in Loop: Header=BB1119_98 Depth=2
	s_or_b64 exec, exec, s[70:71]
	s_and_saveexec_b64 s[70:71], s[54:55]
	s_cbranch_execz .LBB1119_234
.LBB1119_265:                           ;   in Loop: Header=BB1119_98 Depth=2
	ds_read_b64 v[64:65], v104 offset:18432
	s_waitcnt lgkmcnt(0)
	v_cmp_ne_u64_e32 vcc, s[90:91], v[64:65]
	v_cndmask_b32_e32 v65, v133, v65, vcc
	v_cndmask_b32_e32 v64, -1, v64, vcc
	v_lshrrev_b64 v[64:65], s69, v[64:65]
	v_and_b32_e32 v171, s95, v64
	s_or_b64 exec, exec, s[70:71]
	s_and_saveexec_b64 s[70:71], s[56:57]
	s_cbranch_execnz .LBB1119_235
.LBB1119_266:                           ;   in Loop: Header=BB1119_98 Depth=2
	s_or_b64 exec, exec, s[70:71]
	s_and_saveexec_b64 s[70:71], s[58:59]
	s_cbranch_execz .LBB1119_236
.LBB1119_267:                           ;   in Loop: Header=BB1119_98 Depth=2
	ds_read_b64 v[64:65], v104 offset:22528
	s_waitcnt lgkmcnt(0)
	v_cmp_ne_u64_e32 vcc, s[90:91], v[64:65]
	v_cndmask_b32_e32 v65, v133, v65, vcc
	v_cndmask_b32_e32 v64, -1, v64, vcc
	v_lshrrev_b64 v[64:65], s69, v[64:65]
	v_and_b32_e32 v168, s95, v64
	s_or_b64 exec, exec, s[70:71]
	s_and_saveexec_b64 s[70:71], s[60:61]
	s_cbranch_execnz .LBB1119_237
.LBB1119_268:                           ;   in Loop: Header=BB1119_98 Depth=2
	s_or_b64 exec, exec, s[70:71]
	s_and_saveexec_b64 s[70:71], s[62:63]
	s_cbranch_execz .LBB1119_238
.LBB1119_269:                           ;   in Loop: Header=BB1119_98 Depth=2
	ds_read_b64 v[64:65], v104 offset:26624
	s_waitcnt lgkmcnt(0)
	v_cmp_ne_u64_e32 vcc, s[90:91], v[64:65]
	v_cndmask_b32_e32 v65, v133, v65, vcc
	v_cndmask_b32_e32 v64, -1, v64, vcc
	v_lshrrev_b64 v[64:65], s69, v[64:65]
	v_and_b32_e32 v166, s95, v64
	s_or_b64 exec, exec, s[70:71]
	s_and_saveexec_b64 s[70:71], s[64:65]
	s_cbranch_execnz .LBB1119_239
.LBB1119_270:                           ;   in Loop: Header=BB1119_98 Depth=2
	s_or_b64 exec, exec, s[70:71]
	s_and_saveexec_b64 s[70:71], s[66:67]
	s_cbranch_execz .LBB1119_272
.LBB1119_271:                           ;   in Loop: Header=BB1119_98 Depth=2
	ds_read_b64 v[64:65], v104 offset:30720
	s_waitcnt lgkmcnt(0)
	v_cmp_ne_u64_e32 vcc, s[90:91], v[64:65]
	v_cndmask_b32_e32 v65, v133, v65, vcc
	v_cndmask_b32_e32 v64, -1, v64, vcc
	v_lshrrev_b64 v[64:65], s69, v[64:65]
	v_and_b32_e32 v164, s95, v64
.LBB1119_272:                           ;   in Loop: Header=BB1119_98 Depth=2
	s_or_b64 exec, exec, s[70:71]
	v_add_u32_e32 v64, 0x400, v96
	v_add_u32_e32 v65, 0x400, v97
	;; [unrolled: 1-line block ×16, first 2 shown]
	s_barrier
	s_waitcnt vmcnt(0)
	ds_write_b64 v64, v[62:63]
	ds_write_b64 v65, v[60:61]
	;; [unrolled: 1-line block ×16, first 2 shown]
	s_waitcnt lgkmcnt(0)
	s_barrier
	s_and_saveexec_b64 s[70:71], s[36:37]
	s_cbranch_execz .LBB1119_288
; %bb.273:                              ;   in Loop: Header=BB1119_98 Depth=2
	v_lshlrev_b32_e32 v64, 2, v182
	ds_read_b32 v66, v64
	v_add_u32_e32 v64, v33, v3
	ds_read_b64 v[64:65], v64 offset:1024
	v_mov_b32_e32 v67, v4
	v_mov_b32_e32 v68, s81
	s_waitcnt lgkmcnt(1)
	v_add_u32_e32 v66, v66, v2
	v_lshlrev_b64 v[66:67], 3, v[66:67]
	v_add_co_u32_e32 v66, vcc, s80, v66
	v_addc_co_u32_e32 v67, vcc, v68, v67, vcc
	s_waitcnt lgkmcnt(0)
	global_store_dwordx2 v[66:67], v[64:65], off
	s_or_b64 exec, exec, s[70:71]
	s_and_saveexec_b64 s[36:37], s[38:39]
	s_cbranch_execnz .LBB1119_289
.LBB1119_274:                           ;   in Loop: Header=BB1119_98 Depth=2
	s_or_b64 exec, exec, s[36:37]
	s_and_saveexec_b64 s[36:37], s[40:41]
	s_cbranch_execz .LBB1119_290
.LBB1119_275:                           ;   in Loop: Header=BB1119_98 Depth=2
	v_lshlrev_b32_e32 v64, 2, v180
	ds_read_b32 v66, v64
	ds_read_b64 v[64:65], v104 offset:4096
	v_mov_b32_e32 v67, v4
	v_mov_b32_e32 v68, s81
	s_waitcnt lgkmcnt(1)
	v_add_u32_e32 v66, v66, v6
	v_lshlrev_b64 v[66:67], 3, v[66:67]
	v_add_co_u32_e32 v66, vcc, s80, v66
	v_addc_co_u32_e32 v67, vcc, v68, v67, vcc
	s_waitcnt lgkmcnt(0)
	global_store_dwordx2 v[66:67], v[64:65], off
	s_or_b64 exec, exec, s[36:37]
	s_and_saveexec_b64 s[36:37], s[42:43]
	s_cbranch_execnz .LBB1119_291
.LBB1119_276:                           ;   in Loop: Header=BB1119_98 Depth=2
	s_or_b64 exec, exec, s[36:37]
	s_and_saveexec_b64 s[36:37], s[44:45]
	s_cbranch_execz .LBB1119_292
.LBB1119_277:                           ;   in Loop: Header=BB1119_98 Depth=2
	v_lshlrev_b32_e32 v64, 2, v177
	ds_read_b32 v66, v64
	ds_read_b64 v[64:65], v104 offset:8192
	v_mov_b32_e32 v67, v4
	v_mov_b32_e32 v68, s81
	s_waitcnt lgkmcnt(1)
	v_add_u32_e32 v66, v66, v10
	v_lshlrev_b64 v[66:67], 3, v[66:67]
	v_add_co_u32_e32 v66, vcc, s80, v66
	v_addc_co_u32_e32 v67, vcc, v68, v67, vcc
	s_waitcnt lgkmcnt(0)
	global_store_dwordx2 v[66:67], v[64:65], off
	s_or_b64 exec, exec, s[36:37]
	s_and_saveexec_b64 s[36:37], s[46:47]
	s_cbranch_execnz .LBB1119_293
.LBB1119_278:                           ;   in Loop: Header=BB1119_98 Depth=2
	s_or_b64 exec, exec, s[36:37]
	s_and_saveexec_b64 s[36:37], s[48:49]
	s_cbranch_execz .LBB1119_294
.LBB1119_279:                           ;   in Loop: Header=BB1119_98 Depth=2
	v_lshlrev_b32_e32 v64, 2, v175
	ds_read_b32 v66, v64
	ds_read_b64 v[64:65], v104 offset:12288
	v_mov_b32_e32 v67, v4
	v_mov_b32_e32 v68, s81
	s_waitcnt lgkmcnt(1)
	v_add_u32_e32 v66, v66, v14
	v_lshlrev_b64 v[66:67], 3, v[66:67]
	v_add_co_u32_e32 v66, vcc, s80, v66
	v_addc_co_u32_e32 v67, vcc, v68, v67, vcc
	s_waitcnt lgkmcnt(0)
	global_store_dwordx2 v[66:67], v[64:65], off
	s_or_b64 exec, exec, s[36:37]
	s_and_saveexec_b64 s[36:37], s[50:51]
	s_cbranch_execnz .LBB1119_295
.LBB1119_280:                           ;   in Loop: Header=BB1119_98 Depth=2
	s_or_b64 exec, exec, s[36:37]
	s_and_saveexec_b64 s[36:37], s[52:53]
	s_cbranch_execz .LBB1119_296
.LBB1119_281:                           ;   in Loop: Header=BB1119_98 Depth=2
	v_lshlrev_b32_e32 v64, 2, v172
	ds_read_b32 v66, v64
	ds_read_b64 v[64:65], v104 offset:16384
	v_mov_b32_e32 v67, v4
	v_mov_b32_e32 v68, s81
	s_waitcnt lgkmcnt(1)
	v_add_u32_e32 v66, v66, v18
	v_lshlrev_b64 v[66:67], 3, v[66:67]
	v_add_co_u32_e32 v66, vcc, s80, v66
	v_addc_co_u32_e32 v67, vcc, v68, v67, vcc
	s_waitcnt lgkmcnt(0)
	global_store_dwordx2 v[66:67], v[64:65], off
	s_or_b64 exec, exec, s[36:37]
	s_and_saveexec_b64 s[36:37], s[54:55]
	s_cbranch_execnz .LBB1119_297
.LBB1119_282:                           ;   in Loop: Header=BB1119_98 Depth=2
	s_or_b64 exec, exec, s[36:37]
	s_and_saveexec_b64 s[36:37], s[56:57]
	s_cbranch_execz .LBB1119_298
.LBB1119_283:                           ;   in Loop: Header=BB1119_98 Depth=2
	v_lshlrev_b32_e32 v64, 2, v169
	ds_read_b32 v66, v64
	ds_read_b64 v[64:65], v104 offset:20480
	v_mov_b32_e32 v67, v4
	v_mov_b32_e32 v68, s81
	s_waitcnt lgkmcnt(1)
	v_add_u32_e32 v66, v66, v22
	v_lshlrev_b64 v[66:67], 3, v[66:67]
	v_add_co_u32_e32 v66, vcc, s80, v66
	v_addc_co_u32_e32 v67, vcc, v68, v67, vcc
	s_waitcnt lgkmcnt(0)
	global_store_dwordx2 v[66:67], v[64:65], off
	s_or_b64 exec, exec, s[36:37]
	s_and_saveexec_b64 s[36:37], s[58:59]
	s_cbranch_execnz .LBB1119_299
.LBB1119_284:                           ;   in Loop: Header=BB1119_98 Depth=2
	s_or_b64 exec, exec, s[36:37]
	s_and_saveexec_b64 s[36:37], s[60:61]
	s_cbranch_execz .LBB1119_300
.LBB1119_285:                           ;   in Loop: Header=BB1119_98 Depth=2
	v_lshlrev_b32_e32 v64, 2, v167
	ds_read_b32 v66, v64
	ds_read_b64 v[64:65], v104 offset:24576
	v_mov_b32_e32 v67, v4
	v_mov_b32_e32 v68, s81
	s_waitcnt lgkmcnt(1)
	v_add_u32_e32 v66, v66, v26
	v_lshlrev_b64 v[66:67], 3, v[66:67]
	v_add_co_u32_e32 v66, vcc, s80, v66
	v_addc_co_u32_e32 v67, vcc, v68, v67, vcc
	s_waitcnt lgkmcnt(0)
	global_store_dwordx2 v[66:67], v[64:65], off
	s_or_b64 exec, exec, s[36:37]
	s_and_saveexec_b64 s[36:37], s[62:63]
	s_cbranch_execnz .LBB1119_301
.LBB1119_286:                           ;   in Loop: Header=BB1119_98 Depth=2
	s_or_b64 exec, exec, s[36:37]
	s_and_saveexec_b64 s[36:37], s[64:65]
	s_cbranch_execz .LBB1119_302
.LBB1119_287:                           ;   in Loop: Header=BB1119_98 Depth=2
	v_lshlrev_b32_e32 v64, 2, v165
	ds_read_b32 v66, v64
	ds_read_b64 v[64:65], v104 offset:28672
	v_mov_b32_e32 v67, v4
	v_mov_b32_e32 v68, s81
	s_waitcnt lgkmcnt(1)
	v_add_u32_e32 v66, v66, v30
	v_lshlrev_b64 v[66:67], 3, v[66:67]
	v_add_co_u32_e32 v66, vcc, s80, v66
	v_addc_co_u32_e32 v67, vcc, v68, v67, vcc
	s_waitcnt lgkmcnt(0)
	global_store_dwordx2 v[66:67], v[64:65], off
	s_or_b64 exec, exec, s[36:37]
	s_and_saveexec_b64 s[36:37], s[66:67]
	s_cbranch_execnz .LBB1119_303
	s_branch .LBB1119_304
.LBB1119_288:                           ;   in Loop: Header=BB1119_98 Depth=2
	s_or_b64 exec, exec, s[70:71]
	s_and_saveexec_b64 s[36:37], s[38:39]
	s_cbranch_execz .LBB1119_274
.LBB1119_289:                           ;   in Loop: Header=BB1119_98 Depth=2
	v_lshlrev_b32_e32 v64, 2, v181
	ds_read_b32 v66, v64
	ds_read_b64 v[64:65], v104 offset:2048
	v_mov_b32_e32 v67, v4
	v_mov_b32_e32 v68, s81
	s_waitcnt lgkmcnt(1)
	v_add_u32_e32 v66, v66, v7
	v_lshlrev_b64 v[66:67], 3, v[66:67]
	v_add_co_u32_e32 v66, vcc, s80, v66
	v_addc_co_u32_e32 v67, vcc, v68, v67, vcc
	s_waitcnt lgkmcnt(0)
	global_store_dwordx2 v[66:67], v[64:65], off
	s_or_b64 exec, exec, s[36:37]
	s_and_saveexec_b64 s[36:37], s[40:41]
	s_cbranch_execnz .LBB1119_275
.LBB1119_290:                           ;   in Loop: Header=BB1119_98 Depth=2
	s_or_b64 exec, exec, s[36:37]
	s_and_saveexec_b64 s[36:37], s[42:43]
	s_cbranch_execz .LBB1119_276
.LBB1119_291:                           ;   in Loop: Header=BB1119_98 Depth=2
	v_lshlrev_b32_e32 v64, 2, v179
	ds_read_b32 v66, v64
	ds_read_b64 v[64:65], v104 offset:6144
	v_mov_b32_e32 v67, v4
	v_mov_b32_e32 v68, s81
	s_waitcnt lgkmcnt(1)
	v_add_u32_e32 v66, v66, v8
	v_lshlrev_b64 v[66:67], 3, v[66:67]
	v_add_co_u32_e32 v66, vcc, s80, v66
	v_addc_co_u32_e32 v67, vcc, v68, v67, vcc
	s_waitcnt lgkmcnt(0)
	global_store_dwordx2 v[66:67], v[64:65], off
	s_or_b64 exec, exec, s[36:37]
	s_and_saveexec_b64 s[36:37], s[44:45]
	s_cbranch_execnz .LBB1119_277
.LBB1119_292:                           ;   in Loop: Header=BB1119_98 Depth=2
	s_or_b64 exec, exec, s[36:37]
	s_and_saveexec_b64 s[36:37], s[46:47]
	s_cbranch_execz .LBB1119_278
.LBB1119_293:                           ;   in Loop: Header=BB1119_98 Depth=2
	v_lshlrev_b32_e32 v64, 2, v176
	ds_read_b32 v66, v64
	ds_read_b64 v[64:65], v104 offset:10240
	v_mov_b32_e32 v67, v4
	v_mov_b32_e32 v68, s81
	s_waitcnt lgkmcnt(1)
	v_add_u32_e32 v66, v66, v12
	v_lshlrev_b64 v[66:67], 3, v[66:67]
	v_add_co_u32_e32 v66, vcc, s80, v66
	v_addc_co_u32_e32 v67, vcc, v68, v67, vcc
	s_waitcnt lgkmcnt(0)
	global_store_dwordx2 v[66:67], v[64:65], off
	s_or_b64 exec, exec, s[36:37]
	s_and_saveexec_b64 s[36:37], s[48:49]
	s_cbranch_execnz .LBB1119_279
.LBB1119_294:                           ;   in Loop: Header=BB1119_98 Depth=2
	s_or_b64 exec, exec, s[36:37]
	s_and_saveexec_b64 s[36:37], s[50:51]
	s_cbranch_execz .LBB1119_280
.LBB1119_295:                           ;   in Loop: Header=BB1119_98 Depth=2
	v_lshlrev_b32_e32 v64, 2, v174
	ds_read_b32 v66, v64
	ds_read_b64 v[64:65], v104 offset:14336
	v_mov_b32_e32 v67, v4
	v_mov_b32_e32 v68, s81
	s_waitcnt lgkmcnt(1)
	v_add_u32_e32 v66, v66, v16
	v_lshlrev_b64 v[66:67], 3, v[66:67]
	v_add_co_u32_e32 v66, vcc, s80, v66
	v_addc_co_u32_e32 v67, vcc, v68, v67, vcc
	s_waitcnt lgkmcnt(0)
	global_store_dwordx2 v[66:67], v[64:65], off
	s_or_b64 exec, exec, s[36:37]
	s_and_saveexec_b64 s[36:37], s[52:53]
	s_cbranch_execnz .LBB1119_281
.LBB1119_296:                           ;   in Loop: Header=BB1119_98 Depth=2
	s_or_b64 exec, exec, s[36:37]
	s_and_saveexec_b64 s[36:37], s[54:55]
	s_cbranch_execz .LBB1119_282
.LBB1119_297:                           ;   in Loop: Header=BB1119_98 Depth=2
	v_lshlrev_b32_e32 v64, 2, v171
	ds_read_b32 v66, v64
	ds_read_b64 v[64:65], v104 offset:18432
	v_mov_b32_e32 v67, v4
	v_mov_b32_e32 v68, s81
	s_waitcnt lgkmcnt(1)
	v_add_u32_e32 v66, v66, v20
	v_lshlrev_b64 v[66:67], 3, v[66:67]
	v_add_co_u32_e32 v66, vcc, s80, v66
	v_addc_co_u32_e32 v67, vcc, v68, v67, vcc
	s_waitcnt lgkmcnt(0)
	global_store_dwordx2 v[66:67], v[64:65], off
	s_or_b64 exec, exec, s[36:37]
	s_and_saveexec_b64 s[36:37], s[56:57]
	s_cbranch_execnz .LBB1119_283
.LBB1119_298:                           ;   in Loop: Header=BB1119_98 Depth=2
	s_or_b64 exec, exec, s[36:37]
	s_and_saveexec_b64 s[36:37], s[58:59]
	s_cbranch_execz .LBB1119_284
.LBB1119_299:                           ;   in Loop: Header=BB1119_98 Depth=2
	v_lshlrev_b32_e32 v64, 2, v168
	ds_read_b32 v66, v64
	ds_read_b64 v[64:65], v104 offset:22528
	v_mov_b32_e32 v67, v4
	v_mov_b32_e32 v68, s81
	s_waitcnt lgkmcnt(1)
	v_add_u32_e32 v66, v66, v24
	v_lshlrev_b64 v[66:67], 3, v[66:67]
	v_add_co_u32_e32 v66, vcc, s80, v66
	v_addc_co_u32_e32 v67, vcc, v68, v67, vcc
	s_waitcnt lgkmcnt(0)
	global_store_dwordx2 v[66:67], v[64:65], off
	s_or_b64 exec, exec, s[36:37]
	s_and_saveexec_b64 s[36:37], s[60:61]
	s_cbranch_execnz .LBB1119_285
.LBB1119_300:                           ;   in Loop: Header=BB1119_98 Depth=2
	s_or_b64 exec, exec, s[36:37]
	s_and_saveexec_b64 s[36:37], s[62:63]
	s_cbranch_execz .LBB1119_286
.LBB1119_301:                           ;   in Loop: Header=BB1119_98 Depth=2
	v_lshlrev_b32_e32 v64, 2, v166
	ds_read_b32 v66, v64
	ds_read_b64 v[64:65], v104 offset:26624
	v_mov_b32_e32 v67, v4
	v_mov_b32_e32 v68, s81
	s_waitcnt lgkmcnt(1)
	v_add_u32_e32 v66, v66, v28
	v_lshlrev_b64 v[66:67], 3, v[66:67]
	v_add_co_u32_e32 v66, vcc, s80, v66
	v_addc_co_u32_e32 v67, vcc, v68, v67, vcc
	s_waitcnt lgkmcnt(0)
	global_store_dwordx2 v[66:67], v[64:65], off
	s_or_b64 exec, exec, s[36:37]
	s_and_saveexec_b64 s[36:37], s[64:65]
	s_cbranch_execnz .LBB1119_287
.LBB1119_302:                           ;   in Loop: Header=BB1119_98 Depth=2
	s_or_b64 exec, exec, s[36:37]
	s_and_saveexec_b64 s[36:37], s[66:67]
	s_cbranch_execz .LBB1119_304
.LBB1119_303:                           ;   in Loop: Header=BB1119_98 Depth=2
	v_lshlrev_b32_e32 v64, 2, v164
	ds_read_b32 v66, v64
	ds_read_b64 v[64:65], v104 offset:30720
	v_mov_b32_e32 v67, v4
	v_mov_b32_e32 v68, s81
	s_waitcnt lgkmcnt(1)
	v_add_u32_e32 v66, v66, v32
	v_lshlrev_b64 v[66:67], 3, v[66:67]
	v_add_co_u32_e32 v66, vcc, s80, v66
	v_addc_co_u32_e32 v67, vcc, v68, v67, vcc
	s_waitcnt lgkmcnt(0)
	global_store_dwordx2 v[66:67], v[64:65], off
.LBB1119_304:                           ;   in Loop: Header=BB1119_98 Depth=2
	s_or_b64 exec, exec, s[36:37]
	s_barrier
	s_and_saveexec_b64 s[36:37], s[4:5]
	s_cbranch_execz .LBB1119_97
; %bb.305:                              ;   in Loop: Header=BB1119_98 Depth=2
	ds_read_b32 v64, v3
	s_waitcnt lgkmcnt(0)
	v_add_u32_e32 v5, v64, v5
	ds_write_b32 v3, v5
	s_branch .LBB1119_97
.LBB1119_306:                           ;   in Loop: Header=BB1119_12 Depth=1
	s_waitcnt lgkmcnt(0)
	s_barrier
	s_mov_b64 s[16:17], 0
.LBB1119_307:                           ;   in Loop: Header=BB1119_12 Depth=1
	s_and_b64 vcc, exec, s[16:17]
	s_cbranch_vccz .LBB1119_601
; %bb.308:                              ;   in Loop: Header=BB1119_12 Depth=1
	v_readlane_b32 s16, v236, 3
	v_readlane_b32 s24, v236, 2
	s_mov_b32 s18, s16
	s_barrier
	s_waitcnt lgkmcnt(0)
                                        ; implicit-def: $vgpr62_vgpr63
                                        ; implicit-def: $vgpr0_vgpr1
                                        ; implicit-def: $vgpr34_vgpr35
                                        ; implicit-def: $vgpr36_vgpr37
                                        ; implicit-def: $vgpr38_vgpr39
                                        ; implicit-def: $vgpr40_vgpr41
                                        ; implicit-def: $vgpr42_vgpr43
                                        ; implicit-def: $vgpr44_vgpr45
                                        ; implicit-def: $vgpr46_vgpr47
                                        ; implicit-def: $vgpr48_vgpr49
                                        ; implicit-def: $vgpr50_vgpr51
                                        ; implicit-def: $vgpr52_vgpr53
                                        ; implicit-def: $vgpr54_vgpr55
                                        ; implicit-def: $vgpr56_vgpr57
                                        ; implicit-def: $vgpr58_vgpr59
                                        ; implicit-def: $vgpr60_vgpr61
	s_branch .LBB1119_310
.LBB1119_309:                           ;   in Loop: Header=BB1119_310 Depth=2
	s_or_b64 exec, exec, s[16:17]
	s_addk_i32 s24, 0xf000
	s_cmp_ge_u32 s25, s96
	s_mov_b32 s18, s25
	s_cbranch_scc1 .LBB1119_380
.LBB1119_310:                           ;   Parent Loop BB1119_12 Depth=1
                                        ; =>  This Inner Loop Header: Depth=2
	s_add_i32 s25, s18, 0x1000
	s_cmp_gt_u32 s25, s96
	s_cbranch_scc1 .LBB1119_313
; %bb.311:                              ;   in Loop: Header=BB1119_310 Depth=2
	s_mov_b32 s19, s90
	s_lshl_b64 s[16:17], s[18:19], 3
	v_mov_b32_e32 v5, s17
	v_add_co_u32_e32 v64, vcc, s16, v105
	v_addc_co_u32_e32 v65, vcc, v106, v5, vcc
	s_waitcnt vmcnt(11)
	v_add_co_u32_e32 v72, vcc, 0x1000, v64
	v_addc_co_u32_e32 v73, vcc, 0, v65, vcc
	s_waitcnt vmcnt(5)
	;; [unrolled: 3-line block ×3, first 2 shown]
	v_add_co_u32_e32 v82, vcc, s98, v64
	v_addc_co_u32_e32 v83, vcc, 0, v65, vcc
	v_add_co_u32_e32 v86, vcc, s99, v64
	v_addc_co_u32_e32 v87, vcc, 0, v65, vcc
	;; [unrolled: 2-line block ×4, first 2 shown]
	global_load_dwordx2 v[66:67], v[64:65], off
	global_load_dwordx2 v[68:69], v[64:65], off offset:2048
	global_load_dwordx2 v[70:71], v[72:73], off
	s_nop 0
	global_load_dwordx2 v[72:73], v[72:73], off offset:2048
	s_nop 0
	global_load_dwordx2 v[74:75], v[82:83], off
	global_load_dwordx2 v[76:77], v[82:83], off offset:2048
	global_load_dwordx2 v[80:81], v[88:89], off offset:-4096
	global_load_dwordx2 v[84:85], v[88:89], off
	s_nop 0
	global_load_dwordx2 v[88:89], v[88:89], off offset:2048
	s_nop 0
	global_load_dwordx2 v[78:79], v[78:79], off offset:2048
	;; [unrolled: 2-line block ×3, first 2 shown]
	s_nop 0
	global_load_dwordx2 v[90:91], v[92:93], off
	s_nop 0
	global_load_dwordx2 v[92:93], v[92:93], off offset:2048
	s_waitcnt vmcnt(13)
	v_add_co_u32_e32 v94, vcc, 0x7000, v64
	v_addc_co_u32_e32 v95, vcc, 0, v65, vcc
	global_load_dwordx2 v[82:83], v[82:83], off offset:-4096
	s_nop 0
	global_load_dwordx2 v[94:95], v[94:95], off
	v_add_co_u32_e32 v64, vcc, 0x7800, v64
	s_movk_i32 s26, 0x1000
	v_addc_co_u32_e32 v65, vcc, 0, v65, vcc
	s_mov_b64 s[16:17], -1
	s_cbranch_execz .LBB1119_314
; %bb.312:                              ;   in Loop: Header=BB1119_310 Depth=2
                                        ; implicit-def: $vgpr60_vgpr61
                                        ; implicit-def: $vgpr58_vgpr59
                                        ; implicit-def: $vgpr56_vgpr57
                                        ; implicit-def: $vgpr54_vgpr55
                                        ; implicit-def: $vgpr52_vgpr53
                                        ; implicit-def: $vgpr50_vgpr51
                                        ; implicit-def: $vgpr48_vgpr49
                                        ; implicit-def: $vgpr46_vgpr47
                                        ; implicit-def: $vgpr44_vgpr45
                                        ; implicit-def: $vgpr42_vgpr43
                                        ; implicit-def: $vgpr40_vgpr41
                                        ; implicit-def: $vgpr38_vgpr39
                                        ; implicit-def: $vgpr36_vgpr37
                                        ; implicit-def: $vgpr34_vgpr35
                                        ; implicit-def: $vgpr0_vgpr1
                                        ; implicit-def: $vgpr62_vgpr63
	v_mov_b32_e32 v5, s24
	s_and_saveexec_b64 s[18:19], s[16:17]
	s_cbranch_execnz .LBB1119_333
	s_branch .LBB1119_334
.LBB1119_313:                           ;   in Loop: Header=BB1119_310 Depth=2
	s_mov_b64 s[16:17], 0
                                        ; implicit-def: $sgpr26
                                        ; implicit-def: $vgpr66_vgpr67
                                        ; implicit-def: $vgpr68_vgpr69
                                        ; implicit-def: $vgpr70_vgpr71
                                        ; implicit-def: $vgpr72_vgpr73
                                        ; implicit-def: $vgpr82_vgpr83
                                        ; implicit-def: $vgpr78_vgpr79
                                        ; implicit-def: $vgpr74_vgpr75
                                        ; implicit-def: $vgpr76_vgpr77
                                        ; implicit-def: $vgpr80_vgpr81
                                        ; implicit-def: $vgpr86_vgpr87
                                        ; implicit-def: $vgpr84_vgpr85
                                        ; implicit-def: $vgpr88_vgpr89
                                        ; implicit-def: $vgpr90_vgpr91
                                        ; implicit-def: $vgpr92_vgpr93
                                        ; implicit-def: $vgpr94_vgpr95
                                        ; implicit-def: $vgpr64_vgpr65
.LBB1119_314:                           ;   in Loop: Header=BB1119_310 Depth=2
	s_mov_b32 s19, s90
	s_lshl_b64 s[20:21], s[18:19], 3
	s_add_u32 s20, s74, s20
	s_addc_u32 s21, s75, s21
	v_cmp_gt_u32_e32 vcc, s24, v2
	s_and_saveexec_b64 s[22:23], vcc
	s_cbranch_execz .LBB1119_366
; %bb.315:                              ;   in Loop: Header=BB1119_310 Depth=2
	global_load_dwordx2 v[60:61], v118, s[20:21]
	s_or_b64 exec, exec, s[22:23]
	v_cmp_gt_u32_e32 vcc, s24, v7
	s_and_saveexec_b64 s[22:23], vcc
	s_cbranch_execnz .LBB1119_367
.LBB1119_316:                           ;   in Loop: Header=BB1119_310 Depth=2
	s_or_b64 exec, exec, s[22:23]
	v_cmp_gt_u32_e32 vcc, s24, v6
	s_and_saveexec_b64 s[22:23], vcc
	s_cbranch_execz .LBB1119_368
.LBB1119_317:                           ;   in Loop: Header=BB1119_310 Depth=2
	global_load_dwordx2 v[56:57], v119, s[20:21]
	s_or_b64 exec, exec, s[22:23]
	v_cmp_gt_u32_e32 vcc, s24, v8
	s_and_saveexec_b64 s[22:23], vcc
	s_cbranch_execnz .LBB1119_369
.LBB1119_318:                           ;   in Loop: Header=BB1119_310 Depth=2
	s_or_b64 exec, exec, s[22:23]
	v_cmp_gt_u32_e32 vcc, s24, v10
	s_and_saveexec_b64 s[22:23], vcc
	s_cbranch_execz .LBB1119_370
.LBB1119_319:                           ;   in Loop: Header=BB1119_310 Depth=2
	global_load_dwordx2 v[52:53], v121, s[20:21]
	s_or_b64 exec, exec, s[22:23]
	v_cmp_gt_u32_e32 vcc, s24, v12
	s_and_saveexec_b64 s[22:23], vcc
	s_cbranch_execnz .LBB1119_371
.LBB1119_320:                           ;   in Loop: Header=BB1119_310 Depth=2
	s_or_b64 exec, exec, s[22:23]
	v_cmp_gt_u32_e32 vcc, s24, v14
	s_and_saveexec_b64 s[22:23], vcc
	s_cbranch_execz .LBB1119_372
.LBB1119_321:                           ;   in Loop: Header=BB1119_310 Depth=2
	global_load_dwordx2 v[48:49], v123, s[20:21]
	s_or_b64 exec, exec, s[22:23]
	v_cmp_gt_u32_e32 vcc, s24, v16
	s_and_saveexec_b64 s[22:23], vcc
	s_cbranch_execnz .LBB1119_373
.LBB1119_322:                           ;   in Loop: Header=BB1119_310 Depth=2
	s_or_b64 exec, exec, s[22:23]
	v_cmp_gt_u32_e32 vcc, s24, v18
	s_and_saveexec_b64 s[22:23], vcc
	s_cbranch_execz .LBB1119_374
.LBB1119_323:                           ;   in Loop: Header=BB1119_310 Depth=2
	global_load_dwordx2 v[44:45], v125, s[20:21]
	s_or_b64 exec, exec, s[22:23]
	v_cmp_gt_u32_e32 vcc, s24, v20
	s_and_saveexec_b64 s[22:23], vcc
	s_cbranch_execnz .LBB1119_375
.LBB1119_324:                           ;   in Loop: Header=BB1119_310 Depth=2
	s_or_b64 exec, exec, s[22:23]
	v_cmp_gt_u32_e32 vcc, s24, v22
	s_and_saveexec_b64 s[22:23], vcc
	s_cbranch_execz .LBB1119_376
.LBB1119_325:                           ;   in Loop: Header=BB1119_310 Depth=2
	global_load_dwordx2 v[40:41], v127, s[20:21]
	s_or_b64 exec, exec, s[22:23]
	v_cmp_gt_u32_e32 vcc, s24, v24
	s_and_saveexec_b64 s[22:23], vcc
	s_cbranch_execnz .LBB1119_377
.LBB1119_326:                           ;   in Loop: Header=BB1119_310 Depth=2
	s_or_b64 exec, exec, s[22:23]
	v_cmp_gt_u32_e32 vcc, s24, v26
	s_and_saveexec_b64 s[22:23], vcc
	s_cbranch_execz .LBB1119_378
.LBB1119_327:                           ;   in Loop: Header=BB1119_310 Depth=2
	global_load_dwordx2 v[36:37], v129, s[20:21]
	s_or_b64 exec, exec, s[22:23]
	v_cmp_gt_u32_e32 vcc, s24, v28
	s_and_saveexec_b64 s[22:23], vcc
	s_cbranch_execnz .LBB1119_379
.LBB1119_328:                           ;   in Loop: Header=BB1119_310 Depth=2
	s_or_b64 exec, exec, s[22:23]
	v_cmp_gt_u32_e32 vcc, s24, v30
	s_and_saveexec_b64 s[22:23], vcc
	s_cbranch_execz .LBB1119_330
.LBB1119_329:                           ;   in Loop: Header=BB1119_310 Depth=2
	global_load_dwordx2 v[0:1], v131, s[20:21]
.LBB1119_330:                           ;   in Loop: Header=BB1119_310 Depth=2
	s_or_b64 exec, exec, s[22:23]
	v_cmp_gt_u32_e32 vcc, s24, v32
                                        ; implicit-def: $sgpr26
                                        ; implicit-def: $vgpr64_vgpr65
	s_and_saveexec_b64 s[22:23], vcc
; %bb.331:                              ;   in Loop: Header=BB1119_310 Depth=2
	v_mov_b32_e32 v5, s21
	v_add_co_u32_e32 v64, vcc, s20, v132
	s_sub_i32 s26, s96, s18
	v_addc_co_u32_e32 v65, vcc, 0, v5, vcc
	s_or_b64 s[16:17], s[16:17], exec
                                        ; implicit-def: $vgpr62_vgpr63
; %bb.332:                              ;   in Loop: Header=BB1119_310 Depth=2
	s_or_b64 exec, exec, s[22:23]
	s_waitcnt vmcnt(0)
	v_pk_mov_b32 v[66:67], v[60:61], v[60:61] op_sel:[0,1]
	v_pk_mov_b32 v[68:69], v[58:59], v[58:59] op_sel:[0,1]
	;; [unrolled: 1-line block ×15, first 2 shown]
	v_mov_b32_e32 v5, s24
	s_and_saveexec_b64 s[18:19], s[16:17]
	s_cbranch_execz .LBB1119_334
.LBB1119_333:                           ;   in Loop: Header=BB1119_310 Depth=2
	global_load_dwordx2 v[62:63], v[64:65], off
	v_mov_b32_e32 v5, s26
	s_waitcnt vmcnt(1)
	v_pk_mov_b32 v[0:1], v[94:95], v[94:95] op_sel:[0,1]
	v_pk_mov_b32 v[34:35], v[92:93], v[92:93] op_sel:[0,1]
	;; [unrolled: 1-line block ×15, first 2 shown]
.LBB1119_334:                           ;   in Loop: Header=BB1119_310 Depth=2
	s_or_b64 exec, exec, s[18:19]
	v_cmp_lt_u32_e32 vcc, v2, v5
	s_and_saveexec_b64 s[16:17], vcc
	s_cbranch_execz .LBB1119_350
; %bb.335:                              ;   in Loop: Header=BB1119_310 Depth=2
	v_cmp_gt_i64_e32 vcc, 0, v[60:61]
	v_ashrrev_i32_e32 v65, 31, v61
	v_cndmask_b32_e64 v64, v133, 0, vcc
	s_waitcnt vmcnt(14)
	v_not_b32_e32 v66, v65
	v_xor_b32_e32 v65, v64, v61
	v_xor_b32_e32 v64, v66, v60
	v_cmp_ne_u64_e32 vcc, s[90:91], v[64:65]
	v_cndmask_b32_e32 v65, v133, v65, vcc
	v_cndmask_b32_e32 v64, -1, v64, vcc
	v_lshrrev_b64 v[64:65], s69, v[64:65]
	v_and_b32_e32 v64, s95, v64
	v_lshl_or_b32 v64, v64, 4, v134
	ds_add_u32 v64, v117
	s_or_b64 exec, exec, s[16:17]
	v_cmp_lt_u32_e32 vcc, v7, v5
	s_and_saveexec_b64 s[16:17], vcc
	s_cbranch_execnz .LBB1119_351
.LBB1119_336:                           ;   in Loop: Header=BB1119_310 Depth=2
	s_or_b64 exec, exec, s[16:17]
	v_cmp_lt_u32_e32 vcc, v6, v5
	s_and_saveexec_b64 s[16:17], vcc
	s_cbranch_execz .LBB1119_352
.LBB1119_337:                           ;   in Loop: Header=BB1119_310 Depth=2
	v_cmp_gt_i64_e32 vcc, 0, v[56:57]
	v_ashrrev_i32_e32 v65, 31, v57
	v_cndmask_b32_e64 v64, v133, 0, vcc
	s_waitcnt vmcnt(14)
	v_not_b32_e32 v66, v65
	v_xor_b32_e32 v65, v64, v57
	v_xor_b32_e32 v64, v66, v56
	v_cmp_ne_u64_e32 vcc, s[90:91], v[64:65]
	v_cndmask_b32_e32 v65, v133, v65, vcc
	v_cndmask_b32_e32 v64, -1, v64, vcc
	v_lshrrev_b64 v[64:65], s69, v[64:65]
	v_and_b32_e32 v64, s95, v64
	v_lshl_or_b32 v64, v64, 4, v134
	ds_add_u32 v64, v117
	s_or_b64 exec, exec, s[16:17]
	v_cmp_lt_u32_e32 vcc, v8, v5
	s_and_saveexec_b64 s[16:17], vcc
	s_cbranch_execnz .LBB1119_353
.LBB1119_338:                           ;   in Loop: Header=BB1119_310 Depth=2
	s_or_b64 exec, exec, s[16:17]
	v_cmp_lt_u32_e32 vcc, v10, v5
	s_and_saveexec_b64 s[16:17], vcc
	s_cbranch_execz .LBB1119_354
.LBB1119_339:                           ;   in Loop: Header=BB1119_310 Depth=2
	v_cmp_gt_i64_e32 vcc, 0, v[52:53]
	v_ashrrev_i32_e32 v65, 31, v53
	v_cndmask_b32_e64 v64, v133, 0, vcc
	s_waitcnt vmcnt(14)
	v_not_b32_e32 v66, v65
	v_xor_b32_e32 v65, v64, v53
	v_xor_b32_e32 v64, v66, v52
	v_cmp_ne_u64_e32 vcc, s[90:91], v[64:65]
	v_cndmask_b32_e32 v65, v133, v65, vcc
	v_cndmask_b32_e32 v64, -1, v64, vcc
	v_lshrrev_b64 v[64:65], s69, v[64:65]
	v_and_b32_e32 v64, s95, v64
	v_lshl_or_b32 v64, v64, 4, v134
	ds_add_u32 v64, v117
	s_or_b64 exec, exec, s[16:17]
	v_cmp_lt_u32_e32 vcc, v12, v5
	s_and_saveexec_b64 s[16:17], vcc
	s_cbranch_execnz .LBB1119_355
.LBB1119_340:                           ;   in Loop: Header=BB1119_310 Depth=2
	s_or_b64 exec, exec, s[16:17]
	v_cmp_lt_u32_e32 vcc, v14, v5
	s_and_saveexec_b64 s[16:17], vcc
	s_cbranch_execz .LBB1119_356
.LBB1119_341:                           ;   in Loop: Header=BB1119_310 Depth=2
	v_cmp_gt_i64_e32 vcc, 0, v[48:49]
	v_ashrrev_i32_e32 v65, 31, v49
	v_cndmask_b32_e64 v64, v133, 0, vcc
	s_waitcnt vmcnt(14)
	v_not_b32_e32 v66, v65
	v_xor_b32_e32 v65, v64, v49
	v_xor_b32_e32 v64, v66, v48
	v_cmp_ne_u64_e32 vcc, s[90:91], v[64:65]
	v_cndmask_b32_e32 v65, v133, v65, vcc
	v_cndmask_b32_e32 v64, -1, v64, vcc
	v_lshrrev_b64 v[64:65], s69, v[64:65]
	v_and_b32_e32 v64, s95, v64
	v_lshl_or_b32 v64, v64, 4, v134
	ds_add_u32 v64, v117
	s_or_b64 exec, exec, s[16:17]
	v_cmp_lt_u32_e32 vcc, v16, v5
	s_and_saveexec_b64 s[16:17], vcc
	s_cbranch_execnz .LBB1119_357
.LBB1119_342:                           ;   in Loop: Header=BB1119_310 Depth=2
	s_or_b64 exec, exec, s[16:17]
	v_cmp_lt_u32_e32 vcc, v18, v5
	s_and_saveexec_b64 s[16:17], vcc
	s_cbranch_execz .LBB1119_358
.LBB1119_343:                           ;   in Loop: Header=BB1119_310 Depth=2
	v_cmp_gt_i64_e32 vcc, 0, v[44:45]
	v_ashrrev_i32_e32 v65, 31, v45
	v_cndmask_b32_e64 v64, v133, 0, vcc
	s_waitcnt vmcnt(14)
	v_not_b32_e32 v66, v65
	v_xor_b32_e32 v65, v64, v45
	v_xor_b32_e32 v64, v66, v44
	v_cmp_ne_u64_e32 vcc, s[90:91], v[64:65]
	v_cndmask_b32_e32 v65, v133, v65, vcc
	v_cndmask_b32_e32 v64, -1, v64, vcc
	v_lshrrev_b64 v[64:65], s69, v[64:65]
	v_and_b32_e32 v64, s95, v64
	v_lshl_or_b32 v64, v64, 4, v134
	ds_add_u32 v64, v117
	s_or_b64 exec, exec, s[16:17]
	v_cmp_lt_u32_e32 vcc, v20, v5
	s_and_saveexec_b64 s[16:17], vcc
	s_cbranch_execnz .LBB1119_359
.LBB1119_344:                           ;   in Loop: Header=BB1119_310 Depth=2
	s_or_b64 exec, exec, s[16:17]
	v_cmp_lt_u32_e32 vcc, v22, v5
	s_and_saveexec_b64 s[16:17], vcc
	s_cbranch_execz .LBB1119_360
.LBB1119_345:                           ;   in Loop: Header=BB1119_310 Depth=2
	v_cmp_gt_i64_e32 vcc, 0, v[40:41]
	v_ashrrev_i32_e32 v65, 31, v41
	v_cndmask_b32_e64 v64, v133, 0, vcc
	s_waitcnt vmcnt(14)
	v_not_b32_e32 v66, v65
	v_xor_b32_e32 v65, v64, v41
	v_xor_b32_e32 v64, v66, v40
	v_cmp_ne_u64_e32 vcc, s[90:91], v[64:65]
	v_cndmask_b32_e32 v65, v133, v65, vcc
	v_cndmask_b32_e32 v64, -1, v64, vcc
	v_lshrrev_b64 v[64:65], s69, v[64:65]
	v_and_b32_e32 v64, s95, v64
	v_lshl_or_b32 v64, v64, 4, v134
	ds_add_u32 v64, v117
	s_or_b64 exec, exec, s[16:17]
	v_cmp_lt_u32_e32 vcc, v24, v5
	s_and_saveexec_b64 s[16:17], vcc
	s_cbranch_execnz .LBB1119_361
.LBB1119_346:                           ;   in Loop: Header=BB1119_310 Depth=2
	s_or_b64 exec, exec, s[16:17]
	v_cmp_lt_u32_e32 vcc, v26, v5
	s_and_saveexec_b64 s[16:17], vcc
	s_cbranch_execz .LBB1119_362
.LBB1119_347:                           ;   in Loop: Header=BB1119_310 Depth=2
	v_cmp_gt_i64_e32 vcc, 0, v[36:37]
	v_ashrrev_i32_e32 v65, 31, v37
	v_cndmask_b32_e64 v64, v133, 0, vcc
	s_waitcnt vmcnt(14)
	v_not_b32_e32 v66, v65
	v_xor_b32_e32 v65, v64, v37
	v_xor_b32_e32 v64, v66, v36
	v_cmp_ne_u64_e32 vcc, s[90:91], v[64:65]
	v_cndmask_b32_e32 v65, v133, v65, vcc
	v_cndmask_b32_e32 v64, -1, v64, vcc
	v_lshrrev_b64 v[64:65], s69, v[64:65]
	v_and_b32_e32 v64, s95, v64
	v_lshl_or_b32 v64, v64, 4, v134
	ds_add_u32 v64, v117
	s_or_b64 exec, exec, s[16:17]
	v_cmp_lt_u32_e32 vcc, v28, v5
	s_and_saveexec_b64 s[16:17], vcc
	s_cbranch_execnz .LBB1119_363
.LBB1119_348:                           ;   in Loop: Header=BB1119_310 Depth=2
	s_or_b64 exec, exec, s[16:17]
	v_cmp_lt_u32_e32 vcc, v30, v5
	s_and_saveexec_b64 s[16:17], vcc
	s_cbranch_execz .LBB1119_364
.LBB1119_349:                           ;   in Loop: Header=BB1119_310 Depth=2
	v_cmp_gt_i64_e32 vcc, 0, v[0:1]
	v_ashrrev_i32_e32 v65, 31, v1
	v_cndmask_b32_e64 v64, v133, 0, vcc
	s_waitcnt vmcnt(14)
	v_not_b32_e32 v66, v65
	v_xor_b32_e32 v65, v64, v1
	v_xor_b32_e32 v64, v66, v0
	v_cmp_ne_u64_e32 vcc, s[90:91], v[64:65]
	v_cndmask_b32_e32 v65, v133, v65, vcc
	v_cndmask_b32_e32 v64, -1, v64, vcc
	v_lshrrev_b64 v[64:65], s69, v[64:65]
	v_and_b32_e32 v64, s95, v64
	v_lshl_or_b32 v64, v64, 4, v134
	ds_add_u32 v64, v117
	s_or_b64 exec, exec, s[16:17]
	v_cmp_lt_u32_e32 vcc, v32, v5
	s_and_saveexec_b64 s[16:17], vcc
	s_cbranch_execz .LBB1119_309
	s_branch .LBB1119_365
.LBB1119_350:                           ;   in Loop: Header=BB1119_310 Depth=2
	s_or_b64 exec, exec, s[16:17]
	v_cmp_lt_u32_e32 vcc, v7, v5
	s_and_saveexec_b64 s[16:17], vcc
	s_cbranch_execz .LBB1119_336
.LBB1119_351:                           ;   in Loop: Header=BB1119_310 Depth=2
	v_cmp_gt_i64_e32 vcc, 0, v[58:59]
	v_ashrrev_i32_e32 v65, 31, v59
	v_cndmask_b32_e64 v64, v133, 0, vcc
	s_waitcnt vmcnt(14)
	v_not_b32_e32 v66, v65
	v_xor_b32_e32 v65, v64, v59
	v_xor_b32_e32 v64, v66, v58
	v_cmp_ne_u64_e32 vcc, s[90:91], v[64:65]
	v_cndmask_b32_e32 v65, v133, v65, vcc
	v_cndmask_b32_e32 v64, -1, v64, vcc
	v_lshrrev_b64 v[64:65], s69, v[64:65]
	v_and_b32_e32 v64, s95, v64
	v_lshl_or_b32 v64, v64, 4, v134
	ds_add_u32 v64, v117
	s_or_b64 exec, exec, s[16:17]
	v_cmp_lt_u32_e32 vcc, v6, v5
	s_and_saveexec_b64 s[16:17], vcc
	s_cbranch_execnz .LBB1119_337
.LBB1119_352:                           ;   in Loop: Header=BB1119_310 Depth=2
	s_or_b64 exec, exec, s[16:17]
	v_cmp_lt_u32_e32 vcc, v8, v5
	s_and_saveexec_b64 s[16:17], vcc
	s_cbranch_execz .LBB1119_338
.LBB1119_353:                           ;   in Loop: Header=BB1119_310 Depth=2
	v_cmp_gt_i64_e32 vcc, 0, v[54:55]
	v_ashrrev_i32_e32 v65, 31, v55
	v_cndmask_b32_e64 v64, v133, 0, vcc
	s_waitcnt vmcnt(14)
	v_not_b32_e32 v66, v65
	v_xor_b32_e32 v65, v64, v55
	v_xor_b32_e32 v64, v66, v54
	v_cmp_ne_u64_e32 vcc, s[90:91], v[64:65]
	v_cndmask_b32_e32 v65, v133, v65, vcc
	v_cndmask_b32_e32 v64, -1, v64, vcc
	v_lshrrev_b64 v[64:65], s69, v[64:65]
	v_and_b32_e32 v64, s95, v64
	v_lshl_or_b32 v64, v64, 4, v134
	ds_add_u32 v64, v117
	s_or_b64 exec, exec, s[16:17]
	v_cmp_lt_u32_e32 vcc, v10, v5
	s_and_saveexec_b64 s[16:17], vcc
	s_cbranch_execnz .LBB1119_339
.LBB1119_354:                           ;   in Loop: Header=BB1119_310 Depth=2
	s_or_b64 exec, exec, s[16:17]
	v_cmp_lt_u32_e32 vcc, v12, v5
	s_and_saveexec_b64 s[16:17], vcc
	s_cbranch_execz .LBB1119_340
.LBB1119_355:                           ;   in Loop: Header=BB1119_310 Depth=2
	v_cmp_gt_i64_e32 vcc, 0, v[50:51]
	v_ashrrev_i32_e32 v65, 31, v51
	v_cndmask_b32_e64 v64, v133, 0, vcc
	s_waitcnt vmcnt(14)
	v_not_b32_e32 v66, v65
	v_xor_b32_e32 v65, v64, v51
	v_xor_b32_e32 v64, v66, v50
	v_cmp_ne_u64_e32 vcc, s[90:91], v[64:65]
	v_cndmask_b32_e32 v65, v133, v65, vcc
	v_cndmask_b32_e32 v64, -1, v64, vcc
	v_lshrrev_b64 v[64:65], s69, v[64:65]
	v_and_b32_e32 v64, s95, v64
	v_lshl_or_b32 v64, v64, 4, v134
	ds_add_u32 v64, v117
	s_or_b64 exec, exec, s[16:17]
	v_cmp_lt_u32_e32 vcc, v14, v5
	s_and_saveexec_b64 s[16:17], vcc
	s_cbranch_execnz .LBB1119_341
.LBB1119_356:                           ;   in Loop: Header=BB1119_310 Depth=2
	s_or_b64 exec, exec, s[16:17]
	v_cmp_lt_u32_e32 vcc, v16, v5
	s_and_saveexec_b64 s[16:17], vcc
	s_cbranch_execz .LBB1119_342
.LBB1119_357:                           ;   in Loop: Header=BB1119_310 Depth=2
	v_cmp_gt_i64_e32 vcc, 0, v[46:47]
	v_ashrrev_i32_e32 v65, 31, v47
	v_cndmask_b32_e64 v64, v133, 0, vcc
	s_waitcnt vmcnt(14)
	v_not_b32_e32 v66, v65
	v_xor_b32_e32 v65, v64, v47
	v_xor_b32_e32 v64, v66, v46
	v_cmp_ne_u64_e32 vcc, s[90:91], v[64:65]
	v_cndmask_b32_e32 v65, v133, v65, vcc
	v_cndmask_b32_e32 v64, -1, v64, vcc
	v_lshrrev_b64 v[64:65], s69, v[64:65]
	v_and_b32_e32 v64, s95, v64
	v_lshl_or_b32 v64, v64, 4, v134
	ds_add_u32 v64, v117
	s_or_b64 exec, exec, s[16:17]
	v_cmp_lt_u32_e32 vcc, v18, v5
	s_and_saveexec_b64 s[16:17], vcc
	s_cbranch_execnz .LBB1119_343
.LBB1119_358:                           ;   in Loop: Header=BB1119_310 Depth=2
	s_or_b64 exec, exec, s[16:17]
	v_cmp_lt_u32_e32 vcc, v20, v5
	s_and_saveexec_b64 s[16:17], vcc
	s_cbranch_execz .LBB1119_344
.LBB1119_359:                           ;   in Loop: Header=BB1119_310 Depth=2
	v_cmp_gt_i64_e32 vcc, 0, v[42:43]
	v_ashrrev_i32_e32 v65, 31, v43
	v_cndmask_b32_e64 v64, v133, 0, vcc
	s_waitcnt vmcnt(14)
	v_not_b32_e32 v66, v65
	v_xor_b32_e32 v65, v64, v43
	v_xor_b32_e32 v64, v66, v42
	v_cmp_ne_u64_e32 vcc, s[90:91], v[64:65]
	v_cndmask_b32_e32 v65, v133, v65, vcc
	v_cndmask_b32_e32 v64, -1, v64, vcc
	v_lshrrev_b64 v[64:65], s69, v[64:65]
	v_and_b32_e32 v64, s95, v64
	v_lshl_or_b32 v64, v64, 4, v134
	ds_add_u32 v64, v117
	s_or_b64 exec, exec, s[16:17]
	v_cmp_lt_u32_e32 vcc, v22, v5
	s_and_saveexec_b64 s[16:17], vcc
	s_cbranch_execnz .LBB1119_345
.LBB1119_360:                           ;   in Loop: Header=BB1119_310 Depth=2
	s_or_b64 exec, exec, s[16:17]
	v_cmp_lt_u32_e32 vcc, v24, v5
	s_and_saveexec_b64 s[16:17], vcc
	s_cbranch_execz .LBB1119_346
.LBB1119_361:                           ;   in Loop: Header=BB1119_310 Depth=2
	v_cmp_gt_i64_e32 vcc, 0, v[38:39]
	v_ashrrev_i32_e32 v65, 31, v39
	v_cndmask_b32_e64 v64, v133, 0, vcc
	s_waitcnt vmcnt(14)
	v_not_b32_e32 v66, v65
	v_xor_b32_e32 v65, v64, v39
	v_xor_b32_e32 v64, v66, v38
	v_cmp_ne_u64_e32 vcc, s[90:91], v[64:65]
	v_cndmask_b32_e32 v65, v133, v65, vcc
	v_cndmask_b32_e32 v64, -1, v64, vcc
	v_lshrrev_b64 v[64:65], s69, v[64:65]
	v_and_b32_e32 v64, s95, v64
	v_lshl_or_b32 v64, v64, 4, v134
	ds_add_u32 v64, v117
	s_or_b64 exec, exec, s[16:17]
	v_cmp_lt_u32_e32 vcc, v26, v5
	s_and_saveexec_b64 s[16:17], vcc
	s_cbranch_execnz .LBB1119_347
.LBB1119_362:                           ;   in Loop: Header=BB1119_310 Depth=2
	s_or_b64 exec, exec, s[16:17]
	v_cmp_lt_u32_e32 vcc, v28, v5
	s_and_saveexec_b64 s[16:17], vcc
	s_cbranch_execz .LBB1119_348
.LBB1119_363:                           ;   in Loop: Header=BB1119_310 Depth=2
	v_cmp_gt_i64_e32 vcc, 0, v[34:35]
	v_ashrrev_i32_e32 v65, 31, v35
	v_cndmask_b32_e64 v64, v133, 0, vcc
	s_waitcnt vmcnt(14)
	v_not_b32_e32 v66, v65
	v_xor_b32_e32 v65, v64, v35
	v_xor_b32_e32 v64, v66, v34
	v_cmp_ne_u64_e32 vcc, s[90:91], v[64:65]
	v_cndmask_b32_e32 v65, v133, v65, vcc
	v_cndmask_b32_e32 v64, -1, v64, vcc
	v_lshrrev_b64 v[64:65], s69, v[64:65]
	v_and_b32_e32 v64, s95, v64
	v_lshl_or_b32 v64, v64, 4, v134
	ds_add_u32 v64, v117
	s_or_b64 exec, exec, s[16:17]
	v_cmp_lt_u32_e32 vcc, v30, v5
	s_and_saveexec_b64 s[16:17], vcc
	s_cbranch_execnz .LBB1119_349
.LBB1119_364:                           ;   in Loop: Header=BB1119_310 Depth=2
	s_or_b64 exec, exec, s[16:17]
	v_cmp_lt_u32_e32 vcc, v32, v5
	s_and_saveexec_b64 s[16:17], vcc
	s_cbranch_execz .LBB1119_309
.LBB1119_365:                           ;   in Loop: Header=BB1119_310 Depth=2
	s_waitcnt vmcnt(0)
	v_cmp_gt_i64_e32 vcc, 0, v[62:63]
	v_ashrrev_i32_e32 v64, 31, v63
	v_cndmask_b32_e64 v5, v133, 0, vcc
	v_not_b32_e32 v64, v64
	v_xor_b32_e32 v65, v5, v63
	v_xor_b32_e32 v64, v64, v62
	v_cmp_ne_u64_e32 vcc, s[90:91], v[64:65]
	v_cndmask_b32_e32 v65, v133, v65, vcc
	v_cndmask_b32_e32 v64, -1, v64, vcc
	v_lshrrev_b64 v[64:65], s69, v[64:65]
	v_and_b32_e32 v5, s95, v64
	v_lshl_or_b32 v5, v5, 4, v134
	ds_add_u32 v5, v117
	s_branch .LBB1119_309
.LBB1119_366:                           ;   in Loop: Header=BB1119_310 Depth=2
	s_or_b64 exec, exec, s[22:23]
	v_cmp_gt_u32_e32 vcc, s24, v7
	s_and_saveexec_b64 s[22:23], vcc
	s_cbranch_execz .LBB1119_316
.LBB1119_367:                           ;   in Loop: Header=BB1119_310 Depth=2
	global_load_dwordx2 v[58:59], v118, s[20:21] offset:2048
	s_or_b64 exec, exec, s[22:23]
	v_cmp_gt_u32_e32 vcc, s24, v6
	s_and_saveexec_b64 s[22:23], vcc
	s_cbranch_execnz .LBB1119_317
.LBB1119_368:                           ;   in Loop: Header=BB1119_310 Depth=2
	s_or_b64 exec, exec, s[22:23]
	v_cmp_gt_u32_e32 vcc, s24, v8
	s_and_saveexec_b64 s[22:23], vcc
	s_cbranch_execz .LBB1119_318
.LBB1119_369:                           ;   in Loop: Header=BB1119_310 Depth=2
	global_load_dwordx2 v[54:55], v120, s[20:21]
	s_or_b64 exec, exec, s[22:23]
	v_cmp_gt_u32_e32 vcc, s24, v10
	s_and_saveexec_b64 s[22:23], vcc
	s_cbranch_execnz .LBB1119_319
.LBB1119_370:                           ;   in Loop: Header=BB1119_310 Depth=2
	s_or_b64 exec, exec, s[22:23]
	v_cmp_gt_u32_e32 vcc, s24, v12
	s_and_saveexec_b64 s[22:23], vcc
	s_cbranch_execz .LBB1119_320
.LBB1119_371:                           ;   in Loop: Header=BB1119_310 Depth=2
	global_load_dwordx2 v[50:51], v122, s[20:21]
	s_or_b64 exec, exec, s[22:23]
	v_cmp_gt_u32_e32 vcc, s24, v14
	s_and_saveexec_b64 s[22:23], vcc
	s_cbranch_execnz .LBB1119_321
.LBB1119_372:                           ;   in Loop: Header=BB1119_310 Depth=2
	s_or_b64 exec, exec, s[22:23]
	v_cmp_gt_u32_e32 vcc, s24, v16
	s_and_saveexec_b64 s[22:23], vcc
	s_cbranch_execz .LBB1119_322
.LBB1119_373:                           ;   in Loop: Header=BB1119_310 Depth=2
	global_load_dwordx2 v[46:47], v124, s[20:21]
	s_or_b64 exec, exec, s[22:23]
	v_cmp_gt_u32_e32 vcc, s24, v18
	s_and_saveexec_b64 s[22:23], vcc
	s_cbranch_execnz .LBB1119_323
.LBB1119_374:                           ;   in Loop: Header=BB1119_310 Depth=2
	s_or_b64 exec, exec, s[22:23]
	v_cmp_gt_u32_e32 vcc, s24, v20
	s_and_saveexec_b64 s[22:23], vcc
	s_cbranch_execz .LBB1119_324
.LBB1119_375:                           ;   in Loop: Header=BB1119_310 Depth=2
	global_load_dwordx2 v[42:43], v126, s[20:21]
	s_or_b64 exec, exec, s[22:23]
	v_cmp_gt_u32_e32 vcc, s24, v22
	s_and_saveexec_b64 s[22:23], vcc
	s_cbranch_execnz .LBB1119_325
.LBB1119_376:                           ;   in Loop: Header=BB1119_310 Depth=2
	s_or_b64 exec, exec, s[22:23]
	v_cmp_gt_u32_e32 vcc, s24, v24
	s_and_saveexec_b64 s[22:23], vcc
	s_cbranch_execz .LBB1119_326
.LBB1119_377:                           ;   in Loop: Header=BB1119_310 Depth=2
	global_load_dwordx2 v[38:39], v128, s[20:21]
	s_or_b64 exec, exec, s[22:23]
	v_cmp_gt_u32_e32 vcc, s24, v26
	s_and_saveexec_b64 s[22:23], vcc
	s_cbranch_execnz .LBB1119_327
.LBB1119_378:                           ;   in Loop: Header=BB1119_310 Depth=2
	s_or_b64 exec, exec, s[22:23]
	v_cmp_gt_u32_e32 vcc, s24, v28
	s_and_saveexec_b64 s[22:23], vcc
	s_cbranch_execz .LBB1119_328
.LBB1119_379:                           ;   in Loop: Header=BB1119_310 Depth=2
	global_load_dwordx2 v[34:35], v130, s[20:21]
	s_or_b64 exec, exec, s[22:23]
	v_cmp_gt_u32_e32 vcc, s24, v30
	s_and_saveexec_b64 s[22:23], vcc
	s_cbranch_execz .LBB1119_330
	s_branch .LBB1119_329
.LBB1119_380:                           ;   in Loop: Header=BB1119_12 Depth=1
	v_mov_b32_e32 v0, 0
	s_waitcnt lgkmcnt(0)
	s_barrier
	s_and_saveexec_b64 s[16:17], s[4:5]
	s_cbranch_execz .LBB1119_382
; %bb.381:                              ;   in Loop: Header=BB1119_12 Depth=1
	ds_read2_b64 v[34:37], v13 offset1:1
	s_waitcnt lgkmcnt(0)
	v_add_u32_e32 v0, v35, v34
	v_add3_u32 v0, v0, v36, v37
.LBB1119_382:                           ;   in Loop: Header=BB1119_12 Depth=1
	s_or_b64 exec, exec, s[16:17]
	s_nop 0
	v_mov_b32_dpp v1, v0 row_shr:1 row_mask:0xf bank_mask:0xf
	v_cmp_eq_u32_e64 s[16:17], 0, v136
	v_cndmask_b32_e64 v1, v1, 0, s[16:17]
	v_add_u32_e32 v0, v1, v0
	v_cmp_lt_u32_e64 s[18:19], 1, v136
	v_cmp_lt_u32_e64 s[20:21], 3, v136
	v_mov_b32_dpp v1, v0 row_shr:2 row_mask:0xf bank_mask:0xf
	v_cndmask_b32_e64 v1, 0, v1, s[18:19]
	v_add_u32_e32 v0, v0, v1
	v_cmp_lt_u32_e64 s[22:23], 7, v136
	v_cmp_lt_u32_e64 s[26:27], 31, v135
	v_mov_b32_dpp v1, v0 row_shr:4 row_mask:0xf bank_mask:0xf
	v_cndmask_b32_e64 v1, 0, v1, s[20:21]
	v_add_u32_e32 v0, v0, v1
	v_cmp_eq_u32_e64 s[24:25], 0, v138
	s_nop 0
	v_mov_b32_dpp v1, v0 row_shr:8 row_mask:0xf bank_mask:0xf
	v_cndmask_b32_e64 v1, 0, v1, s[22:23]
	v_add_u32_e32 v0, v0, v1
	s_nop 1
	v_mov_b32_dpp v1, v0 row_bcast:15 row_mask:0xf bank_mask:0xf
	v_and_b32_e32 v1, v137, v1
	v_add_u32_e32 v0, v0, v1
	s_nop 1
	v_mov_b32_dpp v1, v0 row_bcast:31 row_mask:0xf bank_mask:0xf
	v_cndmask_b32_e64 v1, 0, v1, s[26:27]
	v_add_u32_e32 v0, v0, v1
	s_and_saveexec_b64 s[28:29], s[6:7]
	s_cbranch_execz .LBB1119_384
; %bb.383:                              ;   in Loop: Header=BB1119_12 Depth=1
	ds_write_b32 v17, v0
.LBB1119_384:                           ;   in Loop: Header=BB1119_12 Depth=1
	s_or_b64 exec, exec, s[28:29]
	s_waitcnt lgkmcnt(0)
	s_barrier
	s_and_saveexec_b64 s[28:29], s[8:9]
	s_cbranch_execz .LBB1119_386
; %bb.385:                              ;   in Loop: Header=BB1119_12 Depth=1
	ds_read_b32 v1, v19
	v_cmp_ne_u32_e32 vcc, 0, v139
	s_waitcnt lgkmcnt(0)
	v_mov_b32_dpp v5, v1 row_shr:1 row_mask:0xf bank_mask:0xf
	v_cndmask_b32_e32 v5, 0, v5, vcc
	v_add_u32_e32 v1, v5, v1
	v_cmp_lt_u32_e32 vcc, 1, v139
	s_nop 0
	v_mov_b32_dpp v5, v1 row_shr:2 row_mask:0xf bank_mask:0xf
	v_cndmask_b32_e32 v5, 0, v5, vcc
	v_add_u32_e32 v1, v1, v5
	ds_write_b32 v19, v1
.LBB1119_386:                           ;   in Loop: Header=BB1119_12 Depth=1
	s_or_b64 exec, exec, s[28:29]
	v_mov_b32_e32 v1, 0
	s_waitcnt lgkmcnt(0)
	s_barrier
	s_and_saveexec_b64 s[28:29], s[10:11]
	s_cbranch_execz .LBB1119_388
; %bb.387:                              ;   in Loop: Header=BB1119_12 Depth=1
	ds_read_b32 v1, v21
.LBB1119_388:                           ;   in Loop: Header=BB1119_12 Depth=1
	s_or_b64 exec, exec, s[28:29]
	v_cmp_lt_i32_e32 vcc, v140, v141
	v_cndmask_b32_e32 v5, v140, v135, vcc
	s_waitcnt lgkmcnt(0)
	v_add_u32_e32 v0, v1, v0
	v_lshlrev_b32_e32 v159, 2, v5
	ds_bpermute_b32 v0, v159, v0
	v_cmp_eq_u32_e64 s[28:29], 0, v135
	s_waitcnt lgkmcnt(0)
	s_barrier
	s_and_saveexec_b64 s[30:31], s[4:5]
	s_cbranch_execz .LBB1119_390
; %bb.389:                              ;   in Loop: Header=BB1119_12 Depth=1
	v_cndmask_b32_e64 v0, v0, v1, s[28:29]
	v_readlane_b32 s34, v236, 3
	v_add_u32_e32 v0, s34, v0
	ds_write_b32 v3, v0
.LBB1119_390:                           ;   in Loop: Header=BB1119_12 Depth=1
	s_or_b64 exec, exec, s[30:31]
	s_load_dwordx2 s[30:31], s[92:93], 0x0
	v_readlane_b32 s34, v236, 1
	v_add_co_u32_e32 v160, vcc, v107, v142
	v_addc_co_u32_e32 v161, vcc, 0, v108, vcc
	s_waitcnt lgkmcnt(0)
	s_cmp_lt_u32 s34, s30
	v_readlane_b32 s30, v236, 0
	s_cselect_b32 s34, 12, 18
	s_cmp_lt_u32 s30, s31
	s_cselect_b32 s30, 14, 20
	s_add_u32 s30, s92, s30
	s_addc_u32 s31, s93, 0
	s_add_u32 s34, s92, s34
	global_load_ushort v5, v4, s[30:31]
	s_addc_u32 s35, s93, 0
	global_load_ushort v64, v4, s[34:35]
	v_add_co_u32_e32 v162, vcc, v109, v142
	v_addc_co_u32_e32 v163, vcc, 0, v110, vcc
	v_add_co_u32_e32 v170, vcc, 0x1e00, v162
	v_cmp_eq_u32_e64 s[30:31], 0, v139
	v_cmp_lt_u32_e64 s[34:35], 1, v139
	v_readlane_b32 s85, v236, 2
	v_addc_co_u32_e32 v173, vcc, 0, v163, vcc
                                        ; implicit-def: $vgpr0_vgpr1
                                        ; implicit-def: $vgpr34_vgpr35
                                        ; implicit-def: $vgpr36_vgpr37
                                        ; implicit-def: $vgpr40_vgpr41
                                        ; implicit-def: $vgpr44_vgpr45
                                        ; implicit-def: $vgpr48_vgpr49
                                        ; implicit-def: $vgpr52_vgpr53
                                        ; implicit-def: $vgpr56_vgpr57
                                        ; implicit-def: $vgpr38_vgpr39
                                        ; implicit-def: $vgpr42_vgpr43
                                        ; implicit-def: $vgpr46_vgpr47
                                        ; implicit-def: $vgpr50_vgpr51
                                        ; implicit-def: $vgpr54_vgpr55
                                        ; implicit-def: $vgpr58_vgpr59
                                        ; implicit-def: $vgpr60_vgpr61
                                        ; implicit-def: $vgpr62_vgpr63
                                        ; implicit-def: $vgpr164
                                        ; implicit-def: $vgpr165
                                        ; implicit-def: $vgpr166
                                        ; implicit-def: $vgpr167
                                        ; implicit-def: $vgpr168
                                        ; implicit-def: $vgpr169
                                        ; implicit-def: $vgpr171
                                        ; implicit-def: $vgpr172
                                        ; implicit-def: $vgpr174
                                        ; implicit-def: $vgpr175
                                        ; implicit-def: $vgpr176
                                        ; implicit-def: $vgpr178
                                        ; implicit-def: $vgpr179
                                        ; implicit-def: $vgpr180
                                        ; implicit-def: $vgpr181
                                        ; implicit-def: $vgpr182
	s_waitcnt vmcnt(1)
	v_mad_u32_u24 v5, v23, v5, v25
	s_waitcnt vmcnt(0)
	v_mad_u64_u32 v[64:65], s[36:37], v5, v64, v[2:3]
	v_readlane_b32 s36, v236, 3
	v_lshrrev_b32_e32 v177, 6, v64
	s_mov_b32 s70, s36
	s_branch .LBB1119_392
.LBB1119_391:                           ;   in Loop: Header=BB1119_392 Depth=2
	s_or_b64 exec, exec, s[36:37]
	s_addk_i32 s85, 0xf000
	s_cmp_lt_u32 s86, s96
	s_mov_b32 s70, s86
	s_cbranch_scc0 .LBB1119_600
.LBB1119_392:                           ;   Parent Loop BB1119_12 Depth=1
                                        ; =>  This Inner Loop Header: Depth=2
	s_add_i32 s86, s70, 0x1000
	s_cmp_gt_u32 s86, s96
	s_cbranch_scc1 .LBB1119_395
; %bb.393:                              ;   in Loop: Header=BB1119_392 Depth=2
	s_mov_b32 s71, s90
	s_lshl_b64 s[36:37], s[70:71], 3
	v_mov_b32_e32 v5, s37
	v_add_co_u32_e32 v68, vcc, s36, v162
	v_addc_co_u32_e32 v69, vcc, v163, v5, vcc
	global_load_dwordx2 v[64:65], v[68:69], off
	global_load_dwordx2 v[66:67], v[68:69], off offset:512
	global_load_dwordx2 v[74:75], v[68:69], off offset:1024
	;; [unrolled: 1-line block ×7, first 2 shown]
	v_add_co_u32_e32 v68, vcc, 0x1000, v68
	v_addc_co_u32_e32 v69, vcc, 0, v69, vcc
	global_load_dwordx2 v[92:93], v[68:69], off
	global_load_dwordx2 v[88:89], v[68:69], off offset:512
	global_load_dwordx2 v[84:85], v[68:69], off offset:1024
	;; [unrolled: 1-line block ×5, first 2 shown]
	s_nop 0
	global_load_dwordx2 v[68:69], v[68:69], off offset:3072
	s_movk_i32 s40, 0x1000
	s_mov_b64 s[36:37], -1
	s_cbranch_execz .LBB1119_396
; %bb.394:                              ;   in Loop: Header=BB1119_392 Depth=2
                                        ; implicit-def: $sgpr38_sgpr39
	v_pk_mov_b32 v[70:71], s[38:39], s[38:39] op_sel:[0,1]
	v_mov_b32_e32 v183, s85
	s_and_saveexec_b64 s[38:39], s[36:37]
	s_cbranch_execnz .LBB1119_427
	s_branch .LBB1119_428
.LBB1119_395:                           ;   in Loop: Header=BB1119_392 Depth=2
	s_mov_b64 s[36:37], 0
                                        ; implicit-def: $sgpr40
                                        ; implicit-def: $vgpr64_vgpr65
                                        ; implicit-def: $vgpr66_vgpr67
                                        ; implicit-def: $vgpr74_vgpr75
                                        ; implicit-def: $vgpr78_vgpr79
                                        ; implicit-def: $vgpr82_vgpr83
                                        ; implicit-def: $vgpr86_vgpr87
                                        ; implicit-def: $vgpr90_vgpr91
                                        ; implicit-def: $vgpr94_vgpr95
                                        ; implicit-def: $vgpr92_vgpr93
                                        ; implicit-def: $vgpr88_vgpr89
                                        ; implicit-def: $vgpr84_vgpr85
                                        ; implicit-def: $vgpr80_vgpr81
                                        ; implicit-def: $vgpr76_vgpr77
                                        ; implicit-def: $vgpr72_vgpr73
                                        ; implicit-def: $vgpr68_vgpr69
.LBB1119_396:                           ;   in Loop: Header=BB1119_392 Depth=2
	s_mov_b32 s71, s90
	s_lshl_b64 s[36:37], s[70:71], 3
	v_mov_b32_e32 v5, s37
	v_add_co_u32_e32 v70, vcc, s36, v162
	v_addc_co_u32_e32 v71, vcc, v163, v5, vcc
	s_waitcnt vmcnt(13)
	v_pk_mov_b32 v[66:67], -1, -1
	v_cmp_gt_u32_e32 vcc, s85, v143
	v_pk_mov_b32 v[64:65], v[66:67], v[66:67] op_sel:[0,1]
	s_and_saveexec_b64 s[36:37], vcc
	s_cbranch_execz .LBB1119_398
; %bb.397:                              ;   in Loop: Header=BB1119_392 Depth=2
	global_load_dwordx2 v[64:65], v[70:71], off
.LBB1119_398:                           ;   in Loop: Header=BB1119_392 Depth=2
	s_or_b64 exec, exec, s[36:37]
	v_cmp_gt_u32_e32 vcc, s85, v144
	s_and_saveexec_b64 s[36:37], vcc
	s_cbranch_execz .LBB1119_400
; %bb.399:                              ;   in Loop: Header=BB1119_392 Depth=2
	global_load_dwordx2 v[66:67], v[70:71], off offset:512
.LBB1119_400:                           ;   in Loop: Header=BB1119_392 Depth=2
	s_or_b64 exec, exec, s[36:37]
	s_waitcnt vmcnt(11)
	v_pk_mov_b32 v[78:79], -1, -1
	v_cmp_gt_u32_e32 vcc, s85, v145
	v_pk_mov_b32 v[74:75], v[78:79], v[78:79] op_sel:[0,1]
	s_and_saveexec_b64 s[36:37], vcc
	s_cbranch_execz .LBB1119_402
; %bb.401:                              ;   in Loop: Header=BB1119_392 Depth=2
	global_load_dwordx2 v[74:75], v[70:71], off offset:1024
.LBB1119_402:                           ;   in Loop: Header=BB1119_392 Depth=2
	s_or_b64 exec, exec, s[36:37]
	v_cmp_gt_u32_e32 vcc, s85, v146
	s_and_saveexec_b64 s[36:37], vcc
	s_cbranch_execz .LBB1119_404
; %bb.403:                              ;   in Loop: Header=BB1119_392 Depth=2
	global_load_dwordx2 v[78:79], v[70:71], off offset:1536
.LBB1119_404:                           ;   in Loop: Header=BB1119_392 Depth=2
	s_or_b64 exec, exec, s[36:37]
	s_waitcnt vmcnt(9)
	v_pk_mov_b32 v[86:87], -1, -1
	v_cmp_gt_u32_e32 vcc, s85, v147
	v_pk_mov_b32 v[82:83], v[86:87], v[86:87] op_sel:[0,1]
	s_and_saveexec_b64 s[36:37], vcc
	s_cbranch_execz .LBB1119_406
; %bb.405:                              ;   in Loop: Header=BB1119_392 Depth=2
	global_load_dwordx2 v[82:83], v[70:71], off offset:2048
.LBB1119_406:                           ;   in Loop: Header=BB1119_392 Depth=2
	;; [unrolled: 17-line block ×3, first 2 shown]
	s_or_b64 exec, exec, s[36:37]
	v_cmp_gt_u32_e32 vcc, s85, v150
	s_and_saveexec_b64 s[36:37], vcc
	s_cbranch_execz .LBB1119_412
; %bb.411:                              ;   in Loop: Header=BB1119_392 Depth=2
	global_load_dwordx2 v[94:95], v[70:71], off offset:3584
.LBB1119_412:                           ;   in Loop: Header=BB1119_392 Depth=2
	s_or_b64 exec, exec, s[36:37]
	s_waitcnt vmcnt(5)
	v_pk_mov_b32 v[88:89], -1, -1
	v_cmp_gt_u32_e32 vcc, s85, v151
	v_pk_mov_b32 v[92:93], v[88:89], v[88:89] op_sel:[0,1]
	s_and_saveexec_b64 s[36:37], vcc
	s_cbranch_execz .LBB1119_414
; %bb.413:                              ;   in Loop: Header=BB1119_392 Depth=2
	s_waitcnt vmcnt(0)
	v_add_co_u32_e32 v68, vcc, 0x1000, v70
	v_addc_co_u32_e32 v69, vcc, 0, v71, vcc
	global_load_dwordx2 v[92:93], v[68:69], off
.LBB1119_414:                           ;   in Loop: Header=BB1119_392 Depth=2
	s_or_b64 exec, exec, s[36:37]
	v_cmp_gt_u32_e32 vcc, s85, v152
	s_and_saveexec_b64 s[36:37], vcc
	s_cbranch_execz .LBB1119_416
; %bb.415:                              ;   in Loop: Header=BB1119_392 Depth=2
	s_waitcnt vmcnt(0)
	v_add_co_u32_e32 v68, vcc, 0x1000, v70
	v_addc_co_u32_e32 v69, vcc, 0, v71, vcc
	global_load_dwordx2 v[88:89], v[68:69], off offset:512
.LBB1119_416:                           ;   in Loop: Header=BB1119_392 Depth=2
	s_or_b64 exec, exec, s[36:37]
	s_waitcnt vmcnt(3)
	v_pk_mov_b32 v[80:81], -1, -1
	v_cmp_gt_u32_e32 vcc, s85, v153
	v_pk_mov_b32 v[84:85], v[80:81], v[80:81] op_sel:[0,1]
	s_and_saveexec_b64 s[36:37], vcc
	s_cbranch_execz .LBB1119_418
; %bb.417:                              ;   in Loop: Header=BB1119_392 Depth=2
	s_waitcnt vmcnt(0)
	v_add_co_u32_e32 v68, vcc, 0x1000, v70
	v_addc_co_u32_e32 v69, vcc, 0, v71, vcc
	global_load_dwordx2 v[84:85], v[68:69], off offset:1024
.LBB1119_418:                           ;   in Loop: Header=BB1119_392 Depth=2
	s_or_b64 exec, exec, s[36:37]
	v_cmp_gt_u32_e32 vcc, s85, v154
	s_and_saveexec_b64 s[36:37], vcc
	s_cbranch_execz .LBB1119_420
; %bb.419:                              ;   in Loop: Header=BB1119_392 Depth=2
	s_waitcnt vmcnt(0)
	v_add_co_u32_e32 v68, vcc, 0x1000, v70
	v_addc_co_u32_e32 v69, vcc, 0, v71, vcc
	global_load_dwordx2 v[80:81], v[68:69], off offset:1536
.LBB1119_420:                           ;   in Loop: Header=BB1119_392 Depth=2
	s_or_b64 exec, exec, s[36:37]
	s_waitcnt vmcnt(1)
	v_pk_mov_b32 v[72:73], -1, -1
	v_cmp_gt_u32_e32 vcc, s85, v155
	v_pk_mov_b32 v[76:77], v[72:73], v[72:73] op_sel:[0,1]
	s_and_saveexec_b64 s[36:37], vcc
	s_cbranch_execz .LBB1119_422
; %bb.421:                              ;   in Loop: Header=BB1119_392 Depth=2
	s_waitcnt vmcnt(0)
	v_add_co_u32_e32 v68, vcc, 0x1000, v70
	v_addc_co_u32_e32 v69, vcc, 0, v71, vcc
	global_load_dwordx2 v[76:77], v[68:69], off offset:2048
.LBB1119_422:                           ;   in Loop: Header=BB1119_392 Depth=2
	s_or_b64 exec, exec, s[36:37]
	v_cmp_gt_u32_e32 vcc, s85, v156
	s_and_saveexec_b64 s[36:37], vcc
	s_cbranch_execz .LBB1119_424
; %bb.423:                              ;   in Loop: Header=BB1119_392 Depth=2
	s_waitcnt vmcnt(0)
	v_add_co_u32_e32 v68, vcc, 0x1000, v70
	v_addc_co_u32_e32 v69, vcc, 0, v71, vcc
	global_load_dwordx2 v[72:73], v[68:69], off offset:2560
.LBB1119_424:                           ;   in Loop: Header=BB1119_392 Depth=2
	s_or_b64 exec, exec, s[36:37]
	v_cmp_gt_u32_e32 vcc, s85, v157
	s_waitcnt vmcnt(0)
	v_pk_mov_b32 v[68:69], -1, -1
	s_and_saveexec_b64 s[36:37], vcc
	s_cbranch_execz .LBB1119_426
; %bb.425:                              ;   in Loop: Header=BB1119_392 Depth=2
	v_add_co_u32_e32 v68, vcc, 0x1000, v70
	v_addc_co_u32_e32 v69, vcc, 0, v71, vcc
	global_load_dwordx2 v[68:69], v[68:69], off offset:3072
.LBB1119_426:                           ;   in Loop: Header=BB1119_392 Depth=2
	s_or_b64 exec, exec, s[36:37]
	s_sub_i32 s40, s96, s70
	v_cmp_gt_u32_e64 s[36:37], s85, v158
	s_mov_b64 s[38:39], -1
	v_pk_mov_b32 v[70:71], s[38:39], s[38:39] op_sel:[0,1]
	v_mov_b32_e32 v183, s85
	s_and_saveexec_b64 s[38:39], s[36:37]
	s_cbranch_execz .LBB1119_428
.LBB1119_427:                           ;   in Loop: Header=BB1119_392 Depth=2
	s_lshl_b64 s[36:37], s[70:71], 3
	v_mov_b32_e32 v5, s37
	v_add_co_u32_e32 v70, vcc, s36, v170
	v_addc_co_u32_e32 v71, vcc, v173, v5, vcc
	global_load_dwordx2 v[70:71], v[70:71], off
	v_mov_b32_e32 v183, s40
.LBB1119_428:                           ;   in Loop: Header=BB1119_392 Depth=2
	s_or_b64 exec, exec, s[38:39]
	s_waitcnt vmcnt(14)
	v_cmp_gt_i64_e32 vcc, 0, v[64:65]
	v_ashrrev_i32_e32 v96, 31, v65
	v_cndmask_b32_e64 v5, v133, 0, vcc
	v_not_b32_e32 v96, v96
	v_xor_b32_e32 v65, v5, v65
	v_xor_b32_e32 v64, v96, v64
	v_cmp_ne_u64_e32 vcc, s[90:91], v[64:65]
	v_cndmask_b32_e32 v97, v133, v65, vcc
	v_cndmask_b32_e32 v96, -1, v64, vcc
	v_lshrrev_b64 v[96:97], s69, v[96:97]
	v_add_u32_e32 v5, 0x410, v27
	v_and_b32_e32 v96, s95, v96
	ds_write2_b32 v5, v4, v4 offset1:1
	ds_write2_b32 v31, v4, v4 offset0:2 offset1:3
	ds_write_b32 v31, v4 offset:16
	v_mad_u32_u24 v5, v96, 5, v177
	v_lshl_add_u32 v184, v5, 2, v29
	v_and_b32_e32 v5, 1, v96
	v_add_co_u32_e32 v97, vcc, -1, v5
	v_addc_co_u32_e64 v98, s[36:37], 0, -1, vcc
	v_cmp_ne_u32_e32 vcc, 0, v5
	v_xor_b32_e32 v5, vcc_hi, v98
	v_and_b32_e32 v98, exec_hi, v5
	v_lshlrev_b32_e32 v5, 30, v96
	v_xor_b32_e32 v97, vcc_lo, v97
	v_cmp_gt_i64_e32 vcc, 0, v[4:5]
	v_not_b32_e32 v5, v5
	v_ashrrev_i32_e32 v5, 31, v5
	v_and_b32_e32 v97, exec_lo, v97
	v_xor_b32_e32 v99, vcc_hi, v5
	v_xor_b32_e32 v5, vcc_lo, v5
	v_and_b32_e32 v97, v97, v5
	v_lshlrev_b32_e32 v5, 29, v96
	v_cmp_gt_i64_e32 vcc, 0, v[4:5]
	v_not_b32_e32 v5, v5
	v_ashrrev_i32_e32 v5, 31, v5
	v_and_b32_e32 v98, v98, v99
	v_xor_b32_e32 v99, vcc_hi, v5
	v_xor_b32_e32 v5, vcc_lo, v5
	v_and_b32_e32 v97, v97, v5
	v_lshlrev_b32_e32 v5, 28, v96
	v_cmp_gt_i64_e32 vcc, 0, v[4:5]
	v_not_b32_e32 v5, v5
	v_ashrrev_i32_e32 v5, 31, v5
	v_and_b32_e32 v98, v98, v99
	;; [unrolled: 8-line block ×5, first 2 shown]
	v_xor_b32_e32 v99, vcc_hi, v5
	v_xor_b32_e32 v5, vcc_lo, v5
	v_and_b32_e32 v98, v98, v99
	v_and_b32_e32 v99, v97, v5
	v_lshlrev_b32_e32 v5, 24, v96
	v_cmp_gt_i64_e32 vcc, 0, v[4:5]
	v_not_b32_e32 v5, v5
	v_ashrrev_i32_e32 v5, 31, v5
	v_xor_b32_e32 v96, vcc_hi, v5
	v_xor_b32_e32 v5, vcc_lo, v5
	v_and_b32_e32 v97, v98, v96
	v_and_b32_e32 v96, v99, v5
	v_mbcnt_lo_u32_b32 v5, v96, 0
	v_mbcnt_hi_u32_b32 v185, v97, v5
	v_cmp_eq_u32_e32 vcc, 0, v185
	v_cmp_ne_u64_e64 s[36:37], 0, v[96:97]
	s_and_b64 s[38:39], s[36:37], vcc
	s_waitcnt lgkmcnt(0)
	s_barrier
	s_waitcnt lgkmcnt(0)
	; wave barrier
	s_and_saveexec_b64 s[36:37], s[38:39]
	s_cbranch_execz .LBB1119_430
; %bb.429:                              ;   in Loop: Header=BB1119_392 Depth=2
	v_bcnt_u32_b32 v5, v96, 0
	v_bcnt_u32_b32 v5, v97, v5
	ds_write_b32 v184, v5
.LBB1119_430:                           ;   in Loop: Header=BB1119_392 Depth=2
	s_or_b64 exec, exec, s[36:37]
	s_waitcnt vmcnt(13)
	v_cmp_gt_i64_e32 vcc, 0, v[66:67]
	v_ashrrev_i32_e32 v96, 31, v67
	v_cndmask_b32_e64 v5, v133, 0, vcc
	v_not_b32_e32 v96, v96
	v_xor_b32_e32 v67, v5, v67
	v_xor_b32_e32 v66, v96, v66
	v_cmp_ne_u64_e32 vcc, s[90:91], v[66:67]
	v_cndmask_b32_e32 v97, v133, v67, vcc
	v_cndmask_b32_e32 v96, -1, v66, vcc
	v_lshrrev_b64 v[96:97], s69, v[96:97]
	v_and_b32_e32 v96, s95, v96
	v_mul_u32_u24_e32 v5, 5, v96
	v_add_lshl_u32 v5, v5, v177, 2
	; wave barrier
	v_add_u32_e32 v187, 0x410, v5
	ds_read_b32 v186, v5 offset:1040
	v_and_b32_e32 v5, 1, v96
	v_add_co_u32_e32 v97, vcc, -1, v5
	v_addc_co_u32_e64 v98, s[36:37], 0, -1, vcc
	v_cmp_ne_u32_e32 vcc, 0, v5
	v_xor_b32_e32 v5, vcc_hi, v98
	v_and_b32_e32 v98, exec_hi, v5
	v_lshlrev_b32_e32 v5, 30, v96
	v_xor_b32_e32 v97, vcc_lo, v97
	v_cmp_gt_i64_e32 vcc, 0, v[4:5]
	v_not_b32_e32 v5, v5
	v_ashrrev_i32_e32 v5, 31, v5
	v_and_b32_e32 v97, exec_lo, v97
	v_xor_b32_e32 v99, vcc_hi, v5
	v_xor_b32_e32 v5, vcc_lo, v5
	v_and_b32_e32 v97, v97, v5
	v_lshlrev_b32_e32 v5, 29, v96
	v_cmp_gt_i64_e32 vcc, 0, v[4:5]
	v_not_b32_e32 v5, v5
	v_ashrrev_i32_e32 v5, 31, v5
	v_and_b32_e32 v98, v98, v99
	v_xor_b32_e32 v99, vcc_hi, v5
	v_xor_b32_e32 v5, vcc_lo, v5
	v_and_b32_e32 v97, v97, v5
	v_lshlrev_b32_e32 v5, 28, v96
	v_cmp_gt_i64_e32 vcc, 0, v[4:5]
	v_not_b32_e32 v5, v5
	v_ashrrev_i32_e32 v5, 31, v5
	v_and_b32_e32 v98, v98, v99
	;; [unrolled: 8-line block ×5, first 2 shown]
	v_xor_b32_e32 v99, vcc_hi, v5
	v_xor_b32_e32 v5, vcc_lo, v5
	v_and_b32_e32 v98, v98, v99
	v_and_b32_e32 v99, v97, v5
	v_lshlrev_b32_e32 v5, 24, v96
	v_cmp_gt_i64_e32 vcc, 0, v[4:5]
	v_not_b32_e32 v5, v5
	v_ashrrev_i32_e32 v5, 31, v5
	v_xor_b32_e32 v96, vcc_hi, v5
	v_xor_b32_e32 v5, vcc_lo, v5
	v_and_b32_e32 v97, v98, v96
	v_and_b32_e32 v96, v99, v5
	v_mbcnt_lo_u32_b32 v5, v96, 0
	v_mbcnt_hi_u32_b32 v188, v97, v5
	v_cmp_eq_u32_e32 vcc, 0, v188
	v_cmp_ne_u64_e64 s[36:37], 0, v[96:97]
	s_and_b64 s[38:39], s[36:37], vcc
	; wave barrier
	s_and_saveexec_b64 s[36:37], s[38:39]
	s_cbranch_execz .LBB1119_432
; %bb.431:                              ;   in Loop: Header=BB1119_392 Depth=2
	v_bcnt_u32_b32 v5, v96, 0
	v_bcnt_u32_b32 v5, v97, v5
	s_waitcnt lgkmcnt(0)
	v_add_u32_e32 v5, v186, v5
	ds_write_b32 v187, v5
.LBB1119_432:                           ;   in Loop: Header=BB1119_392 Depth=2
	s_or_b64 exec, exec, s[36:37]
	s_waitcnt vmcnt(12)
	v_cmp_gt_i64_e32 vcc, 0, v[74:75]
	v_ashrrev_i32_e32 v96, 31, v75
	v_cndmask_b32_e64 v5, v133, 0, vcc
	v_not_b32_e32 v96, v96
	v_xor_b32_e32 v75, v5, v75
	v_xor_b32_e32 v74, v96, v74
	v_cmp_ne_u64_e32 vcc, s[90:91], v[74:75]
	v_cndmask_b32_e32 v97, v133, v75, vcc
	v_cndmask_b32_e32 v96, -1, v74, vcc
	v_lshrrev_b64 v[96:97], s69, v[96:97]
	v_and_b32_e32 v96, s95, v96
	v_mul_u32_u24_e32 v5, 5, v96
	v_add_lshl_u32 v5, v5, v177, 2
	; wave barrier
	v_add_u32_e32 v190, 0x410, v5
	ds_read_b32 v189, v5 offset:1040
	v_and_b32_e32 v5, 1, v96
	v_add_co_u32_e32 v97, vcc, -1, v5
	v_addc_co_u32_e64 v98, s[36:37], 0, -1, vcc
	v_cmp_ne_u32_e32 vcc, 0, v5
	v_xor_b32_e32 v5, vcc_hi, v98
	v_and_b32_e32 v98, exec_hi, v5
	v_lshlrev_b32_e32 v5, 30, v96
	v_xor_b32_e32 v97, vcc_lo, v97
	v_cmp_gt_i64_e32 vcc, 0, v[4:5]
	v_not_b32_e32 v5, v5
	v_ashrrev_i32_e32 v5, 31, v5
	v_and_b32_e32 v97, exec_lo, v97
	v_xor_b32_e32 v99, vcc_hi, v5
	v_xor_b32_e32 v5, vcc_lo, v5
	v_and_b32_e32 v97, v97, v5
	v_lshlrev_b32_e32 v5, 29, v96
	v_cmp_gt_i64_e32 vcc, 0, v[4:5]
	v_not_b32_e32 v5, v5
	v_ashrrev_i32_e32 v5, 31, v5
	v_and_b32_e32 v98, v98, v99
	v_xor_b32_e32 v99, vcc_hi, v5
	v_xor_b32_e32 v5, vcc_lo, v5
	v_and_b32_e32 v97, v97, v5
	v_lshlrev_b32_e32 v5, 28, v96
	v_cmp_gt_i64_e32 vcc, 0, v[4:5]
	v_not_b32_e32 v5, v5
	v_ashrrev_i32_e32 v5, 31, v5
	v_and_b32_e32 v98, v98, v99
	;; [unrolled: 8-line block ×5, first 2 shown]
	v_xor_b32_e32 v99, vcc_hi, v5
	v_xor_b32_e32 v5, vcc_lo, v5
	v_and_b32_e32 v98, v98, v99
	v_and_b32_e32 v99, v97, v5
	v_lshlrev_b32_e32 v5, 24, v96
	v_cmp_gt_i64_e32 vcc, 0, v[4:5]
	v_not_b32_e32 v5, v5
	v_ashrrev_i32_e32 v5, 31, v5
	v_xor_b32_e32 v96, vcc_hi, v5
	v_xor_b32_e32 v5, vcc_lo, v5
	v_and_b32_e32 v97, v98, v96
	v_and_b32_e32 v96, v99, v5
	v_mbcnt_lo_u32_b32 v5, v96, 0
	v_mbcnt_hi_u32_b32 v191, v97, v5
	v_cmp_eq_u32_e32 vcc, 0, v191
	v_cmp_ne_u64_e64 s[36:37], 0, v[96:97]
	s_and_b64 s[38:39], s[36:37], vcc
	; wave barrier
	s_and_saveexec_b64 s[36:37], s[38:39]
	s_cbranch_execz .LBB1119_434
; %bb.433:                              ;   in Loop: Header=BB1119_392 Depth=2
	v_bcnt_u32_b32 v5, v96, 0
	v_bcnt_u32_b32 v5, v97, v5
	s_waitcnt lgkmcnt(0)
	v_add_u32_e32 v5, v189, v5
	ds_write_b32 v190, v5
.LBB1119_434:                           ;   in Loop: Header=BB1119_392 Depth=2
	s_or_b64 exec, exec, s[36:37]
	s_waitcnt vmcnt(11)
	v_cmp_gt_i64_e32 vcc, 0, v[78:79]
	v_ashrrev_i32_e32 v96, 31, v79
	v_cndmask_b32_e64 v5, v133, 0, vcc
	v_not_b32_e32 v96, v96
	v_xor_b32_e32 v79, v5, v79
	v_xor_b32_e32 v78, v96, v78
	v_cmp_ne_u64_e32 vcc, s[90:91], v[78:79]
	v_cndmask_b32_e32 v97, v133, v79, vcc
	v_cndmask_b32_e32 v96, -1, v78, vcc
	v_lshrrev_b64 v[96:97], s69, v[96:97]
	v_and_b32_e32 v96, s95, v96
	v_mul_u32_u24_e32 v5, 5, v96
	v_add_lshl_u32 v5, v5, v177, 2
	; wave barrier
	v_add_u32_e32 v193, 0x410, v5
	ds_read_b32 v192, v5 offset:1040
	v_and_b32_e32 v5, 1, v96
	v_add_co_u32_e32 v97, vcc, -1, v5
	v_addc_co_u32_e64 v98, s[36:37], 0, -1, vcc
	v_cmp_ne_u32_e32 vcc, 0, v5
	v_xor_b32_e32 v5, vcc_hi, v98
	v_and_b32_e32 v98, exec_hi, v5
	v_lshlrev_b32_e32 v5, 30, v96
	v_xor_b32_e32 v97, vcc_lo, v97
	v_cmp_gt_i64_e32 vcc, 0, v[4:5]
	v_not_b32_e32 v5, v5
	v_ashrrev_i32_e32 v5, 31, v5
	v_and_b32_e32 v97, exec_lo, v97
	v_xor_b32_e32 v99, vcc_hi, v5
	v_xor_b32_e32 v5, vcc_lo, v5
	v_and_b32_e32 v97, v97, v5
	v_lshlrev_b32_e32 v5, 29, v96
	v_cmp_gt_i64_e32 vcc, 0, v[4:5]
	v_not_b32_e32 v5, v5
	v_ashrrev_i32_e32 v5, 31, v5
	v_and_b32_e32 v98, v98, v99
	v_xor_b32_e32 v99, vcc_hi, v5
	v_xor_b32_e32 v5, vcc_lo, v5
	v_and_b32_e32 v97, v97, v5
	v_lshlrev_b32_e32 v5, 28, v96
	v_cmp_gt_i64_e32 vcc, 0, v[4:5]
	v_not_b32_e32 v5, v5
	v_ashrrev_i32_e32 v5, 31, v5
	v_and_b32_e32 v98, v98, v99
	;; [unrolled: 8-line block ×5, first 2 shown]
	v_xor_b32_e32 v99, vcc_hi, v5
	v_xor_b32_e32 v5, vcc_lo, v5
	v_and_b32_e32 v98, v98, v99
	v_and_b32_e32 v99, v97, v5
	v_lshlrev_b32_e32 v5, 24, v96
	v_cmp_gt_i64_e32 vcc, 0, v[4:5]
	v_not_b32_e32 v5, v5
	v_ashrrev_i32_e32 v5, 31, v5
	v_xor_b32_e32 v96, vcc_hi, v5
	v_xor_b32_e32 v5, vcc_lo, v5
	v_and_b32_e32 v97, v98, v96
	v_and_b32_e32 v96, v99, v5
	v_mbcnt_lo_u32_b32 v5, v96, 0
	v_mbcnt_hi_u32_b32 v194, v97, v5
	v_cmp_eq_u32_e32 vcc, 0, v194
	v_cmp_ne_u64_e64 s[36:37], 0, v[96:97]
	s_and_b64 s[38:39], s[36:37], vcc
	; wave barrier
	s_and_saveexec_b64 s[36:37], s[38:39]
	s_cbranch_execz .LBB1119_436
; %bb.435:                              ;   in Loop: Header=BB1119_392 Depth=2
	v_bcnt_u32_b32 v5, v96, 0
	v_bcnt_u32_b32 v5, v97, v5
	s_waitcnt lgkmcnt(0)
	v_add_u32_e32 v5, v192, v5
	ds_write_b32 v193, v5
.LBB1119_436:                           ;   in Loop: Header=BB1119_392 Depth=2
	s_or_b64 exec, exec, s[36:37]
	s_waitcnt vmcnt(10)
	v_cmp_gt_i64_e32 vcc, 0, v[82:83]
	v_ashrrev_i32_e32 v96, 31, v83
	v_cndmask_b32_e64 v5, v133, 0, vcc
	v_not_b32_e32 v96, v96
	v_xor_b32_e32 v83, v5, v83
	v_xor_b32_e32 v82, v96, v82
	v_cmp_ne_u64_e32 vcc, s[90:91], v[82:83]
	v_cndmask_b32_e32 v97, v133, v83, vcc
	v_cndmask_b32_e32 v96, -1, v82, vcc
	v_lshrrev_b64 v[96:97], s69, v[96:97]
	v_and_b32_e32 v96, s95, v96
	v_mul_u32_u24_e32 v5, 5, v96
	v_add_lshl_u32 v5, v5, v177, 2
	; wave barrier
	v_add_u32_e32 v196, 0x410, v5
	ds_read_b32 v195, v5 offset:1040
	v_and_b32_e32 v5, 1, v96
	v_add_co_u32_e32 v97, vcc, -1, v5
	v_addc_co_u32_e64 v98, s[36:37], 0, -1, vcc
	v_cmp_ne_u32_e32 vcc, 0, v5
	v_xor_b32_e32 v5, vcc_hi, v98
	v_and_b32_e32 v98, exec_hi, v5
	v_lshlrev_b32_e32 v5, 30, v96
	v_xor_b32_e32 v97, vcc_lo, v97
	v_cmp_gt_i64_e32 vcc, 0, v[4:5]
	v_not_b32_e32 v5, v5
	v_ashrrev_i32_e32 v5, 31, v5
	v_and_b32_e32 v97, exec_lo, v97
	v_xor_b32_e32 v99, vcc_hi, v5
	v_xor_b32_e32 v5, vcc_lo, v5
	v_and_b32_e32 v97, v97, v5
	v_lshlrev_b32_e32 v5, 29, v96
	v_cmp_gt_i64_e32 vcc, 0, v[4:5]
	v_not_b32_e32 v5, v5
	v_ashrrev_i32_e32 v5, 31, v5
	v_and_b32_e32 v98, v98, v99
	v_xor_b32_e32 v99, vcc_hi, v5
	v_xor_b32_e32 v5, vcc_lo, v5
	v_and_b32_e32 v97, v97, v5
	v_lshlrev_b32_e32 v5, 28, v96
	v_cmp_gt_i64_e32 vcc, 0, v[4:5]
	v_not_b32_e32 v5, v5
	v_ashrrev_i32_e32 v5, 31, v5
	v_and_b32_e32 v98, v98, v99
	;; [unrolled: 8-line block ×5, first 2 shown]
	v_xor_b32_e32 v99, vcc_hi, v5
	v_xor_b32_e32 v5, vcc_lo, v5
	v_and_b32_e32 v98, v98, v99
	v_and_b32_e32 v99, v97, v5
	v_lshlrev_b32_e32 v5, 24, v96
	v_cmp_gt_i64_e32 vcc, 0, v[4:5]
	v_not_b32_e32 v5, v5
	v_ashrrev_i32_e32 v5, 31, v5
	v_xor_b32_e32 v96, vcc_hi, v5
	v_xor_b32_e32 v5, vcc_lo, v5
	v_and_b32_e32 v97, v98, v96
	v_and_b32_e32 v96, v99, v5
	v_mbcnt_lo_u32_b32 v5, v96, 0
	v_mbcnt_hi_u32_b32 v197, v97, v5
	v_cmp_eq_u32_e32 vcc, 0, v197
	v_cmp_ne_u64_e64 s[36:37], 0, v[96:97]
	s_and_b64 s[38:39], s[36:37], vcc
	; wave barrier
	s_and_saveexec_b64 s[36:37], s[38:39]
	s_cbranch_execz .LBB1119_438
; %bb.437:                              ;   in Loop: Header=BB1119_392 Depth=2
	v_bcnt_u32_b32 v5, v96, 0
	v_bcnt_u32_b32 v5, v97, v5
	s_waitcnt lgkmcnt(0)
	v_add_u32_e32 v5, v195, v5
	ds_write_b32 v196, v5
.LBB1119_438:                           ;   in Loop: Header=BB1119_392 Depth=2
	s_or_b64 exec, exec, s[36:37]
	s_waitcnt vmcnt(9)
	v_cmp_gt_i64_e32 vcc, 0, v[86:87]
	v_ashrrev_i32_e32 v96, 31, v87
	v_cndmask_b32_e64 v5, v133, 0, vcc
	v_not_b32_e32 v96, v96
	v_xor_b32_e32 v87, v5, v87
	v_xor_b32_e32 v86, v96, v86
	v_cmp_ne_u64_e32 vcc, s[90:91], v[86:87]
	v_cndmask_b32_e32 v97, v133, v87, vcc
	v_cndmask_b32_e32 v96, -1, v86, vcc
	v_lshrrev_b64 v[96:97], s69, v[96:97]
	v_and_b32_e32 v96, s95, v96
	v_mul_u32_u24_e32 v5, 5, v96
	v_add_lshl_u32 v5, v5, v177, 2
	; wave barrier
	v_add_u32_e32 v199, 0x410, v5
	ds_read_b32 v198, v5 offset:1040
	v_and_b32_e32 v5, 1, v96
	v_add_co_u32_e32 v97, vcc, -1, v5
	v_addc_co_u32_e64 v98, s[36:37], 0, -1, vcc
	v_cmp_ne_u32_e32 vcc, 0, v5
	v_xor_b32_e32 v5, vcc_hi, v98
	v_and_b32_e32 v98, exec_hi, v5
	v_lshlrev_b32_e32 v5, 30, v96
	v_xor_b32_e32 v97, vcc_lo, v97
	v_cmp_gt_i64_e32 vcc, 0, v[4:5]
	v_not_b32_e32 v5, v5
	v_ashrrev_i32_e32 v5, 31, v5
	v_and_b32_e32 v97, exec_lo, v97
	v_xor_b32_e32 v99, vcc_hi, v5
	v_xor_b32_e32 v5, vcc_lo, v5
	v_and_b32_e32 v97, v97, v5
	v_lshlrev_b32_e32 v5, 29, v96
	v_cmp_gt_i64_e32 vcc, 0, v[4:5]
	v_not_b32_e32 v5, v5
	v_ashrrev_i32_e32 v5, 31, v5
	v_and_b32_e32 v98, v98, v99
	v_xor_b32_e32 v99, vcc_hi, v5
	v_xor_b32_e32 v5, vcc_lo, v5
	v_and_b32_e32 v97, v97, v5
	v_lshlrev_b32_e32 v5, 28, v96
	v_cmp_gt_i64_e32 vcc, 0, v[4:5]
	v_not_b32_e32 v5, v5
	v_ashrrev_i32_e32 v5, 31, v5
	v_and_b32_e32 v98, v98, v99
	;; [unrolled: 8-line block ×5, first 2 shown]
	v_xor_b32_e32 v99, vcc_hi, v5
	v_xor_b32_e32 v5, vcc_lo, v5
	v_and_b32_e32 v98, v98, v99
	v_and_b32_e32 v99, v97, v5
	v_lshlrev_b32_e32 v5, 24, v96
	v_cmp_gt_i64_e32 vcc, 0, v[4:5]
	v_not_b32_e32 v5, v5
	v_ashrrev_i32_e32 v5, 31, v5
	v_xor_b32_e32 v96, vcc_hi, v5
	v_xor_b32_e32 v5, vcc_lo, v5
	v_and_b32_e32 v97, v98, v96
	v_and_b32_e32 v96, v99, v5
	v_mbcnt_lo_u32_b32 v5, v96, 0
	v_mbcnt_hi_u32_b32 v200, v97, v5
	v_cmp_eq_u32_e32 vcc, 0, v200
	v_cmp_ne_u64_e64 s[36:37], 0, v[96:97]
	s_and_b64 s[38:39], s[36:37], vcc
	; wave barrier
	s_and_saveexec_b64 s[36:37], s[38:39]
	s_cbranch_execz .LBB1119_440
; %bb.439:                              ;   in Loop: Header=BB1119_392 Depth=2
	v_bcnt_u32_b32 v5, v96, 0
	v_bcnt_u32_b32 v5, v97, v5
	s_waitcnt lgkmcnt(0)
	v_add_u32_e32 v5, v198, v5
	ds_write_b32 v199, v5
.LBB1119_440:                           ;   in Loop: Header=BB1119_392 Depth=2
	s_or_b64 exec, exec, s[36:37]
	s_waitcnt vmcnt(8)
	v_cmp_gt_i64_e32 vcc, 0, v[90:91]
	v_ashrrev_i32_e32 v96, 31, v91
	v_cndmask_b32_e64 v5, v133, 0, vcc
	v_not_b32_e32 v96, v96
	v_xor_b32_e32 v91, v5, v91
	v_xor_b32_e32 v90, v96, v90
	v_cmp_ne_u64_e32 vcc, s[90:91], v[90:91]
	v_cndmask_b32_e32 v97, v133, v91, vcc
	v_cndmask_b32_e32 v96, -1, v90, vcc
	v_lshrrev_b64 v[96:97], s69, v[96:97]
	v_and_b32_e32 v96, s95, v96
	v_mul_u32_u24_e32 v5, 5, v96
	v_add_lshl_u32 v5, v5, v177, 2
	; wave barrier
	v_add_u32_e32 v202, 0x410, v5
	ds_read_b32 v201, v5 offset:1040
	v_and_b32_e32 v5, 1, v96
	v_add_co_u32_e32 v97, vcc, -1, v5
	v_addc_co_u32_e64 v98, s[36:37], 0, -1, vcc
	v_cmp_ne_u32_e32 vcc, 0, v5
	v_xor_b32_e32 v5, vcc_hi, v98
	v_and_b32_e32 v98, exec_hi, v5
	v_lshlrev_b32_e32 v5, 30, v96
	v_xor_b32_e32 v97, vcc_lo, v97
	v_cmp_gt_i64_e32 vcc, 0, v[4:5]
	v_not_b32_e32 v5, v5
	v_ashrrev_i32_e32 v5, 31, v5
	v_and_b32_e32 v97, exec_lo, v97
	v_xor_b32_e32 v99, vcc_hi, v5
	v_xor_b32_e32 v5, vcc_lo, v5
	v_and_b32_e32 v97, v97, v5
	v_lshlrev_b32_e32 v5, 29, v96
	v_cmp_gt_i64_e32 vcc, 0, v[4:5]
	v_not_b32_e32 v5, v5
	v_ashrrev_i32_e32 v5, 31, v5
	v_and_b32_e32 v98, v98, v99
	v_xor_b32_e32 v99, vcc_hi, v5
	v_xor_b32_e32 v5, vcc_lo, v5
	v_and_b32_e32 v97, v97, v5
	v_lshlrev_b32_e32 v5, 28, v96
	v_cmp_gt_i64_e32 vcc, 0, v[4:5]
	v_not_b32_e32 v5, v5
	v_ashrrev_i32_e32 v5, 31, v5
	v_and_b32_e32 v98, v98, v99
	v_xor_b32_e32 v99, vcc_hi, v5
	v_xor_b32_e32 v5, vcc_lo, v5
	v_and_b32_e32 v97, v97, v5
	v_lshlrev_b32_e32 v5, 27, v96
	v_cmp_gt_i64_e32 vcc, 0, v[4:5]
	v_not_b32_e32 v5, v5
	v_ashrrev_i32_e32 v5, 31, v5
	v_and_b32_e32 v98, v98, v99
	v_xor_b32_e32 v99, vcc_hi, v5
	v_xor_b32_e32 v5, vcc_lo, v5
	v_and_b32_e32 v97, v97, v5
	v_lshlrev_b32_e32 v5, 26, v96
	v_cmp_gt_i64_e32 vcc, 0, v[4:5]
	v_not_b32_e32 v5, v5
	v_ashrrev_i32_e32 v5, 31, v5
	v_and_b32_e32 v98, v98, v99
	v_xor_b32_e32 v99, vcc_hi, v5
	v_xor_b32_e32 v5, vcc_lo, v5
	v_and_b32_e32 v97, v97, v5
	v_lshlrev_b32_e32 v5, 25, v96
	v_cmp_gt_i64_e32 vcc, 0, v[4:5]
	v_not_b32_e32 v5, v5
	v_ashrrev_i32_e32 v5, 31, v5
	v_and_b32_e32 v98, v98, v99
	v_xor_b32_e32 v99, vcc_hi, v5
	v_xor_b32_e32 v5, vcc_lo, v5
	v_and_b32_e32 v98, v98, v99
	v_and_b32_e32 v99, v97, v5
	v_lshlrev_b32_e32 v5, 24, v96
	v_cmp_gt_i64_e32 vcc, 0, v[4:5]
	v_not_b32_e32 v5, v5
	v_ashrrev_i32_e32 v5, 31, v5
	v_xor_b32_e32 v96, vcc_hi, v5
	v_xor_b32_e32 v5, vcc_lo, v5
	v_and_b32_e32 v97, v98, v96
	v_and_b32_e32 v96, v99, v5
	v_mbcnt_lo_u32_b32 v5, v96, 0
	v_mbcnt_hi_u32_b32 v203, v97, v5
	v_cmp_eq_u32_e32 vcc, 0, v203
	v_cmp_ne_u64_e64 s[36:37], 0, v[96:97]
	s_and_b64 s[38:39], s[36:37], vcc
	; wave barrier
	s_and_saveexec_b64 s[36:37], s[38:39]
	s_cbranch_execz .LBB1119_442
; %bb.441:                              ;   in Loop: Header=BB1119_392 Depth=2
	v_bcnt_u32_b32 v5, v96, 0
	v_bcnt_u32_b32 v5, v97, v5
	s_waitcnt lgkmcnt(0)
	v_add_u32_e32 v5, v201, v5
	ds_write_b32 v202, v5
.LBB1119_442:                           ;   in Loop: Header=BB1119_392 Depth=2
	s_or_b64 exec, exec, s[36:37]
	s_waitcnt vmcnt(7)
	v_cmp_gt_i64_e32 vcc, 0, v[94:95]
	v_ashrrev_i32_e32 v96, 31, v95
	v_cndmask_b32_e64 v5, v133, 0, vcc
	v_not_b32_e32 v96, v96
	v_xor_b32_e32 v95, v5, v95
	v_xor_b32_e32 v94, v96, v94
	v_cmp_ne_u64_e32 vcc, s[90:91], v[94:95]
	v_cndmask_b32_e32 v97, v133, v95, vcc
	v_cndmask_b32_e32 v96, -1, v94, vcc
	v_lshrrev_b64 v[96:97], s69, v[96:97]
	v_and_b32_e32 v96, s95, v96
	v_mul_u32_u24_e32 v5, 5, v96
	v_add_lshl_u32 v5, v5, v177, 2
	; wave barrier
	v_add_u32_e32 v205, 0x410, v5
	ds_read_b32 v204, v5 offset:1040
	v_and_b32_e32 v5, 1, v96
	v_add_co_u32_e32 v97, vcc, -1, v5
	v_addc_co_u32_e64 v98, s[36:37], 0, -1, vcc
	v_cmp_ne_u32_e32 vcc, 0, v5
	v_xor_b32_e32 v5, vcc_hi, v98
	v_and_b32_e32 v98, exec_hi, v5
	v_lshlrev_b32_e32 v5, 30, v96
	v_xor_b32_e32 v97, vcc_lo, v97
	v_cmp_gt_i64_e32 vcc, 0, v[4:5]
	v_not_b32_e32 v5, v5
	v_ashrrev_i32_e32 v5, 31, v5
	v_and_b32_e32 v97, exec_lo, v97
	v_xor_b32_e32 v99, vcc_hi, v5
	v_xor_b32_e32 v5, vcc_lo, v5
	v_and_b32_e32 v97, v97, v5
	v_lshlrev_b32_e32 v5, 29, v96
	v_cmp_gt_i64_e32 vcc, 0, v[4:5]
	v_not_b32_e32 v5, v5
	v_ashrrev_i32_e32 v5, 31, v5
	v_and_b32_e32 v98, v98, v99
	v_xor_b32_e32 v99, vcc_hi, v5
	v_xor_b32_e32 v5, vcc_lo, v5
	v_and_b32_e32 v97, v97, v5
	v_lshlrev_b32_e32 v5, 28, v96
	v_cmp_gt_i64_e32 vcc, 0, v[4:5]
	v_not_b32_e32 v5, v5
	v_ashrrev_i32_e32 v5, 31, v5
	v_and_b32_e32 v98, v98, v99
	;; [unrolled: 8-line block ×5, first 2 shown]
	v_xor_b32_e32 v99, vcc_hi, v5
	v_xor_b32_e32 v5, vcc_lo, v5
	v_and_b32_e32 v98, v98, v99
	v_and_b32_e32 v99, v97, v5
	v_lshlrev_b32_e32 v5, 24, v96
	v_cmp_gt_i64_e32 vcc, 0, v[4:5]
	v_not_b32_e32 v5, v5
	v_ashrrev_i32_e32 v5, 31, v5
	v_xor_b32_e32 v96, vcc_hi, v5
	v_xor_b32_e32 v5, vcc_lo, v5
	v_and_b32_e32 v97, v98, v96
	v_and_b32_e32 v96, v99, v5
	v_mbcnt_lo_u32_b32 v5, v96, 0
	v_mbcnt_hi_u32_b32 v206, v97, v5
	v_cmp_eq_u32_e32 vcc, 0, v206
	v_cmp_ne_u64_e64 s[36:37], 0, v[96:97]
	s_and_b64 s[38:39], s[36:37], vcc
	; wave barrier
	s_and_saveexec_b64 s[36:37], s[38:39]
	s_cbranch_execz .LBB1119_444
; %bb.443:                              ;   in Loop: Header=BB1119_392 Depth=2
	v_bcnt_u32_b32 v5, v96, 0
	v_bcnt_u32_b32 v5, v97, v5
	s_waitcnt lgkmcnt(0)
	v_add_u32_e32 v5, v204, v5
	ds_write_b32 v205, v5
.LBB1119_444:                           ;   in Loop: Header=BB1119_392 Depth=2
	s_or_b64 exec, exec, s[36:37]
	s_waitcnt vmcnt(6)
	v_cmp_gt_i64_e32 vcc, 0, v[92:93]
	v_ashrrev_i32_e32 v96, 31, v93
	v_cndmask_b32_e64 v5, v133, 0, vcc
	v_not_b32_e32 v96, v96
	v_xor_b32_e32 v93, v5, v93
	v_xor_b32_e32 v92, v96, v92
	v_cmp_ne_u64_e32 vcc, s[90:91], v[92:93]
	v_cndmask_b32_e32 v97, v133, v93, vcc
	v_cndmask_b32_e32 v96, -1, v92, vcc
	v_lshrrev_b64 v[96:97], s69, v[96:97]
	v_and_b32_e32 v96, s95, v96
	v_mul_u32_u24_e32 v5, 5, v96
	v_add_lshl_u32 v5, v5, v177, 2
	; wave barrier
	v_add_u32_e32 v208, 0x410, v5
	ds_read_b32 v207, v5 offset:1040
	v_and_b32_e32 v5, 1, v96
	v_add_co_u32_e32 v97, vcc, -1, v5
	v_addc_co_u32_e64 v98, s[36:37], 0, -1, vcc
	v_cmp_ne_u32_e32 vcc, 0, v5
	v_xor_b32_e32 v5, vcc_hi, v98
	v_and_b32_e32 v98, exec_hi, v5
	v_lshlrev_b32_e32 v5, 30, v96
	v_xor_b32_e32 v97, vcc_lo, v97
	v_cmp_gt_i64_e32 vcc, 0, v[4:5]
	v_not_b32_e32 v5, v5
	v_ashrrev_i32_e32 v5, 31, v5
	v_and_b32_e32 v97, exec_lo, v97
	v_xor_b32_e32 v99, vcc_hi, v5
	v_xor_b32_e32 v5, vcc_lo, v5
	v_and_b32_e32 v97, v97, v5
	v_lshlrev_b32_e32 v5, 29, v96
	v_cmp_gt_i64_e32 vcc, 0, v[4:5]
	v_not_b32_e32 v5, v5
	v_ashrrev_i32_e32 v5, 31, v5
	v_and_b32_e32 v98, v98, v99
	v_xor_b32_e32 v99, vcc_hi, v5
	v_xor_b32_e32 v5, vcc_lo, v5
	v_and_b32_e32 v97, v97, v5
	v_lshlrev_b32_e32 v5, 28, v96
	v_cmp_gt_i64_e32 vcc, 0, v[4:5]
	v_not_b32_e32 v5, v5
	v_ashrrev_i32_e32 v5, 31, v5
	v_and_b32_e32 v98, v98, v99
	;; [unrolled: 8-line block ×5, first 2 shown]
	v_xor_b32_e32 v99, vcc_hi, v5
	v_xor_b32_e32 v5, vcc_lo, v5
	v_and_b32_e32 v98, v98, v99
	v_and_b32_e32 v99, v97, v5
	v_lshlrev_b32_e32 v5, 24, v96
	v_cmp_gt_i64_e32 vcc, 0, v[4:5]
	v_not_b32_e32 v5, v5
	v_ashrrev_i32_e32 v5, 31, v5
	v_xor_b32_e32 v96, vcc_hi, v5
	v_xor_b32_e32 v5, vcc_lo, v5
	v_and_b32_e32 v97, v98, v96
	v_and_b32_e32 v96, v99, v5
	v_mbcnt_lo_u32_b32 v5, v96, 0
	v_mbcnt_hi_u32_b32 v209, v97, v5
	v_cmp_eq_u32_e32 vcc, 0, v209
	v_cmp_ne_u64_e64 s[36:37], 0, v[96:97]
	s_and_b64 s[38:39], s[36:37], vcc
	; wave barrier
	s_and_saveexec_b64 s[36:37], s[38:39]
	s_cbranch_execz .LBB1119_446
; %bb.445:                              ;   in Loop: Header=BB1119_392 Depth=2
	v_bcnt_u32_b32 v5, v96, 0
	v_bcnt_u32_b32 v5, v97, v5
	s_waitcnt lgkmcnt(0)
	v_add_u32_e32 v5, v207, v5
	ds_write_b32 v208, v5
.LBB1119_446:                           ;   in Loop: Header=BB1119_392 Depth=2
	s_or_b64 exec, exec, s[36:37]
	s_waitcnt vmcnt(5)
	v_cmp_gt_i64_e32 vcc, 0, v[88:89]
	v_ashrrev_i32_e32 v96, 31, v89
	v_cndmask_b32_e64 v5, v133, 0, vcc
	v_not_b32_e32 v96, v96
	v_xor_b32_e32 v89, v5, v89
	v_xor_b32_e32 v88, v96, v88
	v_cmp_ne_u64_e32 vcc, s[90:91], v[88:89]
	v_cndmask_b32_e32 v97, v133, v89, vcc
	v_cndmask_b32_e32 v96, -1, v88, vcc
	v_lshrrev_b64 v[96:97], s69, v[96:97]
	v_and_b32_e32 v96, s95, v96
	v_mul_u32_u24_e32 v5, 5, v96
	v_add_lshl_u32 v5, v5, v177, 2
	; wave barrier
	v_add_u32_e32 v211, 0x410, v5
	ds_read_b32 v210, v5 offset:1040
	v_and_b32_e32 v5, 1, v96
	v_add_co_u32_e32 v97, vcc, -1, v5
	v_addc_co_u32_e64 v98, s[36:37], 0, -1, vcc
	v_cmp_ne_u32_e32 vcc, 0, v5
	v_xor_b32_e32 v5, vcc_hi, v98
	v_and_b32_e32 v98, exec_hi, v5
	v_lshlrev_b32_e32 v5, 30, v96
	v_xor_b32_e32 v97, vcc_lo, v97
	v_cmp_gt_i64_e32 vcc, 0, v[4:5]
	v_not_b32_e32 v5, v5
	v_ashrrev_i32_e32 v5, 31, v5
	v_and_b32_e32 v97, exec_lo, v97
	v_xor_b32_e32 v99, vcc_hi, v5
	v_xor_b32_e32 v5, vcc_lo, v5
	v_and_b32_e32 v97, v97, v5
	v_lshlrev_b32_e32 v5, 29, v96
	v_cmp_gt_i64_e32 vcc, 0, v[4:5]
	v_not_b32_e32 v5, v5
	v_ashrrev_i32_e32 v5, 31, v5
	v_and_b32_e32 v98, v98, v99
	v_xor_b32_e32 v99, vcc_hi, v5
	v_xor_b32_e32 v5, vcc_lo, v5
	v_and_b32_e32 v97, v97, v5
	v_lshlrev_b32_e32 v5, 28, v96
	v_cmp_gt_i64_e32 vcc, 0, v[4:5]
	v_not_b32_e32 v5, v5
	v_ashrrev_i32_e32 v5, 31, v5
	v_and_b32_e32 v98, v98, v99
	;; [unrolled: 8-line block ×5, first 2 shown]
	v_xor_b32_e32 v99, vcc_hi, v5
	v_xor_b32_e32 v5, vcc_lo, v5
	v_and_b32_e32 v98, v98, v99
	v_and_b32_e32 v99, v97, v5
	v_lshlrev_b32_e32 v5, 24, v96
	v_cmp_gt_i64_e32 vcc, 0, v[4:5]
	v_not_b32_e32 v5, v5
	v_ashrrev_i32_e32 v5, 31, v5
	v_xor_b32_e32 v96, vcc_hi, v5
	v_xor_b32_e32 v5, vcc_lo, v5
	v_and_b32_e32 v97, v98, v96
	v_and_b32_e32 v96, v99, v5
	v_mbcnt_lo_u32_b32 v5, v96, 0
	v_mbcnt_hi_u32_b32 v212, v97, v5
	v_cmp_eq_u32_e32 vcc, 0, v212
	v_cmp_ne_u64_e64 s[36:37], 0, v[96:97]
	s_and_b64 s[38:39], s[36:37], vcc
	; wave barrier
	s_and_saveexec_b64 s[36:37], s[38:39]
	s_cbranch_execz .LBB1119_448
; %bb.447:                              ;   in Loop: Header=BB1119_392 Depth=2
	v_bcnt_u32_b32 v5, v96, 0
	v_bcnt_u32_b32 v5, v97, v5
	s_waitcnt lgkmcnt(0)
	v_add_u32_e32 v5, v210, v5
	ds_write_b32 v211, v5
.LBB1119_448:                           ;   in Loop: Header=BB1119_392 Depth=2
	s_or_b64 exec, exec, s[36:37]
	s_waitcnt vmcnt(4)
	v_cmp_gt_i64_e32 vcc, 0, v[84:85]
	v_ashrrev_i32_e32 v96, 31, v85
	v_cndmask_b32_e64 v5, v133, 0, vcc
	v_not_b32_e32 v96, v96
	v_xor_b32_e32 v85, v5, v85
	v_xor_b32_e32 v84, v96, v84
	v_cmp_ne_u64_e32 vcc, s[90:91], v[84:85]
	v_cndmask_b32_e32 v97, v133, v85, vcc
	v_cndmask_b32_e32 v96, -1, v84, vcc
	v_lshrrev_b64 v[96:97], s69, v[96:97]
	v_and_b32_e32 v96, s95, v96
	v_mul_u32_u24_e32 v5, 5, v96
	v_add_lshl_u32 v5, v5, v177, 2
	; wave barrier
	v_add_u32_e32 v214, 0x410, v5
	ds_read_b32 v213, v5 offset:1040
	v_and_b32_e32 v5, 1, v96
	v_add_co_u32_e32 v97, vcc, -1, v5
	v_addc_co_u32_e64 v98, s[36:37], 0, -1, vcc
	v_cmp_ne_u32_e32 vcc, 0, v5
	v_xor_b32_e32 v5, vcc_hi, v98
	v_and_b32_e32 v98, exec_hi, v5
	v_lshlrev_b32_e32 v5, 30, v96
	v_xor_b32_e32 v97, vcc_lo, v97
	v_cmp_gt_i64_e32 vcc, 0, v[4:5]
	v_not_b32_e32 v5, v5
	v_ashrrev_i32_e32 v5, 31, v5
	v_and_b32_e32 v97, exec_lo, v97
	v_xor_b32_e32 v99, vcc_hi, v5
	v_xor_b32_e32 v5, vcc_lo, v5
	v_and_b32_e32 v97, v97, v5
	v_lshlrev_b32_e32 v5, 29, v96
	v_cmp_gt_i64_e32 vcc, 0, v[4:5]
	v_not_b32_e32 v5, v5
	v_ashrrev_i32_e32 v5, 31, v5
	v_and_b32_e32 v98, v98, v99
	v_xor_b32_e32 v99, vcc_hi, v5
	v_xor_b32_e32 v5, vcc_lo, v5
	v_and_b32_e32 v97, v97, v5
	v_lshlrev_b32_e32 v5, 28, v96
	v_cmp_gt_i64_e32 vcc, 0, v[4:5]
	v_not_b32_e32 v5, v5
	v_ashrrev_i32_e32 v5, 31, v5
	v_and_b32_e32 v98, v98, v99
	;; [unrolled: 8-line block ×5, first 2 shown]
	v_xor_b32_e32 v99, vcc_hi, v5
	v_xor_b32_e32 v5, vcc_lo, v5
	v_and_b32_e32 v98, v98, v99
	v_and_b32_e32 v99, v97, v5
	v_lshlrev_b32_e32 v5, 24, v96
	v_cmp_gt_i64_e32 vcc, 0, v[4:5]
	v_not_b32_e32 v5, v5
	v_ashrrev_i32_e32 v5, 31, v5
	v_xor_b32_e32 v96, vcc_hi, v5
	v_xor_b32_e32 v5, vcc_lo, v5
	v_and_b32_e32 v97, v98, v96
	v_and_b32_e32 v96, v99, v5
	v_mbcnt_lo_u32_b32 v5, v96, 0
	v_mbcnt_hi_u32_b32 v215, v97, v5
	v_cmp_eq_u32_e32 vcc, 0, v215
	v_cmp_ne_u64_e64 s[36:37], 0, v[96:97]
	s_and_b64 s[38:39], s[36:37], vcc
	; wave barrier
	s_and_saveexec_b64 s[36:37], s[38:39]
	s_cbranch_execz .LBB1119_450
; %bb.449:                              ;   in Loop: Header=BB1119_392 Depth=2
	v_bcnt_u32_b32 v5, v96, 0
	v_bcnt_u32_b32 v5, v97, v5
	s_waitcnt lgkmcnt(0)
	v_add_u32_e32 v5, v213, v5
	ds_write_b32 v214, v5
.LBB1119_450:                           ;   in Loop: Header=BB1119_392 Depth=2
	s_or_b64 exec, exec, s[36:37]
	s_waitcnt vmcnt(3)
	v_cmp_gt_i64_e32 vcc, 0, v[80:81]
	v_ashrrev_i32_e32 v96, 31, v81
	v_cndmask_b32_e64 v5, v133, 0, vcc
	v_not_b32_e32 v96, v96
	v_xor_b32_e32 v81, v5, v81
	v_xor_b32_e32 v80, v96, v80
	v_cmp_ne_u64_e32 vcc, s[90:91], v[80:81]
	v_cndmask_b32_e32 v97, v133, v81, vcc
	v_cndmask_b32_e32 v96, -1, v80, vcc
	v_lshrrev_b64 v[96:97], s69, v[96:97]
	v_and_b32_e32 v96, s95, v96
	v_mul_u32_u24_e32 v5, 5, v96
	v_add_lshl_u32 v5, v5, v177, 2
	; wave barrier
	v_add_u32_e32 v217, 0x410, v5
	ds_read_b32 v216, v5 offset:1040
	v_and_b32_e32 v5, 1, v96
	v_add_co_u32_e32 v97, vcc, -1, v5
	v_addc_co_u32_e64 v98, s[36:37], 0, -1, vcc
	v_cmp_ne_u32_e32 vcc, 0, v5
	v_xor_b32_e32 v5, vcc_hi, v98
	v_and_b32_e32 v98, exec_hi, v5
	v_lshlrev_b32_e32 v5, 30, v96
	v_xor_b32_e32 v97, vcc_lo, v97
	v_cmp_gt_i64_e32 vcc, 0, v[4:5]
	v_not_b32_e32 v5, v5
	v_ashrrev_i32_e32 v5, 31, v5
	v_and_b32_e32 v97, exec_lo, v97
	v_xor_b32_e32 v99, vcc_hi, v5
	v_xor_b32_e32 v5, vcc_lo, v5
	v_and_b32_e32 v97, v97, v5
	v_lshlrev_b32_e32 v5, 29, v96
	v_cmp_gt_i64_e32 vcc, 0, v[4:5]
	v_not_b32_e32 v5, v5
	v_ashrrev_i32_e32 v5, 31, v5
	v_and_b32_e32 v98, v98, v99
	v_xor_b32_e32 v99, vcc_hi, v5
	v_xor_b32_e32 v5, vcc_lo, v5
	v_and_b32_e32 v97, v97, v5
	v_lshlrev_b32_e32 v5, 28, v96
	v_cmp_gt_i64_e32 vcc, 0, v[4:5]
	v_not_b32_e32 v5, v5
	v_ashrrev_i32_e32 v5, 31, v5
	v_and_b32_e32 v98, v98, v99
	;; [unrolled: 8-line block ×5, first 2 shown]
	v_xor_b32_e32 v99, vcc_hi, v5
	v_xor_b32_e32 v5, vcc_lo, v5
	v_and_b32_e32 v98, v98, v99
	v_and_b32_e32 v99, v97, v5
	v_lshlrev_b32_e32 v5, 24, v96
	v_cmp_gt_i64_e32 vcc, 0, v[4:5]
	v_not_b32_e32 v5, v5
	v_ashrrev_i32_e32 v5, 31, v5
	v_xor_b32_e32 v96, vcc_hi, v5
	v_xor_b32_e32 v5, vcc_lo, v5
	v_and_b32_e32 v97, v98, v96
	v_and_b32_e32 v96, v99, v5
	v_mbcnt_lo_u32_b32 v5, v96, 0
	v_mbcnt_hi_u32_b32 v218, v97, v5
	v_cmp_eq_u32_e32 vcc, 0, v218
	v_cmp_ne_u64_e64 s[36:37], 0, v[96:97]
	s_and_b64 s[38:39], s[36:37], vcc
	; wave barrier
	s_and_saveexec_b64 s[36:37], s[38:39]
	s_cbranch_execz .LBB1119_452
; %bb.451:                              ;   in Loop: Header=BB1119_392 Depth=2
	v_bcnt_u32_b32 v5, v96, 0
	v_bcnt_u32_b32 v5, v97, v5
	s_waitcnt lgkmcnt(0)
	v_add_u32_e32 v5, v216, v5
	ds_write_b32 v217, v5
.LBB1119_452:                           ;   in Loop: Header=BB1119_392 Depth=2
	s_or_b64 exec, exec, s[36:37]
	s_waitcnt vmcnt(2)
	v_cmp_gt_i64_e32 vcc, 0, v[76:77]
	v_ashrrev_i32_e32 v96, 31, v77
	v_cndmask_b32_e64 v5, v133, 0, vcc
	v_not_b32_e32 v96, v96
	v_xor_b32_e32 v77, v5, v77
	v_xor_b32_e32 v76, v96, v76
	v_cmp_ne_u64_e32 vcc, s[90:91], v[76:77]
	v_cndmask_b32_e32 v97, v133, v77, vcc
	v_cndmask_b32_e32 v96, -1, v76, vcc
	v_lshrrev_b64 v[96:97], s69, v[96:97]
	v_and_b32_e32 v96, s95, v96
	v_mul_u32_u24_e32 v5, 5, v96
	v_add_lshl_u32 v5, v5, v177, 2
	; wave barrier
	v_add_u32_e32 v220, 0x410, v5
	ds_read_b32 v219, v5 offset:1040
	v_and_b32_e32 v5, 1, v96
	v_add_co_u32_e32 v97, vcc, -1, v5
	v_addc_co_u32_e64 v98, s[36:37], 0, -1, vcc
	v_cmp_ne_u32_e32 vcc, 0, v5
	v_xor_b32_e32 v5, vcc_hi, v98
	v_and_b32_e32 v98, exec_hi, v5
	v_lshlrev_b32_e32 v5, 30, v96
	v_xor_b32_e32 v97, vcc_lo, v97
	v_cmp_gt_i64_e32 vcc, 0, v[4:5]
	v_not_b32_e32 v5, v5
	v_ashrrev_i32_e32 v5, 31, v5
	v_and_b32_e32 v97, exec_lo, v97
	v_xor_b32_e32 v99, vcc_hi, v5
	v_xor_b32_e32 v5, vcc_lo, v5
	v_and_b32_e32 v97, v97, v5
	v_lshlrev_b32_e32 v5, 29, v96
	v_cmp_gt_i64_e32 vcc, 0, v[4:5]
	v_not_b32_e32 v5, v5
	v_ashrrev_i32_e32 v5, 31, v5
	v_and_b32_e32 v98, v98, v99
	v_xor_b32_e32 v99, vcc_hi, v5
	v_xor_b32_e32 v5, vcc_lo, v5
	v_and_b32_e32 v97, v97, v5
	v_lshlrev_b32_e32 v5, 28, v96
	v_cmp_gt_i64_e32 vcc, 0, v[4:5]
	v_not_b32_e32 v5, v5
	v_ashrrev_i32_e32 v5, 31, v5
	v_and_b32_e32 v98, v98, v99
	;; [unrolled: 8-line block ×5, first 2 shown]
	v_xor_b32_e32 v99, vcc_hi, v5
	v_xor_b32_e32 v5, vcc_lo, v5
	v_and_b32_e32 v98, v98, v99
	v_and_b32_e32 v99, v97, v5
	v_lshlrev_b32_e32 v5, 24, v96
	v_cmp_gt_i64_e32 vcc, 0, v[4:5]
	v_not_b32_e32 v5, v5
	v_ashrrev_i32_e32 v5, 31, v5
	v_xor_b32_e32 v96, vcc_hi, v5
	v_xor_b32_e32 v5, vcc_lo, v5
	v_and_b32_e32 v97, v98, v96
	v_and_b32_e32 v96, v99, v5
	v_mbcnt_lo_u32_b32 v5, v96, 0
	v_mbcnt_hi_u32_b32 v221, v97, v5
	v_cmp_eq_u32_e32 vcc, 0, v221
	v_cmp_ne_u64_e64 s[36:37], 0, v[96:97]
	s_and_b64 s[38:39], s[36:37], vcc
	; wave barrier
	s_and_saveexec_b64 s[36:37], s[38:39]
	s_cbranch_execz .LBB1119_454
; %bb.453:                              ;   in Loop: Header=BB1119_392 Depth=2
	v_bcnt_u32_b32 v5, v96, 0
	v_bcnt_u32_b32 v5, v97, v5
	s_waitcnt lgkmcnt(0)
	v_add_u32_e32 v5, v219, v5
	ds_write_b32 v220, v5
.LBB1119_454:                           ;   in Loop: Header=BB1119_392 Depth=2
	s_or_b64 exec, exec, s[36:37]
	s_waitcnt vmcnt(1)
	v_cmp_gt_i64_e32 vcc, 0, v[72:73]
	v_ashrrev_i32_e32 v96, 31, v73
	v_cndmask_b32_e64 v5, v133, 0, vcc
	v_not_b32_e32 v96, v96
	v_xor_b32_e32 v73, v5, v73
	v_xor_b32_e32 v72, v96, v72
	v_cmp_ne_u64_e32 vcc, s[90:91], v[72:73]
	v_cndmask_b32_e32 v97, v133, v73, vcc
	v_cndmask_b32_e32 v96, -1, v72, vcc
	v_lshrrev_b64 v[96:97], s69, v[96:97]
	v_and_b32_e32 v96, s95, v96
	v_mul_u32_u24_e32 v5, 5, v96
	v_add_lshl_u32 v5, v5, v177, 2
	; wave barrier
	v_add_u32_e32 v223, 0x410, v5
	ds_read_b32 v222, v5 offset:1040
	v_and_b32_e32 v5, 1, v96
	v_add_co_u32_e32 v97, vcc, -1, v5
	v_addc_co_u32_e64 v98, s[36:37], 0, -1, vcc
	v_cmp_ne_u32_e32 vcc, 0, v5
	v_xor_b32_e32 v5, vcc_hi, v98
	v_and_b32_e32 v98, exec_hi, v5
	v_lshlrev_b32_e32 v5, 30, v96
	v_xor_b32_e32 v97, vcc_lo, v97
	v_cmp_gt_i64_e32 vcc, 0, v[4:5]
	v_not_b32_e32 v5, v5
	v_ashrrev_i32_e32 v5, 31, v5
	v_and_b32_e32 v97, exec_lo, v97
	v_xor_b32_e32 v99, vcc_hi, v5
	v_xor_b32_e32 v5, vcc_lo, v5
	v_and_b32_e32 v97, v97, v5
	v_lshlrev_b32_e32 v5, 29, v96
	v_cmp_gt_i64_e32 vcc, 0, v[4:5]
	v_not_b32_e32 v5, v5
	v_ashrrev_i32_e32 v5, 31, v5
	v_and_b32_e32 v98, v98, v99
	v_xor_b32_e32 v99, vcc_hi, v5
	v_xor_b32_e32 v5, vcc_lo, v5
	v_and_b32_e32 v97, v97, v5
	v_lshlrev_b32_e32 v5, 28, v96
	v_cmp_gt_i64_e32 vcc, 0, v[4:5]
	v_not_b32_e32 v5, v5
	v_ashrrev_i32_e32 v5, 31, v5
	v_and_b32_e32 v98, v98, v99
	;; [unrolled: 8-line block ×5, first 2 shown]
	v_xor_b32_e32 v99, vcc_hi, v5
	v_xor_b32_e32 v5, vcc_lo, v5
	v_and_b32_e32 v98, v98, v99
	v_and_b32_e32 v99, v97, v5
	v_lshlrev_b32_e32 v5, 24, v96
	v_cmp_gt_i64_e32 vcc, 0, v[4:5]
	v_not_b32_e32 v5, v5
	v_ashrrev_i32_e32 v5, 31, v5
	v_xor_b32_e32 v96, vcc_hi, v5
	v_xor_b32_e32 v5, vcc_lo, v5
	v_and_b32_e32 v97, v98, v96
	v_and_b32_e32 v96, v99, v5
	v_mbcnt_lo_u32_b32 v5, v96, 0
	v_mbcnt_hi_u32_b32 v224, v97, v5
	v_cmp_eq_u32_e32 vcc, 0, v224
	v_cmp_ne_u64_e64 s[36:37], 0, v[96:97]
	s_and_b64 s[38:39], s[36:37], vcc
	; wave barrier
	s_and_saveexec_b64 s[36:37], s[38:39]
	s_cbranch_execz .LBB1119_456
; %bb.455:                              ;   in Loop: Header=BB1119_392 Depth=2
	v_bcnt_u32_b32 v5, v96, 0
	v_bcnt_u32_b32 v5, v97, v5
	s_waitcnt lgkmcnt(0)
	v_add_u32_e32 v5, v222, v5
	ds_write_b32 v223, v5
.LBB1119_456:                           ;   in Loop: Header=BB1119_392 Depth=2
	s_or_b64 exec, exec, s[36:37]
	s_waitcnt vmcnt(0)
	v_cmp_gt_i64_e32 vcc, 0, v[68:69]
	v_ashrrev_i32_e32 v96, 31, v69
	v_cndmask_b32_e64 v5, v133, 0, vcc
	v_not_b32_e32 v96, v96
	v_xor_b32_e32 v69, v5, v69
	v_xor_b32_e32 v68, v96, v68
	v_cmp_ne_u64_e32 vcc, s[90:91], v[68:69]
	v_cndmask_b32_e32 v97, v133, v69, vcc
	v_cndmask_b32_e32 v96, -1, v68, vcc
	v_lshrrev_b64 v[96:97], s69, v[96:97]
	v_and_b32_e32 v96, s95, v96
	v_mul_u32_u24_e32 v5, 5, v96
	v_add_lshl_u32 v5, v5, v177, 2
	; wave barrier
	v_add_u32_e32 v226, 0x410, v5
	ds_read_b32 v225, v5 offset:1040
	v_and_b32_e32 v5, 1, v96
	v_add_co_u32_e32 v97, vcc, -1, v5
	v_addc_co_u32_e64 v98, s[36:37], 0, -1, vcc
	v_cmp_ne_u32_e32 vcc, 0, v5
	v_xor_b32_e32 v5, vcc_hi, v98
	v_and_b32_e32 v98, exec_hi, v5
	v_lshlrev_b32_e32 v5, 30, v96
	v_xor_b32_e32 v97, vcc_lo, v97
	v_cmp_gt_i64_e32 vcc, 0, v[4:5]
	v_not_b32_e32 v5, v5
	v_ashrrev_i32_e32 v5, 31, v5
	v_and_b32_e32 v97, exec_lo, v97
	v_xor_b32_e32 v99, vcc_hi, v5
	v_xor_b32_e32 v5, vcc_lo, v5
	v_and_b32_e32 v97, v97, v5
	v_lshlrev_b32_e32 v5, 29, v96
	v_cmp_gt_i64_e32 vcc, 0, v[4:5]
	v_not_b32_e32 v5, v5
	v_ashrrev_i32_e32 v5, 31, v5
	v_and_b32_e32 v98, v98, v99
	v_xor_b32_e32 v99, vcc_hi, v5
	v_xor_b32_e32 v5, vcc_lo, v5
	v_and_b32_e32 v97, v97, v5
	v_lshlrev_b32_e32 v5, 28, v96
	v_cmp_gt_i64_e32 vcc, 0, v[4:5]
	v_not_b32_e32 v5, v5
	v_ashrrev_i32_e32 v5, 31, v5
	v_and_b32_e32 v98, v98, v99
	;; [unrolled: 8-line block ×5, first 2 shown]
	v_xor_b32_e32 v99, vcc_hi, v5
	v_xor_b32_e32 v5, vcc_lo, v5
	v_and_b32_e32 v98, v98, v99
	v_and_b32_e32 v99, v97, v5
	v_lshlrev_b32_e32 v5, 24, v96
	v_cmp_gt_i64_e32 vcc, 0, v[4:5]
	v_not_b32_e32 v5, v5
	v_ashrrev_i32_e32 v5, 31, v5
	v_xor_b32_e32 v96, vcc_hi, v5
	v_xor_b32_e32 v5, vcc_lo, v5
	v_and_b32_e32 v97, v98, v96
	v_and_b32_e32 v96, v99, v5
	v_mbcnt_lo_u32_b32 v5, v96, 0
	v_mbcnt_hi_u32_b32 v227, v97, v5
	v_cmp_eq_u32_e32 vcc, 0, v227
	v_cmp_ne_u64_e64 s[36:37], 0, v[96:97]
	s_and_b64 s[38:39], s[36:37], vcc
	; wave barrier
	s_and_saveexec_b64 s[36:37], s[38:39]
	s_cbranch_execz .LBB1119_458
; %bb.457:                              ;   in Loop: Header=BB1119_392 Depth=2
	v_bcnt_u32_b32 v5, v96, 0
	v_bcnt_u32_b32 v5, v97, v5
	s_waitcnt lgkmcnt(0)
	v_add_u32_e32 v5, v225, v5
	ds_write_b32 v226, v5
.LBB1119_458:                           ;   in Loop: Header=BB1119_392 Depth=2
	s_or_b64 exec, exec, s[36:37]
	v_cmp_gt_i64_e32 vcc, 0, v[70:71]
	v_ashrrev_i32_e32 v96, 31, v71
	v_cndmask_b32_e64 v5, v133, 0, vcc
	v_not_b32_e32 v96, v96
	v_xor_b32_e32 v71, v5, v71
	v_xor_b32_e32 v70, v96, v70
	v_cmp_ne_u64_e32 vcc, s[90:91], v[70:71]
	v_cndmask_b32_e32 v97, v133, v71, vcc
	v_cndmask_b32_e32 v96, -1, v70, vcc
	v_lshrrev_b64 v[96:97], s69, v[96:97]
	v_and_b32_e32 v96, s95, v96
	v_mul_u32_u24_e32 v5, 5, v96
	v_add_lshl_u32 v5, v5, v177, 2
	; wave barrier
	v_add_u32_e32 v229, 0x410, v5
	ds_read_b32 v228, v5 offset:1040
	v_and_b32_e32 v5, 1, v96
	v_add_co_u32_e32 v97, vcc, -1, v5
	v_addc_co_u32_e64 v98, s[36:37], 0, -1, vcc
	v_cmp_ne_u32_e32 vcc, 0, v5
	v_xor_b32_e32 v5, vcc_hi, v98
	v_and_b32_e32 v98, exec_hi, v5
	v_lshlrev_b32_e32 v5, 30, v96
	v_xor_b32_e32 v97, vcc_lo, v97
	v_cmp_gt_i64_e32 vcc, 0, v[4:5]
	v_not_b32_e32 v5, v5
	v_ashrrev_i32_e32 v5, 31, v5
	v_and_b32_e32 v97, exec_lo, v97
	v_xor_b32_e32 v99, vcc_hi, v5
	v_xor_b32_e32 v5, vcc_lo, v5
	v_and_b32_e32 v97, v97, v5
	v_lshlrev_b32_e32 v5, 29, v96
	v_cmp_gt_i64_e32 vcc, 0, v[4:5]
	v_not_b32_e32 v5, v5
	v_ashrrev_i32_e32 v5, 31, v5
	v_and_b32_e32 v98, v98, v99
	v_xor_b32_e32 v99, vcc_hi, v5
	v_xor_b32_e32 v5, vcc_lo, v5
	v_and_b32_e32 v97, v97, v5
	v_lshlrev_b32_e32 v5, 28, v96
	v_cmp_gt_i64_e32 vcc, 0, v[4:5]
	v_not_b32_e32 v5, v5
	v_ashrrev_i32_e32 v5, 31, v5
	v_and_b32_e32 v98, v98, v99
	;; [unrolled: 8-line block ×5, first 2 shown]
	v_xor_b32_e32 v99, vcc_hi, v5
	v_xor_b32_e32 v5, vcc_lo, v5
	v_and_b32_e32 v98, v98, v99
	v_and_b32_e32 v99, v97, v5
	v_lshlrev_b32_e32 v5, 24, v96
	v_cmp_gt_i64_e32 vcc, 0, v[4:5]
	v_not_b32_e32 v5, v5
	v_ashrrev_i32_e32 v5, 31, v5
	v_xor_b32_e32 v96, vcc_hi, v5
	v_xor_b32_e32 v5, vcc_lo, v5
	v_and_b32_e32 v97, v98, v96
	v_and_b32_e32 v96, v99, v5
	v_mbcnt_lo_u32_b32 v5, v96, 0
	v_mbcnt_hi_u32_b32 v230, v97, v5
	v_cmp_eq_u32_e32 vcc, 0, v230
	v_cmp_ne_u64_e64 s[36:37], 0, v[96:97]
	s_and_b64 s[38:39], s[36:37], vcc
	; wave barrier
	s_and_saveexec_b64 s[36:37], s[38:39]
	s_cbranch_execz .LBB1119_460
; %bb.459:                              ;   in Loop: Header=BB1119_392 Depth=2
	v_bcnt_u32_b32 v5, v96, 0
	v_bcnt_u32_b32 v5, v97, v5
	s_waitcnt lgkmcnt(0)
	v_add_u32_e32 v5, v228, v5
	ds_write_b32 v229, v5
.LBB1119_460:                           ;   in Loop: Header=BB1119_392 Depth=2
	s_or_b64 exec, exec, s[36:37]
	; wave barrier
	s_waitcnt lgkmcnt(0)
	s_barrier
	ds_read_b32 v5, v27 offset:1040
	ds_read2_b32 v[98:99], v31 offset0:1 offset1:2
	ds_read2_b32 v[96:97], v31 offset0:3 offset1:4
	s_waitcnt lgkmcnt(1)
	v_add3_u32 v231, v98, v5, v99
	s_waitcnt lgkmcnt(0)
	v_add3_u32 v97, v231, v96, v97
	s_nop 1
	v_mov_b32_dpp v231, v97 row_shr:1 row_mask:0xf bank_mask:0xf
	v_cndmask_b32_e64 v231, v231, 0, s[16:17]
	v_add_u32_e32 v97, v231, v97
	s_nop 1
	v_mov_b32_dpp v231, v97 row_shr:2 row_mask:0xf bank_mask:0xf
	v_cndmask_b32_e64 v231, 0, v231, s[18:19]
	v_add_u32_e32 v97, v97, v231
	;; [unrolled: 4-line block ×4, first 2 shown]
	s_nop 1
	v_mov_b32_dpp v231, v97 row_bcast:15 row_mask:0xf bank_mask:0xf
	v_cndmask_b32_e64 v231, v231, 0, s[24:25]
	v_add_u32_e32 v97, v97, v231
	s_nop 1
	v_mov_b32_dpp v231, v97 row_bcast:31 row_mask:0xf bank_mask:0xf
	v_cndmask_b32_e64 v231, 0, v231, s[26:27]
	v_add_u32_e32 v97, v97, v231
	s_and_saveexec_b64 s[36:37], s[6:7]
	s_cbranch_execz .LBB1119_462
; %bb.461:                              ;   in Loop: Header=BB1119_392 Depth=2
	ds_write_b32 v15, v97 offset:1024
.LBB1119_462:                           ;   in Loop: Header=BB1119_392 Depth=2
	s_or_b64 exec, exec, s[36:37]
	s_waitcnt lgkmcnt(0)
	s_barrier
	s_and_saveexec_b64 s[36:37], s[8:9]
	s_cbranch_execz .LBB1119_464
; %bb.463:                              ;   in Loop: Header=BB1119_392 Depth=2
	ds_read_b32 v231, v33 offset:1024
	s_waitcnt lgkmcnt(0)
	s_nop 0
	v_mov_b32_dpp v232, v231 row_shr:1 row_mask:0xf bank_mask:0xf
	v_cndmask_b32_e64 v232, v232, 0, s[30:31]
	v_add_u32_e32 v231, v232, v231
	s_nop 1
	v_mov_b32_dpp v232, v231 row_shr:2 row_mask:0xf bank_mask:0xf
	v_cndmask_b32_e64 v232, 0, v232, s[34:35]
	v_add_u32_e32 v231, v231, v232
	ds_write_b32 v33, v231 offset:1024
.LBB1119_464:                           ;   in Loop: Header=BB1119_392 Depth=2
	s_or_b64 exec, exec, s[36:37]
	v_mov_b32_e32 v231, 0
	s_waitcnt lgkmcnt(0)
	s_barrier
	s_and_saveexec_b64 s[36:37], s[10:11]
	s_cbranch_execz .LBB1119_466
; %bb.465:                              ;   in Loop: Header=BB1119_392 Depth=2
	ds_read_b32 v231, v15 offset:1020
.LBB1119_466:                           ;   in Loop: Header=BB1119_392 Depth=2
	s_or_b64 exec, exec, s[36:37]
	s_waitcnt lgkmcnt(0)
	v_add_u32_e32 v97, v231, v97
	ds_bpermute_b32 v97, v159, v97
	s_waitcnt lgkmcnt(0)
	v_cndmask_b32_e64 v97, v97, v231, s[28:29]
	v_cndmask_b32_e64 v97, v97, 0, s[12:13]
	v_add_u32_e32 v5, v97, v5
	ds_write_b32 v27, v97 offset:1040
	v_add_u32_e32 v97, v5, v98
	v_add_u32_e32 v98, v97, v99
	ds_write2_b32 v31, v5, v97 offset0:1 offset1:2
	v_add_u32_e32 v5, v98, v96
	ds_write2_b32 v31, v98, v5 offset0:3 offset1:4
	s_waitcnt lgkmcnt(0)
	s_barrier
	ds_read_b32 v97, v187
	ds_read_b32 v235, v190
	;; [unrolled: 1-line block ×16, first 2 shown]
	ds_read_b32 v184, v27 offset:1040
	v_mov_b32_e32 v5, 0x1000
	s_and_saveexec_b64 s[36:37], s[14:15]
	s_cbranch_execz .LBB1119_468
; %bb.467:                              ;   in Loop: Header=BB1119_392 Depth=2
	ds_read_b32 v5, v27 offset:1060
.LBB1119_468:                           ;   in Loop: Header=BB1119_392 Depth=2
	s_or_b64 exec, exec, s[36:37]
	s_waitcnt lgkmcnt(0)
	s_barrier
	s_and_saveexec_b64 s[36:37], s[4:5]
	s_cbranch_execz .LBB1119_470
; %bb.469:                              ;   in Loop: Header=BB1119_392 Depth=2
	ds_read_b32 v208, v3
	s_waitcnt lgkmcnt(0)
	v_sub_u32_e32 v184, v208, v184
	ds_write_b32 v3, v184
.LBB1119_470:                           ;   in Loop: Header=BB1119_392 Depth=2
	s_or_b64 exec, exec, s[36:37]
	v_add_u32_e32 v186, v188, v186
	v_add_u32_e32 v189, v191, v189
	v_add_lshl_u32 v96, v96, v185, 3
	v_add_lshl_u32 v97, v186, v97, 3
	v_add_u32_e32 v198, v200, v198
	v_add_u32_e32 v195, v197, v195
	;; [unrolled: 1-line block ×3, first 2 shown]
	ds_write_b64 v96, v[64:65] offset:1024
	ds_write_b64 v97, v[66:67] offset:1024
	v_add_lshl_u32 v66, v189, v235, 3
	v_add_u32_e32 v213, v215, v213
	v_add_u32_e32 v210, v212, v210
	;; [unrolled: 1-line block ×5, first 2 shown]
	ds_write_b64 v66, v[74:75] offset:1024
	v_add_lshl_u32 v67, v192, v234, 3
	v_add_lshl_u32 v74, v195, v233, 3
	;; [unrolled: 1-line block ×3, first 2 shown]
	v_add_u32_e32 v216, v218, v216
	ds_write_b64 v67, v[78:79] offset:1024
	ds_write_b64 v74, v[82:83] offset:1024
	;; [unrolled: 1-line block ×3, first 2 shown]
	v_add_lshl_u32 v78, v201, v231, 3
	v_add_lshl_u32 v79, v204, v205, 3
	;; [unrolled: 1-line block ×5, first 2 shown]
	v_add_u32_e32 v214, v221, v219
	ds_write_b64 v78, v[90:91] offset:1024
	ds_write_b64 v79, v[94:95] offset:1024
	;; [unrolled: 1-line block ×5, first 2 shown]
	v_add_lshl_u32 v84, v216, v193, 3
	v_add_u32_e32 v211, v224, v222
	ds_write_b64 v84, v[80:81] offset:1024
	v_add_lshl_u32 v80, v214, v190, 3
	v_add_u32_e32 v208, v227, v225
	ds_write_b64 v80, v[76:77] offset:1024
	;; [unrolled: 3-line block ×3, first 2 shown]
	v_add_lshl_u32 v72, v208, v99, 3
	ds_write_b64 v72, v[68:69] offset:1024
	v_add_lshl_u32 v68, v184, v98, 3
	v_cmp_lt_u32_e64 s[36:37], v2, v183
	ds_write_b64 v68, v[70:71] offset:1024
	s_waitcnt lgkmcnt(0)
	s_barrier
	s_and_saveexec_b64 s[40:41], s[36:37]
	s_cbranch_execz .LBB1119_486
; %bb.471:                              ;   in Loop: Header=BB1119_392 Depth=2
	v_add_u32_e32 v64, v33, v3
	ds_read_b64 v[64:65], v64 offset:1024
	v_mov_b32_e32 v71, v4
	s_waitcnt lgkmcnt(0)
	v_cmp_ne_u64_e32 vcc, s[90:91], v[64:65]
	v_cndmask_b32_e32 v89, v133, v65, vcc
	v_cndmask_b32_e32 v88, -1, v64, vcc
	v_lshrrev_b64 v[88:89], s69, v[88:89]
	v_and_b32_e32 v70, s95, v88
	v_lshlrev_b32_e32 v70, 2, v70
	ds_read_b32 v70, v70
	v_cmp_gt_i64_e64 s[38:39], 0, v[64:65]
	v_cndmask_b32_e64 v69, v133, 0, s[38:39]
	v_ashrrev_i32_e32 v73, 31, v65
	v_not_b32_e32 v73, v73
	s_waitcnt lgkmcnt(0)
	v_add_u32_e32 v70, v70, v2
	v_lshlrev_b64 v[70:71], 3, v[70:71]
	v_xor_b32_e32 v65, v69, v65
	v_mov_b32_e32 v69, s77
	v_add_co_u32_e32 v70, vcc, s76, v70
	v_xor_b32_e32 v64, v73, v64
	v_addc_co_u32_e32 v71, vcc, v69, v71, vcc
	global_store_dwordx2 v[70:71], v[64:65], off
	s_or_b64 exec, exec, s[40:41]
	v_cmp_lt_u32_e64 s[38:39], v7, v183
	s_and_saveexec_b64 s[42:43], s[38:39]
	s_cbranch_execnz .LBB1119_487
.LBB1119_472:                           ;   in Loop: Header=BB1119_392 Depth=2
	s_or_b64 exec, exec, s[42:43]
	v_cmp_lt_u32_e64 s[40:41], v6, v183
	s_and_saveexec_b64 s[44:45], s[40:41]
	s_cbranch_execz .LBB1119_488
.LBB1119_473:                           ;   in Loop: Header=BB1119_392 Depth=2
	ds_read_b64 v[64:65], v104 offset:4096
	v_mov_b32_e32 v71, v4
	s_waitcnt lgkmcnt(0)
	v_cmp_ne_u64_e32 vcc, s[90:91], v[64:65]
	v_cndmask_b32_e32 v89, v133, v65, vcc
	v_cndmask_b32_e32 v88, -1, v64, vcc
	v_lshrrev_b64 v[88:89], s69, v[88:89]
	v_and_b32_e32 v70, s95, v88
	v_lshlrev_b32_e32 v70, 2, v70
	ds_read_b32 v70, v70
	v_cmp_gt_i64_e64 s[42:43], 0, v[64:65]
	v_cndmask_b32_e64 v69, v133, 0, s[42:43]
	v_ashrrev_i32_e32 v73, 31, v65
	v_not_b32_e32 v73, v73
	s_waitcnt lgkmcnt(0)
	v_add_u32_e32 v70, v70, v6
	v_lshlrev_b64 v[70:71], 3, v[70:71]
	v_xor_b32_e32 v65, v69, v65
	v_mov_b32_e32 v69, s77
	v_add_co_u32_e32 v70, vcc, s76, v70
	v_xor_b32_e32 v64, v73, v64
	v_addc_co_u32_e32 v71, vcc, v69, v71, vcc
	global_store_dwordx2 v[70:71], v[64:65], off
	s_or_b64 exec, exec, s[44:45]
	v_cmp_lt_u32_e64 s[42:43], v8, v183
	s_and_saveexec_b64 s[46:47], s[42:43]
	s_cbranch_execnz .LBB1119_489
.LBB1119_474:                           ;   in Loop: Header=BB1119_392 Depth=2
	s_or_b64 exec, exec, s[46:47]
	v_cmp_lt_u32_e64 s[44:45], v10, v183
	s_and_saveexec_b64 s[48:49], s[44:45]
	s_cbranch_execz .LBB1119_490
.LBB1119_475:                           ;   in Loop: Header=BB1119_392 Depth=2
	ds_read_b64 v[64:65], v104 offset:8192
	v_mov_b32_e32 v71, v4
	s_waitcnt lgkmcnt(0)
	v_cmp_ne_u64_e32 vcc, s[90:91], v[64:65]
	v_cndmask_b32_e32 v89, v133, v65, vcc
	v_cndmask_b32_e32 v88, -1, v64, vcc
	v_lshrrev_b64 v[88:89], s69, v[88:89]
	v_and_b32_e32 v70, s95, v88
	v_lshlrev_b32_e32 v70, 2, v70
	ds_read_b32 v70, v70
	v_cmp_gt_i64_e64 s[46:47], 0, v[64:65]
	v_cndmask_b32_e64 v69, v133, 0, s[46:47]
	v_ashrrev_i32_e32 v73, 31, v65
	v_not_b32_e32 v73, v73
	s_waitcnt lgkmcnt(0)
	v_add_u32_e32 v70, v70, v10
	v_lshlrev_b64 v[70:71], 3, v[70:71]
	v_xor_b32_e32 v65, v69, v65
	v_mov_b32_e32 v69, s77
	v_add_co_u32_e32 v70, vcc, s76, v70
	v_xor_b32_e32 v64, v73, v64
	v_addc_co_u32_e32 v71, vcc, v69, v71, vcc
	global_store_dwordx2 v[70:71], v[64:65], off
	s_or_b64 exec, exec, s[48:49]
	v_cmp_lt_u32_e64 s[46:47], v12, v183
	s_and_saveexec_b64 s[50:51], s[46:47]
	s_cbranch_execnz .LBB1119_491
.LBB1119_476:                           ;   in Loop: Header=BB1119_392 Depth=2
	s_or_b64 exec, exec, s[50:51]
	v_cmp_lt_u32_e64 s[48:49], v14, v183
	s_and_saveexec_b64 s[52:53], s[48:49]
	s_cbranch_execz .LBB1119_492
.LBB1119_477:                           ;   in Loop: Header=BB1119_392 Depth=2
	ds_read_b64 v[64:65], v104 offset:12288
	v_mov_b32_e32 v71, v4
	s_waitcnt lgkmcnt(0)
	v_cmp_ne_u64_e32 vcc, s[90:91], v[64:65]
	v_cndmask_b32_e32 v89, v133, v65, vcc
	v_cndmask_b32_e32 v88, -1, v64, vcc
	v_lshrrev_b64 v[88:89], s69, v[88:89]
	v_and_b32_e32 v70, s95, v88
	v_lshlrev_b32_e32 v70, 2, v70
	ds_read_b32 v70, v70
	v_cmp_gt_i64_e64 s[50:51], 0, v[64:65]
	v_cndmask_b32_e64 v69, v133, 0, s[50:51]
	v_ashrrev_i32_e32 v73, 31, v65
	v_not_b32_e32 v73, v73
	s_waitcnt lgkmcnt(0)
	v_add_u32_e32 v70, v70, v14
	v_lshlrev_b64 v[70:71], 3, v[70:71]
	v_xor_b32_e32 v65, v69, v65
	v_mov_b32_e32 v69, s77
	v_add_co_u32_e32 v70, vcc, s76, v70
	v_xor_b32_e32 v64, v73, v64
	v_addc_co_u32_e32 v71, vcc, v69, v71, vcc
	global_store_dwordx2 v[70:71], v[64:65], off
	s_or_b64 exec, exec, s[52:53]
	v_cmp_lt_u32_e64 s[50:51], v16, v183
	s_and_saveexec_b64 s[54:55], s[50:51]
	s_cbranch_execnz .LBB1119_493
.LBB1119_478:                           ;   in Loop: Header=BB1119_392 Depth=2
	s_or_b64 exec, exec, s[54:55]
	v_cmp_lt_u32_e64 s[52:53], v18, v183
	s_and_saveexec_b64 s[56:57], s[52:53]
	s_cbranch_execz .LBB1119_494
.LBB1119_479:                           ;   in Loop: Header=BB1119_392 Depth=2
	ds_read_b64 v[64:65], v104 offset:16384
	v_mov_b32_e32 v71, v4
	s_waitcnt lgkmcnt(0)
	v_cmp_ne_u64_e32 vcc, s[90:91], v[64:65]
	v_cndmask_b32_e32 v89, v133, v65, vcc
	v_cndmask_b32_e32 v88, -1, v64, vcc
	v_lshrrev_b64 v[88:89], s69, v[88:89]
	v_and_b32_e32 v70, s95, v88
	v_lshlrev_b32_e32 v70, 2, v70
	ds_read_b32 v70, v70
	v_cmp_gt_i64_e64 s[54:55], 0, v[64:65]
	v_cndmask_b32_e64 v69, v133, 0, s[54:55]
	v_ashrrev_i32_e32 v73, 31, v65
	v_not_b32_e32 v73, v73
	s_waitcnt lgkmcnt(0)
	v_add_u32_e32 v70, v70, v18
	v_lshlrev_b64 v[70:71], 3, v[70:71]
	v_xor_b32_e32 v65, v69, v65
	v_mov_b32_e32 v69, s77
	v_add_co_u32_e32 v70, vcc, s76, v70
	v_xor_b32_e32 v64, v73, v64
	v_addc_co_u32_e32 v71, vcc, v69, v71, vcc
	global_store_dwordx2 v[70:71], v[64:65], off
	s_or_b64 exec, exec, s[56:57]
	v_cmp_lt_u32_e64 s[54:55], v20, v183
	s_and_saveexec_b64 s[58:59], s[54:55]
	s_cbranch_execnz .LBB1119_495
.LBB1119_480:                           ;   in Loop: Header=BB1119_392 Depth=2
	s_or_b64 exec, exec, s[58:59]
	v_cmp_lt_u32_e64 s[56:57], v22, v183
	s_and_saveexec_b64 s[60:61], s[56:57]
	s_cbranch_execz .LBB1119_496
.LBB1119_481:                           ;   in Loop: Header=BB1119_392 Depth=2
	ds_read_b64 v[64:65], v104 offset:20480
	v_mov_b32_e32 v71, v4
	s_waitcnt lgkmcnt(0)
	v_cmp_ne_u64_e32 vcc, s[90:91], v[64:65]
	v_cndmask_b32_e32 v89, v133, v65, vcc
	v_cndmask_b32_e32 v88, -1, v64, vcc
	v_lshrrev_b64 v[88:89], s69, v[88:89]
	v_and_b32_e32 v70, s95, v88
	v_lshlrev_b32_e32 v70, 2, v70
	ds_read_b32 v70, v70
	v_cmp_gt_i64_e64 s[58:59], 0, v[64:65]
	v_cndmask_b32_e64 v69, v133, 0, s[58:59]
	v_ashrrev_i32_e32 v73, 31, v65
	v_not_b32_e32 v73, v73
	s_waitcnt lgkmcnt(0)
	v_add_u32_e32 v70, v70, v22
	v_lshlrev_b64 v[70:71], 3, v[70:71]
	v_xor_b32_e32 v65, v69, v65
	v_mov_b32_e32 v69, s77
	v_add_co_u32_e32 v70, vcc, s76, v70
	v_xor_b32_e32 v64, v73, v64
	v_addc_co_u32_e32 v71, vcc, v69, v71, vcc
	global_store_dwordx2 v[70:71], v[64:65], off
	s_or_b64 exec, exec, s[60:61]
	v_cmp_lt_u32_e64 s[58:59], v24, v183
	s_and_saveexec_b64 s[62:63], s[58:59]
	s_cbranch_execnz .LBB1119_497
.LBB1119_482:                           ;   in Loop: Header=BB1119_392 Depth=2
	s_or_b64 exec, exec, s[62:63]
	v_cmp_lt_u32_e64 s[60:61], v26, v183
	s_and_saveexec_b64 s[64:65], s[60:61]
	s_cbranch_execz .LBB1119_498
.LBB1119_483:                           ;   in Loop: Header=BB1119_392 Depth=2
	ds_read_b64 v[64:65], v104 offset:24576
	v_mov_b32_e32 v71, v4
	s_waitcnt lgkmcnt(0)
	v_cmp_ne_u64_e32 vcc, s[90:91], v[64:65]
	v_cndmask_b32_e32 v89, v133, v65, vcc
	v_cndmask_b32_e32 v88, -1, v64, vcc
	v_lshrrev_b64 v[88:89], s69, v[88:89]
	v_and_b32_e32 v70, s95, v88
	v_lshlrev_b32_e32 v70, 2, v70
	ds_read_b32 v70, v70
	v_cmp_gt_i64_e64 s[62:63], 0, v[64:65]
	v_cndmask_b32_e64 v69, v133, 0, s[62:63]
	v_ashrrev_i32_e32 v73, 31, v65
	v_not_b32_e32 v73, v73
	s_waitcnt lgkmcnt(0)
	v_add_u32_e32 v70, v70, v26
	v_lshlrev_b64 v[70:71], 3, v[70:71]
	v_xor_b32_e32 v65, v69, v65
	v_mov_b32_e32 v69, s77
	v_add_co_u32_e32 v70, vcc, s76, v70
	v_xor_b32_e32 v64, v73, v64
	v_addc_co_u32_e32 v71, vcc, v69, v71, vcc
	global_store_dwordx2 v[70:71], v[64:65], off
	s_or_b64 exec, exec, s[64:65]
	v_cmp_lt_u32_e64 s[62:63], v28, v183
	s_and_saveexec_b64 s[66:67], s[62:63]
	s_cbranch_execnz .LBB1119_499
.LBB1119_484:                           ;   in Loop: Header=BB1119_392 Depth=2
	s_or_b64 exec, exec, s[66:67]
	v_cmp_lt_u32_e64 s[64:65], v30, v183
	s_and_saveexec_b64 s[78:79], s[64:65]
	s_cbranch_execz .LBB1119_500
.LBB1119_485:                           ;   in Loop: Header=BB1119_392 Depth=2
	ds_read_b64 v[64:65], v104 offset:28672
	v_mov_b32_e32 v71, v4
	s_waitcnt lgkmcnt(0)
	v_cmp_ne_u64_e32 vcc, s[90:91], v[64:65]
	v_cndmask_b32_e32 v89, v133, v65, vcc
	v_cndmask_b32_e32 v88, -1, v64, vcc
	v_lshrrev_b64 v[88:89], s69, v[88:89]
	v_and_b32_e32 v70, s95, v88
	v_lshlrev_b32_e32 v70, 2, v70
	ds_read_b32 v70, v70
	v_cmp_gt_i64_e64 s[66:67], 0, v[64:65]
	v_cndmask_b32_e64 v69, v133, 0, s[66:67]
	v_ashrrev_i32_e32 v73, 31, v65
	v_not_b32_e32 v73, v73
	s_waitcnt lgkmcnt(0)
	v_add_u32_e32 v70, v70, v30
	v_lshlrev_b64 v[70:71], 3, v[70:71]
	v_xor_b32_e32 v65, v69, v65
	v_mov_b32_e32 v69, s77
	v_add_co_u32_e32 v70, vcc, s76, v70
	v_xor_b32_e32 v64, v73, v64
	v_addc_co_u32_e32 v71, vcc, v69, v71, vcc
	global_store_dwordx2 v[70:71], v[64:65], off
	s_or_b64 exec, exec, s[78:79]
	v_cmp_lt_u32_e64 s[66:67], v32, v183
	s_and_saveexec_b64 s[78:79], s[66:67]
	s_cbranch_execnz .LBB1119_501
	s_branch .LBB1119_502
.LBB1119_486:                           ;   in Loop: Header=BB1119_392 Depth=2
	s_or_b64 exec, exec, s[40:41]
	v_cmp_lt_u32_e64 s[38:39], v7, v183
	s_and_saveexec_b64 s[42:43], s[38:39]
	s_cbranch_execz .LBB1119_472
.LBB1119_487:                           ;   in Loop: Header=BB1119_392 Depth=2
	ds_read_b64 v[64:65], v104 offset:2048
	v_mov_b32_e32 v71, v4
	s_waitcnt lgkmcnt(0)
	v_cmp_ne_u64_e32 vcc, s[90:91], v[64:65]
	v_cndmask_b32_e32 v89, v133, v65, vcc
	v_cndmask_b32_e32 v88, -1, v64, vcc
	v_lshrrev_b64 v[88:89], s69, v[88:89]
	v_and_b32_e32 v70, s95, v88
	v_lshlrev_b32_e32 v70, 2, v70
	ds_read_b32 v70, v70
	v_cmp_gt_i64_e64 s[40:41], 0, v[64:65]
	v_cndmask_b32_e64 v69, v133, 0, s[40:41]
	v_ashrrev_i32_e32 v73, 31, v65
	v_not_b32_e32 v73, v73
	s_waitcnt lgkmcnt(0)
	v_add_u32_e32 v70, v70, v7
	v_lshlrev_b64 v[70:71], 3, v[70:71]
	v_xor_b32_e32 v65, v69, v65
	v_mov_b32_e32 v69, s77
	v_add_co_u32_e32 v70, vcc, s76, v70
	v_xor_b32_e32 v64, v73, v64
	v_addc_co_u32_e32 v71, vcc, v69, v71, vcc
	global_store_dwordx2 v[70:71], v[64:65], off
	s_or_b64 exec, exec, s[42:43]
	v_cmp_lt_u32_e64 s[40:41], v6, v183
	s_and_saveexec_b64 s[44:45], s[40:41]
	s_cbranch_execnz .LBB1119_473
.LBB1119_488:                           ;   in Loop: Header=BB1119_392 Depth=2
	s_or_b64 exec, exec, s[44:45]
	v_cmp_lt_u32_e64 s[42:43], v8, v183
	s_and_saveexec_b64 s[46:47], s[42:43]
	s_cbranch_execz .LBB1119_474
.LBB1119_489:                           ;   in Loop: Header=BB1119_392 Depth=2
	ds_read_b64 v[64:65], v104 offset:6144
	v_mov_b32_e32 v71, v4
	s_waitcnt lgkmcnt(0)
	v_cmp_ne_u64_e32 vcc, s[90:91], v[64:65]
	v_cndmask_b32_e32 v89, v133, v65, vcc
	v_cndmask_b32_e32 v88, -1, v64, vcc
	v_lshrrev_b64 v[88:89], s69, v[88:89]
	v_and_b32_e32 v70, s95, v88
	v_lshlrev_b32_e32 v70, 2, v70
	ds_read_b32 v70, v70
	v_cmp_gt_i64_e64 s[44:45], 0, v[64:65]
	v_cndmask_b32_e64 v69, v133, 0, s[44:45]
	v_ashrrev_i32_e32 v73, 31, v65
	v_not_b32_e32 v73, v73
	s_waitcnt lgkmcnt(0)
	v_add_u32_e32 v70, v70, v8
	v_lshlrev_b64 v[70:71], 3, v[70:71]
	v_xor_b32_e32 v65, v69, v65
	v_mov_b32_e32 v69, s77
	v_add_co_u32_e32 v70, vcc, s76, v70
	v_xor_b32_e32 v64, v73, v64
	v_addc_co_u32_e32 v71, vcc, v69, v71, vcc
	global_store_dwordx2 v[70:71], v[64:65], off
	s_or_b64 exec, exec, s[46:47]
	v_cmp_lt_u32_e64 s[44:45], v10, v183
	s_and_saveexec_b64 s[48:49], s[44:45]
	s_cbranch_execnz .LBB1119_475
.LBB1119_490:                           ;   in Loop: Header=BB1119_392 Depth=2
	s_or_b64 exec, exec, s[48:49]
	v_cmp_lt_u32_e64 s[46:47], v12, v183
	s_and_saveexec_b64 s[50:51], s[46:47]
	s_cbranch_execz .LBB1119_476
.LBB1119_491:                           ;   in Loop: Header=BB1119_392 Depth=2
	ds_read_b64 v[64:65], v104 offset:10240
	v_mov_b32_e32 v71, v4
	s_waitcnt lgkmcnt(0)
	v_cmp_ne_u64_e32 vcc, s[90:91], v[64:65]
	v_cndmask_b32_e32 v89, v133, v65, vcc
	v_cndmask_b32_e32 v88, -1, v64, vcc
	v_lshrrev_b64 v[88:89], s69, v[88:89]
	v_and_b32_e32 v70, s95, v88
	v_lshlrev_b32_e32 v70, 2, v70
	ds_read_b32 v70, v70
	v_cmp_gt_i64_e64 s[48:49], 0, v[64:65]
	v_cndmask_b32_e64 v69, v133, 0, s[48:49]
	v_ashrrev_i32_e32 v73, 31, v65
	v_not_b32_e32 v73, v73
	s_waitcnt lgkmcnt(0)
	v_add_u32_e32 v70, v70, v12
	v_lshlrev_b64 v[70:71], 3, v[70:71]
	v_xor_b32_e32 v65, v69, v65
	v_mov_b32_e32 v69, s77
	v_add_co_u32_e32 v70, vcc, s76, v70
	v_xor_b32_e32 v64, v73, v64
	v_addc_co_u32_e32 v71, vcc, v69, v71, vcc
	global_store_dwordx2 v[70:71], v[64:65], off
	s_or_b64 exec, exec, s[50:51]
	v_cmp_lt_u32_e64 s[48:49], v14, v183
	s_and_saveexec_b64 s[52:53], s[48:49]
	s_cbranch_execnz .LBB1119_477
.LBB1119_492:                           ;   in Loop: Header=BB1119_392 Depth=2
	s_or_b64 exec, exec, s[52:53]
	v_cmp_lt_u32_e64 s[50:51], v16, v183
	s_and_saveexec_b64 s[54:55], s[50:51]
	s_cbranch_execz .LBB1119_478
.LBB1119_493:                           ;   in Loop: Header=BB1119_392 Depth=2
	ds_read_b64 v[64:65], v104 offset:14336
	v_mov_b32_e32 v71, v4
	s_waitcnt lgkmcnt(0)
	v_cmp_ne_u64_e32 vcc, s[90:91], v[64:65]
	v_cndmask_b32_e32 v89, v133, v65, vcc
	v_cndmask_b32_e32 v88, -1, v64, vcc
	v_lshrrev_b64 v[88:89], s69, v[88:89]
	v_and_b32_e32 v70, s95, v88
	v_lshlrev_b32_e32 v70, 2, v70
	ds_read_b32 v70, v70
	v_cmp_gt_i64_e64 s[52:53], 0, v[64:65]
	v_cndmask_b32_e64 v69, v133, 0, s[52:53]
	v_ashrrev_i32_e32 v73, 31, v65
	v_not_b32_e32 v73, v73
	s_waitcnt lgkmcnt(0)
	v_add_u32_e32 v70, v70, v16
	v_lshlrev_b64 v[70:71], 3, v[70:71]
	v_xor_b32_e32 v65, v69, v65
	v_mov_b32_e32 v69, s77
	v_add_co_u32_e32 v70, vcc, s76, v70
	v_xor_b32_e32 v64, v73, v64
	v_addc_co_u32_e32 v71, vcc, v69, v71, vcc
	global_store_dwordx2 v[70:71], v[64:65], off
	s_or_b64 exec, exec, s[54:55]
	v_cmp_lt_u32_e64 s[52:53], v18, v183
	s_and_saveexec_b64 s[56:57], s[52:53]
	s_cbranch_execnz .LBB1119_479
.LBB1119_494:                           ;   in Loop: Header=BB1119_392 Depth=2
	s_or_b64 exec, exec, s[56:57]
	v_cmp_lt_u32_e64 s[54:55], v20, v183
	s_and_saveexec_b64 s[58:59], s[54:55]
	s_cbranch_execz .LBB1119_480
.LBB1119_495:                           ;   in Loop: Header=BB1119_392 Depth=2
	ds_read_b64 v[64:65], v104 offset:18432
	v_mov_b32_e32 v71, v4
	s_waitcnt lgkmcnt(0)
	v_cmp_ne_u64_e32 vcc, s[90:91], v[64:65]
	v_cndmask_b32_e32 v89, v133, v65, vcc
	v_cndmask_b32_e32 v88, -1, v64, vcc
	v_lshrrev_b64 v[88:89], s69, v[88:89]
	v_and_b32_e32 v70, s95, v88
	v_lshlrev_b32_e32 v70, 2, v70
	ds_read_b32 v70, v70
	v_cmp_gt_i64_e64 s[56:57], 0, v[64:65]
	v_cndmask_b32_e64 v69, v133, 0, s[56:57]
	v_ashrrev_i32_e32 v73, 31, v65
	v_not_b32_e32 v73, v73
	s_waitcnt lgkmcnt(0)
	v_add_u32_e32 v70, v70, v20
	v_lshlrev_b64 v[70:71], 3, v[70:71]
	v_xor_b32_e32 v65, v69, v65
	v_mov_b32_e32 v69, s77
	v_add_co_u32_e32 v70, vcc, s76, v70
	v_xor_b32_e32 v64, v73, v64
	v_addc_co_u32_e32 v71, vcc, v69, v71, vcc
	global_store_dwordx2 v[70:71], v[64:65], off
	s_or_b64 exec, exec, s[58:59]
	v_cmp_lt_u32_e64 s[56:57], v22, v183
	s_and_saveexec_b64 s[60:61], s[56:57]
	s_cbranch_execnz .LBB1119_481
.LBB1119_496:                           ;   in Loop: Header=BB1119_392 Depth=2
	s_or_b64 exec, exec, s[60:61]
	v_cmp_lt_u32_e64 s[58:59], v24, v183
	s_and_saveexec_b64 s[62:63], s[58:59]
	s_cbranch_execz .LBB1119_482
.LBB1119_497:                           ;   in Loop: Header=BB1119_392 Depth=2
	ds_read_b64 v[64:65], v104 offset:22528
	v_mov_b32_e32 v71, v4
	s_waitcnt lgkmcnt(0)
	v_cmp_ne_u64_e32 vcc, s[90:91], v[64:65]
	v_cndmask_b32_e32 v89, v133, v65, vcc
	v_cndmask_b32_e32 v88, -1, v64, vcc
	v_lshrrev_b64 v[88:89], s69, v[88:89]
	v_and_b32_e32 v70, s95, v88
	v_lshlrev_b32_e32 v70, 2, v70
	ds_read_b32 v70, v70
	v_cmp_gt_i64_e64 s[60:61], 0, v[64:65]
	v_cndmask_b32_e64 v69, v133, 0, s[60:61]
	v_ashrrev_i32_e32 v73, 31, v65
	v_not_b32_e32 v73, v73
	s_waitcnt lgkmcnt(0)
	v_add_u32_e32 v70, v70, v24
	v_lshlrev_b64 v[70:71], 3, v[70:71]
	v_xor_b32_e32 v65, v69, v65
	v_mov_b32_e32 v69, s77
	v_add_co_u32_e32 v70, vcc, s76, v70
	v_xor_b32_e32 v64, v73, v64
	v_addc_co_u32_e32 v71, vcc, v69, v71, vcc
	global_store_dwordx2 v[70:71], v[64:65], off
	s_or_b64 exec, exec, s[62:63]
	v_cmp_lt_u32_e64 s[60:61], v26, v183
	s_and_saveexec_b64 s[64:65], s[60:61]
	s_cbranch_execnz .LBB1119_483
.LBB1119_498:                           ;   in Loop: Header=BB1119_392 Depth=2
	s_or_b64 exec, exec, s[64:65]
	v_cmp_lt_u32_e64 s[62:63], v28, v183
	s_and_saveexec_b64 s[66:67], s[62:63]
	s_cbranch_execz .LBB1119_484
.LBB1119_499:                           ;   in Loop: Header=BB1119_392 Depth=2
	ds_read_b64 v[64:65], v104 offset:26624
	v_mov_b32_e32 v71, v4
	s_waitcnt lgkmcnt(0)
	v_cmp_ne_u64_e32 vcc, s[90:91], v[64:65]
	v_cndmask_b32_e32 v89, v133, v65, vcc
	v_cndmask_b32_e32 v88, -1, v64, vcc
	v_lshrrev_b64 v[88:89], s69, v[88:89]
	v_and_b32_e32 v70, s95, v88
	v_lshlrev_b32_e32 v70, 2, v70
	ds_read_b32 v70, v70
	v_cmp_gt_i64_e64 s[64:65], 0, v[64:65]
	v_cndmask_b32_e64 v69, v133, 0, s[64:65]
	v_ashrrev_i32_e32 v73, 31, v65
	v_not_b32_e32 v73, v73
	s_waitcnt lgkmcnt(0)
	v_add_u32_e32 v70, v70, v28
	v_lshlrev_b64 v[70:71], 3, v[70:71]
	v_xor_b32_e32 v65, v69, v65
	v_mov_b32_e32 v69, s77
	v_add_co_u32_e32 v70, vcc, s76, v70
	v_xor_b32_e32 v64, v73, v64
	v_addc_co_u32_e32 v71, vcc, v69, v71, vcc
	global_store_dwordx2 v[70:71], v[64:65], off
	s_or_b64 exec, exec, s[66:67]
	v_cmp_lt_u32_e64 s[64:65], v30, v183
	s_and_saveexec_b64 s[78:79], s[64:65]
	s_cbranch_execnz .LBB1119_485
.LBB1119_500:                           ;   in Loop: Header=BB1119_392 Depth=2
	s_or_b64 exec, exec, s[78:79]
	v_cmp_lt_u32_e64 s[66:67], v32, v183
	s_and_saveexec_b64 s[78:79], s[66:67]
	s_cbranch_execz .LBB1119_502
.LBB1119_501:                           ;   in Loop: Header=BB1119_392 Depth=2
	ds_read_b64 v[64:65], v104 offset:30720
	s_waitcnt lgkmcnt(0)
	v_cmp_ne_u64_e32 vcc, s[90:91], v[64:65]
	v_cndmask_b32_e32 v71, v133, v65, vcc
	v_cndmask_b32_e32 v70, -1, v64, vcc
	v_lshrrev_b64 v[70:71], s69, v[70:71]
	v_and_b32_e32 v69, s95, v70
	v_lshlrev_b32_e32 v69, 2, v69
	ds_read_b32 v69, v69
	v_cmp_gt_i64_e32 vcc, 0, v[64:65]
	v_ashrrev_i32_e32 v71, 31, v65
	v_cndmask_b32_e64 v70, v133, 0, vcc
	v_not_b32_e32 v71, v71
	v_xor_b32_e32 v65, v70, v65
	v_xor_b32_e32 v64, v71, v64
	s_waitcnt lgkmcnt(0)
	v_add_u32_e32 v70, v69, v32
	v_mov_b32_e32 v71, v4
	v_lshlrev_b64 v[70:71], 3, v[70:71]
	v_add_co_u32_e32 v70, vcc, s76, v70
	v_mov_b32_e32 v69, s77
	v_addc_co_u32_e32 v71, vcc, v69, v71, vcc
	global_store_dwordx2 v[70:71], v[64:65], off
.LBB1119_502:                           ;   in Loop: Header=BB1119_392 Depth=2
	s_or_b64 exec, exec, s[78:79]
	s_mov_b32 s71, s90
	s_lshl_b64 s[70:71], s[70:71], 3
	v_mov_b32_e32 v65, s71
	v_add_co_u32_e32 v64, vcc, s70, v160
	v_addc_co_u32_e32 v65, vcc, v161, v65, vcc
	v_cmp_lt_u32_e32 vcc, v143, v183
	s_and_saveexec_b64 s[70:71], vcc
	s_xor_b64 s[70:71], exec, s[70:71]
	s_cbranch_execz .LBB1119_534
; %bb.503:                              ;   in Loop: Header=BB1119_392 Depth=2
	global_load_dwordx2 v[62:63], v[64:65], off
	s_or_b64 exec, exec, s[70:71]
	v_cmp_lt_u32_e32 vcc, v144, v183
	s_and_saveexec_b64 s[70:71], vcc
	s_cbranch_execnz .LBB1119_535
.LBB1119_504:                           ;   in Loop: Header=BB1119_392 Depth=2
	s_or_b64 exec, exec, s[70:71]
	v_cmp_lt_u32_e32 vcc, v145, v183
	s_and_saveexec_b64 s[70:71], vcc
	s_cbranch_execz .LBB1119_536
.LBB1119_505:                           ;   in Loop: Header=BB1119_392 Depth=2
	global_load_dwordx2 v[58:59], v[64:65], off offset:1024
	s_or_b64 exec, exec, s[70:71]
	v_cmp_lt_u32_e32 vcc, v146, v183
	s_and_saveexec_b64 s[70:71], vcc
	s_cbranch_execnz .LBB1119_537
.LBB1119_506:                           ;   in Loop: Header=BB1119_392 Depth=2
	s_or_b64 exec, exec, s[70:71]
	v_cmp_lt_u32_e32 vcc, v147, v183
	s_and_saveexec_b64 s[70:71], vcc
	s_cbranch_execz .LBB1119_538
.LBB1119_507:                           ;   in Loop: Header=BB1119_392 Depth=2
	global_load_dwordx2 v[50:51], v[64:65], off offset:2048
	s_or_b64 exec, exec, s[70:71]
	v_cmp_lt_u32_e32 vcc, v148, v183
	s_and_saveexec_b64 s[70:71], vcc
	s_cbranch_execnz .LBB1119_539
.LBB1119_508:                           ;   in Loop: Header=BB1119_392 Depth=2
	s_or_b64 exec, exec, s[70:71]
	v_cmp_lt_u32_e32 vcc, v149, v183
	s_and_saveexec_b64 s[70:71], vcc
	s_cbranch_execz .LBB1119_540
.LBB1119_509:                           ;   in Loop: Header=BB1119_392 Depth=2
	global_load_dwordx2 v[42:43], v[64:65], off offset:3072
	s_or_b64 exec, exec, s[70:71]
	v_cmp_lt_u32_e32 vcc, v150, v183
	s_and_saveexec_b64 s[70:71], vcc
	s_cbranch_execnz .LBB1119_541
.LBB1119_510:                           ;   in Loop: Header=BB1119_392 Depth=2
	s_or_b64 exec, exec, s[70:71]
	v_cmp_lt_u32_e32 vcc, v151, v183
	s_and_saveexec_b64 s[70:71], vcc
	s_cbranch_execz .LBB1119_542
.LBB1119_511:                           ;   in Loop: Header=BB1119_392 Depth=2
	v_add_co_u32_e32 v56, vcc, 0x1000, v64
	v_addc_co_u32_e32 v57, vcc, 0, v65, vcc
	global_load_dwordx2 v[56:57], v[56:57], off
	s_or_b64 exec, exec, s[70:71]
	v_cmp_lt_u32_e32 vcc, v152, v183
	s_and_saveexec_b64 s[70:71], vcc
	s_cbranch_execnz .LBB1119_543
.LBB1119_512:                           ;   in Loop: Header=BB1119_392 Depth=2
	s_or_b64 exec, exec, s[70:71]
	v_cmp_lt_u32_e32 vcc, v153, v183
	s_and_saveexec_b64 s[70:71], vcc
	s_cbranch_execz .LBB1119_544
.LBB1119_513:                           ;   in Loop: Header=BB1119_392 Depth=2
	v_add_co_u32_e32 v48, vcc, 0x1000, v64
	v_addc_co_u32_e32 v49, vcc, 0, v65, vcc
	global_load_dwordx2 v[48:49], v[48:49], off offset:1024
	s_or_b64 exec, exec, s[70:71]
	v_cmp_lt_u32_e32 vcc, v154, v183
	s_and_saveexec_b64 s[70:71], vcc
	s_cbranch_execnz .LBB1119_545
.LBB1119_514:                           ;   in Loop: Header=BB1119_392 Depth=2
	s_or_b64 exec, exec, s[70:71]
	v_cmp_lt_u32_e32 vcc, v155, v183
	s_and_saveexec_b64 s[70:71], vcc
	s_cbranch_execz .LBB1119_546
.LBB1119_515:                           ;   in Loop: Header=BB1119_392 Depth=2
	v_add_co_u32_e32 v40, vcc, 0x1000, v64
	v_addc_co_u32_e32 v41, vcc, 0, v65, vcc
	global_load_dwordx2 v[40:41], v[40:41], off offset:2048
	s_or_b64 exec, exec, s[70:71]
	v_cmp_lt_u32_e32 vcc, v156, v183
	s_and_saveexec_b64 s[70:71], vcc
	s_cbranch_execnz .LBB1119_547
.LBB1119_516:                           ;   in Loop: Header=BB1119_392 Depth=2
	s_or_b64 exec, exec, s[70:71]
	v_cmp_lt_u32_e32 vcc, v157, v183
	s_and_saveexec_b64 s[70:71], vcc
	s_cbranch_execz .LBB1119_548
.LBB1119_517:                           ;   in Loop: Header=BB1119_392 Depth=2
	v_add_co_u32_e32 v34, vcc, 0x1000, v64
	v_addc_co_u32_e32 v35, vcc, 0, v65, vcc
	global_load_dwordx2 v[34:35], v[34:35], off offset:3072
	s_or_b64 exec, exec, s[70:71]
	v_cmp_lt_u32_e32 vcc, v158, v183
	s_and_saveexec_b64 s[70:71], vcc
	s_cbranch_execnz .LBB1119_549
.LBB1119_518:                           ;   in Loop: Header=BB1119_392 Depth=2
	s_or_b64 exec, exec, s[70:71]
	s_and_saveexec_b64 s[70:71], s[36:37]
	s_cbranch_execz .LBB1119_550
.LBB1119_519:                           ;   in Loop: Header=BB1119_392 Depth=2
	v_add_u32_e32 v64, v33, v3
	ds_read_b64 v[64:65], v64 offset:1024
	s_waitcnt lgkmcnt(0)
	v_cmp_ne_u64_e32 vcc, s[90:91], v[64:65]
	v_cndmask_b32_e32 v65, v133, v65, vcc
	v_cndmask_b32_e32 v64, -1, v64, vcc
	v_lshrrev_b64 v[64:65], s69, v[64:65]
	v_and_b32_e32 v182, s95, v64
	s_or_b64 exec, exec, s[70:71]
	s_and_saveexec_b64 s[70:71], s[38:39]
	s_cbranch_execnz .LBB1119_551
.LBB1119_520:                           ;   in Loop: Header=BB1119_392 Depth=2
	s_or_b64 exec, exec, s[70:71]
	s_and_saveexec_b64 s[70:71], s[40:41]
	s_cbranch_execz .LBB1119_552
.LBB1119_521:                           ;   in Loop: Header=BB1119_392 Depth=2
	ds_read_b64 v[64:65], v104 offset:4096
	s_waitcnt lgkmcnt(0)
	v_cmp_ne_u64_e32 vcc, s[90:91], v[64:65]
	v_cndmask_b32_e32 v65, v133, v65, vcc
	v_cndmask_b32_e32 v64, -1, v64, vcc
	v_lshrrev_b64 v[64:65], s69, v[64:65]
	v_and_b32_e32 v180, s95, v64
	s_or_b64 exec, exec, s[70:71]
	s_and_saveexec_b64 s[70:71], s[42:43]
	s_cbranch_execnz .LBB1119_553
.LBB1119_522:                           ;   in Loop: Header=BB1119_392 Depth=2
	s_or_b64 exec, exec, s[70:71]
	s_and_saveexec_b64 s[70:71], s[44:45]
	s_cbranch_execz .LBB1119_554
.LBB1119_523:                           ;   in Loop: Header=BB1119_392 Depth=2
	ds_read_b64 v[64:65], v104 offset:8192
	s_waitcnt lgkmcnt(0)
	v_cmp_ne_u64_e32 vcc, s[90:91], v[64:65]
	v_cndmask_b32_e32 v65, v133, v65, vcc
	v_cndmask_b32_e32 v64, -1, v64, vcc
	v_lshrrev_b64 v[64:65], s69, v[64:65]
	v_and_b32_e32 v178, s95, v64
	s_or_b64 exec, exec, s[70:71]
	s_and_saveexec_b64 s[70:71], s[46:47]
	s_cbranch_execnz .LBB1119_555
.LBB1119_524:                           ;   in Loop: Header=BB1119_392 Depth=2
	s_or_b64 exec, exec, s[70:71]
	s_and_saveexec_b64 s[70:71], s[48:49]
	s_cbranch_execz .LBB1119_556
.LBB1119_525:                           ;   in Loop: Header=BB1119_392 Depth=2
	ds_read_b64 v[64:65], v104 offset:12288
	s_waitcnt lgkmcnt(0)
	v_cmp_ne_u64_e32 vcc, s[90:91], v[64:65]
	v_cndmask_b32_e32 v65, v133, v65, vcc
	v_cndmask_b32_e32 v64, -1, v64, vcc
	v_lshrrev_b64 v[64:65], s69, v[64:65]
	v_and_b32_e32 v175, s95, v64
	s_or_b64 exec, exec, s[70:71]
	s_and_saveexec_b64 s[70:71], s[50:51]
	s_cbranch_execnz .LBB1119_557
.LBB1119_526:                           ;   in Loop: Header=BB1119_392 Depth=2
	s_or_b64 exec, exec, s[70:71]
	s_and_saveexec_b64 s[70:71], s[52:53]
	s_cbranch_execz .LBB1119_558
.LBB1119_527:                           ;   in Loop: Header=BB1119_392 Depth=2
	ds_read_b64 v[64:65], v104 offset:16384
	s_waitcnt lgkmcnt(0)
	v_cmp_ne_u64_e32 vcc, s[90:91], v[64:65]
	v_cndmask_b32_e32 v65, v133, v65, vcc
	v_cndmask_b32_e32 v64, -1, v64, vcc
	v_lshrrev_b64 v[64:65], s69, v[64:65]
	v_and_b32_e32 v172, s95, v64
	s_or_b64 exec, exec, s[70:71]
	s_and_saveexec_b64 s[70:71], s[54:55]
	s_cbranch_execnz .LBB1119_559
.LBB1119_528:                           ;   in Loop: Header=BB1119_392 Depth=2
	s_or_b64 exec, exec, s[70:71]
	s_and_saveexec_b64 s[70:71], s[56:57]
	s_cbranch_execz .LBB1119_560
.LBB1119_529:                           ;   in Loop: Header=BB1119_392 Depth=2
	ds_read_b64 v[64:65], v104 offset:20480
	s_waitcnt lgkmcnt(0)
	v_cmp_ne_u64_e32 vcc, s[90:91], v[64:65]
	v_cndmask_b32_e32 v65, v133, v65, vcc
	v_cndmask_b32_e32 v64, -1, v64, vcc
	v_lshrrev_b64 v[64:65], s69, v[64:65]
	v_and_b32_e32 v169, s95, v64
	s_or_b64 exec, exec, s[70:71]
	s_and_saveexec_b64 s[70:71], s[58:59]
	s_cbranch_execnz .LBB1119_561
.LBB1119_530:                           ;   in Loop: Header=BB1119_392 Depth=2
	s_or_b64 exec, exec, s[70:71]
	s_and_saveexec_b64 s[70:71], s[60:61]
	s_cbranch_execz .LBB1119_562
.LBB1119_531:                           ;   in Loop: Header=BB1119_392 Depth=2
	ds_read_b64 v[64:65], v104 offset:24576
	s_waitcnt lgkmcnt(0)
	v_cmp_ne_u64_e32 vcc, s[90:91], v[64:65]
	v_cndmask_b32_e32 v65, v133, v65, vcc
	v_cndmask_b32_e32 v64, -1, v64, vcc
	v_lshrrev_b64 v[64:65], s69, v[64:65]
	v_and_b32_e32 v167, s95, v64
	s_or_b64 exec, exec, s[70:71]
	s_and_saveexec_b64 s[70:71], s[62:63]
	s_cbranch_execnz .LBB1119_563
.LBB1119_532:                           ;   in Loop: Header=BB1119_392 Depth=2
	s_or_b64 exec, exec, s[70:71]
	s_and_saveexec_b64 s[70:71], s[64:65]
	s_cbranch_execz .LBB1119_564
.LBB1119_533:                           ;   in Loop: Header=BB1119_392 Depth=2
	ds_read_b64 v[64:65], v104 offset:28672
	s_waitcnt lgkmcnt(0)
	v_cmp_ne_u64_e32 vcc, s[90:91], v[64:65]
	v_cndmask_b32_e32 v65, v133, v65, vcc
	v_cndmask_b32_e32 v64, -1, v64, vcc
	v_lshrrev_b64 v[64:65], s69, v[64:65]
	v_and_b32_e32 v165, s95, v64
	s_or_b64 exec, exec, s[70:71]
	s_and_saveexec_b64 s[70:71], s[66:67]
	s_cbranch_execnz .LBB1119_565
	s_branch .LBB1119_566
.LBB1119_534:                           ;   in Loop: Header=BB1119_392 Depth=2
	s_or_b64 exec, exec, s[70:71]
	v_cmp_lt_u32_e32 vcc, v144, v183
	s_and_saveexec_b64 s[70:71], vcc
	s_cbranch_execz .LBB1119_504
.LBB1119_535:                           ;   in Loop: Header=BB1119_392 Depth=2
	global_load_dwordx2 v[60:61], v[64:65], off offset:512
	s_or_b64 exec, exec, s[70:71]
	v_cmp_lt_u32_e32 vcc, v145, v183
	s_and_saveexec_b64 s[70:71], vcc
	s_cbranch_execnz .LBB1119_505
.LBB1119_536:                           ;   in Loop: Header=BB1119_392 Depth=2
	s_or_b64 exec, exec, s[70:71]
	v_cmp_lt_u32_e32 vcc, v146, v183
	s_and_saveexec_b64 s[70:71], vcc
	s_cbranch_execz .LBB1119_506
.LBB1119_537:                           ;   in Loop: Header=BB1119_392 Depth=2
	global_load_dwordx2 v[54:55], v[64:65], off offset:1536
	s_or_b64 exec, exec, s[70:71]
	v_cmp_lt_u32_e32 vcc, v147, v183
	s_and_saveexec_b64 s[70:71], vcc
	s_cbranch_execnz .LBB1119_507
.LBB1119_538:                           ;   in Loop: Header=BB1119_392 Depth=2
	s_or_b64 exec, exec, s[70:71]
	v_cmp_lt_u32_e32 vcc, v148, v183
	s_and_saveexec_b64 s[70:71], vcc
	s_cbranch_execz .LBB1119_508
.LBB1119_539:                           ;   in Loop: Header=BB1119_392 Depth=2
	global_load_dwordx2 v[46:47], v[64:65], off offset:2560
	s_or_b64 exec, exec, s[70:71]
	v_cmp_lt_u32_e32 vcc, v149, v183
	s_and_saveexec_b64 s[70:71], vcc
	s_cbranch_execnz .LBB1119_509
.LBB1119_540:                           ;   in Loop: Header=BB1119_392 Depth=2
	s_or_b64 exec, exec, s[70:71]
	v_cmp_lt_u32_e32 vcc, v150, v183
	s_and_saveexec_b64 s[70:71], vcc
	s_cbranch_execz .LBB1119_510
.LBB1119_541:                           ;   in Loop: Header=BB1119_392 Depth=2
	global_load_dwordx2 v[38:39], v[64:65], off offset:3584
	s_or_b64 exec, exec, s[70:71]
	v_cmp_lt_u32_e32 vcc, v151, v183
	s_and_saveexec_b64 s[70:71], vcc
	s_cbranch_execnz .LBB1119_511
.LBB1119_542:                           ;   in Loop: Header=BB1119_392 Depth=2
	s_or_b64 exec, exec, s[70:71]
	v_cmp_lt_u32_e32 vcc, v152, v183
	s_and_saveexec_b64 s[70:71], vcc
	s_cbranch_execz .LBB1119_512
.LBB1119_543:                           ;   in Loop: Header=BB1119_392 Depth=2
	v_add_co_u32_e32 v52, vcc, 0x1000, v64
	v_addc_co_u32_e32 v53, vcc, 0, v65, vcc
	global_load_dwordx2 v[52:53], v[52:53], off offset:512
	s_or_b64 exec, exec, s[70:71]
	v_cmp_lt_u32_e32 vcc, v153, v183
	s_and_saveexec_b64 s[70:71], vcc
	s_cbranch_execnz .LBB1119_513
.LBB1119_544:                           ;   in Loop: Header=BB1119_392 Depth=2
	s_or_b64 exec, exec, s[70:71]
	v_cmp_lt_u32_e32 vcc, v154, v183
	s_and_saveexec_b64 s[70:71], vcc
	s_cbranch_execz .LBB1119_514
.LBB1119_545:                           ;   in Loop: Header=BB1119_392 Depth=2
	v_add_co_u32_e32 v44, vcc, 0x1000, v64
	v_addc_co_u32_e32 v45, vcc, 0, v65, vcc
	global_load_dwordx2 v[44:45], v[44:45], off offset:1536
	s_or_b64 exec, exec, s[70:71]
	v_cmp_lt_u32_e32 vcc, v155, v183
	s_and_saveexec_b64 s[70:71], vcc
	s_cbranch_execnz .LBB1119_515
.LBB1119_546:                           ;   in Loop: Header=BB1119_392 Depth=2
	s_or_b64 exec, exec, s[70:71]
	v_cmp_lt_u32_e32 vcc, v156, v183
	s_and_saveexec_b64 s[70:71], vcc
	s_cbranch_execz .LBB1119_516
.LBB1119_547:                           ;   in Loop: Header=BB1119_392 Depth=2
	v_add_co_u32_e32 v36, vcc, 0x1000, v64
	v_addc_co_u32_e32 v37, vcc, 0, v65, vcc
	global_load_dwordx2 v[36:37], v[36:37], off offset:2560
	s_or_b64 exec, exec, s[70:71]
	v_cmp_lt_u32_e32 vcc, v157, v183
	s_and_saveexec_b64 s[70:71], vcc
	s_cbranch_execnz .LBB1119_517
.LBB1119_548:                           ;   in Loop: Header=BB1119_392 Depth=2
	s_or_b64 exec, exec, s[70:71]
	v_cmp_lt_u32_e32 vcc, v158, v183
	s_and_saveexec_b64 s[70:71], vcc
	s_cbranch_execz .LBB1119_518
.LBB1119_549:                           ;   in Loop: Header=BB1119_392 Depth=2
	v_add_co_u32_e32 v0, vcc, 0x1000, v64
	v_addc_co_u32_e32 v1, vcc, 0, v65, vcc
	global_load_dwordx2 v[0:1], v[0:1], off offset:3584
	s_or_b64 exec, exec, s[70:71]
	s_and_saveexec_b64 s[70:71], s[36:37]
	s_cbranch_execnz .LBB1119_519
.LBB1119_550:                           ;   in Loop: Header=BB1119_392 Depth=2
	s_or_b64 exec, exec, s[70:71]
	s_and_saveexec_b64 s[70:71], s[38:39]
	s_cbranch_execz .LBB1119_520
.LBB1119_551:                           ;   in Loop: Header=BB1119_392 Depth=2
	ds_read_b64 v[64:65], v104 offset:2048
	s_waitcnt lgkmcnt(0)
	v_cmp_ne_u64_e32 vcc, s[90:91], v[64:65]
	v_cndmask_b32_e32 v65, v133, v65, vcc
	v_cndmask_b32_e32 v64, -1, v64, vcc
	v_lshrrev_b64 v[64:65], s69, v[64:65]
	v_and_b32_e32 v181, s95, v64
	s_or_b64 exec, exec, s[70:71]
	s_and_saveexec_b64 s[70:71], s[40:41]
	s_cbranch_execnz .LBB1119_521
.LBB1119_552:                           ;   in Loop: Header=BB1119_392 Depth=2
	s_or_b64 exec, exec, s[70:71]
	s_and_saveexec_b64 s[70:71], s[42:43]
	s_cbranch_execz .LBB1119_522
.LBB1119_553:                           ;   in Loop: Header=BB1119_392 Depth=2
	ds_read_b64 v[64:65], v104 offset:6144
	s_waitcnt lgkmcnt(0)
	v_cmp_ne_u64_e32 vcc, s[90:91], v[64:65]
	v_cndmask_b32_e32 v65, v133, v65, vcc
	v_cndmask_b32_e32 v64, -1, v64, vcc
	v_lshrrev_b64 v[64:65], s69, v[64:65]
	v_and_b32_e32 v179, s95, v64
	s_or_b64 exec, exec, s[70:71]
	s_and_saveexec_b64 s[70:71], s[44:45]
	s_cbranch_execnz .LBB1119_523
.LBB1119_554:                           ;   in Loop: Header=BB1119_392 Depth=2
	s_or_b64 exec, exec, s[70:71]
	s_and_saveexec_b64 s[70:71], s[46:47]
	s_cbranch_execz .LBB1119_524
.LBB1119_555:                           ;   in Loop: Header=BB1119_392 Depth=2
	ds_read_b64 v[64:65], v104 offset:10240
	s_waitcnt lgkmcnt(0)
	v_cmp_ne_u64_e32 vcc, s[90:91], v[64:65]
	v_cndmask_b32_e32 v65, v133, v65, vcc
	v_cndmask_b32_e32 v64, -1, v64, vcc
	v_lshrrev_b64 v[64:65], s69, v[64:65]
	v_and_b32_e32 v176, s95, v64
	s_or_b64 exec, exec, s[70:71]
	s_and_saveexec_b64 s[70:71], s[48:49]
	s_cbranch_execnz .LBB1119_525
.LBB1119_556:                           ;   in Loop: Header=BB1119_392 Depth=2
	s_or_b64 exec, exec, s[70:71]
	s_and_saveexec_b64 s[70:71], s[50:51]
	s_cbranch_execz .LBB1119_526
.LBB1119_557:                           ;   in Loop: Header=BB1119_392 Depth=2
	ds_read_b64 v[64:65], v104 offset:14336
	s_waitcnt lgkmcnt(0)
	v_cmp_ne_u64_e32 vcc, s[90:91], v[64:65]
	v_cndmask_b32_e32 v65, v133, v65, vcc
	v_cndmask_b32_e32 v64, -1, v64, vcc
	v_lshrrev_b64 v[64:65], s69, v[64:65]
	v_and_b32_e32 v174, s95, v64
	s_or_b64 exec, exec, s[70:71]
	s_and_saveexec_b64 s[70:71], s[52:53]
	s_cbranch_execnz .LBB1119_527
.LBB1119_558:                           ;   in Loop: Header=BB1119_392 Depth=2
	s_or_b64 exec, exec, s[70:71]
	s_and_saveexec_b64 s[70:71], s[54:55]
	s_cbranch_execz .LBB1119_528
.LBB1119_559:                           ;   in Loop: Header=BB1119_392 Depth=2
	ds_read_b64 v[64:65], v104 offset:18432
	s_waitcnt lgkmcnt(0)
	v_cmp_ne_u64_e32 vcc, s[90:91], v[64:65]
	v_cndmask_b32_e32 v65, v133, v65, vcc
	v_cndmask_b32_e32 v64, -1, v64, vcc
	v_lshrrev_b64 v[64:65], s69, v[64:65]
	v_and_b32_e32 v171, s95, v64
	s_or_b64 exec, exec, s[70:71]
	s_and_saveexec_b64 s[70:71], s[56:57]
	s_cbranch_execnz .LBB1119_529
.LBB1119_560:                           ;   in Loop: Header=BB1119_392 Depth=2
	s_or_b64 exec, exec, s[70:71]
	s_and_saveexec_b64 s[70:71], s[58:59]
	s_cbranch_execz .LBB1119_530
.LBB1119_561:                           ;   in Loop: Header=BB1119_392 Depth=2
	ds_read_b64 v[64:65], v104 offset:22528
	s_waitcnt lgkmcnt(0)
	v_cmp_ne_u64_e32 vcc, s[90:91], v[64:65]
	v_cndmask_b32_e32 v65, v133, v65, vcc
	v_cndmask_b32_e32 v64, -1, v64, vcc
	v_lshrrev_b64 v[64:65], s69, v[64:65]
	v_and_b32_e32 v168, s95, v64
	s_or_b64 exec, exec, s[70:71]
	s_and_saveexec_b64 s[70:71], s[60:61]
	s_cbranch_execnz .LBB1119_531
.LBB1119_562:                           ;   in Loop: Header=BB1119_392 Depth=2
	s_or_b64 exec, exec, s[70:71]
	s_and_saveexec_b64 s[70:71], s[62:63]
	s_cbranch_execz .LBB1119_532
.LBB1119_563:                           ;   in Loop: Header=BB1119_392 Depth=2
	ds_read_b64 v[64:65], v104 offset:26624
	s_waitcnt lgkmcnt(0)
	v_cmp_ne_u64_e32 vcc, s[90:91], v[64:65]
	v_cndmask_b32_e32 v65, v133, v65, vcc
	v_cndmask_b32_e32 v64, -1, v64, vcc
	v_lshrrev_b64 v[64:65], s69, v[64:65]
	v_and_b32_e32 v166, s95, v64
	s_or_b64 exec, exec, s[70:71]
	s_and_saveexec_b64 s[70:71], s[64:65]
	s_cbranch_execnz .LBB1119_533
.LBB1119_564:                           ;   in Loop: Header=BB1119_392 Depth=2
	s_or_b64 exec, exec, s[70:71]
	s_and_saveexec_b64 s[70:71], s[66:67]
	s_cbranch_execz .LBB1119_566
.LBB1119_565:                           ;   in Loop: Header=BB1119_392 Depth=2
	ds_read_b64 v[64:65], v104 offset:30720
	s_waitcnt lgkmcnt(0)
	v_cmp_ne_u64_e32 vcc, s[90:91], v[64:65]
	v_cndmask_b32_e32 v65, v133, v65, vcc
	v_cndmask_b32_e32 v64, -1, v64, vcc
	v_lshrrev_b64 v[64:65], s69, v[64:65]
	v_and_b32_e32 v164, s95, v64
.LBB1119_566:                           ;   in Loop: Header=BB1119_392 Depth=2
	s_or_b64 exec, exec, s[70:71]
	v_add_u32_e32 v64, 0x400, v96
	v_add_u32_e32 v65, 0x400, v97
	v_add_u32_e32 v66, 0x400, v66
	v_add_u32_e32 v67, 0x400, v67
	v_add_u32_e32 v69, 0x400, v74
	v_add_u32_e32 v70, 0x400, v75
	v_add_u32_e32 v71, 0x400, v78
	v_add_u32_e32 v73, 0x400, v79
	v_add_u32_e32 v74, 0x400, v82
	v_add_u32_e32 v75, 0x400, v83
	v_add_u32_e32 v77, 0x400, v86
	v_add_u32_e32 v78, 0x400, v84
	v_add_u32_e32 v79, 0x400, v80
	v_add_u32_e32 v76, 0x400, v76
	v_add_u32_e32 v72, 0x400, v72
	v_add_u32_e32 v68, 0x400, v68
	s_barrier
	s_waitcnt vmcnt(0)
	ds_write_b64 v64, v[62:63]
	ds_write_b64 v65, v[60:61]
	;; [unrolled: 1-line block ×16, first 2 shown]
	s_waitcnt lgkmcnt(0)
	s_barrier
	s_and_saveexec_b64 s[70:71], s[36:37]
	s_cbranch_execz .LBB1119_582
; %bb.567:                              ;   in Loop: Header=BB1119_392 Depth=2
	v_lshlrev_b32_e32 v64, 2, v182
	ds_read_b32 v66, v64
	v_add_u32_e32 v64, v33, v3
	ds_read_b64 v[64:65], v64 offset:1024
	v_mov_b32_e32 v67, v4
	v_mov_b32_e32 v68, s83
	s_waitcnt lgkmcnt(1)
	v_add_u32_e32 v66, v66, v2
	v_lshlrev_b64 v[66:67], 3, v[66:67]
	v_add_co_u32_e32 v66, vcc, s82, v66
	v_addc_co_u32_e32 v67, vcc, v68, v67, vcc
	s_waitcnt lgkmcnt(0)
	global_store_dwordx2 v[66:67], v[64:65], off
	s_or_b64 exec, exec, s[70:71]
	s_and_saveexec_b64 s[36:37], s[38:39]
	s_cbranch_execnz .LBB1119_583
.LBB1119_568:                           ;   in Loop: Header=BB1119_392 Depth=2
	s_or_b64 exec, exec, s[36:37]
	s_and_saveexec_b64 s[36:37], s[40:41]
	s_cbranch_execz .LBB1119_584
.LBB1119_569:                           ;   in Loop: Header=BB1119_392 Depth=2
	v_lshlrev_b32_e32 v64, 2, v180
	ds_read_b32 v66, v64
	ds_read_b64 v[64:65], v104 offset:4096
	v_mov_b32_e32 v67, v4
	v_mov_b32_e32 v68, s83
	s_waitcnt lgkmcnt(1)
	v_add_u32_e32 v66, v66, v6
	v_lshlrev_b64 v[66:67], 3, v[66:67]
	v_add_co_u32_e32 v66, vcc, s82, v66
	v_addc_co_u32_e32 v67, vcc, v68, v67, vcc
	s_waitcnt lgkmcnt(0)
	global_store_dwordx2 v[66:67], v[64:65], off
	s_or_b64 exec, exec, s[36:37]
	s_and_saveexec_b64 s[36:37], s[42:43]
	s_cbranch_execnz .LBB1119_585
.LBB1119_570:                           ;   in Loop: Header=BB1119_392 Depth=2
	s_or_b64 exec, exec, s[36:37]
	s_and_saveexec_b64 s[36:37], s[44:45]
	s_cbranch_execz .LBB1119_586
.LBB1119_571:                           ;   in Loop: Header=BB1119_392 Depth=2
	v_lshlrev_b32_e32 v64, 2, v178
	ds_read_b32 v66, v64
	ds_read_b64 v[64:65], v104 offset:8192
	v_mov_b32_e32 v67, v4
	v_mov_b32_e32 v68, s83
	s_waitcnt lgkmcnt(1)
	v_add_u32_e32 v66, v66, v10
	v_lshlrev_b64 v[66:67], 3, v[66:67]
	v_add_co_u32_e32 v66, vcc, s82, v66
	v_addc_co_u32_e32 v67, vcc, v68, v67, vcc
	s_waitcnt lgkmcnt(0)
	global_store_dwordx2 v[66:67], v[64:65], off
	s_or_b64 exec, exec, s[36:37]
	s_and_saveexec_b64 s[36:37], s[46:47]
	s_cbranch_execnz .LBB1119_587
.LBB1119_572:                           ;   in Loop: Header=BB1119_392 Depth=2
	s_or_b64 exec, exec, s[36:37]
	s_and_saveexec_b64 s[36:37], s[48:49]
	s_cbranch_execz .LBB1119_588
.LBB1119_573:                           ;   in Loop: Header=BB1119_392 Depth=2
	v_lshlrev_b32_e32 v64, 2, v175
	ds_read_b32 v66, v64
	ds_read_b64 v[64:65], v104 offset:12288
	v_mov_b32_e32 v67, v4
	v_mov_b32_e32 v68, s83
	s_waitcnt lgkmcnt(1)
	v_add_u32_e32 v66, v66, v14
	v_lshlrev_b64 v[66:67], 3, v[66:67]
	v_add_co_u32_e32 v66, vcc, s82, v66
	v_addc_co_u32_e32 v67, vcc, v68, v67, vcc
	s_waitcnt lgkmcnt(0)
	global_store_dwordx2 v[66:67], v[64:65], off
	s_or_b64 exec, exec, s[36:37]
	s_and_saveexec_b64 s[36:37], s[50:51]
	s_cbranch_execnz .LBB1119_589
.LBB1119_574:                           ;   in Loop: Header=BB1119_392 Depth=2
	s_or_b64 exec, exec, s[36:37]
	s_and_saveexec_b64 s[36:37], s[52:53]
	s_cbranch_execz .LBB1119_590
.LBB1119_575:                           ;   in Loop: Header=BB1119_392 Depth=2
	v_lshlrev_b32_e32 v64, 2, v172
	ds_read_b32 v66, v64
	ds_read_b64 v[64:65], v104 offset:16384
	v_mov_b32_e32 v67, v4
	v_mov_b32_e32 v68, s83
	s_waitcnt lgkmcnt(1)
	v_add_u32_e32 v66, v66, v18
	v_lshlrev_b64 v[66:67], 3, v[66:67]
	v_add_co_u32_e32 v66, vcc, s82, v66
	v_addc_co_u32_e32 v67, vcc, v68, v67, vcc
	s_waitcnt lgkmcnt(0)
	global_store_dwordx2 v[66:67], v[64:65], off
	s_or_b64 exec, exec, s[36:37]
	s_and_saveexec_b64 s[36:37], s[54:55]
	s_cbranch_execnz .LBB1119_591
.LBB1119_576:                           ;   in Loop: Header=BB1119_392 Depth=2
	s_or_b64 exec, exec, s[36:37]
	s_and_saveexec_b64 s[36:37], s[56:57]
	s_cbranch_execz .LBB1119_592
.LBB1119_577:                           ;   in Loop: Header=BB1119_392 Depth=2
	v_lshlrev_b32_e32 v64, 2, v169
	ds_read_b32 v66, v64
	ds_read_b64 v[64:65], v104 offset:20480
	v_mov_b32_e32 v67, v4
	v_mov_b32_e32 v68, s83
	s_waitcnt lgkmcnt(1)
	v_add_u32_e32 v66, v66, v22
	v_lshlrev_b64 v[66:67], 3, v[66:67]
	v_add_co_u32_e32 v66, vcc, s82, v66
	v_addc_co_u32_e32 v67, vcc, v68, v67, vcc
	s_waitcnt lgkmcnt(0)
	global_store_dwordx2 v[66:67], v[64:65], off
	s_or_b64 exec, exec, s[36:37]
	s_and_saveexec_b64 s[36:37], s[58:59]
	s_cbranch_execnz .LBB1119_593
.LBB1119_578:                           ;   in Loop: Header=BB1119_392 Depth=2
	s_or_b64 exec, exec, s[36:37]
	s_and_saveexec_b64 s[36:37], s[60:61]
	s_cbranch_execz .LBB1119_594
.LBB1119_579:                           ;   in Loop: Header=BB1119_392 Depth=2
	v_lshlrev_b32_e32 v64, 2, v167
	ds_read_b32 v66, v64
	ds_read_b64 v[64:65], v104 offset:24576
	v_mov_b32_e32 v67, v4
	v_mov_b32_e32 v68, s83
	s_waitcnt lgkmcnt(1)
	v_add_u32_e32 v66, v66, v26
	v_lshlrev_b64 v[66:67], 3, v[66:67]
	v_add_co_u32_e32 v66, vcc, s82, v66
	v_addc_co_u32_e32 v67, vcc, v68, v67, vcc
	s_waitcnt lgkmcnt(0)
	global_store_dwordx2 v[66:67], v[64:65], off
	s_or_b64 exec, exec, s[36:37]
	s_and_saveexec_b64 s[36:37], s[62:63]
	s_cbranch_execnz .LBB1119_595
.LBB1119_580:                           ;   in Loop: Header=BB1119_392 Depth=2
	s_or_b64 exec, exec, s[36:37]
	s_and_saveexec_b64 s[36:37], s[64:65]
	s_cbranch_execz .LBB1119_596
.LBB1119_581:                           ;   in Loop: Header=BB1119_392 Depth=2
	v_lshlrev_b32_e32 v64, 2, v165
	ds_read_b32 v66, v64
	ds_read_b64 v[64:65], v104 offset:28672
	v_mov_b32_e32 v67, v4
	v_mov_b32_e32 v68, s83
	s_waitcnt lgkmcnt(1)
	v_add_u32_e32 v66, v66, v30
	v_lshlrev_b64 v[66:67], 3, v[66:67]
	v_add_co_u32_e32 v66, vcc, s82, v66
	v_addc_co_u32_e32 v67, vcc, v68, v67, vcc
	s_waitcnt lgkmcnt(0)
	global_store_dwordx2 v[66:67], v[64:65], off
	s_or_b64 exec, exec, s[36:37]
	s_and_saveexec_b64 s[36:37], s[66:67]
	s_cbranch_execnz .LBB1119_597
	s_branch .LBB1119_598
.LBB1119_582:                           ;   in Loop: Header=BB1119_392 Depth=2
	s_or_b64 exec, exec, s[70:71]
	s_and_saveexec_b64 s[36:37], s[38:39]
	s_cbranch_execz .LBB1119_568
.LBB1119_583:                           ;   in Loop: Header=BB1119_392 Depth=2
	v_lshlrev_b32_e32 v64, 2, v181
	ds_read_b32 v66, v64
	ds_read_b64 v[64:65], v104 offset:2048
	v_mov_b32_e32 v67, v4
	v_mov_b32_e32 v68, s83
	s_waitcnt lgkmcnt(1)
	v_add_u32_e32 v66, v66, v7
	v_lshlrev_b64 v[66:67], 3, v[66:67]
	v_add_co_u32_e32 v66, vcc, s82, v66
	v_addc_co_u32_e32 v67, vcc, v68, v67, vcc
	s_waitcnt lgkmcnt(0)
	global_store_dwordx2 v[66:67], v[64:65], off
	s_or_b64 exec, exec, s[36:37]
	s_and_saveexec_b64 s[36:37], s[40:41]
	s_cbranch_execnz .LBB1119_569
.LBB1119_584:                           ;   in Loop: Header=BB1119_392 Depth=2
	s_or_b64 exec, exec, s[36:37]
	s_and_saveexec_b64 s[36:37], s[42:43]
	s_cbranch_execz .LBB1119_570
.LBB1119_585:                           ;   in Loop: Header=BB1119_392 Depth=2
	v_lshlrev_b32_e32 v64, 2, v179
	ds_read_b32 v66, v64
	ds_read_b64 v[64:65], v104 offset:6144
	v_mov_b32_e32 v67, v4
	v_mov_b32_e32 v68, s83
	s_waitcnt lgkmcnt(1)
	v_add_u32_e32 v66, v66, v8
	v_lshlrev_b64 v[66:67], 3, v[66:67]
	v_add_co_u32_e32 v66, vcc, s82, v66
	v_addc_co_u32_e32 v67, vcc, v68, v67, vcc
	s_waitcnt lgkmcnt(0)
	global_store_dwordx2 v[66:67], v[64:65], off
	s_or_b64 exec, exec, s[36:37]
	s_and_saveexec_b64 s[36:37], s[44:45]
	s_cbranch_execnz .LBB1119_571
.LBB1119_586:                           ;   in Loop: Header=BB1119_392 Depth=2
	s_or_b64 exec, exec, s[36:37]
	s_and_saveexec_b64 s[36:37], s[46:47]
	s_cbranch_execz .LBB1119_572
.LBB1119_587:                           ;   in Loop: Header=BB1119_392 Depth=2
	v_lshlrev_b32_e32 v64, 2, v176
	ds_read_b32 v66, v64
	ds_read_b64 v[64:65], v104 offset:10240
	v_mov_b32_e32 v67, v4
	v_mov_b32_e32 v68, s83
	s_waitcnt lgkmcnt(1)
	v_add_u32_e32 v66, v66, v12
	v_lshlrev_b64 v[66:67], 3, v[66:67]
	v_add_co_u32_e32 v66, vcc, s82, v66
	v_addc_co_u32_e32 v67, vcc, v68, v67, vcc
	s_waitcnt lgkmcnt(0)
	global_store_dwordx2 v[66:67], v[64:65], off
	s_or_b64 exec, exec, s[36:37]
	s_and_saveexec_b64 s[36:37], s[48:49]
	s_cbranch_execnz .LBB1119_573
.LBB1119_588:                           ;   in Loop: Header=BB1119_392 Depth=2
	s_or_b64 exec, exec, s[36:37]
	s_and_saveexec_b64 s[36:37], s[50:51]
	s_cbranch_execz .LBB1119_574
.LBB1119_589:                           ;   in Loop: Header=BB1119_392 Depth=2
	v_lshlrev_b32_e32 v64, 2, v174
	ds_read_b32 v66, v64
	ds_read_b64 v[64:65], v104 offset:14336
	v_mov_b32_e32 v67, v4
	v_mov_b32_e32 v68, s83
	s_waitcnt lgkmcnt(1)
	v_add_u32_e32 v66, v66, v16
	v_lshlrev_b64 v[66:67], 3, v[66:67]
	v_add_co_u32_e32 v66, vcc, s82, v66
	v_addc_co_u32_e32 v67, vcc, v68, v67, vcc
	s_waitcnt lgkmcnt(0)
	global_store_dwordx2 v[66:67], v[64:65], off
	s_or_b64 exec, exec, s[36:37]
	s_and_saveexec_b64 s[36:37], s[52:53]
	s_cbranch_execnz .LBB1119_575
.LBB1119_590:                           ;   in Loop: Header=BB1119_392 Depth=2
	s_or_b64 exec, exec, s[36:37]
	s_and_saveexec_b64 s[36:37], s[54:55]
	s_cbranch_execz .LBB1119_576
.LBB1119_591:                           ;   in Loop: Header=BB1119_392 Depth=2
	v_lshlrev_b32_e32 v64, 2, v171
	ds_read_b32 v66, v64
	ds_read_b64 v[64:65], v104 offset:18432
	v_mov_b32_e32 v67, v4
	v_mov_b32_e32 v68, s83
	s_waitcnt lgkmcnt(1)
	v_add_u32_e32 v66, v66, v20
	v_lshlrev_b64 v[66:67], 3, v[66:67]
	v_add_co_u32_e32 v66, vcc, s82, v66
	v_addc_co_u32_e32 v67, vcc, v68, v67, vcc
	s_waitcnt lgkmcnt(0)
	global_store_dwordx2 v[66:67], v[64:65], off
	s_or_b64 exec, exec, s[36:37]
	s_and_saveexec_b64 s[36:37], s[56:57]
	s_cbranch_execnz .LBB1119_577
.LBB1119_592:                           ;   in Loop: Header=BB1119_392 Depth=2
	s_or_b64 exec, exec, s[36:37]
	s_and_saveexec_b64 s[36:37], s[58:59]
	s_cbranch_execz .LBB1119_578
.LBB1119_593:                           ;   in Loop: Header=BB1119_392 Depth=2
	v_lshlrev_b32_e32 v64, 2, v168
	ds_read_b32 v66, v64
	ds_read_b64 v[64:65], v104 offset:22528
	v_mov_b32_e32 v67, v4
	v_mov_b32_e32 v68, s83
	s_waitcnt lgkmcnt(1)
	v_add_u32_e32 v66, v66, v24
	v_lshlrev_b64 v[66:67], 3, v[66:67]
	v_add_co_u32_e32 v66, vcc, s82, v66
	v_addc_co_u32_e32 v67, vcc, v68, v67, vcc
	s_waitcnt lgkmcnt(0)
	global_store_dwordx2 v[66:67], v[64:65], off
	s_or_b64 exec, exec, s[36:37]
	s_and_saveexec_b64 s[36:37], s[60:61]
	s_cbranch_execnz .LBB1119_579
.LBB1119_594:                           ;   in Loop: Header=BB1119_392 Depth=2
	s_or_b64 exec, exec, s[36:37]
	s_and_saveexec_b64 s[36:37], s[62:63]
	s_cbranch_execz .LBB1119_580
.LBB1119_595:                           ;   in Loop: Header=BB1119_392 Depth=2
	v_lshlrev_b32_e32 v64, 2, v166
	ds_read_b32 v66, v64
	ds_read_b64 v[64:65], v104 offset:26624
	v_mov_b32_e32 v67, v4
	v_mov_b32_e32 v68, s83
	s_waitcnt lgkmcnt(1)
	v_add_u32_e32 v66, v66, v28
	v_lshlrev_b64 v[66:67], 3, v[66:67]
	v_add_co_u32_e32 v66, vcc, s82, v66
	v_addc_co_u32_e32 v67, vcc, v68, v67, vcc
	s_waitcnt lgkmcnt(0)
	global_store_dwordx2 v[66:67], v[64:65], off
	s_or_b64 exec, exec, s[36:37]
	s_and_saveexec_b64 s[36:37], s[64:65]
	s_cbranch_execnz .LBB1119_581
.LBB1119_596:                           ;   in Loop: Header=BB1119_392 Depth=2
	s_or_b64 exec, exec, s[36:37]
	s_and_saveexec_b64 s[36:37], s[66:67]
	s_cbranch_execz .LBB1119_598
.LBB1119_597:                           ;   in Loop: Header=BB1119_392 Depth=2
	v_lshlrev_b32_e32 v64, 2, v164
	ds_read_b32 v66, v64
	ds_read_b64 v[64:65], v104 offset:30720
	v_mov_b32_e32 v67, v4
	v_mov_b32_e32 v68, s83
	s_waitcnt lgkmcnt(1)
	v_add_u32_e32 v66, v66, v32
	v_lshlrev_b64 v[66:67], 3, v[66:67]
	v_add_co_u32_e32 v66, vcc, s82, v66
	v_addc_co_u32_e32 v67, vcc, v68, v67, vcc
	s_waitcnt lgkmcnt(0)
	global_store_dwordx2 v[66:67], v[64:65], off
.LBB1119_598:                           ;   in Loop: Header=BB1119_392 Depth=2
	s_or_b64 exec, exec, s[36:37]
	s_barrier
	s_and_saveexec_b64 s[36:37], s[4:5]
	s_cbranch_execz .LBB1119_391
; %bb.599:                              ;   in Loop: Header=BB1119_392 Depth=2
	ds_read_b32 v64, v3
	s_waitcnt lgkmcnt(0)
	v_add_u32_e32 v5, v64, v5
	ds_write_b32 v3, v5
	s_branch .LBB1119_391
.LBB1119_600:                           ;   in Loop: Header=BB1119_12 Depth=1
	s_waitcnt lgkmcnt(0)
	s_barrier
.LBB1119_601:                           ;   in Loop: Header=BB1119_12 Depth=1
	s_mov_b64 s[16:17], 0
.LBB1119_602:                           ;   in Loop: Header=BB1119_12 Depth=1
	s_andn2_b64 vcc, exec, s[16:17]
	s_cbranch_vccnz .LBB1119_11
; %bb.603:                              ;   in Loop: Header=BB1119_12 Depth=1
	s_lshl_b32 s16, -1, s94
	s_not_b32 s85, s16
	s_mov_b64 s[16:17], -1
	s_and_b64 vcc, exec, s[88:89]
	s_cbranch_vccz .LBB1119_897
; %bb.604:                              ;   in Loop: Header=BB1119_12 Depth=1
	v_readlane_b32 s16, v236, 3
	v_readlane_b32 s24, v236, 2
	s_mov_b32 s18, s16
	s_barrier
	s_waitcnt lgkmcnt(0)
                                        ; implicit-def: $vgpr62_vgpr63
                                        ; implicit-def: $vgpr0_vgpr1
                                        ; implicit-def: $vgpr34_vgpr35
                                        ; implicit-def: $vgpr36_vgpr37
                                        ; implicit-def: $vgpr38_vgpr39
                                        ; implicit-def: $vgpr40_vgpr41
                                        ; implicit-def: $vgpr42_vgpr43
                                        ; implicit-def: $vgpr44_vgpr45
                                        ; implicit-def: $vgpr46_vgpr47
                                        ; implicit-def: $vgpr48_vgpr49
                                        ; implicit-def: $vgpr50_vgpr51
                                        ; implicit-def: $vgpr52_vgpr53
                                        ; implicit-def: $vgpr54_vgpr55
                                        ; implicit-def: $vgpr56_vgpr57
                                        ; implicit-def: $vgpr58_vgpr59
                                        ; implicit-def: $vgpr60_vgpr61
	s_branch .LBB1119_606
.LBB1119_605:                           ;   in Loop: Header=BB1119_606 Depth=2
	s_or_b64 exec, exec, s[16:17]
	s_addk_i32 s24, 0xf000
	s_cmp_ge_u32 s25, s96
	s_mov_b32 s18, s25
	s_cbranch_scc1 .LBB1119_676
.LBB1119_606:                           ;   Parent Loop BB1119_12 Depth=1
                                        ; =>  This Inner Loop Header: Depth=2
	s_add_i32 s25, s18, 0x1000
	s_cmp_gt_u32 s25, s96
	s_cbranch_scc1 .LBB1119_609
; %bb.607:                              ;   in Loop: Header=BB1119_606 Depth=2
	s_mov_b32 s19, s90
	s_lshl_b64 s[16:17], s[18:19], 3
	v_mov_b32_e32 v5, s17
	v_add_co_u32_e32 v64, vcc, s16, v111
	v_addc_co_u32_e32 v65, vcc, v112, v5, vcc
	s_waitcnt vmcnt(11)
	v_add_co_u32_e32 v72, vcc, 0x1000, v64
	v_addc_co_u32_e32 v73, vcc, 0, v65, vcc
	s_waitcnt vmcnt(5)
	;; [unrolled: 3-line block ×3, first 2 shown]
	v_add_co_u32_e32 v82, vcc, s98, v64
	v_addc_co_u32_e32 v83, vcc, 0, v65, vcc
	v_add_co_u32_e32 v86, vcc, s99, v64
	v_addc_co_u32_e32 v87, vcc, 0, v65, vcc
	v_add_co_u32_e32 v88, vcc, s33, v64
	v_addc_co_u32_e32 v89, vcc, 0, v65, vcc
	v_add_co_u32_e32 v92, vcc, s68, v64
	v_addc_co_u32_e32 v93, vcc, 0, v65, vcc
	global_load_dwordx2 v[66:67], v[64:65], off
	global_load_dwordx2 v[68:69], v[64:65], off offset:2048
	global_load_dwordx2 v[70:71], v[72:73], off
	s_nop 0
	global_load_dwordx2 v[72:73], v[72:73], off offset:2048
	s_nop 0
	global_load_dwordx2 v[74:75], v[82:83], off
	global_load_dwordx2 v[76:77], v[82:83], off offset:2048
	global_load_dwordx2 v[80:81], v[88:89], off offset:-4096
	global_load_dwordx2 v[84:85], v[88:89], off
	s_nop 0
	global_load_dwordx2 v[88:89], v[88:89], off offset:2048
	s_nop 0
	global_load_dwordx2 v[78:79], v[78:79], off offset:2048
	;; [unrolled: 2-line block ×3, first 2 shown]
	s_nop 0
	global_load_dwordx2 v[90:91], v[92:93], off
	s_nop 0
	global_load_dwordx2 v[92:93], v[92:93], off offset:2048
	s_waitcnt vmcnt(13)
	v_add_co_u32_e32 v94, vcc, 0x7000, v64
	v_addc_co_u32_e32 v95, vcc, 0, v65, vcc
	global_load_dwordx2 v[82:83], v[82:83], off offset:-4096
	s_nop 0
	global_load_dwordx2 v[94:95], v[94:95], off
	v_add_co_u32_e32 v64, vcc, 0x7800, v64
	s_movk_i32 s26, 0x1000
	v_addc_co_u32_e32 v65, vcc, 0, v65, vcc
	s_mov_b64 s[16:17], -1
	s_cbranch_execz .LBB1119_610
; %bb.608:                              ;   in Loop: Header=BB1119_606 Depth=2
                                        ; implicit-def: $vgpr60_vgpr61
                                        ; implicit-def: $vgpr58_vgpr59
                                        ; implicit-def: $vgpr56_vgpr57
                                        ; implicit-def: $vgpr54_vgpr55
                                        ; implicit-def: $vgpr52_vgpr53
                                        ; implicit-def: $vgpr50_vgpr51
                                        ; implicit-def: $vgpr48_vgpr49
                                        ; implicit-def: $vgpr46_vgpr47
                                        ; implicit-def: $vgpr44_vgpr45
                                        ; implicit-def: $vgpr42_vgpr43
                                        ; implicit-def: $vgpr40_vgpr41
                                        ; implicit-def: $vgpr38_vgpr39
                                        ; implicit-def: $vgpr36_vgpr37
                                        ; implicit-def: $vgpr34_vgpr35
                                        ; implicit-def: $vgpr0_vgpr1
                                        ; implicit-def: $vgpr62_vgpr63
	v_mov_b32_e32 v5, s24
	s_and_saveexec_b64 s[18:19], s[16:17]
	s_cbranch_execnz .LBB1119_629
	s_branch .LBB1119_630
.LBB1119_609:                           ;   in Loop: Header=BB1119_606 Depth=2
	s_mov_b64 s[16:17], 0
                                        ; implicit-def: $sgpr26
                                        ; implicit-def: $vgpr66_vgpr67
                                        ; implicit-def: $vgpr68_vgpr69
                                        ; implicit-def: $vgpr70_vgpr71
                                        ; implicit-def: $vgpr72_vgpr73
                                        ; implicit-def: $vgpr82_vgpr83
                                        ; implicit-def: $vgpr78_vgpr79
                                        ; implicit-def: $vgpr74_vgpr75
                                        ; implicit-def: $vgpr76_vgpr77
                                        ; implicit-def: $vgpr80_vgpr81
                                        ; implicit-def: $vgpr86_vgpr87
                                        ; implicit-def: $vgpr84_vgpr85
                                        ; implicit-def: $vgpr88_vgpr89
                                        ; implicit-def: $vgpr90_vgpr91
                                        ; implicit-def: $vgpr92_vgpr93
                                        ; implicit-def: $vgpr94_vgpr95
                                        ; implicit-def: $vgpr64_vgpr65
.LBB1119_610:                           ;   in Loop: Header=BB1119_606 Depth=2
	s_mov_b32 s19, s90
	s_lshl_b64 s[20:21], s[18:19], 3
	s_add_u32 s20, s72, s20
	s_addc_u32 s21, s73, s21
	v_cmp_gt_u32_e32 vcc, s24, v2
	s_and_saveexec_b64 s[22:23], vcc
	s_cbranch_execz .LBB1119_662
; %bb.611:                              ;   in Loop: Header=BB1119_606 Depth=2
	global_load_dwordx2 v[60:61], v118, s[20:21]
	s_or_b64 exec, exec, s[22:23]
	v_cmp_gt_u32_e32 vcc, s24, v7
	s_and_saveexec_b64 s[22:23], vcc
	s_cbranch_execnz .LBB1119_663
.LBB1119_612:                           ;   in Loop: Header=BB1119_606 Depth=2
	s_or_b64 exec, exec, s[22:23]
	v_cmp_gt_u32_e32 vcc, s24, v6
	s_and_saveexec_b64 s[22:23], vcc
	s_cbranch_execz .LBB1119_664
.LBB1119_613:                           ;   in Loop: Header=BB1119_606 Depth=2
	global_load_dwordx2 v[56:57], v119, s[20:21]
	s_or_b64 exec, exec, s[22:23]
	v_cmp_gt_u32_e32 vcc, s24, v8
	s_and_saveexec_b64 s[22:23], vcc
	s_cbranch_execnz .LBB1119_665
.LBB1119_614:                           ;   in Loop: Header=BB1119_606 Depth=2
	s_or_b64 exec, exec, s[22:23]
	v_cmp_gt_u32_e32 vcc, s24, v10
	s_and_saveexec_b64 s[22:23], vcc
	s_cbranch_execz .LBB1119_666
.LBB1119_615:                           ;   in Loop: Header=BB1119_606 Depth=2
	global_load_dwordx2 v[52:53], v121, s[20:21]
	s_or_b64 exec, exec, s[22:23]
	v_cmp_gt_u32_e32 vcc, s24, v12
	s_and_saveexec_b64 s[22:23], vcc
	s_cbranch_execnz .LBB1119_667
.LBB1119_616:                           ;   in Loop: Header=BB1119_606 Depth=2
	s_or_b64 exec, exec, s[22:23]
	v_cmp_gt_u32_e32 vcc, s24, v14
	s_and_saveexec_b64 s[22:23], vcc
	s_cbranch_execz .LBB1119_668
.LBB1119_617:                           ;   in Loop: Header=BB1119_606 Depth=2
	global_load_dwordx2 v[48:49], v123, s[20:21]
	s_or_b64 exec, exec, s[22:23]
	v_cmp_gt_u32_e32 vcc, s24, v16
	s_and_saveexec_b64 s[22:23], vcc
	s_cbranch_execnz .LBB1119_669
.LBB1119_618:                           ;   in Loop: Header=BB1119_606 Depth=2
	s_or_b64 exec, exec, s[22:23]
	v_cmp_gt_u32_e32 vcc, s24, v18
	s_and_saveexec_b64 s[22:23], vcc
	s_cbranch_execz .LBB1119_670
.LBB1119_619:                           ;   in Loop: Header=BB1119_606 Depth=2
	global_load_dwordx2 v[44:45], v125, s[20:21]
	s_or_b64 exec, exec, s[22:23]
	v_cmp_gt_u32_e32 vcc, s24, v20
	s_and_saveexec_b64 s[22:23], vcc
	s_cbranch_execnz .LBB1119_671
.LBB1119_620:                           ;   in Loop: Header=BB1119_606 Depth=2
	s_or_b64 exec, exec, s[22:23]
	v_cmp_gt_u32_e32 vcc, s24, v22
	s_and_saveexec_b64 s[22:23], vcc
	s_cbranch_execz .LBB1119_672
.LBB1119_621:                           ;   in Loop: Header=BB1119_606 Depth=2
	global_load_dwordx2 v[40:41], v127, s[20:21]
	s_or_b64 exec, exec, s[22:23]
	v_cmp_gt_u32_e32 vcc, s24, v24
	s_and_saveexec_b64 s[22:23], vcc
	s_cbranch_execnz .LBB1119_673
.LBB1119_622:                           ;   in Loop: Header=BB1119_606 Depth=2
	s_or_b64 exec, exec, s[22:23]
	v_cmp_gt_u32_e32 vcc, s24, v26
	s_and_saveexec_b64 s[22:23], vcc
	s_cbranch_execz .LBB1119_674
.LBB1119_623:                           ;   in Loop: Header=BB1119_606 Depth=2
	global_load_dwordx2 v[36:37], v129, s[20:21]
	s_or_b64 exec, exec, s[22:23]
	v_cmp_gt_u32_e32 vcc, s24, v28
	s_and_saveexec_b64 s[22:23], vcc
	s_cbranch_execnz .LBB1119_675
.LBB1119_624:                           ;   in Loop: Header=BB1119_606 Depth=2
	s_or_b64 exec, exec, s[22:23]
	v_cmp_gt_u32_e32 vcc, s24, v30
	s_and_saveexec_b64 s[22:23], vcc
	s_cbranch_execz .LBB1119_626
.LBB1119_625:                           ;   in Loop: Header=BB1119_606 Depth=2
	global_load_dwordx2 v[0:1], v131, s[20:21]
.LBB1119_626:                           ;   in Loop: Header=BB1119_606 Depth=2
	s_or_b64 exec, exec, s[22:23]
	v_cmp_gt_u32_e32 vcc, s24, v32
                                        ; implicit-def: $sgpr26
                                        ; implicit-def: $vgpr64_vgpr65
	s_and_saveexec_b64 s[22:23], vcc
; %bb.627:                              ;   in Loop: Header=BB1119_606 Depth=2
	v_mov_b32_e32 v5, s21
	v_add_co_u32_e32 v64, vcc, s20, v132
	s_sub_i32 s26, s96, s18
	v_addc_co_u32_e32 v65, vcc, 0, v5, vcc
	s_or_b64 s[16:17], s[16:17], exec
                                        ; implicit-def: $vgpr62_vgpr63
; %bb.628:                              ;   in Loop: Header=BB1119_606 Depth=2
	s_or_b64 exec, exec, s[22:23]
	s_waitcnt vmcnt(0)
	v_pk_mov_b32 v[66:67], v[60:61], v[60:61] op_sel:[0,1]
	v_pk_mov_b32 v[68:69], v[58:59], v[58:59] op_sel:[0,1]
	;; [unrolled: 1-line block ×15, first 2 shown]
	v_mov_b32_e32 v5, s24
	s_and_saveexec_b64 s[18:19], s[16:17]
	s_cbranch_execz .LBB1119_630
.LBB1119_629:                           ;   in Loop: Header=BB1119_606 Depth=2
	global_load_dwordx2 v[62:63], v[64:65], off
	v_mov_b32_e32 v5, s26
	s_waitcnt vmcnt(1)
	v_pk_mov_b32 v[0:1], v[94:95], v[94:95] op_sel:[0,1]
	v_pk_mov_b32 v[34:35], v[92:93], v[92:93] op_sel:[0,1]
	;; [unrolled: 1-line block ×15, first 2 shown]
.LBB1119_630:                           ;   in Loop: Header=BB1119_606 Depth=2
	s_or_b64 exec, exec, s[18:19]
	v_cmp_lt_u32_e32 vcc, v2, v5
	s_and_saveexec_b64 s[16:17], vcc
	s_cbranch_execz .LBB1119_646
; %bb.631:                              ;   in Loop: Header=BB1119_606 Depth=2
	v_cmp_gt_i64_e32 vcc, 0, v[60:61]
	v_ashrrev_i32_e32 v65, 31, v61
	v_cndmask_b32_e64 v64, v133, 0, vcc
	s_waitcnt vmcnt(14)
	v_not_b32_e32 v66, v65
	v_xor_b32_e32 v65, v64, v61
	v_xor_b32_e32 v64, v66, v60
	v_cmp_ne_u64_e32 vcc, s[90:91], v[64:65]
	v_cndmask_b32_e32 v65, v133, v65, vcc
	v_cndmask_b32_e32 v64, -1, v64, vcc
	v_lshrrev_b64 v[64:65], s84, v[64:65]
	v_and_b32_e32 v64, s85, v64
	v_lshl_or_b32 v64, v64, 4, v134
	ds_add_u32 v64, v117
	s_or_b64 exec, exec, s[16:17]
	v_cmp_lt_u32_e32 vcc, v7, v5
	s_and_saveexec_b64 s[16:17], vcc
	s_cbranch_execnz .LBB1119_647
.LBB1119_632:                           ;   in Loop: Header=BB1119_606 Depth=2
	s_or_b64 exec, exec, s[16:17]
	v_cmp_lt_u32_e32 vcc, v6, v5
	s_and_saveexec_b64 s[16:17], vcc
	s_cbranch_execz .LBB1119_648
.LBB1119_633:                           ;   in Loop: Header=BB1119_606 Depth=2
	v_cmp_gt_i64_e32 vcc, 0, v[56:57]
	v_ashrrev_i32_e32 v65, 31, v57
	v_cndmask_b32_e64 v64, v133, 0, vcc
	s_waitcnt vmcnt(14)
	v_not_b32_e32 v66, v65
	v_xor_b32_e32 v65, v64, v57
	v_xor_b32_e32 v64, v66, v56
	v_cmp_ne_u64_e32 vcc, s[90:91], v[64:65]
	v_cndmask_b32_e32 v65, v133, v65, vcc
	v_cndmask_b32_e32 v64, -1, v64, vcc
	v_lshrrev_b64 v[64:65], s84, v[64:65]
	v_and_b32_e32 v64, s85, v64
	v_lshl_or_b32 v64, v64, 4, v134
	ds_add_u32 v64, v117
	s_or_b64 exec, exec, s[16:17]
	v_cmp_lt_u32_e32 vcc, v8, v5
	s_and_saveexec_b64 s[16:17], vcc
	s_cbranch_execnz .LBB1119_649
.LBB1119_634:                           ;   in Loop: Header=BB1119_606 Depth=2
	s_or_b64 exec, exec, s[16:17]
	v_cmp_lt_u32_e32 vcc, v10, v5
	s_and_saveexec_b64 s[16:17], vcc
	s_cbranch_execz .LBB1119_650
.LBB1119_635:                           ;   in Loop: Header=BB1119_606 Depth=2
	v_cmp_gt_i64_e32 vcc, 0, v[52:53]
	v_ashrrev_i32_e32 v65, 31, v53
	v_cndmask_b32_e64 v64, v133, 0, vcc
	s_waitcnt vmcnt(14)
	v_not_b32_e32 v66, v65
	v_xor_b32_e32 v65, v64, v53
	v_xor_b32_e32 v64, v66, v52
	v_cmp_ne_u64_e32 vcc, s[90:91], v[64:65]
	v_cndmask_b32_e32 v65, v133, v65, vcc
	v_cndmask_b32_e32 v64, -1, v64, vcc
	v_lshrrev_b64 v[64:65], s84, v[64:65]
	v_and_b32_e32 v64, s85, v64
	v_lshl_or_b32 v64, v64, 4, v134
	ds_add_u32 v64, v117
	s_or_b64 exec, exec, s[16:17]
	v_cmp_lt_u32_e32 vcc, v12, v5
	s_and_saveexec_b64 s[16:17], vcc
	s_cbranch_execnz .LBB1119_651
.LBB1119_636:                           ;   in Loop: Header=BB1119_606 Depth=2
	s_or_b64 exec, exec, s[16:17]
	v_cmp_lt_u32_e32 vcc, v14, v5
	s_and_saveexec_b64 s[16:17], vcc
	s_cbranch_execz .LBB1119_652
.LBB1119_637:                           ;   in Loop: Header=BB1119_606 Depth=2
	v_cmp_gt_i64_e32 vcc, 0, v[48:49]
	v_ashrrev_i32_e32 v65, 31, v49
	v_cndmask_b32_e64 v64, v133, 0, vcc
	s_waitcnt vmcnt(14)
	v_not_b32_e32 v66, v65
	v_xor_b32_e32 v65, v64, v49
	v_xor_b32_e32 v64, v66, v48
	v_cmp_ne_u64_e32 vcc, s[90:91], v[64:65]
	v_cndmask_b32_e32 v65, v133, v65, vcc
	v_cndmask_b32_e32 v64, -1, v64, vcc
	v_lshrrev_b64 v[64:65], s84, v[64:65]
	v_and_b32_e32 v64, s85, v64
	v_lshl_or_b32 v64, v64, 4, v134
	ds_add_u32 v64, v117
	s_or_b64 exec, exec, s[16:17]
	v_cmp_lt_u32_e32 vcc, v16, v5
	s_and_saveexec_b64 s[16:17], vcc
	s_cbranch_execnz .LBB1119_653
.LBB1119_638:                           ;   in Loop: Header=BB1119_606 Depth=2
	s_or_b64 exec, exec, s[16:17]
	v_cmp_lt_u32_e32 vcc, v18, v5
	s_and_saveexec_b64 s[16:17], vcc
	s_cbranch_execz .LBB1119_654
.LBB1119_639:                           ;   in Loop: Header=BB1119_606 Depth=2
	v_cmp_gt_i64_e32 vcc, 0, v[44:45]
	v_ashrrev_i32_e32 v65, 31, v45
	v_cndmask_b32_e64 v64, v133, 0, vcc
	s_waitcnt vmcnt(14)
	v_not_b32_e32 v66, v65
	v_xor_b32_e32 v65, v64, v45
	v_xor_b32_e32 v64, v66, v44
	v_cmp_ne_u64_e32 vcc, s[90:91], v[64:65]
	v_cndmask_b32_e32 v65, v133, v65, vcc
	v_cndmask_b32_e32 v64, -1, v64, vcc
	v_lshrrev_b64 v[64:65], s84, v[64:65]
	v_and_b32_e32 v64, s85, v64
	v_lshl_or_b32 v64, v64, 4, v134
	ds_add_u32 v64, v117
	s_or_b64 exec, exec, s[16:17]
	v_cmp_lt_u32_e32 vcc, v20, v5
	s_and_saveexec_b64 s[16:17], vcc
	s_cbranch_execnz .LBB1119_655
.LBB1119_640:                           ;   in Loop: Header=BB1119_606 Depth=2
	s_or_b64 exec, exec, s[16:17]
	v_cmp_lt_u32_e32 vcc, v22, v5
	s_and_saveexec_b64 s[16:17], vcc
	s_cbranch_execz .LBB1119_656
.LBB1119_641:                           ;   in Loop: Header=BB1119_606 Depth=2
	v_cmp_gt_i64_e32 vcc, 0, v[40:41]
	v_ashrrev_i32_e32 v65, 31, v41
	v_cndmask_b32_e64 v64, v133, 0, vcc
	s_waitcnt vmcnt(14)
	v_not_b32_e32 v66, v65
	v_xor_b32_e32 v65, v64, v41
	v_xor_b32_e32 v64, v66, v40
	v_cmp_ne_u64_e32 vcc, s[90:91], v[64:65]
	v_cndmask_b32_e32 v65, v133, v65, vcc
	v_cndmask_b32_e32 v64, -1, v64, vcc
	v_lshrrev_b64 v[64:65], s84, v[64:65]
	v_and_b32_e32 v64, s85, v64
	v_lshl_or_b32 v64, v64, 4, v134
	ds_add_u32 v64, v117
	s_or_b64 exec, exec, s[16:17]
	v_cmp_lt_u32_e32 vcc, v24, v5
	s_and_saveexec_b64 s[16:17], vcc
	s_cbranch_execnz .LBB1119_657
.LBB1119_642:                           ;   in Loop: Header=BB1119_606 Depth=2
	s_or_b64 exec, exec, s[16:17]
	v_cmp_lt_u32_e32 vcc, v26, v5
	s_and_saveexec_b64 s[16:17], vcc
	s_cbranch_execz .LBB1119_658
.LBB1119_643:                           ;   in Loop: Header=BB1119_606 Depth=2
	v_cmp_gt_i64_e32 vcc, 0, v[36:37]
	v_ashrrev_i32_e32 v65, 31, v37
	v_cndmask_b32_e64 v64, v133, 0, vcc
	s_waitcnt vmcnt(14)
	v_not_b32_e32 v66, v65
	v_xor_b32_e32 v65, v64, v37
	v_xor_b32_e32 v64, v66, v36
	v_cmp_ne_u64_e32 vcc, s[90:91], v[64:65]
	v_cndmask_b32_e32 v65, v133, v65, vcc
	v_cndmask_b32_e32 v64, -1, v64, vcc
	v_lshrrev_b64 v[64:65], s84, v[64:65]
	v_and_b32_e32 v64, s85, v64
	v_lshl_or_b32 v64, v64, 4, v134
	ds_add_u32 v64, v117
	s_or_b64 exec, exec, s[16:17]
	v_cmp_lt_u32_e32 vcc, v28, v5
	s_and_saveexec_b64 s[16:17], vcc
	s_cbranch_execnz .LBB1119_659
.LBB1119_644:                           ;   in Loop: Header=BB1119_606 Depth=2
	s_or_b64 exec, exec, s[16:17]
	v_cmp_lt_u32_e32 vcc, v30, v5
	s_and_saveexec_b64 s[16:17], vcc
	s_cbranch_execz .LBB1119_660
.LBB1119_645:                           ;   in Loop: Header=BB1119_606 Depth=2
	v_cmp_gt_i64_e32 vcc, 0, v[0:1]
	v_ashrrev_i32_e32 v65, 31, v1
	v_cndmask_b32_e64 v64, v133, 0, vcc
	s_waitcnt vmcnt(14)
	v_not_b32_e32 v66, v65
	v_xor_b32_e32 v65, v64, v1
	v_xor_b32_e32 v64, v66, v0
	v_cmp_ne_u64_e32 vcc, s[90:91], v[64:65]
	v_cndmask_b32_e32 v65, v133, v65, vcc
	v_cndmask_b32_e32 v64, -1, v64, vcc
	v_lshrrev_b64 v[64:65], s84, v[64:65]
	v_and_b32_e32 v64, s85, v64
	v_lshl_or_b32 v64, v64, 4, v134
	ds_add_u32 v64, v117
	s_or_b64 exec, exec, s[16:17]
	v_cmp_lt_u32_e32 vcc, v32, v5
	s_and_saveexec_b64 s[16:17], vcc
	s_cbranch_execz .LBB1119_605
	s_branch .LBB1119_661
.LBB1119_646:                           ;   in Loop: Header=BB1119_606 Depth=2
	s_or_b64 exec, exec, s[16:17]
	v_cmp_lt_u32_e32 vcc, v7, v5
	s_and_saveexec_b64 s[16:17], vcc
	s_cbranch_execz .LBB1119_632
.LBB1119_647:                           ;   in Loop: Header=BB1119_606 Depth=2
	v_cmp_gt_i64_e32 vcc, 0, v[58:59]
	v_ashrrev_i32_e32 v65, 31, v59
	v_cndmask_b32_e64 v64, v133, 0, vcc
	s_waitcnt vmcnt(14)
	v_not_b32_e32 v66, v65
	v_xor_b32_e32 v65, v64, v59
	v_xor_b32_e32 v64, v66, v58
	v_cmp_ne_u64_e32 vcc, s[90:91], v[64:65]
	v_cndmask_b32_e32 v65, v133, v65, vcc
	v_cndmask_b32_e32 v64, -1, v64, vcc
	v_lshrrev_b64 v[64:65], s84, v[64:65]
	v_and_b32_e32 v64, s85, v64
	v_lshl_or_b32 v64, v64, 4, v134
	ds_add_u32 v64, v117
	s_or_b64 exec, exec, s[16:17]
	v_cmp_lt_u32_e32 vcc, v6, v5
	s_and_saveexec_b64 s[16:17], vcc
	s_cbranch_execnz .LBB1119_633
.LBB1119_648:                           ;   in Loop: Header=BB1119_606 Depth=2
	s_or_b64 exec, exec, s[16:17]
	v_cmp_lt_u32_e32 vcc, v8, v5
	s_and_saveexec_b64 s[16:17], vcc
	s_cbranch_execz .LBB1119_634
.LBB1119_649:                           ;   in Loop: Header=BB1119_606 Depth=2
	v_cmp_gt_i64_e32 vcc, 0, v[54:55]
	v_ashrrev_i32_e32 v65, 31, v55
	v_cndmask_b32_e64 v64, v133, 0, vcc
	s_waitcnt vmcnt(14)
	v_not_b32_e32 v66, v65
	v_xor_b32_e32 v65, v64, v55
	v_xor_b32_e32 v64, v66, v54
	v_cmp_ne_u64_e32 vcc, s[90:91], v[64:65]
	v_cndmask_b32_e32 v65, v133, v65, vcc
	v_cndmask_b32_e32 v64, -1, v64, vcc
	v_lshrrev_b64 v[64:65], s84, v[64:65]
	v_and_b32_e32 v64, s85, v64
	v_lshl_or_b32 v64, v64, 4, v134
	ds_add_u32 v64, v117
	s_or_b64 exec, exec, s[16:17]
	v_cmp_lt_u32_e32 vcc, v10, v5
	s_and_saveexec_b64 s[16:17], vcc
	s_cbranch_execnz .LBB1119_635
.LBB1119_650:                           ;   in Loop: Header=BB1119_606 Depth=2
	s_or_b64 exec, exec, s[16:17]
	v_cmp_lt_u32_e32 vcc, v12, v5
	s_and_saveexec_b64 s[16:17], vcc
	s_cbranch_execz .LBB1119_636
.LBB1119_651:                           ;   in Loop: Header=BB1119_606 Depth=2
	v_cmp_gt_i64_e32 vcc, 0, v[50:51]
	v_ashrrev_i32_e32 v65, 31, v51
	v_cndmask_b32_e64 v64, v133, 0, vcc
	s_waitcnt vmcnt(14)
	v_not_b32_e32 v66, v65
	v_xor_b32_e32 v65, v64, v51
	v_xor_b32_e32 v64, v66, v50
	v_cmp_ne_u64_e32 vcc, s[90:91], v[64:65]
	v_cndmask_b32_e32 v65, v133, v65, vcc
	v_cndmask_b32_e32 v64, -1, v64, vcc
	v_lshrrev_b64 v[64:65], s84, v[64:65]
	v_and_b32_e32 v64, s85, v64
	v_lshl_or_b32 v64, v64, 4, v134
	ds_add_u32 v64, v117
	s_or_b64 exec, exec, s[16:17]
	v_cmp_lt_u32_e32 vcc, v14, v5
	s_and_saveexec_b64 s[16:17], vcc
	s_cbranch_execnz .LBB1119_637
.LBB1119_652:                           ;   in Loop: Header=BB1119_606 Depth=2
	s_or_b64 exec, exec, s[16:17]
	v_cmp_lt_u32_e32 vcc, v16, v5
	s_and_saveexec_b64 s[16:17], vcc
	s_cbranch_execz .LBB1119_638
.LBB1119_653:                           ;   in Loop: Header=BB1119_606 Depth=2
	v_cmp_gt_i64_e32 vcc, 0, v[46:47]
	v_ashrrev_i32_e32 v65, 31, v47
	v_cndmask_b32_e64 v64, v133, 0, vcc
	s_waitcnt vmcnt(14)
	v_not_b32_e32 v66, v65
	v_xor_b32_e32 v65, v64, v47
	v_xor_b32_e32 v64, v66, v46
	v_cmp_ne_u64_e32 vcc, s[90:91], v[64:65]
	v_cndmask_b32_e32 v65, v133, v65, vcc
	v_cndmask_b32_e32 v64, -1, v64, vcc
	v_lshrrev_b64 v[64:65], s84, v[64:65]
	v_and_b32_e32 v64, s85, v64
	v_lshl_or_b32 v64, v64, 4, v134
	ds_add_u32 v64, v117
	s_or_b64 exec, exec, s[16:17]
	v_cmp_lt_u32_e32 vcc, v18, v5
	s_and_saveexec_b64 s[16:17], vcc
	s_cbranch_execnz .LBB1119_639
.LBB1119_654:                           ;   in Loop: Header=BB1119_606 Depth=2
	s_or_b64 exec, exec, s[16:17]
	v_cmp_lt_u32_e32 vcc, v20, v5
	s_and_saveexec_b64 s[16:17], vcc
	s_cbranch_execz .LBB1119_640
.LBB1119_655:                           ;   in Loop: Header=BB1119_606 Depth=2
	v_cmp_gt_i64_e32 vcc, 0, v[42:43]
	v_ashrrev_i32_e32 v65, 31, v43
	v_cndmask_b32_e64 v64, v133, 0, vcc
	s_waitcnt vmcnt(14)
	v_not_b32_e32 v66, v65
	v_xor_b32_e32 v65, v64, v43
	v_xor_b32_e32 v64, v66, v42
	v_cmp_ne_u64_e32 vcc, s[90:91], v[64:65]
	v_cndmask_b32_e32 v65, v133, v65, vcc
	v_cndmask_b32_e32 v64, -1, v64, vcc
	v_lshrrev_b64 v[64:65], s84, v[64:65]
	v_and_b32_e32 v64, s85, v64
	v_lshl_or_b32 v64, v64, 4, v134
	ds_add_u32 v64, v117
	s_or_b64 exec, exec, s[16:17]
	v_cmp_lt_u32_e32 vcc, v22, v5
	s_and_saveexec_b64 s[16:17], vcc
	s_cbranch_execnz .LBB1119_641
.LBB1119_656:                           ;   in Loop: Header=BB1119_606 Depth=2
	s_or_b64 exec, exec, s[16:17]
	v_cmp_lt_u32_e32 vcc, v24, v5
	s_and_saveexec_b64 s[16:17], vcc
	s_cbranch_execz .LBB1119_642
.LBB1119_657:                           ;   in Loop: Header=BB1119_606 Depth=2
	v_cmp_gt_i64_e32 vcc, 0, v[38:39]
	v_ashrrev_i32_e32 v65, 31, v39
	v_cndmask_b32_e64 v64, v133, 0, vcc
	s_waitcnt vmcnt(14)
	v_not_b32_e32 v66, v65
	v_xor_b32_e32 v65, v64, v39
	v_xor_b32_e32 v64, v66, v38
	v_cmp_ne_u64_e32 vcc, s[90:91], v[64:65]
	v_cndmask_b32_e32 v65, v133, v65, vcc
	v_cndmask_b32_e32 v64, -1, v64, vcc
	v_lshrrev_b64 v[64:65], s84, v[64:65]
	v_and_b32_e32 v64, s85, v64
	v_lshl_or_b32 v64, v64, 4, v134
	ds_add_u32 v64, v117
	s_or_b64 exec, exec, s[16:17]
	v_cmp_lt_u32_e32 vcc, v26, v5
	s_and_saveexec_b64 s[16:17], vcc
	s_cbranch_execnz .LBB1119_643
.LBB1119_658:                           ;   in Loop: Header=BB1119_606 Depth=2
	s_or_b64 exec, exec, s[16:17]
	v_cmp_lt_u32_e32 vcc, v28, v5
	s_and_saveexec_b64 s[16:17], vcc
	s_cbranch_execz .LBB1119_644
.LBB1119_659:                           ;   in Loop: Header=BB1119_606 Depth=2
	v_cmp_gt_i64_e32 vcc, 0, v[34:35]
	v_ashrrev_i32_e32 v65, 31, v35
	v_cndmask_b32_e64 v64, v133, 0, vcc
	s_waitcnt vmcnt(14)
	v_not_b32_e32 v66, v65
	v_xor_b32_e32 v65, v64, v35
	v_xor_b32_e32 v64, v66, v34
	v_cmp_ne_u64_e32 vcc, s[90:91], v[64:65]
	v_cndmask_b32_e32 v65, v133, v65, vcc
	v_cndmask_b32_e32 v64, -1, v64, vcc
	v_lshrrev_b64 v[64:65], s84, v[64:65]
	v_and_b32_e32 v64, s85, v64
	v_lshl_or_b32 v64, v64, 4, v134
	ds_add_u32 v64, v117
	s_or_b64 exec, exec, s[16:17]
	v_cmp_lt_u32_e32 vcc, v30, v5
	s_and_saveexec_b64 s[16:17], vcc
	s_cbranch_execnz .LBB1119_645
.LBB1119_660:                           ;   in Loop: Header=BB1119_606 Depth=2
	s_or_b64 exec, exec, s[16:17]
	v_cmp_lt_u32_e32 vcc, v32, v5
	s_and_saveexec_b64 s[16:17], vcc
	s_cbranch_execz .LBB1119_605
.LBB1119_661:                           ;   in Loop: Header=BB1119_606 Depth=2
	s_waitcnt vmcnt(0)
	v_cmp_gt_i64_e32 vcc, 0, v[62:63]
	v_ashrrev_i32_e32 v64, 31, v63
	v_cndmask_b32_e64 v5, v133, 0, vcc
	v_not_b32_e32 v64, v64
	v_xor_b32_e32 v65, v5, v63
	v_xor_b32_e32 v64, v64, v62
	v_cmp_ne_u64_e32 vcc, s[90:91], v[64:65]
	v_cndmask_b32_e32 v65, v133, v65, vcc
	v_cndmask_b32_e32 v64, -1, v64, vcc
	v_lshrrev_b64 v[64:65], s84, v[64:65]
	v_and_b32_e32 v5, s85, v64
	v_lshl_or_b32 v5, v5, 4, v134
	ds_add_u32 v5, v117
	s_branch .LBB1119_605
.LBB1119_662:                           ;   in Loop: Header=BB1119_606 Depth=2
	s_or_b64 exec, exec, s[22:23]
	v_cmp_gt_u32_e32 vcc, s24, v7
	s_and_saveexec_b64 s[22:23], vcc
	s_cbranch_execz .LBB1119_612
.LBB1119_663:                           ;   in Loop: Header=BB1119_606 Depth=2
	global_load_dwordx2 v[58:59], v118, s[20:21] offset:2048
	s_or_b64 exec, exec, s[22:23]
	v_cmp_gt_u32_e32 vcc, s24, v6
	s_and_saveexec_b64 s[22:23], vcc
	s_cbranch_execnz .LBB1119_613
.LBB1119_664:                           ;   in Loop: Header=BB1119_606 Depth=2
	s_or_b64 exec, exec, s[22:23]
	v_cmp_gt_u32_e32 vcc, s24, v8
	s_and_saveexec_b64 s[22:23], vcc
	s_cbranch_execz .LBB1119_614
.LBB1119_665:                           ;   in Loop: Header=BB1119_606 Depth=2
	global_load_dwordx2 v[54:55], v120, s[20:21]
	s_or_b64 exec, exec, s[22:23]
	v_cmp_gt_u32_e32 vcc, s24, v10
	s_and_saveexec_b64 s[22:23], vcc
	s_cbranch_execnz .LBB1119_615
.LBB1119_666:                           ;   in Loop: Header=BB1119_606 Depth=2
	s_or_b64 exec, exec, s[22:23]
	v_cmp_gt_u32_e32 vcc, s24, v12
	s_and_saveexec_b64 s[22:23], vcc
	s_cbranch_execz .LBB1119_616
.LBB1119_667:                           ;   in Loop: Header=BB1119_606 Depth=2
	global_load_dwordx2 v[50:51], v122, s[20:21]
	s_or_b64 exec, exec, s[22:23]
	v_cmp_gt_u32_e32 vcc, s24, v14
	s_and_saveexec_b64 s[22:23], vcc
	s_cbranch_execnz .LBB1119_617
.LBB1119_668:                           ;   in Loop: Header=BB1119_606 Depth=2
	s_or_b64 exec, exec, s[22:23]
	v_cmp_gt_u32_e32 vcc, s24, v16
	s_and_saveexec_b64 s[22:23], vcc
	s_cbranch_execz .LBB1119_618
.LBB1119_669:                           ;   in Loop: Header=BB1119_606 Depth=2
	global_load_dwordx2 v[46:47], v124, s[20:21]
	s_or_b64 exec, exec, s[22:23]
	v_cmp_gt_u32_e32 vcc, s24, v18
	s_and_saveexec_b64 s[22:23], vcc
	s_cbranch_execnz .LBB1119_619
.LBB1119_670:                           ;   in Loop: Header=BB1119_606 Depth=2
	s_or_b64 exec, exec, s[22:23]
	v_cmp_gt_u32_e32 vcc, s24, v20
	s_and_saveexec_b64 s[22:23], vcc
	s_cbranch_execz .LBB1119_620
.LBB1119_671:                           ;   in Loop: Header=BB1119_606 Depth=2
	global_load_dwordx2 v[42:43], v126, s[20:21]
	s_or_b64 exec, exec, s[22:23]
	v_cmp_gt_u32_e32 vcc, s24, v22
	s_and_saveexec_b64 s[22:23], vcc
	s_cbranch_execnz .LBB1119_621
.LBB1119_672:                           ;   in Loop: Header=BB1119_606 Depth=2
	s_or_b64 exec, exec, s[22:23]
	v_cmp_gt_u32_e32 vcc, s24, v24
	s_and_saveexec_b64 s[22:23], vcc
	s_cbranch_execz .LBB1119_622
.LBB1119_673:                           ;   in Loop: Header=BB1119_606 Depth=2
	global_load_dwordx2 v[38:39], v128, s[20:21]
	s_or_b64 exec, exec, s[22:23]
	v_cmp_gt_u32_e32 vcc, s24, v26
	s_and_saveexec_b64 s[22:23], vcc
	s_cbranch_execnz .LBB1119_623
.LBB1119_674:                           ;   in Loop: Header=BB1119_606 Depth=2
	s_or_b64 exec, exec, s[22:23]
	v_cmp_gt_u32_e32 vcc, s24, v28
	s_and_saveexec_b64 s[22:23], vcc
	s_cbranch_execz .LBB1119_624
.LBB1119_675:                           ;   in Loop: Header=BB1119_606 Depth=2
	global_load_dwordx2 v[34:35], v130, s[20:21]
	s_or_b64 exec, exec, s[22:23]
	v_cmp_gt_u32_e32 vcc, s24, v30
	s_and_saveexec_b64 s[22:23], vcc
	s_cbranch_execz .LBB1119_626
	s_branch .LBB1119_625
.LBB1119_676:                           ;   in Loop: Header=BB1119_12 Depth=1
	v_mov_b32_e32 v0, 0
	s_waitcnt lgkmcnt(0)
	s_barrier
	s_and_saveexec_b64 s[16:17], s[4:5]
	s_cbranch_execz .LBB1119_678
; %bb.677:                              ;   in Loop: Header=BB1119_12 Depth=1
	ds_read2_b64 v[34:37], v13 offset1:1
	s_waitcnt lgkmcnt(0)
	v_add_u32_e32 v0, v35, v34
	v_add3_u32 v0, v0, v36, v37
.LBB1119_678:                           ;   in Loop: Header=BB1119_12 Depth=1
	s_or_b64 exec, exec, s[16:17]
	s_nop 0
	v_mov_b32_dpp v1, v0 row_shr:1 row_mask:0xf bank_mask:0xf
	v_cmp_eq_u32_e64 s[16:17], 0, v136
	v_cndmask_b32_e64 v1, v1, 0, s[16:17]
	v_add_u32_e32 v0, v1, v0
	v_cmp_lt_u32_e64 s[18:19], 1, v136
	v_cmp_lt_u32_e64 s[20:21], 3, v136
	v_mov_b32_dpp v1, v0 row_shr:2 row_mask:0xf bank_mask:0xf
	v_cndmask_b32_e64 v1, 0, v1, s[18:19]
	v_add_u32_e32 v0, v0, v1
	v_cmp_lt_u32_e64 s[22:23], 7, v136
	v_cmp_lt_u32_e64 s[26:27], 31, v135
	v_mov_b32_dpp v1, v0 row_shr:4 row_mask:0xf bank_mask:0xf
	v_cndmask_b32_e64 v1, 0, v1, s[20:21]
	v_add_u32_e32 v0, v0, v1
	v_cmp_eq_u32_e64 s[24:25], 0, v138
	s_nop 0
	v_mov_b32_dpp v1, v0 row_shr:8 row_mask:0xf bank_mask:0xf
	v_cndmask_b32_e64 v1, 0, v1, s[22:23]
	v_add_u32_e32 v0, v0, v1
	s_nop 1
	v_mov_b32_dpp v1, v0 row_bcast:15 row_mask:0xf bank_mask:0xf
	v_and_b32_e32 v1, v137, v1
	v_add_u32_e32 v0, v0, v1
	s_nop 1
	v_mov_b32_dpp v1, v0 row_bcast:31 row_mask:0xf bank_mask:0xf
	v_cndmask_b32_e64 v1, 0, v1, s[26:27]
	v_add_u32_e32 v0, v0, v1
	s_and_saveexec_b64 s[28:29], s[6:7]
	s_cbranch_execz .LBB1119_680
; %bb.679:                              ;   in Loop: Header=BB1119_12 Depth=1
	ds_write_b32 v17, v0
.LBB1119_680:                           ;   in Loop: Header=BB1119_12 Depth=1
	s_or_b64 exec, exec, s[28:29]
	s_waitcnt lgkmcnt(0)
	s_barrier
	s_and_saveexec_b64 s[28:29], s[8:9]
	s_cbranch_execz .LBB1119_682
; %bb.681:                              ;   in Loop: Header=BB1119_12 Depth=1
	ds_read_b32 v1, v19
	v_cmp_ne_u32_e32 vcc, 0, v139
	s_waitcnt lgkmcnt(0)
	v_mov_b32_dpp v5, v1 row_shr:1 row_mask:0xf bank_mask:0xf
	v_cndmask_b32_e32 v5, 0, v5, vcc
	v_add_u32_e32 v1, v5, v1
	v_cmp_lt_u32_e32 vcc, 1, v139
	s_nop 0
	v_mov_b32_dpp v5, v1 row_shr:2 row_mask:0xf bank_mask:0xf
	v_cndmask_b32_e32 v5, 0, v5, vcc
	v_add_u32_e32 v1, v1, v5
	ds_write_b32 v19, v1
.LBB1119_682:                           ;   in Loop: Header=BB1119_12 Depth=1
	s_or_b64 exec, exec, s[28:29]
	v_mov_b32_e32 v1, 0
	s_waitcnt lgkmcnt(0)
	s_barrier
	s_and_saveexec_b64 s[28:29], s[10:11]
	s_cbranch_execz .LBB1119_684
; %bb.683:                              ;   in Loop: Header=BB1119_12 Depth=1
	ds_read_b32 v1, v21
.LBB1119_684:                           ;   in Loop: Header=BB1119_12 Depth=1
	s_or_b64 exec, exec, s[28:29]
	v_cmp_lt_i32_e32 vcc, v140, v141
	v_cndmask_b32_e32 v5, v140, v135, vcc
	s_waitcnt lgkmcnt(0)
	v_add_u32_e32 v0, v1, v0
	v_lshlrev_b32_e32 v159, 2, v5
	ds_bpermute_b32 v0, v159, v0
	v_cmp_eq_u32_e64 s[28:29], 0, v135
	s_waitcnt lgkmcnt(0)
	s_barrier
	s_and_saveexec_b64 s[30:31], s[4:5]
	s_cbranch_execz .LBB1119_686
; %bb.685:                              ;   in Loop: Header=BB1119_12 Depth=1
	v_cndmask_b32_e64 v0, v0, v1, s[28:29]
	v_readlane_b32 s34, v236, 3
	v_add_u32_e32 v0, s34, v0
	ds_write_b32 v3, v0
.LBB1119_686:                           ;   in Loop: Header=BB1119_12 Depth=1
	s_or_b64 exec, exec, s[30:31]
	s_load_dwordx2 s[30:31], s[92:93], 0x0
	v_readlane_b32 s34, v236, 1
	v_add_co_u32_e32 v160, vcc, v113, v142
	v_addc_co_u32_e32 v161, vcc, 0, v114, vcc
	s_waitcnt lgkmcnt(0)
	s_cmp_lt_u32 s34, s30
	v_readlane_b32 s30, v236, 0
	s_cselect_b32 s34, 12, 18
	s_cmp_lt_u32 s30, s31
	s_cselect_b32 s30, 14, 20
	s_add_u32 s30, s92, s30
	s_addc_u32 s31, s93, 0
	s_add_u32 s34, s92, s34
	global_load_ushort v5, v4, s[30:31]
	s_addc_u32 s35, s93, 0
	global_load_ushort v64, v4, s[34:35]
	v_add_co_u32_e32 v162, vcc, v115, v142
	v_addc_co_u32_e32 v163, vcc, 0, v116, vcc
	v_add_co_u32_e32 v170, vcc, 0x1e00, v162
	v_cmp_eq_u32_e64 s[30:31], 0, v139
	v_cmp_lt_u32_e64 s[34:35], 1, v139
	v_readlane_b32 s86, v236, 2
	v_addc_co_u32_e32 v173, vcc, 0, v163, vcc
                                        ; implicit-def: $vgpr0_vgpr1
                                        ; implicit-def: $vgpr34_vgpr35
                                        ; implicit-def: $vgpr36_vgpr37
                                        ; implicit-def: $vgpr40_vgpr41
                                        ; implicit-def: $vgpr44_vgpr45
                                        ; implicit-def: $vgpr48_vgpr49
                                        ; implicit-def: $vgpr52_vgpr53
                                        ; implicit-def: $vgpr56_vgpr57
                                        ; implicit-def: $vgpr38_vgpr39
                                        ; implicit-def: $vgpr42_vgpr43
                                        ; implicit-def: $vgpr46_vgpr47
                                        ; implicit-def: $vgpr50_vgpr51
                                        ; implicit-def: $vgpr54_vgpr55
                                        ; implicit-def: $vgpr58_vgpr59
                                        ; implicit-def: $vgpr60_vgpr61
                                        ; implicit-def: $vgpr62_vgpr63
                                        ; implicit-def: $vgpr164
                                        ; implicit-def: $vgpr165
                                        ; implicit-def: $vgpr166
                                        ; implicit-def: $vgpr167
                                        ; implicit-def: $vgpr168
                                        ; implicit-def: $vgpr169
                                        ; implicit-def: $vgpr171
                                        ; implicit-def: $vgpr172
                                        ; implicit-def: $vgpr174
                                        ; implicit-def: $vgpr175
                                        ; implicit-def: $vgpr176
                                        ; implicit-def: $vgpr178
                                        ; implicit-def: $vgpr179
                                        ; implicit-def: $vgpr180
                                        ; implicit-def: $vgpr181
                                        ; implicit-def: $vgpr182
	s_waitcnt vmcnt(1)
	v_mad_u32_u24 v5, v23, v5, v25
	s_waitcnt vmcnt(0)
	v_mad_u64_u32 v[64:65], s[36:37], v5, v64, v[2:3]
	v_readlane_b32 s36, v236, 3
	v_lshrrev_b32_e32 v177, 6, v64
	s_mov_b32 s78, s36
	s_branch .LBB1119_688
.LBB1119_687:                           ;   in Loop: Header=BB1119_688 Depth=2
	s_or_b64 exec, exec, s[36:37]
	s_addk_i32 s86, 0xf000
	s_cmp_lt_u32 s87, s96
	s_mov_b32 s78, s87
	s_cbranch_scc0 .LBB1119_896
.LBB1119_688:                           ;   Parent Loop BB1119_12 Depth=1
                                        ; =>  This Inner Loop Header: Depth=2
	s_add_i32 s87, s78, 0x1000
	s_cmp_gt_u32 s87, s96
	s_cbranch_scc1 .LBB1119_691
; %bb.689:                              ;   in Loop: Header=BB1119_688 Depth=2
	s_mov_b32 s79, s90
	s_lshl_b64 s[36:37], s[78:79], 3
	v_mov_b32_e32 v5, s37
	v_add_co_u32_e32 v68, vcc, s36, v162
	v_addc_co_u32_e32 v69, vcc, v163, v5, vcc
	global_load_dwordx2 v[64:65], v[68:69], off
	global_load_dwordx2 v[66:67], v[68:69], off offset:512
	global_load_dwordx2 v[74:75], v[68:69], off offset:1024
	;; [unrolled: 1-line block ×7, first 2 shown]
	v_add_co_u32_e32 v68, vcc, 0x1000, v68
	v_addc_co_u32_e32 v69, vcc, 0, v69, vcc
	global_load_dwordx2 v[92:93], v[68:69], off
	global_load_dwordx2 v[88:89], v[68:69], off offset:512
	global_load_dwordx2 v[84:85], v[68:69], off offset:1024
	;; [unrolled: 1-line block ×5, first 2 shown]
	s_nop 0
	global_load_dwordx2 v[68:69], v[68:69], off offset:3072
	s_movk_i32 s40, 0x1000
	s_mov_b64 s[36:37], -1
	s_cbranch_execz .LBB1119_692
; %bb.690:                              ;   in Loop: Header=BB1119_688 Depth=2
                                        ; implicit-def: $sgpr38_sgpr39
	v_pk_mov_b32 v[70:71], s[38:39], s[38:39] op_sel:[0,1]
	v_mov_b32_e32 v183, s86
	s_and_saveexec_b64 s[38:39], s[36:37]
	s_cbranch_execnz .LBB1119_723
	s_branch .LBB1119_724
.LBB1119_691:                           ;   in Loop: Header=BB1119_688 Depth=2
	s_mov_b64 s[36:37], 0
                                        ; implicit-def: $sgpr40
                                        ; implicit-def: $vgpr64_vgpr65
                                        ; implicit-def: $vgpr66_vgpr67
                                        ; implicit-def: $vgpr74_vgpr75
                                        ; implicit-def: $vgpr78_vgpr79
                                        ; implicit-def: $vgpr82_vgpr83
                                        ; implicit-def: $vgpr86_vgpr87
                                        ; implicit-def: $vgpr90_vgpr91
                                        ; implicit-def: $vgpr94_vgpr95
                                        ; implicit-def: $vgpr92_vgpr93
                                        ; implicit-def: $vgpr88_vgpr89
                                        ; implicit-def: $vgpr84_vgpr85
                                        ; implicit-def: $vgpr80_vgpr81
                                        ; implicit-def: $vgpr76_vgpr77
                                        ; implicit-def: $vgpr72_vgpr73
                                        ; implicit-def: $vgpr68_vgpr69
.LBB1119_692:                           ;   in Loop: Header=BB1119_688 Depth=2
	s_mov_b32 s79, s90
	s_lshl_b64 s[36:37], s[78:79], 3
	v_mov_b32_e32 v5, s37
	v_add_co_u32_e32 v70, vcc, s36, v162
	v_addc_co_u32_e32 v71, vcc, v163, v5, vcc
	s_waitcnt vmcnt(13)
	v_pk_mov_b32 v[66:67], -1, -1
	v_cmp_gt_u32_e32 vcc, s86, v143
	v_pk_mov_b32 v[64:65], v[66:67], v[66:67] op_sel:[0,1]
	s_and_saveexec_b64 s[36:37], vcc
	s_cbranch_execz .LBB1119_694
; %bb.693:                              ;   in Loop: Header=BB1119_688 Depth=2
	global_load_dwordx2 v[64:65], v[70:71], off
.LBB1119_694:                           ;   in Loop: Header=BB1119_688 Depth=2
	s_or_b64 exec, exec, s[36:37]
	v_cmp_gt_u32_e32 vcc, s86, v144
	s_and_saveexec_b64 s[36:37], vcc
	s_cbranch_execz .LBB1119_696
; %bb.695:                              ;   in Loop: Header=BB1119_688 Depth=2
	global_load_dwordx2 v[66:67], v[70:71], off offset:512
.LBB1119_696:                           ;   in Loop: Header=BB1119_688 Depth=2
	s_or_b64 exec, exec, s[36:37]
	s_waitcnt vmcnt(11)
	v_pk_mov_b32 v[78:79], -1, -1
	v_cmp_gt_u32_e32 vcc, s86, v145
	v_pk_mov_b32 v[74:75], v[78:79], v[78:79] op_sel:[0,1]
	s_and_saveexec_b64 s[36:37], vcc
	s_cbranch_execz .LBB1119_698
; %bb.697:                              ;   in Loop: Header=BB1119_688 Depth=2
	global_load_dwordx2 v[74:75], v[70:71], off offset:1024
.LBB1119_698:                           ;   in Loop: Header=BB1119_688 Depth=2
	s_or_b64 exec, exec, s[36:37]
	v_cmp_gt_u32_e32 vcc, s86, v146
	s_and_saveexec_b64 s[36:37], vcc
	s_cbranch_execz .LBB1119_700
; %bb.699:                              ;   in Loop: Header=BB1119_688 Depth=2
	global_load_dwordx2 v[78:79], v[70:71], off offset:1536
.LBB1119_700:                           ;   in Loop: Header=BB1119_688 Depth=2
	s_or_b64 exec, exec, s[36:37]
	s_waitcnt vmcnt(9)
	v_pk_mov_b32 v[86:87], -1, -1
	v_cmp_gt_u32_e32 vcc, s86, v147
	v_pk_mov_b32 v[82:83], v[86:87], v[86:87] op_sel:[0,1]
	s_and_saveexec_b64 s[36:37], vcc
	s_cbranch_execz .LBB1119_702
; %bb.701:                              ;   in Loop: Header=BB1119_688 Depth=2
	global_load_dwordx2 v[82:83], v[70:71], off offset:2048
.LBB1119_702:                           ;   in Loop: Header=BB1119_688 Depth=2
	;; [unrolled: 17-line block ×3, first 2 shown]
	s_or_b64 exec, exec, s[36:37]
	v_cmp_gt_u32_e32 vcc, s86, v150
	s_and_saveexec_b64 s[36:37], vcc
	s_cbranch_execz .LBB1119_708
; %bb.707:                              ;   in Loop: Header=BB1119_688 Depth=2
	global_load_dwordx2 v[94:95], v[70:71], off offset:3584
.LBB1119_708:                           ;   in Loop: Header=BB1119_688 Depth=2
	s_or_b64 exec, exec, s[36:37]
	s_waitcnt vmcnt(5)
	v_pk_mov_b32 v[88:89], -1, -1
	v_cmp_gt_u32_e32 vcc, s86, v151
	v_pk_mov_b32 v[92:93], v[88:89], v[88:89] op_sel:[0,1]
	s_and_saveexec_b64 s[36:37], vcc
	s_cbranch_execz .LBB1119_710
; %bb.709:                              ;   in Loop: Header=BB1119_688 Depth=2
	s_waitcnt vmcnt(0)
	v_add_co_u32_e32 v68, vcc, 0x1000, v70
	v_addc_co_u32_e32 v69, vcc, 0, v71, vcc
	global_load_dwordx2 v[92:93], v[68:69], off
.LBB1119_710:                           ;   in Loop: Header=BB1119_688 Depth=2
	s_or_b64 exec, exec, s[36:37]
	v_cmp_gt_u32_e32 vcc, s86, v152
	s_and_saveexec_b64 s[36:37], vcc
	s_cbranch_execz .LBB1119_712
; %bb.711:                              ;   in Loop: Header=BB1119_688 Depth=2
	s_waitcnt vmcnt(0)
	v_add_co_u32_e32 v68, vcc, 0x1000, v70
	v_addc_co_u32_e32 v69, vcc, 0, v71, vcc
	global_load_dwordx2 v[88:89], v[68:69], off offset:512
.LBB1119_712:                           ;   in Loop: Header=BB1119_688 Depth=2
	s_or_b64 exec, exec, s[36:37]
	s_waitcnt vmcnt(3)
	v_pk_mov_b32 v[80:81], -1, -1
	v_cmp_gt_u32_e32 vcc, s86, v153
	v_pk_mov_b32 v[84:85], v[80:81], v[80:81] op_sel:[0,1]
	s_and_saveexec_b64 s[36:37], vcc
	s_cbranch_execz .LBB1119_714
; %bb.713:                              ;   in Loop: Header=BB1119_688 Depth=2
	s_waitcnt vmcnt(0)
	v_add_co_u32_e32 v68, vcc, 0x1000, v70
	v_addc_co_u32_e32 v69, vcc, 0, v71, vcc
	global_load_dwordx2 v[84:85], v[68:69], off offset:1024
.LBB1119_714:                           ;   in Loop: Header=BB1119_688 Depth=2
	s_or_b64 exec, exec, s[36:37]
	v_cmp_gt_u32_e32 vcc, s86, v154
	s_and_saveexec_b64 s[36:37], vcc
	s_cbranch_execz .LBB1119_716
; %bb.715:                              ;   in Loop: Header=BB1119_688 Depth=2
	s_waitcnt vmcnt(0)
	v_add_co_u32_e32 v68, vcc, 0x1000, v70
	v_addc_co_u32_e32 v69, vcc, 0, v71, vcc
	global_load_dwordx2 v[80:81], v[68:69], off offset:1536
.LBB1119_716:                           ;   in Loop: Header=BB1119_688 Depth=2
	s_or_b64 exec, exec, s[36:37]
	s_waitcnt vmcnt(1)
	v_pk_mov_b32 v[72:73], -1, -1
	v_cmp_gt_u32_e32 vcc, s86, v155
	v_pk_mov_b32 v[76:77], v[72:73], v[72:73] op_sel:[0,1]
	s_and_saveexec_b64 s[36:37], vcc
	s_cbranch_execz .LBB1119_718
; %bb.717:                              ;   in Loop: Header=BB1119_688 Depth=2
	s_waitcnt vmcnt(0)
	v_add_co_u32_e32 v68, vcc, 0x1000, v70
	v_addc_co_u32_e32 v69, vcc, 0, v71, vcc
	global_load_dwordx2 v[76:77], v[68:69], off offset:2048
.LBB1119_718:                           ;   in Loop: Header=BB1119_688 Depth=2
	s_or_b64 exec, exec, s[36:37]
	v_cmp_gt_u32_e32 vcc, s86, v156
	s_and_saveexec_b64 s[36:37], vcc
	s_cbranch_execz .LBB1119_720
; %bb.719:                              ;   in Loop: Header=BB1119_688 Depth=2
	s_waitcnt vmcnt(0)
	v_add_co_u32_e32 v68, vcc, 0x1000, v70
	v_addc_co_u32_e32 v69, vcc, 0, v71, vcc
	global_load_dwordx2 v[72:73], v[68:69], off offset:2560
.LBB1119_720:                           ;   in Loop: Header=BB1119_688 Depth=2
	s_or_b64 exec, exec, s[36:37]
	v_cmp_gt_u32_e32 vcc, s86, v157
	s_waitcnt vmcnt(0)
	v_pk_mov_b32 v[68:69], -1, -1
	s_and_saveexec_b64 s[36:37], vcc
	s_cbranch_execz .LBB1119_722
; %bb.721:                              ;   in Loop: Header=BB1119_688 Depth=2
	v_add_co_u32_e32 v68, vcc, 0x1000, v70
	v_addc_co_u32_e32 v69, vcc, 0, v71, vcc
	global_load_dwordx2 v[68:69], v[68:69], off offset:3072
.LBB1119_722:                           ;   in Loop: Header=BB1119_688 Depth=2
	s_or_b64 exec, exec, s[36:37]
	s_sub_i32 s40, s96, s78
	v_cmp_gt_u32_e64 s[36:37], s86, v158
	s_mov_b64 s[38:39], -1
	v_pk_mov_b32 v[70:71], s[38:39], s[38:39] op_sel:[0,1]
	v_mov_b32_e32 v183, s86
	s_and_saveexec_b64 s[38:39], s[36:37]
	s_cbranch_execz .LBB1119_724
.LBB1119_723:                           ;   in Loop: Header=BB1119_688 Depth=2
	s_lshl_b64 s[36:37], s[78:79], 3
	v_mov_b32_e32 v5, s37
	v_add_co_u32_e32 v70, vcc, s36, v170
	v_addc_co_u32_e32 v71, vcc, v173, v5, vcc
	global_load_dwordx2 v[70:71], v[70:71], off
	v_mov_b32_e32 v183, s40
.LBB1119_724:                           ;   in Loop: Header=BB1119_688 Depth=2
	s_or_b64 exec, exec, s[38:39]
	s_waitcnt vmcnt(14)
	v_cmp_gt_i64_e32 vcc, 0, v[64:65]
	v_ashrrev_i32_e32 v96, 31, v65
	v_cndmask_b32_e64 v5, v133, 0, vcc
	v_not_b32_e32 v96, v96
	v_xor_b32_e32 v65, v5, v65
	v_xor_b32_e32 v64, v96, v64
	v_cmp_ne_u64_e32 vcc, s[90:91], v[64:65]
	v_cndmask_b32_e32 v97, v133, v65, vcc
	v_cndmask_b32_e32 v96, -1, v64, vcc
	v_lshrrev_b64 v[96:97], s84, v[96:97]
	v_add_u32_e32 v5, 0x410, v27
	v_and_b32_e32 v96, s85, v96
	ds_write2_b32 v5, v4, v4 offset1:1
	ds_write2_b32 v31, v4, v4 offset0:2 offset1:3
	ds_write_b32 v31, v4 offset:16
	v_mad_u32_u24 v5, v96, 5, v177
	v_lshl_add_u32 v184, v5, 2, v29
	v_and_b32_e32 v5, 1, v96
	v_add_co_u32_e32 v97, vcc, -1, v5
	v_addc_co_u32_e64 v98, s[36:37], 0, -1, vcc
	v_cmp_ne_u32_e32 vcc, 0, v5
	v_xor_b32_e32 v5, vcc_hi, v98
	v_and_b32_e32 v98, exec_hi, v5
	v_lshlrev_b32_e32 v5, 30, v96
	v_xor_b32_e32 v97, vcc_lo, v97
	v_cmp_gt_i64_e32 vcc, 0, v[4:5]
	v_not_b32_e32 v5, v5
	v_ashrrev_i32_e32 v5, 31, v5
	v_and_b32_e32 v97, exec_lo, v97
	v_xor_b32_e32 v99, vcc_hi, v5
	v_xor_b32_e32 v5, vcc_lo, v5
	v_and_b32_e32 v97, v97, v5
	v_lshlrev_b32_e32 v5, 29, v96
	v_cmp_gt_i64_e32 vcc, 0, v[4:5]
	v_not_b32_e32 v5, v5
	v_ashrrev_i32_e32 v5, 31, v5
	v_and_b32_e32 v98, v98, v99
	v_xor_b32_e32 v99, vcc_hi, v5
	v_xor_b32_e32 v5, vcc_lo, v5
	v_and_b32_e32 v97, v97, v5
	v_lshlrev_b32_e32 v5, 28, v96
	v_cmp_gt_i64_e32 vcc, 0, v[4:5]
	v_not_b32_e32 v5, v5
	v_ashrrev_i32_e32 v5, 31, v5
	v_and_b32_e32 v98, v98, v99
	v_xor_b32_e32 v99, vcc_hi, v5
	v_xor_b32_e32 v5, vcc_lo, v5
	v_and_b32_e32 v97, v97, v5
	v_lshlrev_b32_e32 v5, 27, v96
	v_cmp_gt_i64_e32 vcc, 0, v[4:5]
	v_not_b32_e32 v5, v5
	v_ashrrev_i32_e32 v5, 31, v5
	v_and_b32_e32 v98, v98, v99
	v_xor_b32_e32 v99, vcc_hi, v5
	v_xor_b32_e32 v5, vcc_lo, v5
	v_and_b32_e32 v97, v97, v5
	v_lshlrev_b32_e32 v5, 26, v96
	v_cmp_gt_i64_e32 vcc, 0, v[4:5]
	v_not_b32_e32 v5, v5
	v_ashrrev_i32_e32 v5, 31, v5
	v_and_b32_e32 v98, v98, v99
	v_xor_b32_e32 v99, vcc_hi, v5
	v_xor_b32_e32 v5, vcc_lo, v5
	v_and_b32_e32 v97, v97, v5
	v_lshlrev_b32_e32 v5, 25, v96
	v_cmp_gt_i64_e32 vcc, 0, v[4:5]
	v_not_b32_e32 v5, v5
	v_ashrrev_i32_e32 v5, 31, v5
	v_and_b32_e32 v98, v98, v99
	v_xor_b32_e32 v99, vcc_hi, v5
	v_xor_b32_e32 v5, vcc_lo, v5
	v_and_b32_e32 v98, v98, v99
	v_and_b32_e32 v99, v97, v5
	v_lshlrev_b32_e32 v5, 24, v96
	v_cmp_gt_i64_e32 vcc, 0, v[4:5]
	v_not_b32_e32 v5, v5
	v_ashrrev_i32_e32 v5, 31, v5
	v_xor_b32_e32 v96, vcc_hi, v5
	v_xor_b32_e32 v5, vcc_lo, v5
	v_and_b32_e32 v97, v98, v96
	v_and_b32_e32 v96, v99, v5
	v_mbcnt_lo_u32_b32 v5, v96, 0
	v_mbcnt_hi_u32_b32 v185, v97, v5
	v_cmp_eq_u32_e32 vcc, 0, v185
	v_cmp_ne_u64_e64 s[36:37], 0, v[96:97]
	s_and_b64 s[38:39], s[36:37], vcc
	s_waitcnt lgkmcnt(0)
	s_barrier
	s_waitcnt lgkmcnt(0)
	; wave barrier
	s_and_saveexec_b64 s[36:37], s[38:39]
	s_cbranch_execz .LBB1119_726
; %bb.725:                              ;   in Loop: Header=BB1119_688 Depth=2
	v_bcnt_u32_b32 v5, v96, 0
	v_bcnt_u32_b32 v5, v97, v5
	ds_write_b32 v184, v5
.LBB1119_726:                           ;   in Loop: Header=BB1119_688 Depth=2
	s_or_b64 exec, exec, s[36:37]
	s_waitcnt vmcnt(13)
	v_cmp_gt_i64_e32 vcc, 0, v[66:67]
	v_ashrrev_i32_e32 v96, 31, v67
	v_cndmask_b32_e64 v5, v133, 0, vcc
	v_not_b32_e32 v96, v96
	v_xor_b32_e32 v67, v5, v67
	v_xor_b32_e32 v66, v96, v66
	v_cmp_ne_u64_e32 vcc, s[90:91], v[66:67]
	v_cndmask_b32_e32 v97, v133, v67, vcc
	v_cndmask_b32_e32 v96, -1, v66, vcc
	v_lshrrev_b64 v[96:97], s84, v[96:97]
	v_and_b32_e32 v96, s85, v96
	v_mul_u32_u24_e32 v5, 5, v96
	v_add_lshl_u32 v5, v5, v177, 2
	; wave barrier
	v_add_u32_e32 v187, 0x410, v5
	ds_read_b32 v186, v5 offset:1040
	v_and_b32_e32 v5, 1, v96
	v_add_co_u32_e32 v97, vcc, -1, v5
	v_addc_co_u32_e64 v98, s[36:37], 0, -1, vcc
	v_cmp_ne_u32_e32 vcc, 0, v5
	v_xor_b32_e32 v5, vcc_hi, v98
	v_and_b32_e32 v98, exec_hi, v5
	v_lshlrev_b32_e32 v5, 30, v96
	v_xor_b32_e32 v97, vcc_lo, v97
	v_cmp_gt_i64_e32 vcc, 0, v[4:5]
	v_not_b32_e32 v5, v5
	v_ashrrev_i32_e32 v5, 31, v5
	v_and_b32_e32 v97, exec_lo, v97
	v_xor_b32_e32 v99, vcc_hi, v5
	v_xor_b32_e32 v5, vcc_lo, v5
	v_and_b32_e32 v97, v97, v5
	v_lshlrev_b32_e32 v5, 29, v96
	v_cmp_gt_i64_e32 vcc, 0, v[4:5]
	v_not_b32_e32 v5, v5
	v_ashrrev_i32_e32 v5, 31, v5
	v_and_b32_e32 v98, v98, v99
	v_xor_b32_e32 v99, vcc_hi, v5
	v_xor_b32_e32 v5, vcc_lo, v5
	v_and_b32_e32 v97, v97, v5
	v_lshlrev_b32_e32 v5, 28, v96
	v_cmp_gt_i64_e32 vcc, 0, v[4:5]
	v_not_b32_e32 v5, v5
	v_ashrrev_i32_e32 v5, 31, v5
	v_and_b32_e32 v98, v98, v99
	;; [unrolled: 8-line block ×5, first 2 shown]
	v_xor_b32_e32 v99, vcc_hi, v5
	v_xor_b32_e32 v5, vcc_lo, v5
	v_and_b32_e32 v98, v98, v99
	v_and_b32_e32 v99, v97, v5
	v_lshlrev_b32_e32 v5, 24, v96
	v_cmp_gt_i64_e32 vcc, 0, v[4:5]
	v_not_b32_e32 v5, v5
	v_ashrrev_i32_e32 v5, 31, v5
	v_xor_b32_e32 v96, vcc_hi, v5
	v_xor_b32_e32 v5, vcc_lo, v5
	v_and_b32_e32 v97, v98, v96
	v_and_b32_e32 v96, v99, v5
	v_mbcnt_lo_u32_b32 v5, v96, 0
	v_mbcnt_hi_u32_b32 v188, v97, v5
	v_cmp_eq_u32_e32 vcc, 0, v188
	v_cmp_ne_u64_e64 s[36:37], 0, v[96:97]
	s_and_b64 s[38:39], s[36:37], vcc
	; wave barrier
	s_and_saveexec_b64 s[36:37], s[38:39]
	s_cbranch_execz .LBB1119_728
; %bb.727:                              ;   in Loop: Header=BB1119_688 Depth=2
	v_bcnt_u32_b32 v5, v96, 0
	v_bcnt_u32_b32 v5, v97, v5
	s_waitcnt lgkmcnt(0)
	v_add_u32_e32 v5, v186, v5
	ds_write_b32 v187, v5
.LBB1119_728:                           ;   in Loop: Header=BB1119_688 Depth=2
	s_or_b64 exec, exec, s[36:37]
	s_waitcnt vmcnt(12)
	v_cmp_gt_i64_e32 vcc, 0, v[74:75]
	v_ashrrev_i32_e32 v96, 31, v75
	v_cndmask_b32_e64 v5, v133, 0, vcc
	v_not_b32_e32 v96, v96
	v_xor_b32_e32 v75, v5, v75
	v_xor_b32_e32 v74, v96, v74
	v_cmp_ne_u64_e32 vcc, s[90:91], v[74:75]
	v_cndmask_b32_e32 v97, v133, v75, vcc
	v_cndmask_b32_e32 v96, -1, v74, vcc
	v_lshrrev_b64 v[96:97], s84, v[96:97]
	v_and_b32_e32 v96, s85, v96
	v_mul_u32_u24_e32 v5, 5, v96
	v_add_lshl_u32 v5, v5, v177, 2
	; wave barrier
	v_add_u32_e32 v190, 0x410, v5
	ds_read_b32 v189, v5 offset:1040
	v_and_b32_e32 v5, 1, v96
	v_add_co_u32_e32 v97, vcc, -1, v5
	v_addc_co_u32_e64 v98, s[36:37], 0, -1, vcc
	v_cmp_ne_u32_e32 vcc, 0, v5
	v_xor_b32_e32 v5, vcc_hi, v98
	v_and_b32_e32 v98, exec_hi, v5
	v_lshlrev_b32_e32 v5, 30, v96
	v_xor_b32_e32 v97, vcc_lo, v97
	v_cmp_gt_i64_e32 vcc, 0, v[4:5]
	v_not_b32_e32 v5, v5
	v_ashrrev_i32_e32 v5, 31, v5
	v_and_b32_e32 v97, exec_lo, v97
	v_xor_b32_e32 v99, vcc_hi, v5
	v_xor_b32_e32 v5, vcc_lo, v5
	v_and_b32_e32 v97, v97, v5
	v_lshlrev_b32_e32 v5, 29, v96
	v_cmp_gt_i64_e32 vcc, 0, v[4:5]
	v_not_b32_e32 v5, v5
	v_ashrrev_i32_e32 v5, 31, v5
	v_and_b32_e32 v98, v98, v99
	v_xor_b32_e32 v99, vcc_hi, v5
	v_xor_b32_e32 v5, vcc_lo, v5
	v_and_b32_e32 v97, v97, v5
	v_lshlrev_b32_e32 v5, 28, v96
	v_cmp_gt_i64_e32 vcc, 0, v[4:5]
	v_not_b32_e32 v5, v5
	v_ashrrev_i32_e32 v5, 31, v5
	v_and_b32_e32 v98, v98, v99
	;; [unrolled: 8-line block ×5, first 2 shown]
	v_xor_b32_e32 v99, vcc_hi, v5
	v_xor_b32_e32 v5, vcc_lo, v5
	v_and_b32_e32 v98, v98, v99
	v_and_b32_e32 v99, v97, v5
	v_lshlrev_b32_e32 v5, 24, v96
	v_cmp_gt_i64_e32 vcc, 0, v[4:5]
	v_not_b32_e32 v5, v5
	v_ashrrev_i32_e32 v5, 31, v5
	v_xor_b32_e32 v96, vcc_hi, v5
	v_xor_b32_e32 v5, vcc_lo, v5
	v_and_b32_e32 v97, v98, v96
	v_and_b32_e32 v96, v99, v5
	v_mbcnt_lo_u32_b32 v5, v96, 0
	v_mbcnt_hi_u32_b32 v191, v97, v5
	v_cmp_eq_u32_e32 vcc, 0, v191
	v_cmp_ne_u64_e64 s[36:37], 0, v[96:97]
	s_and_b64 s[38:39], s[36:37], vcc
	; wave barrier
	s_and_saveexec_b64 s[36:37], s[38:39]
	s_cbranch_execz .LBB1119_730
; %bb.729:                              ;   in Loop: Header=BB1119_688 Depth=2
	v_bcnt_u32_b32 v5, v96, 0
	v_bcnt_u32_b32 v5, v97, v5
	s_waitcnt lgkmcnt(0)
	v_add_u32_e32 v5, v189, v5
	ds_write_b32 v190, v5
.LBB1119_730:                           ;   in Loop: Header=BB1119_688 Depth=2
	s_or_b64 exec, exec, s[36:37]
	s_waitcnt vmcnt(11)
	v_cmp_gt_i64_e32 vcc, 0, v[78:79]
	v_ashrrev_i32_e32 v96, 31, v79
	v_cndmask_b32_e64 v5, v133, 0, vcc
	v_not_b32_e32 v96, v96
	v_xor_b32_e32 v79, v5, v79
	v_xor_b32_e32 v78, v96, v78
	v_cmp_ne_u64_e32 vcc, s[90:91], v[78:79]
	v_cndmask_b32_e32 v97, v133, v79, vcc
	v_cndmask_b32_e32 v96, -1, v78, vcc
	v_lshrrev_b64 v[96:97], s84, v[96:97]
	v_and_b32_e32 v96, s85, v96
	v_mul_u32_u24_e32 v5, 5, v96
	v_add_lshl_u32 v5, v5, v177, 2
	; wave barrier
	v_add_u32_e32 v193, 0x410, v5
	ds_read_b32 v192, v5 offset:1040
	v_and_b32_e32 v5, 1, v96
	v_add_co_u32_e32 v97, vcc, -1, v5
	v_addc_co_u32_e64 v98, s[36:37], 0, -1, vcc
	v_cmp_ne_u32_e32 vcc, 0, v5
	v_xor_b32_e32 v5, vcc_hi, v98
	v_and_b32_e32 v98, exec_hi, v5
	v_lshlrev_b32_e32 v5, 30, v96
	v_xor_b32_e32 v97, vcc_lo, v97
	v_cmp_gt_i64_e32 vcc, 0, v[4:5]
	v_not_b32_e32 v5, v5
	v_ashrrev_i32_e32 v5, 31, v5
	v_and_b32_e32 v97, exec_lo, v97
	v_xor_b32_e32 v99, vcc_hi, v5
	v_xor_b32_e32 v5, vcc_lo, v5
	v_and_b32_e32 v97, v97, v5
	v_lshlrev_b32_e32 v5, 29, v96
	v_cmp_gt_i64_e32 vcc, 0, v[4:5]
	v_not_b32_e32 v5, v5
	v_ashrrev_i32_e32 v5, 31, v5
	v_and_b32_e32 v98, v98, v99
	v_xor_b32_e32 v99, vcc_hi, v5
	v_xor_b32_e32 v5, vcc_lo, v5
	v_and_b32_e32 v97, v97, v5
	v_lshlrev_b32_e32 v5, 28, v96
	v_cmp_gt_i64_e32 vcc, 0, v[4:5]
	v_not_b32_e32 v5, v5
	v_ashrrev_i32_e32 v5, 31, v5
	v_and_b32_e32 v98, v98, v99
	;; [unrolled: 8-line block ×5, first 2 shown]
	v_xor_b32_e32 v99, vcc_hi, v5
	v_xor_b32_e32 v5, vcc_lo, v5
	v_and_b32_e32 v98, v98, v99
	v_and_b32_e32 v99, v97, v5
	v_lshlrev_b32_e32 v5, 24, v96
	v_cmp_gt_i64_e32 vcc, 0, v[4:5]
	v_not_b32_e32 v5, v5
	v_ashrrev_i32_e32 v5, 31, v5
	v_xor_b32_e32 v96, vcc_hi, v5
	v_xor_b32_e32 v5, vcc_lo, v5
	v_and_b32_e32 v97, v98, v96
	v_and_b32_e32 v96, v99, v5
	v_mbcnt_lo_u32_b32 v5, v96, 0
	v_mbcnt_hi_u32_b32 v194, v97, v5
	v_cmp_eq_u32_e32 vcc, 0, v194
	v_cmp_ne_u64_e64 s[36:37], 0, v[96:97]
	s_and_b64 s[38:39], s[36:37], vcc
	; wave barrier
	s_and_saveexec_b64 s[36:37], s[38:39]
	s_cbranch_execz .LBB1119_732
; %bb.731:                              ;   in Loop: Header=BB1119_688 Depth=2
	v_bcnt_u32_b32 v5, v96, 0
	v_bcnt_u32_b32 v5, v97, v5
	s_waitcnt lgkmcnt(0)
	v_add_u32_e32 v5, v192, v5
	ds_write_b32 v193, v5
.LBB1119_732:                           ;   in Loop: Header=BB1119_688 Depth=2
	s_or_b64 exec, exec, s[36:37]
	s_waitcnt vmcnt(10)
	v_cmp_gt_i64_e32 vcc, 0, v[82:83]
	v_ashrrev_i32_e32 v96, 31, v83
	v_cndmask_b32_e64 v5, v133, 0, vcc
	v_not_b32_e32 v96, v96
	v_xor_b32_e32 v83, v5, v83
	v_xor_b32_e32 v82, v96, v82
	v_cmp_ne_u64_e32 vcc, s[90:91], v[82:83]
	v_cndmask_b32_e32 v97, v133, v83, vcc
	v_cndmask_b32_e32 v96, -1, v82, vcc
	v_lshrrev_b64 v[96:97], s84, v[96:97]
	v_and_b32_e32 v96, s85, v96
	v_mul_u32_u24_e32 v5, 5, v96
	v_add_lshl_u32 v5, v5, v177, 2
	; wave barrier
	v_add_u32_e32 v196, 0x410, v5
	ds_read_b32 v195, v5 offset:1040
	v_and_b32_e32 v5, 1, v96
	v_add_co_u32_e32 v97, vcc, -1, v5
	v_addc_co_u32_e64 v98, s[36:37], 0, -1, vcc
	v_cmp_ne_u32_e32 vcc, 0, v5
	v_xor_b32_e32 v5, vcc_hi, v98
	v_and_b32_e32 v98, exec_hi, v5
	v_lshlrev_b32_e32 v5, 30, v96
	v_xor_b32_e32 v97, vcc_lo, v97
	v_cmp_gt_i64_e32 vcc, 0, v[4:5]
	v_not_b32_e32 v5, v5
	v_ashrrev_i32_e32 v5, 31, v5
	v_and_b32_e32 v97, exec_lo, v97
	v_xor_b32_e32 v99, vcc_hi, v5
	v_xor_b32_e32 v5, vcc_lo, v5
	v_and_b32_e32 v97, v97, v5
	v_lshlrev_b32_e32 v5, 29, v96
	v_cmp_gt_i64_e32 vcc, 0, v[4:5]
	v_not_b32_e32 v5, v5
	v_ashrrev_i32_e32 v5, 31, v5
	v_and_b32_e32 v98, v98, v99
	v_xor_b32_e32 v99, vcc_hi, v5
	v_xor_b32_e32 v5, vcc_lo, v5
	v_and_b32_e32 v97, v97, v5
	v_lshlrev_b32_e32 v5, 28, v96
	v_cmp_gt_i64_e32 vcc, 0, v[4:5]
	v_not_b32_e32 v5, v5
	v_ashrrev_i32_e32 v5, 31, v5
	v_and_b32_e32 v98, v98, v99
	;; [unrolled: 8-line block ×5, first 2 shown]
	v_xor_b32_e32 v99, vcc_hi, v5
	v_xor_b32_e32 v5, vcc_lo, v5
	v_and_b32_e32 v98, v98, v99
	v_and_b32_e32 v99, v97, v5
	v_lshlrev_b32_e32 v5, 24, v96
	v_cmp_gt_i64_e32 vcc, 0, v[4:5]
	v_not_b32_e32 v5, v5
	v_ashrrev_i32_e32 v5, 31, v5
	v_xor_b32_e32 v96, vcc_hi, v5
	v_xor_b32_e32 v5, vcc_lo, v5
	v_and_b32_e32 v97, v98, v96
	v_and_b32_e32 v96, v99, v5
	v_mbcnt_lo_u32_b32 v5, v96, 0
	v_mbcnt_hi_u32_b32 v197, v97, v5
	v_cmp_eq_u32_e32 vcc, 0, v197
	v_cmp_ne_u64_e64 s[36:37], 0, v[96:97]
	s_and_b64 s[38:39], s[36:37], vcc
	; wave barrier
	s_and_saveexec_b64 s[36:37], s[38:39]
	s_cbranch_execz .LBB1119_734
; %bb.733:                              ;   in Loop: Header=BB1119_688 Depth=2
	v_bcnt_u32_b32 v5, v96, 0
	v_bcnt_u32_b32 v5, v97, v5
	s_waitcnt lgkmcnt(0)
	v_add_u32_e32 v5, v195, v5
	ds_write_b32 v196, v5
.LBB1119_734:                           ;   in Loop: Header=BB1119_688 Depth=2
	s_or_b64 exec, exec, s[36:37]
	s_waitcnt vmcnt(9)
	v_cmp_gt_i64_e32 vcc, 0, v[86:87]
	v_ashrrev_i32_e32 v96, 31, v87
	v_cndmask_b32_e64 v5, v133, 0, vcc
	v_not_b32_e32 v96, v96
	v_xor_b32_e32 v87, v5, v87
	v_xor_b32_e32 v86, v96, v86
	v_cmp_ne_u64_e32 vcc, s[90:91], v[86:87]
	v_cndmask_b32_e32 v97, v133, v87, vcc
	v_cndmask_b32_e32 v96, -1, v86, vcc
	v_lshrrev_b64 v[96:97], s84, v[96:97]
	v_and_b32_e32 v96, s85, v96
	v_mul_u32_u24_e32 v5, 5, v96
	v_add_lshl_u32 v5, v5, v177, 2
	; wave barrier
	v_add_u32_e32 v199, 0x410, v5
	ds_read_b32 v198, v5 offset:1040
	v_and_b32_e32 v5, 1, v96
	v_add_co_u32_e32 v97, vcc, -1, v5
	v_addc_co_u32_e64 v98, s[36:37], 0, -1, vcc
	v_cmp_ne_u32_e32 vcc, 0, v5
	v_xor_b32_e32 v5, vcc_hi, v98
	v_and_b32_e32 v98, exec_hi, v5
	v_lshlrev_b32_e32 v5, 30, v96
	v_xor_b32_e32 v97, vcc_lo, v97
	v_cmp_gt_i64_e32 vcc, 0, v[4:5]
	v_not_b32_e32 v5, v5
	v_ashrrev_i32_e32 v5, 31, v5
	v_and_b32_e32 v97, exec_lo, v97
	v_xor_b32_e32 v99, vcc_hi, v5
	v_xor_b32_e32 v5, vcc_lo, v5
	v_and_b32_e32 v97, v97, v5
	v_lshlrev_b32_e32 v5, 29, v96
	v_cmp_gt_i64_e32 vcc, 0, v[4:5]
	v_not_b32_e32 v5, v5
	v_ashrrev_i32_e32 v5, 31, v5
	v_and_b32_e32 v98, v98, v99
	v_xor_b32_e32 v99, vcc_hi, v5
	v_xor_b32_e32 v5, vcc_lo, v5
	v_and_b32_e32 v97, v97, v5
	v_lshlrev_b32_e32 v5, 28, v96
	v_cmp_gt_i64_e32 vcc, 0, v[4:5]
	v_not_b32_e32 v5, v5
	v_ashrrev_i32_e32 v5, 31, v5
	v_and_b32_e32 v98, v98, v99
	;; [unrolled: 8-line block ×5, first 2 shown]
	v_xor_b32_e32 v99, vcc_hi, v5
	v_xor_b32_e32 v5, vcc_lo, v5
	v_and_b32_e32 v98, v98, v99
	v_and_b32_e32 v99, v97, v5
	v_lshlrev_b32_e32 v5, 24, v96
	v_cmp_gt_i64_e32 vcc, 0, v[4:5]
	v_not_b32_e32 v5, v5
	v_ashrrev_i32_e32 v5, 31, v5
	v_xor_b32_e32 v96, vcc_hi, v5
	v_xor_b32_e32 v5, vcc_lo, v5
	v_and_b32_e32 v97, v98, v96
	v_and_b32_e32 v96, v99, v5
	v_mbcnt_lo_u32_b32 v5, v96, 0
	v_mbcnt_hi_u32_b32 v200, v97, v5
	v_cmp_eq_u32_e32 vcc, 0, v200
	v_cmp_ne_u64_e64 s[36:37], 0, v[96:97]
	s_and_b64 s[38:39], s[36:37], vcc
	; wave barrier
	s_and_saveexec_b64 s[36:37], s[38:39]
	s_cbranch_execz .LBB1119_736
; %bb.735:                              ;   in Loop: Header=BB1119_688 Depth=2
	v_bcnt_u32_b32 v5, v96, 0
	v_bcnt_u32_b32 v5, v97, v5
	s_waitcnt lgkmcnt(0)
	v_add_u32_e32 v5, v198, v5
	ds_write_b32 v199, v5
.LBB1119_736:                           ;   in Loop: Header=BB1119_688 Depth=2
	s_or_b64 exec, exec, s[36:37]
	s_waitcnt vmcnt(8)
	v_cmp_gt_i64_e32 vcc, 0, v[90:91]
	v_ashrrev_i32_e32 v96, 31, v91
	v_cndmask_b32_e64 v5, v133, 0, vcc
	v_not_b32_e32 v96, v96
	v_xor_b32_e32 v91, v5, v91
	v_xor_b32_e32 v90, v96, v90
	v_cmp_ne_u64_e32 vcc, s[90:91], v[90:91]
	v_cndmask_b32_e32 v97, v133, v91, vcc
	v_cndmask_b32_e32 v96, -1, v90, vcc
	v_lshrrev_b64 v[96:97], s84, v[96:97]
	v_and_b32_e32 v96, s85, v96
	v_mul_u32_u24_e32 v5, 5, v96
	v_add_lshl_u32 v5, v5, v177, 2
	; wave barrier
	v_add_u32_e32 v202, 0x410, v5
	ds_read_b32 v201, v5 offset:1040
	v_and_b32_e32 v5, 1, v96
	v_add_co_u32_e32 v97, vcc, -1, v5
	v_addc_co_u32_e64 v98, s[36:37], 0, -1, vcc
	v_cmp_ne_u32_e32 vcc, 0, v5
	v_xor_b32_e32 v5, vcc_hi, v98
	v_and_b32_e32 v98, exec_hi, v5
	v_lshlrev_b32_e32 v5, 30, v96
	v_xor_b32_e32 v97, vcc_lo, v97
	v_cmp_gt_i64_e32 vcc, 0, v[4:5]
	v_not_b32_e32 v5, v5
	v_ashrrev_i32_e32 v5, 31, v5
	v_and_b32_e32 v97, exec_lo, v97
	v_xor_b32_e32 v99, vcc_hi, v5
	v_xor_b32_e32 v5, vcc_lo, v5
	v_and_b32_e32 v97, v97, v5
	v_lshlrev_b32_e32 v5, 29, v96
	v_cmp_gt_i64_e32 vcc, 0, v[4:5]
	v_not_b32_e32 v5, v5
	v_ashrrev_i32_e32 v5, 31, v5
	v_and_b32_e32 v98, v98, v99
	v_xor_b32_e32 v99, vcc_hi, v5
	v_xor_b32_e32 v5, vcc_lo, v5
	v_and_b32_e32 v97, v97, v5
	v_lshlrev_b32_e32 v5, 28, v96
	v_cmp_gt_i64_e32 vcc, 0, v[4:5]
	v_not_b32_e32 v5, v5
	v_ashrrev_i32_e32 v5, 31, v5
	v_and_b32_e32 v98, v98, v99
	;; [unrolled: 8-line block ×5, first 2 shown]
	v_xor_b32_e32 v99, vcc_hi, v5
	v_xor_b32_e32 v5, vcc_lo, v5
	v_and_b32_e32 v98, v98, v99
	v_and_b32_e32 v99, v97, v5
	v_lshlrev_b32_e32 v5, 24, v96
	v_cmp_gt_i64_e32 vcc, 0, v[4:5]
	v_not_b32_e32 v5, v5
	v_ashrrev_i32_e32 v5, 31, v5
	v_xor_b32_e32 v96, vcc_hi, v5
	v_xor_b32_e32 v5, vcc_lo, v5
	v_and_b32_e32 v97, v98, v96
	v_and_b32_e32 v96, v99, v5
	v_mbcnt_lo_u32_b32 v5, v96, 0
	v_mbcnt_hi_u32_b32 v203, v97, v5
	v_cmp_eq_u32_e32 vcc, 0, v203
	v_cmp_ne_u64_e64 s[36:37], 0, v[96:97]
	s_and_b64 s[38:39], s[36:37], vcc
	; wave barrier
	s_and_saveexec_b64 s[36:37], s[38:39]
	s_cbranch_execz .LBB1119_738
; %bb.737:                              ;   in Loop: Header=BB1119_688 Depth=2
	v_bcnt_u32_b32 v5, v96, 0
	v_bcnt_u32_b32 v5, v97, v5
	s_waitcnt lgkmcnt(0)
	v_add_u32_e32 v5, v201, v5
	ds_write_b32 v202, v5
.LBB1119_738:                           ;   in Loop: Header=BB1119_688 Depth=2
	s_or_b64 exec, exec, s[36:37]
	s_waitcnt vmcnt(7)
	v_cmp_gt_i64_e32 vcc, 0, v[94:95]
	v_ashrrev_i32_e32 v96, 31, v95
	v_cndmask_b32_e64 v5, v133, 0, vcc
	v_not_b32_e32 v96, v96
	v_xor_b32_e32 v95, v5, v95
	v_xor_b32_e32 v94, v96, v94
	v_cmp_ne_u64_e32 vcc, s[90:91], v[94:95]
	v_cndmask_b32_e32 v97, v133, v95, vcc
	v_cndmask_b32_e32 v96, -1, v94, vcc
	v_lshrrev_b64 v[96:97], s84, v[96:97]
	v_and_b32_e32 v96, s85, v96
	v_mul_u32_u24_e32 v5, 5, v96
	v_add_lshl_u32 v5, v5, v177, 2
	; wave barrier
	v_add_u32_e32 v205, 0x410, v5
	ds_read_b32 v204, v5 offset:1040
	v_and_b32_e32 v5, 1, v96
	v_add_co_u32_e32 v97, vcc, -1, v5
	v_addc_co_u32_e64 v98, s[36:37], 0, -1, vcc
	v_cmp_ne_u32_e32 vcc, 0, v5
	v_xor_b32_e32 v5, vcc_hi, v98
	v_and_b32_e32 v98, exec_hi, v5
	v_lshlrev_b32_e32 v5, 30, v96
	v_xor_b32_e32 v97, vcc_lo, v97
	v_cmp_gt_i64_e32 vcc, 0, v[4:5]
	v_not_b32_e32 v5, v5
	v_ashrrev_i32_e32 v5, 31, v5
	v_and_b32_e32 v97, exec_lo, v97
	v_xor_b32_e32 v99, vcc_hi, v5
	v_xor_b32_e32 v5, vcc_lo, v5
	v_and_b32_e32 v97, v97, v5
	v_lshlrev_b32_e32 v5, 29, v96
	v_cmp_gt_i64_e32 vcc, 0, v[4:5]
	v_not_b32_e32 v5, v5
	v_ashrrev_i32_e32 v5, 31, v5
	v_and_b32_e32 v98, v98, v99
	v_xor_b32_e32 v99, vcc_hi, v5
	v_xor_b32_e32 v5, vcc_lo, v5
	v_and_b32_e32 v97, v97, v5
	v_lshlrev_b32_e32 v5, 28, v96
	v_cmp_gt_i64_e32 vcc, 0, v[4:5]
	v_not_b32_e32 v5, v5
	v_ashrrev_i32_e32 v5, 31, v5
	v_and_b32_e32 v98, v98, v99
	;; [unrolled: 8-line block ×5, first 2 shown]
	v_xor_b32_e32 v99, vcc_hi, v5
	v_xor_b32_e32 v5, vcc_lo, v5
	v_and_b32_e32 v98, v98, v99
	v_and_b32_e32 v99, v97, v5
	v_lshlrev_b32_e32 v5, 24, v96
	v_cmp_gt_i64_e32 vcc, 0, v[4:5]
	v_not_b32_e32 v5, v5
	v_ashrrev_i32_e32 v5, 31, v5
	v_xor_b32_e32 v96, vcc_hi, v5
	v_xor_b32_e32 v5, vcc_lo, v5
	v_and_b32_e32 v97, v98, v96
	v_and_b32_e32 v96, v99, v5
	v_mbcnt_lo_u32_b32 v5, v96, 0
	v_mbcnt_hi_u32_b32 v206, v97, v5
	v_cmp_eq_u32_e32 vcc, 0, v206
	v_cmp_ne_u64_e64 s[36:37], 0, v[96:97]
	s_and_b64 s[38:39], s[36:37], vcc
	; wave barrier
	s_and_saveexec_b64 s[36:37], s[38:39]
	s_cbranch_execz .LBB1119_740
; %bb.739:                              ;   in Loop: Header=BB1119_688 Depth=2
	v_bcnt_u32_b32 v5, v96, 0
	v_bcnt_u32_b32 v5, v97, v5
	s_waitcnt lgkmcnt(0)
	v_add_u32_e32 v5, v204, v5
	ds_write_b32 v205, v5
.LBB1119_740:                           ;   in Loop: Header=BB1119_688 Depth=2
	s_or_b64 exec, exec, s[36:37]
	s_waitcnt vmcnt(6)
	v_cmp_gt_i64_e32 vcc, 0, v[92:93]
	v_ashrrev_i32_e32 v96, 31, v93
	v_cndmask_b32_e64 v5, v133, 0, vcc
	v_not_b32_e32 v96, v96
	v_xor_b32_e32 v93, v5, v93
	v_xor_b32_e32 v92, v96, v92
	v_cmp_ne_u64_e32 vcc, s[90:91], v[92:93]
	v_cndmask_b32_e32 v97, v133, v93, vcc
	v_cndmask_b32_e32 v96, -1, v92, vcc
	v_lshrrev_b64 v[96:97], s84, v[96:97]
	v_and_b32_e32 v96, s85, v96
	v_mul_u32_u24_e32 v5, 5, v96
	v_add_lshl_u32 v5, v5, v177, 2
	; wave barrier
	v_add_u32_e32 v208, 0x410, v5
	ds_read_b32 v207, v5 offset:1040
	v_and_b32_e32 v5, 1, v96
	v_add_co_u32_e32 v97, vcc, -1, v5
	v_addc_co_u32_e64 v98, s[36:37], 0, -1, vcc
	v_cmp_ne_u32_e32 vcc, 0, v5
	v_xor_b32_e32 v5, vcc_hi, v98
	v_and_b32_e32 v98, exec_hi, v5
	v_lshlrev_b32_e32 v5, 30, v96
	v_xor_b32_e32 v97, vcc_lo, v97
	v_cmp_gt_i64_e32 vcc, 0, v[4:5]
	v_not_b32_e32 v5, v5
	v_ashrrev_i32_e32 v5, 31, v5
	v_and_b32_e32 v97, exec_lo, v97
	v_xor_b32_e32 v99, vcc_hi, v5
	v_xor_b32_e32 v5, vcc_lo, v5
	v_and_b32_e32 v97, v97, v5
	v_lshlrev_b32_e32 v5, 29, v96
	v_cmp_gt_i64_e32 vcc, 0, v[4:5]
	v_not_b32_e32 v5, v5
	v_ashrrev_i32_e32 v5, 31, v5
	v_and_b32_e32 v98, v98, v99
	v_xor_b32_e32 v99, vcc_hi, v5
	v_xor_b32_e32 v5, vcc_lo, v5
	v_and_b32_e32 v97, v97, v5
	v_lshlrev_b32_e32 v5, 28, v96
	v_cmp_gt_i64_e32 vcc, 0, v[4:5]
	v_not_b32_e32 v5, v5
	v_ashrrev_i32_e32 v5, 31, v5
	v_and_b32_e32 v98, v98, v99
	;; [unrolled: 8-line block ×5, first 2 shown]
	v_xor_b32_e32 v99, vcc_hi, v5
	v_xor_b32_e32 v5, vcc_lo, v5
	v_and_b32_e32 v98, v98, v99
	v_and_b32_e32 v99, v97, v5
	v_lshlrev_b32_e32 v5, 24, v96
	v_cmp_gt_i64_e32 vcc, 0, v[4:5]
	v_not_b32_e32 v5, v5
	v_ashrrev_i32_e32 v5, 31, v5
	v_xor_b32_e32 v96, vcc_hi, v5
	v_xor_b32_e32 v5, vcc_lo, v5
	v_and_b32_e32 v97, v98, v96
	v_and_b32_e32 v96, v99, v5
	v_mbcnt_lo_u32_b32 v5, v96, 0
	v_mbcnt_hi_u32_b32 v209, v97, v5
	v_cmp_eq_u32_e32 vcc, 0, v209
	v_cmp_ne_u64_e64 s[36:37], 0, v[96:97]
	s_and_b64 s[38:39], s[36:37], vcc
	; wave barrier
	s_and_saveexec_b64 s[36:37], s[38:39]
	s_cbranch_execz .LBB1119_742
; %bb.741:                              ;   in Loop: Header=BB1119_688 Depth=2
	v_bcnt_u32_b32 v5, v96, 0
	v_bcnt_u32_b32 v5, v97, v5
	s_waitcnt lgkmcnt(0)
	v_add_u32_e32 v5, v207, v5
	ds_write_b32 v208, v5
.LBB1119_742:                           ;   in Loop: Header=BB1119_688 Depth=2
	s_or_b64 exec, exec, s[36:37]
	s_waitcnt vmcnt(5)
	v_cmp_gt_i64_e32 vcc, 0, v[88:89]
	v_ashrrev_i32_e32 v96, 31, v89
	v_cndmask_b32_e64 v5, v133, 0, vcc
	v_not_b32_e32 v96, v96
	v_xor_b32_e32 v89, v5, v89
	v_xor_b32_e32 v88, v96, v88
	v_cmp_ne_u64_e32 vcc, s[90:91], v[88:89]
	v_cndmask_b32_e32 v97, v133, v89, vcc
	v_cndmask_b32_e32 v96, -1, v88, vcc
	v_lshrrev_b64 v[96:97], s84, v[96:97]
	v_and_b32_e32 v96, s85, v96
	v_mul_u32_u24_e32 v5, 5, v96
	v_add_lshl_u32 v5, v5, v177, 2
	; wave barrier
	v_add_u32_e32 v211, 0x410, v5
	ds_read_b32 v210, v5 offset:1040
	v_and_b32_e32 v5, 1, v96
	v_add_co_u32_e32 v97, vcc, -1, v5
	v_addc_co_u32_e64 v98, s[36:37], 0, -1, vcc
	v_cmp_ne_u32_e32 vcc, 0, v5
	v_xor_b32_e32 v5, vcc_hi, v98
	v_and_b32_e32 v98, exec_hi, v5
	v_lshlrev_b32_e32 v5, 30, v96
	v_xor_b32_e32 v97, vcc_lo, v97
	v_cmp_gt_i64_e32 vcc, 0, v[4:5]
	v_not_b32_e32 v5, v5
	v_ashrrev_i32_e32 v5, 31, v5
	v_and_b32_e32 v97, exec_lo, v97
	v_xor_b32_e32 v99, vcc_hi, v5
	v_xor_b32_e32 v5, vcc_lo, v5
	v_and_b32_e32 v97, v97, v5
	v_lshlrev_b32_e32 v5, 29, v96
	v_cmp_gt_i64_e32 vcc, 0, v[4:5]
	v_not_b32_e32 v5, v5
	v_ashrrev_i32_e32 v5, 31, v5
	v_and_b32_e32 v98, v98, v99
	v_xor_b32_e32 v99, vcc_hi, v5
	v_xor_b32_e32 v5, vcc_lo, v5
	v_and_b32_e32 v97, v97, v5
	v_lshlrev_b32_e32 v5, 28, v96
	v_cmp_gt_i64_e32 vcc, 0, v[4:5]
	v_not_b32_e32 v5, v5
	v_ashrrev_i32_e32 v5, 31, v5
	v_and_b32_e32 v98, v98, v99
	;; [unrolled: 8-line block ×5, first 2 shown]
	v_xor_b32_e32 v99, vcc_hi, v5
	v_xor_b32_e32 v5, vcc_lo, v5
	v_and_b32_e32 v98, v98, v99
	v_and_b32_e32 v99, v97, v5
	v_lshlrev_b32_e32 v5, 24, v96
	v_cmp_gt_i64_e32 vcc, 0, v[4:5]
	v_not_b32_e32 v5, v5
	v_ashrrev_i32_e32 v5, 31, v5
	v_xor_b32_e32 v96, vcc_hi, v5
	v_xor_b32_e32 v5, vcc_lo, v5
	v_and_b32_e32 v97, v98, v96
	v_and_b32_e32 v96, v99, v5
	v_mbcnt_lo_u32_b32 v5, v96, 0
	v_mbcnt_hi_u32_b32 v212, v97, v5
	v_cmp_eq_u32_e32 vcc, 0, v212
	v_cmp_ne_u64_e64 s[36:37], 0, v[96:97]
	s_and_b64 s[38:39], s[36:37], vcc
	; wave barrier
	s_and_saveexec_b64 s[36:37], s[38:39]
	s_cbranch_execz .LBB1119_744
; %bb.743:                              ;   in Loop: Header=BB1119_688 Depth=2
	v_bcnt_u32_b32 v5, v96, 0
	v_bcnt_u32_b32 v5, v97, v5
	s_waitcnt lgkmcnt(0)
	v_add_u32_e32 v5, v210, v5
	ds_write_b32 v211, v5
.LBB1119_744:                           ;   in Loop: Header=BB1119_688 Depth=2
	s_or_b64 exec, exec, s[36:37]
	s_waitcnt vmcnt(4)
	v_cmp_gt_i64_e32 vcc, 0, v[84:85]
	v_ashrrev_i32_e32 v96, 31, v85
	v_cndmask_b32_e64 v5, v133, 0, vcc
	v_not_b32_e32 v96, v96
	v_xor_b32_e32 v85, v5, v85
	v_xor_b32_e32 v84, v96, v84
	v_cmp_ne_u64_e32 vcc, s[90:91], v[84:85]
	v_cndmask_b32_e32 v97, v133, v85, vcc
	v_cndmask_b32_e32 v96, -1, v84, vcc
	v_lshrrev_b64 v[96:97], s84, v[96:97]
	v_and_b32_e32 v96, s85, v96
	v_mul_u32_u24_e32 v5, 5, v96
	v_add_lshl_u32 v5, v5, v177, 2
	; wave barrier
	v_add_u32_e32 v214, 0x410, v5
	ds_read_b32 v213, v5 offset:1040
	v_and_b32_e32 v5, 1, v96
	v_add_co_u32_e32 v97, vcc, -1, v5
	v_addc_co_u32_e64 v98, s[36:37], 0, -1, vcc
	v_cmp_ne_u32_e32 vcc, 0, v5
	v_xor_b32_e32 v5, vcc_hi, v98
	v_and_b32_e32 v98, exec_hi, v5
	v_lshlrev_b32_e32 v5, 30, v96
	v_xor_b32_e32 v97, vcc_lo, v97
	v_cmp_gt_i64_e32 vcc, 0, v[4:5]
	v_not_b32_e32 v5, v5
	v_ashrrev_i32_e32 v5, 31, v5
	v_and_b32_e32 v97, exec_lo, v97
	v_xor_b32_e32 v99, vcc_hi, v5
	v_xor_b32_e32 v5, vcc_lo, v5
	v_and_b32_e32 v97, v97, v5
	v_lshlrev_b32_e32 v5, 29, v96
	v_cmp_gt_i64_e32 vcc, 0, v[4:5]
	v_not_b32_e32 v5, v5
	v_ashrrev_i32_e32 v5, 31, v5
	v_and_b32_e32 v98, v98, v99
	v_xor_b32_e32 v99, vcc_hi, v5
	v_xor_b32_e32 v5, vcc_lo, v5
	v_and_b32_e32 v97, v97, v5
	v_lshlrev_b32_e32 v5, 28, v96
	v_cmp_gt_i64_e32 vcc, 0, v[4:5]
	v_not_b32_e32 v5, v5
	v_ashrrev_i32_e32 v5, 31, v5
	v_and_b32_e32 v98, v98, v99
	;; [unrolled: 8-line block ×5, first 2 shown]
	v_xor_b32_e32 v99, vcc_hi, v5
	v_xor_b32_e32 v5, vcc_lo, v5
	v_and_b32_e32 v98, v98, v99
	v_and_b32_e32 v99, v97, v5
	v_lshlrev_b32_e32 v5, 24, v96
	v_cmp_gt_i64_e32 vcc, 0, v[4:5]
	v_not_b32_e32 v5, v5
	v_ashrrev_i32_e32 v5, 31, v5
	v_xor_b32_e32 v96, vcc_hi, v5
	v_xor_b32_e32 v5, vcc_lo, v5
	v_and_b32_e32 v97, v98, v96
	v_and_b32_e32 v96, v99, v5
	v_mbcnt_lo_u32_b32 v5, v96, 0
	v_mbcnt_hi_u32_b32 v215, v97, v5
	v_cmp_eq_u32_e32 vcc, 0, v215
	v_cmp_ne_u64_e64 s[36:37], 0, v[96:97]
	s_and_b64 s[38:39], s[36:37], vcc
	; wave barrier
	s_and_saveexec_b64 s[36:37], s[38:39]
	s_cbranch_execz .LBB1119_746
; %bb.745:                              ;   in Loop: Header=BB1119_688 Depth=2
	v_bcnt_u32_b32 v5, v96, 0
	v_bcnt_u32_b32 v5, v97, v5
	s_waitcnt lgkmcnt(0)
	v_add_u32_e32 v5, v213, v5
	ds_write_b32 v214, v5
.LBB1119_746:                           ;   in Loop: Header=BB1119_688 Depth=2
	s_or_b64 exec, exec, s[36:37]
	s_waitcnt vmcnt(3)
	v_cmp_gt_i64_e32 vcc, 0, v[80:81]
	v_ashrrev_i32_e32 v96, 31, v81
	v_cndmask_b32_e64 v5, v133, 0, vcc
	v_not_b32_e32 v96, v96
	v_xor_b32_e32 v81, v5, v81
	v_xor_b32_e32 v80, v96, v80
	v_cmp_ne_u64_e32 vcc, s[90:91], v[80:81]
	v_cndmask_b32_e32 v97, v133, v81, vcc
	v_cndmask_b32_e32 v96, -1, v80, vcc
	v_lshrrev_b64 v[96:97], s84, v[96:97]
	v_and_b32_e32 v96, s85, v96
	v_mul_u32_u24_e32 v5, 5, v96
	v_add_lshl_u32 v5, v5, v177, 2
	; wave barrier
	v_add_u32_e32 v217, 0x410, v5
	ds_read_b32 v216, v5 offset:1040
	v_and_b32_e32 v5, 1, v96
	v_add_co_u32_e32 v97, vcc, -1, v5
	v_addc_co_u32_e64 v98, s[36:37], 0, -1, vcc
	v_cmp_ne_u32_e32 vcc, 0, v5
	v_xor_b32_e32 v5, vcc_hi, v98
	v_and_b32_e32 v98, exec_hi, v5
	v_lshlrev_b32_e32 v5, 30, v96
	v_xor_b32_e32 v97, vcc_lo, v97
	v_cmp_gt_i64_e32 vcc, 0, v[4:5]
	v_not_b32_e32 v5, v5
	v_ashrrev_i32_e32 v5, 31, v5
	v_and_b32_e32 v97, exec_lo, v97
	v_xor_b32_e32 v99, vcc_hi, v5
	v_xor_b32_e32 v5, vcc_lo, v5
	v_and_b32_e32 v97, v97, v5
	v_lshlrev_b32_e32 v5, 29, v96
	v_cmp_gt_i64_e32 vcc, 0, v[4:5]
	v_not_b32_e32 v5, v5
	v_ashrrev_i32_e32 v5, 31, v5
	v_and_b32_e32 v98, v98, v99
	v_xor_b32_e32 v99, vcc_hi, v5
	v_xor_b32_e32 v5, vcc_lo, v5
	v_and_b32_e32 v97, v97, v5
	v_lshlrev_b32_e32 v5, 28, v96
	v_cmp_gt_i64_e32 vcc, 0, v[4:5]
	v_not_b32_e32 v5, v5
	v_ashrrev_i32_e32 v5, 31, v5
	v_and_b32_e32 v98, v98, v99
	;; [unrolled: 8-line block ×5, first 2 shown]
	v_xor_b32_e32 v99, vcc_hi, v5
	v_xor_b32_e32 v5, vcc_lo, v5
	v_and_b32_e32 v98, v98, v99
	v_and_b32_e32 v99, v97, v5
	v_lshlrev_b32_e32 v5, 24, v96
	v_cmp_gt_i64_e32 vcc, 0, v[4:5]
	v_not_b32_e32 v5, v5
	v_ashrrev_i32_e32 v5, 31, v5
	v_xor_b32_e32 v96, vcc_hi, v5
	v_xor_b32_e32 v5, vcc_lo, v5
	v_and_b32_e32 v97, v98, v96
	v_and_b32_e32 v96, v99, v5
	v_mbcnt_lo_u32_b32 v5, v96, 0
	v_mbcnt_hi_u32_b32 v218, v97, v5
	v_cmp_eq_u32_e32 vcc, 0, v218
	v_cmp_ne_u64_e64 s[36:37], 0, v[96:97]
	s_and_b64 s[38:39], s[36:37], vcc
	; wave barrier
	s_and_saveexec_b64 s[36:37], s[38:39]
	s_cbranch_execz .LBB1119_748
; %bb.747:                              ;   in Loop: Header=BB1119_688 Depth=2
	v_bcnt_u32_b32 v5, v96, 0
	v_bcnt_u32_b32 v5, v97, v5
	s_waitcnt lgkmcnt(0)
	v_add_u32_e32 v5, v216, v5
	ds_write_b32 v217, v5
.LBB1119_748:                           ;   in Loop: Header=BB1119_688 Depth=2
	s_or_b64 exec, exec, s[36:37]
	s_waitcnt vmcnt(2)
	v_cmp_gt_i64_e32 vcc, 0, v[76:77]
	v_ashrrev_i32_e32 v96, 31, v77
	v_cndmask_b32_e64 v5, v133, 0, vcc
	v_not_b32_e32 v96, v96
	v_xor_b32_e32 v77, v5, v77
	v_xor_b32_e32 v76, v96, v76
	v_cmp_ne_u64_e32 vcc, s[90:91], v[76:77]
	v_cndmask_b32_e32 v97, v133, v77, vcc
	v_cndmask_b32_e32 v96, -1, v76, vcc
	v_lshrrev_b64 v[96:97], s84, v[96:97]
	v_and_b32_e32 v96, s85, v96
	v_mul_u32_u24_e32 v5, 5, v96
	v_add_lshl_u32 v5, v5, v177, 2
	; wave barrier
	v_add_u32_e32 v220, 0x410, v5
	ds_read_b32 v219, v5 offset:1040
	v_and_b32_e32 v5, 1, v96
	v_add_co_u32_e32 v97, vcc, -1, v5
	v_addc_co_u32_e64 v98, s[36:37], 0, -1, vcc
	v_cmp_ne_u32_e32 vcc, 0, v5
	v_xor_b32_e32 v5, vcc_hi, v98
	v_and_b32_e32 v98, exec_hi, v5
	v_lshlrev_b32_e32 v5, 30, v96
	v_xor_b32_e32 v97, vcc_lo, v97
	v_cmp_gt_i64_e32 vcc, 0, v[4:5]
	v_not_b32_e32 v5, v5
	v_ashrrev_i32_e32 v5, 31, v5
	v_and_b32_e32 v97, exec_lo, v97
	v_xor_b32_e32 v99, vcc_hi, v5
	v_xor_b32_e32 v5, vcc_lo, v5
	v_and_b32_e32 v97, v97, v5
	v_lshlrev_b32_e32 v5, 29, v96
	v_cmp_gt_i64_e32 vcc, 0, v[4:5]
	v_not_b32_e32 v5, v5
	v_ashrrev_i32_e32 v5, 31, v5
	v_and_b32_e32 v98, v98, v99
	v_xor_b32_e32 v99, vcc_hi, v5
	v_xor_b32_e32 v5, vcc_lo, v5
	v_and_b32_e32 v97, v97, v5
	v_lshlrev_b32_e32 v5, 28, v96
	v_cmp_gt_i64_e32 vcc, 0, v[4:5]
	v_not_b32_e32 v5, v5
	v_ashrrev_i32_e32 v5, 31, v5
	v_and_b32_e32 v98, v98, v99
	;; [unrolled: 8-line block ×5, first 2 shown]
	v_xor_b32_e32 v99, vcc_hi, v5
	v_xor_b32_e32 v5, vcc_lo, v5
	v_and_b32_e32 v98, v98, v99
	v_and_b32_e32 v99, v97, v5
	v_lshlrev_b32_e32 v5, 24, v96
	v_cmp_gt_i64_e32 vcc, 0, v[4:5]
	v_not_b32_e32 v5, v5
	v_ashrrev_i32_e32 v5, 31, v5
	v_xor_b32_e32 v96, vcc_hi, v5
	v_xor_b32_e32 v5, vcc_lo, v5
	v_and_b32_e32 v97, v98, v96
	v_and_b32_e32 v96, v99, v5
	v_mbcnt_lo_u32_b32 v5, v96, 0
	v_mbcnt_hi_u32_b32 v221, v97, v5
	v_cmp_eq_u32_e32 vcc, 0, v221
	v_cmp_ne_u64_e64 s[36:37], 0, v[96:97]
	s_and_b64 s[38:39], s[36:37], vcc
	; wave barrier
	s_and_saveexec_b64 s[36:37], s[38:39]
	s_cbranch_execz .LBB1119_750
; %bb.749:                              ;   in Loop: Header=BB1119_688 Depth=2
	v_bcnt_u32_b32 v5, v96, 0
	v_bcnt_u32_b32 v5, v97, v5
	s_waitcnt lgkmcnt(0)
	v_add_u32_e32 v5, v219, v5
	ds_write_b32 v220, v5
.LBB1119_750:                           ;   in Loop: Header=BB1119_688 Depth=2
	s_or_b64 exec, exec, s[36:37]
	s_waitcnt vmcnt(1)
	v_cmp_gt_i64_e32 vcc, 0, v[72:73]
	v_ashrrev_i32_e32 v96, 31, v73
	v_cndmask_b32_e64 v5, v133, 0, vcc
	v_not_b32_e32 v96, v96
	v_xor_b32_e32 v73, v5, v73
	v_xor_b32_e32 v72, v96, v72
	v_cmp_ne_u64_e32 vcc, s[90:91], v[72:73]
	v_cndmask_b32_e32 v97, v133, v73, vcc
	v_cndmask_b32_e32 v96, -1, v72, vcc
	v_lshrrev_b64 v[96:97], s84, v[96:97]
	v_and_b32_e32 v96, s85, v96
	v_mul_u32_u24_e32 v5, 5, v96
	v_add_lshl_u32 v5, v5, v177, 2
	; wave barrier
	v_add_u32_e32 v223, 0x410, v5
	ds_read_b32 v222, v5 offset:1040
	v_and_b32_e32 v5, 1, v96
	v_add_co_u32_e32 v97, vcc, -1, v5
	v_addc_co_u32_e64 v98, s[36:37], 0, -1, vcc
	v_cmp_ne_u32_e32 vcc, 0, v5
	v_xor_b32_e32 v5, vcc_hi, v98
	v_and_b32_e32 v98, exec_hi, v5
	v_lshlrev_b32_e32 v5, 30, v96
	v_xor_b32_e32 v97, vcc_lo, v97
	v_cmp_gt_i64_e32 vcc, 0, v[4:5]
	v_not_b32_e32 v5, v5
	v_ashrrev_i32_e32 v5, 31, v5
	v_and_b32_e32 v97, exec_lo, v97
	v_xor_b32_e32 v99, vcc_hi, v5
	v_xor_b32_e32 v5, vcc_lo, v5
	v_and_b32_e32 v97, v97, v5
	v_lshlrev_b32_e32 v5, 29, v96
	v_cmp_gt_i64_e32 vcc, 0, v[4:5]
	v_not_b32_e32 v5, v5
	v_ashrrev_i32_e32 v5, 31, v5
	v_and_b32_e32 v98, v98, v99
	v_xor_b32_e32 v99, vcc_hi, v5
	v_xor_b32_e32 v5, vcc_lo, v5
	v_and_b32_e32 v97, v97, v5
	v_lshlrev_b32_e32 v5, 28, v96
	v_cmp_gt_i64_e32 vcc, 0, v[4:5]
	v_not_b32_e32 v5, v5
	v_ashrrev_i32_e32 v5, 31, v5
	v_and_b32_e32 v98, v98, v99
	;; [unrolled: 8-line block ×5, first 2 shown]
	v_xor_b32_e32 v99, vcc_hi, v5
	v_xor_b32_e32 v5, vcc_lo, v5
	v_and_b32_e32 v98, v98, v99
	v_and_b32_e32 v99, v97, v5
	v_lshlrev_b32_e32 v5, 24, v96
	v_cmp_gt_i64_e32 vcc, 0, v[4:5]
	v_not_b32_e32 v5, v5
	v_ashrrev_i32_e32 v5, 31, v5
	v_xor_b32_e32 v96, vcc_hi, v5
	v_xor_b32_e32 v5, vcc_lo, v5
	v_and_b32_e32 v97, v98, v96
	v_and_b32_e32 v96, v99, v5
	v_mbcnt_lo_u32_b32 v5, v96, 0
	v_mbcnt_hi_u32_b32 v224, v97, v5
	v_cmp_eq_u32_e32 vcc, 0, v224
	v_cmp_ne_u64_e64 s[36:37], 0, v[96:97]
	s_and_b64 s[38:39], s[36:37], vcc
	; wave barrier
	s_and_saveexec_b64 s[36:37], s[38:39]
	s_cbranch_execz .LBB1119_752
; %bb.751:                              ;   in Loop: Header=BB1119_688 Depth=2
	v_bcnt_u32_b32 v5, v96, 0
	v_bcnt_u32_b32 v5, v97, v5
	s_waitcnt lgkmcnt(0)
	v_add_u32_e32 v5, v222, v5
	ds_write_b32 v223, v5
.LBB1119_752:                           ;   in Loop: Header=BB1119_688 Depth=2
	s_or_b64 exec, exec, s[36:37]
	s_waitcnt vmcnt(0)
	v_cmp_gt_i64_e32 vcc, 0, v[68:69]
	v_ashrrev_i32_e32 v96, 31, v69
	v_cndmask_b32_e64 v5, v133, 0, vcc
	v_not_b32_e32 v96, v96
	v_xor_b32_e32 v69, v5, v69
	v_xor_b32_e32 v68, v96, v68
	v_cmp_ne_u64_e32 vcc, s[90:91], v[68:69]
	v_cndmask_b32_e32 v97, v133, v69, vcc
	v_cndmask_b32_e32 v96, -1, v68, vcc
	v_lshrrev_b64 v[96:97], s84, v[96:97]
	v_and_b32_e32 v96, s85, v96
	v_mul_u32_u24_e32 v5, 5, v96
	v_add_lshl_u32 v5, v5, v177, 2
	; wave barrier
	v_add_u32_e32 v226, 0x410, v5
	ds_read_b32 v225, v5 offset:1040
	v_and_b32_e32 v5, 1, v96
	v_add_co_u32_e32 v97, vcc, -1, v5
	v_addc_co_u32_e64 v98, s[36:37], 0, -1, vcc
	v_cmp_ne_u32_e32 vcc, 0, v5
	v_xor_b32_e32 v5, vcc_hi, v98
	v_and_b32_e32 v98, exec_hi, v5
	v_lshlrev_b32_e32 v5, 30, v96
	v_xor_b32_e32 v97, vcc_lo, v97
	v_cmp_gt_i64_e32 vcc, 0, v[4:5]
	v_not_b32_e32 v5, v5
	v_ashrrev_i32_e32 v5, 31, v5
	v_and_b32_e32 v97, exec_lo, v97
	v_xor_b32_e32 v99, vcc_hi, v5
	v_xor_b32_e32 v5, vcc_lo, v5
	v_and_b32_e32 v97, v97, v5
	v_lshlrev_b32_e32 v5, 29, v96
	v_cmp_gt_i64_e32 vcc, 0, v[4:5]
	v_not_b32_e32 v5, v5
	v_ashrrev_i32_e32 v5, 31, v5
	v_and_b32_e32 v98, v98, v99
	v_xor_b32_e32 v99, vcc_hi, v5
	v_xor_b32_e32 v5, vcc_lo, v5
	v_and_b32_e32 v97, v97, v5
	v_lshlrev_b32_e32 v5, 28, v96
	v_cmp_gt_i64_e32 vcc, 0, v[4:5]
	v_not_b32_e32 v5, v5
	v_ashrrev_i32_e32 v5, 31, v5
	v_and_b32_e32 v98, v98, v99
	;; [unrolled: 8-line block ×5, first 2 shown]
	v_xor_b32_e32 v99, vcc_hi, v5
	v_xor_b32_e32 v5, vcc_lo, v5
	v_and_b32_e32 v98, v98, v99
	v_and_b32_e32 v99, v97, v5
	v_lshlrev_b32_e32 v5, 24, v96
	v_cmp_gt_i64_e32 vcc, 0, v[4:5]
	v_not_b32_e32 v5, v5
	v_ashrrev_i32_e32 v5, 31, v5
	v_xor_b32_e32 v96, vcc_hi, v5
	v_xor_b32_e32 v5, vcc_lo, v5
	v_and_b32_e32 v97, v98, v96
	v_and_b32_e32 v96, v99, v5
	v_mbcnt_lo_u32_b32 v5, v96, 0
	v_mbcnt_hi_u32_b32 v227, v97, v5
	v_cmp_eq_u32_e32 vcc, 0, v227
	v_cmp_ne_u64_e64 s[36:37], 0, v[96:97]
	s_and_b64 s[38:39], s[36:37], vcc
	; wave barrier
	s_and_saveexec_b64 s[36:37], s[38:39]
	s_cbranch_execz .LBB1119_754
; %bb.753:                              ;   in Loop: Header=BB1119_688 Depth=2
	v_bcnt_u32_b32 v5, v96, 0
	v_bcnt_u32_b32 v5, v97, v5
	s_waitcnt lgkmcnt(0)
	v_add_u32_e32 v5, v225, v5
	ds_write_b32 v226, v5
.LBB1119_754:                           ;   in Loop: Header=BB1119_688 Depth=2
	s_or_b64 exec, exec, s[36:37]
	v_cmp_gt_i64_e32 vcc, 0, v[70:71]
	v_ashrrev_i32_e32 v96, 31, v71
	v_cndmask_b32_e64 v5, v133, 0, vcc
	v_not_b32_e32 v96, v96
	v_xor_b32_e32 v71, v5, v71
	v_xor_b32_e32 v70, v96, v70
	v_cmp_ne_u64_e32 vcc, s[90:91], v[70:71]
	v_cndmask_b32_e32 v97, v133, v71, vcc
	v_cndmask_b32_e32 v96, -1, v70, vcc
	v_lshrrev_b64 v[96:97], s84, v[96:97]
	v_and_b32_e32 v96, s85, v96
	v_mul_u32_u24_e32 v5, 5, v96
	v_add_lshl_u32 v5, v5, v177, 2
	; wave barrier
	v_add_u32_e32 v229, 0x410, v5
	ds_read_b32 v228, v5 offset:1040
	v_and_b32_e32 v5, 1, v96
	v_add_co_u32_e32 v97, vcc, -1, v5
	v_addc_co_u32_e64 v98, s[36:37], 0, -1, vcc
	v_cmp_ne_u32_e32 vcc, 0, v5
	v_xor_b32_e32 v5, vcc_hi, v98
	v_and_b32_e32 v98, exec_hi, v5
	v_lshlrev_b32_e32 v5, 30, v96
	v_xor_b32_e32 v97, vcc_lo, v97
	v_cmp_gt_i64_e32 vcc, 0, v[4:5]
	v_not_b32_e32 v5, v5
	v_ashrrev_i32_e32 v5, 31, v5
	v_and_b32_e32 v97, exec_lo, v97
	v_xor_b32_e32 v99, vcc_hi, v5
	v_xor_b32_e32 v5, vcc_lo, v5
	v_and_b32_e32 v97, v97, v5
	v_lshlrev_b32_e32 v5, 29, v96
	v_cmp_gt_i64_e32 vcc, 0, v[4:5]
	v_not_b32_e32 v5, v5
	v_ashrrev_i32_e32 v5, 31, v5
	v_and_b32_e32 v98, v98, v99
	v_xor_b32_e32 v99, vcc_hi, v5
	v_xor_b32_e32 v5, vcc_lo, v5
	v_and_b32_e32 v97, v97, v5
	v_lshlrev_b32_e32 v5, 28, v96
	v_cmp_gt_i64_e32 vcc, 0, v[4:5]
	v_not_b32_e32 v5, v5
	v_ashrrev_i32_e32 v5, 31, v5
	v_and_b32_e32 v98, v98, v99
	;; [unrolled: 8-line block ×5, first 2 shown]
	v_xor_b32_e32 v99, vcc_hi, v5
	v_xor_b32_e32 v5, vcc_lo, v5
	v_and_b32_e32 v98, v98, v99
	v_and_b32_e32 v99, v97, v5
	v_lshlrev_b32_e32 v5, 24, v96
	v_cmp_gt_i64_e32 vcc, 0, v[4:5]
	v_not_b32_e32 v5, v5
	v_ashrrev_i32_e32 v5, 31, v5
	v_xor_b32_e32 v96, vcc_hi, v5
	v_xor_b32_e32 v5, vcc_lo, v5
	v_and_b32_e32 v97, v98, v96
	v_and_b32_e32 v96, v99, v5
	v_mbcnt_lo_u32_b32 v5, v96, 0
	v_mbcnt_hi_u32_b32 v230, v97, v5
	v_cmp_eq_u32_e32 vcc, 0, v230
	v_cmp_ne_u64_e64 s[36:37], 0, v[96:97]
	s_and_b64 s[38:39], s[36:37], vcc
	; wave barrier
	s_and_saveexec_b64 s[36:37], s[38:39]
	s_cbranch_execz .LBB1119_756
; %bb.755:                              ;   in Loop: Header=BB1119_688 Depth=2
	v_bcnt_u32_b32 v5, v96, 0
	v_bcnt_u32_b32 v5, v97, v5
	s_waitcnt lgkmcnt(0)
	v_add_u32_e32 v5, v228, v5
	ds_write_b32 v229, v5
.LBB1119_756:                           ;   in Loop: Header=BB1119_688 Depth=2
	s_or_b64 exec, exec, s[36:37]
	; wave barrier
	s_waitcnt lgkmcnt(0)
	s_barrier
	ds_read_b32 v5, v27 offset:1040
	ds_read2_b32 v[98:99], v31 offset0:1 offset1:2
	ds_read2_b32 v[96:97], v31 offset0:3 offset1:4
	s_waitcnt lgkmcnt(1)
	v_add3_u32 v231, v98, v5, v99
	s_waitcnt lgkmcnt(0)
	v_add3_u32 v97, v231, v96, v97
	s_nop 1
	v_mov_b32_dpp v231, v97 row_shr:1 row_mask:0xf bank_mask:0xf
	v_cndmask_b32_e64 v231, v231, 0, s[16:17]
	v_add_u32_e32 v97, v231, v97
	s_nop 1
	v_mov_b32_dpp v231, v97 row_shr:2 row_mask:0xf bank_mask:0xf
	v_cndmask_b32_e64 v231, 0, v231, s[18:19]
	v_add_u32_e32 v97, v97, v231
	;; [unrolled: 4-line block ×4, first 2 shown]
	s_nop 1
	v_mov_b32_dpp v231, v97 row_bcast:15 row_mask:0xf bank_mask:0xf
	v_cndmask_b32_e64 v231, v231, 0, s[24:25]
	v_add_u32_e32 v97, v97, v231
	s_nop 1
	v_mov_b32_dpp v231, v97 row_bcast:31 row_mask:0xf bank_mask:0xf
	v_cndmask_b32_e64 v231, 0, v231, s[26:27]
	v_add_u32_e32 v97, v97, v231
	s_and_saveexec_b64 s[36:37], s[6:7]
	s_cbranch_execz .LBB1119_758
; %bb.757:                              ;   in Loop: Header=BB1119_688 Depth=2
	ds_write_b32 v15, v97 offset:1024
.LBB1119_758:                           ;   in Loop: Header=BB1119_688 Depth=2
	s_or_b64 exec, exec, s[36:37]
	s_waitcnt lgkmcnt(0)
	s_barrier
	s_and_saveexec_b64 s[36:37], s[8:9]
	s_cbranch_execz .LBB1119_760
; %bb.759:                              ;   in Loop: Header=BB1119_688 Depth=2
	ds_read_b32 v231, v33 offset:1024
	s_waitcnt lgkmcnt(0)
	s_nop 0
	v_mov_b32_dpp v232, v231 row_shr:1 row_mask:0xf bank_mask:0xf
	v_cndmask_b32_e64 v232, v232, 0, s[30:31]
	v_add_u32_e32 v231, v232, v231
	s_nop 1
	v_mov_b32_dpp v232, v231 row_shr:2 row_mask:0xf bank_mask:0xf
	v_cndmask_b32_e64 v232, 0, v232, s[34:35]
	v_add_u32_e32 v231, v231, v232
	ds_write_b32 v33, v231 offset:1024
.LBB1119_760:                           ;   in Loop: Header=BB1119_688 Depth=2
	s_or_b64 exec, exec, s[36:37]
	v_mov_b32_e32 v231, 0
	s_waitcnt lgkmcnt(0)
	s_barrier
	s_and_saveexec_b64 s[36:37], s[10:11]
	s_cbranch_execz .LBB1119_762
; %bb.761:                              ;   in Loop: Header=BB1119_688 Depth=2
	ds_read_b32 v231, v15 offset:1020
.LBB1119_762:                           ;   in Loop: Header=BB1119_688 Depth=2
	s_or_b64 exec, exec, s[36:37]
	s_waitcnt lgkmcnt(0)
	v_add_u32_e32 v97, v231, v97
	ds_bpermute_b32 v97, v159, v97
	s_waitcnt lgkmcnt(0)
	v_cndmask_b32_e64 v97, v97, v231, s[28:29]
	v_cndmask_b32_e64 v97, v97, 0, s[12:13]
	v_add_u32_e32 v5, v97, v5
	ds_write_b32 v27, v97 offset:1040
	v_add_u32_e32 v97, v5, v98
	v_add_u32_e32 v98, v97, v99
	ds_write2_b32 v31, v5, v97 offset0:1 offset1:2
	v_add_u32_e32 v5, v98, v96
	ds_write2_b32 v31, v98, v5 offset0:3 offset1:4
	s_waitcnt lgkmcnt(0)
	s_barrier
	ds_read_b32 v97, v187
	ds_read_b32 v235, v190
	;; [unrolled: 1-line block ×16, first 2 shown]
	ds_read_b32 v184, v27 offset:1040
	v_mov_b32_e32 v5, 0x1000
	s_and_saveexec_b64 s[36:37], s[14:15]
	s_cbranch_execz .LBB1119_764
; %bb.763:                              ;   in Loop: Header=BB1119_688 Depth=2
	ds_read_b32 v5, v27 offset:1060
.LBB1119_764:                           ;   in Loop: Header=BB1119_688 Depth=2
	s_or_b64 exec, exec, s[36:37]
	s_waitcnt lgkmcnt(0)
	s_barrier
	s_and_saveexec_b64 s[36:37], s[4:5]
	s_cbranch_execz .LBB1119_766
; %bb.765:                              ;   in Loop: Header=BB1119_688 Depth=2
	ds_read_b32 v208, v3
	s_waitcnt lgkmcnt(0)
	v_sub_u32_e32 v184, v208, v184
	ds_write_b32 v3, v184
.LBB1119_766:                           ;   in Loop: Header=BB1119_688 Depth=2
	s_or_b64 exec, exec, s[36:37]
	v_add_u32_e32 v186, v188, v186
	v_add_u32_e32 v189, v191, v189
	v_add_lshl_u32 v96, v96, v185, 3
	v_add_lshl_u32 v97, v186, v97, 3
	v_add_u32_e32 v198, v200, v198
	v_add_u32_e32 v195, v197, v195
	;; [unrolled: 1-line block ×3, first 2 shown]
	ds_write_b64 v96, v[64:65] offset:1024
	ds_write_b64 v97, v[66:67] offset:1024
	v_add_lshl_u32 v66, v189, v235, 3
	v_add_u32_e32 v213, v215, v213
	v_add_u32_e32 v210, v212, v210
	v_add_u32_e32 v207, v209, v207
	v_add_u32_e32 v204, v206, v204
	v_add_u32_e32 v201, v203, v201
	ds_write_b64 v66, v[74:75] offset:1024
	v_add_lshl_u32 v67, v192, v234, 3
	v_add_lshl_u32 v74, v195, v233, 3
	;; [unrolled: 1-line block ×3, first 2 shown]
	v_add_u32_e32 v216, v218, v216
	ds_write_b64 v67, v[78:79] offset:1024
	ds_write_b64 v74, v[82:83] offset:1024
	;; [unrolled: 1-line block ×3, first 2 shown]
	v_add_lshl_u32 v78, v201, v231, 3
	v_add_lshl_u32 v79, v204, v205, 3
	v_add_lshl_u32 v82, v207, v202, 3
	v_add_lshl_u32 v83, v210, v199, 3
	v_add_lshl_u32 v86, v213, v196, 3
	v_add_u32_e32 v214, v221, v219
	ds_write_b64 v78, v[90:91] offset:1024
	ds_write_b64 v79, v[94:95] offset:1024
	;; [unrolled: 1-line block ×5, first 2 shown]
	v_add_lshl_u32 v84, v216, v193, 3
	v_add_u32_e32 v211, v224, v222
	ds_write_b64 v84, v[80:81] offset:1024
	v_add_lshl_u32 v80, v214, v190, 3
	v_add_u32_e32 v208, v227, v225
	ds_write_b64 v80, v[76:77] offset:1024
	;; [unrolled: 3-line block ×3, first 2 shown]
	v_add_lshl_u32 v72, v208, v99, 3
	ds_write_b64 v72, v[68:69] offset:1024
	v_add_lshl_u32 v68, v184, v98, 3
	v_cmp_lt_u32_e64 s[36:37], v2, v183
	ds_write_b64 v68, v[70:71] offset:1024
	s_waitcnt lgkmcnt(0)
	s_barrier
	s_and_saveexec_b64 s[40:41], s[36:37]
	s_cbranch_execz .LBB1119_782
; %bb.767:                              ;   in Loop: Header=BB1119_688 Depth=2
	v_add_u32_e32 v64, v33, v3
	ds_read_b64 v[64:65], v64 offset:1024
	v_mov_b32_e32 v71, v4
	s_waitcnt lgkmcnt(0)
	v_cmp_ne_u64_e32 vcc, s[90:91], v[64:65]
	v_cndmask_b32_e32 v89, v133, v65, vcc
	v_cndmask_b32_e32 v88, -1, v64, vcc
	v_lshrrev_b64 v[88:89], s84, v[88:89]
	v_and_b32_e32 v70, s85, v88
	v_lshlrev_b32_e32 v70, 2, v70
	ds_read_b32 v70, v70
	v_cmp_gt_i64_e64 s[38:39], 0, v[64:65]
	v_cndmask_b32_e64 v69, v133, 0, s[38:39]
	v_ashrrev_i32_e32 v73, 31, v65
	v_not_b32_e32 v73, v73
	s_waitcnt lgkmcnt(0)
	v_add_u32_e32 v70, v70, v2
	v_lshlrev_b64 v[70:71], 3, v[70:71]
	v_xor_b32_e32 v65, v69, v65
	v_mov_b32_e32 v69, s75
	v_add_co_u32_e32 v70, vcc, s74, v70
	v_xor_b32_e32 v64, v73, v64
	v_addc_co_u32_e32 v71, vcc, v69, v71, vcc
	global_store_dwordx2 v[70:71], v[64:65], off
	s_or_b64 exec, exec, s[40:41]
	v_cmp_lt_u32_e64 s[38:39], v7, v183
	s_and_saveexec_b64 s[42:43], s[38:39]
	s_cbranch_execnz .LBB1119_783
.LBB1119_768:                           ;   in Loop: Header=BB1119_688 Depth=2
	s_or_b64 exec, exec, s[42:43]
	v_cmp_lt_u32_e64 s[40:41], v6, v183
	s_and_saveexec_b64 s[44:45], s[40:41]
	s_cbranch_execz .LBB1119_784
.LBB1119_769:                           ;   in Loop: Header=BB1119_688 Depth=2
	ds_read_b64 v[64:65], v104 offset:4096
	v_mov_b32_e32 v71, v4
	s_waitcnt lgkmcnt(0)
	v_cmp_ne_u64_e32 vcc, s[90:91], v[64:65]
	v_cndmask_b32_e32 v89, v133, v65, vcc
	v_cndmask_b32_e32 v88, -1, v64, vcc
	v_lshrrev_b64 v[88:89], s84, v[88:89]
	v_and_b32_e32 v70, s85, v88
	v_lshlrev_b32_e32 v70, 2, v70
	ds_read_b32 v70, v70
	v_cmp_gt_i64_e64 s[42:43], 0, v[64:65]
	v_cndmask_b32_e64 v69, v133, 0, s[42:43]
	v_ashrrev_i32_e32 v73, 31, v65
	v_not_b32_e32 v73, v73
	s_waitcnt lgkmcnt(0)
	v_add_u32_e32 v70, v70, v6
	v_lshlrev_b64 v[70:71], 3, v[70:71]
	v_xor_b32_e32 v65, v69, v65
	v_mov_b32_e32 v69, s75
	v_add_co_u32_e32 v70, vcc, s74, v70
	v_xor_b32_e32 v64, v73, v64
	v_addc_co_u32_e32 v71, vcc, v69, v71, vcc
	global_store_dwordx2 v[70:71], v[64:65], off
	s_or_b64 exec, exec, s[44:45]
	v_cmp_lt_u32_e64 s[42:43], v8, v183
	s_and_saveexec_b64 s[46:47], s[42:43]
	s_cbranch_execnz .LBB1119_785
.LBB1119_770:                           ;   in Loop: Header=BB1119_688 Depth=2
	s_or_b64 exec, exec, s[46:47]
	v_cmp_lt_u32_e64 s[44:45], v10, v183
	s_and_saveexec_b64 s[48:49], s[44:45]
	s_cbranch_execz .LBB1119_786
.LBB1119_771:                           ;   in Loop: Header=BB1119_688 Depth=2
	ds_read_b64 v[64:65], v104 offset:8192
	v_mov_b32_e32 v71, v4
	s_waitcnt lgkmcnt(0)
	v_cmp_ne_u64_e32 vcc, s[90:91], v[64:65]
	v_cndmask_b32_e32 v89, v133, v65, vcc
	v_cndmask_b32_e32 v88, -1, v64, vcc
	v_lshrrev_b64 v[88:89], s84, v[88:89]
	v_and_b32_e32 v70, s85, v88
	v_lshlrev_b32_e32 v70, 2, v70
	ds_read_b32 v70, v70
	v_cmp_gt_i64_e64 s[46:47], 0, v[64:65]
	v_cndmask_b32_e64 v69, v133, 0, s[46:47]
	v_ashrrev_i32_e32 v73, 31, v65
	v_not_b32_e32 v73, v73
	s_waitcnt lgkmcnt(0)
	v_add_u32_e32 v70, v70, v10
	v_lshlrev_b64 v[70:71], 3, v[70:71]
	v_xor_b32_e32 v65, v69, v65
	v_mov_b32_e32 v69, s75
	v_add_co_u32_e32 v70, vcc, s74, v70
	v_xor_b32_e32 v64, v73, v64
	v_addc_co_u32_e32 v71, vcc, v69, v71, vcc
	global_store_dwordx2 v[70:71], v[64:65], off
	s_or_b64 exec, exec, s[48:49]
	v_cmp_lt_u32_e64 s[46:47], v12, v183
	s_and_saveexec_b64 s[50:51], s[46:47]
	s_cbranch_execnz .LBB1119_787
.LBB1119_772:                           ;   in Loop: Header=BB1119_688 Depth=2
	s_or_b64 exec, exec, s[50:51]
	v_cmp_lt_u32_e64 s[48:49], v14, v183
	s_and_saveexec_b64 s[52:53], s[48:49]
	s_cbranch_execz .LBB1119_788
.LBB1119_773:                           ;   in Loop: Header=BB1119_688 Depth=2
	ds_read_b64 v[64:65], v104 offset:12288
	v_mov_b32_e32 v71, v4
	s_waitcnt lgkmcnt(0)
	v_cmp_ne_u64_e32 vcc, s[90:91], v[64:65]
	v_cndmask_b32_e32 v89, v133, v65, vcc
	v_cndmask_b32_e32 v88, -1, v64, vcc
	v_lshrrev_b64 v[88:89], s84, v[88:89]
	v_and_b32_e32 v70, s85, v88
	v_lshlrev_b32_e32 v70, 2, v70
	ds_read_b32 v70, v70
	v_cmp_gt_i64_e64 s[50:51], 0, v[64:65]
	v_cndmask_b32_e64 v69, v133, 0, s[50:51]
	v_ashrrev_i32_e32 v73, 31, v65
	v_not_b32_e32 v73, v73
	s_waitcnt lgkmcnt(0)
	v_add_u32_e32 v70, v70, v14
	v_lshlrev_b64 v[70:71], 3, v[70:71]
	v_xor_b32_e32 v65, v69, v65
	v_mov_b32_e32 v69, s75
	v_add_co_u32_e32 v70, vcc, s74, v70
	v_xor_b32_e32 v64, v73, v64
	v_addc_co_u32_e32 v71, vcc, v69, v71, vcc
	global_store_dwordx2 v[70:71], v[64:65], off
	s_or_b64 exec, exec, s[52:53]
	v_cmp_lt_u32_e64 s[50:51], v16, v183
	s_and_saveexec_b64 s[54:55], s[50:51]
	s_cbranch_execnz .LBB1119_789
.LBB1119_774:                           ;   in Loop: Header=BB1119_688 Depth=2
	s_or_b64 exec, exec, s[54:55]
	v_cmp_lt_u32_e64 s[52:53], v18, v183
	s_and_saveexec_b64 s[56:57], s[52:53]
	s_cbranch_execz .LBB1119_790
.LBB1119_775:                           ;   in Loop: Header=BB1119_688 Depth=2
	ds_read_b64 v[64:65], v104 offset:16384
	v_mov_b32_e32 v71, v4
	s_waitcnt lgkmcnt(0)
	v_cmp_ne_u64_e32 vcc, s[90:91], v[64:65]
	v_cndmask_b32_e32 v89, v133, v65, vcc
	v_cndmask_b32_e32 v88, -1, v64, vcc
	v_lshrrev_b64 v[88:89], s84, v[88:89]
	v_and_b32_e32 v70, s85, v88
	v_lshlrev_b32_e32 v70, 2, v70
	ds_read_b32 v70, v70
	v_cmp_gt_i64_e64 s[54:55], 0, v[64:65]
	v_cndmask_b32_e64 v69, v133, 0, s[54:55]
	v_ashrrev_i32_e32 v73, 31, v65
	v_not_b32_e32 v73, v73
	s_waitcnt lgkmcnt(0)
	v_add_u32_e32 v70, v70, v18
	v_lshlrev_b64 v[70:71], 3, v[70:71]
	v_xor_b32_e32 v65, v69, v65
	v_mov_b32_e32 v69, s75
	v_add_co_u32_e32 v70, vcc, s74, v70
	v_xor_b32_e32 v64, v73, v64
	v_addc_co_u32_e32 v71, vcc, v69, v71, vcc
	global_store_dwordx2 v[70:71], v[64:65], off
	s_or_b64 exec, exec, s[56:57]
	v_cmp_lt_u32_e64 s[54:55], v20, v183
	s_and_saveexec_b64 s[58:59], s[54:55]
	s_cbranch_execnz .LBB1119_791
.LBB1119_776:                           ;   in Loop: Header=BB1119_688 Depth=2
	s_or_b64 exec, exec, s[58:59]
	v_cmp_lt_u32_e64 s[56:57], v22, v183
	s_and_saveexec_b64 s[60:61], s[56:57]
	s_cbranch_execz .LBB1119_792
.LBB1119_777:                           ;   in Loop: Header=BB1119_688 Depth=2
	ds_read_b64 v[64:65], v104 offset:20480
	v_mov_b32_e32 v71, v4
	s_waitcnt lgkmcnt(0)
	v_cmp_ne_u64_e32 vcc, s[90:91], v[64:65]
	v_cndmask_b32_e32 v89, v133, v65, vcc
	v_cndmask_b32_e32 v88, -1, v64, vcc
	v_lshrrev_b64 v[88:89], s84, v[88:89]
	v_and_b32_e32 v70, s85, v88
	v_lshlrev_b32_e32 v70, 2, v70
	ds_read_b32 v70, v70
	v_cmp_gt_i64_e64 s[58:59], 0, v[64:65]
	v_cndmask_b32_e64 v69, v133, 0, s[58:59]
	v_ashrrev_i32_e32 v73, 31, v65
	v_not_b32_e32 v73, v73
	s_waitcnt lgkmcnt(0)
	v_add_u32_e32 v70, v70, v22
	v_lshlrev_b64 v[70:71], 3, v[70:71]
	v_xor_b32_e32 v65, v69, v65
	v_mov_b32_e32 v69, s75
	v_add_co_u32_e32 v70, vcc, s74, v70
	v_xor_b32_e32 v64, v73, v64
	v_addc_co_u32_e32 v71, vcc, v69, v71, vcc
	global_store_dwordx2 v[70:71], v[64:65], off
	s_or_b64 exec, exec, s[60:61]
	v_cmp_lt_u32_e64 s[58:59], v24, v183
	s_and_saveexec_b64 s[62:63], s[58:59]
	s_cbranch_execnz .LBB1119_793
.LBB1119_778:                           ;   in Loop: Header=BB1119_688 Depth=2
	s_or_b64 exec, exec, s[62:63]
	v_cmp_lt_u32_e64 s[60:61], v26, v183
	s_and_saveexec_b64 s[64:65], s[60:61]
	s_cbranch_execz .LBB1119_794
.LBB1119_779:                           ;   in Loop: Header=BB1119_688 Depth=2
	ds_read_b64 v[64:65], v104 offset:24576
	v_mov_b32_e32 v71, v4
	s_waitcnt lgkmcnt(0)
	v_cmp_ne_u64_e32 vcc, s[90:91], v[64:65]
	v_cndmask_b32_e32 v89, v133, v65, vcc
	v_cndmask_b32_e32 v88, -1, v64, vcc
	v_lshrrev_b64 v[88:89], s84, v[88:89]
	v_and_b32_e32 v70, s85, v88
	v_lshlrev_b32_e32 v70, 2, v70
	ds_read_b32 v70, v70
	v_cmp_gt_i64_e64 s[62:63], 0, v[64:65]
	v_cndmask_b32_e64 v69, v133, 0, s[62:63]
	v_ashrrev_i32_e32 v73, 31, v65
	v_not_b32_e32 v73, v73
	s_waitcnt lgkmcnt(0)
	v_add_u32_e32 v70, v70, v26
	v_lshlrev_b64 v[70:71], 3, v[70:71]
	v_xor_b32_e32 v65, v69, v65
	v_mov_b32_e32 v69, s75
	v_add_co_u32_e32 v70, vcc, s74, v70
	v_xor_b32_e32 v64, v73, v64
	v_addc_co_u32_e32 v71, vcc, v69, v71, vcc
	global_store_dwordx2 v[70:71], v[64:65], off
	s_or_b64 exec, exec, s[64:65]
	v_cmp_lt_u32_e64 s[62:63], v28, v183
	s_and_saveexec_b64 s[66:67], s[62:63]
	s_cbranch_execnz .LBB1119_795
.LBB1119_780:                           ;   in Loop: Header=BB1119_688 Depth=2
	s_or_b64 exec, exec, s[66:67]
	v_cmp_lt_u32_e64 s[64:65], v30, v183
	s_and_saveexec_b64 s[70:71], s[64:65]
	s_cbranch_execz .LBB1119_796
.LBB1119_781:                           ;   in Loop: Header=BB1119_688 Depth=2
	ds_read_b64 v[64:65], v104 offset:28672
	v_mov_b32_e32 v71, v4
	s_waitcnt lgkmcnt(0)
	v_cmp_ne_u64_e32 vcc, s[90:91], v[64:65]
	v_cndmask_b32_e32 v89, v133, v65, vcc
	v_cndmask_b32_e32 v88, -1, v64, vcc
	v_lshrrev_b64 v[88:89], s84, v[88:89]
	v_and_b32_e32 v70, s85, v88
	v_lshlrev_b32_e32 v70, 2, v70
	ds_read_b32 v70, v70
	v_cmp_gt_i64_e64 s[66:67], 0, v[64:65]
	v_cndmask_b32_e64 v69, v133, 0, s[66:67]
	v_ashrrev_i32_e32 v73, 31, v65
	v_not_b32_e32 v73, v73
	s_waitcnt lgkmcnt(0)
	v_add_u32_e32 v70, v70, v30
	v_lshlrev_b64 v[70:71], 3, v[70:71]
	v_xor_b32_e32 v65, v69, v65
	v_mov_b32_e32 v69, s75
	v_add_co_u32_e32 v70, vcc, s74, v70
	v_xor_b32_e32 v64, v73, v64
	v_addc_co_u32_e32 v71, vcc, v69, v71, vcc
	global_store_dwordx2 v[70:71], v[64:65], off
	s_or_b64 exec, exec, s[70:71]
	v_cmp_lt_u32_e64 s[66:67], v32, v183
	s_and_saveexec_b64 s[94:95], s[66:67]
	s_cbranch_execnz .LBB1119_797
	s_branch .LBB1119_798
.LBB1119_782:                           ;   in Loop: Header=BB1119_688 Depth=2
	s_or_b64 exec, exec, s[40:41]
	v_cmp_lt_u32_e64 s[38:39], v7, v183
	s_and_saveexec_b64 s[42:43], s[38:39]
	s_cbranch_execz .LBB1119_768
.LBB1119_783:                           ;   in Loop: Header=BB1119_688 Depth=2
	ds_read_b64 v[64:65], v104 offset:2048
	v_mov_b32_e32 v71, v4
	s_waitcnt lgkmcnt(0)
	v_cmp_ne_u64_e32 vcc, s[90:91], v[64:65]
	v_cndmask_b32_e32 v89, v133, v65, vcc
	v_cndmask_b32_e32 v88, -1, v64, vcc
	v_lshrrev_b64 v[88:89], s84, v[88:89]
	v_and_b32_e32 v70, s85, v88
	v_lshlrev_b32_e32 v70, 2, v70
	ds_read_b32 v70, v70
	v_cmp_gt_i64_e64 s[40:41], 0, v[64:65]
	v_cndmask_b32_e64 v69, v133, 0, s[40:41]
	v_ashrrev_i32_e32 v73, 31, v65
	v_not_b32_e32 v73, v73
	s_waitcnt lgkmcnt(0)
	v_add_u32_e32 v70, v70, v7
	v_lshlrev_b64 v[70:71], 3, v[70:71]
	v_xor_b32_e32 v65, v69, v65
	v_mov_b32_e32 v69, s75
	v_add_co_u32_e32 v70, vcc, s74, v70
	v_xor_b32_e32 v64, v73, v64
	v_addc_co_u32_e32 v71, vcc, v69, v71, vcc
	global_store_dwordx2 v[70:71], v[64:65], off
	s_or_b64 exec, exec, s[42:43]
	v_cmp_lt_u32_e64 s[40:41], v6, v183
	s_and_saveexec_b64 s[44:45], s[40:41]
	s_cbranch_execnz .LBB1119_769
.LBB1119_784:                           ;   in Loop: Header=BB1119_688 Depth=2
	s_or_b64 exec, exec, s[44:45]
	v_cmp_lt_u32_e64 s[42:43], v8, v183
	s_and_saveexec_b64 s[46:47], s[42:43]
	s_cbranch_execz .LBB1119_770
.LBB1119_785:                           ;   in Loop: Header=BB1119_688 Depth=2
	ds_read_b64 v[64:65], v104 offset:6144
	v_mov_b32_e32 v71, v4
	s_waitcnt lgkmcnt(0)
	v_cmp_ne_u64_e32 vcc, s[90:91], v[64:65]
	v_cndmask_b32_e32 v89, v133, v65, vcc
	v_cndmask_b32_e32 v88, -1, v64, vcc
	v_lshrrev_b64 v[88:89], s84, v[88:89]
	v_and_b32_e32 v70, s85, v88
	v_lshlrev_b32_e32 v70, 2, v70
	ds_read_b32 v70, v70
	v_cmp_gt_i64_e64 s[44:45], 0, v[64:65]
	v_cndmask_b32_e64 v69, v133, 0, s[44:45]
	v_ashrrev_i32_e32 v73, 31, v65
	v_not_b32_e32 v73, v73
	s_waitcnt lgkmcnt(0)
	v_add_u32_e32 v70, v70, v8
	v_lshlrev_b64 v[70:71], 3, v[70:71]
	v_xor_b32_e32 v65, v69, v65
	v_mov_b32_e32 v69, s75
	v_add_co_u32_e32 v70, vcc, s74, v70
	v_xor_b32_e32 v64, v73, v64
	v_addc_co_u32_e32 v71, vcc, v69, v71, vcc
	global_store_dwordx2 v[70:71], v[64:65], off
	s_or_b64 exec, exec, s[46:47]
	v_cmp_lt_u32_e64 s[44:45], v10, v183
	s_and_saveexec_b64 s[48:49], s[44:45]
	s_cbranch_execnz .LBB1119_771
.LBB1119_786:                           ;   in Loop: Header=BB1119_688 Depth=2
	s_or_b64 exec, exec, s[48:49]
	v_cmp_lt_u32_e64 s[46:47], v12, v183
	s_and_saveexec_b64 s[50:51], s[46:47]
	s_cbranch_execz .LBB1119_772
.LBB1119_787:                           ;   in Loop: Header=BB1119_688 Depth=2
	ds_read_b64 v[64:65], v104 offset:10240
	v_mov_b32_e32 v71, v4
	s_waitcnt lgkmcnt(0)
	v_cmp_ne_u64_e32 vcc, s[90:91], v[64:65]
	v_cndmask_b32_e32 v89, v133, v65, vcc
	v_cndmask_b32_e32 v88, -1, v64, vcc
	v_lshrrev_b64 v[88:89], s84, v[88:89]
	v_and_b32_e32 v70, s85, v88
	v_lshlrev_b32_e32 v70, 2, v70
	ds_read_b32 v70, v70
	v_cmp_gt_i64_e64 s[48:49], 0, v[64:65]
	v_cndmask_b32_e64 v69, v133, 0, s[48:49]
	v_ashrrev_i32_e32 v73, 31, v65
	v_not_b32_e32 v73, v73
	s_waitcnt lgkmcnt(0)
	v_add_u32_e32 v70, v70, v12
	v_lshlrev_b64 v[70:71], 3, v[70:71]
	v_xor_b32_e32 v65, v69, v65
	v_mov_b32_e32 v69, s75
	v_add_co_u32_e32 v70, vcc, s74, v70
	v_xor_b32_e32 v64, v73, v64
	v_addc_co_u32_e32 v71, vcc, v69, v71, vcc
	global_store_dwordx2 v[70:71], v[64:65], off
	s_or_b64 exec, exec, s[50:51]
	v_cmp_lt_u32_e64 s[48:49], v14, v183
	s_and_saveexec_b64 s[52:53], s[48:49]
	s_cbranch_execnz .LBB1119_773
.LBB1119_788:                           ;   in Loop: Header=BB1119_688 Depth=2
	s_or_b64 exec, exec, s[52:53]
	v_cmp_lt_u32_e64 s[50:51], v16, v183
	s_and_saveexec_b64 s[54:55], s[50:51]
	s_cbranch_execz .LBB1119_774
.LBB1119_789:                           ;   in Loop: Header=BB1119_688 Depth=2
	ds_read_b64 v[64:65], v104 offset:14336
	v_mov_b32_e32 v71, v4
	s_waitcnt lgkmcnt(0)
	v_cmp_ne_u64_e32 vcc, s[90:91], v[64:65]
	v_cndmask_b32_e32 v89, v133, v65, vcc
	v_cndmask_b32_e32 v88, -1, v64, vcc
	v_lshrrev_b64 v[88:89], s84, v[88:89]
	v_and_b32_e32 v70, s85, v88
	v_lshlrev_b32_e32 v70, 2, v70
	ds_read_b32 v70, v70
	v_cmp_gt_i64_e64 s[52:53], 0, v[64:65]
	v_cndmask_b32_e64 v69, v133, 0, s[52:53]
	v_ashrrev_i32_e32 v73, 31, v65
	v_not_b32_e32 v73, v73
	s_waitcnt lgkmcnt(0)
	v_add_u32_e32 v70, v70, v16
	v_lshlrev_b64 v[70:71], 3, v[70:71]
	v_xor_b32_e32 v65, v69, v65
	v_mov_b32_e32 v69, s75
	v_add_co_u32_e32 v70, vcc, s74, v70
	v_xor_b32_e32 v64, v73, v64
	v_addc_co_u32_e32 v71, vcc, v69, v71, vcc
	global_store_dwordx2 v[70:71], v[64:65], off
	s_or_b64 exec, exec, s[54:55]
	v_cmp_lt_u32_e64 s[52:53], v18, v183
	s_and_saveexec_b64 s[56:57], s[52:53]
	s_cbranch_execnz .LBB1119_775
.LBB1119_790:                           ;   in Loop: Header=BB1119_688 Depth=2
	s_or_b64 exec, exec, s[56:57]
	v_cmp_lt_u32_e64 s[54:55], v20, v183
	s_and_saveexec_b64 s[58:59], s[54:55]
	s_cbranch_execz .LBB1119_776
.LBB1119_791:                           ;   in Loop: Header=BB1119_688 Depth=2
	ds_read_b64 v[64:65], v104 offset:18432
	v_mov_b32_e32 v71, v4
	s_waitcnt lgkmcnt(0)
	v_cmp_ne_u64_e32 vcc, s[90:91], v[64:65]
	v_cndmask_b32_e32 v89, v133, v65, vcc
	v_cndmask_b32_e32 v88, -1, v64, vcc
	v_lshrrev_b64 v[88:89], s84, v[88:89]
	v_and_b32_e32 v70, s85, v88
	v_lshlrev_b32_e32 v70, 2, v70
	ds_read_b32 v70, v70
	v_cmp_gt_i64_e64 s[56:57], 0, v[64:65]
	v_cndmask_b32_e64 v69, v133, 0, s[56:57]
	v_ashrrev_i32_e32 v73, 31, v65
	v_not_b32_e32 v73, v73
	s_waitcnt lgkmcnt(0)
	v_add_u32_e32 v70, v70, v20
	v_lshlrev_b64 v[70:71], 3, v[70:71]
	v_xor_b32_e32 v65, v69, v65
	v_mov_b32_e32 v69, s75
	v_add_co_u32_e32 v70, vcc, s74, v70
	v_xor_b32_e32 v64, v73, v64
	v_addc_co_u32_e32 v71, vcc, v69, v71, vcc
	global_store_dwordx2 v[70:71], v[64:65], off
	s_or_b64 exec, exec, s[58:59]
	v_cmp_lt_u32_e64 s[56:57], v22, v183
	s_and_saveexec_b64 s[60:61], s[56:57]
	s_cbranch_execnz .LBB1119_777
.LBB1119_792:                           ;   in Loop: Header=BB1119_688 Depth=2
	s_or_b64 exec, exec, s[60:61]
	v_cmp_lt_u32_e64 s[58:59], v24, v183
	s_and_saveexec_b64 s[62:63], s[58:59]
	s_cbranch_execz .LBB1119_778
.LBB1119_793:                           ;   in Loop: Header=BB1119_688 Depth=2
	ds_read_b64 v[64:65], v104 offset:22528
	v_mov_b32_e32 v71, v4
	s_waitcnt lgkmcnt(0)
	v_cmp_ne_u64_e32 vcc, s[90:91], v[64:65]
	v_cndmask_b32_e32 v89, v133, v65, vcc
	v_cndmask_b32_e32 v88, -1, v64, vcc
	v_lshrrev_b64 v[88:89], s84, v[88:89]
	v_and_b32_e32 v70, s85, v88
	v_lshlrev_b32_e32 v70, 2, v70
	ds_read_b32 v70, v70
	v_cmp_gt_i64_e64 s[60:61], 0, v[64:65]
	v_cndmask_b32_e64 v69, v133, 0, s[60:61]
	v_ashrrev_i32_e32 v73, 31, v65
	v_not_b32_e32 v73, v73
	s_waitcnt lgkmcnt(0)
	v_add_u32_e32 v70, v70, v24
	v_lshlrev_b64 v[70:71], 3, v[70:71]
	v_xor_b32_e32 v65, v69, v65
	v_mov_b32_e32 v69, s75
	v_add_co_u32_e32 v70, vcc, s74, v70
	v_xor_b32_e32 v64, v73, v64
	v_addc_co_u32_e32 v71, vcc, v69, v71, vcc
	global_store_dwordx2 v[70:71], v[64:65], off
	s_or_b64 exec, exec, s[62:63]
	v_cmp_lt_u32_e64 s[60:61], v26, v183
	s_and_saveexec_b64 s[64:65], s[60:61]
	s_cbranch_execnz .LBB1119_779
.LBB1119_794:                           ;   in Loop: Header=BB1119_688 Depth=2
	s_or_b64 exec, exec, s[64:65]
	v_cmp_lt_u32_e64 s[62:63], v28, v183
	s_and_saveexec_b64 s[66:67], s[62:63]
	s_cbranch_execz .LBB1119_780
.LBB1119_795:                           ;   in Loop: Header=BB1119_688 Depth=2
	ds_read_b64 v[64:65], v104 offset:26624
	v_mov_b32_e32 v71, v4
	s_waitcnt lgkmcnt(0)
	v_cmp_ne_u64_e32 vcc, s[90:91], v[64:65]
	v_cndmask_b32_e32 v89, v133, v65, vcc
	v_cndmask_b32_e32 v88, -1, v64, vcc
	v_lshrrev_b64 v[88:89], s84, v[88:89]
	v_and_b32_e32 v70, s85, v88
	v_lshlrev_b32_e32 v70, 2, v70
	ds_read_b32 v70, v70
	v_cmp_gt_i64_e64 s[64:65], 0, v[64:65]
	v_cndmask_b32_e64 v69, v133, 0, s[64:65]
	v_ashrrev_i32_e32 v73, 31, v65
	v_not_b32_e32 v73, v73
	s_waitcnt lgkmcnt(0)
	v_add_u32_e32 v70, v70, v28
	v_lshlrev_b64 v[70:71], 3, v[70:71]
	v_xor_b32_e32 v65, v69, v65
	v_mov_b32_e32 v69, s75
	v_add_co_u32_e32 v70, vcc, s74, v70
	v_xor_b32_e32 v64, v73, v64
	v_addc_co_u32_e32 v71, vcc, v69, v71, vcc
	global_store_dwordx2 v[70:71], v[64:65], off
	s_or_b64 exec, exec, s[66:67]
	v_cmp_lt_u32_e64 s[64:65], v30, v183
	s_and_saveexec_b64 s[70:71], s[64:65]
	s_cbranch_execnz .LBB1119_781
.LBB1119_796:                           ;   in Loop: Header=BB1119_688 Depth=2
	s_or_b64 exec, exec, s[70:71]
	v_cmp_lt_u32_e64 s[66:67], v32, v183
	s_and_saveexec_b64 s[94:95], s[66:67]
	s_cbranch_execz .LBB1119_798
.LBB1119_797:                           ;   in Loop: Header=BB1119_688 Depth=2
	ds_read_b64 v[64:65], v104 offset:30720
	v_mov_b32_e32 v71, v4
	s_waitcnt lgkmcnt(0)
	v_cmp_ne_u64_e32 vcc, s[90:91], v[64:65]
	v_cndmask_b32_e32 v89, v133, v65, vcc
	v_cndmask_b32_e32 v88, -1, v64, vcc
	v_lshrrev_b64 v[88:89], s84, v[88:89]
	v_and_b32_e32 v70, s85, v88
	v_lshlrev_b32_e32 v70, 2, v70
	ds_read_b32 v70, v70
	v_cmp_gt_i64_e64 s[70:71], 0, v[64:65]
	v_cndmask_b32_e64 v69, v133, 0, s[70:71]
	v_ashrrev_i32_e32 v73, 31, v65
	v_not_b32_e32 v73, v73
	s_waitcnt lgkmcnt(0)
	v_add_u32_e32 v70, v70, v32
	v_lshlrev_b64 v[70:71], 3, v[70:71]
	v_xor_b32_e32 v65, v69, v65
	v_mov_b32_e32 v69, s75
	v_add_co_u32_e32 v70, vcc, s74, v70
	v_xor_b32_e32 v64, v73, v64
	v_addc_co_u32_e32 v71, vcc, v69, v71, vcc
	global_store_dwordx2 v[70:71], v[64:65], off
.LBB1119_798:                           ;   in Loop: Header=BB1119_688 Depth=2
	s_or_b64 exec, exec, s[94:95]
	s_mov_b32 s79, s90
	s_lshl_b64 s[70:71], s[78:79], 3
	v_mov_b32_e32 v65, s71
	v_add_co_u32_e32 v64, vcc, s70, v160
	v_addc_co_u32_e32 v65, vcc, v161, v65, vcc
	v_cmp_lt_u32_e32 vcc, v143, v183
	s_and_saveexec_b64 s[70:71], vcc
	s_xor_b64 s[70:71], exec, s[70:71]
	s_cbranch_execz .LBB1119_830
; %bb.799:                              ;   in Loop: Header=BB1119_688 Depth=2
	global_load_dwordx2 v[62:63], v[64:65], off
	s_or_b64 exec, exec, s[70:71]
	v_cmp_lt_u32_e32 vcc, v144, v183
	s_and_saveexec_b64 s[70:71], vcc
	s_cbranch_execnz .LBB1119_831
.LBB1119_800:                           ;   in Loop: Header=BB1119_688 Depth=2
	s_or_b64 exec, exec, s[70:71]
	v_cmp_lt_u32_e32 vcc, v145, v183
	s_and_saveexec_b64 s[70:71], vcc
	s_cbranch_execz .LBB1119_832
.LBB1119_801:                           ;   in Loop: Header=BB1119_688 Depth=2
	global_load_dwordx2 v[58:59], v[64:65], off offset:1024
	s_or_b64 exec, exec, s[70:71]
	v_cmp_lt_u32_e32 vcc, v146, v183
	s_and_saveexec_b64 s[70:71], vcc
	s_cbranch_execnz .LBB1119_833
.LBB1119_802:                           ;   in Loop: Header=BB1119_688 Depth=2
	s_or_b64 exec, exec, s[70:71]
	v_cmp_lt_u32_e32 vcc, v147, v183
	s_and_saveexec_b64 s[70:71], vcc
	s_cbranch_execz .LBB1119_834
.LBB1119_803:                           ;   in Loop: Header=BB1119_688 Depth=2
	global_load_dwordx2 v[50:51], v[64:65], off offset:2048
	s_or_b64 exec, exec, s[70:71]
	v_cmp_lt_u32_e32 vcc, v148, v183
	s_and_saveexec_b64 s[70:71], vcc
	s_cbranch_execnz .LBB1119_835
.LBB1119_804:                           ;   in Loop: Header=BB1119_688 Depth=2
	s_or_b64 exec, exec, s[70:71]
	v_cmp_lt_u32_e32 vcc, v149, v183
	s_and_saveexec_b64 s[70:71], vcc
	s_cbranch_execz .LBB1119_836
.LBB1119_805:                           ;   in Loop: Header=BB1119_688 Depth=2
	global_load_dwordx2 v[42:43], v[64:65], off offset:3072
	s_or_b64 exec, exec, s[70:71]
	v_cmp_lt_u32_e32 vcc, v150, v183
	s_and_saveexec_b64 s[70:71], vcc
	s_cbranch_execnz .LBB1119_837
.LBB1119_806:                           ;   in Loop: Header=BB1119_688 Depth=2
	s_or_b64 exec, exec, s[70:71]
	v_cmp_lt_u32_e32 vcc, v151, v183
	s_and_saveexec_b64 s[70:71], vcc
	s_cbranch_execz .LBB1119_838
.LBB1119_807:                           ;   in Loop: Header=BB1119_688 Depth=2
	v_add_co_u32_e32 v56, vcc, 0x1000, v64
	v_addc_co_u32_e32 v57, vcc, 0, v65, vcc
	global_load_dwordx2 v[56:57], v[56:57], off
	s_or_b64 exec, exec, s[70:71]
	v_cmp_lt_u32_e32 vcc, v152, v183
	s_and_saveexec_b64 s[70:71], vcc
	s_cbranch_execnz .LBB1119_839
.LBB1119_808:                           ;   in Loop: Header=BB1119_688 Depth=2
	s_or_b64 exec, exec, s[70:71]
	v_cmp_lt_u32_e32 vcc, v153, v183
	s_and_saveexec_b64 s[70:71], vcc
	s_cbranch_execz .LBB1119_840
.LBB1119_809:                           ;   in Loop: Header=BB1119_688 Depth=2
	v_add_co_u32_e32 v48, vcc, 0x1000, v64
	v_addc_co_u32_e32 v49, vcc, 0, v65, vcc
	global_load_dwordx2 v[48:49], v[48:49], off offset:1024
	s_or_b64 exec, exec, s[70:71]
	v_cmp_lt_u32_e32 vcc, v154, v183
	s_and_saveexec_b64 s[70:71], vcc
	s_cbranch_execnz .LBB1119_841
.LBB1119_810:                           ;   in Loop: Header=BB1119_688 Depth=2
	s_or_b64 exec, exec, s[70:71]
	v_cmp_lt_u32_e32 vcc, v155, v183
	s_and_saveexec_b64 s[70:71], vcc
	s_cbranch_execz .LBB1119_842
.LBB1119_811:                           ;   in Loop: Header=BB1119_688 Depth=2
	v_add_co_u32_e32 v40, vcc, 0x1000, v64
	v_addc_co_u32_e32 v41, vcc, 0, v65, vcc
	global_load_dwordx2 v[40:41], v[40:41], off offset:2048
	s_or_b64 exec, exec, s[70:71]
	v_cmp_lt_u32_e32 vcc, v156, v183
	s_and_saveexec_b64 s[70:71], vcc
	s_cbranch_execnz .LBB1119_843
.LBB1119_812:                           ;   in Loop: Header=BB1119_688 Depth=2
	s_or_b64 exec, exec, s[70:71]
	v_cmp_lt_u32_e32 vcc, v157, v183
	s_and_saveexec_b64 s[70:71], vcc
	s_cbranch_execz .LBB1119_844
.LBB1119_813:                           ;   in Loop: Header=BB1119_688 Depth=2
	v_add_co_u32_e32 v34, vcc, 0x1000, v64
	v_addc_co_u32_e32 v35, vcc, 0, v65, vcc
	global_load_dwordx2 v[34:35], v[34:35], off offset:3072
	s_or_b64 exec, exec, s[70:71]
	v_cmp_lt_u32_e32 vcc, v158, v183
	s_and_saveexec_b64 s[70:71], vcc
	s_cbranch_execnz .LBB1119_845
.LBB1119_814:                           ;   in Loop: Header=BB1119_688 Depth=2
	s_or_b64 exec, exec, s[70:71]
	s_and_saveexec_b64 s[70:71], s[36:37]
	s_cbranch_execz .LBB1119_846
.LBB1119_815:                           ;   in Loop: Header=BB1119_688 Depth=2
	v_add_u32_e32 v64, v33, v3
	ds_read_b64 v[64:65], v64 offset:1024
	s_waitcnt lgkmcnt(0)
	v_cmp_ne_u64_e32 vcc, s[90:91], v[64:65]
	v_cndmask_b32_e32 v65, v133, v65, vcc
	v_cndmask_b32_e32 v64, -1, v64, vcc
	v_lshrrev_b64 v[64:65], s84, v[64:65]
	v_and_b32_e32 v182, s85, v64
	s_or_b64 exec, exec, s[70:71]
	s_and_saveexec_b64 s[70:71], s[38:39]
	s_cbranch_execnz .LBB1119_847
.LBB1119_816:                           ;   in Loop: Header=BB1119_688 Depth=2
	s_or_b64 exec, exec, s[70:71]
	s_and_saveexec_b64 s[70:71], s[40:41]
	s_cbranch_execz .LBB1119_848
.LBB1119_817:                           ;   in Loop: Header=BB1119_688 Depth=2
	ds_read_b64 v[64:65], v104 offset:4096
	s_waitcnt lgkmcnt(0)
	v_cmp_ne_u64_e32 vcc, s[90:91], v[64:65]
	v_cndmask_b32_e32 v65, v133, v65, vcc
	v_cndmask_b32_e32 v64, -1, v64, vcc
	v_lshrrev_b64 v[64:65], s84, v[64:65]
	v_and_b32_e32 v180, s85, v64
	s_or_b64 exec, exec, s[70:71]
	s_and_saveexec_b64 s[70:71], s[42:43]
	s_cbranch_execnz .LBB1119_849
.LBB1119_818:                           ;   in Loop: Header=BB1119_688 Depth=2
	s_or_b64 exec, exec, s[70:71]
	s_and_saveexec_b64 s[70:71], s[44:45]
	s_cbranch_execz .LBB1119_850
.LBB1119_819:                           ;   in Loop: Header=BB1119_688 Depth=2
	ds_read_b64 v[64:65], v104 offset:8192
	s_waitcnt lgkmcnt(0)
	v_cmp_ne_u64_e32 vcc, s[90:91], v[64:65]
	v_cndmask_b32_e32 v65, v133, v65, vcc
	v_cndmask_b32_e32 v64, -1, v64, vcc
	v_lshrrev_b64 v[64:65], s84, v[64:65]
	v_and_b32_e32 v178, s85, v64
	s_or_b64 exec, exec, s[70:71]
	s_and_saveexec_b64 s[70:71], s[46:47]
	s_cbranch_execnz .LBB1119_851
.LBB1119_820:                           ;   in Loop: Header=BB1119_688 Depth=2
	s_or_b64 exec, exec, s[70:71]
	s_and_saveexec_b64 s[70:71], s[48:49]
	s_cbranch_execz .LBB1119_852
.LBB1119_821:                           ;   in Loop: Header=BB1119_688 Depth=2
	ds_read_b64 v[64:65], v104 offset:12288
	s_waitcnt lgkmcnt(0)
	v_cmp_ne_u64_e32 vcc, s[90:91], v[64:65]
	v_cndmask_b32_e32 v65, v133, v65, vcc
	v_cndmask_b32_e32 v64, -1, v64, vcc
	v_lshrrev_b64 v[64:65], s84, v[64:65]
	v_and_b32_e32 v175, s85, v64
	s_or_b64 exec, exec, s[70:71]
	s_and_saveexec_b64 s[70:71], s[50:51]
	s_cbranch_execnz .LBB1119_853
.LBB1119_822:                           ;   in Loop: Header=BB1119_688 Depth=2
	s_or_b64 exec, exec, s[70:71]
	s_and_saveexec_b64 s[70:71], s[52:53]
	s_cbranch_execz .LBB1119_854
.LBB1119_823:                           ;   in Loop: Header=BB1119_688 Depth=2
	ds_read_b64 v[64:65], v104 offset:16384
	s_waitcnt lgkmcnt(0)
	v_cmp_ne_u64_e32 vcc, s[90:91], v[64:65]
	v_cndmask_b32_e32 v65, v133, v65, vcc
	v_cndmask_b32_e32 v64, -1, v64, vcc
	v_lshrrev_b64 v[64:65], s84, v[64:65]
	v_and_b32_e32 v172, s85, v64
	s_or_b64 exec, exec, s[70:71]
	s_and_saveexec_b64 s[70:71], s[54:55]
	s_cbranch_execnz .LBB1119_855
.LBB1119_824:                           ;   in Loop: Header=BB1119_688 Depth=2
	s_or_b64 exec, exec, s[70:71]
	s_and_saveexec_b64 s[70:71], s[56:57]
	s_cbranch_execz .LBB1119_856
.LBB1119_825:                           ;   in Loop: Header=BB1119_688 Depth=2
	ds_read_b64 v[64:65], v104 offset:20480
	s_waitcnt lgkmcnt(0)
	v_cmp_ne_u64_e32 vcc, s[90:91], v[64:65]
	v_cndmask_b32_e32 v65, v133, v65, vcc
	v_cndmask_b32_e32 v64, -1, v64, vcc
	v_lshrrev_b64 v[64:65], s84, v[64:65]
	v_and_b32_e32 v169, s85, v64
	s_or_b64 exec, exec, s[70:71]
	s_and_saveexec_b64 s[70:71], s[58:59]
	s_cbranch_execnz .LBB1119_857
.LBB1119_826:                           ;   in Loop: Header=BB1119_688 Depth=2
	s_or_b64 exec, exec, s[70:71]
	s_and_saveexec_b64 s[70:71], s[60:61]
	s_cbranch_execz .LBB1119_858
.LBB1119_827:                           ;   in Loop: Header=BB1119_688 Depth=2
	ds_read_b64 v[64:65], v104 offset:24576
	s_waitcnt lgkmcnt(0)
	v_cmp_ne_u64_e32 vcc, s[90:91], v[64:65]
	v_cndmask_b32_e32 v65, v133, v65, vcc
	v_cndmask_b32_e32 v64, -1, v64, vcc
	v_lshrrev_b64 v[64:65], s84, v[64:65]
	v_and_b32_e32 v167, s85, v64
	s_or_b64 exec, exec, s[70:71]
	s_and_saveexec_b64 s[70:71], s[62:63]
	s_cbranch_execnz .LBB1119_859
.LBB1119_828:                           ;   in Loop: Header=BB1119_688 Depth=2
	s_or_b64 exec, exec, s[70:71]
	s_and_saveexec_b64 s[70:71], s[64:65]
	s_cbranch_execz .LBB1119_860
.LBB1119_829:                           ;   in Loop: Header=BB1119_688 Depth=2
	ds_read_b64 v[64:65], v104 offset:28672
	s_waitcnt lgkmcnt(0)
	v_cmp_ne_u64_e32 vcc, s[90:91], v[64:65]
	v_cndmask_b32_e32 v65, v133, v65, vcc
	v_cndmask_b32_e32 v64, -1, v64, vcc
	v_lshrrev_b64 v[64:65], s84, v[64:65]
	v_and_b32_e32 v165, s85, v64
	s_or_b64 exec, exec, s[70:71]
	s_and_saveexec_b64 s[70:71], s[66:67]
	s_cbranch_execnz .LBB1119_861
	s_branch .LBB1119_862
.LBB1119_830:                           ;   in Loop: Header=BB1119_688 Depth=2
	s_or_b64 exec, exec, s[70:71]
	v_cmp_lt_u32_e32 vcc, v144, v183
	s_and_saveexec_b64 s[70:71], vcc
	s_cbranch_execz .LBB1119_800
.LBB1119_831:                           ;   in Loop: Header=BB1119_688 Depth=2
	global_load_dwordx2 v[60:61], v[64:65], off offset:512
	s_or_b64 exec, exec, s[70:71]
	v_cmp_lt_u32_e32 vcc, v145, v183
	s_and_saveexec_b64 s[70:71], vcc
	s_cbranch_execnz .LBB1119_801
.LBB1119_832:                           ;   in Loop: Header=BB1119_688 Depth=2
	s_or_b64 exec, exec, s[70:71]
	v_cmp_lt_u32_e32 vcc, v146, v183
	s_and_saveexec_b64 s[70:71], vcc
	s_cbranch_execz .LBB1119_802
.LBB1119_833:                           ;   in Loop: Header=BB1119_688 Depth=2
	global_load_dwordx2 v[54:55], v[64:65], off offset:1536
	s_or_b64 exec, exec, s[70:71]
	v_cmp_lt_u32_e32 vcc, v147, v183
	s_and_saveexec_b64 s[70:71], vcc
	s_cbranch_execnz .LBB1119_803
.LBB1119_834:                           ;   in Loop: Header=BB1119_688 Depth=2
	s_or_b64 exec, exec, s[70:71]
	v_cmp_lt_u32_e32 vcc, v148, v183
	s_and_saveexec_b64 s[70:71], vcc
	s_cbranch_execz .LBB1119_804
.LBB1119_835:                           ;   in Loop: Header=BB1119_688 Depth=2
	global_load_dwordx2 v[46:47], v[64:65], off offset:2560
	s_or_b64 exec, exec, s[70:71]
	v_cmp_lt_u32_e32 vcc, v149, v183
	s_and_saveexec_b64 s[70:71], vcc
	s_cbranch_execnz .LBB1119_805
.LBB1119_836:                           ;   in Loop: Header=BB1119_688 Depth=2
	s_or_b64 exec, exec, s[70:71]
	v_cmp_lt_u32_e32 vcc, v150, v183
	s_and_saveexec_b64 s[70:71], vcc
	s_cbranch_execz .LBB1119_806
.LBB1119_837:                           ;   in Loop: Header=BB1119_688 Depth=2
	global_load_dwordx2 v[38:39], v[64:65], off offset:3584
	s_or_b64 exec, exec, s[70:71]
	v_cmp_lt_u32_e32 vcc, v151, v183
	s_and_saveexec_b64 s[70:71], vcc
	s_cbranch_execnz .LBB1119_807
.LBB1119_838:                           ;   in Loop: Header=BB1119_688 Depth=2
	s_or_b64 exec, exec, s[70:71]
	v_cmp_lt_u32_e32 vcc, v152, v183
	s_and_saveexec_b64 s[70:71], vcc
	s_cbranch_execz .LBB1119_808
.LBB1119_839:                           ;   in Loop: Header=BB1119_688 Depth=2
	v_add_co_u32_e32 v52, vcc, 0x1000, v64
	v_addc_co_u32_e32 v53, vcc, 0, v65, vcc
	global_load_dwordx2 v[52:53], v[52:53], off offset:512
	s_or_b64 exec, exec, s[70:71]
	v_cmp_lt_u32_e32 vcc, v153, v183
	s_and_saveexec_b64 s[70:71], vcc
	s_cbranch_execnz .LBB1119_809
.LBB1119_840:                           ;   in Loop: Header=BB1119_688 Depth=2
	s_or_b64 exec, exec, s[70:71]
	v_cmp_lt_u32_e32 vcc, v154, v183
	s_and_saveexec_b64 s[70:71], vcc
	s_cbranch_execz .LBB1119_810
.LBB1119_841:                           ;   in Loop: Header=BB1119_688 Depth=2
	v_add_co_u32_e32 v44, vcc, 0x1000, v64
	v_addc_co_u32_e32 v45, vcc, 0, v65, vcc
	global_load_dwordx2 v[44:45], v[44:45], off offset:1536
	s_or_b64 exec, exec, s[70:71]
	v_cmp_lt_u32_e32 vcc, v155, v183
	s_and_saveexec_b64 s[70:71], vcc
	s_cbranch_execnz .LBB1119_811
.LBB1119_842:                           ;   in Loop: Header=BB1119_688 Depth=2
	s_or_b64 exec, exec, s[70:71]
	v_cmp_lt_u32_e32 vcc, v156, v183
	s_and_saveexec_b64 s[70:71], vcc
	s_cbranch_execz .LBB1119_812
.LBB1119_843:                           ;   in Loop: Header=BB1119_688 Depth=2
	v_add_co_u32_e32 v36, vcc, 0x1000, v64
	v_addc_co_u32_e32 v37, vcc, 0, v65, vcc
	global_load_dwordx2 v[36:37], v[36:37], off offset:2560
	s_or_b64 exec, exec, s[70:71]
	v_cmp_lt_u32_e32 vcc, v157, v183
	s_and_saveexec_b64 s[70:71], vcc
	s_cbranch_execnz .LBB1119_813
.LBB1119_844:                           ;   in Loop: Header=BB1119_688 Depth=2
	s_or_b64 exec, exec, s[70:71]
	v_cmp_lt_u32_e32 vcc, v158, v183
	s_and_saveexec_b64 s[70:71], vcc
	s_cbranch_execz .LBB1119_814
.LBB1119_845:                           ;   in Loop: Header=BB1119_688 Depth=2
	v_add_co_u32_e32 v0, vcc, 0x1000, v64
	v_addc_co_u32_e32 v1, vcc, 0, v65, vcc
	global_load_dwordx2 v[0:1], v[0:1], off offset:3584
	s_or_b64 exec, exec, s[70:71]
	s_and_saveexec_b64 s[70:71], s[36:37]
	s_cbranch_execnz .LBB1119_815
.LBB1119_846:                           ;   in Loop: Header=BB1119_688 Depth=2
	s_or_b64 exec, exec, s[70:71]
	s_and_saveexec_b64 s[70:71], s[38:39]
	s_cbranch_execz .LBB1119_816
.LBB1119_847:                           ;   in Loop: Header=BB1119_688 Depth=2
	ds_read_b64 v[64:65], v104 offset:2048
	s_waitcnt lgkmcnt(0)
	v_cmp_ne_u64_e32 vcc, s[90:91], v[64:65]
	v_cndmask_b32_e32 v65, v133, v65, vcc
	v_cndmask_b32_e32 v64, -1, v64, vcc
	v_lshrrev_b64 v[64:65], s84, v[64:65]
	v_and_b32_e32 v181, s85, v64
	s_or_b64 exec, exec, s[70:71]
	s_and_saveexec_b64 s[70:71], s[40:41]
	s_cbranch_execnz .LBB1119_817
.LBB1119_848:                           ;   in Loop: Header=BB1119_688 Depth=2
	s_or_b64 exec, exec, s[70:71]
	s_and_saveexec_b64 s[70:71], s[42:43]
	s_cbranch_execz .LBB1119_818
.LBB1119_849:                           ;   in Loop: Header=BB1119_688 Depth=2
	ds_read_b64 v[64:65], v104 offset:6144
	s_waitcnt lgkmcnt(0)
	v_cmp_ne_u64_e32 vcc, s[90:91], v[64:65]
	v_cndmask_b32_e32 v65, v133, v65, vcc
	v_cndmask_b32_e32 v64, -1, v64, vcc
	v_lshrrev_b64 v[64:65], s84, v[64:65]
	v_and_b32_e32 v179, s85, v64
	s_or_b64 exec, exec, s[70:71]
	s_and_saveexec_b64 s[70:71], s[44:45]
	s_cbranch_execnz .LBB1119_819
.LBB1119_850:                           ;   in Loop: Header=BB1119_688 Depth=2
	s_or_b64 exec, exec, s[70:71]
	s_and_saveexec_b64 s[70:71], s[46:47]
	s_cbranch_execz .LBB1119_820
.LBB1119_851:                           ;   in Loop: Header=BB1119_688 Depth=2
	ds_read_b64 v[64:65], v104 offset:10240
	s_waitcnt lgkmcnt(0)
	v_cmp_ne_u64_e32 vcc, s[90:91], v[64:65]
	v_cndmask_b32_e32 v65, v133, v65, vcc
	v_cndmask_b32_e32 v64, -1, v64, vcc
	v_lshrrev_b64 v[64:65], s84, v[64:65]
	v_and_b32_e32 v176, s85, v64
	s_or_b64 exec, exec, s[70:71]
	s_and_saveexec_b64 s[70:71], s[48:49]
	s_cbranch_execnz .LBB1119_821
.LBB1119_852:                           ;   in Loop: Header=BB1119_688 Depth=2
	s_or_b64 exec, exec, s[70:71]
	s_and_saveexec_b64 s[70:71], s[50:51]
	s_cbranch_execz .LBB1119_822
.LBB1119_853:                           ;   in Loop: Header=BB1119_688 Depth=2
	ds_read_b64 v[64:65], v104 offset:14336
	s_waitcnt lgkmcnt(0)
	v_cmp_ne_u64_e32 vcc, s[90:91], v[64:65]
	v_cndmask_b32_e32 v65, v133, v65, vcc
	v_cndmask_b32_e32 v64, -1, v64, vcc
	v_lshrrev_b64 v[64:65], s84, v[64:65]
	v_and_b32_e32 v174, s85, v64
	s_or_b64 exec, exec, s[70:71]
	s_and_saveexec_b64 s[70:71], s[52:53]
	s_cbranch_execnz .LBB1119_823
.LBB1119_854:                           ;   in Loop: Header=BB1119_688 Depth=2
	s_or_b64 exec, exec, s[70:71]
	s_and_saveexec_b64 s[70:71], s[54:55]
	s_cbranch_execz .LBB1119_824
.LBB1119_855:                           ;   in Loop: Header=BB1119_688 Depth=2
	ds_read_b64 v[64:65], v104 offset:18432
	s_waitcnt lgkmcnt(0)
	v_cmp_ne_u64_e32 vcc, s[90:91], v[64:65]
	v_cndmask_b32_e32 v65, v133, v65, vcc
	v_cndmask_b32_e32 v64, -1, v64, vcc
	v_lshrrev_b64 v[64:65], s84, v[64:65]
	v_and_b32_e32 v171, s85, v64
	s_or_b64 exec, exec, s[70:71]
	s_and_saveexec_b64 s[70:71], s[56:57]
	s_cbranch_execnz .LBB1119_825
.LBB1119_856:                           ;   in Loop: Header=BB1119_688 Depth=2
	s_or_b64 exec, exec, s[70:71]
	s_and_saveexec_b64 s[70:71], s[58:59]
	s_cbranch_execz .LBB1119_826
.LBB1119_857:                           ;   in Loop: Header=BB1119_688 Depth=2
	ds_read_b64 v[64:65], v104 offset:22528
	s_waitcnt lgkmcnt(0)
	v_cmp_ne_u64_e32 vcc, s[90:91], v[64:65]
	v_cndmask_b32_e32 v65, v133, v65, vcc
	v_cndmask_b32_e32 v64, -1, v64, vcc
	v_lshrrev_b64 v[64:65], s84, v[64:65]
	v_and_b32_e32 v168, s85, v64
	s_or_b64 exec, exec, s[70:71]
	s_and_saveexec_b64 s[70:71], s[60:61]
	s_cbranch_execnz .LBB1119_827
.LBB1119_858:                           ;   in Loop: Header=BB1119_688 Depth=2
	s_or_b64 exec, exec, s[70:71]
	s_and_saveexec_b64 s[70:71], s[62:63]
	s_cbranch_execz .LBB1119_828
.LBB1119_859:                           ;   in Loop: Header=BB1119_688 Depth=2
	ds_read_b64 v[64:65], v104 offset:26624
	s_waitcnt lgkmcnt(0)
	v_cmp_ne_u64_e32 vcc, s[90:91], v[64:65]
	v_cndmask_b32_e32 v65, v133, v65, vcc
	v_cndmask_b32_e32 v64, -1, v64, vcc
	v_lshrrev_b64 v[64:65], s84, v[64:65]
	v_and_b32_e32 v166, s85, v64
	s_or_b64 exec, exec, s[70:71]
	s_and_saveexec_b64 s[70:71], s[64:65]
	s_cbranch_execnz .LBB1119_829
.LBB1119_860:                           ;   in Loop: Header=BB1119_688 Depth=2
	s_or_b64 exec, exec, s[70:71]
	s_and_saveexec_b64 s[70:71], s[66:67]
	s_cbranch_execz .LBB1119_862
.LBB1119_861:                           ;   in Loop: Header=BB1119_688 Depth=2
	ds_read_b64 v[64:65], v104 offset:30720
	s_waitcnt lgkmcnt(0)
	v_cmp_ne_u64_e32 vcc, s[90:91], v[64:65]
	v_cndmask_b32_e32 v65, v133, v65, vcc
	v_cndmask_b32_e32 v64, -1, v64, vcc
	v_lshrrev_b64 v[64:65], s84, v[64:65]
	v_and_b32_e32 v164, s85, v64
.LBB1119_862:                           ;   in Loop: Header=BB1119_688 Depth=2
	s_or_b64 exec, exec, s[70:71]
	v_add_u32_e32 v64, 0x400, v96
	v_add_u32_e32 v65, 0x400, v97
	;; [unrolled: 1-line block ×16, first 2 shown]
	s_barrier
	s_waitcnt vmcnt(0)
	ds_write_b64 v64, v[62:63]
	ds_write_b64 v65, v[60:61]
	;; [unrolled: 1-line block ×16, first 2 shown]
	s_waitcnt lgkmcnt(0)
	s_barrier
	s_and_saveexec_b64 s[70:71], s[36:37]
	s_cbranch_execz .LBB1119_878
; %bb.863:                              ;   in Loop: Header=BB1119_688 Depth=2
	v_lshlrev_b32_e32 v64, 2, v182
	ds_read_b32 v66, v64
	v_add_u32_e32 v64, v33, v3
	ds_read_b64 v[64:65], v64 offset:1024
	v_mov_b32_e32 v67, v4
	v_mov_b32_e32 v68, s81
	s_waitcnt lgkmcnt(1)
	v_add_u32_e32 v66, v66, v2
	v_lshlrev_b64 v[66:67], 3, v[66:67]
	v_add_co_u32_e32 v66, vcc, s80, v66
	v_addc_co_u32_e32 v67, vcc, v68, v67, vcc
	s_waitcnt lgkmcnt(0)
	global_store_dwordx2 v[66:67], v[64:65], off
	s_or_b64 exec, exec, s[70:71]
	s_and_saveexec_b64 s[36:37], s[38:39]
	s_cbranch_execnz .LBB1119_879
.LBB1119_864:                           ;   in Loop: Header=BB1119_688 Depth=2
	s_or_b64 exec, exec, s[36:37]
	s_and_saveexec_b64 s[36:37], s[40:41]
	s_cbranch_execz .LBB1119_880
.LBB1119_865:                           ;   in Loop: Header=BB1119_688 Depth=2
	v_lshlrev_b32_e32 v64, 2, v180
	ds_read_b32 v66, v64
	ds_read_b64 v[64:65], v104 offset:4096
	v_mov_b32_e32 v67, v4
	v_mov_b32_e32 v68, s81
	s_waitcnt lgkmcnt(1)
	v_add_u32_e32 v66, v66, v6
	v_lshlrev_b64 v[66:67], 3, v[66:67]
	v_add_co_u32_e32 v66, vcc, s80, v66
	v_addc_co_u32_e32 v67, vcc, v68, v67, vcc
	s_waitcnt lgkmcnt(0)
	global_store_dwordx2 v[66:67], v[64:65], off
	s_or_b64 exec, exec, s[36:37]
	s_and_saveexec_b64 s[36:37], s[42:43]
	s_cbranch_execnz .LBB1119_881
.LBB1119_866:                           ;   in Loop: Header=BB1119_688 Depth=2
	s_or_b64 exec, exec, s[36:37]
	s_and_saveexec_b64 s[36:37], s[44:45]
	s_cbranch_execz .LBB1119_882
.LBB1119_867:                           ;   in Loop: Header=BB1119_688 Depth=2
	v_lshlrev_b32_e32 v64, 2, v178
	ds_read_b32 v66, v64
	ds_read_b64 v[64:65], v104 offset:8192
	v_mov_b32_e32 v67, v4
	v_mov_b32_e32 v68, s81
	s_waitcnt lgkmcnt(1)
	v_add_u32_e32 v66, v66, v10
	v_lshlrev_b64 v[66:67], 3, v[66:67]
	v_add_co_u32_e32 v66, vcc, s80, v66
	v_addc_co_u32_e32 v67, vcc, v68, v67, vcc
	s_waitcnt lgkmcnt(0)
	global_store_dwordx2 v[66:67], v[64:65], off
	s_or_b64 exec, exec, s[36:37]
	s_and_saveexec_b64 s[36:37], s[46:47]
	s_cbranch_execnz .LBB1119_883
.LBB1119_868:                           ;   in Loop: Header=BB1119_688 Depth=2
	s_or_b64 exec, exec, s[36:37]
	s_and_saveexec_b64 s[36:37], s[48:49]
	s_cbranch_execz .LBB1119_884
.LBB1119_869:                           ;   in Loop: Header=BB1119_688 Depth=2
	v_lshlrev_b32_e32 v64, 2, v175
	ds_read_b32 v66, v64
	ds_read_b64 v[64:65], v104 offset:12288
	v_mov_b32_e32 v67, v4
	v_mov_b32_e32 v68, s81
	s_waitcnt lgkmcnt(1)
	v_add_u32_e32 v66, v66, v14
	v_lshlrev_b64 v[66:67], 3, v[66:67]
	v_add_co_u32_e32 v66, vcc, s80, v66
	v_addc_co_u32_e32 v67, vcc, v68, v67, vcc
	s_waitcnt lgkmcnt(0)
	global_store_dwordx2 v[66:67], v[64:65], off
	s_or_b64 exec, exec, s[36:37]
	s_and_saveexec_b64 s[36:37], s[50:51]
	s_cbranch_execnz .LBB1119_885
.LBB1119_870:                           ;   in Loop: Header=BB1119_688 Depth=2
	s_or_b64 exec, exec, s[36:37]
	s_and_saveexec_b64 s[36:37], s[52:53]
	s_cbranch_execz .LBB1119_886
.LBB1119_871:                           ;   in Loop: Header=BB1119_688 Depth=2
	v_lshlrev_b32_e32 v64, 2, v172
	ds_read_b32 v66, v64
	ds_read_b64 v[64:65], v104 offset:16384
	v_mov_b32_e32 v67, v4
	v_mov_b32_e32 v68, s81
	s_waitcnt lgkmcnt(1)
	v_add_u32_e32 v66, v66, v18
	v_lshlrev_b64 v[66:67], 3, v[66:67]
	v_add_co_u32_e32 v66, vcc, s80, v66
	v_addc_co_u32_e32 v67, vcc, v68, v67, vcc
	s_waitcnt lgkmcnt(0)
	global_store_dwordx2 v[66:67], v[64:65], off
	s_or_b64 exec, exec, s[36:37]
	s_and_saveexec_b64 s[36:37], s[54:55]
	s_cbranch_execnz .LBB1119_887
.LBB1119_872:                           ;   in Loop: Header=BB1119_688 Depth=2
	s_or_b64 exec, exec, s[36:37]
	s_and_saveexec_b64 s[36:37], s[56:57]
	s_cbranch_execz .LBB1119_888
.LBB1119_873:                           ;   in Loop: Header=BB1119_688 Depth=2
	v_lshlrev_b32_e32 v64, 2, v169
	ds_read_b32 v66, v64
	ds_read_b64 v[64:65], v104 offset:20480
	v_mov_b32_e32 v67, v4
	v_mov_b32_e32 v68, s81
	s_waitcnt lgkmcnt(1)
	v_add_u32_e32 v66, v66, v22
	v_lshlrev_b64 v[66:67], 3, v[66:67]
	v_add_co_u32_e32 v66, vcc, s80, v66
	v_addc_co_u32_e32 v67, vcc, v68, v67, vcc
	s_waitcnt lgkmcnt(0)
	global_store_dwordx2 v[66:67], v[64:65], off
	s_or_b64 exec, exec, s[36:37]
	s_and_saveexec_b64 s[36:37], s[58:59]
	s_cbranch_execnz .LBB1119_889
.LBB1119_874:                           ;   in Loop: Header=BB1119_688 Depth=2
	s_or_b64 exec, exec, s[36:37]
	s_and_saveexec_b64 s[36:37], s[60:61]
	s_cbranch_execz .LBB1119_890
.LBB1119_875:                           ;   in Loop: Header=BB1119_688 Depth=2
	v_lshlrev_b32_e32 v64, 2, v167
	ds_read_b32 v66, v64
	ds_read_b64 v[64:65], v104 offset:24576
	v_mov_b32_e32 v67, v4
	v_mov_b32_e32 v68, s81
	s_waitcnt lgkmcnt(1)
	v_add_u32_e32 v66, v66, v26
	v_lshlrev_b64 v[66:67], 3, v[66:67]
	v_add_co_u32_e32 v66, vcc, s80, v66
	v_addc_co_u32_e32 v67, vcc, v68, v67, vcc
	s_waitcnt lgkmcnt(0)
	global_store_dwordx2 v[66:67], v[64:65], off
	s_or_b64 exec, exec, s[36:37]
	s_and_saveexec_b64 s[36:37], s[62:63]
	s_cbranch_execnz .LBB1119_891
.LBB1119_876:                           ;   in Loop: Header=BB1119_688 Depth=2
	s_or_b64 exec, exec, s[36:37]
	s_and_saveexec_b64 s[36:37], s[64:65]
	s_cbranch_execz .LBB1119_892
.LBB1119_877:                           ;   in Loop: Header=BB1119_688 Depth=2
	v_lshlrev_b32_e32 v64, 2, v165
	ds_read_b32 v66, v64
	ds_read_b64 v[64:65], v104 offset:28672
	v_mov_b32_e32 v67, v4
	v_mov_b32_e32 v68, s81
	s_waitcnt lgkmcnt(1)
	v_add_u32_e32 v66, v66, v30
	v_lshlrev_b64 v[66:67], 3, v[66:67]
	v_add_co_u32_e32 v66, vcc, s80, v66
	v_addc_co_u32_e32 v67, vcc, v68, v67, vcc
	s_waitcnt lgkmcnt(0)
	global_store_dwordx2 v[66:67], v[64:65], off
	s_or_b64 exec, exec, s[36:37]
	s_and_saveexec_b64 s[36:37], s[66:67]
	s_cbranch_execnz .LBB1119_893
	s_branch .LBB1119_894
.LBB1119_878:                           ;   in Loop: Header=BB1119_688 Depth=2
	s_or_b64 exec, exec, s[70:71]
	s_and_saveexec_b64 s[36:37], s[38:39]
	s_cbranch_execz .LBB1119_864
.LBB1119_879:                           ;   in Loop: Header=BB1119_688 Depth=2
	v_lshlrev_b32_e32 v64, 2, v181
	ds_read_b32 v66, v64
	ds_read_b64 v[64:65], v104 offset:2048
	v_mov_b32_e32 v67, v4
	v_mov_b32_e32 v68, s81
	s_waitcnt lgkmcnt(1)
	v_add_u32_e32 v66, v66, v7
	v_lshlrev_b64 v[66:67], 3, v[66:67]
	v_add_co_u32_e32 v66, vcc, s80, v66
	v_addc_co_u32_e32 v67, vcc, v68, v67, vcc
	s_waitcnt lgkmcnt(0)
	global_store_dwordx2 v[66:67], v[64:65], off
	s_or_b64 exec, exec, s[36:37]
	s_and_saveexec_b64 s[36:37], s[40:41]
	s_cbranch_execnz .LBB1119_865
.LBB1119_880:                           ;   in Loop: Header=BB1119_688 Depth=2
	s_or_b64 exec, exec, s[36:37]
	s_and_saveexec_b64 s[36:37], s[42:43]
	s_cbranch_execz .LBB1119_866
.LBB1119_881:                           ;   in Loop: Header=BB1119_688 Depth=2
	v_lshlrev_b32_e32 v64, 2, v179
	ds_read_b32 v66, v64
	ds_read_b64 v[64:65], v104 offset:6144
	v_mov_b32_e32 v67, v4
	v_mov_b32_e32 v68, s81
	s_waitcnt lgkmcnt(1)
	v_add_u32_e32 v66, v66, v8
	v_lshlrev_b64 v[66:67], 3, v[66:67]
	v_add_co_u32_e32 v66, vcc, s80, v66
	v_addc_co_u32_e32 v67, vcc, v68, v67, vcc
	s_waitcnt lgkmcnt(0)
	global_store_dwordx2 v[66:67], v[64:65], off
	s_or_b64 exec, exec, s[36:37]
	s_and_saveexec_b64 s[36:37], s[44:45]
	s_cbranch_execnz .LBB1119_867
.LBB1119_882:                           ;   in Loop: Header=BB1119_688 Depth=2
	s_or_b64 exec, exec, s[36:37]
	s_and_saveexec_b64 s[36:37], s[46:47]
	s_cbranch_execz .LBB1119_868
.LBB1119_883:                           ;   in Loop: Header=BB1119_688 Depth=2
	v_lshlrev_b32_e32 v64, 2, v176
	ds_read_b32 v66, v64
	ds_read_b64 v[64:65], v104 offset:10240
	v_mov_b32_e32 v67, v4
	v_mov_b32_e32 v68, s81
	s_waitcnt lgkmcnt(1)
	v_add_u32_e32 v66, v66, v12
	v_lshlrev_b64 v[66:67], 3, v[66:67]
	v_add_co_u32_e32 v66, vcc, s80, v66
	v_addc_co_u32_e32 v67, vcc, v68, v67, vcc
	s_waitcnt lgkmcnt(0)
	global_store_dwordx2 v[66:67], v[64:65], off
	s_or_b64 exec, exec, s[36:37]
	s_and_saveexec_b64 s[36:37], s[48:49]
	s_cbranch_execnz .LBB1119_869
.LBB1119_884:                           ;   in Loop: Header=BB1119_688 Depth=2
	s_or_b64 exec, exec, s[36:37]
	s_and_saveexec_b64 s[36:37], s[50:51]
	s_cbranch_execz .LBB1119_870
.LBB1119_885:                           ;   in Loop: Header=BB1119_688 Depth=2
	v_lshlrev_b32_e32 v64, 2, v174
	ds_read_b32 v66, v64
	ds_read_b64 v[64:65], v104 offset:14336
	v_mov_b32_e32 v67, v4
	v_mov_b32_e32 v68, s81
	s_waitcnt lgkmcnt(1)
	v_add_u32_e32 v66, v66, v16
	v_lshlrev_b64 v[66:67], 3, v[66:67]
	v_add_co_u32_e32 v66, vcc, s80, v66
	v_addc_co_u32_e32 v67, vcc, v68, v67, vcc
	s_waitcnt lgkmcnt(0)
	global_store_dwordx2 v[66:67], v[64:65], off
	s_or_b64 exec, exec, s[36:37]
	s_and_saveexec_b64 s[36:37], s[52:53]
	s_cbranch_execnz .LBB1119_871
.LBB1119_886:                           ;   in Loop: Header=BB1119_688 Depth=2
	s_or_b64 exec, exec, s[36:37]
	s_and_saveexec_b64 s[36:37], s[54:55]
	s_cbranch_execz .LBB1119_872
.LBB1119_887:                           ;   in Loop: Header=BB1119_688 Depth=2
	v_lshlrev_b32_e32 v64, 2, v171
	ds_read_b32 v66, v64
	ds_read_b64 v[64:65], v104 offset:18432
	v_mov_b32_e32 v67, v4
	v_mov_b32_e32 v68, s81
	s_waitcnt lgkmcnt(1)
	v_add_u32_e32 v66, v66, v20
	v_lshlrev_b64 v[66:67], 3, v[66:67]
	v_add_co_u32_e32 v66, vcc, s80, v66
	v_addc_co_u32_e32 v67, vcc, v68, v67, vcc
	s_waitcnt lgkmcnt(0)
	global_store_dwordx2 v[66:67], v[64:65], off
	s_or_b64 exec, exec, s[36:37]
	s_and_saveexec_b64 s[36:37], s[56:57]
	s_cbranch_execnz .LBB1119_873
.LBB1119_888:                           ;   in Loop: Header=BB1119_688 Depth=2
	s_or_b64 exec, exec, s[36:37]
	s_and_saveexec_b64 s[36:37], s[58:59]
	s_cbranch_execz .LBB1119_874
.LBB1119_889:                           ;   in Loop: Header=BB1119_688 Depth=2
	v_lshlrev_b32_e32 v64, 2, v168
	ds_read_b32 v66, v64
	ds_read_b64 v[64:65], v104 offset:22528
	v_mov_b32_e32 v67, v4
	v_mov_b32_e32 v68, s81
	s_waitcnt lgkmcnt(1)
	v_add_u32_e32 v66, v66, v24
	v_lshlrev_b64 v[66:67], 3, v[66:67]
	v_add_co_u32_e32 v66, vcc, s80, v66
	v_addc_co_u32_e32 v67, vcc, v68, v67, vcc
	s_waitcnt lgkmcnt(0)
	global_store_dwordx2 v[66:67], v[64:65], off
	s_or_b64 exec, exec, s[36:37]
	s_and_saveexec_b64 s[36:37], s[60:61]
	s_cbranch_execnz .LBB1119_875
.LBB1119_890:                           ;   in Loop: Header=BB1119_688 Depth=2
	s_or_b64 exec, exec, s[36:37]
	s_and_saveexec_b64 s[36:37], s[62:63]
	s_cbranch_execz .LBB1119_876
.LBB1119_891:                           ;   in Loop: Header=BB1119_688 Depth=2
	v_lshlrev_b32_e32 v64, 2, v166
	ds_read_b32 v66, v64
	ds_read_b64 v[64:65], v104 offset:26624
	v_mov_b32_e32 v67, v4
	v_mov_b32_e32 v68, s81
	s_waitcnt lgkmcnt(1)
	v_add_u32_e32 v66, v66, v28
	v_lshlrev_b64 v[66:67], 3, v[66:67]
	v_add_co_u32_e32 v66, vcc, s80, v66
	v_addc_co_u32_e32 v67, vcc, v68, v67, vcc
	s_waitcnt lgkmcnt(0)
	global_store_dwordx2 v[66:67], v[64:65], off
	s_or_b64 exec, exec, s[36:37]
	s_and_saveexec_b64 s[36:37], s[64:65]
	s_cbranch_execnz .LBB1119_877
.LBB1119_892:                           ;   in Loop: Header=BB1119_688 Depth=2
	s_or_b64 exec, exec, s[36:37]
	s_and_saveexec_b64 s[36:37], s[66:67]
	s_cbranch_execz .LBB1119_894
.LBB1119_893:                           ;   in Loop: Header=BB1119_688 Depth=2
	v_lshlrev_b32_e32 v64, 2, v164
	ds_read_b32 v66, v64
	ds_read_b64 v[64:65], v104 offset:30720
	v_mov_b32_e32 v67, v4
	v_mov_b32_e32 v68, s81
	s_waitcnt lgkmcnt(1)
	v_add_u32_e32 v66, v66, v32
	v_lshlrev_b64 v[66:67], 3, v[66:67]
	v_add_co_u32_e32 v66, vcc, s80, v66
	v_addc_co_u32_e32 v67, vcc, v68, v67, vcc
	s_waitcnt lgkmcnt(0)
	global_store_dwordx2 v[66:67], v[64:65], off
.LBB1119_894:                           ;   in Loop: Header=BB1119_688 Depth=2
	s_or_b64 exec, exec, s[36:37]
	s_barrier
	s_and_saveexec_b64 s[36:37], s[4:5]
	s_cbranch_execz .LBB1119_687
; %bb.895:                              ;   in Loop: Header=BB1119_688 Depth=2
	ds_read_b32 v64, v3
	s_waitcnt lgkmcnt(0)
	v_add_u32_e32 v5, v64, v5
	ds_write_b32 v3, v5
	s_branch .LBB1119_687
.LBB1119_896:                           ;   in Loop: Header=BB1119_12 Depth=1
	s_waitcnt lgkmcnt(0)
	s_barrier
	s_mov_b64 s[16:17], 0
.LBB1119_897:                           ;   in Loop: Header=BB1119_12 Depth=1
	s_and_b64 vcc, exec, s[16:17]
	s_cbranch_vccz .LBB1119_11
; %bb.898:                              ;   in Loop: Header=BB1119_12 Depth=1
	v_readlane_b32 s16, v236, 3
	v_readlane_b32 s24, v236, 2
	s_mov_b32 s18, s16
	s_barrier
	s_waitcnt lgkmcnt(0)
                                        ; implicit-def: $vgpr62_vgpr63
                                        ; implicit-def: $vgpr0_vgpr1
                                        ; implicit-def: $vgpr34_vgpr35
                                        ; implicit-def: $vgpr36_vgpr37
                                        ; implicit-def: $vgpr38_vgpr39
                                        ; implicit-def: $vgpr40_vgpr41
                                        ; implicit-def: $vgpr42_vgpr43
                                        ; implicit-def: $vgpr44_vgpr45
                                        ; implicit-def: $vgpr46_vgpr47
                                        ; implicit-def: $vgpr48_vgpr49
                                        ; implicit-def: $vgpr50_vgpr51
                                        ; implicit-def: $vgpr52_vgpr53
                                        ; implicit-def: $vgpr54_vgpr55
                                        ; implicit-def: $vgpr56_vgpr57
                                        ; implicit-def: $vgpr58_vgpr59
                                        ; implicit-def: $vgpr60_vgpr61
	s_branch .LBB1119_900
.LBB1119_899:                           ;   in Loop: Header=BB1119_900 Depth=2
	s_or_b64 exec, exec, s[16:17]
	s_addk_i32 s24, 0xf000
	s_cmp_ge_u32 s25, s96
	s_mov_b32 s18, s25
	s_cbranch_scc1 .LBB1119_970
.LBB1119_900:                           ;   Parent Loop BB1119_12 Depth=1
                                        ; =>  This Inner Loop Header: Depth=2
	s_add_i32 s25, s18, 0x1000
	s_cmp_gt_u32 s25, s96
	s_cbranch_scc1 .LBB1119_903
; %bb.901:                              ;   in Loop: Header=BB1119_900 Depth=2
	s_mov_b32 s19, s90
	s_lshl_b64 s[16:17], s[18:19], 3
	v_mov_b32_e32 v5, s17
	v_add_co_u32_e32 v64, vcc, s16, v111
	v_addc_co_u32_e32 v65, vcc, v112, v5, vcc
	s_waitcnt vmcnt(11)
	v_add_co_u32_e32 v72, vcc, 0x1000, v64
	v_addc_co_u32_e32 v73, vcc, 0, v65, vcc
	s_waitcnt vmcnt(5)
	;; [unrolled: 3-line block ×3, first 2 shown]
	v_add_co_u32_e32 v82, vcc, s98, v64
	v_addc_co_u32_e32 v83, vcc, 0, v65, vcc
	v_add_co_u32_e32 v86, vcc, s99, v64
	v_addc_co_u32_e32 v87, vcc, 0, v65, vcc
	;; [unrolled: 2-line block ×4, first 2 shown]
	global_load_dwordx2 v[66:67], v[64:65], off
	global_load_dwordx2 v[68:69], v[64:65], off offset:2048
	global_load_dwordx2 v[70:71], v[72:73], off
	s_nop 0
	global_load_dwordx2 v[72:73], v[72:73], off offset:2048
	s_nop 0
	global_load_dwordx2 v[74:75], v[82:83], off
	global_load_dwordx2 v[76:77], v[82:83], off offset:2048
	global_load_dwordx2 v[80:81], v[88:89], off offset:-4096
	global_load_dwordx2 v[84:85], v[88:89], off
	s_nop 0
	global_load_dwordx2 v[88:89], v[88:89], off offset:2048
	s_nop 0
	global_load_dwordx2 v[78:79], v[78:79], off offset:2048
	;; [unrolled: 2-line block ×3, first 2 shown]
	s_nop 0
	global_load_dwordx2 v[90:91], v[92:93], off
	s_nop 0
	global_load_dwordx2 v[92:93], v[92:93], off offset:2048
	s_waitcnt vmcnt(13)
	v_add_co_u32_e32 v94, vcc, 0x7000, v64
	v_addc_co_u32_e32 v95, vcc, 0, v65, vcc
	global_load_dwordx2 v[82:83], v[82:83], off offset:-4096
	s_nop 0
	global_load_dwordx2 v[94:95], v[94:95], off
	v_add_co_u32_e32 v64, vcc, 0x7800, v64
	s_movk_i32 s26, 0x1000
	v_addc_co_u32_e32 v65, vcc, 0, v65, vcc
	s_mov_b64 s[16:17], -1
	s_cbranch_execz .LBB1119_904
; %bb.902:                              ;   in Loop: Header=BB1119_900 Depth=2
                                        ; implicit-def: $vgpr60_vgpr61
                                        ; implicit-def: $vgpr58_vgpr59
                                        ; implicit-def: $vgpr56_vgpr57
                                        ; implicit-def: $vgpr54_vgpr55
                                        ; implicit-def: $vgpr52_vgpr53
                                        ; implicit-def: $vgpr50_vgpr51
                                        ; implicit-def: $vgpr48_vgpr49
                                        ; implicit-def: $vgpr46_vgpr47
                                        ; implicit-def: $vgpr44_vgpr45
                                        ; implicit-def: $vgpr42_vgpr43
                                        ; implicit-def: $vgpr40_vgpr41
                                        ; implicit-def: $vgpr38_vgpr39
                                        ; implicit-def: $vgpr36_vgpr37
                                        ; implicit-def: $vgpr34_vgpr35
                                        ; implicit-def: $vgpr0_vgpr1
                                        ; implicit-def: $vgpr62_vgpr63
	v_mov_b32_e32 v5, s24
	s_and_saveexec_b64 s[18:19], s[16:17]
	s_cbranch_execnz .LBB1119_923
	s_branch .LBB1119_924
.LBB1119_903:                           ;   in Loop: Header=BB1119_900 Depth=2
	s_mov_b64 s[16:17], 0
                                        ; implicit-def: $sgpr26
                                        ; implicit-def: $vgpr66_vgpr67
                                        ; implicit-def: $vgpr68_vgpr69
                                        ; implicit-def: $vgpr70_vgpr71
                                        ; implicit-def: $vgpr72_vgpr73
                                        ; implicit-def: $vgpr82_vgpr83
                                        ; implicit-def: $vgpr78_vgpr79
                                        ; implicit-def: $vgpr74_vgpr75
                                        ; implicit-def: $vgpr76_vgpr77
                                        ; implicit-def: $vgpr80_vgpr81
                                        ; implicit-def: $vgpr86_vgpr87
                                        ; implicit-def: $vgpr84_vgpr85
                                        ; implicit-def: $vgpr88_vgpr89
                                        ; implicit-def: $vgpr90_vgpr91
                                        ; implicit-def: $vgpr92_vgpr93
                                        ; implicit-def: $vgpr94_vgpr95
                                        ; implicit-def: $vgpr64_vgpr65
.LBB1119_904:                           ;   in Loop: Header=BB1119_900 Depth=2
	s_mov_b32 s19, s90
	s_lshl_b64 s[20:21], s[18:19], 3
	s_add_u32 s20, s72, s20
	s_addc_u32 s21, s73, s21
	v_cmp_gt_u32_e32 vcc, s24, v2
	s_and_saveexec_b64 s[22:23], vcc
	s_cbranch_execz .LBB1119_956
; %bb.905:                              ;   in Loop: Header=BB1119_900 Depth=2
	global_load_dwordx2 v[60:61], v118, s[20:21]
	s_or_b64 exec, exec, s[22:23]
	v_cmp_gt_u32_e32 vcc, s24, v7
	s_and_saveexec_b64 s[22:23], vcc
	s_cbranch_execnz .LBB1119_957
.LBB1119_906:                           ;   in Loop: Header=BB1119_900 Depth=2
	s_or_b64 exec, exec, s[22:23]
	v_cmp_gt_u32_e32 vcc, s24, v6
	s_and_saveexec_b64 s[22:23], vcc
	s_cbranch_execz .LBB1119_958
.LBB1119_907:                           ;   in Loop: Header=BB1119_900 Depth=2
	global_load_dwordx2 v[56:57], v119, s[20:21]
	s_or_b64 exec, exec, s[22:23]
	v_cmp_gt_u32_e32 vcc, s24, v8
	s_and_saveexec_b64 s[22:23], vcc
	s_cbranch_execnz .LBB1119_959
.LBB1119_908:                           ;   in Loop: Header=BB1119_900 Depth=2
	s_or_b64 exec, exec, s[22:23]
	v_cmp_gt_u32_e32 vcc, s24, v10
	s_and_saveexec_b64 s[22:23], vcc
	s_cbranch_execz .LBB1119_960
.LBB1119_909:                           ;   in Loop: Header=BB1119_900 Depth=2
	global_load_dwordx2 v[52:53], v121, s[20:21]
	s_or_b64 exec, exec, s[22:23]
	v_cmp_gt_u32_e32 vcc, s24, v12
	s_and_saveexec_b64 s[22:23], vcc
	s_cbranch_execnz .LBB1119_961
.LBB1119_910:                           ;   in Loop: Header=BB1119_900 Depth=2
	s_or_b64 exec, exec, s[22:23]
	v_cmp_gt_u32_e32 vcc, s24, v14
	s_and_saveexec_b64 s[22:23], vcc
	s_cbranch_execz .LBB1119_962
.LBB1119_911:                           ;   in Loop: Header=BB1119_900 Depth=2
	global_load_dwordx2 v[48:49], v123, s[20:21]
	s_or_b64 exec, exec, s[22:23]
	v_cmp_gt_u32_e32 vcc, s24, v16
	s_and_saveexec_b64 s[22:23], vcc
	s_cbranch_execnz .LBB1119_963
.LBB1119_912:                           ;   in Loop: Header=BB1119_900 Depth=2
	s_or_b64 exec, exec, s[22:23]
	v_cmp_gt_u32_e32 vcc, s24, v18
	s_and_saveexec_b64 s[22:23], vcc
	s_cbranch_execz .LBB1119_964
.LBB1119_913:                           ;   in Loop: Header=BB1119_900 Depth=2
	global_load_dwordx2 v[44:45], v125, s[20:21]
	s_or_b64 exec, exec, s[22:23]
	v_cmp_gt_u32_e32 vcc, s24, v20
	s_and_saveexec_b64 s[22:23], vcc
	s_cbranch_execnz .LBB1119_965
.LBB1119_914:                           ;   in Loop: Header=BB1119_900 Depth=2
	s_or_b64 exec, exec, s[22:23]
	v_cmp_gt_u32_e32 vcc, s24, v22
	s_and_saveexec_b64 s[22:23], vcc
	s_cbranch_execz .LBB1119_966
.LBB1119_915:                           ;   in Loop: Header=BB1119_900 Depth=2
	global_load_dwordx2 v[40:41], v127, s[20:21]
	s_or_b64 exec, exec, s[22:23]
	v_cmp_gt_u32_e32 vcc, s24, v24
	s_and_saveexec_b64 s[22:23], vcc
	s_cbranch_execnz .LBB1119_967
.LBB1119_916:                           ;   in Loop: Header=BB1119_900 Depth=2
	s_or_b64 exec, exec, s[22:23]
	v_cmp_gt_u32_e32 vcc, s24, v26
	s_and_saveexec_b64 s[22:23], vcc
	s_cbranch_execz .LBB1119_968
.LBB1119_917:                           ;   in Loop: Header=BB1119_900 Depth=2
	global_load_dwordx2 v[36:37], v129, s[20:21]
	s_or_b64 exec, exec, s[22:23]
	v_cmp_gt_u32_e32 vcc, s24, v28
	s_and_saveexec_b64 s[22:23], vcc
	s_cbranch_execnz .LBB1119_969
.LBB1119_918:                           ;   in Loop: Header=BB1119_900 Depth=2
	s_or_b64 exec, exec, s[22:23]
	v_cmp_gt_u32_e32 vcc, s24, v30
	s_and_saveexec_b64 s[22:23], vcc
	s_cbranch_execz .LBB1119_920
.LBB1119_919:                           ;   in Loop: Header=BB1119_900 Depth=2
	global_load_dwordx2 v[0:1], v131, s[20:21]
.LBB1119_920:                           ;   in Loop: Header=BB1119_900 Depth=2
	s_or_b64 exec, exec, s[22:23]
	v_cmp_gt_u32_e32 vcc, s24, v32
                                        ; implicit-def: $sgpr26
                                        ; implicit-def: $vgpr64_vgpr65
	s_and_saveexec_b64 s[22:23], vcc
; %bb.921:                              ;   in Loop: Header=BB1119_900 Depth=2
	v_mov_b32_e32 v5, s21
	v_add_co_u32_e32 v64, vcc, s20, v132
	s_sub_i32 s26, s96, s18
	v_addc_co_u32_e32 v65, vcc, 0, v5, vcc
	s_or_b64 s[16:17], s[16:17], exec
                                        ; implicit-def: $vgpr62_vgpr63
; %bb.922:                              ;   in Loop: Header=BB1119_900 Depth=2
	s_or_b64 exec, exec, s[22:23]
	s_waitcnt vmcnt(0)
	v_pk_mov_b32 v[66:67], v[60:61], v[60:61] op_sel:[0,1]
	v_pk_mov_b32 v[68:69], v[58:59], v[58:59] op_sel:[0,1]
	;; [unrolled: 1-line block ×15, first 2 shown]
	v_mov_b32_e32 v5, s24
	s_and_saveexec_b64 s[18:19], s[16:17]
	s_cbranch_execz .LBB1119_924
.LBB1119_923:                           ;   in Loop: Header=BB1119_900 Depth=2
	global_load_dwordx2 v[62:63], v[64:65], off
	v_mov_b32_e32 v5, s26
	s_waitcnt vmcnt(1)
	v_pk_mov_b32 v[0:1], v[94:95], v[94:95] op_sel:[0,1]
	v_pk_mov_b32 v[34:35], v[92:93], v[92:93] op_sel:[0,1]
	;; [unrolled: 1-line block ×15, first 2 shown]
.LBB1119_924:                           ;   in Loop: Header=BB1119_900 Depth=2
	s_or_b64 exec, exec, s[18:19]
	v_cmp_lt_u32_e32 vcc, v2, v5
	s_and_saveexec_b64 s[16:17], vcc
	s_cbranch_execz .LBB1119_940
; %bb.925:                              ;   in Loop: Header=BB1119_900 Depth=2
	v_cmp_gt_i64_e32 vcc, 0, v[60:61]
	v_ashrrev_i32_e32 v65, 31, v61
	v_cndmask_b32_e64 v64, v133, 0, vcc
	s_waitcnt vmcnt(14)
	v_not_b32_e32 v66, v65
	v_xor_b32_e32 v65, v64, v61
	v_xor_b32_e32 v64, v66, v60
	v_cmp_ne_u64_e32 vcc, s[90:91], v[64:65]
	v_cndmask_b32_e32 v65, v133, v65, vcc
	v_cndmask_b32_e32 v64, -1, v64, vcc
	v_lshrrev_b64 v[64:65], s84, v[64:65]
	v_and_b32_e32 v64, s85, v64
	v_lshl_or_b32 v64, v64, 4, v134
	ds_add_u32 v64, v117
	s_or_b64 exec, exec, s[16:17]
	v_cmp_lt_u32_e32 vcc, v7, v5
	s_and_saveexec_b64 s[16:17], vcc
	s_cbranch_execnz .LBB1119_941
.LBB1119_926:                           ;   in Loop: Header=BB1119_900 Depth=2
	s_or_b64 exec, exec, s[16:17]
	v_cmp_lt_u32_e32 vcc, v6, v5
	s_and_saveexec_b64 s[16:17], vcc
	s_cbranch_execz .LBB1119_942
.LBB1119_927:                           ;   in Loop: Header=BB1119_900 Depth=2
	v_cmp_gt_i64_e32 vcc, 0, v[56:57]
	v_ashrrev_i32_e32 v65, 31, v57
	v_cndmask_b32_e64 v64, v133, 0, vcc
	s_waitcnt vmcnt(14)
	v_not_b32_e32 v66, v65
	v_xor_b32_e32 v65, v64, v57
	v_xor_b32_e32 v64, v66, v56
	v_cmp_ne_u64_e32 vcc, s[90:91], v[64:65]
	v_cndmask_b32_e32 v65, v133, v65, vcc
	v_cndmask_b32_e32 v64, -1, v64, vcc
	v_lshrrev_b64 v[64:65], s84, v[64:65]
	v_and_b32_e32 v64, s85, v64
	v_lshl_or_b32 v64, v64, 4, v134
	ds_add_u32 v64, v117
	s_or_b64 exec, exec, s[16:17]
	v_cmp_lt_u32_e32 vcc, v8, v5
	s_and_saveexec_b64 s[16:17], vcc
	s_cbranch_execnz .LBB1119_943
.LBB1119_928:                           ;   in Loop: Header=BB1119_900 Depth=2
	s_or_b64 exec, exec, s[16:17]
	v_cmp_lt_u32_e32 vcc, v10, v5
	s_and_saveexec_b64 s[16:17], vcc
	s_cbranch_execz .LBB1119_944
.LBB1119_929:                           ;   in Loop: Header=BB1119_900 Depth=2
	v_cmp_gt_i64_e32 vcc, 0, v[52:53]
	v_ashrrev_i32_e32 v65, 31, v53
	v_cndmask_b32_e64 v64, v133, 0, vcc
	s_waitcnt vmcnt(14)
	v_not_b32_e32 v66, v65
	v_xor_b32_e32 v65, v64, v53
	v_xor_b32_e32 v64, v66, v52
	v_cmp_ne_u64_e32 vcc, s[90:91], v[64:65]
	v_cndmask_b32_e32 v65, v133, v65, vcc
	v_cndmask_b32_e32 v64, -1, v64, vcc
	v_lshrrev_b64 v[64:65], s84, v[64:65]
	v_and_b32_e32 v64, s85, v64
	v_lshl_or_b32 v64, v64, 4, v134
	ds_add_u32 v64, v117
	s_or_b64 exec, exec, s[16:17]
	v_cmp_lt_u32_e32 vcc, v12, v5
	s_and_saveexec_b64 s[16:17], vcc
	s_cbranch_execnz .LBB1119_945
.LBB1119_930:                           ;   in Loop: Header=BB1119_900 Depth=2
	s_or_b64 exec, exec, s[16:17]
	v_cmp_lt_u32_e32 vcc, v14, v5
	s_and_saveexec_b64 s[16:17], vcc
	s_cbranch_execz .LBB1119_946
.LBB1119_931:                           ;   in Loop: Header=BB1119_900 Depth=2
	v_cmp_gt_i64_e32 vcc, 0, v[48:49]
	v_ashrrev_i32_e32 v65, 31, v49
	v_cndmask_b32_e64 v64, v133, 0, vcc
	s_waitcnt vmcnt(14)
	v_not_b32_e32 v66, v65
	v_xor_b32_e32 v65, v64, v49
	v_xor_b32_e32 v64, v66, v48
	v_cmp_ne_u64_e32 vcc, s[90:91], v[64:65]
	v_cndmask_b32_e32 v65, v133, v65, vcc
	v_cndmask_b32_e32 v64, -1, v64, vcc
	v_lshrrev_b64 v[64:65], s84, v[64:65]
	v_and_b32_e32 v64, s85, v64
	v_lshl_or_b32 v64, v64, 4, v134
	ds_add_u32 v64, v117
	s_or_b64 exec, exec, s[16:17]
	v_cmp_lt_u32_e32 vcc, v16, v5
	s_and_saveexec_b64 s[16:17], vcc
	s_cbranch_execnz .LBB1119_947
.LBB1119_932:                           ;   in Loop: Header=BB1119_900 Depth=2
	s_or_b64 exec, exec, s[16:17]
	v_cmp_lt_u32_e32 vcc, v18, v5
	s_and_saveexec_b64 s[16:17], vcc
	s_cbranch_execz .LBB1119_948
.LBB1119_933:                           ;   in Loop: Header=BB1119_900 Depth=2
	v_cmp_gt_i64_e32 vcc, 0, v[44:45]
	v_ashrrev_i32_e32 v65, 31, v45
	v_cndmask_b32_e64 v64, v133, 0, vcc
	s_waitcnt vmcnt(14)
	v_not_b32_e32 v66, v65
	v_xor_b32_e32 v65, v64, v45
	v_xor_b32_e32 v64, v66, v44
	v_cmp_ne_u64_e32 vcc, s[90:91], v[64:65]
	v_cndmask_b32_e32 v65, v133, v65, vcc
	v_cndmask_b32_e32 v64, -1, v64, vcc
	v_lshrrev_b64 v[64:65], s84, v[64:65]
	v_and_b32_e32 v64, s85, v64
	v_lshl_or_b32 v64, v64, 4, v134
	ds_add_u32 v64, v117
	s_or_b64 exec, exec, s[16:17]
	v_cmp_lt_u32_e32 vcc, v20, v5
	s_and_saveexec_b64 s[16:17], vcc
	s_cbranch_execnz .LBB1119_949
.LBB1119_934:                           ;   in Loop: Header=BB1119_900 Depth=2
	s_or_b64 exec, exec, s[16:17]
	v_cmp_lt_u32_e32 vcc, v22, v5
	s_and_saveexec_b64 s[16:17], vcc
	s_cbranch_execz .LBB1119_950
.LBB1119_935:                           ;   in Loop: Header=BB1119_900 Depth=2
	v_cmp_gt_i64_e32 vcc, 0, v[40:41]
	v_ashrrev_i32_e32 v65, 31, v41
	v_cndmask_b32_e64 v64, v133, 0, vcc
	s_waitcnt vmcnt(14)
	v_not_b32_e32 v66, v65
	v_xor_b32_e32 v65, v64, v41
	v_xor_b32_e32 v64, v66, v40
	v_cmp_ne_u64_e32 vcc, s[90:91], v[64:65]
	v_cndmask_b32_e32 v65, v133, v65, vcc
	v_cndmask_b32_e32 v64, -1, v64, vcc
	v_lshrrev_b64 v[64:65], s84, v[64:65]
	v_and_b32_e32 v64, s85, v64
	v_lshl_or_b32 v64, v64, 4, v134
	ds_add_u32 v64, v117
	s_or_b64 exec, exec, s[16:17]
	v_cmp_lt_u32_e32 vcc, v24, v5
	s_and_saveexec_b64 s[16:17], vcc
	s_cbranch_execnz .LBB1119_951
.LBB1119_936:                           ;   in Loop: Header=BB1119_900 Depth=2
	s_or_b64 exec, exec, s[16:17]
	v_cmp_lt_u32_e32 vcc, v26, v5
	s_and_saveexec_b64 s[16:17], vcc
	s_cbranch_execz .LBB1119_952
.LBB1119_937:                           ;   in Loop: Header=BB1119_900 Depth=2
	v_cmp_gt_i64_e32 vcc, 0, v[36:37]
	v_ashrrev_i32_e32 v65, 31, v37
	v_cndmask_b32_e64 v64, v133, 0, vcc
	s_waitcnt vmcnt(14)
	v_not_b32_e32 v66, v65
	v_xor_b32_e32 v65, v64, v37
	v_xor_b32_e32 v64, v66, v36
	v_cmp_ne_u64_e32 vcc, s[90:91], v[64:65]
	v_cndmask_b32_e32 v65, v133, v65, vcc
	v_cndmask_b32_e32 v64, -1, v64, vcc
	v_lshrrev_b64 v[64:65], s84, v[64:65]
	v_and_b32_e32 v64, s85, v64
	v_lshl_or_b32 v64, v64, 4, v134
	ds_add_u32 v64, v117
	s_or_b64 exec, exec, s[16:17]
	v_cmp_lt_u32_e32 vcc, v28, v5
	s_and_saveexec_b64 s[16:17], vcc
	s_cbranch_execnz .LBB1119_953
.LBB1119_938:                           ;   in Loop: Header=BB1119_900 Depth=2
	s_or_b64 exec, exec, s[16:17]
	v_cmp_lt_u32_e32 vcc, v30, v5
	s_and_saveexec_b64 s[16:17], vcc
	s_cbranch_execz .LBB1119_954
.LBB1119_939:                           ;   in Loop: Header=BB1119_900 Depth=2
	v_cmp_gt_i64_e32 vcc, 0, v[0:1]
	v_ashrrev_i32_e32 v65, 31, v1
	v_cndmask_b32_e64 v64, v133, 0, vcc
	s_waitcnt vmcnt(14)
	v_not_b32_e32 v66, v65
	v_xor_b32_e32 v65, v64, v1
	v_xor_b32_e32 v64, v66, v0
	v_cmp_ne_u64_e32 vcc, s[90:91], v[64:65]
	v_cndmask_b32_e32 v65, v133, v65, vcc
	v_cndmask_b32_e32 v64, -1, v64, vcc
	v_lshrrev_b64 v[64:65], s84, v[64:65]
	v_and_b32_e32 v64, s85, v64
	v_lshl_or_b32 v64, v64, 4, v134
	ds_add_u32 v64, v117
	s_or_b64 exec, exec, s[16:17]
	v_cmp_lt_u32_e32 vcc, v32, v5
	s_and_saveexec_b64 s[16:17], vcc
	s_cbranch_execz .LBB1119_899
	s_branch .LBB1119_955
.LBB1119_940:                           ;   in Loop: Header=BB1119_900 Depth=2
	s_or_b64 exec, exec, s[16:17]
	v_cmp_lt_u32_e32 vcc, v7, v5
	s_and_saveexec_b64 s[16:17], vcc
	s_cbranch_execz .LBB1119_926
.LBB1119_941:                           ;   in Loop: Header=BB1119_900 Depth=2
	v_cmp_gt_i64_e32 vcc, 0, v[58:59]
	v_ashrrev_i32_e32 v65, 31, v59
	v_cndmask_b32_e64 v64, v133, 0, vcc
	s_waitcnt vmcnt(14)
	v_not_b32_e32 v66, v65
	v_xor_b32_e32 v65, v64, v59
	v_xor_b32_e32 v64, v66, v58
	v_cmp_ne_u64_e32 vcc, s[90:91], v[64:65]
	v_cndmask_b32_e32 v65, v133, v65, vcc
	v_cndmask_b32_e32 v64, -1, v64, vcc
	v_lshrrev_b64 v[64:65], s84, v[64:65]
	v_and_b32_e32 v64, s85, v64
	v_lshl_or_b32 v64, v64, 4, v134
	ds_add_u32 v64, v117
	s_or_b64 exec, exec, s[16:17]
	v_cmp_lt_u32_e32 vcc, v6, v5
	s_and_saveexec_b64 s[16:17], vcc
	s_cbranch_execnz .LBB1119_927
.LBB1119_942:                           ;   in Loop: Header=BB1119_900 Depth=2
	s_or_b64 exec, exec, s[16:17]
	v_cmp_lt_u32_e32 vcc, v8, v5
	s_and_saveexec_b64 s[16:17], vcc
	s_cbranch_execz .LBB1119_928
.LBB1119_943:                           ;   in Loop: Header=BB1119_900 Depth=2
	v_cmp_gt_i64_e32 vcc, 0, v[54:55]
	v_ashrrev_i32_e32 v65, 31, v55
	v_cndmask_b32_e64 v64, v133, 0, vcc
	s_waitcnt vmcnt(14)
	v_not_b32_e32 v66, v65
	v_xor_b32_e32 v65, v64, v55
	v_xor_b32_e32 v64, v66, v54
	v_cmp_ne_u64_e32 vcc, s[90:91], v[64:65]
	v_cndmask_b32_e32 v65, v133, v65, vcc
	v_cndmask_b32_e32 v64, -1, v64, vcc
	v_lshrrev_b64 v[64:65], s84, v[64:65]
	v_and_b32_e32 v64, s85, v64
	v_lshl_or_b32 v64, v64, 4, v134
	ds_add_u32 v64, v117
	s_or_b64 exec, exec, s[16:17]
	v_cmp_lt_u32_e32 vcc, v10, v5
	s_and_saveexec_b64 s[16:17], vcc
	s_cbranch_execnz .LBB1119_929
.LBB1119_944:                           ;   in Loop: Header=BB1119_900 Depth=2
	s_or_b64 exec, exec, s[16:17]
	v_cmp_lt_u32_e32 vcc, v12, v5
	s_and_saveexec_b64 s[16:17], vcc
	s_cbranch_execz .LBB1119_930
.LBB1119_945:                           ;   in Loop: Header=BB1119_900 Depth=2
	v_cmp_gt_i64_e32 vcc, 0, v[50:51]
	v_ashrrev_i32_e32 v65, 31, v51
	v_cndmask_b32_e64 v64, v133, 0, vcc
	s_waitcnt vmcnt(14)
	v_not_b32_e32 v66, v65
	v_xor_b32_e32 v65, v64, v51
	v_xor_b32_e32 v64, v66, v50
	v_cmp_ne_u64_e32 vcc, s[90:91], v[64:65]
	v_cndmask_b32_e32 v65, v133, v65, vcc
	v_cndmask_b32_e32 v64, -1, v64, vcc
	v_lshrrev_b64 v[64:65], s84, v[64:65]
	v_and_b32_e32 v64, s85, v64
	v_lshl_or_b32 v64, v64, 4, v134
	ds_add_u32 v64, v117
	s_or_b64 exec, exec, s[16:17]
	v_cmp_lt_u32_e32 vcc, v14, v5
	s_and_saveexec_b64 s[16:17], vcc
	s_cbranch_execnz .LBB1119_931
.LBB1119_946:                           ;   in Loop: Header=BB1119_900 Depth=2
	s_or_b64 exec, exec, s[16:17]
	v_cmp_lt_u32_e32 vcc, v16, v5
	s_and_saveexec_b64 s[16:17], vcc
	s_cbranch_execz .LBB1119_932
.LBB1119_947:                           ;   in Loop: Header=BB1119_900 Depth=2
	v_cmp_gt_i64_e32 vcc, 0, v[46:47]
	v_ashrrev_i32_e32 v65, 31, v47
	v_cndmask_b32_e64 v64, v133, 0, vcc
	s_waitcnt vmcnt(14)
	v_not_b32_e32 v66, v65
	v_xor_b32_e32 v65, v64, v47
	v_xor_b32_e32 v64, v66, v46
	v_cmp_ne_u64_e32 vcc, s[90:91], v[64:65]
	v_cndmask_b32_e32 v65, v133, v65, vcc
	v_cndmask_b32_e32 v64, -1, v64, vcc
	v_lshrrev_b64 v[64:65], s84, v[64:65]
	v_and_b32_e32 v64, s85, v64
	v_lshl_or_b32 v64, v64, 4, v134
	ds_add_u32 v64, v117
	s_or_b64 exec, exec, s[16:17]
	v_cmp_lt_u32_e32 vcc, v18, v5
	s_and_saveexec_b64 s[16:17], vcc
	s_cbranch_execnz .LBB1119_933
.LBB1119_948:                           ;   in Loop: Header=BB1119_900 Depth=2
	s_or_b64 exec, exec, s[16:17]
	v_cmp_lt_u32_e32 vcc, v20, v5
	s_and_saveexec_b64 s[16:17], vcc
	s_cbranch_execz .LBB1119_934
.LBB1119_949:                           ;   in Loop: Header=BB1119_900 Depth=2
	v_cmp_gt_i64_e32 vcc, 0, v[42:43]
	v_ashrrev_i32_e32 v65, 31, v43
	v_cndmask_b32_e64 v64, v133, 0, vcc
	s_waitcnt vmcnt(14)
	v_not_b32_e32 v66, v65
	v_xor_b32_e32 v65, v64, v43
	v_xor_b32_e32 v64, v66, v42
	v_cmp_ne_u64_e32 vcc, s[90:91], v[64:65]
	v_cndmask_b32_e32 v65, v133, v65, vcc
	v_cndmask_b32_e32 v64, -1, v64, vcc
	v_lshrrev_b64 v[64:65], s84, v[64:65]
	v_and_b32_e32 v64, s85, v64
	v_lshl_or_b32 v64, v64, 4, v134
	ds_add_u32 v64, v117
	s_or_b64 exec, exec, s[16:17]
	v_cmp_lt_u32_e32 vcc, v22, v5
	s_and_saveexec_b64 s[16:17], vcc
	s_cbranch_execnz .LBB1119_935
.LBB1119_950:                           ;   in Loop: Header=BB1119_900 Depth=2
	s_or_b64 exec, exec, s[16:17]
	v_cmp_lt_u32_e32 vcc, v24, v5
	s_and_saveexec_b64 s[16:17], vcc
	s_cbranch_execz .LBB1119_936
.LBB1119_951:                           ;   in Loop: Header=BB1119_900 Depth=2
	v_cmp_gt_i64_e32 vcc, 0, v[38:39]
	v_ashrrev_i32_e32 v65, 31, v39
	v_cndmask_b32_e64 v64, v133, 0, vcc
	s_waitcnt vmcnt(14)
	v_not_b32_e32 v66, v65
	v_xor_b32_e32 v65, v64, v39
	v_xor_b32_e32 v64, v66, v38
	v_cmp_ne_u64_e32 vcc, s[90:91], v[64:65]
	v_cndmask_b32_e32 v65, v133, v65, vcc
	v_cndmask_b32_e32 v64, -1, v64, vcc
	v_lshrrev_b64 v[64:65], s84, v[64:65]
	v_and_b32_e32 v64, s85, v64
	v_lshl_or_b32 v64, v64, 4, v134
	ds_add_u32 v64, v117
	s_or_b64 exec, exec, s[16:17]
	v_cmp_lt_u32_e32 vcc, v26, v5
	s_and_saveexec_b64 s[16:17], vcc
	s_cbranch_execnz .LBB1119_937
.LBB1119_952:                           ;   in Loop: Header=BB1119_900 Depth=2
	s_or_b64 exec, exec, s[16:17]
	v_cmp_lt_u32_e32 vcc, v28, v5
	s_and_saveexec_b64 s[16:17], vcc
	s_cbranch_execz .LBB1119_938
.LBB1119_953:                           ;   in Loop: Header=BB1119_900 Depth=2
	v_cmp_gt_i64_e32 vcc, 0, v[34:35]
	v_ashrrev_i32_e32 v65, 31, v35
	v_cndmask_b32_e64 v64, v133, 0, vcc
	s_waitcnt vmcnt(14)
	v_not_b32_e32 v66, v65
	v_xor_b32_e32 v65, v64, v35
	v_xor_b32_e32 v64, v66, v34
	v_cmp_ne_u64_e32 vcc, s[90:91], v[64:65]
	v_cndmask_b32_e32 v65, v133, v65, vcc
	v_cndmask_b32_e32 v64, -1, v64, vcc
	v_lshrrev_b64 v[64:65], s84, v[64:65]
	v_and_b32_e32 v64, s85, v64
	v_lshl_or_b32 v64, v64, 4, v134
	ds_add_u32 v64, v117
	s_or_b64 exec, exec, s[16:17]
	v_cmp_lt_u32_e32 vcc, v30, v5
	s_and_saveexec_b64 s[16:17], vcc
	s_cbranch_execnz .LBB1119_939
.LBB1119_954:                           ;   in Loop: Header=BB1119_900 Depth=2
	s_or_b64 exec, exec, s[16:17]
	v_cmp_lt_u32_e32 vcc, v32, v5
	s_and_saveexec_b64 s[16:17], vcc
	s_cbranch_execz .LBB1119_899
.LBB1119_955:                           ;   in Loop: Header=BB1119_900 Depth=2
	s_waitcnt vmcnt(0)
	v_cmp_gt_i64_e32 vcc, 0, v[62:63]
	v_ashrrev_i32_e32 v64, 31, v63
	v_cndmask_b32_e64 v5, v133, 0, vcc
	v_not_b32_e32 v64, v64
	v_xor_b32_e32 v65, v5, v63
	v_xor_b32_e32 v64, v64, v62
	v_cmp_ne_u64_e32 vcc, s[90:91], v[64:65]
	v_cndmask_b32_e32 v65, v133, v65, vcc
	v_cndmask_b32_e32 v64, -1, v64, vcc
	v_lshrrev_b64 v[64:65], s84, v[64:65]
	v_and_b32_e32 v5, s85, v64
	v_lshl_or_b32 v5, v5, 4, v134
	ds_add_u32 v5, v117
	s_branch .LBB1119_899
.LBB1119_956:                           ;   in Loop: Header=BB1119_900 Depth=2
	s_or_b64 exec, exec, s[22:23]
	v_cmp_gt_u32_e32 vcc, s24, v7
	s_and_saveexec_b64 s[22:23], vcc
	s_cbranch_execz .LBB1119_906
.LBB1119_957:                           ;   in Loop: Header=BB1119_900 Depth=2
	global_load_dwordx2 v[58:59], v118, s[20:21] offset:2048
	s_or_b64 exec, exec, s[22:23]
	v_cmp_gt_u32_e32 vcc, s24, v6
	s_and_saveexec_b64 s[22:23], vcc
	s_cbranch_execnz .LBB1119_907
.LBB1119_958:                           ;   in Loop: Header=BB1119_900 Depth=2
	s_or_b64 exec, exec, s[22:23]
	v_cmp_gt_u32_e32 vcc, s24, v8
	s_and_saveexec_b64 s[22:23], vcc
	s_cbranch_execz .LBB1119_908
.LBB1119_959:                           ;   in Loop: Header=BB1119_900 Depth=2
	global_load_dwordx2 v[54:55], v120, s[20:21]
	s_or_b64 exec, exec, s[22:23]
	v_cmp_gt_u32_e32 vcc, s24, v10
	s_and_saveexec_b64 s[22:23], vcc
	s_cbranch_execnz .LBB1119_909
.LBB1119_960:                           ;   in Loop: Header=BB1119_900 Depth=2
	s_or_b64 exec, exec, s[22:23]
	v_cmp_gt_u32_e32 vcc, s24, v12
	s_and_saveexec_b64 s[22:23], vcc
	s_cbranch_execz .LBB1119_910
.LBB1119_961:                           ;   in Loop: Header=BB1119_900 Depth=2
	global_load_dwordx2 v[50:51], v122, s[20:21]
	s_or_b64 exec, exec, s[22:23]
	v_cmp_gt_u32_e32 vcc, s24, v14
	s_and_saveexec_b64 s[22:23], vcc
	s_cbranch_execnz .LBB1119_911
.LBB1119_962:                           ;   in Loop: Header=BB1119_900 Depth=2
	s_or_b64 exec, exec, s[22:23]
	v_cmp_gt_u32_e32 vcc, s24, v16
	s_and_saveexec_b64 s[22:23], vcc
	s_cbranch_execz .LBB1119_912
.LBB1119_963:                           ;   in Loop: Header=BB1119_900 Depth=2
	global_load_dwordx2 v[46:47], v124, s[20:21]
	s_or_b64 exec, exec, s[22:23]
	v_cmp_gt_u32_e32 vcc, s24, v18
	s_and_saveexec_b64 s[22:23], vcc
	s_cbranch_execnz .LBB1119_913
.LBB1119_964:                           ;   in Loop: Header=BB1119_900 Depth=2
	s_or_b64 exec, exec, s[22:23]
	v_cmp_gt_u32_e32 vcc, s24, v20
	s_and_saveexec_b64 s[22:23], vcc
	s_cbranch_execz .LBB1119_914
.LBB1119_965:                           ;   in Loop: Header=BB1119_900 Depth=2
	global_load_dwordx2 v[42:43], v126, s[20:21]
	s_or_b64 exec, exec, s[22:23]
	v_cmp_gt_u32_e32 vcc, s24, v22
	s_and_saveexec_b64 s[22:23], vcc
	s_cbranch_execnz .LBB1119_915
.LBB1119_966:                           ;   in Loop: Header=BB1119_900 Depth=2
	s_or_b64 exec, exec, s[22:23]
	v_cmp_gt_u32_e32 vcc, s24, v24
	s_and_saveexec_b64 s[22:23], vcc
	s_cbranch_execz .LBB1119_916
.LBB1119_967:                           ;   in Loop: Header=BB1119_900 Depth=2
	global_load_dwordx2 v[38:39], v128, s[20:21]
	s_or_b64 exec, exec, s[22:23]
	v_cmp_gt_u32_e32 vcc, s24, v26
	s_and_saveexec_b64 s[22:23], vcc
	s_cbranch_execnz .LBB1119_917
.LBB1119_968:                           ;   in Loop: Header=BB1119_900 Depth=2
	s_or_b64 exec, exec, s[22:23]
	v_cmp_gt_u32_e32 vcc, s24, v28
	s_and_saveexec_b64 s[22:23], vcc
	s_cbranch_execz .LBB1119_918
.LBB1119_969:                           ;   in Loop: Header=BB1119_900 Depth=2
	global_load_dwordx2 v[34:35], v130, s[20:21]
	s_or_b64 exec, exec, s[22:23]
	v_cmp_gt_u32_e32 vcc, s24, v30
	s_and_saveexec_b64 s[22:23], vcc
	s_cbranch_execz .LBB1119_920
	s_branch .LBB1119_919
.LBB1119_970:                           ;   in Loop: Header=BB1119_12 Depth=1
	v_mov_b32_e32 v0, 0
	s_waitcnt lgkmcnt(0)
	s_barrier
	s_and_saveexec_b64 s[16:17], s[4:5]
	s_cbranch_execz .LBB1119_972
; %bb.971:                              ;   in Loop: Header=BB1119_12 Depth=1
	ds_read2_b64 v[34:37], v13 offset1:1
	s_waitcnt lgkmcnt(0)
	v_add_u32_e32 v0, v35, v34
	v_add3_u32 v0, v0, v36, v37
.LBB1119_972:                           ;   in Loop: Header=BB1119_12 Depth=1
	s_or_b64 exec, exec, s[16:17]
	s_nop 0
	v_mov_b32_dpp v1, v0 row_shr:1 row_mask:0xf bank_mask:0xf
	v_cmp_eq_u32_e64 s[16:17], 0, v136
	v_cndmask_b32_e64 v1, v1, 0, s[16:17]
	v_add_u32_e32 v0, v1, v0
	v_cmp_lt_u32_e64 s[18:19], 1, v136
	v_cmp_lt_u32_e64 s[20:21], 3, v136
	v_mov_b32_dpp v1, v0 row_shr:2 row_mask:0xf bank_mask:0xf
	v_cndmask_b32_e64 v1, 0, v1, s[18:19]
	v_add_u32_e32 v0, v0, v1
	v_cmp_lt_u32_e64 s[22:23], 7, v136
	v_cmp_lt_u32_e64 s[26:27], 31, v135
	v_mov_b32_dpp v1, v0 row_shr:4 row_mask:0xf bank_mask:0xf
	v_cndmask_b32_e64 v1, 0, v1, s[20:21]
	v_add_u32_e32 v0, v0, v1
	v_cmp_eq_u32_e64 s[24:25], 0, v138
	s_nop 0
	v_mov_b32_dpp v1, v0 row_shr:8 row_mask:0xf bank_mask:0xf
	v_cndmask_b32_e64 v1, 0, v1, s[22:23]
	v_add_u32_e32 v0, v0, v1
	s_nop 1
	v_mov_b32_dpp v1, v0 row_bcast:15 row_mask:0xf bank_mask:0xf
	v_and_b32_e32 v1, v137, v1
	v_add_u32_e32 v0, v0, v1
	s_nop 1
	v_mov_b32_dpp v1, v0 row_bcast:31 row_mask:0xf bank_mask:0xf
	v_cndmask_b32_e64 v1, 0, v1, s[26:27]
	v_add_u32_e32 v0, v0, v1
	s_and_saveexec_b64 s[28:29], s[6:7]
	s_cbranch_execz .LBB1119_974
; %bb.973:                              ;   in Loop: Header=BB1119_12 Depth=1
	ds_write_b32 v17, v0
.LBB1119_974:                           ;   in Loop: Header=BB1119_12 Depth=1
	s_or_b64 exec, exec, s[28:29]
	s_waitcnt lgkmcnt(0)
	s_barrier
	s_and_saveexec_b64 s[28:29], s[8:9]
	s_cbranch_execz .LBB1119_976
; %bb.975:                              ;   in Loop: Header=BB1119_12 Depth=1
	ds_read_b32 v1, v19
	v_cmp_ne_u32_e32 vcc, 0, v139
	s_waitcnt lgkmcnt(0)
	v_mov_b32_dpp v5, v1 row_shr:1 row_mask:0xf bank_mask:0xf
	v_cndmask_b32_e32 v5, 0, v5, vcc
	v_add_u32_e32 v1, v5, v1
	v_cmp_lt_u32_e32 vcc, 1, v139
	s_nop 0
	v_mov_b32_dpp v5, v1 row_shr:2 row_mask:0xf bank_mask:0xf
	v_cndmask_b32_e32 v5, 0, v5, vcc
	v_add_u32_e32 v1, v1, v5
	ds_write_b32 v19, v1
.LBB1119_976:                           ;   in Loop: Header=BB1119_12 Depth=1
	s_or_b64 exec, exec, s[28:29]
	v_mov_b32_e32 v1, 0
	s_waitcnt lgkmcnt(0)
	s_barrier
	s_and_saveexec_b64 s[28:29], s[10:11]
	s_cbranch_execz .LBB1119_978
; %bb.977:                              ;   in Loop: Header=BB1119_12 Depth=1
	ds_read_b32 v1, v21
.LBB1119_978:                           ;   in Loop: Header=BB1119_12 Depth=1
	s_or_b64 exec, exec, s[28:29]
	v_cmp_lt_i32_e32 vcc, v140, v141
	v_cndmask_b32_e32 v5, v140, v135, vcc
	s_waitcnt lgkmcnt(0)
	v_add_u32_e32 v0, v1, v0
	v_lshlrev_b32_e32 v159, 2, v5
	ds_bpermute_b32 v0, v159, v0
	v_cmp_eq_u32_e64 s[28:29], 0, v135
	s_waitcnt lgkmcnt(0)
	s_barrier
	s_and_saveexec_b64 s[30:31], s[4:5]
	s_cbranch_execz .LBB1119_980
; %bb.979:                              ;   in Loop: Header=BB1119_12 Depth=1
	v_cndmask_b32_e64 v0, v0, v1, s[28:29]
	v_readlane_b32 s34, v236, 3
	v_add_u32_e32 v0, s34, v0
	ds_write_b32 v3, v0
.LBB1119_980:                           ;   in Loop: Header=BB1119_12 Depth=1
	s_or_b64 exec, exec, s[30:31]
	s_load_dwordx2 s[30:31], s[92:93], 0x0
	v_readlane_b32 s34, v236, 1
	v_add_co_u32_e32 v160, vcc, v113, v142
	v_addc_co_u32_e32 v161, vcc, 0, v114, vcc
	s_waitcnt lgkmcnt(0)
	s_cmp_lt_u32 s34, s30
	v_readlane_b32 s30, v236, 0
	s_cselect_b32 s34, 12, 18
	s_cmp_lt_u32 s30, s31
	s_cselect_b32 s30, 14, 20
	s_add_u32 s30, s92, s30
	s_addc_u32 s31, s93, 0
	s_add_u32 s34, s92, s34
	global_load_ushort v5, v4, s[30:31]
	s_addc_u32 s35, s93, 0
	global_load_ushort v64, v4, s[34:35]
	v_add_co_u32_e32 v162, vcc, v115, v142
	v_addc_co_u32_e32 v163, vcc, 0, v116, vcc
	v_add_co_u32_e32 v170, vcc, 0x1e00, v162
	v_cmp_eq_u32_e64 s[30:31], 0, v139
	v_cmp_lt_u32_e64 s[34:35], 1, v139
	v_readlane_b32 s86, v236, 2
	v_addc_co_u32_e32 v173, vcc, 0, v163, vcc
                                        ; implicit-def: $vgpr0_vgpr1
                                        ; implicit-def: $vgpr34_vgpr35
                                        ; implicit-def: $vgpr36_vgpr37
                                        ; implicit-def: $vgpr40_vgpr41
                                        ; implicit-def: $vgpr44_vgpr45
                                        ; implicit-def: $vgpr48_vgpr49
                                        ; implicit-def: $vgpr52_vgpr53
                                        ; implicit-def: $vgpr56_vgpr57
                                        ; implicit-def: $vgpr38_vgpr39
                                        ; implicit-def: $vgpr42_vgpr43
                                        ; implicit-def: $vgpr46_vgpr47
                                        ; implicit-def: $vgpr50_vgpr51
                                        ; implicit-def: $vgpr54_vgpr55
                                        ; implicit-def: $vgpr58_vgpr59
                                        ; implicit-def: $vgpr60_vgpr61
                                        ; implicit-def: $vgpr62_vgpr63
                                        ; implicit-def: $vgpr164
                                        ; implicit-def: $vgpr165
                                        ; implicit-def: $vgpr166
                                        ; implicit-def: $vgpr167
                                        ; implicit-def: $vgpr168
                                        ; implicit-def: $vgpr169
                                        ; implicit-def: $vgpr171
                                        ; implicit-def: $vgpr172
                                        ; implicit-def: $vgpr174
                                        ; implicit-def: $vgpr175
                                        ; implicit-def: $vgpr176
                                        ; implicit-def: $vgpr178
                                        ; implicit-def: $vgpr179
                                        ; implicit-def: $vgpr180
                                        ; implicit-def: $vgpr181
                                        ; implicit-def: $vgpr182
	s_waitcnt vmcnt(1)
	v_mad_u32_u24 v5, v23, v5, v25
	s_waitcnt vmcnt(0)
	v_mad_u64_u32 v[64:65], s[36:37], v5, v64, v[2:3]
	v_readlane_b32 s36, v236, 3
	v_lshrrev_b32_e32 v177, 6, v64
	s_mov_b32 s78, s36
	s_branch .LBB1119_982
.LBB1119_981:                           ;   in Loop: Header=BB1119_982 Depth=2
	s_or_b64 exec, exec, s[36:37]
	s_addk_i32 s86, 0xf000
	s_cmp_lt_u32 s87, s96
	s_mov_b32 s78, s87
	s_cbranch_scc0 .LBB1119_10
.LBB1119_982:                           ;   Parent Loop BB1119_12 Depth=1
                                        ; =>  This Inner Loop Header: Depth=2
	s_add_i32 s87, s78, 0x1000
	s_cmp_gt_u32 s87, s96
	s_cbranch_scc1 .LBB1119_985
; %bb.983:                              ;   in Loop: Header=BB1119_982 Depth=2
	s_mov_b32 s79, s90
	s_lshl_b64 s[36:37], s[78:79], 3
	v_mov_b32_e32 v5, s37
	v_add_co_u32_e32 v68, vcc, s36, v162
	v_addc_co_u32_e32 v69, vcc, v163, v5, vcc
	global_load_dwordx2 v[64:65], v[68:69], off
	global_load_dwordx2 v[66:67], v[68:69], off offset:512
	global_load_dwordx2 v[74:75], v[68:69], off offset:1024
	;; [unrolled: 1-line block ×7, first 2 shown]
	v_add_co_u32_e32 v68, vcc, 0x1000, v68
	v_addc_co_u32_e32 v69, vcc, 0, v69, vcc
	global_load_dwordx2 v[92:93], v[68:69], off
	global_load_dwordx2 v[88:89], v[68:69], off offset:512
	global_load_dwordx2 v[84:85], v[68:69], off offset:1024
	;; [unrolled: 1-line block ×5, first 2 shown]
	s_nop 0
	global_load_dwordx2 v[68:69], v[68:69], off offset:3072
	s_movk_i32 s40, 0x1000
	s_mov_b64 s[36:37], -1
	s_cbranch_execz .LBB1119_986
; %bb.984:                              ;   in Loop: Header=BB1119_982 Depth=2
                                        ; implicit-def: $sgpr38_sgpr39
	v_pk_mov_b32 v[70:71], s[38:39], s[38:39] op_sel:[0,1]
	v_mov_b32_e32 v183, s86
	s_and_saveexec_b64 s[38:39], s[36:37]
	s_cbranch_execnz .LBB1119_1017
	s_branch .LBB1119_1018
.LBB1119_985:                           ;   in Loop: Header=BB1119_982 Depth=2
	s_mov_b64 s[36:37], 0
                                        ; implicit-def: $sgpr40
                                        ; implicit-def: $vgpr64_vgpr65
                                        ; implicit-def: $vgpr66_vgpr67
                                        ; implicit-def: $vgpr74_vgpr75
                                        ; implicit-def: $vgpr78_vgpr79
                                        ; implicit-def: $vgpr82_vgpr83
                                        ; implicit-def: $vgpr86_vgpr87
                                        ; implicit-def: $vgpr90_vgpr91
                                        ; implicit-def: $vgpr94_vgpr95
                                        ; implicit-def: $vgpr92_vgpr93
                                        ; implicit-def: $vgpr88_vgpr89
                                        ; implicit-def: $vgpr84_vgpr85
                                        ; implicit-def: $vgpr80_vgpr81
                                        ; implicit-def: $vgpr76_vgpr77
                                        ; implicit-def: $vgpr72_vgpr73
                                        ; implicit-def: $vgpr68_vgpr69
.LBB1119_986:                           ;   in Loop: Header=BB1119_982 Depth=2
	s_mov_b32 s79, s90
	s_lshl_b64 s[36:37], s[78:79], 3
	v_mov_b32_e32 v5, s37
	v_add_co_u32_e32 v70, vcc, s36, v162
	v_addc_co_u32_e32 v71, vcc, v163, v5, vcc
	s_waitcnt vmcnt(13)
	v_pk_mov_b32 v[66:67], -1, -1
	v_cmp_gt_u32_e32 vcc, s86, v143
	v_pk_mov_b32 v[64:65], v[66:67], v[66:67] op_sel:[0,1]
	s_and_saveexec_b64 s[36:37], vcc
	s_cbranch_execz .LBB1119_988
; %bb.987:                              ;   in Loop: Header=BB1119_982 Depth=2
	global_load_dwordx2 v[64:65], v[70:71], off
.LBB1119_988:                           ;   in Loop: Header=BB1119_982 Depth=2
	s_or_b64 exec, exec, s[36:37]
	v_cmp_gt_u32_e32 vcc, s86, v144
	s_and_saveexec_b64 s[36:37], vcc
	s_cbranch_execz .LBB1119_990
; %bb.989:                              ;   in Loop: Header=BB1119_982 Depth=2
	global_load_dwordx2 v[66:67], v[70:71], off offset:512
.LBB1119_990:                           ;   in Loop: Header=BB1119_982 Depth=2
	s_or_b64 exec, exec, s[36:37]
	s_waitcnt vmcnt(11)
	v_pk_mov_b32 v[78:79], -1, -1
	v_cmp_gt_u32_e32 vcc, s86, v145
	v_pk_mov_b32 v[74:75], v[78:79], v[78:79] op_sel:[0,1]
	s_and_saveexec_b64 s[36:37], vcc
	s_cbranch_execz .LBB1119_992
; %bb.991:                              ;   in Loop: Header=BB1119_982 Depth=2
	global_load_dwordx2 v[74:75], v[70:71], off offset:1024
.LBB1119_992:                           ;   in Loop: Header=BB1119_982 Depth=2
	s_or_b64 exec, exec, s[36:37]
	v_cmp_gt_u32_e32 vcc, s86, v146
	s_and_saveexec_b64 s[36:37], vcc
	s_cbranch_execz .LBB1119_994
; %bb.993:                              ;   in Loop: Header=BB1119_982 Depth=2
	global_load_dwordx2 v[78:79], v[70:71], off offset:1536
.LBB1119_994:                           ;   in Loop: Header=BB1119_982 Depth=2
	s_or_b64 exec, exec, s[36:37]
	s_waitcnt vmcnt(9)
	v_pk_mov_b32 v[86:87], -1, -1
	v_cmp_gt_u32_e32 vcc, s86, v147
	v_pk_mov_b32 v[82:83], v[86:87], v[86:87] op_sel:[0,1]
	s_and_saveexec_b64 s[36:37], vcc
	s_cbranch_execz .LBB1119_996
; %bb.995:                              ;   in Loop: Header=BB1119_982 Depth=2
	global_load_dwordx2 v[82:83], v[70:71], off offset:2048
.LBB1119_996:                           ;   in Loop: Header=BB1119_982 Depth=2
	s_or_b64 exec, exec, s[36:37]
	v_cmp_gt_u32_e32 vcc, s86, v148
	s_and_saveexec_b64 s[36:37], vcc
	s_cbranch_execz .LBB1119_998
; %bb.997:                              ;   in Loop: Header=BB1119_982 Depth=2
	global_load_dwordx2 v[86:87], v[70:71], off offset:2560
.LBB1119_998:                           ;   in Loop: Header=BB1119_982 Depth=2
	s_or_b64 exec, exec, s[36:37]
	s_waitcnt vmcnt(7)
	v_pk_mov_b32 v[94:95], -1, -1
	v_cmp_gt_u32_e32 vcc, s86, v149
	v_pk_mov_b32 v[90:91], v[94:95], v[94:95] op_sel:[0,1]
	s_and_saveexec_b64 s[36:37], vcc
	s_cbranch_execz .LBB1119_1000
; %bb.999:                              ;   in Loop: Header=BB1119_982 Depth=2
	global_load_dwordx2 v[90:91], v[70:71], off offset:3072
.LBB1119_1000:                          ;   in Loop: Header=BB1119_982 Depth=2
	s_or_b64 exec, exec, s[36:37]
	v_cmp_gt_u32_e32 vcc, s86, v150
	s_and_saveexec_b64 s[36:37], vcc
	s_cbranch_execz .LBB1119_1002
; %bb.1001:                             ;   in Loop: Header=BB1119_982 Depth=2
	global_load_dwordx2 v[94:95], v[70:71], off offset:3584
.LBB1119_1002:                          ;   in Loop: Header=BB1119_982 Depth=2
	s_or_b64 exec, exec, s[36:37]
	s_waitcnt vmcnt(5)
	v_pk_mov_b32 v[88:89], -1, -1
	v_cmp_gt_u32_e32 vcc, s86, v151
	v_pk_mov_b32 v[92:93], v[88:89], v[88:89] op_sel:[0,1]
	s_and_saveexec_b64 s[36:37], vcc
	s_cbranch_execz .LBB1119_1004
; %bb.1003:                             ;   in Loop: Header=BB1119_982 Depth=2
	s_waitcnt vmcnt(0)
	v_add_co_u32_e32 v68, vcc, 0x1000, v70
	v_addc_co_u32_e32 v69, vcc, 0, v71, vcc
	global_load_dwordx2 v[92:93], v[68:69], off
.LBB1119_1004:                          ;   in Loop: Header=BB1119_982 Depth=2
	s_or_b64 exec, exec, s[36:37]
	v_cmp_gt_u32_e32 vcc, s86, v152
	s_and_saveexec_b64 s[36:37], vcc
	s_cbranch_execz .LBB1119_1006
; %bb.1005:                             ;   in Loop: Header=BB1119_982 Depth=2
	s_waitcnt vmcnt(0)
	v_add_co_u32_e32 v68, vcc, 0x1000, v70
	v_addc_co_u32_e32 v69, vcc, 0, v71, vcc
	global_load_dwordx2 v[88:89], v[68:69], off offset:512
.LBB1119_1006:                          ;   in Loop: Header=BB1119_982 Depth=2
	s_or_b64 exec, exec, s[36:37]
	s_waitcnt vmcnt(3)
	v_pk_mov_b32 v[80:81], -1, -1
	v_cmp_gt_u32_e32 vcc, s86, v153
	v_pk_mov_b32 v[84:85], v[80:81], v[80:81] op_sel:[0,1]
	s_and_saveexec_b64 s[36:37], vcc
	s_cbranch_execz .LBB1119_1008
; %bb.1007:                             ;   in Loop: Header=BB1119_982 Depth=2
	s_waitcnt vmcnt(0)
	v_add_co_u32_e32 v68, vcc, 0x1000, v70
	v_addc_co_u32_e32 v69, vcc, 0, v71, vcc
	global_load_dwordx2 v[84:85], v[68:69], off offset:1024
.LBB1119_1008:                          ;   in Loop: Header=BB1119_982 Depth=2
	s_or_b64 exec, exec, s[36:37]
	v_cmp_gt_u32_e32 vcc, s86, v154
	s_and_saveexec_b64 s[36:37], vcc
	s_cbranch_execz .LBB1119_1010
; %bb.1009:                             ;   in Loop: Header=BB1119_982 Depth=2
	s_waitcnt vmcnt(0)
	v_add_co_u32_e32 v68, vcc, 0x1000, v70
	v_addc_co_u32_e32 v69, vcc, 0, v71, vcc
	global_load_dwordx2 v[80:81], v[68:69], off offset:1536
.LBB1119_1010:                          ;   in Loop: Header=BB1119_982 Depth=2
	s_or_b64 exec, exec, s[36:37]
	s_waitcnt vmcnt(1)
	v_pk_mov_b32 v[72:73], -1, -1
	v_cmp_gt_u32_e32 vcc, s86, v155
	v_pk_mov_b32 v[76:77], v[72:73], v[72:73] op_sel:[0,1]
	s_and_saveexec_b64 s[36:37], vcc
	s_cbranch_execz .LBB1119_1012
; %bb.1011:                             ;   in Loop: Header=BB1119_982 Depth=2
	s_waitcnt vmcnt(0)
	v_add_co_u32_e32 v68, vcc, 0x1000, v70
	v_addc_co_u32_e32 v69, vcc, 0, v71, vcc
	global_load_dwordx2 v[76:77], v[68:69], off offset:2048
.LBB1119_1012:                          ;   in Loop: Header=BB1119_982 Depth=2
	s_or_b64 exec, exec, s[36:37]
	v_cmp_gt_u32_e32 vcc, s86, v156
	s_and_saveexec_b64 s[36:37], vcc
	s_cbranch_execz .LBB1119_1014
; %bb.1013:                             ;   in Loop: Header=BB1119_982 Depth=2
	s_waitcnt vmcnt(0)
	v_add_co_u32_e32 v68, vcc, 0x1000, v70
	v_addc_co_u32_e32 v69, vcc, 0, v71, vcc
	global_load_dwordx2 v[72:73], v[68:69], off offset:2560
.LBB1119_1014:                          ;   in Loop: Header=BB1119_982 Depth=2
	s_or_b64 exec, exec, s[36:37]
	v_cmp_gt_u32_e32 vcc, s86, v157
	s_waitcnt vmcnt(0)
	v_pk_mov_b32 v[68:69], -1, -1
	s_and_saveexec_b64 s[36:37], vcc
	s_cbranch_execz .LBB1119_1016
; %bb.1015:                             ;   in Loop: Header=BB1119_982 Depth=2
	v_add_co_u32_e32 v68, vcc, 0x1000, v70
	v_addc_co_u32_e32 v69, vcc, 0, v71, vcc
	global_load_dwordx2 v[68:69], v[68:69], off offset:3072
.LBB1119_1016:                          ;   in Loop: Header=BB1119_982 Depth=2
	s_or_b64 exec, exec, s[36:37]
	s_sub_i32 s40, s96, s78
	v_cmp_gt_u32_e64 s[36:37], s86, v158
	s_mov_b64 s[38:39], -1
	v_pk_mov_b32 v[70:71], s[38:39], s[38:39] op_sel:[0,1]
	v_mov_b32_e32 v183, s86
	s_and_saveexec_b64 s[38:39], s[36:37]
	s_cbranch_execz .LBB1119_1018
.LBB1119_1017:                          ;   in Loop: Header=BB1119_982 Depth=2
	s_lshl_b64 s[36:37], s[78:79], 3
	v_mov_b32_e32 v5, s37
	v_add_co_u32_e32 v70, vcc, s36, v170
	v_addc_co_u32_e32 v71, vcc, v173, v5, vcc
	global_load_dwordx2 v[70:71], v[70:71], off
	v_mov_b32_e32 v183, s40
.LBB1119_1018:                          ;   in Loop: Header=BB1119_982 Depth=2
	s_or_b64 exec, exec, s[38:39]
	s_waitcnt vmcnt(14)
	v_cmp_gt_i64_e32 vcc, 0, v[64:65]
	v_ashrrev_i32_e32 v96, 31, v65
	v_cndmask_b32_e64 v5, v133, 0, vcc
	v_not_b32_e32 v96, v96
	v_xor_b32_e32 v65, v5, v65
	v_xor_b32_e32 v64, v96, v64
	v_cmp_ne_u64_e32 vcc, s[90:91], v[64:65]
	v_cndmask_b32_e32 v97, v133, v65, vcc
	v_cndmask_b32_e32 v96, -1, v64, vcc
	v_lshrrev_b64 v[96:97], s84, v[96:97]
	v_add_u32_e32 v5, 0x410, v27
	v_and_b32_e32 v96, s85, v96
	ds_write2_b32 v5, v4, v4 offset1:1
	ds_write2_b32 v31, v4, v4 offset0:2 offset1:3
	ds_write_b32 v31, v4 offset:16
	v_mad_u32_u24 v5, v96, 5, v177
	v_lshl_add_u32 v184, v5, 2, v29
	v_and_b32_e32 v5, 1, v96
	v_add_co_u32_e32 v97, vcc, -1, v5
	v_addc_co_u32_e64 v98, s[36:37], 0, -1, vcc
	v_cmp_ne_u32_e32 vcc, 0, v5
	v_xor_b32_e32 v5, vcc_hi, v98
	v_and_b32_e32 v98, exec_hi, v5
	v_lshlrev_b32_e32 v5, 30, v96
	v_xor_b32_e32 v97, vcc_lo, v97
	v_cmp_gt_i64_e32 vcc, 0, v[4:5]
	v_not_b32_e32 v5, v5
	v_ashrrev_i32_e32 v5, 31, v5
	v_and_b32_e32 v97, exec_lo, v97
	v_xor_b32_e32 v99, vcc_hi, v5
	v_xor_b32_e32 v5, vcc_lo, v5
	v_and_b32_e32 v97, v97, v5
	v_lshlrev_b32_e32 v5, 29, v96
	v_cmp_gt_i64_e32 vcc, 0, v[4:5]
	v_not_b32_e32 v5, v5
	v_ashrrev_i32_e32 v5, 31, v5
	v_and_b32_e32 v98, v98, v99
	v_xor_b32_e32 v99, vcc_hi, v5
	v_xor_b32_e32 v5, vcc_lo, v5
	v_and_b32_e32 v97, v97, v5
	v_lshlrev_b32_e32 v5, 28, v96
	v_cmp_gt_i64_e32 vcc, 0, v[4:5]
	v_not_b32_e32 v5, v5
	v_ashrrev_i32_e32 v5, 31, v5
	v_and_b32_e32 v98, v98, v99
	;; [unrolled: 8-line block ×5, first 2 shown]
	v_xor_b32_e32 v99, vcc_hi, v5
	v_xor_b32_e32 v5, vcc_lo, v5
	v_and_b32_e32 v98, v98, v99
	v_and_b32_e32 v99, v97, v5
	v_lshlrev_b32_e32 v5, 24, v96
	v_cmp_gt_i64_e32 vcc, 0, v[4:5]
	v_not_b32_e32 v5, v5
	v_ashrrev_i32_e32 v5, 31, v5
	v_xor_b32_e32 v96, vcc_hi, v5
	v_xor_b32_e32 v5, vcc_lo, v5
	v_and_b32_e32 v97, v98, v96
	v_and_b32_e32 v96, v99, v5
	v_mbcnt_lo_u32_b32 v5, v96, 0
	v_mbcnt_hi_u32_b32 v185, v97, v5
	v_cmp_eq_u32_e32 vcc, 0, v185
	v_cmp_ne_u64_e64 s[36:37], 0, v[96:97]
	s_and_b64 s[38:39], s[36:37], vcc
	s_waitcnt lgkmcnt(0)
	s_barrier
	s_waitcnt lgkmcnt(0)
	; wave barrier
	s_and_saveexec_b64 s[36:37], s[38:39]
	s_cbranch_execz .LBB1119_1020
; %bb.1019:                             ;   in Loop: Header=BB1119_982 Depth=2
	v_bcnt_u32_b32 v5, v96, 0
	v_bcnt_u32_b32 v5, v97, v5
	ds_write_b32 v184, v5
.LBB1119_1020:                          ;   in Loop: Header=BB1119_982 Depth=2
	s_or_b64 exec, exec, s[36:37]
	s_waitcnt vmcnt(13)
	v_cmp_gt_i64_e32 vcc, 0, v[66:67]
	v_ashrrev_i32_e32 v96, 31, v67
	v_cndmask_b32_e64 v5, v133, 0, vcc
	v_not_b32_e32 v96, v96
	v_xor_b32_e32 v67, v5, v67
	v_xor_b32_e32 v66, v96, v66
	v_cmp_ne_u64_e32 vcc, s[90:91], v[66:67]
	v_cndmask_b32_e32 v97, v133, v67, vcc
	v_cndmask_b32_e32 v96, -1, v66, vcc
	v_lshrrev_b64 v[96:97], s84, v[96:97]
	v_and_b32_e32 v96, s85, v96
	v_mul_u32_u24_e32 v5, 5, v96
	v_add_lshl_u32 v5, v5, v177, 2
	; wave barrier
	v_add_u32_e32 v187, 0x410, v5
	ds_read_b32 v186, v5 offset:1040
	v_and_b32_e32 v5, 1, v96
	v_add_co_u32_e32 v97, vcc, -1, v5
	v_addc_co_u32_e64 v98, s[36:37], 0, -1, vcc
	v_cmp_ne_u32_e32 vcc, 0, v5
	v_xor_b32_e32 v5, vcc_hi, v98
	v_and_b32_e32 v98, exec_hi, v5
	v_lshlrev_b32_e32 v5, 30, v96
	v_xor_b32_e32 v97, vcc_lo, v97
	v_cmp_gt_i64_e32 vcc, 0, v[4:5]
	v_not_b32_e32 v5, v5
	v_ashrrev_i32_e32 v5, 31, v5
	v_and_b32_e32 v97, exec_lo, v97
	v_xor_b32_e32 v99, vcc_hi, v5
	v_xor_b32_e32 v5, vcc_lo, v5
	v_and_b32_e32 v97, v97, v5
	v_lshlrev_b32_e32 v5, 29, v96
	v_cmp_gt_i64_e32 vcc, 0, v[4:5]
	v_not_b32_e32 v5, v5
	v_ashrrev_i32_e32 v5, 31, v5
	v_and_b32_e32 v98, v98, v99
	v_xor_b32_e32 v99, vcc_hi, v5
	v_xor_b32_e32 v5, vcc_lo, v5
	v_and_b32_e32 v97, v97, v5
	v_lshlrev_b32_e32 v5, 28, v96
	v_cmp_gt_i64_e32 vcc, 0, v[4:5]
	v_not_b32_e32 v5, v5
	v_ashrrev_i32_e32 v5, 31, v5
	v_and_b32_e32 v98, v98, v99
	;; [unrolled: 8-line block ×5, first 2 shown]
	v_xor_b32_e32 v99, vcc_hi, v5
	v_xor_b32_e32 v5, vcc_lo, v5
	v_and_b32_e32 v98, v98, v99
	v_and_b32_e32 v99, v97, v5
	v_lshlrev_b32_e32 v5, 24, v96
	v_cmp_gt_i64_e32 vcc, 0, v[4:5]
	v_not_b32_e32 v5, v5
	v_ashrrev_i32_e32 v5, 31, v5
	v_xor_b32_e32 v96, vcc_hi, v5
	v_xor_b32_e32 v5, vcc_lo, v5
	v_and_b32_e32 v97, v98, v96
	v_and_b32_e32 v96, v99, v5
	v_mbcnt_lo_u32_b32 v5, v96, 0
	v_mbcnt_hi_u32_b32 v188, v97, v5
	v_cmp_eq_u32_e32 vcc, 0, v188
	v_cmp_ne_u64_e64 s[36:37], 0, v[96:97]
	s_and_b64 s[38:39], s[36:37], vcc
	; wave barrier
	s_and_saveexec_b64 s[36:37], s[38:39]
	s_cbranch_execz .LBB1119_1022
; %bb.1021:                             ;   in Loop: Header=BB1119_982 Depth=2
	v_bcnt_u32_b32 v5, v96, 0
	v_bcnt_u32_b32 v5, v97, v5
	s_waitcnt lgkmcnt(0)
	v_add_u32_e32 v5, v186, v5
	ds_write_b32 v187, v5
.LBB1119_1022:                          ;   in Loop: Header=BB1119_982 Depth=2
	s_or_b64 exec, exec, s[36:37]
	s_waitcnt vmcnt(12)
	v_cmp_gt_i64_e32 vcc, 0, v[74:75]
	v_ashrrev_i32_e32 v96, 31, v75
	v_cndmask_b32_e64 v5, v133, 0, vcc
	v_not_b32_e32 v96, v96
	v_xor_b32_e32 v75, v5, v75
	v_xor_b32_e32 v74, v96, v74
	v_cmp_ne_u64_e32 vcc, s[90:91], v[74:75]
	v_cndmask_b32_e32 v97, v133, v75, vcc
	v_cndmask_b32_e32 v96, -1, v74, vcc
	v_lshrrev_b64 v[96:97], s84, v[96:97]
	v_and_b32_e32 v96, s85, v96
	v_mul_u32_u24_e32 v5, 5, v96
	v_add_lshl_u32 v5, v5, v177, 2
	; wave barrier
	v_add_u32_e32 v190, 0x410, v5
	ds_read_b32 v189, v5 offset:1040
	v_and_b32_e32 v5, 1, v96
	v_add_co_u32_e32 v97, vcc, -1, v5
	v_addc_co_u32_e64 v98, s[36:37], 0, -1, vcc
	v_cmp_ne_u32_e32 vcc, 0, v5
	v_xor_b32_e32 v5, vcc_hi, v98
	v_and_b32_e32 v98, exec_hi, v5
	v_lshlrev_b32_e32 v5, 30, v96
	v_xor_b32_e32 v97, vcc_lo, v97
	v_cmp_gt_i64_e32 vcc, 0, v[4:5]
	v_not_b32_e32 v5, v5
	v_ashrrev_i32_e32 v5, 31, v5
	v_and_b32_e32 v97, exec_lo, v97
	v_xor_b32_e32 v99, vcc_hi, v5
	v_xor_b32_e32 v5, vcc_lo, v5
	v_and_b32_e32 v97, v97, v5
	v_lshlrev_b32_e32 v5, 29, v96
	v_cmp_gt_i64_e32 vcc, 0, v[4:5]
	v_not_b32_e32 v5, v5
	v_ashrrev_i32_e32 v5, 31, v5
	v_and_b32_e32 v98, v98, v99
	v_xor_b32_e32 v99, vcc_hi, v5
	v_xor_b32_e32 v5, vcc_lo, v5
	v_and_b32_e32 v97, v97, v5
	v_lshlrev_b32_e32 v5, 28, v96
	v_cmp_gt_i64_e32 vcc, 0, v[4:5]
	v_not_b32_e32 v5, v5
	v_ashrrev_i32_e32 v5, 31, v5
	v_and_b32_e32 v98, v98, v99
	;; [unrolled: 8-line block ×5, first 2 shown]
	v_xor_b32_e32 v99, vcc_hi, v5
	v_xor_b32_e32 v5, vcc_lo, v5
	v_and_b32_e32 v98, v98, v99
	v_and_b32_e32 v99, v97, v5
	v_lshlrev_b32_e32 v5, 24, v96
	v_cmp_gt_i64_e32 vcc, 0, v[4:5]
	v_not_b32_e32 v5, v5
	v_ashrrev_i32_e32 v5, 31, v5
	v_xor_b32_e32 v96, vcc_hi, v5
	v_xor_b32_e32 v5, vcc_lo, v5
	v_and_b32_e32 v97, v98, v96
	v_and_b32_e32 v96, v99, v5
	v_mbcnt_lo_u32_b32 v5, v96, 0
	v_mbcnt_hi_u32_b32 v191, v97, v5
	v_cmp_eq_u32_e32 vcc, 0, v191
	v_cmp_ne_u64_e64 s[36:37], 0, v[96:97]
	s_and_b64 s[38:39], s[36:37], vcc
	; wave barrier
	s_and_saveexec_b64 s[36:37], s[38:39]
	s_cbranch_execz .LBB1119_1024
; %bb.1023:                             ;   in Loop: Header=BB1119_982 Depth=2
	v_bcnt_u32_b32 v5, v96, 0
	v_bcnt_u32_b32 v5, v97, v5
	s_waitcnt lgkmcnt(0)
	v_add_u32_e32 v5, v189, v5
	ds_write_b32 v190, v5
.LBB1119_1024:                          ;   in Loop: Header=BB1119_982 Depth=2
	s_or_b64 exec, exec, s[36:37]
	s_waitcnt vmcnt(11)
	v_cmp_gt_i64_e32 vcc, 0, v[78:79]
	v_ashrrev_i32_e32 v96, 31, v79
	v_cndmask_b32_e64 v5, v133, 0, vcc
	v_not_b32_e32 v96, v96
	v_xor_b32_e32 v79, v5, v79
	v_xor_b32_e32 v78, v96, v78
	v_cmp_ne_u64_e32 vcc, s[90:91], v[78:79]
	v_cndmask_b32_e32 v97, v133, v79, vcc
	v_cndmask_b32_e32 v96, -1, v78, vcc
	v_lshrrev_b64 v[96:97], s84, v[96:97]
	v_and_b32_e32 v96, s85, v96
	v_mul_u32_u24_e32 v5, 5, v96
	v_add_lshl_u32 v5, v5, v177, 2
	; wave barrier
	v_add_u32_e32 v193, 0x410, v5
	ds_read_b32 v192, v5 offset:1040
	v_and_b32_e32 v5, 1, v96
	v_add_co_u32_e32 v97, vcc, -1, v5
	v_addc_co_u32_e64 v98, s[36:37], 0, -1, vcc
	v_cmp_ne_u32_e32 vcc, 0, v5
	v_xor_b32_e32 v5, vcc_hi, v98
	v_and_b32_e32 v98, exec_hi, v5
	v_lshlrev_b32_e32 v5, 30, v96
	v_xor_b32_e32 v97, vcc_lo, v97
	v_cmp_gt_i64_e32 vcc, 0, v[4:5]
	v_not_b32_e32 v5, v5
	v_ashrrev_i32_e32 v5, 31, v5
	v_and_b32_e32 v97, exec_lo, v97
	v_xor_b32_e32 v99, vcc_hi, v5
	v_xor_b32_e32 v5, vcc_lo, v5
	v_and_b32_e32 v97, v97, v5
	v_lshlrev_b32_e32 v5, 29, v96
	v_cmp_gt_i64_e32 vcc, 0, v[4:5]
	v_not_b32_e32 v5, v5
	v_ashrrev_i32_e32 v5, 31, v5
	v_and_b32_e32 v98, v98, v99
	v_xor_b32_e32 v99, vcc_hi, v5
	v_xor_b32_e32 v5, vcc_lo, v5
	v_and_b32_e32 v97, v97, v5
	v_lshlrev_b32_e32 v5, 28, v96
	v_cmp_gt_i64_e32 vcc, 0, v[4:5]
	v_not_b32_e32 v5, v5
	v_ashrrev_i32_e32 v5, 31, v5
	v_and_b32_e32 v98, v98, v99
	;; [unrolled: 8-line block ×5, first 2 shown]
	v_xor_b32_e32 v99, vcc_hi, v5
	v_xor_b32_e32 v5, vcc_lo, v5
	v_and_b32_e32 v98, v98, v99
	v_and_b32_e32 v99, v97, v5
	v_lshlrev_b32_e32 v5, 24, v96
	v_cmp_gt_i64_e32 vcc, 0, v[4:5]
	v_not_b32_e32 v5, v5
	v_ashrrev_i32_e32 v5, 31, v5
	v_xor_b32_e32 v96, vcc_hi, v5
	v_xor_b32_e32 v5, vcc_lo, v5
	v_and_b32_e32 v97, v98, v96
	v_and_b32_e32 v96, v99, v5
	v_mbcnt_lo_u32_b32 v5, v96, 0
	v_mbcnt_hi_u32_b32 v194, v97, v5
	v_cmp_eq_u32_e32 vcc, 0, v194
	v_cmp_ne_u64_e64 s[36:37], 0, v[96:97]
	s_and_b64 s[38:39], s[36:37], vcc
	; wave barrier
	s_and_saveexec_b64 s[36:37], s[38:39]
	s_cbranch_execz .LBB1119_1026
; %bb.1025:                             ;   in Loop: Header=BB1119_982 Depth=2
	v_bcnt_u32_b32 v5, v96, 0
	v_bcnt_u32_b32 v5, v97, v5
	s_waitcnt lgkmcnt(0)
	v_add_u32_e32 v5, v192, v5
	ds_write_b32 v193, v5
.LBB1119_1026:                          ;   in Loop: Header=BB1119_982 Depth=2
	s_or_b64 exec, exec, s[36:37]
	s_waitcnt vmcnt(10)
	v_cmp_gt_i64_e32 vcc, 0, v[82:83]
	v_ashrrev_i32_e32 v96, 31, v83
	v_cndmask_b32_e64 v5, v133, 0, vcc
	v_not_b32_e32 v96, v96
	v_xor_b32_e32 v83, v5, v83
	v_xor_b32_e32 v82, v96, v82
	v_cmp_ne_u64_e32 vcc, s[90:91], v[82:83]
	v_cndmask_b32_e32 v97, v133, v83, vcc
	v_cndmask_b32_e32 v96, -1, v82, vcc
	v_lshrrev_b64 v[96:97], s84, v[96:97]
	v_and_b32_e32 v96, s85, v96
	v_mul_u32_u24_e32 v5, 5, v96
	v_add_lshl_u32 v5, v5, v177, 2
	; wave barrier
	v_add_u32_e32 v196, 0x410, v5
	ds_read_b32 v195, v5 offset:1040
	v_and_b32_e32 v5, 1, v96
	v_add_co_u32_e32 v97, vcc, -1, v5
	v_addc_co_u32_e64 v98, s[36:37], 0, -1, vcc
	v_cmp_ne_u32_e32 vcc, 0, v5
	v_xor_b32_e32 v5, vcc_hi, v98
	v_and_b32_e32 v98, exec_hi, v5
	v_lshlrev_b32_e32 v5, 30, v96
	v_xor_b32_e32 v97, vcc_lo, v97
	v_cmp_gt_i64_e32 vcc, 0, v[4:5]
	v_not_b32_e32 v5, v5
	v_ashrrev_i32_e32 v5, 31, v5
	v_and_b32_e32 v97, exec_lo, v97
	v_xor_b32_e32 v99, vcc_hi, v5
	v_xor_b32_e32 v5, vcc_lo, v5
	v_and_b32_e32 v97, v97, v5
	v_lshlrev_b32_e32 v5, 29, v96
	v_cmp_gt_i64_e32 vcc, 0, v[4:5]
	v_not_b32_e32 v5, v5
	v_ashrrev_i32_e32 v5, 31, v5
	v_and_b32_e32 v98, v98, v99
	v_xor_b32_e32 v99, vcc_hi, v5
	v_xor_b32_e32 v5, vcc_lo, v5
	v_and_b32_e32 v97, v97, v5
	v_lshlrev_b32_e32 v5, 28, v96
	v_cmp_gt_i64_e32 vcc, 0, v[4:5]
	v_not_b32_e32 v5, v5
	v_ashrrev_i32_e32 v5, 31, v5
	v_and_b32_e32 v98, v98, v99
	;; [unrolled: 8-line block ×5, first 2 shown]
	v_xor_b32_e32 v99, vcc_hi, v5
	v_xor_b32_e32 v5, vcc_lo, v5
	v_and_b32_e32 v98, v98, v99
	v_and_b32_e32 v99, v97, v5
	v_lshlrev_b32_e32 v5, 24, v96
	v_cmp_gt_i64_e32 vcc, 0, v[4:5]
	v_not_b32_e32 v5, v5
	v_ashrrev_i32_e32 v5, 31, v5
	v_xor_b32_e32 v96, vcc_hi, v5
	v_xor_b32_e32 v5, vcc_lo, v5
	v_and_b32_e32 v97, v98, v96
	v_and_b32_e32 v96, v99, v5
	v_mbcnt_lo_u32_b32 v5, v96, 0
	v_mbcnt_hi_u32_b32 v197, v97, v5
	v_cmp_eq_u32_e32 vcc, 0, v197
	v_cmp_ne_u64_e64 s[36:37], 0, v[96:97]
	s_and_b64 s[38:39], s[36:37], vcc
	; wave barrier
	s_and_saveexec_b64 s[36:37], s[38:39]
	s_cbranch_execz .LBB1119_1028
; %bb.1027:                             ;   in Loop: Header=BB1119_982 Depth=2
	v_bcnt_u32_b32 v5, v96, 0
	v_bcnt_u32_b32 v5, v97, v5
	s_waitcnt lgkmcnt(0)
	v_add_u32_e32 v5, v195, v5
	ds_write_b32 v196, v5
.LBB1119_1028:                          ;   in Loop: Header=BB1119_982 Depth=2
	s_or_b64 exec, exec, s[36:37]
	s_waitcnt vmcnt(9)
	v_cmp_gt_i64_e32 vcc, 0, v[86:87]
	v_ashrrev_i32_e32 v96, 31, v87
	v_cndmask_b32_e64 v5, v133, 0, vcc
	v_not_b32_e32 v96, v96
	v_xor_b32_e32 v87, v5, v87
	v_xor_b32_e32 v86, v96, v86
	v_cmp_ne_u64_e32 vcc, s[90:91], v[86:87]
	v_cndmask_b32_e32 v97, v133, v87, vcc
	v_cndmask_b32_e32 v96, -1, v86, vcc
	v_lshrrev_b64 v[96:97], s84, v[96:97]
	v_and_b32_e32 v96, s85, v96
	v_mul_u32_u24_e32 v5, 5, v96
	v_add_lshl_u32 v5, v5, v177, 2
	; wave barrier
	v_add_u32_e32 v199, 0x410, v5
	ds_read_b32 v198, v5 offset:1040
	v_and_b32_e32 v5, 1, v96
	v_add_co_u32_e32 v97, vcc, -1, v5
	v_addc_co_u32_e64 v98, s[36:37], 0, -1, vcc
	v_cmp_ne_u32_e32 vcc, 0, v5
	v_xor_b32_e32 v5, vcc_hi, v98
	v_and_b32_e32 v98, exec_hi, v5
	v_lshlrev_b32_e32 v5, 30, v96
	v_xor_b32_e32 v97, vcc_lo, v97
	v_cmp_gt_i64_e32 vcc, 0, v[4:5]
	v_not_b32_e32 v5, v5
	v_ashrrev_i32_e32 v5, 31, v5
	v_and_b32_e32 v97, exec_lo, v97
	v_xor_b32_e32 v99, vcc_hi, v5
	v_xor_b32_e32 v5, vcc_lo, v5
	v_and_b32_e32 v97, v97, v5
	v_lshlrev_b32_e32 v5, 29, v96
	v_cmp_gt_i64_e32 vcc, 0, v[4:5]
	v_not_b32_e32 v5, v5
	v_ashrrev_i32_e32 v5, 31, v5
	v_and_b32_e32 v98, v98, v99
	v_xor_b32_e32 v99, vcc_hi, v5
	v_xor_b32_e32 v5, vcc_lo, v5
	v_and_b32_e32 v97, v97, v5
	v_lshlrev_b32_e32 v5, 28, v96
	v_cmp_gt_i64_e32 vcc, 0, v[4:5]
	v_not_b32_e32 v5, v5
	v_ashrrev_i32_e32 v5, 31, v5
	v_and_b32_e32 v98, v98, v99
	;; [unrolled: 8-line block ×5, first 2 shown]
	v_xor_b32_e32 v99, vcc_hi, v5
	v_xor_b32_e32 v5, vcc_lo, v5
	v_and_b32_e32 v98, v98, v99
	v_and_b32_e32 v99, v97, v5
	v_lshlrev_b32_e32 v5, 24, v96
	v_cmp_gt_i64_e32 vcc, 0, v[4:5]
	v_not_b32_e32 v5, v5
	v_ashrrev_i32_e32 v5, 31, v5
	v_xor_b32_e32 v96, vcc_hi, v5
	v_xor_b32_e32 v5, vcc_lo, v5
	v_and_b32_e32 v97, v98, v96
	v_and_b32_e32 v96, v99, v5
	v_mbcnt_lo_u32_b32 v5, v96, 0
	v_mbcnt_hi_u32_b32 v200, v97, v5
	v_cmp_eq_u32_e32 vcc, 0, v200
	v_cmp_ne_u64_e64 s[36:37], 0, v[96:97]
	s_and_b64 s[38:39], s[36:37], vcc
	; wave barrier
	s_and_saveexec_b64 s[36:37], s[38:39]
	s_cbranch_execz .LBB1119_1030
; %bb.1029:                             ;   in Loop: Header=BB1119_982 Depth=2
	v_bcnt_u32_b32 v5, v96, 0
	v_bcnt_u32_b32 v5, v97, v5
	s_waitcnt lgkmcnt(0)
	v_add_u32_e32 v5, v198, v5
	ds_write_b32 v199, v5
.LBB1119_1030:                          ;   in Loop: Header=BB1119_982 Depth=2
	s_or_b64 exec, exec, s[36:37]
	s_waitcnt vmcnt(8)
	v_cmp_gt_i64_e32 vcc, 0, v[90:91]
	v_ashrrev_i32_e32 v96, 31, v91
	v_cndmask_b32_e64 v5, v133, 0, vcc
	v_not_b32_e32 v96, v96
	v_xor_b32_e32 v91, v5, v91
	v_xor_b32_e32 v90, v96, v90
	v_cmp_ne_u64_e32 vcc, s[90:91], v[90:91]
	v_cndmask_b32_e32 v97, v133, v91, vcc
	v_cndmask_b32_e32 v96, -1, v90, vcc
	v_lshrrev_b64 v[96:97], s84, v[96:97]
	v_and_b32_e32 v96, s85, v96
	v_mul_u32_u24_e32 v5, 5, v96
	v_add_lshl_u32 v5, v5, v177, 2
	; wave barrier
	v_add_u32_e32 v202, 0x410, v5
	ds_read_b32 v201, v5 offset:1040
	v_and_b32_e32 v5, 1, v96
	v_add_co_u32_e32 v97, vcc, -1, v5
	v_addc_co_u32_e64 v98, s[36:37], 0, -1, vcc
	v_cmp_ne_u32_e32 vcc, 0, v5
	v_xor_b32_e32 v5, vcc_hi, v98
	v_and_b32_e32 v98, exec_hi, v5
	v_lshlrev_b32_e32 v5, 30, v96
	v_xor_b32_e32 v97, vcc_lo, v97
	v_cmp_gt_i64_e32 vcc, 0, v[4:5]
	v_not_b32_e32 v5, v5
	v_ashrrev_i32_e32 v5, 31, v5
	v_and_b32_e32 v97, exec_lo, v97
	v_xor_b32_e32 v99, vcc_hi, v5
	v_xor_b32_e32 v5, vcc_lo, v5
	v_and_b32_e32 v97, v97, v5
	v_lshlrev_b32_e32 v5, 29, v96
	v_cmp_gt_i64_e32 vcc, 0, v[4:5]
	v_not_b32_e32 v5, v5
	v_ashrrev_i32_e32 v5, 31, v5
	v_and_b32_e32 v98, v98, v99
	v_xor_b32_e32 v99, vcc_hi, v5
	v_xor_b32_e32 v5, vcc_lo, v5
	v_and_b32_e32 v97, v97, v5
	v_lshlrev_b32_e32 v5, 28, v96
	v_cmp_gt_i64_e32 vcc, 0, v[4:5]
	v_not_b32_e32 v5, v5
	v_ashrrev_i32_e32 v5, 31, v5
	v_and_b32_e32 v98, v98, v99
	;; [unrolled: 8-line block ×5, first 2 shown]
	v_xor_b32_e32 v99, vcc_hi, v5
	v_xor_b32_e32 v5, vcc_lo, v5
	v_and_b32_e32 v98, v98, v99
	v_and_b32_e32 v99, v97, v5
	v_lshlrev_b32_e32 v5, 24, v96
	v_cmp_gt_i64_e32 vcc, 0, v[4:5]
	v_not_b32_e32 v5, v5
	v_ashrrev_i32_e32 v5, 31, v5
	v_xor_b32_e32 v96, vcc_hi, v5
	v_xor_b32_e32 v5, vcc_lo, v5
	v_and_b32_e32 v97, v98, v96
	v_and_b32_e32 v96, v99, v5
	v_mbcnt_lo_u32_b32 v5, v96, 0
	v_mbcnt_hi_u32_b32 v203, v97, v5
	v_cmp_eq_u32_e32 vcc, 0, v203
	v_cmp_ne_u64_e64 s[36:37], 0, v[96:97]
	s_and_b64 s[38:39], s[36:37], vcc
	; wave barrier
	s_and_saveexec_b64 s[36:37], s[38:39]
	s_cbranch_execz .LBB1119_1032
; %bb.1031:                             ;   in Loop: Header=BB1119_982 Depth=2
	v_bcnt_u32_b32 v5, v96, 0
	v_bcnt_u32_b32 v5, v97, v5
	s_waitcnt lgkmcnt(0)
	v_add_u32_e32 v5, v201, v5
	ds_write_b32 v202, v5
.LBB1119_1032:                          ;   in Loop: Header=BB1119_982 Depth=2
	s_or_b64 exec, exec, s[36:37]
	s_waitcnt vmcnt(7)
	v_cmp_gt_i64_e32 vcc, 0, v[94:95]
	v_ashrrev_i32_e32 v96, 31, v95
	v_cndmask_b32_e64 v5, v133, 0, vcc
	v_not_b32_e32 v96, v96
	v_xor_b32_e32 v95, v5, v95
	v_xor_b32_e32 v94, v96, v94
	v_cmp_ne_u64_e32 vcc, s[90:91], v[94:95]
	v_cndmask_b32_e32 v97, v133, v95, vcc
	v_cndmask_b32_e32 v96, -1, v94, vcc
	v_lshrrev_b64 v[96:97], s84, v[96:97]
	v_and_b32_e32 v96, s85, v96
	v_mul_u32_u24_e32 v5, 5, v96
	v_add_lshl_u32 v5, v5, v177, 2
	; wave barrier
	v_add_u32_e32 v205, 0x410, v5
	ds_read_b32 v204, v5 offset:1040
	v_and_b32_e32 v5, 1, v96
	v_add_co_u32_e32 v97, vcc, -1, v5
	v_addc_co_u32_e64 v98, s[36:37], 0, -1, vcc
	v_cmp_ne_u32_e32 vcc, 0, v5
	v_xor_b32_e32 v5, vcc_hi, v98
	v_and_b32_e32 v98, exec_hi, v5
	v_lshlrev_b32_e32 v5, 30, v96
	v_xor_b32_e32 v97, vcc_lo, v97
	v_cmp_gt_i64_e32 vcc, 0, v[4:5]
	v_not_b32_e32 v5, v5
	v_ashrrev_i32_e32 v5, 31, v5
	v_and_b32_e32 v97, exec_lo, v97
	v_xor_b32_e32 v99, vcc_hi, v5
	v_xor_b32_e32 v5, vcc_lo, v5
	v_and_b32_e32 v97, v97, v5
	v_lshlrev_b32_e32 v5, 29, v96
	v_cmp_gt_i64_e32 vcc, 0, v[4:5]
	v_not_b32_e32 v5, v5
	v_ashrrev_i32_e32 v5, 31, v5
	v_and_b32_e32 v98, v98, v99
	v_xor_b32_e32 v99, vcc_hi, v5
	v_xor_b32_e32 v5, vcc_lo, v5
	v_and_b32_e32 v97, v97, v5
	v_lshlrev_b32_e32 v5, 28, v96
	v_cmp_gt_i64_e32 vcc, 0, v[4:5]
	v_not_b32_e32 v5, v5
	v_ashrrev_i32_e32 v5, 31, v5
	v_and_b32_e32 v98, v98, v99
	;; [unrolled: 8-line block ×5, first 2 shown]
	v_xor_b32_e32 v99, vcc_hi, v5
	v_xor_b32_e32 v5, vcc_lo, v5
	v_and_b32_e32 v98, v98, v99
	v_and_b32_e32 v99, v97, v5
	v_lshlrev_b32_e32 v5, 24, v96
	v_cmp_gt_i64_e32 vcc, 0, v[4:5]
	v_not_b32_e32 v5, v5
	v_ashrrev_i32_e32 v5, 31, v5
	v_xor_b32_e32 v96, vcc_hi, v5
	v_xor_b32_e32 v5, vcc_lo, v5
	v_and_b32_e32 v97, v98, v96
	v_and_b32_e32 v96, v99, v5
	v_mbcnt_lo_u32_b32 v5, v96, 0
	v_mbcnt_hi_u32_b32 v206, v97, v5
	v_cmp_eq_u32_e32 vcc, 0, v206
	v_cmp_ne_u64_e64 s[36:37], 0, v[96:97]
	s_and_b64 s[38:39], s[36:37], vcc
	; wave barrier
	s_and_saveexec_b64 s[36:37], s[38:39]
	s_cbranch_execz .LBB1119_1034
; %bb.1033:                             ;   in Loop: Header=BB1119_982 Depth=2
	v_bcnt_u32_b32 v5, v96, 0
	v_bcnt_u32_b32 v5, v97, v5
	s_waitcnt lgkmcnt(0)
	v_add_u32_e32 v5, v204, v5
	ds_write_b32 v205, v5
.LBB1119_1034:                          ;   in Loop: Header=BB1119_982 Depth=2
	s_or_b64 exec, exec, s[36:37]
	s_waitcnt vmcnt(6)
	v_cmp_gt_i64_e32 vcc, 0, v[92:93]
	v_ashrrev_i32_e32 v96, 31, v93
	v_cndmask_b32_e64 v5, v133, 0, vcc
	v_not_b32_e32 v96, v96
	v_xor_b32_e32 v93, v5, v93
	v_xor_b32_e32 v92, v96, v92
	v_cmp_ne_u64_e32 vcc, s[90:91], v[92:93]
	v_cndmask_b32_e32 v97, v133, v93, vcc
	v_cndmask_b32_e32 v96, -1, v92, vcc
	v_lshrrev_b64 v[96:97], s84, v[96:97]
	v_and_b32_e32 v96, s85, v96
	v_mul_u32_u24_e32 v5, 5, v96
	v_add_lshl_u32 v5, v5, v177, 2
	; wave barrier
	v_add_u32_e32 v208, 0x410, v5
	ds_read_b32 v207, v5 offset:1040
	v_and_b32_e32 v5, 1, v96
	v_add_co_u32_e32 v97, vcc, -1, v5
	v_addc_co_u32_e64 v98, s[36:37], 0, -1, vcc
	v_cmp_ne_u32_e32 vcc, 0, v5
	v_xor_b32_e32 v5, vcc_hi, v98
	v_and_b32_e32 v98, exec_hi, v5
	v_lshlrev_b32_e32 v5, 30, v96
	v_xor_b32_e32 v97, vcc_lo, v97
	v_cmp_gt_i64_e32 vcc, 0, v[4:5]
	v_not_b32_e32 v5, v5
	v_ashrrev_i32_e32 v5, 31, v5
	v_and_b32_e32 v97, exec_lo, v97
	v_xor_b32_e32 v99, vcc_hi, v5
	v_xor_b32_e32 v5, vcc_lo, v5
	v_and_b32_e32 v97, v97, v5
	v_lshlrev_b32_e32 v5, 29, v96
	v_cmp_gt_i64_e32 vcc, 0, v[4:5]
	v_not_b32_e32 v5, v5
	v_ashrrev_i32_e32 v5, 31, v5
	v_and_b32_e32 v98, v98, v99
	v_xor_b32_e32 v99, vcc_hi, v5
	v_xor_b32_e32 v5, vcc_lo, v5
	v_and_b32_e32 v97, v97, v5
	v_lshlrev_b32_e32 v5, 28, v96
	v_cmp_gt_i64_e32 vcc, 0, v[4:5]
	v_not_b32_e32 v5, v5
	v_ashrrev_i32_e32 v5, 31, v5
	v_and_b32_e32 v98, v98, v99
	;; [unrolled: 8-line block ×5, first 2 shown]
	v_xor_b32_e32 v99, vcc_hi, v5
	v_xor_b32_e32 v5, vcc_lo, v5
	v_and_b32_e32 v98, v98, v99
	v_and_b32_e32 v99, v97, v5
	v_lshlrev_b32_e32 v5, 24, v96
	v_cmp_gt_i64_e32 vcc, 0, v[4:5]
	v_not_b32_e32 v5, v5
	v_ashrrev_i32_e32 v5, 31, v5
	v_xor_b32_e32 v96, vcc_hi, v5
	v_xor_b32_e32 v5, vcc_lo, v5
	v_and_b32_e32 v97, v98, v96
	v_and_b32_e32 v96, v99, v5
	v_mbcnt_lo_u32_b32 v5, v96, 0
	v_mbcnt_hi_u32_b32 v209, v97, v5
	v_cmp_eq_u32_e32 vcc, 0, v209
	v_cmp_ne_u64_e64 s[36:37], 0, v[96:97]
	s_and_b64 s[38:39], s[36:37], vcc
	; wave barrier
	s_and_saveexec_b64 s[36:37], s[38:39]
	s_cbranch_execz .LBB1119_1036
; %bb.1035:                             ;   in Loop: Header=BB1119_982 Depth=2
	v_bcnt_u32_b32 v5, v96, 0
	v_bcnt_u32_b32 v5, v97, v5
	s_waitcnt lgkmcnt(0)
	v_add_u32_e32 v5, v207, v5
	ds_write_b32 v208, v5
.LBB1119_1036:                          ;   in Loop: Header=BB1119_982 Depth=2
	s_or_b64 exec, exec, s[36:37]
	s_waitcnt vmcnt(5)
	v_cmp_gt_i64_e32 vcc, 0, v[88:89]
	v_ashrrev_i32_e32 v96, 31, v89
	v_cndmask_b32_e64 v5, v133, 0, vcc
	v_not_b32_e32 v96, v96
	v_xor_b32_e32 v89, v5, v89
	v_xor_b32_e32 v88, v96, v88
	v_cmp_ne_u64_e32 vcc, s[90:91], v[88:89]
	v_cndmask_b32_e32 v97, v133, v89, vcc
	v_cndmask_b32_e32 v96, -1, v88, vcc
	v_lshrrev_b64 v[96:97], s84, v[96:97]
	v_and_b32_e32 v96, s85, v96
	v_mul_u32_u24_e32 v5, 5, v96
	v_add_lshl_u32 v5, v5, v177, 2
	; wave barrier
	v_add_u32_e32 v211, 0x410, v5
	ds_read_b32 v210, v5 offset:1040
	v_and_b32_e32 v5, 1, v96
	v_add_co_u32_e32 v97, vcc, -1, v5
	v_addc_co_u32_e64 v98, s[36:37], 0, -1, vcc
	v_cmp_ne_u32_e32 vcc, 0, v5
	v_xor_b32_e32 v5, vcc_hi, v98
	v_and_b32_e32 v98, exec_hi, v5
	v_lshlrev_b32_e32 v5, 30, v96
	v_xor_b32_e32 v97, vcc_lo, v97
	v_cmp_gt_i64_e32 vcc, 0, v[4:5]
	v_not_b32_e32 v5, v5
	v_ashrrev_i32_e32 v5, 31, v5
	v_and_b32_e32 v97, exec_lo, v97
	v_xor_b32_e32 v99, vcc_hi, v5
	v_xor_b32_e32 v5, vcc_lo, v5
	v_and_b32_e32 v97, v97, v5
	v_lshlrev_b32_e32 v5, 29, v96
	v_cmp_gt_i64_e32 vcc, 0, v[4:5]
	v_not_b32_e32 v5, v5
	v_ashrrev_i32_e32 v5, 31, v5
	v_and_b32_e32 v98, v98, v99
	v_xor_b32_e32 v99, vcc_hi, v5
	v_xor_b32_e32 v5, vcc_lo, v5
	v_and_b32_e32 v97, v97, v5
	v_lshlrev_b32_e32 v5, 28, v96
	v_cmp_gt_i64_e32 vcc, 0, v[4:5]
	v_not_b32_e32 v5, v5
	v_ashrrev_i32_e32 v5, 31, v5
	v_and_b32_e32 v98, v98, v99
	;; [unrolled: 8-line block ×5, first 2 shown]
	v_xor_b32_e32 v99, vcc_hi, v5
	v_xor_b32_e32 v5, vcc_lo, v5
	v_and_b32_e32 v98, v98, v99
	v_and_b32_e32 v99, v97, v5
	v_lshlrev_b32_e32 v5, 24, v96
	v_cmp_gt_i64_e32 vcc, 0, v[4:5]
	v_not_b32_e32 v5, v5
	v_ashrrev_i32_e32 v5, 31, v5
	v_xor_b32_e32 v96, vcc_hi, v5
	v_xor_b32_e32 v5, vcc_lo, v5
	v_and_b32_e32 v97, v98, v96
	v_and_b32_e32 v96, v99, v5
	v_mbcnt_lo_u32_b32 v5, v96, 0
	v_mbcnt_hi_u32_b32 v212, v97, v5
	v_cmp_eq_u32_e32 vcc, 0, v212
	v_cmp_ne_u64_e64 s[36:37], 0, v[96:97]
	s_and_b64 s[38:39], s[36:37], vcc
	; wave barrier
	s_and_saveexec_b64 s[36:37], s[38:39]
	s_cbranch_execz .LBB1119_1038
; %bb.1037:                             ;   in Loop: Header=BB1119_982 Depth=2
	v_bcnt_u32_b32 v5, v96, 0
	v_bcnt_u32_b32 v5, v97, v5
	s_waitcnt lgkmcnt(0)
	v_add_u32_e32 v5, v210, v5
	ds_write_b32 v211, v5
.LBB1119_1038:                          ;   in Loop: Header=BB1119_982 Depth=2
	s_or_b64 exec, exec, s[36:37]
	s_waitcnt vmcnt(4)
	v_cmp_gt_i64_e32 vcc, 0, v[84:85]
	v_ashrrev_i32_e32 v96, 31, v85
	v_cndmask_b32_e64 v5, v133, 0, vcc
	v_not_b32_e32 v96, v96
	v_xor_b32_e32 v85, v5, v85
	v_xor_b32_e32 v84, v96, v84
	v_cmp_ne_u64_e32 vcc, s[90:91], v[84:85]
	v_cndmask_b32_e32 v97, v133, v85, vcc
	v_cndmask_b32_e32 v96, -1, v84, vcc
	v_lshrrev_b64 v[96:97], s84, v[96:97]
	v_and_b32_e32 v96, s85, v96
	v_mul_u32_u24_e32 v5, 5, v96
	v_add_lshl_u32 v5, v5, v177, 2
	; wave barrier
	v_add_u32_e32 v214, 0x410, v5
	ds_read_b32 v213, v5 offset:1040
	v_and_b32_e32 v5, 1, v96
	v_add_co_u32_e32 v97, vcc, -1, v5
	v_addc_co_u32_e64 v98, s[36:37], 0, -1, vcc
	v_cmp_ne_u32_e32 vcc, 0, v5
	v_xor_b32_e32 v5, vcc_hi, v98
	v_and_b32_e32 v98, exec_hi, v5
	v_lshlrev_b32_e32 v5, 30, v96
	v_xor_b32_e32 v97, vcc_lo, v97
	v_cmp_gt_i64_e32 vcc, 0, v[4:5]
	v_not_b32_e32 v5, v5
	v_ashrrev_i32_e32 v5, 31, v5
	v_and_b32_e32 v97, exec_lo, v97
	v_xor_b32_e32 v99, vcc_hi, v5
	v_xor_b32_e32 v5, vcc_lo, v5
	v_and_b32_e32 v97, v97, v5
	v_lshlrev_b32_e32 v5, 29, v96
	v_cmp_gt_i64_e32 vcc, 0, v[4:5]
	v_not_b32_e32 v5, v5
	v_ashrrev_i32_e32 v5, 31, v5
	v_and_b32_e32 v98, v98, v99
	v_xor_b32_e32 v99, vcc_hi, v5
	v_xor_b32_e32 v5, vcc_lo, v5
	v_and_b32_e32 v97, v97, v5
	v_lshlrev_b32_e32 v5, 28, v96
	v_cmp_gt_i64_e32 vcc, 0, v[4:5]
	v_not_b32_e32 v5, v5
	v_ashrrev_i32_e32 v5, 31, v5
	v_and_b32_e32 v98, v98, v99
	;; [unrolled: 8-line block ×5, first 2 shown]
	v_xor_b32_e32 v99, vcc_hi, v5
	v_xor_b32_e32 v5, vcc_lo, v5
	v_and_b32_e32 v98, v98, v99
	v_and_b32_e32 v99, v97, v5
	v_lshlrev_b32_e32 v5, 24, v96
	v_cmp_gt_i64_e32 vcc, 0, v[4:5]
	v_not_b32_e32 v5, v5
	v_ashrrev_i32_e32 v5, 31, v5
	v_xor_b32_e32 v96, vcc_hi, v5
	v_xor_b32_e32 v5, vcc_lo, v5
	v_and_b32_e32 v97, v98, v96
	v_and_b32_e32 v96, v99, v5
	v_mbcnt_lo_u32_b32 v5, v96, 0
	v_mbcnt_hi_u32_b32 v215, v97, v5
	v_cmp_eq_u32_e32 vcc, 0, v215
	v_cmp_ne_u64_e64 s[36:37], 0, v[96:97]
	s_and_b64 s[38:39], s[36:37], vcc
	; wave barrier
	s_and_saveexec_b64 s[36:37], s[38:39]
	s_cbranch_execz .LBB1119_1040
; %bb.1039:                             ;   in Loop: Header=BB1119_982 Depth=2
	v_bcnt_u32_b32 v5, v96, 0
	v_bcnt_u32_b32 v5, v97, v5
	s_waitcnt lgkmcnt(0)
	v_add_u32_e32 v5, v213, v5
	ds_write_b32 v214, v5
.LBB1119_1040:                          ;   in Loop: Header=BB1119_982 Depth=2
	s_or_b64 exec, exec, s[36:37]
	s_waitcnt vmcnt(3)
	v_cmp_gt_i64_e32 vcc, 0, v[80:81]
	v_ashrrev_i32_e32 v96, 31, v81
	v_cndmask_b32_e64 v5, v133, 0, vcc
	v_not_b32_e32 v96, v96
	v_xor_b32_e32 v81, v5, v81
	v_xor_b32_e32 v80, v96, v80
	v_cmp_ne_u64_e32 vcc, s[90:91], v[80:81]
	v_cndmask_b32_e32 v97, v133, v81, vcc
	v_cndmask_b32_e32 v96, -1, v80, vcc
	v_lshrrev_b64 v[96:97], s84, v[96:97]
	v_and_b32_e32 v96, s85, v96
	v_mul_u32_u24_e32 v5, 5, v96
	v_add_lshl_u32 v5, v5, v177, 2
	; wave barrier
	v_add_u32_e32 v217, 0x410, v5
	ds_read_b32 v216, v5 offset:1040
	v_and_b32_e32 v5, 1, v96
	v_add_co_u32_e32 v97, vcc, -1, v5
	v_addc_co_u32_e64 v98, s[36:37], 0, -1, vcc
	v_cmp_ne_u32_e32 vcc, 0, v5
	v_xor_b32_e32 v5, vcc_hi, v98
	v_and_b32_e32 v98, exec_hi, v5
	v_lshlrev_b32_e32 v5, 30, v96
	v_xor_b32_e32 v97, vcc_lo, v97
	v_cmp_gt_i64_e32 vcc, 0, v[4:5]
	v_not_b32_e32 v5, v5
	v_ashrrev_i32_e32 v5, 31, v5
	v_and_b32_e32 v97, exec_lo, v97
	v_xor_b32_e32 v99, vcc_hi, v5
	v_xor_b32_e32 v5, vcc_lo, v5
	v_and_b32_e32 v97, v97, v5
	v_lshlrev_b32_e32 v5, 29, v96
	v_cmp_gt_i64_e32 vcc, 0, v[4:5]
	v_not_b32_e32 v5, v5
	v_ashrrev_i32_e32 v5, 31, v5
	v_and_b32_e32 v98, v98, v99
	v_xor_b32_e32 v99, vcc_hi, v5
	v_xor_b32_e32 v5, vcc_lo, v5
	v_and_b32_e32 v97, v97, v5
	v_lshlrev_b32_e32 v5, 28, v96
	v_cmp_gt_i64_e32 vcc, 0, v[4:5]
	v_not_b32_e32 v5, v5
	v_ashrrev_i32_e32 v5, 31, v5
	v_and_b32_e32 v98, v98, v99
	;; [unrolled: 8-line block ×5, first 2 shown]
	v_xor_b32_e32 v99, vcc_hi, v5
	v_xor_b32_e32 v5, vcc_lo, v5
	v_and_b32_e32 v98, v98, v99
	v_and_b32_e32 v99, v97, v5
	v_lshlrev_b32_e32 v5, 24, v96
	v_cmp_gt_i64_e32 vcc, 0, v[4:5]
	v_not_b32_e32 v5, v5
	v_ashrrev_i32_e32 v5, 31, v5
	v_xor_b32_e32 v96, vcc_hi, v5
	v_xor_b32_e32 v5, vcc_lo, v5
	v_and_b32_e32 v97, v98, v96
	v_and_b32_e32 v96, v99, v5
	v_mbcnt_lo_u32_b32 v5, v96, 0
	v_mbcnt_hi_u32_b32 v218, v97, v5
	v_cmp_eq_u32_e32 vcc, 0, v218
	v_cmp_ne_u64_e64 s[36:37], 0, v[96:97]
	s_and_b64 s[38:39], s[36:37], vcc
	; wave barrier
	s_and_saveexec_b64 s[36:37], s[38:39]
	s_cbranch_execz .LBB1119_1042
; %bb.1041:                             ;   in Loop: Header=BB1119_982 Depth=2
	v_bcnt_u32_b32 v5, v96, 0
	v_bcnt_u32_b32 v5, v97, v5
	s_waitcnt lgkmcnt(0)
	v_add_u32_e32 v5, v216, v5
	ds_write_b32 v217, v5
.LBB1119_1042:                          ;   in Loop: Header=BB1119_982 Depth=2
	s_or_b64 exec, exec, s[36:37]
	s_waitcnt vmcnt(2)
	v_cmp_gt_i64_e32 vcc, 0, v[76:77]
	v_ashrrev_i32_e32 v96, 31, v77
	v_cndmask_b32_e64 v5, v133, 0, vcc
	v_not_b32_e32 v96, v96
	v_xor_b32_e32 v77, v5, v77
	v_xor_b32_e32 v76, v96, v76
	v_cmp_ne_u64_e32 vcc, s[90:91], v[76:77]
	v_cndmask_b32_e32 v97, v133, v77, vcc
	v_cndmask_b32_e32 v96, -1, v76, vcc
	v_lshrrev_b64 v[96:97], s84, v[96:97]
	v_and_b32_e32 v96, s85, v96
	v_mul_u32_u24_e32 v5, 5, v96
	v_add_lshl_u32 v5, v5, v177, 2
	; wave barrier
	v_add_u32_e32 v220, 0x410, v5
	ds_read_b32 v219, v5 offset:1040
	v_and_b32_e32 v5, 1, v96
	v_add_co_u32_e32 v97, vcc, -1, v5
	v_addc_co_u32_e64 v98, s[36:37], 0, -1, vcc
	v_cmp_ne_u32_e32 vcc, 0, v5
	v_xor_b32_e32 v5, vcc_hi, v98
	v_and_b32_e32 v98, exec_hi, v5
	v_lshlrev_b32_e32 v5, 30, v96
	v_xor_b32_e32 v97, vcc_lo, v97
	v_cmp_gt_i64_e32 vcc, 0, v[4:5]
	v_not_b32_e32 v5, v5
	v_ashrrev_i32_e32 v5, 31, v5
	v_and_b32_e32 v97, exec_lo, v97
	v_xor_b32_e32 v99, vcc_hi, v5
	v_xor_b32_e32 v5, vcc_lo, v5
	v_and_b32_e32 v97, v97, v5
	v_lshlrev_b32_e32 v5, 29, v96
	v_cmp_gt_i64_e32 vcc, 0, v[4:5]
	v_not_b32_e32 v5, v5
	v_ashrrev_i32_e32 v5, 31, v5
	v_and_b32_e32 v98, v98, v99
	v_xor_b32_e32 v99, vcc_hi, v5
	v_xor_b32_e32 v5, vcc_lo, v5
	v_and_b32_e32 v97, v97, v5
	v_lshlrev_b32_e32 v5, 28, v96
	v_cmp_gt_i64_e32 vcc, 0, v[4:5]
	v_not_b32_e32 v5, v5
	v_ashrrev_i32_e32 v5, 31, v5
	v_and_b32_e32 v98, v98, v99
	;; [unrolled: 8-line block ×5, first 2 shown]
	v_xor_b32_e32 v99, vcc_hi, v5
	v_xor_b32_e32 v5, vcc_lo, v5
	v_and_b32_e32 v98, v98, v99
	v_and_b32_e32 v99, v97, v5
	v_lshlrev_b32_e32 v5, 24, v96
	v_cmp_gt_i64_e32 vcc, 0, v[4:5]
	v_not_b32_e32 v5, v5
	v_ashrrev_i32_e32 v5, 31, v5
	v_xor_b32_e32 v96, vcc_hi, v5
	v_xor_b32_e32 v5, vcc_lo, v5
	v_and_b32_e32 v97, v98, v96
	v_and_b32_e32 v96, v99, v5
	v_mbcnt_lo_u32_b32 v5, v96, 0
	v_mbcnt_hi_u32_b32 v221, v97, v5
	v_cmp_eq_u32_e32 vcc, 0, v221
	v_cmp_ne_u64_e64 s[36:37], 0, v[96:97]
	s_and_b64 s[38:39], s[36:37], vcc
	; wave barrier
	s_and_saveexec_b64 s[36:37], s[38:39]
	s_cbranch_execz .LBB1119_1044
; %bb.1043:                             ;   in Loop: Header=BB1119_982 Depth=2
	v_bcnt_u32_b32 v5, v96, 0
	v_bcnt_u32_b32 v5, v97, v5
	s_waitcnt lgkmcnt(0)
	v_add_u32_e32 v5, v219, v5
	ds_write_b32 v220, v5
.LBB1119_1044:                          ;   in Loop: Header=BB1119_982 Depth=2
	s_or_b64 exec, exec, s[36:37]
	s_waitcnt vmcnt(1)
	v_cmp_gt_i64_e32 vcc, 0, v[72:73]
	v_ashrrev_i32_e32 v96, 31, v73
	v_cndmask_b32_e64 v5, v133, 0, vcc
	v_not_b32_e32 v96, v96
	v_xor_b32_e32 v73, v5, v73
	v_xor_b32_e32 v72, v96, v72
	v_cmp_ne_u64_e32 vcc, s[90:91], v[72:73]
	v_cndmask_b32_e32 v97, v133, v73, vcc
	v_cndmask_b32_e32 v96, -1, v72, vcc
	v_lshrrev_b64 v[96:97], s84, v[96:97]
	v_and_b32_e32 v96, s85, v96
	v_mul_u32_u24_e32 v5, 5, v96
	v_add_lshl_u32 v5, v5, v177, 2
	; wave barrier
	v_add_u32_e32 v223, 0x410, v5
	ds_read_b32 v222, v5 offset:1040
	v_and_b32_e32 v5, 1, v96
	v_add_co_u32_e32 v97, vcc, -1, v5
	v_addc_co_u32_e64 v98, s[36:37], 0, -1, vcc
	v_cmp_ne_u32_e32 vcc, 0, v5
	v_xor_b32_e32 v5, vcc_hi, v98
	v_and_b32_e32 v98, exec_hi, v5
	v_lshlrev_b32_e32 v5, 30, v96
	v_xor_b32_e32 v97, vcc_lo, v97
	v_cmp_gt_i64_e32 vcc, 0, v[4:5]
	v_not_b32_e32 v5, v5
	v_ashrrev_i32_e32 v5, 31, v5
	v_and_b32_e32 v97, exec_lo, v97
	v_xor_b32_e32 v99, vcc_hi, v5
	v_xor_b32_e32 v5, vcc_lo, v5
	v_and_b32_e32 v97, v97, v5
	v_lshlrev_b32_e32 v5, 29, v96
	v_cmp_gt_i64_e32 vcc, 0, v[4:5]
	v_not_b32_e32 v5, v5
	v_ashrrev_i32_e32 v5, 31, v5
	v_and_b32_e32 v98, v98, v99
	v_xor_b32_e32 v99, vcc_hi, v5
	v_xor_b32_e32 v5, vcc_lo, v5
	v_and_b32_e32 v97, v97, v5
	v_lshlrev_b32_e32 v5, 28, v96
	v_cmp_gt_i64_e32 vcc, 0, v[4:5]
	v_not_b32_e32 v5, v5
	v_ashrrev_i32_e32 v5, 31, v5
	v_and_b32_e32 v98, v98, v99
	;; [unrolled: 8-line block ×5, first 2 shown]
	v_xor_b32_e32 v99, vcc_hi, v5
	v_xor_b32_e32 v5, vcc_lo, v5
	v_and_b32_e32 v98, v98, v99
	v_and_b32_e32 v99, v97, v5
	v_lshlrev_b32_e32 v5, 24, v96
	v_cmp_gt_i64_e32 vcc, 0, v[4:5]
	v_not_b32_e32 v5, v5
	v_ashrrev_i32_e32 v5, 31, v5
	v_xor_b32_e32 v96, vcc_hi, v5
	v_xor_b32_e32 v5, vcc_lo, v5
	v_and_b32_e32 v97, v98, v96
	v_and_b32_e32 v96, v99, v5
	v_mbcnt_lo_u32_b32 v5, v96, 0
	v_mbcnt_hi_u32_b32 v224, v97, v5
	v_cmp_eq_u32_e32 vcc, 0, v224
	v_cmp_ne_u64_e64 s[36:37], 0, v[96:97]
	s_and_b64 s[38:39], s[36:37], vcc
	; wave barrier
	s_and_saveexec_b64 s[36:37], s[38:39]
	s_cbranch_execz .LBB1119_1046
; %bb.1045:                             ;   in Loop: Header=BB1119_982 Depth=2
	v_bcnt_u32_b32 v5, v96, 0
	v_bcnt_u32_b32 v5, v97, v5
	s_waitcnt lgkmcnt(0)
	v_add_u32_e32 v5, v222, v5
	ds_write_b32 v223, v5
.LBB1119_1046:                          ;   in Loop: Header=BB1119_982 Depth=2
	s_or_b64 exec, exec, s[36:37]
	s_waitcnt vmcnt(0)
	v_cmp_gt_i64_e32 vcc, 0, v[68:69]
	v_ashrrev_i32_e32 v96, 31, v69
	v_cndmask_b32_e64 v5, v133, 0, vcc
	v_not_b32_e32 v96, v96
	v_xor_b32_e32 v69, v5, v69
	v_xor_b32_e32 v68, v96, v68
	v_cmp_ne_u64_e32 vcc, s[90:91], v[68:69]
	v_cndmask_b32_e32 v97, v133, v69, vcc
	v_cndmask_b32_e32 v96, -1, v68, vcc
	v_lshrrev_b64 v[96:97], s84, v[96:97]
	v_and_b32_e32 v96, s85, v96
	v_mul_u32_u24_e32 v5, 5, v96
	v_add_lshl_u32 v5, v5, v177, 2
	; wave barrier
	v_add_u32_e32 v226, 0x410, v5
	ds_read_b32 v225, v5 offset:1040
	v_and_b32_e32 v5, 1, v96
	v_add_co_u32_e32 v97, vcc, -1, v5
	v_addc_co_u32_e64 v98, s[36:37], 0, -1, vcc
	v_cmp_ne_u32_e32 vcc, 0, v5
	v_xor_b32_e32 v5, vcc_hi, v98
	v_and_b32_e32 v98, exec_hi, v5
	v_lshlrev_b32_e32 v5, 30, v96
	v_xor_b32_e32 v97, vcc_lo, v97
	v_cmp_gt_i64_e32 vcc, 0, v[4:5]
	v_not_b32_e32 v5, v5
	v_ashrrev_i32_e32 v5, 31, v5
	v_and_b32_e32 v97, exec_lo, v97
	v_xor_b32_e32 v99, vcc_hi, v5
	v_xor_b32_e32 v5, vcc_lo, v5
	v_and_b32_e32 v97, v97, v5
	v_lshlrev_b32_e32 v5, 29, v96
	v_cmp_gt_i64_e32 vcc, 0, v[4:5]
	v_not_b32_e32 v5, v5
	v_ashrrev_i32_e32 v5, 31, v5
	v_and_b32_e32 v98, v98, v99
	v_xor_b32_e32 v99, vcc_hi, v5
	v_xor_b32_e32 v5, vcc_lo, v5
	v_and_b32_e32 v97, v97, v5
	v_lshlrev_b32_e32 v5, 28, v96
	v_cmp_gt_i64_e32 vcc, 0, v[4:5]
	v_not_b32_e32 v5, v5
	v_ashrrev_i32_e32 v5, 31, v5
	v_and_b32_e32 v98, v98, v99
	v_xor_b32_e32 v99, vcc_hi, v5
	v_xor_b32_e32 v5, vcc_lo, v5
	v_and_b32_e32 v97, v97, v5
	v_lshlrev_b32_e32 v5, 27, v96
	v_cmp_gt_i64_e32 vcc, 0, v[4:5]
	v_not_b32_e32 v5, v5
	v_ashrrev_i32_e32 v5, 31, v5
	v_and_b32_e32 v98, v98, v99
	v_xor_b32_e32 v99, vcc_hi, v5
	v_xor_b32_e32 v5, vcc_lo, v5
	v_and_b32_e32 v97, v97, v5
	v_lshlrev_b32_e32 v5, 26, v96
	v_cmp_gt_i64_e32 vcc, 0, v[4:5]
	v_not_b32_e32 v5, v5
	v_ashrrev_i32_e32 v5, 31, v5
	v_and_b32_e32 v98, v98, v99
	v_xor_b32_e32 v99, vcc_hi, v5
	v_xor_b32_e32 v5, vcc_lo, v5
	v_and_b32_e32 v97, v97, v5
	v_lshlrev_b32_e32 v5, 25, v96
	v_cmp_gt_i64_e32 vcc, 0, v[4:5]
	v_not_b32_e32 v5, v5
	v_ashrrev_i32_e32 v5, 31, v5
	v_and_b32_e32 v98, v98, v99
	v_xor_b32_e32 v99, vcc_hi, v5
	v_xor_b32_e32 v5, vcc_lo, v5
	v_and_b32_e32 v98, v98, v99
	v_and_b32_e32 v99, v97, v5
	v_lshlrev_b32_e32 v5, 24, v96
	v_cmp_gt_i64_e32 vcc, 0, v[4:5]
	v_not_b32_e32 v5, v5
	v_ashrrev_i32_e32 v5, 31, v5
	v_xor_b32_e32 v96, vcc_hi, v5
	v_xor_b32_e32 v5, vcc_lo, v5
	v_and_b32_e32 v97, v98, v96
	v_and_b32_e32 v96, v99, v5
	v_mbcnt_lo_u32_b32 v5, v96, 0
	v_mbcnt_hi_u32_b32 v227, v97, v5
	v_cmp_eq_u32_e32 vcc, 0, v227
	v_cmp_ne_u64_e64 s[36:37], 0, v[96:97]
	s_and_b64 s[38:39], s[36:37], vcc
	; wave barrier
	s_and_saveexec_b64 s[36:37], s[38:39]
	s_cbranch_execz .LBB1119_1048
; %bb.1047:                             ;   in Loop: Header=BB1119_982 Depth=2
	v_bcnt_u32_b32 v5, v96, 0
	v_bcnt_u32_b32 v5, v97, v5
	s_waitcnt lgkmcnt(0)
	v_add_u32_e32 v5, v225, v5
	ds_write_b32 v226, v5
.LBB1119_1048:                          ;   in Loop: Header=BB1119_982 Depth=2
	s_or_b64 exec, exec, s[36:37]
	v_cmp_gt_i64_e32 vcc, 0, v[70:71]
	v_ashrrev_i32_e32 v96, 31, v71
	v_cndmask_b32_e64 v5, v133, 0, vcc
	v_not_b32_e32 v96, v96
	v_xor_b32_e32 v71, v5, v71
	v_xor_b32_e32 v70, v96, v70
	v_cmp_ne_u64_e32 vcc, s[90:91], v[70:71]
	v_cndmask_b32_e32 v97, v133, v71, vcc
	v_cndmask_b32_e32 v96, -1, v70, vcc
	v_lshrrev_b64 v[96:97], s84, v[96:97]
	v_and_b32_e32 v96, s85, v96
	v_mul_u32_u24_e32 v5, 5, v96
	v_add_lshl_u32 v5, v5, v177, 2
	; wave barrier
	v_add_u32_e32 v229, 0x410, v5
	ds_read_b32 v228, v5 offset:1040
	v_and_b32_e32 v5, 1, v96
	v_add_co_u32_e32 v97, vcc, -1, v5
	v_addc_co_u32_e64 v98, s[36:37], 0, -1, vcc
	v_cmp_ne_u32_e32 vcc, 0, v5
	v_xor_b32_e32 v5, vcc_hi, v98
	v_and_b32_e32 v98, exec_hi, v5
	v_lshlrev_b32_e32 v5, 30, v96
	v_xor_b32_e32 v97, vcc_lo, v97
	v_cmp_gt_i64_e32 vcc, 0, v[4:5]
	v_not_b32_e32 v5, v5
	v_ashrrev_i32_e32 v5, 31, v5
	v_and_b32_e32 v97, exec_lo, v97
	v_xor_b32_e32 v99, vcc_hi, v5
	v_xor_b32_e32 v5, vcc_lo, v5
	v_and_b32_e32 v97, v97, v5
	v_lshlrev_b32_e32 v5, 29, v96
	v_cmp_gt_i64_e32 vcc, 0, v[4:5]
	v_not_b32_e32 v5, v5
	v_ashrrev_i32_e32 v5, 31, v5
	v_and_b32_e32 v98, v98, v99
	v_xor_b32_e32 v99, vcc_hi, v5
	v_xor_b32_e32 v5, vcc_lo, v5
	v_and_b32_e32 v97, v97, v5
	v_lshlrev_b32_e32 v5, 28, v96
	v_cmp_gt_i64_e32 vcc, 0, v[4:5]
	v_not_b32_e32 v5, v5
	v_ashrrev_i32_e32 v5, 31, v5
	v_and_b32_e32 v98, v98, v99
	;; [unrolled: 8-line block ×5, first 2 shown]
	v_xor_b32_e32 v99, vcc_hi, v5
	v_xor_b32_e32 v5, vcc_lo, v5
	v_and_b32_e32 v98, v98, v99
	v_and_b32_e32 v99, v97, v5
	v_lshlrev_b32_e32 v5, 24, v96
	v_cmp_gt_i64_e32 vcc, 0, v[4:5]
	v_not_b32_e32 v5, v5
	v_ashrrev_i32_e32 v5, 31, v5
	v_xor_b32_e32 v96, vcc_hi, v5
	v_xor_b32_e32 v5, vcc_lo, v5
	v_and_b32_e32 v97, v98, v96
	v_and_b32_e32 v96, v99, v5
	v_mbcnt_lo_u32_b32 v5, v96, 0
	v_mbcnt_hi_u32_b32 v230, v97, v5
	v_cmp_eq_u32_e32 vcc, 0, v230
	v_cmp_ne_u64_e64 s[36:37], 0, v[96:97]
	s_and_b64 s[38:39], s[36:37], vcc
	; wave barrier
	s_and_saveexec_b64 s[36:37], s[38:39]
	s_cbranch_execz .LBB1119_1050
; %bb.1049:                             ;   in Loop: Header=BB1119_982 Depth=2
	v_bcnt_u32_b32 v5, v96, 0
	v_bcnt_u32_b32 v5, v97, v5
	s_waitcnt lgkmcnt(0)
	v_add_u32_e32 v5, v228, v5
	ds_write_b32 v229, v5
.LBB1119_1050:                          ;   in Loop: Header=BB1119_982 Depth=2
	s_or_b64 exec, exec, s[36:37]
	; wave barrier
	s_waitcnt lgkmcnt(0)
	s_barrier
	ds_read_b32 v5, v27 offset:1040
	ds_read2_b32 v[98:99], v31 offset0:1 offset1:2
	ds_read2_b32 v[96:97], v31 offset0:3 offset1:4
	s_waitcnt lgkmcnt(1)
	v_add3_u32 v231, v98, v5, v99
	s_waitcnt lgkmcnt(0)
	v_add3_u32 v97, v231, v96, v97
	s_nop 1
	v_mov_b32_dpp v231, v97 row_shr:1 row_mask:0xf bank_mask:0xf
	v_cndmask_b32_e64 v231, v231, 0, s[16:17]
	v_add_u32_e32 v97, v231, v97
	s_nop 1
	v_mov_b32_dpp v231, v97 row_shr:2 row_mask:0xf bank_mask:0xf
	v_cndmask_b32_e64 v231, 0, v231, s[18:19]
	v_add_u32_e32 v97, v97, v231
	;; [unrolled: 4-line block ×4, first 2 shown]
	s_nop 1
	v_mov_b32_dpp v231, v97 row_bcast:15 row_mask:0xf bank_mask:0xf
	v_cndmask_b32_e64 v231, v231, 0, s[24:25]
	v_add_u32_e32 v97, v97, v231
	s_nop 1
	v_mov_b32_dpp v231, v97 row_bcast:31 row_mask:0xf bank_mask:0xf
	v_cndmask_b32_e64 v231, 0, v231, s[26:27]
	v_add_u32_e32 v97, v97, v231
	s_and_saveexec_b64 s[36:37], s[6:7]
	s_cbranch_execz .LBB1119_1052
; %bb.1051:                             ;   in Loop: Header=BB1119_982 Depth=2
	ds_write_b32 v15, v97 offset:1024
.LBB1119_1052:                          ;   in Loop: Header=BB1119_982 Depth=2
	s_or_b64 exec, exec, s[36:37]
	s_waitcnt lgkmcnt(0)
	s_barrier
	s_and_saveexec_b64 s[36:37], s[8:9]
	s_cbranch_execz .LBB1119_1054
; %bb.1053:                             ;   in Loop: Header=BB1119_982 Depth=2
	ds_read_b32 v231, v33 offset:1024
	s_waitcnt lgkmcnt(0)
	s_nop 0
	v_mov_b32_dpp v232, v231 row_shr:1 row_mask:0xf bank_mask:0xf
	v_cndmask_b32_e64 v232, v232, 0, s[30:31]
	v_add_u32_e32 v231, v232, v231
	s_nop 1
	v_mov_b32_dpp v232, v231 row_shr:2 row_mask:0xf bank_mask:0xf
	v_cndmask_b32_e64 v232, 0, v232, s[34:35]
	v_add_u32_e32 v231, v231, v232
	ds_write_b32 v33, v231 offset:1024
.LBB1119_1054:                          ;   in Loop: Header=BB1119_982 Depth=2
	s_or_b64 exec, exec, s[36:37]
	v_mov_b32_e32 v231, 0
	s_waitcnt lgkmcnt(0)
	s_barrier
	s_and_saveexec_b64 s[36:37], s[10:11]
	s_cbranch_execz .LBB1119_1056
; %bb.1055:                             ;   in Loop: Header=BB1119_982 Depth=2
	ds_read_b32 v231, v15 offset:1020
.LBB1119_1056:                          ;   in Loop: Header=BB1119_982 Depth=2
	s_or_b64 exec, exec, s[36:37]
	s_waitcnt lgkmcnt(0)
	v_add_u32_e32 v97, v231, v97
	ds_bpermute_b32 v97, v159, v97
	s_waitcnt lgkmcnt(0)
	v_cndmask_b32_e64 v97, v97, v231, s[28:29]
	v_cndmask_b32_e64 v97, v97, 0, s[12:13]
	v_add_u32_e32 v5, v97, v5
	ds_write_b32 v27, v97 offset:1040
	v_add_u32_e32 v97, v5, v98
	v_add_u32_e32 v98, v97, v99
	ds_write2_b32 v31, v5, v97 offset0:1 offset1:2
	v_add_u32_e32 v5, v98, v96
	ds_write2_b32 v31, v98, v5 offset0:3 offset1:4
	s_waitcnt lgkmcnt(0)
	s_barrier
	ds_read_b32 v97, v187
	ds_read_b32 v235, v190
	;; [unrolled: 1-line block ×16, first 2 shown]
	ds_read_b32 v184, v27 offset:1040
	v_mov_b32_e32 v5, 0x1000
	s_and_saveexec_b64 s[36:37], s[14:15]
	s_cbranch_execz .LBB1119_1058
; %bb.1057:                             ;   in Loop: Header=BB1119_982 Depth=2
	ds_read_b32 v5, v27 offset:1060
.LBB1119_1058:                          ;   in Loop: Header=BB1119_982 Depth=2
	s_or_b64 exec, exec, s[36:37]
	s_waitcnt lgkmcnt(0)
	s_barrier
	s_and_saveexec_b64 s[36:37], s[4:5]
	s_cbranch_execz .LBB1119_1060
; %bb.1059:                             ;   in Loop: Header=BB1119_982 Depth=2
	ds_read_b32 v208, v3
	s_waitcnt lgkmcnt(0)
	v_sub_u32_e32 v184, v208, v184
	ds_write_b32 v3, v184
.LBB1119_1060:                          ;   in Loop: Header=BB1119_982 Depth=2
	s_or_b64 exec, exec, s[36:37]
	v_add_u32_e32 v186, v188, v186
	v_add_u32_e32 v189, v191, v189
	v_add_lshl_u32 v96, v96, v185, 3
	v_add_lshl_u32 v97, v186, v97, 3
	v_add_u32_e32 v192, v194, v192
	ds_write_b64 v96, v[64:65] offset:1024
	ds_write_b64 v97, v[66:67] offset:1024
	v_add_lshl_u32 v67, v189, v235, 3
	v_add_u32_e32 v198, v200, v198
	v_add_u32_e32 v195, v197, v195
	ds_write_b64 v67, v[74:75] offset:1024
	v_add_lshl_u32 v74, v192, v234, 3
	v_add_u32_e32 v213, v215, v213
	v_add_u32_e32 v210, v212, v210
	;; [unrolled: 1-line block ×5, first 2 shown]
	ds_write_b64 v74, v[78:79] offset:1024
	v_add_lshl_u32 v75, v195, v233, 3
	v_add_lshl_u32 v78, v198, v232, 3
	v_add_u32_e32 v216, v218, v216
	ds_write_b64 v75, v[82:83] offset:1024
	ds_write_b64 v78, v[86:87] offset:1024
	v_add_lshl_u32 v79, v201, v231, 3
	v_add_lshl_u32 v82, v204, v205, 3
	;; [unrolled: 1-line block ×5, first 2 shown]
	v_add_u32_e32 v214, v221, v219
	ds_write_b64 v79, v[90:91] offset:1024
	ds_write_b64 v82, v[94:95] offset:1024
	;; [unrolled: 1-line block ×5, first 2 shown]
	v_add_lshl_u32 v84, v216, v193, 3
	v_add_u32_e32 v211, v224, v222
	ds_write_b64 v84, v[80:81] offset:1024
	v_add_lshl_u32 v80, v214, v190, 3
	v_add_u32_e32 v208, v227, v225
	ds_write_b64 v80, v[76:77] offset:1024
	;; [unrolled: 3-line block ×3, first 2 shown]
	v_add_lshl_u32 v72, v208, v99, 3
	ds_write_b64 v72, v[68:69] offset:1024
	v_add_lshl_u32 v68, v184, v98, 3
	v_cmp_lt_u32_e64 s[36:37], v2, v183
	v_add_u32_e32 v66, v33, v3
	ds_write_b64 v68, v[70:71] offset:1024
	s_waitcnt lgkmcnt(0)
	s_barrier
	s_and_saveexec_b64 s[40:41], s[36:37]
	s_cbranch_execz .LBB1119_1076
; %bb.1061:                             ;   in Loop: Header=BB1119_982 Depth=2
	ds_read_b64 v[64:65], v66 offset:1024
	v_mov_b32_e32 v71, v4
	s_waitcnt lgkmcnt(0)
	v_cmp_ne_u64_e32 vcc, s[90:91], v[64:65]
	v_cndmask_b32_e32 v89, v133, v65, vcc
	v_cndmask_b32_e32 v88, -1, v64, vcc
	v_lshrrev_b64 v[88:89], s84, v[88:89]
	v_and_b32_e32 v70, s85, v88
	v_lshlrev_b32_e32 v70, 2, v70
	ds_read_b32 v70, v70
	v_cmp_gt_i64_e64 s[38:39], 0, v[64:65]
	v_cndmask_b32_e64 v69, v133, 0, s[38:39]
	v_ashrrev_i32_e32 v73, 31, v65
	v_not_b32_e32 v73, v73
	s_waitcnt lgkmcnt(0)
	v_add_u32_e32 v70, v70, v2
	v_lshlrev_b64 v[70:71], 3, v[70:71]
	v_xor_b32_e32 v65, v69, v65
	v_mov_b32_e32 v69, s77
	v_add_co_u32_e32 v70, vcc, s76, v70
	v_xor_b32_e32 v64, v73, v64
	v_addc_co_u32_e32 v71, vcc, v69, v71, vcc
	global_store_dwordx2 v[70:71], v[64:65], off
	s_or_b64 exec, exec, s[40:41]
	v_cmp_lt_u32_e64 s[38:39], v7, v183
	s_and_saveexec_b64 s[42:43], s[38:39]
	s_cbranch_execnz .LBB1119_1077
.LBB1119_1062:                          ;   in Loop: Header=BB1119_982 Depth=2
	s_or_b64 exec, exec, s[42:43]
	v_cmp_lt_u32_e64 s[40:41], v6, v183
	s_and_saveexec_b64 s[44:45], s[40:41]
	s_cbranch_execz .LBB1119_1078
.LBB1119_1063:                          ;   in Loop: Header=BB1119_982 Depth=2
	ds_read_b64 v[64:65], v104 offset:4096
	v_mov_b32_e32 v71, v4
	s_waitcnt lgkmcnt(0)
	v_cmp_ne_u64_e32 vcc, s[90:91], v[64:65]
	v_cndmask_b32_e32 v89, v133, v65, vcc
	v_cndmask_b32_e32 v88, -1, v64, vcc
	v_lshrrev_b64 v[88:89], s84, v[88:89]
	v_and_b32_e32 v70, s85, v88
	v_lshlrev_b32_e32 v70, 2, v70
	ds_read_b32 v70, v70
	v_cmp_gt_i64_e64 s[42:43], 0, v[64:65]
	v_cndmask_b32_e64 v69, v133, 0, s[42:43]
	v_ashrrev_i32_e32 v73, 31, v65
	v_not_b32_e32 v73, v73
	s_waitcnt lgkmcnt(0)
	v_add_u32_e32 v70, v70, v6
	v_lshlrev_b64 v[70:71], 3, v[70:71]
	v_xor_b32_e32 v65, v69, v65
	v_mov_b32_e32 v69, s77
	v_add_co_u32_e32 v70, vcc, s76, v70
	v_xor_b32_e32 v64, v73, v64
	v_addc_co_u32_e32 v71, vcc, v69, v71, vcc
	global_store_dwordx2 v[70:71], v[64:65], off
	s_or_b64 exec, exec, s[44:45]
	v_cmp_lt_u32_e64 s[42:43], v8, v183
	s_and_saveexec_b64 s[46:47], s[42:43]
	s_cbranch_execnz .LBB1119_1079
.LBB1119_1064:                          ;   in Loop: Header=BB1119_982 Depth=2
	s_or_b64 exec, exec, s[46:47]
	v_cmp_lt_u32_e64 s[44:45], v10, v183
	s_and_saveexec_b64 s[48:49], s[44:45]
	s_cbranch_execz .LBB1119_1080
.LBB1119_1065:                          ;   in Loop: Header=BB1119_982 Depth=2
	ds_read_b64 v[64:65], v104 offset:8192
	v_mov_b32_e32 v71, v4
	s_waitcnt lgkmcnt(0)
	v_cmp_ne_u64_e32 vcc, s[90:91], v[64:65]
	v_cndmask_b32_e32 v89, v133, v65, vcc
	v_cndmask_b32_e32 v88, -1, v64, vcc
	v_lshrrev_b64 v[88:89], s84, v[88:89]
	v_and_b32_e32 v70, s85, v88
	v_lshlrev_b32_e32 v70, 2, v70
	ds_read_b32 v70, v70
	v_cmp_gt_i64_e64 s[46:47], 0, v[64:65]
	v_cndmask_b32_e64 v69, v133, 0, s[46:47]
	v_ashrrev_i32_e32 v73, 31, v65
	v_not_b32_e32 v73, v73
	s_waitcnt lgkmcnt(0)
	v_add_u32_e32 v70, v70, v10
	v_lshlrev_b64 v[70:71], 3, v[70:71]
	v_xor_b32_e32 v65, v69, v65
	v_mov_b32_e32 v69, s77
	v_add_co_u32_e32 v70, vcc, s76, v70
	v_xor_b32_e32 v64, v73, v64
	v_addc_co_u32_e32 v71, vcc, v69, v71, vcc
	global_store_dwordx2 v[70:71], v[64:65], off
	s_or_b64 exec, exec, s[48:49]
	v_cmp_lt_u32_e64 s[46:47], v12, v183
	s_and_saveexec_b64 s[50:51], s[46:47]
	s_cbranch_execnz .LBB1119_1081
.LBB1119_1066:                          ;   in Loop: Header=BB1119_982 Depth=2
	s_or_b64 exec, exec, s[50:51]
	v_cmp_lt_u32_e64 s[48:49], v14, v183
	s_and_saveexec_b64 s[52:53], s[48:49]
	s_cbranch_execz .LBB1119_1082
.LBB1119_1067:                          ;   in Loop: Header=BB1119_982 Depth=2
	ds_read_b64 v[64:65], v104 offset:12288
	v_mov_b32_e32 v71, v4
	s_waitcnt lgkmcnt(0)
	v_cmp_ne_u64_e32 vcc, s[90:91], v[64:65]
	v_cndmask_b32_e32 v89, v133, v65, vcc
	v_cndmask_b32_e32 v88, -1, v64, vcc
	v_lshrrev_b64 v[88:89], s84, v[88:89]
	v_and_b32_e32 v70, s85, v88
	v_lshlrev_b32_e32 v70, 2, v70
	ds_read_b32 v70, v70
	v_cmp_gt_i64_e64 s[50:51], 0, v[64:65]
	v_cndmask_b32_e64 v69, v133, 0, s[50:51]
	v_ashrrev_i32_e32 v73, 31, v65
	v_not_b32_e32 v73, v73
	s_waitcnt lgkmcnt(0)
	v_add_u32_e32 v70, v70, v14
	v_lshlrev_b64 v[70:71], 3, v[70:71]
	v_xor_b32_e32 v65, v69, v65
	v_mov_b32_e32 v69, s77
	v_add_co_u32_e32 v70, vcc, s76, v70
	v_xor_b32_e32 v64, v73, v64
	v_addc_co_u32_e32 v71, vcc, v69, v71, vcc
	global_store_dwordx2 v[70:71], v[64:65], off
	s_or_b64 exec, exec, s[52:53]
	v_cmp_lt_u32_e64 s[50:51], v16, v183
	s_and_saveexec_b64 s[54:55], s[50:51]
	s_cbranch_execnz .LBB1119_1083
.LBB1119_1068:                          ;   in Loop: Header=BB1119_982 Depth=2
	s_or_b64 exec, exec, s[54:55]
	v_cmp_lt_u32_e64 s[52:53], v18, v183
	s_and_saveexec_b64 s[56:57], s[52:53]
	s_cbranch_execz .LBB1119_1084
.LBB1119_1069:                          ;   in Loop: Header=BB1119_982 Depth=2
	ds_read_b64 v[64:65], v104 offset:16384
	v_mov_b32_e32 v71, v4
	s_waitcnt lgkmcnt(0)
	v_cmp_ne_u64_e32 vcc, s[90:91], v[64:65]
	v_cndmask_b32_e32 v89, v133, v65, vcc
	v_cndmask_b32_e32 v88, -1, v64, vcc
	v_lshrrev_b64 v[88:89], s84, v[88:89]
	v_and_b32_e32 v70, s85, v88
	v_lshlrev_b32_e32 v70, 2, v70
	ds_read_b32 v70, v70
	v_cmp_gt_i64_e64 s[54:55], 0, v[64:65]
	v_cndmask_b32_e64 v69, v133, 0, s[54:55]
	v_ashrrev_i32_e32 v73, 31, v65
	v_not_b32_e32 v73, v73
	s_waitcnt lgkmcnt(0)
	v_add_u32_e32 v70, v70, v18
	v_lshlrev_b64 v[70:71], 3, v[70:71]
	v_xor_b32_e32 v65, v69, v65
	v_mov_b32_e32 v69, s77
	v_add_co_u32_e32 v70, vcc, s76, v70
	v_xor_b32_e32 v64, v73, v64
	v_addc_co_u32_e32 v71, vcc, v69, v71, vcc
	global_store_dwordx2 v[70:71], v[64:65], off
	s_or_b64 exec, exec, s[56:57]
	v_cmp_lt_u32_e64 s[54:55], v20, v183
	s_and_saveexec_b64 s[58:59], s[54:55]
	s_cbranch_execnz .LBB1119_1085
.LBB1119_1070:                          ;   in Loop: Header=BB1119_982 Depth=2
	s_or_b64 exec, exec, s[58:59]
	v_cmp_lt_u32_e64 s[56:57], v22, v183
	s_and_saveexec_b64 s[60:61], s[56:57]
	s_cbranch_execz .LBB1119_1086
.LBB1119_1071:                          ;   in Loop: Header=BB1119_982 Depth=2
	ds_read_b64 v[64:65], v104 offset:20480
	v_mov_b32_e32 v71, v4
	s_waitcnt lgkmcnt(0)
	v_cmp_ne_u64_e32 vcc, s[90:91], v[64:65]
	v_cndmask_b32_e32 v89, v133, v65, vcc
	v_cndmask_b32_e32 v88, -1, v64, vcc
	v_lshrrev_b64 v[88:89], s84, v[88:89]
	v_and_b32_e32 v70, s85, v88
	v_lshlrev_b32_e32 v70, 2, v70
	ds_read_b32 v70, v70
	v_cmp_gt_i64_e64 s[58:59], 0, v[64:65]
	v_cndmask_b32_e64 v69, v133, 0, s[58:59]
	v_ashrrev_i32_e32 v73, 31, v65
	v_not_b32_e32 v73, v73
	s_waitcnt lgkmcnt(0)
	v_add_u32_e32 v70, v70, v22
	v_lshlrev_b64 v[70:71], 3, v[70:71]
	v_xor_b32_e32 v65, v69, v65
	v_mov_b32_e32 v69, s77
	v_add_co_u32_e32 v70, vcc, s76, v70
	v_xor_b32_e32 v64, v73, v64
	v_addc_co_u32_e32 v71, vcc, v69, v71, vcc
	global_store_dwordx2 v[70:71], v[64:65], off
	s_or_b64 exec, exec, s[60:61]
	v_cmp_lt_u32_e64 s[58:59], v24, v183
	s_and_saveexec_b64 s[62:63], s[58:59]
	s_cbranch_execnz .LBB1119_1087
.LBB1119_1072:                          ;   in Loop: Header=BB1119_982 Depth=2
	s_or_b64 exec, exec, s[62:63]
	v_cmp_lt_u32_e64 s[60:61], v26, v183
	s_and_saveexec_b64 s[64:65], s[60:61]
	s_cbranch_execz .LBB1119_1088
.LBB1119_1073:                          ;   in Loop: Header=BB1119_982 Depth=2
	ds_read_b64 v[64:65], v104 offset:24576
	v_mov_b32_e32 v71, v4
	s_waitcnt lgkmcnt(0)
	v_cmp_ne_u64_e32 vcc, s[90:91], v[64:65]
	v_cndmask_b32_e32 v89, v133, v65, vcc
	v_cndmask_b32_e32 v88, -1, v64, vcc
	v_lshrrev_b64 v[88:89], s84, v[88:89]
	v_and_b32_e32 v70, s85, v88
	v_lshlrev_b32_e32 v70, 2, v70
	ds_read_b32 v70, v70
	v_cmp_gt_i64_e64 s[62:63], 0, v[64:65]
	v_cndmask_b32_e64 v69, v133, 0, s[62:63]
	v_ashrrev_i32_e32 v73, 31, v65
	v_not_b32_e32 v73, v73
	s_waitcnt lgkmcnt(0)
	v_add_u32_e32 v70, v70, v26
	v_lshlrev_b64 v[70:71], 3, v[70:71]
	v_xor_b32_e32 v65, v69, v65
	v_mov_b32_e32 v69, s77
	v_add_co_u32_e32 v70, vcc, s76, v70
	v_xor_b32_e32 v64, v73, v64
	v_addc_co_u32_e32 v71, vcc, v69, v71, vcc
	global_store_dwordx2 v[70:71], v[64:65], off
	s_or_b64 exec, exec, s[64:65]
	v_cmp_lt_u32_e64 s[62:63], v28, v183
	s_and_saveexec_b64 s[66:67], s[62:63]
	s_cbranch_execnz .LBB1119_1089
.LBB1119_1074:                          ;   in Loop: Header=BB1119_982 Depth=2
	s_or_b64 exec, exec, s[66:67]
	v_cmp_lt_u32_e64 s[64:65], v30, v183
	s_and_saveexec_b64 s[70:71], s[64:65]
	s_cbranch_execz .LBB1119_1090
.LBB1119_1075:                          ;   in Loop: Header=BB1119_982 Depth=2
	ds_read_b64 v[64:65], v104 offset:28672
	v_mov_b32_e32 v71, v4
	s_waitcnt lgkmcnt(0)
	v_cmp_ne_u64_e32 vcc, s[90:91], v[64:65]
	v_cndmask_b32_e32 v89, v133, v65, vcc
	v_cndmask_b32_e32 v88, -1, v64, vcc
	v_lshrrev_b64 v[88:89], s84, v[88:89]
	v_and_b32_e32 v70, s85, v88
	v_lshlrev_b32_e32 v70, 2, v70
	ds_read_b32 v70, v70
	v_cmp_gt_i64_e64 s[66:67], 0, v[64:65]
	v_cndmask_b32_e64 v69, v133, 0, s[66:67]
	v_ashrrev_i32_e32 v73, 31, v65
	v_not_b32_e32 v73, v73
	s_waitcnt lgkmcnt(0)
	v_add_u32_e32 v70, v70, v30
	v_lshlrev_b64 v[70:71], 3, v[70:71]
	v_xor_b32_e32 v65, v69, v65
	v_mov_b32_e32 v69, s77
	v_add_co_u32_e32 v70, vcc, s76, v70
	v_xor_b32_e32 v64, v73, v64
	v_addc_co_u32_e32 v71, vcc, v69, v71, vcc
	global_store_dwordx2 v[70:71], v[64:65], off
	s_or_b64 exec, exec, s[70:71]
	v_cmp_lt_u32_e64 s[66:67], v32, v183
	s_and_saveexec_b64 s[94:95], s[66:67]
	s_cbranch_execnz .LBB1119_1091
	s_branch .LBB1119_1092
.LBB1119_1076:                          ;   in Loop: Header=BB1119_982 Depth=2
	s_or_b64 exec, exec, s[40:41]
	v_cmp_lt_u32_e64 s[38:39], v7, v183
	s_and_saveexec_b64 s[42:43], s[38:39]
	s_cbranch_execz .LBB1119_1062
.LBB1119_1077:                          ;   in Loop: Header=BB1119_982 Depth=2
	ds_read_b64 v[64:65], v104 offset:2048
	v_mov_b32_e32 v71, v4
	s_waitcnt lgkmcnt(0)
	v_cmp_ne_u64_e32 vcc, s[90:91], v[64:65]
	v_cndmask_b32_e32 v89, v133, v65, vcc
	v_cndmask_b32_e32 v88, -1, v64, vcc
	v_lshrrev_b64 v[88:89], s84, v[88:89]
	v_and_b32_e32 v70, s85, v88
	v_lshlrev_b32_e32 v70, 2, v70
	ds_read_b32 v70, v70
	v_cmp_gt_i64_e64 s[40:41], 0, v[64:65]
	v_cndmask_b32_e64 v69, v133, 0, s[40:41]
	v_ashrrev_i32_e32 v73, 31, v65
	v_not_b32_e32 v73, v73
	s_waitcnt lgkmcnt(0)
	v_add_u32_e32 v70, v70, v7
	v_lshlrev_b64 v[70:71], 3, v[70:71]
	v_xor_b32_e32 v65, v69, v65
	v_mov_b32_e32 v69, s77
	v_add_co_u32_e32 v70, vcc, s76, v70
	v_xor_b32_e32 v64, v73, v64
	v_addc_co_u32_e32 v71, vcc, v69, v71, vcc
	global_store_dwordx2 v[70:71], v[64:65], off
	s_or_b64 exec, exec, s[42:43]
	v_cmp_lt_u32_e64 s[40:41], v6, v183
	s_and_saveexec_b64 s[44:45], s[40:41]
	s_cbranch_execnz .LBB1119_1063
.LBB1119_1078:                          ;   in Loop: Header=BB1119_982 Depth=2
	s_or_b64 exec, exec, s[44:45]
	v_cmp_lt_u32_e64 s[42:43], v8, v183
	s_and_saveexec_b64 s[46:47], s[42:43]
	s_cbranch_execz .LBB1119_1064
.LBB1119_1079:                          ;   in Loop: Header=BB1119_982 Depth=2
	ds_read_b64 v[64:65], v104 offset:6144
	v_mov_b32_e32 v71, v4
	s_waitcnt lgkmcnt(0)
	v_cmp_ne_u64_e32 vcc, s[90:91], v[64:65]
	v_cndmask_b32_e32 v89, v133, v65, vcc
	v_cndmask_b32_e32 v88, -1, v64, vcc
	v_lshrrev_b64 v[88:89], s84, v[88:89]
	v_and_b32_e32 v70, s85, v88
	v_lshlrev_b32_e32 v70, 2, v70
	ds_read_b32 v70, v70
	v_cmp_gt_i64_e64 s[44:45], 0, v[64:65]
	v_cndmask_b32_e64 v69, v133, 0, s[44:45]
	v_ashrrev_i32_e32 v73, 31, v65
	v_not_b32_e32 v73, v73
	s_waitcnt lgkmcnt(0)
	v_add_u32_e32 v70, v70, v8
	v_lshlrev_b64 v[70:71], 3, v[70:71]
	v_xor_b32_e32 v65, v69, v65
	v_mov_b32_e32 v69, s77
	v_add_co_u32_e32 v70, vcc, s76, v70
	v_xor_b32_e32 v64, v73, v64
	v_addc_co_u32_e32 v71, vcc, v69, v71, vcc
	global_store_dwordx2 v[70:71], v[64:65], off
	s_or_b64 exec, exec, s[46:47]
	v_cmp_lt_u32_e64 s[44:45], v10, v183
	s_and_saveexec_b64 s[48:49], s[44:45]
	s_cbranch_execnz .LBB1119_1065
.LBB1119_1080:                          ;   in Loop: Header=BB1119_982 Depth=2
	s_or_b64 exec, exec, s[48:49]
	v_cmp_lt_u32_e64 s[46:47], v12, v183
	s_and_saveexec_b64 s[50:51], s[46:47]
	s_cbranch_execz .LBB1119_1066
.LBB1119_1081:                          ;   in Loop: Header=BB1119_982 Depth=2
	ds_read_b64 v[64:65], v104 offset:10240
	v_mov_b32_e32 v71, v4
	s_waitcnt lgkmcnt(0)
	v_cmp_ne_u64_e32 vcc, s[90:91], v[64:65]
	v_cndmask_b32_e32 v89, v133, v65, vcc
	v_cndmask_b32_e32 v88, -1, v64, vcc
	v_lshrrev_b64 v[88:89], s84, v[88:89]
	v_and_b32_e32 v70, s85, v88
	v_lshlrev_b32_e32 v70, 2, v70
	ds_read_b32 v70, v70
	v_cmp_gt_i64_e64 s[48:49], 0, v[64:65]
	v_cndmask_b32_e64 v69, v133, 0, s[48:49]
	v_ashrrev_i32_e32 v73, 31, v65
	v_not_b32_e32 v73, v73
	s_waitcnt lgkmcnt(0)
	v_add_u32_e32 v70, v70, v12
	v_lshlrev_b64 v[70:71], 3, v[70:71]
	v_xor_b32_e32 v65, v69, v65
	v_mov_b32_e32 v69, s77
	v_add_co_u32_e32 v70, vcc, s76, v70
	v_xor_b32_e32 v64, v73, v64
	v_addc_co_u32_e32 v71, vcc, v69, v71, vcc
	global_store_dwordx2 v[70:71], v[64:65], off
	s_or_b64 exec, exec, s[50:51]
	v_cmp_lt_u32_e64 s[48:49], v14, v183
	s_and_saveexec_b64 s[52:53], s[48:49]
	s_cbranch_execnz .LBB1119_1067
.LBB1119_1082:                          ;   in Loop: Header=BB1119_982 Depth=2
	s_or_b64 exec, exec, s[52:53]
	v_cmp_lt_u32_e64 s[50:51], v16, v183
	s_and_saveexec_b64 s[54:55], s[50:51]
	s_cbranch_execz .LBB1119_1068
.LBB1119_1083:                          ;   in Loop: Header=BB1119_982 Depth=2
	ds_read_b64 v[64:65], v104 offset:14336
	v_mov_b32_e32 v71, v4
	s_waitcnt lgkmcnt(0)
	v_cmp_ne_u64_e32 vcc, s[90:91], v[64:65]
	v_cndmask_b32_e32 v89, v133, v65, vcc
	v_cndmask_b32_e32 v88, -1, v64, vcc
	v_lshrrev_b64 v[88:89], s84, v[88:89]
	v_and_b32_e32 v70, s85, v88
	v_lshlrev_b32_e32 v70, 2, v70
	ds_read_b32 v70, v70
	v_cmp_gt_i64_e64 s[52:53], 0, v[64:65]
	v_cndmask_b32_e64 v69, v133, 0, s[52:53]
	v_ashrrev_i32_e32 v73, 31, v65
	v_not_b32_e32 v73, v73
	s_waitcnt lgkmcnt(0)
	v_add_u32_e32 v70, v70, v16
	v_lshlrev_b64 v[70:71], 3, v[70:71]
	v_xor_b32_e32 v65, v69, v65
	v_mov_b32_e32 v69, s77
	v_add_co_u32_e32 v70, vcc, s76, v70
	v_xor_b32_e32 v64, v73, v64
	v_addc_co_u32_e32 v71, vcc, v69, v71, vcc
	global_store_dwordx2 v[70:71], v[64:65], off
	s_or_b64 exec, exec, s[54:55]
	v_cmp_lt_u32_e64 s[52:53], v18, v183
	s_and_saveexec_b64 s[56:57], s[52:53]
	s_cbranch_execnz .LBB1119_1069
.LBB1119_1084:                          ;   in Loop: Header=BB1119_982 Depth=2
	s_or_b64 exec, exec, s[56:57]
	v_cmp_lt_u32_e64 s[54:55], v20, v183
	s_and_saveexec_b64 s[58:59], s[54:55]
	s_cbranch_execz .LBB1119_1070
.LBB1119_1085:                          ;   in Loop: Header=BB1119_982 Depth=2
	ds_read_b64 v[64:65], v104 offset:18432
	v_mov_b32_e32 v71, v4
	s_waitcnt lgkmcnt(0)
	v_cmp_ne_u64_e32 vcc, s[90:91], v[64:65]
	v_cndmask_b32_e32 v89, v133, v65, vcc
	v_cndmask_b32_e32 v88, -1, v64, vcc
	v_lshrrev_b64 v[88:89], s84, v[88:89]
	v_and_b32_e32 v70, s85, v88
	v_lshlrev_b32_e32 v70, 2, v70
	ds_read_b32 v70, v70
	v_cmp_gt_i64_e64 s[56:57], 0, v[64:65]
	v_cndmask_b32_e64 v69, v133, 0, s[56:57]
	v_ashrrev_i32_e32 v73, 31, v65
	v_not_b32_e32 v73, v73
	s_waitcnt lgkmcnt(0)
	v_add_u32_e32 v70, v70, v20
	v_lshlrev_b64 v[70:71], 3, v[70:71]
	v_xor_b32_e32 v65, v69, v65
	v_mov_b32_e32 v69, s77
	v_add_co_u32_e32 v70, vcc, s76, v70
	v_xor_b32_e32 v64, v73, v64
	v_addc_co_u32_e32 v71, vcc, v69, v71, vcc
	global_store_dwordx2 v[70:71], v[64:65], off
	s_or_b64 exec, exec, s[58:59]
	v_cmp_lt_u32_e64 s[56:57], v22, v183
	s_and_saveexec_b64 s[60:61], s[56:57]
	s_cbranch_execnz .LBB1119_1071
.LBB1119_1086:                          ;   in Loop: Header=BB1119_982 Depth=2
	s_or_b64 exec, exec, s[60:61]
	v_cmp_lt_u32_e64 s[58:59], v24, v183
	s_and_saveexec_b64 s[62:63], s[58:59]
	s_cbranch_execz .LBB1119_1072
.LBB1119_1087:                          ;   in Loop: Header=BB1119_982 Depth=2
	ds_read_b64 v[64:65], v104 offset:22528
	v_mov_b32_e32 v71, v4
	s_waitcnt lgkmcnt(0)
	v_cmp_ne_u64_e32 vcc, s[90:91], v[64:65]
	v_cndmask_b32_e32 v89, v133, v65, vcc
	v_cndmask_b32_e32 v88, -1, v64, vcc
	v_lshrrev_b64 v[88:89], s84, v[88:89]
	v_and_b32_e32 v70, s85, v88
	v_lshlrev_b32_e32 v70, 2, v70
	ds_read_b32 v70, v70
	v_cmp_gt_i64_e64 s[60:61], 0, v[64:65]
	v_cndmask_b32_e64 v69, v133, 0, s[60:61]
	v_ashrrev_i32_e32 v73, 31, v65
	v_not_b32_e32 v73, v73
	s_waitcnt lgkmcnt(0)
	v_add_u32_e32 v70, v70, v24
	v_lshlrev_b64 v[70:71], 3, v[70:71]
	v_xor_b32_e32 v65, v69, v65
	v_mov_b32_e32 v69, s77
	v_add_co_u32_e32 v70, vcc, s76, v70
	v_xor_b32_e32 v64, v73, v64
	v_addc_co_u32_e32 v71, vcc, v69, v71, vcc
	global_store_dwordx2 v[70:71], v[64:65], off
	s_or_b64 exec, exec, s[62:63]
	v_cmp_lt_u32_e64 s[60:61], v26, v183
	s_and_saveexec_b64 s[64:65], s[60:61]
	s_cbranch_execnz .LBB1119_1073
.LBB1119_1088:                          ;   in Loop: Header=BB1119_982 Depth=2
	s_or_b64 exec, exec, s[64:65]
	v_cmp_lt_u32_e64 s[62:63], v28, v183
	s_and_saveexec_b64 s[66:67], s[62:63]
	s_cbranch_execz .LBB1119_1074
.LBB1119_1089:                          ;   in Loop: Header=BB1119_982 Depth=2
	ds_read_b64 v[64:65], v104 offset:26624
	v_mov_b32_e32 v71, v4
	s_waitcnt lgkmcnt(0)
	v_cmp_ne_u64_e32 vcc, s[90:91], v[64:65]
	v_cndmask_b32_e32 v89, v133, v65, vcc
	v_cndmask_b32_e32 v88, -1, v64, vcc
	v_lshrrev_b64 v[88:89], s84, v[88:89]
	v_and_b32_e32 v70, s85, v88
	v_lshlrev_b32_e32 v70, 2, v70
	ds_read_b32 v70, v70
	v_cmp_gt_i64_e64 s[64:65], 0, v[64:65]
	v_cndmask_b32_e64 v69, v133, 0, s[64:65]
	v_ashrrev_i32_e32 v73, 31, v65
	v_not_b32_e32 v73, v73
	s_waitcnt lgkmcnt(0)
	v_add_u32_e32 v70, v70, v28
	v_lshlrev_b64 v[70:71], 3, v[70:71]
	v_xor_b32_e32 v65, v69, v65
	v_mov_b32_e32 v69, s77
	v_add_co_u32_e32 v70, vcc, s76, v70
	v_xor_b32_e32 v64, v73, v64
	v_addc_co_u32_e32 v71, vcc, v69, v71, vcc
	global_store_dwordx2 v[70:71], v[64:65], off
	s_or_b64 exec, exec, s[66:67]
	v_cmp_lt_u32_e64 s[64:65], v30, v183
	s_and_saveexec_b64 s[70:71], s[64:65]
	s_cbranch_execnz .LBB1119_1075
.LBB1119_1090:                          ;   in Loop: Header=BB1119_982 Depth=2
	s_or_b64 exec, exec, s[70:71]
	v_cmp_lt_u32_e64 s[66:67], v32, v183
	s_and_saveexec_b64 s[94:95], s[66:67]
	s_cbranch_execz .LBB1119_1092
.LBB1119_1091:                          ;   in Loop: Header=BB1119_982 Depth=2
	ds_read_b64 v[64:65], v104 offset:30720
	v_mov_b32_e32 v71, v4
	s_waitcnt lgkmcnt(0)
	v_cmp_ne_u64_e32 vcc, s[90:91], v[64:65]
	v_cndmask_b32_e32 v89, v133, v65, vcc
	v_cndmask_b32_e32 v88, -1, v64, vcc
	v_lshrrev_b64 v[88:89], s84, v[88:89]
	v_and_b32_e32 v70, s85, v88
	v_lshlrev_b32_e32 v70, 2, v70
	ds_read_b32 v70, v70
	v_cmp_gt_i64_e64 s[70:71], 0, v[64:65]
	v_cndmask_b32_e64 v69, v133, 0, s[70:71]
	v_ashrrev_i32_e32 v73, 31, v65
	v_not_b32_e32 v73, v73
	s_waitcnt lgkmcnt(0)
	v_add_u32_e32 v70, v70, v32
	v_lshlrev_b64 v[70:71], 3, v[70:71]
	v_xor_b32_e32 v65, v69, v65
	v_mov_b32_e32 v69, s77
	v_add_co_u32_e32 v70, vcc, s76, v70
	v_xor_b32_e32 v64, v73, v64
	v_addc_co_u32_e32 v71, vcc, v69, v71, vcc
	global_store_dwordx2 v[70:71], v[64:65], off
.LBB1119_1092:                          ;   in Loop: Header=BB1119_982 Depth=2
	s_or_b64 exec, exec, s[94:95]
	s_mov_b32 s79, s90
	s_lshl_b64 s[70:71], s[78:79], 3
	v_mov_b32_e32 v65, s71
	v_add_co_u32_e32 v64, vcc, s70, v160
	v_addc_co_u32_e32 v65, vcc, v161, v65, vcc
	v_cmp_lt_u32_e32 vcc, v143, v183
	s_and_saveexec_b64 s[70:71], vcc
	s_xor_b64 s[70:71], exec, s[70:71]
	s_cbranch_execz .LBB1119_1124
; %bb.1093:                             ;   in Loop: Header=BB1119_982 Depth=2
	global_load_dwordx2 v[62:63], v[64:65], off
	s_or_b64 exec, exec, s[70:71]
	v_cmp_lt_u32_e32 vcc, v144, v183
	s_and_saveexec_b64 s[70:71], vcc
	s_cbranch_execnz .LBB1119_1125
.LBB1119_1094:                          ;   in Loop: Header=BB1119_982 Depth=2
	s_or_b64 exec, exec, s[70:71]
	v_cmp_lt_u32_e32 vcc, v145, v183
	s_and_saveexec_b64 s[70:71], vcc
	s_cbranch_execz .LBB1119_1126
.LBB1119_1095:                          ;   in Loop: Header=BB1119_982 Depth=2
	global_load_dwordx2 v[58:59], v[64:65], off offset:1024
	s_or_b64 exec, exec, s[70:71]
	v_cmp_lt_u32_e32 vcc, v146, v183
	s_and_saveexec_b64 s[70:71], vcc
	s_cbranch_execnz .LBB1119_1127
.LBB1119_1096:                          ;   in Loop: Header=BB1119_982 Depth=2
	s_or_b64 exec, exec, s[70:71]
	v_cmp_lt_u32_e32 vcc, v147, v183
	s_and_saveexec_b64 s[70:71], vcc
	s_cbranch_execz .LBB1119_1128
.LBB1119_1097:                          ;   in Loop: Header=BB1119_982 Depth=2
	global_load_dwordx2 v[50:51], v[64:65], off offset:2048
	s_or_b64 exec, exec, s[70:71]
	v_cmp_lt_u32_e32 vcc, v148, v183
	s_and_saveexec_b64 s[70:71], vcc
	s_cbranch_execnz .LBB1119_1129
.LBB1119_1098:                          ;   in Loop: Header=BB1119_982 Depth=2
	s_or_b64 exec, exec, s[70:71]
	v_cmp_lt_u32_e32 vcc, v149, v183
	s_and_saveexec_b64 s[70:71], vcc
	s_cbranch_execz .LBB1119_1130
.LBB1119_1099:                          ;   in Loop: Header=BB1119_982 Depth=2
	global_load_dwordx2 v[42:43], v[64:65], off offset:3072
	s_or_b64 exec, exec, s[70:71]
	v_cmp_lt_u32_e32 vcc, v150, v183
	s_and_saveexec_b64 s[70:71], vcc
	s_cbranch_execnz .LBB1119_1131
.LBB1119_1100:                          ;   in Loop: Header=BB1119_982 Depth=2
	s_or_b64 exec, exec, s[70:71]
	v_cmp_lt_u32_e32 vcc, v151, v183
	s_and_saveexec_b64 s[70:71], vcc
	s_cbranch_execz .LBB1119_1132
.LBB1119_1101:                          ;   in Loop: Header=BB1119_982 Depth=2
	v_add_co_u32_e32 v56, vcc, 0x1000, v64
	v_addc_co_u32_e32 v57, vcc, 0, v65, vcc
	global_load_dwordx2 v[56:57], v[56:57], off
	s_or_b64 exec, exec, s[70:71]
	v_cmp_lt_u32_e32 vcc, v152, v183
	s_and_saveexec_b64 s[70:71], vcc
	s_cbranch_execnz .LBB1119_1133
.LBB1119_1102:                          ;   in Loop: Header=BB1119_982 Depth=2
	s_or_b64 exec, exec, s[70:71]
	v_cmp_lt_u32_e32 vcc, v153, v183
	s_and_saveexec_b64 s[70:71], vcc
	s_cbranch_execz .LBB1119_1134
.LBB1119_1103:                          ;   in Loop: Header=BB1119_982 Depth=2
	v_add_co_u32_e32 v48, vcc, 0x1000, v64
	v_addc_co_u32_e32 v49, vcc, 0, v65, vcc
	global_load_dwordx2 v[48:49], v[48:49], off offset:1024
	s_or_b64 exec, exec, s[70:71]
	v_cmp_lt_u32_e32 vcc, v154, v183
	s_and_saveexec_b64 s[70:71], vcc
	s_cbranch_execnz .LBB1119_1135
.LBB1119_1104:                          ;   in Loop: Header=BB1119_982 Depth=2
	s_or_b64 exec, exec, s[70:71]
	v_cmp_lt_u32_e32 vcc, v155, v183
	s_and_saveexec_b64 s[70:71], vcc
	s_cbranch_execz .LBB1119_1136
.LBB1119_1105:                          ;   in Loop: Header=BB1119_982 Depth=2
	v_add_co_u32_e32 v40, vcc, 0x1000, v64
	v_addc_co_u32_e32 v41, vcc, 0, v65, vcc
	global_load_dwordx2 v[40:41], v[40:41], off offset:2048
	s_or_b64 exec, exec, s[70:71]
	v_cmp_lt_u32_e32 vcc, v156, v183
	s_and_saveexec_b64 s[70:71], vcc
	s_cbranch_execnz .LBB1119_1137
.LBB1119_1106:                          ;   in Loop: Header=BB1119_982 Depth=2
	s_or_b64 exec, exec, s[70:71]
	v_cmp_lt_u32_e32 vcc, v157, v183
	s_and_saveexec_b64 s[70:71], vcc
	s_cbranch_execz .LBB1119_1138
.LBB1119_1107:                          ;   in Loop: Header=BB1119_982 Depth=2
	v_add_co_u32_e32 v34, vcc, 0x1000, v64
	v_addc_co_u32_e32 v35, vcc, 0, v65, vcc
	global_load_dwordx2 v[34:35], v[34:35], off offset:3072
	s_or_b64 exec, exec, s[70:71]
	v_cmp_lt_u32_e32 vcc, v158, v183
	s_and_saveexec_b64 s[70:71], vcc
	s_cbranch_execnz .LBB1119_1139
.LBB1119_1108:                          ;   in Loop: Header=BB1119_982 Depth=2
	s_or_b64 exec, exec, s[70:71]
	s_and_saveexec_b64 s[70:71], s[36:37]
	s_cbranch_execz .LBB1119_1140
.LBB1119_1109:                          ;   in Loop: Header=BB1119_982 Depth=2
	ds_read_b64 v[64:65], v66 offset:1024
	s_waitcnt lgkmcnt(0)
	v_cmp_ne_u64_e32 vcc, s[90:91], v[64:65]
	v_cndmask_b32_e32 v65, v133, v65, vcc
	v_cndmask_b32_e32 v64, -1, v64, vcc
	v_lshrrev_b64 v[64:65], s84, v[64:65]
	v_and_b32_e32 v182, s85, v64
	s_or_b64 exec, exec, s[70:71]
	s_and_saveexec_b64 s[70:71], s[38:39]
	s_cbranch_execnz .LBB1119_1141
.LBB1119_1110:                          ;   in Loop: Header=BB1119_982 Depth=2
	s_or_b64 exec, exec, s[70:71]
	s_and_saveexec_b64 s[70:71], s[40:41]
	s_cbranch_execz .LBB1119_1142
.LBB1119_1111:                          ;   in Loop: Header=BB1119_982 Depth=2
	ds_read_b64 v[64:65], v104 offset:4096
	s_waitcnt lgkmcnt(0)
	v_cmp_ne_u64_e32 vcc, s[90:91], v[64:65]
	v_cndmask_b32_e32 v65, v133, v65, vcc
	v_cndmask_b32_e32 v64, -1, v64, vcc
	v_lshrrev_b64 v[64:65], s84, v[64:65]
	v_and_b32_e32 v180, s85, v64
	s_or_b64 exec, exec, s[70:71]
	s_and_saveexec_b64 s[70:71], s[42:43]
	s_cbranch_execnz .LBB1119_1143
.LBB1119_1112:                          ;   in Loop: Header=BB1119_982 Depth=2
	s_or_b64 exec, exec, s[70:71]
	s_and_saveexec_b64 s[70:71], s[44:45]
	s_cbranch_execz .LBB1119_1144
.LBB1119_1113:                          ;   in Loop: Header=BB1119_982 Depth=2
	ds_read_b64 v[64:65], v104 offset:8192
	s_waitcnt lgkmcnt(0)
	v_cmp_ne_u64_e32 vcc, s[90:91], v[64:65]
	v_cndmask_b32_e32 v65, v133, v65, vcc
	v_cndmask_b32_e32 v64, -1, v64, vcc
	v_lshrrev_b64 v[64:65], s84, v[64:65]
	v_and_b32_e32 v178, s85, v64
	s_or_b64 exec, exec, s[70:71]
	s_and_saveexec_b64 s[70:71], s[46:47]
	s_cbranch_execnz .LBB1119_1145
.LBB1119_1114:                          ;   in Loop: Header=BB1119_982 Depth=2
	s_or_b64 exec, exec, s[70:71]
	s_and_saveexec_b64 s[70:71], s[48:49]
	s_cbranch_execz .LBB1119_1146
.LBB1119_1115:                          ;   in Loop: Header=BB1119_982 Depth=2
	ds_read_b64 v[64:65], v104 offset:12288
	s_waitcnt lgkmcnt(0)
	v_cmp_ne_u64_e32 vcc, s[90:91], v[64:65]
	v_cndmask_b32_e32 v65, v133, v65, vcc
	v_cndmask_b32_e32 v64, -1, v64, vcc
	v_lshrrev_b64 v[64:65], s84, v[64:65]
	v_and_b32_e32 v175, s85, v64
	s_or_b64 exec, exec, s[70:71]
	s_and_saveexec_b64 s[70:71], s[50:51]
	s_cbranch_execnz .LBB1119_1147
.LBB1119_1116:                          ;   in Loop: Header=BB1119_982 Depth=2
	s_or_b64 exec, exec, s[70:71]
	s_and_saveexec_b64 s[70:71], s[52:53]
	s_cbranch_execz .LBB1119_1148
.LBB1119_1117:                          ;   in Loop: Header=BB1119_982 Depth=2
	ds_read_b64 v[64:65], v104 offset:16384
	s_waitcnt lgkmcnt(0)
	v_cmp_ne_u64_e32 vcc, s[90:91], v[64:65]
	v_cndmask_b32_e32 v65, v133, v65, vcc
	v_cndmask_b32_e32 v64, -1, v64, vcc
	v_lshrrev_b64 v[64:65], s84, v[64:65]
	v_and_b32_e32 v172, s85, v64
	s_or_b64 exec, exec, s[70:71]
	s_and_saveexec_b64 s[70:71], s[54:55]
	s_cbranch_execnz .LBB1119_1149
.LBB1119_1118:                          ;   in Loop: Header=BB1119_982 Depth=2
	s_or_b64 exec, exec, s[70:71]
	s_and_saveexec_b64 s[70:71], s[56:57]
	s_cbranch_execz .LBB1119_1150
.LBB1119_1119:                          ;   in Loop: Header=BB1119_982 Depth=2
	ds_read_b64 v[64:65], v104 offset:20480
	s_waitcnt lgkmcnt(0)
	v_cmp_ne_u64_e32 vcc, s[90:91], v[64:65]
	v_cndmask_b32_e32 v65, v133, v65, vcc
	v_cndmask_b32_e32 v64, -1, v64, vcc
	v_lshrrev_b64 v[64:65], s84, v[64:65]
	v_and_b32_e32 v169, s85, v64
	s_or_b64 exec, exec, s[70:71]
	s_and_saveexec_b64 s[70:71], s[58:59]
	s_cbranch_execnz .LBB1119_1151
.LBB1119_1120:                          ;   in Loop: Header=BB1119_982 Depth=2
	s_or_b64 exec, exec, s[70:71]
	s_and_saveexec_b64 s[70:71], s[60:61]
	s_cbranch_execz .LBB1119_1152
.LBB1119_1121:                          ;   in Loop: Header=BB1119_982 Depth=2
	ds_read_b64 v[64:65], v104 offset:24576
	s_waitcnt lgkmcnt(0)
	v_cmp_ne_u64_e32 vcc, s[90:91], v[64:65]
	v_cndmask_b32_e32 v65, v133, v65, vcc
	v_cndmask_b32_e32 v64, -1, v64, vcc
	v_lshrrev_b64 v[64:65], s84, v[64:65]
	v_and_b32_e32 v167, s85, v64
	s_or_b64 exec, exec, s[70:71]
	s_and_saveexec_b64 s[70:71], s[62:63]
	s_cbranch_execnz .LBB1119_1153
.LBB1119_1122:                          ;   in Loop: Header=BB1119_982 Depth=2
	s_or_b64 exec, exec, s[70:71]
	s_and_saveexec_b64 s[70:71], s[64:65]
	s_cbranch_execz .LBB1119_1154
.LBB1119_1123:                          ;   in Loop: Header=BB1119_982 Depth=2
	ds_read_b64 v[64:65], v104 offset:28672
	s_waitcnt lgkmcnt(0)
	v_cmp_ne_u64_e32 vcc, s[90:91], v[64:65]
	v_cndmask_b32_e32 v65, v133, v65, vcc
	v_cndmask_b32_e32 v64, -1, v64, vcc
	v_lshrrev_b64 v[64:65], s84, v[64:65]
	v_and_b32_e32 v165, s85, v64
	s_or_b64 exec, exec, s[70:71]
	s_and_saveexec_b64 s[70:71], s[66:67]
	s_cbranch_execnz .LBB1119_1155
	s_branch .LBB1119_1156
.LBB1119_1124:                          ;   in Loop: Header=BB1119_982 Depth=2
	s_or_b64 exec, exec, s[70:71]
	v_cmp_lt_u32_e32 vcc, v144, v183
	s_and_saveexec_b64 s[70:71], vcc
	s_cbranch_execz .LBB1119_1094
.LBB1119_1125:                          ;   in Loop: Header=BB1119_982 Depth=2
	global_load_dwordx2 v[60:61], v[64:65], off offset:512
	s_or_b64 exec, exec, s[70:71]
	v_cmp_lt_u32_e32 vcc, v145, v183
	s_and_saveexec_b64 s[70:71], vcc
	s_cbranch_execnz .LBB1119_1095
.LBB1119_1126:                          ;   in Loop: Header=BB1119_982 Depth=2
	s_or_b64 exec, exec, s[70:71]
	v_cmp_lt_u32_e32 vcc, v146, v183
	s_and_saveexec_b64 s[70:71], vcc
	s_cbranch_execz .LBB1119_1096
.LBB1119_1127:                          ;   in Loop: Header=BB1119_982 Depth=2
	global_load_dwordx2 v[54:55], v[64:65], off offset:1536
	s_or_b64 exec, exec, s[70:71]
	v_cmp_lt_u32_e32 vcc, v147, v183
	s_and_saveexec_b64 s[70:71], vcc
	s_cbranch_execnz .LBB1119_1097
.LBB1119_1128:                          ;   in Loop: Header=BB1119_982 Depth=2
	s_or_b64 exec, exec, s[70:71]
	v_cmp_lt_u32_e32 vcc, v148, v183
	s_and_saveexec_b64 s[70:71], vcc
	s_cbranch_execz .LBB1119_1098
.LBB1119_1129:                          ;   in Loop: Header=BB1119_982 Depth=2
	global_load_dwordx2 v[46:47], v[64:65], off offset:2560
	s_or_b64 exec, exec, s[70:71]
	v_cmp_lt_u32_e32 vcc, v149, v183
	s_and_saveexec_b64 s[70:71], vcc
	s_cbranch_execnz .LBB1119_1099
.LBB1119_1130:                          ;   in Loop: Header=BB1119_982 Depth=2
	s_or_b64 exec, exec, s[70:71]
	v_cmp_lt_u32_e32 vcc, v150, v183
	s_and_saveexec_b64 s[70:71], vcc
	s_cbranch_execz .LBB1119_1100
.LBB1119_1131:                          ;   in Loop: Header=BB1119_982 Depth=2
	global_load_dwordx2 v[38:39], v[64:65], off offset:3584
	s_or_b64 exec, exec, s[70:71]
	v_cmp_lt_u32_e32 vcc, v151, v183
	s_and_saveexec_b64 s[70:71], vcc
	s_cbranch_execnz .LBB1119_1101
.LBB1119_1132:                          ;   in Loop: Header=BB1119_982 Depth=2
	s_or_b64 exec, exec, s[70:71]
	v_cmp_lt_u32_e32 vcc, v152, v183
	s_and_saveexec_b64 s[70:71], vcc
	s_cbranch_execz .LBB1119_1102
.LBB1119_1133:                          ;   in Loop: Header=BB1119_982 Depth=2
	v_add_co_u32_e32 v52, vcc, 0x1000, v64
	v_addc_co_u32_e32 v53, vcc, 0, v65, vcc
	global_load_dwordx2 v[52:53], v[52:53], off offset:512
	s_or_b64 exec, exec, s[70:71]
	v_cmp_lt_u32_e32 vcc, v153, v183
	s_and_saveexec_b64 s[70:71], vcc
	s_cbranch_execnz .LBB1119_1103
.LBB1119_1134:                          ;   in Loop: Header=BB1119_982 Depth=2
	s_or_b64 exec, exec, s[70:71]
	v_cmp_lt_u32_e32 vcc, v154, v183
	s_and_saveexec_b64 s[70:71], vcc
	s_cbranch_execz .LBB1119_1104
.LBB1119_1135:                          ;   in Loop: Header=BB1119_982 Depth=2
	v_add_co_u32_e32 v44, vcc, 0x1000, v64
	v_addc_co_u32_e32 v45, vcc, 0, v65, vcc
	global_load_dwordx2 v[44:45], v[44:45], off offset:1536
	s_or_b64 exec, exec, s[70:71]
	v_cmp_lt_u32_e32 vcc, v155, v183
	s_and_saveexec_b64 s[70:71], vcc
	s_cbranch_execnz .LBB1119_1105
.LBB1119_1136:                          ;   in Loop: Header=BB1119_982 Depth=2
	s_or_b64 exec, exec, s[70:71]
	v_cmp_lt_u32_e32 vcc, v156, v183
	s_and_saveexec_b64 s[70:71], vcc
	s_cbranch_execz .LBB1119_1106
.LBB1119_1137:                          ;   in Loop: Header=BB1119_982 Depth=2
	v_add_co_u32_e32 v36, vcc, 0x1000, v64
	v_addc_co_u32_e32 v37, vcc, 0, v65, vcc
	global_load_dwordx2 v[36:37], v[36:37], off offset:2560
	s_or_b64 exec, exec, s[70:71]
	v_cmp_lt_u32_e32 vcc, v157, v183
	s_and_saveexec_b64 s[70:71], vcc
	s_cbranch_execnz .LBB1119_1107
.LBB1119_1138:                          ;   in Loop: Header=BB1119_982 Depth=2
	s_or_b64 exec, exec, s[70:71]
	v_cmp_lt_u32_e32 vcc, v158, v183
	s_and_saveexec_b64 s[70:71], vcc
	s_cbranch_execz .LBB1119_1108
.LBB1119_1139:                          ;   in Loop: Header=BB1119_982 Depth=2
	v_add_co_u32_e32 v0, vcc, 0x1000, v64
	v_addc_co_u32_e32 v1, vcc, 0, v65, vcc
	global_load_dwordx2 v[0:1], v[0:1], off offset:3584
	s_or_b64 exec, exec, s[70:71]
	s_and_saveexec_b64 s[70:71], s[36:37]
	s_cbranch_execnz .LBB1119_1109
.LBB1119_1140:                          ;   in Loop: Header=BB1119_982 Depth=2
	s_or_b64 exec, exec, s[70:71]
	s_and_saveexec_b64 s[70:71], s[38:39]
	s_cbranch_execz .LBB1119_1110
.LBB1119_1141:                          ;   in Loop: Header=BB1119_982 Depth=2
	ds_read_b64 v[64:65], v104 offset:2048
	s_waitcnt lgkmcnt(0)
	v_cmp_ne_u64_e32 vcc, s[90:91], v[64:65]
	v_cndmask_b32_e32 v65, v133, v65, vcc
	v_cndmask_b32_e32 v64, -1, v64, vcc
	v_lshrrev_b64 v[64:65], s84, v[64:65]
	v_and_b32_e32 v181, s85, v64
	s_or_b64 exec, exec, s[70:71]
	s_and_saveexec_b64 s[70:71], s[40:41]
	s_cbranch_execnz .LBB1119_1111
.LBB1119_1142:                          ;   in Loop: Header=BB1119_982 Depth=2
	s_or_b64 exec, exec, s[70:71]
	s_and_saveexec_b64 s[70:71], s[42:43]
	s_cbranch_execz .LBB1119_1112
.LBB1119_1143:                          ;   in Loop: Header=BB1119_982 Depth=2
	ds_read_b64 v[64:65], v104 offset:6144
	s_waitcnt lgkmcnt(0)
	v_cmp_ne_u64_e32 vcc, s[90:91], v[64:65]
	v_cndmask_b32_e32 v65, v133, v65, vcc
	v_cndmask_b32_e32 v64, -1, v64, vcc
	v_lshrrev_b64 v[64:65], s84, v[64:65]
	v_and_b32_e32 v179, s85, v64
	s_or_b64 exec, exec, s[70:71]
	s_and_saveexec_b64 s[70:71], s[44:45]
	s_cbranch_execnz .LBB1119_1113
.LBB1119_1144:                          ;   in Loop: Header=BB1119_982 Depth=2
	s_or_b64 exec, exec, s[70:71]
	s_and_saveexec_b64 s[70:71], s[46:47]
	s_cbranch_execz .LBB1119_1114
.LBB1119_1145:                          ;   in Loop: Header=BB1119_982 Depth=2
	ds_read_b64 v[64:65], v104 offset:10240
	s_waitcnt lgkmcnt(0)
	v_cmp_ne_u64_e32 vcc, s[90:91], v[64:65]
	v_cndmask_b32_e32 v65, v133, v65, vcc
	v_cndmask_b32_e32 v64, -1, v64, vcc
	v_lshrrev_b64 v[64:65], s84, v[64:65]
	v_and_b32_e32 v176, s85, v64
	s_or_b64 exec, exec, s[70:71]
	s_and_saveexec_b64 s[70:71], s[48:49]
	s_cbranch_execnz .LBB1119_1115
.LBB1119_1146:                          ;   in Loop: Header=BB1119_982 Depth=2
	s_or_b64 exec, exec, s[70:71]
	s_and_saveexec_b64 s[70:71], s[50:51]
	s_cbranch_execz .LBB1119_1116
.LBB1119_1147:                          ;   in Loop: Header=BB1119_982 Depth=2
	ds_read_b64 v[64:65], v104 offset:14336
	s_waitcnt lgkmcnt(0)
	v_cmp_ne_u64_e32 vcc, s[90:91], v[64:65]
	v_cndmask_b32_e32 v65, v133, v65, vcc
	v_cndmask_b32_e32 v64, -1, v64, vcc
	v_lshrrev_b64 v[64:65], s84, v[64:65]
	v_and_b32_e32 v174, s85, v64
	s_or_b64 exec, exec, s[70:71]
	s_and_saveexec_b64 s[70:71], s[52:53]
	s_cbranch_execnz .LBB1119_1117
.LBB1119_1148:                          ;   in Loop: Header=BB1119_982 Depth=2
	s_or_b64 exec, exec, s[70:71]
	s_and_saveexec_b64 s[70:71], s[54:55]
	s_cbranch_execz .LBB1119_1118
.LBB1119_1149:                          ;   in Loop: Header=BB1119_982 Depth=2
	ds_read_b64 v[64:65], v104 offset:18432
	s_waitcnt lgkmcnt(0)
	v_cmp_ne_u64_e32 vcc, s[90:91], v[64:65]
	v_cndmask_b32_e32 v65, v133, v65, vcc
	v_cndmask_b32_e32 v64, -1, v64, vcc
	v_lshrrev_b64 v[64:65], s84, v[64:65]
	v_and_b32_e32 v171, s85, v64
	s_or_b64 exec, exec, s[70:71]
	s_and_saveexec_b64 s[70:71], s[56:57]
	s_cbranch_execnz .LBB1119_1119
.LBB1119_1150:                          ;   in Loop: Header=BB1119_982 Depth=2
	s_or_b64 exec, exec, s[70:71]
	s_and_saveexec_b64 s[70:71], s[58:59]
	s_cbranch_execz .LBB1119_1120
.LBB1119_1151:                          ;   in Loop: Header=BB1119_982 Depth=2
	ds_read_b64 v[64:65], v104 offset:22528
	s_waitcnt lgkmcnt(0)
	v_cmp_ne_u64_e32 vcc, s[90:91], v[64:65]
	v_cndmask_b32_e32 v65, v133, v65, vcc
	v_cndmask_b32_e32 v64, -1, v64, vcc
	v_lshrrev_b64 v[64:65], s84, v[64:65]
	v_and_b32_e32 v168, s85, v64
	s_or_b64 exec, exec, s[70:71]
	s_and_saveexec_b64 s[70:71], s[60:61]
	s_cbranch_execnz .LBB1119_1121
.LBB1119_1152:                          ;   in Loop: Header=BB1119_982 Depth=2
	s_or_b64 exec, exec, s[70:71]
	s_and_saveexec_b64 s[70:71], s[62:63]
	s_cbranch_execz .LBB1119_1122
.LBB1119_1153:                          ;   in Loop: Header=BB1119_982 Depth=2
	ds_read_b64 v[64:65], v104 offset:26624
	s_waitcnt lgkmcnt(0)
	v_cmp_ne_u64_e32 vcc, s[90:91], v[64:65]
	v_cndmask_b32_e32 v65, v133, v65, vcc
	v_cndmask_b32_e32 v64, -1, v64, vcc
	v_lshrrev_b64 v[64:65], s84, v[64:65]
	v_and_b32_e32 v166, s85, v64
	s_or_b64 exec, exec, s[70:71]
	s_and_saveexec_b64 s[70:71], s[64:65]
	s_cbranch_execnz .LBB1119_1123
.LBB1119_1154:                          ;   in Loop: Header=BB1119_982 Depth=2
	s_or_b64 exec, exec, s[70:71]
	s_and_saveexec_b64 s[70:71], s[66:67]
	s_cbranch_execz .LBB1119_1156
.LBB1119_1155:                          ;   in Loop: Header=BB1119_982 Depth=2
	ds_read_b64 v[64:65], v104 offset:30720
	s_waitcnt lgkmcnt(0)
	v_cmp_ne_u64_e32 vcc, s[90:91], v[64:65]
	v_cndmask_b32_e32 v65, v133, v65, vcc
	v_cndmask_b32_e32 v64, -1, v64, vcc
	v_lshrrev_b64 v[64:65], s84, v[64:65]
	v_and_b32_e32 v164, s85, v64
.LBB1119_1156:                          ;   in Loop: Header=BB1119_982 Depth=2
	s_or_b64 exec, exec, s[70:71]
	v_add_u32_e32 v64, 0x400, v96
	v_add_u32_e32 v65, 0x400, v97
	;; [unrolled: 1-line block ×16, first 2 shown]
	s_barrier
	s_waitcnt vmcnt(0)
	ds_write_b64 v64, v[62:63]
	ds_write_b64 v65, v[60:61]
	;; [unrolled: 1-line block ×16, first 2 shown]
	s_waitcnt lgkmcnt(0)
	s_barrier
	s_and_saveexec_b64 s[70:71], s[36:37]
	s_cbranch_execz .LBB1119_1172
; %bb.1157:                             ;   in Loop: Header=BB1119_982 Depth=2
	v_lshlrev_b32_e32 v64, 2, v182
	ds_read_b32 v68, v64
	ds_read_b64 v[64:65], v66 offset:1024
	v_mov_b32_e32 v67, v4
	v_mov_b32_e32 v69, s83
	s_waitcnt lgkmcnt(1)
	v_add_u32_e32 v66, v68, v2
	v_lshlrev_b64 v[66:67], 3, v[66:67]
	v_add_co_u32_e32 v66, vcc, s82, v66
	v_addc_co_u32_e32 v67, vcc, v69, v67, vcc
	s_waitcnt lgkmcnt(0)
	global_store_dwordx2 v[66:67], v[64:65], off
	s_or_b64 exec, exec, s[70:71]
	s_and_saveexec_b64 s[36:37], s[38:39]
	s_cbranch_execnz .LBB1119_1173
.LBB1119_1158:                          ;   in Loop: Header=BB1119_982 Depth=2
	s_or_b64 exec, exec, s[36:37]
	s_and_saveexec_b64 s[36:37], s[40:41]
	s_cbranch_execz .LBB1119_1174
.LBB1119_1159:                          ;   in Loop: Header=BB1119_982 Depth=2
	v_lshlrev_b32_e32 v64, 2, v180
	ds_read_b32 v66, v64
	ds_read_b64 v[64:65], v104 offset:4096
	v_mov_b32_e32 v67, v4
	v_mov_b32_e32 v68, s83
	s_waitcnt lgkmcnt(1)
	v_add_u32_e32 v66, v66, v6
	v_lshlrev_b64 v[66:67], 3, v[66:67]
	v_add_co_u32_e32 v66, vcc, s82, v66
	v_addc_co_u32_e32 v67, vcc, v68, v67, vcc
	s_waitcnt lgkmcnt(0)
	global_store_dwordx2 v[66:67], v[64:65], off
	s_or_b64 exec, exec, s[36:37]
	s_and_saveexec_b64 s[36:37], s[42:43]
	s_cbranch_execnz .LBB1119_1175
.LBB1119_1160:                          ;   in Loop: Header=BB1119_982 Depth=2
	s_or_b64 exec, exec, s[36:37]
	s_and_saveexec_b64 s[36:37], s[44:45]
	s_cbranch_execz .LBB1119_1176
.LBB1119_1161:                          ;   in Loop: Header=BB1119_982 Depth=2
	v_lshlrev_b32_e32 v64, 2, v178
	ds_read_b32 v66, v64
	ds_read_b64 v[64:65], v104 offset:8192
	v_mov_b32_e32 v67, v4
	v_mov_b32_e32 v68, s83
	s_waitcnt lgkmcnt(1)
	v_add_u32_e32 v66, v66, v10
	v_lshlrev_b64 v[66:67], 3, v[66:67]
	v_add_co_u32_e32 v66, vcc, s82, v66
	v_addc_co_u32_e32 v67, vcc, v68, v67, vcc
	s_waitcnt lgkmcnt(0)
	global_store_dwordx2 v[66:67], v[64:65], off
	s_or_b64 exec, exec, s[36:37]
	s_and_saveexec_b64 s[36:37], s[46:47]
	s_cbranch_execnz .LBB1119_1177
.LBB1119_1162:                          ;   in Loop: Header=BB1119_982 Depth=2
	s_or_b64 exec, exec, s[36:37]
	s_and_saveexec_b64 s[36:37], s[48:49]
	s_cbranch_execz .LBB1119_1178
.LBB1119_1163:                          ;   in Loop: Header=BB1119_982 Depth=2
	v_lshlrev_b32_e32 v64, 2, v175
	ds_read_b32 v66, v64
	ds_read_b64 v[64:65], v104 offset:12288
	v_mov_b32_e32 v67, v4
	v_mov_b32_e32 v68, s83
	s_waitcnt lgkmcnt(1)
	v_add_u32_e32 v66, v66, v14
	v_lshlrev_b64 v[66:67], 3, v[66:67]
	v_add_co_u32_e32 v66, vcc, s82, v66
	v_addc_co_u32_e32 v67, vcc, v68, v67, vcc
	s_waitcnt lgkmcnt(0)
	global_store_dwordx2 v[66:67], v[64:65], off
	s_or_b64 exec, exec, s[36:37]
	s_and_saveexec_b64 s[36:37], s[50:51]
	s_cbranch_execnz .LBB1119_1179
.LBB1119_1164:                          ;   in Loop: Header=BB1119_982 Depth=2
	s_or_b64 exec, exec, s[36:37]
	s_and_saveexec_b64 s[36:37], s[52:53]
	s_cbranch_execz .LBB1119_1180
.LBB1119_1165:                          ;   in Loop: Header=BB1119_982 Depth=2
	v_lshlrev_b32_e32 v64, 2, v172
	ds_read_b32 v66, v64
	ds_read_b64 v[64:65], v104 offset:16384
	v_mov_b32_e32 v67, v4
	v_mov_b32_e32 v68, s83
	s_waitcnt lgkmcnt(1)
	v_add_u32_e32 v66, v66, v18
	v_lshlrev_b64 v[66:67], 3, v[66:67]
	v_add_co_u32_e32 v66, vcc, s82, v66
	v_addc_co_u32_e32 v67, vcc, v68, v67, vcc
	s_waitcnt lgkmcnt(0)
	global_store_dwordx2 v[66:67], v[64:65], off
	s_or_b64 exec, exec, s[36:37]
	s_and_saveexec_b64 s[36:37], s[54:55]
	s_cbranch_execnz .LBB1119_1181
.LBB1119_1166:                          ;   in Loop: Header=BB1119_982 Depth=2
	s_or_b64 exec, exec, s[36:37]
	s_and_saveexec_b64 s[36:37], s[56:57]
	s_cbranch_execz .LBB1119_1182
.LBB1119_1167:                          ;   in Loop: Header=BB1119_982 Depth=2
	v_lshlrev_b32_e32 v64, 2, v169
	ds_read_b32 v66, v64
	ds_read_b64 v[64:65], v104 offset:20480
	v_mov_b32_e32 v67, v4
	v_mov_b32_e32 v68, s83
	s_waitcnt lgkmcnt(1)
	v_add_u32_e32 v66, v66, v22
	v_lshlrev_b64 v[66:67], 3, v[66:67]
	v_add_co_u32_e32 v66, vcc, s82, v66
	v_addc_co_u32_e32 v67, vcc, v68, v67, vcc
	s_waitcnt lgkmcnt(0)
	global_store_dwordx2 v[66:67], v[64:65], off
	s_or_b64 exec, exec, s[36:37]
	s_and_saveexec_b64 s[36:37], s[58:59]
	s_cbranch_execnz .LBB1119_1183
.LBB1119_1168:                          ;   in Loop: Header=BB1119_982 Depth=2
	s_or_b64 exec, exec, s[36:37]
	s_and_saveexec_b64 s[36:37], s[60:61]
	s_cbranch_execz .LBB1119_1184
.LBB1119_1169:                          ;   in Loop: Header=BB1119_982 Depth=2
	v_lshlrev_b32_e32 v64, 2, v167
	ds_read_b32 v66, v64
	ds_read_b64 v[64:65], v104 offset:24576
	v_mov_b32_e32 v67, v4
	v_mov_b32_e32 v68, s83
	s_waitcnt lgkmcnt(1)
	v_add_u32_e32 v66, v66, v26
	v_lshlrev_b64 v[66:67], 3, v[66:67]
	v_add_co_u32_e32 v66, vcc, s82, v66
	v_addc_co_u32_e32 v67, vcc, v68, v67, vcc
	s_waitcnt lgkmcnt(0)
	global_store_dwordx2 v[66:67], v[64:65], off
	s_or_b64 exec, exec, s[36:37]
	s_and_saveexec_b64 s[36:37], s[62:63]
	s_cbranch_execnz .LBB1119_1185
.LBB1119_1170:                          ;   in Loop: Header=BB1119_982 Depth=2
	s_or_b64 exec, exec, s[36:37]
	s_and_saveexec_b64 s[36:37], s[64:65]
	s_cbranch_execz .LBB1119_1186
.LBB1119_1171:                          ;   in Loop: Header=BB1119_982 Depth=2
	v_lshlrev_b32_e32 v64, 2, v165
	ds_read_b32 v66, v64
	ds_read_b64 v[64:65], v104 offset:28672
	v_mov_b32_e32 v67, v4
	v_mov_b32_e32 v68, s83
	s_waitcnt lgkmcnt(1)
	v_add_u32_e32 v66, v66, v30
	v_lshlrev_b64 v[66:67], 3, v[66:67]
	v_add_co_u32_e32 v66, vcc, s82, v66
	v_addc_co_u32_e32 v67, vcc, v68, v67, vcc
	s_waitcnt lgkmcnt(0)
	global_store_dwordx2 v[66:67], v[64:65], off
	s_or_b64 exec, exec, s[36:37]
	s_and_saveexec_b64 s[36:37], s[66:67]
	s_cbranch_execnz .LBB1119_1187
	s_branch .LBB1119_1188
.LBB1119_1172:                          ;   in Loop: Header=BB1119_982 Depth=2
	s_or_b64 exec, exec, s[70:71]
	s_and_saveexec_b64 s[36:37], s[38:39]
	s_cbranch_execz .LBB1119_1158
.LBB1119_1173:                          ;   in Loop: Header=BB1119_982 Depth=2
	v_lshlrev_b32_e32 v64, 2, v181
	ds_read_b32 v66, v64
	ds_read_b64 v[64:65], v104 offset:2048
	v_mov_b32_e32 v67, v4
	v_mov_b32_e32 v68, s83
	s_waitcnt lgkmcnt(1)
	v_add_u32_e32 v66, v66, v7
	v_lshlrev_b64 v[66:67], 3, v[66:67]
	v_add_co_u32_e32 v66, vcc, s82, v66
	v_addc_co_u32_e32 v67, vcc, v68, v67, vcc
	s_waitcnt lgkmcnt(0)
	global_store_dwordx2 v[66:67], v[64:65], off
	s_or_b64 exec, exec, s[36:37]
	s_and_saveexec_b64 s[36:37], s[40:41]
	s_cbranch_execnz .LBB1119_1159
.LBB1119_1174:                          ;   in Loop: Header=BB1119_982 Depth=2
	s_or_b64 exec, exec, s[36:37]
	s_and_saveexec_b64 s[36:37], s[42:43]
	s_cbranch_execz .LBB1119_1160
.LBB1119_1175:                          ;   in Loop: Header=BB1119_982 Depth=2
	v_lshlrev_b32_e32 v64, 2, v179
	ds_read_b32 v66, v64
	ds_read_b64 v[64:65], v104 offset:6144
	v_mov_b32_e32 v67, v4
	v_mov_b32_e32 v68, s83
	s_waitcnt lgkmcnt(1)
	v_add_u32_e32 v66, v66, v8
	v_lshlrev_b64 v[66:67], 3, v[66:67]
	v_add_co_u32_e32 v66, vcc, s82, v66
	v_addc_co_u32_e32 v67, vcc, v68, v67, vcc
	s_waitcnt lgkmcnt(0)
	global_store_dwordx2 v[66:67], v[64:65], off
	s_or_b64 exec, exec, s[36:37]
	s_and_saveexec_b64 s[36:37], s[44:45]
	s_cbranch_execnz .LBB1119_1161
.LBB1119_1176:                          ;   in Loop: Header=BB1119_982 Depth=2
	s_or_b64 exec, exec, s[36:37]
	s_and_saveexec_b64 s[36:37], s[46:47]
	s_cbranch_execz .LBB1119_1162
.LBB1119_1177:                          ;   in Loop: Header=BB1119_982 Depth=2
	v_lshlrev_b32_e32 v64, 2, v176
	ds_read_b32 v66, v64
	ds_read_b64 v[64:65], v104 offset:10240
	v_mov_b32_e32 v67, v4
	v_mov_b32_e32 v68, s83
	s_waitcnt lgkmcnt(1)
	v_add_u32_e32 v66, v66, v12
	v_lshlrev_b64 v[66:67], 3, v[66:67]
	v_add_co_u32_e32 v66, vcc, s82, v66
	v_addc_co_u32_e32 v67, vcc, v68, v67, vcc
	s_waitcnt lgkmcnt(0)
	global_store_dwordx2 v[66:67], v[64:65], off
	s_or_b64 exec, exec, s[36:37]
	s_and_saveexec_b64 s[36:37], s[48:49]
	s_cbranch_execnz .LBB1119_1163
.LBB1119_1178:                          ;   in Loop: Header=BB1119_982 Depth=2
	s_or_b64 exec, exec, s[36:37]
	s_and_saveexec_b64 s[36:37], s[50:51]
	s_cbranch_execz .LBB1119_1164
.LBB1119_1179:                          ;   in Loop: Header=BB1119_982 Depth=2
	v_lshlrev_b32_e32 v64, 2, v174
	ds_read_b32 v66, v64
	ds_read_b64 v[64:65], v104 offset:14336
	v_mov_b32_e32 v67, v4
	v_mov_b32_e32 v68, s83
	s_waitcnt lgkmcnt(1)
	v_add_u32_e32 v66, v66, v16
	v_lshlrev_b64 v[66:67], 3, v[66:67]
	v_add_co_u32_e32 v66, vcc, s82, v66
	v_addc_co_u32_e32 v67, vcc, v68, v67, vcc
	s_waitcnt lgkmcnt(0)
	global_store_dwordx2 v[66:67], v[64:65], off
	s_or_b64 exec, exec, s[36:37]
	s_and_saveexec_b64 s[36:37], s[52:53]
	s_cbranch_execnz .LBB1119_1165
.LBB1119_1180:                          ;   in Loop: Header=BB1119_982 Depth=2
	s_or_b64 exec, exec, s[36:37]
	s_and_saveexec_b64 s[36:37], s[54:55]
	s_cbranch_execz .LBB1119_1166
.LBB1119_1181:                          ;   in Loop: Header=BB1119_982 Depth=2
	v_lshlrev_b32_e32 v64, 2, v171
	ds_read_b32 v66, v64
	ds_read_b64 v[64:65], v104 offset:18432
	v_mov_b32_e32 v67, v4
	v_mov_b32_e32 v68, s83
	s_waitcnt lgkmcnt(1)
	v_add_u32_e32 v66, v66, v20
	v_lshlrev_b64 v[66:67], 3, v[66:67]
	v_add_co_u32_e32 v66, vcc, s82, v66
	v_addc_co_u32_e32 v67, vcc, v68, v67, vcc
	s_waitcnt lgkmcnt(0)
	global_store_dwordx2 v[66:67], v[64:65], off
	s_or_b64 exec, exec, s[36:37]
	s_and_saveexec_b64 s[36:37], s[56:57]
	s_cbranch_execnz .LBB1119_1167
.LBB1119_1182:                          ;   in Loop: Header=BB1119_982 Depth=2
	s_or_b64 exec, exec, s[36:37]
	s_and_saveexec_b64 s[36:37], s[58:59]
	s_cbranch_execz .LBB1119_1168
.LBB1119_1183:                          ;   in Loop: Header=BB1119_982 Depth=2
	v_lshlrev_b32_e32 v64, 2, v168
	ds_read_b32 v66, v64
	ds_read_b64 v[64:65], v104 offset:22528
	v_mov_b32_e32 v67, v4
	v_mov_b32_e32 v68, s83
	s_waitcnt lgkmcnt(1)
	v_add_u32_e32 v66, v66, v24
	v_lshlrev_b64 v[66:67], 3, v[66:67]
	v_add_co_u32_e32 v66, vcc, s82, v66
	v_addc_co_u32_e32 v67, vcc, v68, v67, vcc
	s_waitcnt lgkmcnt(0)
	global_store_dwordx2 v[66:67], v[64:65], off
	s_or_b64 exec, exec, s[36:37]
	s_and_saveexec_b64 s[36:37], s[60:61]
	s_cbranch_execnz .LBB1119_1169
.LBB1119_1184:                          ;   in Loop: Header=BB1119_982 Depth=2
	s_or_b64 exec, exec, s[36:37]
	s_and_saveexec_b64 s[36:37], s[62:63]
	s_cbranch_execz .LBB1119_1170
.LBB1119_1185:                          ;   in Loop: Header=BB1119_982 Depth=2
	v_lshlrev_b32_e32 v64, 2, v166
	ds_read_b32 v66, v64
	ds_read_b64 v[64:65], v104 offset:26624
	v_mov_b32_e32 v67, v4
	v_mov_b32_e32 v68, s83
	s_waitcnt lgkmcnt(1)
	v_add_u32_e32 v66, v66, v28
	v_lshlrev_b64 v[66:67], 3, v[66:67]
	v_add_co_u32_e32 v66, vcc, s82, v66
	v_addc_co_u32_e32 v67, vcc, v68, v67, vcc
	s_waitcnt lgkmcnt(0)
	global_store_dwordx2 v[66:67], v[64:65], off
	s_or_b64 exec, exec, s[36:37]
	s_and_saveexec_b64 s[36:37], s[64:65]
	s_cbranch_execnz .LBB1119_1171
.LBB1119_1186:                          ;   in Loop: Header=BB1119_982 Depth=2
	s_or_b64 exec, exec, s[36:37]
	s_and_saveexec_b64 s[36:37], s[66:67]
	s_cbranch_execz .LBB1119_1188
.LBB1119_1187:                          ;   in Loop: Header=BB1119_982 Depth=2
	v_lshlrev_b32_e32 v64, 2, v164
	ds_read_b32 v66, v64
	ds_read_b64 v[64:65], v104 offset:30720
	v_mov_b32_e32 v67, v4
	v_mov_b32_e32 v68, s83
	s_waitcnt lgkmcnt(1)
	v_add_u32_e32 v66, v66, v32
	v_lshlrev_b64 v[66:67], 3, v[66:67]
	v_add_co_u32_e32 v66, vcc, s82, v66
	v_addc_co_u32_e32 v67, vcc, v68, v67, vcc
	s_waitcnt lgkmcnt(0)
	global_store_dwordx2 v[66:67], v[64:65], off
.LBB1119_1188:                          ;   in Loop: Header=BB1119_982 Depth=2
	s_or_b64 exec, exec, s[36:37]
	s_barrier
	s_and_saveexec_b64 s[36:37], s[4:5]
	s_cbranch_execz .LBB1119_981
; %bb.1189:                             ;   in Loop: Header=BB1119_982 Depth=2
	ds_read_b32 v64, v3
	s_waitcnt lgkmcnt(0)
	v_add_u32_e32 v5, v64, v5
	ds_write_b32 v3, v5
	s_branch .LBB1119_981
.LBB1119_1190:
	s_endpgm
	.section	.rodata,"a",@progbits
	.p2align	6, 0x0
	.amdhsa_kernel _ZN7rocprim17ROCPRIM_400000_NS6detail17trampoline_kernelINS0_14default_configENS1_36segmented_radix_sort_config_selectorIdlEEZNS1_25segmented_radix_sort_implIS3_Lb1EPKdPdPKlPlN2at6native12_GLOBAL__N_18offset_tEEE10hipError_tPvRmT1_PNSt15iterator_traitsISK_E10value_typeET2_T3_PNSL_ISQ_E10value_typeET4_jRbjT5_SW_jjP12ihipStream_tbEUlT_E_NS1_11comp_targetILNS1_3genE4ELNS1_11target_archE910ELNS1_3gpuE8ELNS1_3repE0EEENS1_30default_config_static_selectorELNS0_4arch9wavefront6targetE1EEEvSK_
		.amdhsa_group_segment_fixed_size 33808
		.amdhsa_private_segment_fixed_size 132
		.amdhsa_kernarg_size 352
		.amdhsa_user_sgpr_count 8
		.amdhsa_user_sgpr_private_segment_buffer 1
		.amdhsa_user_sgpr_dispatch_ptr 0
		.amdhsa_user_sgpr_queue_ptr 0
		.amdhsa_user_sgpr_kernarg_segment_ptr 1
		.amdhsa_user_sgpr_dispatch_id 0
		.amdhsa_user_sgpr_flat_scratch_init 1
		.amdhsa_user_sgpr_kernarg_preload_length 0
		.amdhsa_user_sgpr_kernarg_preload_offset 0
		.amdhsa_user_sgpr_private_segment_size 0
		.amdhsa_uses_dynamic_stack 0
		.amdhsa_system_sgpr_private_segment_wavefront_offset 1
		.amdhsa_system_sgpr_workgroup_id_x 1
		.amdhsa_system_sgpr_workgroup_id_y 1
		.amdhsa_system_sgpr_workgroup_id_z 0
		.amdhsa_system_sgpr_workgroup_info 0
		.amdhsa_system_vgpr_workitem_id 2
		.amdhsa_next_free_vgpr 280
		.amdhsa_next_free_sgpr 100
		.amdhsa_accum_offset 248
		.amdhsa_reserve_vcc 1
		.amdhsa_reserve_flat_scratch 1
		.amdhsa_float_round_mode_32 0
		.amdhsa_float_round_mode_16_64 0
		.amdhsa_float_denorm_mode_32 3
		.amdhsa_float_denorm_mode_16_64 3
		.amdhsa_dx10_clamp 1
		.amdhsa_ieee_mode 1
		.amdhsa_fp16_overflow 0
		.amdhsa_tg_split 0
		.amdhsa_exception_fp_ieee_invalid_op 0
		.amdhsa_exception_fp_denorm_src 0
		.amdhsa_exception_fp_ieee_div_zero 0
		.amdhsa_exception_fp_ieee_overflow 0
		.amdhsa_exception_fp_ieee_underflow 0
		.amdhsa_exception_fp_ieee_inexact 0
		.amdhsa_exception_int_div_zero 0
	.end_amdhsa_kernel
	.section	.text._ZN7rocprim17ROCPRIM_400000_NS6detail17trampoline_kernelINS0_14default_configENS1_36segmented_radix_sort_config_selectorIdlEEZNS1_25segmented_radix_sort_implIS3_Lb1EPKdPdPKlPlN2at6native12_GLOBAL__N_18offset_tEEE10hipError_tPvRmT1_PNSt15iterator_traitsISK_E10value_typeET2_T3_PNSL_ISQ_E10value_typeET4_jRbjT5_SW_jjP12ihipStream_tbEUlT_E_NS1_11comp_targetILNS1_3genE4ELNS1_11target_archE910ELNS1_3gpuE8ELNS1_3repE0EEENS1_30default_config_static_selectorELNS0_4arch9wavefront6targetE1EEEvSK_,"axG",@progbits,_ZN7rocprim17ROCPRIM_400000_NS6detail17trampoline_kernelINS0_14default_configENS1_36segmented_radix_sort_config_selectorIdlEEZNS1_25segmented_radix_sort_implIS3_Lb1EPKdPdPKlPlN2at6native12_GLOBAL__N_18offset_tEEE10hipError_tPvRmT1_PNSt15iterator_traitsISK_E10value_typeET2_T3_PNSL_ISQ_E10value_typeET4_jRbjT5_SW_jjP12ihipStream_tbEUlT_E_NS1_11comp_targetILNS1_3genE4ELNS1_11target_archE910ELNS1_3gpuE8ELNS1_3repE0EEENS1_30default_config_static_selectorELNS0_4arch9wavefront6targetE1EEEvSK_,comdat
.Lfunc_end1119:
	.size	_ZN7rocprim17ROCPRIM_400000_NS6detail17trampoline_kernelINS0_14default_configENS1_36segmented_radix_sort_config_selectorIdlEEZNS1_25segmented_radix_sort_implIS3_Lb1EPKdPdPKlPlN2at6native12_GLOBAL__N_18offset_tEEE10hipError_tPvRmT1_PNSt15iterator_traitsISK_E10value_typeET2_T3_PNSL_ISQ_E10value_typeET4_jRbjT5_SW_jjP12ihipStream_tbEUlT_E_NS1_11comp_targetILNS1_3genE4ELNS1_11target_archE910ELNS1_3gpuE8ELNS1_3repE0EEENS1_30default_config_static_selectorELNS0_4arch9wavefront6targetE1EEEvSK_, .Lfunc_end1119-_ZN7rocprim17ROCPRIM_400000_NS6detail17trampoline_kernelINS0_14default_configENS1_36segmented_radix_sort_config_selectorIdlEEZNS1_25segmented_radix_sort_implIS3_Lb1EPKdPdPKlPlN2at6native12_GLOBAL__N_18offset_tEEE10hipError_tPvRmT1_PNSt15iterator_traitsISK_E10value_typeET2_T3_PNSL_ISQ_E10value_typeET4_jRbjT5_SW_jjP12ihipStream_tbEUlT_E_NS1_11comp_targetILNS1_3genE4ELNS1_11target_archE910ELNS1_3gpuE8ELNS1_3repE0EEENS1_30default_config_static_selectorELNS0_4arch9wavefront6targetE1EEEvSK_
                                        ; -- End function
	.section	.AMDGPU.csdata,"",@progbits
; Kernel info:
; codeLenInByte = 74052
; NumSgprs: 106
; NumVgprs: 248
; NumAgprs: 32
; TotalNumVgprs: 280
; ScratchSize: 132
; MemoryBound: 0
; FloatMode: 240
; IeeeMode: 1
; LDSByteSize: 33808 bytes/workgroup (compile time only)
; SGPRBlocks: 13
; VGPRBlocks: 34
; NumSGPRsForWavesPerEU: 106
; NumVGPRsForWavesPerEU: 280
; AccumOffset: 248
; Occupancy: 1
; WaveLimiterHint : 1
; COMPUTE_PGM_RSRC2:SCRATCH_EN: 1
; COMPUTE_PGM_RSRC2:USER_SGPR: 8
; COMPUTE_PGM_RSRC2:TRAP_HANDLER: 0
; COMPUTE_PGM_RSRC2:TGID_X_EN: 1
; COMPUTE_PGM_RSRC2:TGID_Y_EN: 1
; COMPUTE_PGM_RSRC2:TGID_Z_EN: 0
; COMPUTE_PGM_RSRC2:TIDIG_COMP_CNT: 2
; COMPUTE_PGM_RSRC3_GFX90A:ACCUM_OFFSET: 61
; COMPUTE_PGM_RSRC3_GFX90A:TG_SPLIT: 0
	.section	.text._ZN7rocprim17ROCPRIM_400000_NS6detail17trampoline_kernelINS0_14default_configENS1_36segmented_radix_sort_config_selectorIdlEEZNS1_25segmented_radix_sort_implIS3_Lb1EPKdPdPKlPlN2at6native12_GLOBAL__N_18offset_tEEE10hipError_tPvRmT1_PNSt15iterator_traitsISK_E10value_typeET2_T3_PNSL_ISQ_E10value_typeET4_jRbjT5_SW_jjP12ihipStream_tbEUlT_E_NS1_11comp_targetILNS1_3genE3ELNS1_11target_archE908ELNS1_3gpuE7ELNS1_3repE0EEENS1_30default_config_static_selectorELNS0_4arch9wavefront6targetE1EEEvSK_,"axG",@progbits,_ZN7rocprim17ROCPRIM_400000_NS6detail17trampoline_kernelINS0_14default_configENS1_36segmented_radix_sort_config_selectorIdlEEZNS1_25segmented_radix_sort_implIS3_Lb1EPKdPdPKlPlN2at6native12_GLOBAL__N_18offset_tEEE10hipError_tPvRmT1_PNSt15iterator_traitsISK_E10value_typeET2_T3_PNSL_ISQ_E10value_typeET4_jRbjT5_SW_jjP12ihipStream_tbEUlT_E_NS1_11comp_targetILNS1_3genE3ELNS1_11target_archE908ELNS1_3gpuE7ELNS1_3repE0EEENS1_30default_config_static_selectorELNS0_4arch9wavefront6targetE1EEEvSK_,comdat
	.globl	_ZN7rocprim17ROCPRIM_400000_NS6detail17trampoline_kernelINS0_14default_configENS1_36segmented_radix_sort_config_selectorIdlEEZNS1_25segmented_radix_sort_implIS3_Lb1EPKdPdPKlPlN2at6native12_GLOBAL__N_18offset_tEEE10hipError_tPvRmT1_PNSt15iterator_traitsISK_E10value_typeET2_T3_PNSL_ISQ_E10value_typeET4_jRbjT5_SW_jjP12ihipStream_tbEUlT_E_NS1_11comp_targetILNS1_3genE3ELNS1_11target_archE908ELNS1_3gpuE7ELNS1_3repE0EEENS1_30default_config_static_selectorELNS0_4arch9wavefront6targetE1EEEvSK_ ; -- Begin function _ZN7rocprim17ROCPRIM_400000_NS6detail17trampoline_kernelINS0_14default_configENS1_36segmented_radix_sort_config_selectorIdlEEZNS1_25segmented_radix_sort_implIS3_Lb1EPKdPdPKlPlN2at6native12_GLOBAL__N_18offset_tEEE10hipError_tPvRmT1_PNSt15iterator_traitsISK_E10value_typeET2_T3_PNSL_ISQ_E10value_typeET4_jRbjT5_SW_jjP12ihipStream_tbEUlT_E_NS1_11comp_targetILNS1_3genE3ELNS1_11target_archE908ELNS1_3gpuE7ELNS1_3repE0EEENS1_30default_config_static_selectorELNS0_4arch9wavefront6targetE1EEEvSK_
	.p2align	8
	.type	_ZN7rocprim17ROCPRIM_400000_NS6detail17trampoline_kernelINS0_14default_configENS1_36segmented_radix_sort_config_selectorIdlEEZNS1_25segmented_radix_sort_implIS3_Lb1EPKdPdPKlPlN2at6native12_GLOBAL__N_18offset_tEEE10hipError_tPvRmT1_PNSt15iterator_traitsISK_E10value_typeET2_T3_PNSL_ISQ_E10value_typeET4_jRbjT5_SW_jjP12ihipStream_tbEUlT_E_NS1_11comp_targetILNS1_3genE3ELNS1_11target_archE908ELNS1_3gpuE7ELNS1_3repE0EEENS1_30default_config_static_selectorELNS0_4arch9wavefront6targetE1EEEvSK_,@function
_ZN7rocprim17ROCPRIM_400000_NS6detail17trampoline_kernelINS0_14default_configENS1_36segmented_radix_sort_config_selectorIdlEEZNS1_25segmented_radix_sort_implIS3_Lb1EPKdPdPKlPlN2at6native12_GLOBAL__N_18offset_tEEE10hipError_tPvRmT1_PNSt15iterator_traitsISK_E10value_typeET2_T3_PNSL_ISQ_E10value_typeET4_jRbjT5_SW_jjP12ihipStream_tbEUlT_E_NS1_11comp_targetILNS1_3genE3ELNS1_11target_archE908ELNS1_3gpuE7ELNS1_3repE0EEENS1_30default_config_static_selectorELNS0_4arch9wavefront6targetE1EEEvSK_: ; @_ZN7rocprim17ROCPRIM_400000_NS6detail17trampoline_kernelINS0_14default_configENS1_36segmented_radix_sort_config_selectorIdlEEZNS1_25segmented_radix_sort_implIS3_Lb1EPKdPdPKlPlN2at6native12_GLOBAL__N_18offset_tEEE10hipError_tPvRmT1_PNSt15iterator_traitsISK_E10value_typeET2_T3_PNSL_ISQ_E10value_typeET4_jRbjT5_SW_jjP12ihipStream_tbEUlT_E_NS1_11comp_targetILNS1_3genE3ELNS1_11target_archE908ELNS1_3gpuE7ELNS1_3repE0EEENS1_30default_config_static_selectorELNS0_4arch9wavefront6targetE1EEEvSK_
; %bb.0:
	.section	.rodata,"a",@progbits
	.p2align	6, 0x0
	.amdhsa_kernel _ZN7rocprim17ROCPRIM_400000_NS6detail17trampoline_kernelINS0_14default_configENS1_36segmented_radix_sort_config_selectorIdlEEZNS1_25segmented_radix_sort_implIS3_Lb1EPKdPdPKlPlN2at6native12_GLOBAL__N_18offset_tEEE10hipError_tPvRmT1_PNSt15iterator_traitsISK_E10value_typeET2_T3_PNSL_ISQ_E10value_typeET4_jRbjT5_SW_jjP12ihipStream_tbEUlT_E_NS1_11comp_targetILNS1_3genE3ELNS1_11target_archE908ELNS1_3gpuE7ELNS1_3repE0EEENS1_30default_config_static_selectorELNS0_4arch9wavefront6targetE1EEEvSK_
		.amdhsa_group_segment_fixed_size 0
		.amdhsa_private_segment_fixed_size 0
		.amdhsa_kernarg_size 96
		.amdhsa_user_sgpr_count 6
		.amdhsa_user_sgpr_private_segment_buffer 1
		.amdhsa_user_sgpr_dispatch_ptr 0
		.amdhsa_user_sgpr_queue_ptr 0
		.amdhsa_user_sgpr_kernarg_segment_ptr 1
		.amdhsa_user_sgpr_dispatch_id 0
		.amdhsa_user_sgpr_flat_scratch_init 0
		.amdhsa_user_sgpr_kernarg_preload_length 0
		.amdhsa_user_sgpr_kernarg_preload_offset 0
		.amdhsa_user_sgpr_private_segment_size 0
		.amdhsa_uses_dynamic_stack 0
		.amdhsa_system_sgpr_private_segment_wavefront_offset 0
		.amdhsa_system_sgpr_workgroup_id_x 1
		.amdhsa_system_sgpr_workgroup_id_y 0
		.amdhsa_system_sgpr_workgroup_id_z 0
		.amdhsa_system_sgpr_workgroup_info 0
		.amdhsa_system_vgpr_workitem_id 0
		.amdhsa_next_free_vgpr 1
		.amdhsa_next_free_sgpr 0
		.amdhsa_accum_offset 4
		.amdhsa_reserve_vcc 0
		.amdhsa_reserve_flat_scratch 0
		.amdhsa_float_round_mode_32 0
		.amdhsa_float_round_mode_16_64 0
		.amdhsa_float_denorm_mode_32 3
		.amdhsa_float_denorm_mode_16_64 3
		.amdhsa_dx10_clamp 1
		.amdhsa_ieee_mode 1
		.amdhsa_fp16_overflow 0
		.amdhsa_tg_split 0
		.amdhsa_exception_fp_ieee_invalid_op 0
		.amdhsa_exception_fp_denorm_src 0
		.amdhsa_exception_fp_ieee_div_zero 0
		.amdhsa_exception_fp_ieee_overflow 0
		.amdhsa_exception_fp_ieee_underflow 0
		.amdhsa_exception_fp_ieee_inexact 0
		.amdhsa_exception_int_div_zero 0
	.end_amdhsa_kernel
	.section	.text._ZN7rocprim17ROCPRIM_400000_NS6detail17trampoline_kernelINS0_14default_configENS1_36segmented_radix_sort_config_selectorIdlEEZNS1_25segmented_radix_sort_implIS3_Lb1EPKdPdPKlPlN2at6native12_GLOBAL__N_18offset_tEEE10hipError_tPvRmT1_PNSt15iterator_traitsISK_E10value_typeET2_T3_PNSL_ISQ_E10value_typeET4_jRbjT5_SW_jjP12ihipStream_tbEUlT_E_NS1_11comp_targetILNS1_3genE3ELNS1_11target_archE908ELNS1_3gpuE7ELNS1_3repE0EEENS1_30default_config_static_selectorELNS0_4arch9wavefront6targetE1EEEvSK_,"axG",@progbits,_ZN7rocprim17ROCPRIM_400000_NS6detail17trampoline_kernelINS0_14default_configENS1_36segmented_radix_sort_config_selectorIdlEEZNS1_25segmented_radix_sort_implIS3_Lb1EPKdPdPKlPlN2at6native12_GLOBAL__N_18offset_tEEE10hipError_tPvRmT1_PNSt15iterator_traitsISK_E10value_typeET2_T3_PNSL_ISQ_E10value_typeET4_jRbjT5_SW_jjP12ihipStream_tbEUlT_E_NS1_11comp_targetILNS1_3genE3ELNS1_11target_archE908ELNS1_3gpuE7ELNS1_3repE0EEENS1_30default_config_static_selectorELNS0_4arch9wavefront6targetE1EEEvSK_,comdat
.Lfunc_end1120:
	.size	_ZN7rocprim17ROCPRIM_400000_NS6detail17trampoline_kernelINS0_14default_configENS1_36segmented_radix_sort_config_selectorIdlEEZNS1_25segmented_radix_sort_implIS3_Lb1EPKdPdPKlPlN2at6native12_GLOBAL__N_18offset_tEEE10hipError_tPvRmT1_PNSt15iterator_traitsISK_E10value_typeET2_T3_PNSL_ISQ_E10value_typeET4_jRbjT5_SW_jjP12ihipStream_tbEUlT_E_NS1_11comp_targetILNS1_3genE3ELNS1_11target_archE908ELNS1_3gpuE7ELNS1_3repE0EEENS1_30default_config_static_selectorELNS0_4arch9wavefront6targetE1EEEvSK_, .Lfunc_end1120-_ZN7rocprim17ROCPRIM_400000_NS6detail17trampoline_kernelINS0_14default_configENS1_36segmented_radix_sort_config_selectorIdlEEZNS1_25segmented_radix_sort_implIS3_Lb1EPKdPdPKlPlN2at6native12_GLOBAL__N_18offset_tEEE10hipError_tPvRmT1_PNSt15iterator_traitsISK_E10value_typeET2_T3_PNSL_ISQ_E10value_typeET4_jRbjT5_SW_jjP12ihipStream_tbEUlT_E_NS1_11comp_targetILNS1_3genE3ELNS1_11target_archE908ELNS1_3gpuE7ELNS1_3repE0EEENS1_30default_config_static_selectorELNS0_4arch9wavefront6targetE1EEEvSK_
                                        ; -- End function
	.section	.AMDGPU.csdata,"",@progbits
; Kernel info:
; codeLenInByte = 0
; NumSgprs: 4
; NumVgprs: 0
; NumAgprs: 0
; TotalNumVgprs: 0
; ScratchSize: 0
; MemoryBound: 0
; FloatMode: 240
; IeeeMode: 1
; LDSByteSize: 0 bytes/workgroup (compile time only)
; SGPRBlocks: 0
; VGPRBlocks: 0
; NumSGPRsForWavesPerEU: 4
; NumVGPRsForWavesPerEU: 1
; AccumOffset: 4
; Occupancy: 8
; WaveLimiterHint : 0
; COMPUTE_PGM_RSRC2:SCRATCH_EN: 0
; COMPUTE_PGM_RSRC2:USER_SGPR: 6
; COMPUTE_PGM_RSRC2:TRAP_HANDLER: 0
; COMPUTE_PGM_RSRC2:TGID_X_EN: 1
; COMPUTE_PGM_RSRC2:TGID_Y_EN: 0
; COMPUTE_PGM_RSRC2:TGID_Z_EN: 0
; COMPUTE_PGM_RSRC2:TIDIG_COMP_CNT: 0
; COMPUTE_PGM_RSRC3_GFX90A:ACCUM_OFFSET: 0
; COMPUTE_PGM_RSRC3_GFX90A:TG_SPLIT: 0
	.section	.text._ZN7rocprim17ROCPRIM_400000_NS6detail17trampoline_kernelINS0_14default_configENS1_36segmented_radix_sort_config_selectorIdlEEZNS1_25segmented_radix_sort_implIS3_Lb1EPKdPdPKlPlN2at6native12_GLOBAL__N_18offset_tEEE10hipError_tPvRmT1_PNSt15iterator_traitsISK_E10value_typeET2_T3_PNSL_ISQ_E10value_typeET4_jRbjT5_SW_jjP12ihipStream_tbEUlT_E_NS1_11comp_targetILNS1_3genE2ELNS1_11target_archE906ELNS1_3gpuE6ELNS1_3repE0EEENS1_30default_config_static_selectorELNS0_4arch9wavefront6targetE1EEEvSK_,"axG",@progbits,_ZN7rocprim17ROCPRIM_400000_NS6detail17trampoline_kernelINS0_14default_configENS1_36segmented_radix_sort_config_selectorIdlEEZNS1_25segmented_radix_sort_implIS3_Lb1EPKdPdPKlPlN2at6native12_GLOBAL__N_18offset_tEEE10hipError_tPvRmT1_PNSt15iterator_traitsISK_E10value_typeET2_T3_PNSL_ISQ_E10value_typeET4_jRbjT5_SW_jjP12ihipStream_tbEUlT_E_NS1_11comp_targetILNS1_3genE2ELNS1_11target_archE906ELNS1_3gpuE6ELNS1_3repE0EEENS1_30default_config_static_selectorELNS0_4arch9wavefront6targetE1EEEvSK_,comdat
	.globl	_ZN7rocprim17ROCPRIM_400000_NS6detail17trampoline_kernelINS0_14default_configENS1_36segmented_radix_sort_config_selectorIdlEEZNS1_25segmented_radix_sort_implIS3_Lb1EPKdPdPKlPlN2at6native12_GLOBAL__N_18offset_tEEE10hipError_tPvRmT1_PNSt15iterator_traitsISK_E10value_typeET2_T3_PNSL_ISQ_E10value_typeET4_jRbjT5_SW_jjP12ihipStream_tbEUlT_E_NS1_11comp_targetILNS1_3genE2ELNS1_11target_archE906ELNS1_3gpuE6ELNS1_3repE0EEENS1_30default_config_static_selectorELNS0_4arch9wavefront6targetE1EEEvSK_ ; -- Begin function _ZN7rocprim17ROCPRIM_400000_NS6detail17trampoline_kernelINS0_14default_configENS1_36segmented_radix_sort_config_selectorIdlEEZNS1_25segmented_radix_sort_implIS3_Lb1EPKdPdPKlPlN2at6native12_GLOBAL__N_18offset_tEEE10hipError_tPvRmT1_PNSt15iterator_traitsISK_E10value_typeET2_T3_PNSL_ISQ_E10value_typeET4_jRbjT5_SW_jjP12ihipStream_tbEUlT_E_NS1_11comp_targetILNS1_3genE2ELNS1_11target_archE906ELNS1_3gpuE6ELNS1_3repE0EEENS1_30default_config_static_selectorELNS0_4arch9wavefront6targetE1EEEvSK_
	.p2align	8
	.type	_ZN7rocprim17ROCPRIM_400000_NS6detail17trampoline_kernelINS0_14default_configENS1_36segmented_radix_sort_config_selectorIdlEEZNS1_25segmented_radix_sort_implIS3_Lb1EPKdPdPKlPlN2at6native12_GLOBAL__N_18offset_tEEE10hipError_tPvRmT1_PNSt15iterator_traitsISK_E10value_typeET2_T3_PNSL_ISQ_E10value_typeET4_jRbjT5_SW_jjP12ihipStream_tbEUlT_E_NS1_11comp_targetILNS1_3genE2ELNS1_11target_archE906ELNS1_3gpuE6ELNS1_3repE0EEENS1_30default_config_static_selectorELNS0_4arch9wavefront6targetE1EEEvSK_,@function
_ZN7rocprim17ROCPRIM_400000_NS6detail17trampoline_kernelINS0_14default_configENS1_36segmented_radix_sort_config_selectorIdlEEZNS1_25segmented_radix_sort_implIS3_Lb1EPKdPdPKlPlN2at6native12_GLOBAL__N_18offset_tEEE10hipError_tPvRmT1_PNSt15iterator_traitsISK_E10value_typeET2_T3_PNSL_ISQ_E10value_typeET4_jRbjT5_SW_jjP12ihipStream_tbEUlT_E_NS1_11comp_targetILNS1_3genE2ELNS1_11target_archE906ELNS1_3gpuE6ELNS1_3repE0EEENS1_30default_config_static_selectorELNS0_4arch9wavefront6targetE1EEEvSK_: ; @_ZN7rocprim17ROCPRIM_400000_NS6detail17trampoline_kernelINS0_14default_configENS1_36segmented_radix_sort_config_selectorIdlEEZNS1_25segmented_radix_sort_implIS3_Lb1EPKdPdPKlPlN2at6native12_GLOBAL__N_18offset_tEEE10hipError_tPvRmT1_PNSt15iterator_traitsISK_E10value_typeET2_T3_PNSL_ISQ_E10value_typeET4_jRbjT5_SW_jjP12ihipStream_tbEUlT_E_NS1_11comp_targetILNS1_3genE2ELNS1_11target_archE906ELNS1_3gpuE6ELNS1_3repE0EEENS1_30default_config_static_selectorELNS0_4arch9wavefront6targetE1EEEvSK_
; %bb.0:
	.section	.rodata,"a",@progbits
	.p2align	6, 0x0
	.amdhsa_kernel _ZN7rocprim17ROCPRIM_400000_NS6detail17trampoline_kernelINS0_14default_configENS1_36segmented_radix_sort_config_selectorIdlEEZNS1_25segmented_radix_sort_implIS3_Lb1EPKdPdPKlPlN2at6native12_GLOBAL__N_18offset_tEEE10hipError_tPvRmT1_PNSt15iterator_traitsISK_E10value_typeET2_T3_PNSL_ISQ_E10value_typeET4_jRbjT5_SW_jjP12ihipStream_tbEUlT_E_NS1_11comp_targetILNS1_3genE2ELNS1_11target_archE906ELNS1_3gpuE6ELNS1_3repE0EEENS1_30default_config_static_selectorELNS0_4arch9wavefront6targetE1EEEvSK_
		.amdhsa_group_segment_fixed_size 0
		.amdhsa_private_segment_fixed_size 0
		.amdhsa_kernarg_size 96
		.amdhsa_user_sgpr_count 6
		.amdhsa_user_sgpr_private_segment_buffer 1
		.amdhsa_user_sgpr_dispatch_ptr 0
		.amdhsa_user_sgpr_queue_ptr 0
		.amdhsa_user_sgpr_kernarg_segment_ptr 1
		.amdhsa_user_sgpr_dispatch_id 0
		.amdhsa_user_sgpr_flat_scratch_init 0
		.amdhsa_user_sgpr_kernarg_preload_length 0
		.amdhsa_user_sgpr_kernarg_preload_offset 0
		.amdhsa_user_sgpr_private_segment_size 0
		.amdhsa_uses_dynamic_stack 0
		.amdhsa_system_sgpr_private_segment_wavefront_offset 0
		.amdhsa_system_sgpr_workgroup_id_x 1
		.amdhsa_system_sgpr_workgroup_id_y 0
		.amdhsa_system_sgpr_workgroup_id_z 0
		.amdhsa_system_sgpr_workgroup_info 0
		.amdhsa_system_vgpr_workitem_id 0
		.amdhsa_next_free_vgpr 1
		.amdhsa_next_free_sgpr 0
		.amdhsa_accum_offset 4
		.amdhsa_reserve_vcc 0
		.amdhsa_reserve_flat_scratch 0
		.amdhsa_float_round_mode_32 0
		.amdhsa_float_round_mode_16_64 0
		.amdhsa_float_denorm_mode_32 3
		.amdhsa_float_denorm_mode_16_64 3
		.amdhsa_dx10_clamp 1
		.amdhsa_ieee_mode 1
		.amdhsa_fp16_overflow 0
		.amdhsa_tg_split 0
		.amdhsa_exception_fp_ieee_invalid_op 0
		.amdhsa_exception_fp_denorm_src 0
		.amdhsa_exception_fp_ieee_div_zero 0
		.amdhsa_exception_fp_ieee_overflow 0
		.amdhsa_exception_fp_ieee_underflow 0
		.amdhsa_exception_fp_ieee_inexact 0
		.amdhsa_exception_int_div_zero 0
	.end_amdhsa_kernel
	.section	.text._ZN7rocprim17ROCPRIM_400000_NS6detail17trampoline_kernelINS0_14default_configENS1_36segmented_radix_sort_config_selectorIdlEEZNS1_25segmented_radix_sort_implIS3_Lb1EPKdPdPKlPlN2at6native12_GLOBAL__N_18offset_tEEE10hipError_tPvRmT1_PNSt15iterator_traitsISK_E10value_typeET2_T3_PNSL_ISQ_E10value_typeET4_jRbjT5_SW_jjP12ihipStream_tbEUlT_E_NS1_11comp_targetILNS1_3genE2ELNS1_11target_archE906ELNS1_3gpuE6ELNS1_3repE0EEENS1_30default_config_static_selectorELNS0_4arch9wavefront6targetE1EEEvSK_,"axG",@progbits,_ZN7rocprim17ROCPRIM_400000_NS6detail17trampoline_kernelINS0_14default_configENS1_36segmented_radix_sort_config_selectorIdlEEZNS1_25segmented_radix_sort_implIS3_Lb1EPKdPdPKlPlN2at6native12_GLOBAL__N_18offset_tEEE10hipError_tPvRmT1_PNSt15iterator_traitsISK_E10value_typeET2_T3_PNSL_ISQ_E10value_typeET4_jRbjT5_SW_jjP12ihipStream_tbEUlT_E_NS1_11comp_targetILNS1_3genE2ELNS1_11target_archE906ELNS1_3gpuE6ELNS1_3repE0EEENS1_30default_config_static_selectorELNS0_4arch9wavefront6targetE1EEEvSK_,comdat
.Lfunc_end1121:
	.size	_ZN7rocprim17ROCPRIM_400000_NS6detail17trampoline_kernelINS0_14default_configENS1_36segmented_radix_sort_config_selectorIdlEEZNS1_25segmented_radix_sort_implIS3_Lb1EPKdPdPKlPlN2at6native12_GLOBAL__N_18offset_tEEE10hipError_tPvRmT1_PNSt15iterator_traitsISK_E10value_typeET2_T3_PNSL_ISQ_E10value_typeET4_jRbjT5_SW_jjP12ihipStream_tbEUlT_E_NS1_11comp_targetILNS1_3genE2ELNS1_11target_archE906ELNS1_3gpuE6ELNS1_3repE0EEENS1_30default_config_static_selectorELNS0_4arch9wavefront6targetE1EEEvSK_, .Lfunc_end1121-_ZN7rocprim17ROCPRIM_400000_NS6detail17trampoline_kernelINS0_14default_configENS1_36segmented_radix_sort_config_selectorIdlEEZNS1_25segmented_radix_sort_implIS3_Lb1EPKdPdPKlPlN2at6native12_GLOBAL__N_18offset_tEEE10hipError_tPvRmT1_PNSt15iterator_traitsISK_E10value_typeET2_T3_PNSL_ISQ_E10value_typeET4_jRbjT5_SW_jjP12ihipStream_tbEUlT_E_NS1_11comp_targetILNS1_3genE2ELNS1_11target_archE906ELNS1_3gpuE6ELNS1_3repE0EEENS1_30default_config_static_selectorELNS0_4arch9wavefront6targetE1EEEvSK_
                                        ; -- End function
	.section	.AMDGPU.csdata,"",@progbits
; Kernel info:
; codeLenInByte = 0
; NumSgprs: 4
; NumVgprs: 0
; NumAgprs: 0
; TotalNumVgprs: 0
; ScratchSize: 0
; MemoryBound: 0
; FloatMode: 240
; IeeeMode: 1
; LDSByteSize: 0 bytes/workgroup (compile time only)
; SGPRBlocks: 0
; VGPRBlocks: 0
; NumSGPRsForWavesPerEU: 4
; NumVGPRsForWavesPerEU: 1
; AccumOffset: 4
; Occupancy: 8
; WaveLimiterHint : 0
; COMPUTE_PGM_RSRC2:SCRATCH_EN: 0
; COMPUTE_PGM_RSRC2:USER_SGPR: 6
; COMPUTE_PGM_RSRC2:TRAP_HANDLER: 0
; COMPUTE_PGM_RSRC2:TGID_X_EN: 1
; COMPUTE_PGM_RSRC2:TGID_Y_EN: 0
; COMPUTE_PGM_RSRC2:TGID_Z_EN: 0
; COMPUTE_PGM_RSRC2:TIDIG_COMP_CNT: 0
; COMPUTE_PGM_RSRC3_GFX90A:ACCUM_OFFSET: 0
; COMPUTE_PGM_RSRC3_GFX90A:TG_SPLIT: 0
	.section	.text._ZN7rocprim17ROCPRIM_400000_NS6detail17trampoline_kernelINS0_14default_configENS1_36segmented_radix_sort_config_selectorIdlEEZNS1_25segmented_radix_sort_implIS3_Lb1EPKdPdPKlPlN2at6native12_GLOBAL__N_18offset_tEEE10hipError_tPvRmT1_PNSt15iterator_traitsISK_E10value_typeET2_T3_PNSL_ISQ_E10value_typeET4_jRbjT5_SW_jjP12ihipStream_tbEUlT_E_NS1_11comp_targetILNS1_3genE10ELNS1_11target_archE1201ELNS1_3gpuE5ELNS1_3repE0EEENS1_30default_config_static_selectorELNS0_4arch9wavefront6targetE1EEEvSK_,"axG",@progbits,_ZN7rocprim17ROCPRIM_400000_NS6detail17trampoline_kernelINS0_14default_configENS1_36segmented_radix_sort_config_selectorIdlEEZNS1_25segmented_radix_sort_implIS3_Lb1EPKdPdPKlPlN2at6native12_GLOBAL__N_18offset_tEEE10hipError_tPvRmT1_PNSt15iterator_traitsISK_E10value_typeET2_T3_PNSL_ISQ_E10value_typeET4_jRbjT5_SW_jjP12ihipStream_tbEUlT_E_NS1_11comp_targetILNS1_3genE10ELNS1_11target_archE1201ELNS1_3gpuE5ELNS1_3repE0EEENS1_30default_config_static_selectorELNS0_4arch9wavefront6targetE1EEEvSK_,comdat
	.globl	_ZN7rocprim17ROCPRIM_400000_NS6detail17trampoline_kernelINS0_14default_configENS1_36segmented_radix_sort_config_selectorIdlEEZNS1_25segmented_radix_sort_implIS3_Lb1EPKdPdPKlPlN2at6native12_GLOBAL__N_18offset_tEEE10hipError_tPvRmT1_PNSt15iterator_traitsISK_E10value_typeET2_T3_PNSL_ISQ_E10value_typeET4_jRbjT5_SW_jjP12ihipStream_tbEUlT_E_NS1_11comp_targetILNS1_3genE10ELNS1_11target_archE1201ELNS1_3gpuE5ELNS1_3repE0EEENS1_30default_config_static_selectorELNS0_4arch9wavefront6targetE1EEEvSK_ ; -- Begin function _ZN7rocprim17ROCPRIM_400000_NS6detail17trampoline_kernelINS0_14default_configENS1_36segmented_radix_sort_config_selectorIdlEEZNS1_25segmented_radix_sort_implIS3_Lb1EPKdPdPKlPlN2at6native12_GLOBAL__N_18offset_tEEE10hipError_tPvRmT1_PNSt15iterator_traitsISK_E10value_typeET2_T3_PNSL_ISQ_E10value_typeET4_jRbjT5_SW_jjP12ihipStream_tbEUlT_E_NS1_11comp_targetILNS1_3genE10ELNS1_11target_archE1201ELNS1_3gpuE5ELNS1_3repE0EEENS1_30default_config_static_selectorELNS0_4arch9wavefront6targetE1EEEvSK_
	.p2align	8
	.type	_ZN7rocprim17ROCPRIM_400000_NS6detail17trampoline_kernelINS0_14default_configENS1_36segmented_radix_sort_config_selectorIdlEEZNS1_25segmented_radix_sort_implIS3_Lb1EPKdPdPKlPlN2at6native12_GLOBAL__N_18offset_tEEE10hipError_tPvRmT1_PNSt15iterator_traitsISK_E10value_typeET2_T3_PNSL_ISQ_E10value_typeET4_jRbjT5_SW_jjP12ihipStream_tbEUlT_E_NS1_11comp_targetILNS1_3genE10ELNS1_11target_archE1201ELNS1_3gpuE5ELNS1_3repE0EEENS1_30default_config_static_selectorELNS0_4arch9wavefront6targetE1EEEvSK_,@function
_ZN7rocprim17ROCPRIM_400000_NS6detail17trampoline_kernelINS0_14default_configENS1_36segmented_radix_sort_config_selectorIdlEEZNS1_25segmented_radix_sort_implIS3_Lb1EPKdPdPKlPlN2at6native12_GLOBAL__N_18offset_tEEE10hipError_tPvRmT1_PNSt15iterator_traitsISK_E10value_typeET2_T3_PNSL_ISQ_E10value_typeET4_jRbjT5_SW_jjP12ihipStream_tbEUlT_E_NS1_11comp_targetILNS1_3genE10ELNS1_11target_archE1201ELNS1_3gpuE5ELNS1_3repE0EEENS1_30default_config_static_selectorELNS0_4arch9wavefront6targetE1EEEvSK_: ; @_ZN7rocprim17ROCPRIM_400000_NS6detail17trampoline_kernelINS0_14default_configENS1_36segmented_radix_sort_config_selectorIdlEEZNS1_25segmented_radix_sort_implIS3_Lb1EPKdPdPKlPlN2at6native12_GLOBAL__N_18offset_tEEE10hipError_tPvRmT1_PNSt15iterator_traitsISK_E10value_typeET2_T3_PNSL_ISQ_E10value_typeET4_jRbjT5_SW_jjP12ihipStream_tbEUlT_E_NS1_11comp_targetILNS1_3genE10ELNS1_11target_archE1201ELNS1_3gpuE5ELNS1_3repE0EEENS1_30default_config_static_selectorELNS0_4arch9wavefront6targetE1EEEvSK_
; %bb.0:
	.section	.rodata,"a",@progbits
	.p2align	6, 0x0
	.amdhsa_kernel _ZN7rocprim17ROCPRIM_400000_NS6detail17trampoline_kernelINS0_14default_configENS1_36segmented_radix_sort_config_selectorIdlEEZNS1_25segmented_radix_sort_implIS3_Lb1EPKdPdPKlPlN2at6native12_GLOBAL__N_18offset_tEEE10hipError_tPvRmT1_PNSt15iterator_traitsISK_E10value_typeET2_T3_PNSL_ISQ_E10value_typeET4_jRbjT5_SW_jjP12ihipStream_tbEUlT_E_NS1_11comp_targetILNS1_3genE10ELNS1_11target_archE1201ELNS1_3gpuE5ELNS1_3repE0EEENS1_30default_config_static_selectorELNS0_4arch9wavefront6targetE1EEEvSK_
		.amdhsa_group_segment_fixed_size 0
		.amdhsa_private_segment_fixed_size 0
		.amdhsa_kernarg_size 96
		.amdhsa_user_sgpr_count 6
		.amdhsa_user_sgpr_private_segment_buffer 1
		.amdhsa_user_sgpr_dispatch_ptr 0
		.amdhsa_user_sgpr_queue_ptr 0
		.amdhsa_user_sgpr_kernarg_segment_ptr 1
		.amdhsa_user_sgpr_dispatch_id 0
		.amdhsa_user_sgpr_flat_scratch_init 0
		.amdhsa_user_sgpr_kernarg_preload_length 0
		.amdhsa_user_sgpr_kernarg_preload_offset 0
		.amdhsa_user_sgpr_private_segment_size 0
		.amdhsa_uses_dynamic_stack 0
		.amdhsa_system_sgpr_private_segment_wavefront_offset 0
		.amdhsa_system_sgpr_workgroup_id_x 1
		.amdhsa_system_sgpr_workgroup_id_y 0
		.amdhsa_system_sgpr_workgroup_id_z 0
		.amdhsa_system_sgpr_workgroup_info 0
		.amdhsa_system_vgpr_workitem_id 0
		.amdhsa_next_free_vgpr 1
		.amdhsa_next_free_sgpr 0
		.amdhsa_accum_offset 4
		.amdhsa_reserve_vcc 0
		.amdhsa_reserve_flat_scratch 0
		.amdhsa_float_round_mode_32 0
		.amdhsa_float_round_mode_16_64 0
		.amdhsa_float_denorm_mode_32 3
		.amdhsa_float_denorm_mode_16_64 3
		.amdhsa_dx10_clamp 1
		.amdhsa_ieee_mode 1
		.amdhsa_fp16_overflow 0
		.amdhsa_tg_split 0
		.amdhsa_exception_fp_ieee_invalid_op 0
		.amdhsa_exception_fp_denorm_src 0
		.amdhsa_exception_fp_ieee_div_zero 0
		.amdhsa_exception_fp_ieee_overflow 0
		.amdhsa_exception_fp_ieee_underflow 0
		.amdhsa_exception_fp_ieee_inexact 0
		.amdhsa_exception_int_div_zero 0
	.end_amdhsa_kernel
	.section	.text._ZN7rocprim17ROCPRIM_400000_NS6detail17trampoline_kernelINS0_14default_configENS1_36segmented_radix_sort_config_selectorIdlEEZNS1_25segmented_radix_sort_implIS3_Lb1EPKdPdPKlPlN2at6native12_GLOBAL__N_18offset_tEEE10hipError_tPvRmT1_PNSt15iterator_traitsISK_E10value_typeET2_T3_PNSL_ISQ_E10value_typeET4_jRbjT5_SW_jjP12ihipStream_tbEUlT_E_NS1_11comp_targetILNS1_3genE10ELNS1_11target_archE1201ELNS1_3gpuE5ELNS1_3repE0EEENS1_30default_config_static_selectorELNS0_4arch9wavefront6targetE1EEEvSK_,"axG",@progbits,_ZN7rocprim17ROCPRIM_400000_NS6detail17trampoline_kernelINS0_14default_configENS1_36segmented_radix_sort_config_selectorIdlEEZNS1_25segmented_radix_sort_implIS3_Lb1EPKdPdPKlPlN2at6native12_GLOBAL__N_18offset_tEEE10hipError_tPvRmT1_PNSt15iterator_traitsISK_E10value_typeET2_T3_PNSL_ISQ_E10value_typeET4_jRbjT5_SW_jjP12ihipStream_tbEUlT_E_NS1_11comp_targetILNS1_3genE10ELNS1_11target_archE1201ELNS1_3gpuE5ELNS1_3repE0EEENS1_30default_config_static_selectorELNS0_4arch9wavefront6targetE1EEEvSK_,comdat
.Lfunc_end1122:
	.size	_ZN7rocprim17ROCPRIM_400000_NS6detail17trampoline_kernelINS0_14default_configENS1_36segmented_radix_sort_config_selectorIdlEEZNS1_25segmented_radix_sort_implIS3_Lb1EPKdPdPKlPlN2at6native12_GLOBAL__N_18offset_tEEE10hipError_tPvRmT1_PNSt15iterator_traitsISK_E10value_typeET2_T3_PNSL_ISQ_E10value_typeET4_jRbjT5_SW_jjP12ihipStream_tbEUlT_E_NS1_11comp_targetILNS1_3genE10ELNS1_11target_archE1201ELNS1_3gpuE5ELNS1_3repE0EEENS1_30default_config_static_selectorELNS0_4arch9wavefront6targetE1EEEvSK_, .Lfunc_end1122-_ZN7rocprim17ROCPRIM_400000_NS6detail17trampoline_kernelINS0_14default_configENS1_36segmented_radix_sort_config_selectorIdlEEZNS1_25segmented_radix_sort_implIS3_Lb1EPKdPdPKlPlN2at6native12_GLOBAL__N_18offset_tEEE10hipError_tPvRmT1_PNSt15iterator_traitsISK_E10value_typeET2_T3_PNSL_ISQ_E10value_typeET4_jRbjT5_SW_jjP12ihipStream_tbEUlT_E_NS1_11comp_targetILNS1_3genE10ELNS1_11target_archE1201ELNS1_3gpuE5ELNS1_3repE0EEENS1_30default_config_static_selectorELNS0_4arch9wavefront6targetE1EEEvSK_
                                        ; -- End function
	.section	.AMDGPU.csdata,"",@progbits
; Kernel info:
; codeLenInByte = 0
; NumSgprs: 4
; NumVgprs: 0
; NumAgprs: 0
; TotalNumVgprs: 0
; ScratchSize: 0
; MemoryBound: 0
; FloatMode: 240
; IeeeMode: 1
; LDSByteSize: 0 bytes/workgroup (compile time only)
; SGPRBlocks: 0
; VGPRBlocks: 0
; NumSGPRsForWavesPerEU: 4
; NumVGPRsForWavesPerEU: 1
; AccumOffset: 4
; Occupancy: 8
; WaveLimiterHint : 0
; COMPUTE_PGM_RSRC2:SCRATCH_EN: 0
; COMPUTE_PGM_RSRC2:USER_SGPR: 6
; COMPUTE_PGM_RSRC2:TRAP_HANDLER: 0
; COMPUTE_PGM_RSRC2:TGID_X_EN: 1
; COMPUTE_PGM_RSRC2:TGID_Y_EN: 0
; COMPUTE_PGM_RSRC2:TGID_Z_EN: 0
; COMPUTE_PGM_RSRC2:TIDIG_COMP_CNT: 0
; COMPUTE_PGM_RSRC3_GFX90A:ACCUM_OFFSET: 0
; COMPUTE_PGM_RSRC3_GFX90A:TG_SPLIT: 0
	.section	.text._ZN7rocprim17ROCPRIM_400000_NS6detail17trampoline_kernelINS0_14default_configENS1_36segmented_radix_sort_config_selectorIdlEEZNS1_25segmented_radix_sort_implIS3_Lb1EPKdPdPKlPlN2at6native12_GLOBAL__N_18offset_tEEE10hipError_tPvRmT1_PNSt15iterator_traitsISK_E10value_typeET2_T3_PNSL_ISQ_E10value_typeET4_jRbjT5_SW_jjP12ihipStream_tbEUlT_E_NS1_11comp_targetILNS1_3genE10ELNS1_11target_archE1200ELNS1_3gpuE4ELNS1_3repE0EEENS1_30default_config_static_selectorELNS0_4arch9wavefront6targetE1EEEvSK_,"axG",@progbits,_ZN7rocprim17ROCPRIM_400000_NS6detail17trampoline_kernelINS0_14default_configENS1_36segmented_radix_sort_config_selectorIdlEEZNS1_25segmented_radix_sort_implIS3_Lb1EPKdPdPKlPlN2at6native12_GLOBAL__N_18offset_tEEE10hipError_tPvRmT1_PNSt15iterator_traitsISK_E10value_typeET2_T3_PNSL_ISQ_E10value_typeET4_jRbjT5_SW_jjP12ihipStream_tbEUlT_E_NS1_11comp_targetILNS1_3genE10ELNS1_11target_archE1200ELNS1_3gpuE4ELNS1_3repE0EEENS1_30default_config_static_selectorELNS0_4arch9wavefront6targetE1EEEvSK_,comdat
	.globl	_ZN7rocprim17ROCPRIM_400000_NS6detail17trampoline_kernelINS0_14default_configENS1_36segmented_radix_sort_config_selectorIdlEEZNS1_25segmented_radix_sort_implIS3_Lb1EPKdPdPKlPlN2at6native12_GLOBAL__N_18offset_tEEE10hipError_tPvRmT1_PNSt15iterator_traitsISK_E10value_typeET2_T3_PNSL_ISQ_E10value_typeET4_jRbjT5_SW_jjP12ihipStream_tbEUlT_E_NS1_11comp_targetILNS1_3genE10ELNS1_11target_archE1200ELNS1_3gpuE4ELNS1_3repE0EEENS1_30default_config_static_selectorELNS0_4arch9wavefront6targetE1EEEvSK_ ; -- Begin function _ZN7rocprim17ROCPRIM_400000_NS6detail17trampoline_kernelINS0_14default_configENS1_36segmented_radix_sort_config_selectorIdlEEZNS1_25segmented_radix_sort_implIS3_Lb1EPKdPdPKlPlN2at6native12_GLOBAL__N_18offset_tEEE10hipError_tPvRmT1_PNSt15iterator_traitsISK_E10value_typeET2_T3_PNSL_ISQ_E10value_typeET4_jRbjT5_SW_jjP12ihipStream_tbEUlT_E_NS1_11comp_targetILNS1_3genE10ELNS1_11target_archE1200ELNS1_3gpuE4ELNS1_3repE0EEENS1_30default_config_static_selectorELNS0_4arch9wavefront6targetE1EEEvSK_
	.p2align	8
	.type	_ZN7rocprim17ROCPRIM_400000_NS6detail17trampoline_kernelINS0_14default_configENS1_36segmented_radix_sort_config_selectorIdlEEZNS1_25segmented_radix_sort_implIS3_Lb1EPKdPdPKlPlN2at6native12_GLOBAL__N_18offset_tEEE10hipError_tPvRmT1_PNSt15iterator_traitsISK_E10value_typeET2_T3_PNSL_ISQ_E10value_typeET4_jRbjT5_SW_jjP12ihipStream_tbEUlT_E_NS1_11comp_targetILNS1_3genE10ELNS1_11target_archE1200ELNS1_3gpuE4ELNS1_3repE0EEENS1_30default_config_static_selectorELNS0_4arch9wavefront6targetE1EEEvSK_,@function
_ZN7rocprim17ROCPRIM_400000_NS6detail17trampoline_kernelINS0_14default_configENS1_36segmented_radix_sort_config_selectorIdlEEZNS1_25segmented_radix_sort_implIS3_Lb1EPKdPdPKlPlN2at6native12_GLOBAL__N_18offset_tEEE10hipError_tPvRmT1_PNSt15iterator_traitsISK_E10value_typeET2_T3_PNSL_ISQ_E10value_typeET4_jRbjT5_SW_jjP12ihipStream_tbEUlT_E_NS1_11comp_targetILNS1_3genE10ELNS1_11target_archE1200ELNS1_3gpuE4ELNS1_3repE0EEENS1_30default_config_static_selectorELNS0_4arch9wavefront6targetE1EEEvSK_: ; @_ZN7rocprim17ROCPRIM_400000_NS6detail17trampoline_kernelINS0_14default_configENS1_36segmented_radix_sort_config_selectorIdlEEZNS1_25segmented_radix_sort_implIS3_Lb1EPKdPdPKlPlN2at6native12_GLOBAL__N_18offset_tEEE10hipError_tPvRmT1_PNSt15iterator_traitsISK_E10value_typeET2_T3_PNSL_ISQ_E10value_typeET4_jRbjT5_SW_jjP12ihipStream_tbEUlT_E_NS1_11comp_targetILNS1_3genE10ELNS1_11target_archE1200ELNS1_3gpuE4ELNS1_3repE0EEENS1_30default_config_static_selectorELNS0_4arch9wavefront6targetE1EEEvSK_
; %bb.0:
	.section	.rodata,"a",@progbits
	.p2align	6, 0x0
	.amdhsa_kernel _ZN7rocprim17ROCPRIM_400000_NS6detail17trampoline_kernelINS0_14default_configENS1_36segmented_radix_sort_config_selectorIdlEEZNS1_25segmented_radix_sort_implIS3_Lb1EPKdPdPKlPlN2at6native12_GLOBAL__N_18offset_tEEE10hipError_tPvRmT1_PNSt15iterator_traitsISK_E10value_typeET2_T3_PNSL_ISQ_E10value_typeET4_jRbjT5_SW_jjP12ihipStream_tbEUlT_E_NS1_11comp_targetILNS1_3genE10ELNS1_11target_archE1200ELNS1_3gpuE4ELNS1_3repE0EEENS1_30default_config_static_selectorELNS0_4arch9wavefront6targetE1EEEvSK_
		.amdhsa_group_segment_fixed_size 0
		.amdhsa_private_segment_fixed_size 0
		.amdhsa_kernarg_size 96
		.amdhsa_user_sgpr_count 6
		.amdhsa_user_sgpr_private_segment_buffer 1
		.amdhsa_user_sgpr_dispatch_ptr 0
		.amdhsa_user_sgpr_queue_ptr 0
		.amdhsa_user_sgpr_kernarg_segment_ptr 1
		.amdhsa_user_sgpr_dispatch_id 0
		.amdhsa_user_sgpr_flat_scratch_init 0
		.amdhsa_user_sgpr_kernarg_preload_length 0
		.amdhsa_user_sgpr_kernarg_preload_offset 0
		.amdhsa_user_sgpr_private_segment_size 0
		.amdhsa_uses_dynamic_stack 0
		.amdhsa_system_sgpr_private_segment_wavefront_offset 0
		.amdhsa_system_sgpr_workgroup_id_x 1
		.amdhsa_system_sgpr_workgroup_id_y 0
		.amdhsa_system_sgpr_workgroup_id_z 0
		.amdhsa_system_sgpr_workgroup_info 0
		.amdhsa_system_vgpr_workitem_id 0
		.amdhsa_next_free_vgpr 1
		.amdhsa_next_free_sgpr 0
		.amdhsa_accum_offset 4
		.amdhsa_reserve_vcc 0
		.amdhsa_reserve_flat_scratch 0
		.amdhsa_float_round_mode_32 0
		.amdhsa_float_round_mode_16_64 0
		.amdhsa_float_denorm_mode_32 3
		.amdhsa_float_denorm_mode_16_64 3
		.amdhsa_dx10_clamp 1
		.amdhsa_ieee_mode 1
		.amdhsa_fp16_overflow 0
		.amdhsa_tg_split 0
		.amdhsa_exception_fp_ieee_invalid_op 0
		.amdhsa_exception_fp_denorm_src 0
		.amdhsa_exception_fp_ieee_div_zero 0
		.amdhsa_exception_fp_ieee_overflow 0
		.amdhsa_exception_fp_ieee_underflow 0
		.amdhsa_exception_fp_ieee_inexact 0
		.amdhsa_exception_int_div_zero 0
	.end_amdhsa_kernel
	.section	.text._ZN7rocprim17ROCPRIM_400000_NS6detail17trampoline_kernelINS0_14default_configENS1_36segmented_radix_sort_config_selectorIdlEEZNS1_25segmented_radix_sort_implIS3_Lb1EPKdPdPKlPlN2at6native12_GLOBAL__N_18offset_tEEE10hipError_tPvRmT1_PNSt15iterator_traitsISK_E10value_typeET2_T3_PNSL_ISQ_E10value_typeET4_jRbjT5_SW_jjP12ihipStream_tbEUlT_E_NS1_11comp_targetILNS1_3genE10ELNS1_11target_archE1200ELNS1_3gpuE4ELNS1_3repE0EEENS1_30default_config_static_selectorELNS0_4arch9wavefront6targetE1EEEvSK_,"axG",@progbits,_ZN7rocprim17ROCPRIM_400000_NS6detail17trampoline_kernelINS0_14default_configENS1_36segmented_radix_sort_config_selectorIdlEEZNS1_25segmented_radix_sort_implIS3_Lb1EPKdPdPKlPlN2at6native12_GLOBAL__N_18offset_tEEE10hipError_tPvRmT1_PNSt15iterator_traitsISK_E10value_typeET2_T3_PNSL_ISQ_E10value_typeET4_jRbjT5_SW_jjP12ihipStream_tbEUlT_E_NS1_11comp_targetILNS1_3genE10ELNS1_11target_archE1200ELNS1_3gpuE4ELNS1_3repE0EEENS1_30default_config_static_selectorELNS0_4arch9wavefront6targetE1EEEvSK_,comdat
.Lfunc_end1123:
	.size	_ZN7rocprim17ROCPRIM_400000_NS6detail17trampoline_kernelINS0_14default_configENS1_36segmented_radix_sort_config_selectorIdlEEZNS1_25segmented_radix_sort_implIS3_Lb1EPKdPdPKlPlN2at6native12_GLOBAL__N_18offset_tEEE10hipError_tPvRmT1_PNSt15iterator_traitsISK_E10value_typeET2_T3_PNSL_ISQ_E10value_typeET4_jRbjT5_SW_jjP12ihipStream_tbEUlT_E_NS1_11comp_targetILNS1_3genE10ELNS1_11target_archE1200ELNS1_3gpuE4ELNS1_3repE0EEENS1_30default_config_static_selectorELNS0_4arch9wavefront6targetE1EEEvSK_, .Lfunc_end1123-_ZN7rocprim17ROCPRIM_400000_NS6detail17trampoline_kernelINS0_14default_configENS1_36segmented_radix_sort_config_selectorIdlEEZNS1_25segmented_radix_sort_implIS3_Lb1EPKdPdPKlPlN2at6native12_GLOBAL__N_18offset_tEEE10hipError_tPvRmT1_PNSt15iterator_traitsISK_E10value_typeET2_T3_PNSL_ISQ_E10value_typeET4_jRbjT5_SW_jjP12ihipStream_tbEUlT_E_NS1_11comp_targetILNS1_3genE10ELNS1_11target_archE1200ELNS1_3gpuE4ELNS1_3repE0EEENS1_30default_config_static_selectorELNS0_4arch9wavefront6targetE1EEEvSK_
                                        ; -- End function
	.section	.AMDGPU.csdata,"",@progbits
; Kernel info:
; codeLenInByte = 0
; NumSgprs: 4
; NumVgprs: 0
; NumAgprs: 0
; TotalNumVgprs: 0
; ScratchSize: 0
; MemoryBound: 0
; FloatMode: 240
; IeeeMode: 1
; LDSByteSize: 0 bytes/workgroup (compile time only)
; SGPRBlocks: 0
; VGPRBlocks: 0
; NumSGPRsForWavesPerEU: 4
; NumVGPRsForWavesPerEU: 1
; AccumOffset: 4
; Occupancy: 8
; WaveLimiterHint : 0
; COMPUTE_PGM_RSRC2:SCRATCH_EN: 0
; COMPUTE_PGM_RSRC2:USER_SGPR: 6
; COMPUTE_PGM_RSRC2:TRAP_HANDLER: 0
; COMPUTE_PGM_RSRC2:TGID_X_EN: 1
; COMPUTE_PGM_RSRC2:TGID_Y_EN: 0
; COMPUTE_PGM_RSRC2:TGID_Z_EN: 0
; COMPUTE_PGM_RSRC2:TIDIG_COMP_CNT: 0
; COMPUTE_PGM_RSRC3_GFX90A:ACCUM_OFFSET: 0
; COMPUTE_PGM_RSRC3_GFX90A:TG_SPLIT: 0
	.section	.text._ZN7rocprim17ROCPRIM_400000_NS6detail17trampoline_kernelINS0_14default_configENS1_36segmented_radix_sort_config_selectorIdlEEZNS1_25segmented_radix_sort_implIS3_Lb1EPKdPdPKlPlN2at6native12_GLOBAL__N_18offset_tEEE10hipError_tPvRmT1_PNSt15iterator_traitsISK_E10value_typeET2_T3_PNSL_ISQ_E10value_typeET4_jRbjT5_SW_jjP12ihipStream_tbEUlT_E_NS1_11comp_targetILNS1_3genE9ELNS1_11target_archE1100ELNS1_3gpuE3ELNS1_3repE0EEENS1_30default_config_static_selectorELNS0_4arch9wavefront6targetE1EEEvSK_,"axG",@progbits,_ZN7rocprim17ROCPRIM_400000_NS6detail17trampoline_kernelINS0_14default_configENS1_36segmented_radix_sort_config_selectorIdlEEZNS1_25segmented_radix_sort_implIS3_Lb1EPKdPdPKlPlN2at6native12_GLOBAL__N_18offset_tEEE10hipError_tPvRmT1_PNSt15iterator_traitsISK_E10value_typeET2_T3_PNSL_ISQ_E10value_typeET4_jRbjT5_SW_jjP12ihipStream_tbEUlT_E_NS1_11comp_targetILNS1_3genE9ELNS1_11target_archE1100ELNS1_3gpuE3ELNS1_3repE0EEENS1_30default_config_static_selectorELNS0_4arch9wavefront6targetE1EEEvSK_,comdat
	.globl	_ZN7rocprim17ROCPRIM_400000_NS6detail17trampoline_kernelINS0_14default_configENS1_36segmented_radix_sort_config_selectorIdlEEZNS1_25segmented_radix_sort_implIS3_Lb1EPKdPdPKlPlN2at6native12_GLOBAL__N_18offset_tEEE10hipError_tPvRmT1_PNSt15iterator_traitsISK_E10value_typeET2_T3_PNSL_ISQ_E10value_typeET4_jRbjT5_SW_jjP12ihipStream_tbEUlT_E_NS1_11comp_targetILNS1_3genE9ELNS1_11target_archE1100ELNS1_3gpuE3ELNS1_3repE0EEENS1_30default_config_static_selectorELNS0_4arch9wavefront6targetE1EEEvSK_ ; -- Begin function _ZN7rocprim17ROCPRIM_400000_NS6detail17trampoline_kernelINS0_14default_configENS1_36segmented_radix_sort_config_selectorIdlEEZNS1_25segmented_radix_sort_implIS3_Lb1EPKdPdPKlPlN2at6native12_GLOBAL__N_18offset_tEEE10hipError_tPvRmT1_PNSt15iterator_traitsISK_E10value_typeET2_T3_PNSL_ISQ_E10value_typeET4_jRbjT5_SW_jjP12ihipStream_tbEUlT_E_NS1_11comp_targetILNS1_3genE9ELNS1_11target_archE1100ELNS1_3gpuE3ELNS1_3repE0EEENS1_30default_config_static_selectorELNS0_4arch9wavefront6targetE1EEEvSK_
	.p2align	8
	.type	_ZN7rocprim17ROCPRIM_400000_NS6detail17trampoline_kernelINS0_14default_configENS1_36segmented_radix_sort_config_selectorIdlEEZNS1_25segmented_radix_sort_implIS3_Lb1EPKdPdPKlPlN2at6native12_GLOBAL__N_18offset_tEEE10hipError_tPvRmT1_PNSt15iterator_traitsISK_E10value_typeET2_T3_PNSL_ISQ_E10value_typeET4_jRbjT5_SW_jjP12ihipStream_tbEUlT_E_NS1_11comp_targetILNS1_3genE9ELNS1_11target_archE1100ELNS1_3gpuE3ELNS1_3repE0EEENS1_30default_config_static_selectorELNS0_4arch9wavefront6targetE1EEEvSK_,@function
_ZN7rocprim17ROCPRIM_400000_NS6detail17trampoline_kernelINS0_14default_configENS1_36segmented_radix_sort_config_selectorIdlEEZNS1_25segmented_radix_sort_implIS3_Lb1EPKdPdPKlPlN2at6native12_GLOBAL__N_18offset_tEEE10hipError_tPvRmT1_PNSt15iterator_traitsISK_E10value_typeET2_T3_PNSL_ISQ_E10value_typeET4_jRbjT5_SW_jjP12ihipStream_tbEUlT_E_NS1_11comp_targetILNS1_3genE9ELNS1_11target_archE1100ELNS1_3gpuE3ELNS1_3repE0EEENS1_30default_config_static_selectorELNS0_4arch9wavefront6targetE1EEEvSK_: ; @_ZN7rocprim17ROCPRIM_400000_NS6detail17trampoline_kernelINS0_14default_configENS1_36segmented_radix_sort_config_selectorIdlEEZNS1_25segmented_radix_sort_implIS3_Lb1EPKdPdPKlPlN2at6native12_GLOBAL__N_18offset_tEEE10hipError_tPvRmT1_PNSt15iterator_traitsISK_E10value_typeET2_T3_PNSL_ISQ_E10value_typeET4_jRbjT5_SW_jjP12ihipStream_tbEUlT_E_NS1_11comp_targetILNS1_3genE9ELNS1_11target_archE1100ELNS1_3gpuE3ELNS1_3repE0EEENS1_30default_config_static_selectorELNS0_4arch9wavefront6targetE1EEEvSK_
; %bb.0:
	.section	.rodata,"a",@progbits
	.p2align	6, 0x0
	.amdhsa_kernel _ZN7rocprim17ROCPRIM_400000_NS6detail17trampoline_kernelINS0_14default_configENS1_36segmented_radix_sort_config_selectorIdlEEZNS1_25segmented_radix_sort_implIS3_Lb1EPKdPdPKlPlN2at6native12_GLOBAL__N_18offset_tEEE10hipError_tPvRmT1_PNSt15iterator_traitsISK_E10value_typeET2_T3_PNSL_ISQ_E10value_typeET4_jRbjT5_SW_jjP12ihipStream_tbEUlT_E_NS1_11comp_targetILNS1_3genE9ELNS1_11target_archE1100ELNS1_3gpuE3ELNS1_3repE0EEENS1_30default_config_static_selectorELNS0_4arch9wavefront6targetE1EEEvSK_
		.amdhsa_group_segment_fixed_size 0
		.amdhsa_private_segment_fixed_size 0
		.amdhsa_kernarg_size 96
		.amdhsa_user_sgpr_count 6
		.amdhsa_user_sgpr_private_segment_buffer 1
		.amdhsa_user_sgpr_dispatch_ptr 0
		.amdhsa_user_sgpr_queue_ptr 0
		.amdhsa_user_sgpr_kernarg_segment_ptr 1
		.amdhsa_user_sgpr_dispatch_id 0
		.amdhsa_user_sgpr_flat_scratch_init 0
		.amdhsa_user_sgpr_kernarg_preload_length 0
		.amdhsa_user_sgpr_kernarg_preload_offset 0
		.amdhsa_user_sgpr_private_segment_size 0
		.amdhsa_uses_dynamic_stack 0
		.amdhsa_system_sgpr_private_segment_wavefront_offset 0
		.amdhsa_system_sgpr_workgroup_id_x 1
		.amdhsa_system_sgpr_workgroup_id_y 0
		.amdhsa_system_sgpr_workgroup_id_z 0
		.amdhsa_system_sgpr_workgroup_info 0
		.amdhsa_system_vgpr_workitem_id 0
		.amdhsa_next_free_vgpr 1
		.amdhsa_next_free_sgpr 0
		.amdhsa_accum_offset 4
		.amdhsa_reserve_vcc 0
		.amdhsa_reserve_flat_scratch 0
		.amdhsa_float_round_mode_32 0
		.amdhsa_float_round_mode_16_64 0
		.amdhsa_float_denorm_mode_32 3
		.amdhsa_float_denorm_mode_16_64 3
		.amdhsa_dx10_clamp 1
		.amdhsa_ieee_mode 1
		.amdhsa_fp16_overflow 0
		.amdhsa_tg_split 0
		.amdhsa_exception_fp_ieee_invalid_op 0
		.amdhsa_exception_fp_denorm_src 0
		.amdhsa_exception_fp_ieee_div_zero 0
		.amdhsa_exception_fp_ieee_overflow 0
		.amdhsa_exception_fp_ieee_underflow 0
		.amdhsa_exception_fp_ieee_inexact 0
		.amdhsa_exception_int_div_zero 0
	.end_amdhsa_kernel
	.section	.text._ZN7rocprim17ROCPRIM_400000_NS6detail17trampoline_kernelINS0_14default_configENS1_36segmented_radix_sort_config_selectorIdlEEZNS1_25segmented_radix_sort_implIS3_Lb1EPKdPdPKlPlN2at6native12_GLOBAL__N_18offset_tEEE10hipError_tPvRmT1_PNSt15iterator_traitsISK_E10value_typeET2_T3_PNSL_ISQ_E10value_typeET4_jRbjT5_SW_jjP12ihipStream_tbEUlT_E_NS1_11comp_targetILNS1_3genE9ELNS1_11target_archE1100ELNS1_3gpuE3ELNS1_3repE0EEENS1_30default_config_static_selectorELNS0_4arch9wavefront6targetE1EEEvSK_,"axG",@progbits,_ZN7rocprim17ROCPRIM_400000_NS6detail17trampoline_kernelINS0_14default_configENS1_36segmented_radix_sort_config_selectorIdlEEZNS1_25segmented_radix_sort_implIS3_Lb1EPKdPdPKlPlN2at6native12_GLOBAL__N_18offset_tEEE10hipError_tPvRmT1_PNSt15iterator_traitsISK_E10value_typeET2_T3_PNSL_ISQ_E10value_typeET4_jRbjT5_SW_jjP12ihipStream_tbEUlT_E_NS1_11comp_targetILNS1_3genE9ELNS1_11target_archE1100ELNS1_3gpuE3ELNS1_3repE0EEENS1_30default_config_static_selectorELNS0_4arch9wavefront6targetE1EEEvSK_,comdat
.Lfunc_end1124:
	.size	_ZN7rocprim17ROCPRIM_400000_NS6detail17trampoline_kernelINS0_14default_configENS1_36segmented_radix_sort_config_selectorIdlEEZNS1_25segmented_radix_sort_implIS3_Lb1EPKdPdPKlPlN2at6native12_GLOBAL__N_18offset_tEEE10hipError_tPvRmT1_PNSt15iterator_traitsISK_E10value_typeET2_T3_PNSL_ISQ_E10value_typeET4_jRbjT5_SW_jjP12ihipStream_tbEUlT_E_NS1_11comp_targetILNS1_3genE9ELNS1_11target_archE1100ELNS1_3gpuE3ELNS1_3repE0EEENS1_30default_config_static_selectorELNS0_4arch9wavefront6targetE1EEEvSK_, .Lfunc_end1124-_ZN7rocprim17ROCPRIM_400000_NS6detail17trampoline_kernelINS0_14default_configENS1_36segmented_radix_sort_config_selectorIdlEEZNS1_25segmented_radix_sort_implIS3_Lb1EPKdPdPKlPlN2at6native12_GLOBAL__N_18offset_tEEE10hipError_tPvRmT1_PNSt15iterator_traitsISK_E10value_typeET2_T3_PNSL_ISQ_E10value_typeET4_jRbjT5_SW_jjP12ihipStream_tbEUlT_E_NS1_11comp_targetILNS1_3genE9ELNS1_11target_archE1100ELNS1_3gpuE3ELNS1_3repE0EEENS1_30default_config_static_selectorELNS0_4arch9wavefront6targetE1EEEvSK_
                                        ; -- End function
	.section	.AMDGPU.csdata,"",@progbits
; Kernel info:
; codeLenInByte = 0
; NumSgprs: 4
; NumVgprs: 0
; NumAgprs: 0
; TotalNumVgprs: 0
; ScratchSize: 0
; MemoryBound: 0
; FloatMode: 240
; IeeeMode: 1
; LDSByteSize: 0 bytes/workgroup (compile time only)
; SGPRBlocks: 0
; VGPRBlocks: 0
; NumSGPRsForWavesPerEU: 4
; NumVGPRsForWavesPerEU: 1
; AccumOffset: 4
; Occupancy: 8
; WaveLimiterHint : 0
; COMPUTE_PGM_RSRC2:SCRATCH_EN: 0
; COMPUTE_PGM_RSRC2:USER_SGPR: 6
; COMPUTE_PGM_RSRC2:TRAP_HANDLER: 0
; COMPUTE_PGM_RSRC2:TGID_X_EN: 1
; COMPUTE_PGM_RSRC2:TGID_Y_EN: 0
; COMPUTE_PGM_RSRC2:TGID_Z_EN: 0
; COMPUTE_PGM_RSRC2:TIDIG_COMP_CNT: 0
; COMPUTE_PGM_RSRC3_GFX90A:ACCUM_OFFSET: 0
; COMPUTE_PGM_RSRC3_GFX90A:TG_SPLIT: 0
	.section	.text._ZN7rocprim17ROCPRIM_400000_NS6detail17trampoline_kernelINS0_14default_configENS1_36segmented_radix_sort_config_selectorIdlEEZNS1_25segmented_radix_sort_implIS3_Lb1EPKdPdPKlPlN2at6native12_GLOBAL__N_18offset_tEEE10hipError_tPvRmT1_PNSt15iterator_traitsISK_E10value_typeET2_T3_PNSL_ISQ_E10value_typeET4_jRbjT5_SW_jjP12ihipStream_tbEUlT_E_NS1_11comp_targetILNS1_3genE8ELNS1_11target_archE1030ELNS1_3gpuE2ELNS1_3repE0EEENS1_30default_config_static_selectorELNS0_4arch9wavefront6targetE1EEEvSK_,"axG",@progbits,_ZN7rocprim17ROCPRIM_400000_NS6detail17trampoline_kernelINS0_14default_configENS1_36segmented_radix_sort_config_selectorIdlEEZNS1_25segmented_radix_sort_implIS3_Lb1EPKdPdPKlPlN2at6native12_GLOBAL__N_18offset_tEEE10hipError_tPvRmT1_PNSt15iterator_traitsISK_E10value_typeET2_T3_PNSL_ISQ_E10value_typeET4_jRbjT5_SW_jjP12ihipStream_tbEUlT_E_NS1_11comp_targetILNS1_3genE8ELNS1_11target_archE1030ELNS1_3gpuE2ELNS1_3repE0EEENS1_30default_config_static_selectorELNS0_4arch9wavefront6targetE1EEEvSK_,comdat
	.globl	_ZN7rocprim17ROCPRIM_400000_NS6detail17trampoline_kernelINS0_14default_configENS1_36segmented_radix_sort_config_selectorIdlEEZNS1_25segmented_radix_sort_implIS3_Lb1EPKdPdPKlPlN2at6native12_GLOBAL__N_18offset_tEEE10hipError_tPvRmT1_PNSt15iterator_traitsISK_E10value_typeET2_T3_PNSL_ISQ_E10value_typeET4_jRbjT5_SW_jjP12ihipStream_tbEUlT_E_NS1_11comp_targetILNS1_3genE8ELNS1_11target_archE1030ELNS1_3gpuE2ELNS1_3repE0EEENS1_30default_config_static_selectorELNS0_4arch9wavefront6targetE1EEEvSK_ ; -- Begin function _ZN7rocprim17ROCPRIM_400000_NS6detail17trampoline_kernelINS0_14default_configENS1_36segmented_radix_sort_config_selectorIdlEEZNS1_25segmented_radix_sort_implIS3_Lb1EPKdPdPKlPlN2at6native12_GLOBAL__N_18offset_tEEE10hipError_tPvRmT1_PNSt15iterator_traitsISK_E10value_typeET2_T3_PNSL_ISQ_E10value_typeET4_jRbjT5_SW_jjP12ihipStream_tbEUlT_E_NS1_11comp_targetILNS1_3genE8ELNS1_11target_archE1030ELNS1_3gpuE2ELNS1_3repE0EEENS1_30default_config_static_selectorELNS0_4arch9wavefront6targetE1EEEvSK_
	.p2align	8
	.type	_ZN7rocprim17ROCPRIM_400000_NS6detail17trampoline_kernelINS0_14default_configENS1_36segmented_radix_sort_config_selectorIdlEEZNS1_25segmented_radix_sort_implIS3_Lb1EPKdPdPKlPlN2at6native12_GLOBAL__N_18offset_tEEE10hipError_tPvRmT1_PNSt15iterator_traitsISK_E10value_typeET2_T3_PNSL_ISQ_E10value_typeET4_jRbjT5_SW_jjP12ihipStream_tbEUlT_E_NS1_11comp_targetILNS1_3genE8ELNS1_11target_archE1030ELNS1_3gpuE2ELNS1_3repE0EEENS1_30default_config_static_selectorELNS0_4arch9wavefront6targetE1EEEvSK_,@function
_ZN7rocprim17ROCPRIM_400000_NS6detail17trampoline_kernelINS0_14default_configENS1_36segmented_radix_sort_config_selectorIdlEEZNS1_25segmented_radix_sort_implIS3_Lb1EPKdPdPKlPlN2at6native12_GLOBAL__N_18offset_tEEE10hipError_tPvRmT1_PNSt15iterator_traitsISK_E10value_typeET2_T3_PNSL_ISQ_E10value_typeET4_jRbjT5_SW_jjP12ihipStream_tbEUlT_E_NS1_11comp_targetILNS1_3genE8ELNS1_11target_archE1030ELNS1_3gpuE2ELNS1_3repE0EEENS1_30default_config_static_selectorELNS0_4arch9wavefront6targetE1EEEvSK_: ; @_ZN7rocprim17ROCPRIM_400000_NS6detail17trampoline_kernelINS0_14default_configENS1_36segmented_radix_sort_config_selectorIdlEEZNS1_25segmented_radix_sort_implIS3_Lb1EPKdPdPKlPlN2at6native12_GLOBAL__N_18offset_tEEE10hipError_tPvRmT1_PNSt15iterator_traitsISK_E10value_typeET2_T3_PNSL_ISQ_E10value_typeET4_jRbjT5_SW_jjP12ihipStream_tbEUlT_E_NS1_11comp_targetILNS1_3genE8ELNS1_11target_archE1030ELNS1_3gpuE2ELNS1_3repE0EEENS1_30default_config_static_selectorELNS0_4arch9wavefront6targetE1EEEvSK_
; %bb.0:
	.section	.rodata,"a",@progbits
	.p2align	6, 0x0
	.amdhsa_kernel _ZN7rocprim17ROCPRIM_400000_NS6detail17trampoline_kernelINS0_14default_configENS1_36segmented_radix_sort_config_selectorIdlEEZNS1_25segmented_radix_sort_implIS3_Lb1EPKdPdPKlPlN2at6native12_GLOBAL__N_18offset_tEEE10hipError_tPvRmT1_PNSt15iterator_traitsISK_E10value_typeET2_T3_PNSL_ISQ_E10value_typeET4_jRbjT5_SW_jjP12ihipStream_tbEUlT_E_NS1_11comp_targetILNS1_3genE8ELNS1_11target_archE1030ELNS1_3gpuE2ELNS1_3repE0EEENS1_30default_config_static_selectorELNS0_4arch9wavefront6targetE1EEEvSK_
		.amdhsa_group_segment_fixed_size 0
		.amdhsa_private_segment_fixed_size 0
		.amdhsa_kernarg_size 96
		.amdhsa_user_sgpr_count 6
		.amdhsa_user_sgpr_private_segment_buffer 1
		.amdhsa_user_sgpr_dispatch_ptr 0
		.amdhsa_user_sgpr_queue_ptr 0
		.amdhsa_user_sgpr_kernarg_segment_ptr 1
		.amdhsa_user_sgpr_dispatch_id 0
		.amdhsa_user_sgpr_flat_scratch_init 0
		.amdhsa_user_sgpr_kernarg_preload_length 0
		.amdhsa_user_sgpr_kernarg_preload_offset 0
		.amdhsa_user_sgpr_private_segment_size 0
		.amdhsa_uses_dynamic_stack 0
		.amdhsa_system_sgpr_private_segment_wavefront_offset 0
		.amdhsa_system_sgpr_workgroup_id_x 1
		.amdhsa_system_sgpr_workgroup_id_y 0
		.amdhsa_system_sgpr_workgroup_id_z 0
		.amdhsa_system_sgpr_workgroup_info 0
		.amdhsa_system_vgpr_workitem_id 0
		.amdhsa_next_free_vgpr 1
		.amdhsa_next_free_sgpr 0
		.amdhsa_accum_offset 4
		.amdhsa_reserve_vcc 0
		.amdhsa_reserve_flat_scratch 0
		.amdhsa_float_round_mode_32 0
		.amdhsa_float_round_mode_16_64 0
		.amdhsa_float_denorm_mode_32 3
		.amdhsa_float_denorm_mode_16_64 3
		.amdhsa_dx10_clamp 1
		.amdhsa_ieee_mode 1
		.amdhsa_fp16_overflow 0
		.amdhsa_tg_split 0
		.amdhsa_exception_fp_ieee_invalid_op 0
		.amdhsa_exception_fp_denorm_src 0
		.amdhsa_exception_fp_ieee_div_zero 0
		.amdhsa_exception_fp_ieee_overflow 0
		.amdhsa_exception_fp_ieee_underflow 0
		.amdhsa_exception_fp_ieee_inexact 0
		.amdhsa_exception_int_div_zero 0
	.end_amdhsa_kernel
	.section	.text._ZN7rocprim17ROCPRIM_400000_NS6detail17trampoline_kernelINS0_14default_configENS1_36segmented_radix_sort_config_selectorIdlEEZNS1_25segmented_radix_sort_implIS3_Lb1EPKdPdPKlPlN2at6native12_GLOBAL__N_18offset_tEEE10hipError_tPvRmT1_PNSt15iterator_traitsISK_E10value_typeET2_T3_PNSL_ISQ_E10value_typeET4_jRbjT5_SW_jjP12ihipStream_tbEUlT_E_NS1_11comp_targetILNS1_3genE8ELNS1_11target_archE1030ELNS1_3gpuE2ELNS1_3repE0EEENS1_30default_config_static_selectorELNS0_4arch9wavefront6targetE1EEEvSK_,"axG",@progbits,_ZN7rocprim17ROCPRIM_400000_NS6detail17trampoline_kernelINS0_14default_configENS1_36segmented_radix_sort_config_selectorIdlEEZNS1_25segmented_radix_sort_implIS3_Lb1EPKdPdPKlPlN2at6native12_GLOBAL__N_18offset_tEEE10hipError_tPvRmT1_PNSt15iterator_traitsISK_E10value_typeET2_T3_PNSL_ISQ_E10value_typeET4_jRbjT5_SW_jjP12ihipStream_tbEUlT_E_NS1_11comp_targetILNS1_3genE8ELNS1_11target_archE1030ELNS1_3gpuE2ELNS1_3repE0EEENS1_30default_config_static_selectorELNS0_4arch9wavefront6targetE1EEEvSK_,comdat
.Lfunc_end1125:
	.size	_ZN7rocprim17ROCPRIM_400000_NS6detail17trampoline_kernelINS0_14default_configENS1_36segmented_radix_sort_config_selectorIdlEEZNS1_25segmented_radix_sort_implIS3_Lb1EPKdPdPKlPlN2at6native12_GLOBAL__N_18offset_tEEE10hipError_tPvRmT1_PNSt15iterator_traitsISK_E10value_typeET2_T3_PNSL_ISQ_E10value_typeET4_jRbjT5_SW_jjP12ihipStream_tbEUlT_E_NS1_11comp_targetILNS1_3genE8ELNS1_11target_archE1030ELNS1_3gpuE2ELNS1_3repE0EEENS1_30default_config_static_selectorELNS0_4arch9wavefront6targetE1EEEvSK_, .Lfunc_end1125-_ZN7rocprim17ROCPRIM_400000_NS6detail17trampoline_kernelINS0_14default_configENS1_36segmented_radix_sort_config_selectorIdlEEZNS1_25segmented_radix_sort_implIS3_Lb1EPKdPdPKlPlN2at6native12_GLOBAL__N_18offset_tEEE10hipError_tPvRmT1_PNSt15iterator_traitsISK_E10value_typeET2_T3_PNSL_ISQ_E10value_typeET4_jRbjT5_SW_jjP12ihipStream_tbEUlT_E_NS1_11comp_targetILNS1_3genE8ELNS1_11target_archE1030ELNS1_3gpuE2ELNS1_3repE0EEENS1_30default_config_static_selectorELNS0_4arch9wavefront6targetE1EEEvSK_
                                        ; -- End function
	.section	.AMDGPU.csdata,"",@progbits
; Kernel info:
; codeLenInByte = 0
; NumSgprs: 4
; NumVgprs: 0
; NumAgprs: 0
; TotalNumVgprs: 0
; ScratchSize: 0
; MemoryBound: 0
; FloatMode: 240
; IeeeMode: 1
; LDSByteSize: 0 bytes/workgroup (compile time only)
; SGPRBlocks: 0
; VGPRBlocks: 0
; NumSGPRsForWavesPerEU: 4
; NumVGPRsForWavesPerEU: 1
; AccumOffset: 4
; Occupancy: 8
; WaveLimiterHint : 0
; COMPUTE_PGM_RSRC2:SCRATCH_EN: 0
; COMPUTE_PGM_RSRC2:USER_SGPR: 6
; COMPUTE_PGM_RSRC2:TRAP_HANDLER: 0
; COMPUTE_PGM_RSRC2:TGID_X_EN: 1
; COMPUTE_PGM_RSRC2:TGID_Y_EN: 0
; COMPUTE_PGM_RSRC2:TGID_Z_EN: 0
; COMPUTE_PGM_RSRC2:TIDIG_COMP_CNT: 0
; COMPUTE_PGM_RSRC3_GFX90A:ACCUM_OFFSET: 0
; COMPUTE_PGM_RSRC3_GFX90A:TG_SPLIT: 0
	.section	.text._ZN7rocprim17ROCPRIM_400000_NS6detail17trampoline_kernelINS0_14default_configENS1_36segmented_radix_sort_config_selectorIdlEEZNS1_25segmented_radix_sort_implIS3_Lb1EPKdPdPKlPlN2at6native12_GLOBAL__N_18offset_tEEE10hipError_tPvRmT1_PNSt15iterator_traitsISK_E10value_typeET2_T3_PNSL_ISQ_E10value_typeET4_jRbjT5_SW_jjP12ihipStream_tbEUlT_E0_NS1_11comp_targetILNS1_3genE0ELNS1_11target_archE4294967295ELNS1_3gpuE0ELNS1_3repE0EEENS1_60segmented_radix_sort_warp_sort_medium_config_static_selectorELNS0_4arch9wavefront6targetE1EEEvSK_,"axG",@progbits,_ZN7rocprim17ROCPRIM_400000_NS6detail17trampoline_kernelINS0_14default_configENS1_36segmented_radix_sort_config_selectorIdlEEZNS1_25segmented_radix_sort_implIS3_Lb1EPKdPdPKlPlN2at6native12_GLOBAL__N_18offset_tEEE10hipError_tPvRmT1_PNSt15iterator_traitsISK_E10value_typeET2_T3_PNSL_ISQ_E10value_typeET4_jRbjT5_SW_jjP12ihipStream_tbEUlT_E0_NS1_11comp_targetILNS1_3genE0ELNS1_11target_archE4294967295ELNS1_3gpuE0ELNS1_3repE0EEENS1_60segmented_radix_sort_warp_sort_medium_config_static_selectorELNS0_4arch9wavefront6targetE1EEEvSK_,comdat
	.globl	_ZN7rocprim17ROCPRIM_400000_NS6detail17trampoline_kernelINS0_14default_configENS1_36segmented_radix_sort_config_selectorIdlEEZNS1_25segmented_radix_sort_implIS3_Lb1EPKdPdPKlPlN2at6native12_GLOBAL__N_18offset_tEEE10hipError_tPvRmT1_PNSt15iterator_traitsISK_E10value_typeET2_T3_PNSL_ISQ_E10value_typeET4_jRbjT5_SW_jjP12ihipStream_tbEUlT_E0_NS1_11comp_targetILNS1_3genE0ELNS1_11target_archE4294967295ELNS1_3gpuE0ELNS1_3repE0EEENS1_60segmented_radix_sort_warp_sort_medium_config_static_selectorELNS0_4arch9wavefront6targetE1EEEvSK_ ; -- Begin function _ZN7rocprim17ROCPRIM_400000_NS6detail17trampoline_kernelINS0_14default_configENS1_36segmented_radix_sort_config_selectorIdlEEZNS1_25segmented_radix_sort_implIS3_Lb1EPKdPdPKlPlN2at6native12_GLOBAL__N_18offset_tEEE10hipError_tPvRmT1_PNSt15iterator_traitsISK_E10value_typeET2_T3_PNSL_ISQ_E10value_typeET4_jRbjT5_SW_jjP12ihipStream_tbEUlT_E0_NS1_11comp_targetILNS1_3genE0ELNS1_11target_archE4294967295ELNS1_3gpuE0ELNS1_3repE0EEENS1_60segmented_radix_sort_warp_sort_medium_config_static_selectorELNS0_4arch9wavefront6targetE1EEEvSK_
	.p2align	8
	.type	_ZN7rocprim17ROCPRIM_400000_NS6detail17trampoline_kernelINS0_14default_configENS1_36segmented_radix_sort_config_selectorIdlEEZNS1_25segmented_radix_sort_implIS3_Lb1EPKdPdPKlPlN2at6native12_GLOBAL__N_18offset_tEEE10hipError_tPvRmT1_PNSt15iterator_traitsISK_E10value_typeET2_T3_PNSL_ISQ_E10value_typeET4_jRbjT5_SW_jjP12ihipStream_tbEUlT_E0_NS1_11comp_targetILNS1_3genE0ELNS1_11target_archE4294967295ELNS1_3gpuE0ELNS1_3repE0EEENS1_60segmented_radix_sort_warp_sort_medium_config_static_selectorELNS0_4arch9wavefront6targetE1EEEvSK_,@function
_ZN7rocprim17ROCPRIM_400000_NS6detail17trampoline_kernelINS0_14default_configENS1_36segmented_radix_sort_config_selectorIdlEEZNS1_25segmented_radix_sort_implIS3_Lb1EPKdPdPKlPlN2at6native12_GLOBAL__N_18offset_tEEE10hipError_tPvRmT1_PNSt15iterator_traitsISK_E10value_typeET2_T3_PNSL_ISQ_E10value_typeET4_jRbjT5_SW_jjP12ihipStream_tbEUlT_E0_NS1_11comp_targetILNS1_3genE0ELNS1_11target_archE4294967295ELNS1_3gpuE0ELNS1_3repE0EEENS1_60segmented_radix_sort_warp_sort_medium_config_static_selectorELNS0_4arch9wavefront6targetE1EEEvSK_: ; @_ZN7rocprim17ROCPRIM_400000_NS6detail17trampoline_kernelINS0_14default_configENS1_36segmented_radix_sort_config_selectorIdlEEZNS1_25segmented_radix_sort_implIS3_Lb1EPKdPdPKlPlN2at6native12_GLOBAL__N_18offset_tEEE10hipError_tPvRmT1_PNSt15iterator_traitsISK_E10value_typeET2_T3_PNSL_ISQ_E10value_typeET4_jRbjT5_SW_jjP12ihipStream_tbEUlT_E0_NS1_11comp_targetILNS1_3genE0ELNS1_11target_archE4294967295ELNS1_3gpuE0ELNS1_3repE0EEENS1_60segmented_radix_sort_warp_sort_medium_config_static_selectorELNS0_4arch9wavefront6targetE1EEEvSK_
; %bb.0:
	.section	.rodata,"a",@progbits
	.p2align	6, 0x0
	.amdhsa_kernel _ZN7rocprim17ROCPRIM_400000_NS6detail17trampoline_kernelINS0_14default_configENS1_36segmented_radix_sort_config_selectorIdlEEZNS1_25segmented_radix_sort_implIS3_Lb1EPKdPdPKlPlN2at6native12_GLOBAL__N_18offset_tEEE10hipError_tPvRmT1_PNSt15iterator_traitsISK_E10value_typeET2_T3_PNSL_ISQ_E10value_typeET4_jRbjT5_SW_jjP12ihipStream_tbEUlT_E0_NS1_11comp_targetILNS1_3genE0ELNS1_11target_archE4294967295ELNS1_3gpuE0ELNS1_3repE0EEENS1_60segmented_radix_sort_warp_sort_medium_config_static_selectorELNS0_4arch9wavefront6targetE1EEEvSK_
		.amdhsa_group_segment_fixed_size 0
		.amdhsa_private_segment_fixed_size 0
		.amdhsa_kernarg_size 88
		.amdhsa_user_sgpr_count 6
		.amdhsa_user_sgpr_private_segment_buffer 1
		.amdhsa_user_sgpr_dispatch_ptr 0
		.amdhsa_user_sgpr_queue_ptr 0
		.amdhsa_user_sgpr_kernarg_segment_ptr 1
		.amdhsa_user_sgpr_dispatch_id 0
		.amdhsa_user_sgpr_flat_scratch_init 0
		.amdhsa_user_sgpr_kernarg_preload_length 0
		.amdhsa_user_sgpr_kernarg_preload_offset 0
		.amdhsa_user_sgpr_private_segment_size 0
		.amdhsa_uses_dynamic_stack 0
		.amdhsa_system_sgpr_private_segment_wavefront_offset 0
		.amdhsa_system_sgpr_workgroup_id_x 1
		.amdhsa_system_sgpr_workgroup_id_y 0
		.amdhsa_system_sgpr_workgroup_id_z 0
		.amdhsa_system_sgpr_workgroup_info 0
		.amdhsa_system_vgpr_workitem_id 0
		.amdhsa_next_free_vgpr 1
		.amdhsa_next_free_sgpr 0
		.amdhsa_accum_offset 4
		.amdhsa_reserve_vcc 0
		.amdhsa_reserve_flat_scratch 0
		.amdhsa_float_round_mode_32 0
		.amdhsa_float_round_mode_16_64 0
		.amdhsa_float_denorm_mode_32 3
		.amdhsa_float_denorm_mode_16_64 3
		.amdhsa_dx10_clamp 1
		.amdhsa_ieee_mode 1
		.amdhsa_fp16_overflow 0
		.amdhsa_tg_split 0
		.amdhsa_exception_fp_ieee_invalid_op 0
		.amdhsa_exception_fp_denorm_src 0
		.amdhsa_exception_fp_ieee_div_zero 0
		.amdhsa_exception_fp_ieee_overflow 0
		.amdhsa_exception_fp_ieee_underflow 0
		.amdhsa_exception_fp_ieee_inexact 0
		.amdhsa_exception_int_div_zero 0
	.end_amdhsa_kernel
	.section	.text._ZN7rocprim17ROCPRIM_400000_NS6detail17trampoline_kernelINS0_14default_configENS1_36segmented_radix_sort_config_selectorIdlEEZNS1_25segmented_radix_sort_implIS3_Lb1EPKdPdPKlPlN2at6native12_GLOBAL__N_18offset_tEEE10hipError_tPvRmT1_PNSt15iterator_traitsISK_E10value_typeET2_T3_PNSL_ISQ_E10value_typeET4_jRbjT5_SW_jjP12ihipStream_tbEUlT_E0_NS1_11comp_targetILNS1_3genE0ELNS1_11target_archE4294967295ELNS1_3gpuE0ELNS1_3repE0EEENS1_60segmented_radix_sort_warp_sort_medium_config_static_selectorELNS0_4arch9wavefront6targetE1EEEvSK_,"axG",@progbits,_ZN7rocprim17ROCPRIM_400000_NS6detail17trampoline_kernelINS0_14default_configENS1_36segmented_radix_sort_config_selectorIdlEEZNS1_25segmented_radix_sort_implIS3_Lb1EPKdPdPKlPlN2at6native12_GLOBAL__N_18offset_tEEE10hipError_tPvRmT1_PNSt15iterator_traitsISK_E10value_typeET2_T3_PNSL_ISQ_E10value_typeET4_jRbjT5_SW_jjP12ihipStream_tbEUlT_E0_NS1_11comp_targetILNS1_3genE0ELNS1_11target_archE4294967295ELNS1_3gpuE0ELNS1_3repE0EEENS1_60segmented_radix_sort_warp_sort_medium_config_static_selectorELNS0_4arch9wavefront6targetE1EEEvSK_,comdat
.Lfunc_end1126:
	.size	_ZN7rocprim17ROCPRIM_400000_NS6detail17trampoline_kernelINS0_14default_configENS1_36segmented_radix_sort_config_selectorIdlEEZNS1_25segmented_radix_sort_implIS3_Lb1EPKdPdPKlPlN2at6native12_GLOBAL__N_18offset_tEEE10hipError_tPvRmT1_PNSt15iterator_traitsISK_E10value_typeET2_T3_PNSL_ISQ_E10value_typeET4_jRbjT5_SW_jjP12ihipStream_tbEUlT_E0_NS1_11comp_targetILNS1_3genE0ELNS1_11target_archE4294967295ELNS1_3gpuE0ELNS1_3repE0EEENS1_60segmented_radix_sort_warp_sort_medium_config_static_selectorELNS0_4arch9wavefront6targetE1EEEvSK_, .Lfunc_end1126-_ZN7rocprim17ROCPRIM_400000_NS6detail17trampoline_kernelINS0_14default_configENS1_36segmented_radix_sort_config_selectorIdlEEZNS1_25segmented_radix_sort_implIS3_Lb1EPKdPdPKlPlN2at6native12_GLOBAL__N_18offset_tEEE10hipError_tPvRmT1_PNSt15iterator_traitsISK_E10value_typeET2_T3_PNSL_ISQ_E10value_typeET4_jRbjT5_SW_jjP12ihipStream_tbEUlT_E0_NS1_11comp_targetILNS1_3genE0ELNS1_11target_archE4294967295ELNS1_3gpuE0ELNS1_3repE0EEENS1_60segmented_radix_sort_warp_sort_medium_config_static_selectorELNS0_4arch9wavefront6targetE1EEEvSK_
                                        ; -- End function
	.section	.AMDGPU.csdata,"",@progbits
; Kernel info:
; codeLenInByte = 0
; NumSgprs: 4
; NumVgprs: 0
; NumAgprs: 0
; TotalNumVgprs: 0
; ScratchSize: 0
; MemoryBound: 0
; FloatMode: 240
; IeeeMode: 1
; LDSByteSize: 0 bytes/workgroup (compile time only)
; SGPRBlocks: 0
; VGPRBlocks: 0
; NumSGPRsForWavesPerEU: 4
; NumVGPRsForWavesPerEU: 1
; AccumOffset: 4
; Occupancy: 8
; WaveLimiterHint : 0
; COMPUTE_PGM_RSRC2:SCRATCH_EN: 0
; COMPUTE_PGM_RSRC2:USER_SGPR: 6
; COMPUTE_PGM_RSRC2:TRAP_HANDLER: 0
; COMPUTE_PGM_RSRC2:TGID_X_EN: 1
; COMPUTE_PGM_RSRC2:TGID_Y_EN: 0
; COMPUTE_PGM_RSRC2:TGID_Z_EN: 0
; COMPUTE_PGM_RSRC2:TIDIG_COMP_CNT: 0
; COMPUTE_PGM_RSRC3_GFX90A:ACCUM_OFFSET: 0
; COMPUTE_PGM_RSRC3_GFX90A:TG_SPLIT: 0
	.section	.text._ZN7rocprim17ROCPRIM_400000_NS6detail17trampoline_kernelINS0_14default_configENS1_36segmented_radix_sort_config_selectorIdlEEZNS1_25segmented_radix_sort_implIS3_Lb1EPKdPdPKlPlN2at6native12_GLOBAL__N_18offset_tEEE10hipError_tPvRmT1_PNSt15iterator_traitsISK_E10value_typeET2_T3_PNSL_ISQ_E10value_typeET4_jRbjT5_SW_jjP12ihipStream_tbEUlT_E0_NS1_11comp_targetILNS1_3genE5ELNS1_11target_archE942ELNS1_3gpuE9ELNS1_3repE0EEENS1_60segmented_radix_sort_warp_sort_medium_config_static_selectorELNS0_4arch9wavefront6targetE1EEEvSK_,"axG",@progbits,_ZN7rocprim17ROCPRIM_400000_NS6detail17trampoline_kernelINS0_14default_configENS1_36segmented_radix_sort_config_selectorIdlEEZNS1_25segmented_radix_sort_implIS3_Lb1EPKdPdPKlPlN2at6native12_GLOBAL__N_18offset_tEEE10hipError_tPvRmT1_PNSt15iterator_traitsISK_E10value_typeET2_T3_PNSL_ISQ_E10value_typeET4_jRbjT5_SW_jjP12ihipStream_tbEUlT_E0_NS1_11comp_targetILNS1_3genE5ELNS1_11target_archE942ELNS1_3gpuE9ELNS1_3repE0EEENS1_60segmented_radix_sort_warp_sort_medium_config_static_selectorELNS0_4arch9wavefront6targetE1EEEvSK_,comdat
	.globl	_ZN7rocprim17ROCPRIM_400000_NS6detail17trampoline_kernelINS0_14default_configENS1_36segmented_radix_sort_config_selectorIdlEEZNS1_25segmented_radix_sort_implIS3_Lb1EPKdPdPKlPlN2at6native12_GLOBAL__N_18offset_tEEE10hipError_tPvRmT1_PNSt15iterator_traitsISK_E10value_typeET2_T3_PNSL_ISQ_E10value_typeET4_jRbjT5_SW_jjP12ihipStream_tbEUlT_E0_NS1_11comp_targetILNS1_3genE5ELNS1_11target_archE942ELNS1_3gpuE9ELNS1_3repE0EEENS1_60segmented_radix_sort_warp_sort_medium_config_static_selectorELNS0_4arch9wavefront6targetE1EEEvSK_ ; -- Begin function _ZN7rocprim17ROCPRIM_400000_NS6detail17trampoline_kernelINS0_14default_configENS1_36segmented_radix_sort_config_selectorIdlEEZNS1_25segmented_radix_sort_implIS3_Lb1EPKdPdPKlPlN2at6native12_GLOBAL__N_18offset_tEEE10hipError_tPvRmT1_PNSt15iterator_traitsISK_E10value_typeET2_T3_PNSL_ISQ_E10value_typeET4_jRbjT5_SW_jjP12ihipStream_tbEUlT_E0_NS1_11comp_targetILNS1_3genE5ELNS1_11target_archE942ELNS1_3gpuE9ELNS1_3repE0EEENS1_60segmented_radix_sort_warp_sort_medium_config_static_selectorELNS0_4arch9wavefront6targetE1EEEvSK_
	.p2align	8
	.type	_ZN7rocprim17ROCPRIM_400000_NS6detail17trampoline_kernelINS0_14default_configENS1_36segmented_radix_sort_config_selectorIdlEEZNS1_25segmented_radix_sort_implIS3_Lb1EPKdPdPKlPlN2at6native12_GLOBAL__N_18offset_tEEE10hipError_tPvRmT1_PNSt15iterator_traitsISK_E10value_typeET2_T3_PNSL_ISQ_E10value_typeET4_jRbjT5_SW_jjP12ihipStream_tbEUlT_E0_NS1_11comp_targetILNS1_3genE5ELNS1_11target_archE942ELNS1_3gpuE9ELNS1_3repE0EEENS1_60segmented_radix_sort_warp_sort_medium_config_static_selectorELNS0_4arch9wavefront6targetE1EEEvSK_,@function
_ZN7rocprim17ROCPRIM_400000_NS6detail17trampoline_kernelINS0_14default_configENS1_36segmented_radix_sort_config_selectorIdlEEZNS1_25segmented_radix_sort_implIS3_Lb1EPKdPdPKlPlN2at6native12_GLOBAL__N_18offset_tEEE10hipError_tPvRmT1_PNSt15iterator_traitsISK_E10value_typeET2_T3_PNSL_ISQ_E10value_typeET4_jRbjT5_SW_jjP12ihipStream_tbEUlT_E0_NS1_11comp_targetILNS1_3genE5ELNS1_11target_archE942ELNS1_3gpuE9ELNS1_3repE0EEENS1_60segmented_radix_sort_warp_sort_medium_config_static_selectorELNS0_4arch9wavefront6targetE1EEEvSK_: ; @_ZN7rocprim17ROCPRIM_400000_NS6detail17trampoline_kernelINS0_14default_configENS1_36segmented_radix_sort_config_selectorIdlEEZNS1_25segmented_radix_sort_implIS3_Lb1EPKdPdPKlPlN2at6native12_GLOBAL__N_18offset_tEEE10hipError_tPvRmT1_PNSt15iterator_traitsISK_E10value_typeET2_T3_PNSL_ISQ_E10value_typeET4_jRbjT5_SW_jjP12ihipStream_tbEUlT_E0_NS1_11comp_targetILNS1_3genE5ELNS1_11target_archE942ELNS1_3gpuE9ELNS1_3repE0EEENS1_60segmented_radix_sort_warp_sort_medium_config_static_selectorELNS0_4arch9wavefront6targetE1EEEvSK_
; %bb.0:
	.section	.rodata,"a",@progbits
	.p2align	6, 0x0
	.amdhsa_kernel _ZN7rocprim17ROCPRIM_400000_NS6detail17trampoline_kernelINS0_14default_configENS1_36segmented_radix_sort_config_selectorIdlEEZNS1_25segmented_radix_sort_implIS3_Lb1EPKdPdPKlPlN2at6native12_GLOBAL__N_18offset_tEEE10hipError_tPvRmT1_PNSt15iterator_traitsISK_E10value_typeET2_T3_PNSL_ISQ_E10value_typeET4_jRbjT5_SW_jjP12ihipStream_tbEUlT_E0_NS1_11comp_targetILNS1_3genE5ELNS1_11target_archE942ELNS1_3gpuE9ELNS1_3repE0EEENS1_60segmented_radix_sort_warp_sort_medium_config_static_selectorELNS0_4arch9wavefront6targetE1EEEvSK_
		.amdhsa_group_segment_fixed_size 0
		.amdhsa_private_segment_fixed_size 0
		.amdhsa_kernarg_size 88
		.amdhsa_user_sgpr_count 6
		.amdhsa_user_sgpr_private_segment_buffer 1
		.amdhsa_user_sgpr_dispatch_ptr 0
		.amdhsa_user_sgpr_queue_ptr 0
		.amdhsa_user_sgpr_kernarg_segment_ptr 1
		.amdhsa_user_sgpr_dispatch_id 0
		.amdhsa_user_sgpr_flat_scratch_init 0
		.amdhsa_user_sgpr_kernarg_preload_length 0
		.amdhsa_user_sgpr_kernarg_preload_offset 0
		.amdhsa_user_sgpr_private_segment_size 0
		.amdhsa_uses_dynamic_stack 0
		.amdhsa_system_sgpr_private_segment_wavefront_offset 0
		.amdhsa_system_sgpr_workgroup_id_x 1
		.amdhsa_system_sgpr_workgroup_id_y 0
		.amdhsa_system_sgpr_workgroup_id_z 0
		.amdhsa_system_sgpr_workgroup_info 0
		.amdhsa_system_vgpr_workitem_id 0
		.amdhsa_next_free_vgpr 1
		.amdhsa_next_free_sgpr 0
		.amdhsa_accum_offset 4
		.amdhsa_reserve_vcc 0
		.amdhsa_reserve_flat_scratch 0
		.amdhsa_float_round_mode_32 0
		.amdhsa_float_round_mode_16_64 0
		.amdhsa_float_denorm_mode_32 3
		.amdhsa_float_denorm_mode_16_64 3
		.amdhsa_dx10_clamp 1
		.amdhsa_ieee_mode 1
		.amdhsa_fp16_overflow 0
		.amdhsa_tg_split 0
		.amdhsa_exception_fp_ieee_invalid_op 0
		.amdhsa_exception_fp_denorm_src 0
		.amdhsa_exception_fp_ieee_div_zero 0
		.amdhsa_exception_fp_ieee_overflow 0
		.amdhsa_exception_fp_ieee_underflow 0
		.amdhsa_exception_fp_ieee_inexact 0
		.amdhsa_exception_int_div_zero 0
	.end_amdhsa_kernel
	.section	.text._ZN7rocprim17ROCPRIM_400000_NS6detail17trampoline_kernelINS0_14default_configENS1_36segmented_radix_sort_config_selectorIdlEEZNS1_25segmented_radix_sort_implIS3_Lb1EPKdPdPKlPlN2at6native12_GLOBAL__N_18offset_tEEE10hipError_tPvRmT1_PNSt15iterator_traitsISK_E10value_typeET2_T3_PNSL_ISQ_E10value_typeET4_jRbjT5_SW_jjP12ihipStream_tbEUlT_E0_NS1_11comp_targetILNS1_3genE5ELNS1_11target_archE942ELNS1_3gpuE9ELNS1_3repE0EEENS1_60segmented_radix_sort_warp_sort_medium_config_static_selectorELNS0_4arch9wavefront6targetE1EEEvSK_,"axG",@progbits,_ZN7rocprim17ROCPRIM_400000_NS6detail17trampoline_kernelINS0_14default_configENS1_36segmented_radix_sort_config_selectorIdlEEZNS1_25segmented_radix_sort_implIS3_Lb1EPKdPdPKlPlN2at6native12_GLOBAL__N_18offset_tEEE10hipError_tPvRmT1_PNSt15iterator_traitsISK_E10value_typeET2_T3_PNSL_ISQ_E10value_typeET4_jRbjT5_SW_jjP12ihipStream_tbEUlT_E0_NS1_11comp_targetILNS1_3genE5ELNS1_11target_archE942ELNS1_3gpuE9ELNS1_3repE0EEENS1_60segmented_radix_sort_warp_sort_medium_config_static_selectorELNS0_4arch9wavefront6targetE1EEEvSK_,comdat
.Lfunc_end1127:
	.size	_ZN7rocprim17ROCPRIM_400000_NS6detail17trampoline_kernelINS0_14default_configENS1_36segmented_radix_sort_config_selectorIdlEEZNS1_25segmented_radix_sort_implIS3_Lb1EPKdPdPKlPlN2at6native12_GLOBAL__N_18offset_tEEE10hipError_tPvRmT1_PNSt15iterator_traitsISK_E10value_typeET2_T3_PNSL_ISQ_E10value_typeET4_jRbjT5_SW_jjP12ihipStream_tbEUlT_E0_NS1_11comp_targetILNS1_3genE5ELNS1_11target_archE942ELNS1_3gpuE9ELNS1_3repE0EEENS1_60segmented_radix_sort_warp_sort_medium_config_static_selectorELNS0_4arch9wavefront6targetE1EEEvSK_, .Lfunc_end1127-_ZN7rocprim17ROCPRIM_400000_NS6detail17trampoline_kernelINS0_14default_configENS1_36segmented_radix_sort_config_selectorIdlEEZNS1_25segmented_radix_sort_implIS3_Lb1EPKdPdPKlPlN2at6native12_GLOBAL__N_18offset_tEEE10hipError_tPvRmT1_PNSt15iterator_traitsISK_E10value_typeET2_T3_PNSL_ISQ_E10value_typeET4_jRbjT5_SW_jjP12ihipStream_tbEUlT_E0_NS1_11comp_targetILNS1_3genE5ELNS1_11target_archE942ELNS1_3gpuE9ELNS1_3repE0EEENS1_60segmented_radix_sort_warp_sort_medium_config_static_selectorELNS0_4arch9wavefront6targetE1EEEvSK_
                                        ; -- End function
	.section	.AMDGPU.csdata,"",@progbits
; Kernel info:
; codeLenInByte = 0
; NumSgprs: 4
; NumVgprs: 0
; NumAgprs: 0
; TotalNumVgprs: 0
; ScratchSize: 0
; MemoryBound: 0
; FloatMode: 240
; IeeeMode: 1
; LDSByteSize: 0 bytes/workgroup (compile time only)
; SGPRBlocks: 0
; VGPRBlocks: 0
; NumSGPRsForWavesPerEU: 4
; NumVGPRsForWavesPerEU: 1
; AccumOffset: 4
; Occupancy: 8
; WaveLimiterHint : 0
; COMPUTE_PGM_RSRC2:SCRATCH_EN: 0
; COMPUTE_PGM_RSRC2:USER_SGPR: 6
; COMPUTE_PGM_RSRC2:TRAP_HANDLER: 0
; COMPUTE_PGM_RSRC2:TGID_X_EN: 1
; COMPUTE_PGM_RSRC2:TGID_Y_EN: 0
; COMPUTE_PGM_RSRC2:TGID_Z_EN: 0
; COMPUTE_PGM_RSRC2:TIDIG_COMP_CNT: 0
; COMPUTE_PGM_RSRC3_GFX90A:ACCUM_OFFSET: 0
; COMPUTE_PGM_RSRC3_GFX90A:TG_SPLIT: 0
	.text
	.p2align	2                               ; -- Begin function _ZN7rocprim17ROCPRIM_400000_NS6detail26segmented_warp_sort_helperINS1_20WarpSortHelperConfigILj16ELj8ELj256EEEdlLi256ELb1EvE4sortIPKdPdPKlPlEEvT_T0_T1_T2_jjjjRNS5_12storage_typeE
	.type	_ZN7rocprim17ROCPRIM_400000_NS6detail26segmented_warp_sort_helperINS1_20WarpSortHelperConfigILj16ELj8ELj256EEEdlLi256ELb1EvE4sortIPKdPdPKlPlEEvT_T0_T1_T2_jjjjRNS5_12storage_typeE,@function
_ZN7rocprim17ROCPRIM_400000_NS6detail26segmented_warp_sort_helperINS1_20WarpSortHelperConfigILj16ELj8ELj256EEEdlLi256ELb1EvE4sortIPKdPdPKlPlEEvT_T0_T1_T2_jjjjRNS5_12storage_typeE: ; @_ZN7rocprim17ROCPRIM_400000_NS6detail26segmented_warp_sort_helperINS1_20WarpSortHelperConfigILj16ELj8ELj256EEEdlLi256ELb1EvE4sortIPKdPdPKlPlEEvT_T0_T1_T2_jjjjRNS5_12storage_typeE
; %bb.0:
	s_waitcnt vmcnt(0) expcnt(0) lgkmcnt(0)
	s_or_saveexec_b64 s[4:5], -1
	buffer_store_dword v40, off, s[0:3], s32 ; 4-byte Folded Spill
	s_mov_b64 exec, s[4:5]
	v_writelane_b32 v40, s34, 0
	v_writelane_b32 v40, s35, 1
	;; [unrolled: 1-line block ×12, first 2 shown]
	v_sub_u32_e32 v10, v9, v8
	v_mov_b32_e32 v9, 0
	v_lshlrev_b64 v[24:25], 3, v[8:9]
	v_mbcnt_lo_u32_b32 v8, -1, 0
	v_mbcnt_hi_u32_b32 v8, -1, v8
	v_lshlrev_b32_e32 v70, 3, v8
	v_add_co_u32_e32 v0, vcc, v0, v24
	v_and_b32_e32 v69, 0x78, v70
	v_addc_co_u32_e32 v1, vcc, v1, v25, vcc
	v_lshlrev_b32_e32 v68, 3, v69
	v_add_co_u32_e32 v0, vcc, v0, v68
	v_addc_co_u32_e32 v1, vcc, 0, v1, vcc
	v_pk_mov_b32 v[38:39], -1, -1
	v_cmp_lt_u32_e32 vcc, v69, v10
	v_pk_mov_b32 v[26:27], v[38:39], v[38:39] op_sel:[0,1]
	s_and_saveexec_b64 s[4:5], vcc
	s_cbranch_execz .LBB1128_2
; %bb.1:
	flat_load_dwordx2 v[26:27], v[0:1]
.LBB1128_2:
	s_or_b64 exec, exec, s[4:5]
	v_or_b32_e32 v8, 1, v69
	v_cmp_lt_u32_e64 s[4:5], v8, v10
	s_and_saveexec_b64 s[6:7], s[4:5]
	s_cbranch_execz .LBB1128_4
; %bb.3:
	flat_load_dwordx2 v[38:39], v[0:1] offset:8
.LBB1128_4:
	s_or_b64 exec, exec, s[6:7]
	v_or_b32_e32 v8, 2, v69
	v_pk_mov_b32 v[50:51], -1, -1
	v_cmp_lt_u32_e64 s[6:7], v8, v10
	v_pk_mov_b32 v[36:37], v[50:51], v[50:51] op_sel:[0,1]
	s_and_saveexec_b64 s[10:11], s[6:7]
	s_cbranch_execz .LBB1128_6
; %bb.5:
	flat_load_dwordx2 v[36:37], v[0:1] offset:16
.LBB1128_6:
	s_or_b64 exec, exec, s[10:11]
	v_or_b32_e32 v8, 3, v69
	v_cmp_lt_u32_e64 s[18:19], v8, v10
	s_and_saveexec_b64 s[10:11], s[18:19]
	s_cbranch_execz .LBB1128_8
; %bb.7:
	flat_load_dwordx2 v[50:51], v[0:1] offset:24
.LBB1128_8:
	s_or_b64 exec, exec, s[10:11]
	v_or_b32_e32 v8, 4, v69
	v_pk_mov_b32 v[32:33], -1, -1
	v_cmp_lt_u32_e64 s[10:11], v8, v10
	v_pk_mov_b32 v[34:35], v[32:33], v[32:33] op_sel:[0,1]
	s_and_saveexec_b64 s[14:15], s[10:11]
	s_cbranch_execz .LBB1128_10
; %bb.9:
	flat_load_dwordx2 v[34:35], v[0:1] offset:32
.LBB1128_10:
	;; [unrolled: 18-line block ×3, first 2 shown]
	s_or_b64 exec, exec, s[16:17]
	v_or_b32_e32 v8, 7, v69
	v_cmp_lt_u32_e64 s[16:17], v8, v10
	s_and_saveexec_b64 s[22:23], s[16:17]
	s_cbranch_execz .LBB1128_16
; %bb.15:
	flat_load_dwordx2 v[28:29], v[0:1] offset:56
.LBB1128_16:
	s_or_b64 exec, exec, s[22:23]
	v_add_co_u32_e64 v0, s[22:23], v4, v24
	v_addc_co_u32_e64 v1, s[22:23], v5, v25, s[22:23]
	v_add_co_u32_e64 v52, s[22:23], v0, v68
	v_addc_co_u32_e64 v53, s[22:23], 0, v1, s[22:23]
	; wave barrier
                                        ; implicit-def: $vgpr0_vgpr1
	s_and_saveexec_b64 s[22:23], vcc
	s_cbranch_execnz .LBB1128_262
; %bb.17:
	s_or_b64 exec, exec, s[22:23]
	s_and_saveexec_b64 s[22:23], s[4:5]
                                        ; implicit-def: $vgpr8_vgpr9_vgpr10_vgpr11
	s_cbranch_execnz .LBB1128_263
.LBB1128_18:
	s_or_b64 exec, exec, s[22:23]
                                        ; implicit-def: $vgpr4_vgpr5
	s_and_saveexec_b64 s[22:23], s[6:7]
	s_cbranch_execnz .LBB1128_264
.LBB1128_19:
	s_or_b64 exec, exec, s[22:23]
	s_and_saveexec_b64 s[22:23], s[18:19]
                                        ; implicit-def: $vgpr12_vgpr13_vgpr14_vgpr15
	s_cbranch_execnz .LBB1128_265
.LBB1128_20:
	s_or_b64 exec, exec, s[22:23]
                                        ; implicit-def: $vgpr8_vgpr9
	s_and_saveexec_b64 s[22:23], s[10:11]
	s_cbranch_execnz .LBB1128_266
.LBB1128_21:
	s_or_b64 exec, exec, s[22:23]
	s_and_saveexec_b64 s[22:23], s[20:21]
                                        ; implicit-def: $vgpr16_vgpr17_vgpr18_vgpr19
	s_cbranch_execnz .LBB1128_267
.LBB1128_22:
	s_or_b64 exec, exec, s[22:23]
                                        ; implicit-def: $vgpr12_vgpr13
	s_and_saveexec_b64 s[22:23], s[14:15]
	s_cbranch_execnz .LBB1128_268
.LBB1128_23:
	s_or_b64 exec, exec, s[22:23]
	s_and_saveexec_b64 s[22:23], s[16:17]
                                        ; implicit-def: $vgpr20_vgpr21_vgpr22_vgpr23
	s_cbranch_execz .LBB1128_25
.LBB1128_24:
	flat_load_dwordx2 v[22:23], v[52:53] offset:56
.LBB1128_25:
	s_or_b64 exec, exec, s[22:23]
	; wave barrier
	s_load_dwordx2 s[22:23], s[8:9], 0x0
	v_mov_b32_e32 v16, 0
	v_bfe_u32 v21, v31, 20, 10
	v_and_b32_e32 v30, 0x3ff, v31
	s_waitcnt lgkmcnt(0)
	s_cmp_lt_u32 s12, s22
	s_cselect_b32 s22, 12, 18
	s_cmp_lt_u32 s13, s23
	s_cselect_b32 s12, 14, 20
	s_add_u32 s12, s8, s12
	s_addc_u32 s13, s9, 0
	s_add_u32 s8, s8, s22
	s_addc_u32 s9, s9, 0
	global_load_ushort v17, v16, s[12:13]
	global_load_ushort v20, v16, s[8:9]
	v_bfe_u32 v16, v31, 10, 10
	s_movk_i32 s8, 0x800
	s_waitcnt vmcnt(0)
	v_mad_u32_u24 v16, v21, v17, v16
	v_mul_lo_u32 v16, v16, v20
	v_add_lshl_u32 v71, v16, v30, 3
	v_cmp_gt_u32_e64 s[8:9], s8, v71
	s_and_saveexec_b64 s[12:13], s[8:9]
	s_cbranch_execz .LBB1128_83
; %bb.26:
	v_add_f64 v[16:17], v[38:39], 0
	v_add_f64 v[20:21], v[26:27], 0
	v_ashrrev_i32_e32 v30, 31, v17
	v_or_b32_e32 v31, 0x80000000, v30
	v_xor_b32_e32 v16, v30, v16
	v_ashrrev_i32_e32 v30, 31, v21
	v_xor_b32_e32 v17, v31, v17
	v_or_b32_e32 v31, 0x80000000, v30
	v_xor_b32_e32 v21, v31, v21
	v_xor_b32_e32 v20, v30, v20
	v_cmp_gt_u64_e64 s[8:9], v[16:17], v[20:21]
	v_pk_mov_b32 v[16:17], v[38:39], v[38:39] op_sel:[0,1]
	v_pk_mov_b32 v[20:21], v[10:11], v[10:11] op_sel:[0,1]
	s_and_saveexec_b64 s[22:23], s[8:9]
; %bb.27:
	v_pk_mov_b32 v[16:17], v[26:27], v[26:27] op_sel:[0,1]
	v_pk_mov_b32 v[26:27], v[38:39], v[38:39] op_sel:[0,1]
	v_pk_mov_b32 v[20:21], v[0:1], v[0:1] op_sel:[0,1]
	v_pk_mov_b32 v[0:1], v[10:11], v[10:11] op_sel:[0,1]
; %bb.28:
	s_or_b64 exec, exec, s[22:23]
	v_add_f64 v[10:11], v[50:51], 0
	v_add_f64 v[30:31], v[36:37], 0
	v_ashrrev_i32_e32 v38, 31, v11
	v_or_b32_e32 v39, 0x80000000, v38
	v_xor_b32_e32 v10, v38, v10
	v_ashrrev_i32_e32 v38, 31, v31
	v_xor_b32_e32 v11, v39, v11
	v_or_b32_e32 v39, 0x80000000, v38
	v_xor_b32_e32 v31, v39, v31
	v_xor_b32_e32 v30, v38, v30
	v_cmp_gt_u64_e64 s[8:9], v[10:11], v[30:31]
	v_pk_mov_b32 v[38:39], v[50:51], v[50:51] op_sel:[0,1]
	v_pk_mov_b32 v[30:31], v[14:15], v[14:15] op_sel:[0,1]
	s_and_saveexec_b64 s[22:23], s[8:9]
; %bb.29:
	v_pk_mov_b32 v[38:39], v[36:37], v[36:37] op_sel:[0,1]
	v_pk_mov_b32 v[36:37], v[50:51], v[50:51] op_sel:[0,1]
	v_pk_mov_b32 v[30:31], v[4:5], v[4:5] op_sel:[0,1]
	v_pk_mov_b32 v[4:5], v[14:15], v[14:15] op_sel:[0,1]
; %bb.30:
	s_or_b64 exec, exec, s[22:23]
	;; [unrolled: 21-line block ×4, first 2 shown]
	v_add_f64 v[18:19], v[36:37], 0
	v_add_f64 v[22:23], v[16:17], 0
	v_ashrrev_i32_e32 v48, 31, v19
	v_or_b32_e32 v49, 0x80000000, v48
	v_xor_b32_e32 v18, v48, v18
	v_ashrrev_i32_e32 v48, 31, v23
	v_xor_b32_e32 v19, v49, v19
	v_or_b32_e32 v49, 0x80000000, v48
	v_xor_b32_e32 v23, v49, v23
	v_xor_b32_e32 v22, v48, v22
	v_cmp_gt_u64_e64 s[8:9], v[18:19], v[22:23]
	v_pk_mov_b32 v[18:19], v[36:37], v[36:37] op_sel:[0,1]
	v_pk_mov_b32 v[22:23], v[4:5], v[4:5] op_sel:[0,1]
	s_and_saveexec_b64 s[22:23], s[8:9]
	s_xor_b64 s[8:9], exec, s[22:23]
; %bb.35:
	v_pk_mov_b32 v[18:19], v[16:17], v[16:17] op_sel:[0,1]
	v_pk_mov_b32 v[16:17], v[36:37], v[36:37] op_sel:[0,1]
	v_pk_mov_b32 v[22:23], v[20:21], v[20:21] op_sel:[0,1]
	v_pk_mov_b32 v[20:21], v[4:5], v[4:5] op_sel:[0,1]
; %bb.36:
	s_or_b64 exec, exec, s[8:9]
	v_add_f64 v[4:5], v[50:51], 0
	v_add_f64 v[36:37], v[38:39], 0
	v_ashrrev_i32_e32 v48, 31, v5
	v_or_b32_e32 v49, 0x80000000, v48
	v_xor_b32_e32 v4, v48, v4
	v_ashrrev_i32_e32 v48, 31, v37
	v_xor_b32_e32 v5, v49, v5
	v_or_b32_e32 v49, 0x80000000, v48
	v_xor_b32_e32 v37, v49, v37
	v_xor_b32_e32 v36, v48, v36
	v_cmp_gt_u64_e64 s[8:9], v[4:5], v[36:37]
	v_pk_mov_b32 v[4:5], v[38:39], v[38:39] op_sel:[0,1]
	v_pk_mov_b32 v[36:37], v[8:9], v[8:9] op_sel:[0,1]
	s_and_saveexec_b64 s[22:23], s[8:9]
; %bb.37:
	v_pk_mov_b32 v[4:5], v[50:51], v[50:51] op_sel:[0,1]
	v_pk_mov_b32 v[36:37], v[30:31], v[30:31] op_sel:[0,1]
	v_pk_mov_b32 v[30:31], v[8:9], v[8:9] op_sel:[0,1]
	v_pk_mov_b32 v[50:51], v[38:39], v[38:39] op_sel:[0,1]
; %bb.38:
	s_or_b64 exec, exec, s[22:23]
	v_add_f64 v[8:9], v[34:35], 0
	v_add_f64 v[38:39], v[32:33], 0
	v_ashrrev_i32_e32 v48, 31, v9
	v_or_b32_e32 v49, 0x80000000, v48
	v_xor_b32_e32 v8, v48, v8
	v_ashrrev_i32_e32 v48, 31, v39
	v_xor_b32_e32 v9, v49, v9
	v_or_b32_e32 v49, 0x80000000, v48
	v_xor_b32_e32 v39, v49, v39
	v_xor_b32_e32 v38, v48, v38
	v_cmp_gt_u64_e64 s[8:9], v[8:9], v[38:39]
	v_pk_mov_b32 v[8:9], v[12:13], v[12:13] op_sel:[0,1]
	v_pk_mov_b32 v[38:39], v[32:33], v[32:33] op_sel:[0,1]
	s_and_saveexec_b64 s[22:23], s[8:9]
	;; [unrolled: 21-line block ×23, first 2 shown]
; %bb.81:
	v_pk_mov_b32 v[48:49], v[32:33], v[32:33] op_sel:[0,1]
	v_pk_mov_b32 v[32:33], v[20:21], v[20:21] op_sel:[0,1]
	;; [unrolled: 1-line block ×4, first 2 shown]
; %bb.82:
	s_or_b64 exec, exec, s[22:23]
.LBB1128_83:
	s_or_b64 exec, exec, s[12:13]
	v_and_b32_e32 v16, 0xfffffe00, v71
	v_lshlrev_b32_e32 v71, 3, v16
	s_movk_i32 s8, 0x800
	v_lshl_add_u32 v82, v70, 3, v71
	v_sub_u32_e64 v80, s8, v16 clamp
	v_add_u32_e32 v16, 0x4010, v82
	v_or_b32_e32 v17, 8, v70
	v_add_u32_e32 v81, 0x4000, v82
	ds_write2_b64 v82, v[26:27], v[38:39] offset1:1
	ds_write2_b64 v81, v[0:1], v[10:11] offset1:1
	ds_write2_b64 v82, v[36:37], v[50:51] offset0:2 offset1:3
	ds_write2_b64 v16, v[4:5], v[14:15] offset1:1
	v_add_u32_e32 v16, 0x4020, v82
	v_min_u32_e32 v83, v80, v17
	ds_write2_b64 v82, v[34:35], v[32:33] offset0:4 offset1:5
	ds_write2_b64 v16, v[8:9], v[18:19] offset1:1
	v_add_u32_e32 v16, 0x4030, v82
	v_add_u32_e32 v17, 8, v83
	ds_write2_b64 v82, v[48:49], v[28:29] offset0:6 offset1:7
	ds_write2_b64 v16, v[12:13], v[22:23] offset1:1
	v_and_b32_e32 v16, 0x3f0, v70
	v_min_u32_e32 v84, v80, v17
	v_and_b32_e32 v17, 8, v70
	v_min_u32_e32 v17, v80, v17
	v_sub_u32_e32 v30, v83, v16
	v_sub_u32_e32 v21, v84, v83
	v_sub_u32_e64 v21, v17, v21 clamp
	v_min_u32_e32 v30, v17, v30
	v_lshl_add_u32 v20, v16, 3, v71
	v_cmp_lt_u32_e64 s[8:9], v21, v30
	; wave barrier
	s_and_saveexec_b64 s[12:13], s[8:9]
	s_cbranch_execz .LBB1128_87
; %bb.84:
	v_lshlrev_b32_e32 v31, 3, v83
	v_lshlrev_b32_e32 v52, 3, v17
	v_add3_u32 v31, v71, v31, v52
	s_mov_b64 s[22:23], 0
.LBB1128_85:                            ; =>This Inner Loop Header: Depth=1
	v_add_u32_e32 v52, v30, v21
	v_lshrrev_b32_e32 v64, 1, v52
	v_not_b32_e32 v52, v64
	v_lshl_add_u32 v53, v64, 3, v20
	v_lshl_add_u32 v54, v52, 3, v31
	ds_read_b64 v[52:53], v53
	ds_read_b64 v[54:55], v54
	v_add_u32_e32 v65, 1, v64
	s_waitcnt lgkmcnt(1)
	v_add_f64 v[52:53], v[52:53], 0
	s_waitcnt lgkmcnt(0)
	v_add_f64 v[54:55], v[54:55], 0
	v_ashrrev_i32_e32 v66, 31, v53
	v_ashrrev_i32_e32 v67, 31, v55
	v_or_b32_e32 v85, 0x80000000, v66
	v_xor_b32_e32 v52, v66, v52
	v_or_b32_e32 v66, 0x80000000, v67
	v_xor_b32_e32 v54, v67, v54
	v_xor_b32_e32 v53, v85, v53
	;; [unrolled: 1-line block ×3, first 2 shown]
	v_cmp_gt_u64_e64 s[8:9], v[54:55], v[52:53]
	v_cndmask_b32_e64 v30, v30, v64, s[8:9]
	v_cndmask_b32_e64 v21, v65, v21, s[8:9]
	v_cmp_ge_u32_e64 s[8:9], v21, v30
	s_or_b64 s[22:23], s[8:9], s[22:23]
	s_andn2_b64 exec, exec, s[22:23]
	s_cbranch_execnz .LBB1128_85
; %bb.86:
	s_or_b64 exec, exec, s[22:23]
.LBB1128_87:
	s_or_b64 exec, exec, s[12:13]
	v_add_u32_e32 v30, v21, v16
	v_add_u32_e32 v16, v83, v17
	v_sub_u32_e32 v31, v16, v21
	v_cmp_le_u32_e64 s[8:9], v30, v83
	v_cmp_le_u32_e64 s[12:13], v31, v84
	s_or_b64 s[8:9], s[8:9], s[12:13]
	s_and_saveexec_b64 s[22:23], s[8:9]
	s_cbranch_execz .LBB1128_123
; %bb.88:
	v_cmp_ge_u32_e64 s[8:9], v30, v83
	v_cmp_lt_u32_e64 s[12:13], v30, v83
                                        ; implicit-def: $vgpr16_vgpr17
	s_and_saveexec_b64 s[24:25], s[12:13]
	s_cbranch_execz .LBB1128_90
; %bb.89:
	v_lshl_add_u32 v0, v21, 3, v20
	ds_read_b64 v[16:17], v0
.LBB1128_90:
	s_or_b64 exec, exec, s[24:25]
	v_cmp_ge_u32_e64 s[24:25], v31, v84
	v_cmp_lt_u32_e64 s[12:13], v31, v84
                                        ; implicit-def: $vgpr20_vgpr21
	s_and_saveexec_b64 s[26:27], s[12:13]
	s_cbranch_execz .LBB1128_92
; %bb.91:
	v_lshl_add_u32 v0, v31, 3, v71
	ds_read_b64 v[20:21], v0
.LBB1128_92:
	s_or_b64 exec, exec, s[26:27]
	s_or_b64 s[8:9], s[8:9], s[24:25]
	s_mov_b64 s[12:13], -1
	s_xor_b64 s[8:9], s[8:9], -1
	s_and_saveexec_b64 s[26:27], s[8:9]
	s_cbranch_execz .LBB1128_94
; %bb.93:
	s_waitcnt lgkmcnt(0)
	v_add_f64 v[0:1], v[20:21], 0
	v_add_f64 v[4:5], v[16:17], 0
	v_ashrrev_i32_e32 v8, 31, v1
	v_or_b32_e32 v9, 0x80000000, v8
	v_xor_b32_e32 v0, v8, v0
	v_ashrrev_i32_e32 v8, 31, v5
	v_xor_b32_e32 v1, v9, v1
	v_or_b32_e32 v9, 0x80000000, v8
	v_xor_b32_e32 v5, v9, v5
	v_xor_b32_e32 v4, v8, v4
	v_cmp_le_u64_e64 s[8:9], v[0:1], v[4:5]
	s_andn2_b64 s[24:25], s[24:25], exec
	s_and_b64 s[8:9], s[8:9], exec
	s_or_b64 s[24:25], s[24:25], s[8:9]
.LBB1128_94:
	s_or_b64 exec, exec, s[26:27]
	v_cndmask_b32_e64 v0, v31, v30, s[24:25]
	v_cndmask_b32_e64 v1, v84, v83, s[24:25]
	v_add_u32_e32 v8, 1, v0
	v_add_u32_e32 v1, -1, v1
	v_min_u32_e32 v1, v8, v1
	v_lshl_add_u32 v1, v1, 3, v71
	ds_read_b64 v[4:5], v1
	v_lshl_add_u32 v0, v0, 3, v71
	ds_read_b64 v[0:1], v0 offset:16384
	s_waitcnt lgkmcnt(1)
	v_cndmask_b32_e64 v22, v4, v20, s[24:25]
	v_cndmask_b32_e64 v26, v16, v4, s[24:25]
	;; [unrolled: 1-line block ×6, first 2 shown]
	v_cmp_lt_u32_e64 s[8:9], v4, v84
	s_and_saveexec_b64 s[26:27], s[8:9]
	s_cbranch_execz .LBB1128_98
; %bb.95:
	v_cmp_lt_u32_e64 s[8:9], v5, v83
	s_mov_b64 s[28:29], 0
	s_and_saveexec_b64 s[12:13], s[8:9]
	s_cbranch_execz .LBB1128_97
; %bb.96:
	v_add_f64 v[8:9], v[22:23], 0
	v_add_f64 v[10:11], v[26:27], 0
	v_ashrrev_i32_e32 v12, 31, v9
	v_or_b32_e32 v13, 0x80000000, v12
	v_xor_b32_e32 v8, v12, v8
	v_ashrrev_i32_e32 v12, 31, v11
	v_xor_b32_e32 v9, v13, v9
	v_or_b32_e32 v13, 0x80000000, v12
	v_xor_b32_e32 v11, v13, v11
	v_xor_b32_e32 v10, v12, v10
	v_cmp_le_u64_e64 s[8:9], v[8:9], v[10:11]
	s_and_b64 s[28:29], s[8:9], exec
.LBB1128_97:
	s_or_b64 exec, exec, s[12:13]
	s_orn2_b64 s[12:13], s[28:29], exec
.LBB1128_98:
	s_or_b64 exec, exec, s[26:27]
	v_cndmask_b32_e64 v10, v4, v5, s[12:13]
	v_cndmask_b32_e64 v8, v84, v83, s[12:13]
	v_add_u32_e32 v12, 1, v10
	v_add_u32_e32 v8, -1, v8
	v_min_u32_e32 v8, v12, v8
	v_lshl_add_u32 v8, v8, 3, v71
	ds_read_b64 v[8:9], v8
	v_lshl_add_u32 v10, v10, 3, v71
	ds_read_b64 v[10:11], v10 offset:16384
	s_mov_b64 s[28:29], -1
	s_mov_b64 s[26:27], -1
	s_waitcnt lgkmcnt(1)
	v_cndmask_b32_e64 v28, v8, v22, s[12:13]
	v_cndmask_b32_e64 v30, v26, v8, s[12:13]
	;; [unrolled: 1-line block ×6, first 2 shown]
	v_cmp_lt_u32_e64 s[8:9], v8, v84
	s_and_saveexec_b64 s[30:31], s[8:9]
	s_cbranch_execz .LBB1128_102
; %bb.99:
	v_cmp_lt_u32_e64 s[8:9], v9, v83
	s_mov_b64 s[34:35], 0
	s_and_saveexec_b64 s[26:27], s[8:9]
	s_cbranch_execz .LBB1128_101
; %bb.100:
	v_add_f64 v[4:5], v[28:29], 0
	v_add_f64 v[12:13], v[30:31], 0
	v_ashrrev_i32_e32 v14, 31, v5
	v_or_b32_e32 v15, 0x80000000, v14
	v_xor_b32_e32 v4, v14, v4
	v_ashrrev_i32_e32 v14, 31, v13
	v_xor_b32_e32 v5, v15, v5
	v_or_b32_e32 v15, 0x80000000, v14
	v_xor_b32_e32 v13, v15, v13
	v_xor_b32_e32 v12, v14, v12
	v_cmp_le_u64_e64 s[8:9], v[4:5], v[12:13]
	s_and_b64 s[34:35], s[8:9], exec
.LBB1128_101:
	s_or_b64 exec, exec, s[26:27]
	s_orn2_b64 s[26:27], s[34:35], exec
.LBB1128_102:
	s_or_b64 exec, exec, s[30:31]
	v_cndmask_b32_e64 v4, v8, v9, s[26:27]
	v_cndmask_b32_e64 v5, v84, v83, s[26:27]
	v_add_u32_e32 v14, 1, v4
	v_add_u32_e32 v5, -1, v5
	v_min_u32_e32 v5, v14, v5
	v_lshl_add_u32 v5, v5, 3, v71
	ds_read_b64 v[12:13], v5
	v_lshl_add_u32 v4, v4, 3, v71
	ds_read_b64 v[4:5], v4 offset:16384
	v_cndmask_b32_e64 v8, v14, v8, s[26:27]
	v_cndmask_b32_e64 v9, v9, v14, s[26:27]
	s_waitcnt lgkmcnt(1)
	v_cndmask_b32_e64 v37, v13, v29, s[26:27]
	v_cndmask_b32_e64 v36, v12, v28, s[26:27]
	;; [unrolled: 1-line block ×4, first 2 shown]
	v_cmp_lt_u32_e64 s[8:9], v8, v84
	s_and_saveexec_b64 s[30:31], s[8:9]
	s_cbranch_execz .LBB1128_106
; %bb.103:
	v_cmp_lt_u32_e64 s[8:9], v9, v83
	s_mov_b64 s[34:35], 0
	s_and_saveexec_b64 s[28:29], s[8:9]
	s_cbranch_execz .LBB1128_105
; %bb.104:
	v_add_f64 v[12:13], v[36:37], 0
	v_add_f64 v[14:15], v[38:39], 0
	v_ashrrev_i32_e32 v18, 31, v13
	v_or_b32_e32 v19, 0x80000000, v18
	v_xor_b32_e32 v12, v18, v12
	v_ashrrev_i32_e32 v18, 31, v15
	v_xor_b32_e32 v13, v19, v13
	v_or_b32_e32 v19, 0x80000000, v18
	v_xor_b32_e32 v15, v19, v15
	v_xor_b32_e32 v14, v18, v14
	v_cmp_le_u64_e64 s[8:9], v[12:13], v[14:15]
	s_and_b64 s[34:35], s[8:9], exec
.LBB1128_105:
	s_or_b64 exec, exec, s[28:29]
	s_orn2_b64 s[28:29], s[34:35], exec
.LBB1128_106:
	s_or_b64 exec, exec, s[30:31]
	v_cndmask_b32_e64 v14, v8, v9, s[28:29]
	v_cndmask_b32_e64 v12, v84, v83, s[28:29]
	v_add_u32_e32 v18, 1, v14
	v_add_u32_e32 v12, -1, v12
	v_min_u32_e32 v12, v18, v12
	v_lshl_add_u32 v12, v12, 3, v71
	ds_read_b64 v[12:13], v12
	v_lshl_add_u32 v14, v14, 3, v71
	ds_read_b64 v[14:15], v14 offset:16384
	s_mov_b64 s[34:35], -1
	s_mov_b64 s[30:31], -1
	s_waitcnt lgkmcnt(1)
	v_cndmask_b32_e64 v34, v12, v36, s[28:29]
	v_cndmask_b32_e64 v50, v38, v12, s[28:29]
	;; [unrolled: 1-line block ×6, first 2 shown]
	v_cmp_lt_u32_e64 s[8:9], v12, v84
	s_and_saveexec_b64 s[36:37], s[8:9]
	s_cbranch_execz .LBB1128_110
; %bb.107:
	v_cmp_lt_u32_e64 s[8:9], v13, v83
	s_mov_b64 s[38:39], 0
	s_and_saveexec_b64 s[30:31], s[8:9]
	s_cbranch_execz .LBB1128_109
; %bb.108:
	v_add_f64 v[8:9], v[34:35], 0
	v_add_f64 v[18:19], v[50:51], 0
	v_ashrrev_i32_e32 v32, 31, v9
	v_or_b32_e32 v33, 0x80000000, v32
	v_xor_b32_e32 v8, v32, v8
	v_ashrrev_i32_e32 v32, 31, v19
	v_xor_b32_e32 v9, v33, v9
	v_or_b32_e32 v33, 0x80000000, v32
	v_xor_b32_e32 v19, v33, v19
	v_xor_b32_e32 v18, v32, v18
	v_cmp_le_u64_e64 s[8:9], v[8:9], v[18:19]
	s_and_b64 s[38:39], s[8:9], exec
.LBB1128_109:
	s_or_b64 exec, exec, s[30:31]
	s_orn2_b64 s[30:31], s[38:39], exec
.LBB1128_110:
	s_or_b64 exec, exec, s[36:37]
	v_cndmask_b32_e64 v8, v12, v13, s[30:31]
	v_cndmask_b32_e64 v9, v84, v83, s[30:31]
	v_add_u32_e32 v48, 1, v8
	v_add_u32_e32 v9, -1, v9
	v_min_u32_e32 v9, v48, v9
	v_lshl_add_u32 v9, v9, 3, v71
	ds_read_b64 v[18:19], v9
	v_lshl_add_u32 v8, v8, 3, v71
	ds_read_b64 v[8:9], v8 offset:16384
	v_cndmask_b32_e64 v12, v48, v12, s[30:31]
	v_cndmask_b32_e64 v13, v13, v48, s[30:31]
	s_waitcnt lgkmcnt(1)
	v_cndmask_b32_e64 v33, v19, v35, s[30:31]
	v_cndmask_b32_e64 v32, v18, v34, s[30:31]
	;; [unrolled: 1-line block ×4, first 2 shown]
	v_cmp_lt_u32_e64 s[8:9], v12, v84
	s_and_saveexec_b64 s[36:37], s[8:9]
	s_cbranch_execz .LBB1128_114
; %bb.111:
	v_cmp_lt_u32_e64 s[8:9], v13, v83
	s_mov_b64 s[38:39], 0
	s_and_saveexec_b64 s[34:35], s[8:9]
	s_cbranch_execz .LBB1128_113
; %bb.112:
	v_add_f64 v[18:19], v[32:33], 0
	v_add_f64 v[48:49], v[52:53], 0
	v_ashrrev_i32_e32 v54, 31, v19
	v_or_b32_e32 v55, 0x80000000, v54
	v_xor_b32_e32 v18, v54, v18
	v_ashrrev_i32_e32 v54, 31, v49
	v_xor_b32_e32 v19, v55, v19
	v_or_b32_e32 v55, 0x80000000, v54
	v_xor_b32_e32 v49, v55, v49
	v_xor_b32_e32 v48, v54, v48
	v_cmp_le_u64_e64 s[8:9], v[18:19], v[48:49]
	s_and_b64 s[38:39], s[8:9], exec
.LBB1128_113:
	s_or_b64 exec, exec, s[34:35]
	s_orn2_b64 s[34:35], s[38:39], exec
.LBB1128_114:
	s_or_b64 exec, exec, s[36:37]
	v_cndmask_b32_e64 v18, v12, v13, s[34:35]
	v_cndmask_b32_e64 v19, v84, v83, s[34:35]
	v_add_u32_e32 v64, 1, v18
	v_add_u32_e32 v19, -1, v19
	v_min_u32_e32 v19, v64, v19
	v_lshl_add_u32 v19, v19, 3, v71
	ds_read_b64 v[54:55], v19
	v_lshl_add_u32 v18, v18, 3, v71
	ds_read_b64 v[18:19], v18 offset:16384
	v_cndmask_b32_e64 v85, v64, v12, s[34:35]
	v_cndmask_b32_e64 v86, v13, v64, s[34:35]
	s_waitcnt lgkmcnt(1)
	v_cndmask_b32_e64 v49, v55, v33, s[34:35]
	v_cndmask_b32_e64 v48, v54, v32, s[34:35]
	;; [unrolled: 1-line block ×4, first 2 shown]
	v_cmp_lt_u32_e64 s[8:9], v85, v84
	s_mov_b64 s[36:37], -1
	s_mov_b64 s[38:39], -1
	s_and_saveexec_b64 s[40:41], s[8:9]
	s_cbranch_execz .LBB1128_118
; %bb.115:
	v_cmp_lt_u32_e64 s[8:9], v86, v83
	s_mov_b64 s[42:43], 0
	s_and_saveexec_b64 s[38:39], s[8:9]
	s_cbranch_execz .LBB1128_117
; %bb.116:
	v_add_f64 v[12:13], v[48:49], 0
	v_add_f64 v[64:65], v[54:55], 0
	v_ashrrev_i32_e32 v66, 31, v13
	v_or_b32_e32 v67, 0x80000000, v66
	v_xor_b32_e32 v12, v66, v12
	v_ashrrev_i32_e32 v66, 31, v65
	v_xor_b32_e32 v13, v67, v13
	v_or_b32_e32 v67, 0x80000000, v66
	v_xor_b32_e32 v65, v67, v65
	v_xor_b32_e32 v64, v66, v64
	v_cmp_le_u64_e64 s[8:9], v[12:13], v[64:65]
	s_and_b64 s[42:43], s[8:9], exec
.LBB1128_117:
	s_or_b64 exec, exec, s[38:39]
	s_orn2_b64 s[38:39], s[42:43], exec
.LBB1128_118:
	s_or_b64 exec, exec, s[40:41]
	v_cndmask_b32_e64 v12, v85, v86, s[38:39]
	v_cndmask_b32_e64 v13, v84, v83, s[38:39]
	v_add_u32_e32 v87, 1, v12
	v_add_u32_e32 v13, -1, v13
	v_min_u32_e32 v13, v87, v13
	v_lshl_add_u32 v13, v13, 3, v71
	ds_read_b64 v[66:67], v13
	v_lshl_add_u32 v12, v12, 3, v71
	ds_read_b64 v[12:13], v12 offset:16384
	v_cndmask_b32_e64 v85, v87, v85, s[38:39]
	v_cndmask_b32_e64 v86, v86, v87, s[38:39]
	s_waitcnt lgkmcnt(1)
	v_cndmask_b32_e64 v65, v67, v49, s[38:39]
	v_cndmask_b32_e64 v64, v66, v48, s[38:39]
	;; [unrolled: 1-line block ×4, first 2 shown]
	v_cmp_lt_u32_e64 s[8:9], v85, v84
	s_and_saveexec_b64 s[40:41], s[8:9]
	s_cbranch_execz .LBB1128_122
; %bb.119:
	v_cmp_lt_u32_e64 s[8:9], v86, v83
	s_mov_b64 s[42:43], 0
	s_and_saveexec_b64 s[36:37], s[8:9]
	s_cbranch_execz .LBB1128_121
; %bb.120:
	v_add_f64 v[96:97], v[64:65], 0
	v_add_f64 v[98:99], v[66:67], 0
	v_ashrrev_i32_e32 v83, 31, v97
	v_or_b32_e32 v84, 0x80000000, v83
	v_xor_b32_e32 v96, v83, v96
	v_ashrrev_i32_e32 v83, 31, v99
	v_xor_b32_e32 v97, v84, v97
	v_or_b32_e32 v84, 0x80000000, v83
	v_xor_b32_e32 v99, v84, v99
	v_xor_b32_e32 v98, v83, v98
	v_cmp_le_u64_e64 s[8:9], v[96:97], v[98:99]
	s_and_b64 s[42:43], s[8:9], exec
.LBB1128_121:
	s_or_b64 exec, exec, s[36:37]
	s_orn2_b64 s[36:37], s[42:43], exec
.LBB1128_122:
	s_or_b64 exec, exec, s[40:41]
	v_cndmask_b32_e64 v34, v34, v50, s[30:31]
	v_cndmask_b32_e64 v50, v36, v38, s[28:29]
	;; [unrolled: 1-line block ×4, first 2 shown]
	v_lshl_add_u32 v22, v22, 3, v71
	v_cndmask_b32_e64 v35, v35, v51, s[30:31]
	v_cndmask_b32_e64 v51, v37, v39, s[28:29]
	v_cndmask_b32_e64 v39, v23, v27, s[12:13]
	ds_read_b64 v[22:23], v22 offset:16384
	v_cndmask_b32_e64 v49, v49, v55, s[38:39]
	v_cndmask_b32_e64 v48, v48, v54, s[38:39]
	;; [unrolled: 1-line block ×10, first 2 shown]
.LBB1128_123:
	s_or_b64 exec, exec, s[22:23]
	v_add_u32_e32 v16, 0x4000, v82
	; wave barrier
	ds_write2_b64 v82, v[26:27], v[38:39] offset1:1
	ds_write2_b64 v16, v[0:1], v[10:11] offset1:1
	ds_write2_b64 v82, v[36:37], v[50:51] offset0:2 offset1:3
	ds_write2_b64 v81, v[4:5], v[14:15] offset0:2 offset1:3
	;; [unrolled: 1-line block ×5, first 2 shown]
	s_waitcnt lgkmcnt(7)
	ds_write2_b64 v81, v[12:13], v[22:23] offset0:6 offset1:7
	v_and_b32_e32 v16, 0x3e0, v70
	v_or_b32_e32 v17, 16, v16
	v_min_u32_e32 v83, v80, v17
	v_add_u32_e32 v17, 16, v83
	v_min_u32_e32 v84, v80, v17
	v_and_b32_e32 v17, 24, v70
	v_min_u32_e32 v17, v80, v17
	v_sub_u32_e32 v30, v83, v16
	v_sub_u32_e32 v21, v84, v83
	v_sub_u32_e64 v21, v17, v21 clamp
	v_min_u32_e32 v30, v17, v30
	v_lshl_add_u32 v20, v16, 3, v71
	v_cmp_lt_u32_e64 s[8:9], v21, v30
	; wave barrier
	s_and_saveexec_b64 s[12:13], s[8:9]
	s_cbranch_execz .LBB1128_127
; %bb.124:
	v_lshlrev_b32_e32 v31, 3, v83
	v_lshlrev_b32_e32 v52, 3, v17
	v_add3_u32 v31, v71, v31, v52
	s_mov_b64 s[22:23], 0
.LBB1128_125:                           ; =>This Inner Loop Header: Depth=1
	v_add_u32_e32 v52, v30, v21
	v_lshrrev_b32_e32 v64, 1, v52
	v_not_b32_e32 v52, v64
	v_lshl_add_u32 v53, v64, 3, v20
	v_lshl_add_u32 v54, v52, 3, v31
	ds_read_b64 v[52:53], v53
	ds_read_b64 v[54:55], v54
	v_add_u32_e32 v65, 1, v64
	s_waitcnt lgkmcnt(1)
	v_add_f64 v[52:53], v[52:53], 0
	s_waitcnt lgkmcnt(0)
	v_add_f64 v[54:55], v[54:55], 0
	v_ashrrev_i32_e32 v66, 31, v53
	v_ashrrev_i32_e32 v67, 31, v55
	v_or_b32_e32 v85, 0x80000000, v66
	v_xor_b32_e32 v52, v66, v52
	v_or_b32_e32 v66, 0x80000000, v67
	v_xor_b32_e32 v54, v67, v54
	v_xor_b32_e32 v53, v85, v53
	;; [unrolled: 1-line block ×3, first 2 shown]
	v_cmp_gt_u64_e64 s[8:9], v[54:55], v[52:53]
	v_cndmask_b32_e64 v30, v30, v64, s[8:9]
	v_cndmask_b32_e64 v21, v65, v21, s[8:9]
	v_cmp_ge_u32_e64 s[8:9], v21, v30
	s_or_b64 s[22:23], s[8:9], s[22:23]
	s_andn2_b64 exec, exec, s[22:23]
	s_cbranch_execnz .LBB1128_125
; %bb.126:
	s_or_b64 exec, exec, s[22:23]
.LBB1128_127:
	s_or_b64 exec, exec, s[12:13]
	v_add_u32_e32 v30, v21, v16
	v_add_u32_e32 v16, v83, v17
	v_sub_u32_e32 v31, v16, v21
	v_cmp_le_u32_e64 s[8:9], v30, v83
	v_cmp_le_u32_e64 s[12:13], v31, v84
	s_or_b64 s[8:9], s[8:9], s[12:13]
	s_and_saveexec_b64 s[22:23], s[8:9]
	s_cbranch_execz .LBB1128_163
; %bb.128:
	v_cmp_ge_u32_e64 s[8:9], v30, v83
	v_cmp_lt_u32_e64 s[12:13], v30, v83
                                        ; implicit-def: $vgpr16_vgpr17
	s_and_saveexec_b64 s[24:25], s[12:13]
	s_cbranch_execz .LBB1128_130
; %bb.129:
	v_lshl_add_u32 v0, v21, 3, v20
	ds_read_b64 v[16:17], v0
.LBB1128_130:
	s_or_b64 exec, exec, s[24:25]
	v_cmp_ge_u32_e64 s[24:25], v31, v84
	v_cmp_lt_u32_e64 s[12:13], v31, v84
                                        ; implicit-def: $vgpr20_vgpr21
	s_and_saveexec_b64 s[26:27], s[12:13]
	s_cbranch_execz .LBB1128_132
; %bb.131:
	v_lshl_add_u32 v0, v31, 3, v71
	ds_read_b64 v[20:21], v0
.LBB1128_132:
	s_or_b64 exec, exec, s[26:27]
	s_or_b64 s[8:9], s[8:9], s[24:25]
	s_mov_b64 s[12:13], -1
	s_xor_b64 s[8:9], s[8:9], -1
	s_and_saveexec_b64 s[26:27], s[8:9]
	s_cbranch_execz .LBB1128_134
; %bb.133:
	s_waitcnt lgkmcnt(0)
	v_add_f64 v[0:1], v[20:21], 0
	v_add_f64 v[4:5], v[16:17], 0
	v_ashrrev_i32_e32 v8, 31, v1
	v_or_b32_e32 v9, 0x80000000, v8
	v_xor_b32_e32 v0, v8, v0
	v_ashrrev_i32_e32 v8, 31, v5
	v_xor_b32_e32 v1, v9, v1
	v_or_b32_e32 v9, 0x80000000, v8
	v_xor_b32_e32 v5, v9, v5
	v_xor_b32_e32 v4, v8, v4
	v_cmp_le_u64_e64 s[8:9], v[0:1], v[4:5]
	s_andn2_b64 s[24:25], s[24:25], exec
	s_and_b64 s[8:9], s[8:9], exec
	s_or_b64 s[24:25], s[24:25], s[8:9]
.LBB1128_134:
	s_or_b64 exec, exec, s[26:27]
	v_cndmask_b32_e64 v0, v31, v30, s[24:25]
	v_cndmask_b32_e64 v1, v84, v83, s[24:25]
	v_add_u32_e32 v8, 1, v0
	v_add_u32_e32 v1, -1, v1
	v_min_u32_e32 v1, v8, v1
	v_lshl_add_u32 v1, v1, 3, v71
	ds_read_b64 v[4:5], v1
	v_lshl_add_u32 v0, v0, 3, v71
	ds_read_b64 v[0:1], v0 offset:16384
	s_waitcnt lgkmcnt(1)
	v_cndmask_b32_e64 v22, v4, v20, s[24:25]
	v_cndmask_b32_e64 v26, v16, v4, s[24:25]
	v_cndmask_b32_e64 v4, v8, v31, s[24:25]
	v_cndmask_b32_e64 v23, v5, v21, s[24:25]
	v_cndmask_b32_e64 v27, v17, v5, s[24:25]
	v_cndmask_b32_e64 v5, v30, v8, s[24:25]
	v_cmp_lt_u32_e64 s[8:9], v4, v84
	s_and_saveexec_b64 s[26:27], s[8:9]
	s_cbranch_execz .LBB1128_138
; %bb.135:
	v_cmp_lt_u32_e64 s[8:9], v5, v83
	s_mov_b64 s[28:29], 0
	s_and_saveexec_b64 s[12:13], s[8:9]
	s_cbranch_execz .LBB1128_137
; %bb.136:
	v_add_f64 v[8:9], v[22:23], 0
	v_add_f64 v[10:11], v[26:27], 0
	v_ashrrev_i32_e32 v12, 31, v9
	v_or_b32_e32 v13, 0x80000000, v12
	v_xor_b32_e32 v8, v12, v8
	v_ashrrev_i32_e32 v12, 31, v11
	v_xor_b32_e32 v9, v13, v9
	v_or_b32_e32 v13, 0x80000000, v12
	v_xor_b32_e32 v11, v13, v11
	v_xor_b32_e32 v10, v12, v10
	v_cmp_le_u64_e64 s[8:9], v[8:9], v[10:11]
	s_and_b64 s[28:29], s[8:9], exec
.LBB1128_137:
	s_or_b64 exec, exec, s[12:13]
	s_orn2_b64 s[12:13], s[28:29], exec
.LBB1128_138:
	s_or_b64 exec, exec, s[26:27]
	v_cndmask_b32_e64 v10, v4, v5, s[12:13]
	v_cndmask_b32_e64 v8, v84, v83, s[12:13]
	v_add_u32_e32 v12, 1, v10
	v_add_u32_e32 v8, -1, v8
	v_min_u32_e32 v8, v12, v8
	v_lshl_add_u32 v8, v8, 3, v71
	ds_read_b64 v[8:9], v8
	v_lshl_add_u32 v10, v10, 3, v71
	ds_read_b64 v[10:11], v10 offset:16384
	s_mov_b64 s[28:29], -1
	s_mov_b64 s[26:27], -1
	s_waitcnt lgkmcnt(1)
	v_cndmask_b32_e64 v28, v8, v22, s[12:13]
	v_cndmask_b32_e64 v30, v26, v8, s[12:13]
	;; [unrolled: 1-line block ×6, first 2 shown]
	v_cmp_lt_u32_e64 s[8:9], v8, v84
	s_and_saveexec_b64 s[30:31], s[8:9]
	s_cbranch_execz .LBB1128_142
; %bb.139:
	v_cmp_lt_u32_e64 s[8:9], v9, v83
	s_mov_b64 s[34:35], 0
	s_and_saveexec_b64 s[26:27], s[8:9]
	s_cbranch_execz .LBB1128_141
; %bb.140:
	v_add_f64 v[4:5], v[28:29], 0
	v_add_f64 v[12:13], v[30:31], 0
	v_ashrrev_i32_e32 v14, 31, v5
	v_or_b32_e32 v15, 0x80000000, v14
	v_xor_b32_e32 v4, v14, v4
	v_ashrrev_i32_e32 v14, 31, v13
	v_xor_b32_e32 v5, v15, v5
	v_or_b32_e32 v15, 0x80000000, v14
	v_xor_b32_e32 v13, v15, v13
	v_xor_b32_e32 v12, v14, v12
	v_cmp_le_u64_e64 s[8:9], v[4:5], v[12:13]
	s_and_b64 s[34:35], s[8:9], exec
.LBB1128_141:
	s_or_b64 exec, exec, s[26:27]
	s_orn2_b64 s[26:27], s[34:35], exec
.LBB1128_142:
	s_or_b64 exec, exec, s[30:31]
	v_cndmask_b32_e64 v4, v8, v9, s[26:27]
	v_cndmask_b32_e64 v5, v84, v83, s[26:27]
	v_add_u32_e32 v14, 1, v4
	v_add_u32_e32 v5, -1, v5
	v_min_u32_e32 v5, v14, v5
	v_lshl_add_u32 v5, v5, 3, v71
	ds_read_b64 v[12:13], v5
	v_lshl_add_u32 v4, v4, 3, v71
	ds_read_b64 v[4:5], v4 offset:16384
	v_cndmask_b32_e64 v8, v14, v8, s[26:27]
	v_cndmask_b32_e64 v9, v9, v14, s[26:27]
	s_waitcnt lgkmcnt(1)
	v_cndmask_b32_e64 v37, v13, v29, s[26:27]
	v_cndmask_b32_e64 v36, v12, v28, s[26:27]
	;; [unrolled: 1-line block ×4, first 2 shown]
	v_cmp_lt_u32_e64 s[8:9], v8, v84
	s_and_saveexec_b64 s[30:31], s[8:9]
	s_cbranch_execz .LBB1128_146
; %bb.143:
	v_cmp_lt_u32_e64 s[8:9], v9, v83
	s_mov_b64 s[34:35], 0
	s_and_saveexec_b64 s[28:29], s[8:9]
	s_cbranch_execz .LBB1128_145
; %bb.144:
	v_add_f64 v[12:13], v[36:37], 0
	v_add_f64 v[14:15], v[38:39], 0
	v_ashrrev_i32_e32 v18, 31, v13
	v_or_b32_e32 v19, 0x80000000, v18
	v_xor_b32_e32 v12, v18, v12
	v_ashrrev_i32_e32 v18, 31, v15
	v_xor_b32_e32 v13, v19, v13
	v_or_b32_e32 v19, 0x80000000, v18
	v_xor_b32_e32 v15, v19, v15
	v_xor_b32_e32 v14, v18, v14
	v_cmp_le_u64_e64 s[8:9], v[12:13], v[14:15]
	s_and_b64 s[34:35], s[8:9], exec
.LBB1128_145:
	s_or_b64 exec, exec, s[28:29]
	s_orn2_b64 s[28:29], s[34:35], exec
.LBB1128_146:
	s_or_b64 exec, exec, s[30:31]
	v_cndmask_b32_e64 v14, v8, v9, s[28:29]
	v_cndmask_b32_e64 v12, v84, v83, s[28:29]
	v_add_u32_e32 v18, 1, v14
	v_add_u32_e32 v12, -1, v12
	v_min_u32_e32 v12, v18, v12
	v_lshl_add_u32 v12, v12, 3, v71
	ds_read_b64 v[12:13], v12
	v_lshl_add_u32 v14, v14, 3, v71
	ds_read_b64 v[14:15], v14 offset:16384
	s_mov_b64 s[34:35], -1
	s_mov_b64 s[30:31], -1
	s_waitcnt lgkmcnt(1)
	v_cndmask_b32_e64 v34, v12, v36, s[28:29]
	v_cndmask_b32_e64 v50, v38, v12, s[28:29]
	;; [unrolled: 1-line block ×6, first 2 shown]
	v_cmp_lt_u32_e64 s[8:9], v12, v84
	s_and_saveexec_b64 s[36:37], s[8:9]
	s_cbranch_execz .LBB1128_150
; %bb.147:
	v_cmp_lt_u32_e64 s[8:9], v13, v83
	s_mov_b64 s[38:39], 0
	s_and_saveexec_b64 s[30:31], s[8:9]
	s_cbranch_execz .LBB1128_149
; %bb.148:
	v_add_f64 v[8:9], v[34:35], 0
	v_add_f64 v[18:19], v[50:51], 0
	v_ashrrev_i32_e32 v32, 31, v9
	v_or_b32_e32 v33, 0x80000000, v32
	v_xor_b32_e32 v8, v32, v8
	v_ashrrev_i32_e32 v32, 31, v19
	v_xor_b32_e32 v9, v33, v9
	v_or_b32_e32 v33, 0x80000000, v32
	v_xor_b32_e32 v19, v33, v19
	v_xor_b32_e32 v18, v32, v18
	v_cmp_le_u64_e64 s[8:9], v[8:9], v[18:19]
	s_and_b64 s[38:39], s[8:9], exec
.LBB1128_149:
	s_or_b64 exec, exec, s[30:31]
	s_orn2_b64 s[30:31], s[38:39], exec
.LBB1128_150:
	s_or_b64 exec, exec, s[36:37]
	v_cndmask_b32_e64 v8, v12, v13, s[30:31]
	v_cndmask_b32_e64 v9, v84, v83, s[30:31]
	v_add_u32_e32 v48, 1, v8
	v_add_u32_e32 v9, -1, v9
	v_min_u32_e32 v9, v48, v9
	v_lshl_add_u32 v9, v9, 3, v71
	ds_read_b64 v[18:19], v9
	v_lshl_add_u32 v8, v8, 3, v71
	ds_read_b64 v[8:9], v8 offset:16384
	v_cndmask_b32_e64 v12, v48, v12, s[30:31]
	v_cndmask_b32_e64 v13, v13, v48, s[30:31]
	s_waitcnt lgkmcnt(1)
	v_cndmask_b32_e64 v33, v19, v35, s[30:31]
	v_cndmask_b32_e64 v32, v18, v34, s[30:31]
	;; [unrolled: 1-line block ×4, first 2 shown]
	v_cmp_lt_u32_e64 s[8:9], v12, v84
	s_and_saveexec_b64 s[36:37], s[8:9]
	s_cbranch_execz .LBB1128_154
; %bb.151:
	v_cmp_lt_u32_e64 s[8:9], v13, v83
	s_mov_b64 s[38:39], 0
	s_and_saveexec_b64 s[34:35], s[8:9]
	s_cbranch_execz .LBB1128_153
; %bb.152:
	v_add_f64 v[18:19], v[32:33], 0
	v_add_f64 v[48:49], v[52:53], 0
	v_ashrrev_i32_e32 v54, 31, v19
	v_or_b32_e32 v55, 0x80000000, v54
	v_xor_b32_e32 v18, v54, v18
	v_ashrrev_i32_e32 v54, 31, v49
	v_xor_b32_e32 v19, v55, v19
	v_or_b32_e32 v55, 0x80000000, v54
	v_xor_b32_e32 v49, v55, v49
	v_xor_b32_e32 v48, v54, v48
	v_cmp_le_u64_e64 s[8:9], v[18:19], v[48:49]
	s_and_b64 s[38:39], s[8:9], exec
.LBB1128_153:
	s_or_b64 exec, exec, s[34:35]
	s_orn2_b64 s[34:35], s[38:39], exec
.LBB1128_154:
	s_or_b64 exec, exec, s[36:37]
	v_cndmask_b32_e64 v18, v12, v13, s[34:35]
	v_cndmask_b32_e64 v19, v84, v83, s[34:35]
	v_add_u32_e32 v64, 1, v18
	v_add_u32_e32 v19, -1, v19
	v_min_u32_e32 v19, v64, v19
	v_lshl_add_u32 v19, v19, 3, v71
	ds_read_b64 v[54:55], v19
	v_lshl_add_u32 v18, v18, 3, v71
	ds_read_b64 v[18:19], v18 offset:16384
	v_cndmask_b32_e64 v85, v64, v12, s[34:35]
	v_cndmask_b32_e64 v86, v13, v64, s[34:35]
	s_waitcnt lgkmcnt(1)
	v_cndmask_b32_e64 v49, v55, v33, s[34:35]
	v_cndmask_b32_e64 v48, v54, v32, s[34:35]
	;; [unrolled: 1-line block ×4, first 2 shown]
	v_cmp_lt_u32_e64 s[8:9], v85, v84
	s_mov_b64 s[36:37], -1
	s_mov_b64 s[38:39], -1
	s_and_saveexec_b64 s[40:41], s[8:9]
	s_cbranch_execz .LBB1128_158
; %bb.155:
	v_cmp_lt_u32_e64 s[8:9], v86, v83
	s_mov_b64 s[42:43], 0
	s_and_saveexec_b64 s[38:39], s[8:9]
	s_cbranch_execz .LBB1128_157
; %bb.156:
	v_add_f64 v[12:13], v[48:49], 0
	v_add_f64 v[64:65], v[54:55], 0
	v_ashrrev_i32_e32 v66, 31, v13
	v_or_b32_e32 v67, 0x80000000, v66
	v_xor_b32_e32 v12, v66, v12
	v_ashrrev_i32_e32 v66, 31, v65
	v_xor_b32_e32 v13, v67, v13
	v_or_b32_e32 v67, 0x80000000, v66
	v_xor_b32_e32 v65, v67, v65
	v_xor_b32_e32 v64, v66, v64
	v_cmp_le_u64_e64 s[8:9], v[12:13], v[64:65]
	s_and_b64 s[42:43], s[8:9], exec
.LBB1128_157:
	s_or_b64 exec, exec, s[38:39]
	s_orn2_b64 s[38:39], s[42:43], exec
.LBB1128_158:
	s_or_b64 exec, exec, s[40:41]
	v_cndmask_b32_e64 v12, v85, v86, s[38:39]
	v_cndmask_b32_e64 v13, v84, v83, s[38:39]
	v_add_u32_e32 v87, 1, v12
	v_add_u32_e32 v13, -1, v13
	v_min_u32_e32 v13, v87, v13
	v_lshl_add_u32 v13, v13, 3, v71
	ds_read_b64 v[66:67], v13
	v_lshl_add_u32 v12, v12, 3, v71
	ds_read_b64 v[12:13], v12 offset:16384
	v_cndmask_b32_e64 v85, v87, v85, s[38:39]
	v_cndmask_b32_e64 v86, v86, v87, s[38:39]
	s_waitcnt lgkmcnt(1)
	v_cndmask_b32_e64 v65, v67, v49, s[38:39]
	v_cndmask_b32_e64 v64, v66, v48, s[38:39]
	;; [unrolled: 1-line block ×4, first 2 shown]
	v_cmp_lt_u32_e64 s[8:9], v85, v84
	s_and_saveexec_b64 s[40:41], s[8:9]
	s_cbranch_execz .LBB1128_162
; %bb.159:
	v_cmp_lt_u32_e64 s[8:9], v86, v83
	s_mov_b64 s[42:43], 0
	s_and_saveexec_b64 s[36:37], s[8:9]
	s_cbranch_execz .LBB1128_161
; %bb.160:
	v_add_f64 v[96:97], v[64:65], 0
	v_add_f64 v[98:99], v[66:67], 0
	v_ashrrev_i32_e32 v83, 31, v97
	v_or_b32_e32 v84, 0x80000000, v83
	v_xor_b32_e32 v96, v83, v96
	v_ashrrev_i32_e32 v83, 31, v99
	v_xor_b32_e32 v97, v84, v97
	v_or_b32_e32 v84, 0x80000000, v83
	v_xor_b32_e32 v99, v84, v99
	v_xor_b32_e32 v98, v83, v98
	v_cmp_le_u64_e64 s[8:9], v[96:97], v[98:99]
	s_and_b64 s[42:43], s[8:9], exec
.LBB1128_161:
	s_or_b64 exec, exec, s[36:37]
	s_orn2_b64 s[36:37], s[42:43], exec
.LBB1128_162:
	s_or_b64 exec, exec, s[40:41]
	v_cndmask_b32_e64 v34, v34, v50, s[30:31]
	v_cndmask_b32_e64 v50, v36, v38, s[28:29]
	;; [unrolled: 1-line block ×4, first 2 shown]
	v_lshl_add_u32 v22, v22, 3, v71
	v_cndmask_b32_e64 v35, v35, v51, s[30:31]
	v_cndmask_b32_e64 v51, v37, v39, s[28:29]
	;; [unrolled: 1-line block ×3, first 2 shown]
	ds_read_b64 v[22:23], v22 offset:16384
	v_cndmask_b32_e64 v49, v49, v55, s[38:39]
	v_cndmask_b32_e64 v48, v48, v54, s[38:39]
	;; [unrolled: 1-line block ×10, first 2 shown]
.LBB1128_163:
	s_or_b64 exec, exec, s[22:23]
	v_add_u32_e32 v16, 0x4000, v82
	; wave barrier
	ds_write2_b64 v82, v[26:27], v[38:39] offset1:1
	ds_write2_b64 v16, v[0:1], v[10:11] offset1:1
	ds_write2_b64 v82, v[36:37], v[50:51] offset0:2 offset1:3
	ds_write2_b64 v81, v[4:5], v[14:15] offset0:2 offset1:3
	;; [unrolled: 1-line block ×5, first 2 shown]
	s_waitcnt lgkmcnt(7)
	ds_write2_b64 v81, v[12:13], v[22:23] offset0:6 offset1:7
	v_and_b32_e32 v16, 0x3c0, v70
	v_or_b32_e32 v17, 32, v16
	v_min_u32_e32 v83, v80, v17
	v_add_u32_e32 v17, 32, v83
	v_min_u32_e32 v84, v80, v17
	v_and_b32_e32 v17, 56, v70
	v_min_u32_e32 v17, v80, v17
	v_sub_u32_e32 v30, v83, v16
	v_sub_u32_e32 v21, v84, v83
	v_sub_u32_e64 v21, v17, v21 clamp
	v_min_u32_e32 v30, v17, v30
	v_lshl_add_u32 v20, v16, 3, v71
	v_cmp_lt_u32_e64 s[8:9], v21, v30
	; wave barrier
	s_and_saveexec_b64 s[12:13], s[8:9]
	s_cbranch_execz .LBB1128_167
; %bb.164:
	v_lshlrev_b32_e32 v31, 3, v83
	v_lshlrev_b32_e32 v52, 3, v17
	v_add3_u32 v31, v71, v31, v52
	s_mov_b64 s[22:23], 0
.LBB1128_165:                           ; =>This Inner Loop Header: Depth=1
	v_add_u32_e32 v52, v30, v21
	v_lshrrev_b32_e32 v64, 1, v52
	v_not_b32_e32 v52, v64
	v_lshl_add_u32 v53, v64, 3, v20
	v_lshl_add_u32 v54, v52, 3, v31
	ds_read_b64 v[52:53], v53
	ds_read_b64 v[54:55], v54
	v_add_u32_e32 v65, 1, v64
	s_waitcnt lgkmcnt(1)
	v_add_f64 v[52:53], v[52:53], 0
	s_waitcnt lgkmcnt(0)
	v_add_f64 v[54:55], v[54:55], 0
	v_ashrrev_i32_e32 v66, 31, v53
	v_ashrrev_i32_e32 v67, 31, v55
	v_or_b32_e32 v85, 0x80000000, v66
	v_xor_b32_e32 v52, v66, v52
	v_or_b32_e32 v66, 0x80000000, v67
	v_xor_b32_e32 v54, v67, v54
	v_xor_b32_e32 v53, v85, v53
	;; [unrolled: 1-line block ×3, first 2 shown]
	v_cmp_gt_u64_e64 s[8:9], v[54:55], v[52:53]
	v_cndmask_b32_e64 v30, v30, v64, s[8:9]
	v_cndmask_b32_e64 v21, v65, v21, s[8:9]
	v_cmp_ge_u32_e64 s[8:9], v21, v30
	s_or_b64 s[22:23], s[8:9], s[22:23]
	s_andn2_b64 exec, exec, s[22:23]
	s_cbranch_execnz .LBB1128_165
; %bb.166:
	s_or_b64 exec, exec, s[22:23]
.LBB1128_167:
	s_or_b64 exec, exec, s[12:13]
	v_add_u32_e32 v30, v21, v16
	v_add_u32_e32 v16, v83, v17
	v_sub_u32_e32 v31, v16, v21
	v_cmp_le_u32_e64 s[8:9], v30, v83
	v_cmp_le_u32_e64 s[12:13], v31, v84
	s_or_b64 s[8:9], s[8:9], s[12:13]
	s_and_saveexec_b64 s[22:23], s[8:9]
	s_cbranch_execz .LBB1128_203
; %bb.168:
	v_cmp_ge_u32_e64 s[8:9], v30, v83
	v_cmp_lt_u32_e64 s[12:13], v30, v83
                                        ; implicit-def: $vgpr16_vgpr17
	s_and_saveexec_b64 s[24:25], s[12:13]
	s_cbranch_execz .LBB1128_170
; %bb.169:
	v_lshl_add_u32 v0, v21, 3, v20
	ds_read_b64 v[16:17], v0
.LBB1128_170:
	s_or_b64 exec, exec, s[24:25]
	v_cmp_ge_u32_e64 s[24:25], v31, v84
	v_cmp_lt_u32_e64 s[12:13], v31, v84
                                        ; implicit-def: $vgpr20_vgpr21
	s_and_saveexec_b64 s[26:27], s[12:13]
	s_cbranch_execz .LBB1128_172
; %bb.171:
	v_lshl_add_u32 v0, v31, 3, v71
	ds_read_b64 v[20:21], v0
.LBB1128_172:
	s_or_b64 exec, exec, s[26:27]
	s_or_b64 s[8:9], s[8:9], s[24:25]
	s_mov_b64 s[12:13], -1
	s_xor_b64 s[8:9], s[8:9], -1
	s_and_saveexec_b64 s[26:27], s[8:9]
	s_cbranch_execz .LBB1128_174
; %bb.173:
	s_waitcnt lgkmcnt(0)
	v_add_f64 v[0:1], v[20:21], 0
	v_add_f64 v[4:5], v[16:17], 0
	v_ashrrev_i32_e32 v8, 31, v1
	v_or_b32_e32 v9, 0x80000000, v8
	v_xor_b32_e32 v0, v8, v0
	v_ashrrev_i32_e32 v8, 31, v5
	v_xor_b32_e32 v1, v9, v1
	v_or_b32_e32 v9, 0x80000000, v8
	v_xor_b32_e32 v5, v9, v5
	v_xor_b32_e32 v4, v8, v4
	v_cmp_le_u64_e64 s[8:9], v[0:1], v[4:5]
	s_andn2_b64 s[24:25], s[24:25], exec
	s_and_b64 s[8:9], s[8:9], exec
	s_or_b64 s[24:25], s[24:25], s[8:9]
.LBB1128_174:
	s_or_b64 exec, exec, s[26:27]
	v_cndmask_b32_e64 v0, v31, v30, s[24:25]
	v_cndmask_b32_e64 v1, v84, v83, s[24:25]
	v_add_u32_e32 v8, 1, v0
	v_add_u32_e32 v1, -1, v1
	v_min_u32_e32 v1, v8, v1
	v_lshl_add_u32 v1, v1, 3, v71
	ds_read_b64 v[4:5], v1
	v_lshl_add_u32 v0, v0, 3, v71
	ds_read_b64 v[0:1], v0 offset:16384
	s_waitcnt lgkmcnt(1)
	v_cndmask_b32_e64 v22, v4, v20, s[24:25]
	v_cndmask_b32_e64 v26, v16, v4, s[24:25]
	v_cndmask_b32_e64 v4, v8, v31, s[24:25]
	v_cndmask_b32_e64 v23, v5, v21, s[24:25]
	v_cndmask_b32_e64 v27, v17, v5, s[24:25]
	v_cndmask_b32_e64 v5, v30, v8, s[24:25]
	v_cmp_lt_u32_e64 s[8:9], v4, v84
	s_and_saveexec_b64 s[26:27], s[8:9]
	s_cbranch_execz .LBB1128_178
; %bb.175:
	v_cmp_lt_u32_e64 s[8:9], v5, v83
	s_mov_b64 s[28:29], 0
	s_and_saveexec_b64 s[12:13], s[8:9]
	s_cbranch_execz .LBB1128_177
; %bb.176:
	v_add_f64 v[8:9], v[22:23], 0
	v_add_f64 v[10:11], v[26:27], 0
	v_ashrrev_i32_e32 v12, 31, v9
	v_or_b32_e32 v13, 0x80000000, v12
	v_xor_b32_e32 v8, v12, v8
	v_ashrrev_i32_e32 v12, 31, v11
	v_xor_b32_e32 v9, v13, v9
	v_or_b32_e32 v13, 0x80000000, v12
	v_xor_b32_e32 v11, v13, v11
	v_xor_b32_e32 v10, v12, v10
	v_cmp_le_u64_e64 s[8:9], v[8:9], v[10:11]
	s_and_b64 s[28:29], s[8:9], exec
.LBB1128_177:
	s_or_b64 exec, exec, s[12:13]
	s_orn2_b64 s[12:13], s[28:29], exec
.LBB1128_178:
	s_or_b64 exec, exec, s[26:27]
	v_cndmask_b32_e64 v10, v4, v5, s[12:13]
	v_cndmask_b32_e64 v8, v84, v83, s[12:13]
	v_add_u32_e32 v12, 1, v10
	v_add_u32_e32 v8, -1, v8
	v_min_u32_e32 v8, v12, v8
	v_lshl_add_u32 v8, v8, 3, v71
	ds_read_b64 v[8:9], v8
	v_lshl_add_u32 v10, v10, 3, v71
	ds_read_b64 v[10:11], v10 offset:16384
	s_mov_b64 s[28:29], -1
	s_mov_b64 s[26:27], -1
	s_waitcnt lgkmcnt(1)
	v_cndmask_b32_e64 v28, v8, v22, s[12:13]
	v_cndmask_b32_e64 v30, v26, v8, s[12:13]
	;; [unrolled: 1-line block ×6, first 2 shown]
	v_cmp_lt_u32_e64 s[8:9], v8, v84
	s_and_saveexec_b64 s[30:31], s[8:9]
	s_cbranch_execz .LBB1128_182
; %bb.179:
	v_cmp_lt_u32_e64 s[8:9], v9, v83
	s_mov_b64 s[34:35], 0
	s_and_saveexec_b64 s[26:27], s[8:9]
	s_cbranch_execz .LBB1128_181
; %bb.180:
	v_add_f64 v[4:5], v[28:29], 0
	v_add_f64 v[12:13], v[30:31], 0
	v_ashrrev_i32_e32 v14, 31, v5
	v_or_b32_e32 v15, 0x80000000, v14
	v_xor_b32_e32 v4, v14, v4
	v_ashrrev_i32_e32 v14, 31, v13
	v_xor_b32_e32 v5, v15, v5
	v_or_b32_e32 v15, 0x80000000, v14
	v_xor_b32_e32 v13, v15, v13
	v_xor_b32_e32 v12, v14, v12
	v_cmp_le_u64_e64 s[8:9], v[4:5], v[12:13]
	s_and_b64 s[34:35], s[8:9], exec
.LBB1128_181:
	s_or_b64 exec, exec, s[26:27]
	s_orn2_b64 s[26:27], s[34:35], exec
.LBB1128_182:
	s_or_b64 exec, exec, s[30:31]
	v_cndmask_b32_e64 v4, v8, v9, s[26:27]
	v_cndmask_b32_e64 v5, v84, v83, s[26:27]
	v_add_u32_e32 v14, 1, v4
	v_add_u32_e32 v5, -1, v5
	v_min_u32_e32 v5, v14, v5
	v_lshl_add_u32 v5, v5, 3, v71
	ds_read_b64 v[12:13], v5
	v_lshl_add_u32 v4, v4, 3, v71
	ds_read_b64 v[4:5], v4 offset:16384
	v_cndmask_b32_e64 v8, v14, v8, s[26:27]
	v_cndmask_b32_e64 v9, v9, v14, s[26:27]
	s_waitcnt lgkmcnt(1)
	v_cndmask_b32_e64 v37, v13, v29, s[26:27]
	v_cndmask_b32_e64 v36, v12, v28, s[26:27]
	;; [unrolled: 1-line block ×4, first 2 shown]
	v_cmp_lt_u32_e64 s[8:9], v8, v84
	s_and_saveexec_b64 s[30:31], s[8:9]
	s_cbranch_execz .LBB1128_186
; %bb.183:
	v_cmp_lt_u32_e64 s[8:9], v9, v83
	s_mov_b64 s[34:35], 0
	s_and_saveexec_b64 s[28:29], s[8:9]
	s_cbranch_execz .LBB1128_185
; %bb.184:
	v_add_f64 v[12:13], v[36:37], 0
	v_add_f64 v[14:15], v[38:39], 0
	v_ashrrev_i32_e32 v18, 31, v13
	v_or_b32_e32 v19, 0x80000000, v18
	v_xor_b32_e32 v12, v18, v12
	v_ashrrev_i32_e32 v18, 31, v15
	v_xor_b32_e32 v13, v19, v13
	v_or_b32_e32 v19, 0x80000000, v18
	v_xor_b32_e32 v15, v19, v15
	v_xor_b32_e32 v14, v18, v14
	v_cmp_le_u64_e64 s[8:9], v[12:13], v[14:15]
	s_and_b64 s[34:35], s[8:9], exec
.LBB1128_185:
	s_or_b64 exec, exec, s[28:29]
	s_orn2_b64 s[28:29], s[34:35], exec
.LBB1128_186:
	s_or_b64 exec, exec, s[30:31]
	v_cndmask_b32_e64 v14, v8, v9, s[28:29]
	v_cndmask_b32_e64 v12, v84, v83, s[28:29]
	v_add_u32_e32 v18, 1, v14
	v_add_u32_e32 v12, -1, v12
	v_min_u32_e32 v12, v18, v12
	v_lshl_add_u32 v12, v12, 3, v71
	ds_read_b64 v[12:13], v12
	v_lshl_add_u32 v14, v14, 3, v71
	ds_read_b64 v[14:15], v14 offset:16384
	s_mov_b64 s[34:35], -1
	s_mov_b64 s[30:31], -1
	s_waitcnt lgkmcnt(1)
	v_cndmask_b32_e64 v34, v12, v36, s[28:29]
	v_cndmask_b32_e64 v50, v38, v12, s[28:29]
	;; [unrolled: 1-line block ×6, first 2 shown]
	v_cmp_lt_u32_e64 s[8:9], v12, v84
	s_and_saveexec_b64 s[36:37], s[8:9]
	s_cbranch_execz .LBB1128_190
; %bb.187:
	v_cmp_lt_u32_e64 s[8:9], v13, v83
	s_mov_b64 s[38:39], 0
	s_and_saveexec_b64 s[30:31], s[8:9]
	s_cbranch_execz .LBB1128_189
; %bb.188:
	v_add_f64 v[8:9], v[34:35], 0
	v_add_f64 v[18:19], v[50:51], 0
	v_ashrrev_i32_e32 v32, 31, v9
	v_or_b32_e32 v33, 0x80000000, v32
	v_xor_b32_e32 v8, v32, v8
	v_ashrrev_i32_e32 v32, 31, v19
	v_xor_b32_e32 v9, v33, v9
	v_or_b32_e32 v33, 0x80000000, v32
	v_xor_b32_e32 v19, v33, v19
	v_xor_b32_e32 v18, v32, v18
	v_cmp_le_u64_e64 s[8:9], v[8:9], v[18:19]
	s_and_b64 s[38:39], s[8:9], exec
.LBB1128_189:
	s_or_b64 exec, exec, s[30:31]
	s_orn2_b64 s[30:31], s[38:39], exec
.LBB1128_190:
	s_or_b64 exec, exec, s[36:37]
	v_cndmask_b32_e64 v8, v12, v13, s[30:31]
	v_cndmask_b32_e64 v9, v84, v83, s[30:31]
	v_add_u32_e32 v48, 1, v8
	v_add_u32_e32 v9, -1, v9
	v_min_u32_e32 v9, v48, v9
	v_lshl_add_u32 v9, v9, 3, v71
	ds_read_b64 v[18:19], v9
	v_lshl_add_u32 v8, v8, 3, v71
	ds_read_b64 v[8:9], v8 offset:16384
	v_cndmask_b32_e64 v12, v48, v12, s[30:31]
	v_cndmask_b32_e64 v13, v13, v48, s[30:31]
	s_waitcnt lgkmcnt(1)
	v_cndmask_b32_e64 v33, v19, v35, s[30:31]
	v_cndmask_b32_e64 v32, v18, v34, s[30:31]
	;; [unrolled: 1-line block ×4, first 2 shown]
	v_cmp_lt_u32_e64 s[8:9], v12, v84
	s_and_saveexec_b64 s[36:37], s[8:9]
	s_cbranch_execz .LBB1128_194
; %bb.191:
	v_cmp_lt_u32_e64 s[8:9], v13, v83
	s_mov_b64 s[38:39], 0
	s_and_saveexec_b64 s[34:35], s[8:9]
	s_cbranch_execz .LBB1128_193
; %bb.192:
	v_add_f64 v[18:19], v[32:33], 0
	v_add_f64 v[48:49], v[52:53], 0
	v_ashrrev_i32_e32 v54, 31, v19
	v_or_b32_e32 v55, 0x80000000, v54
	v_xor_b32_e32 v18, v54, v18
	v_ashrrev_i32_e32 v54, 31, v49
	v_xor_b32_e32 v19, v55, v19
	v_or_b32_e32 v55, 0x80000000, v54
	v_xor_b32_e32 v49, v55, v49
	v_xor_b32_e32 v48, v54, v48
	v_cmp_le_u64_e64 s[8:9], v[18:19], v[48:49]
	s_and_b64 s[38:39], s[8:9], exec
.LBB1128_193:
	s_or_b64 exec, exec, s[34:35]
	s_orn2_b64 s[34:35], s[38:39], exec
.LBB1128_194:
	s_or_b64 exec, exec, s[36:37]
	v_cndmask_b32_e64 v18, v12, v13, s[34:35]
	v_cndmask_b32_e64 v19, v84, v83, s[34:35]
	v_add_u32_e32 v64, 1, v18
	v_add_u32_e32 v19, -1, v19
	v_min_u32_e32 v19, v64, v19
	v_lshl_add_u32 v19, v19, 3, v71
	ds_read_b64 v[54:55], v19
	v_lshl_add_u32 v18, v18, 3, v71
	ds_read_b64 v[18:19], v18 offset:16384
	v_cndmask_b32_e64 v85, v64, v12, s[34:35]
	v_cndmask_b32_e64 v86, v13, v64, s[34:35]
	s_waitcnt lgkmcnt(1)
	v_cndmask_b32_e64 v49, v55, v33, s[34:35]
	v_cndmask_b32_e64 v48, v54, v32, s[34:35]
	;; [unrolled: 1-line block ×4, first 2 shown]
	v_cmp_lt_u32_e64 s[8:9], v85, v84
	s_mov_b64 s[36:37], -1
	s_mov_b64 s[38:39], -1
	s_and_saveexec_b64 s[40:41], s[8:9]
	s_cbranch_execz .LBB1128_198
; %bb.195:
	v_cmp_lt_u32_e64 s[8:9], v86, v83
	s_mov_b64 s[42:43], 0
	s_and_saveexec_b64 s[38:39], s[8:9]
	s_cbranch_execz .LBB1128_197
; %bb.196:
	v_add_f64 v[12:13], v[48:49], 0
	v_add_f64 v[64:65], v[54:55], 0
	v_ashrrev_i32_e32 v66, 31, v13
	v_or_b32_e32 v67, 0x80000000, v66
	v_xor_b32_e32 v12, v66, v12
	v_ashrrev_i32_e32 v66, 31, v65
	v_xor_b32_e32 v13, v67, v13
	v_or_b32_e32 v67, 0x80000000, v66
	v_xor_b32_e32 v65, v67, v65
	v_xor_b32_e32 v64, v66, v64
	v_cmp_le_u64_e64 s[8:9], v[12:13], v[64:65]
	s_and_b64 s[42:43], s[8:9], exec
.LBB1128_197:
	s_or_b64 exec, exec, s[38:39]
	s_orn2_b64 s[38:39], s[42:43], exec
.LBB1128_198:
	s_or_b64 exec, exec, s[40:41]
	v_cndmask_b32_e64 v12, v85, v86, s[38:39]
	v_cndmask_b32_e64 v13, v84, v83, s[38:39]
	v_add_u32_e32 v87, 1, v12
	v_add_u32_e32 v13, -1, v13
	v_min_u32_e32 v13, v87, v13
	v_lshl_add_u32 v13, v13, 3, v71
	ds_read_b64 v[66:67], v13
	v_lshl_add_u32 v12, v12, 3, v71
	ds_read_b64 v[12:13], v12 offset:16384
	v_cndmask_b32_e64 v85, v87, v85, s[38:39]
	v_cndmask_b32_e64 v86, v86, v87, s[38:39]
	s_waitcnt lgkmcnt(1)
	v_cndmask_b32_e64 v65, v67, v49, s[38:39]
	v_cndmask_b32_e64 v64, v66, v48, s[38:39]
	;; [unrolled: 1-line block ×4, first 2 shown]
	v_cmp_lt_u32_e64 s[8:9], v85, v84
	s_and_saveexec_b64 s[40:41], s[8:9]
	s_cbranch_execz .LBB1128_202
; %bb.199:
	v_cmp_lt_u32_e64 s[8:9], v86, v83
	s_mov_b64 s[42:43], 0
	s_and_saveexec_b64 s[36:37], s[8:9]
	s_cbranch_execz .LBB1128_201
; %bb.200:
	v_add_f64 v[96:97], v[64:65], 0
	v_add_f64 v[98:99], v[66:67], 0
	v_ashrrev_i32_e32 v83, 31, v97
	v_or_b32_e32 v84, 0x80000000, v83
	v_xor_b32_e32 v96, v83, v96
	v_ashrrev_i32_e32 v83, 31, v99
	v_xor_b32_e32 v97, v84, v97
	v_or_b32_e32 v84, 0x80000000, v83
	v_xor_b32_e32 v99, v84, v99
	v_xor_b32_e32 v98, v83, v98
	v_cmp_le_u64_e64 s[8:9], v[96:97], v[98:99]
	s_and_b64 s[42:43], s[8:9], exec
.LBB1128_201:
	s_or_b64 exec, exec, s[36:37]
	s_orn2_b64 s[36:37], s[42:43], exec
.LBB1128_202:
	s_or_b64 exec, exec, s[40:41]
	v_cndmask_b32_e64 v34, v34, v50, s[30:31]
	v_cndmask_b32_e64 v50, v36, v38, s[28:29]
	;; [unrolled: 1-line block ×4, first 2 shown]
	v_lshl_add_u32 v22, v22, 3, v71
	v_cndmask_b32_e64 v35, v35, v51, s[30:31]
	v_cndmask_b32_e64 v51, v37, v39, s[28:29]
	;; [unrolled: 1-line block ×3, first 2 shown]
	ds_read_b64 v[22:23], v22 offset:16384
	v_cndmask_b32_e64 v49, v49, v55, s[38:39]
	v_cndmask_b32_e64 v48, v48, v54, s[38:39]
	;; [unrolled: 1-line block ×10, first 2 shown]
.LBB1128_203:
	s_or_b64 exec, exec, s[22:23]
	v_add_u32_e32 v16, 0x4000, v82
	; wave barrier
	ds_write2_b64 v82, v[26:27], v[38:39] offset1:1
	ds_write2_b64 v16, v[0:1], v[10:11] offset1:1
	ds_write2_b64 v82, v[36:37], v[50:51] offset0:2 offset1:3
	ds_write2_b64 v81, v[4:5], v[14:15] offset0:2 offset1:3
	ds_write2_b64 v82, v[34:35], v[32:33] offset0:4 offset1:5
	ds_write2_b64 v81, v[8:9], v[18:19] offset0:4 offset1:5
	ds_write2_b64 v82, v[48:49], v[28:29] offset0:6 offset1:7
	s_waitcnt lgkmcnt(7)
	ds_write2_b64 v81, v[12:13], v[22:23] offset0:6 offset1:7
	v_and_b32_e32 v16, 0x380, v70
	v_or_b32_e32 v17, 64, v16
	v_min_u32_e32 v70, v80, v17
	v_add_u32_e32 v17, 64, v70
	v_min_u32_e32 v81, v80, v17
	v_min_u32_e32 v17, v80, v69
	v_sub_u32_e32 v30, v70, v16
	v_sub_u32_e32 v21, v81, v70
	v_sub_u32_e64 v21, v17, v21 clamp
	v_min_u32_e32 v30, v17, v30
	v_lshl_add_u32 v20, v16, 3, v71
	v_cmp_lt_u32_e64 s[8:9], v21, v30
	; wave barrier
	s_and_saveexec_b64 s[12:13], s[8:9]
	s_cbranch_execz .LBB1128_207
; %bb.204:
	v_lshlrev_b32_e32 v31, 3, v70
	v_lshlrev_b32_e32 v52, 3, v17
	v_add3_u32 v31, v71, v31, v52
	s_mov_b64 s[22:23], 0
.LBB1128_205:                           ; =>This Inner Loop Header: Depth=1
	v_add_u32_e32 v52, v30, v21
	v_lshrrev_b32_e32 v64, 1, v52
	v_not_b32_e32 v52, v64
	v_lshl_add_u32 v53, v64, 3, v20
	v_lshl_add_u32 v54, v52, 3, v31
	ds_read_b64 v[52:53], v53
	ds_read_b64 v[54:55], v54
	v_add_u32_e32 v65, 1, v64
	s_waitcnt lgkmcnt(1)
	v_add_f64 v[52:53], v[52:53], 0
	s_waitcnt lgkmcnt(0)
	v_add_f64 v[54:55], v[54:55], 0
	v_ashrrev_i32_e32 v66, 31, v53
	v_ashrrev_i32_e32 v67, 31, v55
	v_or_b32_e32 v69, 0x80000000, v66
	v_xor_b32_e32 v52, v66, v52
	v_or_b32_e32 v66, 0x80000000, v67
	v_xor_b32_e32 v54, v67, v54
	v_xor_b32_e32 v53, v69, v53
	;; [unrolled: 1-line block ×3, first 2 shown]
	v_cmp_gt_u64_e64 s[8:9], v[54:55], v[52:53]
	v_cndmask_b32_e64 v30, v30, v64, s[8:9]
	v_cndmask_b32_e64 v21, v65, v21, s[8:9]
	v_cmp_ge_u32_e64 s[8:9], v21, v30
	s_or_b64 s[22:23], s[8:9], s[22:23]
	s_andn2_b64 exec, exec, s[22:23]
	s_cbranch_execnz .LBB1128_205
; %bb.206:
	s_or_b64 exec, exec, s[22:23]
.LBB1128_207:
	s_or_b64 exec, exec, s[12:13]
	v_add_u32_e32 v30, v21, v16
	v_add_u32_e32 v16, v70, v17
	v_sub_u32_e32 v31, v16, v21
	v_cmp_le_u32_e64 s[8:9], v30, v70
	v_cmp_le_u32_e64 s[12:13], v31, v81
	s_or_b64 s[8:9], s[8:9], s[12:13]
	s_and_saveexec_b64 s[22:23], s[8:9]
	s_cbranch_execz .LBB1128_243
; %bb.208:
	v_cmp_ge_u32_e64 s[8:9], v30, v70
	v_cmp_lt_u32_e64 s[12:13], v30, v70
                                        ; implicit-def: $vgpr16_vgpr17
	s_and_saveexec_b64 s[24:25], s[12:13]
	s_cbranch_execz .LBB1128_210
; %bb.209:
	v_lshl_add_u32 v0, v21, 3, v20
	ds_read_b64 v[16:17], v0
.LBB1128_210:
	s_or_b64 exec, exec, s[24:25]
	v_cmp_ge_u32_e64 s[24:25], v31, v81
	v_cmp_lt_u32_e64 s[12:13], v31, v81
                                        ; implicit-def: $vgpr20_vgpr21
	s_and_saveexec_b64 s[26:27], s[12:13]
	s_cbranch_execz .LBB1128_212
; %bb.211:
	v_lshl_add_u32 v0, v31, 3, v71
	ds_read_b64 v[20:21], v0
.LBB1128_212:
	s_or_b64 exec, exec, s[26:27]
	s_or_b64 s[8:9], s[8:9], s[24:25]
	s_mov_b64 s[12:13], -1
	s_xor_b64 s[8:9], s[8:9], -1
	s_and_saveexec_b64 s[26:27], s[8:9]
	s_cbranch_execz .LBB1128_214
; %bb.213:
	s_waitcnt lgkmcnt(0)
	v_add_f64 v[0:1], v[20:21], 0
	v_add_f64 v[4:5], v[16:17], 0
	v_ashrrev_i32_e32 v8, 31, v1
	v_or_b32_e32 v9, 0x80000000, v8
	v_xor_b32_e32 v0, v8, v0
	v_ashrrev_i32_e32 v8, 31, v5
	v_xor_b32_e32 v1, v9, v1
	v_or_b32_e32 v9, 0x80000000, v8
	v_xor_b32_e32 v5, v9, v5
	v_xor_b32_e32 v4, v8, v4
	v_cmp_le_u64_e64 s[8:9], v[0:1], v[4:5]
	s_andn2_b64 s[24:25], s[24:25], exec
	s_and_b64 s[8:9], s[8:9], exec
	s_or_b64 s[24:25], s[24:25], s[8:9]
.LBB1128_214:
	s_or_b64 exec, exec, s[26:27]
	v_cndmask_b32_e64 v0, v31, v30, s[24:25]
	v_cndmask_b32_e64 v1, v81, v70, s[24:25]
	v_add_u32_e32 v8, 1, v0
	v_add_u32_e32 v1, -1, v1
	v_min_u32_e32 v1, v8, v1
	v_lshl_add_u32 v1, v1, 3, v71
	ds_read_b64 v[4:5], v1
	v_lshl_add_u32 v0, v0, 3, v71
	ds_read_b64 v[0:1], v0 offset:16384
	s_waitcnt lgkmcnt(1)
	v_cndmask_b32_e64 v22, v4, v20, s[24:25]
	v_cndmask_b32_e64 v26, v16, v4, s[24:25]
	;; [unrolled: 1-line block ×6, first 2 shown]
	v_cmp_lt_u32_e64 s[8:9], v4, v81
	s_and_saveexec_b64 s[26:27], s[8:9]
	s_cbranch_execz .LBB1128_218
; %bb.215:
	v_cmp_lt_u32_e64 s[8:9], v5, v70
	s_mov_b64 s[28:29], 0
	s_and_saveexec_b64 s[12:13], s[8:9]
	s_cbranch_execz .LBB1128_217
; %bb.216:
	v_add_f64 v[8:9], v[22:23], 0
	v_add_f64 v[10:11], v[26:27], 0
	v_ashrrev_i32_e32 v12, 31, v9
	v_or_b32_e32 v13, 0x80000000, v12
	v_xor_b32_e32 v8, v12, v8
	v_ashrrev_i32_e32 v12, 31, v11
	v_xor_b32_e32 v9, v13, v9
	v_or_b32_e32 v13, 0x80000000, v12
	v_xor_b32_e32 v11, v13, v11
	v_xor_b32_e32 v10, v12, v10
	v_cmp_le_u64_e64 s[8:9], v[8:9], v[10:11]
	s_and_b64 s[28:29], s[8:9], exec
.LBB1128_217:
	s_or_b64 exec, exec, s[12:13]
	s_orn2_b64 s[12:13], s[28:29], exec
.LBB1128_218:
	s_or_b64 exec, exec, s[26:27]
	v_cndmask_b32_e64 v10, v4, v5, s[12:13]
	v_cndmask_b32_e64 v8, v81, v70, s[12:13]
	v_add_u32_e32 v12, 1, v10
	v_add_u32_e32 v8, -1, v8
	v_min_u32_e32 v8, v12, v8
	v_lshl_add_u32 v8, v8, 3, v71
	ds_read_b64 v[8:9], v8
	v_lshl_add_u32 v10, v10, 3, v71
	ds_read_b64 v[10:11], v10 offset:16384
	s_mov_b64 s[28:29], -1
	s_mov_b64 s[26:27], -1
	s_waitcnt lgkmcnt(1)
	v_cndmask_b32_e64 v28, v8, v22, s[12:13]
	v_cndmask_b32_e64 v30, v26, v8, s[12:13]
	;; [unrolled: 1-line block ×6, first 2 shown]
	v_cmp_lt_u32_e64 s[8:9], v8, v81
	s_and_saveexec_b64 s[30:31], s[8:9]
	s_cbranch_execz .LBB1128_222
; %bb.219:
	v_cmp_lt_u32_e64 s[8:9], v9, v70
	s_mov_b64 s[34:35], 0
	s_and_saveexec_b64 s[26:27], s[8:9]
	s_cbranch_execz .LBB1128_221
; %bb.220:
	v_add_f64 v[4:5], v[28:29], 0
	v_add_f64 v[12:13], v[30:31], 0
	v_ashrrev_i32_e32 v14, 31, v5
	v_or_b32_e32 v15, 0x80000000, v14
	v_xor_b32_e32 v4, v14, v4
	v_ashrrev_i32_e32 v14, 31, v13
	v_xor_b32_e32 v5, v15, v5
	v_or_b32_e32 v15, 0x80000000, v14
	v_xor_b32_e32 v13, v15, v13
	v_xor_b32_e32 v12, v14, v12
	v_cmp_le_u64_e64 s[8:9], v[4:5], v[12:13]
	s_and_b64 s[34:35], s[8:9], exec
.LBB1128_221:
	s_or_b64 exec, exec, s[26:27]
	s_orn2_b64 s[26:27], s[34:35], exec
.LBB1128_222:
	s_or_b64 exec, exec, s[30:31]
	v_cndmask_b32_e64 v4, v8, v9, s[26:27]
	v_cndmask_b32_e64 v5, v81, v70, s[26:27]
	v_add_u32_e32 v14, 1, v4
	v_add_u32_e32 v5, -1, v5
	v_min_u32_e32 v5, v14, v5
	v_lshl_add_u32 v5, v5, 3, v71
	ds_read_b64 v[12:13], v5
	v_lshl_add_u32 v4, v4, 3, v71
	ds_read_b64 v[4:5], v4 offset:16384
	v_cndmask_b32_e64 v8, v14, v8, s[26:27]
	v_cndmask_b32_e64 v9, v9, v14, s[26:27]
	s_waitcnt lgkmcnt(1)
	v_cndmask_b32_e64 v37, v13, v29, s[26:27]
	v_cndmask_b32_e64 v36, v12, v28, s[26:27]
	;; [unrolled: 1-line block ×4, first 2 shown]
	v_cmp_lt_u32_e64 s[8:9], v8, v81
	s_and_saveexec_b64 s[30:31], s[8:9]
	s_cbranch_execz .LBB1128_226
; %bb.223:
	v_cmp_lt_u32_e64 s[8:9], v9, v70
	s_mov_b64 s[34:35], 0
	s_and_saveexec_b64 s[28:29], s[8:9]
	s_cbranch_execz .LBB1128_225
; %bb.224:
	v_add_f64 v[12:13], v[36:37], 0
	v_add_f64 v[14:15], v[38:39], 0
	v_ashrrev_i32_e32 v18, 31, v13
	v_or_b32_e32 v19, 0x80000000, v18
	v_xor_b32_e32 v12, v18, v12
	v_ashrrev_i32_e32 v18, 31, v15
	v_xor_b32_e32 v13, v19, v13
	v_or_b32_e32 v19, 0x80000000, v18
	v_xor_b32_e32 v15, v19, v15
	v_xor_b32_e32 v14, v18, v14
	v_cmp_le_u64_e64 s[8:9], v[12:13], v[14:15]
	s_and_b64 s[34:35], s[8:9], exec
.LBB1128_225:
	s_or_b64 exec, exec, s[28:29]
	s_orn2_b64 s[28:29], s[34:35], exec
.LBB1128_226:
	s_or_b64 exec, exec, s[30:31]
	v_cndmask_b32_e64 v14, v8, v9, s[28:29]
	v_cndmask_b32_e64 v12, v81, v70, s[28:29]
	v_add_u32_e32 v18, 1, v14
	v_add_u32_e32 v12, -1, v12
	v_min_u32_e32 v12, v18, v12
	v_lshl_add_u32 v12, v12, 3, v71
	ds_read_b64 v[12:13], v12
	v_lshl_add_u32 v14, v14, 3, v71
	ds_read_b64 v[14:15], v14 offset:16384
	s_mov_b64 s[34:35], -1
	s_mov_b64 s[30:31], -1
	s_waitcnt lgkmcnt(1)
	v_cndmask_b32_e64 v34, v12, v36, s[28:29]
	v_cndmask_b32_e64 v50, v38, v12, s[28:29]
	;; [unrolled: 1-line block ×6, first 2 shown]
	v_cmp_lt_u32_e64 s[8:9], v12, v81
	s_and_saveexec_b64 s[36:37], s[8:9]
	s_cbranch_execz .LBB1128_230
; %bb.227:
	v_cmp_lt_u32_e64 s[8:9], v13, v70
	s_mov_b64 s[38:39], 0
	s_and_saveexec_b64 s[30:31], s[8:9]
	s_cbranch_execz .LBB1128_229
; %bb.228:
	v_add_f64 v[8:9], v[34:35], 0
	v_add_f64 v[18:19], v[50:51], 0
	v_ashrrev_i32_e32 v32, 31, v9
	v_or_b32_e32 v33, 0x80000000, v32
	v_xor_b32_e32 v8, v32, v8
	v_ashrrev_i32_e32 v32, 31, v19
	v_xor_b32_e32 v9, v33, v9
	v_or_b32_e32 v33, 0x80000000, v32
	v_xor_b32_e32 v19, v33, v19
	v_xor_b32_e32 v18, v32, v18
	v_cmp_le_u64_e64 s[8:9], v[8:9], v[18:19]
	s_and_b64 s[38:39], s[8:9], exec
.LBB1128_229:
	s_or_b64 exec, exec, s[30:31]
	s_orn2_b64 s[30:31], s[38:39], exec
.LBB1128_230:
	s_or_b64 exec, exec, s[36:37]
	v_cndmask_b32_e64 v8, v12, v13, s[30:31]
	v_cndmask_b32_e64 v9, v81, v70, s[30:31]
	v_add_u32_e32 v48, 1, v8
	v_add_u32_e32 v9, -1, v9
	v_min_u32_e32 v9, v48, v9
	v_lshl_add_u32 v9, v9, 3, v71
	ds_read_b64 v[18:19], v9
	v_lshl_add_u32 v8, v8, 3, v71
	ds_read_b64 v[8:9], v8 offset:16384
	v_cndmask_b32_e64 v12, v48, v12, s[30:31]
	v_cndmask_b32_e64 v13, v13, v48, s[30:31]
	s_waitcnt lgkmcnt(1)
	v_cndmask_b32_e64 v33, v19, v35, s[30:31]
	v_cndmask_b32_e64 v32, v18, v34, s[30:31]
	;; [unrolled: 1-line block ×4, first 2 shown]
	v_cmp_lt_u32_e64 s[8:9], v12, v81
	s_and_saveexec_b64 s[36:37], s[8:9]
	s_cbranch_execz .LBB1128_234
; %bb.231:
	v_cmp_lt_u32_e64 s[8:9], v13, v70
	s_mov_b64 s[38:39], 0
	s_and_saveexec_b64 s[34:35], s[8:9]
	s_cbranch_execz .LBB1128_233
; %bb.232:
	v_add_f64 v[18:19], v[32:33], 0
	v_add_f64 v[48:49], v[52:53], 0
	v_ashrrev_i32_e32 v54, 31, v19
	v_or_b32_e32 v55, 0x80000000, v54
	v_xor_b32_e32 v18, v54, v18
	v_ashrrev_i32_e32 v54, 31, v49
	v_xor_b32_e32 v19, v55, v19
	v_or_b32_e32 v55, 0x80000000, v54
	v_xor_b32_e32 v49, v55, v49
	v_xor_b32_e32 v48, v54, v48
	v_cmp_le_u64_e64 s[8:9], v[18:19], v[48:49]
	s_and_b64 s[38:39], s[8:9], exec
.LBB1128_233:
	s_or_b64 exec, exec, s[34:35]
	s_orn2_b64 s[34:35], s[38:39], exec
.LBB1128_234:
	s_or_b64 exec, exec, s[36:37]
	v_cndmask_b32_e64 v18, v12, v13, s[34:35]
	v_cndmask_b32_e64 v19, v81, v70, s[34:35]
	v_add_u32_e32 v64, 1, v18
	v_add_u32_e32 v19, -1, v19
	v_min_u32_e32 v19, v64, v19
	v_lshl_add_u32 v19, v19, 3, v71
	ds_read_b64 v[54:55], v19
	v_lshl_add_u32 v18, v18, 3, v71
	ds_read_b64 v[18:19], v18 offset:16384
	v_cndmask_b32_e64 v69, v64, v12, s[34:35]
	v_cndmask_b32_e64 v80, v13, v64, s[34:35]
	s_waitcnt lgkmcnt(1)
	v_cndmask_b32_e64 v49, v55, v33, s[34:35]
	v_cndmask_b32_e64 v48, v54, v32, s[34:35]
	;; [unrolled: 1-line block ×4, first 2 shown]
	v_cmp_lt_u32_e64 s[8:9], v69, v81
	s_mov_b64 s[36:37], -1
	s_mov_b64 s[38:39], -1
	s_and_saveexec_b64 s[40:41], s[8:9]
	s_cbranch_execz .LBB1128_238
; %bb.235:
	v_cmp_lt_u32_e64 s[8:9], v80, v70
	s_mov_b64 s[42:43], 0
	s_and_saveexec_b64 s[38:39], s[8:9]
	s_cbranch_execz .LBB1128_237
; %bb.236:
	v_add_f64 v[12:13], v[48:49], 0
	v_add_f64 v[64:65], v[54:55], 0
	v_ashrrev_i32_e32 v66, 31, v13
	v_or_b32_e32 v67, 0x80000000, v66
	v_xor_b32_e32 v12, v66, v12
	v_ashrrev_i32_e32 v66, 31, v65
	v_xor_b32_e32 v13, v67, v13
	v_or_b32_e32 v67, 0x80000000, v66
	v_xor_b32_e32 v65, v67, v65
	v_xor_b32_e32 v64, v66, v64
	v_cmp_le_u64_e64 s[8:9], v[12:13], v[64:65]
	s_and_b64 s[42:43], s[8:9], exec
.LBB1128_237:
	s_or_b64 exec, exec, s[38:39]
	s_orn2_b64 s[38:39], s[42:43], exec
.LBB1128_238:
	s_or_b64 exec, exec, s[40:41]
	v_cndmask_b32_e64 v12, v69, v80, s[38:39]
	v_cndmask_b32_e64 v13, v81, v70, s[38:39]
	v_add_u32_e32 v82, 1, v12
	v_add_u32_e32 v13, -1, v13
	v_min_u32_e32 v13, v82, v13
	v_lshl_add_u32 v13, v13, 3, v71
	ds_read_b64 v[66:67], v13
	v_lshl_add_u32 v12, v12, 3, v71
	ds_read_b64 v[12:13], v12 offset:16384
	v_cndmask_b32_e64 v69, v82, v69, s[38:39]
	v_cndmask_b32_e64 v80, v80, v82, s[38:39]
	s_waitcnt lgkmcnt(1)
	v_cndmask_b32_e64 v65, v67, v49, s[38:39]
	v_cndmask_b32_e64 v64, v66, v48, s[38:39]
	;; [unrolled: 1-line block ×4, first 2 shown]
	v_cmp_lt_u32_e64 s[8:9], v69, v81
	s_and_saveexec_b64 s[40:41], s[8:9]
	s_cbranch_execz .LBB1128_242
; %bb.239:
	v_cmp_lt_u32_e64 s[8:9], v80, v70
	s_mov_b64 s[42:43], 0
	s_and_saveexec_b64 s[36:37], s[8:9]
	s_cbranch_execz .LBB1128_241
; %bb.240:
	v_add_f64 v[82:83], v[64:65], 0
	v_add_f64 v[84:85], v[66:67], 0
	v_ashrrev_i32_e32 v70, 31, v83
	v_or_b32_e32 v81, 0x80000000, v70
	v_xor_b32_e32 v82, v70, v82
	v_ashrrev_i32_e32 v70, 31, v85
	v_xor_b32_e32 v83, v81, v83
	v_or_b32_e32 v81, 0x80000000, v70
	v_xor_b32_e32 v85, v81, v85
	v_xor_b32_e32 v84, v70, v84
	v_cmp_le_u64_e64 s[8:9], v[82:83], v[84:85]
	s_and_b64 s[42:43], s[8:9], exec
.LBB1128_241:
	s_or_b64 exec, exec, s[36:37]
	s_orn2_b64 s[36:37], s[42:43], exec
.LBB1128_242:
	s_or_b64 exec, exec, s[40:41]
	v_cndmask_b32_e64 v34, v34, v50, s[30:31]
	v_cndmask_b32_e64 v50, v36, v38, s[28:29]
	;; [unrolled: 1-line block ×4, first 2 shown]
	v_lshl_add_u32 v22, v22, 3, v71
	v_cndmask_b32_e64 v35, v35, v51, s[30:31]
	v_cndmask_b32_e64 v51, v37, v39, s[28:29]
	;; [unrolled: 1-line block ×3, first 2 shown]
	ds_read_b64 v[22:23], v22 offset:16384
	v_cndmask_b32_e64 v49, v49, v55, s[38:39]
	v_cndmask_b32_e64 v48, v48, v54, s[38:39]
	;; [unrolled: 1-line block ×10, first 2 shown]
.LBB1128_243:
	s_or_b64 exec, exec, s[22:23]
	v_add_co_u32_e64 v2, s[8:9], v2, v24
	v_addc_co_u32_e64 v3, s[8:9], v3, v25, s[8:9]
	v_add_co_u32_e64 v2, s[8:9], v2, v68
	v_addc_co_u32_e64 v3, s[8:9], 0, v3, s[8:9]
	; wave barrier
	s_waitcnt lgkmcnt(0)
	s_barrier
	s_waitcnt lgkmcnt(0)
	; wave barrier
	s_and_saveexec_b64 s[8:9], vcc
	s_cbranch_execnz .LBB1128_269
; %bb.244:
	s_or_b64 exec, exec, s[8:9]
	s_and_saveexec_b64 s[8:9], s[4:5]
	s_cbranch_execnz .LBB1128_270
.LBB1128_245:
	s_or_b64 exec, exec, s[8:9]
	s_and_saveexec_b64 s[8:9], s[6:7]
	s_cbranch_execnz .LBB1128_271
.LBB1128_246:
	s_or_b64 exec, exec, s[8:9]
	s_and_saveexec_b64 s[8:9], s[18:19]
	s_cbranch_execnz .LBB1128_272
.LBB1128_247:
	s_or_b64 exec, exec, s[8:9]
	s_and_saveexec_b64 s[8:9], s[10:11]
	s_cbranch_execnz .LBB1128_273
.LBB1128_248:
	s_or_b64 exec, exec, s[8:9]
	s_and_saveexec_b64 s[8:9], s[20:21]
	s_cbranch_execnz .LBB1128_274
.LBB1128_249:
	s_or_b64 exec, exec, s[8:9]
	s_and_saveexec_b64 s[8:9], s[14:15]
	s_cbranch_execnz .LBB1128_275
.LBB1128_250:
	s_or_b64 exec, exec, s[8:9]
	s_and_saveexec_b64 s[8:9], s[16:17]
	s_cbranch_execz .LBB1128_252
.LBB1128_251:
	flat_store_dwordx2 v[2:3], v[28:29] offset:56
.LBB1128_252:
	s_or_b64 exec, exec, s[8:9]
	v_add_co_u32_e64 v2, s[8:9], v6, v24
	v_addc_co_u32_e64 v3, s[8:9], v7, v25, s[8:9]
	v_add_co_u32_e64 v2, s[8:9], v2, v68
	v_addc_co_u32_e64 v3, s[8:9], 0, v3, s[8:9]
	; wave barrier
	s_and_saveexec_b64 s[8:9], vcc
	s_cbranch_execnz .LBB1128_276
; %bb.253:
	s_or_b64 exec, exec, s[8:9]
	s_and_saveexec_b64 s[8:9], s[4:5]
	s_cbranch_execnz .LBB1128_277
.LBB1128_254:
	s_or_b64 exec, exec, s[8:9]
	s_and_saveexec_b64 s[4:5], s[6:7]
	s_cbranch_execnz .LBB1128_278
.LBB1128_255:
	s_or_b64 exec, exec, s[4:5]
	s_and_saveexec_b64 s[4:5], s[18:19]
	s_cbranch_execnz .LBB1128_279
.LBB1128_256:
	s_or_b64 exec, exec, s[4:5]
	s_and_saveexec_b64 s[4:5], s[10:11]
	s_cbranch_execnz .LBB1128_280
.LBB1128_257:
	s_or_b64 exec, exec, s[4:5]
	s_and_saveexec_b64 s[4:5], s[20:21]
	s_cbranch_execnz .LBB1128_281
.LBB1128_258:
	s_or_b64 exec, exec, s[4:5]
	s_and_saveexec_b64 s[4:5], s[14:15]
	s_cbranch_execnz .LBB1128_282
.LBB1128_259:
	s_or_b64 exec, exec, s[4:5]
	s_and_saveexec_b64 s[4:5], s[16:17]
	s_cbranch_execz .LBB1128_261
.LBB1128_260:
	flat_store_dwordx2 v[2:3], v[22:23] offset:56
.LBB1128_261:
	s_or_b64 exec, exec, s[4:5]
	v_readlane_b32 s30, v40, 10
	v_readlane_b32 s31, v40, 11
	;; [unrolled: 1-line block ×12, first 2 shown]
	s_or_saveexec_b64 s[4:5], -1
	buffer_load_dword v40, off, s[0:3], s32 ; 4-byte Folded Reload
	s_mov_b64 exec, s[4:5]
	s_waitcnt vmcnt(0) lgkmcnt(0)
	s_setpc_b64 s[30:31]
.LBB1128_262:
	flat_load_dwordx2 v[0:1], v[52:53]
	s_or_b64 exec, exec, s[22:23]
	s_and_saveexec_b64 s[22:23], s[4:5]
                                        ; implicit-def: $vgpr8_vgpr9_vgpr10_vgpr11
	s_cbranch_execz .LBB1128_18
.LBB1128_263:
	flat_load_dwordx2 v[10:11], v[52:53] offset:8
	s_or_b64 exec, exec, s[22:23]
                                        ; implicit-def: $vgpr4_vgpr5
	s_and_saveexec_b64 s[22:23], s[6:7]
	s_cbranch_execz .LBB1128_19
.LBB1128_264:
	flat_load_dwordx2 v[4:5], v[52:53] offset:16
	s_or_b64 exec, exec, s[22:23]
	s_and_saveexec_b64 s[22:23], s[18:19]
                                        ; implicit-def: $vgpr12_vgpr13_vgpr14_vgpr15
	s_cbranch_execz .LBB1128_20
.LBB1128_265:
	flat_load_dwordx2 v[14:15], v[52:53] offset:24
	s_or_b64 exec, exec, s[22:23]
                                        ; implicit-def: $vgpr8_vgpr9
	s_and_saveexec_b64 s[22:23], s[10:11]
	s_cbranch_execz .LBB1128_21
.LBB1128_266:
	flat_load_dwordx2 v[8:9], v[52:53] offset:32
	s_or_b64 exec, exec, s[22:23]
	s_and_saveexec_b64 s[22:23], s[20:21]
                                        ; implicit-def: $vgpr16_vgpr17_vgpr18_vgpr19
	s_cbranch_execz .LBB1128_22
.LBB1128_267:
	flat_load_dwordx2 v[18:19], v[52:53] offset:40
	s_or_b64 exec, exec, s[22:23]
                                        ; implicit-def: $vgpr12_vgpr13
	s_and_saveexec_b64 s[22:23], s[14:15]
	s_cbranch_execz .LBB1128_23
.LBB1128_268:
	flat_load_dwordx2 v[12:13], v[52:53] offset:48
	s_or_b64 exec, exec, s[22:23]
	s_and_saveexec_b64 s[22:23], s[16:17]
                                        ; implicit-def: $vgpr20_vgpr21_vgpr22_vgpr23
	s_cbranch_execnz .LBB1128_24
	s_branch .LBB1128_25
.LBB1128_269:
	flat_store_dwordx2 v[2:3], v[26:27]
	s_or_b64 exec, exec, s[8:9]
	s_and_saveexec_b64 s[8:9], s[4:5]
	s_cbranch_execz .LBB1128_245
.LBB1128_270:
	flat_store_dwordx2 v[2:3], v[38:39] offset:8
	s_or_b64 exec, exec, s[8:9]
	s_and_saveexec_b64 s[8:9], s[6:7]
	s_cbranch_execz .LBB1128_246
.LBB1128_271:
	flat_store_dwordx2 v[2:3], v[36:37] offset:16
	s_or_b64 exec, exec, s[8:9]
	s_and_saveexec_b64 s[8:9], s[18:19]
	s_cbranch_execz .LBB1128_247
.LBB1128_272:
	flat_store_dwordx2 v[2:3], v[50:51] offset:24
	s_or_b64 exec, exec, s[8:9]
	s_and_saveexec_b64 s[8:9], s[10:11]
	s_cbranch_execz .LBB1128_248
.LBB1128_273:
	flat_store_dwordx2 v[2:3], v[34:35] offset:32
	s_or_b64 exec, exec, s[8:9]
	s_and_saveexec_b64 s[8:9], s[20:21]
	s_cbranch_execz .LBB1128_249
.LBB1128_274:
	flat_store_dwordx2 v[2:3], v[32:33] offset:40
	s_or_b64 exec, exec, s[8:9]
	s_and_saveexec_b64 s[8:9], s[14:15]
	s_cbranch_execz .LBB1128_250
.LBB1128_275:
	flat_store_dwordx2 v[2:3], v[48:49] offset:48
	s_or_b64 exec, exec, s[8:9]
	s_and_saveexec_b64 s[8:9], s[16:17]
	s_cbranch_execnz .LBB1128_251
	s_branch .LBB1128_252
.LBB1128_276:
	flat_store_dwordx2 v[2:3], v[0:1]
	s_or_b64 exec, exec, s[8:9]
	s_and_saveexec_b64 s[8:9], s[4:5]
	s_cbranch_execz .LBB1128_254
.LBB1128_277:
	flat_store_dwordx2 v[2:3], v[10:11] offset:8
	s_or_b64 exec, exec, s[8:9]
	s_and_saveexec_b64 s[4:5], s[6:7]
	s_cbranch_execz .LBB1128_255
.LBB1128_278:
	flat_store_dwordx2 v[2:3], v[4:5] offset:16
	s_or_b64 exec, exec, s[4:5]
	s_and_saveexec_b64 s[4:5], s[18:19]
	s_cbranch_execz .LBB1128_256
.LBB1128_279:
	flat_store_dwordx2 v[2:3], v[14:15] offset:24
	s_or_b64 exec, exec, s[4:5]
	s_and_saveexec_b64 s[4:5], s[10:11]
	s_cbranch_execz .LBB1128_257
.LBB1128_280:
	flat_store_dwordx2 v[2:3], v[8:9] offset:32
	s_or_b64 exec, exec, s[4:5]
	s_and_saveexec_b64 s[4:5], s[20:21]
	s_cbranch_execz .LBB1128_258
.LBB1128_281:
	flat_store_dwordx2 v[2:3], v[18:19] offset:40
	s_or_b64 exec, exec, s[4:5]
	s_and_saveexec_b64 s[4:5], s[14:15]
	s_cbranch_execz .LBB1128_259
.LBB1128_282:
	flat_store_dwordx2 v[2:3], v[12:13] offset:48
	s_or_b64 exec, exec, s[4:5]
	s_and_saveexec_b64 s[4:5], s[16:17]
	s_cbranch_execnz .LBB1128_260
	s_branch .LBB1128_261
.Lfunc_end1128:
	.size	_ZN7rocprim17ROCPRIM_400000_NS6detail26segmented_warp_sort_helperINS1_20WarpSortHelperConfigILj16ELj8ELj256EEEdlLi256ELb1EvE4sortIPKdPdPKlPlEEvT_T0_T1_T2_jjjjRNS5_12storage_typeE, .Lfunc_end1128-_ZN7rocprim17ROCPRIM_400000_NS6detail26segmented_warp_sort_helperINS1_20WarpSortHelperConfigILj16ELj8ELj256EEEdlLi256ELb1EvE4sortIPKdPdPKlPlEEvT_T0_T1_T2_jjjjRNS5_12storage_typeE
                                        ; -- End function
	.section	.AMDGPU.csdata,"",@progbits
; Function info:
; codeLenInByte = 14392
; NumSgprs: 48
; NumVgprs: 100
; NumAgprs: 0
; TotalNumVgprs: 100
; ScratchSize: 8
; MemoryBound: 0
	.section	.text._ZN7rocprim17ROCPRIM_400000_NS6detail17trampoline_kernelINS0_14default_configENS1_36segmented_radix_sort_config_selectorIdlEEZNS1_25segmented_radix_sort_implIS3_Lb1EPKdPdPKlPlN2at6native12_GLOBAL__N_18offset_tEEE10hipError_tPvRmT1_PNSt15iterator_traitsISK_E10value_typeET2_T3_PNSL_ISQ_E10value_typeET4_jRbjT5_SW_jjP12ihipStream_tbEUlT_E0_NS1_11comp_targetILNS1_3genE4ELNS1_11target_archE910ELNS1_3gpuE8ELNS1_3repE0EEENS1_60segmented_radix_sort_warp_sort_medium_config_static_selectorELNS0_4arch9wavefront6targetE1EEEvSK_,"axG",@progbits,_ZN7rocprim17ROCPRIM_400000_NS6detail17trampoline_kernelINS0_14default_configENS1_36segmented_radix_sort_config_selectorIdlEEZNS1_25segmented_radix_sort_implIS3_Lb1EPKdPdPKlPlN2at6native12_GLOBAL__N_18offset_tEEE10hipError_tPvRmT1_PNSt15iterator_traitsISK_E10value_typeET2_T3_PNSL_ISQ_E10value_typeET4_jRbjT5_SW_jjP12ihipStream_tbEUlT_E0_NS1_11comp_targetILNS1_3genE4ELNS1_11target_archE910ELNS1_3gpuE8ELNS1_3repE0EEENS1_60segmented_radix_sort_warp_sort_medium_config_static_selectorELNS0_4arch9wavefront6targetE1EEEvSK_,comdat
	.globl	_ZN7rocprim17ROCPRIM_400000_NS6detail17trampoline_kernelINS0_14default_configENS1_36segmented_radix_sort_config_selectorIdlEEZNS1_25segmented_radix_sort_implIS3_Lb1EPKdPdPKlPlN2at6native12_GLOBAL__N_18offset_tEEE10hipError_tPvRmT1_PNSt15iterator_traitsISK_E10value_typeET2_T3_PNSL_ISQ_E10value_typeET4_jRbjT5_SW_jjP12ihipStream_tbEUlT_E0_NS1_11comp_targetILNS1_3genE4ELNS1_11target_archE910ELNS1_3gpuE8ELNS1_3repE0EEENS1_60segmented_radix_sort_warp_sort_medium_config_static_selectorELNS0_4arch9wavefront6targetE1EEEvSK_ ; -- Begin function _ZN7rocprim17ROCPRIM_400000_NS6detail17trampoline_kernelINS0_14default_configENS1_36segmented_radix_sort_config_selectorIdlEEZNS1_25segmented_radix_sort_implIS3_Lb1EPKdPdPKlPlN2at6native12_GLOBAL__N_18offset_tEEE10hipError_tPvRmT1_PNSt15iterator_traitsISK_E10value_typeET2_T3_PNSL_ISQ_E10value_typeET4_jRbjT5_SW_jjP12ihipStream_tbEUlT_E0_NS1_11comp_targetILNS1_3genE4ELNS1_11target_archE910ELNS1_3gpuE8ELNS1_3repE0EEENS1_60segmented_radix_sort_warp_sort_medium_config_static_selectorELNS0_4arch9wavefront6targetE1EEEvSK_
	.p2align	8
	.type	_ZN7rocprim17ROCPRIM_400000_NS6detail17trampoline_kernelINS0_14default_configENS1_36segmented_radix_sort_config_selectorIdlEEZNS1_25segmented_radix_sort_implIS3_Lb1EPKdPdPKlPlN2at6native12_GLOBAL__N_18offset_tEEE10hipError_tPvRmT1_PNSt15iterator_traitsISK_E10value_typeET2_T3_PNSL_ISQ_E10value_typeET4_jRbjT5_SW_jjP12ihipStream_tbEUlT_E0_NS1_11comp_targetILNS1_3genE4ELNS1_11target_archE910ELNS1_3gpuE8ELNS1_3repE0EEENS1_60segmented_radix_sort_warp_sort_medium_config_static_selectorELNS0_4arch9wavefront6targetE1EEEvSK_,@function
_ZN7rocprim17ROCPRIM_400000_NS6detail17trampoline_kernelINS0_14default_configENS1_36segmented_radix_sort_config_selectorIdlEEZNS1_25segmented_radix_sort_implIS3_Lb1EPKdPdPKlPlN2at6native12_GLOBAL__N_18offset_tEEE10hipError_tPvRmT1_PNSt15iterator_traitsISK_E10value_typeET2_T3_PNSL_ISQ_E10value_typeET4_jRbjT5_SW_jjP12ihipStream_tbEUlT_E0_NS1_11comp_targetILNS1_3genE4ELNS1_11target_archE910ELNS1_3gpuE8ELNS1_3repE0EEENS1_60segmented_radix_sort_warp_sort_medium_config_static_selectorELNS0_4arch9wavefront6targetE1EEEvSK_: ; @_ZN7rocprim17ROCPRIM_400000_NS6detail17trampoline_kernelINS0_14default_configENS1_36segmented_radix_sort_config_selectorIdlEEZNS1_25segmented_radix_sort_implIS3_Lb1EPKdPdPKlPlN2at6native12_GLOBAL__N_18offset_tEEE10hipError_tPvRmT1_PNSt15iterator_traitsISK_E10value_typeET2_T3_PNSL_ISQ_E10value_typeET4_jRbjT5_SW_jjP12ihipStream_tbEUlT_E0_NS1_11comp_targetILNS1_3genE4ELNS1_11target_archE910ELNS1_3gpuE8ELNS1_3repE0EEENS1_60segmented_radix_sort_warp_sort_medium_config_static_selectorELNS0_4arch9wavefront6targetE1EEEvSK_
; %bb.0:
	s_add_u32 flat_scratch_lo, s6, s10
	s_addc_u32 flat_scratch_hi, s7, 0
	s_add_u32 s0, s0, s10
	s_load_dword s6, s[4:5], 0x64
	s_load_dword s10, s[4:5], 0x34
	s_addc_u32 s1, s1, 0
	v_bfe_u32 v1, v0, 10, 10
	v_bfe_u32 v2, v0, 20, 10
	s_waitcnt lgkmcnt(0)
	s_lshr_b32 s7, s6, 16
	s_and_b32 s6, s6, 0xffff
	v_mad_u32_u24 v1, v2, s7, v1
	v_and_b32_e32 v2, 0x3ff, v0
	v_mad_u64_u32 v[2:3], s[6:7], v1, s6, v[2:3]
	v_lshrrev_b32_e32 v1, 4, v2
	v_lshl_add_u32 v2, s8, 4, v1
	v_cmp_gt_u32_e32 vcc, s10, v2
	s_mov_b32 s32, 0
	s_and_saveexec_b64 s[6:7], vcc
	s_cbranch_execz .LBB1129_6
; %bb.1:
	s_load_dwordx2 s[6:7], s[4:5], 0x38
	s_load_dwordx4 s[12:15], s[4:5], 0x40
	v_mov_b32_e32 v3, 0
	v_lshlrev_b64 v[2:3], 2, v[2:3]
	s_waitcnt lgkmcnt(0)
	v_mov_b32_e32 v1, s7
	v_add_co_u32_e32 v2, vcc, s6, v2
	v_addc_co_u32_e32 v3, vcc, v1, v3, vcc
	global_load_dword v1, v[2:3], off
	s_waitcnt vmcnt(0)
	v_add_u32_e32 v2, s13, v1
	v_add_u32_e32 v1, s15, v1
	v_mul_lo_u32 v41, v2, s12
	v_mul_lo_u32 v42, v1, s14
	v_cmp_gt_u32_e32 vcc, v42, v41
	s_and_b64 exec, exec, vcc
	s_cbranch_execz .LBB1129_6
; %bb.2:
	s_load_dword s6, s[4:5], 0x30
	s_load_dwordx4 s[56:59], s[4:5], 0x20
	s_load_dwordx8 s[48:55], s[4:5], 0x0
	s_mov_b32 s44, s8
	s_mov_b32 s33, s9
	s_waitcnt lgkmcnt(0)
	s_bitcmp0_b32 s6, 0
	s_mov_b64 s[6:7], -1
	s_cbranch_scc0 .LBB1129_4
; %bb.3:
	s_add_u32 s8, s4, 0x58
	s_addc_u32 s9, s5, 0
	s_mov_b32 s12, s44
	s_mov_b32 s13, s33
	v_mov_b32_e32 v31, v0
	v_mov_b32_e32 v43, v0
	;; [unrolled: 1-line block ×12, first 2 shown]
	s_getpc_b64 s[6:7]
	s_add_u32 s6, s6, _ZN7rocprim17ROCPRIM_400000_NS6detail26segmented_warp_sort_helperINS1_20WarpSortHelperConfigILj16ELj8ELj256EEEdlLi256ELb1EvE4sortIPKdPdPKlPlEEvT_T0_T1_T2_jjjjRNS5_12storage_typeE@rel32@lo+4
	s_addc_u32 s7, s7, _ZN7rocprim17ROCPRIM_400000_NS6detail26segmented_warp_sort_helperINS1_20WarpSortHelperConfigILj16ELj8ELj256EEEdlLi256ELb1EvE4sortIPKdPdPKlPlEEvT_T0_T1_T2_jjjjRNS5_12storage_typeE@rel32@hi+12
	s_mov_b64 s[46:47], s[4:5]
	s_swappc_b64 s[30:31], s[6:7]
	v_mov_b32_e32 v0, v43
	s_mov_b64 s[4:5], s[46:47]
	s_mov_b64 s[6:7], 0
.LBB1129_4:
	s_andn2_b64 vcc, exec, s[6:7]
	s_cbranch_vccnz .LBB1129_6
; %bb.5:
	s_add_u32 s8, s4, 0x58
	s_addc_u32 s9, s5, 0
	s_mov_b32 s12, s44
	s_mov_b32 s13, s33
	v_mov_b32_e32 v31, v0
	v_mov_b32_e32 v0, s48
	;; [unrolled: 1-line block ×11, first 2 shown]
	s_getpc_b64 s[4:5]
	s_add_u32 s4, s4, _ZN7rocprim17ROCPRIM_400000_NS6detail26segmented_warp_sort_helperINS1_20WarpSortHelperConfigILj16ELj8ELj256EEEdlLi256ELb1EvE4sortIPKdPdPKlPlEEvT_T0_T1_T2_jjjjRNS5_12storage_typeE@rel32@lo+4
	s_addc_u32 s5, s5, _ZN7rocprim17ROCPRIM_400000_NS6detail26segmented_warp_sort_helperINS1_20WarpSortHelperConfigILj16ELj8ELj256EEEdlLi256ELb1EvE4sortIPKdPdPKlPlEEvT_T0_T1_T2_jjjjRNS5_12storage_typeE@rel32@hi+12
	s_swappc_b64 s[30:31], s[4:5]
.LBB1129_6:
	s_endpgm
	.section	.rodata,"a",@progbits
	.p2align	6, 0x0
	.amdhsa_kernel _ZN7rocprim17ROCPRIM_400000_NS6detail17trampoline_kernelINS0_14default_configENS1_36segmented_radix_sort_config_selectorIdlEEZNS1_25segmented_radix_sort_implIS3_Lb1EPKdPdPKlPlN2at6native12_GLOBAL__N_18offset_tEEE10hipError_tPvRmT1_PNSt15iterator_traitsISK_E10value_typeET2_T3_PNSL_ISQ_E10value_typeET4_jRbjT5_SW_jjP12ihipStream_tbEUlT_E0_NS1_11comp_targetILNS1_3genE4ELNS1_11target_archE910ELNS1_3gpuE8ELNS1_3repE0EEENS1_60segmented_radix_sort_warp_sort_medium_config_static_selectorELNS0_4arch9wavefront6targetE1EEEvSK_
		.amdhsa_group_segment_fixed_size 32768
		.amdhsa_private_segment_fixed_size 8
		.amdhsa_kernarg_size 344
		.amdhsa_user_sgpr_count 8
		.amdhsa_user_sgpr_private_segment_buffer 1
		.amdhsa_user_sgpr_dispatch_ptr 0
		.amdhsa_user_sgpr_queue_ptr 0
		.amdhsa_user_sgpr_kernarg_segment_ptr 1
		.amdhsa_user_sgpr_dispatch_id 0
		.amdhsa_user_sgpr_flat_scratch_init 1
		.amdhsa_user_sgpr_kernarg_preload_length 0
		.amdhsa_user_sgpr_kernarg_preload_offset 0
		.amdhsa_user_sgpr_private_segment_size 0
		.amdhsa_uses_dynamic_stack 0
		.amdhsa_system_sgpr_private_segment_wavefront_offset 1
		.amdhsa_system_sgpr_workgroup_id_x 1
		.amdhsa_system_sgpr_workgroup_id_y 1
		.amdhsa_system_sgpr_workgroup_id_z 0
		.amdhsa_system_sgpr_workgroup_info 0
		.amdhsa_system_vgpr_workitem_id 2
		.amdhsa_next_free_vgpr 100
		.amdhsa_next_free_sgpr 60
		.amdhsa_accum_offset 100
		.amdhsa_reserve_vcc 1
		.amdhsa_reserve_flat_scratch 1
		.amdhsa_float_round_mode_32 0
		.amdhsa_float_round_mode_16_64 0
		.amdhsa_float_denorm_mode_32 3
		.amdhsa_float_denorm_mode_16_64 3
		.amdhsa_dx10_clamp 1
		.amdhsa_ieee_mode 1
		.amdhsa_fp16_overflow 0
		.amdhsa_tg_split 0
		.amdhsa_exception_fp_ieee_invalid_op 0
		.amdhsa_exception_fp_denorm_src 0
		.amdhsa_exception_fp_ieee_div_zero 0
		.amdhsa_exception_fp_ieee_overflow 0
		.amdhsa_exception_fp_ieee_underflow 0
		.amdhsa_exception_fp_ieee_inexact 0
		.amdhsa_exception_int_div_zero 0
	.end_amdhsa_kernel
	.section	.text._ZN7rocprim17ROCPRIM_400000_NS6detail17trampoline_kernelINS0_14default_configENS1_36segmented_radix_sort_config_selectorIdlEEZNS1_25segmented_radix_sort_implIS3_Lb1EPKdPdPKlPlN2at6native12_GLOBAL__N_18offset_tEEE10hipError_tPvRmT1_PNSt15iterator_traitsISK_E10value_typeET2_T3_PNSL_ISQ_E10value_typeET4_jRbjT5_SW_jjP12ihipStream_tbEUlT_E0_NS1_11comp_targetILNS1_3genE4ELNS1_11target_archE910ELNS1_3gpuE8ELNS1_3repE0EEENS1_60segmented_radix_sort_warp_sort_medium_config_static_selectorELNS0_4arch9wavefront6targetE1EEEvSK_,"axG",@progbits,_ZN7rocprim17ROCPRIM_400000_NS6detail17trampoline_kernelINS0_14default_configENS1_36segmented_radix_sort_config_selectorIdlEEZNS1_25segmented_radix_sort_implIS3_Lb1EPKdPdPKlPlN2at6native12_GLOBAL__N_18offset_tEEE10hipError_tPvRmT1_PNSt15iterator_traitsISK_E10value_typeET2_T3_PNSL_ISQ_E10value_typeET4_jRbjT5_SW_jjP12ihipStream_tbEUlT_E0_NS1_11comp_targetILNS1_3genE4ELNS1_11target_archE910ELNS1_3gpuE8ELNS1_3repE0EEENS1_60segmented_radix_sort_warp_sort_medium_config_static_selectorELNS0_4arch9wavefront6targetE1EEEvSK_,comdat
.Lfunc_end1129:
	.size	_ZN7rocprim17ROCPRIM_400000_NS6detail17trampoline_kernelINS0_14default_configENS1_36segmented_radix_sort_config_selectorIdlEEZNS1_25segmented_radix_sort_implIS3_Lb1EPKdPdPKlPlN2at6native12_GLOBAL__N_18offset_tEEE10hipError_tPvRmT1_PNSt15iterator_traitsISK_E10value_typeET2_T3_PNSL_ISQ_E10value_typeET4_jRbjT5_SW_jjP12ihipStream_tbEUlT_E0_NS1_11comp_targetILNS1_3genE4ELNS1_11target_archE910ELNS1_3gpuE8ELNS1_3repE0EEENS1_60segmented_radix_sort_warp_sort_medium_config_static_selectorELNS0_4arch9wavefront6targetE1EEEvSK_, .Lfunc_end1129-_ZN7rocprim17ROCPRIM_400000_NS6detail17trampoline_kernelINS0_14default_configENS1_36segmented_radix_sort_config_selectorIdlEEZNS1_25segmented_radix_sort_implIS3_Lb1EPKdPdPKlPlN2at6native12_GLOBAL__N_18offset_tEEE10hipError_tPvRmT1_PNSt15iterator_traitsISK_E10value_typeET2_T3_PNSL_ISQ_E10value_typeET4_jRbjT5_SW_jjP12ihipStream_tbEUlT_E0_NS1_11comp_targetILNS1_3genE4ELNS1_11target_archE910ELNS1_3gpuE8ELNS1_3repE0EEENS1_60segmented_radix_sort_warp_sort_medium_config_static_selectorELNS0_4arch9wavefront6targetE1EEEvSK_
                                        ; -- End function
	.section	.AMDGPU.csdata,"",@progbits
; Kernel info:
; codeLenInByte = 464
; NumSgprs: 66
; NumVgprs: 100
; NumAgprs: 0
; TotalNumVgprs: 100
; ScratchSize: 8
; MemoryBound: 0
; FloatMode: 240
; IeeeMode: 1
; LDSByteSize: 32768 bytes/workgroup (compile time only)
; SGPRBlocks: 8
; VGPRBlocks: 12
; NumSGPRsForWavesPerEU: 66
; NumVGPRsForWavesPerEU: 100
; AccumOffset: 100
; Occupancy: 2
; WaveLimiterHint : 0
; COMPUTE_PGM_RSRC2:SCRATCH_EN: 1
; COMPUTE_PGM_RSRC2:USER_SGPR: 8
; COMPUTE_PGM_RSRC2:TRAP_HANDLER: 0
; COMPUTE_PGM_RSRC2:TGID_X_EN: 1
; COMPUTE_PGM_RSRC2:TGID_Y_EN: 1
; COMPUTE_PGM_RSRC2:TGID_Z_EN: 0
; COMPUTE_PGM_RSRC2:TIDIG_COMP_CNT: 2
; COMPUTE_PGM_RSRC3_GFX90A:ACCUM_OFFSET: 24
; COMPUTE_PGM_RSRC3_GFX90A:TG_SPLIT: 0
	.section	.text._ZN7rocprim17ROCPRIM_400000_NS6detail17trampoline_kernelINS0_14default_configENS1_36segmented_radix_sort_config_selectorIdlEEZNS1_25segmented_radix_sort_implIS3_Lb1EPKdPdPKlPlN2at6native12_GLOBAL__N_18offset_tEEE10hipError_tPvRmT1_PNSt15iterator_traitsISK_E10value_typeET2_T3_PNSL_ISQ_E10value_typeET4_jRbjT5_SW_jjP12ihipStream_tbEUlT_E0_NS1_11comp_targetILNS1_3genE3ELNS1_11target_archE908ELNS1_3gpuE7ELNS1_3repE0EEENS1_60segmented_radix_sort_warp_sort_medium_config_static_selectorELNS0_4arch9wavefront6targetE1EEEvSK_,"axG",@progbits,_ZN7rocprim17ROCPRIM_400000_NS6detail17trampoline_kernelINS0_14default_configENS1_36segmented_radix_sort_config_selectorIdlEEZNS1_25segmented_radix_sort_implIS3_Lb1EPKdPdPKlPlN2at6native12_GLOBAL__N_18offset_tEEE10hipError_tPvRmT1_PNSt15iterator_traitsISK_E10value_typeET2_T3_PNSL_ISQ_E10value_typeET4_jRbjT5_SW_jjP12ihipStream_tbEUlT_E0_NS1_11comp_targetILNS1_3genE3ELNS1_11target_archE908ELNS1_3gpuE7ELNS1_3repE0EEENS1_60segmented_radix_sort_warp_sort_medium_config_static_selectorELNS0_4arch9wavefront6targetE1EEEvSK_,comdat
	.globl	_ZN7rocprim17ROCPRIM_400000_NS6detail17trampoline_kernelINS0_14default_configENS1_36segmented_radix_sort_config_selectorIdlEEZNS1_25segmented_radix_sort_implIS3_Lb1EPKdPdPKlPlN2at6native12_GLOBAL__N_18offset_tEEE10hipError_tPvRmT1_PNSt15iterator_traitsISK_E10value_typeET2_T3_PNSL_ISQ_E10value_typeET4_jRbjT5_SW_jjP12ihipStream_tbEUlT_E0_NS1_11comp_targetILNS1_3genE3ELNS1_11target_archE908ELNS1_3gpuE7ELNS1_3repE0EEENS1_60segmented_radix_sort_warp_sort_medium_config_static_selectorELNS0_4arch9wavefront6targetE1EEEvSK_ ; -- Begin function _ZN7rocprim17ROCPRIM_400000_NS6detail17trampoline_kernelINS0_14default_configENS1_36segmented_radix_sort_config_selectorIdlEEZNS1_25segmented_radix_sort_implIS3_Lb1EPKdPdPKlPlN2at6native12_GLOBAL__N_18offset_tEEE10hipError_tPvRmT1_PNSt15iterator_traitsISK_E10value_typeET2_T3_PNSL_ISQ_E10value_typeET4_jRbjT5_SW_jjP12ihipStream_tbEUlT_E0_NS1_11comp_targetILNS1_3genE3ELNS1_11target_archE908ELNS1_3gpuE7ELNS1_3repE0EEENS1_60segmented_radix_sort_warp_sort_medium_config_static_selectorELNS0_4arch9wavefront6targetE1EEEvSK_
	.p2align	8
	.type	_ZN7rocprim17ROCPRIM_400000_NS6detail17trampoline_kernelINS0_14default_configENS1_36segmented_radix_sort_config_selectorIdlEEZNS1_25segmented_radix_sort_implIS3_Lb1EPKdPdPKlPlN2at6native12_GLOBAL__N_18offset_tEEE10hipError_tPvRmT1_PNSt15iterator_traitsISK_E10value_typeET2_T3_PNSL_ISQ_E10value_typeET4_jRbjT5_SW_jjP12ihipStream_tbEUlT_E0_NS1_11comp_targetILNS1_3genE3ELNS1_11target_archE908ELNS1_3gpuE7ELNS1_3repE0EEENS1_60segmented_radix_sort_warp_sort_medium_config_static_selectorELNS0_4arch9wavefront6targetE1EEEvSK_,@function
_ZN7rocprim17ROCPRIM_400000_NS6detail17trampoline_kernelINS0_14default_configENS1_36segmented_radix_sort_config_selectorIdlEEZNS1_25segmented_radix_sort_implIS3_Lb1EPKdPdPKlPlN2at6native12_GLOBAL__N_18offset_tEEE10hipError_tPvRmT1_PNSt15iterator_traitsISK_E10value_typeET2_T3_PNSL_ISQ_E10value_typeET4_jRbjT5_SW_jjP12ihipStream_tbEUlT_E0_NS1_11comp_targetILNS1_3genE3ELNS1_11target_archE908ELNS1_3gpuE7ELNS1_3repE0EEENS1_60segmented_radix_sort_warp_sort_medium_config_static_selectorELNS0_4arch9wavefront6targetE1EEEvSK_: ; @_ZN7rocprim17ROCPRIM_400000_NS6detail17trampoline_kernelINS0_14default_configENS1_36segmented_radix_sort_config_selectorIdlEEZNS1_25segmented_radix_sort_implIS3_Lb1EPKdPdPKlPlN2at6native12_GLOBAL__N_18offset_tEEE10hipError_tPvRmT1_PNSt15iterator_traitsISK_E10value_typeET2_T3_PNSL_ISQ_E10value_typeET4_jRbjT5_SW_jjP12ihipStream_tbEUlT_E0_NS1_11comp_targetILNS1_3genE3ELNS1_11target_archE908ELNS1_3gpuE7ELNS1_3repE0EEENS1_60segmented_radix_sort_warp_sort_medium_config_static_selectorELNS0_4arch9wavefront6targetE1EEEvSK_
; %bb.0:
	.section	.rodata,"a",@progbits
	.p2align	6, 0x0
	.amdhsa_kernel _ZN7rocprim17ROCPRIM_400000_NS6detail17trampoline_kernelINS0_14default_configENS1_36segmented_radix_sort_config_selectorIdlEEZNS1_25segmented_radix_sort_implIS3_Lb1EPKdPdPKlPlN2at6native12_GLOBAL__N_18offset_tEEE10hipError_tPvRmT1_PNSt15iterator_traitsISK_E10value_typeET2_T3_PNSL_ISQ_E10value_typeET4_jRbjT5_SW_jjP12ihipStream_tbEUlT_E0_NS1_11comp_targetILNS1_3genE3ELNS1_11target_archE908ELNS1_3gpuE7ELNS1_3repE0EEENS1_60segmented_radix_sort_warp_sort_medium_config_static_selectorELNS0_4arch9wavefront6targetE1EEEvSK_
		.amdhsa_group_segment_fixed_size 0
		.amdhsa_private_segment_fixed_size 0
		.amdhsa_kernarg_size 88
		.amdhsa_user_sgpr_count 6
		.amdhsa_user_sgpr_private_segment_buffer 1
		.amdhsa_user_sgpr_dispatch_ptr 0
		.amdhsa_user_sgpr_queue_ptr 0
		.amdhsa_user_sgpr_kernarg_segment_ptr 1
		.amdhsa_user_sgpr_dispatch_id 0
		.amdhsa_user_sgpr_flat_scratch_init 0
		.amdhsa_user_sgpr_kernarg_preload_length 0
		.amdhsa_user_sgpr_kernarg_preload_offset 0
		.amdhsa_user_sgpr_private_segment_size 0
		.amdhsa_uses_dynamic_stack 0
		.amdhsa_system_sgpr_private_segment_wavefront_offset 0
		.amdhsa_system_sgpr_workgroup_id_x 1
		.amdhsa_system_sgpr_workgroup_id_y 0
		.amdhsa_system_sgpr_workgroup_id_z 0
		.amdhsa_system_sgpr_workgroup_info 0
		.amdhsa_system_vgpr_workitem_id 0
		.amdhsa_next_free_vgpr 1
		.amdhsa_next_free_sgpr 0
		.amdhsa_accum_offset 4
		.amdhsa_reserve_vcc 0
		.amdhsa_reserve_flat_scratch 0
		.amdhsa_float_round_mode_32 0
		.amdhsa_float_round_mode_16_64 0
		.amdhsa_float_denorm_mode_32 3
		.amdhsa_float_denorm_mode_16_64 3
		.amdhsa_dx10_clamp 1
		.amdhsa_ieee_mode 1
		.amdhsa_fp16_overflow 0
		.amdhsa_tg_split 0
		.amdhsa_exception_fp_ieee_invalid_op 0
		.amdhsa_exception_fp_denorm_src 0
		.amdhsa_exception_fp_ieee_div_zero 0
		.amdhsa_exception_fp_ieee_overflow 0
		.amdhsa_exception_fp_ieee_underflow 0
		.amdhsa_exception_fp_ieee_inexact 0
		.amdhsa_exception_int_div_zero 0
	.end_amdhsa_kernel
	.section	.text._ZN7rocprim17ROCPRIM_400000_NS6detail17trampoline_kernelINS0_14default_configENS1_36segmented_radix_sort_config_selectorIdlEEZNS1_25segmented_radix_sort_implIS3_Lb1EPKdPdPKlPlN2at6native12_GLOBAL__N_18offset_tEEE10hipError_tPvRmT1_PNSt15iterator_traitsISK_E10value_typeET2_T3_PNSL_ISQ_E10value_typeET4_jRbjT5_SW_jjP12ihipStream_tbEUlT_E0_NS1_11comp_targetILNS1_3genE3ELNS1_11target_archE908ELNS1_3gpuE7ELNS1_3repE0EEENS1_60segmented_radix_sort_warp_sort_medium_config_static_selectorELNS0_4arch9wavefront6targetE1EEEvSK_,"axG",@progbits,_ZN7rocprim17ROCPRIM_400000_NS6detail17trampoline_kernelINS0_14default_configENS1_36segmented_radix_sort_config_selectorIdlEEZNS1_25segmented_radix_sort_implIS3_Lb1EPKdPdPKlPlN2at6native12_GLOBAL__N_18offset_tEEE10hipError_tPvRmT1_PNSt15iterator_traitsISK_E10value_typeET2_T3_PNSL_ISQ_E10value_typeET4_jRbjT5_SW_jjP12ihipStream_tbEUlT_E0_NS1_11comp_targetILNS1_3genE3ELNS1_11target_archE908ELNS1_3gpuE7ELNS1_3repE0EEENS1_60segmented_radix_sort_warp_sort_medium_config_static_selectorELNS0_4arch9wavefront6targetE1EEEvSK_,comdat
.Lfunc_end1130:
	.size	_ZN7rocprim17ROCPRIM_400000_NS6detail17trampoline_kernelINS0_14default_configENS1_36segmented_radix_sort_config_selectorIdlEEZNS1_25segmented_radix_sort_implIS3_Lb1EPKdPdPKlPlN2at6native12_GLOBAL__N_18offset_tEEE10hipError_tPvRmT1_PNSt15iterator_traitsISK_E10value_typeET2_T3_PNSL_ISQ_E10value_typeET4_jRbjT5_SW_jjP12ihipStream_tbEUlT_E0_NS1_11comp_targetILNS1_3genE3ELNS1_11target_archE908ELNS1_3gpuE7ELNS1_3repE0EEENS1_60segmented_radix_sort_warp_sort_medium_config_static_selectorELNS0_4arch9wavefront6targetE1EEEvSK_, .Lfunc_end1130-_ZN7rocprim17ROCPRIM_400000_NS6detail17trampoline_kernelINS0_14default_configENS1_36segmented_radix_sort_config_selectorIdlEEZNS1_25segmented_radix_sort_implIS3_Lb1EPKdPdPKlPlN2at6native12_GLOBAL__N_18offset_tEEE10hipError_tPvRmT1_PNSt15iterator_traitsISK_E10value_typeET2_T3_PNSL_ISQ_E10value_typeET4_jRbjT5_SW_jjP12ihipStream_tbEUlT_E0_NS1_11comp_targetILNS1_3genE3ELNS1_11target_archE908ELNS1_3gpuE7ELNS1_3repE0EEENS1_60segmented_radix_sort_warp_sort_medium_config_static_selectorELNS0_4arch9wavefront6targetE1EEEvSK_
                                        ; -- End function
	.section	.AMDGPU.csdata,"",@progbits
; Kernel info:
; codeLenInByte = 0
; NumSgprs: 4
; NumVgprs: 0
; NumAgprs: 0
; TotalNumVgprs: 0
; ScratchSize: 0
; MemoryBound: 0
; FloatMode: 240
; IeeeMode: 1
; LDSByteSize: 0 bytes/workgroup (compile time only)
; SGPRBlocks: 0
; VGPRBlocks: 0
; NumSGPRsForWavesPerEU: 4
; NumVGPRsForWavesPerEU: 1
; AccumOffset: 4
; Occupancy: 8
; WaveLimiterHint : 0
; COMPUTE_PGM_RSRC2:SCRATCH_EN: 0
; COMPUTE_PGM_RSRC2:USER_SGPR: 6
; COMPUTE_PGM_RSRC2:TRAP_HANDLER: 0
; COMPUTE_PGM_RSRC2:TGID_X_EN: 1
; COMPUTE_PGM_RSRC2:TGID_Y_EN: 0
; COMPUTE_PGM_RSRC2:TGID_Z_EN: 0
; COMPUTE_PGM_RSRC2:TIDIG_COMP_CNT: 0
; COMPUTE_PGM_RSRC3_GFX90A:ACCUM_OFFSET: 0
; COMPUTE_PGM_RSRC3_GFX90A:TG_SPLIT: 0
	.section	.text._ZN7rocprim17ROCPRIM_400000_NS6detail17trampoline_kernelINS0_14default_configENS1_36segmented_radix_sort_config_selectorIdlEEZNS1_25segmented_radix_sort_implIS3_Lb1EPKdPdPKlPlN2at6native12_GLOBAL__N_18offset_tEEE10hipError_tPvRmT1_PNSt15iterator_traitsISK_E10value_typeET2_T3_PNSL_ISQ_E10value_typeET4_jRbjT5_SW_jjP12ihipStream_tbEUlT_E0_NS1_11comp_targetILNS1_3genE2ELNS1_11target_archE906ELNS1_3gpuE6ELNS1_3repE0EEENS1_60segmented_radix_sort_warp_sort_medium_config_static_selectorELNS0_4arch9wavefront6targetE1EEEvSK_,"axG",@progbits,_ZN7rocprim17ROCPRIM_400000_NS6detail17trampoline_kernelINS0_14default_configENS1_36segmented_radix_sort_config_selectorIdlEEZNS1_25segmented_radix_sort_implIS3_Lb1EPKdPdPKlPlN2at6native12_GLOBAL__N_18offset_tEEE10hipError_tPvRmT1_PNSt15iterator_traitsISK_E10value_typeET2_T3_PNSL_ISQ_E10value_typeET4_jRbjT5_SW_jjP12ihipStream_tbEUlT_E0_NS1_11comp_targetILNS1_3genE2ELNS1_11target_archE906ELNS1_3gpuE6ELNS1_3repE0EEENS1_60segmented_radix_sort_warp_sort_medium_config_static_selectorELNS0_4arch9wavefront6targetE1EEEvSK_,comdat
	.globl	_ZN7rocprim17ROCPRIM_400000_NS6detail17trampoline_kernelINS0_14default_configENS1_36segmented_radix_sort_config_selectorIdlEEZNS1_25segmented_radix_sort_implIS3_Lb1EPKdPdPKlPlN2at6native12_GLOBAL__N_18offset_tEEE10hipError_tPvRmT1_PNSt15iterator_traitsISK_E10value_typeET2_T3_PNSL_ISQ_E10value_typeET4_jRbjT5_SW_jjP12ihipStream_tbEUlT_E0_NS1_11comp_targetILNS1_3genE2ELNS1_11target_archE906ELNS1_3gpuE6ELNS1_3repE0EEENS1_60segmented_radix_sort_warp_sort_medium_config_static_selectorELNS0_4arch9wavefront6targetE1EEEvSK_ ; -- Begin function _ZN7rocprim17ROCPRIM_400000_NS6detail17trampoline_kernelINS0_14default_configENS1_36segmented_radix_sort_config_selectorIdlEEZNS1_25segmented_radix_sort_implIS3_Lb1EPKdPdPKlPlN2at6native12_GLOBAL__N_18offset_tEEE10hipError_tPvRmT1_PNSt15iterator_traitsISK_E10value_typeET2_T3_PNSL_ISQ_E10value_typeET4_jRbjT5_SW_jjP12ihipStream_tbEUlT_E0_NS1_11comp_targetILNS1_3genE2ELNS1_11target_archE906ELNS1_3gpuE6ELNS1_3repE0EEENS1_60segmented_radix_sort_warp_sort_medium_config_static_selectorELNS0_4arch9wavefront6targetE1EEEvSK_
	.p2align	8
	.type	_ZN7rocprim17ROCPRIM_400000_NS6detail17trampoline_kernelINS0_14default_configENS1_36segmented_radix_sort_config_selectorIdlEEZNS1_25segmented_radix_sort_implIS3_Lb1EPKdPdPKlPlN2at6native12_GLOBAL__N_18offset_tEEE10hipError_tPvRmT1_PNSt15iterator_traitsISK_E10value_typeET2_T3_PNSL_ISQ_E10value_typeET4_jRbjT5_SW_jjP12ihipStream_tbEUlT_E0_NS1_11comp_targetILNS1_3genE2ELNS1_11target_archE906ELNS1_3gpuE6ELNS1_3repE0EEENS1_60segmented_radix_sort_warp_sort_medium_config_static_selectorELNS0_4arch9wavefront6targetE1EEEvSK_,@function
_ZN7rocprim17ROCPRIM_400000_NS6detail17trampoline_kernelINS0_14default_configENS1_36segmented_radix_sort_config_selectorIdlEEZNS1_25segmented_radix_sort_implIS3_Lb1EPKdPdPKlPlN2at6native12_GLOBAL__N_18offset_tEEE10hipError_tPvRmT1_PNSt15iterator_traitsISK_E10value_typeET2_T3_PNSL_ISQ_E10value_typeET4_jRbjT5_SW_jjP12ihipStream_tbEUlT_E0_NS1_11comp_targetILNS1_3genE2ELNS1_11target_archE906ELNS1_3gpuE6ELNS1_3repE0EEENS1_60segmented_radix_sort_warp_sort_medium_config_static_selectorELNS0_4arch9wavefront6targetE1EEEvSK_: ; @_ZN7rocprim17ROCPRIM_400000_NS6detail17trampoline_kernelINS0_14default_configENS1_36segmented_radix_sort_config_selectorIdlEEZNS1_25segmented_radix_sort_implIS3_Lb1EPKdPdPKlPlN2at6native12_GLOBAL__N_18offset_tEEE10hipError_tPvRmT1_PNSt15iterator_traitsISK_E10value_typeET2_T3_PNSL_ISQ_E10value_typeET4_jRbjT5_SW_jjP12ihipStream_tbEUlT_E0_NS1_11comp_targetILNS1_3genE2ELNS1_11target_archE906ELNS1_3gpuE6ELNS1_3repE0EEENS1_60segmented_radix_sort_warp_sort_medium_config_static_selectorELNS0_4arch9wavefront6targetE1EEEvSK_
; %bb.0:
	.section	.rodata,"a",@progbits
	.p2align	6, 0x0
	.amdhsa_kernel _ZN7rocprim17ROCPRIM_400000_NS6detail17trampoline_kernelINS0_14default_configENS1_36segmented_radix_sort_config_selectorIdlEEZNS1_25segmented_radix_sort_implIS3_Lb1EPKdPdPKlPlN2at6native12_GLOBAL__N_18offset_tEEE10hipError_tPvRmT1_PNSt15iterator_traitsISK_E10value_typeET2_T3_PNSL_ISQ_E10value_typeET4_jRbjT5_SW_jjP12ihipStream_tbEUlT_E0_NS1_11comp_targetILNS1_3genE2ELNS1_11target_archE906ELNS1_3gpuE6ELNS1_3repE0EEENS1_60segmented_radix_sort_warp_sort_medium_config_static_selectorELNS0_4arch9wavefront6targetE1EEEvSK_
		.amdhsa_group_segment_fixed_size 0
		.amdhsa_private_segment_fixed_size 0
		.amdhsa_kernarg_size 88
		.amdhsa_user_sgpr_count 6
		.amdhsa_user_sgpr_private_segment_buffer 1
		.amdhsa_user_sgpr_dispatch_ptr 0
		.amdhsa_user_sgpr_queue_ptr 0
		.amdhsa_user_sgpr_kernarg_segment_ptr 1
		.amdhsa_user_sgpr_dispatch_id 0
		.amdhsa_user_sgpr_flat_scratch_init 0
		.amdhsa_user_sgpr_kernarg_preload_length 0
		.amdhsa_user_sgpr_kernarg_preload_offset 0
		.amdhsa_user_sgpr_private_segment_size 0
		.amdhsa_uses_dynamic_stack 0
		.amdhsa_system_sgpr_private_segment_wavefront_offset 0
		.amdhsa_system_sgpr_workgroup_id_x 1
		.amdhsa_system_sgpr_workgroup_id_y 0
		.amdhsa_system_sgpr_workgroup_id_z 0
		.amdhsa_system_sgpr_workgroup_info 0
		.amdhsa_system_vgpr_workitem_id 0
		.amdhsa_next_free_vgpr 1
		.amdhsa_next_free_sgpr 0
		.amdhsa_accum_offset 4
		.amdhsa_reserve_vcc 0
		.amdhsa_reserve_flat_scratch 0
		.amdhsa_float_round_mode_32 0
		.amdhsa_float_round_mode_16_64 0
		.amdhsa_float_denorm_mode_32 3
		.amdhsa_float_denorm_mode_16_64 3
		.amdhsa_dx10_clamp 1
		.amdhsa_ieee_mode 1
		.amdhsa_fp16_overflow 0
		.amdhsa_tg_split 0
		.amdhsa_exception_fp_ieee_invalid_op 0
		.amdhsa_exception_fp_denorm_src 0
		.amdhsa_exception_fp_ieee_div_zero 0
		.amdhsa_exception_fp_ieee_overflow 0
		.amdhsa_exception_fp_ieee_underflow 0
		.amdhsa_exception_fp_ieee_inexact 0
		.amdhsa_exception_int_div_zero 0
	.end_amdhsa_kernel
	.section	.text._ZN7rocprim17ROCPRIM_400000_NS6detail17trampoline_kernelINS0_14default_configENS1_36segmented_radix_sort_config_selectorIdlEEZNS1_25segmented_radix_sort_implIS3_Lb1EPKdPdPKlPlN2at6native12_GLOBAL__N_18offset_tEEE10hipError_tPvRmT1_PNSt15iterator_traitsISK_E10value_typeET2_T3_PNSL_ISQ_E10value_typeET4_jRbjT5_SW_jjP12ihipStream_tbEUlT_E0_NS1_11comp_targetILNS1_3genE2ELNS1_11target_archE906ELNS1_3gpuE6ELNS1_3repE0EEENS1_60segmented_radix_sort_warp_sort_medium_config_static_selectorELNS0_4arch9wavefront6targetE1EEEvSK_,"axG",@progbits,_ZN7rocprim17ROCPRIM_400000_NS6detail17trampoline_kernelINS0_14default_configENS1_36segmented_radix_sort_config_selectorIdlEEZNS1_25segmented_radix_sort_implIS3_Lb1EPKdPdPKlPlN2at6native12_GLOBAL__N_18offset_tEEE10hipError_tPvRmT1_PNSt15iterator_traitsISK_E10value_typeET2_T3_PNSL_ISQ_E10value_typeET4_jRbjT5_SW_jjP12ihipStream_tbEUlT_E0_NS1_11comp_targetILNS1_3genE2ELNS1_11target_archE906ELNS1_3gpuE6ELNS1_3repE0EEENS1_60segmented_radix_sort_warp_sort_medium_config_static_selectorELNS0_4arch9wavefront6targetE1EEEvSK_,comdat
.Lfunc_end1131:
	.size	_ZN7rocprim17ROCPRIM_400000_NS6detail17trampoline_kernelINS0_14default_configENS1_36segmented_radix_sort_config_selectorIdlEEZNS1_25segmented_radix_sort_implIS3_Lb1EPKdPdPKlPlN2at6native12_GLOBAL__N_18offset_tEEE10hipError_tPvRmT1_PNSt15iterator_traitsISK_E10value_typeET2_T3_PNSL_ISQ_E10value_typeET4_jRbjT5_SW_jjP12ihipStream_tbEUlT_E0_NS1_11comp_targetILNS1_3genE2ELNS1_11target_archE906ELNS1_3gpuE6ELNS1_3repE0EEENS1_60segmented_radix_sort_warp_sort_medium_config_static_selectorELNS0_4arch9wavefront6targetE1EEEvSK_, .Lfunc_end1131-_ZN7rocprim17ROCPRIM_400000_NS6detail17trampoline_kernelINS0_14default_configENS1_36segmented_radix_sort_config_selectorIdlEEZNS1_25segmented_radix_sort_implIS3_Lb1EPKdPdPKlPlN2at6native12_GLOBAL__N_18offset_tEEE10hipError_tPvRmT1_PNSt15iterator_traitsISK_E10value_typeET2_T3_PNSL_ISQ_E10value_typeET4_jRbjT5_SW_jjP12ihipStream_tbEUlT_E0_NS1_11comp_targetILNS1_3genE2ELNS1_11target_archE906ELNS1_3gpuE6ELNS1_3repE0EEENS1_60segmented_radix_sort_warp_sort_medium_config_static_selectorELNS0_4arch9wavefront6targetE1EEEvSK_
                                        ; -- End function
	.section	.AMDGPU.csdata,"",@progbits
; Kernel info:
; codeLenInByte = 0
; NumSgprs: 4
; NumVgprs: 0
; NumAgprs: 0
; TotalNumVgprs: 0
; ScratchSize: 0
; MemoryBound: 0
; FloatMode: 240
; IeeeMode: 1
; LDSByteSize: 0 bytes/workgroup (compile time only)
; SGPRBlocks: 0
; VGPRBlocks: 0
; NumSGPRsForWavesPerEU: 4
; NumVGPRsForWavesPerEU: 1
; AccumOffset: 4
; Occupancy: 8
; WaveLimiterHint : 0
; COMPUTE_PGM_RSRC2:SCRATCH_EN: 0
; COMPUTE_PGM_RSRC2:USER_SGPR: 6
; COMPUTE_PGM_RSRC2:TRAP_HANDLER: 0
; COMPUTE_PGM_RSRC2:TGID_X_EN: 1
; COMPUTE_PGM_RSRC2:TGID_Y_EN: 0
; COMPUTE_PGM_RSRC2:TGID_Z_EN: 0
; COMPUTE_PGM_RSRC2:TIDIG_COMP_CNT: 0
; COMPUTE_PGM_RSRC3_GFX90A:ACCUM_OFFSET: 0
; COMPUTE_PGM_RSRC3_GFX90A:TG_SPLIT: 0
	.section	.text._ZN7rocprim17ROCPRIM_400000_NS6detail17trampoline_kernelINS0_14default_configENS1_36segmented_radix_sort_config_selectorIdlEEZNS1_25segmented_radix_sort_implIS3_Lb1EPKdPdPKlPlN2at6native12_GLOBAL__N_18offset_tEEE10hipError_tPvRmT1_PNSt15iterator_traitsISK_E10value_typeET2_T3_PNSL_ISQ_E10value_typeET4_jRbjT5_SW_jjP12ihipStream_tbEUlT_E0_NS1_11comp_targetILNS1_3genE10ELNS1_11target_archE1201ELNS1_3gpuE5ELNS1_3repE0EEENS1_60segmented_radix_sort_warp_sort_medium_config_static_selectorELNS0_4arch9wavefront6targetE1EEEvSK_,"axG",@progbits,_ZN7rocprim17ROCPRIM_400000_NS6detail17trampoline_kernelINS0_14default_configENS1_36segmented_radix_sort_config_selectorIdlEEZNS1_25segmented_radix_sort_implIS3_Lb1EPKdPdPKlPlN2at6native12_GLOBAL__N_18offset_tEEE10hipError_tPvRmT1_PNSt15iterator_traitsISK_E10value_typeET2_T3_PNSL_ISQ_E10value_typeET4_jRbjT5_SW_jjP12ihipStream_tbEUlT_E0_NS1_11comp_targetILNS1_3genE10ELNS1_11target_archE1201ELNS1_3gpuE5ELNS1_3repE0EEENS1_60segmented_radix_sort_warp_sort_medium_config_static_selectorELNS0_4arch9wavefront6targetE1EEEvSK_,comdat
	.globl	_ZN7rocprim17ROCPRIM_400000_NS6detail17trampoline_kernelINS0_14default_configENS1_36segmented_radix_sort_config_selectorIdlEEZNS1_25segmented_radix_sort_implIS3_Lb1EPKdPdPKlPlN2at6native12_GLOBAL__N_18offset_tEEE10hipError_tPvRmT1_PNSt15iterator_traitsISK_E10value_typeET2_T3_PNSL_ISQ_E10value_typeET4_jRbjT5_SW_jjP12ihipStream_tbEUlT_E0_NS1_11comp_targetILNS1_3genE10ELNS1_11target_archE1201ELNS1_3gpuE5ELNS1_3repE0EEENS1_60segmented_radix_sort_warp_sort_medium_config_static_selectorELNS0_4arch9wavefront6targetE1EEEvSK_ ; -- Begin function _ZN7rocprim17ROCPRIM_400000_NS6detail17trampoline_kernelINS0_14default_configENS1_36segmented_radix_sort_config_selectorIdlEEZNS1_25segmented_radix_sort_implIS3_Lb1EPKdPdPKlPlN2at6native12_GLOBAL__N_18offset_tEEE10hipError_tPvRmT1_PNSt15iterator_traitsISK_E10value_typeET2_T3_PNSL_ISQ_E10value_typeET4_jRbjT5_SW_jjP12ihipStream_tbEUlT_E0_NS1_11comp_targetILNS1_3genE10ELNS1_11target_archE1201ELNS1_3gpuE5ELNS1_3repE0EEENS1_60segmented_radix_sort_warp_sort_medium_config_static_selectorELNS0_4arch9wavefront6targetE1EEEvSK_
	.p2align	8
	.type	_ZN7rocprim17ROCPRIM_400000_NS6detail17trampoline_kernelINS0_14default_configENS1_36segmented_radix_sort_config_selectorIdlEEZNS1_25segmented_radix_sort_implIS3_Lb1EPKdPdPKlPlN2at6native12_GLOBAL__N_18offset_tEEE10hipError_tPvRmT1_PNSt15iterator_traitsISK_E10value_typeET2_T3_PNSL_ISQ_E10value_typeET4_jRbjT5_SW_jjP12ihipStream_tbEUlT_E0_NS1_11comp_targetILNS1_3genE10ELNS1_11target_archE1201ELNS1_3gpuE5ELNS1_3repE0EEENS1_60segmented_radix_sort_warp_sort_medium_config_static_selectorELNS0_4arch9wavefront6targetE1EEEvSK_,@function
_ZN7rocprim17ROCPRIM_400000_NS6detail17trampoline_kernelINS0_14default_configENS1_36segmented_radix_sort_config_selectorIdlEEZNS1_25segmented_radix_sort_implIS3_Lb1EPKdPdPKlPlN2at6native12_GLOBAL__N_18offset_tEEE10hipError_tPvRmT1_PNSt15iterator_traitsISK_E10value_typeET2_T3_PNSL_ISQ_E10value_typeET4_jRbjT5_SW_jjP12ihipStream_tbEUlT_E0_NS1_11comp_targetILNS1_3genE10ELNS1_11target_archE1201ELNS1_3gpuE5ELNS1_3repE0EEENS1_60segmented_radix_sort_warp_sort_medium_config_static_selectorELNS0_4arch9wavefront6targetE1EEEvSK_: ; @_ZN7rocprim17ROCPRIM_400000_NS6detail17trampoline_kernelINS0_14default_configENS1_36segmented_radix_sort_config_selectorIdlEEZNS1_25segmented_radix_sort_implIS3_Lb1EPKdPdPKlPlN2at6native12_GLOBAL__N_18offset_tEEE10hipError_tPvRmT1_PNSt15iterator_traitsISK_E10value_typeET2_T3_PNSL_ISQ_E10value_typeET4_jRbjT5_SW_jjP12ihipStream_tbEUlT_E0_NS1_11comp_targetILNS1_3genE10ELNS1_11target_archE1201ELNS1_3gpuE5ELNS1_3repE0EEENS1_60segmented_radix_sort_warp_sort_medium_config_static_selectorELNS0_4arch9wavefront6targetE1EEEvSK_
; %bb.0:
	.section	.rodata,"a",@progbits
	.p2align	6, 0x0
	.amdhsa_kernel _ZN7rocprim17ROCPRIM_400000_NS6detail17trampoline_kernelINS0_14default_configENS1_36segmented_radix_sort_config_selectorIdlEEZNS1_25segmented_radix_sort_implIS3_Lb1EPKdPdPKlPlN2at6native12_GLOBAL__N_18offset_tEEE10hipError_tPvRmT1_PNSt15iterator_traitsISK_E10value_typeET2_T3_PNSL_ISQ_E10value_typeET4_jRbjT5_SW_jjP12ihipStream_tbEUlT_E0_NS1_11comp_targetILNS1_3genE10ELNS1_11target_archE1201ELNS1_3gpuE5ELNS1_3repE0EEENS1_60segmented_radix_sort_warp_sort_medium_config_static_selectorELNS0_4arch9wavefront6targetE1EEEvSK_
		.amdhsa_group_segment_fixed_size 0
		.amdhsa_private_segment_fixed_size 0
		.amdhsa_kernarg_size 88
		.amdhsa_user_sgpr_count 6
		.amdhsa_user_sgpr_private_segment_buffer 1
		.amdhsa_user_sgpr_dispatch_ptr 0
		.amdhsa_user_sgpr_queue_ptr 0
		.amdhsa_user_sgpr_kernarg_segment_ptr 1
		.amdhsa_user_sgpr_dispatch_id 0
		.amdhsa_user_sgpr_flat_scratch_init 0
		.amdhsa_user_sgpr_kernarg_preload_length 0
		.amdhsa_user_sgpr_kernarg_preload_offset 0
		.amdhsa_user_sgpr_private_segment_size 0
		.amdhsa_uses_dynamic_stack 0
		.amdhsa_system_sgpr_private_segment_wavefront_offset 0
		.amdhsa_system_sgpr_workgroup_id_x 1
		.amdhsa_system_sgpr_workgroup_id_y 0
		.amdhsa_system_sgpr_workgroup_id_z 0
		.amdhsa_system_sgpr_workgroup_info 0
		.amdhsa_system_vgpr_workitem_id 0
		.amdhsa_next_free_vgpr 1
		.amdhsa_next_free_sgpr 0
		.amdhsa_accum_offset 4
		.amdhsa_reserve_vcc 0
		.amdhsa_reserve_flat_scratch 0
		.amdhsa_float_round_mode_32 0
		.amdhsa_float_round_mode_16_64 0
		.amdhsa_float_denorm_mode_32 3
		.amdhsa_float_denorm_mode_16_64 3
		.amdhsa_dx10_clamp 1
		.amdhsa_ieee_mode 1
		.amdhsa_fp16_overflow 0
		.amdhsa_tg_split 0
		.amdhsa_exception_fp_ieee_invalid_op 0
		.amdhsa_exception_fp_denorm_src 0
		.amdhsa_exception_fp_ieee_div_zero 0
		.amdhsa_exception_fp_ieee_overflow 0
		.amdhsa_exception_fp_ieee_underflow 0
		.amdhsa_exception_fp_ieee_inexact 0
		.amdhsa_exception_int_div_zero 0
	.end_amdhsa_kernel
	.section	.text._ZN7rocprim17ROCPRIM_400000_NS6detail17trampoline_kernelINS0_14default_configENS1_36segmented_radix_sort_config_selectorIdlEEZNS1_25segmented_radix_sort_implIS3_Lb1EPKdPdPKlPlN2at6native12_GLOBAL__N_18offset_tEEE10hipError_tPvRmT1_PNSt15iterator_traitsISK_E10value_typeET2_T3_PNSL_ISQ_E10value_typeET4_jRbjT5_SW_jjP12ihipStream_tbEUlT_E0_NS1_11comp_targetILNS1_3genE10ELNS1_11target_archE1201ELNS1_3gpuE5ELNS1_3repE0EEENS1_60segmented_radix_sort_warp_sort_medium_config_static_selectorELNS0_4arch9wavefront6targetE1EEEvSK_,"axG",@progbits,_ZN7rocprim17ROCPRIM_400000_NS6detail17trampoline_kernelINS0_14default_configENS1_36segmented_radix_sort_config_selectorIdlEEZNS1_25segmented_radix_sort_implIS3_Lb1EPKdPdPKlPlN2at6native12_GLOBAL__N_18offset_tEEE10hipError_tPvRmT1_PNSt15iterator_traitsISK_E10value_typeET2_T3_PNSL_ISQ_E10value_typeET4_jRbjT5_SW_jjP12ihipStream_tbEUlT_E0_NS1_11comp_targetILNS1_3genE10ELNS1_11target_archE1201ELNS1_3gpuE5ELNS1_3repE0EEENS1_60segmented_radix_sort_warp_sort_medium_config_static_selectorELNS0_4arch9wavefront6targetE1EEEvSK_,comdat
.Lfunc_end1132:
	.size	_ZN7rocprim17ROCPRIM_400000_NS6detail17trampoline_kernelINS0_14default_configENS1_36segmented_radix_sort_config_selectorIdlEEZNS1_25segmented_radix_sort_implIS3_Lb1EPKdPdPKlPlN2at6native12_GLOBAL__N_18offset_tEEE10hipError_tPvRmT1_PNSt15iterator_traitsISK_E10value_typeET2_T3_PNSL_ISQ_E10value_typeET4_jRbjT5_SW_jjP12ihipStream_tbEUlT_E0_NS1_11comp_targetILNS1_3genE10ELNS1_11target_archE1201ELNS1_3gpuE5ELNS1_3repE0EEENS1_60segmented_radix_sort_warp_sort_medium_config_static_selectorELNS0_4arch9wavefront6targetE1EEEvSK_, .Lfunc_end1132-_ZN7rocprim17ROCPRIM_400000_NS6detail17trampoline_kernelINS0_14default_configENS1_36segmented_radix_sort_config_selectorIdlEEZNS1_25segmented_radix_sort_implIS3_Lb1EPKdPdPKlPlN2at6native12_GLOBAL__N_18offset_tEEE10hipError_tPvRmT1_PNSt15iterator_traitsISK_E10value_typeET2_T3_PNSL_ISQ_E10value_typeET4_jRbjT5_SW_jjP12ihipStream_tbEUlT_E0_NS1_11comp_targetILNS1_3genE10ELNS1_11target_archE1201ELNS1_3gpuE5ELNS1_3repE0EEENS1_60segmented_radix_sort_warp_sort_medium_config_static_selectorELNS0_4arch9wavefront6targetE1EEEvSK_
                                        ; -- End function
	.section	.AMDGPU.csdata,"",@progbits
; Kernel info:
; codeLenInByte = 0
; NumSgprs: 4
; NumVgprs: 0
; NumAgprs: 0
; TotalNumVgprs: 0
; ScratchSize: 0
; MemoryBound: 0
; FloatMode: 240
; IeeeMode: 1
; LDSByteSize: 0 bytes/workgroup (compile time only)
; SGPRBlocks: 0
; VGPRBlocks: 0
; NumSGPRsForWavesPerEU: 4
; NumVGPRsForWavesPerEU: 1
; AccumOffset: 4
; Occupancy: 8
; WaveLimiterHint : 0
; COMPUTE_PGM_RSRC2:SCRATCH_EN: 0
; COMPUTE_PGM_RSRC2:USER_SGPR: 6
; COMPUTE_PGM_RSRC2:TRAP_HANDLER: 0
; COMPUTE_PGM_RSRC2:TGID_X_EN: 1
; COMPUTE_PGM_RSRC2:TGID_Y_EN: 0
; COMPUTE_PGM_RSRC2:TGID_Z_EN: 0
; COMPUTE_PGM_RSRC2:TIDIG_COMP_CNT: 0
; COMPUTE_PGM_RSRC3_GFX90A:ACCUM_OFFSET: 0
; COMPUTE_PGM_RSRC3_GFX90A:TG_SPLIT: 0
	.section	.text._ZN7rocprim17ROCPRIM_400000_NS6detail17trampoline_kernelINS0_14default_configENS1_36segmented_radix_sort_config_selectorIdlEEZNS1_25segmented_radix_sort_implIS3_Lb1EPKdPdPKlPlN2at6native12_GLOBAL__N_18offset_tEEE10hipError_tPvRmT1_PNSt15iterator_traitsISK_E10value_typeET2_T3_PNSL_ISQ_E10value_typeET4_jRbjT5_SW_jjP12ihipStream_tbEUlT_E0_NS1_11comp_targetILNS1_3genE10ELNS1_11target_archE1200ELNS1_3gpuE4ELNS1_3repE0EEENS1_60segmented_radix_sort_warp_sort_medium_config_static_selectorELNS0_4arch9wavefront6targetE1EEEvSK_,"axG",@progbits,_ZN7rocprim17ROCPRIM_400000_NS6detail17trampoline_kernelINS0_14default_configENS1_36segmented_radix_sort_config_selectorIdlEEZNS1_25segmented_radix_sort_implIS3_Lb1EPKdPdPKlPlN2at6native12_GLOBAL__N_18offset_tEEE10hipError_tPvRmT1_PNSt15iterator_traitsISK_E10value_typeET2_T3_PNSL_ISQ_E10value_typeET4_jRbjT5_SW_jjP12ihipStream_tbEUlT_E0_NS1_11comp_targetILNS1_3genE10ELNS1_11target_archE1200ELNS1_3gpuE4ELNS1_3repE0EEENS1_60segmented_radix_sort_warp_sort_medium_config_static_selectorELNS0_4arch9wavefront6targetE1EEEvSK_,comdat
	.globl	_ZN7rocprim17ROCPRIM_400000_NS6detail17trampoline_kernelINS0_14default_configENS1_36segmented_radix_sort_config_selectorIdlEEZNS1_25segmented_radix_sort_implIS3_Lb1EPKdPdPKlPlN2at6native12_GLOBAL__N_18offset_tEEE10hipError_tPvRmT1_PNSt15iterator_traitsISK_E10value_typeET2_T3_PNSL_ISQ_E10value_typeET4_jRbjT5_SW_jjP12ihipStream_tbEUlT_E0_NS1_11comp_targetILNS1_3genE10ELNS1_11target_archE1200ELNS1_3gpuE4ELNS1_3repE0EEENS1_60segmented_radix_sort_warp_sort_medium_config_static_selectorELNS0_4arch9wavefront6targetE1EEEvSK_ ; -- Begin function _ZN7rocprim17ROCPRIM_400000_NS6detail17trampoline_kernelINS0_14default_configENS1_36segmented_radix_sort_config_selectorIdlEEZNS1_25segmented_radix_sort_implIS3_Lb1EPKdPdPKlPlN2at6native12_GLOBAL__N_18offset_tEEE10hipError_tPvRmT1_PNSt15iterator_traitsISK_E10value_typeET2_T3_PNSL_ISQ_E10value_typeET4_jRbjT5_SW_jjP12ihipStream_tbEUlT_E0_NS1_11comp_targetILNS1_3genE10ELNS1_11target_archE1200ELNS1_3gpuE4ELNS1_3repE0EEENS1_60segmented_radix_sort_warp_sort_medium_config_static_selectorELNS0_4arch9wavefront6targetE1EEEvSK_
	.p2align	8
	.type	_ZN7rocprim17ROCPRIM_400000_NS6detail17trampoline_kernelINS0_14default_configENS1_36segmented_radix_sort_config_selectorIdlEEZNS1_25segmented_radix_sort_implIS3_Lb1EPKdPdPKlPlN2at6native12_GLOBAL__N_18offset_tEEE10hipError_tPvRmT1_PNSt15iterator_traitsISK_E10value_typeET2_T3_PNSL_ISQ_E10value_typeET4_jRbjT5_SW_jjP12ihipStream_tbEUlT_E0_NS1_11comp_targetILNS1_3genE10ELNS1_11target_archE1200ELNS1_3gpuE4ELNS1_3repE0EEENS1_60segmented_radix_sort_warp_sort_medium_config_static_selectorELNS0_4arch9wavefront6targetE1EEEvSK_,@function
_ZN7rocprim17ROCPRIM_400000_NS6detail17trampoline_kernelINS0_14default_configENS1_36segmented_radix_sort_config_selectorIdlEEZNS1_25segmented_radix_sort_implIS3_Lb1EPKdPdPKlPlN2at6native12_GLOBAL__N_18offset_tEEE10hipError_tPvRmT1_PNSt15iterator_traitsISK_E10value_typeET2_T3_PNSL_ISQ_E10value_typeET4_jRbjT5_SW_jjP12ihipStream_tbEUlT_E0_NS1_11comp_targetILNS1_3genE10ELNS1_11target_archE1200ELNS1_3gpuE4ELNS1_3repE0EEENS1_60segmented_radix_sort_warp_sort_medium_config_static_selectorELNS0_4arch9wavefront6targetE1EEEvSK_: ; @_ZN7rocprim17ROCPRIM_400000_NS6detail17trampoline_kernelINS0_14default_configENS1_36segmented_radix_sort_config_selectorIdlEEZNS1_25segmented_radix_sort_implIS3_Lb1EPKdPdPKlPlN2at6native12_GLOBAL__N_18offset_tEEE10hipError_tPvRmT1_PNSt15iterator_traitsISK_E10value_typeET2_T3_PNSL_ISQ_E10value_typeET4_jRbjT5_SW_jjP12ihipStream_tbEUlT_E0_NS1_11comp_targetILNS1_3genE10ELNS1_11target_archE1200ELNS1_3gpuE4ELNS1_3repE0EEENS1_60segmented_radix_sort_warp_sort_medium_config_static_selectorELNS0_4arch9wavefront6targetE1EEEvSK_
; %bb.0:
	.section	.rodata,"a",@progbits
	.p2align	6, 0x0
	.amdhsa_kernel _ZN7rocprim17ROCPRIM_400000_NS6detail17trampoline_kernelINS0_14default_configENS1_36segmented_radix_sort_config_selectorIdlEEZNS1_25segmented_radix_sort_implIS3_Lb1EPKdPdPKlPlN2at6native12_GLOBAL__N_18offset_tEEE10hipError_tPvRmT1_PNSt15iterator_traitsISK_E10value_typeET2_T3_PNSL_ISQ_E10value_typeET4_jRbjT5_SW_jjP12ihipStream_tbEUlT_E0_NS1_11comp_targetILNS1_3genE10ELNS1_11target_archE1200ELNS1_3gpuE4ELNS1_3repE0EEENS1_60segmented_radix_sort_warp_sort_medium_config_static_selectorELNS0_4arch9wavefront6targetE1EEEvSK_
		.amdhsa_group_segment_fixed_size 0
		.amdhsa_private_segment_fixed_size 0
		.amdhsa_kernarg_size 88
		.amdhsa_user_sgpr_count 6
		.amdhsa_user_sgpr_private_segment_buffer 1
		.amdhsa_user_sgpr_dispatch_ptr 0
		.amdhsa_user_sgpr_queue_ptr 0
		.amdhsa_user_sgpr_kernarg_segment_ptr 1
		.amdhsa_user_sgpr_dispatch_id 0
		.amdhsa_user_sgpr_flat_scratch_init 0
		.amdhsa_user_sgpr_kernarg_preload_length 0
		.amdhsa_user_sgpr_kernarg_preload_offset 0
		.amdhsa_user_sgpr_private_segment_size 0
		.amdhsa_uses_dynamic_stack 0
		.amdhsa_system_sgpr_private_segment_wavefront_offset 0
		.amdhsa_system_sgpr_workgroup_id_x 1
		.amdhsa_system_sgpr_workgroup_id_y 0
		.amdhsa_system_sgpr_workgroup_id_z 0
		.amdhsa_system_sgpr_workgroup_info 0
		.amdhsa_system_vgpr_workitem_id 0
		.amdhsa_next_free_vgpr 1
		.amdhsa_next_free_sgpr 0
		.amdhsa_accum_offset 4
		.amdhsa_reserve_vcc 0
		.amdhsa_reserve_flat_scratch 0
		.amdhsa_float_round_mode_32 0
		.amdhsa_float_round_mode_16_64 0
		.amdhsa_float_denorm_mode_32 3
		.amdhsa_float_denorm_mode_16_64 3
		.amdhsa_dx10_clamp 1
		.amdhsa_ieee_mode 1
		.amdhsa_fp16_overflow 0
		.amdhsa_tg_split 0
		.amdhsa_exception_fp_ieee_invalid_op 0
		.amdhsa_exception_fp_denorm_src 0
		.amdhsa_exception_fp_ieee_div_zero 0
		.amdhsa_exception_fp_ieee_overflow 0
		.amdhsa_exception_fp_ieee_underflow 0
		.amdhsa_exception_fp_ieee_inexact 0
		.amdhsa_exception_int_div_zero 0
	.end_amdhsa_kernel
	.section	.text._ZN7rocprim17ROCPRIM_400000_NS6detail17trampoline_kernelINS0_14default_configENS1_36segmented_radix_sort_config_selectorIdlEEZNS1_25segmented_radix_sort_implIS3_Lb1EPKdPdPKlPlN2at6native12_GLOBAL__N_18offset_tEEE10hipError_tPvRmT1_PNSt15iterator_traitsISK_E10value_typeET2_T3_PNSL_ISQ_E10value_typeET4_jRbjT5_SW_jjP12ihipStream_tbEUlT_E0_NS1_11comp_targetILNS1_3genE10ELNS1_11target_archE1200ELNS1_3gpuE4ELNS1_3repE0EEENS1_60segmented_radix_sort_warp_sort_medium_config_static_selectorELNS0_4arch9wavefront6targetE1EEEvSK_,"axG",@progbits,_ZN7rocprim17ROCPRIM_400000_NS6detail17trampoline_kernelINS0_14default_configENS1_36segmented_radix_sort_config_selectorIdlEEZNS1_25segmented_radix_sort_implIS3_Lb1EPKdPdPKlPlN2at6native12_GLOBAL__N_18offset_tEEE10hipError_tPvRmT1_PNSt15iterator_traitsISK_E10value_typeET2_T3_PNSL_ISQ_E10value_typeET4_jRbjT5_SW_jjP12ihipStream_tbEUlT_E0_NS1_11comp_targetILNS1_3genE10ELNS1_11target_archE1200ELNS1_3gpuE4ELNS1_3repE0EEENS1_60segmented_radix_sort_warp_sort_medium_config_static_selectorELNS0_4arch9wavefront6targetE1EEEvSK_,comdat
.Lfunc_end1133:
	.size	_ZN7rocprim17ROCPRIM_400000_NS6detail17trampoline_kernelINS0_14default_configENS1_36segmented_radix_sort_config_selectorIdlEEZNS1_25segmented_radix_sort_implIS3_Lb1EPKdPdPKlPlN2at6native12_GLOBAL__N_18offset_tEEE10hipError_tPvRmT1_PNSt15iterator_traitsISK_E10value_typeET2_T3_PNSL_ISQ_E10value_typeET4_jRbjT5_SW_jjP12ihipStream_tbEUlT_E0_NS1_11comp_targetILNS1_3genE10ELNS1_11target_archE1200ELNS1_3gpuE4ELNS1_3repE0EEENS1_60segmented_radix_sort_warp_sort_medium_config_static_selectorELNS0_4arch9wavefront6targetE1EEEvSK_, .Lfunc_end1133-_ZN7rocprim17ROCPRIM_400000_NS6detail17trampoline_kernelINS0_14default_configENS1_36segmented_radix_sort_config_selectorIdlEEZNS1_25segmented_radix_sort_implIS3_Lb1EPKdPdPKlPlN2at6native12_GLOBAL__N_18offset_tEEE10hipError_tPvRmT1_PNSt15iterator_traitsISK_E10value_typeET2_T3_PNSL_ISQ_E10value_typeET4_jRbjT5_SW_jjP12ihipStream_tbEUlT_E0_NS1_11comp_targetILNS1_3genE10ELNS1_11target_archE1200ELNS1_3gpuE4ELNS1_3repE0EEENS1_60segmented_radix_sort_warp_sort_medium_config_static_selectorELNS0_4arch9wavefront6targetE1EEEvSK_
                                        ; -- End function
	.section	.AMDGPU.csdata,"",@progbits
; Kernel info:
; codeLenInByte = 0
; NumSgprs: 4
; NumVgprs: 0
; NumAgprs: 0
; TotalNumVgprs: 0
; ScratchSize: 0
; MemoryBound: 0
; FloatMode: 240
; IeeeMode: 1
; LDSByteSize: 0 bytes/workgroup (compile time only)
; SGPRBlocks: 0
; VGPRBlocks: 0
; NumSGPRsForWavesPerEU: 4
; NumVGPRsForWavesPerEU: 1
; AccumOffset: 4
; Occupancy: 8
; WaveLimiterHint : 0
; COMPUTE_PGM_RSRC2:SCRATCH_EN: 0
; COMPUTE_PGM_RSRC2:USER_SGPR: 6
; COMPUTE_PGM_RSRC2:TRAP_HANDLER: 0
; COMPUTE_PGM_RSRC2:TGID_X_EN: 1
; COMPUTE_PGM_RSRC2:TGID_Y_EN: 0
; COMPUTE_PGM_RSRC2:TGID_Z_EN: 0
; COMPUTE_PGM_RSRC2:TIDIG_COMP_CNT: 0
; COMPUTE_PGM_RSRC3_GFX90A:ACCUM_OFFSET: 0
; COMPUTE_PGM_RSRC3_GFX90A:TG_SPLIT: 0
	.section	.text._ZN7rocprim17ROCPRIM_400000_NS6detail17trampoline_kernelINS0_14default_configENS1_36segmented_radix_sort_config_selectorIdlEEZNS1_25segmented_radix_sort_implIS3_Lb1EPKdPdPKlPlN2at6native12_GLOBAL__N_18offset_tEEE10hipError_tPvRmT1_PNSt15iterator_traitsISK_E10value_typeET2_T3_PNSL_ISQ_E10value_typeET4_jRbjT5_SW_jjP12ihipStream_tbEUlT_E0_NS1_11comp_targetILNS1_3genE9ELNS1_11target_archE1100ELNS1_3gpuE3ELNS1_3repE0EEENS1_60segmented_radix_sort_warp_sort_medium_config_static_selectorELNS0_4arch9wavefront6targetE1EEEvSK_,"axG",@progbits,_ZN7rocprim17ROCPRIM_400000_NS6detail17trampoline_kernelINS0_14default_configENS1_36segmented_radix_sort_config_selectorIdlEEZNS1_25segmented_radix_sort_implIS3_Lb1EPKdPdPKlPlN2at6native12_GLOBAL__N_18offset_tEEE10hipError_tPvRmT1_PNSt15iterator_traitsISK_E10value_typeET2_T3_PNSL_ISQ_E10value_typeET4_jRbjT5_SW_jjP12ihipStream_tbEUlT_E0_NS1_11comp_targetILNS1_3genE9ELNS1_11target_archE1100ELNS1_3gpuE3ELNS1_3repE0EEENS1_60segmented_radix_sort_warp_sort_medium_config_static_selectorELNS0_4arch9wavefront6targetE1EEEvSK_,comdat
	.globl	_ZN7rocprim17ROCPRIM_400000_NS6detail17trampoline_kernelINS0_14default_configENS1_36segmented_radix_sort_config_selectorIdlEEZNS1_25segmented_radix_sort_implIS3_Lb1EPKdPdPKlPlN2at6native12_GLOBAL__N_18offset_tEEE10hipError_tPvRmT1_PNSt15iterator_traitsISK_E10value_typeET2_T3_PNSL_ISQ_E10value_typeET4_jRbjT5_SW_jjP12ihipStream_tbEUlT_E0_NS1_11comp_targetILNS1_3genE9ELNS1_11target_archE1100ELNS1_3gpuE3ELNS1_3repE0EEENS1_60segmented_radix_sort_warp_sort_medium_config_static_selectorELNS0_4arch9wavefront6targetE1EEEvSK_ ; -- Begin function _ZN7rocprim17ROCPRIM_400000_NS6detail17trampoline_kernelINS0_14default_configENS1_36segmented_radix_sort_config_selectorIdlEEZNS1_25segmented_radix_sort_implIS3_Lb1EPKdPdPKlPlN2at6native12_GLOBAL__N_18offset_tEEE10hipError_tPvRmT1_PNSt15iterator_traitsISK_E10value_typeET2_T3_PNSL_ISQ_E10value_typeET4_jRbjT5_SW_jjP12ihipStream_tbEUlT_E0_NS1_11comp_targetILNS1_3genE9ELNS1_11target_archE1100ELNS1_3gpuE3ELNS1_3repE0EEENS1_60segmented_radix_sort_warp_sort_medium_config_static_selectorELNS0_4arch9wavefront6targetE1EEEvSK_
	.p2align	8
	.type	_ZN7rocprim17ROCPRIM_400000_NS6detail17trampoline_kernelINS0_14default_configENS1_36segmented_radix_sort_config_selectorIdlEEZNS1_25segmented_radix_sort_implIS3_Lb1EPKdPdPKlPlN2at6native12_GLOBAL__N_18offset_tEEE10hipError_tPvRmT1_PNSt15iterator_traitsISK_E10value_typeET2_T3_PNSL_ISQ_E10value_typeET4_jRbjT5_SW_jjP12ihipStream_tbEUlT_E0_NS1_11comp_targetILNS1_3genE9ELNS1_11target_archE1100ELNS1_3gpuE3ELNS1_3repE0EEENS1_60segmented_radix_sort_warp_sort_medium_config_static_selectorELNS0_4arch9wavefront6targetE1EEEvSK_,@function
_ZN7rocprim17ROCPRIM_400000_NS6detail17trampoline_kernelINS0_14default_configENS1_36segmented_radix_sort_config_selectorIdlEEZNS1_25segmented_radix_sort_implIS3_Lb1EPKdPdPKlPlN2at6native12_GLOBAL__N_18offset_tEEE10hipError_tPvRmT1_PNSt15iterator_traitsISK_E10value_typeET2_T3_PNSL_ISQ_E10value_typeET4_jRbjT5_SW_jjP12ihipStream_tbEUlT_E0_NS1_11comp_targetILNS1_3genE9ELNS1_11target_archE1100ELNS1_3gpuE3ELNS1_3repE0EEENS1_60segmented_radix_sort_warp_sort_medium_config_static_selectorELNS0_4arch9wavefront6targetE1EEEvSK_: ; @_ZN7rocprim17ROCPRIM_400000_NS6detail17trampoline_kernelINS0_14default_configENS1_36segmented_radix_sort_config_selectorIdlEEZNS1_25segmented_radix_sort_implIS3_Lb1EPKdPdPKlPlN2at6native12_GLOBAL__N_18offset_tEEE10hipError_tPvRmT1_PNSt15iterator_traitsISK_E10value_typeET2_T3_PNSL_ISQ_E10value_typeET4_jRbjT5_SW_jjP12ihipStream_tbEUlT_E0_NS1_11comp_targetILNS1_3genE9ELNS1_11target_archE1100ELNS1_3gpuE3ELNS1_3repE0EEENS1_60segmented_radix_sort_warp_sort_medium_config_static_selectorELNS0_4arch9wavefront6targetE1EEEvSK_
; %bb.0:
	.section	.rodata,"a",@progbits
	.p2align	6, 0x0
	.amdhsa_kernel _ZN7rocprim17ROCPRIM_400000_NS6detail17trampoline_kernelINS0_14default_configENS1_36segmented_radix_sort_config_selectorIdlEEZNS1_25segmented_radix_sort_implIS3_Lb1EPKdPdPKlPlN2at6native12_GLOBAL__N_18offset_tEEE10hipError_tPvRmT1_PNSt15iterator_traitsISK_E10value_typeET2_T3_PNSL_ISQ_E10value_typeET4_jRbjT5_SW_jjP12ihipStream_tbEUlT_E0_NS1_11comp_targetILNS1_3genE9ELNS1_11target_archE1100ELNS1_3gpuE3ELNS1_3repE0EEENS1_60segmented_radix_sort_warp_sort_medium_config_static_selectorELNS0_4arch9wavefront6targetE1EEEvSK_
		.amdhsa_group_segment_fixed_size 0
		.amdhsa_private_segment_fixed_size 0
		.amdhsa_kernarg_size 88
		.amdhsa_user_sgpr_count 6
		.amdhsa_user_sgpr_private_segment_buffer 1
		.amdhsa_user_sgpr_dispatch_ptr 0
		.amdhsa_user_sgpr_queue_ptr 0
		.amdhsa_user_sgpr_kernarg_segment_ptr 1
		.amdhsa_user_sgpr_dispatch_id 0
		.amdhsa_user_sgpr_flat_scratch_init 0
		.amdhsa_user_sgpr_kernarg_preload_length 0
		.amdhsa_user_sgpr_kernarg_preload_offset 0
		.amdhsa_user_sgpr_private_segment_size 0
		.amdhsa_uses_dynamic_stack 0
		.amdhsa_system_sgpr_private_segment_wavefront_offset 0
		.amdhsa_system_sgpr_workgroup_id_x 1
		.amdhsa_system_sgpr_workgroup_id_y 0
		.amdhsa_system_sgpr_workgroup_id_z 0
		.amdhsa_system_sgpr_workgroup_info 0
		.amdhsa_system_vgpr_workitem_id 0
		.amdhsa_next_free_vgpr 1
		.amdhsa_next_free_sgpr 0
		.amdhsa_accum_offset 4
		.amdhsa_reserve_vcc 0
		.amdhsa_reserve_flat_scratch 0
		.amdhsa_float_round_mode_32 0
		.amdhsa_float_round_mode_16_64 0
		.amdhsa_float_denorm_mode_32 3
		.amdhsa_float_denorm_mode_16_64 3
		.amdhsa_dx10_clamp 1
		.amdhsa_ieee_mode 1
		.amdhsa_fp16_overflow 0
		.amdhsa_tg_split 0
		.amdhsa_exception_fp_ieee_invalid_op 0
		.amdhsa_exception_fp_denorm_src 0
		.amdhsa_exception_fp_ieee_div_zero 0
		.amdhsa_exception_fp_ieee_overflow 0
		.amdhsa_exception_fp_ieee_underflow 0
		.amdhsa_exception_fp_ieee_inexact 0
		.amdhsa_exception_int_div_zero 0
	.end_amdhsa_kernel
	.section	.text._ZN7rocprim17ROCPRIM_400000_NS6detail17trampoline_kernelINS0_14default_configENS1_36segmented_radix_sort_config_selectorIdlEEZNS1_25segmented_radix_sort_implIS3_Lb1EPKdPdPKlPlN2at6native12_GLOBAL__N_18offset_tEEE10hipError_tPvRmT1_PNSt15iterator_traitsISK_E10value_typeET2_T3_PNSL_ISQ_E10value_typeET4_jRbjT5_SW_jjP12ihipStream_tbEUlT_E0_NS1_11comp_targetILNS1_3genE9ELNS1_11target_archE1100ELNS1_3gpuE3ELNS1_3repE0EEENS1_60segmented_radix_sort_warp_sort_medium_config_static_selectorELNS0_4arch9wavefront6targetE1EEEvSK_,"axG",@progbits,_ZN7rocprim17ROCPRIM_400000_NS6detail17trampoline_kernelINS0_14default_configENS1_36segmented_radix_sort_config_selectorIdlEEZNS1_25segmented_radix_sort_implIS3_Lb1EPKdPdPKlPlN2at6native12_GLOBAL__N_18offset_tEEE10hipError_tPvRmT1_PNSt15iterator_traitsISK_E10value_typeET2_T3_PNSL_ISQ_E10value_typeET4_jRbjT5_SW_jjP12ihipStream_tbEUlT_E0_NS1_11comp_targetILNS1_3genE9ELNS1_11target_archE1100ELNS1_3gpuE3ELNS1_3repE0EEENS1_60segmented_radix_sort_warp_sort_medium_config_static_selectorELNS0_4arch9wavefront6targetE1EEEvSK_,comdat
.Lfunc_end1134:
	.size	_ZN7rocprim17ROCPRIM_400000_NS6detail17trampoline_kernelINS0_14default_configENS1_36segmented_radix_sort_config_selectorIdlEEZNS1_25segmented_radix_sort_implIS3_Lb1EPKdPdPKlPlN2at6native12_GLOBAL__N_18offset_tEEE10hipError_tPvRmT1_PNSt15iterator_traitsISK_E10value_typeET2_T3_PNSL_ISQ_E10value_typeET4_jRbjT5_SW_jjP12ihipStream_tbEUlT_E0_NS1_11comp_targetILNS1_3genE9ELNS1_11target_archE1100ELNS1_3gpuE3ELNS1_3repE0EEENS1_60segmented_radix_sort_warp_sort_medium_config_static_selectorELNS0_4arch9wavefront6targetE1EEEvSK_, .Lfunc_end1134-_ZN7rocprim17ROCPRIM_400000_NS6detail17trampoline_kernelINS0_14default_configENS1_36segmented_radix_sort_config_selectorIdlEEZNS1_25segmented_radix_sort_implIS3_Lb1EPKdPdPKlPlN2at6native12_GLOBAL__N_18offset_tEEE10hipError_tPvRmT1_PNSt15iterator_traitsISK_E10value_typeET2_T3_PNSL_ISQ_E10value_typeET4_jRbjT5_SW_jjP12ihipStream_tbEUlT_E0_NS1_11comp_targetILNS1_3genE9ELNS1_11target_archE1100ELNS1_3gpuE3ELNS1_3repE0EEENS1_60segmented_radix_sort_warp_sort_medium_config_static_selectorELNS0_4arch9wavefront6targetE1EEEvSK_
                                        ; -- End function
	.section	.AMDGPU.csdata,"",@progbits
; Kernel info:
; codeLenInByte = 0
; NumSgprs: 4
; NumVgprs: 0
; NumAgprs: 0
; TotalNumVgprs: 0
; ScratchSize: 0
; MemoryBound: 0
; FloatMode: 240
; IeeeMode: 1
; LDSByteSize: 0 bytes/workgroup (compile time only)
; SGPRBlocks: 0
; VGPRBlocks: 0
; NumSGPRsForWavesPerEU: 4
; NumVGPRsForWavesPerEU: 1
; AccumOffset: 4
; Occupancy: 8
; WaveLimiterHint : 0
; COMPUTE_PGM_RSRC2:SCRATCH_EN: 0
; COMPUTE_PGM_RSRC2:USER_SGPR: 6
; COMPUTE_PGM_RSRC2:TRAP_HANDLER: 0
; COMPUTE_PGM_RSRC2:TGID_X_EN: 1
; COMPUTE_PGM_RSRC2:TGID_Y_EN: 0
; COMPUTE_PGM_RSRC2:TGID_Z_EN: 0
; COMPUTE_PGM_RSRC2:TIDIG_COMP_CNT: 0
; COMPUTE_PGM_RSRC3_GFX90A:ACCUM_OFFSET: 0
; COMPUTE_PGM_RSRC3_GFX90A:TG_SPLIT: 0
	.section	.text._ZN7rocprim17ROCPRIM_400000_NS6detail17trampoline_kernelINS0_14default_configENS1_36segmented_radix_sort_config_selectorIdlEEZNS1_25segmented_radix_sort_implIS3_Lb1EPKdPdPKlPlN2at6native12_GLOBAL__N_18offset_tEEE10hipError_tPvRmT1_PNSt15iterator_traitsISK_E10value_typeET2_T3_PNSL_ISQ_E10value_typeET4_jRbjT5_SW_jjP12ihipStream_tbEUlT_E0_NS1_11comp_targetILNS1_3genE8ELNS1_11target_archE1030ELNS1_3gpuE2ELNS1_3repE0EEENS1_60segmented_radix_sort_warp_sort_medium_config_static_selectorELNS0_4arch9wavefront6targetE1EEEvSK_,"axG",@progbits,_ZN7rocprim17ROCPRIM_400000_NS6detail17trampoline_kernelINS0_14default_configENS1_36segmented_radix_sort_config_selectorIdlEEZNS1_25segmented_radix_sort_implIS3_Lb1EPKdPdPKlPlN2at6native12_GLOBAL__N_18offset_tEEE10hipError_tPvRmT1_PNSt15iterator_traitsISK_E10value_typeET2_T3_PNSL_ISQ_E10value_typeET4_jRbjT5_SW_jjP12ihipStream_tbEUlT_E0_NS1_11comp_targetILNS1_3genE8ELNS1_11target_archE1030ELNS1_3gpuE2ELNS1_3repE0EEENS1_60segmented_radix_sort_warp_sort_medium_config_static_selectorELNS0_4arch9wavefront6targetE1EEEvSK_,comdat
	.globl	_ZN7rocprim17ROCPRIM_400000_NS6detail17trampoline_kernelINS0_14default_configENS1_36segmented_radix_sort_config_selectorIdlEEZNS1_25segmented_radix_sort_implIS3_Lb1EPKdPdPKlPlN2at6native12_GLOBAL__N_18offset_tEEE10hipError_tPvRmT1_PNSt15iterator_traitsISK_E10value_typeET2_T3_PNSL_ISQ_E10value_typeET4_jRbjT5_SW_jjP12ihipStream_tbEUlT_E0_NS1_11comp_targetILNS1_3genE8ELNS1_11target_archE1030ELNS1_3gpuE2ELNS1_3repE0EEENS1_60segmented_radix_sort_warp_sort_medium_config_static_selectorELNS0_4arch9wavefront6targetE1EEEvSK_ ; -- Begin function _ZN7rocprim17ROCPRIM_400000_NS6detail17trampoline_kernelINS0_14default_configENS1_36segmented_radix_sort_config_selectorIdlEEZNS1_25segmented_radix_sort_implIS3_Lb1EPKdPdPKlPlN2at6native12_GLOBAL__N_18offset_tEEE10hipError_tPvRmT1_PNSt15iterator_traitsISK_E10value_typeET2_T3_PNSL_ISQ_E10value_typeET4_jRbjT5_SW_jjP12ihipStream_tbEUlT_E0_NS1_11comp_targetILNS1_3genE8ELNS1_11target_archE1030ELNS1_3gpuE2ELNS1_3repE0EEENS1_60segmented_radix_sort_warp_sort_medium_config_static_selectorELNS0_4arch9wavefront6targetE1EEEvSK_
	.p2align	8
	.type	_ZN7rocprim17ROCPRIM_400000_NS6detail17trampoline_kernelINS0_14default_configENS1_36segmented_radix_sort_config_selectorIdlEEZNS1_25segmented_radix_sort_implIS3_Lb1EPKdPdPKlPlN2at6native12_GLOBAL__N_18offset_tEEE10hipError_tPvRmT1_PNSt15iterator_traitsISK_E10value_typeET2_T3_PNSL_ISQ_E10value_typeET4_jRbjT5_SW_jjP12ihipStream_tbEUlT_E0_NS1_11comp_targetILNS1_3genE8ELNS1_11target_archE1030ELNS1_3gpuE2ELNS1_3repE0EEENS1_60segmented_radix_sort_warp_sort_medium_config_static_selectorELNS0_4arch9wavefront6targetE1EEEvSK_,@function
_ZN7rocprim17ROCPRIM_400000_NS6detail17trampoline_kernelINS0_14default_configENS1_36segmented_radix_sort_config_selectorIdlEEZNS1_25segmented_radix_sort_implIS3_Lb1EPKdPdPKlPlN2at6native12_GLOBAL__N_18offset_tEEE10hipError_tPvRmT1_PNSt15iterator_traitsISK_E10value_typeET2_T3_PNSL_ISQ_E10value_typeET4_jRbjT5_SW_jjP12ihipStream_tbEUlT_E0_NS1_11comp_targetILNS1_3genE8ELNS1_11target_archE1030ELNS1_3gpuE2ELNS1_3repE0EEENS1_60segmented_radix_sort_warp_sort_medium_config_static_selectorELNS0_4arch9wavefront6targetE1EEEvSK_: ; @_ZN7rocprim17ROCPRIM_400000_NS6detail17trampoline_kernelINS0_14default_configENS1_36segmented_radix_sort_config_selectorIdlEEZNS1_25segmented_radix_sort_implIS3_Lb1EPKdPdPKlPlN2at6native12_GLOBAL__N_18offset_tEEE10hipError_tPvRmT1_PNSt15iterator_traitsISK_E10value_typeET2_T3_PNSL_ISQ_E10value_typeET4_jRbjT5_SW_jjP12ihipStream_tbEUlT_E0_NS1_11comp_targetILNS1_3genE8ELNS1_11target_archE1030ELNS1_3gpuE2ELNS1_3repE0EEENS1_60segmented_radix_sort_warp_sort_medium_config_static_selectorELNS0_4arch9wavefront6targetE1EEEvSK_
; %bb.0:
	.section	.rodata,"a",@progbits
	.p2align	6, 0x0
	.amdhsa_kernel _ZN7rocprim17ROCPRIM_400000_NS6detail17trampoline_kernelINS0_14default_configENS1_36segmented_radix_sort_config_selectorIdlEEZNS1_25segmented_radix_sort_implIS3_Lb1EPKdPdPKlPlN2at6native12_GLOBAL__N_18offset_tEEE10hipError_tPvRmT1_PNSt15iterator_traitsISK_E10value_typeET2_T3_PNSL_ISQ_E10value_typeET4_jRbjT5_SW_jjP12ihipStream_tbEUlT_E0_NS1_11comp_targetILNS1_3genE8ELNS1_11target_archE1030ELNS1_3gpuE2ELNS1_3repE0EEENS1_60segmented_radix_sort_warp_sort_medium_config_static_selectorELNS0_4arch9wavefront6targetE1EEEvSK_
		.amdhsa_group_segment_fixed_size 0
		.amdhsa_private_segment_fixed_size 0
		.amdhsa_kernarg_size 88
		.amdhsa_user_sgpr_count 6
		.amdhsa_user_sgpr_private_segment_buffer 1
		.amdhsa_user_sgpr_dispatch_ptr 0
		.amdhsa_user_sgpr_queue_ptr 0
		.amdhsa_user_sgpr_kernarg_segment_ptr 1
		.amdhsa_user_sgpr_dispatch_id 0
		.amdhsa_user_sgpr_flat_scratch_init 0
		.amdhsa_user_sgpr_kernarg_preload_length 0
		.amdhsa_user_sgpr_kernarg_preload_offset 0
		.amdhsa_user_sgpr_private_segment_size 0
		.amdhsa_uses_dynamic_stack 0
		.amdhsa_system_sgpr_private_segment_wavefront_offset 0
		.amdhsa_system_sgpr_workgroup_id_x 1
		.amdhsa_system_sgpr_workgroup_id_y 0
		.amdhsa_system_sgpr_workgroup_id_z 0
		.amdhsa_system_sgpr_workgroup_info 0
		.amdhsa_system_vgpr_workitem_id 0
		.amdhsa_next_free_vgpr 1
		.amdhsa_next_free_sgpr 0
		.amdhsa_accum_offset 4
		.amdhsa_reserve_vcc 0
		.amdhsa_reserve_flat_scratch 0
		.amdhsa_float_round_mode_32 0
		.amdhsa_float_round_mode_16_64 0
		.amdhsa_float_denorm_mode_32 3
		.amdhsa_float_denorm_mode_16_64 3
		.amdhsa_dx10_clamp 1
		.amdhsa_ieee_mode 1
		.amdhsa_fp16_overflow 0
		.amdhsa_tg_split 0
		.amdhsa_exception_fp_ieee_invalid_op 0
		.amdhsa_exception_fp_denorm_src 0
		.amdhsa_exception_fp_ieee_div_zero 0
		.amdhsa_exception_fp_ieee_overflow 0
		.amdhsa_exception_fp_ieee_underflow 0
		.amdhsa_exception_fp_ieee_inexact 0
		.amdhsa_exception_int_div_zero 0
	.end_amdhsa_kernel
	.section	.text._ZN7rocprim17ROCPRIM_400000_NS6detail17trampoline_kernelINS0_14default_configENS1_36segmented_radix_sort_config_selectorIdlEEZNS1_25segmented_radix_sort_implIS3_Lb1EPKdPdPKlPlN2at6native12_GLOBAL__N_18offset_tEEE10hipError_tPvRmT1_PNSt15iterator_traitsISK_E10value_typeET2_T3_PNSL_ISQ_E10value_typeET4_jRbjT5_SW_jjP12ihipStream_tbEUlT_E0_NS1_11comp_targetILNS1_3genE8ELNS1_11target_archE1030ELNS1_3gpuE2ELNS1_3repE0EEENS1_60segmented_radix_sort_warp_sort_medium_config_static_selectorELNS0_4arch9wavefront6targetE1EEEvSK_,"axG",@progbits,_ZN7rocprim17ROCPRIM_400000_NS6detail17trampoline_kernelINS0_14default_configENS1_36segmented_radix_sort_config_selectorIdlEEZNS1_25segmented_radix_sort_implIS3_Lb1EPKdPdPKlPlN2at6native12_GLOBAL__N_18offset_tEEE10hipError_tPvRmT1_PNSt15iterator_traitsISK_E10value_typeET2_T3_PNSL_ISQ_E10value_typeET4_jRbjT5_SW_jjP12ihipStream_tbEUlT_E0_NS1_11comp_targetILNS1_3genE8ELNS1_11target_archE1030ELNS1_3gpuE2ELNS1_3repE0EEENS1_60segmented_radix_sort_warp_sort_medium_config_static_selectorELNS0_4arch9wavefront6targetE1EEEvSK_,comdat
.Lfunc_end1135:
	.size	_ZN7rocprim17ROCPRIM_400000_NS6detail17trampoline_kernelINS0_14default_configENS1_36segmented_radix_sort_config_selectorIdlEEZNS1_25segmented_radix_sort_implIS3_Lb1EPKdPdPKlPlN2at6native12_GLOBAL__N_18offset_tEEE10hipError_tPvRmT1_PNSt15iterator_traitsISK_E10value_typeET2_T3_PNSL_ISQ_E10value_typeET4_jRbjT5_SW_jjP12ihipStream_tbEUlT_E0_NS1_11comp_targetILNS1_3genE8ELNS1_11target_archE1030ELNS1_3gpuE2ELNS1_3repE0EEENS1_60segmented_radix_sort_warp_sort_medium_config_static_selectorELNS0_4arch9wavefront6targetE1EEEvSK_, .Lfunc_end1135-_ZN7rocprim17ROCPRIM_400000_NS6detail17trampoline_kernelINS0_14default_configENS1_36segmented_radix_sort_config_selectorIdlEEZNS1_25segmented_radix_sort_implIS3_Lb1EPKdPdPKlPlN2at6native12_GLOBAL__N_18offset_tEEE10hipError_tPvRmT1_PNSt15iterator_traitsISK_E10value_typeET2_T3_PNSL_ISQ_E10value_typeET4_jRbjT5_SW_jjP12ihipStream_tbEUlT_E0_NS1_11comp_targetILNS1_3genE8ELNS1_11target_archE1030ELNS1_3gpuE2ELNS1_3repE0EEENS1_60segmented_radix_sort_warp_sort_medium_config_static_selectorELNS0_4arch9wavefront6targetE1EEEvSK_
                                        ; -- End function
	.section	.AMDGPU.csdata,"",@progbits
; Kernel info:
; codeLenInByte = 0
; NumSgprs: 4
; NumVgprs: 0
; NumAgprs: 0
; TotalNumVgprs: 0
; ScratchSize: 0
; MemoryBound: 0
; FloatMode: 240
; IeeeMode: 1
; LDSByteSize: 0 bytes/workgroup (compile time only)
; SGPRBlocks: 0
; VGPRBlocks: 0
; NumSGPRsForWavesPerEU: 4
; NumVGPRsForWavesPerEU: 1
; AccumOffset: 4
; Occupancy: 8
; WaveLimiterHint : 0
; COMPUTE_PGM_RSRC2:SCRATCH_EN: 0
; COMPUTE_PGM_RSRC2:USER_SGPR: 6
; COMPUTE_PGM_RSRC2:TRAP_HANDLER: 0
; COMPUTE_PGM_RSRC2:TGID_X_EN: 1
; COMPUTE_PGM_RSRC2:TGID_Y_EN: 0
; COMPUTE_PGM_RSRC2:TGID_Z_EN: 0
; COMPUTE_PGM_RSRC2:TIDIG_COMP_CNT: 0
; COMPUTE_PGM_RSRC3_GFX90A:ACCUM_OFFSET: 0
; COMPUTE_PGM_RSRC3_GFX90A:TG_SPLIT: 0
	.section	.text._ZN7rocprim17ROCPRIM_400000_NS6detail17trampoline_kernelINS0_14default_configENS1_36segmented_radix_sort_config_selectorIdlEEZNS1_25segmented_radix_sort_implIS3_Lb1EPKdPdPKlPlN2at6native12_GLOBAL__N_18offset_tEEE10hipError_tPvRmT1_PNSt15iterator_traitsISK_E10value_typeET2_T3_PNSL_ISQ_E10value_typeET4_jRbjT5_SW_jjP12ihipStream_tbEUlT_E1_NS1_11comp_targetILNS1_3genE0ELNS1_11target_archE4294967295ELNS1_3gpuE0ELNS1_3repE0EEENS1_59segmented_radix_sort_warp_sort_small_config_static_selectorELNS0_4arch9wavefront6targetE1EEEvSK_,"axG",@progbits,_ZN7rocprim17ROCPRIM_400000_NS6detail17trampoline_kernelINS0_14default_configENS1_36segmented_radix_sort_config_selectorIdlEEZNS1_25segmented_radix_sort_implIS3_Lb1EPKdPdPKlPlN2at6native12_GLOBAL__N_18offset_tEEE10hipError_tPvRmT1_PNSt15iterator_traitsISK_E10value_typeET2_T3_PNSL_ISQ_E10value_typeET4_jRbjT5_SW_jjP12ihipStream_tbEUlT_E1_NS1_11comp_targetILNS1_3genE0ELNS1_11target_archE4294967295ELNS1_3gpuE0ELNS1_3repE0EEENS1_59segmented_radix_sort_warp_sort_small_config_static_selectorELNS0_4arch9wavefront6targetE1EEEvSK_,comdat
	.globl	_ZN7rocprim17ROCPRIM_400000_NS6detail17trampoline_kernelINS0_14default_configENS1_36segmented_radix_sort_config_selectorIdlEEZNS1_25segmented_radix_sort_implIS3_Lb1EPKdPdPKlPlN2at6native12_GLOBAL__N_18offset_tEEE10hipError_tPvRmT1_PNSt15iterator_traitsISK_E10value_typeET2_T3_PNSL_ISQ_E10value_typeET4_jRbjT5_SW_jjP12ihipStream_tbEUlT_E1_NS1_11comp_targetILNS1_3genE0ELNS1_11target_archE4294967295ELNS1_3gpuE0ELNS1_3repE0EEENS1_59segmented_radix_sort_warp_sort_small_config_static_selectorELNS0_4arch9wavefront6targetE1EEEvSK_ ; -- Begin function _ZN7rocprim17ROCPRIM_400000_NS6detail17trampoline_kernelINS0_14default_configENS1_36segmented_radix_sort_config_selectorIdlEEZNS1_25segmented_radix_sort_implIS3_Lb1EPKdPdPKlPlN2at6native12_GLOBAL__N_18offset_tEEE10hipError_tPvRmT1_PNSt15iterator_traitsISK_E10value_typeET2_T3_PNSL_ISQ_E10value_typeET4_jRbjT5_SW_jjP12ihipStream_tbEUlT_E1_NS1_11comp_targetILNS1_3genE0ELNS1_11target_archE4294967295ELNS1_3gpuE0ELNS1_3repE0EEENS1_59segmented_radix_sort_warp_sort_small_config_static_selectorELNS0_4arch9wavefront6targetE1EEEvSK_
	.p2align	8
	.type	_ZN7rocprim17ROCPRIM_400000_NS6detail17trampoline_kernelINS0_14default_configENS1_36segmented_radix_sort_config_selectorIdlEEZNS1_25segmented_radix_sort_implIS3_Lb1EPKdPdPKlPlN2at6native12_GLOBAL__N_18offset_tEEE10hipError_tPvRmT1_PNSt15iterator_traitsISK_E10value_typeET2_T3_PNSL_ISQ_E10value_typeET4_jRbjT5_SW_jjP12ihipStream_tbEUlT_E1_NS1_11comp_targetILNS1_3genE0ELNS1_11target_archE4294967295ELNS1_3gpuE0ELNS1_3repE0EEENS1_59segmented_radix_sort_warp_sort_small_config_static_selectorELNS0_4arch9wavefront6targetE1EEEvSK_,@function
_ZN7rocprim17ROCPRIM_400000_NS6detail17trampoline_kernelINS0_14default_configENS1_36segmented_radix_sort_config_selectorIdlEEZNS1_25segmented_radix_sort_implIS3_Lb1EPKdPdPKlPlN2at6native12_GLOBAL__N_18offset_tEEE10hipError_tPvRmT1_PNSt15iterator_traitsISK_E10value_typeET2_T3_PNSL_ISQ_E10value_typeET4_jRbjT5_SW_jjP12ihipStream_tbEUlT_E1_NS1_11comp_targetILNS1_3genE0ELNS1_11target_archE4294967295ELNS1_3gpuE0ELNS1_3repE0EEENS1_59segmented_radix_sort_warp_sort_small_config_static_selectorELNS0_4arch9wavefront6targetE1EEEvSK_: ; @_ZN7rocprim17ROCPRIM_400000_NS6detail17trampoline_kernelINS0_14default_configENS1_36segmented_radix_sort_config_selectorIdlEEZNS1_25segmented_radix_sort_implIS3_Lb1EPKdPdPKlPlN2at6native12_GLOBAL__N_18offset_tEEE10hipError_tPvRmT1_PNSt15iterator_traitsISK_E10value_typeET2_T3_PNSL_ISQ_E10value_typeET4_jRbjT5_SW_jjP12ihipStream_tbEUlT_E1_NS1_11comp_targetILNS1_3genE0ELNS1_11target_archE4294967295ELNS1_3gpuE0ELNS1_3repE0EEENS1_59segmented_radix_sort_warp_sort_small_config_static_selectorELNS0_4arch9wavefront6targetE1EEEvSK_
; %bb.0:
	.section	.rodata,"a",@progbits
	.p2align	6, 0x0
	.amdhsa_kernel _ZN7rocprim17ROCPRIM_400000_NS6detail17trampoline_kernelINS0_14default_configENS1_36segmented_radix_sort_config_selectorIdlEEZNS1_25segmented_radix_sort_implIS3_Lb1EPKdPdPKlPlN2at6native12_GLOBAL__N_18offset_tEEE10hipError_tPvRmT1_PNSt15iterator_traitsISK_E10value_typeET2_T3_PNSL_ISQ_E10value_typeET4_jRbjT5_SW_jjP12ihipStream_tbEUlT_E1_NS1_11comp_targetILNS1_3genE0ELNS1_11target_archE4294967295ELNS1_3gpuE0ELNS1_3repE0EEENS1_59segmented_radix_sort_warp_sort_small_config_static_selectorELNS0_4arch9wavefront6targetE1EEEvSK_
		.amdhsa_group_segment_fixed_size 0
		.amdhsa_private_segment_fixed_size 0
		.amdhsa_kernarg_size 88
		.amdhsa_user_sgpr_count 6
		.amdhsa_user_sgpr_private_segment_buffer 1
		.amdhsa_user_sgpr_dispatch_ptr 0
		.amdhsa_user_sgpr_queue_ptr 0
		.amdhsa_user_sgpr_kernarg_segment_ptr 1
		.amdhsa_user_sgpr_dispatch_id 0
		.amdhsa_user_sgpr_flat_scratch_init 0
		.amdhsa_user_sgpr_kernarg_preload_length 0
		.amdhsa_user_sgpr_kernarg_preload_offset 0
		.amdhsa_user_sgpr_private_segment_size 0
		.amdhsa_uses_dynamic_stack 0
		.amdhsa_system_sgpr_private_segment_wavefront_offset 0
		.amdhsa_system_sgpr_workgroup_id_x 1
		.amdhsa_system_sgpr_workgroup_id_y 0
		.amdhsa_system_sgpr_workgroup_id_z 0
		.amdhsa_system_sgpr_workgroup_info 0
		.amdhsa_system_vgpr_workitem_id 0
		.amdhsa_next_free_vgpr 1
		.amdhsa_next_free_sgpr 0
		.amdhsa_accum_offset 4
		.amdhsa_reserve_vcc 0
		.amdhsa_reserve_flat_scratch 0
		.amdhsa_float_round_mode_32 0
		.amdhsa_float_round_mode_16_64 0
		.amdhsa_float_denorm_mode_32 3
		.amdhsa_float_denorm_mode_16_64 3
		.amdhsa_dx10_clamp 1
		.amdhsa_ieee_mode 1
		.amdhsa_fp16_overflow 0
		.amdhsa_tg_split 0
		.amdhsa_exception_fp_ieee_invalid_op 0
		.amdhsa_exception_fp_denorm_src 0
		.amdhsa_exception_fp_ieee_div_zero 0
		.amdhsa_exception_fp_ieee_overflow 0
		.amdhsa_exception_fp_ieee_underflow 0
		.amdhsa_exception_fp_ieee_inexact 0
		.amdhsa_exception_int_div_zero 0
	.end_amdhsa_kernel
	.section	.text._ZN7rocprim17ROCPRIM_400000_NS6detail17trampoline_kernelINS0_14default_configENS1_36segmented_radix_sort_config_selectorIdlEEZNS1_25segmented_radix_sort_implIS3_Lb1EPKdPdPKlPlN2at6native12_GLOBAL__N_18offset_tEEE10hipError_tPvRmT1_PNSt15iterator_traitsISK_E10value_typeET2_T3_PNSL_ISQ_E10value_typeET4_jRbjT5_SW_jjP12ihipStream_tbEUlT_E1_NS1_11comp_targetILNS1_3genE0ELNS1_11target_archE4294967295ELNS1_3gpuE0ELNS1_3repE0EEENS1_59segmented_radix_sort_warp_sort_small_config_static_selectorELNS0_4arch9wavefront6targetE1EEEvSK_,"axG",@progbits,_ZN7rocprim17ROCPRIM_400000_NS6detail17trampoline_kernelINS0_14default_configENS1_36segmented_radix_sort_config_selectorIdlEEZNS1_25segmented_radix_sort_implIS3_Lb1EPKdPdPKlPlN2at6native12_GLOBAL__N_18offset_tEEE10hipError_tPvRmT1_PNSt15iterator_traitsISK_E10value_typeET2_T3_PNSL_ISQ_E10value_typeET4_jRbjT5_SW_jjP12ihipStream_tbEUlT_E1_NS1_11comp_targetILNS1_3genE0ELNS1_11target_archE4294967295ELNS1_3gpuE0ELNS1_3repE0EEENS1_59segmented_radix_sort_warp_sort_small_config_static_selectorELNS0_4arch9wavefront6targetE1EEEvSK_,comdat
.Lfunc_end1136:
	.size	_ZN7rocprim17ROCPRIM_400000_NS6detail17trampoline_kernelINS0_14default_configENS1_36segmented_radix_sort_config_selectorIdlEEZNS1_25segmented_radix_sort_implIS3_Lb1EPKdPdPKlPlN2at6native12_GLOBAL__N_18offset_tEEE10hipError_tPvRmT1_PNSt15iterator_traitsISK_E10value_typeET2_T3_PNSL_ISQ_E10value_typeET4_jRbjT5_SW_jjP12ihipStream_tbEUlT_E1_NS1_11comp_targetILNS1_3genE0ELNS1_11target_archE4294967295ELNS1_3gpuE0ELNS1_3repE0EEENS1_59segmented_radix_sort_warp_sort_small_config_static_selectorELNS0_4arch9wavefront6targetE1EEEvSK_, .Lfunc_end1136-_ZN7rocprim17ROCPRIM_400000_NS6detail17trampoline_kernelINS0_14default_configENS1_36segmented_radix_sort_config_selectorIdlEEZNS1_25segmented_radix_sort_implIS3_Lb1EPKdPdPKlPlN2at6native12_GLOBAL__N_18offset_tEEE10hipError_tPvRmT1_PNSt15iterator_traitsISK_E10value_typeET2_T3_PNSL_ISQ_E10value_typeET4_jRbjT5_SW_jjP12ihipStream_tbEUlT_E1_NS1_11comp_targetILNS1_3genE0ELNS1_11target_archE4294967295ELNS1_3gpuE0ELNS1_3repE0EEENS1_59segmented_radix_sort_warp_sort_small_config_static_selectorELNS0_4arch9wavefront6targetE1EEEvSK_
                                        ; -- End function
	.section	.AMDGPU.csdata,"",@progbits
; Kernel info:
; codeLenInByte = 0
; NumSgprs: 4
; NumVgprs: 0
; NumAgprs: 0
; TotalNumVgprs: 0
; ScratchSize: 0
; MemoryBound: 0
; FloatMode: 240
; IeeeMode: 1
; LDSByteSize: 0 bytes/workgroup (compile time only)
; SGPRBlocks: 0
; VGPRBlocks: 0
; NumSGPRsForWavesPerEU: 4
; NumVGPRsForWavesPerEU: 1
; AccumOffset: 4
; Occupancy: 8
; WaveLimiterHint : 0
; COMPUTE_PGM_RSRC2:SCRATCH_EN: 0
; COMPUTE_PGM_RSRC2:USER_SGPR: 6
; COMPUTE_PGM_RSRC2:TRAP_HANDLER: 0
; COMPUTE_PGM_RSRC2:TGID_X_EN: 1
; COMPUTE_PGM_RSRC2:TGID_Y_EN: 0
; COMPUTE_PGM_RSRC2:TGID_Z_EN: 0
; COMPUTE_PGM_RSRC2:TIDIG_COMP_CNT: 0
; COMPUTE_PGM_RSRC3_GFX90A:ACCUM_OFFSET: 0
; COMPUTE_PGM_RSRC3_GFX90A:TG_SPLIT: 0
	.section	.text._ZN7rocprim17ROCPRIM_400000_NS6detail17trampoline_kernelINS0_14default_configENS1_36segmented_radix_sort_config_selectorIdlEEZNS1_25segmented_radix_sort_implIS3_Lb1EPKdPdPKlPlN2at6native12_GLOBAL__N_18offset_tEEE10hipError_tPvRmT1_PNSt15iterator_traitsISK_E10value_typeET2_T3_PNSL_ISQ_E10value_typeET4_jRbjT5_SW_jjP12ihipStream_tbEUlT_E1_NS1_11comp_targetILNS1_3genE5ELNS1_11target_archE942ELNS1_3gpuE9ELNS1_3repE0EEENS1_59segmented_radix_sort_warp_sort_small_config_static_selectorELNS0_4arch9wavefront6targetE1EEEvSK_,"axG",@progbits,_ZN7rocprim17ROCPRIM_400000_NS6detail17trampoline_kernelINS0_14default_configENS1_36segmented_radix_sort_config_selectorIdlEEZNS1_25segmented_radix_sort_implIS3_Lb1EPKdPdPKlPlN2at6native12_GLOBAL__N_18offset_tEEE10hipError_tPvRmT1_PNSt15iterator_traitsISK_E10value_typeET2_T3_PNSL_ISQ_E10value_typeET4_jRbjT5_SW_jjP12ihipStream_tbEUlT_E1_NS1_11comp_targetILNS1_3genE5ELNS1_11target_archE942ELNS1_3gpuE9ELNS1_3repE0EEENS1_59segmented_radix_sort_warp_sort_small_config_static_selectorELNS0_4arch9wavefront6targetE1EEEvSK_,comdat
	.globl	_ZN7rocprim17ROCPRIM_400000_NS6detail17trampoline_kernelINS0_14default_configENS1_36segmented_radix_sort_config_selectorIdlEEZNS1_25segmented_radix_sort_implIS3_Lb1EPKdPdPKlPlN2at6native12_GLOBAL__N_18offset_tEEE10hipError_tPvRmT1_PNSt15iterator_traitsISK_E10value_typeET2_T3_PNSL_ISQ_E10value_typeET4_jRbjT5_SW_jjP12ihipStream_tbEUlT_E1_NS1_11comp_targetILNS1_3genE5ELNS1_11target_archE942ELNS1_3gpuE9ELNS1_3repE0EEENS1_59segmented_radix_sort_warp_sort_small_config_static_selectorELNS0_4arch9wavefront6targetE1EEEvSK_ ; -- Begin function _ZN7rocprim17ROCPRIM_400000_NS6detail17trampoline_kernelINS0_14default_configENS1_36segmented_radix_sort_config_selectorIdlEEZNS1_25segmented_radix_sort_implIS3_Lb1EPKdPdPKlPlN2at6native12_GLOBAL__N_18offset_tEEE10hipError_tPvRmT1_PNSt15iterator_traitsISK_E10value_typeET2_T3_PNSL_ISQ_E10value_typeET4_jRbjT5_SW_jjP12ihipStream_tbEUlT_E1_NS1_11comp_targetILNS1_3genE5ELNS1_11target_archE942ELNS1_3gpuE9ELNS1_3repE0EEENS1_59segmented_radix_sort_warp_sort_small_config_static_selectorELNS0_4arch9wavefront6targetE1EEEvSK_
	.p2align	8
	.type	_ZN7rocprim17ROCPRIM_400000_NS6detail17trampoline_kernelINS0_14default_configENS1_36segmented_radix_sort_config_selectorIdlEEZNS1_25segmented_radix_sort_implIS3_Lb1EPKdPdPKlPlN2at6native12_GLOBAL__N_18offset_tEEE10hipError_tPvRmT1_PNSt15iterator_traitsISK_E10value_typeET2_T3_PNSL_ISQ_E10value_typeET4_jRbjT5_SW_jjP12ihipStream_tbEUlT_E1_NS1_11comp_targetILNS1_3genE5ELNS1_11target_archE942ELNS1_3gpuE9ELNS1_3repE0EEENS1_59segmented_radix_sort_warp_sort_small_config_static_selectorELNS0_4arch9wavefront6targetE1EEEvSK_,@function
_ZN7rocprim17ROCPRIM_400000_NS6detail17trampoline_kernelINS0_14default_configENS1_36segmented_radix_sort_config_selectorIdlEEZNS1_25segmented_radix_sort_implIS3_Lb1EPKdPdPKlPlN2at6native12_GLOBAL__N_18offset_tEEE10hipError_tPvRmT1_PNSt15iterator_traitsISK_E10value_typeET2_T3_PNSL_ISQ_E10value_typeET4_jRbjT5_SW_jjP12ihipStream_tbEUlT_E1_NS1_11comp_targetILNS1_3genE5ELNS1_11target_archE942ELNS1_3gpuE9ELNS1_3repE0EEENS1_59segmented_radix_sort_warp_sort_small_config_static_selectorELNS0_4arch9wavefront6targetE1EEEvSK_: ; @_ZN7rocprim17ROCPRIM_400000_NS6detail17trampoline_kernelINS0_14default_configENS1_36segmented_radix_sort_config_selectorIdlEEZNS1_25segmented_radix_sort_implIS3_Lb1EPKdPdPKlPlN2at6native12_GLOBAL__N_18offset_tEEE10hipError_tPvRmT1_PNSt15iterator_traitsISK_E10value_typeET2_T3_PNSL_ISQ_E10value_typeET4_jRbjT5_SW_jjP12ihipStream_tbEUlT_E1_NS1_11comp_targetILNS1_3genE5ELNS1_11target_archE942ELNS1_3gpuE9ELNS1_3repE0EEENS1_59segmented_radix_sort_warp_sort_small_config_static_selectorELNS0_4arch9wavefront6targetE1EEEvSK_
; %bb.0:
	.section	.rodata,"a",@progbits
	.p2align	6, 0x0
	.amdhsa_kernel _ZN7rocprim17ROCPRIM_400000_NS6detail17trampoline_kernelINS0_14default_configENS1_36segmented_radix_sort_config_selectorIdlEEZNS1_25segmented_radix_sort_implIS3_Lb1EPKdPdPKlPlN2at6native12_GLOBAL__N_18offset_tEEE10hipError_tPvRmT1_PNSt15iterator_traitsISK_E10value_typeET2_T3_PNSL_ISQ_E10value_typeET4_jRbjT5_SW_jjP12ihipStream_tbEUlT_E1_NS1_11comp_targetILNS1_3genE5ELNS1_11target_archE942ELNS1_3gpuE9ELNS1_3repE0EEENS1_59segmented_radix_sort_warp_sort_small_config_static_selectorELNS0_4arch9wavefront6targetE1EEEvSK_
		.amdhsa_group_segment_fixed_size 0
		.amdhsa_private_segment_fixed_size 0
		.amdhsa_kernarg_size 88
		.amdhsa_user_sgpr_count 6
		.amdhsa_user_sgpr_private_segment_buffer 1
		.amdhsa_user_sgpr_dispatch_ptr 0
		.amdhsa_user_sgpr_queue_ptr 0
		.amdhsa_user_sgpr_kernarg_segment_ptr 1
		.amdhsa_user_sgpr_dispatch_id 0
		.amdhsa_user_sgpr_flat_scratch_init 0
		.amdhsa_user_sgpr_kernarg_preload_length 0
		.amdhsa_user_sgpr_kernarg_preload_offset 0
		.amdhsa_user_sgpr_private_segment_size 0
		.amdhsa_uses_dynamic_stack 0
		.amdhsa_system_sgpr_private_segment_wavefront_offset 0
		.amdhsa_system_sgpr_workgroup_id_x 1
		.amdhsa_system_sgpr_workgroup_id_y 0
		.amdhsa_system_sgpr_workgroup_id_z 0
		.amdhsa_system_sgpr_workgroup_info 0
		.amdhsa_system_vgpr_workitem_id 0
		.amdhsa_next_free_vgpr 1
		.amdhsa_next_free_sgpr 0
		.amdhsa_accum_offset 4
		.amdhsa_reserve_vcc 0
		.amdhsa_reserve_flat_scratch 0
		.amdhsa_float_round_mode_32 0
		.amdhsa_float_round_mode_16_64 0
		.amdhsa_float_denorm_mode_32 3
		.amdhsa_float_denorm_mode_16_64 3
		.amdhsa_dx10_clamp 1
		.amdhsa_ieee_mode 1
		.amdhsa_fp16_overflow 0
		.amdhsa_tg_split 0
		.amdhsa_exception_fp_ieee_invalid_op 0
		.amdhsa_exception_fp_denorm_src 0
		.amdhsa_exception_fp_ieee_div_zero 0
		.amdhsa_exception_fp_ieee_overflow 0
		.amdhsa_exception_fp_ieee_underflow 0
		.amdhsa_exception_fp_ieee_inexact 0
		.amdhsa_exception_int_div_zero 0
	.end_amdhsa_kernel
	.section	.text._ZN7rocprim17ROCPRIM_400000_NS6detail17trampoline_kernelINS0_14default_configENS1_36segmented_radix_sort_config_selectorIdlEEZNS1_25segmented_radix_sort_implIS3_Lb1EPKdPdPKlPlN2at6native12_GLOBAL__N_18offset_tEEE10hipError_tPvRmT1_PNSt15iterator_traitsISK_E10value_typeET2_T3_PNSL_ISQ_E10value_typeET4_jRbjT5_SW_jjP12ihipStream_tbEUlT_E1_NS1_11comp_targetILNS1_3genE5ELNS1_11target_archE942ELNS1_3gpuE9ELNS1_3repE0EEENS1_59segmented_radix_sort_warp_sort_small_config_static_selectorELNS0_4arch9wavefront6targetE1EEEvSK_,"axG",@progbits,_ZN7rocprim17ROCPRIM_400000_NS6detail17trampoline_kernelINS0_14default_configENS1_36segmented_radix_sort_config_selectorIdlEEZNS1_25segmented_radix_sort_implIS3_Lb1EPKdPdPKlPlN2at6native12_GLOBAL__N_18offset_tEEE10hipError_tPvRmT1_PNSt15iterator_traitsISK_E10value_typeET2_T3_PNSL_ISQ_E10value_typeET4_jRbjT5_SW_jjP12ihipStream_tbEUlT_E1_NS1_11comp_targetILNS1_3genE5ELNS1_11target_archE942ELNS1_3gpuE9ELNS1_3repE0EEENS1_59segmented_radix_sort_warp_sort_small_config_static_selectorELNS0_4arch9wavefront6targetE1EEEvSK_,comdat
.Lfunc_end1137:
	.size	_ZN7rocprim17ROCPRIM_400000_NS6detail17trampoline_kernelINS0_14default_configENS1_36segmented_radix_sort_config_selectorIdlEEZNS1_25segmented_radix_sort_implIS3_Lb1EPKdPdPKlPlN2at6native12_GLOBAL__N_18offset_tEEE10hipError_tPvRmT1_PNSt15iterator_traitsISK_E10value_typeET2_T3_PNSL_ISQ_E10value_typeET4_jRbjT5_SW_jjP12ihipStream_tbEUlT_E1_NS1_11comp_targetILNS1_3genE5ELNS1_11target_archE942ELNS1_3gpuE9ELNS1_3repE0EEENS1_59segmented_radix_sort_warp_sort_small_config_static_selectorELNS0_4arch9wavefront6targetE1EEEvSK_, .Lfunc_end1137-_ZN7rocprim17ROCPRIM_400000_NS6detail17trampoline_kernelINS0_14default_configENS1_36segmented_radix_sort_config_selectorIdlEEZNS1_25segmented_radix_sort_implIS3_Lb1EPKdPdPKlPlN2at6native12_GLOBAL__N_18offset_tEEE10hipError_tPvRmT1_PNSt15iterator_traitsISK_E10value_typeET2_T3_PNSL_ISQ_E10value_typeET4_jRbjT5_SW_jjP12ihipStream_tbEUlT_E1_NS1_11comp_targetILNS1_3genE5ELNS1_11target_archE942ELNS1_3gpuE9ELNS1_3repE0EEENS1_59segmented_radix_sort_warp_sort_small_config_static_selectorELNS0_4arch9wavefront6targetE1EEEvSK_
                                        ; -- End function
	.section	.AMDGPU.csdata,"",@progbits
; Kernel info:
; codeLenInByte = 0
; NumSgprs: 4
; NumVgprs: 0
; NumAgprs: 0
; TotalNumVgprs: 0
; ScratchSize: 0
; MemoryBound: 0
; FloatMode: 240
; IeeeMode: 1
; LDSByteSize: 0 bytes/workgroup (compile time only)
; SGPRBlocks: 0
; VGPRBlocks: 0
; NumSGPRsForWavesPerEU: 4
; NumVGPRsForWavesPerEU: 1
; AccumOffset: 4
; Occupancy: 8
; WaveLimiterHint : 0
; COMPUTE_PGM_RSRC2:SCRATCH_EN: 0
; COMPUTE_PGM_RSRC2:USER_SGPR: 6
; COMPUTE_PGM_RSRC2:TRAP_HANDLER: 0
; COMPUTE_PGM_RSRC2:TGID_X_EN: 1
; COMPUTE_PGM_RSRC2:TGID_Y_EN: 0
; COMPUTE_PGM_RSRC2:TGID_Z_EN: 0
; COMPUTE_PGM_RSRC2:TIDIG_COMP_CNT: 0
; COMPUTE_PGM_RSRC3_GFX90A:ACCUM_OFFSET: 0
; COMPUTE_PGM_RSRC3_GFX90A:TG_SPLIT: 0
	.text
	.p2align	2                               ; -- Begin function _ZN7rocprim17ROCPRIM_400000_NS6detail26segmented_warp_sort_helperINS1_20WarpSortHelperConfigILj8ELj4ELj256EEEdlLi256ELb1EvE4sortIPKdPdPKlPlEEvT_S9_T0_T1_SC_T2_bjjjjRNS5_12storage_typeE
	.type	_ZN7rocprim17ROCPRIM_400000_NS6detail26segmented_warp_sort_helperINS1_20WarpSortHelperConfigILj8ELj4ELj256EEEdlLi256ELb1EvE4sortIPKdPdPKlPlEEvT_S9_T0_T1_SC_T2_bjjjjRNS5_12storage_typeE,@function
_ZN7rocprim17ROCPRIM_400000_NS6detail26segmented_warp_sort_helperINS1_20WarpSortHelperConfigILj8ELj4ELj256EEEdlLi256ELb1EvE4sortIPKdPdPKlPlEEvT_S9_T0_T1_SC_T2_bjjjjRNS5_12storage_typeE: ; @_ZN7rocprim17ROCPRIM_400000_NS6detail26segmented_warp_sort_helperINS1_20WarpSortHelperConfigILj8ELj4ELj256EEEdlLi256ELb1EvE4sortIPKdPdPKlPlEEvT_S9_T0_T1_SC_T2_bjjjjRNS5_12storage_typeE
; %bb.0:
	s_waitcnt vmcnt(0) expcnt(0) lgkmcnt(0)
	s_or_saveexec_b64 s[4:5], -1
	buffer_store_dword v40, off, s[0:3], s32 ; 4-byte Folded Spill
	s_mov_b64 exec, s[4:5]
	v_writelane_b32 v40, s30, 0
	v_writelane_b32 v40, s31, 1
	v_and_b32_e32 v12, 1, v12
	v_cmp_eq_u32_e32 vcc, 1, v12
	v_mbcnt_lo_u32_b32 v12, -1, 0
	v_mov_b32_e32 v18, v13
	v_mov_b32_e32 v19, 0
	v_mbcnt_hi_u32_b32 v12, -1, v12
	v_lshlrev_b64 v[96:97], 3, v[18:19]
	v_lshlrev_b32_e32 v99, 2, v12
	s_xor_b64 s[6:7], vcc, -1
	v_add_co_u32_e32 v0, vcc, v0, v96
	v_and_b32_e32 v100, 28, v99
	v_addc_co_u32_e32 v1, vcc, v1, v97, vcc
	v_lshlrev_b32_e32 v98, 3, v100
	v_sub_u32_e32 v14, v14, v18
	v_add_co_u32_e32 v0, vcc, v0, v98
	v_addc_co_u32_e32 v1, vcc, 0, v1, vcc
	v_cmp_lt_u32_e64 s[4:5], v100, v14
	s_mov_b64 s[16:17], 0
                                        ; implicit-def: $vgpr18_vgpr19_vgpr20_vgpr21_vgpr22_vgpr23_vgpr24_vgpr25
	s_and_saveexec_b64 s[10:11], s[6:7]
	s_xor_b64 s[18:19], exec, s[10:11]
	s_cbranch_execnz .LBB1138_5
; %bb.1:
	s_andn2_saveexec_b64 s[18:19], s[18:19]
	s_cbranch_execnz .LBB1138_112
.LBB1138_2:
	s_or_b64 exec, exec, s[18:19]
	s_and_saveexec_b64 s[4:5], s[16:17]
	s_cbranch_execz .LBB1138_4
.LBB1138_3:
	v_add_co_u32_e32 v0, vcc, v8, v96
	v_addc_co_u32_e32 v1, vcc, v9, v97, vcc
	v_add_co_u32_e32 v0, vcc, v0, v98
	v_addc_co_u32_e32 v1, vcc, 0, v1, vcc
	s_waitcnt vmcnt(0)
	flat_store_dwordx2 v[0:1], v[24:25] offset:24
.LBB1138_4:
	s_or_b64 exec, exec, s[4:5]
	v_readlane_b32 s30, v40, 0
	v_readlane_b32 s31, v40, 1
	s_or_saveexec_b64 s[4:5], -1
	buffer_load_dword v40, off, s[0:3], s32 ; 4-byte Folded Reload
	s_mov_b64 exec, s[4:5]
	s_waitcnt vmcnt(0) lgkmcnt(0)
	s_setpc_b64 s[30:31]
.LBB1138_5:
	v_pk_mov_b32 v[82:83], -1, -1
	v_pk_mov_b32 v[80:81], v[82:83], v[82:83] op_sel:[0,1]
	s_and_saveexec_b64 s[6:7], s[4:5]
	s_cbranch_execz .LBB1138_7
; %bb.6:
	flat_load_dwordx2 v[80:81], v[0:1]
.LBB1138_7:
	s_or_b64 exec, exec, s[6:7]
	v_or_b32_e32 v4, 1, v100
	v_cmp_lt_u32_e64 s[6:7], v4, v14
	s_and_saveexec_b64 s[10:11], s[6:7]
	s_cbranch_execz .LBB1138_9
; %bb.8:
	flat_load_dwordx2 v[82:83], v[0:1] offset:8
.LBB1138_9:
	s_or_b64 exec, exec, s[10:11]
	v_or_b32_e32 v4, 2, v100
	v_pk_mov_b32 v[12:13], -1, -1
	v_cmp_lt_u32_e64 s[10:11], v4, v14
	v_pk_mov_b32 v[10:11], v[12:13], v[12:13] op_sel:[0,1]
	s_and_saveexec_b64 s[14:15], s[10:11]
	s_cbranch_execz .LBB1138_11
; %bb.10:
	flat_load_dwordx2 v[10:11], v[0:1] offset:16
.LBB1138_11:
	s_or_b64 exec, exec, s[14:15]
	v_or_b32_e32 v4, 3, v100
	v_cmp_lt_u32_e64 s[14:15], v4, v14
	s_and_saveexec_b64 s[16:17], s[14:15]
	s_cbranch_execz .LBB1138_13
; %bb.12:
	flat_load_dwordx2 v[12:13], v[0:1] offset:24
.LBB1138_13:
	s_or_b64 exec, exec, s[16:17]
	v_add_co_u32_e32 v0, vcc, v6, v96
	v_addc_co_u32_e32 v1, vcc, v7, v97, vcc
	v_add_co_u32_e32 v0, vcc, v0, v98
	v_addc_co_u32_e32 v1, vcc, 0, v1, vcc
	; wave barrier
                                        ; implicit-def: $vgpr18_vgpr19_vgpr20_vgpr21_vgpr22_vgpr23_vgpr24_vgpr25
	s_and_saveexec_b64 s[16:17], s[4:5]
	s_cbranch_execnz .LBB1138_219
; %bb.14:
	s_or_b64 exec, exec, s[16:17]
	s_and_saveexec_b64 s[16:17], s[6:7]
	s_cbranch_execnz .LBB1138_220
.LBB1138_15:
	s_or_b64 exec, exec, s[16:17]
	s_and_saveexec_b64 s[16:17], s[10:11]
	s_cbranch_execnz .LBB1138_221
.LBB1138_16:
	s_or_b64 exec, exec, s[16:17]
	s_and_saveexec_b64 s[16:17], s[14:15]
	s_cbranch_execz .LBB1138_18
.LBB1138_17:
	flat_load_dwordx2 v[24:25], v[0:1] offset:24
.LBB1138_18:
	s_or_b64 exec, exec, s[16:17]
	; wave barrier
	s_load_dwordx2 s[16:17], s[8:9], 0x0
	v_mov_b32_e32 v0, 0
	v_bfe_u32 v5, v31, 20, 10
	v_and_b32_e32 v6, 0x3ff, v31
	s_waitcnt lgkmcnt(0)
	s_cmp_lt_u32 s12, s16
	s_cselect_b32 s20, 12, 18
	s_cmp_lt_u32 s13, s17
	s_cselect_b32 s16, 14, 20
	s_add_u32 s16, s8, s16
	s_addc_u32 s17, s9, 0
	s_add_u32 s20, s8, s20
	s_addc_u32 s21, s9, 0
	global_load_ushort v1, v0, s[16:17]
	global_load_ushort v4, v0, s[20:21]
	v_bfe_u32 v0, v31, 10, 10
	s_movk_i32 s16, 0x400
	s_waitcnt vmcnt(0)
	v_mad_u32_u24 v0, v5, v1, v0
	v_mul_lo_u32 v0, v0, v4
	v_add_lshl_u32 v14, v0, v6, 2
	v_cmp_gt_u32_e32 vcc, s16, v14
	s_and_saveexec_b64 s[20:21], vcc
	s_cbranch_execz .LBB1138_30
; %bb.19:
	v_add_f64 v[0:1], v[82:83], 0
	v_add_f64 v[4:5], v[80:81], 0
	v_ashrrev_i32_e32 v6, 31, v1
	v_or_b32_e32 v7, 0x80000000, v6
	v_xor_b32_e32 v0, v6, v0
	v_ashrrev_i32_e32 v6, 31, v5
	v_xor_b32_e32 v1, v7, v1
	v_or_b32_e32 v7, 0x80000000, v6
	v_xor_b32_e32 v5, v7, v5
	v_xor_b32_e32 v4, v6, v4
	v_add_f64 v[6:7], v[12:13], 0
	v_cmp_gt_u64_e32 vcc, v[0:1], v[4:5]
	v_ashrrev_i32_e32 v17, 31, v7
	v_cndmask_b32_e32 v5, v21, v19, vcc
	v_cndmask_b32_e32 v4, v20, v18, vcc
	;; [unrolled: 1-line block ×4, first 2 shown]
	v_add_f64 v[20:21], v[10:11], 0
	v_or_b32_e32 v18, 0x80000000, v17
	v_xor_b32_e32 v19, v18, v7
	v_xor_b32_e32 v18, v17, v6
	v_ashrrev_i32_e32 v6, 31, v21
	v_or_b32_e32 v7, 0x80000000, v6
	v_xor_b32_e32 v85, v7, v21
	v_xor_b32_e32 v84, v6, v20
	v_cmp_gt_u64_e64 s[16:17], v[18:19], v[84:85]
	v_pk_mov_b32 v[6:7], v[10:11], v[10:11] op_sel:[0,1]
	s_and_saveexec_b64 s[22:23], s[16:17]
; %bb.20:
	v_pk_mov_b32 v[20:21], v[22:23], v[22:23] op_sel:[0,1]
	v_pk_mov_b32 v[6:7], v[12:13], v[12:13] op_sel:[0,1]
	;; [unrolled: 1-line block ×6, first 2 shown]
; %bb.21:
	s_or_b64 exec, exec, s[22:23]
	v_cndmask_b32_e32 v21, v83, v81, vcc
	v_cndmask_b32_e32 v20, v82, v80, vcc
	v_add_f64 v[10:11], v[20:21], 0
	v_ashrrev_i32_e32 v17, 31, v11
	v_or_b32_e32 v18, 0x80000000, v17
	v_xor_b32_e32 v19, v18, v11
	v_xor_b32_e32 v18, v17, v10
	v_cmp_le_u64_e64 s[16:17], v[84:85], v[18:19]
                                        ; implicit-def: $vgpr10_vgpr11
	s_and_saveexec_b64 s[22:23], s[16:17]
	s_xor_b64 s[16:17], exec, s[22:23]
                                        ; implicit-def: $vgpr32_vgpr33_vgpr34_vgpr35_vgpr36_vgpr37_vgpr38_vgpr39
                                        ; implicit-def: $vgpr48_vgpr49_vgpr50_vgpr51_vgpr52_vgpr53_vgpr54_vgpr55
                                        ; implicit-def: $vgpr26_vgpr27_vgpr28_vgpr29_vgpr30_vgpr31_vgpr32_vgpr33
                                        ; implicit-def: $vgpr64_vgpr65_vgpr66_vgpr67_vgpr68_vgpr69_vgpr70_vgpr71
; %bb.22:
	v_add_f64 v[10:11], v[6:7], 0
	v_ashrrev_i32_e32 v17, 31, v11
	v_mov_b32_e32 v28, v4
	v_mov_b32_e32 v4, v22
	v_or_b32_e32 v22, 0x80000000, v17
	v_mov_b32_e32 v35, v5
	v_mov_b32_e32 v5, v23
	;; [unrolled: 1-line block ×4, first 2 shown]
	v_xor_b32_e32 v11, v22, v11
	v_xor_b32_e32 v10, v17, v10
                                        ; implicit-def: $vgpr22_vgpr23
                                        ; implicit-def: $vgpr84_vgpr85
; %bb.23:
	s_or_saveexec_b64 s[16:17], s[16:17]
	v_pk_mov_b32 v[26:27], v[20:21], v[20:21] op_sel:[0,1]
	s_xor_b64 exec, exec, s[16:17]
; %bb.24:
	v_mov_b32_e32 v28, v22
	v_mov_b32_e32 v35, v23
	;; [unrolled: 1-line block ×4, first 2 shown]
	v_pk_mov_b32 v[10:11], v[18:19], v[18:19] op_sel:[0,1]
	v_pk_mov_b32 v[26:27], v[6:7], v[6:7] op_sel:[0,1]
	;; [unrolled: 1-line block ×4, first 2 shown]
; %bb.25:
	s_or_b64 exec, exec, s[16:17]
	v_cndmask_b32_e32 v31, v81, v83, vcc
	v_cndmask_b32_e32 v30, v80, v82, vcc
	v_add_f64 v[20:21], v[30:31], 0
	v_ashrrev_i32_e32 v17, 31, v21
	v_or_b32_e32 v22, 0x80000000, v17
	v_xor_b32_e32 v21, v22, v21
	v_xor_b32_e32 v20, v17, v20
	v_cmp_gt_u64_e32 vcc, v[18:19], v[20:21]
	v_cndmask_b32_e32 v21, v35, v1, vcc
	v_cndmask_b32_e32 v19, v1, v35, vcc
	;; [unrolled: 1-line block ×4, first 2 shown]
	v_add_f64 v[0:1], v[12:13], 0
	v_mov_b32_e32 v22, v4
	v_ashrrev_i32_e32 v4, 31, v1
	v_mov_b32_e32 v23, v5
	v_or_b32_e32 v5, 0x80000000, v4
	v_xor_b32_e32 v5, v5, v1
	v_xor_b32_e32 v4, v4, v0
	v_mov_b32_e32 v24, v54
	v_mov_b32_e32 v25, v71
	v_cmp_gt_u64_e64 s[16:17], v[4:5], v[10:11]
	v_pk_mov_b32 v[0:1], v[6:7], v[6:7] op_sel:[0,1]
	s_and_saveexec_b64 s[22:23], s[16:17]
	s_cbranch_execz .LBB1138_27
; %bb.26:
	v_mov_b32_e32 v32, v18
	v_mov_b32_e32 v33, v19
	v_mov_b32_e32 v34, v20
	v_mov_b32_e32 v35, v21
	v_mov_b32_e32 v36, v24
	v_mov_b32_e32 v37, v25
	v_mov_b32_e32 v38, v22
	v_mov_b32_e32 v39, v23
	v_pk_mov_b32 v[18:19], v[32:33], v[32:33] op_sel:[0,1]
	v_pk_mov_b32 v[0:1], v[12:13], v[12:13] op_sel:[0,1]
	;; [unrolled: 1-line block ×7, first 2 shown]
.LBB1138_27:
	s_or_b64 exec, exec, s[22:23]
	v_cndmask_b32_e32 v83, v27, v31, vcc
	v_cndmask_b32_e32 v82, v26, v30, vcc
	v_add_f64 v[4:5], v[82:83], 0
	v_ashrrev_i32_e32 v6, 31, v5
	v_or_b32_e32 v7, 0x80000000, v6
	v_xor_b32_e32 v5, v7, v5
	v_xor_b32_e32 v4, v6, v4
	v_cndmask_b32_e32 v81, v31, v27, vcc
	v_cndmask_b32_e32 v80, v30, v26, vcc
	v_cmp_gt_u64_e32 vcc, v[10:11], v[4:5]
	v_pk_mov_b32 v[10:11], v[0:1], v[0:1] op_sel:[0,1]
	s_and_saveexec_b64 s[16:17], vcc
	s_cbranch_execz .LBB1138_29
; %bb.28:
	v_mov_b32_e32 v26, v18
	v_mov_b32_e32 v27, v19
	;; [unrolled: 1-line block ×8, first 2 shown]
	v_pk_mov_b32 v[18:19], v[26:27], v[26:27] op_sel:[0,1]
	v_pk_mov_b32 v[20:21], v[28:29], v[28:29] op_sel:[0,1]
	v_pk_mov_b32 v[22:23], v[30:31], v[30:31] op_sel:[0,1]
	v_pk_mov_b32 v[24:25], v[32:33], v[32:33] op_sel:[0,1]
	v_pk_mov_b32 v[10:11], v[82:83], v[82:83] op_sel:[0,1]
	v_pk_mov_b32 v[82:83], v[0:1], v[0:1] op_sel:[0,1]
.LBB1138_29:
	s_or_b64 exec, exec, s[16:17]
.LBB1138_30:
	s_or_b64 exec, exec, s[20:21]
	v_and_b32_e32 v6, 0xffffff00, v14
	v_mov_b32_e32 v7, 0
	v_lshlrev_b64 v[0:1], 3, v[6:7]
	v_add_co_u32_e32 v34, vcc, v15, v0
	s_movk_i32 s16, 0x400
	v_addc_co_u32_e32 v35, vcc, v16, v1, vcc
	v_sub_u32_e64 v36, s16, v6 clamp
	v_add_co_u32_e32 v32, vcc, 0x2000, v34
	v_or_b32_e32 v6, 4, v99
	v_addc_co_u32_e32 v33, vcc, 0, v35, vcc
	v_lshlrev_b32_e32 v0, 3, v99
	v_min_u32_e32 v37, v36, v6
	v_add_co_u32_e32 v4, vcc, v34, v0
	v_add_u32_e32 v6, 4, v37
	v_addc_co_u32_e32 v5, vcc, 0, v35, vcc
	v_and_b32_e32 v14, 0x1f8, v99
	v_min_u32_e32 v38, v36, v6
	v_and_b32_e32 v6, 4, v99
	v_add_co_u32_e32 v0, vcc, v32, v0
	v_min_u32_e32 v15, v36, v6
	v_sub_u32_e32 v6, v37, v14
	v_sub_u32_e32 v16, v38, v37
	v_addc_co_u32_e32 v1, vcc, 0, v33, vcc
	v_sub_u32_e64 v16, v15, v16 clamp
	v_min_u32_e32 v17, v15, v6
	v_cmp_lt_u32_e32 vcc, v16, v17
	flat_store_dwordx4 v[4:5], v[80:83]
	flat_store_dwordx4 v[0:1], v[18:21]
	flat_store_dwordx4 v[4:5], v[10:13] offset:16
	flat_store_dwordx4 v[0:1], v[22:25] offset:16
	; wave barrier
	s_and_saveexec_b64 s[16:17], vcc
	s_cbranch_execz .LBB1138_34
; %bb.31:
	v_lshlrev_b32_e32 v6, 3, v14
	v_add_co_u32_e32 v26, vcc, v34, v6
	v_addc_co_u32_e32 v27, vcc, 0, v35, vcc
	v_lshlrev_b32_e32 v6, 3, v37
	v_add_co_u32_e32 v28, vcc, v34, v6
	v_addc_co_u32_e32 v29, vcc, 0, v35, vcc
	s_mov_b64 s[20:21], 0
.LBB1138_32:                            ; =>This Inner Loop Header: Depth=1
	v_add_u32_e32 v6, v17, v16
	v_lshrrev_b32_e32 v6, 1, v6
	v_lshlrev_b64 v[48:49], 3, v[6:7]
	v_mov_b32_e32 v31, v7
	v_xad_u32 v30, v6, -1, v15
	v_add_co_u32_e32 v48, vcc, v26, v48
	v_addc_co_u32_e32 v49, vcc, v27, v49, vcc
	v_lshlrev_b64 v[30:31], 3, v[30:31]
	v_add_co_u32_e32 v30, vcc, v28, v30
	v_addc_co_u32_e32 v31, vcc, v29, v31, vcc
	flat_load_dwordx2 v[50:51], v[48:49]
	flat_load_dwordx2 v[52:53], v[30:31]
	v_add_u32_e32 v39, 1, v6
	s_waitcnt vmcnt(0) lgkmcnt(0)
	v_add_f64 v[30:31], v[50:51], 0
	v_add_f64 v[48:49], v[52:53], 0
	v_ashrrev_i32_e32 v50, 31, v31
	v_ashrrev_i32_e32 v51, 31, v49
	v_or_b32_e32 v52, 0x80000000, v50
	v_xor_b32_e32 v30, v50, v30
	v_or_b32_e32 v50, 0x80000000, v51
	v_xor_b32_e32 v48, v51, v48
	v_xor_b32_e32 v31, v52, v31
	;; [unrolled: 1-line block ×3, first 2 shown]
	v_cmp_gt_u64_e32 vcc, v[48:49], v[30:31]
	v_cndmask_b32_e32 v17, v17, v6, vcc
	v_cndmask_b32_e32 v16, v39, v16, vcc
	v_cmp_ge_u32_e32 vcc, v16, v17
	s_or_b64 s[20:21], vcc, s[20:21]
	s_andn2_b64 exec, exec, s[20:21]
	s_cbranch_execnz .LBB1138_32
; %bb.33:
	s_or_b64 exec, exec, s[20:21]
.LBB1138_34:
	s_or_b64 exec, exec, s[16:17]
	v_add_u32_e32 v6, v37, v15
	v_add_u32_e32 v14, v16, v14
	v_sub_u32_e32 v16, v6, v16
	v_cmp_le_u32_e32 vcc, v14, v37
	v_cmp_le_u32_e64 s[16:17], v16, v38
	s_or_b64 s[16:17], vcc, s[16:17]
	s_and_saveexec_b64 s[20:21], s[16:17]
	s_cbranch_execz .LBB1138_54
; %bb.35:
	v_cmp_ge_u32_e32 vcc, v14, v37
	v_cmp_lt_u32_e64 s[16:17], v14, v37
                                        ; implicit-def: $vgpr6_vgpr7
	s_and_saveexec_b64 s[22:23], s[16:17]
	s_cbranch_execz .LBB1138_37
; %bb.36:
	v_mov_b32_e32 v15, 0
	v_lshlrev_b64 v[6:7], 3, v[14:15]
	v_add_co_u32_e64 v6, s[16:17], v34, v6
	v_addc_co_u32_e64 v7, s[16:17], v35, v7, s[16:17]
	flat_load_dwordx2 v[6:7], v[6:7]
.LBB1138_37:
	s_or_b64 exec, exec, s[22:23]
	v_cmp_ge_u32_e64 s[22:23], v16, v38
	v_cmp_lt_u32_e64 s[16:17], v16, v38
                                        ; implicit-def: $vgpr12_vgpr13
	s_and_saveexec_b64 s[24:25], s[16:17]
	s_cbranch_execz .LBB1138_39
; %bb.38:
	v_mov_b32_e32 v17, 0
	v_lshlrev_b64 v[10:11], 3, v[16:17]
	v_add_co_u32_e64 v10, s[16:17], v34, v10
	v_addc_co_u32_e64 v11, s[16:17], v35, v11, s[16:17]
	flat_load_dwordx2 v[12:13], v[10:11]
.LBB1138_39:
	s_or_b64 exec, exec, s[24:25]
	s_or_b64 s[24:25], vcc, s[22:23]
	s_mov_b64 s[16:17], -1
	s_xor_b64 s[26:27], s[24:25], -1
	s_and_saveexec_b64 s[24:25], s[26:27]
	s_cbranch_execz .LBB1138_41
; %bb.40:
	s_waitcnt vmcnt(0) lgkmcnt(0)
	v_add_f64 v[10:11], v[12:13], 0
	v_add_f64 v[18:19], v[6:7], 0
	v_ashrrev_i32_e32 v15, 31, v11
	v_or_b32_e32 v17, 0x80000000, v15
	v_xor_b32_e32 v10, v15, v10
	v_ashrrev_i32_e32 v15, 31, v19
	v_xor_b32_e32 v11, v17, v11
	v_or_b32_e32 v17, 0x80000000, v15
	v_xor_b32_e32 v19, v17, v19
	v_xor_b32_e32 v18, v15, v18
	v_cmp_le_u64_e32 vcc, v[10:11], v[18:19]
	s_andn2_b64 s[22:23], s[22:23], exec
	s_and_b64 s[26:27], vcc, exec
	s_or_b64 s[22:23], s[22:23], s[26:27]
.LBB1138_41:
	s_or_b64 exec, exec, s[24:25]
	v_cndmask_b32_e64 v10, v16, v14, s[22:23]
	v_cndmask_b32_e64 v15, v38, v37, s[22:23]
	v_mov_b32_e32 v11, 0
	v_lshlrev_b64 v[18:19], 3, v[10:11]
	v_add_u32_e32 v17, 1, v10
	v_add_u32_e32 v10, -1, v15
	v_min_u32_e32 v10, v17, v10
	v_lshlrev_b64 v[20:21], 3, v[10:11]
	v_add_co_u32_e32 v20, vcc, v34, v20
	v_addc_co_u32_e32 v21, vcc, v35, v21, vcc
	v_add_co_u32_e32 v18, vcc, v32, v18
	flat_load_dwordx2 v[20:21], v[20:21]
	v_addc_co_u32_e32 v19, vcc, v33, v19, vcc
	flat_load_dwordx2 v[18:19], v[18:19]
	v_cndmask_b32_e64 v22, v17, v16, s[22:23]
	v_cndmask_b32_e64 v23, v14, v17, s[22:23]
	v_cmp_lt_u32_e32 vcc, v22, v38
	s_waitcnt vmcnt(0) lgkmcnt(0)
	v_cndmask_b32_e64 v15, v21, v13, s[22:23]
	v_cndmask_b32_e64 v14, v20, v12, s[22:23]
	;; [unrolled: 1-line block ×4, first 2 shown]
	s_and_saveexec_b64 s[24:25], vcc
	s_cbranch_execz .LBB1138_45
; %bb.42:
	v_cmp_lt_u32_e32 vcc, v23, v37
	s_mov_b64 s[26:27], 0
	s_and_saveexec_b64 s[16:17], vcc
	s_cbranch_execz .LBB1138_44
; %bb.43:
	v_add_f64 v[20:21], v[14:15], 0
	v_add_f64 v[24:25], v[16:17], 0
	v_ashrrev_i32_e32 v10, 31, v21
	v_or_b32_e32 v26, 0x80000000, v10
	v_xor_b32_e32 v20, v10, v20
	v_ashrrev_i32_e32 v10, 31, v25
	v_xor_b32_e32 v21, v26, v21
	v_or_b32_e32 v26, 0x80000000, v10
	v_xor_b32_e32 v25, v26, v25
	v_xor_b32_e32 v24, v10, v24
	v_cmp_le_u64_e32 vcc, v[20:21], v[24:25]
	s_and_b64 s[26:27], vcc, exec
.LBB1138_44:
	s_or_b64 exec, exec, s[16:17]
	s_orn2_b64 s[16:17], s[26:27], exec
.LBB1138_45:
	s_or_b64 exec, exec, s[24:25]
	v_cndmask_b32_e64 v10, v22, v23, s[16:17]
	v_cndmask_b32_e64 v24, v38, v37, s[16:17]
	v_lshlrev_b64 v[20:21], 3, v[10:11]
	v_add_u32_e32 v26, 1, v10
	v_add_u32_e32 v10, -1, v24
	v_min_u32_e32 v10, v26, v10
	v_lshlrev_b64 v[10:11], 3, v[10:11]
	v_add_co_u32_e32 v10, vcc, v34, v10
	v_addc_co_u32_e32 v11, vcc, v35, v11, vcc
	flat_load_dwordx2 v[24:25], v[10:11]
	v_add_co_u32_e32 v10, vcc, v32, v20
	v_addc_co_u32_e32 v11, vcc, v33, v21, vcc
	flat_load_dwordx2 v[20:21], v[10:11]
	v_cndmask_b32_e64 v28, v26, v22, s[16:17]
	s_mov_b64 s[24:25], -1
	v_cndmask_b32_e64 v29, v23, v26, s[16:17]
	v_cmp_lt_u32_e32 vcc, v28, v38
	s_mov_b64 s[26:27], -1
	s_waitcnt vmcnt(0) lgkmcnt(0)
	v_cndmask_b32_e64 v11, v25, v15, s[16:17]
	v_cndmask_b32_e64 v10, v24, v14, s[16:17]
	;; [unrolled: 1-line block ×4, first 2 shown]
	s_and_saveexec_b64 s[28:29], vcc
	s_cbranch_execz .LBB1138_49
; %bb.46:
	v_cmp_lt_u32_e32 vcc, v29, v37
	s_mov_b64 s[30:31], 0
	s_and_saveexec_b64 s[26:27], vcc
	s_cbranch_execz .LBB1138_48
; %bb.47:
	v_add_f64 v[22:23], v[10:11], 0
	v_add_f64 v[24:25], v[26:27], 0
	v_ashrrev_i32_e32 v30, 31, v23
	v_or_b32_e32 v31, 0x80000000, v30
	v_xor_b32_e32 v22, v30, v22
	v_ashrrev_i32_e32 v30, 31, v25
	v_xor_b32_e32 v23, v31, v23
	v_or_b32_e32 v31, 0x80000000, v30
	v_xor_b32_e32 v25, v31, v25
	v_xor_b32_e32 v24, v30, v24
	v_cmp_le_u64_e32 vcc, v[22:23], v[24:25]
	s_and_b64 s[30:31], vcc, exec
.LBB1138_48:
	s_or_b64 exec, exec, s[26:27]
	s_orn2_b64 s[26:27], s[30:31], exec
.LBB1138_49:
	s_or_b64 exec, exec, s[28:29]
	v_cndmask_b32_e64 v24, v28, v29, s[26:27]
	v_cndmask_b32_e64 v30, v38, v37, s[26:27]
	v_mov_b32_e32 v25, 0
	v_lshlrev_b64 v[22:23], 3, v[24:25]
	v_add_u32_e32 v39, 1, v24
	v_add_u32_e32 v24, -1, v30
	v_min_u32_e32 v24, v39, v24
	v_lshlrev_b64 v[30:31], 3, v[24:25]
	v_add_co_u32_e32 v30, vcc, v34, v30
	v_addc_co_u32_e32 v31, vcc, v35, v31, vcc
	v_add_co_u32_e32 v22, vcc, v32, v22
	flat_load_dwordx2 v[30:31], v[30:31]
	v_addc_co_u32_e32 v23, vcc, v33, v23, vcc
	flat_load_dwordx2 v[22:23], v[22:23]
	v_cndmask_b32_e64 v24, v39, v28, s[26:27]
	v_cndmask_b32_e64 v39, v29, v39, s[26:27]
	v_cmp_lt_u32_e32 vcc, v24, v38
	s_waitcnt vmcnt(0) lgkmcnt(0)
	v_cndmask_b32_e64 v29, v31, v11, s[26:27]
	v_cndmask_b32_e64 v28, v30, v10, s[26:27]
	;; [unrolled: 1-line block ×4, first 2 shown]
	s_and_saveexec_b64 s[28:29], vcc
	s_cbranch_execz .LBB1138_53
; %bb.50:
	v_cmp_lt_u32_e32 vcc, v39, v37
	s_mov_b64 s[30:31], 0
	s_and_saveexec_b64 s[24:25], vcc
	s_cbranch_execz .LBB1138_52
; %bb.51:
	v_add_f64 v[48:49], v[28:29], 0
	v_add_f64 v[50:51], v[30:31], 0
	v_ashrrev_i32_e32 v37, 31, v49
	v_or_b32_e32 v38, 0x80000000, v37
	v_xor_b32_e32 v48, v37, v48
	v_ashrrev_i32_e32 v37, 31, v51
	v_xor_b32_e32 v49, v38, v49
	v_or_b32_e32 v38, 0x80000000, v37
	v_xor_b32_e32 v51, v38, v51
	v_xor_b32_e32 v50, v37, v50
	v_cmp_le_u64_e32 vcc, v[48:49], v[50:51]
	s_and_b64 s[30:31], vcc, exec
.LBB1138_52:
	s_or_b64 exec, exec, s[24:25]
	s_orn2_b64 s[24:25], s[30:31], exec
.LBB1138_53:
	s_or_b64 exec, exec, s[28:29]
	v_cndmask_b32_e64 v24, v24, v39, s[24:25]
	v_lshlrev_b64 v[24:25], 3, v[24:25]
	v_add_co_u32_e32 v24, vcc, v32, v24
	v_addc_co_u32_e32 v25, vcc, v33, v25, vcc
	flat_load_dwordx2 v[24:25], v[24:25]
	v_cndmask_b32_e64 v11, v11, v27, s[26:27]
	v_cndmask_b32_e64 v10, v10, v26, s[26:27]
	;; [unrolled: 1-line block ×8, first 2 shown]
.LBB1138_54:
	s_or_b64 exec, exec, s[20:21]
	v_and_b32_e32 v14, 0x1f0, v99
	v_or_b32_e32 v6, 8, v14
	v_min_u32_e32 v37, v36, v6
	v_add_u32_e32 v6, 8, v37
	v_min_u32_e32 v38, v36, v6
	v_and_b32_e32 v6, 12, v99
	v_min_u32_e32 v15, v36, v6
	v_sub_u32_e32 v6, v37, v14
	v_sub_u32_e32 v7, v38, v37
	v_sub_u32_e64 v16, v15, v7 clamp
	v_min_u32_e32 v17, v15, v6
	v_cmp_lt_u32_e32 vcc, v16, v17
	; wave barrier
	flat_store_dwordx4 v[4:5], v[80:83]
	flat_store_dwordx4 v[0:1], v[18:21]
	flat_store_dwordx4 v[4:5], v[10:13] offset:16
	s_waitcnt vmcnt(0) lgkmcnt(0)
	flat_store_dwordx4 v[0:1], v[22:25] offset:16
	; wave barrier
	s_and_saveexec_b64 s[16:17], vcc
	s_cbranch_execz .LBB1138_58
; %bb.55:
	v_lshlrev_b32_e32 v6, 3, v14
	v_add_co_u32_e32 v26, vcc, v34, v6
	v_addc_co_u32_e32 v27, vcc, 0, v35, vcc
	v_lshlrev_b32_e32 v6, 3, v37
	v_add_co_u32_e32 v28, vcc, v34, v6
	v_addc_co_u32_e32 v29, vcc, 0, v35, vcc
	s_mov_b64 s[20:21], 0
	v_mov_b32_e32 v7, 0
.LBB1138_56:                            ; =>This Inner Loop Header: Depth=1
	v_add_u32_e32 v6, v17, v16
	v_lshrrev_b32_e32 v6, 1, v6
	v_lshlrev_b64 v[48:49], 3, v[6:7]
	v_mov_b32_e32 v31, v7
	v_xad_u32 v30, v6, -1, v15
	v_add_co_u32_e32 v48, vcc, v26, v48
	v_addc_co_u32_e32 v49, vcc, v27, v49, vcc
	v_lshlrev_b64 v[30:31], 3, v[30:31]
	v_add_co_u32_e32 v30, vcc, v28, v30
	v_addc_co_u32_e32 v31, vcc, v29, v31, vcc
	flat_load_dwordx2 v[50:51], v[48:49]
	flat_load_dwordx2 v[52:53], v[30:31]
	v_add_u32_e32 v39, 1, v6
	s_waitcnt vmcnt(0) lgkmcnt(0)
	v_add_f64 v[30:31], v[50:51], 0
	v_add_f64 v[48:49], v[52:53], 0
	v_ashrrev_i32_e32 v50, 31, v31
	v_ashrrev_i32_e32 v51, 31, v49
	v_or_b32_e32 v52, 0x80000000, v50
	v_xor_b32_e32 v30, v50, v30
	v_or_b32_e32 v50, 0x80000000, v51
	v_xor_b32_e32 v48, v51, v48
	v_xor_b32_e32 v31, v52, v31
	;; [unrolled: 1-line block ×3, first 2 shown]
	v_cmp_gt_u64_e32 vcc, v[48:49], v[30:31]
	v_cndmask_b32_e32 v17, v17, v6, vcc
	v_cndmask_b32_e32 v16, v39, v16, vcc
	v_cmp_ge_u32_e32 vcc, v16, v17
	s_or_b64 s[20:21], vcc, s[20:21]
	s_andn2_b64 exec, exec, s[20:21]
	s_cbranch_execnz .LBB1138_56
; %bb.57:
	s_or_b64 exec, exec, s[20:21]
.LBB1138_58:
	s_or_b64 exec, exec, s[16:17]
	v_add_u32_e32 v6, v37, v15
	v_add_u32_e32 v14, v16, v14
	v_sub_u32_e32 v16, v6, v16
	v_cmp_le_u32_e32 vcc, v14, v37
	v_cmp_le_u32_e64 s[16:17], v16, v38
	s_or_b64 s[16:17], vcc, s[16:17]
	s_and_saveexec_b64 s[20:21], s[16:17]
	s_cbranch_execz .LBB1138_78
; %bb.59:
	v_cmp_ge_u32_e32 vcc, v14, v37
	v_cmp_lt_u32_e64 s[16:17], v14, v37
                                        ; implicit-def: $vgpr6_vgpr7
	s_and_saveexec_b64 s[22:23], s[16:17]
	s_cbranch_execz .LBB1138_61
; %bb.60:
	v_mov_b32_e32 v15, 0
	v_lshlrev_b64 v[6:7], 3, v[14:15]
	v_add_co_u32_e64 v6, s[16:17], v34, v6
	v_addc_co_u32_e64 v7, s[16:17], v35, v7, s[16:17]
	flat_load_dwordx2 v[6:7], v[6:7]
.LBB1138_61:
	s_or_b64 exec, exec, s[22:23]
	v_cmp_ge_u32_e64 s[22:23], v16, v38
	v_cmp_lt_u32_e64 s[16:17], v16, v38
                                        ; implicit-def: $vgpr12_vgpr13
	s_and_saveexec_b64 s[24:25], s[16:17]
	s_cbranch_execz .LBB1138_63
; %bb.62:
	v_mov_b32_e32 v17, 0
	v_lshlrev_b64 v[10:11], 3, v[16:17]
	v_add_co_u32_e64 v10, s[16:17], v34, v10
	v_addc_co_u32_e64 v11, s[16:17], v35, v11, s[16:17]
	flat_load_dwordx2 v[12:13], v[10:11]
.LBB1138_63:
	s_or_b64 exec, exec, s[24:25]
	s_or_b64 s[24:25], vcc, s[22:23]
	s_mov_b64 s[16:17], -1
	s_xor_b64 s[26:27], s[24:25], -1
	s_and_saveexec_b64 s[24:25], s[26:27]
	s_cbranch_execz .LBB1138_65
; %bb.64:
	s_waitcnt vmcnt(0) lgkmcnt(0)
	v_add_f64 v[10:11], v[12:13], 0
	v_add_f64 v[18:19], v[6:7], 0
	v_ashrrev_i32_e32 v15, 31, v11
	v_or_b32_e32 v17, 0x80000000, v15
	v_xor_b32_e32 v10, v15, v10
	v_ashrrev_i32_e32 v15, 31, v19
	v_xor_b32_e32 v11, v17, v11
	v_or_b32_e32 v17, 0x80000000, v15
	v_xor_b32_e32 v19, v17, v19
	v_xor_b32_e32 v18, v15, v18
	v_cmp_le_u64_e32 vcc, v[10:11], v[18:19]
	s_andn2_b64 s[22:23], s[22:23], exec
	s_and_b64 s[26:27], vcc, exec
	s_or_b64 s[22:23], s[22:23], s[26:27]
.LBB1138_65:
	s_or_b64 exec, exec, s[24:25]
	v_cndmask_b32_e64 v10, v16, v14, s[22:23]
	v_cndmask_b32_e64 v15, v38, v37, s[22:23]
	v_mov_b32_e32 v11, 0
	v_lshlrev_b64 v[18:19], 3, v[10:11]
	v_add_u32_e32 v17, 1, v10
	v_add_u32_e32 v10, -1, v15
	v_min_u32_e32 v10, v17, v10
	v_lshlrev_b64 v[20:21], 3, v[10:11]
	v_add_co_u32_e32 v20, vcc, v34, v20
	v_addc_co_u32_e32 v21, vcc, v35, v21, vcc
	v_add_co_u32_e32 v18, vcc, v32, v18
	flat_load_dwordx2 v[20:21], v[20:21]
	v_addc_co_u32_e32 v19, vcc, v33, v19, vcc
	flat_load_dwordx2 v[18:19], v[18:19]
	v_cndmask_b32_e64 v22, v17, v16, s[22:23]
	v_cndmask_b32_e64 v23, v14, v17, s[22:23]
	v_cmp_lt_u32_e32 vcc, v22, v38
	s_waitcnt vmcnt(0) lgkmcnt(0)
	v_cndmask_b32_e64 v15, v21, v13, s[22:23]
	v_cndmask_b32_e64 v14, v20, v12, s[22:23]
	;; [unrolled: 1-line block ×4, first 2 shown]
	s_and_saveexec_b64 s[24:25], vcc
	s_cbranch_execz .LBB1138_69
; %bb.66:
	v_cmp_lt_u32_e32 vcc, v23, v37
	s_mov_b64 s[26:27], 0
	s_and_saveexec_b64 s[16:17], vcc
	s_cbranch_execz .LBB1138_68
; %bb.67:
	v_add_f64 v[20:21], v[14:15], 0
	v_add_f64 v[24:25], v[16:17], 0
	v_ashrrev_i32_e32 v10, 31, v21
	v_or_b32_e32 v26, 0x80000000, v10
	v_xor_b32_e32 v20, v10, v20
	v_ashrrev_i32_e32 v10, 31, v25
	v_xor_b32_e32 v21, v26, v21
	v_or_b32_e32 v26, 0x80000000, v10
	v_xor_b32_e32 v25, v26, v25
	v_xor_b32_e32 v24, v10, v24
	v_cmp_le_u64_e32 vcc, v[20:21], v[24:25]
	s_and_b64 s[26:27], vcc, exec
.LBB1138_68:
	s_or_b64 exec, exec, s[16:17]
	s_orn2_b64 s[16:17], s[26:27], exec
.LBB1138_69:
	s_or_b64 exec, exec, s[24:25]
	v_cndmask_b32_e64 v10, v22, v23, s[16:17]
	v_cndmask_b32_e64 v24, v38, v37, s[16:17]
	v_lshlrev_b64 v[20:21], 3, v[10:11]
	v_add_u32_e32 v26, 1, v10
	v_add_u32_e32 v10, -1, v24
	v_min_u32_e32 v10, v26, v10
	v_lshlrev_b64 v[10:11], 3, v[10:11]
	v_add_co_u32_e32 v10, vcc, v34, v10
	v_addc_co_u32_e32 v11, vcc, v35, v11, vcc
	flat_load_dwordx2 v[24:25], v[10:11]
	v_add_co_u32_e32 v10, vcc, v32, v20
	v_addc_co_u32_e32 v11, vcc, v33, v21, vcc
	flat_load_dwordx2 v[20:21], v[10:11]
	v_cndmask_b32_e64 v28, v26, v22, s[16:17]
	s_mov_b64 s[24:25], -1
	v_cndmask_b32_e64 v29, v23, v26, s[16:17]
	v_cmp_lt_u32_e32 vcc, v28, v38
	s_mov_b64 s[26:27], -1
	s_waitcnt vmcnt(0) lgkmcnt(0)
	v_cndmask_b32_e64 v11, v25, v15, s[16:17]
	v_cndmask_b32_e64 v10, v24, v14, s[16:17]
	;; [unrolled: 1-line block ×4, first 2 shown]
	s_and_saveexec_b64 s[28:29], vcc
	s_cbranch_execz .LBB1138_73
; %bb.70:
	v_cmp_lt_u32_e32 vcc, v29, v37
	s_mov_b64 s[30:31], 0
	s_and_saveexec_b64 s[26:27], vcc
	s_cbranch_execz .LBB1138_72
; %bb.71:
	v_add_f64 v[22:23], v[10:11], 0
	v_add_f64 v[24:25], v[26:27], 0
	v_ashrrev_i32_e32 v30, 31, v23
	v_or_b32_e32 v31, 0x80000000, v30
	v_xor_b32_e32 v22, v30, v22
	v_ashrrev_i32_e32 v30, 31, v25
	v_xor_b32_e32 v23, v31, v23
	v_or_b32_e32 v31, 0x80000000, v30
	v_xor_b32_e32 v25, v31, v25
	v_xor_b32_e32 v24, v30, v24
	v_cmp_le_u64_e32 vcc, v[22:23], v[24:25]
	s_and_b64 s[30:31], vcc, exec
.LBB1138_72:
	s_or_b64 exec, exec, s[26:27]
	s_orn2_b64 s[26:27], s[30:31], exec
.LBB1138_73:
	s_or_b64 exec, exec, s[28:29]
	v_cndmask_b32_e64 v24, v28, v29, s[26:27]
	v_cndmask_b32_e64 v30, v38, v37, s[26:27]
	v_mov_b32_e32 v25, 0
	v_lshlrev_b64 v[22:23], 3, v[24:25]
	v_add_u32_e32 v39, 1, v24
	v_add_u32_e32 v24, -1, v30
	v_min_u32_e32 v24, v39, v24
	v_lshlrev_b64 v[30:31], 3, v[24:25]
	v_add_co_u32_e32 v30, vcc, v34, v30
	v_addc_co_u32_e32 v31, vcc, v35, v31, vcc
	v_add_co_u32_e32 v22, vcc, v32, v22
	flat_load_dwordx2 v[30:31], v[30:31]
	v_addc_co_u32_e32 v23, vcc, v33, v23, vcc
	flat_load_dwordx2 v[22:23], v[22:23]
	v_cndmask_b32_e64 v24, v39, v28, s[26:27]
	v_cndmask_b32_e64 v39, v29, v39, s[26:27]
	v_cmp_lt_u32_e32 vcc, v24, v38
	s_waitcnt vmcnt(0) lgkmcnt(0)
	v_cndmask_b32_e64 v29, v31, v11, s[26:27]
	v_cndmask_b32_e64 v28, v30, v10, s[26:27]
	;; [unrolled: 1-line block ×4, first 2 shown]
	s_and_saveexec_b64 s[28:29], vcc
	s_cbranch_execz .LBB1138_77
; %bb.74:
	v_cmp_lt_u32_e32 vcc, v39, v37
	s_mov_b64 s[30:31], 0
	s_and_saveexec_b64 s[24:25], vcc
	s_cbranch_execz .LBB1138_76
; %bb.75:
	v_add_f64 v[48:49], v[28:29], 0
	v_add_f64 v[50:51], v[30:31], 0
	v_ashrrev_i32_e32 v37, 31, v49
	v_or_b32_e32 v38, 0x80000000, v37
	v_xor_b32_e32 v48, v37, v48
	v_ashrrev_i32_e32 v37, 31, v51
	v_xor_b32_e32 v49, v38, v49
	v_or_b32_e32 v38, 0x80000000, v37
	v_xor_b32_e32 v51, v38, v51
	v_xor_b32_e32 v50, v37, v50
	v_cmp_le_u64_e32 vcc, v[48:49], v[50:51]
	s_and_b64 s[30:31], vcc, exec
.LBB1138_76:
	s_or_b64 exec, exec, s[24:25]
	s_orn2_b64 s[24:25], s[30:31], exec
.LBB1138_77:
	s_or_b64 exec, exec, s[28:29]
	v_cndmask_b32_e64 v24, v24, v39, s[24:25]
	v_lshlrev_b64 v[24:25], 3, v[24:25]
	v_add_co_u32_e32 v24, vcc, v32, v24
	v_addc_co_u32_e32 v25, vcc, v33, v25, vcc
	flat_load_dwordx2 v[24:25], v[24:25]
	v_cndmask_b32_e64 v11, v11, v27, s[26:27]
	v_cndmask_b32_e64 v10, v10, v26, s[26:27]
	;; [unrolled: 1-line block ×8, first 2 shown]
.LBB1138_78:
	s_or_b64 exec, exec, s[20:21]
	; wave barrier
	flat_store_dwordx4 v[4:5], v[80:83]
	flat_store_dwordx4 v[0:1], v[18:21]
	flat_store_dwordx4 v[4:5], v[10:13] offset:16
	s_waitcnt vmcnt(0) lgkmcnt(0)
	flat_store_dwordx4 v[0:1], v[22:25] offset:16
	v_and_b32_e32 v4, 0x1e0, v99
	v_or_b32_e32 v0, 16, v4
	v_min_u32_e32 v30, v36, v0
	v_add_u32_e32 v0, 16, v30
	v_min_u32_e32 v31, v36, v0
	v_min_u32_e32 v5, v36, v100
	v_sub_u32_e32 v0, v30, v4
	v_sub_u32_e32 v1, v31, v30
	v_sub_u32_e64 v7, v5, v1 clamp
	v_min_u32_e32 v6, v5, v0
	v_cmp_lt_u32_e32 vcc, v7, v6
	; wave barrier
	s_and_saveexec_b64 s[16:17], vcc
	s_cbranch_execz .LBB1138_82
; %bb.79:
	v_lshlrev_b32_e32 v0, 3, v4
	v_add_co_u32_e32 v14, vcc, v34, v0
	v_addc_co_u32_e32 v15, vcc, 0, v35, vcc
	v_lshlrev_b32_e32 v0, 3, v30
	v_add_co_u32_e32 v16, vcc, v34, v0
	v_addc_co_u32_e32 v17, vcc, 0, v35, vcc
	s_mov_b64 s[20:21], 0
	v_mov_b32_e32 v1, 0
.LBB1138_80:                            ; =>This Inner Loop Header: Depth=1
	v_add_u32_e32 v0, v6, v7
	v_lshrrev_b32_e32 v0, 1, v0
	v_lshlrev_b64 v[28:29], 3, v[0:1]
	v_mov_b32_e32 v27, v1
	v_xad_u32 v26, v0, -1, v5
	v_add_co_u32_e32 v28, vcc, v14, v28
	v_addc_co_u32_e32 v29, vcc, v15, v29, vcc
	v_lshlrev_b64 v[26:27], 3, v[26:27]
	v_add_co_u32_e32 v26, vcc, v16, v26
	v_addc_co_u32_e32 v27, vcc, v17, v27, vcc
	flat_load_dwordx2 v[36:37], v[28:29]
	flat_load_dwordx2 v[38:39], v[26:27]
	v_add_u32_e32 v48, 1, v0
	s_waitcnt vmcnt(0) lgkmcnt(0)
	v_add_f64 v[26:27], v[36:37], 0
	v_add_f64 v[28:29], v[38:39], 0
	v_ashrrev_i32_e32 v36, 31, v27
	v_ashrrev_i32_e32 v37, 31, v29
	v_or_b32_e32 v38, 0x80000000, v36
	v_xor_b32_e32 v26, v36, v26
	v_or_b32_e32 v36, 0x80000000, v37
	v_xor_b32_e32 v28, v37, v28
	v_xor_b32_e32 v27, v38, v27
	;; [unrolled: 1-line block ×3, first 2 shown]
	v_cmp_gt_u64_e32 vcc, v[28:29], v[26:27]
	v_cndmask_b32_e32 v6, v6, v0, vcc
	v_cndmask_b32_e32 v7, v48, v7, vcc
	v_cmp_ge_u32_e32 vcc, v7, v6
	s_or_b64 s[20:21], vcc, s[20:21]
	s_andn2_b64 exec, exec, s[20:21]
	s_cbranch_execnz .LBB1138_80
; %bb.81:
	s_or_b64 exec, exec, s[20:21]
.LBB1138_82:
	s_or_b64 exec, exec, s[16:17]
	v_add_u32_e32 v0, v30, v5
	v_add_u32_e32 v6, v7, v4
	v_sub_u32_e32 v14, v0, v7
	v_cmp_le_u32_e32 vcc, v6, v30
	v_cmp_le_u32_e64 s[16:17], v14, v31
	s_or_b64 s[16:17], vcc, s[16:17]
	s_and_saveexec_b64 s[20:21], s[16:17]
	s_cbranch_execz .LBB1138_102
; %bb.83:
	v_cmp_ge_u32_e32 vcc, v6, v30
	v_cmp_lt_u32_e64 s[16:17], v6, v30
                                        ; implicit-def: $vgpr0_vgpr1
	s_and_saveexec_b64 s[22:23], s[16:17]
	s_cbranch_execz .LBB1138_85
; %bb.84:
	v_mov_b32_e32 v7, 0
	v_lshlrev_b64 v[0:1], 3, v[6:7]
	v_add_co_u32_e64 v0, s[16:17], v34, v0
	v_addc_co_u32_e64 v1, s[16:17], v35, v1, s[16:17]
	flat_load_dwordx2 v[0:1], v[0:1]
.LBB1138_85:
	s_or_b64 exec, exec, s[22:23]
	v_cmp_ge_u32_e64 s[22:23], v14, v31
	v_cmp_lt_u32_e64 s[16:17], v14, v31
                                        ; implicit-def: $vgpr4_vgpr5
	s_and_saveexec_b64 s[24:25], s[16:17]
	s_cbranch_execz .LBB1138_87
; %bb.86:
	v_mov_b32_e32 v15, 0
	v_lshlrev_b64 v[4:5], 3, v[14:15]
	v_add_co_u32_e64 v4, s[16:17], v34, v4
	v_addc_co_u32_e64 v5, s[16:17], v35, v5, s[16:17]
	flat_load_dwordx2 v[4:5], v[4:5]
.LBB1138_87:
	s_or_b64 exec, exec, s[24:25]
	s_or_b64 s[24:25], vcc, s[22:23]
	s_mov_b64 s[16:17], -1
	s_xor_b64 s[26:27], s[24:25], -1
	s_and_saveexec_b64 s[24:25], s[26:27]
	s_cbranch_execz .LBB1138_89
; %bb.88:
	s_waitcnt vmcnt(0) lgkmcnt(0)
	v_add_f64 v[10:11], v[4:5], 0
	v_add_f64 v[12:13], v[0:1], 0
	v_ashrrev_i32_e32 v7, 31, v11
	v_or_b32_e32 v15, 0x80000000, v7
	v_xor_b32_e32 v10, v7, v10
	v_ashrrev_i32_e32 v7, 31, v13
	v_xor_b32_e32 v11, v15, v11
	v_or_b32_e32 v15, 0x80000000, v7
	v_xor_b32_e32 v13, v15, v13
	v_xor_b32_e32 v12, v7, v12
	v_cmp_le_u64_e32 vcc, v[10:11], v[12:13]
	s_andn2_b64 s[22:23], s[22:23], exec
	s_and_b64 s[26:27], vcc, exec
	s_or_b64 s[22:23], s[22:23], s[26:27]
.LBB1138_89:
	s_or_b64 exec, exec, s[24:25]
	v_cndmask_b32_e64 v10, v14, v6, s[22:23]
	v_cndmask_b32_e64 v7, v31, v30, s[22:23]
	v_mov_b32_e32 v11, 0
	v_add_u32_e32 v15, 1, v10
	v_add_u32_e32 v7, -1, v7
	v_lshlrev_b64 v[12:13], 3, v[10:11]
	v_min_u32_e32 v10, v15, v7
	v_lshlrev_b64 v[16:17], 3, v[10:11]
	v_add_co_u32_e32 v16, vcc, v34, v16
	v_addc_co_u32_e32 v17, vcc, v35, v17, vcc
	v_add_co_u32_e32 v12, vcc, v32, v12
	flat_load_dwordx2 v[16:17], v[16:17]
	v_addc_co_u32_e32 v13, vcc, v33, v13, vcc
	flat_load_dwordx2 v[18:19], v[12:13]
	v_cndmask_b32_e64 v14, v15, v14, s[22:23]
	v_cndmask_b32_e64 v15, v6, v15, s[22:23]
	v_cmp_lt_u32_e32 vcc, v14, v31
	s_waitcnt vmcnt(0) lgkmcnt(0)
	v_cndmask_b32_e64 v7, v17, v5, s[22:23]
	v_cndmask_b32_e64 v6, v16, v4, s[22:23]
	;; [unrolled: 1-line block ×4, first 2 shown]
	s_and_saveexec_b64 s[24:25], vcc
	s_cbranch_execz .LBB1138_93
; %bb.90:
	v_cmp_lt_u32_e32 vcc, v15, v30
	s_mov_b64 s[26:27], 0
	s_and_saveexec_b64 s[16:17], vcc
	s_cbranch_execz .LBB1138_92
; %bb.91:
	v_add_f64 v[16:17], v[6:7], 0
	v_add_f64 v[20:21], v[12:13], 0
	v_ashrrev_i32_e32 v10, 31, v17
	v_or_b32_e32 v22, 0x80000000, v10
	v_xor_b32_e32 v16, v10, v16
	v_ashrrev_i32_e32 v10, 31, v21
	v_xor_b32_e32 v17, v22, v17
	v_or_b32_e32 v22, 0x80000000, v10
	v_xor_b32_e32 v21, v22, v21
	v_xor_b32_e32 v20, v10, v20
	v_cmp_le_u64_e32 vcc, v[16:17], v[20:21]
	s_and_b64 s[26:27], vcc, exec
.LBB1138_92:
	s_or_b64 exec, exec, s[16:17]
	s_orn2_b64 s[16:17], s[26:27], exec
.LBB1138_93:
	s_or_b64 exec, exec, s[24:25]
	v_cndmask_b32_e64 v10, v14, v15, s[16:17]
	v_cndmask_b32_e64 v20, v31, v30, s[16:17]
	v_lshlrev_b64 v[16:17], 3, v[10:11]
	v_add_u32_e32 v25, 1, v10
	v_add_u32_e32 v10, -1, v20
	v_min_u32_e32 v10, v25, v10
	v_lshlrev_b64 v[10:11], 3, v[10:11]
	v_add_co_u32_e32 v10, vcc, v34, v10
	v_addc_co_u32_e32 v11, vcc, v35, v11, vcc
	flat_load_dwordx2 v[22:23], v[10:11]
	v_add_co_u32_e32 v10, vcc, v32, v16
	v_addc_co_u32_e32 v11, vcc, v33, v17, vcc
	flat_load_dwordx2 v[20:21], v[10:11]
	v_cndmask_b32_e64 v24, v25, v14, s[16:17]
	s_mov_b64 s[24:25], -1
	v_cndmask_b32_e64 v25, v15, v25, s[16:17]
	v_cmp_lt_u32_e32 vcc, v24, v31
	s_mov_b64 s[26:27], -1
	s_waitcnt vmcnt(0) lgkmcnt(0)
	v_cndmask_b32_e64 v11, v23, v7, s[16:17]
	v_cndmask_b32_e64 v10, v22, v6, s[16:17]
	;; [unrolled: 1-line block ×4, first 2 shown]
	s_and_saveexec_b64 s[28:29], vcc
	s_cbranch_execz .LBB1138_97
; %bb.94:
	v_cmp_lt_u32_e32 vcc, v25, v30
	s_mov_b64 s[30:31], 0
	s_and_saveexec_b64 s[26:27], vcc
	s_cbranch_execz .LBB1138_96
; %bb.95:
	v_add_f64 v[16:17], v[10:11], 0
	v_add_f64 v[22:23], v[14:15], 0
	v_ashrrev_i32_e32 v26, 31, v17
	v_or_b32_e32 v27, 0x80000000, v26
	v_xor_b32_e32 v16, v26, v16
	v_ashrrev_i32_e32 v26, 31, v23
	v_xor_b32_e32 v17, v27, v17
	v_or_b32_e32 v27, 0x80000000, v26
	v_xor_b32_e32 v23, v27, v23
	v_xor_b32_e32 v22, v26, v22
	v_cmp_le_u64_e32 vcc, v[16:17], v[22:23]
	s_and_b64 s[30:31], vcc, exec
.LBB1138_96:
	s_or_b64 exec, exec, s[26:27]
	s_orn2_b64 s[26:27], s[30:31], exec
.LBB1138_97:
	s_or_b64 exec, exec, s[28:29]
	v_cndmask_b32_e64 v16, v24, v25, s[26:27]
	v_cndmask_b32_e64 v26, v31, v30, s[26:27]
	v_mov_b32_e32 v17, 0
	v_lshlrev_b64 v[22:23], 3, v[16:17]
	v_add_u32_e32 v36, 1, v16
	v_add_u32_e32 v16, -1, v26
	v_min_u32_e32 v16, v36, v16
	v_lshlrev_b64 v[26:27], 3, v[16:17]
	v_add_co_u32_e32 v26, vcc, v34, v26
	v_addc_co_u32_e32 v27, vcc, v35, v27, vcc
	v_add_co_u32_e32 v22, vcc, v32, v22
	flat_load_dwordx2 v[28:29], v[26:27]
	v_addc_co_u32_e32 v23, vcc, v33, v23, vcc
	flat_load_dwordx2 v[22:23], v[22:23]
	v_cndmask_b32_e64 v16, v36, v24, s[26:27]
	v_cndmask_b32_e64 v24, v25, v36, s[26:27]
	v_cmp_lt_u32_e32 vcc, v16, v31
	s_waitcnt vmcnt(0) lgkmcnt(0)
	v_cndmask_b32_e64 v27, v29, v11, s[26:27]
	v_cndmask_b32_e64 v26, v28, v10, s[26:27]
	;; [unrolled: 1-line block ×4, first 2 shown]
	s_and_saveexec_b64 s[28:29], vcc
	s_cbranch_execz .LBB1138_101
; %bb.98:
	v_cmp_lt_u32_e32 vcc, v24, v30
	s_mov_b64 s[30:31], 0
	s_and_saveexec_b64 s[24:25], vcc
	s_cbranch_execz .LBB1138_100
; %bb.99:
	v_add_f64 v[30:31], v[26:27], 0
	v_add_f64 v[34:35], v[28:29], 0
	v_ashrrev_i32_e32 v25, 31, v31
	v_or_b32_e32 v36, 0x80000000, v25
	v_xor_b32_e32 v30, v25, v30
	v_ashrrev_i32_e32 v25, 31, v35
	v_xor_b32_e32 v31, v36, v31
	v_or_b32_e32 v36, 0x80000000, v25
	v_xor_b32_e32 v35, v36, v35
	v_xor_b32_e32 v34, v25, v34
	v_cmp_le_u64_e32 vcc, v[30:31], v[34:35]
	s_and_b64 s[30:31], vcc, exec
.LBB1138_100:
	s_or_b64 exec, exec, s[24:25]
	s_orn2_b64 s[24:25], s[30:31], exec
.LBB1138_101:
	s_or_b64 exec, exec, s[28:29]
	v_cndmask_b32_e64 v16, v16, v24, s[24:25]
	v_lshlrev_b64 v[16:17], 3, v[16:17]
	v_add_co_u32_e32 v16, vcc, v32, v16
	v_addc_co_u32_e32 v17, vcc, v33, v17, vcc
	flat_load_dwordx2 v[24:25], v[16:17]
	v_cndmask_b32_e64 v11, v11, v15, s[26:27]
	v_cndmask_b32_e64 v10, v10, v14, s[26:27]
	;; [unrolled: 1-line block ×8, first 2 shown]
.LBB1138_102:
	s_or_b64 exec, exec, s[20:21]
	v_add_co_u32_e32 v0, vcc, v2, v96
	v_addc_co_u32_e32 v1, vcc, v3, v97, vcc
	v_add_co_u32_e32 v0, vcc, v0, v98
	v_addc_co_u32_e32 v1, vcc, 0, v1, vcc
	; wave barrier
	s_waitcnt lgkmcnt(0)
	s_barrier
	s_waitcnt lgkmcnt(0)
	; wave barrier
	s_and_saveexec_b64 s[16:17], s[4:5]
	s_cbranch_execnz .LBB1138_222
; %bb.103:
	s_or_b64 exec, exec, s[16:17]
	s_and_saveexec_b64 s[16:17], s[6:7]
	s_cbranch_execnz .LBB1138_223
.LBB1138_104:
	s_or_b64 exec, exec, s[16:17]
	s_and_saveexec_b64 s[16:17], s[10:11]
	s_cbranch_execnz .LBB1138_224
.LBB1138_105:
	s_or_b64 exec, exec, s[16:17]
	s_and_saveexec_b64 s[16:17], s[14:15]
	s_cbranch_execz .LBB1138_107
.LBB1138_106:
	flat_store_dwordx2 v[0:1], v[12:13] offset:24
.LBB1138_107:
	s_or_b64 exec, exec, s[16:17]
	v_add_co_u32_e32 v0, vcc, v8, v96
	v_addc_co_u32_e32 v1, vcc, v9, v97, vcc
	v_add_co_u32_e32 v0, vcc, v0, v98
	v_addc_co_u32_e32 v1, vcc, 0, v1, vcc
	; wave barrier
	s_and_saveexec_b64 s[16:17], s[4:5]
	s_cbranch_execnz .LBB1138_225
; %bb.108:
	s_or_b64 exec, exec, s[16:17]
	s_and_saveexec_b64 s[16:17], s[6:7]
	s_cbranch_execnz .LBB1138_226
.LBB1138_109:
	s_or_b64 exec, exec, s[16:17]
	s_and_saveexec_b64 s[6:7], s[10:11]
	s_cbranch_execz .LBB1138_111
.LBB1138_110:
	flat_store_dwordx2 v[0:1], v[22:23] offset:16
.LBB1138_111:
	s_or_b64 exec, exec, s[6:7]
	s_and_b64 s[16:17], s[14:15], exec
                                        ; implicit-def: $vgpr14
                                        ; implicit-def: $vgpr99
                                        ; implicit-def: $vgpr0_vgpr1
                                        ; implicit-def: $vgpr4
                                        ; implicit-def: $vgpr5
                                        ; implicit-def: $vgpr6
                                        ; implicit-def: $vgpr7
                                        ; implicit-def: $vgpr10
                                        ; implicit-def: $vgpr15
                                        ; implicit-def: $vgpr16
                                        ; implicit-def: $vgpr100
                                        ; implicit-def: $vgpr31
	s_andn2_saveexec_b64 s[18:19], s[18:19]
	s_cbranch_execz .LBB1138_2
.LBB1138_112:
	v_pk_mov_b32 v[86:87], -1, -1
	v_pk_mov_b32 v[84:85], v[86:87], v[86:87] op_sel:[0,1]
	s_and_saveexec_b64 s[6:7], s[4:5]
	s_cbranch_execz .LBB1138_114
; %bb.113:
	flat_load_dwordx2 v[84:85], v[0:1]
.LBB1138_114:
	s_or_b64 exec, exec, s[6:7]
	v_or_b32_e32 v2, 1, v100
	v_cmp_lt_u32_e64 s[6:7], v2, v14
	s_and_saveexec_b64 s[10:11], s[6:7]
	s_cbranch_execz .LBB1138_116
; %bb.115:
	flat_load_dwordx2 v[86:87], v[0:1] offset:8
.LBB1138_116:
	s_or_b64 exec, exec, s[10:11]
	v_or_b32_e32 v2, 2, v100
	v_pk_mov_b32 v[82:83], -1, -1
	v_cmp_lt_u32_e64 s[10:11], v2, v14
	v_pk_mov_b32 v[80:81], v[82:83], v[82:83] op_sel:[0,1]
	s_and_saveexec_b64 s[14:15], s[10:11]
	s_cbranch_execz .LBB1138_118
; %bb.117:
	flat_load_dwordx2 v[80:81], v[0:1] offset:16
.LBB1138_118:
	s_or_b64 exec, exec, s[14:15]
	v_or_b32_e32 v2, 3, v100
	v_cmp_lt_u32_e64 s[14:15], v2, v14
	s_and_saveexec_b64 s[20:21], s[14:15]
	s_cbranch_execz .LBB1138_120
; %bb.119:
	flat_load_dwordx2 v[82:83], v[0:1] offset:24
.LBB1138_120:
	s_or_b64 exec, exec, s[20:21]
	v_add_co_u32_e32 v0, vcc, v6, v96
	v_addc_co_u32_e32 v1, vcc, v7, v97, vcc
	v_add_co_u32_e32 v0, vcc, v0, v98
	v_addc_co_u32_e32 v1, vcc, 0, v1, vcc
	; wave barrier
                                        ; implicit-def: $vgpr18_vgpr19_vgpr20_vgpr21_vgpr22_vgpr23_vgpr24_vgpr25
	s_and_saveexec_b64 s[20:21], s[4:5]
	s_cbranch_execnz .LBB1138_227
; %bb.121:
	s_or_b64 exec, exec, s[20:21]
	s_and_saveexec_b64 s[20:21], s[6:7]
	s_cbranch_execnz .LBB1138_228
.LBB1138_122:
	s_or_b64 exec, exec, s[20:21]
	s_and_saveexec_b64 s[20:21], s[10:11]
	s_cbranch_execnz .LBB1138_229
.LBB1138_123:
	s_or_b64 exec, exec, s[20:21]
	s_and_saveexec_b64 s[20:21], s[14:15]
	s_cbranch_execz .LBB1138_125
.LBB1138_124:
	s_waitcnt vmcnt(0)
	flat_load_dwordx2 v[24:25], v[0:1] offset:24
.LBB1138_125:
	s_or_b64 exec, exec, s[20:21]
	; wave barrier
	s_load_dwordx2 s[20:21], s[8:9], 0x0
	v_mov_b32_e32 v0, 0
	v_bfe_u32 v3, v31, 20, 10
	v_and_b32_e32 v6, 0x3ff, v31
	s_waitcnt lgkmcnt(0)
	s_cmp_lt_u32 s12, s20
	s_cselect_b32 s20, 12, 18
	s_cmp_lt_u32 s13, s21
	s_cselect_b32 s12, 14, 20
	s_add_u32 s12, s8, s12
	s_addc_u32 s13, s9, 0
	s_add_u32 s8, s8, s20
	s_addc_u32 s9, s9, 0
	global_load_ushort v1, v0, s[12:13]
	global_load_ushort v2, v0, s[8:9]
	v_bfe_u32 v0, v31, 10, 10
	s_movk_i32 s8, 0x400
	s_waitcnt vmcnt(0)
	v_mad_u32_u24 v0, v3, v1, v0
	v_mul_lo_u32 v0, v0, v2
	v_add_lshl_u32 v14, v0, v6, 2
	v_cmp_gt_u32_e32 vcc, s8, v14
	s_and_saveexec_b64 s[12:13], vcc
	s_cbranch_execz .LBB1138_137
; %bb.126:
	v_add_f64 v[0:1], v[86:87], 0
	v_add_f64 v[2:3], v[84:85], 0
	v_ashrrev_i32_e32 v6, 31, v1
	v_or_b32_e32 v7, 0x80000000, v6
	v_xor_b32_e32 v0, v6, v0
	v_ashrrev_i32_e32 v6, 31, v3
	v_xor_b32_e32 v1, v7, v1
	v_or_b32_e32 v7, 0x80000000, v6
	v_xor_b32_e32 v3, v7, v3
	v_xor_b32_e32 v2, v6, v2
	v_cmp_gt_u64_e32 vcc, v[0:1], v[2:3]
	v_add_f64 v[2:3], v[82:83], 0
	v_add_f64 v[12:13], v[80:81], 0
	v_ashrrev_i32_e32 v8, 31, v3
	v_or_b32_e32 v9, 0x80000000, v8
	v_xor_b32_e32 v8, v8, v2
	v_ashrrev_i32_e32 v2, 31, v13
	v_xor_b32_e32 v9, v9, v3
	v_or_b32_e32 v3, 0x80000000, v2
	v_cndmask_b32_e32 v7, v21, v19, vcc
	v_cndmask_b32_e32 v6, v20, v18, vcc
	;; [unrolled: 1-line block ×4, first 2 shown]
	v_xor_b32_e32 v21, v3, v13
	v_xor_b32_e32 v20, v2, v12
	v_cmp_gt_u64_e64 s[8:9], v[8:9], v[20:21]
	v_pk_mov_b32 v[2:3], v[80:81], v[80:81] op_sel:[0,1]
	s_and_saveexec_b64 s[20:21], s[8:9]
; %bb.127:
	v_pk_mov_b32 v[12:13], v[22:23], v[22:23] op_sel:[0,1]
	v_pk_mov_b32 v[2:3], v[82:83], v[82:83] op_sel:[0,1]
	;; [unrolled: 1-line block ×6, first 2 shown]
; %bb.128:
	s_or_b64 exec, exec, s[20:21]
	v_cndmask_b32_e32 v19, v87, v85, vcc
	v_cndmask_b32_e32 v18, v86, v84, vcc
	v_add_f64 v[8:9], v[18:19], 0
	v_ashrrev_i32_e32 v12, 31, v9
	v_or_b32_e32 v13, 0x80000000, v12
	v_xor_b32_e32 v13, v13, v9
	v_xor_b32_e32 v12, v12, v8
	v_cmp_le_u64_e64 s[8:9], v[20:21], v[12:13]
                                        ; implicit-def: $vgpr8_vgpr9
	s_and_saveexec_b64 s[20:21], s[8:9]
	s_xor_b64 s[8:9], exec, s[20:21]
                                        ; implicit-def: $vgpr32_vgpr33_vgpr34_vgpr35_vgpr36_vgpr37_vgpr38_vgpr39
                                        ; implicit-def: $vgpr48_vgpr49_vgpr50_vgpr51_vgpr52_vgpr53_vgpr54_vgpr55
                                        ; implicit-def: $vgpr26_vgpr27_vgpr28_vgpr29_vgpr30_vgpr31_vgpr32_vgpr33
                                        ; implicit-def: $vgpr64_vgpr65_vgpr66_vgpr67_vgpr68_vgpr69_vgpr70_vgpr71
; %bb.129:
	v_add_f64 v[8:9], v[2:3], 0
	v_ashrrev_i32_e32 v17, 31, v9
	v_or_b32_e32 v20, 0x80000000, v17
	v_mov_b32_e32 v28, v6
	v_mov_b32_e32 v35, v7
	;; [unrolled: 1-line block ×6, first 2 shown]
	v_xor_b32_e32 v9, v20, v9
	v_xor_b32_e32 v8, v17, v8
                                        ; implicit-def: $vgpr22_vgpr23
                                        ; implicit-def: $vgpr20_vgpr21
; %bb.130:
	s_or_saveexec_b64 s[8:9], s[8:9]
	v_pk_mov_b32 v[26:27], v[18:19], v[18:19] op_sel:[0,1]
	s_xor_b64 exec, exec, s[8:9]
; %bb.131:
	v_mov_b32_e32 v28, v22
	v_mov_b32_e32 v35, v23
	v_mov_b32_e32 v54, v24
	v_mov_b32_e32 v71, v25
	v_pk_mov_b32 v[8:9], v[12:13], v[12:13] op_sel:[0,1]
	v_pk_mov_b32 v[26:27], v[2:3], v[2:3] op_sel:[0,1]
	;; [unrolled: 1-line block ×4, first 2 shown]
; %bb.132:
	s_or_b64 exec, exec, s[8:9]
	v_cndmask_b32_e32 v31, v85, v87, vcc
	v_cndmask_b32_e32 v30, v84, v86, vcc
	v_add_f64 v[18:19], v[30:31], 0
	v_ashrrev_i32_e32 v17, 31, v19
	v_or_b32_e32 v20, 0x80000000, v17
	v_xor_b32_e32 v19, v20, v19
	v_xor_b32_e32 v18, v17, v18
	v_cmp_gt_u64_e32 vcc, v[12:13], v[18:19]
	v_cndmask_b32_e32 v21, v35, v1, vcc
	v_cndmask_b32_e32 v19, v1, v35, vcc
	;; [unrolled: 1-line block ×4, first 2 shown]
	v_add_f64 v[0:1], v[82:83], 0
	v_mov_b32_e32 v22, v6
	v_ashrrev_i32_e32 v6, 31, v1
	v_mov_b32_e32 v23, v7
	v_or_b32_e32 v7, 0x80000000, v6
	v_xor_b32_e32 v7, v7, v1
	v_xor_b32_e32 v6, v6, v0
	v_mov_b32_e32 v24, v54
	v_mov_b32_e32 v25, v71
	v_cmp_gt_u64_e64 s[8:9], v[6:7], v[8:9]
	v_pk_mov_b32 v[0:1], v[2:3], v[2:3] op_sel:[0,1]
	s_and_saveexec_b64 s[20:21], s[8:9]
	s_cbranch_execz .LBB1138_134
; %bb.133:
	v_mov_b32_e32 v32, v18
	v_mov_b32_e32 v33, v19
	;; [unrolled: 1-line block ×8, first 2 shown]
	v_pk_mov_b32 v[18:19], v[32:33], v[32:33] op_sel:[0,1]
	v_pk_mov_b32 v[0:1], v[82:83], v[82:83] op_sel:[0,1]
	;; [unrolled: 1-line block ×7, first 2 shown]
.LBB1138_134:
	s_or_b64 exec, exec, s[20:21]
	v_cndmask_b32_e32 v87, v27, v31, vcc
	v_cndmask_b32_e32 v86, v26, v30, vcc
	v_add_f64 v[2:3], v[86:87], 0
	v_ashrrev_i32_e32 v6, 31, v3
	v_or_b32_e32 v7, 0x80000000, v6
	v_xor_b32_e32 v3, v7, v3
	v_xor_b32_e32 v2, v6, v2
	v_cndmask_b32_e32 v85, v31, v27, vcc
	v_cndmask_b32_e32 v84, v30, v26, vcc
	v_cmp_gt_u64_e32 vcc, v[8:9], v[2:3]
	v_pk_mov_b32 v[80:81], v[0:1], v[0:1] op_sel:[0,1]
	s_and_saveexec_b64 s[8:9], vcc
	s_cbranch_execz .LBB1138_136
; %bb.135:
	v_mov_b32_e32 v26, v18
	v_mov_b32_e32 v27, v19
	;; [unrolled: 1-line block ×8, first 2 shown]
	v_pk_mov_b32 v[18:19], v[26:27], v[26:27] op_sel:[0,1]
	v_pk_mov_b32 v[20:21], v[28:29], v[28:29] op_sel:[0,1]
	;; [unrolled: 1-line block ×6, first 2 shown]
.LBB1138_136:
	s_or_b64 exec, exec, s[8:9]
.LBB1138_137:
	s_or_b64 exec, exec, s[12:13]
	v_and_b32_e32 v6, 0xffffff00, v14
	v_mov_b32_e32 v7, 0
	v_lshlrev_b64 v[0:1], 3, v[6:7]
	v_add_co_u32_e32 v34, vcc, v15, v0
	s_movk_i32 s8, 0x400
	v_addc_co_u32_e32 v35, vcc, v16, v1, vcc
	v_sub_u32_e64 v36, s8, v6 clamp
	v_add_co_u32_e32 v32, vcc, 0x2000, v34
	v_or_b32_e32 v6, 4, v99
	v_addc_co_u32_e32 v33, vcc, 0, v35, vcc
	v_lshlrev_b32_e32 v0, 3, v99
	v_min_u32_e32 v37, v36, v6
	v_add_co_u32_e32 v2, vcc, v34, v0
	v_add_u32_e32 v6, 4, v37
	v_addc_co_u32_e32 v3, vcc, 0, v35, vcc
	v_and_b32_e32 v8, 0x1f8, v99
	v_min_u32_e32 v38, v36, v6
	v_and_b32_e32 v6, 4, v99
	v_add_co_u32_e32 v0, vcc, v32, v0
	v_min_u32_e32 v9, v36, v6
	v_sub_u32_e32 v6, v37, v8
	v_sub_u32_e32 v12, v38, v37
	v_addc_co_u32_e32 v1, vcc, 0, v33, vcc
	v_sub_u32_e64 v13, v9, v12 clamp
	v_min_u32_e32 v12, v9, v6
	v_cmp_lt_u32_e32 vcc, v13, v12
	flat_store_dwordx4 v[2:3], v[84:87]
	flat_store_dwordx4 v[0:1], v[18:21]
	flat_store_dwordx4 v[2:3], v[80:83] offset:16
	flat_store_dwordx4 v[0:1], v[22:25] offset:16
	; wave barrier
	s_and_saveexec_b64 s[8:9], vcc
	s_cbranch_execz .LBB1138_141
; %bb.138:
	v_lshlrev_b32_e32 v6, 3, v8
	v_add_co_u32_e32 v14, vcc, v34, v6
	v_addc_co_u32_e32 v15, vcc, 0, v35, vcc
	v_lshlrev_b32_e32 v6, 3, v37
	v_add_co_u32_e32 v16, vcc, v34, v6
	v_addc_co_u32_e32 v17, vcc, 0, v35, vcc
	s_mov_b64 s[12:13], 0
.LBB1138_139:                           ; =>This Inner Loop Header: Depth=1
	v_add_u32_e32 v6, v12, v13
	v_lshrrev_b32_e32 v6, 1, v6
	v_lshlrev_b64 v[28:29], 3, v[6:7]
	v_mov_b32_e32 v27, v7
	v_xad_u32 v26, v6, -1, v9
	v_add_co_u32_e32 v28, vcc, v14, v28
	v_addc_co_u32_e32 v29, vcc, v15, v29, vcc
	v_lshlrev_b64 v[26:27], 3, v[26:27]
	v_add_co_u32_e32 v26, vcc, v16, v26
	v_addc_co_u32_e32 v27, vcc, v17, v27, vcc
	flat_load_dwordx2 v[30:31], v[28:29]
	flat_load_dwordx2 v[48:49], v[26:27]
	v_add_u32_e32 v39, 1, v6
	s_waitcnt vmcnt(0) lgkmcnt(0)
	v_add_f64 v[26:27], v[30:31], 0
	v_add_f64 v[28:29], v[48:49], 0
	v_ashrrev_i32_e32 v30, 31, v27
	v_ashrrev_i32_e32 v31, 31, v29
	v_or_b32_e32 v48, 0x80000000, v30
	v_xor_b32_e32 v26, v30, v26
	v_or_b32_e32 v30, 0x80000000, v31
	v_xor_b32_e32 v28, v31, v28
	v_xor_b32_e32 v27, v48, v27
	;; [unrolled: 1-line block ×3, first 2 shown]
	v_cmp_gt_u64_e32 vcc, v[28:29], v[26:27]
	v_cndmask_b32_e32 v12, v12, v6, vcc
	v_cndmask_b32_e32 v13, v39, v13, vcc
	v_cmp_ge_u32_e32 vcc, v13, v12
	s_or_b64 s[12:13], vcc, s[12:13]
	s_andn2_b64 exec, exec, s[12:13]
	s_cbranch_execnz .LBB1138_139
; %bb.140:
	s_or_b64 exec, exec, s[12:13]
.LBB1138_141:
	s_or_b64 exec, exec, s[8:9]
	v_add_u32_e32 v6, v37, v9
	v_add_u32_e32 v12, v13, v8
	v_sub_u32_e32 v14, v6, v13
	v_cmp_le_u32_e32 vcc, v12, v37
	v_cmp_le_u32_e64 s[8:9], v14, v38
	s_or_b64 s[8:9], vcc, s[8:9]
	s_and_saveexec_b64 s[12:13], s[8:9]
	s_cbranch_execz .LBB1138_161
; %bb.142:
	v_cmp_ge_u32_e32 vcc, v12, v37
	v_cmp_lt_u32_e64 s[8:9], v12, v37
                                        ; implicit-def: $vgpr6_vgpr7
	s_and_saveexec_b64 s[20:21], s[8:9]
	s_cbranch_execz .LBB1138_144
; %bb.143:
	v_mov_b32_e32 v13, 0
	v_lshlrev_b64 v[6:7], 3, v[12:13]
	v_add_co_u32_e64 v6, s[8:9], v34, v6
	v_addc_co_u32_e64 v7, s[8:9], v35, v7, s[8:9]
	flat_load_dwordx2 v[6:7], v[6:7]
.LBB1138_144:
	s_or_b64 exec, exec, s[20:21]
	v_cmp_ge_u32_e64 s[20:21], v14, v38
	v_cmp_lt_u32_e64 s[8:9], v14, v38
                                        ; implicit-def: $vgpr8_vgpr9
	s_and_saveexec_b64 s[22:23], s[8:9]
	s_cbranch_execz .LBB1138_146
; %bb.145:
	v_mov_b32_e32 v15, 0
	v_lshlrev_b64 v[8:9], 3, v[14:15]
	v_add_co_u32_e64 v8, s[8:9], v34, v8
	v_addc_co_u32_e64 v9, s[8:9], v35, v9, s[8:9]
	flat_load_dwordx2 v[8:9], v[8:9]
.LBB1138_146:
	s_or_b64 exec, exec, s[22:23]
	s_or_b64 s[22:23], vcc, s[20:21]
	s_mov_b64 s[8:9], -1
	s_xor_b64 s[24:25], s[22:23], -1
	s_and_saveexec_b64 s[22:23], s[24:25]
	s_cbranch_execz .LBB1138_148
; %bb.147:
	s_waitcnt vmcnt(0) lgkmcnt(0)
	v_add_f64 v[16:17], v[8:9], 0
	v_add_f64 v[18:19], v[6:7], 0
	v_ashrrev_i32_e32 v13, 31, v17
	v_or_b32_e32 v15, 0x80000000, v13
	v_xor_b32_e32 v16, v13, v16
	v_ashrrev_i32_e32 v13, 31, v19
	v_xor_b32_e32 v17, v15, v17
	v_or_b32_e32 v15, 0x80000000, v13
	v_xor_b32_e32 v19, v15, v19
	v_xor_b32_e32 v18, v13, v18
	v_cmp_le_u64_e32 vcc, v[16:17], v[18:19]
	s_andn2_b64 s[20:21], s[20:21], exec
	s_and_b64 s[24:25], vcc, exec
	s_or_b64 s[20:21], s[20:21], s[24:25]
.LBB1138_148:
	s_or_b64 exec, exec, s[22:23]
	v_cndmask_b32_e64 v16, v14, v12, s[20:21]
	v_cndmask_b32_e64 v13, v38, v37, s[20:21]
	v_mov_b32_e32 v17, 0
	v_add_u32_e32 v15, 1, v16
	v_add_u32_e32 v13, -1, v13
	v_lshlrev_b64 v[18:19], 3, v[16:17]
	v_min_u32_e32 v16, v15, v13
	v_lshlrev_b64 v[20:21], 3, v[16:17]
	v_add_co_u32_e32 v20, vcc, v34, v20
	v_addc_co_u32_e32 v21, vcc, v35, v21, vcc
	v_add_co_u32_e32 v18, vcc, v32, v18
	flat_load_dwordx2 v[20:21], v[20:21]
	v_addc_co_u32_e32 v19, vcc, v33, v19, vcc
	flat_load_dwordx2 v[18:19], v[18:19]
	v_cndmask_b32_e64 v22, v15, v14, s[20:21]
	v_cndmask_b32_e64 v23, v12, v15, s[20:21]
	v_cmp_lt_u32_e32 vcc, v22, v38
	s_waitcnt vmcnt(0) lgkmcnt(0)
	v_cndmask_b32_e64 v13, v21, v9, s[20:21]
	v_cndmask_b32_e64 v12, v20, v8, s[20:21]
	;; [unrolled: 1-line block ×4, first 2 shown]
	s_and_saveexec_b64 s[22:23], vcc
	s_cbranch_execz .LBB1138_152
; %bb.149:
	v_cmp_lt_u32_e32 vcc, v23, v37
	s_mov_b64 s[24:25], 0
	s_and_saveexec_b64 s[8:9], vcc
	s_cbranch_execz .LBB1138_151
; %bb.150:
	v_add_f64 v[20:21], v[12:13], 0
	v_add_f64 v[24:25], v[14:15], 0
	v_ashrrev_i32_e32 v16, 31, v21
	v_or_b32_e32 v26, 0x80000000, v16
	v_xor_b32_e32 v20, v16, v20
	v_ashrrev_i32_e32 v16, 31, v25
	v_xor_b32_e32 v21, v26, v21
	v_or_b32_e32 v26, 0x80000000, v16
	v_xor_b32_e32 v25, v26, v25
	v_xor_b32_e32 v24, v16, v24
	v_cmp_le_u64_e32 vcc, v[20:21], v[24:25]
	s_and_b64 s[24:25], vcc, exec
.LBB1138_151:
	s_or_b64 exec, exec, s[8:9]
	s_orn2_b64 s[8:9], s[24:25], exec
.LBB1138_152:
	s_or_b64 exec, exec, s[22:23]
	v_cndmask_b32_e64 v16, v22, v23, s[8:9]
	v_cndmask_b32_e64 v24, v38, v37, s[8:9]
	v_lshlrev_b64 v[20:21], 3, v[16:17]
	v_add_u32_e32 v26, 1, v16
	v_add_u32_e32 v16, -1, v24
	v_min_u32_e32 v16, v26, v16
	v_lshlrev_b64 v[16:17], 3, v[16:17]
	v_add_co_u32_e32 v16, vcc, v34, v16
	v_addc_co_u32_e32 v17, vcc, v35, v17, vcc
	flat_load_dwordx2 v[24:25], v[16:17]
	v_add_co_u32_e32 v16, vcc, v32, v20
	v_addc_co_u32_e32 v17, vcc, v33, v21, vcc
	flat_load_dwordx2 v[20:21], v[16:17]
	v_cndmask_b32_e64 v28, v26, v22, s[8:9]
	s_mov_b64 s[22:23], -1
	v_cndmask_b32_e64 v29, v23, v26, s[8:9]
	v_cmp_lt_u32_e32 vcc, v28, v38
	s_mov_b64 s[24:25], -1
	s_waitcnt vmcnt(0) lgkmcnt(0)
	v_cndmask_b32_e64 v17, v25, v13, s[8:9]
	v_cndmask_b32_e64 v16, v24, v12, s[8:9]
	;; [unrolled: 1-line block ×4, first 2 shown]
	s_and_saveexec_b64 s[26:27], vcc
	s_cbranch_execz .LBB1138_156
; %bb.153:
	v_cmp_lt_u32_e32 vcc, v29, v37
	s_mov_b64 s[28:29], 0
	s_and_saveexec_b64 s[24:25], vcc
	s_cbranch_execz .LBB1138_155
; %bb.154:
	v_add_f64 v[22:23], v[16:17], 0
	v_add_f64 v[24:25], v[26:27], 0
	v_ashrrev_i32_e32 v30, 31, v23
	v_or_b32_e32 v31, 0x80000000, v30
	v_xor_b32_e32 v22, v30, v22
	v_ashrrev_i32_e32 v30, 31, v25
	v_xor_b32_e32 v23, v31, v23
	v_or_b32_e32 v31, 0x80000000, v30
	v_xor_b32_e32 v25, v31, v25
	v_xor_b32_e32 v24, v30, v24
	v_cmp_le_u64_e32 vcc, v[22:23], v[24:25]
	s_and_b64 s[28:29], vcc, exec
.LBB1138_155:
	s_or_b64 exec, exec, s[24:25]
	s_orn2_b64 s[24:25], s[28:29], exec
.LBB1138_156:
	s_or_b64 exec, exec, s[26:27]
	v_cndmask_b32_e64 v24, v28, v29, s[24:25]
	v_cndmask_b32_e64 v30, v38, v37, s[24:25]
	v_mov_b32_e32 v25, 0
	v_lshlrev_b64 v[22:23], 3, v[24:25]
	v_add_u32_e32 v39, 1, v24
	v_add_u32_e32 v24, -1, v30
	v_min_u32_e32 v24, v39, v24
	v_lshlrev_b64 v[30:31], 3, v[24:25]
	v_add_co_u32_e32 v30, vcc, v34, v30
	v_addc_co_u32_e32 v31, vcc, v35, v31, vcc
	v_add_co_u32_e32 v22, vcc, v32, v22
	flat_load_dwordx2 v[30:31], v[30:31]
	v_addc_co_u32_e32 v23, vcc, v33, v23, vcc
	flat_load_dwordx2 v[22:23], v[22:23]
	v_cndmask_b32_e64 v24, v39, v28, s[24:25]
	v_cndmask_b32_e64 v39, v29, v39, s[24:25]
	v_cmp_lt_u32_e32 vcc, v24, v38
	s_waitcnt vmcnt(0) lgkmcnt(0)
	v_cndmask_b32_e64 v29, v31, v17, s[24:25]
	v_cndmask_b32_e64 v28, v30, v16, s[24:25]
	v_cndmask_b32_e64 v31, v27, v31, s[24:25]
	v_cndmask_b32_e64 v30, v26, v30, s[24:25]
	s_and_saveexec_b64 s[26:27], vcc
	s_cbranch_execz .LBB1138_160
; %bb.157:
	v_cmp_lt_u32_e32 vcc, v39, v37
	s_mov_b64 s[28:29], 0
	s_and_saveexec_b64 s[22:23], vcc
	s_cbranch_execz .LBB1138_159
; %bb.158:
	v_add_f64 v[48:49], v[28:29], 0
	v_add_f64 v[50:51], v[30:31], 0
	v_ashrrev_i32_e32 v37, 31, v49
	v_or_b32_e32 v38, 0x80000000, v37
	v_xor_b32_e32 v48, v37, v48
	v_ashrrev_i32_e32 v37, 31, v51
	v_xor_b32_e32 v49, v38, v49
	v_or_b32_e32 v38, 0x80000000, v37
	v_xor_b32_e32 v51, v38, v51
	v_xor_b32_e32 v50, v37, v50
	v_cmp_le_u64_e32 vcc, v[48:49], v[50:51]
	s_and_b64 s[28:29], vcc, exec
.LBB1138_159:
	s_or_b64 exec, exec, s[22:23]
	s_orn2_b64 s[22:23], s[28:29], exec
.LBB1138_160:
	s_or_b64 exec, exec, s[26:27]
	v_cndmask_b32_e64 v24, v24, v39, s[22:23]
	v_lshlrev_b64 v[24:25], 3, v[24:25]
	v_add_co_u32_e32 v24, vcc, v32, v24
	v_addc_co_u32_e32 v25, vcc, v33, v25, vcc
	flat_load_dwordx2 v[24:25], v[24:25]
	v_cndmask_b32_e64 v81, v17, v27, s[24:25]
	v_cndmask_b32_e64 v80, v16, v26, s[24:25]
	;; [unrolled: 1-line block ×8, first 2 shown]
.LBB1138_161:
	s_or_b64 exec, exec, s[12:13]
	v_and_b32_e32 v8, 0x1f0, v99
	v_or_b32_e32 v6, 8, v8
	v_min_u32_e32 v37, v36, v6
	v_add_u32_e32 v6, 8, v37
	v_min_u32_e32 v38, v36, v6
	v_and_b32_e32 v6, 12, v99
	v_min_u32_e32 v9, v36, v6
	v_sub_u32_e32 v6, v37, v8
	v_sub_u32_e32 v7, v38, v37
	v_sub_u32_e64 v13, v9, v7 clamp
	v_min_u32_e32 v12, v9, v6
	v_cmp_lt_u32_e32 vcc, v13, v12
	; wave barrier
	flat_store_dwordx4 v[2:3], v[84:87]
	flat_store_dwordx4 v[0:1], v[18:21]
	flat_store_dwordx4 v[2:3], v[80:83] offset:16
	s_waitcnt vmcnt(0) lgkmcnt(0)
	flat_store_dwordx4 v[0:1], v[22:25] offset:16
	; wave barrier
	s_and_saveexec_b64 s[8:9], vcc
	s_cbranch_execz .LBB1138_165
; %bb.162:
	v_lshlrev_b32_e32 v6, 3, v8
	v_add_co_u32_e32 v14, vcc, v34, v6
	v_addc_co_u32_e32 v15, vcc, 0, v35, vcc
	v_lshlrev_b32_e32 v6, 3, v37
	v_add_co_u32_e32 v16, vcc, v34, v6
	v_addc_co_u32_e32 v17, vcc, 0, v35, vcc
	s_mov_b64 s[12:13], 0
	v_mov_b32_e32 v7, 0
.LBB1138_163:                           ; =>This Inner Loop Header: Depth=1
	v_add_u32_e32 v6, v12, v13
	v_lshrrev_b32_e32 v6, 1, v6
	v_lshlrev_b64 v[28:29], 3, v[6:7]
	v_mov_b32_e32 v27, v7
	v_xad_u32 v26, v6, -1, v9
	v_add_co_u32_e32 v28, vcc, v14, v28
	v_addc_co_u32_e32 v29, vcc, v15, v29, vcc
	v_lshlrev_b64 v[26:27], 3, v[26:27]
	v_add_co_u32_e32 v26, vcc, v16, v26
	v_addc_co_u32_e32 v27, vcc, v17, v27, vcc
	flat_load_dwordx2 v[30:31], v[28:29]
	flat_load_dwordx2 v[48:49], v[26:27]
	v_add_u32_e32 v39, 1, v6
	s_waitcnt vmcnt(0) lgkmcnt(0)
	v_add_f64 v[26:27], v[30:31], 0
	v_add_f64 v[28:29], v[48:49], 0
	v_ashrrev_i32_e32 v30, 31, v27
	v_ashrrev_i32_e32 v31, 31, v29
	v_or_b32_e32 v48, 0x80000000, v30
	v_xor_b32_e32 v26, v30, v26
	v_or_b32_e32 v30, 0x80000000, v31
	v_xor_b32_e32 v28, v31, v28
	v_xor_b32_e32 v27, v48, v27
	;; [unrolled: 1-line block ×3, first 2 shown]
	v_cmp_gt_u64_e32 vcc, v[28:29], v[26:27]
	v_cndmask_b32_e32 v12, v12, v6, vcc
	v_cndmask_b32_e32 v13, v39, v13, vcc
	v_cmp_ge_u32_e32 vcc, v13, v12
	s_or_b64 s[12:13], vcc, s[12:13]
	s_andn2_b64 exec, exec, s[12:13]
	s_cbranch_execnz .LBB1138_163
; %bb.164:
	s_or_b64 exec, exec, s[12:13]
.LBB1138_165:
	s_or_b64 exec, exec, s[8:9]
	v_add_u32_e32 v6, v37, v9
	v_add_u32_e32 v12, v13, v8
	v_sub_u32_e32 v14, v6, v13
	v_cmp_le_u32_e32 vcc, v12, v37
	v_cmp_le_u32_e64 s[8:9], v14, v38
	s_or_b64 s[8:9], vcc, s[8:9]
	s_and_saveexec_b64 s[12:13], s[8:9]
	s_cbranch_execz .LBB1138_185
; %bb.166:
	v_cmp_ge_u32_e32 vcc, v12, v37
	v_cmp_lt_u32_e64 s[8:9], v12, v37
                                        ; implicit-def: $vgpr6_vgpr7
	s_and_saveexec_b64 s[20:21], s[8:9]
	s_cbranch_execz .LBB1138_168
; %bb.167:
	v_mov_b32_e32 v13, 0
	v_lshlrev_b64 v[6:7], 3, v[12:13]
	v_add_co_u32_e64 v6, s[8:9], v34, v6
	v_addc_co_u32_e64 v7, s[8:9], v35, v7, s[8:9]
	flat_load_dwordx2 v[6:7], v[6:7]
.LBB1138_168:
	s_or_b64 exec, exec, s[20:21]
	v_cmp_ge_u32_e64 s[20:21], v14, v38
	v_cmp_lt_u32_e64 s[8:9], v14, v38
                                        ; implicit-def: $vgpr8_vgpr9
	s_and_saveexec_b64 s[22:23], s[8:9]
	s_cbranch_execz .LBB1138_170
; %bb.169:
	v_mov_b32_e32 v15, 0
	v_lshlrev_b64 v[8:9], 3, v[14:15]
	v_add_co_u32_e64 v8, s[8:9], v34, v8
	v_addc_co_u32_e64 v9, s[8:9], v35, v9, s[8:9]
	flat_load_dwordx2 v[8:9], v[8:9]
.LBB1138_170:
	s_or_b64 exec, exec, s[22:23]
	s_or_b64 s[22:23], vcc, s[20:21]
	s_mov_b64 s[8:9], -1
	s_xor_b64 s[24:25], s[22:23], -1
	s_and_saveexec_b64 s[22:23], s[24:25]
	s_cbranch_execz .LBB1138_172
; %bb.171:
	s_waitcnt vmcnt(0) lgkmcnt(0)
	v_add_f64 v[16:17], v[8:9], 0
	v_add_f64 v[18:19], v[6:7], 0
	v_ashrrev_i32_e32 v13, 31, v17
	v_or_b32_e32 v15, 0x80000000, v13
	v_xor_b32_e32 v16, v13, v16
	v_ashrrev_i32_e32 v13, 31, v19
	v_xor_b32_e32 v17, v15, v17
	v_or_b32_e32 v15, 0x80000000, v13
	v_xor_b32_e32 v19, v15, v19
	v_xor_b32_e32 v18, v13, v18
	v_cmp_le_u64_e32 vcc, v[16:17], v[18:19]
	s_andn2_b64 s[20:21], s[20:21], exec
	s_and_b64 s[24:25], vcc, exec
	s_or_b64 s[20:21], s[20:21], s[24:25]
.LBB1138_172:
	s_or_b64 exec, exec, s[22:23]
	v_cndmask_b32_e64 v16, v14, v12, s[20:21]
	v_cndmask_b32_e64 v13, v38, v37, s[20:21]
	v_mov_b32_e32 v17, 0
	v_add_u32_e32 v15, 1, v16
	v_add_u32_e32 v13, -1, v13
	v_lshlrev_b64 v[18:19], 3, v[16:17]
	v_min_u32_e32 v16, v15, v13
	v_lshlrev_b64 v[20:21], 3, v[16:17]
	v_add_co_u32_e32 v20, vcc, v34, v20
	v_addc_co_u32_e32 v21, vcc, v35, v21, vcc
	v_add_co_u32_e32 v18, vcc, v32, v18
	flat_load_dwordx2 v[20:21], v[20:21]
	v_addc_co_u32_e32 v19, vcc, v33, v19, vcc
	flat_load_dwordx2 v[18:19], v[18:19]
	v_cndmask_b32_e64 v22, v15, v14, s[20:21]
	v_cndmask_b32_e64 v23, v12, v15, s[20:21]
	v_cmp_lt_u32_e32 vcc, v22, v38
	s_waitcnt vmcnt(0) lgkmcnt(0)
	v_cndmask_b32_e64 v13, v21, v9, s[20:21]
	v_cndmask_b32_e64 v12, v20, v8, s[20:21]
	;; [unrolled: 1-line block ×4, first 2 shown]
	s_and_saveexec_b64 s[22:23], vcc
	s_cbranch_execz .LBB1138_176
; %bb.173:
	v_cmp_lt_u32_e32 vcc, v23, v37
	s_mov_b64 s[24:25], 0
	s_and_saveexec_b64 s[8:9], vcc
	s_cbranch_execz .LBB1138_175
; %bb.174:
	v_add_f64 v[20:21], v[12:13], 0
	v_add_f64 v[24:25], v[14:15], 0
	v_ashrrev_i32_e32 v16, 31, v21
	v_or_b32_e32 v26, 0x80000000, v16
	v_xor_b32_e32 v20, v16, v20
	v_ashrrev_i32_e32 v16, 31, v25
	v_xor_b32_e32 v21, v26, v21
	v_or_b32_e32 v26, 0x80000000, v16
	v_xor_b32_e32 v25, v26, v25
	v_xor_b32_e32 v24, v16, v24
	v_cmp_le_u64_e32 vcc, v[20:21], v[24:25]
	s_and_b64 s[24:25], vcc, exec
.LBB1138_175:
	s_or_b64 exec, exec, s[8:9]
	s_orn2_b64 s[8:9], s[24:25], exec
.LBB1138_176:
	s_or_b64 exec, exec, s[22:23]
	v_cndmask_b32_e64 v16, v22, v23, s[8:9]
	v_cndmask_b32_e64 v24, v38, v37, s[8:9]
	v_lshlrev_b64 v[20:21], 3, v[16:17]
	v_add_u32_e32 v26, 1, v16
	v_add_u32_e32 v16, -1, v24
	v_min_u32_e32 v16, v26, v16
	v_lshlrev_b64 v[16:17], 3, v[16:17]
	v_add_co_u32_e32 v16, vcc, v34, v16
	v_addc_co_u32_e32 v17, vcc, v35, v17, vcc
	flat_load_dwordx2 v[24:25], v[16:17]
	v_add_co_u32_e32 v16, vcc, v32, v20
	v_addc_co_u32_e32 v17, vcc, v33, v21, vcc
	flat_load_dwordx2 v[20:21], v[16:17]
	v_cndmask_b32_e64 v28, v26, v22, s[8:9]
	s_mov_b64 s[22:23], -1
	v_cndmask_b32_e64 v29, v23, v26, s[8:9]
	v_cmp_lt_u32_e32 vcc, v28, v38
	s_mov_b64 s[24:25], -1
	s_waitcnt vmcnt(0) lgkmcnt(0)
	v_cndmask_b32_e64 v17, v25, v13, s[8:9]
	v_cndmask_b32_e64 v16, v24, v12, s[8:9]
	;; [unrolled: 1-line block ×4, first 2 shown]
	s_and_saveexec_b64 s[26:27], vcc
	s_cbranch_execz .LBB1138_180
; %bb.177:
	v_cmp_lt_u32_e32 vcc, v29, v37
	s_mov_b64 s[28:29], 0
	s_and_saveexec_b64 s[24:25], vcc
	s_cbranch_execz .LBB1138_179
; %bb.178:
	v_add_f64 v[22:23], v[16:17], 0
	v_add_f64 v[24:25], v[26:27], 0
	v_ashrrev_i32_e32 v30, 31, v23
	v_or_b32_e32 v31, 0x80000000, v30
	v_xor_b32_e32 v22, v30, v22
	v_ashrrev_i32_e32 v30, 31, v25
	v_xor_b32_e32 v23, v31, v23
	v_or_b32_e32 v31, 0x80000000, v30
	v_xor_b32_e32 v25, v31, v25
	v_xor_b32_e32 v24, v30, v24
	v_cmp_le_u64_e32 vcc, v[22:23], v[24:25]
	s_and_b64 s[28:29], vcc, exec
.LBB1138_179:
	s_or_b64 exec, exec, s[24:25]
	s_orn2_b64 s[24:25], s[28:29], exec
.LBB1138_180:
	s_or_b64 exec, exec, s[26:27]
	v_cndmask_b32_e64 v24, v28, v29, s[24:25]
	v_cndmask_b32_e64 v30, v38, v37, s[24:25]
	v_mov_b32_e32 v25, 0
	v_lshlrev_b64 v[22:23], 3, v[24:25]
	v_add_u32_e32 v39, 1, v24
	v_add_u32_e32 v24, -1, v30
	v_min_u32_e32 v24, v39, v24
	v_lshlrev_b64 v[30:31], 3, v[24:25]
	v_add_co_u32_e32 v30, vcc, v34, v30
	v_addc_co_u32_e32 v31, vcc, v35, v31, vcc
	v_add_co_u32_e32 v22, vcc, v32, v22
	flat_load_dwordx2 v[30:31], v[30:31]
	v_addc_co_u32_e32 v23, vcc, v33, v23, vcc
	flat_load_dwordx2 v[22:23], v[22:23]
	v_cndmask_b32_e64 v24, v39, v28, s[24:25]
	v_cndmask_b32_e64 v39, v29, v39, s[24:25]
	v_cmp_lt_u32_e32 vcc, v24, v38
	s_waitcnt vmcnt(0) lgkmcnt(0)
	v_cndmask_b32_e64 v29, v31, v17, s[24:25]
	v_cndmask_b32_e64 v28, v30, v16, s[24:25]
	;; [unrolled: 1-line block ×4, first 2 shown]
	s_and_saveexec_b64 s[26:27], vcc
	s_cbranch_execz .LBB1138_184
; %bb.181:
	v_cmp_lt_u32_e32 vcc, v39, v37
	s_mov_b64 s[28:29], 0
	s_and_saveexec_b64 s[22:23], vcc
	s_cbranch_execz .LBB1138_183
; %bb.182:
	v_add_f64 v[48:49], v[28:29], 0
	v_add_f64 v[50:51], v[30:31], 0
	v_ashrrev_i32_e32 v37, 31, v49
	v_or_b32_e32 v38, 0x80000000, v37
	v_xor_b32_e32 v48, v37, v48
	v_ashrrev_i32_e32 v37, 31, v51
	v_xor_b32_e32 v49, v38, v49
	v_or_b32_e32 v38, 0x80000000, v37
	v_xor_b32_e32 v51, v38, v51
	v_xor_b32_e32 v50, v37, v50
	v_cmp_le_u64_e32 vcc, v[48:49], v[50:51]
	s_and_b64 s[28:29], vcc, exec
.LBB1138_183:
	s_or_b64 exec, exec, s[22:23]
	s_orn2_b64 s[22:23], s[28:29], exec
.LBB1138_184:
	s_or_b64 exec, exec, s[26:27]
	v_cndmask_b32_e64 v24, v24, v39, s[22:23]
	v_lshlrev_b64 v[24:25], 3, v[24:25]
	v_add_co_u32_e32 v24, vcc, v32, v24
	v_addc_co_u32_e32 v25, vcc, v33, v25, vcc
	flat_load_dwordx2 v[24:25], v[24:25]
	v_cndmask_b32_e64 v81, v17, v27, s[24:25]
	v_cndmask_b32_e64 v80, v16, v26, s[24:25]
	;; [unrolled: 1-line block ×8, first 2 shown]
.LBB1138_185:
	s_or_b64 exec, exec, s[12:13]
	; wave barrier
	flat_store_dwordx4 v[2:3], v[84:87]
	flat_store_dwordx4 v[0:1], v[18:21]
	flat_store_dwordx4 v[2:3], v[80:83] offset:16
	s_waitcnt vmcnt(0) lgkmcnt(0)
	flat_store_dwordx4 v[0:1], v[22:25] offset:16
	v_and_b32_e32 v2, 0x1e0, v99
	v_or_b32_e32 v0, 16, v2
	v_min_u32_e32 v30, v36, v0
	v_add_u32_e32 v0, 16, v30
	v_min_u32_e32 v31, v36, v0
	v_min_u32_e32 v3, v36, v100
	v_sub_u32_e32 v0, v30, v2
	v_sub_u32_e32 v1, v31, v30
	v_sub_u32_e64 v7, v3, v1 clamp
	v_min_u32_e32 v6, v3, v0
	v_cmp_lt_u32_e32 vcc, v7, v6
	; wave barrier
	s_and_saveexec_b64 s[8:9], vcc
	s_cbranch_execz .LBB1138_189
; %bb.186:
	v_lshlrev_b32_e32 v0, 3, v2
	v_add_co_u32_e32 v8, vcc, v34, v0
	v_addc_co_u32_e32 v9, vcc, 0, v35, vcc
	v_lshlrev_b32_e32 v0, 3, v30
	v_add_co_u32_e32 v12, vcc, v34, v0
	v_addc_co_u32_e32 v13, vcc, 0, v35, vcc
	s_mov_b64 s[12:13], 0
	v_mov_b32_e32 v1, 0
.LBB1138_187:                           ; =>This Inner Loop Header: Depth=1
	v_add_u32_e32 v0, v6, v7
	v_lshrrev_b32_e32 v0, 1, v0
	v_lshlrev_b64 v[16:17], 3, v[0:1]
	v_mov_b32_e32 v15, v1
	v_xad_u32 v14, v0, -1, v3
	v_add_co_u32_e32 v16, vcc, v8, v16
	v_addc_co_u32_e32 v17, vcc, v9, v17, vcc
	v_lshlrev_b64 v[14:15], 3, v[14:15]
	v_add_co_u32_e32 v14, vcc, v12, v14
	v_addc_co_u32_e32 v15, vcc, v13, v15, vcc
	flat_load_dwordx2 v[26:27], v[16:17]
	flat_load_dwordx2 v[28:29], v[14:15]
	v_add_u32_e32 v36, 1, v0
	s_waitcnt vmcnt(0) lgkmcnt(0)
	v_add_f64 v[14:15], v[26:27], 0
	v_add_f64 v[16:17], v[28:29], 0
	v_ashrrev_i32_e32 v26, 31, v15
	v_ashrrev_i32_e32 v27, 31, v17
	v_or_b32_e32 v28, 0x80000000, v26
	v_xor_b32_e32 v14, v26, v14
	v_or_b32_e32 v26, 0x80000000, v27
	v_xor_b32_e32 v16, v27, v16
	v_xor_b32_e32 v15, v28, v15
	;; [unrolled: 1-line block ×3, first 2 shown]
	v_cmp_gt_u64_e32 vcc, v[16:17], v[14:15]
	v_cndmask_b32_e32 v6, v6, v0, vcc
	v_cndmask_b32_e32 v7, v36, v7, vcc
	v_cmp_ge_u32_e32 vcc, v7, v6
	s_or_b64 s[12:13], vcc, s[12:13]
	s_andn2_b64 exec, exec, s[12:13]
	s_cbranch_execnz .LBB1138_187
; %bb.188:
	s_or_b64 exec, exec, s[12:13]
.LBB1138_189:
	s_or_b64 exec, exec, s[8:9]
	v_add_u32_e32 v0, v30, v3
	v_add_u32_e32 v6, v7, v2
	v_sub_u32_e32 v8, v0, v7
	v_cmp_le_u32_e32 vcc, v6, v30
	v_cmp_le_u32_e64 s[8:9], v8, v31
	s_or_b64 s[8:9], vcc, s[8:9]
	s_and_saveexec_b64 s[12:13], s[8:9]
	s_cbranch_execz .LBB1138_209
; %bb.190:
	v_cmp_ge_u32_e32 vcc, v6, v30
	v_cmp_lt_u32_e64 s[8:9], v6, v30
                                        ; implicit-def: $vgpr0_vgpr1
	s_and_saveexec_b64 s[20:21], s[8:9]
	s_cbranch_execz .LBB1138_192
; %bb.191:
	v_mov_b32_e32 v7, 0
	v_lshlrev_b64 v[0:1], 3, v[6:7]
	v_add_co_u32_e64 v0, s[8:9], v34, v0
	v_addc_co_u32_e64 v1, s[8:9], v35, v1, s[8:9]
	flat_load_dwordx2 v[0:1], v[0:1]
.LBB1138_192:
	s_or_b64 exec, exec, s[20:21]
	v_cmp_ge_u32_e64 s[20:21], v8, v31
	v_cmp_lt_u32_e64 s[8:9], v8, v31
                                        ; implicit-def: $vgpr2_vgpr3
	s_and_saveexec_b64 s[22:23], s[8:9]
	s_cbranch_execz .LBB1138_194
; %bb.193:
	v_mov_b32_e32 v9, 0
	v_lshlrev_b64 v[2:3], 3, v[8:9]
	v_add_co_u32_e64 v2, s[8:9], v34, v2
	v_addc_co_u32_e64 v3, s[8:9], v35, v3, s[8:9]
	flat_load_dwordx2 v[2:3], v[2:3]
.LBB1138_194:
	s_or_b64 exec, exec, s[22:23]
	s_or_b64 s[22:23], vcc, s[20:21]
	s_mov_b64 s[8:9], -1
	s_xor_b64 s[24:25], s[22:23], -1
	s_and_saveexec_b64 s[22:23], s[24:25]
	s_cbranch_execz .LBB1138_196
; %bb.195:
	s_waitcnt vmcnt(0) lgkmcnt(0)
	v_add_f64 v[12:13], v[2:3], 0
	v_add_f64 v[14:15], v[0:1], 0
	v_ashrrev_i32_e32 v7, 31, v13
	v_or_b32_e32 v9, 0x80000000, v7
	v_xor_b32_e32 v12, v7, v12
	v_ashrrev_i32_e32 v7, 31, v15
	v_xor_b32_e32 v13, v9, v13
	v_or_b32_e32 v9, 0x80000000, v7
	v_xor_b32_e32 v15, v9, v15
	v_xor_b32_e32 v14, v7, v14
	v_cmp_le_u64_e32 vcc, v[12:13], v[14:15]
	s_andn2_b64 s[20:21], s[20:21], exec
	s_and_b64 s[24:25], vcc, exec
	s_or_b64 s[20:21], s[20:21], s[24:25]
.LBB1138_196:
	s_or_b64 exec, exec, s[22:23]
	v_cndmask_b32_e64 v12, v8, v6, s[20:21]
	v_cndmask_b32_e64 v7, v31, v30, s[20:21]
	v_mov_b32_e32 v13, 0
	v_add_u32_e32 v9, 1, v12
	v_add_u32_e32 v7, -1, v7
	v_lshlrev_b64 v[14:15], 3, v[12:13]
	v_min_u32_e32 v12, v9, v7
	v_lshlrev_b64 v[16:17], 3, v[12:13]
	v_add_co_u32_e32 v16, vcc, v34, v16
	v_addc_co_u32_e32 v17, vcc, v35, v17, vcc
	v_add_co_u32_e32 v14, vcc, v32, v14
	flat_load_dwordx2 v[16:17], v[16:17]
	v_addc_co_u32_e32 v15, vcc, v33, v15, vcc
	flat_load_dwordx2 v[18:19], v[14:15]
	v_cndmask_b32_e64 v14, v9, v8, s[20:21]
	v_cndmask_b32_e64 v15, v6, v9, s[20:21]
	v_cmp_lt_u32_e32 vcc, v14, v31
	s_waitcnt vmcnt(0) lgkmcnt(0)
	v_cndmask_b32_e64 v7, v17, v3, s[20:21]
	v_cndmask_b32_e64 v6, v16, v2, s[20:21]
	;; [unrolled: 1-line block ×4, first 2 shown]
	s_and_saveexec_b64 s[22:23], vcc
	s_cbranch_execz .LBB1138_200
; %bb.197:
	v_cmp_lt_u32_e32 vcc, v15, v30
	s_mov_b64 s[24:25], 0
	s_and_saveexec_b64 s[8:9], vcc
	s_cbranch_execz .LBB1138_199
; %bb.198:
	v_add_f64 v[16:17], v[6:7], 0
	v_add_f64 v[20:21], v[8:9], 0
	v_ashrrev_i32_e32 v12, 31, v17
	v_or_b32_e32 v22, 0x80000000, v12
	v_xor_b32_e32 v16, v12, v16
	v_ashrrev_i32_e32 v12, 31, v21
	v_xor_b32_e32 v17, v22, v17
	v_or_b32_e32 v22, 0x80000000, v12
	v_xor_b32_e32 v21, v22, v21
	v_xor_b32_e32 v20, v12, v20
	v_cmp_le_u64_e32 vcc, v[16:17], v[20:21]
	s_and_b64 s[24:25], vcc, exec
.LBB1138_199:
	s_or_b64 exec, exec, s[8:9]
	s_orn2_b64 s[8:9], s[24:25], exec
.LBB1138_200:
	s_or_b64 exec, exec, s[22:23]
	v_cndmask_b32_e64 v12, v14, v15, s[8:9]
	v_cndmask_b32_e64 v20, v31, v30, s[8:9]
	v_lshlrev_b64 v[16:17], 3, v[12:13]
	v_add_u32_e32 v25, 1, v12
	v_add_u32_e32 v12, -1, v20
	v_min_u32_e32 v12, v25, v12
	v_lshlrev_b64 v[12:13], 3, v[12:13]
	v_add_co_u32_e32 v12, vcc, v34, v12
	v_addc_co_u32_e32 v13, vcc, v35, v13, vcc
	flat_load_dwordx2 v[22:23], v[12:13]
	v_add_co_u32_e32 v12, vcc, v32, v16
	v_addc_co_u32_e32 v13, vcc, v33, v17, vcc
	flat_load_dwordx2 v[20:21], v[12:13]
	v_cndmask_b32_e64 v24, v25, v14, s[8:9]
	s_mov_b64 s[22:23], -1
	v_cndmask_b32_e64 v25, v15, v25, s[8:9]
	v_cmp_lt_u32_e32 vcc, v24, v31
	s_mov_b64 s[24:25], -1
	s_waitcnt vmcnt(0) lgkmcnt(0)
	v_cndmask_b32_e64 v13, v23, v7, s[8:9]
	v_cndmask_b32_e64 v12, v22, v6, s[8:9]
	v_cndmask_b32_e64 v15, v9, v23, s[8:9]
	v_cndmask_b32_e64 v14, v8, v22, s[8:9]
	s_and_saveexec_b64 s[26:27], vcc
	s_cbranch_execz .LBB1138_204
; %bb.201:
	v_cmp_lt_u32_e32 vcc, v25, v30
	s_mov_b64 s[28:29], 0
	s_and_saveexec_b64 s[24:25], vcc
	s_cbranch_execz .LBB1138_203
; %bb.202:
	v_add_f64 v[16:17], v[12:13], 0
	v_add_f64 v[22:23], v[14:15], 0
	v_ashrrev_i32_e32 v26, 31, v17
	v_or_b32_e32 v27, 0x80000000, v26
	v_xor_b32_e32 v16, v26, v16
	v_ashrrev_i32_e32 v26, 31, v23
	v_xor_b32_e32 v17, v27, v17
	v_or_b32_e32 v27, 0x80000000, v26
	v_xor_b32_e32 v23, v27, v23
	v_xor_b32_e32 v22, v26, v22
	v_cmp_le_u64_e32 vcc, v[16:17], v[22:23]
	s_and_b64 s[28:29], vcc, exec
.LBB1138_203:
	s_or_b64 exec, exec, s[24:25]
	s_orn2_b64 s[24:25], s[28:29], exec
.LBB1138_204:
	s_or_b64 exec, exec, s[26:27]
	v_cndmask_b32_e64 v16, v24, v25, s[24:25]
	v_cndmask_b32_e64 v26, v31, v30, s[24:25]
	v_mov_b32_e32 v17, 0
	v_lshlrev_b64 v[22:23], 3, v[16:17]
	v_add_u32_e32 v36, 1, v16
	v_add_u32_e32 v16, -1, v26
	v_min_u32_e32 v16, v36, v16
	v_lshlrev_b64 v[26:27], 3, v[16:17]
	v_add_co_u32_e32 v26, vcc, v34, v26
	v_addc_co_u32_e32 v27, vcc, v35, v27, vcc
	v_add_co_u32_e32 v22, vcc, v32, v22
	flat_load_dwordx2 v[28:29], v[26:27]
	v_addc_co_u32_e32 v23, vcc, v33, v23, vcc
	flat_load_dwordx2 v[22:23], v[22:23]
	v_cndmask_b32_e64 v16, v36, v24, s[24:25]
	v_cndmask_b32_e64 v24, v25, v36, s[24:25]
	v_cmp_lt_u32_e32 vcc, v16, v31
	s_waitcnt vmcnt(0) lgkmcnt(0)
	v_cndmask_b32_e64 v27, v29, v13, s[24:25]
	v_cndmask_b32_e64 v26, v28, v12, s[24:25]
	v_cndmask_b32_e64 v29, v15, v29, s[24:25]
	v_cndmask_b32_e64 v28, v14, v28, s[24:25]
	s_and_saveexec_b64 s[26:27], vcc
	s_cbranch_execz .LBB1138_208
; %bb.205:
	v_cmp_lt_u32_e32 vcc, v24, v30
	s_mov_b64 s[28:29], 0
	s_and_saveexec_b64 s[22:23], vcc
	s_cbranch_execz .LBB1138_207
; %bb.206:
	v_add_f64 v[30:31], v[26:27], 0
	v_add_f64 v[34:35], v[28:29], 0
	v_ashrrev_i32_e32 v25, 31, v31
	v_or_b32_e32 v36, 0x80000000, v25
	v_xor_b32_e32 v30, v25, v30
	v_ashrrev_i32_e32 v25, 31, v35
	v_xor_b32_e32 v31, v36, v31
	v_or_b32_e32 v36, 0x80000000, v25
	v_xor_b32_e32 v35, v36, v35
	v_xor_b32_e32 v34, v25, v34
	v_cmp_le_u64_e32 vcc, v[30:31], v[34:35]
	s_and_b64 s[28:29], vcc, exec
.LBB1138_207:
	s_or_b64 exec, exec, s[22:23]
	s_orn2_b64 s[22:23], s[28:29], exec
.LBB1138_208:
	s_or_b64 exec, exec, s[26:27]
	v_cndmask_b32_e64 v16, v16, v24, s[22:23]
	v_lshlrev_b64 v[16:17], 3, v[16:17]
	v_add_co_u32_e32 v16, vcc, v32, v16
	v_addc_co_u32_e32 v17, vcc, v33, v17, vcc
	flat_load_dwordx2 v[24:25], v[16:17]
	v_cndmask_b32_e64 v81, v13, v15, s[24:25]
	v_cndmask_b32_e64 v80, v12, v14, s[24:25]
	;; [unrolled: 1-line block ×8, first 2 shown]
.LBB1138_209:
	s_or_b64 exec, exec, s[12:13]
	v_add_co_u32_e32 v0, vcc, v4, v96
	v_addc_co_u32_e32 v1, vcc, v5, v97, vcc
	v_add_co_u32_e32 v0, vcc, v0, v98
	v_addc_co_u32_e32 v1, vcc, 0, v1, vcc
	; wave barrier
	s_waitcnt lgkmcnt(0)
	s_barrier
	s_waitcnt lgkmcnt(0)
	; wave barrier
	s_and_saveexec_b64 s[8:9], s[4:5]
	s_cbranch_execnz .LBB1138_230
; %bb.210:
	s_or_b64 exec, exec, s[8:9]
	s_and_saveexec_b64 s[8:9], s[6:7]
	s_cbranch_execnz .LBB1138_231
.LBB1138_211:
	s_or_b64 exec, exec, s[8:9]
	s_and_saveexec_b64 s[8:9], s[10:11]
	s_cbranch_execnz .LBB1138_232
.LBB1138_212:
	s_or_b64 exec, exec, s[8:9]
	s_and_saveexec_b64 s[8:9], s[14:15]
	s_cbranch_execz .LBB1138_214
.LBB1138_213:
	flat_store_dwordx2 v[0:1], v[82:83] offset:24
.LBB1138_214:
	s_or_b64 exec, exec, s[8:9]
	v_add_co_u32_e32 v0, vcc, v10, v96
	v_addc_co_u32_e32 v1, vcc, v11, v97, vcc
	v_add_co_u32_e32 v0, vcc, v0, v98
	v_addc_co_u32_e32 v1, vcc, 0, v1, vcc
	; wave barrier
	s_and_saveexec_b64 s[8:9], s[4:5]
	s_cbranch_execnz .LBB1138_233
; %bb.215:
	s_or_b64 exec, exec, s[8:9]
	s_and_saveexec_b64 s[4:5], s[6:7]
	s_cbranch_execnz .LBB1138_234
.LBB1138_216:
	s_or_b64 exec, exec, s[4:5]
	s_and_saveexec_b64 s[4:5], s[10:11]
	s_cbranch_execz .LBB1138_218
.LBB1138_217:
	flat_store_dwordx2 v[0:1], v[22:23] offset:16
.LBB1138_218:
	s_or_b64 exec, exec, s[4:5]
	s_andn2_b64 s[4:5], s[16:17], exec
	s_and_b64 s[6:7], s[14:15], exec
	s_or_b64 s[16:17], s[4:5], s[6:7]
	v_pk_mov_b32 v[8:9], v[10:11], v[10:11] op_sel:[0,1]
	s_or_b64 exec, exec, s[18:19]
	s_and_saveexec_b64 s[4:5], s[16:17]
	s_cbranch_execnz .LBB1138_3
	s_branch .LBB1138_4
.LBB1138_219:
	flat_load_dwordx2 v[18:19], v[0:1]
	s_or_b64 exec, exec, s[16:17]
	s_and_saveexec_b64 s[16:17], s[6:7]
	s_cbranch_execz .LBB1138_15
.LBB1138_220:
	flat_load_dwordx2 v[20:21], v[0:1] offset:8
	s_or_b64 exec, exec, s[16:17]
	s_and_saveexec_b64 s[16:17], s[10:11]
	s_cbranch_execz .LBB1138_16
.LBB1138_221:
	flat_load_dwordx2 v[22:23], v[0:1] offset:16
	s_or_b64 exec, exec, s[16:17]
	s_and_saveexec_b64 s[16:17], s[14:15]
	s_cbranch_execnz .LBB1138_17
	s_branch .LBB1138_18
.LBB1138_222:
	flat_store_dwordx2 v[0:1], v[80:81]
	s_or_b64 exec, exec, s[16:17]
	s_and_saveexec_b64 s[16:17], s[6:7]
	s_cbranch_execz .LBB1138_104
.LBB1138_223:
	flat_store_dwordx2 v[0:1], v[82:83] offset:8
	s_or_b64 exec, exec, s[16:17]
	s_and_saveexec_b64 s[16:17], s[10:11]
	s_cbranch_execz .LBB1138_105
.LBB1138_224:
	flat_store_dwordx2 v[0:1], v[10:11] offset:16
	s_or_b64 exec, exec, s[16:17]
	s_and_saveexec_b64 s[16:17], s[14:15]
	s_cbranch_execnz .LBB1138_106
	s_branch .LBB1138_107
.LBB1138_225:
	flat_store_dwordx2 v[0:1], v[18:19]
	s_or_b64 exec, exec, s[16:17]
	s_and_saveexec_b64 s[16:17], s[6:7]
	s_cbranch_execz .LBB1138_109
.LBB1138_226:
	flat_store_dwordx2 v[0:1], v[20:21] offset:8
	s_or_b64 exec, exec, s[16:17]
	s_and_saveexec_b64 s[6:7], s[10:11]
	s_cbranch_execnz .LBB1138_110
	s_branch .LBB1138_111
.LBB1138_227:
	flat_load_dwordx2 v[18:19], v[0:1]
	s_or_b64 exec, exec, s[20:21]
	s_and_saveexec_b64 s[20:21], s[6:7]
	s_cbranch_execz .LBB1138_122
.LBB1138_228:
	flat_load_dwordx2 v[20:21], v[0:1] offset:8
	s_or_b64 exec, exec, s[20:21]
	s_and_saveexec_b64 s[20:21], s[10:11]
	s_cbranch_execz .LBB1138_123
.LBB1138_229:
	flat_load_dwordx2 v[22:23], v[0:1] offset:16
	s_or_b64 exec, exec, s[20:21]
	s_and_saveexec_b64 s[20:21], s[14:15]
	s_cbranch_execnz .LBB1138_124
	s_branch .LBB1138_125
.LBB1138_230:
	flat_store_dwordx2 v[0:1], v[84:85]
	s_or_b64 exec, exec, s[8:9]
	s_and_saveexec_b64 s[8:9], s[6:7]
	s_cbranch_execz .LBB1138_211
.LBB1138_231:
	flat_store_dwordx2 v[0:1], v[86:87] offset:8
	s_or_b64 exec, exec, s[8:9]
	s_and_saveexec_b64 s[8:9], s[10:11]
	s_cbranch_execz .LBB1138_212
.LBB1138_232:
	flat_store_dwordx2 v[0:1], v[80:81] offset:16
	s_or_b64 exec, exec, s[8:9]
	s_and_saveexec_b64 s[8:9], s[14:15]
	s_cbranch_execnz .LBB1138_213
	s_branch .LBB1138_214
.LBB1138_233:
	flat_store_dwordx2 v[0:1], v[18:19]
	s_or_b64 exec, exec, s[8:9]
	s_and_saveexec_b64 s[4:5], s[6:7]
	s_cbranch_execz .LBB1138_216
.LBB1138_234:
	flat_store_dwordx2 v[0:1], v[20:21] offset:8
	s_or_b64 exec, exec, s[4:5]
	s_and_saveexec_b64 s[4:5], s[10:11]
	s_cbranch_execnz .LBB1138_217
	s_branch .LBB1138_218
.Lfunc_end1138:
	.size	_ZN7rocprim17ROCPRIM_400000_NS6detail26segmented_warp_sort_helperINS1_20WarpSortHelperConfigILj8ELj4ELj256EEEdlLi256ELb1EvE4sortIPKdPdPKlPlEEvT_S9_T0_T1_SC_T2_bjjjjRNS5_12storage_typeE, .Lfunc_end1138-_ZN7rocprim17ROCPRIM_400000_NS6detail26segmented_warp_sort_helperINS1_20WarpSortHelperConfigILj8ELj4ELj256EEEdlLi256ELb1EvE4sortIPKdPdPKlPlEEvT_S9_T0_T1_SC_T2_bjjjjRNS5_12storage_typeE
                                        ; -- End function
	.section	.AMDGPU.csdata,"",@progbits
; Function info:
; codeLenInByte = 11456
; NumSgprs: 37
; NumVgprs: 101
; NumAgprs: 0
; TotalNumVgprs: 101
; ScratchSize: 8
; MemoryBound: 1
	.section	.text._ZN7rocprim17ROCPRIM_400000_NS6detail17trampoline_kernelINS0_14default_configENS1_36segmented_radix_sort_config_selectorIdlEEZNS1_25segmented_radix_sort_implIS3_Lb1EPKdPdPKlPlN2at6native12_GLOBAL__N_18offset_tEEE10hipError_tPvRmT1_PNSt15iterator_traitsISK_E10value_typeET2_T3_PNSL_ISQ_E10value_typeET4_jRbjT5_SW_jjP12ihipStream_tbEUlT_E1_NS1_11comp_targetILNS1_3genE4ELNS1_11target_archE910ELNS1_3gpuE8ELNS1_3repE0EEENS1_59segmented_radix_sort_warp_sort_small_config_static_selectorELNS0_4arch9wavefront6targetE1EEEvSK_,"axG",@progbits,_ZN7rocprim17ROCPRIM_400000_NS6detail17trampoline_kernelINS0_14default_configENS1_36segmented_radix_sort_config_selectorIdlEEZNS1_25segmented_radix_sort_implIS3_Lb1EPKdPdPKlPlN2at6native12_GLOBAL__N_18offset_tEEE10hipError_tPvRmT1_PNSt15iterator_traitsISK_E10value_typeET2_T3_PNSL_ISQ_E10value_typeET4_jRbjT5_SW_jjP12ihipStream_tbEUlT_E1_NS1_11comp_targetILNS1_3genE4ELNS1_11target_archE910ELNS1_3gpuE8ELNS1_3repE0EEENS1_59segmented_radix_sort_warp_sort_small_config_static_selectorELNS0_4arch9wavefront6targetE1EEEvSK_,comdat
	.globl	_ZN7rocprim17ROCPRIM_400000_NS6detail17trampoline_kernelINS0_14default_configENS1_36segmented_radix_sort_config_selectorIdlEEZNS1_25segmented_radix_sort_implIS3_Lb1EPKdPdPKlPlN2at6native12_GLOBAL__N_18offset_tEEE10hipError_tPvRmT1_PNSt15iterator_traitsISK_E10value_typeET2_T3_PNSL_ISQ_E10value_typeET4_jRbjT5_SW_jjP12ihipStream_tbEUlT_E1_NS1_11comp_targetILNS1_3genE4ELNS1_11target_archE910ELNS1_3gpuE8ELNS1_3repE0EEENS1_59segmented_radix_sort_warp_sort_small_config_static_selectorELNS0_4arch9wavefront6targetE1EEEvSK_ ; -- Begin function _ZN7rocprim17ROCPRIM_400000_NS6detail17trampoline_kernelINS0_14default_configENS1_36segmented_radix_sort_config_selectorIdlEEZNS1_25segmented_radix_sort_implIS3_Lb1EPKdPdPKlPlN2at6native12_GLOBAL__N_18offset_tEEE10hipError_tPvRmT1_PNSt15iterator_traitsISK_E10value_typeET2_T3_PNSL_ISQ_E10value_typeET4_jRbjT5_SW_jjP12ihipStream_tbEUlT_E1_NS1_11comp_targetILNS1_3genE4ELNS1_11target_archE910ELNS1_3gpuE8ELNS1_3repE0EEENS1_59segmented_radix_sort_warp_sort_small_config_static_selectorELNS0_4arch9wavefront6targetE1EEEvSK_
	.p2align	8
	.type	_ZN7rocprim17ROCPRIM_400000_NS6detail17trampoline_kernelINS0_14default_configENS1_36segmented_radix_sort_config_selectorIdlEEZNS1_25segmented_radix_sort_implIS3_Lb1EPKdPdPKlPlN2at6native12_GLOBAL__N_18offset_tEEE10hipError_tPvRmT1_PNSt15iterator_traitsISK_E10value_typeET2_T3_PNSL_ISQ_E10value_typeET4_jRbjT5_SW_jjP12ihipStream_tbEUlT_E1_NS1_11comp_targetILNS1_3genE4ELNS1_11target_archE910ELNS1_3gpuE8ELNS1_3repE0EEENS1_59segmented_radix_sort_warp_sort_small_config_static_selectorELNS0_4arch9wavefront6targetE1EEEvSK_,@function
_ZN7rocprim17ROCPRIM_400000_NS6detail17trampoline_kernelINS0_14default_configENS1_36segmented_radix_sort_config_selectorIdlEEZNS1_25segmented_radix_sort_implIS3_Lb1EPKdPdPKlPlN2at6native12_GLOBAL__N_18offset_tEEE10hipError_tPvRmT1_PNSt15iterator_traitsISK_E10value_typeET2_T3_PNSL_ISQ_E10value_typeET4_jRbjT5_SW_jjP12ihipStream_tbEUlT_E1_NS1_11comp_targetILNS1_3genE4ELNS1_11target_archE910ELNS1_3gpuE8ELNS1_3repE0EEENS1_59segmented_radix_sort_warp_sort_small_config_static_selectorELNS0_4arch9wavefront6targetE1EEEvSK_: ; @_ZN7rocprim17ROCPRIM_400000_NS6detail17trampoline_kernelINS0_14default_configENS1_36segmented_radix_sort_config_selectorIdlEEZNS1_25segmented_radix_sort_implIS3_Lb1EPKdPdPKlPlN2at6native12_GLOBAL__N_18offset_tEEE10hipError_tPvRmT1_PNSt15iterator_traitsISK_E10value_typeET2_T3_PNSL_ISQ_E10value_typeET4_jRbjT5_SW_jjP12ihipStream_tbEUlT_E1_NS1_11comp_targetILNS1_3genE4ELNS1_11target_archE910ELNS1_3gpuE8ELNS1_3repE0EEENS1_59segmented_radix_sort_warp_sort_small_config_static_selectorELNS0_4arch9wavefront6targetE1EEEvSK_
; %bb.0:
	s_add_u32 flat_scratch_lo, s6, s10
	s_mov_b32 s12, s8
	s_load_dword s6, s[4:5], 0x64
	s_load_dword s8, s[4:5], 0x34
	s_addc_u32 flat_scratch_hi, s7, 0
	s_add_u32 s0, s0, s10
	s_addc_u32 s1, s1, 0
	s_waitcnt lgkmcnt(0)
	s_lshr_b32 s7, s6, 16
	v_bfe_u32 v1, v0, 10, 10
	v_bfe_u32 v2, v0, 20, 10
	s_and_b32 s6, s6, 0xffff
	v_mad_u32_u24 v1, v2, s7, v1
	v_and_b32_e32 v2, 0x3ff, v0
	v_mad_u64_u32 v[2:3], s[6:7], v1, s6, v[2:3]
	v_lshrrev_b32_e32 v1, 3, v2
	v_lshl_add_u32 v2, s12, 5, v1
	v_cmp_gt_u32_e32 vcc, s8, v2
	s_mov_b32 s32, 0
	s_and_saveexec_b64 s[6:7], vcc
	s_cbranch_execz .LBB1139_3
; %bb.1:
	s_mov_b32 s13, s9
	s_load_dwordx2 s[6:7], s[4:5], 0x38
	s_load_dwordx4 s[8:11], s[4:5], 0x40
	v_mov_b32_e32 v3, 0
	v_lshlrev_b64 v[2:3], 2, v[2:3]
	s_waitcnt lgkmcnt(0)
	v_mov_b32_e32 v1, s7
	v_sub_co_u32_e32 v2, vcc, s6, v2
	v_subb_co_u32_e32 v3, vcc, v1, v3, vcc
	global_load_dword v1, v[2:3], off offset:-4
	s_waitcnt vmcnt(0)
	v_add_u32_e32 v2, s9, v1
	v_add_u32_e32 v1, s11, v1
	v_mul_lo_u32 v13, v2, s8
	v_mul_lo_u32 v14, v1, s10
	v_cmp_gt_u32_e32 vcc, v14, v13
	s_and_b64 exec, exec, vcc
	s_cbranch_execz .LBB1139_3
; %bb.2:
	s_load_dword s6, s[4:5], 0x30
	s_load_dwordx4 s[24:27], s[4:5], 0x20
	s_load_dwordx8 s[16:23], s[4:5], 0x0
	s_add_u32 s8, s4, 0x58
	s_addc_u32 s9, s5, 0
	s_waitcnt lgkmcnt(0)
	s_and_b32 s10, s6, 1
	s_mov_b64 s[4:5], src_shared_base
	v_mov_b32_e32 v31, v0
	v_mov_b32_e32 v0, s16
	;; [unrolled: 1-line block ×16, first 2 shown]
	s_getpc_b64 s[6:7]
	s_add_u32 s6, s6, _ZN7rocprim17ROCPRIM_400000_NS6detail26segmented_warp_sort_helperINS1_20WarpSortHelperConfigILj8ELj4ELj256EEEdlLi256ELb1EvE4sortIPKdPdPKlPlEEvT_S9_T0_T1_SC_T2_bjjjjRNS5_12storage_typeE@rel32@lo+4
	s_addc_u32 s7, s7, _ZN7rocprim17ROCPRIM_400000_NS6detail26segmented_warp_sort_helperINS1_20WarpSortHelperConfigILj8ELj4ELj256EEEdlLi256ELb1EvE4sortIPKdPdPKlPlEEvT_S9_T0_T1_SC_T2_bjjjjRNS5_12storage_typeE@rel32@hi+12
	s_swappc_b64 s[30:31], s[6:7]
.LBB1139_3:
	s_endpgm
	.section	.rodata,"a",@progbits
	.p2align	6, 0x0
	.amdhsa_kernel _ZN7rocprim17ROCPRIM_400000_NS6detail17trampoline_kernelINS0_14default_configENS1_36segmented_radix_sort_config_selectorIdlEEZNS1_25segmented_radix_sort_implIS3_Lb1EPKdPdPKlPlN2at6native12_GLOBAL__N_18offset_tEEE10hipError_tPvRmT1_PNSt15iterator_traitsISK_E10value_typeET2_T3_PNSL_ISQ_E10value_typeET4_jRbjT5_SW_jjP12ihipStream_tbEUlT_E1_NS1_11comp_targetILNS1_3genE4ELNS1_11target_archE910ELNS1_3gpuE8ELNS1_3repE0EEENS1_59segmented_radix_sort_warp_sort_small_config_static_selectorELNS0_4arch9wavefront6targetE1EEEvSK_
		.amdhsa_group_segment_fixed_size 16384
		.amdhsa_private_segment_fixed_size 8
		.amdhsa_kernarg_size 344
		.amdhsa_user_sgpr_count 8
		.amdhsa_user_sgpr_private_segment_buffer 1
		.amdhsa_user_sgpr_dispatch_ptr 0
		.amdhsa_user_sgpr_queue_ptr 0
		.amdhsa_user_sgpr_kernarg_segment_ptr 1
		.amdhsa_user_sgpr_dispatch_id 0
		.amdhsa_user_sgpr_flat_scratch_init 1
		.amdhsa_user_sgpr_kernarg_preload_length 0
		.amdhsa_user_sgpr_kernarg_preload_offset 0
		.amdhsa_user_sgpr_private_segment_size 0
		.amdhsa_uses_dynamic_stack 0
		.amdhsa_system_sgpr_private_segment_wavefront_offset 1
		.amdhsa_system_sgpr_workgroup_id_x 1
		.amdhsa_system_sgpr_workgroup_id_y 1
		.amdhsa_system_sgpr_workgroup_id_z 0
		.amdhsa_system_sgpr_workgroup_info 0
		.amdhsa_system_vgpr_workitem_id 2
		.amdhsa_next_free_vgpr 101
		.amdhsa_next_free_sgpr 33
		.amdhsa_accum_offset 104
		.amdhsa_reserve_vcc 1
		.amdhsa_reserve_flat_scratch 1
		.amdhsa_float_round_mode_32 0
		.amdhsa_float_round_mode_16_64 0
		.amdhsa_float_denorm_mode_32 3
		.amdhsa_float_denorm_mode_16_64 3
		.amdhsa_dx10_clamp 1
		.amdhsa_ieee_mode 1
		.amdhsa_fp16_overflow 0
		.amdhsa_tg_split 0
		.amdhsa_exception_fp_ieee_invalid_op 0
		.amdhsa_exception_fp_denorm_src 0
		.amdhsa_exception_fp_ieee_div_zero 0
		.amdhsa_exception_fp_ieee_overflow 0
		.amdhsa_exception_fp_ieee_underflow 0
		.amdhsa_exception_fp_ieee_inexact 0
		.amdhsa_exception_int_div_zero 0
	.end_amdhsa_kernel
	.section	.text._ZN7rocprim17ROCPRIM_400000_NS6detail17trampoline_kernelINS0_14default_configENS1_36segmented_radix_sort_config_selectorIdlEEZNS1_25segmented_radix_sort_implIS3_Lb1EPKdPdPKlPlN2at6native12_GLOBAL__N_18offset_tEEE10hipError_tPvRmT1_PNSt15iterator_traitsISK_E10value_typeET2_T3_PNSL_ISQ_E10value_typeET4_jRbjT5_SW_jjP12ihipStream_tbEUlT_E1_NS1_11comp_targetILNS1_3genE4ELNS1_11target_archE910ELNS1_3gpuE8ELNS1_3repE0EEENS1_59segmented_radix_sort_warp_sort_small_config_static_selectorELNS0_4arch9wavefront6targetE1EEEvSK_,"axG",@progbits,_ZN7rocprim17ROCPRIM_400000_NS6detail17trampoline_kernelINS0_14default_configENS1_36segmented_radix_sort_config_selectorIdlEEZNS1_25segmented_radix_sort_implIS3_Lb1EPKdPdPKlPlN2at6native12_GLOBAL__N_18offset_tEEE10hipError_tPvRmT1_PNSt15iterator_traitsISK_E10value_typeET2_T3_PNSL_ISQ_E10value_typeET4_jRbjT5_SW_jjP12ihipStream_tbEUlT_E1_NS1_11comp_targetILNS1_3genE4ELNS1_11target_archE910ELNS1_3gpuE8ELNS1_3repE0EEENS1_59segmented_radix_sort_warp_sort_small_config_static_selectorELNS0_4arch9wavefront6targetE1EEEvSK_,comdat
.Lfunc_end1139:
	.size	_ZN7rocprim17ROCPRIM_400000_NS6detail17trampoline_kernelINS0_14default_configENS1_36segmented_radix_sort_config_selectorIdlEEZNS1_25segmented_radix_sort_implIS3_Lb1EPKdPdPKlPlN2at6native12_GLOBAL__N_18offset_tEEE10hipError_tPvRmT1_PNSt15iterator_traitsISK_E10value_typeET2_T3_PNSL_ISQ_E10value_typeET4_jRbjT5_SW_jjP12ihipStream_tbEUlT_E1_NS1_11comp_targetILNS1_3genE4ELNS1_11target_archE910ELNS1_3gpuE8ELNS1_3repE0EEENS1_59segmented_radix_sort_warp_sort_small_config_static_selectorELNS0_4arch9wavefront6targetE1EEEvSK_, .Lfunc_end1139-_ZN7rocprim17ROCPRIM_400000_NS6detail17trampoline_kernelINS0_14default_configENS1_36segmented_radix_sort_config_selectorIdlEEZNS1_25segmented_radix_sort_implIS3_Lb1EPKdPdPKlPlN2at6native12_GLOBAL__N_18offset_tEEE10hipError_tPvRmT1_PNSt15iterator_traitsISK_E10value_typeET2_T3_PNSL_ISQ_E10value_typeET4_jRbjT5_SW_jjP12ihipStream_tbEUlT_E1_NS1_11comp_targetILNS1_3genE4ELNS1_11target_archE910ELNS1_3gpuE8ELNS1_3repE0EEENS1_59segmented_radix_sort_warp_sort_small_config_static_selectorELNS0_4arch9wavefront6targetE1EEEvSK_
                                        ; -- End function
	.section	.AMDGPU.csdata,"",@progbits
; Kernel info:
; codeLenInByte = 356
; NumSgprs: 39
; NumVgprs: 101
; NumAgprs: 0
; TotalNumVgprs: 101
; ScratchSize: 8
; MemoryBound: 0
; FloatMode: 240
; IeeeMode: 1
; LDSByteSize: 16384 bytes/workgroup (compile time only)
; SGPRBlocks: 4
; VGPRBlocks: 12
; NumSGPRsForWavesPerEU: 39
; NumVGPRsForWavesPerEU: 101
; AccumOffset: 104
; Occupancy: 4
; WaveLimiterHint : 0
; COMPUTE_PGM_RSRC2:SCRATCH_EN: 1
; COMPUTE_PGM_RSRC2:USER_SGPR: 8
; COMPUTE_PGM_RSRC2:TRAP_HANDLER: 0
; COMPUTE_PGM_RSRC2:TGID_X_EN: 1
; COMPUTE_PGM_RSRC2:TGID_Y_EN: 1
; COMPUTE_PGM_RSRC2:TGID_Z_EN: 0
; COMPUTE_PGM_RSRC2:TIDIG_COMP_CNT: 2
; COMPUTE_PGM_RSRC3_GFX90A:ACCUM_OFFSET: 25
; COMPUTE_PGM_RSRC3_GFX90A:TG_SPLIT: 0
	.section	.text._ZN7rocprim17ROCPRIM_400000_NS6detail17trampoline_kernelINS0_14default_configENS1_36segmented_radix_sort_config_selectorIdlEEZNS1_25segmented_radix_sort_implIS3_Lb1EPKdPdPKlPlN2at6native12_GLOBAL__N_18offset_tEEE10hipError_tPvRmT1_PNSt15iterator_traitsISK_E10value_typeET2_T3_PNSL_ISQ_E10value_typeET4_jRbjT5_SW_jjP12ihipStream_tbEUlT_E1_NS1_11comp_targetILNS1_3genE3ELNS1_11target_archE908ELNS1_3gpuE7ELNS1_3repE0EEENS1_59segmented_radix_sort_warp_sort_small_config_static_selectorELNS0_4arch9wavefront6targetE1EEEvSK_,"axG",@progbits,_ZN7rocprim17ROCPRIM_400000_NS6detail17trampoline_kernelINS0_14default_configENS1_36segmented_radix_sort_config_selectorIdlEEZNS1_25segmented_radix_sort_implIS3_Lb1EPKdPdPKlPlN2at6native12_GLOBAL__N_18offset_tEEE10hipError_tPvRmT1_PNSt15iterator_traitsISK_E10value_typeET2_T3_PNSL_ISQ_E10value_typeET4_jRbjT5_SW_jjP12ihipStream_tbEUlT_E1_NS1_11comp_targetILNS1_3genE3ELNS1_11target_archE908ELNS1_3gpuE7ELNS1_3repE0EEENS1_59segmented_radix_sort_warp_sort_small_config_static_selectorELNS0_4arch9wavefront6targetE1EEEvSK_,comdat
	.globl	_ZN7rocprim17ROCPRIM_400000_NS6detail17trampoline_kernelINS0_14default_configENS1_36segmented_radix_sort_config_selectorIdlEEZNS1_25segmented_radix_sort_implIS3_Lb1EPKdPdPKlPlN2at6native12_GLOBAL__N_18offset_tEEE10hipError_tPvRmT1_PNSt15iterator_traitsISK_E10value_typeET2_T3_PNSL_ISQ_E10value_typeET4_jRbjT5_SW_jjP12ihipStream_tbEUlT_E1_NS1_11comp_targetILNS1_3genE3ELNS1_11target_archE908ELNS1_3gpuE7ELNS1_3repE0EEENS1_59segmented_radix_sort_warp_sort_small_config_static_selectorELNS0_4arch9wavefront6targetE1EEEvSK_ ; -- Begin function _ZN7rocprim17ROCPRIM_400000_NS6detail17trampoline_kernelINS0_14default_configENS1_36segmented_radix_sort_config_selectorIdlEEZNS1_25segmented_radix_sort_implIS3_Lb1EPKdPdPKlPlN2at6native12_GLOBAL__N_18offset_tEEE10hipError_tPvRmT1_PNSt15iterator_traitsISK_E10value_typeET2_T3_PNSL_ISQ_E10value_typeET4_jRbjT5_SW_jjP12ihipStream_tbEUlT_E1_NS1_11comp_targetILNS1_3genE3ELNS1_11target_archE908ELNS1_3gpuE7ELNS1_3repE0EEENS1_59segmented_radix_sort_warp_sort_small_config_static_selectorELNS0_4arch9wavefront6targetE1EEEvSK_
	.p2align	8
	.type	_ZN7rocprim17ROCPRIM_400000_NS6detail17trampoline_kernelINS0_14default_configENS1_36segmented_radix_sort_config_selectorIdlEEZNS1_25segmented_radix_sort_implIS3_Lb1EPKdPdPKlPlN2at6native12_GLOBAL__N_18offset_tEEE10hipError_tPvRmT1_PNSt15iterator_traitsISK_E10value_typeET2_T3_PNSL_ISQ_E10value_typeET4_jRbjT5_SW_jjP12ihipStream_tbEUlT_E1_NS1_11comp_targetILNS1_3genE3ELNS1_11target_archE908ELNS1_3gpuE7ELNS1_3repE0EEENS1_59segmented_radix_sort_warp_sort_small_config_static_selectorELNS0_4arch9wavefront6targetE1EEEvSK_,@function
_ZN7rocprim17ROCPRIM_400000_NS6detail17trampoline_kernelINS0_14default_configENS1_36segmented_radix_sort_config_selectorIdlEEZNS1_25segmented_radix_sort_implIS3_Lb1EPKdPdPKlPlN2at6native12_GLOBAL__N_18offset_tEEE10hipError_tPvRmT1_PNSt15iterator_traitsISK_E10value_typeET2_T3_PNSL_ISQ_E10value_typeET4_jRbjT5_SW_jjP12ihipStream_tbEUlT_E1_NS1_11comp_targetILNS1_3genE3ELNS1_11target_archE908ELNS1_3gpuE7ELNS1_3repE0EEENS1_59segmented_radix_sort_warp_sort_small_config_static_selectorELNS0_4arch9wavefront6targetE1EEEvSK_: ; @_ZN7rocprim17ROCPRIM_400000_NS6detail17trampoline_kernelINS0_14default_configENS1_36segmented_radix_sort_config_selectorIdlEEZNS1_25segmented_radix_sort_implIS3_Lb1EPKdPdPKlPlN2at6native12_GLOBAL__N_18offset_tEEE10hipError_tPvRmT1_PNSt15iterator_traitsISK_E10value_typeET2_T3_PNSL_ISQ_E10value_typeET4_jRbjT5_SW_jjP12ihipStream_tbEUlT_E1_NS1_11comp_targetILNS1_3genE3ELNS1_11target_archE908ELNS1_3gpuE7ELNS1_3repE0EEENS1_59segmented_radix_sort_warp_sort_small_config_static_selectorELNS0_4arch9wavefront6targetE1EEEvSK_
; %bb.0:
	.section	.rodata,"a",@progbits
	.p2align	6, 0x0
	.amdhsa_kernel _ZN7rocprim17ROCPRIM_400000_NS6detail17trampoline_kernelINS0_14default_configENS1_36segmented_radix_sort_config_selectorIdlEEZNS1_25segmented_radix_sort_implIS3_Lb1EPKdPdPKlPlN2at6native12_GLOBAL__N_18offset_tEEE10hipError_tPvRmT1_PNSt15iterator_traitsISK_E10value_typeET2_T3_PNSL_ISQ_E10value_typeET4_jRbjT5_SW_jjP12ihipStream_tbEUlT_E1_NS1_11comp_targetILNS1_3genE3ELNS1_11target_archE908ELNS1_3gpuE7ELNS1_3repE0EEENS1_59segmented_radix_sort_warp_sort_small_config_static_selectorELNS0_4arch9wavefront6targetE1EEEvSK_
		.amdhsa_group_segment_fixed_size 0
		.amdhsa_private_segment_fixed_size 0
		.amdhsa_kernarg_size 88
		.amdhsa_user_sgpr_count 6
		.amdhsa_user_sgpr_private_segment_buffer 1
		.amdhsa_user_sgpr_dispatch_ptr 0
		.amdhsa_user_sgpr_queue_ptr 0
		.amdhsa_user_sgpr_kernarg_segment_ptr 1
		.amdhsa_user_sgpr_dispatch_id 0
		.amdhsa_user_sgpr_flat_scratch_init 0
		.amdhsa_user_sgpr_kernarg_preload_length 0
		.amdhsa_user_sgpr_kernarg_preload_offset 0
		.amdhsa_user_sgpr_private_segment_size 0
		.amdhsa_uses_dynamic_stack 0
		.amdhsa_system_sgpr_private_segment_wavefront_offset 0
		.amdhsa_system_sgpr_workgroup_id_x 1
		.amdhsa_system_sgpr_workgroup_id_y 0
		.amdhsa_system_sgpr_workgroup_id_z 0
		.amdhsa_system_sgpr_workgroup_info 0
		.amdhsa_system_vgpr_workitem_id 0
		.amdhsa_next_free_vgpr 1
		.amdhsa_next_free_sgpr 0
		.amdhsa_accum_offset 4
		.amdhsa_reserve_vcc 0
		.amdhsa_reserve_flat_scratch 0
		.amdhsa_float_round_mode_32 0
		.amdhsa_float_round_mode_16_64 0
		.amdhsa_float_denorm_mode_32 3
		.amdhsa_float_denorm_mode_16_64 3
		.amdhsa_dx10_clamp 1
		.amdhsa_ieee_mode 1
		.amdhsa_fp16_overflow 0
		.amdhsa_tg_split 0
		.amdhsa_exception_fp_ieee_invalid_op 0
		.amdhsa_exception_fp_denorm_src 0
		.amdhsa_exception_fp_ieee_div_zero 0
		.amdhsa_exception_fp_ieee_overflow 0
		.amdhsa_exception_fp_ieee_underflow 0
		.amdhsa_exception_fp_ieee_inexact 0
		.amdhsa_exception_int_div_zero 0
	.end_amdhsa_kernel
	.section	.text._ZN7rocprim17ROCPRIM_400000_NS6detail17trampoline_kernelINS0_14default_configENS1_36segmented_radix_sort_config_selectorIdlEEZNS1_25segmented_radix_sort_implIS3_Lb1EPKdPdPKlPlN2at6native12_GLOBAL__N_18offset_tEEE10hipError_tPvRmT1_PNSt15iterator_traitsISK_E10value_typeET2_T3_PNSL_ISQ_E10value_typeET4_jRbjT5_SW_jjP12ihipStream_tbEUlT_E1_NS1_11comp_targetILNS1_3genE3ELNS1_11target_archE908ELNS1_3gpuE7ELNS1_3repE0EEENS1_59segmented_radix_sort_warp_sort_small_config_static_selectorELNS0_4arch9wavefront6targetE1EEEvSK_,"axG",@progbits,_ZN7rocprim17ROCPRIM_400000_NS6detail17trampoline_kernelINS0_14default_configENS1_36segmented_radix_sort_config_selectorIdlEEZNS1_25segmented_radix_sort_implIS3_Lb1EPKdPdPKlPlN2at6native12_GLOBAL__N_18offset_tEEE10hipError_tPvRmT1_PNSt15iterator_traitsISK_E10value_typeET2_T3_PNSL_ISQ_E10value_typeET4_jRbjT5_SW_jjP12ihipStream_tbEUlT_E1_NS1_11comp_targetILNS1_3genE3ELNS1_11target_archE908ELNS1_3gpuE7ELNS1_3repE0EEENS1_59segmented_radix_sort_warp_sort_small_config_static_selectorELNS0_4arch9wavefront6targetE1EEEvSK_,comdat
.Lfunc_end1140:
	.size	_ZN7rocprim17ROCPRIM_400000_NS6detail17trampoline_kernelINS0_14default_configENS1_36segmented_radix_sort_config_selectorIdlEEZNS1_25segmented_radix_sort_implIS3_Lb1EPKdPdPKlPlN2at6native12_GLOBAL__N_18offset_tEEE10hipError_tPvRmT1_PNSt15iterator_traitsISK_E10value_typeET2_T3_PNSL_ISQ_E10value_typeET4_jRbjT5_SW_jjP12ihipStream_tbEUlT_E1_NS1_11comp_targetILNS1_3genE3ELNS1_11target_archE908ELNS1_3gpuE7ELNS1_3repE0EEENS1_59segmented_radix_sort_warp_sort_small_config_static_selectorELNS0_4arch9wavefront6targetE1EEEvSK_, .Lfunc_end1140-_ZN7rocprim17ROCPRIM_400000_NS6detail17trampoline_kernelINS0_14default_configENS1_36segmented_radix_sort_config_selectorIdlEEZNS1_25segmented_radix_sort_implIS3_Lb1EPKdPdPKlPlN2at6native12_GLOBAL__N_18offset_tEEE10hipError_tPvRmT1_PNSt15iterator_traitsISK_E10value_typeET2_T3_PNSL_ISQ_E10value_typeET4_jRbjT5_SW_jjP12ihipStream_tbEUlT_E1_NS1_11comp_targetILNS1_3genE3ELNS1_11target_archE908ELNS1_3gpuE7ELNS1_3repE0EEENS1_59segmented_radix_sort_warp_sort_small_config_static_selectorELNS0_4arch9wavefront6targetE1EEEvSK_
                                        ; -- End function
	.section	.AMDGPU.csdata,"",@progbits
; Kernel info:
; codeLenInByte = 0
; NumSgprs: 4
; NumVgprs: 0
; NumAgprs: 0
; TotalNumVgprs: 0
; ScratchSize: 0
; MemoryBound: 0
; FloatMode: 240
; IeeeMode: 1
; LDSByteSize: 0 bytes/workgroup (compile time only)
; SGPRBlocks: 0
; VGPRBlocks: 0
; NumSGPRsForWavesPerEU: 4
; NumVGPRsForWavesPerEU: 1
; AccumOffset: 4
; Occupancy: 8
; WaveLimiterHint : 0
; COMPUTE_PGM_RSRC2:SCRATCH_EN: 0
; COMPUTE_PGM_RSRC2:USER_SGPR: 6
; COMPUTE_PGM_RSRC2:TRAP_HANDLER: 0
; COMPUTE_PGM_RSRC2:TGID_X_EN: 1
; COMPUTE_PGM_RSRC2:TGID_Y_EN: 0
; COMPUTE_PGM_RSRC2:TGID_Z_EN: 0
; COMPUTE_PGM_RSRC2:TIDIG_COMP_CNT: 0
; COMPUTE_PGM_RSRC3_GFX90A:ACCUM_OFFSET: 0
; COMPUTE_PGM_RSRC3_GFX90A:TG_SPLIT: 0
	.section	.text._ZN7rocprim17ROCPRIM_400000_NS6detail17trampoline_kernelINS0_14default_configENS1_36segmented_radix_sort_config_selectorIdlEEZNS1_25segmented_radix_sort_implIS3_Lb1EPKdPdPKlPlN2at6native12_GLOBAL__N_18offset_tEEE10hipError_tPvRmT1_PNSt15iterator_traitsISK_E10value_typeET2_T3_PNSL_ISQ_E10value_typeET4_jRbjT5_SW_jjP12ihipStream_tbEUlT_E1_NS1_11comp_targetILNS1_3genE2ELNS1_11target_archE906ELNS1_3gpuE6ELNS1_3repE0EEENS1_59segmented_radix_sort_warp_sort_small_config_static_selectorELNS0_4arch9wavefront6targetE1EEEvSK_,"axG",@progbits,_ZN7rocprim17ROCPRIM_400000_NS6detail17trampoline_kernelINS0_14default_configENS1_36segmented_radix_sort_config_selectorIdlEEZNS1_25segmented_radix_sort_implIS3_Lb1EPKdPdPKlPlN2at6native12_GLOBAL__N_18offset_tEEE10hipError_tPvRmT1_PNSt15iterator_traitsISK_E10value_typeET2_T3_PNSL_ISQ_E10value_typeET4_jRbjT5_SW_jjP12ihipStream_tbEUlT_E1_NS1_11comp_targetILNS1_3genE2ELNS1_11target_archE906ELNS1_3gpuE6ELNS1_3repE0EEENS1_59segmented_radix_sort_warp_sort_small_config_static_selectorELNS0_4arch9wavefront6targetE1EEEvSK_,comdat
	.globl	_ZN7rocprim17ROCPRIM_400000_NS6detail17trampoline_kernelINS0_14default_configENS1_36segmented_radix_sort_config_selectorIdlEEZNS1_25segmented_radix_sort_implIS3_Lb1EPKdPdPKlPlN2at6native12_GLOBAL__N_18offset_tEEE10hipError_tPvRmT1_PNSt15iterator_traitsISK_E10value_typeET2_T3_PNSL_ISQ_E10value_typeET4_jRbjT5_SW_jjP12ihipStream_tbEUlT_E1_NS1_11comp_targetILNS1_3genE2ELNS1_11target_archE906ELNS1_3gpuE6ELNS1_3repE0EEENS1_59segmented_radix_sort_warp_sort_small_config_static_selectorELNS0_4arch9wavefront6targetE1EEEvSK_ ; -- Begin function _ZN7rocprim17ROCPRIM_400000_NS6detail17trampoline_kernelINS0_14default_configENS1_36segmented_radix_sort_config_selectorIdlEEZNS1_25segmented_radix_sort_implIS3_Lb1EPKdPdPKlPlN2at6native12_GLOBAL__N_18offset_tEEE10hipError_tPvRmT1_PNSt15iterator_traitsISK_E10value_typeET2_T3_PNSL_ISQ_E10value_typeET4_jRbjT5_SW_jjP12ihipStream_tbEUlT_E1_NS1_11comp_targetILNS1_3genE2ELNS1_11target_archE906ELNS1_3gpuE6ELNS1_3repE0EEENS1_59segmented_radix_sort_warp_sort_small_config_static_selectorELNS0_4arch9wavefront6targetE1EEEvSK_
	.p2align	8
	.type	_ZN7rocprim17ROCPRIM_400000_NS6detail17trampoline_kernelINS0_14default_configENS1_36segmented_radix_sort_config_selectorIdlEEZNS1_25segmented_radix_sort_implIS3_Lb1EPKdPdPKlPlN2at6native12_GLOBAL__N_18offset_tEEE10hipError_tPvRmT1_PNSt15iterator_traitsISK_E10value_typeET2_T3_PNSL_ISQ_E10value_typeET4_jRbjT5_SW_jjP12ihipStream_tbEUlT_E1_NS1_11comp_targetILNS1_3genE2ELNS1_11target_archE906ELNS1_3gpuE6ELNS1_3repE0EEENS1_59segmented_radix_sort_warp_sort_small_config_static_selectorELNS0_4arch9wavefront6targetE1EEEvSK_,@function
_ZN7rocprim17ROCPRIM_400000_NS6detail17trampoline_kernelINS0_14default_configENS1_36segmented_radix_sort_config_selectorIdlEEZNS1_25segmented_radix_sort_implIS3_Lb1EPKdPdPKlPlN2at6native12_GLOBAL__N_18offset_tEEE10hipError_tPvRmT1_PNSt15iterator_traitsISK_E10value_typeET2_T3_PNSL_ISQ_E10value_typeET4_jRbjT5_SW_jjP12ihipStream_tbEUlT_E1_NS1_11comp_targetILNS1_3genE2ELNS1_11target_archE906ELNS1_3gpuE6ELNS1_3repE0EEENS1_59segmented_radix_sort_warp_sort_small_config_static_selectorELNS0_4arch9wavefront6targetE1EEEvSK_: ; @_ZN7rocprim17ROCPRIM_400000_NS6detail17trampoline_kernelINS0_14default_configENS1_36segmented_radix_sort_config_selectorIdlEEZNS1_25segmented_radix_sort_implIS3_Lb1EPKdPdPKlPlN2at6native12_GLOBAL__N_18offset_tEEE10hipError_tPvRmT1_PNSt15iterator_traitsISK_E10value_typeET2_T3_PNSL_ISQ_E10value_typeET4_jRbjT5_SW_jjP12ihipStream_tbEUlT_E1_NS1_11comp_targetILNS1_3genE2ELNS1_11target_archE906ELNS1_3gpuE6ELNS1_3repE0EEENS1_59segmented_radix_sort_warp_sort_small_config_static_selectorELNS0_4arch9wavefront6targetE1EEEvSK_
; %bb.0:
	.section	.rodata,"a",@progbits
	.p2align	6, 0x0
	.amdhsa_kernel _ZN7rocprim17ROCPRIM_400000_NS6detail17trampoline_kernelINS0_14default_configENS1_36segmented_radix_sort_config_selectorIdlEEZNS1_25segmented_radix_sort_implIS3_Lb1EPKdPdPKlPlN2at6native12_GLOBAL__N_18offset_tEEE10hipError_tPvRmT1_PNSt15iterator_traitsISK_E10value_typeET2_T3_PNSL_ISQ_E10value_typeET4_jRbjT5_SW_jjP12ihipStream_tbEUlT_E1_NS1_11comp_targetILNS1_3genE2ELNS1_11target_archE906ELNS1_3gpuE6ELNS1_3repE0EEENS1_59segmented_radix_sort_warp_sort_small_config_static_selectorELNS0_4arch9wavefront6targetE1EEEvSK_
		.amdhsa_group_segment_fixed_size 0
		.amdhsa_private_segment_fixed_size 0
		.amdhsa_kernarg_size 88
		.amdhsa_user_sgpr_count 6
		.amdhsa_user_sgpr_private_segment_buffer 1
		.amdhsa_user_sgpr_dispatch_ptr 0
		.amdhsa_user_sgpr_queue_ptr 0
		.amdhsa_user_sgpr_kernarg_segment_ptr 1
		.amdhsa_user_sgpr_dispatch_id 0
		.amdhsa_user_sgpr_flat_scratch_init 0
		.amdhsa_user_sgpr_kernarg_preload_length 0
		.amdhsa_user_sgpr_kernarg_preload_offset 0
		.amdhsa_user_sgpr_private_segment_size 0
		.amdhsa_uses_dynamic_stack 0
		.amdhsa_system_sgpr_private_segment_wavefront_offset 0
		.amdhsa_system_sgpr_workgroup_id_x 1
		.amdhsa_system_sgpr_workgroup_id_y 0
		.amdhsa_system_sgpr_workgroup_id_z 0
		.amdhsa_system_sgpr_workgroup_info 0
		.amdhsa_system_vgpr_workitem_id 0
		.amdhsa_next_free_vgpr 1
		.amdhsa_next_free_sgpr 0
		.amdhsa_accum_offset 4
		.amdhsa_reserve_vcc 0
		.amdhsa_reserve_flat_scratch 0
		.amdhsa_float_round_mode_32 0
		.amdhsa_float_round_mode_16_64 0
		.amdhsa_float_denorm_mode_32 3
		.amdhsa_float_denorm_mode_16_64 3
		.amdhsa_dx10_clamp 1
		.amdhsa_ieee_mode 1
		.amdhsa_fp16_overflow 0
		.amdhsa_tg_split 0
		.amdhsa_exception_fp_ieee_invalid_op 0
		.amdhsa_exception_fp_denorm_src 0
		.amdhsa_exception_fp_ieee_div_zero 0
		.amdhsa_exception_fp_ieee_overflow 0
		.amdhsa_exception_fp_ieee_underflow 0
		.amdhsa_exception_fp_ieee_inexact 0
		.amdhsa_exception_int_div_zero 0
	.end_amdhsa_kernel
	.section	.text._ZN7rocprim17ROCPRIM_400000_NS6detail17trampoline_kernelINS0_14default_configENS1_36segmented_radix_sort_config_selectorIdlEEZNS1_25segmented_radix_sort_implIS3_Lb1EPKdPdPKlPlN2at6native12_GLOBAL__N_18offset_tEEE10hipError_tPvRmT1_PNSt15iterator_traitsISK_E10value_typeET2_T3_PNSL_ISQ_E10value_typeET4_jRbjT5_SW_jjP12ihipStream_tbEUlT_E1_NS1_11comp_targetILNS1_3genE2ELNS1_11target_archE906ELNS1_3gpuE6ELNS1_3repE0EEENS1_59segmented_radix_sort_warp_sort_small_config_static_selectorELNS0_4arch9wavefront6targetE1EEEvSK_,"axG",@progbits,_ZN7rocprim17ROCPRIM_400000_NS6detail17trampoline_kernelINS0_14default_configENS1_36segmented_radix_sort_config_selectorIdlEEZNS1_25segmented_radix_sort_implIS3_Lb1EPKdPdPKlPlN2at6native12_GLOBAL__N_18offset_tEEE10hipError_tPvRmT1_PNSt15iterator_traitsISK_E10value_typeET2_T3_PNSL_ISQ_E10value_typeET4_jRbjT5_SW_jjP12ihipStream_tbEUlT_E1_NS1_11comp_targetILNS1_3genE2ELNS1_11target_archE906ELNS1_3gpuE6ELNS1_3repE0EEENS1_59segmented_radix_sort_warp_sort_small_config_static_selectorELNS0_4arch9wavefront6targetE1EEEvSK_,comdat
.Lfunc_end1141:
	.size	_ZN7rocprim17ROCPRIM_400000_NS6detail17trampoline_kernelINS0_14default_configENS1_36segmented_radix_sort_config_selectorIdlEEZNS1_25segmented_radix_sort_implIS3_Lb1EPKdPdPKlPlN2at6native12_GLOBAL__N_18offset_tEEE10hipError_tPvRmT1_PNSt15iterator_traitsISK_E10value_typeET2_T3_PNSL_ISQ_E10value_typeET4_jRbjT5_SW_jjP12ihipStream_tbEUlT_E1_NS1_11comp_targetILNS1_3genE2ELNS1_11target_archE906ELNS1_3gpuE6ELNS1_3repE0EEENS1_59segmented_radix_sort_warp_sort_small_config_static_selectorELNS0_4arch9wavefront6targetE1EEEvSK_, .Lfunc_end1141-_ZN7rocprim17ROCPRIM_400000_NS6detail17trampoline_kernelINS0_14default_configENS1_36segmented_radix_sort_config_selectorIdlEEZNS1_25segmented_radix_sort_implIS3_Lb1EPKdPdPKlPlN2at6native12_GLOBAL__N_18offset_tEEE10hipError_tPvRmT1_PNSt15iterator_traitsISK_E10value_typeET2_T3_PNSL_ISQ_E10value_typeET4_jRbjT5_SW_jjP12ihipStream_tbEUlT_E1_NS1_11comp_targetILNS1_3genE2ELNS1_11target_archE906ELNS1_3gpuE6ELNS1_3repE0EEENS1_59segmented_radix_sort_warp_sort_small_config_static_selectorELNS0_4arch9wavefront6targetE1EEEvSK_
                                        ; -- End function
	.section	.AMDGPU.csdata,"",@progbits
; Kernel info:
; codeLenInByte = 0
; NumSgprs: 4
; NumVgprs: 0
; NumAgprs: 0
; TotalNumVgprs: 0
; ScratchSize: 0
; MemoryBound: 0
; FloatMode: 240
; IeeeMode: 1
; LDSByteSize: 0 bytes/workgroup (compile time only)
; SGPRBlocks: 0
; VGPRBlocks: 0
; NumSGPRsForWavesPerEU: 4
; NumVGPRsForWavesPerEU: 1
; AccumOffset: 4
; Occupancy: 8
; WaveLimiterHint : 0
; COMPUTE_PGM_RSRC2:SCRATCH_EN: 0
; COMPUTE_PGM_RSRC2:USER_SGPR: 6
; COMPUTE_PGM_RSRC2:TRAP_HANDLER: 0
; COMPUTE_PGM_RSRC2:TGID_X_EN: 1
; COMPUTE_PGM_RSRC2:TGID_Y_EN: 0
; COMPUTE_PGM_RSRC2:TGID_Z_EN: 0
; COMPUTE_PGM_RSRC2:TIDIG_COMP_CNT: 0
; COMPUTE_PGM_RSRC3_GFX90A:ACCUM_OFFSET: 0
; COMPUTE_PGM_RSRC3_GFX90A:TG_SPLIT: 0
	.section	.text._ZN7rocprim17ROCPRIM_400000_NS6detail17trampoline_kernelINS0_14default_configENS1_36segmented_radix_sort_config_selectorIdlEEZNS1_25segmented_radix_sort_implIS3_Lb1EPKdPdPKlPlN2at6native12_GLOBAL__N_18offset_tEEE10hipError_tPvRmT1_PNSt15iterator_traitsISK_E10value_typeET2_T3_PNSL_ISQ_E10value_typeET4_jRbjT5_SW_jjP12ihipStream_tbEUlT_E1_NS1_11comp_targetILNS1_3genE10ELNS1_11target_archE1201ELNS1_3gpuE5ELNS1_3repE0EEENS1_59segmented_radix_sort_warp_sort_small_config_static_selectorELNS0_4arch9wavefront6targetE1EEEvSK_,"axG",@progbits,_ZN7rocprim17ROCPRIM_400000_NS6detail17trampoline_kernelINS0_14default_configENS1_36segmented_radix_sort_config_selectorIdlEEZNS1_25segmented_radix_sort_implIS3_Lb1EPKdPdPKlPlN2at6native12_GLOBAL__N_18offset_tEEE10hipError_tPvRmT1_PNSt15iterator_traitsISK_E10value_typeET2_T3_PNSL_ISQ_E10value_typeET4_jRbjT5_SW_jjP12ihipStream_tbEUlT_E1_NS1_11comp_targetILNS1_3genE10ELNS1_11target_archE1201ELNS1_3gpuE5ELNS1_3repE0EEENS1_59segmented_radix_sort_warp_sort_small_config_static_selectorELNS0_4arch9wavefront6targetE1EEEvSK_,comdat
	.globl	_ZN7rocprim17ROCPRIM_400000_NS6detail17trampoline_kernelINS0_14default_configENS1_36segmented_radix_sort_config_selectorIdlEEZNS1_25segmented_radix_sort_implIS3_Lb1EPKdPdPKlPlN2at6native12_GLOBAL__N_18offset_tEEE10hipError_tPvRmT1_PNSt15iterator_traitsISK_E10value_typeET2_T3_PNSL_ISQ_E10value_typeET4_jRbjT5_SW_jjP12ihipStream_tbEUlT_E1_NS1_11comp_targetILNS1_3genE10ELNS1_11target_archE1201ELNS1_3gpuE5ELNS1_3repE0EEENS1_59segmented_radix_sort_warp_sort_small_config_static_selectorELNS0_4arch9wavefront6targetE1EEEvSK_ ; -- Begin function _ZN7rocprim17ROCPRIM_400000_NS6detail17trampoline_kernelINS0_14default_configENS1_36segmented_radix_sort_config_selectorIdlEEZNS1_25segmented_radix_sort_implIS3_Lb1EPKdPdPKlPlN2at6native12_GLOBAL__N_18offset_tEEE10hipError_tPvRmT1_PNSt15iterator_traitsISK_E10value_typeET2_T3_PNSL_ISQ_E10value_typeET4_jRbjT5_SW_jjP12ihipStream_tbEUlT_E1_NS1_11comp_targetILNS1_3genE10ELNS1_11target_archE1201ELNS1_3gpuE5ELNS1_3repE0EEENS1_59segmented_radix_sort_warp_sort_small_config_static_selectorELNS0_4arch9wavefront6targetE1EEEvSK_
	.p2align	8
	.type	_ZN7rocprim17ROCPRIM_400000_NS6detail17trampoline_kernelINS0_14default_configENS1_36segmented_radix_sort_config_selectorIdlEEZNS1_25segmented_radix_sort_implIS3_Lb1EPKdPdPKlPlN2at6native12_GLOBAL__N_18offset_tEEE10hipError_tPvRmT1_PNSt15iterator_traitsISK_E10value_typeET2_T3_PNSL_ISQ_E10value_typeET4_jRbjT5_SW_jjP12ihipStream_tbEUlT_E1_NS1_11comp_targetILNS1_3genE10ELNS1_11target_archE1201ELNS1_3gpuE5ELNS1_3repE0EEENS1_59segmented_radix_sort_warp_sort_small_config_static_selectorELNS0_4arch9wavefront6targetE1EEEvSK_,@function
_ZN7rocprim17ROCPRIM_400000_NS6detail17trampoline_kernelINS0_14default_configENS1_36segmented_radix_sort_config_selectorIdlEEZNS1_25segmented_radix_sort_implIS3_Lb1EPKdPdPKlPlN2at6native12_GLOBAL__N_18offset_tEEE10hipError_tPvRmT1_PNSt15iterator_traitsISK_E10value_typeET2_T3_PNSL_ISQ_E10value_typeET4_jRbjT5_SW_jjP12ihipStream_tbEUlT_E1_NS1_11comp_targetILNS1_3genE10ELNS1_11target_archE1201ELNS1_3gpuE5ELNS1_3repE0EEENS1_59segmented_radix_sort_warp_sort_small_config_static_selectorELNS0_4arch9wavefront6targetE1EEEvSK_: ; @_ZN7rocprim17ROCPRIM_400000_NS6detail17trampoline_kernelINS0_14default_configENS1_36segmented_radix_sort_config_selectorIdlEEZNS1_25segmented_radix_sort_implIS3_Lb1EPKdPdPKlPlN2at6native12_GLOBAL__N_18offset_tEEE10hipError_tPvRmT1_PNSt15iterator_traitsISK_E10value_typeET2_T3_PNSL_ISQ_E10value_typeET4_jRbjT5_SW_jjP12ihipStream_tbEUlT_E1_NS1_11comp_targetILNS1_3genE10ELNS1_11target_archE1201ELNS1_3gpuE5ELNS1_3repE0EEENS1_59segmented_radix_sort_warp_sort_small_config_static_selectorELNS0_4arch9wavefront6targetE1EEEvSK_
; %bb.0:
	.section	.rodata,"a",@progbits
	.p2align	6, 0x0
	.amdhsa_kernel _ZN7rocprim17ROCPRIM_400000_NS6detail17trampoline_kernelINS0_14default_configENS1_36segmented_radix_sort_config_selectorIdlEEZNS1_25segmented_radix_sort_implIS3_Lb1EPKdPdPKlPlN2at6native12_GLOBAL__N_18offset_tEEE10hipError_tPvRmT1_PNSt15iterator_traitsISK_E10value_typeET2_T3_PNSL_ISQ_E10value_typeET4_jRbjT5_SW_jjP12ihipStream_tbEUlT_E1_NS1_11comp_targetILNS1_3genE10ELNS1_11target_archE1201ELNS1_3gpuE5ELNS1_3repE0EEENS1_59segmented_radix_sort_warp_sort_small_config_static_selectorELNS0_4arch9wavefront6targetE1EEEvSK_
		.amdhsa_group_segment_fixed_size 0
		.amdhsa_private_segment_fixed_size 0
		.amdhsa_kernarg_size 88
		.amdhsa_user_sgpr_count 6
		.amdhsa_user_sgpr_private_segment_buffer 1
		.amdhsa_user_sgpr_dispatch_ptr 0
		.amdhsa_user_sgpr_queue_ptr 0
		.amdhsa_user_sgpr_kernarg_segment_ptr 1
		.amdhsa_user_sgpr_dispatch_id 0
		.amdhsa_user_sgpr_flat_scratch_init 0
		.amdhsa_user_sgpr_kernarg_preload_length 0
		.amdhsa_user_sgpr_kernarg_preload_offset 0
		.amdhsa_user_sgpr_private_segment_size 0
		.amdhsa_uses_dynamic_stack 0
		.amdhsa_system_sgpr_private_segment_wavefront_offset 0
		.amdhsa_system_sgpr_workgroup_id_x 1
		.amdhsa_system_sgpr_workgroup_id_y 0
		.amdhsa_system_sgpr_workgroup_id_z 0
		.amdhsa_system_sgpr_workgroup_info 0
		.amdhsa_system_vgpr_workitem_id 0
		.amdhsa_next_free_vgpr 1
		.amdhsa_next_free_sgpr 0
		.amdhsa_accum_offset 4
		.amdhsa_reserve_vcc 0
		.amdhsa_reserve_flat_scratch 0
		.amdhsa_float_round_mode_32 0
		.amdhsa_float_round_mode_16_64 0
		.amdhsa_float_denorm_mode_32 3
		.amdhsa_float_denorm_mode_16_64 3
		.amdhsa_dx10_clamp 1
		.amdhsa_ieee_mode 1
		.amdhsa_fp16_overflow 0
		.amdhsa_tg_split 0
		.amdhsa_exception_fp_ieee_invalid_op 0
		.amdhsa_exception_fp_denorm_src 0
		.amdhsa_exception_fp_ieee_div_zero 0
		.amdhsa_exception_fp_ieee_overflow 0
		.amdhsa_exception_fp_ieee_underflow 0
		.amdhsa_exception_fp_ieee_inexact 0
		.amdhsa_exception_int_div_zero 0
	.end_amdhsa_kernel
	.section	.text._ZN7rocprim17ROCPRIM_400000_NS6detail17trampoline_kernelINS0_14default_configENS1_36segmented_radix_sort_config_selectorIdlEEZNS1_25segmented_radix_sort_implIS3_Lb1EPKdPdPKlPlN2at6native12_GLOBAL__N_18offset_tEEE10hipError_tPvRmT1_PNSt15iterator_traitsISK_E10value_typeET2_T3_PNSL_ISQ_E10value_typeET4_jRbjT5_SW_jjP12ihipStream_tbEUlT_E1_NS1_11comp_targetILNS1_3genE10ELNS1_11target_archE1201ELNS1_3gpuE5ELNS1_3repE0EEENS1_59segmented_radix_sort_warp_sort_small_config_static_selectorELNS0_4arch9wavefront6targetE1EEEvSK_,"axG",@progbits,_ZN7rocprim17ROCPRIM_400000_NS6detail17trampoline_kernelINS0_14default_configENS1_36segmented_radix_sort_config_selectorIdlEEZNS1_25segmented_radix_sort_implIS3_Lb1EPKdPdPKlPlN2at6native12_GLOBAL__N_18offset_tEEE10hipError_tPvRmT1_PNSt15iterator_traitsISK_E10value_typeET2_T3_PNSL_ISQ_E10value_typeET4_jRbjT5_SW_jjP12ihipStream_tbEUlT_E1_NS1_11comp_targetILNS1_3genE10ELNS1_11target_archE1201ELNS1_3gpuE5ELNS1_3repE0EEENS1_59segmented_radix_sort_warp_sort_small_config_static_selectorELNS0_4arch9wavefront6targetE1EEEvSK_,comdat
.Lfunc_end1142:
	.size	_ZN7rocprim17ROCPRIM_400000_NS6detail17trampoline_kernelINS0_14default_configENS1_36segmented_radix_sort_config_selectorIdlEEZNS1_25segmented_radix_sort_implIS3_Lb1EPKdPdPKlPlN2at6native12_GLOBAL__N_18offset_tEEE10hipError_tPvRmT1_PNSt15iterator_traitsISK_E10value_typeET2_T3_PNSL_ISQ_E10value_typeET4_jRbjT5_SW_jjP12ihipStream_tbEUlT_E1_NS1_11comp_targetILNS1_3genE10ELNS1_11target_archE1201ELNS1_3gpuE5ELNS1_3repE0EEENS1_59segmented_radix_sort_warp_sort_small_config_static_selectorELNS0_4arch9wavefront6targetE1EEEvSK_, .Lfunc_end1142-_ZN7rocprim17ROCPRIM_400000_NS6detail17trampoline_kernelINS0_14default_configENS1_36segmented_radix_sort_config_selectorIdlEEZNS1_25segmented_radix_sort_implIS3_Lb1EPKdPdPKlPlN2at6native12_GLOBAL__N_18offset_tEEE10hipError_tPvRmT1_PNSt15iterator_traitsISK_E10value_typeET2_T3_PNSL_ISQ_E10value_typeET4_jRbjT5_SW_jjP12ihipStream_tbEUlT_E1_NS1_11comp_targetILNS1_3genE10ELNS1_11target_archE1201ELNS1_3gpuE5ELNS1_3repE0EEENS1_59segmented_radix_sort_warp_sort_small_config_static_selectorELNS0_4arch9wavefront6targetE1EEEvSK_
                                        ; -- End function
	.section	.AMDGPU.csdata,"",@progbits
; Kernel info:
; codeLenInByte = 0
; NumSgprs: 4
; NumVgprs: 0
; NumAgprs: 0
; TotalNumVgprs: 0
; ScratchSize: 0
; MemoryBound: 0
; FloatMode: 240
; IeeeMode: 1
; LDSByteSize: 0 bytes/workgroup (compile time only)
; SGPRBlocks: 0
; VGPRBlocks: 0
; NumSGPRsForWavesPerEU: 4
; NumVGPRsForWavesPerEU: 1
; AccumOffset: 4
; Occupancy: 8
; WaveLimiterHint : 0
; COMPUTE_PGM_RSRC2:SCRATCH_EN: 0
; COMPUTE_PGM_RSRC2:USER_SGPR: 6
; COMPUTE_PGM_RSRC2:TRAP_HANDLER: 0
; COMPUTE_PGM_RSRC2:TGID_X_EN: 1
; COMPUTE_PGM_RSRC2:TGID_Y_EN: 0
; COMPUTE_PGM_RSRC2:TGID_Z_EN: 0
; COMPUTE_PGM_RSRC2:TIDIG_COMP_CNT: 0
; COMPUTE_PGM_RSRC3_GFX90A:ACCUM_OFFSET: 0
; COMPUTE_PGM_RSRC3_GFX90A:TG_SPLIT: 0
	.section	.text._ZN7rocprim17ROCPRIM_400000_NS6detail17trampoline_kernelINS0_14default_configENS1_36segmented_radix_sort_config_selectorIdlEEZNS1_25segmented_radix_sort_implIS3_Lb1EPKdPdPKlPlN2at6native12_GLOBAL__N_18offset_tEEE10hipError_tPvRmT1_PNSt15iterator_traitsISK_E10value_typeET2_T3_PNSL_ISQ_E10value_typeET4_jRbjT5_SW_jjP12ihipStream_tbEUlT_E1_NS1_11comp_targetILNS1_3genE10ELNS1_11target_archE1200ELNS1_3gpuE4ELNS1_3repE0EEENS1_59segmented_radix_sort_warp_sort_small_config_static_selectorELNS0_4arch9wavefront6targetE1EEEvSK_,"axG",@progbits,_ZN7rocprim17ROCPRIM_400000_NS6detail17trampoline_kernelINS0_14default_configENS1_36segmented_radix_sort_config_selectorIdlEEZNS1_25segmented_radix_sort_implIS3_Lb1EPKdPdPKlPlN2at6native12_GLOBAL__N_18offset_tEEE10hipError_tPvRmT1_PNSt15iterator_traitsISK_E10value_typeET2_T3_PNSL_ISQ_E10value_typeET4_jRbjT5_SW_jjP12ihipStream_tbEUlT_E1_NS1_11comp_targetILNS1_3genE10ELNS1_11target_archE1200ELNS1_3gpuE4ELNS1_3repE0EEENS1_59segmented_radix_sort_warp_sort_small_config_static_selectorELNS0_4arch9wavefront6targetE1EEEvSK_,comdat
	.globl	_ZN7rocprim17ROCPRIM_400000_NS6detail17trampoline_kernelINS0_14default_configENS1_36segmented_radix_sort_config_selectorIdlEEZNS1_25segmented_radix_sort_implIS3_Lb1EPKdPdPKlPlN2at6native12_GLOBAL__N_18offset_tEEE10hipError_tPvRmT1_PNSt15iterator_traitsISK_E10value_typeET2_T3_PNSL_ISQ_E10value_typeET4_jRbjT5_SW_jjP12ihipStream_tbEUlT_E1_NS1_11comp_targetILNS1_3genE10ELNS1_11target_archE1200ELNS1_3gpuE4ELNS1_3repE0EEENS1_59segmented_radix_sort_warp_sort_small_config_static_selectorELNS0_4arch9wavefront6targetE1EEEvSK_ ; -- Begin function _ZN7rocprim17ROCPRIM_400000_NS6detail17trampoline_kernelINS0_14default_configENS1_36segmented_radix_sort_config_selectorIdlEEZNS1_25segmented_radix_sort_implIS3_Lb1EPKdPdPKlPlN2at6native12_GLOBAL__N_18offset_tEEE10hipError_tPvRmT1_PNSt15iterator_traitsISK_E10value_typeET2_T3_PNSL_ISQ_E10value_typeET4_jRbjT5_SW_jjP12ihipStream_tbEUlT_E1_NS1_11comp_targetILNS1_3genE10ELNS1_11target_archE1200ELNS1_3gpuE4ELNS1_3repE0EEENS1_59segmented_radix_sort_warp_sort_small_config_static_selectorELNS0_4arch9wavefront6targetE1EEEvSK_
	.p2align	8
	.type	_ZN7rocprim17ROCPRIM_400000_NS6detail17trampoline_kernelINS0_14default_configENS1_36segmented_radix_sort_config_selectorIdlEEZNS1_25segmented_radix_sort_implIS3_Lb1EPKdPdPKlPlN2at6native12_GLOBAL__N_18offset_tEEE10hipError_tPvRmT1_PNSt15iterator_traitsISK_E10value_typeET2_T3_PNSL_ISQ_E10value_typeET4_jRbjT5_SW_jjP12ihipStream_tbEUlT_E1_NS1_11comp_targetILNS1_3genE10ELNS1_11target_archE1200ELNS1_3gpuE4ELNS1_3repE0EEENS1_59segmented_radix_sort_warp_sort_small_config_static_selectorELNS0_4arch9wavefront6targetE1EEEvSK_,@function
_ZN7rocprim17ROCPRIM_400000_NS6detail17trampoline_kernelINS0_14default_configENS1_36segmented_radix_sort_config_selectorIdlEEZNS1_25segmented_radix_sort_implIS3_Lb1EPKdPdPKlPlN2at6native12_GLOBAL__N_18offset_tEEE10hipError_tPvRmT1_PNSt15iterator_traitsISK_E10value_typeET2_T3_PNSL_ISQ_E10value_typeET4_jRbjT5_SW_jjP12ihipStream_tbEUlT_E1_NS1_11comp_targetILNS1_3genE10ELNS1_11target_archE1200ELNS1_3gpuE4ELNS1_3repE0EEENS1_59segmented_radix_sort_warp_sort_small_config_static_selectorELNS0_4arch9wavefront6targetE1EEEvSK_: ; @_ZN7rocprim17ROCPRIM_400000_NS6detail17trampoline_kernelINS0_14default_configENS1_36segmented_radix_sort_config_selectorIdlEEZNS1_25segmented_radix_sort_implIS3_Lb1EPKdPdPKlPlN2at6native12_GLOBAL__N_18offset_tEEE10hipError_tPvRmT1_PNSt15iterator_traitsISK_E10value_typeET2_T3_PNSL_ISQ_E10value_typeET4_jRbjT5_SW_jjP12ihipStream_tbEUlT_E1_NS1_11comp_targetILNS1_3genE10ELNS1_11target_archE1200ELNS1_3gpuE4ELNS1_3repE0EEENS1_59segmented_radix_sort_warp_sort_small_config_static_selectorELNS0_4arch9wavefront6targetE1EEEvSK_
; %bb.0:
	.section	.rodata,"a",@progbits
	.p2align	6, 0x0
	.amdhsa_kernel _ZN7rocprim17ROCPRIM_400000_NS6detail17trampoline_kernelINS0_14default_configENS1_36segmented_radix_sort_config_selectorIdlEEZNS1_25segmented_radix_sort_implIS3_Lb1EPKdPdPKlPlN2at6native12_GLOBAL__N_18offset_tEEE10hipError_tPvRmT1_PNSt15iterator_traitsISK_E10value_typeET2_T3_PNSL_ISQ_E10value_typeET4_jRbjT5_SW_jjP12ihipStream_tbEUlT_E1_NS1_11comp_targetILNS1_3genE10ELNS1_11target_archE1200ELNS1_3gpuE4ELNS1_3repE0EEENS1_59segmented_radix_sort_warp_sort_small_config_static_selectorELNS0_4arch9wavefront6targetE1EEEvSK_
		.amdhsa_group_segment_fixed_size 0
		.amdhsa_private_segment_fixed_size 0
		.amdhsa_kernarg_size 88
		.amdhsa_user_sgpr_count 6
		.amdhsa_user_sgpr_private_segment_buffer 1
		.amdhsa_user_sgpr_dispatch_ptr 0
		.amdhsa_user_sgpr_queue_ptr 0
		.amdhsa_user_sgpr_kernarg_segment_ptr 1
		.amdhsa_user_sgpr_dispatch_id 0
		.amdhsa_user_sgpr_flat_scratch_init 0
		.amdhsa_user_sgpr_kernarg_preload_length 0
		.amdhsa_user_sgpr_kernarg_preload_offset 0
		.amdhsa_user_sgpr_private_segment_size 0
		.amdhsa_uses_dynamic_stack 0
		.amdhsa_system_sgpr_private_segment_wavefront_offset 0
		.amdhsa_system_sgpr_workgroup_id_x 1
		.amdhsa_system_sgpr_workgroup_id_y 0
		.amdhsa_system_sgpr_workgroup_id_z 0
		.amdhsa_system_sgpr_workgroup_info 0
		.amdhsa_system_vgpr_workitem_id 0
		.amdhsa_next_free_vgpr 1
		.amdhsa_next_free_sgpr 0
		.amdhsa_accum_offset 4
		.amdhsa_reserve_vcc 0
		.amdhsa_reserve_flat_scratch 0
		.amdhsa_float_round_mode_32 0
		.amdhsa_float_round_mode_16_64 0
		.amdhsa_float_denorm_mode_32 3
		.amdhsa_float_denorm_mode_16_64 3
		.amdhsa_dx10_clamp 1
		.amdhsa_ieee_mode 1
		.amdhsa_fp16_overflow 0
		.amdhsa_tg_split 0
		.amdhsa_exception_fp_ieee_invalid_op 0
		.amdhsa_exception_fp_denorm_src 0
		.amdhsa_exception_fp_ieee_div_zero 0
		.amdhsa_exception_fp_ieee_overflow 0
		.amdhsa_exception_fp_ieee_underflow 0
		.amdhsa_exception_fp_ieee_inexact 0
		.amdhsa_exception_int_div_zero 0
	.end_amdhsa_kernel
	.section	.text._ZN7rocprim17ROCPRIM_400000_NS6detail17trampoline_kernelINS0_14default_configENS1_36segmented_radix_sort_config_selectorIdlEEZNS1_25segmented_radix_sort_implIS3_Lb1EPKdPdPKlPlN2at6native12_GLOBAL__N_18offset_tEEE10hipError_tPvRmT1_PNSt15iterator_traitsISK_E10value_typeET2_T3_PNSL_ISQ_E10value_typeET4_jRbjT5_SW_jjP12ihipStream_tbEUlT_E1_NS1_11comp_targetILNS1_3genE10ELNS1_11target_archE1200ELNS1_3gpuE4ELNS1_3repE0EEENS1_59segmented_radix_sort_warp_sort_small_config_static_selectorELNS0_4arch9wavefront6targetE1EEEvSK_,"axG",@progbits,_ZN7rocprim17ROCPRIM_400000_NS6detail17trampoline_kernelINS0_14default_configENS1_36segmented_radix_sort_config_selectorIdlEEZNS1_25segmented_radix_sort_implIS3_Lb1EPKdPdPKlPlN2at6native12_GLOBAL__N_18offset_tEEE10hipError_tPvRmT1_PNSt15iterator_traitsISK_E10value_typeET2_T3_PNSL_ISQ_E10value_typeET4_jRbjT5_SW_jjP12ihipStream_tbEUlT_E1_NS1_11comp_targetILNS1_3genE10ELNS1_11target_archE1200ELNS1_3gpuE4ELNS1_3repE0EEENS1_59segmented_radix_sort_warp_sort_small_config_static_selectorELNS0_4arch9wavefront6targetE1EEEvSK_,comdat
.Lfunc_end1143:
	.size	_ZN7rocprim17ROCPRIM_400000_NS6detail17trampoline_kernelINS0_14default_configENS1_36segmented_radix_sort_config_selectorIdlEEZNS1_25segmented_radix_sort_implIS3_Lb1EPKdPdPKlPlN2at6native12_GLOBAL__N_18offset_tEEE10hipError_tPvRmT1_PNSt15iterator_traitsISK_E10value_typeET2_T3_PNSL_ISQ_E10value_typeET4_jRbjT5_SW_jjP12ihipStream_tbEUlT_E1_NS1_11comp_targetILNS1_3genE10ELNS1_11target_archE1200ELNS1_3gpuE4ELNS1_3repE0EEENS1_59segmented_radix_sort_warp_sort_small_config_static_selectorELNS0_4arch9wavefront6targetE1EEEvSK_, .Lfunc_end1143-_ZN7rocprim17ROCPRIM_400000_NS6detail17trampoline_kernelINS0_14default_configENS1_36segmented_radix_sort_config_selectorIdlEEZNS1_25segmented_radix_sort_implIS3_Lb1EPKdPdPKlPlN2at6native12_GLOBAL__N_18offset_tEEE10hipError_tPvRmT1_PNSt15iterator_traitsISK_E10value_typeET2_T3_PNSL_ISQ_E10value_typeET4_jRbjT5_SW_jjP12ihipStream_tbEUlT_E1_NS1_11comp_targetILNS1_3genE10ELNS1_11target_archE1200ELNS1_3gpuE4ELNS1_3repE0EEENS1_59segmented_radix_sort_warp_sort_small_config_static_selectorELNS0_4arch9wavefront6targetE1EEEvSK_
                                        ; -- End function
	.section	.AMDGPU.csdata,"",@progbits
; Kernel info:
; codeLenInByte = 0
; NumSgprs: 4
; NumVgprs: 0
; NumAgprs: 0
; TotalNumVgprs: 0
; ScratchSize: 0
; MemoryBound: 0
; FloatMode: 240
; IeeeMode: 1
; LDSByteSize: 0 bytes/workgroup (compile time only)
; SGPRBlocks: 0
; VGPRBlocks: 0
; NumSGPRsForWavesPerEU: 4
; NumVGPRsForWavesPerEU: 1
; AccumOffset: 4
; Occupancy: 8
; WaveLimiterHint : 0
; COMPUTE_PGM_RSRC2:SCRATCH_EN: 0
; COMPUTE_PGM_RSRC2:USER_SGPR: 6
; COMPUTE_PGM_RSRC2:TRAP_HANDLER: 0
; COMPUTE_PGM_RSRC2:TGID_X_EN: 1
; COMPUTE_PGM_RSRC2:TGID_Y_EN: 0
; COMPUTE_PGM_RSRC2:TGID_Z_EN: 0
; COMPUTE_PGM_RSRC2:TIDIG_COMP_CNT: 0
; COMPUTE_PGM_RSRC3_GFX90A:ACCUM_OFFSET: 0
; COMPUTE_PGM_RSRC3_GFX90A:TG_SPLIT: 0
	.section	.text._ZN7rocprim17ROCPRIM_400000_NS6detail17trampoline_kernelINS0_14default_configENS1_36segmented_radix_sort_config_selectorIdlEEZNS1_25segmented_radix_sort_implIS3_Lb1EPKdPdPKlPlN2at6native12_GLOBAL__N_18offset_tEEE10hipError_tPvRmT1_PNSt15iterator_traitsISK_E10value_typeET2_T3_PNSL_ISQ_E10value_typeET4_jRbjT5_SW_jjP12ihipStream_tbEUlT_E1_NS1_11comp_targetILNS1_3genE9ELNS1_11target_archE1100ELNS1_3gpuE3ELNS1_3repE0EEENS1_59segmented_radix_sort_warp_sort_small_config_static_selectorELNS0_4arch9wavefront6targetE1EEEvSK_,"axG",@progbits,_ZN7rocprim17ROCPRIM_400000_NS6detail17trampoline_kernelINS0_14default_configENS1_36segmented_radix_sort_config_selectorIdlEEZNS1_25segmented_radix_sort_implIS3_Lb1EPKdPdPKlPlN2at6native12_GLOBAL__N_18offset_tEEE10hipError_tPvRmT1_PNSt15iterator_traitsISK_E10value_typeET2_T3_PNSL_ISQ_E10value_typeET4_jRbjT5_SW_jjP12ihipStream_tbEUlT_E1_NS1_11comp_targetILNS1_3genE9ELNS1_11target_archE1100ELNS1_3gpuE3ELNS1_3repE0EEENS1_59segmented_radix_sort_warp_sort_small_config_static_selectorELNS0_4arch9wavefront6targetE1EEEvSK_,comdat
	.globl	_ZN7rocprim17ROCPRIM_400000_NS6detail17trampoline_kernelINS0_14default_configENS1_36segmented_radix_sort_config_selectorIdlEEZNS1_25segmented_radix_sort_implIS3_Lb1EPKdPdPKlPlN2at6native12_GLOBAL__N_18offset_tEEE10hipError_tPvRmT1_PNSt15iterator_traitsISK_E10value_typeET2_T3_PNSL_ISQ_E10value_typeET4_jRbjT5_SW_jjP12ihipStream_tbEUlT_E1_NS1_11comp_targetILNS1_3genE9ELNS1_11target_archE1100ELNS1_3gpuE3ELNS1_3repE0EEENS1_59segmented_radix_sort_warp_sort_small_config_static_selectorELNS0_4arch9wavefront6targetE1EEEvSK_ ; -- Begin function _ZN7rocprim17ROCPRIM_400000_NS6detail17trampoline_kernelINS0_14default_configENS1_36segmented_radix_sort_config_selectorIdlEEZNS1_25segmented_radix_sort_implIS3_Lb1EPKdPdPKlPlN2at6native12_GLOBAL__N_18offset_tEEE10hipError_tPvRmT1_PNSt15iterator_traitsISK_E10value_typeET2_T3_PNSL_ISQ_E10value_typeET4_jRbjT5_SW_jjP12ihipStream_tbEUlT_E1_NS1_11comp_targetILNS1_3genE9ELNS1_11target_archE1100ELNS1_3gpuE3ELNS1_3repE0EEENS1_59segmented_radix_sort_warp_sort_small_config_static_selectorELNS0_4arch9wavefront6targetE1EEEvSK_
	.p2align	8
	.type	_ZN7rocprim17ROCPRIM_400000_NS6detail17trampoline_kernelINS0_14default_configENS1_36segmented_radix_sort_config_selectorIdlEEZNS1_25segmented_radix_sort_implIS3_Lb1EPKdPdPKlPlN2at6native12_GLOBAL__N_18offset_tEEE10hipError_tPvRmT1_PNSt15iterator_traitsISK_E10value_typeET2_T3_PNSL_ISQ_E10value_typeET4_jRbjT5_SW_jjP12ihipStream_tbEUlT_E1_NS1_11comp_targetILNS1_3genE9ELNS1_11target_archE1100ELNS1_3gpuE3ELNS1_3repE0EEENS1_59segmented_radix_sort_warp_sort_small_config_static_selectorELNS0_4arch9wavefront6targetE1EEEvSK_,@function
_ZN7rocprim17ROCPRIM_400000_NS6detail17trampoline_kernelINS0_14default_configENS1_36segmented_radix_sort_config_selectorIdlEEZNS1_25segmented_radix_sort_implIS3_Lb1EPKdPdPKlPlN2at6native12_GLOBAL__N_18offset_tEEE10hipError_tPvRmT1_PNSt15iterator_traitsISK_E10value_typeET2_T3_PNSL_ISQ_E10value_typeET4_jRbjT5_SW_jjP12ihipStream_tbEUlT_E1_NS1_11comp_targetILNS1_3genE9ELNS1_11target_archE1100ELNS1_3gpuE3ELNS1_3repE0EEENS1_59segmented_radix_sort_warp_sort_small_config_static_selectorELNS0_4arch9wavefront6targetE1EEEvSK_: ; @_ZN7rocprim17ROCPRIM_400000_NS6detail17trampoline_kernelINS0_14default_configENS1_36segmented_radix_sort_config_selectorIdlEEZNS1_25segmented_radix_sort_implIS3_Lb1EPKdPdPKlPlN2at6native12_GLOBAL__N_18offset_tEEE10hipError_tPvRmT1_PNSt15iterator_traitsISK_E10value_typeET2_T3_PNSL_ISQ_E10value_typeET4_jRbjT5_SW_jjP12ihipStream_tbEUlT_E1_NS1_11comp_targetILNS1_3genE9ELNS1_11target_archE1100ELNS1_3gpuE3ELNS1_3repE0EEENS1_59segmented_radix_sort_warp_sort_small_config_static_selectorELNS0_4arch9wavefront6targetE1EEEvSK_
; %bb.0:
	.section	.rodata,"a",@progbits
	.p2align	6, 0x0
	.amdhsa_kernel _ZN7rocprim17ROCPRIM_400000_NS6detail17trampoline_kernelINS0_14default_configENS1_36segmented_radix_sort_config_selectorIdlEEZNS1_25segmented_radix_sort_implIS3_Lb1EPKdPdPKlPlN2at6native12_GLOBAL__N_18offset_tEEE10hipError_tPvRmT1_PNSt15iterator_traitsISK_E10value_typeET2_T3_PNSL_ISQ_E10value_typeET4_jRbjT5_SW_jjP12ihipStream_tbEUlT_E1_NS1_11comp_targetILNS1_3genE9ELNS1_11target_archE1100ELNS1_3gpuE3ELNS1_3repE0EEENS1_59segmented_radix_sort_warp_sort_small_config_static_selectorELNS0_4arch9wavefront6targetE1EEEvSK_
		.amdhsa_group_segment_fixed_size 0
		.amdhsa_private_segment_fixed_size 0
		.amdhsa_kernarg_size 88
		.amdhsa_user_sgpr_count 6
		.amdhsa_user_sgpr_private_segment_buffer 1
		.amdhsa_user_sgpr_dispatch_ptr 0
		.amdhsa_user_sgpr_queue_ptr 0
		.amdhsa_user_sgpr_kernarg_segment_ptr 1
		.amdhsa_user_sgpr_dispatch_id 0
		.amdhsa_user_sgpr_flat_scratch_init 0
		.amdhsa_user_sgpr_kernarg_preload_length 0
		.amdhsa_user_sgpr_kernarg_preload_offset 0
		.amdhsa_user_sgpr_private_segment_size 0
		.amdhsa_uses_dynamic_stack 0
		.amdhsa_system_sgpr_private_segment_wavefront_offset 0
		.amdhsa_system_sgpr_workgroup_id_x 1
		.amdhsa_system_sgpr_workgroup_id_y 0
		.amdhsa_system_sgpr_workgroup_id_z 0
		.amdhsa_system_sgpr_workgroup_info 0
		.amdhsa_system_vgpr_workitem_id 0
		.amdhsa_next_free_vgpr 1
		.amdhsa_next_free_sgpr 0
		.amdhsa_accum_offset 4
		.amdhsa_reserve_vcc 0
		.amdhsa_reserve_flat_scratch 0
		.amdhsa_float_round_mode_32 0
		.amdhsa_float_round_mode_16_64 0
		.amdhsa_float_denorm_mode_32 3
		.amdhsa_float_denorm_mode_16_64 3
		.amdhsa_dx10_clamp 1
		.amdhsa_ieee_mode 1
		.amdhsa_fp16_overflow 0
		.amdhsa_tg_split 0
		.amdhsa_exception_fp_ieee_invalid_op 0
		.amdhsa_exception_fp_denorm_src 0
		.amdhsa_exception_fp_ieee_div_zero 0
		.amdhsa_exception_fp_ieee_overflow 0
		.amdhsa_exception_fp_ieee_underflow 0
		.amdhsa_exception_fp_ieee_inexact 0
		.amdhsa_exception_int_div_zero 0
	.end_amdhsa_kernel
	.section	.text._ZN7rocprim17ROCPRIM_400000_NS6detail17trampoline_kernelINS0_14default_configENS1_36segmented_radix_sort_config_selectorIdlEEZNS1_25segmented_radix_sort_implIS3_Lb1EPKdPdPKlPlN2at6native12_GLOBAL__N_18offset_tEEE10hipError_tPvRmT1_PNSt15iterator_traitsISK_E10value_typeET2_T3_PNSL_ISQ_E10value_typeET4_jRbjT5_SW_jjP12ihipStream_tbEUlT_E1_NS1_11comp_targetILNS1_3genE9ELNS1_11target_archE1100ELNS1_3gpuE3ELNS1_3repE0EEENS1_59segmented_radix_sort_warp_sort_small_config_static_selectorELNS0_4arch9wavefront6targetE1EEEvSK_,"axG",@progbits,_ZN7rocprim17ROCPRIM_400000_NS6detail17trampoline_kernelINS0_14default_configENS1_36segmented_radix_sort_config_selectorIdlEEZNS1_25segmented_radix_sort_implIS3_Lb1EPKdPdPKlPlN2at6native12_GLOBAL__N_18offset_tEEE10hipError_tPvRmT1_PNSt15iterator_traitsISK_E10value_typeET2_T3_PNSL_ISQ_E10value_typeET4_jRbjT5_SW_jjP12ihipStream_tbEUlT_E1_NS1_11comp_targetILNS1_3genE9ELNS1_11target_archE1100ELNS1_3gpuE3ELNS1_3repE0EEENS1_59segmented_radix_sort_warp_sort_small_config_static_selectorELNS0_4arch9wavefront6targetE1EEEvSK_,comdat
.Lfunc_end1144:
	.size	_ZN7rocprim17ROCPRIM_400000_NS6detail17trampoline_kernelINS0_14default_configENS1_36segmented_radix_sort_config_selectorIdlEEZNS1_25segmented_radix_sort_implIS3_Lb1EPKdPdPKlPlN2at6native12_GLOBAL__N_18offset_tEEE10hipError_tPvRmT1_PNSt15iterator_traitsISK_E10value_typeET2_T3_PNSL_ISQ_E10value_typeET4_jRbjT5_SW_jjP12ihipStream_tbEUlT_E1_NS1_11comp_targetILNS1_3genE9ELNS1_11target_archE1100ELNS1_3gpuE3ELNS1_3repE0EEENS1_59segmented_radix_sort_warp_sort_small_config_static_selectorELNS0_4arch9wavefront6targetE1EEEvSK_, .Lfunc_end1144-_ZN7rocprim17ROCPRIM_400000_NS6detail17trampoline_kernelINS0_14default_configENS1_36segmented_radix_sort_config_selectorIdlEEZNS1_25segmented_radix_sort_implIS3_Lb1EPKdPdPKlPlN2at6native12_GLOBAL__N_18offset_tEEE10hipError_tPvRmT1_PNSt15iterator_traitsISK_E10value_typeET2_T3_PNSL_ISQ_E10value_typeET4_jRbjT5_SW_jjP12ihipStream_tbEUlT_E1_NS1_11comp_targetILNS1_3genE9ELNS1_11target_archE1100ELNS1_3gpuE3ELNS1_3repE0EEENS1_59segmented_radix_sort_warp_sort_small_config_static_selectorELNS0_4arch9wavefront6targetE1EEEvSK_
                                        ; -- End function
	.section	.AMDGPU.csdata,"",@progbits
; Kernel info:
; codeLenInByte = 0
; NumSgprs: 4
; NumVgprs: 0
; NumAgprs: 0
; TotalNumVgprs: 0
; ScratchSize: 0
; MemoryBound: 0
; FloatMode: 240
; IeeeMode: 1
; LDSByteSize: 0 bytes/workgroup (compile time only)
; SGPRBlocks: 0
; VGPRBlocks: 0
; NumSGPRsForWavesPerEU: 4
; NumVGPRsForWavesPerEU: 1
; AccumOffset: 4
; Occupancy: 8
; WaveLimiterHint : 0
; COMPUTE_PGM_RSRC2:SCRATCH_EN: 0
; COMPUTE_PGM_RSRC2:USER_SGPR: 6
; COMPUTE_PGM_RSRC2:TRAP_HANDLER: 0
; COMPUTE_PGM_RSRC2:TGID_X_EN: 1
; COMPUTE_PGM_RSRC2:TGID_Y_EN: 0
; COMPUTE_PGM_RSRC2:TGID_Z_EN: 0
; COMPUTE_PGM_RSRC2:TIDIG_COMP_CNT: 0
; COMPUTE_PGM_RSRC3_GFX90A:ACCUM_OFFSET: 0
; COMPUTE_PGM_RSRC3_GFX90A:TG_SPLIT: 0
	.section	.text._ZN7rocprim17ROCPRIM_400000_NS6detail17trampoline_kernelINS0_14default_configENS1_36segmented_radix_sort_config_selectorIdlEEZNS1_25segmented_radix_sort_implIS3_Lb1EPKdPdPKlPlN2at6native12_GLOBAL__N_18offset_tEEE10hipError_tPvRmT1_PNSt15iterator_traitsISK_E10value_typeET2_T3_PNSL_ISQ_E10value_typeET4_jRbjT5_SW_jjP12ihipStream_tbEUlT_E1_NS1_11comp_targetILNS1_3genE8ELNS1_11target_archE1030ELNS1_3gpuE2ELNS1_3repE0EEENS1_59segmented_radix_sort_warp_sort_small_config_static_selectorELNS0_4arch9wavefront6targetE1EEEvSK_,"axG",@progbits,_ZN7rocprim17ROCPRIM_400000_NS6detail17trampoline_kernelINS0_14default_configENS1_36segmented_radix_sort_config_selectorIdlEEZNS1_25segmented_radix_sort_implIS3_Lb1EPKdPdPKlPlN2at6native12_GLOBAL__N_18offset_tEEE10hipError_tPvRmT1_PNSt15iterator_traitsISK_E10value_typeET2_T3_PNSL_ISQ_E10value_typeET4_jRbjT5_SW_jjP12ihipStream_tbEUlT_E1_NS1_11comp_targetILNS1_3genE8ELNS1_11target_archE1030ELNS1_3gpuE2ELNS1_3repE0EEENS1_59segmented_radix_sort_warp_sort_small_config_static_selectorELNS0_4arch9wavefront6targetE1EEEvSK_,comdat
	.globl	_ZN7rocprim17ROCPRIM_400000_NS6detail17trampoline_kernelINS0_14default_configENS1_36segmented_radix_sort_config_selectorIdlEEZNS1_25segmented_radix_sort_implIS3_Lb1EPKdPdPKlPlN2at6native12_GLOBAL__N_18offset_tEEE10hipError_tPvRmT1_PNSt15iterator_traitsISK_E10value_typeET2_T3_PNSL_ISQ_E10value_typeET4_jRbjT5_SW_jjP12ihipStream_tbEUlT_E1_NS1_11comp_targetILNS1_3genE8ELNS1_11target_archE1030ELNS1_3gpuE2ELNS1_3repE0EEENS1_59segmented_radix_sort_warp_sort_small_config_static_selectorELNS0_4arch9wavefront6targetE1EEEvSK_ ; -- Begin function _ZN7rocprim17ROCPRIM_400000_NS6detail17trampoline_kernelINS0_14default_configENS1_36segmented_radix_sort_config_selectorIdlEEZNS1_25segmented_radix_sort_implIS3_Lb1EPKdPdPKlPlN2at6native12_GLOBAL__N_18offset_tEEE10hipError_tPvRmT1_PNSt15iterator_traitsISK_E10value_typeET2_T3_PNSL_ISQ_E10value_typeET4_jRbjT5_SW_jjP12ihipStream_tbEUlT_E1_NS1_11comp_targetILNS1_3genE8ELNS1_11target_archE1030ELNS1_3gpuE2ELNS1_3repE0EEENS1_59segmented_radix_sort_warp_sort_small_config_static_selectorELNS0_4arch9wavefront6targetE1EEEvSK_
	.p2align	8
	.type	_ZN7rocprim17ROCPRIM_400000_NS6detail17trampoline_kernelINS0_14default_configENS1_36segmented_radix_sort_config_selectorIdlEEZNS1_25segmented_radix_sort_implIS3_Lb1EPKdPdPKlPlN2at6native12_GLOBAL__N_18offset_tEEE10hipError_tPvRmT1_PNSt15iterator_traitsISK_E10value_typeET2_T3_PNSL_ISQ_E10value_typeET4_jRbjT5_SW_jjP12ihipStream_tbEUlT_E1_NS1_11comp_targetILNS1_3genE8ELNS1_11target_archE1030ELNS1_3gpuE2ELNS1_3repE0EEENS1_59segmented_radix_sort_warp_sort_small_config_static_selectorELNS0_4arch9wavefront6targetE1EEEvSK_,@function
_ZN7rocprim17ROCPRIM_400000_NS6detail17trampoline_kernelINS0_14default_configENS1_36segmented_radix_sort_config_selectorIdlEEZNS1_25segmented_radix_sort_implIS3_Lb1EPKdPdPKlPlN2at6native12_GLOBAL__N_18offset_tEEE10hipError_tPvRmT1_PNSt15iterator_traitsISK_E10value_typeET2_T3_PNSL_ISQ_E10value_typeET4_jRbjT5_SW_jjP12ihipStream_tbEUlT_E1_NS1_11comp_targetILNS1_3genE8ELNS1_11target_archE1030ELNS1_3gpuE2ELNS1_3repE0EEENS1_59segmented_radix_sort_warp_sort_small_config_static_selectorELNS0_4arch9wavefront6targetE1EEEvSK_: ; @_ZN7rocprim17ROCPRIM_400000_NS6detail17trampoline_kernelINS0_14default_configENS1_36segmented_radix_sort_config_selectorIdlEEZNS1_25segmented_radix_sort_implIS3_Lb1EPKdPdPKlPlN2at6native12_GLOBAL__N_18offset_tEEE10hipError_tPvRmT1_PNSt15iterator_traitsISK_E10value_typeET2_T3_PNSL_ISQ_E10value_typeET4_jRbjT5_SW_jjP12ihipStream_tbEUlT_E1_NS1_11comp_targetILNS1_3genE8ELNS1_11target_archE1030ELNS1_3gpuE2ELNS1_3repE0EEENS1_59segmented_radix_sort_warp_sort_small_config_static_selectorELNS0_4arch9wavefront6targetE1EEEvSK_
; %bb.0:
	.section	.rodata,"a",@progbits
	.p2align	6, 0x0
	.amdhsa_kernel _ZN7rocprim17ROCPRIM_400000_NS6detail17trampoline_kernelINS0_14default_configENS1_36segmented_radix_sort_config_selectorIdlEEZNS1_25segmented_radix_sort_implIS3_Lb1EPKdPdPKlPlN2at6native12_GLOBAL__N_18offset_tEEE10hipError_tPvRmT1_PNSt15iterator_traitsISK_E10value_typeET2_T3_PNSL_ISQ_E10value_typeET4_jRbjT5_SW_jjP12ihipStream_tbEUlT_E1_NS1_11comp_targetILNS1_3genE8ELNS1_11target_archE1030ELNS1_3gpuE2ELNS1_3repE0EEENS1_59segmented_radix_sort_warp_sort_small_config_static_selectorELNS0_4arch9wavefront6targetE1EEEvSK_
		.amdhsa_group_segment_fixed_size 0
		.amdhsa_private_segment_fixed_size 0
		.amdhsa_kernarg_size 88
		.amdhsa_user_sgpr_count 6
		.amdhsa_user_sgpr_private_segment_buffer 1
		.amdhsa_user_sgpr_dispatch_ptr 0
		.amdhsa_user_sgpr_queue_ptr 0
		.amdhsa_user_sgpr_kernarg_segment_ptr 1
		.amdhsa_user_sgpr_dispatch_id 0
		.amdhsa_user_sgpr_flat_scratch_init 0
		.amdhsa_user_sgpr_kernarg_preload_length 0
		.amdhsa_user_sgpr_kernarg_preload_offset 0
		.amdhsa_user_sgpr_private_segment_size 0
		.amdhsa_uses_dynamic_stack 0
		.amdhsa_system_sgpr_private_segment_wavefront_offset 0
		.amdhsa_system_sgpr_workgroup_id_x 1
		.amdhsa_system_sgpr_workgroup_id_y 0
		.amdhsa_system_sgpr_workgroup_id_z 0
		.amdhsa_system_sgpr_workgroup_info 0
		.amdhsa_system_vgpr_workitem_id 0
		.amdhsa_next_free_vgpr 1
		.amdhsa_next_free_sgpr 0
		.amdhsa_accum_offset 4
		.amdhsa_reserve_vcc 0
		.amdhsa_reserve_flat_scratch 0
		.amdhsa_float_round_mode_32 0
		.amdhsa_float_round_mode_16_64 0
		.amdhsa_float_denorm_mode_32 3
		.amdhsa_float_denorm_mode_16_64 3
		.amdhsa_dx10_clamp 1
		.amdhsa_ieee_mode 1
		.amdhsa_fp16_overflow 0
		.amdhsa_tg_split 0
		.amdhsa_exception_fp_ieee_invalid_op 0
		.amdhsa_exception_fp_denorm_src 0
		.amdhsa_exception_fp_ieee_div_zero 0
		.amdhsa_exception_fp_ieee_overflow 0
		.amdhsa_exception_fp_ieee_underflow 0
		.amdhsa_exception_fp_ieee_inexact 0
		.amdhsa_exception_int_div_zero 0
	.end_amdhsa_kernel
	.section	.text._ZN7rocprim17ROCPRIM_400000_NS6detail17trampoline_kernelINS0_14default_configENS1_36segmented_radix_sort_config_selectorIdlEEZNS1_25segmented_radix_sort_implIS3_Lb1EPKdPdPKlPlN2at6native12_GLOBAL__N_18offset_tEEE10hipError_tPvRmT1_PNSt15iterator_traitsISK_E10value_typeET2_T3_PNSL_ISQ_E10value_typeET4_jRbjT5_SW_jjP12ihipStream_tbEUlT_E1_NS1_11comp_targetILNS1_3genE8ELNS1_11target_archE1030ELNS1_3gpuE2ELNS1_3repE0EEENS1_59segmented_radix_sort_warp_sort_small_config_static_selectorELNS0_4arch9wavefront6targetE1EEEvSK_,"axG",@progbits,_ZN7rocprim17ROCPRIM_400000_NS6detail17trampoline_kernelINS0_14default_configENS1_36segmented_radix_sort_config_selectorIdlEEZNS1_25segmented_radix_sort_implIS3_Lb1EPKdPdPKlPlN2at6native12_GLOBAL__N_18offset_tEEE10hipError_tPvRmT1_PNSt15iterator_traitsISK_E10value_typeET2_T3_PNSL_ISQ_E10value_typeET4_jRbjT5_SW_jjP12ihipStream_tbEUlT_E1_NS1_11comp_targetILNS1_3genE8ELNS1_11target_archE1030ELNS1_3gpuE2ELNS1_3repE0EEENS1_59segmented_radix_sort_warp_sort_small_config_static_selectorELNS0_4arch9wavefront6targetE1EEEvSK_,comdat
.Lfunc_end1145:
	.size	_ZN7rocprim17ROCPRIM_400000_NS6detail17trampoline_kernelINS0_14default_configENS1_36segmented_radix_sort_config_selectorIdlEEZNS1_25segmented_radix_sort_implIS3_Lb1EPKdPdPKlPlN2at6native12_GLOBAL__N_18offset_tEEE10hipError_tPvRmT1_PNSt15iterator_traitsISK_E10value_typeET2_T3_PNSL_ISQ_E10value_typeET4_jRbjT5_SW_jjP12ihipStream_tbEUlT_E1_NS1_11comp_targetILNS1_3genE8ELNS1_11target_archE1030ELNS1_3gpuE2ELNS1_3repE0EEENS1_59segmented_radix_sort_warp_sort_small_config_static_selectorELNS0_4arch9wavefront6targetE1EEEvSK_, .Lfunc_end1145-_ZN7rocprim17ROCPRIM_400000_NS6detail17trampoline_kernelINS0_14default_configENS1_36segmented_radix_sort_config_selectorIdlEEZNS1_25segmented_radix_sort_implIS3_Lb1EPKdPdPKlPlN2at6native12_GLOBAL__N_18offset_tEEE10hipError_tPvRmT1_PNSt15iterator_traitsISK_E10value_typeET2_T3_PNSL_ISQ_E10value_typeET4_jRbjT5_SW_jjP12ihipStream_tbEUlT_E1_NS1_11comp_targetILNS1_3genE8ELNS1_11target_archE1030ELNS1_3gpuE2ELNS1_3repE0EEENS1_59segmented_radix_sort_warp_sort_small_config_static_selectorELNS0_4arch9wavefront6targetE1EEEvSK_
                                        ; -- End function
	.section	.AMDGPU.csdata,"",@progbits
; Kernel info:
; codeLenInByte = 0
; NumSgprs: 4
; NumVgprs: 0
; NumAgprs: 0
; TotalNumVgprs: 0
; ScratchSize: 0
; MemoryBound: 0
; FloatMode: 240
; IeeeMode: 1
; LDSByteSize: 0 bytes/workgroup (compile time only)
; SGPRBlocks: 0
; VGPRBlocks: 0
; NumSGPRsForWavesPerEU: 4
; NumVGPRsForWavesPerEU: 1
; AccumOffset: 4
; Occupancy: 8
; WaveLimiterHint : 0
; COMPUTE_PGM_RSRC2:SCRATCH_EN: 0
; COMPUTE_PGM_RSRC2:USER_SGPR: 6
; COMPUTE_PGM_RSRC2:TRAP_HANDLER: 0
; COMPUTE_PGM_RSRC2:TGID_X_EN: 1
; COMPUTE_PGM_RSRC2:TGID_Y_EN: 0
; COMPUTE_PGM_RSRC2:TGID_Z_EN: 0
; COMPUTE_PGM_RSRC2:TIDIG_COMP_CNT: 0
; COMPUTE_PGM_RSRC3_GFX90A:ACCUM_OFFSET: 0
; COMPUTE_PGM_RSRC3_GFX90A:TG_SPLIT: 0
	.section	.text._ZN7rocprim17ROCPRIM_400000_NS6detail17trampoline_kernelINS0_14default_configENS1_36segmented_radix_sort_config_selectorIdlEEZNS1_25segmented_radix_sort_implIS3_Lb1EPKdPdPKlPlN2at6native12_GLOBAL__N_18offset_tEEE10hipError_tPvRmT1_PNSt15iterator_traitsISK_E10value_typeET2_T3_PNSL_ISQ_E10value_typeET4_jRbjT5_SW_jjP12ihipStream_tbEUlT_E2_NS1_11comp_targetILNS1_3genE0ELNS1_11target_archE4294967295ELNS1_3gpuE0ELNS1_3repE0EEENS1_30default_config_static_selectorELNS0_4arch9wavefront6targetE1EEEvSK_,"axG",@progbits,_ZN7rocprim17ROCPRIM_400000_NS6detail17trampoline_kernelINS0_14default_configENS1_36segmented_radix_sort_config_selectorIdlEEZNS1_25segmented_radix_sort_implIS3_Lb1EPKdPdPKlPlN2at6native12_GLOBAL__N_18offset_tEEE10hipError_tPvRmT1_PNSt15iterator_traitsISK_E10value_typeET2_T3_PNSL_ISQ_E10value_typeET4_jRbjT5_SW_jjP12ihipStream_tbEUlT_E2_NS1_11comp_targetILNS1_3genE0ELNS1_11target_archE4294967295ELNS1_3gpuE0ELNS1_3repE0EEENS1_30default_config_static_selectorELNS0_4arch9wavefront6targetE1EEEvSK_,comdat
	.globl	_ZN7rocprim17ROCPRIM_400000_NS6detail17trampoline_kernelINS0_14default_configENS1_36segmented_radix_sort_config_selectorIdlEEZNS1_25segmented_radix_sort_implIS3_Lb1EPKdPdPKlPlN2at6native12_GLOBAL__N_18offset_tEEE10hipError_tPvRmT1_PNSt15iterator_traitsISK_E10value_typeET2_T3_PNSL_ISQ_E10value_typeET4_jRbjT5_SW_jjP12ihipStream_tbEUlT_E2_NS1_11comp_targetILNS1_3genE0ELNS1_11target_archE4294967295ELNS1_3gpuE0ELNS1_3repE0EEENS1_30default_config_static_selectorELNS0_4arch9wavefront6targetE1EEEvSK_ ; -- Begin function _ZN7rocprim17ROCPRIM_400000_NS6detail17trampoline_kernelINS0_14default_configENS1_36segmented_radix_sort_config_selectorIdlEEZNS1_25segmented_radix_sort_implIS3_Lb1EPKdPdPKlPlN2at6native12_GLOBAL__N_18offset_tEEE10hipError_tPvRmT1_PNSt15iterator_traitsISK_E10value_typeET2_T3_PNSL_ISQ_E10value_typeET4_jRbjT5_SW_jjP12ihipStream_tbEUlT_E2_NS1_11comp_targetILNS1_3genE0ELNS1_11target_archE4294967295ELNS1_3gpuE0ELNS1_3repE0EEENS1_30default_config_static_selectorELNS0_4arch9wavefront6targetE1EEEvSK_
	.p2align	8
	.type	_ZN7rocprim17ROCPRIM_400000_NS6detail17trampoline_kernelINS0_14default_configENS1_36segmented_radix_sort_config_selectorIdlEEZNS1_25segmented_radix_sort_implIS3_Lb1EPKdPdPKlPlN2at6native12_GLOBAL__N_18offset_tEEE10hipError_tPvRmT1_PNSt15iterator_traitsISK_E10value_typeET2_T3_PNSL_ISQ_E10value_typeET4_jRbjT5_SW_jjP12ihipStream_tbEUlT_E2_NS1_11comp_targetILNS1_3genE0ELNS1_11target_archE4294967295ELNS1_3gpuE0ELNS1_3repE0EEENS1_30default_config_static_selectorELNS0_4arch9wavefront6targetE1EEEvSK_,@function
_ZN7rocprim17ROCPRIM_400000_NS6detail17trampoline_kernelINS0_14default_configENS1_36segmented_radix_sort_config_selectorIdlEEZNS1_25segmented_radix_sort_implIS3_Lb1EPKdPdPKlPlN2at6native12_GLOBAL__N_18offset_tEEE10hipError_tPvRmT1_PNSt15iterator_traitsISK_E10value_typeET2_T3_PNSL_ISQ_E10value_typeET4_jRbjT5_SW_jjP12ihipStream_tbEUlT_E2_NS1_11comp_targetILNS1_3genE0ELNS1_11target_archE4294967295ELNS1_3gpuE0ELNS1_3repE0EEENS1_30default_config_static_selectorELNS0_4arch9wavefront6targetE1EEEvSK_: ; @_ZN7rocprim17ROCPRIM_400000_NS6detail17trampoline_kernelINS0_14default_configENS1_36segmented_radix_sort_config_selectorIdlEEZNS1_25segmented_radix_sort_implIS3_Lb1EPKdPdPKlPlN2at6native12_GLOBAL__N_18offset_tEEE10hipError_tPvRmT1_PNSt15iterator_traitsISK_E10value_typeET2_T3_PNSL_ISQ_E10value_typeET4_jRbjT5_SW_jjP12ihipStream_tbEUlT_E2_NS1_11comp_targetILNS1_3genE0ELNS1_11target_archE4294967295ELNS1_3gpuE0ELNS1_3repE0EEENS1_30default_config_static_selectorELNS0_4arch9wavefront6targetE1EEEvSK_
; %bb.0:
	.section	.rodata,"a",@progbits
	.p2align	6, 0x0
	.amdhsa_kernel _ZN7rocprim17ROCPRIM_400000_NS6detail17trampoline_kernelINS0_14default_configENS1_36segmented_radix_sort_config_selectorIdlEEZNS1_25segmented_radix_sort_implIS3_Lb1EPKdPdPKlPlN2at6native12_GLOBAL__N_18offset_tEEE10hipError_tPvRmT1_PNSt15iterator_traitsISK_E10value_typeET2_T3_PNSL_ISQ_E10value_typeET4_jRbjT5_SW_jjP12ihipStream_tbEUlT_E2_NS1_11comp_targetILNS1_3genE0ELNS1_11target_archE4294967295ELNS1_3gpuE0ELNS1_3repE0EEENS1_30default_config_static_selectorELNS0_4arch9wavefront6targetE1EEEvSK_
		.amdhsa_group_segment_fixed_size 0
		.amdhsa_private_segment_fixed_size 0
		.amdhsa_kernarg_size 80
		.amdhsa_user_sgpr_count 6
		.amdhsa_user_sgpr_private_segment_buffer 1
		.amdhsa_user_sgpr_dispatch_ptr 0
		.amdhsa_user_sgpr_queue_ptr 0
		.amdhsa_user_sgpr_kernarg_segment_ptr 1
		.amdhsa_user_sgpr_dispatch_id 0
		.amdhsa_user_sgpr_flat_scratch_init 0
		.amdhsa_user_sgpr_kernarg_preload_length 0
		.amdhsa_user_sgpr_kernarg_preload_offset 0
		.amdhsa_user_sgpr_private_segment_size 0
		.amdhsa_uses_dynamic_stack 0
		.amdhsa_system_sgpr_private_segment_wavefront_offset 0
		.amdhsa_system_sgpr_workgroup_id_x 1
		.amdhsa_system_sgpr_workgroup_id_y 0
		.amdhsa_system_sgpr_workgroup_id_z 0
		.amdhsa_system_sgpr_workgroup_info 0
		.amdhsa_system_vgpr_workitem_id 0
		.amdhsa_next_free_vgpr 1
		.amdhsa_next_free_sgpr 0
		.amdhsa_accum_offset 4
		.amdhsa_reserve_vcc 0
		.amdhsa_reserve_flat_scratch 0
		.amdhsa_float_round_mode_32 0
		.amdhsa_float_round_mode_16_64 0
		.amdhsa_float_denorm_mode_32 3
		.amdhsa_float_denorm_mode_16_64 3
		.amdhsa_dx10_clamp 1
		.amdhsa_ieee_mode 1
		.amdhsa_fp16_overflow 0
		.amdhsa_tg_split 0
		.amdhsa_exception_fp_ieee_invalid_op 0
		.amdhsa_exception_fp_denorm_src 0
		.amdhsa_exception_fp_ieee_div_zero 0
		.amdhsa_exception_fp_ieee_overflow 0
		.amdhsa_exception_fp_ieee_underflow 0
		.amdhsa_exception_fp_ieee_inexact 0
		.amdhsa_exception_int_div_zero 0
	.end_amdhsa_kernel
	.section	.text._ZN7rocprim17ROCPRIM_400000_NS6detail17trampoline_kernelINS0_14default_configENS1_36segmented_radix_sort_config_selectorIdlEEZNS1_25segmented_radix_sort_implIS3_Lb1EPKdPdPKlPlN2at6native12_GLOBAL__N_18offset_tEEE10hipError_tPvRmT1_PNSt15iterator_traitsISK_E10value_typeET2_T3_PNSL_ISQ_E10value_typeET4_jRbjT5_SW_jjP12ihipStream_tbEUlT_E2_NS1_11comp_targetILNS1_3genE0ELNS1_11target_archE4294967295ELNS1_3gpuE0ELNS1_3repE0EEENS1_30default_config_static_selectorELNS0_4arch9wavefront6targetE1EEEvSK_,"axG",@progbits,_ZN7rocprim17ROCPRIM_400000_NS6detail17trampoline_kernelINS0_14default_configENS1_36segmented_radix_sort_config_selectorIdlEEZNS1_25segmented_radix_sort_implIS3_Lb1EPKdPdPKlPlN2at6native12_GLOBAL__N_18offset_tEEE10hipError_tPvRmT1_PNSt15iterator_traitsISK_E10value_typeET2_T3_PNSL_ISQ_E10value_typeET4_jRbjT5_SW_jjP12ihipStream_tbEUlT_E2_NS1_11comp_targetILNS1_3genE0ELNS1_11target_archE4294967295ELNS1_3gpuE0ELNS1_3repE0EEENS1_30default_config_static_selectorELNS0_4arch9wavefront6targetE1EEEvSK_,comdat
.Lfunc_end1146:
	.size	_ZN7rocprim17ROCPRIM_400000_NS6detail17trampoline_kernelINS0_14default_configENS1_36segmented_radix_sort_config_selectorIdlEEZNS1_25segmented_radix_sort_implIS3_Lb1EPKdPdPKlPlN2at6native12_GLOBAL__N_18offset_tEEE10hipError_tPvRmT1_PNSt15iterator_traitsISK_E10value_typeET2_T3_PNSL_ISQ_E10value_typeET4_jRbjT5_SW_jjP12ihipStream_tbEUlT_E2_NS1_11comp_targetILNS1_3genE0ELNS1_11target_archE4294967295ELNS1_3gpuE0ELNS1_3repE0EEENS1_30default_config_static_selectorELNS0_4arch9wavefront6targetE1EEEvSK_, .Lfunc_end1146-_ZN7rocprim17ROCPRIM_400000_NS6detail17trampoline_kernelINS0_14default_configENS1_36segmented_radix_sort_config_selectorIdlEEZNS1_25segmented_radix_sort_implIS3_Lb1EPKdPdPKlPlN2at6native12_GLOBAL__N_18offset_tEEE10hipError_tPvRmT1_PNSt15iterator_traitsISK_E10value_typeET2_T3_PNSL_ISQ_E10value_typeET4_jRbjT5_SW_jjP12ihipStream_tbEUlT_E2_NS1_11comp_targetILNS1_3genE0ELNS1_11target_archE4294967295ELNS1_3gpuE0ELNS1_3repE0EEENS1_30default_config_static_selectorELNS0_4arch9wavefront6targetE1EEEvSK_
                                        ; -- End function
	.section	.AMDGPU.csdata,"",@progbits
; Kernel info:
; codeLenInByte = 0
; NumSgprs: 4
; NumVgprs: 0
; NumAgprs: 0
; TotalNumVgprs: 0
; ScratchSize: 0
; MemoryBound: 0
; FloatMode: 240
; IeeeMode: 1
; LDSByteSize: 0 bytes/workgroup (compile time only)
; SGPRBlocks: 0
; VGPRBlocks: 0
; NumSGPRsForWavesPerEU: 4
; NumVGPRsForWavesPerEU: 1
; AccumOffset: 4
; Occupancy: 8
; WaveLimiterHint : 0
; COMPUTE_PGM_RSRC2:SCRATCH_EN: 0
; COMPUTE_PGM_RSRC2:USER_SGPR: 6
; COMPUTE_PGM_RSRC2:TRAP_HANDLER: 0
; COMPUTE_PGM_RSRC2:TGID_X_EN: 1
; COMPUTE_PGM_RSRC2:TGID_Y_EN: 0
; COMPUTE_PGM_RSRC2:TGID_Z_EN: 0
; COMPUTE_PGM_RSRC2:TIDIG_COMP_CNT: 0
; COMPUTE_PGM_RSRC3_GFX90A:ACCUM_OFFSET: 0
; COMPUTE_PGM_RSRC3_GFX90A:TG_SPLIT: 0
	.section	.text._ZN7rocprim17ROCPRIM_400000_NS6detail17trampoline_kernelINS0_14default_configENS1_36segmented_radix_sort_config_selectorIdlEEZNS1_25segmented_radix_sort_implIS3_Lb1EPKdPdPKlPlN2at6native12_GLOBAL__N_18offset_tEEE10hipError_tPvRmT1_PNSt15iterator_traitsISK_E10value_typeET2_T3_PNSL_ISQ_E10value_typeET4_jRbjT5_SW_jjP12ihipStream_tbEUlT_E2_NS1_11comp_targetILNS1_3genE5ELNS1_11target_archE942ELNS1_3gpuE9ELNS1_3repE0EEENS1_30default_config_static_selectorELNS0_4arch9wavefront6targetE1EEEvSK_,"axG",@progbits,_ZN7rocprim17ROCPRIM_400000_NS6detail17trampoline_kernelINS0_14default_configENS1_36segmented_radix_sort_config_selectorIdlEEZNS1_25segmented_radix_sort_implIS3_Lb1EPKdPdPKlPlN2at6native12_GLOBAL__N_18offset_tEEE10hipError_tPvRmT1_PNSt15iterator_traitsISK_E10value_typeET2_T3_PNSL_ISQ_E10value_typeET4_jRbjT5_SW_jjP12ihipStream_tbEUlT_E2_NS1_11comp_targetILNS1_3genE5ELNS1_11target_archE942ELNS1_3gpuE9ELNS1_3repE0EEENS1_30default_config_static_selectorELNS0_4arch9wavefront6targetE1EEEvSK_,comdat
	.globl	_ZN7rocprim17ROCPRIM_400000_NS6detail17trampoline_kernelINS0_14default_configENS1_36segmented_radix_sort_config_selectorIdlEEZNS1_25segmented_radix_sort_implIS3_Lb1EPKdPdPKlPlN2at6native12_GLOBAL__N_18offset_tEEE10hipError_tPvRmT1_PNSt15iterator_traitsISK_E10value_typeET2_T3_PNSL_ISQ_E10value_typeET4_jRbjT5_SW_jjP12ihipStream_tbEUlT_E2_NS1_11comp_targetILNS1_3genE5ELNS1_11target_archE942ELNS1_3gpuE9ELNS1_3repE0EEENS1_30default_config_static_selectorELNS0_4arch9wavefront6targetE1EEEvSK_ ; -- Begin function _ZN7rocprim17ROCPRIM_400000_NS6detail17trampoline_kernelINS0_14default_configENS1_36segmented_radix_sort_config_selectorIdlEEZNS1_25segmented_radix_sort_implIS3_Lb1EPKdPdPKlPlN2at6native12_GLOBAL__N_18offset_tEEE10hipError_tPvRmT1_PNSt15iterator_traitsISK_E10value_typeET2_T3_PNSL_ISQ_E10value_typeET4_jRbjT5_SW_jjP12ihipStream_tbEUlT_E2_NS1_11comp_targetILNS1_3genE5ELNS1_11target_archE942ELNS1_3gpuE9ELNS1_3repE0EEENS1_30default_config_static_selectorELNS0_4arch9wavefront6targetE1EEEvSK_
	.p2align	8
	.type	_ZN7rocprim17ROCPRIM_400000_NS6detail17trampoline_kernelINS0_14default_configENS1_36segmented_radix_sort_config_selectorIdlEEZNS1_25segmented_radix_sort_implIS3_Lb1EPKdPdPKlPlN2at6native12_GLOBAL__N_18offset_tEEE10hipError_tPvRmT1_PNSt15iterator_traitsISK_E10value_typeET2_T3_PNSL_ISQ_E10value_typeET4_jRbjT5_SW_jjP12ihipStream_tbEUlT_E2_NS1_11comp_targetILNS1_3genE5ELNS1_11target_archE942ELNS1_3gpuE9ELNS1_3repE0EEENS1_30default_config_static_selectorELNS0_4arch9wavefront6targetE1EEEvSK_,@function
_ZN7rocprim17ROCPRIM_400000_NS6detail17trampoline_kernelINS0_14default_configENS1_36segmented_radix_sort_config_selectorIdlEEZNS1_25segmented_radix_sort_implIS3_Lb1EPKdPdPKlPlN2at6native12_GLOBAL__N_18offset_tEEE10hipError_tPvRmT1_PNSt15iterator_traitsISK_E10value_typeET2_T3_PNSL_ISQ_E10value_typeET4_jRbjT5_SW_jjP12ihipStream_tbEUlT_E2_NS1_11comp_targetILNS1_3genE5ELNS1_11target_archE942ELNS1_3gpuE9ELNS1_3repE0EEENS1_30default_config_static_selectorELNS0_4arch9wavefront6targetE1EEEvSK_: ; @_ZN7rocprim17ROCPRIM_400000_NS6detail17trampoline_kernelINS0_14default_configENS1_36segmented_radix_sort_config_selectorIdlEEZNS1_25segmented_radix_sort_implIS3_Lb1EPKdPdPKlPlN2at6native12_GLOBAL__N_18offset_tEEE10hipError_tPvRmT1_PNSt15iterator_traitsISK_E10value_typeET2_T3_PNSL_ISQ_E10value_typeET4_jRbjT5_SW_jjP12ihipStream_tbEUlT_E2_NS1_11comp_targetILNS1_3genE5ELNS1_11target_archE942ELNS1_3gpuE9ELNS1_3repE0EEENS1_30default_config_static_selectorELNS0_4arch9wavefront6targetE1EEEvSK_
; %bb.0:
	.section	.rodata,"a",@progbits
	.p2align	6, 0x0
	.amdhsa_kernel _ZN7rocprim17ROCPRIM_400000_NS6detail17trampoline_kernelINS0_14default_configENS1_36segmented_radix_sort_config_selectorIdlEEZNS1_25segmented_radix_sort_implIS3_Lb1EPKdPdPKlPlN2at6native12_GLOBAL__N_18offset_tEEE10hipError_tPvRmT1_PNSt15iterator_traitsISK_E10value_typeET2_T3_PNSL_ISQ_E10value_typeET4_jRbjT5_SW_jjP12ihipStream_tbEUlT_E2_NS1_11comp_targetILNS1_3genE5ELNS1_11target_archE942ELNS1_3gpuE9ELNS1_3repE0EEENS1_30default_config_static_selectorELNS0_4arch9wavefront6targetE1EEEvSK_
		.amdhsa_group_segment_fixed_size 0
		.amdhsa_private_segment_fixed_size 0
		.amdhsa_kernarg_size 80
		.amdhsa_user_sgpr_count 6
		.amdhsa_user_sgpr_private_segment_buffer 1
		.amdhsa_user_sgpr_dispatch_ptr 0
		.amdhsa_user_sgpr_queue_ptr 0
		.amdhsa_user_sgpr_kernarg_segment_ptr 1
		.amdhsa_user_sgpr_dispatch_id 0
		.amdhsa_user_sgpr_flat_scratch_init 0
		.amdhsa_user_sgpr_kernarg_preload_length 0
		.amdhsa_user_sgpr_kernarg_preload_offset 0
		.amdhsa_user_sgpr_private_segment_size 0
		.amdhsa_uses_dynamic_stack 0
		.amdhsa_system_sgpr_private_segment_wavefront_offset 0
		.amdhsa_system_sgpr_workgroup_id_x 1
		.amdhsa_system_sgpr_workgroup_id_y 0
		.amdhsa_system_sgpr_workgroup_id_z 0
		.amdhsa_system_sgpr_workgroup_info 0
		.amdhsa_system_vgpr_workitem_id 0
		.amdhsa_next_free_vgpr 1
		.amdhsa_next_free_sgpr 0
		.amdhsa_accum_offset 4
		.amdhsa_reserve_vcc 0
		.amdhsa_reserve_flat_scratch 0
		.amdhsa_float_round_mode_32 0
		.amdhsa_float_round_mode_16_64 0
		.amdhsa_float_denorm_mode_32 3
		.amdhsa_float_denorm_mode_16_64 3
		.amdhsa_dx10_clamp 1
		.amdhsa_ieee_mode 1
		.amdhsa_fp16_overflow 0
		.amdhsa_tg_split 0
		.amdhsa_exception_fp_ieee_invalid_op 0
		.amdhsa_exception_fp_denorm_src 0
		.amdhsa_exception_fp_ieee_div_zero 0
		.amdhsa_exception_fp_ieee_overflow 0
		.amdhsa_exception_fp_ieee_underflow 0
		.amdhsa_exception_fp_ieee_inexact 0
		.amdhsa_exception_int_div_zero 0
	.end_amdhsa_kernel
	.section	.text._ZN7rocprim17ROCPRIM_400000_NS6detail17trampoline_kernelINS0_14default_configENS1_36segmented_radix_sort_config_selectorIdlEEZNS1_25segmented_radix_sort_implIS3_Lb1EPKdPdPKlPlN2at6native12_GLOBAL__N_18offset_tEEE10hipError_tPvRmT1_PNSt15iterator_traitsISK_E10value_typeET2_T3_PNSL_ISQ_E10value_typeET4_jRbjT5_SW_jjP12ihipStream_tbEUlT_E2_NS1_11comp_targetILNS1_3genE5ELNS1_11target_archE942ELNS1_3gpuE9ELNS1_3repE0EEENS1_30default_config_static_selectorELNS0_4arch9wavefront6targetE1EEEvSK_,"axG",@progbits,_ZN7rocprim17ROCPRIM_400000_NS6detail17trampoline_kernelINS0_14default_configENS1_36segmented_radix_sort_config_selectorIdlEEZNS1_25segmented_radix_sort_implIS3_Lb1EPKdPdPKlPlN2at6native12_GLOBAL__N_18offset_tEEE10hipError_tPvRmT1_PNSt15iterator_traitsISK_E10value_typeET2_T3_PNSL_ISQ_E10value_typeET4_jRbjT5_SW_jjP12ihipStream_tbEUlT_E2_NS1_11comp_targetILNS1_3genE5ELNS1_11target_archE942ELNS1_3gpuE9ELNS1_3repE0EEENS1_30default_config_static_selectorELNS0_4arch9wavefront6targetE1EEEvSK_,comdat
.Lfunc_end1147:
	.size	_ZN7rocprim17ROCPRIM_400000_NS6detail17trampoline_kernelINS0_14default_configENS1_36segmented_radix_sort_config_selectorIdlEEZNS1_25segmented_radix_sort_implIS3_Lb1EPKdPdPKlPlN2at6native12_GLOBAL__N_18offset_tEEE10hipError_tPvRmT1_PNSt15iterator_traitsISK_E10value_typeET2_T3_PNSL_ISQ_E10value_typeET4_jRbjT5_SW_jjP12ihipStream_tbEUlT_E2_NS1_11comp_targetILNS1_3genE5ELNS1_11target_archE942ELNS1_3gpuE9ELNS1_3repE0EEENS1_30default_config_static_selectorELNS0_4arch9wavefront6targetE1EEEvSK_, .Lfunc_end1147-_ZN7rocprim17ROCPRIM_400000_NS6detail17trampoline_kernelINS0_14default_configENS1_36segmented_radix_sort_config_selectorIdlEEZNS1_25segmented_radix_sort_implIS3_Lb1EPKdPdPKlPlN2at6native12_GLOBAL__N_18offset_tEEE10hipError_tPvRmT1_PNSt15iterator_traitsISK_E10value_typeET2_T3_PNSL_ISQ_E10value_typeET4_jRbjT5_SW_jjP12ihipStream_tbEUlT_E2_NS1_11comp_targetILNS1_3genE5ELNS1_11target_archE942ELNS1_3gpuE9ELNS1_3repE0EEENS1_30default_config_static_selectorELNS0_4arch9wavefront6targetE1EEEvSK_
                                        ; -- End function
	.section	.AMDGPU.csdata,"",@progbits
; Kernel info:
; codeLenInByte = 0
; NumSgprs: 4
; NumVgprs: 0
; NumAgprs: 0
; TotalNumVgprs: 0
; ScratchSize: 0
; MemoryBound: 0
; FloatMode: 240
; IeeeMode: 1
; LDSByteSize: 0 bytes/workgroup (compile time only)
; SGPRBlocks: 0
; VGPRBlocks: 0
; NumSGPRsForWavesPerEU: 4
; NumVGPRsForWavesPerEU: 1
; AccumOffset: 4
; Occupancy: 8
; WaveLimiterHint : 0
; COMPUTE_PGM_RSRC2:SCRATCH_EN: 0
; COMPUTE_PGM_RSRC2:USER_SGPR: 6
; COMPUTE_PGM_RSRC2:TRAP_HANDLER: 0
; COMPUTE_PGM_RSRC2:TGID_X_EN: 1
; COMPUTE_PGM_RSRC2:TGID_Y_EN: 0
; COMPUTE_PGM_RSRC2:TGID_Z_EN: 0
; COMPUTE_PGM_RSRC2:TIDIG_COMP_CNT: 0
; COMPUTE_PGM_RSRC3_GFX90A:ACCUM_OFFSET: 0
; COMPUTE_PGM_RSRC3_GFX90A:TG_SPLIT: 0
	.section	.text._ZN7rocprim17ROCPRIM_400000_NS6detail17trampoline_kernelINS0_14default_configENS1_36segmented_radix_sort_config_selectorIdlEEZNS1_25segmented_radix_sort_implIS3_Lb1EPKdPdPKlPlN2at6native12_GLOBAL__N_18offset_tEEE10hipError_tPvRmT1_PNSt15iterator_traitsISK_E10value_typeET2_T3_PNSL_ISQ_E10value_typeET4_jRbjT5_SW_jjP12ihipStream_tbEUlT_E2_NS1_11comp_targetILNS1_3genE4ELNS1_11target_archE910ELNS1_3gpuE8ELNS1_3repE0EEENS1_30default_config_static_selectorELNS0_4arch9wavefront6targetE1EEEvSK_,"axG",@progbits,_ZN7rocprim17ROCPRIM_400000_NS6detail17trampoline_kernelINS0_14default_configENS1_36segmented_radix_sort_config_selectorIdlEEZNS1_25segmented_radix_sort_implIS3_Lb1EPKdPdPKlPlN2at6native12_GLOBAL__N_18offset_tEEE10hipError_tPvRmT1_PNSt15iterator_traitsISK_E10value_typeET2_T3_PNSL_ISQ_E10value_typeET4_jRbjT5_SW_jjP12ihipStream_tbEUlT_E2_NS1_11comp_targetILNS1_3genE4ELNS1_11target_archE910ELNS1_3gpuE8ELNS1_3repE0EEENS1_30default_config_static_selectorELNS0_4arch9wavefront6targetE1EEEvSK_,comdat
	.globl	_ZN7rocprim17ROCPRIM_400000_NS6detail17trampoline_kernelINS0_14default_configENS1_36segmented_radix_sort_config_selectorIdlEEZNS1_25segmented_radix_sort_implIS3_Lb1EPKdPdPKlPlN2at6native12_GLOBAL__N_18offset_tEEE10hipError_tPvRmT1_PNSt15iterator_traitsISK_E10value_typeET2_T3_PNSL_ISQ_E10value_typeET4_jRbjT5_SW_jjP12ihipStream_tbEUlT_E2_NS1_11comp_targetILNS1_3genE4ELNS1_11target_archE910ELNS1_3gpuE8ELNS1_3repE0EEENS1_30default_config_static_selectorELNS0_4arch9wavefront6targetE1EEEvSK_ ; -- Begin function _ZN7rocprim17ROCPRIM_400000_NS6detail17trampoline_kernelINS0_14default_configENS1_36segmented_radix_sort_config_selectorIdlEEZNS1_25segmented_radix_sort_implIS3_Lb1EPKdPdPKlPlN2at6native12_GLOBAL__N_18offset_tEEE10hipError_tPvRmT1_PNSt15iterator_traitsISK_E10value_typeET2_T3_PNSL_ISQ_E10value_typeET4_jRbjT5_SW_jjP12ihipStream_tbEUlT_E2_NS1_11comp_targetILNS1_3genE4ELNS1_11target_archE910ELNS1_3gpuE8ELNS1_3repE0EEENS1_30default_config_static_selectorELNS0_4arch9wavefront6targetE1EEEvSK_
	.p2align	8
	.type	_ZN7rocprim17ROCPRIM_400000_NS6detail17trampoline_kernelINS0_14default_configENS1_36segmented_radix_sort_config_selectorIdlEEZNS1_25segmented_radix_sort_implIS3_Lb1EPKdPdPKlPlN2at6native12_GLOBAL__N_18offset_tEEE10hipError_tPvRmT1_PNSt15iterator_traitsISK_E10value_typeET2_T3_PNSL_ISQ_E10value_typeET4_jRbjT5_SW_jjP12ihipStream_tbEUlT_E2_NS1_11comp_targetILNS1_3genE4ELNS1_11target_archE910ELNS1_3gpuE8ELNS1_3repE0EEENS1_30default_config_static_selectorELNS0_4arch9wavefront6targetE1EEEvSK_,@function
_ZN7rocprim17ROCPRIM_400000_NS6detail17trampoline_kernelINS0_14default_configENS1_36segmented_radix_sort_config_selectorIdlEEZNS1_25segmented_radix_sort_implIS3_Lb1EPKdPdPKlPlN2at6native12_GLOBAL__N_18offset_tEEE10hipError_tPvRmT1_PNSt15iterator_traitsISK_E10value_typeET2_T3_PNSL_ISQ_E10value_typeET4_jRbjT5_SW_jjP12ihipStream_tbEUlT_E2_NS1_11comp_targetILNS1_3genE4ELNS1_11target_archE910ELNS1_3gpuE8ELNS1_3repE0EEENS1_30default_config_static_selectorELNS0_4arch9wavefront6targetE1EEEvSK_: ; @_ZN7rocprim17ROCPRIM_400000_NS6detail17trampoline_kernelINS0_14default_configENS1_36segmented_radix_sort_config_selectorIdlEEZNS1_25segmented_radix_sort_implIS3_Lb1EPKdPdPKlPlN2at6native12_GLOBAL__N_18offset_tEEE10hipError_tPvRmT1_PNSt15iterator_traitsISK_E10value_typeET2_T3_PNSL_ISQ_E10value_typeET4_jRbjT5_SW_jjP12ihipStream_tbEUlT_E2_NS1_11comp_targetILNS1_3genE4ELNS1_11target_archE910ELNS1_3gpuE8ELNS1_3repE0EEENS1_30default_config_static_selectorELNS0_4arch9wavefront6targetE1EEEvSK_
; %bb.0:
	s_load_dwordx4 s[12:15], s[4:5], 0x34
	s_add_u32 flat_scratch_lo, s6, s10
	s_addc_u32 flat_scratch_hi, s7, 0
	s_add_u32 s0, s0, s10
	s_addc_u32 s1, s1, 0
	s_waitcnt lgkmcnt(0)
	s_add_i32 s6, s13, s8
	s_add_i32 s96, s15, s8
                                        ; implicit-def: $vgpr236 : SGPR spill to VGPR lane
	s_mul_i32 s33, s6, s12
	s_mul_i32 s96, s96, s14
	v_writelane_b32 v236, s9, 0
	s_cmp_le_u32 s96, s33
	s_mov_b32 s32, 0
	v_writelane_b32 v236, s8, 1
	s_cbranch_scc1 .LBB1148_1195
; %bb.1:
	s_load_dword s6, s[4:5], 0x30
	s_load_dwordx4 s[80:83], s[4:5], 0x20
	s_load_dwordx4 s[52:55], s[4:5], 0x44
	s_load_dwordx8 s[72:79], s[4:5], 0x0
	s_waitcnt lgkmcnt(0)
	s_bitcmp1_b32 s6, 0
	s_cselect_b64 s[88:89], -1, 0
	s_sub_i32 s86, s96, s33
	s_cmpk_lt_u32 s86, 0x1001
	s_mov_b64 s[6:7], -1
	v_writelane_b32 v236, s86, 2
	s_cbranch_scc0 .LBB1148_12
; %bb.2:
	s_cmp_lt_u32 s86, 33
	s_cbranch_scc0 .LBB1148_6
; %bb.3:
	s_load_dword s6, s[4:5], 0x5c
	v_bfe_u32 v1, v0, 10, 10
	v_bfe_u32 v3, v0, 20, 10
	v_and_b32_e32 v2, 0x3ff, v0
	s_waitcnt lgkmcnt(0)
	s_lshr_b32 s7, s6, 16
	s_and_b32 s6, s6, 0xffff
	v_mad_u32_u24 v1, v3, s7, v1
	v_mad_u64_u32 v[2:3], s[6:7], v1, s6, v[2:3]
	v_cmp_gt_u32_e32 vcc, 8, v2
	s_and_saveexec_b64 s[34:35], vcc
	s_cbranch_execz .LBB1148_5
; %bb.4:
	s_bitcmp1_b32 s52, 0
	s_cselect_b64 s[6:7], -1, 0
	s_xor_b64 s[6:7], s[88:89], s[6:7]
	s_xor_b64 s[6:7], s[6:7], -1
	v_cndmask_b32_e64 v12, 0, 1, s[6:7]
	s_add_u32 s8, s4, 0x50
	s_mov_b64 s[6:7], src_shared_base
	s_addc_u32 s9, s5, 0
	v_readlane_b32 s12, v236, 1
	v_readlane_b32 s13, v236, 0
	v_mov_b32_e32 v31, v0
	v_mov_b32_e32 v41, v0
	;; [unrolled: 1-line block ×18, first 2 shown]
	s_getpc_b64 s[10:11]
	s_add_u32 s10, s10, _ZN7rocprim17ROCPRIM_400000_NS6detail26segmented_warp_sort_helperINS1_20WarpSortHelperConfigILj8ELj4ELj256EEEdlLi256ELb1EvE4sortIPKdPdPKlPlEEvT_S9_T0_T1_SC_T2_bjjjjRNS5_12storage_typeE@rel32@lo+4
	s_addc_u32 s11, s11, _ZN7rocprim17ROCPRIM_400000_NS6detail26segmented_warp_sort_helperINS1_20WarpSortHelperConfigILj8ELj4ELj256EEEdlLi256ELb1EvE4sortIPKdPdPKlPlEEvT_S9_T0_T1_SC_T2_bjjjjRNS5_12storage_typeE@rel32@hi+12
	s_mov_b64 s[36:37], s[4:5]
	s_swappc_b64 s[30:31], s[10:11]
	v_mov_b32_e32 v0, v41
	s_mov_b64 s[4:5], s[36:37]
	v_readlane_b32 s86, v236, 2
.LBB1148_5:
	s_or_b64 exec, exec, s[34:35]
	s_mov_b64 s[6:7], 0
.LBB1148_6:
	s_andn2_b64 vcc, exec, s[6:7]
	s_cbranch_vccnz .LBB1148_11
; %bb.7:
	s_and_b32 s6, s52, 1
	v_cndmask_b32_e64 v1, 0, 1, s[88:89]
	v_cmp_ne_u32_e32 vcc, s6, v1
	s_mov_b64 s[6:7], -1
	s_cbranch_vccnz .LBB1148_9
; %bb.8:
	s_add_u32 s8, s4, 0x50
	s_mov_b64 s[6:7], src_shared_base
	s_addc_u32 s9, s5, 0
	v_readlane_b32 s12, v236, 1
	v_readlane_b32 s13, v236, 0
	v_mov_b32_e32 v31, v0
	v_mov_b32_e32 v40, v0
	;; [unrolled: 1-line block ×16, first 2 shown]
	s_getpc_b64 s[10:11]
	s_add_u32 s10, s10, _ZN7rocprim17ROCPRIM_400000_NS6detail40segmented_radix_sort_single_block_helperIdlLj256ELj16ELb1EE4sortIPKdPdPKlPlEEbT_T0_T1_T2_jjjjRNS3_12storage_typeE@rel32@lo+4
	s_addc_u32 s11, s11, _ZN7rocprim17ROCPRIM_400000_NS6detail40segmented_radix_sort_single_block_helperIdlLj256ELj16ELb1EE4sortIPKdPdPKlPlEEbT_T0_T1_T2_jjjjRNS3_12storage_typeE@rel32@hi+12
	s_mov_b64 s[50:51], s[4:5]
	s_swappc_b64 s[30:31], s[10:11]
	v_mov_b32_e32 v0, v40
	v_readlane_b32 s86, v236, 2
	s_mov_b64 s[4:5], s[50:51]
	s_mov_b64 s[6:7], 0
.LBB1148_9:
	s_andn2_b64 vcc, exec, s[6:7]
	s_cbranch_vccnz .LBB1148_11
; %bb.10:
	s_add_u32 s8, s4, 0x50
	s_mov_b64 s[6:7], src_shared_base
	s_addc_u32 s9, s5, 0
	v_readlane_b32 s12, v236, 1
	v_readlane_b32 s13, v236, 0
	v_mov_b32_e32 v31, v0
	v_mov_b32_e32 v40, v0
	;; [unrolled: 1-line block ×16, first 2 shown]
	s_getpc_b64 s[10:11]
	s_add_u32 s10, s10, _ZN7rocprim17ROCPRIM_400000_NS6detail40segmented_radix_sort_single_block_helperIdlLj256ELj16ELb1EE4sortIPKdPdPKlPlEEbT_T0_T1_T2_jjjjRNS3_12storage_typeE@rel32@lo+4
	s_addc_u32 s11, s11, _ZN7rocprim17ROCPRIM_400000_NS6detail40segmented_radix_sort_single_block_helperIdlLj256ELj16ELb1EE4sortIPKdPdPKlPlEEbT_T0_T1_T2_jjjjRNS3_12storage_typeE@rel32@hi+12
	s_mov_b64 s[50:51], s[4:5]
	s_swappc_b64 s[30:31], s[10:11]
	v_mov_b32_e32 v0, v40
	v_readlane_b32 s86, v236, 2
	s_mov_b64 s[4:5], s[50:51]
.LBB1148_11:
	s_mov_b64 s[6:7], 0
.LBB1148_12:
	s_andn2_b64 vcc, exec, s[6:7]
	s_cbranch_vccnz .LBB1148_1195
; %bb.13:
	s_cmp_ge_u32 s53, s54
	s_cbranch_scc1 .LBB1148_1195
; %bb.14:
	v_and_b32_e32 v2, 0x3ff, v0
	v_lshlrev_b32_e32 v5, 3, v2
	v_lshlrev_b32_e32 v33, 4, v2
	v_mov_b32_e32 v10, s77
	v_add_co_u32_e32 v9, vcc, s76, v5
	v_and_b32_e32 v34, 0xc00, v33
	v_bfe_u32 v23, v0, 20, 10
	v_bfe_u32 v25, v0, 10, 10
	v_mul_u32_u24_e32 v0, 5, v2
	v_mov_b32_e32 v29, 0x410
	v_addc_co_u32_e32 v11, vcc, 0, v10, vcc
	v_lshl_add_u32 v31, v0, 2, v29
	v_lshlrev_b32_e32 v0, 3, v34
	v_mov_b32_e32 v35, s83
	v_add_co_u32_e32 v100, vcc, s82, v0
	v_addc_co_u32_e32 v101, vcc, 0, v35, vcc
	v_mov_b32_e32 v35, s77
	v_add_co_u32_e32 v102, vcc, s76, v0
	v_addc_co_u32_e32 v103, vcc, 0, v35, vcc
	;; [unrolled: 3-line block ×6, first 2 shown]
	v_add_u32_e32 v104, 0x400, v5
	v_mov_b32_e32 v5, s79
	v_add_co_u32_e32 v113, vcc, s78, v0
	v_addc_co_u32_e32 v114, vcc, 0, v5, vcc
	v_add_co_u32_e32 v115, vcc, s72, v0
	v_mbcnt_lo_u32_b32 v0, -1, 0
	v_writelane_b32 v236, s33, 3
	v_lshlrev_b32_e32 v3, 2, v2
	s_movk_i32 s6, 0x100
	v_or_b32_e32 v15, 63, v2
	v_mbcnt_hi_u32_b32 v135, -1, v0
	s_mov_b64 s[12:13], s[4:5]
	v_cmp_gt_u32_e64 s[4:5], s6, v2
	v_mad_u32_u24 v13, v2, 12, v3
	v_cmp_eq_u32_e64 s[6:7], v15, v2
	v_lshrrev_b32_e32 v15, 4, v2
	s_mov_b32 s84, s53
	v_and_b32_e32 v0, 63, v135
	s_mov_b32 s69, s53
	v_writelane_b32 v236, s52, 4
	s_mov_b32 s90, 0
	v_or_b32_e32 v6, 0x200, v2
	v_or_b32_e32 v8, 0x300, v2
	v_and_b32_e32 v1, 3, v2
	v_or_b32_e32 v10, 0x400, v2
	v_or_b32_e32 v12, 0x500, v2
	;; [unrolled: 1-line block ×12, first 2 shown]
	v_and_b32_e32 v15, 12, v15
	s_add_u32 s92, s12, 0x50
	v_add_u32_e32 v27, v13, v3
	s_movk_i32 s14, 0xff
	v_mov_b32_e32 v5, s73
	v_or_b32_e32 v143, v0, v34
	v_writelane_b32 v236, s53, 5
	s_brev_b32 s91, 1
	v_mov_b32_e32 v4, 0
	v_or_b32_e32 v7, 0x100, v2
	v_or_b32_e32 v17, 0x8400, v15
	v_cmp_gt_u32_e64 s[8:9], 4, v2
	v_add_u32_e32 v19, 0x8400, v3
	v_cmp_lt_u32_e64 s[10:11], 63, v2
	v_add_u32_e32 v21, 0x83fc, v15
	s_addc_u32 s93, s13, 0
	v_sub_u32_e32 v33, v27, v33
	v_cmp_eq_u32_e64 s[12:13], 0, v2
	v_cmp_ne_u32_e64 s[14:15], s14, v2
	v_addc_co_u32_e32 v116, vcc, 0, v5, vcc
	s_movk_i32 s97, 0x2000
	s_movk_i32 s98, 0x3000
	;; [unrolled: 1-line block ×5, first 2 shown]
	v_mov_b32_e32 v117, 1
	v_lshlrev_b32_e32 v118, 3, v2
	v_lshlrev_b32_e32 v119, 3, v6
	;; [unrolled: 1-line block ×15, first 2 shown]
	v_bfrev_b32_e32 v133, -2
	v_lshlrev_b32_e32 v134, 2, v1
	v_and_b32_e32 v136, 15, v135
	v_bfe_i32 v137, v135, 4, 1
	v_and_b32_e32 v138, 16, v135
	v_and_b32_e32 v139, 3, v135
	v_add_u32_e32 v140, -1, v135
	v_and_b32_e32 v141, 64, v135
	v_lshlrev_b32_e32 v142, 3, v0
	v_or_b32_e32 v144, 64, v143
	v_or_b32_e32 v145, 0x80, v143
	;; [unrolled: 1-line block ×15, first 2 shown]
	v_writelane_b32 v236, s54, 6
	v_writelane_b32 v236, s55, 7
	s_branch .LBB1148_17
.LBB1148_15:                            ;   in Loop: Header=BB1148_17 Depth=1
	v_readlane_b32 s86, v236, 2
	s_waitcnt lgkmcnt(0)
	s_barrier
.LBB1148_16:                            ;   in Loop: Header=BB1148_17 Depth=1
	v_readlane_b32 s52, v236, 4
	s_add_i32 s69, s69, 8
	v_readlane_b32 s54, v236, 6
	v_readlane_b32 s53, v236, 5
	s_cmp_ge_u32 s69, s54
	v_readlane_b32 s55, v236, 7
	s_cbranch_scc1 .LBB1148_1195
.LBB1148_17:                            ; =>This Loop Header: Depth=1
                                        ;     Child Loop BB1148_21 Depth 2
                                        ;     Child Loop BB1148_103 Depth 2
                                        ;     Child Loop BB1148_315 Depth 2
                                        ;     Child Loop BB1148_397 Depth 2
                                        ;     Child Loop BB1148_611 Depth 2
                                        ;     Child Loop BB1148_693 Depth 2
                                        ;     Child Loop BB1148_905 Depth 2
                                        ;     Child Loop BB1148_987 Depth 2
	s_sub_i32 s16, s54, s69
	s_xor_b64 s[88:89], s[88:89], -1
	s_min_u32 s94, s16, 8
	s_cmp_lg_u32 s69, s53
	s_mov_b64 s[16:17], -1
	ds_write2st64_b32 v3, v4, v4 offset1:4
	ds_write2st64_b32 v3, v4, v4 offset0:8 offset1:12
	s_waitcnt lgkmcnt(0)
	s_cbranch_scc0 .LBB1148_607
; %bb.18:                               ;   in Loop: Header=BB1148_17 Depth=1
	s_lshl_b32 s16, -1, s94
	s_not_b32 s95, s16
	s_mov_b64 s[16:17], -1
	s_and_b64 vcc, exec, s[88:89]
	s_cbranch_vccz .LBB1148_312
; %bb.19:                               ;   in Loop: Header=BB1148_17 Depth=1
	v_readlane_b32 s16, v236, 3
	s_mov_b32 s24, s86
	s_mov_b32 s18, s16
	s_barrier
	s_waitcnt lgkmcnt(0)
                                        ; implicit-def: $vgpr62_vgpr63
                                        ; implicit-def: $vgpr0_vgpr1
                                        ; implicit-def: $vgpr34_vgpr35
                                        ; implicit-def: $vgpr36_vgpr37
                                        ; implicit-def: $vgpr38_vgpr39
                                        ; implicit-def: $vgpr40_vgpr41
                                        ; implicit-def: $vgpr42_vgpr43
                                        ; implicit-def: $vgpr44_vgpr45
                                        ; implicit-def: $vgpr46_vgpr47
                                        ; implicit-def: $vgpr48_vgpr49
                                        ; implicit-def: $vgpr50_vgpr51
                                        ; implicit-def: $vgpr52_vgpr53
                                        ; implicit-def: $vgpr54_vgpr55
                                        ; implicit-def: $vgpr56_vgpr57
                                        ; implicit-def: $vgpr58_vgpr59
                                        ; implicit-def: $vgpr60_vgpr61
	s_branch .LBB1148_21
.LBB1148_20:                            ;   in Loop: Header=BB1148_21 Depth=2
	s_or_b64 exec, exec, s[16:17]
	s_addk_i32 s24, 0xf000
	s_cmp_ge_u32 s25, s96
	s_mov_b32 s18, s25
	s_cbranch_scc1 .LBB1148_91
.LBB1148_21:                            ;   Parent Loop BB1148_17 Depth=1
                                        ; =>  This Inner Loop Header: Depth=2
	s_add_i32 s25, s18, 0x1000
	s_cmp_gt_u32 s25, s96
	s_cbranch_scc1 .LBB1148_24
; %bb.22:                               ;   in Loop: Header=BB1148_21 Depth=2
	s_mov_b32 s19, s90
	s_lshl_b64 s[16:17], s[18:19], 3
	v_mov_b32_e32 v5, s17
	v_add_co_u32_e32 v64, vcc, s16, v9
	v_addc_co_u32_e32 v65, vcc, v11, v5, vcc
	s_waitcnt vmcnt(11)
	v_add_co_u32_e32 v72, vcc, 0x1000, v64
	v_addc_co_u32_e32 v73, vcc, 0, v65, vcc
	s_waitcnt vmcnt(5)
	v_add_co_u32_e32 v78, vcc, s97, v64
	v_addc_co_u32_e32 v79, vcc, 0, v65, vcc
	s_waitcnt vmcnt(1)
	v_add_co_u32_e32 v82, vcc, s98, v64
	v_addc_co_u32_e32 v83, vcc, 0, v65, vcc
	v_add_co_u32_e32 v86, vcc, s99, v64
	v_addc_co_u32_e32 v87, vcc, 0, v65, vcc
	;; [unrolled: 2-line block ×4, first 2 shown]
	global_load_dwordx2 v[66:67], v[64:65], off
	global_load_dwordx2 v[68:69], v[64:65], off offset:2048
	global_load_dwordx2 v[70:71], v[72:73], off
	s_nop 0
	global_load_dwordx2 v[72:73], v[72:73], off offset:2048
	s_nop 0
	global_load_dwordx2 v[74:75], v[82:83], off
	global_load_dwordx2 v[76:77], v[82:83], off offset:2048
	global_load_dwordx2 v[80:81], v[88:89], off offset:-4096
	global_load_dwordx2 v[84:85], v[88:89], off
	s_nop 0
	global_load_dwordx2 v[88:89], v[88:89], off offset:2048
	s_nop 0
	global_load_dwordx2 v[78:79], v[78:79], off offset:2048
	;; [unrolled: 2-line block ×3, first 2 shown]
	s_nop 0
	global_load_dwordx2 v[90:91], v[92:93], off
	s_nop 0
	global_load_dwordx2 v[92:93], v[92:93], off offset:2048
	s_waitcnt vmcnt(13)
	v_add_co_u32_e32 v94, vcc, 0x7000, v64
	v_addc_co_u32_e32 v95, vcc, 0, v65, vcc
	global_load_dwordx2 v[82:83], v[82:83], off offset:-4096
	s_nop 0
	global_load_dwordx2 v[94:95], v[94:95], off
	v_add_co_u32_e32 v64, vcc, 0x7800, v64
	s_movk_i32 s26, 0x1000
	v_addc_co_u32_e32 v65, vcc, 0, v65, vcc
	s_mov_b64 s[16:17], -1
	s_cbranch_execz .LBB1148_25
; %bb.23:                               ;   in Loop: Header=BB1148_21 Depth=2
                                        ; implicit-def: $vgpr60_vgpr61
                                        ; implicit-def: $vgpr58_vgpr59
                                        ; implicit-def: $vgpr56_vgpr57
                                        ; implicit-def: $vgpr54_vgpr55
                                        ; implicit-def: $vgpr52_vgpr53
                                        ; implicit-def: $vgpr50_vgpr51
                                        ; implicit-def: $vgpr48_vgpr49
                                        ; implicit-def: $vgpr46_vgpr47
                                        ; implicit-def: $vgpr44_vgpr45
                                        ; implicit-def: $vgpr42_vgpr43
                                        ; implicit-def: $vgpr40_vgpr41
                                        ; implicit-def: $vgpr38_vgpr39
                                        ; implicit-def: $vgpr36_vgpr37
                                        ; implicit-def: $vgpr34_vgpr35
                                        ; implicit-def: $vgpr0_vgpr1
                                        ; implicit-def: $vgpr62_vgpr63
	v_mov_b32_e32 v5, s24
	s_and_saveexec_b64 s[18:19], s[16:17]
	s_cbranch_execnz .LBB1148_44
	s_branch .LBB1148_45
.LBB1148_24:                            ;   in Loop: Header=BB1148_21 Depth=2
	s_mov_b64 s[16:17], 0
                                        ; implicit-def: $sgpr26
                                        ; implicit-def: $vgpr66_vgpr67
                                        ; implicit-def: $vgpr68_vgpr69
                                        ; implicit-def: $vgpr70_vgpr71
                                        ; implicit-def: $vgpr72_vgpr73
                                        ; implicit-def: $vgpr82_vgpr83
                                        ; implicit-def: $vgpr78_vgpr79
                                        ; implicit-def: $vgpr74_vgpr75
                                        ; implicit-def: $vgpr76_vgpr77
                                        ; implicit-def: $vgpr80_vgpr81
                                        ; implicit-def: $vgpr86_vgpr87
                                        ; implicit-def: $vgpr84_vgpr85
                                        ; implicit-def: $vgpr88_vgpr89
                                        ; implicit-def: $vgpr90_vgpr91
                                        ; implicit-def: $vgpr92_vgpr93
                                        ; implicit-def: $vgpr94_vgpr95
                                        ; implicit-def: $vgpr64_vgpr65
.LBB1148_25:                            ;   in Loop: Header=BB1148_21 Depth=2
	s_mov_b32 s19, s90
	s_lshl_b64 s[20:21], s[18:19], 3
	s_add_u32 s20, s76, s20
	s_addc_u32 s21, s77, s21
	v_cmp_gt_u32_e32 vcc, s24, v2
	s_and_saveexec_b64 s[22:23], vcc
	s_cbranch_execz .LBB1148_77
; %bb.26:                               ;   in Loop: Header=BB1148_21 Depth=2
	global_load_dwordx2 v[60:61], v118, s[20:21]
	s_or_b64 exec, exec, s[22:23]
	v_cmp_gt_u32_e32 vcc, s24, v7
	s_and_saveexec_b64 s[22:23], vcc
	s_cbranch_execnz .LBB1148_78
.LBB1148_27:                            ;   in Loop: Header=BB1148_21 Depth=2
	s_or_b64 exec, exec, s[22:23]
	v_cmp_gt_u32_e32 vcc, s24, v6
	s_and_saveexec_b64 s[22:23], vcc
	s_cbranch_execz .LBB1148_79
.LBB1148_28:                            ;   in Loop: Header=BB1148_21 Depth=2
	global_load_dwordx2 v[56:57], v119, s[20:21]
	s_or_b64 exec, exec, s[22:23]
	v_cmp_gt_u32_e32 vcc, s24, v8
	s_and_saveexec_b64 s[22:23], vcc
	s_cbranch_execnz .LBB1148_80
.LBB1148_29:                            ;   in Loop: Header=BB1148_21 Depth=2
	s_or_b64 exec, exec, s[22:23]
	v_cmp_gt_u32_e32 vcc, s24, v10
	s_and_saveexec_b64 s[22:23], vcc
	s_cbranch_execz .LBB1148_81
.LBB1148_30:                            ;   in Loop: Header=BB1148_21 Depth=2
	global_load_dwordx2 v[52:53], v121, s[20:21]
	s_or_b64 exec, exec, s[22:23]
	v_cmp_gt_u32_e32 vcc, s24, v12
	s_and_saveexec_b64 s[22:23], vcc
	s_cbranch_execnz .LBB1148_82
.LBB1148_31:                            ;   in Loop: Header=BB1148_21 Depth=2
	s_or_b64 exec, exec, s[22:23]
	v_cmp_gt_u32_e32 vcc, s24, v14
	s_and_saveexec_b64 s[22:23], vcc
	s_cbranch_execz .LBB1148_83
.LBB1148_32:                            ;   in Loop: Header=BB1148_21 Depth=2
	global_load_dwordx2 v[48:49], v123, s[20:21]
	s_or_b64 exec, exec, s[22:23]
	v_cmp_gt_u32_e32 vcc, s24, v16
	s_and_saveexec_b64 s[22:23], vcc
	s_cbranch_execnz .LBB1148_84
.LBB1148_33:                            ;   in Loop: Header=BB1148_21 Depth=2
	s_or_b64 exec, exec, s[22:23]
	v_cmp_gt_u32_e32 vcc, s24, v18
	s_and_saveexec_b64 s[22:23], vcc
	s_cbranch_execz .LBB1148_85
.LBB1148_34:                            ;   in Loop: Header=BB1148_21 Depth=2
	global_load_dwordx2 v[44:45], v125, s[20:21]
	s_or_b64 exec, exec, s[22:23]
	v_cmp_gt_u32_e32 vcc, s24, v20
	s_and_saveexec_b64 s[22:23], vcc
	s_cbranch_execnz .LBB1148_86
.LBB1148_35:                            ;   in Loop: Header=BB1148_21 Depth=2
	s_or_b64 exec, exec, s[22:23]
	v_cmp_gt_u32_e32 vcc, s24, v22
	s_and_saveexec_b64 s[22:23], vcc
	s_cbranch_execz .LBB1148_87
.LBB1148_36:                            ;   in Loop: Header=BB1148_21 Depth=2
	global_load_dwordx2 v[40:41], v127, s[20:21]
	s_or_b64 exec, exec, s[22:23]
	v_cmp_gt_u32_e32 vcc, s24, v24
	s_and_saveexec_b64 s[22:23], vcc
	s_cbranch_execnz .LBB1148_88
.LBB1148_37:                            ;   in Loop: Header=BB1148_21 Depth=2
	s_or_b64 exec, exec, s[22:23]
	v_cmp_gt_u32_e32 vcc, s24, v26
	s_and_saveexec_b64 s[22:23], vcc
	s_cbranch_execz .LBB1148_89
.LBB1148_38:                            ;   in Loop: Header=BB1148_21 Depth=2
	global_load_dwordx2 v[36:37], v129, s[20:21]
	s_or_b64 exec, exec, s[22:23]
	v_cmp_gt_u32_e32 vcc, s24, v28
	s_and_saveexec_b64 s[22:23], vcc
	s_cbranch_execnz .LBB1148_90
.LBB1148_39:                            ;   in Loop: Header=BB1148_21 Depth=2
	s_or_b64 exec, exec, s[22:23]
	v_cmp_gt_u32_e32 vcc, s24, v30
	s_and_saveexec_b64 s[22:23], vcc
	s_cbranch_execz .LBB1148_41
.LBB1148_40:                            ;   in Loop: Header=BB1148_21 Depth=2
	global_load_dwordx2 v[0:1], v131, s[20:21]
.LBB1148_41:                            ;   in Loop: Header=BB1148_21 Depth=2
	s_or_b64 exec, exec, s[22:23]
	v_cmp_gt_u32_e32 vcc, s24, v32
                                        ; implicit-def: $sgpr26
                                        ; implicit-def: $vgpr64_vgpr65
	s_and_saveexec_b64 s[22:23], vcc
; %bb.42:                               ;   in Loop: Header=BB1148_21 Depth=2
	v_mov_b32_e32 v5, s21
	v_add_co_u32_e32 v64, vcc, s20, v132
	s_sub_i32 s26, s96, s18
	v_addc_co_u32_e32 v65, vcc, 0, v5, vcc
	s_or_b64 s[16:17], s[16:17], exec
                                        ; implicit-def: $vgpr62_vgpr63
; %bb.43:                               ;   in Loop: Header=BB1148_21 Depth=2
	s_or_b64 exec, exec, s[22:23]
	s_waitcnt vmcnt(0)
	v_pk_mov_b32 v[66:67], v[60:61], v[60:61] op_sel:[0,1]
	v_pk_mov_b32 v[68:69], v[58:59], v[58:59] op_sel:[0,1]
	;; [unrolled: 1-line block ×15, first 2 shown]
	v_mov_b32_e32 v5, s24
	s_and_saveexec_b64 s[18:19], s[16:17]
	s_cbranch_execz .LBB1148_45
.LBB1148_44:                            ;   in Loop: Header=BB1148_21 Depth=2
	global_load_dwordx2 v[62:63], v[64:65], off
	v_mov_b32_e32 v5, s26
	s_waitcnt vmcnt(1)
	v_pk_mov_b32 v[0:1], v[94:95], v[94:95] op_sel:[0,1]
	v_pk_mov_b32 v[34:35], v[92:93], v[92:93] op_sel:[0,1]
	;; [unrolled: 1-line block ×15, first 2 shown]
.LBB1148_45:                            ;   in Loop: Header=BB1148_21 Depth=2
	s_or_b64 exec, exec, s[18:19]
	v_cmp_lt_u32_e32 vcc, v2, v5
	s_and_saveexec_b64 s[16:17], vcc
	s_cbranch_execz .LBB1148_61
; %bb.46:                               ;   in Loop: Header=BB1148_21 Depth=2
	v_cmp_gt_i64_e32 vcc, 0, v[60:61]
	v_ashrrev_i32_e32 v65, 31, v61
	v_cndmask_b32_e64 v64, v133, 0, vcc
	s_waitcnt vmcnt(14)
	v_not_b32_e32 v66, v65
	v_xor_b32_e32 v65, v64, v61
	v_xor_b32_e32 v64, v66, v60
	v_cmp_ne_u64_e32 vcc, s[90:91], v[64:65]
	v_cndmask_b32_e32 v65, v133, v65, vcc
	v_cndmask_b32_e32 v64, -1, v64, vcc
	v_lshrrev_b64 v[64:65], s69, v[64:65]
	v_and_b32_e32 v64, s95, v64
	v_lshl_or_b32 v64, v64, 4, v134
	ds_add_u32 v64, v117
	s_or_b64 exec, exec, s[16:17]
	v_cmp_lt_u32_e32 vcc, v7, v5
	s_and_saveexec_b64 s[16:17], vcc
	s_cbranch_execnz .LBB1148_62
.LBB1148_47:                            ;   in Loop: Header=BB1148_21 Depth=2
	s_or_b64 exec, exec, s[16:17]
	v_cmp_lt_u32_e32 vcc, v6, v5
	s_and_saveexec_b64 s[16:17], vcc
	s_cbranch_execz .LBB1148_63
.LBB1148_48:                            ;   in Loop: Header=BB1148_21 Depth=2
	v_cmp_gt_i64_e32 vcc, 0, v[56:57]
	v_ashrrev_i32_e32 v65, 31, v57
	v_cndmask_b32_e64 v64, v133, 0, vcc
	s_waitcnt vmcnt(14)
	v_not_b32_e32 v66, v65
	v_xor_b32_e32 v65, v64, v57
	v_xor_b32_e32 v64, v66, v56
	v_cmp_ne_u64_e32 vcc, s[90:91], v[64:65]
	v_cndmask_b32_e32 v65, v133, v65, vcc
	v_cndmask_b32_e32 v64, -1, v64, vcc
	v_lshrrev_b64 v[64:65], s69, v[64:65]
	v_and_b32_e32 v64, s95, v64
	v_lshl_or_b32 v64, v64, 4, v134
	ds_add_u32 v64, v117
	s_or_b64 exec, exec, s[16:17]
	v_cmp_lt_u32_e32 vcc, v8, v5
	s_and_saveexec_b64 s[16:17], vcc
	s_cbranch_execnz .LBB1148_64
.LBB1148_49:                            ;   in Loop: Header=BB1148_21 Depth=2
	s_or_b64 exec, exec, s[16:17]
	v_cmp_lt_u32_e32 vcc, v10, v5
	s_and_saveexec_b64 s[16:17], vcc
	s_cbranch_execz .LBB1148_65
.LBB1148_50:                            ;   in Loop: Header=BB1148_21 Depth=2
	v_cmp_gt_i64_e32 vcc, 0, v[52:53]
	v_ashrrev_i32_e32 v65, 31, v53
	v_cndmask_b32_e64 v64, v133, 0, vcc
	s_waitcnt vmcnt(14)
	v_not_b32_e32 v66, v65
	v_xor_b32_e32 v65, v64, v53
	v_xor_b32_e32 v64, v66, v52
	v_cmp_ne_u64_e32 vcc, s[90:91], v[64:65]
	v_cndmask_b32_e32 v65, v133, v65, vcc
	v_cndmask_b32_e32 v64, -1, v64, vcc
	v_lshrrev_b64 v[64:65], s69, v[64:65]
	v_and_b32_e32 v64, s95, v64
	v_lshl_or_b32 v64, v64, 4, v134
	ds_add_u32 v64, v117
	s_or_b64 exec, exec, s[16:17]
	v_cmp_lt_u32_e32 vcc, v12, v5
	s_and_saveexec_b64 s[16:17], vcc
	s_cbranch_execnz .LBB1148_66
.LBB1148_51:                            ;   in Loop: Header=BB1148_21 Depth=2
	s_or_b64 exec, exec, s[16:17]
	v_cmp_lt_u32_e32 vcc, v14, v5
	s_and_saveexec_b64 s[16:17], vcc
	s_cbranch_execz .LBB1148_67
.LBB1148_52:                            ;   in Loop: Header=BB1148_21 Depth=2
	v_cmp_gt_i64_e32 vcc, 0, v[48:49]
	v_ashrrev_i32_e32 v65, 31, v49
	v_cndmask_b32_e64 v64, v133, 0, vcc
	s_waitcnt vmcnt(14)
	v_not_b32_e32 v66, v65
	v_xor_b32_e32 v65, v64, v49
	v_xor_b32_e32 v64, v66, v48
	v_cmp_ne_u64_e32 vcc, s[90:91], v[64:65]
	v_cndmask_b32_e32 v65, v133, v65, vcc
	v_cndmask_b32_e32 v64, -1, v64, vcc
	v_lshrrev_b64 v[64:65], s69, v[64:65]
	v_and_b32_e32 v64, s95, v64
	v_lshl_or_b32 v64, v64, 4, v134
	ds_add_u32 v64, v117
	s_or_b64 exec, exec, s[16:17]
	v_cmp_lt_u32_e32 vcc, v16, v5
	s_and_saveexec_b64 s[16:17], vcc
	s_cbranch_execnz .LBB1148_68
.LBB1148_53:                            ;   in Loop: Header=BB1148_21 Depth=2
	s_or_b64 exec, exec, s[16:17]
	v_cmp_lt_u32_e32 vcc, v18, v5
	s_and_saveexec_b64 s[16:17], vcc
	s_cbranch_execz .LBB1148_69
.LBB1148_54:                            ;   in Loop: Header=BB1148_21 Depth=2
	v_cmp_gt_i64_e32 vcc, 0, v[44:45]
	v_ashrrev_i32_e32 v65, 31, v45
	v_cndmask_b32_e64 v64, v133, 0, vcc
	s_waitcnt vmcnt(14)
	v_not_b32_e32 v66, v65
	v_xor_b32_e32 v65, v64, v45
	v_xor_b32_e32 v64, v66, v44
	v_cmp_ne_u64_e32 vcc, s[90:91], v[64:65]
	v_cndmask_b32_e32 v65, v133, v65, vcc
	v_cndmask_b32_e32 v64, -1, v64, vcc
	v_lshrrev_b64 v[64:65], s69, v[64:65]
	v_and_b32_e32 v64, s95, v64
	v_lshl_or_b32 v64, v64, 4, v134
	ds_add_u32 v64, v117
	s_or_b64 exec, exec, s[16:17]
	v_cmp_lt_u32_e32 vcc, v20, v5
	s_and_saveexec_b64 s[16:17], vcc
	s_cbranch_execnz .LBB1148_70
.LBB1148_55:                            ;   in Loop: Header=BB1148_21 Depth=2
	s_or_b64 exec, exec, s[16:17]
	v_cmp_lt_u32_e32 vcc, v22, v5
	s_and_saveexec_b64 s[16:17], vcc
	s_cbranch_execz .LBB1148_71
.LBB1148_56:                            ;   in Loop: Header=BB1148_21 Depth=2
	v_cmp_gt_i64_e32 vcc, 0, v[40:41]
	v_ashrrev_i32_e32 v65, 31, v41
	v_cndmask_b32_e64 v64, v133, 0, vcc
	s_waitcnt vmcnt(14)
	v_not_b32_e32 v66, v65
	v_xor_b32_e32 v65, v64, v41
	v_xor_b32_e32 v64, v66, v40
	v_cmp_ne_u64_e32 vcc, s[90:91], v[64:65]
	v_cndmask_b32_e32 v65, v133, v65, vcc
	v_cndmask_b32_e32 v64, -1, v64, vcc
	v_lshrrev_b64 v[64:65], s69, v[64:65]
	v_and_b32_e32 v64, s95, v64
	v_lshl_or_b32 v64, v64, 4, v134
	ds_add_u32 v64, v117
	s_or_b64 exec, exec, s[16:17]
	v_cmp_lt_u32_e32 vcc, v24, v5
	s_and_saveexec_b64 s[16:17], vcc
	s_cbranch_execnz .LBB1148_72
.LBB1148_57:                            ;   in Loop: Header=BB1148_21 Depth=2
	s_or_b64 exec, exec, s[16:17]
	v_cmp_lt_u32_e32 vcc, v26, v5
	s_and_saveexec_b64 s[16:17], vcc
	s_cbranch_execz .LBB1148_73
.LBB1148_58:                            ;   in Loop: Header=BB1148_21 Depth=2
	v_cmp_gt_i64_e32 vcc, 0, v[36:37]
	v_ashrrev_i32_e32 v65, 31, v37
	v_cndmask_b32_e64 v64, v133, 0, vcc
	s_waitcnt vmcnt(14)
	v_not_b32_e32 v66, v65
	v_xor_b32_e32 v65, v64, v37
	v_xor_b32_e32 v64, v66, v36
	v_cmp_ne_u64_e32 vcc, s[90:91], v[64:65]
	v_cndmask_b32_e32 v65, v133, v65, vcc
	v_cndmask_b32_e32 v64, -1, v64, vcc
	v_lshrrev_b64 v[64:65], s69, v[64:65]
	v_and_b32_e32 v64, s95, v64
	v_lshl_or_b32 v64, v64, 4, v134
	ds_add_u32 v64, v117
	s_or_b64 exec, exec, s[16:17]
	v_cmp_lt_u32_e32 vcc, v28, v5
	s_and_saveexec_b64 s[16:17], vcc
	s_cbranch_execnz .LBB1148_74
.LBB1148_59:                            ;   in Loop: Header=BB1148_21 Depth=2
	s_or_b64 exec, exec, s[16:17]
	v_cmp_lt_u32_e32 vcc, v30, v5
	s_and_saveexec_b64 s[16:17], vcc
	s_cbranch_execz .LBB1148_75
.LBB1148_60:                            ;   in Loop: Header=BB1148_21 Depth=2
	v_cmp_gt_i64_e32 vcc, 0, v[0:1]
	v_ashrrev_i32_e32 v65, 31, v1
	v_cndmask_b32_e64 v64, v133, 0, vcc
	s_waitcnt vmcnt(14)
	v_not_b32_e32 v66, v65
	v_xor_b32_e32 v65, v64, v1
	v_xor_b32_e32 v64, v66, v0
	v_cmp_ne_u64_e32 vcc, s[90:91], v[64:65]
	v_cndmask_b32_e32 v65, v133, v65, vcc
	v_cndmask_b32_e32 v64, -1, v64, vcc
	v_lshrrev_b64 v[64:65], s69, v[64:65]
	v_and_b32_e32 v64, s95, v64
	v_lshl_or_b32 v64, v64, 4, v134
	ds_add_u32 v64, v117
	s_or_b64 exec, exec, s[16:17]
	v_cmp_lt_u32_e32 vcc, v32, v5
	s_and_saveexec_b64 s[16:17], vcc
	s_cbranch_execz .LBB1148_20
	s_branch .LBB1148_76
.LBB1148_61:                            ;   in Loop: Header=BB1148_21 Depth=2
	s_or_b64 exec, exec, s[16:17]
	v_cmp_lt_u32_e32 vcc, v7, v5
	s_and_saveexec_b64 s[16:17], vcc
	s_cbranch_execz .LBB1148_47
.LBB1148_62:                            ;   in Loop: Header=BB1148_21 Depth=2
	v_cmp_gt_i64_e32 vcc, 0, v[58:59]
	v_ashrrev_i32_e32 v65, 31, v59
	v_cndmask_b32_e64 v64, v133, 0, vcc
	s_waitcnt vmcnt(14)
	v_not_b32_e32 v66, v65
	v_xor_b32_e32 v65, v64, v59
	v_xor_b32_e32 v64, v66, v58
	v_cmp_ne_u64_e32 vcc, s[90:91], v[64:65]
	v_cndmask_b32_e32 v65, v133, v65, vcc
	v_cndmask_b32_e32 v64, -1, v64, vcc
	v_lshrrev_b64 v[64:65], s69, v[64:65]
	v_and_b32_e32 v64, s95, v64
	v_lshl_or_b32 v64, v64, 4, v134
	ds_add_u32 v64, v117
	s_or_b64 exec, exec, s[16:17]
	v_cmp_lt_u32_e32 vcc, v6, v5
	s_and_saveexec_b64 s[16:17], vcc
	s_cbranch_execnz .LBB1148_48
.LBB1148_63:                            ;   in Loop: Header=BB1148_21 Depth=2
	s_or_b64 exec, exec, s[16:17]
	v_cmp_lt_u32_e32 vcc, v8, v5
	s_and_saveexec_b64 s[16:17], vcc
	s_cbranch_execz .LBB1148_49
.LBB1148_64:                            ;   in Loop: Header=BB1148_21 Depth=2
	v_cmp_gt_i64_e32 vcc, 0, v[54:55]
	v_ashrrev_i32_e32 v65, 31, v55
	v_cndmask_b32_e64 v64, v133, 0, vcc
	s_waitcnt vmcnt(14)
	v_not_b32_e32 v66, v65
	v_xor_b32_e32 v65, v64, v55
	v_xor_b32_e32 v64, v66, v54
	v_cmp_ne_u64_e32 vcc, s[90:91], v[64:65]
	v_cndmask_b32_e32 v65, v133, v65, vcc
	v_cndmask_b32_e32 v64, -1, v64, vcc
	v_lshrrev_b64 v[64:65], s69, v[64:65]
	v_and_b32_e32 v64, s95, v64
	v_lshl_or_b32 v64, v64, 4, v134
	ds_add_u32 v64, v117
	s_or_b64 exec, exec, s[16:17]
	v_cmp_lt_u32_e32 vcc, v10, v5
	s_and_saveexec_b64 s[16:17], vcc
	s_cbranch_execnz .LBB1148_50
.LBB1148_65:                            ;   in Loop: Header=BB1148_21 Depth=2
	s_or_b64 exec, exec, s[16:17]
	v_cmp_lt_u32_e32 vcc, v12, v5
	s_and_saveexec_b64 s[16:17], vcc
	s_cbranch_execz .LBB1148_51
.LBB1148_66:                            ;   in Loop: Header=BB1148_21 Depth=2
	v_cmp_gt_i64_e32 vcc, 0, v[50:51]
	v_ashrrev_i32_e32 v65, 31, v51
	v_cndmask_b32_e64 v64, v133, 0, vcc
	s_waitcnt vmcnt(14)
	v_not_b32_e32 v66, v65
	v_xor_b32_e32 v65, v64, v51
	v_xor_b32_e32 v64, v66, v50
	v_cmp_ne_u64_e32 vcc, s[90:91], v[64:65]
	v_cndmask_b32_e32 v65, v133, v65, vcc
	v_cndmask_b32_e32 v64, -1, v64, vcc
	v_lshrrev_b64 v[64:65], s69, v[64:65]
	v_and_b32_e32 v64, s95, v64
	v_lshl_or_b32 v64, v64, 4, v134
	ds_add_u32 v64, v117
	s_or_b64 exec, exec, s[16:17]
	v_cmp_lt_u32_e32 vcc, v14, v5
	s_and_saveexec_b64 s[16:17], vcc
	s_cbranch_execnz .LBB1148_52
.LBB1148_67:                            ;   in Loop: Header=BB1148_21 Depth=2
	s_or_b64 exec, exec, s[16:17]
	v_cmp_lt_u32_e32 vcc, v16, v5
	s_and_saveexec_b64 s[16:17], vcc
	s_cbranch_execz .LBB1148_53
.LBB1148_68:                            ;   in Loop: Header=BB1148_21 Depth=2
	v_cmp_gt_i64_e32 vcc, 0, v[46:47]
	v_ashrrev_i32_e32 v65, 31, v47
	v_cndmask_b32_e64 v64, v133, 0, vcc
	s_waitcnt vmcnt(14)
	v_not_b32_e32 v66, v65
	v_xor_b32_e32 v65, v64, v47
	v_xor_b32_e32 v64, v66, v46
	v_cmp_ne_u64_e32 vcc, s[90:91], v[64:65]
	v_cndmask_b32_e32 v65, v133, v65, vcc
	v_cndmask_b32_e32 v64, -1, v64, vcc
	v_lshrrev_b64 v[64:65], s69, v[64:65]
	v_and_b32_e32 v64, s95, v64
	v_lshl_or_b32 v64, v64, 4, v134
	ds_add_u32 v64, v117
	s_or_b64 exec, exec, s[16:17]
	v_cmp_lt_u32_e32 vcc, v18, v5
	s_and_saveexec_b64 s[16:17], vcc
	s_cbranch_execnz .LBB1148_54
.LBB1148_69:                            ;   in Loop: Header=BB1148_21 Depth=2
	s_or_b64 exec, exec, s[16:17]
	v_cmp_lt_u32_e32 vcc, v20, v5
	s_and_saveexec_b64 s[16:17], vcc
	s_cbranch_execz .LBB1148_55
.LBB1148_70:                            ;   in Loop: Header=BB1148_21 Depth=2
	v_cmp_gt_i64_e32 vcc, 0, v[42:43]
	v_ashrrev_i32_e32 v65, 31, v43
	v_cndmask_b32_e64 v64, v133, 0, vcc
	s_waitcnt vmcnt(14)
	v_not_b32_e32 v66, v65
	v_xor_b32_e32 v65, v64, v43
	v_xor_b32_e32 v64, v66, v42
	v_cmp_ne_u64_e32 vcc, s[90:91], v[64:65]
	v_cndmask_b32_e32 v65, v133, v65, vcc
	v_cndmask_b32_e32 v64, -1, v64, vcc
	v_lshrrev_b64 v[64:65], s69, v[64:65]
	v_and_b32_e32 v64, s95, v64
	v_lshl_or_b32 v64, v64, 4, v134
	ds_add_u32 v64, v117
	s_or_b64 exec, exec, s[16:17]
	v_cmp_lt_u32_e32 vcc, v22, v5
	s_and_saveexec_b64 s[16:17], vcc
	s_cbranch_execnz .LBB1148_56
.LBB1148_71:                            ;   in Loop: Header=BB1148_21 Depth=2
	s_or_b64 exec, exec, s[16:17]
	v_cmp_lt_u32_e32 vcc, v24, v5
	s_and_saveexec_b64 s[16:17], vcc
	s_cbranch_execz .LBB1148_57
.LBB1148_72:                            ;   in Loop: Header=BB1148_21 Depth=2
	v_cmp_gt_i64_e32 vcc, 0, v[38:39]
	v_ashrrev_i32_e32 v65, 31, v39
	v_cndmask_b32_e64 v64, v133, 0, vcc
	s_waitcnt vmcnt(14)
	v_not_b32_e32 v66, v65
	v_xor_b32_e32 v65, v64, v39
	v_xor_b32_e32 v64, v66, v38
	v_cmp_ne_u64_e32 vcc, s[90:91], v[64:65]
	v_cndmask_b32_e32 v65, v133, v65, vcc
	v_cndmask_b32_e32 v64, -1, v64, vcc
	v_lshrrev_b64 v[64:65], s69, v[64:65]
	v_and_b32_e32 v64, s95, v64
	v_lshl_or_b32 v64, v64, 4, v134
	ds_add_u32 v64, v117
	s_or_b64 exec, exec, s[16:17]
	v_cmp_lt_u32_e32 vcc, v26, v5
	s_and_saveexec_b64 s[16:17], vcc
	s_cbranch_execnz .LBB1148_58
.LBB1148_73:                            ;   in Loop: Header=BB1148_21 Depth=2
	s_or_b64 exec, exec, s[16:17]
	v_cmp_lt_u32_e32 vcc, v28, v5
	s_and_saveexec_b64 s[16:17], vcc
	s_cbranch_execz .LBB1148_59
.LBB1148_74:                            ;   in Loop: Header=BB1148_21 Depth=2
	v_cmp_gt_i64_e32 vcc, 0, v[34:35]
	v_ashrrev_i32_e32 v65, 31, v35
	v_cndmask_b32_e64 v64, v133, 0, vcc
	s_waitcnt vmcnt(14)
	v_not_b32_e32 v66, v65
	v_xor_b32_e32 v65, v64, v35
	v_xor_b32_e32 v64, v66, v34
	v_cmp_ne_u64_e32 vcc, s[90:91], v[64:65]
	v_cndmask_b32_e32 v65, v133, v65, vcc
	v_cndmask_b32_e32 v64, -1, v64, vcc
	v_lshrrev_b64 v[64:65], s69, v[64:65]
	v_and_b32_e32 v64, s95, v64
	v_lshl_or_b32 v64, v64, 4, v134
	ds_add_u32 v64, v117
	s_or_b64 exec, exec, s[16:17]
	v_cmp_lt_u32_e32 vcc, v30, v5
	s_and_saveexec_b64 s[16:17], vcc
	s_cbranch_execnz .LBB1148_60
.LBB1148_75:                            ;   in Loop: Header=BB1148_21 Depth=2
	s_or_b64 exec, exec, s[16:17]
	v_cmp_lt_u32_e32 vcc, v32, v5
	s_and_saveexec_b64 s[16:17], vcc
	s_cbranch_execz .LBB1148_20
.LBB1148_76:                            ;   in Loop: Header=BB1148_21 Depth=2
	s_waitcnt vmcnt(0)
	v_cmp_gt_i64_e32 vcc, 0, v[62:63]
	v_ashrrev_i32_e32 v64, 31, v63
	v_cndmask_b32_e64 v5, v133, 0, vcc
	v_not_b32_e32 v64, v64
	v_xor_b32_e32 v65, v5, v63
	v_xor_b32_e32 v64, v64, v62
	v_cmp_ne_u64_e32 vcc, s[90:91], v[64:65]
	v_cndmask_b32_e32 v65, v133, v65, vcc
	v_cndmask_b32_e32 v64, -1, v64, vcc
	v_lshrrev_b64 v[64:65], s69, v[64:65]
	v_and_b32_e32 v5, s95, v64
	v_lshl_or_b32 v5, v5, 4, v134
	ds_add_u32 v5, v117
	s_branch .LBB1148_20
.LBB1148_77:                            ;   in Loop: Header=BB1148_21 Depth=2
	s_or_b64 exec, exec, s[22:23]
	v_cmp_gt_u32_e32 vcc, s24, v7
	s_and_saveexec_b64 s[22:23], vcc
	s_cbranch_execz .LBB1148_27
.LBB1148_78:                            ;   in Loop: Header=BB1148_21 Depth=2
	global_load_dwordx2 v[58:59], v118, s[20:21] offset:2048
	s_or_b64 exec, exec, s[22:23]
	v_cmp_gt_u32_e32 vcc, s24, v6
	s_and_saveexec_b64 s[22:23], vcc
	s_cbranch_execnz .LBB1148_28
.LBB1148_79:                            ;   in Loop: Header=BB1148_21 Depth=2
	s_or_b64 exec, exec, s[22:23]
	v_cmp_gt_u32_e32 vcc, s24, v8
	s_and_saveexec_b64 s[22:23], vcc
	s_cbranch_execz .LBB1148_29
.LBB1148_80:                            ;   in Loop: Header=BB1148_21 Depth=2
	global_load_dwordx2 v[54:55], v120, s[20:21]
	s_or_b64 exec, exec, s[22:23]
	v_cmp_gt_u32_e32 vcc, s24, v10
	s_and_saveexec_b64 s[22:23], vcc
	s_cbranch_execnz .LBB1148_30
.LBB1148_81:                            ;   in Loop: Header=BB1148_21 Depth=2
	s_or_b64 exec, exec, s[22:23]
	v_cmp_gt_u32_e32 vcc, s24, v12
	s_and_saveexec_b64 s[22:23], vcc
	s_cbranch_execz .LBB1148_31
.LBB1148_82:                            ;   in Loop: Header=BB1148_21 Depth=2
	global_load_dwordx2 v[50:51], v122, s[20:21]
	s_or_b64 exec, exec, s[22:23]
	v_cmp_gt_u32_e32 vcc, s24, v14
	s_and_saveexec_b64 s[22:23], vcc
	s_cbranch_execnz .LBB1148_32
.LBB1148_83:                            ;   in Loop: Header=BB1148_21 Depth=2
	s_or_b64 exec, exec, s[22:23]
	v_cmp_gt_u32_e32 vcc, s24, v16
	s_and_saveexec_b64 s[22:23], vcc
	s_cbranch_execz .LBB1148_33
.LBB1148_84:                            ;   in Loop: Header=BB1148_21 Depth=2
	global_load_dwordx2 v[46:47], v124, s[20:21]
	s_or_b64 exec, exec, s[22:23]
	v_cmp_gt_u32_e32 vcc, s24, v18
	s_and_saveexec_b64 s[22:23], vcc
	s_cbranch_execnz .LBB1148_34
.LBB1148_85:                            ;   in Loop: Header=BB1148_21 Depth=2
	s_or_b64 exec, exec, s[22:23]
	v_cmp_gt_u32_e32 vcc, s24, v20
	s_and_saveexec_b64 s[22:23], vcc
	s_cbranch_execz .LBB1148_35
.LBB1148_86:                            ;   in Loop: Header=BB1148_21 Depth=2
	global_load_dwordx2 v[42:43], v126, s[20:21]
	s_or_b64 exec, exec, s[22:23]
	v_cmp_gt_u32_e32 vcc, s24, v22
	s_and_saveexec_b64 s[22:23], vcc
	s_cbranch_execnz .LBB1148_36
.LBB1148_87:                            ;   in Loop: Header=BB1148_21 Depth=2
	s_or_b64 exec, exec, s[22:23]
	v_cmp_gt_u32_e32 vcc, s24, v24
	s_and_saveexec_b64 s[22:23], vcc
	s_cbranch_execz .LBB1148_37
.LBB1148_88:                            ;   in Loop: Header=BB1148_21 Depth=2
	global_load_dwordx2 v[38:39], v128, s[20:21]
	s_or_b64 exec, exec, s[22:23]
	v_cmp_gt_u32_e32 vcc, s24, v26
	s_and_saveexec_b64 s[22:23], vcc
	s_cbranch_execnz .LBB1148_38
.LBB1148_89:                            ;   in Loop: Header=BB1148_21 Depth=2
	s_or_b64 exec, exec, s[22:23]
	v_cmp_gt_u32_e32 vcc, s24, v28
	s_and_saveexec_b64 s[22:23], vcc
	s_cbranch_execz .LBB1148_39
.LBB1148_90:                            ;   in Loop: Header=BB1148_21 Depth=2
	global_load_dwordx2 v[34:35], v130, s[20:21]
	s_or_b64 exec, exec, s[22:23]
	v_cmp_gt_u32_e32 vcc, s24, v30
	s_and_saveexec_b64 s[22:23], vcc
	s_cbranch_execz .LBB1148_41
	s_branch .LBB1148_40
.LBB1148_91:                            ;   in Loop: Header=BB1148_17 Depth=1
	v_mov_b32_e32 v0, 0
	s_waitcnt lgkmcnt(0)
	s_barrier
	s_and_saveexec_b64 s[16:17], s[4:5]
	s_cbranch_execz .LBB1148_93
; %bb.92:                               ;   in Loop: Header=BB1148_17 Depth=1
	ds_read2_b64 v[34:37], v13 offset1:1
	s_waitcnt lgkmcnt(0)
	v_add_u32_e32 v0, v35, v34
	v_add3_u32 v0, v0, v36, v37
.LBB1148_93:                            ;   in Loop: Header=BB1148_17 Depth=1
	s_or_b64 exec, exec, s[16:17]
	s_nop 0
	v_mov_b32_dpp v1, v0 row_shr:1 row_mask:0xf bank_mask:0xf
	v_cmp_eq_u32_e64 s[16:17], 0, v136
	v_cndmask_b32_e64 v1, v1, 0, s[16:17]
	v_add_u32_e32 v0, v1, v0
	v_cmp_lt_u32_e64 s[18:19], 1, v136
	v_cmp_lt_u32_e64 s[20:21], 3, v136
	v_mov_b32_dpp v1, v0 row_shr:2 row_mask:0xf bank_mask:0xf
	v_cndmask_b32_e64 v1, 0, v1, s[18:19]
	v_add_u32_e32 v0, v0, v1
	v_cmp_lt_u32_e64 s[22:23], 7, v136
	v_cmp_lt_u32_e64 s[26:27], 31, v135
	v_mov_b32_dpp v1, v0 row_shr:4 row_mask:0xf bank_mask:0xf
	v_cndmask_b32_e64 v1, 0, v1, s[20:21]
	v_add_u32_e32 v0, v0, v1
	v_cmp_eq_u32_e64 s[24:25], 0, v138
	s_nop 0
	v_mov_b32_dpp v1, v0 row_shr:8 row_mask:0xf bank_mask:0xf
	v_cndmask_b32_e64 v1, 0, v1, s[22:23]
	v_add_u32_e32 v0, v0, v1
	s_nop 1
	v_mov_b32_dpp v1, v0 row_bcast:15 row_mask:0xf bank_mask:0xf
	v_and_b32_e32 v1, v137, v1
	v_add_u32_e32 v0, v0, v1
	s_nop 1
	v_mov_b32_dpp v1, v0 row_bcast:31 row_mask:0xf bank_mask:0xf
	v_cndmask_b32_e64 v1, 0, v1, s[26:27]
	v_add_u32_e32 v0, v0, v1
	s_and_saveexec_b64 s[28:29], s[6:7]
	s_cbranch_execz .LBB1148_95
; %bb.94:                               ;   in Loop: Header=BB1148_17 Depth=1
	ds_write_b32 v17, v0
.LBB1148_95:                            ;   in Loop: Header=BB1148_17 Depth=1
	s_or_b64 exec, exec, s[28:29]
	s_waitcnt lgkmcnt(0)
	s_barrier
	s_and_saveexec_b64 s[28:29], s[8:9]
	s_cbranch_execz .LBB1148_97
; %bb.96:                               ;   in Loop: Header=BB1148_17 Depth=1
	ds_read_b32 v1, v19
	v_cmp_ne_u32_e32 vcc, 0, v139
	s_waitcnt lgkmcnt(0)
	v_mov_b32_dpp v5, v1 row_shr:1 row_mask:0xf bank_mask:0xf
	v_cndmask_b32_e32 v5, 0, v5, vcc
	v_add_u32_e32 v1, v5, v1
	v_cmp_lt_u32_e32 vcc, 1, v139
	s_nop 0
	v_mov_b32_dpp v5, v1 row_shr:2 row_mask:0xf bank_mask:0xf
	v_cndmask_b32_e32 v5, 0, v5, vcc
	v_add_u32_e32 v1, v1, v5
	ds_write_b32 v19, v1
.LBB1148_97:                            ;   in Loop: Header=BB1148_17 Depth=1
	s_or_b64 exec, exec, s[28:29]
	v_mov_b32_e32 v1, 0
	s_waitcnt lgkmcnt(0)
	s_barrier
	s_and_saveexec_b64 s[28:29], s[10:11]
	s_cbranch_execz .LBB1148_99
; %bb.98:                               ;   in Loop: Header=BB1148_17 Depth=1
	ds_read_b32 v1, v21
.LBB1148_99:                            ;   in Loop: Header=BB1148_17 Depth=1
	s_or_b64 exec, exec, s[28:29]
	v_cmp_lt_i32_e32 vcc, v140, v141
	v_cndmask_b32_e32 v5, v140, v135, vcc
	s_waitcnt lgkmcnt(0)
	v_add_u32_e32 v0, v1, v0
	v_lshlrev_b32_e32 v159, 2, v5
	ds_bpermute_b32 v0, v159, v0
	v_cmp_eq_u32_e64 s[28:29], 0, v135
	s_waitcnt lgkmcnt(0)
	s_barrier
	s_and_saveexec_b64 s[30:31], s[4:5]
	s_cbranch_execz .LBB1148_101
; %bb.100:                              ;   in Loop: Header=BB1148_17 Depth=1
	v_cndmask_b32_e64 v0, v0, v1, s[28:29]
	v_readlane_b32 s34, v236, 3
	v_add_u32_e32 v0, s34, v0
	ds_write_b32 v3, v0
.LBB1148_101:                           ;   in Loop: Header=BB1148_17 Depth=1
	s_or_b64 exec, exec, s[30:31]
	s_load_dword s30, s[92:93], 0x4
	s_load_dword s36, s[92:93], 0xc
	v_readlane_b32 s31, v236, 0
	v_add_co_u32_e32 v160, vcc, v100, v142
	s_waitcnt lgkmcnt(0)
	s_cmp_lt_u32 s31, s30
	s_cselect_b32 s30, 14, 20
	s_add_u32 s30, s92, s30
	s_addc_u32 s31, s93, 0
	global_load_ushort v5, v4, s[30:31]
	v_addc_co_u32_e32 v161, vcc, 0, v101, vcc
	v_add_co_u32_e32 v162, vcc, v102, v142
	s_and_b32 s36, s36, 0xffff
	v_addc_co_u32_e32 v163, vcc, 0, v103, vcc
	v_add_co_u32_e32 v170, vcc, 0x1e00, v162
	v_cmp_eq_u32_e64 s[30:31], 0, v139
	v_cmp_lt_u32_e64 s[34:35], 1, v139
	s_mov_b32 s85, s86
	v_addc_co_u32_e32 v173, vcc, 0, v163, vcc
                                        ; implicit-def: $vgpr0_vgpr1
                                        ; implicit-def: $vgpr34_vgpr35
                                        ; implicit-def: $vgpr36_vgpr37
                                        ; implicit-def: $vgpr40_vgpr41
                                        ; implicit-def: $vgpr44_vgpr45
                                        ; implicit-def: $vgpr48_vgpr49
                                        ; implicit-def: $vgpr52_vgpr53
                                        ; implicit-def: $vgpr56_vgpr57
                                        ; implicit-def: $vgpr38_vgpr39
                                        ; implicit-def: $vgpr42_vgpr43
                                        ; implicit-def: $vgpr46_vgpr47
                                        ; implicit-def: $vgpr50_vgpr51
                                        ; implicit-def: $vgpr54_vgpr55
                                        ; implicit-def: $vgpr58_vgpr59
                                        ; implicit-def: $vgpr60_vgpr61
                                        ; implicit-def: $vgpr62_vgpr63
                                        ; implicit-def: $vgpr164
                                        ; implicit-def: $vgpr165
                                        ; implicit-def: $vgpr166
                                        ; implicit-def: $vgpr167
                                        ; implicit-def: $vgpr168
                                        ; implicit-def: $vgpr169
                                        ; implicit-def: $vgpr171
                                        ; implicit-def: $vgpr172
                                        ; implicit-def: $vgpr174
                                        ; implicit-def: $vgpr175
                                        ; implicit-def: $vgpr176
                                        ; implicit-def: $vgpr177
                                        ; implicit-def: $vgpr179
                                        ; implicit-def: $vgpr180
                                        ; implicit-def: $vgpr181
                                        ; implicit-def: $vgpr182
	s_waitcnt vmcnt(0)
	v_mad_u32_u24 v5, v23, v5, v25
	v_mad_u64_u32 v[64:65], s[36:37], v5, s36, v[2:3]
	v_readlane_b32 s36, v236, 3
	v_lshrrev_b32_e32 v178, 6, v64
	s_mov_b32 s70, s36
	s_branch .LBB1148_103
.LBB1148_102:                           ;   in Loop: Header=BB1148_103 Depth=2
	s_or_b64 exec, exec, s[36:37]
	s_addk_i32 s85, 0xf000
	s_cmp_lt_u32 s86, s96
	s_mov_b32 s70, s86
	s_cbranch_scc0 .LBB1148_311
.LBB1148_103:                           ;   Parent Loop BB1148_17 Depth=1
                                        ; =>  This Inner Loop Header: Depth=2
	s_add_i32 s86, s70, 0x1000
	s_cmp_gt_u32 s86, s96
	s_cbranch_scc1 .LBB1148_106
; %bb.104:                              ;   in Loop: Header=BB1148_103 Depth=2
	s_mov_b32 s71, s90
	s_lshl_b64 s[36:37], s[70:71], 3
	v_mov_b32_e32 v5, s37
	v_add_co_u32_e32 v68, vcc, s36, v162
	v_addc_co_u32_e32 v69, vcc, v163, v5, vcc
	global_load_dwordx2 v[64:65], v[68:69], off
	global_load_dwordx2 v[66:67], v[68:69], off offset:512
	global_load_dwordx2 v[74:75], v[68:69], off offset:1024
	;; [unrolled: 1-line block ×7, first 2 shown]
	v_add_co_u32_e32 v68, vcc, 0x1000, v68
	v_addc_co_u32_e32 v69, vcc, 0, v69, vcc
	global_load_dwordx2 v[92:93], v[68:69], off
	global_load_dwordx2 v[88:89], v[68:69], off offset:512
	global_load_dwordx2 v[84:85], v[68:69], off offset:1024
	;; [unrolled: 1-line block ×5, first 2 shown]
	s_nop 0
	global_load_dwordx2 v[68:69], v[68:69], off offset:3072
	s_movk_i32 s40, 0x1000
	s_mov_b64 s[36:37], -1
	s_cbranch_execz .LBB1148_107
; %bb.105:                              ;   in Loop: Header=BB1148_103 Depth=2
                                        ; implicit-def: $sgpr38_sgpr39
	v_pk_mov_b32 v[70:71], s[38:39], s[38:39] op_sel:[0,1]
	v_mov_b32_e32 v183, s85
	s_and_saveexec_b64 s[38:39], s[36:37]
	s_cbranch_execnz .LBB1148_138
	s_branch .LBB1148_139
.LBB1148_106:                           ;   in Loop: Header=BB1148_103 Depth=2
	s_mov_b64 s[36:37], 0
                                        ; implicit-def: $sgpr40
                                        ; implicit-def: $vgpr64_vgpr65
                                        ; implicit-def: $vgpr66_vgpr67
                                        ; implicit-def: $vgpr74_vgpr75
                                        ; implicit-def: $vgpr78_vgpr79
                                        ; implicit-def: $vgpr82_vgpr83
                                        ; implicit-def: $vgpr86_vgpr87
                                        ; implicit-def: $vgpr90_vgpr91
                                        ; implicit-def: $vgpr94_vgpr95
                                        ; implicit-def: $vgpr92_vgpr93
                                        ; implicit-def: $vgpr88_vgpr89
                                        ; implicit-def: $vgpr84_vgpr85
                                        ; implicit-def: $vgpr80_vgpr81
                                        ; implicit-def: $vgpr76_vgpr77
                                        ; implicit-def: $vgpr72_vgpr73
                                        ; implicit-def: $vgpr68_vgpr69
.LBB1148_107:                           ;   in Loop: Header=BB1148_103 Depth=2
	s_mov_b32 s71, s90
	s_lshl_b64 s[36:37], s[70:71], 3
	v_mov_b32_e32 v5, s37
	v_add_co_u32_e32 v70, vcc, s36, v162
	v_addc_co_u32_e32 v71, vcc, v163, v5, vcc
	s_waitcnt vmcnt(13)
	v_pk_mov_b32 v[66:67], -1, -1
	v_cmp_gt_u32_e32 vcc, s85, v143
	v_pk_mov_b32 v[64:65], v[66:67], v[66:67] op_sel:[0,1]
	s_and_saveexec_b64 s[36:37], vcc
	s_cbranch_execz .LBB1148_109
; %bb.108:                              ;   in Loop: Header=BB1148_103 Depth=2
	global_load_dwordx2 v[64:65], v[70:71], off
.LBB1148_109:                           ;   in Loop: Header=BB1148_103 Depth=2
	s_or_b64 exec, exec, s[36:37]
	v_cmp_gt_u32_e32 vcc, s85, v144
	s_and_saveexec_b64 s[36:37], vcc
	s_cbranch_execz .LBB1148_111
; %bb.110:                              ;   in Loop: Header=BB1148_103 Depth=2
	global_load_dwordx2 v[66:67], v[70:71], off offset:512
.LBB1148_111:                           ;   in Loop: Header=BB1148_103 Depth=2
	s_or_b64 exec, exec, s[36:37]
	s_waitcnt vmcnt(11)
	v_pk_mov_b32 v[78:79], -1, -1
	v_cmp_gt_u32_e32 vcc, s85, v145
	v_pk_mov_b32 v[74:75], v[78:79], v[78:79] op_sel:[0,1]
	s_and_saveexec_b64 s[36:37], vcc
	s_cbranch_execz .LBB1148_113
; %bb.112:                              ;   in Loop: Header=BB1148_103 Depth=2
	global_load_dwordx2 v[74:75], v[70:71], off offset:1024
.LBB1148_113:                           ;   in Loop: Header=BB1148_103 Depth=2
	s_or_b64 exec, exec, s[36:37]
	v_cmp_gt_u32_e32 vcc, s85, v146
	s_and_saveexec_b64 s[36:37], vcc
	s_cbranch_execz .LBB1148_115
; %bb.114:                              ;   in Loop: Header=BB1148_103 Depth=2
	global_load_dwordx2 v[78:79], v[70:71], off offset:1536
.LBB1148_115:                           ;   in Loop: Header=BB1148_103 Depth=2
	s_or_b64 exec, exec, s[36:37]
	s_waitcnt vmcnt(9)
	v_pk_mov_b32 v[86:87], -1, -1
	v_cmp_gt_u32_e32 vcc, s85, v147
	v_pk_mov_b32 v[82:83], v[86:87], v[86:87] op_sel:[0,1]
	s_and_saveexec_b64 s[36:37], vcc
	s_cbranch_execz .LBB1148_117
; %bb.116:                              ;   in Loop: Header=BB1148_103 Depth=2
	global_load_dwordx2 v[82:83], v[70:71], off offset:2048
.LBB1148_117:                           ;   in Loop: Header=BB1148_103 Depth=2
	;; [unrolled: 17-line block ×3, first 2 shown]
	s_or_b64 exec, exec, s[36:37]
	v_cmp_gt_u32_e32 vcc, s85, v150
	s_and_saveexec_b64 s[36:37], vcc
	s_cbranch_execz .LBB1148_123
; %bb.122:                              ;   in Loop: Header=BB1148_103 Depth=2
	global_load_dwordx2 v[94:95], v[70:71], off offset:3584
.LBB1148_123:                           ;   in Loop: Header=BB1148_103 Depth=2
	s_or_b64 exec, exec, s[36:37]
	s_waitcnt vmcnt(5)
	v_pk_mov_b32 v[88:89], -1, -1
	v_cmp_gt_u32_e32 vcc, s85, v151
	v_pk_mov_b32 v[92:93], v[88:89], v[88:89] op_sel:[0,1]
	s_and_saveexec_b64 s[36:37], vcc
	s_cbranch_execz .LBB1148_125
; %bb.124:                              ;   in Loop: Header=BB1148_103 Depth=2
	s_waitcnt vmcnt(0)
	v_add_co_u32_e32 v68, vcc, 0x1000, v70
	v_addc_co_u32_e32 v69, vcc, 0, v71, vcc
	global_load_dwordx2 v[92:93], v[68:69], off
.LBB1148_125:                           ;   in Loop: Header=BB1148_103 Depth=2
	s_or_b64 exec, exec, s[36:37]
	v_cmp_gt_u32_e32 vcc, s85, v152
	s_and_saveexec_b64 s[36:37], vcc
	s_cbranch_execz .LBB1148_127
; %bb.126:                              ;   in Loop: Header=BB1148_103 Depth=2
	s_waitcnt vmcnt(0)
	v_add_co_u32_e32 v68, vcc, 0x1000, v70
	v_addc_co_u32_e32 v69, vcc, 0, v71, vcc
	global_load_dwordx2 v[88:89], v[68:69], off offset:512
.LBB1148_127:                           ;   in Loop: Header=BB1148_103 Depth=2
	s_or_b64 exec, exec, s[36:37]
	s_waitcnt vmcnt(3)
	v_pk_mov_b32 v[80:81], -1, -1
	v_cmp_gt_u32_e32 vcc, s85, v153
	v_pk_mov_b32 v[84:85], v[80:81], v[80:81] op_sel:[0,1]
	s_and_saveexec_b64 s[36:37], vcc
	s_cbranch_execz .LBB1148_129
; %bb.128:                              ;   in Loop: Header=BB1148_103 Depth=2
	s_waitcnt vmcnt(0)
	v_add_co_u32_e32 v68, vcc, 0x1000, v70
	v_addc_co_u32_e32 v69, vcc, 0, v71, vcc
	global_load_dwordx2 v[84:85], v[68:69], off offset:1024
.LBB1148_129:                           ;   in Loop: Header=BB1148_103 Depth=2
	s_or_b64 exec, exec, s[36:37]
	v_cmp_gt_u32_e32 vcc, s85, v154
	s_and_saveexec_b64 s[36:37], vcc
	s_cbranch_execz .LBB1148_131
; %bb.130:                              ;   in Loop: Header=BB1148_103 Depth=2
	s_waitcnt vmcnt(0)
	v_add_co_u32_e32 v68, vcc, 0x1000, v70
	v_addc_co_u32_e32 v69, vcc, 0, v71, vcc
	global_load_dwordx2 v[80:81], v[68:69], off offset:1536
.LBB1148_131:                           ;   in Loop: Header=BB1148_103 Depth=2
	s_or_b64 exec, exec, s[36:37]
	s_waitcnt vmcnt(1)
	v_pk_mov_b32 v[72:73], -1, -1
	v_cmp_gt_u32_e32 vcc, s85, v155
	v_pk_mov_b32 v[76:77], v[72:73], v[72:73] op_sel:[0,1]
	s_and_saveexec_b64 s[36:37], vcc
	s_cbranch_execz .LBB1148_133
; %bb.132:                              ;   in Loop: Header=BB1148_103 Depth=2
	s_waitcnt vmcnt(0)
	v_add_co_u32_e32 v68, vcc, 0x1000, v70
	v_addc_co_u32_e32 v69, vcc, 0, v71, vcc
	global_load_dwordx2 v[76:77], v[68:69], off offset:2048
.LBB1148_133:                           ;   in Loop: Header=BB1148_103 Depth=2
	s_or_b64 exec, exec, s[36:37]
	v_cmp_gt_u32_e32 vcc, s85, v156
	s_and_saveexec_b64 s[36:37], vcc
	s_cbranch_execz .LBB1148_135
; %bb.134:                              ;   in Loop: Header=BB1148_103 Depth=2
	s_waitcnt vmcnt(0)
	v_add_co_u32_e32 v68, vcc, 0x1000, v70
	v_addc_co_u32_e32 v69, vcc, 0, v71, vcc
	global_load_dwordx2 v[72:73], v[68:69], off offset:2560
.LBB1148_135:                           ;   in Loop: Header=BB1148_103 Depth=2
	s_or_b64 exec, exec, s[36:37]
	v_cmp_gt_u32_e32 vcc, s85, v157
	s_waitcnt vmcnt(0)
	v_pk_mov_b32 v[68:69], -1, -1
	s_and_saveexec_b64 s[36:37], vcc
	s_cbranch_execz .LBB1148_137
; %bb.136:                              ;   in Loop: Header=BB1148_103 Depth=2
	v_add_co_u32_e32 v68, vcc, 0x1000, v70
	v_addc_co_u32_e32 v69, vcc, 0, v71, vcc
	global_load_dwordx2 v[68:69], v[68:69], off offset:3072
.LBB1148_137:                           ;   in Loop: Header=BB1148_103 Depth=2
	s_or_b64 exec, exec, s[36:37]
	s_sub_i32 s40, s96, s70
	v_cmp_gt_u32_e64 s[36:37], s85, v158
	s_mov_b64 s[38:39], -1
	v_pk_mov_b32 v[70:71], s[38:39], s[38:39] op_sel:[0,1]
	v_mov_b32_e32 v183, s85
	s_and_saveexec_b64 s[38:39], s[36:37]
	s_cbranch_execz .LBB1148_139
.LBB1148_138:                           ;   in Loop: Header=BB1148_103 Depth=2
	s_lshl_b64 s[36:37], s[70:71], 3
	v_mov_b32_e32 v5, s37
	v_add_co_u32_e32 v70, vcc, s36, v170
	v_addc_co_u32_e32 v71, vcc, v173, v5, vcc
	global_load_dwordx2 v[70:71], v[70:71], off
	v_mov_b32_e32 v183, s40
.LBB1148_139:                           ;   in Loop: Header=BB1148_103 Depth=2
	s_or_b64 exec, exec, s[38:39]
	s_waitcnt vmcnt(14)
	v_cmp_gt_i64_e32 vcc, 0, v[64:65]
	v_ashrrev_i32_e32 v96, 31, v65
	v_cndmask_b32_e64 v5, v133, 0, vcc
	v_not_b32_e32 v96, v96
	v_xor_b32_e32 v65, v5, v65
	v_xor_b32_e32 v64, v96, v64
	v_cmp_ne_u64_e32 vcc, s[90:91], v[64:65]
	v_cndmask_b32_e32 v97, v133, v65, vcc
	v_cndmask_b32_e32 v96, -1, v64, vcc
	v_lshrrev_b64 v[96:97], s69, v[96:97]
	v_add_u32_e32 v5, 0x410, v27
	v_and_b32_e32 v96, s95, v96
	ds_write2_b32 v5, v4, v4 offset1:1
	ds_write2_b32 v31, v4, v4 offset0:2 offset1:3
	ds_write_b32 v31, v4 offset:16
	v_mad_u32_u24 v5, v96, 5, v178
	v_lshl_add_u32 v184, v5, 2, v29
	v_and_b32_e32 v5, 1, v96
	v_add_co_u32_e32 v97, vcc, -1, v5
	v_addc_co_u32_e64 v98, s[36:37], 0, -1, vcc
	v_cmp_ne_u32_e32 vcc, 0, v5
	v_xor_b32_e32 v5, vcc_hi, v98
	v_and_b32_e32 v98, exec_hi, v5
	v_lshlrev_b32_e32 v5, 30, v96
	v_xor_b32_e32 v97, vcc_lo, v97
	v_cmp_gt_i64_e32 vcc, 0, v[4:5]
	v_not_b32_e32 v5, v5
	v_ashrrev_i32_e32 v5, 31, v5
	v_and_b32_e32 v97, exec_lo, v97
	v_xor_b32_e32 v99, vcc_hi, v5
	v_xor_b32_e32 v5, vcc_lo, v5
	v_and_b32_e32 v97, v97, v5
	v_lshlrev_b32_e32 v5, 29, v96
	v_cmp_gt_i64_e32 vcc, 0, v[4:5]
	v_not_b32_e32 v5, v5
	v_ashrrev_i32_e32 v5, 31, v5
	v_and_b32_e32 v98, v98, v99
	v_xor_b32_e32 v99, vcc_hi, v5
	v_xor_b32_e32 v5, vcc_lo, v5
	v_and_b32_e32 v97, v97, v5
	v_lshlrev_b32_e32 v5, 28, v96
	v_cmp_gt_i64_e32 vcc, 0, v[4:5]
	v_not_b32_e32 v5, v5
	v_ashrrev_i32_e32 v5, 31, v5
	v_and_b32_e32 v98, v98, v99
	;; [unrolled: 8-line block ×5, first 2 shown]
	v_xor_b32_e32 v99, vcc_hi, v5
	v_xor_b32_e32 v5, vcc_lo, v5
	v_and_b32_e32 v98, v98, v99
	v_and_b32_e32 v99, v97, v5
	v_lshlrev_b32_e32 v5, 24, v96
	v_cmp_gt_i64_e32 vcc, 0, v[4:5]
	v_not_b32_e32 v5, v5
	v_ashrrev_i32_e32 v5, 31, v5
	v_xor_b32_e32 v96, vcc_hi, v5
	v_xor_b32_e32 v5, vcc_lo, v5
	v_and_b32_e32 v97, v98, v96
	v_and_b32_e32 v96, v99, v5
	v_mbcnt_lo_u32_b32 v5, v96, 0
	v_mbcnt_hi_u32_b32 v185, v97, v5
	v_cmp_eq_u32_e32 vcc, 0, v185
	v_cmp_ne_u64_e64 s[36:37], 0, v[96:97]
	s_and_b64 s[38:39], s[36:37], vcc
	s_waitcnt lgkmcnt(0)
	s_barrier
	s_waitcnt lgkmcnt(0)
	; wave barrier
	s_and_saveexec_b64 s[36:37], s[38:39]
	s_cbranch_execz .LBB1148_141
; %bb.140:                              ;   in Loop: Header=BB1148_103 Depth=2
	v_bcnt_u32_b32 v5, v96, 0
	v_bcnt_u32_b32 v5, v97, v5
	ds_write_b32 v184, v5
.LBB1148_141:                           ;   in Loop: Header=BB1148_103 Depth=2
	s_or_b64 exec, exec, s[36:37]
	s_waitcnt vmcnt(13)
	v_cmp_gt_i64_e32 vcc, 0, v[66:67]
	v_ashrrev_i32_e32 v96, 31, v67
	v_cndmask_b32_e64 v5, v133, 0, vcc
	v_not_b32_e32 v96, v96
	v_xor_b32_e32 v67, v5, v67
	v_xor_b32_e32 v66, v96, v66
	v_cmp_ne_u64_e32 vcc, s[90:91], v[66:67]
	v_cndmask_b32_e32 v97, v133, v67, vcc
	v_cndmask_b32_e32 v96, -1, v66, vcc
	v_lshrrev_b64 v[96:97], s69, v[96:97]
	v_and_b32_e32 v96, s95, v96
	v_mul_u32_u24_e32 v5, 5, v96
	v_add_lshl_u32 v5, v5, v178, 2
	; wave barrier
	v_add_u32_e32 v187, 0x410, v5
	ds_read_b32 v186, v5 offset:1040
	v_and_b32_e32 v5, 1, v96
	v_add_co_u32_e32 v97, vcc, -1, v5
	v_addc_co_u32_e64 v98, s[36:37], 0, -1, vcc
	v_cmp_ne_u32_e32 vcc, 0, v5
	v_xor_b32_e32 v5, vcc_hi, v98
	v_and_b32_e32 v98, exec_hi, v5
	v_lshlrev_b32_e32 v5, 30, v96
	v_xor_b32_e32 v97, vcc_lo, v97
	v_cmp_gt_i64_e32 vcc, 0, v[4:5]
	v_not_b32_e32 v5, v5
	v_ashrrev_i32_e32 v5, 31, v5
	v_and_b32_e32 v97, exec_lo, v97
	v_xor_b32_e32 v99, vcc_hi, v5
	v_xor_b32_e32 v5, vcc_lo, v5
	v_and_b32_e32 v97, v97, v5
	v_lshlrev_b32_e32 v5, 29, v96
	v_cmp_gt_i64_e32 vcc, 0, v[4:5]
	v_not_b32_e32 v5, v5
	v_ashrrev_i32_e32 v5, 31, v5
	v_and_b32_e32 v98, v98, v99
	v_xor_b32_e32 v99, vcc_hi, v5
	v_xor_b32_e32 v5, vcc_lo, v5
	v_and_b32_e32 v97, v97, v5
	v_lshlrev_b32_e32 v5, 28, v96
	v_cmp_gt_i64_e32 vcc, 0, v[4:5]
	v_not_b32_e32 v5, v5
	v_ashrrev_i32_e32 v5, 31, v5
	v_and_b32_e32 v98, v98, v99
	;; [unrolled: 8-line block ×5, first 2 shown]
	v_xor_b32_e32 v99, vcc_hi, v5
	v_xor_b32_e32 v5, vcc_lo, v5
	v_and_b32_e32 v98, v98, v99
	v_and_b32_e32 v99, v97, v5
	v_lshlrev_b32_e32 v5, 24, v96
	v_cmp_gt_i64_e32 vcc, 0, v[4:5]
	v_not_b32_e32 v5, v5
	v_ashrrev_i32_e32 v5, 31, v5
	v_xor_b32_e32 v96, vcc_hi, v5
	v_xor_b32_e32 v5, vcc_lo, v5
	v_and_b32_e32 v97, v98, v96
	v_and_b32_e32 v96, v99, v5
	v_mbcnt_lo_u32_b32 v5, v96, 0
	v_mbcnt_hi_u32_b32 v188, v97, v5
	v_cmp_eq_u32_e32 vcc, 0, v188
	v_cmp_ne_u64_e64 s[36:37], 0, v[96:97]
	s_and_b64 s[38:39], s[36:37], vcc
	; wave barrier
	s_and_saveexec_b64 s[36:37], s[38:39]
	s_cbranch_execz .LBB1148_143
; %bb.142:                              ;   in Loop: Header=BB1148_103 Depth=2
	v_bcnt_u32_b32 v5, v96, 0
	v_bcnt_u32_b32 v5, v97, v5
	s_waitcnt lgkmcnt(0)
	v_add_u32_e32 v5, v186, v5
	ds_write_b32 v187, v5
.LBB1148_143:                           ;   in Loop: Header=BB1148_103 Depth=2
	s_or_b64 exec, exec, s[36:37]
	s_waitcnt vmcnt(12)
	v_cmp_gt_i64_e32 vcc, 0, v[74:75]
	v_ashrrev_i32_e32 v96, 31, v75
	v_cndmask_b32_e64 v5, v133, 0, vcc
	v_not_b32_e32 v96, v96
	v_xor_b32_e32 v75, v5, v75
	v_xor_b32_e32 v74, v96, v74
	v_cmp_ne_u64_e32 vcc, s[90:91], v[74:75]
	v_cndmask_b32_e32 v97, v133, v75, vcc
	v_cndmask_b32_e32 v96, -1, v74, vcc
	v_lshrrev_b64 v[96:97], s69, v[96:97]
	v_and_b32_e32 v96, s95, v96
	v_mul_u32_u24_e32 v5, 5, v96
	v_add_lshl_u32 v5, v5, v178, 2
	; wave barrier
	v_add_u32_e32 v190, 0x410, v5
	ds_read_b32 v189, v5 offset:1040
	v_and_b32_e32 v5, 1, v96
	v_add_co_u32_e32 v97, vcc, -1, v5
	v_addc_co_u32_e64 v98, s[36:37], 0, -1, vcc
	v_cmp_ne_u32_e32 vcc, 0, v5
	v_xor_b32_e32 v5, vcc_hi, v98
	v_and_b32_e32 v98, exec_hi, v5
	v_lshlrev_b32_e32 v5, 30, v96
	v_xor_b32_e32 v97, vcc_lo, v97
	v_cmp_gt_i64_e32 vcc, 0, v[4:5]
	v_not_b32_e32 v5, v5
	v_ashrrev_i32_e32 v5, 31, v5
	v_and_b32_e32 v97, exec_lo, v97
	v_xor_b32_e32 v99, vcc_hi, v5
	v_xor_b32_e32 v5, vcc_lo, v5
	v_and_b32_e32 v97, v97, v5
	v_lshlrev_b32_e32 v5, 29, v96
	v_cmp_gt_i64_e32 vcc, 0, v[4:5]
	v_not_b32_e32 v5, v5
	v_ashrrev_i32_e32 v5, 31, v5
	v_and_b32_e32 v98, v98, v99
	v_xor_b32_e32 v99, vcc_hi, v5
	v_xor_b32_e32 v5, vcc_lo, v5
	v_and_b32_e32 v97, v97, v5
	v_lshlrev_b32_e32 v5, 28, v96
	v_cmp_gt_i64_e32 vcc, 0, v[4:5]
	v_not_b32_e32 v5, v5
	v_ashrrev_i32_e32 v5, 31, v5
	v_and_b32_e32 v98, v98, v99
	;; [unrolled: 8-line block ×5, first 2 shown]
	v_xor_b32_e32 v99, vcc_hi, v5
	v_xor_b32_e32 v5, vcc_lo, v5
	v_and_b32_e32 v98, v98, v99
	v_and_b32_e32 v99, v97, v5
	v_lshlrev_b32_e32 v5, 24, v96
	v_cmp_gt_i64_e32 vcc, 0, v[4:5]
	v_not_b32_e32 v5, v5
	v_ashrrev_i32_e32 v5, 31, v5
	v_xor_b32_e32 v96, vcc_hi, v5
	v_xor_b32_e32 v5, vcc_lo, v5
	v_and_b32_e32 v97, v98, v96
	v_and_b32_e32 v96, v99, v5
	v_mbcnt_lo_u32_b32 v5, v96, 0
	v_mbcnt_hi_u32_b32 v191, v97, v5
	v_cmp_eq_u32_e32 vcc, 0, v191
	v_cmp_ne_u64_e64 s[36:37], 0, v[96:97]
	s_and_b64 s[38:39], s[36:37], vcc
	; wave barrier
	s_and_saveexec_b64 s[36:37], s[38:39]
	s_cbranch_execz .LBB1148_145
; %bb.144:                              ;   in Loop: Header=BB1148_103 Depth=2
	v_bcnt_u32_b32 v5, v96, 0
	v_bcnt_u32_b32 v5, v97, v5
	s_waitcnt lgkmcnt(0)
	v_add_u32_e32 v5, v189, v5
	ds_write_b32 v190, v5
.LBB1148_145:                           ;   in Loop: Header=BB1148_103 Depth=2
	s_or_b64 exec, exec, s[36:37]
	s_waitcnt vmcnt(11)
	v_cmp_gt_i64_e32 vcc, 0, v[78:79]
	v_ashrrev_i32_e32 v96, 31, v79
	v_cndmask_b32_e64 v5, v133, 0, vcc
	v_not_b32_e32 v96, v96
	v_xor_b32_e32 v79, v5, v79
	v_xor_b32_e32 v78, v96, v78
	v_cmp_ne_u64_e32 vcc, s[90:91], v[78:79]
	v_cndmask_b32_e32 v97, v133, v79, vcc
	v_cndmask_b32_e32 v96, -1, v78, vcc
	v_lshrrev_b64 v[96:97], s69, v[96:97]
	v_and_b32_e32 v96, s95, v96
	v_mul_u32_u24_e32 v5, 5, v96
	v_add_lshl_u32 v5, v5, v178, 2
	; wave barrier
	v_add_u32_e32 v193, 0x410, v5
	ds_read_b32 v192, v5 offset:1040
	v_and_b32_e32 v5, 1, v96
	v_add_co_u32_e32 v97, vcc, -1, v5
	v_addc_co_u32_e64 v98, s[36:37], 0, -1, vcc
	v_cmp_ne_u32_e32 vcc, 0, v5
	v_xor_b32_e32 v5, vcc_hi, v98
	v_and_b32_e32 v98, exec_hi, v5
	v_lshlrev_b32_e32 v5, 30, v96
	v_xor_b32_e32 v97, vcc_lo, v97
	v_cmp_gt_i64_e32 vcc, 0, v[4:5]
	v_not_b32_e32 v5, v5
	v_ashrrev_i32_e32 v5, 31, v5
	v_and_b32_e32 v97, exec_lo, v97
	v_xor_b32_e32 v99, vcc_hi, v5
	v_xor_b32_e32 v5, vcc_lo, v5
	v_and_b32_e32 v97, v97, v5
	v_lshlrev_b32_e32 v5, 29, v96
	v_cmp_gt_i64_e32 vcc, 0, v[4:5]
	v_not_b32_e32 v5, v5
	v_ashrrev_i32_e32 v5, 31, v5
	v_and_b32_e32 v98, v98, v99
	v_xor_b32_e32 v99, vcc_hi, v5
	v_xor_b32_e32 v5, vcc_lo, v5
	v_and_b32_e32 v97, v97, v5
	v_lshlrev_b32_e32 v5, 28, v96
	v_cmp_gt_i64_e32 vcc, 0, v[4:5]
	v_not_b32_e32 v5, v5
	v_ashrrev_i32_e32 v5, 31, v5
	v_and_b32_e32 v98, v98, v99
	;; [unrolled: 8-line block ×5, first 2 shown]
	v_xor_b32_e32 v99, vcc_hi, v5
	v_xor_b32_e32 v5, vcc_lo, v5
	v_and_b32_e32 v98, v98, v99
	v_and_b32_e32 v99, v97, v5
	v_lshlrev_b32_e32 v5, 24, v96
	v_cmp_gt_i64_e32 vcc, 0, v[4:5]
	v_not_b32_e32 v5, v5
	v_ashrrev_i32_e32 v5, 31, v5
	v_xor_b32_e32 v96, vcc_hi, v5
	v_xor_b32_e32 v5, vcc_lo, v5
	v_and_b32_e32 v97, v98, v96
	v_and_b32_e32 v96, v99, v5
	v_mbcnt_lo_u32_b32 v5, v96, 0
	v_mbcnt_hi_u32_b32 v194, v97, v5
	v_cmp_eq_u32_e32 vcc, 0, v194
	v_cmp_ne_u64_e64 s[36:37], 0, v[96:97]
	s_and_b64 s[38:39], s[36:37], vcc
	; wave barrier
	s_and_saveexec_b64 s[36:37], s[38:39]
	s_cbranch_execz .LBB1148_147
; %bb.146:                              ;   in Loop: Header=BB1148_103 Depth=2
	v_bcnt_u32_b32 v5, v96, 0
	v_bcnt_u32_b32 v5, v97, v5
	s_waitcnt lgkmcnt(0)
	v_add_u32_e32 v5, v192, v5
	ds_write_b32 v193, v5
.LBB1148_147:                           ;   in Loop: Header=BB1148_103 Depth=2
	s_or_b64 exec, exec, s[36:37]
	s_waitcnt vmcnt(10)
	v_cmp_gt_i64_e32 vcc, 0, v[82:83]
	v_ashrrev_i32_e32 v96, 31, v83
	v_cndmask_b32_e64 v5, v133, 0, vcc
	v_not_b32_e32 v96, v96
	v_xor_b32_e32 v83, v5, v83
	v_xor_b32_e32 v82, v96, v82
	v_cmp_ne_u64_e32 vcc, s[90:91], v[82:83]
	v_cndmask_b32_e32 v97, v133, v83, vcc
	v_cndmask_b32_e32 v96, -1, v82, vcc
	v_lshrrev_b64 v[96:97], s69, v[96:97]
	v_and_b32_e32 v96, s95, v96
	v_mul_u32_u24_e32 v5, 5, v96
	v_add_lshl_u32 v5, v5, v178, 2
	; wave barrier
	v_add_u32_e32 v196, 0x410, v5
	ds_read_b32 v195, v5 offset:1040
	v_and_b32_e32 v5, 1, v96
	v_add_co_u32_e32 v97, vcc, -1, v5
	v_addc_co_u32_e64 v98, s[36:37], 0, -1, vcc
	v_cmp_ne_u32_e32 vcc, 0, v5
	v_xor_b32_e32 v5, vcc_hi, v98
	v_and_b32_e32 v98, exec_hi, v5
	v_lshlrev_b32_e32 v5, 30, v96
	v_xor_b32_e32 v97, vcc_lo, v97
	v_cmp_gt_i64_e32 vcc, 0, v[4:5]
	v_not_b32_e32 v5, v5
	v_ashrrev_i32_e32 v5, 31, v5
	v_and_b32_e32 v97, exec_lo, v97
	v_xor_b32_e32 v99, vcc_hi, v5
	v_xor_b32_e32 v5, vcc_lo, v5
	v_and_b32_e32 v97, v97, v5
	v_lshlrev_b32_e32 v5, 29, v96
	v_cmp_gt_i64_e32 vcc, 0, v[4:5]
	v_not_b32_e32 v5, v5
	v_ashrrev_i32_e32 v5, 31, v5
	v_and_b32_e32 v98, v98, v99
	v_xor_b32_e32 v99, vcc_hi, v5
	v_xor_b32_e32 v5, vcc_lo, v5
	v_and_b32_e32 v97, v97, v5
	v_lshlrev_b32_e32 v5, 28, v96
	v_cmp_gt_i64_e32 vcc, 0, v[4:5]
	v_not_b32_e32 v5, v5
	v_ashrrev_i32_e32 v5, 31, v5
	v_and_b32_e32 v98, v98, v99
	;; [unrolled: 8-line block ×5, first 2 shown]
	v_xor_b32_e32 v99, vcc_hi, v5
	v_xor_b32_e32 v5, vcc_lo, v5
	v_and_b32_e32 v98, v98, v99
	v_and_b32_e32 v99, v97, v5
	v_lshlrev_b32_e32 v5, 24, v96
	v_cmp_gt_i64_e32 vcc, 0, v[4:5]
	v_not_b32_e32 v5, v5
	v_ashrrev_i32_e32 v5, 31, v5
	v_xor_b32_e32 v96, vcc_hi, v5
	v_xor_b32_e32 v5, vcc_lo, v5
	v_and_b32_e32 v97, v98, v96
	v_and_b32_e32 v96, v99, v5
	v_mbcnt_lo_u32_b32 v5, v96, 0
	v_mbcnt_hi_u32_b32 v197, v97, v5
	v_cmp_eq_u32_e32 vcc, 0, v197
	v_cmp_ne_u64_e64 s[36:37], 0, v[96:97]
	s_and_b64 s[38:39], s[36:37], vcc
	; wave barrier
	s_and_saveexec_b64 s[36:37], s[38:39]
	s_cbranch_execz .LBB1148_149
; %bb.148:                              ;   in Loop: Header=BB1148_103 Depth=2
	v_bcnt_u32_b32 v5, v96, 0
	v_bcnt_u32_b32 v5, v97, v5
	s_waitcnt lgkmcnt(0)
	v_add_u32_e32 v5, v195, v5
	ds_write_b32 v196, v5
.LBB1148_149:                           ;   in Loop: Header=BB1148_103 Depth=2
	s_or_b64 exec, exec, s[36:37]
	s_waitcnt vmcnt(9)
	v_cmp_gt_i64_e32 vcc, 0, v[86:87]
	v_ashrrev_i32_e32 v96, 31, v87
	v_cndmask_b32_e64 v5, v133, 0, vcc
	v_not_b32_e32 v96, v96
	v_xor_b32_e32 v87, v5, v87
	v_xor_b32_e32 v86, v96, v86
	v_cmp_ne_u64_e32 vcc, s[90:91], v[86:87]
	v_cndmask_b32_e32 v97, v133, v87, vcc
	v_cndmask_b32_e32 v96, -1, v86, vcc
	v_lshrrev_b64 v[96:97], s69, v[96:97]
	v_and_b32_e32 v96, s95, v96
	v_mul_u32_u24_e32 v5, 5, v96
	v_add_lshl_u32 v5, v5, v178, 2
	; wave barrier
	v_add_u32_e32 v199, 0x410, v5
	ds_read_b32 v198, v5 offset:1040
	v_and_b32_e32 v5, 1, v96
	v_add_co_u32_e32 v97, vcc, -1, v5
	v_addc_co_u32_e64 v98, s[36:37], 0, -1, vcc
	v_cmp_ne_u32_e32 vcc, 0, v5
	v_xor_b32_e32 v5, vcc_hi, v98
	v_and_b32_e32 v98, exec_hi, v5
	v_lshlrev_b32_e32 v5, 30, v96
	v_xor_b32_e32 v97, vcc_lo, v97
	v_cmp_gt_i64_e32 vcc, 0, v[4:5]
	v_not_b32_e32 v5, v5
	v_ashrrev_i32_e32 v5, 31, v5
	v_and_b32_e32 v97, exec_lo, v97
	v_xor_b32_e32 v99, vcc_hi, v5
	v_xor_b32_e32 v5, vcc_lo, v5
	v_and_b32_e32 v97, v97, v5
	v_lshlrev_b32_e32 v5, 29, v96
	v_cmp_gt_i64_e32 vcc, 0, v[4:5]
	v_not_b32_e32 v5, v5
	v_ashrrev_i32_e32 v5, 31, v5
	v_and_b32_e32 v98, v98, v99
	v_xor_b32_e32 v99, vcc_hi, v5
	v_xor_b32_e32 v5, vcc_lo, v5
	v_and_b32_e32 v97, v97, v5
	v_lshlrev_b32_e32 v5, 28, v96
	v_cmp_gt_i64_e32 vcc, 0, v[4:5]
	v_not_b32_e32 v5, v5
	v_ashrrev_i32_e32 v5, 31, v5
	v_and_b32_e32 v98, v98, v99
	;; [unrolled: 8-line block ×5, first 2 shown]
	v_xor_b32_e32 v99, vcc_hi, v5
	v_xor_b32_e32 v5, vcc_lo, v5
	v_and_b32_e32 v98, v98, v99
	v_and_b32_e32 v99, v97, v5
	v_lshlrev_b32_e32 v5, 24, v96
	v_cmp_gt_i64_e32 vcc, 0, v[4:5]
	v_not_b32_e32 v5, v5
	v_ashrrev_i32_e32 v5, 31, v5
	v_xor_b32_e32 v96, vcc_hi, v5
	v_xor_b32_e32 v5, vcc_lo, v5
	v_and_b32_e32 v97, v98, v96
	v_and_b32_e32 v96, v99, v5
	v_mbcnt_lo_u32_b32 v5, v96, 0
	v_mbcnt_hi_u32_b32 v200, v97, v5
	v_cmp_eq_u32_e32 vcc, 0, v200
	v_cmp_ne_u64_e64 s[36:37], 0, v[96:97]
	s_and_b64 s[38:39], s[36:37], vcc
	; wave barrier
	s_and_saveexec_b64 s[36:37], s[38:39]
	s_cbranch_execz .LBB1148_151
; %bb.150:                              ;   in Loop: Header=BB1148_103 Depth=2
	v_bcnt_u32_b32 v5, v96, 0
	v_bcnt_u32_b32 v5, v97, v5
	s_waitcnt lgkmcnt(0)
	v_add_u32_e32 v5, v198, v5
	ds_write_b32 v199, v5
.LBB1148_151:                           ;   in Loop: Header=BB1148_103 Depth=2
	s_or_b64 exec, exec, s[36:37]
	s_waitcnt vmcnt(8)
	v_cmp_gt_i64_e32 vcc, 0, v[90:91]
	v_ashrrev_i32_e32 v96, 31, v91
	v_cndmask_b32_e64 v5, v133, 0, vcc
	v_not_b32_e32 v96, v96
	v_xor_b32_e32 v91, v5, v91
	v_xor_b32_e32 v90, v96, v90
	v_cmp_ne_u64_e32 vcc, s[90:91], v[90:91]
	v_cndmask_b32_e32 v97, v133, v91, vcc
	v_cndmask_b32_e32 v96, -1, v90, vcc
	v_lshrrev_b64 v[96:97], s69, v[96:97]
	v_and_b32_e32 v96, s95, v96
	v_mul_u32_u24_e32 v5, 5, v96
	v_add_lshl_u32 v5, v5, v178, 2
	; wave barrier
	v_add_u32_e32 v202, 0x410, v5
	ds_read_b32 v201, v5 offset:1040
	v_and_b32_e32 v5, 1, v96
	v_add_co_u32_e32 v97, vcc, -1, v5
	v_addc_co_u32_e64 v98, s[36:37], 0, -1, vcc
	v_cmp_ne_u32_e32 vcc, 0, v5
	v_xor_b32_e32 v5, vcc_hi, v98
	v_and_b32_e32 v98, exec_hi, v5
	v_lshlrev_b32_e32 v5, 30, v96
	v_xor_b32_e32 v97, vcc_lo, v97
	v_cmp_gt_i64_e32 vcc, 0, v[4:5]
	v_not_b32_e32 v5, v5
	v_ashrrev_i32_e32 v5, 31, v5
	v_and_b32_e32 v97, exec_lo, v97
	v_xor_b32_e32 v99, vcc_hi, v5
	v_xor_b32_e32 v5, vcc_lo, v5
	v_and_b32_e32 v97, v97, v5
	v_lshlrev_b32_e32 v5, 29, v96
	v_cmp_gt_i64_e32 vcc, 0, v[4:5]
	v_not_b32_e32 v5, v5
	v_ashrrev_i32_e32 v5, 31, v5
	v_and_b32_e32 v98, v98, v99
	v_xor_b32_e32 v99, vcc_hi, v5
	v_xor_b32_e32 v5, vcc_lo, v5
	v_and_b32_e32 v97, v97, v5
	v_lshlrev_b32_e32 v5, 28, v96
	v_cmp_gt_i64_e32 vcc, 0, v[4:5]
	v_not_b32_e32 v5, v5
	v_ashrrev_i32_e32 v5, 31, v5
	v_and_b32_e32 v98, v98, v99
	;; [unrolled: 8-line block ×5, first 2 shown]
	v_xor_b32_e32 v99, vcc_hi, v5
	v_xor_b32_e32 v5, vcc_lo, v5
	v_and_b32_e32 v98, v98, v99
	v_and_b32_e32 v99, v97, v5
	v_lshlrev_b32_e32 v5, 24, v96
	v_cmp_gt_i64_e32 vcc, 0, v[4:5]
	v_not_b32_e32 v5, v5
	v_ashrrev_i32_e32 v5, 31, v5
	v_xor_b32_e32 v96, vcc_hi, v5
	v_xor_b32_e32 v5, vcc_lo, v5
	v_and_b32_e32 v97, v98, v96
	v_and_b32_e32 v96, v99, v5
	v_mbcnt_lo_u32_b32 v5, v96, 0
	v_mbcnt_hi_u32_b32 v203, v97, v5
	v_cmp_eq_u32_e32 vcc, 0, v203
	v_cmp_ne_u64_e64 s[36:37], 0, v[96:97]
	s_and_b64 s[38:39], s[36:37], vcc
	; wave barrier
	s_and_saveexec_b64 s[36:37], s[38:39]
	s_cbranch_execz .LBB1148_153
; %bb.152:                              ;   in Loop: Header=BB1148_103 Depth=2
	v_bcnt_u32_b32 v5, v96, 0
	v_bcnt_u32_b32 v5, v97, v5
	s_waitcnt lgkmcnt(0)
	v_add_u32_e32 v5, v201, v5
	ds_write_b32 v202, v5
.LBB1148_153:                           ;   in Loop: Header=BB1148_103 Depth=2
	s_or_b64 exec, exec, s[36:37]
	s_waitcnt vmcnt(7)
	v_cmp_gt_i64_e32 vcc, 0, v[94:95]
	v_ashrrev_i32_e32 v96, 31, v95
	v_cndmask_b32_e64 v5, v133, 0, vcc
	v_not_b32_e32 v96, v96
	v_xor_b32_e32 v95, v5, v95
	v_xor_b32_e32 v94, v96, v94
	v_cmp_ne_u64_e32 vcc, s[90:91], v[94:95]
	v_cndmask_b32_e32 v97, v133, v95, vcc
	v_cndmask_b32_e32 v96, -1, v94, vcc
	v_lshrrev_b64 v[96:97], s69, v[96:97]
	v_and_b32_e32 v96, s95, v96
	v_mul_u32_u24_e32 v5, 5, v96
	v_add_lshl_u32 v5, v5, v178, 2
	; wave barrier
	v_add_u32_e32 v205, 0x410, v5
	ds_read_b32 v204, v5 offset:1040
	v_and_b32_e32 v5, 1, v96
	v_add_co_u32_e32 v97, vcc, -1, v5
	v_addc_co_u32_e64 v98, s[36:37], 0, -1, vcc
	v_cmp_ne_u32_e32 vcc, 0, v5
	v_xor_b32_e32 v5, vcc_hi, v98
	v_and_b32_e32 v98, exec_hi, v5
	v_lshlrev_b32_e32 v5, 30, v96
	v_xor_b32_e32 v97, vcc_lo, v97
	v_cmp_gt_i64_e32 vcc, 0, v[4:5]
	v_not_b32_e32 v5, v5
	v_ashrrev_i32_e32 v5, 31, v5
	v_and_b32_e32 v97, exec_lo, v97
	v_xor_b32_e32 v99, vcc_hi, v5
	v_xor_b32_e32 v5, vcc_lo, v5
	v_and_b32_e32 v97, v97, v5
	v_lshlrev_b32_e32 v5, 29, v96
	v_cmp_gt_i64_e32 vcc, 0, v[4:5]
	v_not_b32_e32 v5, v5
	v_ashrrev_i32_e32 v5, 31, v5
	v_and_b32_e32 v98, v98, v99
	v_xor_b32_e32 v99, vcc_hi, v5
	v_xor_b32_e32 v5, vcc_lo, v5
	v_and_b32_e32 v97, v97, v5
	v_lshlrev_b32_e32 v5, 28, v96
	v_cmp_gt_i64_e32 vcc, 0, v[4:5]
	v_not_b32_e32 v5, v5
	v_ashrrev_i32_e32 v5, 31, v5
	v_and_b32_e32 v98, v98, v99
	;; [unrolled: 8-line block ×5, first 2 shown]
	v_xor_b32_e32 v99, vcc_hi, v5
	v_xor_b32_e32 v5, vcc_lo, v5
	v_and_b32_e32 v98, v98, v99
	v_and_b32_e32 v99, v97, v5
	v_lshlrev_b32_e32 v5, 24, v96
	v_cmp_gt_i64_e32 vcc, 0, v[4:5]
	v_not_b32_e32 v5, v5
	v_ashrrev_i32_e32 v5, 31, v5
	v_xor_b32_e32 v96, vcc_hi, v5
	v_xor_b32_e32 v5, vcc_lo, v5
	v_and_b32_e32 v97, v98, v96
	v_and_b32_e32 v96, v99, v5
	v_mbcnt_lo_u32_b32 v5, v96, 0
	v_mbcnt_hi_u32_b32 v206, v97, v5
	v_cmp_eq_u32_e32 vcc, 0, v206
	v_cmp_ne_u64_e64 s[36:37], 0, v[96:97]
	s_and_b64 s[38:39], s[36:37], vcc
	; wave barrier
	s_and_saveexec_b64 s[36:37], s[38:39]
	s_cbranch_execz .LBB1148_155
; %bb.154:                              ;   in Loop: Header=BB1148_103 Depth=2
	v_bcnt_u32_b32 v5, v96, 0
	v_bcnt_u32_b32 v5, v97, v5
	s_waitcnt lgkmcnt(0)
	v_add_u32_e32 v5, v204, v5
	ds_write_b32 v205, v5
.LBB1148_155:                           ;   in Loop: Header=BB1148_103 Depth=2
	s_or_b64 exec, exec, s[36:37]
	s_waitcnt vmcnt(6)
	v_cmp_gt_i64_e32 vcc, 0, v[92:93]
	v_ashrrev_i32_e32 v96, 31, v93
	v_cndmask_b32_e64 v5, v133, 0, vcc
	v_not_b32_e32 v96, v96
	v_xor_b32_e32 v93, v5, v93
	v_xor_b32_e32 v92, v96, v92
	v_cmp_ne_u64_e32 vcc, s[90:91], v[92:93]
	v_cndmask_b32_e32 v97, v133, v93, vcc
	v_cndmask_b32_e32 v96, -1, v92, vcc
	v_lshrrev_b64 v[96:97], s69, v[96:97]
	v_and_b32_e32 v96, s95, v96
	v_mul_u32_u24_e32 v5, 5, v96
	v_add_lshl_u32 v5, v5, v178, 2
	; wave barrier
	v_add_u32_e32 v208, 0x410, v5
	ds_read_b32 v207, v5 offset:1040
	v_and_b32_e32 v5, 1, v96
	v_add_co_u32_e32 v97, vcc, -1, v5
	v_addc_co_u32_e64 v98, s[36:37], 0, -1, vcc
	v_cmp_ne_u32_e32 vcc, 0, v5
	v_xor_b32_e32 v5, vcc_hi, v98
	v_and_b32_e32 v98, exec_hi, v5
	v_lshlrev_b32_e32 v5, 30, v96
	v_xor_b32_e32 v97, vcc_lo, v97
	v_cmp_gt_i64_e32 vcc, 0, v[4:5]
	v_not_b32_e32 v5, v5
	v_ashrrev_i32_e32 v5, 31, v5
	v_and_b32_e32 v97, exec_lo, v97
	v_xor_b32_e32 v99, vcc_hi, v5
	v_xor_b32_e32 v5, vcc_lo, v5
	v_and_b32_e32 v97, v97, v5
	v_lshlrev_b32_e32 v5, 29, v96
	v_cmp_gt_i64_e32 vcc, 0, v[4:5]
	v_not_b32_e32 v5, v5
	v_ashrrev_i32_e32 v5, 31, v5
	v_and_b32_e32 v98, v98, v99
	v_xor_b32_e32 v99, vcc_hi, v5
	v_xor_b32_e32 v5, vcc_lo, v5
	v_and_b32_e32 v97, v97, v5
	v_lshlrev_b32_e32 v5, 28, v96
	v_cmp_gt_i64_e32 vcc, 0, v[4:5]
	v_not_b32_e32 v5, v5
	v_ashrrev_i32_e32 v5, 31, v5
	v_and_b32_e32 v98, v98, v99
	v_xor_b32_e32 v99, vcc_hi, v5
	v_xor_b32_e32 v5, vcc_lo, v5
	v_and_b32_e32 v97, v97, v5
	v_lshlrev_b32_e32 v5, 27, v96
	v_cmp_gt_i64_e32 vcc, 0, v[4:5]
	v_not_b32_e32 v5, v5
	v_ashrrev_i32_e32 v5, 31, v5
	v_and_b32_e32 v98, v98, v99
	v_xor_b32_e32 v99, vcc_hi, v5
	v_xor_b32_e32 v5, vcc_lo, v5
	v_and_b32_e32 v97, v97, v5
	v_lshlrev_b32_e32 v5, 26, v96
	v_cmp_gt_i64_e32 vcc, 0, v[4:5]
	v_not_b32_e32 v5, v5
	v_ashrrev_i32_e32 v5, 31, v5
	v_and_b32_e32 v98, v98, v99
	v_xor_b32_e32 v99, vcc_hi, v5
	v_xor_b32_e32 v5, vcc_lo, v5
	v_and_b32_e32 v97, v97, v5
	v_lshlrev_b32_e32 v5, 25, v96
	v_cmp_gt_i64_e32 vcc, 0, v[4:5]
	v_not_b32_e32 v5, v5
	v_ashrrev_i32_e32 v5, 31, v5
	v_and_b32_e32 v98, v98, v99
	v_xor_b32_e32 v99, vcc_hi, v5
	v_xor_b32_e32 v5, vcc_lo, v5
	v_and_b32_e32 v98, v98, v99
	v_and_b32_e32 v99, v97, v5
	v_lshlrev_b32_e32 v5, 24, v96
	v_cmp_gt_i64_e32 vcc, 0, v[4:5]
	v_not_b32_e32 v5, v5
	v_ashrrev_i32_e32 v5, 31, v5
	v_xor_b32_e32 v96, vcc_hi, v5
	v_xor_b32_e32 v5, vcc_lo, v5
	v_and_b32_e32 v97, v98, v96
	v_and_b32_e32 v96, v99, v5
	v_mbcnt_lo_u32_b32 v5, v96, 0
	v_mbcnt_hi_u32_b32 v209, v97, v5
	v_cmp_eq_u32_e32 vcc, 0, v209
	v_cmp_ne_u64_e64 s[36:37], 0, v[96:97]
	s_and_b64 s[38:39], s[36:37], vcc
	; wave barrier
	s_and_saveexec_b64 s[36:37], s[38:39]
	s_cbranch_execz .LBB1148_157
; %bb.156:                              ;   in Loop: Header=BB1148_103 Depth=2
	v_bcnt_u32_b32 v5, v96, 0
	v_bcnt_u32_b32 v5, v97, v5
	s_waitcnt lgkmcnt(0)
	v_add_u32_e32 v5, v207, v5
	ds_write_b32 v208, v5
.LBB1148_157:                           ;   in Loop: Header=BB1148_103 Depth=2
	s_or_b64 exec, exec, s[36:37]
	s_waitcnt vmcnt(5)
	v_cmp_gt_i64_e32 vcc, 0, v[88:89]
	v_ashrrev_i32_e32 v96, 31, v89
	v_cndmask_b32_e64 v5, v133, 0, vcc
	v_not_b32_e32 v96, v96
	v_xor_b32_e32 v89, v5, v89
	v_xor_b32_e32 v88, v96, v88
	v_cmp_ne_u64_e32 vcc, s[90:91], v[88:89]
	v_cndmask_b32_e32 v97, v133, v89, vcc
	v_cndmask_b32_e32 v96, -1, v88, vcc
	v_lshrrev_b64 v[96:97], s69, v[96:97]
	v_and_b32_e32 v96, s95, v96
	v_mul_u32_u24_e32 v5, 5, v96
	v_add_lshl_u32 v5, v5, v178, 2
	; wave barrier
	v_add_u32_e32 v211, 0x410, v5
	ds_read_b32 v210, v5 offset:1040
	v_and_b32_e32 v5, 1, v96
	v_add_co_u32_e32 v97, vcc, -1, v5
	v_addc_co_u32_e64 v98, s[36:37], 0, -1, vcc
	v_cmp_ne_u32_e32 vcc, 0, v5
	v_xor_b32_e32 v5, vcc_hi, v98
	v_and_b32_e32 v98, exec_hi, v5
	v_lshlrev_b32_e32 v5, 30, v96
	v_xor_b32_e32 v97, vcc_lo, v97
	v_cmp_gt_i64_e32 vcc, 0, v[4:5]
	v_not_b32_e32 v5, v5
	v_ashrrev_i32_e32 v5, 31, v5
	v_and_b32_e32 v97, exec_lo, v97
	v_xor_b32_e32 v99, vcc_hi, v5
	v_xor_b32_e32 v5, vcc_lo, v5
	v_and_b32_e32 v97, v97, v5
	v_lshlrev_b32_e32 v5, 29, v96
	v_cmp_gt_i64_e32 vcc, 0, v[4:5]
	v_not_b32_e32 v5, v5
	v_ashrrev_i32_e32 v5, 31, v5
	v_and_b32_e32 v98, v98, v99
	v_xor_b32_e32 v99, vcc_hi, v5
	v_xor_b32_e32 v5, vcc_lo, v5
	v_and_b32_e32 v97, v97, v5
	v_lshlrev_b32_e32 v5, 28, v96
	v_cmp_gt_i64_e32 vcc, 0, v[4:5]
	v_not_b32_e32 v5, v5
	v_ashrrev_i32_e32 v5, 31, v5
	v_and_b32_e32 v98, v98, v99
	;; [unrolled: 8-line block ×5, first 2 shown]
	v_xor_b32_e32 v99, vcc_hi, v5
	v_xor_b32_e32 v5, vcc_lo, v5
	v_and_b32_e32 v98, v98, v99
	v_and_b32_e32 v99, v97, v5
	v_lshlrev_b32_e32 v5, 24, v96
	v_cmp_gt_i64_e32 vcc, 0, v[4:5]
	v_not_b32_e32 v5, v5
	v_ashrrev_i32_e32 v5, 31, v5
	v_xor_b32_e32 v96, vcc_hi, v5
	v_xor_b32_e32 v5, vcc_lo, v5
	v_and_b32_e32 v97, v98, v96
	v_and_b32_e32 v96, v99, v5
	v_mbcnt_lo_u32_b32 v5, v96, 0
	v_mbcnt_hi_u32_b32 v212, v97, v5
	v_cmp_eq_u32_e32 vcc, 0, v212
	v_cmp_ne_u64_e64 s[36:37], 0, v[96:97]
	s_and_b64 s[38:39], s[36:37], vcc
	; wave barrier
	s_and_saveexec_b64 s[36:37], s[38:39]
	s_cbranch_execz .LBB1148_159
; %bb.158:                              ;   in Loop: Header=BB1148_103 Depth=2
	v_bcnt_u32_b32 v5, v96, 0
	v_bcnt_u32_b32 v5, v97, v5
	s_waitcnt lgkmcnt(0)
	v_add_u32_e32 v5, v210, v5
	ds_write_b32 v211, v5
.LBB1148_159:                           ;   in Loop: Header=BB1148_103 Depth=2
	s_or_b64 exec, exec, s[36:37]
	s_waitcnt vmcnt(4)
	v_cmp_gt_i64_e32 vcc, 0, v[84:85]
	v_ashrrev_i32_e32 v96, 31, v85
	v_cndmask_b32_e64 v5, v133, 0, vcc
	v_not_b32_e32 v96, v96
	v_xor_b32_e32 v85, v5, v85
	v_xor_b32_e32 v84, v96, v84
	v_cmp_ne_u64_e32 vcc, s[90:91], v[84:85]
	v_cndmask_b32_e32 v97, v133, v85, vcc
	v_cndmask_b32_e32 v96, -1, v84, vcc
	v_lshrrev_b64 v[96:97], s69, v[96:97]
	v_and_b32_e32 v96, s95, v96
	v_mul_u32_u24_e32 v5, 5, v96
	v_add_lshl_u32 v5, v5, v178, 2
	; wave barrier
	v_add_u32_e32 v214, 0x410, v5
	ds_read_b32 v213, v5 offset:1040
	v_and_b32_e32 v5, 1, v96
	v_add_co_u32_e32 v97, vcc, -1, v5
	v_addc_co_u32_e64 v98, s[36:37], 0, -1, vcc
	v_cmp_ne_u32_e32 vcc, 0, v5
	v_xor_b32_e32 v5, vcc_hi, v98
	v_and_b32_e32 v98, exec_hi, v5
	v_lshlrev_b32_e32 v5, 30, v96
	v_xor_b32_e32 v97, vcc_lo, v97
	v_cmp_gt_i64_e32 vcc, 0, v[4:5]
	v_not_b32_e32 v5, v5
	v_ashrrev_i32_e32 v5, 31, v5
	v_and_b32_e32 v97, exec_lo, v97
	v_xor_b32_e32 v99, vcc_hi, v5
	v_xor_b32_e32 v5, vcc_lo, v5
	v_and_b32_e32 v97, v97, v5
	v_lshlrev_b32_e32 v5, 29, v96
	v_cmp_gt_i64_e32 vcc, 0, v[4:5]
	v_not_b32_e32 v5, v5
	v_ashrrev_i32_e32 v5, 31, v5
	v_and_b32_e32 v98, v98, v99
	v_xor_b32_e32 v99, vcc_hi, v5
	v_xor_b32_e32 v5, vcc_lo, v5
	v_and_b32_e32 v97, v97, v5
	v_lshlrev_b32_e32 v5, 28, v96
	v_cmp_gt_i64_e32 vcc, 0, v[4:5]
	v_not_b32_e32 v5, v5
	v_ashrrev_i32_e32 v5, 31, v5
	v_and_b32_e32 v98, v98, v99
	;; [unrolled: 8-line block ×5, first 2 shown]
	v_xor_b32_e32 v99, vcc_hi, v5
	v_xor_b32_e32 v5, vcc_lo, v5
	v_and_b32_e32 v98, v98, v99
	v_and_b32_e32 v99, v97, v5
	v_lshlrev_b32_e32 v5, 24, v96
	v_cmp_gt_i64_e32 vcc, 0, v[4:5]
	v_not_b32_e32 v5, v5
	v_ashrrev_i32_e32 v5, 31, v5
	v_xor_b32_e32 v96, vcc_hi, v5
	v_xor_b32_e32 v5, vcc_lo, v5
	v_and_b32_e32 v97, v98, v96
	v_and_b32_e32 v96, v99, v5
	v_mbcnt_lo_u32_b32 v5, v96, 0
	v_mbcnt_hi_u32_b32 v215, v97, v5
	v_cmp_eq_u32_e32 vcc, 0, v215
	v_cmp_ne_u64_e64 s[36:37], 0, v[96:97]
	s_and_b64 s[38:39], s[36:37], vcc
	; wave barrier
	s_and_saveexec_b64 s[36:37], s[38:39]
	s_cbranch_execz .LBB1148_161
; %bb.160:                              ;   in Loop: Header=BB1148_103 Depth=2
	v_bcnt_u32_b32 v5, v96, 0
	v_bcnt_u32_b32 v5, v97, v5
	s_waitcnt lgkmcnt(0)
	v_add_u32_e32 v5, v213, v5
	ds_write_b32 v214, v5
.LBB1148_161:                           ;   in Loop: Header=BB1148_103 Depth=2
	s_or_b64 exec, exec, s[36:37]
	s_waitcnt vmcnt(3)
	v_cmp_gt_i64_e32 vcc, 0, v[80:81]
	v_ashrrev_i32_e32 v96, 31, v81
	v_cndmask_b32_e64 v5, v133, 0, vcc
	v_not_b32_e32 v96, v96
	v_xor_b32_e32 v81, v5, v81
	v_xor_b32_e32 v80, v96, v80
	v_cmp_ne_u64_e32 vcc, s[90:91], v[80:81]
	v_cndmask_b32_e32 v97, v133, v81, vcc
	v_cndmask_b32_e32 v96, -1, v80, vcc
	v_lshrrev_b64 v[96:97], s69, v[96:97]
	v_and_b32_e32 v96, s95, v96
	v_mul_u32_u24_e32 v5, 5, v96
	v_add_lshl_u32 v5, v5, v178, 2
	; wave barrier
	v_add_u32_e32 v217, 0x410, v5
	ds_read_b32 v216, v5 offset:1040
	v_and_b32_e32 v5, 1, v96
	v_add_co_u32_e32 v97, vcc, -1, v5
	v_addc_co_u32_e64 v98, s[36:37], 0, -1, vcc
	v_cmp_ne_u32_e32 vcc, 0, v5
	v_xor_b32_e32 v5, vcc_hi, v98
	v_and_b32_e32 v98, exec_hi, v5
	v_lshlrev_b32_e32 v5, 30, v96
	v_xor_b32_e32 v97, vcc_lo, v97
	v_cmp_gt_i64_e32 vcc, 0, v[4:5]
	v_not_b32_e32 v5, v5
	v_ashrrev_i32_e32 v5, 31, v5
	v_and_b32_e32 v97, exec_lo, v97
	v_xor_b32_e32 v99, vcc_hi, v5
	v_xor_b32_e32 v5, vcc_lo, v5
	v_and_b32_e32 v97, v97, v5
	v_lshlrev_b32_e32 v5, 29, v96
	v_cmp_gt_i64_e32 vcc, 0, v[4:5]
	v_not_b32_e32 v5, v5
	v_ashrrev_i32_e32 v5, 31, v5
	v_and_b32_e32 v98, v98, v99
	v_xor_b32_e32 v99, vcc_hi, v5
	v_xor_b32_e32 v5, vcc_lo, v5
	v_and_b32_e32 v97, v97, v5
	v_lshlrev_b32_e32 v5, 28, v96
	v_cmp_gt_i64_e32 vcc, 0, v[4:5]
	v_not_b32_e32 v5, v5
	v_ashrrev_i32_e32 v5, 31, v5
	v_and_b32_e32 v98, v98, v99
	;; [unrolled: 8-line block ×5, first 2 shown]
	v_xor_b32_e32 v99, vcc_hi, v5
	v_xor_b32_e32 v5, vcc_lo, v5
	v_and_b32_e32 v98, v98, v99
	v_and_b32_e32 v99, v97, v5
	v_lshlrev_b32_e32 v5, 24, v96
	v_cmp_gt_i64_e32 vcc, 0, v[4:5]
	v_not_b32_e32 v5, v5
	v_ashrrev_i32_e32 v5, 31, v5
	v_xor_b32_e32 v96, vcc_hi, v5
	v_xor_b32_e32 v5, vcc_lo, v5
	v_and_b32_e32 v97, v98, v96
	v_and_b32_e32 v96, v99, v5
	v_mbcnt_lo_u32_b32 v5, v96, 0
	v_mbcnt_hi_u32_b32 v218, v97, v5
	v_cmp_eq_u32_e32 vcc, 0, v218
	v_cmp_ne_u64_e64 s[36:37], 0, v[96:97]
	s_and_b64 s[38:39], s[36:37], vcc
	; wave barrier
	s_and_saveexec_b64 s[36:37], s[38:39]
	s_cbranch_execz .LBB1148_163
; %bb.162:                              ;   in Loop: Header=BB1148_103 Depth=2
	v_bcnt_u32_b32 v5, v96, 0
	v_bcnt_u32_b32 v5, v97, v5
	s_waitcnt lgkmcnt(0)
	v_add_u32_e32 v5, v216, v5
	ds_write_b32 v217, v5
.LBB1148_163:                           ;   in Loop: Header=BB1148_103 Depth=2
	s_or_b64 exec, exec, s[36:37]
	s_waitcnt vmcnt(2)
	v_cmp_gt_i64_e32 vcc, 0, v[76:77]
	v_ashrrev_i32_e32 v96, 31, v77
	v_cndmask_b32_e64 v5, v133, 0, vcc
	v_not_b32_e32 v96, v96
	v_xor_b32_e32 v77, v5, v77
	v_xor_b32_e32 v76, v96, v76
	v_cmp_ne_u64_e32 vcc, s[90:91], v[76:77]
	v_cndmask_b32_e32 v97, v133, v77, vcc
	v_cndmask_b32_e32 v96, -1, v76, vcc
	v_lshrrev_b64 v[96:97], s69, v[96:97]
	v_and_b32_e32 v96, s95, v96
	v_mul_u32_u24_e32 v5, 5, v96
	v_add_lshl_u32 v5, v5, v178, 2
	; wave barrier
	v_add_u32_e32 v220, 0x410, v5
	ds_read_b32 v219, v5 offset:1040
	v_and_b32_e32 v5, 1, v96
	v_add_co_u32_e32 v97, vcc, -1, v5
	v_addc_co_u32_e64 v98, s[36:37], 0, -1, vcc
	v_cmp_ne_u32_e32 vcc, 0, v5
	v_xor_b32_e32 v5, vcc_hi, v98
	v_and_b32_e32 v98, exec_hi, v5
	v_lshlrev_b32_e32 v5, 30, v96
	v_xor_b32_e32 v97, vcc_lo, v97
	v_cmp_gt_i64_e32 vcc, 0, v[4:5]
	v_not_b32_e32 v5, v5
	v_ashrrev_i32_e32 v5, 31, v5
	v_and_b32_e32 v97, exec_lo, v97
	v_xor_b32_e32 v99, vcc_hi, v5
	v_xor_b32_e32 v5, vcc_lo, v5
	v_and_b32_e32 v97, v97, v5
	v_lshlrev_b32_e32 v5, 29, v96
	v_cmp_gt_i64_e32 vcc, 0, v[4:5]
	v_not_b32_e32 v5, v5
	v_ashrrev_i32_e32 v5, 31, v5
	v_and_b32_e32 v98, v98, v99
	v_xor_b32_e32 v99, vcc_hi, v5
	v_xor_b32_e32 v5, vcc_lo, v5
	v_and_b32_e32 v97, v97, v5
	v_lshlrev_b32_e32 v5, 28, v96
	v_cmp_gt_i64_e32 vcc, 0, v[4:5]
	v_not_b32_e32 v5, v5
	v_ashrrev_i32_e32 v5, 31, v5
	v_and_b32_e32 v98, v98, v99
	;; [unrolled: 8-line block ×5, first 2 shown]
	v_xor_b32_e32 v99, vcc_hi, v5
	v_xor_b32_e32 v5, vcc_lo, v5
	v_and_b32_e32 v98, v98, v99
	v_and_b32_e32 v99, v97, v5
	v_lshlrev_b32_e32 v5, 24, v96
	v_cmp_gt_i64_e32 vcc, 0, v[4:5]
	v_not_b32_e32 v5, v5
	v_ashrrev_i32_e32 v5, 31, v5
	v_xor_b32_e32 v96, vcc_hi, v5
	v_xor_b32_e32 v5, vcc_lo, v5
	v_and_b32_e32 v97, v98, v96
	v_and_b32_e32 v96, v99, v5
	v_mbcnt_lo_u32_b32 v5, v96, 0
	v_mbcnt_hi_u32_b32 v221, v97, v5
	v_cmp_eq_u32_e32 vcc, 0, v221
	v_cmp_ne_u64_e64 s[36:37], 0, v[96:97]
	s_and_b64 s[38:39], s[36:37], vcc
	; wave barrier
	s_and_saveexec_b64 s[36:37], s[38:39]
	s_cbranch_execz .LBB1148_165
; %bb.164:                              ;   in Loop: Header=BB1148_103 Depth=2
	v_bcnt_u32_b32 v5, v96, 0
	v_bcnt_u32_b32 v5, v97, v5
	s_waitcnt lgkmcnt(0)
	v_add_u32_e32 v5, v219, v5
	ds_write_b32 v220, v5
.LBB1148_165:                           ;   in Loop: Header=BB1148_103 Depth=2
	s_or_b64 exec, exec, s[36:37]
	s_waitcnt vmcnt(1)
	v_cmp_gt_i64_e32 vcc, 0, v[72:73]
	v_ashrrev_i32_e32 v96, 31, v73
	v_cndmask_b32_e64 v5, v133, 0, vcc
	v_not_b32_e32 v96, v96
	v_xor_b32_e32 v73, v5, v73
	v_xor_b32_e32 v72, v96, v72
	v_cmp_ne_u64_e32 vcc, s[90:91], v[72:73]
	v_cndmask_b32_e32 v97, v133, v73, vcc
	v_cndmask_b32_e32 v96, -1, v72, vcc
	v_lshrrev_b64 v[96:97], s69, v[96:97]
	v_and_b32_e32 v96, s95, v96
	v_mul_u32_u24_e32 v5, 5, v96
	v_add_lshl_u32 v5, v5, v178, 2
	; wave barrier
	v_add_u32_e32 v223, 0x410, v5
	ds_read_b32 v222, v5 offset:1040
	v_and_b32_e32 v5, 1, v96
	v_add_co_u32_e32 v97, vcc, -1, v5
	v_addc_co_u32_e64 v98, s[36:37], 0, -1, vcc
	v_cmp_ne_u32_e32 vcc, 0, v5
	v_xor_b32_e32 v5, vcc_hi, v98
	v_and_b32_e32 v98, exec_hi, v5
	v_lshlrev_b32_e32 v5, 30, v96
	v_xor_b32_e32 v97, vcc_lo, v97
	v_cmp_gt_i64_e32 vcc, 0, v[4:5]
	v_not_b32_e32 v5, v5
	v_ashrrev_i32_e32 v5, 31, v5
	v_and_b32_e32 v97, exec_lo, v97
	v_xor_b32_e32 v99, vcc_hi, v5
	v_xor_b32_e32 v5, vcc_lo, v5
	v_and_b32_e32 v97, v97, v5
	v_lshlrev_b32_e32 v5, 29, v96
	v_cmp_gt_i64_e32 vcc, 0, v[4:5]
	v_not_b32_e32 v5, v5
	v_ashrrev_i32_e32 v5, 31, v5
	v_and_b32_e32 v98, v98, v99
	v_xor_b32_e32 v99, vcc_hi, v5
	v_xor_b32_e32 v5, vcc_lo, v5
	v_and_b32_e32 v97, v97, v5
	v_lshlrev_b32_e32 v5, 28, v96
	v_cmp_gt_i64_e32 vcc, 0, v[4:5]
	v_not_b32_e32 v5, v5
	v_ashrrev_i32_e32 v5, 31, v5
	v_and_b32_e32 v98, v98, v99
	;; [unrolled: 8-line block ×5, first 2 shown]
	v_xor_b32_e32 v99, vcc_hi, v5
	v_xor_b32_e32 v5, vcc_lo, v5
	v_and_b32_e32 v98, v98, v99
	v_and_b32_e32 v99, v97, v5
	v_lshlrev_b32_e32 v5, 24, v96
	v_cmp_gt_i64_e32 vcc, 0, v[4:5]
	v_not_b32_e32 v5, v5
	v_ashrrev_i32_e32 v5, 31, v5
	v_xor_b32_e32 v96, vcc_hi, v5
	v_xor_b32_e32 v5, vcc_lo, v5
	v_and_b32_e32 v97, v98, v96
	v_and_b32_e32 v96, v99, v5
	v_mbcnt_lo_u32_b32 v5, v96, 0
	v_mbcnt_hi_u32_b32 v224, v97, v5
	v_cmp_eq_u32_e32 vcc, 0, v224
	v_cmp_ne_u64_e64 s[36:37], 0, v[96:97]
	s_and_b64 s[38:39], s[36:37], vcc
	; wave barrier
	s_and_saveexec_b64 s[36:37], s[38:39]
	s_cbranch_execz .LBB1148_167
; %bb.166:                              ;   in Loop: Header=BB1148_103 Depth=2
	v_bcnt_u32_b32 v5, v96, 0
	v_bcnt_u32_b32 v5, v97, v5
	s_waitcnt lgkmcnt(0)
	v_add_u32_e32 v5, v222, v5
	ds_write_b32 v223, v5
.LBB1148_167:                           ;   in Loop: Header=BB1148_103 Depth=2
	s_or_b64 exec, exec, s[36:37]
	s_waitcnt vmcnt(0)
	v_cmp_gt_i64_e32 vcc, 0, v[68:69]
	v_ashrrev_i32_e32 v96, 31, v69
	v_cndmask_b32_e64 v5, v133, 0, vcc
	v_not_b32_e32 v96, v96
	v_xor_b32_e32 v69, v5, v69
	v_xor_b32_e32 v68, v96, v68
	v_cmp_ne_u64_e32 vcc, s[90:91], v[68:69]
	v_cndmask_b32_e32 v97, v133, v69, vcc
	v_cndmask_b32_e32 v96, -1, v68, vcc
	v_lshrrev_b64 v[96:97], s69, v[96:97]
	v_and_b32_e32 v96, s95, v96
	v_mul_u32_u24_e32 v5, 5, v96
	v_add_lshl_u32 v5, v5, v178, 2
	; wave barrier
	v_add_u32_e32 v226, 0x410, v5
	ds_read_b32 v225, v5 offset:1040
	v_and_b32_e32 v5, 1, v96
	v_add_co_u32_e32 v97, vcc, -1, v5
	v_addc_co_u32_e64 v98, s[36:37], 0, -1, vcc
	v_cmp_ne_u32_e32 vcc, 0, v5
	v_xor_b32_e32 v5, vcc_hi, v98
	v_and_b32_e32 v98, exec_hi, v5
	v_lshlrev_b32_e32 v5, 30, v96
	v_xor_b32_e32 v97, vcc_lo, v97
	v_cmp_gt_i64_e32 vcc, 0, v[4:5]
	v_not_b32_e32 v5, v5
	v_ashrrev_i32_e32 v5, 31, v5
	v_and_b32_e32 v97, exec_lo, v97
	v_xor_b32_e32 v99, vcc_hi, v5
	v_xor_b32_e32 v5, vcc_lo, v5
	v_and_b32_e32 v97, v97, v5
	v_lshlrev_b32_e32 v5, 29, v96
	v_cmp_gt_i64_e32 vcc, 0, v[4:5]
	v_not_b32_e32 v5, v5
	v_ashrrev_i32_e32 v5, 31, v5
	v_and_b32_e32 v98, v98, v99
	v_xor_b32_e32 v99, vcc_hi, v5
	v_xor_b32_e32 v5, vcc_lo, v5
	v_and_b32_e32 v97, v97, v5
	v_lshlrev_b32_e32 v5, 28, v96
	v_cmp_gt_i64_e32 vcc, 0, v[4:5]
	v_not_b32_e32 v5, v5
	v_ashrrev_i32_e32 v5, 31, v5
	v_and_b32_e32 v98, v98, v99
	;; [unrolled: 8-line block ×5, first 2 shown]
	v_xor_b32_e32 v99, vcc_hi, v5
	v_xor_b32_e32 v5, vcc_lo, v5
	v_and_b32_e32 v98, v98, v99
	v_and_b32_e32 v99, v97, v5
	v_lshlrev_b32_e32 v5, 24, v96
	v_cmp_gt_i64_e32 vcc, 0, v[4:5]
	v_not_b32_e32 v5, v5
	v_ashrrev_i32_e32 v5, 31, v5
	v_xor_b32_e32 v96, vcc_hi, v5
	v_xor_b32_e32 v5, vcc_lo, v5
	v_and_b32_e32 v97, v98, v96
	v_and_b32_e32 v96, v99, v5
	v_mbcnt_lo_u32_b32 v5, v96, 0
	v_mbcnt_hi_u32_b32 v227, v97, v5
	v_cmp_eq_u32_e32 vcc, 0, v227
	v_cmp_ne_u64_e64 s[36:37], 0, v[96:97]
	s_and_b64 s[38:39], s[36:37], vcc
	; wave barrier
	s_and_saveexec_b64 s[36:37], s[38:39]
	s_cbranch_execz .LBB1148_169
; %bb.168:                              ;   in Loop: Header=BB1148_103 Depth=2
	v_bcnt_u32_b32 v5, v96, 0
	v_bcnt_u32_b32 v5, v97, v5
	s_waitcnt lgkmcnt(0)
	v_add_u32_e32 v5, v225, v5
	ds_write_b32 v226, v5
.LBB1148_169:                           ;   in Loop: Header=BB1148_103 Depth=2
	s_or_b64 exec, exec, s[36:37]
	v_cmp_gt_i64_e32 vcc, 0, v[70:71]
	v_ashrrev_i32_e32 v96, 31, v71
	v_cndmask_b32_e64 v5, v133, 0, vcc
	v_not_b32_e32 v96, v96
	v_xor_b32_e32 v71, v5, v71
	v_xor_b32_e32 v70, v96, v70
	v_cmp_ne_u64_e32 vcc, s[90:91], v[70:71]
	v_cndmask_b32_e32 v97, v133, v71, vcc
	v_cndmask_b32_e32 v96, -1, v70, vcc
	v_lshrrev_b64 v[96:97], s69, v[96:97]
	v_and_b32_e32 v96, s95, v96
	v_mul_u32_u24_e32 v5, 5, v96
	v_add_lshl_u32 v5, v5, v178, 2
	; wave barrier
	v_add_u32_e32 v229, 0x410, v5
	ds_read_b32 v228, v5 offset:1040
	v_and_b32_e32 v5, 1, v96
	v_add_co_u32_e32 v97, vcc, -1, v5
	v_addc_co_u32_e64 v98, s[36:37], 0, -1, vcc
	v_cmp_ne_u32_e32 vcc, 0, v5
	v_xor_b32_e32 v5, vcc_hi, v98
	v_and_b32_e32 v98, exec_hi, v5
	v_lshlrev_b32_e32 v5, 30, v96
	v_xor_b32_e32 v97, vcc_lo, v97
	v_cmp_gt_i64_e32 vcc, 0, v[4:5]
	v_not_b32_e32 v5, v5
	v_ashrrev_i32_e32 v5, 31, v5
	v_and_b32_e32 v97, exec_lo, v97
	v_xor_b32_e32 v99, vcc_hi, v5
	v_xor_b32_e32 v5, vcc_lo, v5
	v_and_b32_e32 v97, v97, v5
	v_lshlrev_b32_e32 v5, 29, v96
	v_cmp_gt_i64_e32 vcc, 0, v[4:5]
	v_not_b32_e32 v5, v5
	v_ashrrev_i32_e32 v5, 31, v5
	v_and_b32_e32 v98, v98, v99
	v_xor_b32_e32 v99, vcc_hi, v5
	v_xor_b32_e32 v5, vcc_lo, v5
	v_and_b32_e32 v97, v97, v5
	v_lshlrev_b32_e32 v5, 28, v96
	v_cmp_gt_i64_e32 vcc, 0, v[4:5]
	v_not_b32_e32 v5, v5
	v_ashrrev_i32_e32 v5, 31, v5
	v_and_b32_e32 v98, v98, v99
	;; [unrolled: 8-line block ×5, first 2 shown]
	v_xor_b32_e32 v99, vcc_hi, v5
	v_xor_b32_e32 v5, vcc_lo, v5
	v_and_b32_e32 v98, v98, v99
	v_and_b32_e32 v99, v97, v5
	v_lshlrev_b32_e32 v5, 24, v96
	v_cmp_gt_i64_e32 vcc, 0, v[4:5]
	v_not_b32_e32 v5, v5
	v_ashrrev_i32_e32 v5, 31, v5
	v_xor_b32_e32 v96, vcc_hi, v5
	v_xor_b32_e32 v5, vcc_lo, v5
	v_and_b32_e32 v97, v98, v96
	v_and_b32_e32 v96, v99, v5
	v_mbcnt_lo_u32_b32 v5, v96, 0
	v_mbcnt_hi_u32_b32 v230, v97, v5
	v_cmp_eq_u32_e32 vcc, 0, v230
	v_cmp_ne_u64_e64 s[36:37], 0, v[96:97]
	s_and_b64 s[38:39], s[36:37], vcc
	; wave barrier
	s_and_saveexec_b64 s[36:37], s[38:39]
	s_cbranch_execz .LBB1148_171
; %bb.170:                              ;   in Loop: Header=BB1148_103 Depth=2
	v_bcnt_u32_b32 v5, v96, 0
	v_bcnt_u32_b32 v5, v97, v5
	s_waitcnt lgkmcnt(0)
	v_add_u32_e32 v5, v228, v5
	ds_write_b32 v229, v5
.LBB1148_171:                           ;   in Loop: Header=BB1148_103 Depth=2
	s_or_b64 exec, exec, s[36:37]
	; wave barrier
	s_waitcnt lgkmcnt(0)
	s_barrier
	ds_read_b32 v5, v27 offset:1040
	ds_read2_b32 v[98:99], v31 offset0:1 offset1:2
	ds_read2_b32 v[96:97], v31 offset0:3 offset1:4
	s_waitcnt lgkmcnt(1)
	v_add3_u32 v231, v98, v5, v99
	s_waitcnt lgkmcnt(0)
	v_add3_u32 v97, v231, v96, v97
	s_nop 1
	v_mov_b32_dpp v231, v97 row_shr:1 row_mask:0xf bank_mask:0xf
	v_cndmask_b32_e64 v231, v231, 0, s[16:17]
	v_add_u32_e32 v97, v231, v97
	s_nop 1
	v_mov_b32_dpp v231, v97 row_shr:2 row_mask:0xf bank_mask:0xf
	v_cndmask_b32_e64 v231, 0, v231, s[18:19]
	v_add_u32_e32 v97, v97, v231
	;; [unrolled: 4-line block ×4, first 2 shown]
	s_nop 1
	v_mov_b32_dpp v231, v97 row_bcast:15 row_mask:0xf bank_mask:0xf
	v_cndmask_b32_e64 v231, v231, 0, s[24:25]
	v_add_u32_e32 v97, v97, v231
	s_nop 1
	v_mov_b32_dpp v231, v97 row_bcast:31 row_mask:0xf bank_mask:0xf
	v_cndmask_b32_e64 v231, 0, v231, s[26:27]
	v_add_u32_e32 v97, v97, v231
	s_and_saveexec_b64 s[36:37], s[6:7]
	s_cbranch_execz .LBB1148_173
; %bb.172:                              ;   in Loop: Header=BB1148_103 Depth=2
	ds_write_b32 v15, v97 offset:1024
.LBB1148_173:                           ;   in Loop: Header=BB1148_103 Depth=2
	s_or_b64 exec, exec, s[36:37]
	s_waitcnt lgkmcnt(0)
	s_barrier
	s_and_saveexec_b64 s[36:37], s[8:9]
	s_cbranch_execz .LBB1148_175
; %bb.174:                              ;   in Loop: Header=BB1148_103 Depth=2
	ds_read_b32 v231, v33 offset:1024
	s_waitcnt lgkmcnt(0)
	s_nop 0
	v_mov_b32_dpp v232, v231 row_shr:1 row_mask:0xf bank_mask:0xf
	v_cndmask_b32_e64 v232, v232, 0, s[30:31]
	v_add_u32_e32 v231, v232, v231
	s_nop 1
	v_mov_b32_dpp v232, v231 row_shr:2 row_mask:0xf bank_mask:0xf
	v_cndmask_b32_e64 v232, 0, v232, s[34:35]
	v_add_u32_e32 v231, v231, v232
	ds_write_b32 v33, v231 offset:1024
.LBB1148_175:                           ;   in Loop: Header=BB1148_103 Depth=2
	s_or_b64 exec, exec, s[36:37]
	v_mov_b32_e32 v231, 0
	s_waitcnt lgkmcnt(0)
	s_barrier
	s_and_saveexec_b64 s[36:37], s[10:11]
	s_cbranch_execz .LBB1148_177
; %bb.176:                              ;   in Loop: Header=BB1148_103 Depth=2
	ds_read_b32 v231, v15 offset:1020
.LBB1148_177:                           ;   in Loop: Header=BB1148_103 Depth=2
	s_or_b64 exec, exec, s[36:37]
	s_waitcnt lgkmcnt(0)
	v_add_u32_e32 v97, v231, v97
	ds_bpermute_b32 v97, v159, v97
	s_waitcnt lgkmcnt(0)
	v_cndmask_b32_e64 v97, v97, v231, s[28:29]
	v_cndmask_b32_e64 v97, v97, 0, s[12:13]
	v_add_u32_e32 v5, v97, v5
	ds_write_b32 v27, v97 offset:1040
	v_add_u32_e32 v97, v5, v98
	v_add_u32_e32 v98, v97, v99
	ds_write2_b32 v31, v5, v97 offset0:1 offset1:2
	v_add_u32_e32 v5, v98, v96
	ds_write2_b32 v31, v98, v5 offset0:3 offset1:4
	s_waitcnt lgkmcnt(0)
	s_barrier
	ds_read_b32 v97, v187
	ds_read_b32 v235, v190
	;; [unrolled: 1-line block ×16, first 2 shown]
	ds_read_b32 v184, v27 offset:1040
	v_mov_b32_e32 v5, 0x1000
	s_and_saveexec_b64 s[36:37], s[14:15]
	s_cbranch_execz .LBB1148_179
; %bb.178:                              ;   in Loop: Header=BB1148_103 Depth=2
	ds_read_b32 v5, v27 offset:1060
.LBB1148_179:                           ;   in Loop: Header=BB1148_103 Depth=2
	s_or_b64 exec, exec, s[36:37]
	s_waitcnt lgkmcnt(0)
	s_barrier
	s_and_saveexec_b64 s[36:37], s[4:5]
	s_cbranch_execz .LBB1148_181
; %bb.180:                              ;   in Loop: Header=BB1148_103 Depth=2
	ds_read_b32 v208, v3
	s_waitcnt lgkmcnt(0)
	v_sub_u32_e32 v184, v208, v184
	ds_write_b32 v3, v184
.LBB1148_181:                           ;   in Loop: Header=BB1148_103 Depth=2
	s_or_b64 exec, exec, s[36:37]
	v_add_u32_e32 v186, v188, v186
	v_add_u32_e32 v189, v191, v189
	v_add_lshl_u32 v96, v96, v185, 3
	v_add_lshl_u32 v97, v186, v97, 3
	v_add_u32_e32 v198, v200, v198
	v_add_u32_e32 v195, v197, v195
	;; [unrolled: 1-line block ×3, first 2 shown]
	ds_write_b64 v96, v[64:65] offset:1024
	ds_write_b64 v97, v[66:67] offset:1024
	v_add_lshl_u32 v66, v189, v235, 3
	v_add_u32_e32 v213, v215, v213
	v_add_u32_e32 v210, v212, v210
	;; [unrolled: 1-line block ×5, first 2 shown]
	ds_write_b64 v66, v[74:75] offset:1024
	v_add_lshl_u32 v67, v192, v234, 3
	v_add_lshl_u32 v74, v195, v233, 3
	;; [unrolled: 1-line block ×3, first 2 shown]
	v_add_u32_e32 v216, v218, v216
	ds_write_b64 v67, v[78:79] offset:1024
	ds_write_b64 v74, v[82:83] offset:1024
	;; [unrolled: 1-line block ×3, first 2 shown]
	v_add_lshl_u32 v78, v201, v231, 3
	v_add_lshl_u32 v79, v204, v205, 3
	;; [unrolled: 1-line block ×5, first 2 shown]
	v_add_u32_e32 v214, v221, v219
	ds_write_b64 v78, v[90:91] offset:1024
	ds_write_b64 v79, v[94:95] offset:1024
	;; [unrolled: 1-line block ×5, first 2 shown]
	v_add_lshl_u32 v84, v216, v193, 3
	v_add_u32_e32 v211, v224, v222
	ds_write_b64 v84, v[80:81] offset:1024
	v_add_lshl_u32 v80, v214, v190, 3
	v_add_u32_e32 v208, v227, v225
	ds_write_b64 v80, v[76:77] offset:1024
	;; [unrolled: 3-line block ×3, first 2 shown]
	v_add_lshl_u32 v72, v208, v99, 3
	ds_write_b64 v72, v[68:69] offset:1024
	v_add_lshl_u32 v68, v184, v98, 3
	v_cmp_lt_u32_e64 s[36:37], v2, v183
	ds_write_b64 v68, v[70:71] offset:1024
	s_waitcnt lgkmcnt(0)
	s_barrier
	s_and_saveexec_b64 s[40:41], s[36:37]
	s_cbranch_execz .LBB1148_197
; %bb.182:                              ;   in Loop: Header=BB1148_103 Depth=2
	v_add_u32_e32 v64, v33, v3
	ds_read_b64 v[64:65], v64 offset:1024
	v_mov_b32_e32 v71, v4
	s_waitcnt lgkmcnt(0)
	v_cmp_ne_u64_e32 vcc, s[90:91], v[64:65]
	v_cndmask_b32_e32 v89, v133, v65, vcc
	v_cndmask_b32_e32 v88, -1, v64, vcc
	v_lshrrev_b64 v[88:89], s69, v[88:89]
	v_and_b32_e32 v70, s95, v88
	v_lshlrev_b32_e32 v70, 2, v70
	ds_read_b32 v70, v70
	v_cmp_gt_i64_e64 s[38:39], 0, v[64:65]
	v_cndmask_b32_e64 v69, v133, 0, s[38:39]
	v_ashrrev_i32_e32 v73, 31, v65
	v_not_b32_e32 v73, v73
	s_waitcnt lgkmcnt(0)
	v_add_u32_e32 v70, v70, v2
	v_lshlrev_b64 v[70:71], 3, v[70:71]
	v_xor_b32_e32 v65, v69, v65
	v_mov_b32_e32 v69, s75
	v_add_co_u32_e32 v70, vcc, s74, v70
	v_xor_b32_e32 v64, v73, v64
	v_addc_co_u32_e32 v71, vcc, v69, v71, vcc
	global_store_dwordx2 v[70:71], v[64:65], off
	s_or_b64 exec, exec, s[40:41]
	v_cmp_lt_u32_e64 s[38:39], v7, v183
	s_and_saveexec_b64 s[42:43], s[38:39]
	s_cbranch_execnz .LBB1148_198
.LBB1148_183:                           ;   in Loop: Header=BB1148_103 Depth=2
	s_or_b64 exec, exec, s[42:43]
	v_cmp_lt_u32_e64 s[40:41], v6, v183
	s_and_saveexec_b64 s[44:45], s[40:41]
	s_cbranch_execz .LBB1148_199
.LBB1148_184:                           ;   in Loop: Header=BB1148_103 Depth=2
	ds_read_b64 v[64:65], v104 offset:4096
	v_mov_b32_e32 v71, v4
	s_waitcnt lgkmcnt(0)
	v_cmp_ne_u64_e32 vcc, s[90:91], v[64:65]
	v_cndmask_b32_e32 v89, v133, v65, vcc
	v_cndmask_b32_e32 v88, -1, v64, vcc
	v_lshrrev_b64 v[88:89], s69, v[88:89]
	v_and_b32_e32 v70, s95, v88
	v_lshlrev_b32_e32 v70, 2, v70
	ds_read_b32 v70, v70
	v_cmp_gt_i64_e64 s[42:43], 0, v[64:65]
	v_cndmask_b32_e64 v69, v133, 0, s[42:43]
	v_ashrrev_i32_e32 v73, 31, v65
	v_not_b32_e32 v73, v73
	s_waitcnt lgkmcnt(0)
	v_add_u32_e32 v70, v70, v6
	v_lshlrev_b64 v[70:71], 3, v[70:71]
	v_xor_b32_e32 v65, v69, v65
	v_mov_b32_e32 v69, s75
	v_add_co_u32_e32 v70, vcc, s74, v70
	v_xor_b32_e32 v64, v73, v64
	v_addc_co_u32_e32 v71, vcc, v69, v71, vcc
	global_store_dwordx2 v[70:71], v[64:65], off
	s_or_b64 exec, exec, s[44:45]
	v_cmp_lt_u32_e64 s[42:43], v8, v183
	s_and_saveexec_b64 s[46:47], s[42:43]
	s_cbranch_execnz .LBB1148_200
.LBB1148_185:                           ;   in Loop: Header=BB1148_103 Depth=2
	s_or_b64 exec, exec, s[46:47]
	v_cmp_lt_u32_e64 s[44:45], v10, v183
	s_and_saveexec_b64 s[48:49], s[44:45]
	s_cbranch_execz .LBB1148_201
.LBB1148_186:                           ;   in Loop: Header=BB1148_103 Depth=2
	ds_read_b64 v[64:65], v104 offset:8192
	v_mov_b32_e32 v71, v4
	s_waitcnt lgkmcnt(0)
	v_cmp_ne_u64_e32 vcc, s[90:91], v[64:65]
	v_cndmask_b32_e32 v89, v133, v65, vcc
	v_cndmask_b32_e32 v88, -1, v64, vcc
	v_lshrrev_b64 v[88:89], s69, v[88:89]
	v_and_b32_e32 v70, s95, v88
	v_lshlrev_b32_e32 v70, 2, v70
	ds_read_b32 v70, v70
	v_cmp_gt_i64_e64 s[46:47], 0, v[64:65]
	v_cndmask_b32_e64 v69, v133, 0, s[46:47]
	v_ashrrev_i32_e32 v73, 31, v65
	v_not_b32_e32 v73, v73
	s_waitcnt lgkmcnt(0)
	v_add_u32_e32 v70, v70, v10
	v_lshlrev_b64 v[70:71], 3, v[70:71]
	v_xor_b32_e32 v65, v69, v65
	v_mov_b32_e32 v69, s75
	v_add_co_u32_e32 v70, vcc, s74, v70
	v_xor_b32_e32 v64, v73, v64
	v_addc_co_u32_e32 v71, vcc, v69, v71, vcc
	global_store_dwordx2 v[70:71], v[64:65], off
	s_or_b64 exec, exec, s[48:49]
	v_cmp_lt_u32_e64 s[46:47], v12, v183
	s_and_saveexec_b64 s[50:51], s[46:47]
	s_cbranch_execnz .LBB1148_202
.LBB1148_187:                           ;   in Loop: Header=BB1148_103 Depth=2
	s_or_b64 exec, exec, s[50:51]
	v_cmp_lt_u32_e64 s[48:49], v14, v183
	s_and_saveexec_b64 s[52:53], s[48:49]
	s_cbranch_execz .LBB1148_203
.LBB1148_188:                           ;   in Loop: Header=BB1148_103 Depth=2
	ds_read_b64 v[64:65], v104 offset:12288
	v_mov_b32_e32 v71, v4
	s_waitcnt lgkmcnt(0)
	v_cmp_ne_u64_e32 vcc, s[90:91], v[64:65]
	v_cndmask_b32_e32 v89, v133, v65, vcc
	v_cndmask_b32_e32 v88, -1, v64, vcc
	v_lshrrev_b64 v[88:89], s69, v[88:89]
	v_and_b32_e32 v70, s95, v88
	v_lshlrev_b32_e32 v70, 2, v70
	ds_read_b32 v70, v70
	v_cmp_gt_i64_e64 s[50:51], 0, v[64:65]
	v_cndmask_b32_e64 v69, v133, 0, s[50:51]
	v_ashrrev_i32_e32 v73, 31, v65
	v_not_b32_e32 v73, v73
	s_waitcnt lgkmcnt(0)
	v_add_u32_e32 v70, v70, v14
	v_lshlrev_b64 v[70:71], 3, v[70:71]
	v_xor_b32_e32 v65, v69, v65
	v_mov_b32_e32 v69, s75
	v_add_co_u32_e32 v70, vcc, s74, v70
	v_xor_b32_e32 v64, v73, v64
	v_addc_co_u32_e32 v71, vcc, v69, v71, vcc
	global_store_dwordx2 v[70:71], v[64:65], off
	s_or_b64 exec, exec, s[52:53]
	v_cmp_lt_u32_e64 s[50:51], v16, v183
	s_and_saveexec_b64 s[54:55], s[50:51]
	s_cbranch_execnz .LBB1148_204
.LBB1148_189:                           ;   in Loop: Header=BB1148_103 Depth=2
	s_or_b64 exec, exec, s[54:55]
	v_cmp_lt_u32_e64 s[52:53], v18, v183
	s_and_saveexec_b64 s[56:57], s[52:53]
	s_cbranch_execz .LBB1148_205
.LBB1148_190:                           ;   in Loop: Header=BB1148_103 Depth=2
	ds_read_b64 v[64:65], v104 offset:16384
	v_mov_b32_e32 v71, v4
	s_waitcnt lgkmcnt(0)
	v_cmp_ne_u64_e32 vcc, s[90:91], v[64:65]
	v_cndmask_b32_e32 v89, v133, v65, vcc
	v_cndmask_b32_e32 v88, -1, v64, vcc
	v_lshrrev_b64 v[88:89], s69, v[88:89]
	v_and_b32_e32 v70, s95, v88
	v_lshlrev_b32_e32 v70, 2, v70
	ds_read_b32 v70, v70
	v_cmp_gt_i64_e64 s[54:55], 0, v[64:65]
	v_cndmask_b32_e64 v69, v133, 0, s[54:55]
	v_ashrrev_i32_e32 v73, 31, v65
	v_not_b32_e32 v73, v73
	s_waitcnt lgkmcnt(0)
	v_add_u32_e32 v70, v70, v18
	v_lshlrev_b64 v[70:71], 3, v[70:71]
	v_xor_b32_e32 v65, v69, v65
	v_mov_b32_e32 v69, s75
	v_add_co_u32_e32 v70, vcc, s74, v70
	v_xor_b32_e32 v64, v73, v64
	v_addc_co_u32_e32 v71, vcc, v69, v71, vcc
	global_store_dwordx2 v[70:71], v[64:65], off
	s_or_b64 exec, exec, s[56:57]
	v_cmp_lt_u32_e64 s[54:55], v20, v183
	s_and_saveexec_b64 s[58:59], s[54:55]
	s_cbranch_execnz .LBB1148_206
.LBB1148_191:                           ;   in Loop: Header=BB1148_103 Depth=2
	s_or_b64 exec, exec, s[58:59]
	v_cmp_lt_u32_e64 s[56:57], v22, v183
	s_and_saveexec_b64 s[60:61], s[56:57]
	s_cbranch_execz .LBB1148_207
.LBB1148_192:                           ;   in Loop: Header=BB1148_103 Depth=2
	ds_read_b64 v[64:65], v104 offset:20480
	v_mov_b32_e32 v71, v4
	s_waitcnt lgkmcnt(0)
	v_cmp_ne_u64_e32 vcc, s[90:91], v[64:65]
	v_cndmask_b32_e32 v89, v133, v65, vcc
	v_cndmask_b32_e32 v88, -1, v64, vcc
	v_lshrrev_b64 v[88:89], s69, v[88:89]
	v_and_b32_e32 v70, s95, v88
	v_lshlrev_b32_e32 v70, 2, v70
	ds_read_b32 v70, v70
	v_cmp_gt_i64_e64 s[58:59], 0, v[64:65]
	v_cndmask_b32_e64 v69, v133, 0, s[58:59]
	v_ashrrev_i32_e32 v73, 31, v65
	v_not_b32_e32 v73, v73
	s_waitcnt lgkmcnt(0)
	v_add_u32_e32 v70, v70, v22
	v_lshlrev_b64 v[70:71], 3, v[70:71]
	v_xor_b32_e32 v65, v69, v65
	v_mov_b32_e32 v69, s75
	v_add_co_u32_e32 v70, vcc, s74, v70
	v_xor_b32_e32 v64, v73, v64
	v_addc_co_u32_e32 v71, vcc, v69, v71, vcc
	global_store_dwordx2 v[70:71], v[64:65], off
	s_or_b64 exec, exec, s[60:61]
	v_cmp_lt_u32_e64 s[58:59], v24, v183
	s_and_saveexec_b64 s[62:63], s[58:59]
	s_cbranch_execnz .LBB1148_208
.LBB1148_193:                           ;   in Loop: Header=BB1148_103 Depth=2
	s_or_b64 exec, exec, s[62:63]
	v_cmp_lt_u32_e64 s[60:61], v26, v183
	s_and_saveexec_b64 s[64:65], s[60:61]
	s_cbranch_execz .LBB1148_209
.LBB1148_194:                           ;   in Loop: Header=BB1148_103 Depth=2
	ds_read_b64 v[64:65], v104 offset:24576
	v_mov_b32_e32 v71, v4
	s_waitcnt lgkmcnt(0)
	v_cmp_ne_u64_e32 vcc, s[90:91], v[64:65]
	v_cndmask_b32_e32 v89, v133, v65, vcc
	v_cndmask_b32_e32 v88, -1, v64, vcc
	v_lshrrev_b64 v[88:89], s69, v[88:89]
	v_and_b32_e32 v70, s95, v88
	v_lshlrev_b32_e32 v70, 2, v70
	ds_read_b32 v70, v70
	v_cmp_gt_i64_e64 s[62:63], 0, v[64:65]
	v_cndmask_b32_e64 v69, v133, 0, s[62:63]
	v_ashrrev_i32_e32 v73, 31, v65
	v_not_b32_e32 v73, v73
	s_waitcnt lgkmcnt(0)
	v_add_u32_e32 v70, v70, v26
	v_lshlrev_b64 v[70:71], 3, v[70:71]
	v_xor_b32_e32 v65, v69, v65
	v_mov_b32_e32 v69, s75
	v_add_co_u32_e32 v70, vcc, s74, v70
	v_xor_b32_e32 v64, v73, v64
	v_addc_co_u32_e32 v71, vcc, v69, v71, vcc
	global_store_dwordx2 v[70:71], v[64:65], off
	s_or_b64 exec, exec, s[64:65]
	v_cmp_lt_u32_e64 s[62:63], v28, v183
	s_and_saveexec_b64 s[66:67], s[62:63]
	s_cbranch_execnz .LBB1148_210
.LBB1148_195:                           ;   in Loop: Header=BB1148_103 Depth=2
	s_or_b64 exec, exec, s[66:67]
	v_cmp_lt_u32_e64 s[64:65], v30, v183
	s_and_saveexec_b64 s[78:79], s[64:65]
	s_cbranch_execz .LBB1148_211
.LBB1148_196:                           ;   in Loop: Header=BB1148_103 Depth=2
	ds_read_b64 v[64:65], v104 offset:28672
	v_mov_b32_e32 v71, v4
	s_waitcnt lgkmcnt(0)
	v_cmp_ne_u64_e32 vcc, s[90:91], v[64:65]
	v_cndmask_b32_e32 v89, v133, v65, vcc
	v_cndmask_b32_e32 v88, -1, v64, vcc
	v_lshrrev_b64 v[88:89], s69, v[88:89]
	v_and_b32_e32 v70, s95, v88
	v_lshlrev_b32_e32 v70, 2, v70
	ds_read_b32 v70, v70
	v_cmp_gt_i64_e64 s[66:67], 0, v[64:65]
	v_cndmask_b32_e64 v69, v133, 0, s[66:67]
	v_ashrrev_i32_e32 v73, 31, v65
	v_not_b32_e32 v73, v73
	s_waitcnt lgkmcnt(0)
	v_add_u32_e32 v70, v70, v30
	v_lshlrev_b64 v[70:71], 3, v[70:71]
	v_xor_b32_e32 v65, v69, v65
	v_mov_b32_e32 v69, s75
	v_add_co_u32_e32 v70, vcc, s74, v70
	v_xor_b32_e32 v64, v73, v64
	v_addc_co_u32_e32 v71, vcc, v69, v71, vcc
	global_store_dwordx2 v[70:71], v[64:65], off
	s_or_b64 exec, exec, s[78:79]
	v_cmp_lt_u32_e64 s[66:67], v32, v183
	s_and_saveexec_b64 s[78:79], s[66:67]
	s_cbranch_execnz .LBB1148_212
	s_branch .LBB1148_213
.LBB1148_197:                           ;   in Loop: Header=BB1148_103 Depth=2
	s_or_b64 exec, exec, s[40:41]
	v_cmp_lt_u32_e64 s[38:39], v7, v183
	s_and_saveexec_b64 s[42:43], s[38:39]
	s_cbranch_execz .LBB1148_183
.LBB1148_198:                           ;   in Loop: Header=BB1148_103 Depth=2
	ds_read_b64 v[64:65], v104 offset:2048
	v_mov_b32_e32 v71, v4
	s_waitcnt lgkmcnt(0)
	v_cmp_ne_u64_e32 vcc, s[90:91], v[64:65]
	v_cndmask_b32_e32 v89, v133, v65, vcc
	v_cndmask_b32_e32 v88, -1, v64, vcc
	v_lshrrev_b64 v[88:89], s69, v[88:89]
	v_and_b32_e32 v70, s95, v88
	v_lshlrev_b32_e32 v70, 2, v70
	ds_read_b32 v70, v70
	v_cmp_gt_i64_e64 s[40:41], 0, v[64:65]
	v_cndmask_b32_e64 v69, v133, 0, s[40:41]
	v_ashrrev_i32_e32 v73, 31, v65
	v_not_b32_e32 v73, v73
	s_waitcnt lgkmcnt(0)
	v_add_u32_e32 v70, v70, v7
	v_lshlrev_b64 v[70:71], 3, v[70:71]
	v_xor_b32_e32 v65, v69, v65
	v_mov_b32_e32 v69, s75
	v_add_co_u32_e32 v70, vcc, s74, v70
	v_xor_b32_e32 v64, v73, v64
	v_addc_co_u32_e32 v71, vcc, v69, v71, vcc
	global_store_dwordx2 v[70:71], v[64:65], off
	s_or_b64 exec, exec, s[42:43]
	v_cmp_lt_u32_e64 s[40:41], v6, v183
	s_and_saveexec_b64 s[44:45], s[40:41]
	s_cbranch_execnz .LBB1148_184
.LBB1148_199:                           ;   in Loop: Header=BB1148_103 Depth=2
	s_or_b64 exec, exec, s[44:45]
	v_cmp_lt_u32_e64 s[42:43], v8, v183
	s_and_saveexec_b64 s[46:47], s[42:43]
	s_cbranch_execz .LBB1148_185
.LBB1148_200:                           ;   in Loop: Header=BB1148_103 Depth=2
	ds_read_b64 v[64:65], v104 offset:6144
	v_mov_b32_e32 v71, v4
	s_waitcnt lgkmcnt(0)
	v_cmp_ne_u64_e32 vcc, s[90:91], v[64:65]
	v_cndmask_b32_e32 v89, v133, v65, vcc
	v_cndmask_b32_e32 v88, -1, v64, vcc
	v_lshrrev_b64 v[88:89], s69, v[88:89]
	v_and_b32_e32 v70, s95, v88
	v_lshlrev_b32_e32 v70, 2, v70
	ds_read_b32 v70, v70
	v_cmp_gt_i64_e64 s[44:45], 0, v[64:65]
	v_cndmask_b32_e64 v69, v133, 0, s[44:45]
	v_ashrrev_i32_e32 v73, 31, v65
	v_not_b32_e32 v73, v73
	s_waitcnt lgkmcnt(0)
	v_add_u32_e32 v70, v70, v8
	v_lshlrev_b64 v[70:71], 3, v[70:71]
	v_xor_b32_e32 v65, v69, v65
	v_mov_b32_e32 v69, s75
	v_add_co_u32_e32 v70, vcc, s74, v70
	v_xor_b32_e32 v64, v73, v64
	v_addc_co_u32_e32 v71, vcc, v69, v71, vcc
	global_store_dwordx2 v[70:71], v[64:65], off
	s_or_b64 exec, exec, s[46:47]
	v_cmp_lt_u32_e64 s[44:45], v10, v183
	s_and_saveexec_b64 s[48:49], s[44:45]
	s_cbranch_execnz .LBB1148_186
.LBB1148_201:                           ;   in Loop: Header=BB1148_103 Depth=2
	s_or_b64 exec, exec, s[48:49]
	v_cmp_lt_u32_e64 s[46:47], v12, v183
	s_and_saveexec_b64 s[50:51], s[46:47]
	s_cbranch_execz .LBB1148_187
.LBB1148_202:                           ;   in Loop: Header=BB1148_103 Depth=2
	ds_read_b64 v[64:65], v104 offset:10240
	v_mov_b32_e32 v71, v4
	s_waitcnt lgkmcnt(0)
	v_cmp_ne_u64_e32 vcc, s[90:91], v[64:65]
	v_cndmask_b32_e32 v89, v133, v65, vcc
	v_cndmask_b32_e32 v88, -1, v64, vcc
	v_lshrrev_b64 v[88:89], s69, v[88:89]
	v_and_b32_e32 v70, s95, v88
	v_lshlrev_b32_e32 v70, 2, v70
	ds_read_b32 v70, v70
	v_cmp_gt_i64_e64 s[48:49], 0, v[64:65]
	v_cndmask_b32_e64 v69, v133, 0, s[48:49]
	v_ashrrev_i32_e32 v73, 31, v65
	v_not_b32_e32 v73, v73
	s_waitcnt lgkmcnt(0)
	v_add_u32_e32 v70, v70, v12
	v_lshlrev_b64 v[70:71], 3, v[70:71]
	v_xor_b32_e32 v65, v69, v65
	v_mov_b32_e32 v69, s75
	v_add_co_u32_e32 v70, vcc, s74, v70
	v_xor_b32_e32 v64, v73, v64
	v_addc_co_u32_e32 v71, vcc, v69, v71, vcc
	global_store_dwordx2 v[70:71], v[64:65], off
	s_or_b64 exec, exec, s[50:51]
	v_cmp_lt_u32_e64 s[48:49], v14, v183
	s_and_saveexec_b64 s[52:53], s[48:49]
	s_cbranch_execnz .LBB1148_188
.LBB1148_203:                           ;   in Loop: Header=BB1148_103 Depth=2
	s_or_b64 exec, exec, s[52:53]
	v_cmp_lt_u32_e64 s[50:51], v16, v183
	s_and_saveexec_b64 s[54:55], s[50:51]
	s_cbranch_execz .LBB1148_189
.LBB1148_204:                           ;   in Loop: Header=BB1148_103 Depth=2
	ds_read_b64 v[64:65], v104 offset:14336
	v_mov_b32_e32 v71, v4
	s_waitcnt lgkmcnt(0)
	v_cmp_ne_u64_e32 vcc, s[90:91], v[64:65]
	v_cndmask_b32_e32 v89, v133, v65, vcc
	v_cndmask_b32_e32 v88, -1, v64, vcc
	v_lshrrev_b64 v[88:89], s69, v[88:89]
	v_and_b32_e32 v70, s95, v88
	v_lshlrev_b32_e32 v70, 2, v70
	ds_read_b32 v70, v70
	v_cmp_gt_i64_e64 s[52:53], 0, v[64:65]
	v_cndmask_b32_e64 v69, v133, 0, s[52:53]
	v_ashrrev_i32_e32 v73, 31, v65
	v_not_b32_e32 v73, v73
	s_waitcnt lgkmcnt(0)
	v_add_u32_e32 v70, v70, v16
	v_lshlrev_b64 v[70:71], 3, v[70:71]
	v_xor_b32_e32 v65, v69, v65
	v_mov_b32_e32 v69, s75
	v_add_co_u32_e32 v70, vcc, s74, v70
	v_xor_b32_e32 v64, v73, v64
	v_addc_co_u32_e32 v71, vcc, v69, v71, vcc
	global_store_dwordx2 v[70:71], v[64:65], off
	s_or_b64 exec, exec, s[54:55]
	v_cmp_lt_u32_e64 s[52:53], v18, v183
	s_and_saveexec_b64 s[56:57], s[52:53]
	s_cbranch_execnz .LBB1148_190
.LBB1148_205:                           ;   in Loop: Header=BB1148_103 Depth=2
	s_or_b64 exec, exec, s[56:57]
	v_cmp_lt_u32_e64 s[54:55], v20, v183
	s_and_saveexec_b64 s[58:59], s[54:55]
	s_cbranch_execz .LBB1148_191
.LBB1148_206:                           ;   in Loop: Header=BB1148_103 Depth=2
	ds_read_b64 v[64:65], v104 offset:18432
	v_mov_b32_e32 v71, v4
	s_waitcnt lgkmcnt(0)
	v_cmp_ne_u64_e32 vcc, s[90:91], v[64:65]
	v_cndmask_b32_e32 v89, v133, v65, vcc
	v_cndmask_b32_e32 v88, -1, v64, vcc
	v_lshrrev_b64 v[88:89], s69, v[88:89]
	v_and_b32_e32 v70, s95, v88
	v_lshlrev_b32_e32 v70, 2, v70
	ds_read_b32 v70, v70
	v_cmp_gt_i64_e64 s[56:57], 0, v[64:65]
	v_cndmask_b32_e64 v69, v133, 0, s[56:57]
	v_ashrrev_i32_e32 v73, 31, v65
	v_not_b32_e32 v73, v73
	s_waitcnt lgkmcnt(0)
	v_add_u32_e32 v70, v70, v20
	v_lshlrev_b64 v[70:71], 3, v[70:71]
	v_xor_b32_e32 v65, v69, v65
	v_mov_b32_e32 v69, s75
	v_add_co_u32_e32 v70, vcc, s74, v70
	v_xor_b32_e32 v64, v73, v64
	v_addc_co_u32_e32 v71, vcc, v69, v71, vcc
	global_store_dwordx2 v[70:71], v[64:65], off
	s_or_b64 exec, exec, s[58:59]
	v_cmp_lt_u32_e64 s[56:57], v22, v183
	s_and_saveexec_b64 s[60:61], s[56:57]
	s_cbranch_execnz .LBB1148_192
.LBB1148_207:                           ;   in Loop: Header=BB1148_103 Depth=2
	s_or_b64 exec, exec, s[60:61]
	v_cmp_lt_u32_e64 s[58:59], v24, v183
	s_and_saveexec_b64 s[62:63], s[58:59]
	s_cbranch_execz .LBB1148_193
.LBB1148_208:                           ;   in Loop: Header=BB1148_103 Depth=2
	ds_read_b64 v[64:65], v104 offset:22528
	v_mov_b32_e32 v71, v4
	s_waitcnt lgkmcnt(0)
	v_cmp_ne_u64_e32 vcc, s[90:91], v[64:65]
	v_cndmask_b32_e32 v89, v133, v65, vcc
	v_cndmask_b32_e32 v88, -1, v64, vcc
	v_lshrrev_b64 v[88:89], s69, v[88:89]
	v_and_b32_e32 v70, s95, v88
	v_lshlrev_b32_e32 v70, 2, v70
	ds_read_b32 v70, v70
	v_cmp_gt_i64_e64 s[60:61], 0, v[64:65]
	v_cndmask_b32_e64 v69, v133, 0, s[60:61]
	v_ashrrev_i32_e32 v73, 31, v65
	v_not_b32_e32 v73, v73
	s_waitcnt lgkmcnt(0)
	v_add_u32_e32 v70, v70, v24
	v_lshlrev_b64 v[70:71], 3, v[70:71]
	v_xor_b32_e32 v65, v69, v65
	v_mov_b32_e32 v69, s75
	v_add_co_u32_e32 v70, vcc, s74, v70
	v_xor_b32_e32 v64, v73, v64
	v_addc_co_u32_e32 v71, vcc, v69, v71, vcc
	global_store_dwordx2 v[70:71], v[64:65], off
	s_or_b64 exec, exec, s[62:63]
	v_cmp_lt_u32_e64 s[60:61], v26, v183
	s_and_saveexec_b64 s[64:65], s[60:61]
	s_cbranch_execnz .LBB1148_194
.LBB1148_209:                           ;   in Loop: Header=BB1148_103 Depth=2
	s_or_b64 exec, exec, s[64:65]
	v_cmp_lt_u32_e64 s[62:63], v28, v183
	s_and_saveexec_b64 s[66:67], s[62:63]
	s_cbranch_execz .LBB1148_195
.LBB1148_210:                           ;   in Loop: Header=BB1148_103 Depth=2
	ds_read_b64 v[64:65], v104 offset:26624
	v_mov_b32_e32 v71, v4
	s_waitcnt lgkmcnt(0)
	v_cmp_ne_u64_e32 vcc, s[90:91], v[64:65]
	v_cndmask_b32_e32 v89, v133, v65, vcc
	v_cndmask_b32_e32 v88, -1, v64, vcc
	v_lshrrev_b64 v[88:89], s69, v[88:89]
	v_and_b32_e32 v70, s95, v88
	v_lshlrev_b32_e32 v70, 2, v70
	ds_read_b32 v70, v70
	v_cmp_gt_i64_e64 s[64:65], 0, v[64:65]
	v_cndmask_b32_e64 v69, v133, 0, s[64:65]
	v_ashrrev_i32_e32 v73, 31, v65
	v_not_b32_e32 v73, v73
	s_waitcnt lgkmcnt(0)
	v_add_u32_e32 v70, v70, v28
	v_lshlrev_b64 v[70:71], 3, v[70:71]
	v_xor_b32_e32 v65, v69, v65
	v_mov_b32_e32 v69, s75
	v_add_co_u32_e32 v70, vcc, s74, v70
	v_xor_b32_e32 v64, v73, v64
	v_addc_co_u32_e32 v71, vcc, v69, v71, vcc
	global_store_dwordx2 v[70:71], v[64:65], off
	s_or_b64 exec, exec, s[66:67]
	v_cmp_lt_u32_e64 s[64:65], v30, v183
	s_and_saveexec_b64 s[78:79], s[64:65]
	s_cbranch_execnz .LBB1148_196
.LBB1148_211:                           ;   in Loop: Header=BB1148_103 Depth=2
	s_or_b64 exec, exec, s[78:79]
	v_cmp_lt_u32_e64 s[66:67], v32, v183
	s_and_saveexec_b64 s[78:79], s[66:67]
	s_cbranch_execz .LBB1148_213
.LBB1148_212:                           ;   in Loop: Header=BB1148_103 Depth=2
	ds_read_b64 v[64:65], v104 offset:30720
	s_waitcnt lgkmcnt(0)
	v_cmp_ne_u64_e32 vcc, s[90:91], v[64:65]
	v_cndmask_b32_e32 v71, v133, v65, vcc
	v_cndmask_b32_e32 v70, -1, v64, vcc
	v_lshrrev_b64 v[70:71], s69, v[70:71]
	v_and_b32_e32 v69, s95, v70
	v_lshlrev_b32_e32 v69, 2, v69
	ds_read_b32 v69, v69
	v_cmp_gt_i64_e32 vcc, 0, v[64:65]
	v_ashrrev_i32_e32 v71, 31, v65
	v_cndmask_b32_e64 v70, v133, 0, vcc
	v_not_b32_e32 v71, v71
	v_xor_b32_e32 v65, v70, v65
	v_xor_b32_e32 v64, v71, v64
	s_waitcnt lgkmcnt(0)
	v_add_u32_e32 v70, v69, v32
	v_mov_b32_e32 v71, v4
	v_lshlrev_b64 v[70:71], 3, v[70:71]
	v_add_co_u32_e32 v70, vcc, s74, v70
	v_mov_b32_e32 v69, s75
	v_addc_co_u32_e32 v71, vcc, v69, v71, vcc
	global_store_dwordx2 v[70:71], v[64:65], off
.LBB1148_213:                           ;   in Loop: Header=BB1148_103 Depth=2
	s_or_b64 exec, exec, s[78:79]
	s_mov_b32 s71, s90
	s_lshl_b64 s[70:71], s[70:71], 3
	v_mov_b32_e32 v65, s71
	v_add_co_u32_e32 v64, vcc, s70, v160
	v_addc_co_u32_e32 v65, vcc, v161, v65, vcc
	v_cmp_lt_u32_e32 vcc, v143, v183
	s_and_saveexec_b64 s[70:71], vcc
	s_xor_b64 s[70:71], exec, s[70:71]
	s_cbranch_execz .LBB1148_245
; %bb.214:                              ;   in Loop: Header=BB1148_103 Depth=2
	global_load_dwordx2 v[62:63], v[64:65], off
	s_or_b64 exec, exec, s[70:71]
	v_cmp_lt_u32_e32 vcc, v144, v183
	s_and_saveexec_b64 s[70:71], vcc
	s_cbranch_execnz .LBB1148_246
.LBB1148_215:                           ;   in Loop: Header=BB1148_103 Depth=2
	s_or_b64 exec, exec, s[70:71]
	v_cmp_lt_u32_e32 vcc, v145, v183
	s_and_saveexec_b64 s[70:71], vcc
	s_cbranch_execz .LBB1148_247
.LBB1148_216:                           ;   in Loop: Header=BB1148_103 Depth=2
	global_load_dwordx2 v[58:59], v[64:65], off offset:1024
	s_or_b64 exec, exec, s[70:71]
	v_cmp_lt_u32_e32 vcc, v146, v183
	s_and_saveexec_b64 s[70:71], vcc
	s_cbranch_execnz .LBB1148_248
.LBB1148_217:                           ;   in Loop: Header=BB1148_103 Depth=2
	s_or_b64 exec, exec, s[70:71]
	v_cmp_lt_u32_e32 vcc, v147, v183
	s_and_saveexec_b64 s[70:71], vcc
	s_cbranch_execz .LBB1148_249
.LBB1148_218:                           ;   in Loop: Header=BB1148_103 Depth=2
	global_load_dwordx2 v[50:51], v[64:65], off offset:2048
	s_or_b64 exec, exec, s[70:71]
	v_cmp_lt_u32_e32 vcc, v148, v183
	s_and_saveexec_b64 s[70:71], vcc
	s_cbranch_execnz .LBB1148_250
.LBB1148_219:                           ;   in Loop: Header=BB1148_103 Depth=2
	s_or_b64 exec, exec, s[70:71]
	v_cmp_lt_u32_e32 vcc, v149, v183
	s_and_saveexec_b64 s[70:71], vcc
	s_cbranch_execz .LBB1148_251
.LBB1148_220:                           ;   in Loop: Header=BB1148_103 Depth=2
	global_load_dwordx2 v[42:43], v[64:65], off offset:3072
	s_or_b64 exec, exec, s[70:71]
	v_cmp_lt_u32_e32 vcc, v150, v183
	s_and_saveexec_b64 s[70:71], vcc
	s_cbranch_execnz .LBB1148_252
.LBB1148_221:                           ;   in Loop: Header=BB1148_103 Depth=2
	s_or_b64 exec, exec, s[70:71]
	v_cmp_lt_u32_e32 vcc, v151, v183
	s_and_saveexec_b64 s[70:71], vcc
	s_cbranch_execz .LBB1148_253
.LBB1148_222:                           ;   in Loop: Header=BB1148_103 Depth=2
	v_add_co_u32_e32 v56, vcc, 0x1000, v64
	v_addc_co_u32_e32 v57, vcc, 0, v65, vcc
	global_load_dwordx2 v[56:57], v[56:57], off
	s_or_b64 exec, exec, s[70:71]
	v_cmp_lt_u32_e32 vcc, v152, v183
	s_and_saveexec_b64 s[70:71], vcc
	s_cbranch_execnz .LBB1148_254
.LBB1148_223:                           ;   in Loop: Header=BB1148_103 Depth=2
	s_or_b64 exec, exec, s[70:71]
	v_cmp_lt_u32_e32 vcc, v153, v183
	s_and_saveexec_b64 s[70:71], vcc
	s_cbranch_execz .LBB1148_255
.LBB1148_224:                           ;   in Loop: Header=BB1148_103 Depth=2
	v_add_co_u32_e32 v48, vcc, 0x1000, v64
	v_addc_co_u32_e32 v49, vcc, 0, v65, vcc
	global_load_dwordx2 v[48:49], v[48:49], off offset:1024
	s_or_b64 exec, exec, s[70:71]
	v_cmp_lt_u32_e32 vcc, v154, v183
	s_and_saveexec_b64 s[70:71], vcc
	s_cbranch_execnz .LBB1148_256
.LBB1148_225:                           ;   in Loop: Header=BB1148_103 Depth=2
	s_or_b64 exec, exec, s[70:71]
	v_cmp_lt_u32_e32 vcc, v155, v183
	s_and_saveexec_b64 s[70:71], vcc
	s_cbranch_execz .LBB1148_257
.LBB1148_226:                           ;   in Loop: Header=BB1148_103 Depth=2
	v_add_co_u32_e32 v40, vcc, 0x1000, v64
	v_addc_co_u32_e32 v41, vcc, 0, v65, vcc
	global_load_dwordx2 v[40:41], v[40:41], off offset:2048
	s_or_b64 exec, exec, s[70:71]
	v_cmp_lt_u32_e32 vcc, v156, v183
	s_and_saveexec_b64 s[70:71], vcc
	s_cbranch_execnz .LBB1148_258
.LBB1148_227:                           ;   in Loop: Header=BB1148_103 Depth=2
	s_or_b64 exec, exec, s[70:71]
	v_cmp_lt_u32_e32 vcc, v157, v183
	s_and_saveexec_b64 s[70:71], vcc
	s_cbranch_execz .LBB1148_259
.LBB1148_228:                           ;   in Loop: Header=BB1148_103 Depth=2
	v_add_co_u32_e32 v34, vcc, 0x1000, v64
	v_addc_co_u32_e32 v35, vcc, 0, v65, vcc
	global_load_dwordx2 v[34:35], v[34:35], off offset:3072
	s_or_b64 exec, exec, s[70:71]
	v_cmp_lt_u32_e32 vcc, v158, v183
	s_and_saveexec_b64 s[70:71], vcc
	s_cbranch_execnz .LBB1148_260
.LBB1148_229:                           ;   in Loop: Header=BB1148_103 Depth=2
	s_or_b64 exec, exec, s[70:71]
	s_and_saveexec_b64 s[70:71], s[36:37]
	s_cbranch_execz .LBB1148_261
.LBB1148_230:                           ;   in Loop: Header=BB1148_103 Depth=2
	v_add_u32_e32 v64, v33, v3
	ds_read_b64 v[64:65], v64 offset:1024
	s_waitcnt lgkmcnt(0)
	v_cmp_ne_u64_e32 vcc, s[90:91], v[64:65]
	v_cndmask_b32_e32 v65, v133, v65, vcc
	v_cndmask_b32_e32 v64, -1, v64, vcc
	v_lshrrev_b64 v[64:65], s69, v[64:65]
	v_and_b32_e32 v182, s95, v64
	s_or_b64 exec, exec, s[70:71]
	s_and_saveexec_b64 s[70:71], s[38:39]
	s_cbranch_execnz .LBB1148_262
.LBB1148_231:                           ;   in Loop: Header=BB1148_103 Depth=2
	s_or_b64 exec, exec, s[70:71]
	s_and_saveexec_b64 s[70:71], s[40:41]
	s_cbranch_execz .LBB1148_263
.LBB1148_232:                           ;   in Loop: Header=BB1148_103 Depth=2
	ds_read_b64 v[64:65], v104 offset:4096
	s_waitcnt lgkmcnt(0)
	v_cmp_ne_u64_e32 vcc, s[90:91], v[64:65]
	v_cndmask_b32_e32 v65, v133, v65, vcc
	v_cndmask_b32_e32 v64, -1, v64, vcc
	v_lshrrev_b64 v[64:65], s69, v[64:65]
	v_and_b32_e32 v180, s95, v64
	s_or_b64 exec, exec, s[70:71]
	s_and_saveexec_b64 s[70:71], s[42:43]
	s_cbranch_execnz .LBB1148_264
.LBB1148_233:                           ;   in Loop: Header=BB1148_103 Depth=2
	s_or_b64 exec, exec, s[70:71]
	s_and_saveexec_b64 s[70:71], s[44:45]
	s_cbranch_execz .LBB1148_265
.LBB1148_234:                           ;   in Loop: Header=BB1148_103 Depth=2
	ds_read_b64 v[64:65], v104 offset:8192
	s_waitcnt lgkmcnt(0)
	v_cmp_ne_u64_e32 vcc, s[90:91], v[64:65]
	v_cndmask_b32_e32 v65, v133, v65, vcc
	v_cndmask_b32_e32 v64, -1, v64, vcc
	v_lshrrev_b64 v[64:65], s69, v[64:65]
	v_and_b32_e32 v177, s95, v64
	s_or_b64 exec, exec, s[70:71]
	s_and_saveexec_b64 s[70:71], s[46:47]
	s_cbranch_execnz .LBB1148_266
.LBB1148_235:                           ;   in Loop: Header=BB1148_103 Depth=2
	s_or_b64 exec, exec, s[70:71]
	s_and_saveexec_b64 s[70:71], s[48:49]
	s_cbranch_execz .LBB1148_267
.LBB1148_236:                           ;   in Loop: Header=BB1148_103 Depth=2
	ds_read_b64 v[64:65], v104 offset:12288
	s_waitcnt lgkmcnt(0)
	v_cmp_ne_u64_e32 vcc, s[90:91], v[64:65]
	v_cndmask_b32_e32 v65, v133, v65, vcc
	v_cndmask_b32_e32 v64, -1, v64, vcc
	v_lshrrev_b64 v[64:65], s69, v[64:65]
	v_and_b32_e32 v175, s95, v64
	s_or_b64 exec, exec, s[70:71]
	s_and_saveexec_b64 s[70:71], s[50:51]
	s_cbranch_execnz .LBB1148_268
.LBB1148_237:                           ;   in Loop: Header=BB1148_103 Depth=2
	s_or_b64 exec, exec, s[70:71]
	s_and_saveexec_b64 s[70:71], s[52:53]
	s_cbranch_execz .LBB1148_269
.LBB1148_238:                           ;   in Loop: Header=BB1148_103 Depth=2
	ds_read_b64 v[64:65], v104 offset:16384
	s_waitcnt lgkmcnt(0)
	v_cmp_ne_u64_e32 vcc, s[90:91], v[64:65]
	v_cndmask_b32_e32 v65, v133, v65, vcc
	v_cndmask_b32_e32 v64, -1, v64, vcc
	v_lshrrev_b64 v[64:65], s69, v[64:65]
	v_and_b32_e32 v172, s95, v64
	s_or_b64 exec, exec, s[70:71]
	s_and_saveexec_b64 s[70:71], s[54:55]
	s_cbranch_execnz .LBB1148_270
.LBB1148_239:                           ;   in Loop: Header=BB1148_103 Depth=2
	s_or_b64 exec, exec, s[70:71]
	s_and_saveexec_b64 s[70:71], s[56:57]
	s_cbranch_execz .LBB1148_271
.LBB1148_240:                           ;   in Loop: Header=BB1148_103 Depth=2
	ds_read_b64 v[64:65], v104 offset:20480
	s_waitcnt lgkmcnt(0)
	v_cmp_ne_u64_e32 vcc, s[90:91], v[64:65]
	v_cndmask_b32_e32 v65, v133, v65, vcc
	v_cndmask_b32_e32 v64, -1, v64, vcc
	v_lshrrev_b64 v[64:65], s69, v[64:65]
	v_and_b32_e32 v169, s95, v64
	s_or_b64 exec, exec, s[70:71]
	s_and_saveexec_b64 s[70:71], s[58:59]
	s_cbranch_execnz .LBB1148_272
.LBB1148_241:                           ;   in Loop: Header=BB1148_103 Depth=2
	s_or_b64 exec, exec, s[70:71]
	s_and_saveexec_b64 s[70:71], s[60:61]
	s_cbranch_execz .LBB1148_273
.LBB1148_242:                           ;   in Loop: Header=BB1148_103 Depth=2
	ds_read_b64 v[64:65], v104 offset:24576
	s_waitcnt lgkmcnt(0)
	v_cmp_ne_u64_e32 vcc, s[90:91], v[64:65]
	v_cndmask_b32_e32 v65, v133, v65, vcc
	v_cndmask_b32_e32 v64, -1, v64, vcc
	v_lshrrev_b64 v[64:65], s69, v[64:65]
	v_and_b32_e32 v167, s95, v64
	s_or_b64 exec, exec, s[70:71]
	s_and_saveexec_b64 s[70:71], s[62:63]
	s_cbranch_execnz .LBB1148_274
.LBB1148_243:                           ;   in Loop: Header=BB1148_103 Depth=2
	s_or_b64 exec, exec, s[70:71]
	s_and_saveexec_b64 s[70:71], s[64:65]
	s_cbranch_execz .LBB1148_275
.LBB1148_244:                           ;   in Loop: Header=BB1148_103 Depth=2
	ds_read_b64 v[64:65], v104 offset:28672
	s_waitcnt lgkmcnt(0)
	v_cmp_ne_u64_e32 vcc, s[90:91], v[64:65]
	v_cndmask_b32_e32 v65, v133, v65, vcc
	v_cndmask_b32_e32 v64, -1, v64, vcc
	v_lshrrev_b64 v[64:65], s69, v[64:65]
	v_and_b32_e32 v165, s95, v64
	s_or_b64 exec, exec, s[70:71]
	s_and_saveexec_b64 s[70:71], s[66:67]
	s_cbranch_execnz .LBB1148_276
	s_branch .LBB1148_277
.LBB1148_245:                           ;   in Loop: Header=BB1148_103 Depth=2
	s_or_b64 exec, exec, s[70:71]
	v_cmp_lt_u32_e32 vcc, v144, v183
	s_and_saveexec_b64 s[70:71], vcc
	s_cbranch_execz .LBB1148_215
.LBB1148_246:                           ;   in Loop: Header=BB1148_103 Depth=2
	global_load_dwordx2 v[60:61], v[64:65], off offset:512
	s_or_b64 exec, exec, s[70:71]
	v_cmp_lt_u32_e32 vcc, v145, v183
	s_and_saveexec_b64 s[70:71], vcc
	s_cbranch_execnz .LBB1148_216
.LBB1148_247:                           ;   in Loop: Header=BB1148_103 Depth=2
	s_or_b64 exec, exec, s[70:71]
	v_cmp_lt_u32_e32 vcc, v146, v183
	s_and_saveexec_b64 s[70:71], vcc
	s_cbranch_execz .LBB1148_217
.LBB1148_248:                           ;   in Loop: Header=BB1148_103 Depth=2
	global_load_dwordx2 v[54:55], v[64:65], off offset:1536
	s_or_b64 exec, exec, s[70:71]
	v_cmp_lt_u32_e32 vcc, v147, v183
	s_and_saveexec_b64 s[70:71], vcc
	s_cbranch_execnz .LBB1148_218
.LBB1148_249:                           ;   in Loop: Header=BB1148_103 Depth=2
	s_or_b64 exec, exec, s[70:71]
	v_cmp_lt_u32_e32 vcc, v148, v183
	s_and_saveexec_b64 s[70:71], vcc
	s_cbranch_execz .LBB1148_219
.LBB1148_250:                           ;   in Loop: Header=BB1148_103 Depth=2
	global_load_dwordx2 v[46:47], v[64:65], off offset:2560
	s_or_b64 exec, exec, s[70:71]
	v_cmp_lt_u32_e32 vcc, v149, v183
	s_and_saveexec_b64 s[70:71], vcc
	s_cbranch_execnz .LBB1148_220
.LBB1148_251:                           ;   in Loop: Header=BB1148_103 Depth=2
	s_or_b64 exec, exec, s[70:71]
	v_cmp_lt_u32_e32 vcc, v150, v183
	s_and_saveexec_b64 s[70:71], vcc
	s_cbranch_execz .LBB1148_221
.LBB1148_252:                           ;   in Loop: Header=BB1148_103 Depth=2
	global_load_dwordx2 v[38:39], v[64:65], off offset:3584
	s_or_b64 exec, exec, s[70:71]
	v_cmp_lt_u32_e32 vcc, v151, v183
	s_and_saveexec_b64 s[70:71], vcc
	s_cbranch_execnz .LBB1148_222
.LBB1148_253:                           ;   in Loop: Header=BB1148_103 Depth=2
	s_or_b64 exec, exec, s[70:71]
	v_cmp_lt_u32_e32 vcc, v152, v183
	s_and_saveexec_b64 s[70:71], vcc
	s_cbranch_execz .LBB1148_223
.LBB1148_254:                           ;   in Loop: Header=BB1148_103 Depth=2
	v_add_co_u32_e32 v52, vcc, 0x1000, v64
	v_addc_co_u32_e32 v53, vcc, 0, v65, vcc
	global_load_dwordx2 v[52:53], v[52:53], off offset:512
	s_or_b64 exec, exec, s[70:71]
	v_cmp_lt_u32_e32 vcc, v153, v183
	s_and_saveexec_b64 s[70:71], vcc
	s_cbranch_execnz .LBB1148_224
.LBB1148_255:                           ;   in Loop: Header=BB1148_103 Depth=2
	s_or_b64 exec, exec, s[70:71]
	v_cmp_lt_u32_e32 vcc, v154, v183
	s_and_saveexec_b64 s[70:71], vcc
	s_cbranch_execz .LBB1148_225
.LBB1148_256:                           ;   in Loop: Header=BB1148_103 Depth=2
	v_add_co_u32_e32 v44, vcc, 0x1000, v64
	v_addc_co_u32_e32 v45, vcc, 0, v65, vcc
	global_load_dwordx2 v[44:45], v[44:45], off offset:1536
	s_or_b64 exec, exec, s[70:71]
	v_cmp_lt_u32_e32 vcc, v155, v183
	s_and_saveexec_b64 s[70:71], vcc
	s_cbranch_execnz .LBB1148_226
.LBB1148_257:                           ;   in Loop: Header=BB1148_103 Depth=2
	s_or_b64 exec, exec, s[70:71]
	v_cmp_lt_u32_e32 vcc, v156, v183
	s_and_saveexec_b64 s[70:71], vcc
	s_cbranch_execz .LBB1148_227
.LBB1148_258:                           ;   in Loop: Header=BB1148_103 Depth=2
	v_add_co_u32_e32 v36, vcc, 0x1000, v64
	v_addc_co_u32_e32 v37, vcc, 0, v65, vcc
	global_load_dwordx2 v[36:37], v[36:37], off offset:2560
	s_or_b64 exec, exec, s[70:71]
	v_cmp_lt_u32_e32 vcc, v157, v183
	s_and_saveexec_b64 s[70:71], vcc
	s_cbranch_execnz .LBB1148_228
.LBB1148_259:                           ;   in Loop: Header=BB1148_103 Depth=2
	s_or_b64 exec, exec, s[70:71]
	v_cmp_lt_u32_e32 vcc, v158, v183
	s_and_saveexec_b64 s[70:71], vcc
	s_cbranch_execz .LBB1148_229
.LBB1148_260:                           ;   in Loop: Header=BB1148_103 Depth=2
	v_add_co_u32_e32 v0, vcc, 0x1000, v64
	v_addc_co_u32_e32 v1, vcc, 0, v65, vcc
	global_load_dwordx2 v[0:1], v[0:1], off offset:3584
	s_or_b64 exec, exec, s[70:71]
	s_and_saveexec_b64 s[70:71], s[36:37]
	s_cbranch_execnz .LBB1148_230
.LBB1148_261:                           ;   in Loop: Header=BB1148_103 Depth=2
	s_or_b64 exec, exec, s[70:71]
	s_and_saveexec_b64 s[70:71], s[38:39]
	s_cbranch_execz .LBB1148_231
.LBB1148_262:                           ;   in Loop: Header=BB1148_103 Depth=2
	ds_read_b64 v[64:65], v104 offset:2048
	s_waitcnt lgkmcnt(0)
	v_cmp_ne_u64_e32 vcc, s[90:91], v[64:65]
	v_cndmask_b32_e32 v65, v133, v65, vcc
	v_cndmask_b32_e32 v64, -1, v64, vcc
	v_lshrrev_b64 v[64:65], s69, v[64:65]
	v_and_b32_e32 v181, s95, v64
	s_or_b64 exec, exec, s[70:71]
	s_and_saveexec_b64 s[70:71], s[40:41]
	s_cbranch_execnz .LBB1148_232
.LBB1148_263:                           ;   in Loop: Header=BB1148_103 Depth=2
	s_or_b64 exec, exec, s[70:71]
	s_and_saveexec_b64 s[70:71], s[42:43]
	s_cbranch_execz .LBB1148_233
.LBB1148_264:                           ;   in Loop: Header=BB1148_103 Depth=2
	ds_read_b64 v[64:65], v104 offset:6144
	s_waitcnt lgkmcnt(0)
	v_cmp_ne_u64_e32 vcc, s[90:91], v[64:65]
	v_cndmask_b32_e32 v65, v133, v65, vcc
	v_cndmask_b32_e32 v64, -1, v64, vcc
	v_lshrrev_b64 v[64:65], s69, v[64:65]
	v_and_b32_e32 v179, s95, v64
	s_or_b64 exec, exec, s[70:71]
	s_and_saveexec_b64 s[70:71], s[44:45]
	s_cbranch_execnz .LBB1148_234
.LBB1148_265:                           ;   in Loop: Header=BB1148_103 Depth=2
	s_or_b64 exec, exec, s[70:71]
	s_and_saveexec_b64 s[70:71], s[46:47]
	s_cbranch_execz .LBB1148_235
.LBB1148_266:                           ;   in Loop: Header=BB1148_103 Depth=2
	ds_read_b64 v[64:65], v104 offset:10240
	s_waitcnt lgkmcnt(0)
	v_cmp_ne_u64_e32 vcc, s[90:91], v[64:65]
	v_cndmask_b32_e32 v65, v133, v65, vcc
	v_cndmask_b32_e32 v64, -1, v64, vcc
	v_lshrrev_b64 v[64:65], s69, v[64:65]
	v_and_b32_e32 v176, s95, v64
	s_or_b64 exec, exec, s[70:71]
	s_and_saveexec_b64 s[70:71], s[48:49]
	s_cbranch_execnz .LBB1148_236
.LBB1148_267:                           ;   in Loop: Header=BB1148_103 Depth=2
	s_or_b64 exec, exec, s[70:71]
	s_and_saveexec_b64 s[70:71], s[50:51]
	s_cbranch_execz .LBB1148_237
.LBB1148_268:                           ;   in Loop: Header=BB1148_103 Depth=2
	ds_read_b64 v[64:65], v104 offset:14336
	s_waitcnt lgkmcnt(0)
	v_cmp_ne_u64_e32 vcc, s[90:91], v[64:65]
	v_cndmask_b32_e32 v65, v133, v65, vcc
	v_cndmask_b32_e32 v64, -1, v64, vcc
	v_lshrrev_b64 v[64:65], s69, v[64:65]
	v_and_b32_e32 v174, s95, v64
	s_or_b64 exec, exec, s[70:71]
	s_and_saveexec_b64 s[70:71], s[52:53]
	s_cbranch_execnz .LBB1148_238
.LBB1148_269:                           ;   in Loop: Header=BB1148_103 Depth=2
	s_or_b64 exec, exec, s[70:71]
	s_and_saveexec_b64 s[70:71], s[54:55]
	s_cbranch_execz .LBB1148_239
.LBB1148_270:                           ;   in Loop: Header=BB1148_103 Depth=2
	ds_read_b64 v[64:65], v104 offset:18432
	s_waitcnt lgkmcnt(0)
	v_cmp_ne_u64_e32 vcc, s[90:91], v[64:65]
	v_cndmask_b32_e32 v65, v133, v65, vcc
	v_cndmask_b32_e32 v64, -1, v64, vcc
	v_lshrrev_b64 v[64:65], s69, v[64:65]
	v_and_b32_e32 v171, s95, v64
	s_or_b64 exec, exec, s[70:71]
	s_and_saveexec_b64 s[70:71], s[56:57]
	s_cbranch_execnz .LBB1148_240
.LBB1148_271:                           ;   in Loop: Header=BB1148_103 Depth=2
	s_or_b64 exec, exec, s[70:71]
	s_and_saveexec_b64 s[70:71], s[58:59]
	s_cbranch_execz .LBB1148_241
.LBB1148_272:                           ;   in Loop: Header=BB1148_103 Depth=2
	ds_read_b64 v[64:65], v104 offset:22528
	s_waitcnt lgkmcnt(0)
	v_cmp_ne_u64_e32 vcc, s[90:91], v[64:65]
	v_cndmask_b32_e32 v65, v133, v65, vcc
	v_cndmask_b32_e32 v64, -1, v64, vcc
	v_lshrrev_b64 v[64:65], s69, v[64:65]
	v_and_b32_e32 v168, s95, v64
	s_or_b64 exec, exec, s[70:71]
	s_and_saveexec_b64 s[70:71], s[60:61]
	s_cbranch_execnz .LBB1148_242
.LBB1148_273:                           ;   in Loop: Header=BB1148_103 Depth=2
	s_or_b64 exec, exec, s[70:71]
	s_and_saveexec_b64 s[70:71], s[62:63]
	s_cbranch_execz .LBB1148_243
.LBB1148_274:                           ;   in Loop: Header=BB1148_103 Depth=2
	ds_read_b64 v[64:65], v104 offset:26624
	s_waitcnt lgkmcnt(0)
	v_cmp_ne_u64_e32 vcc, s[90:91], v[64:65]
	v_cndmask_b32_e32 v65, v133, v65, vcc
	v_cndmask_b32_e32 v64, -1, v64, vcc
	v_lshrrev_b64 v[64:65], s69, v[64:65]
	v_and_b32_e32 v166, s95, v64
	s_or_b64 exec, exec, s[70:71]
	s_and_saveexec_b64 s[70:71], s[64:65]
	s_cbranch_execnz .LBB1148_244
.LBB1148_275:                           ;   in Loop: Header=BB1148_103 Depth=2
	s_or_b64 exec, exec, s[70:71]
	s_and_saveexec_b64 s[70:71], s[66:67]
	s_cbranch_execz .LBB1148_277
.LBB1148_276:                           ;   in Loop: Header=BB1148_103 Depth=2
	ds_read_b64 v[64:65], v104 offset:30720
	s_waitcnt lgkmcnt(0)
	v_cmp_ne_u64_e32 vcc, s[90:91], v[64:65]
	v_cndmask_b32_e32 v65, v133, v65, vcc
	v_cndmask_b32_e32 v64, -1, v64, vcc
	v_lshrrev_b64 v[64:65], s69, v[64:65]
	v_and_b32_e32 v164, s95, v64
.LBB1148_277:                           ;   in Loop: Header=BB1148_103 Depth=2
	s_or_b64 exec, exec, s[70:71]
	v_add_u32_e32 v64, 0x400, v96
	v_add_u32_e32 v65, 0x400, v97
	;; [unrolled: 1-line block ×16, first 2 shown]
	s_barrier
	s_waitcnt vmcnt(0)
	ds_write_b64 v64, v[62:63]
	ds_write_b64 v65, v[60:61]
	;; [unrolled: 1-line block ×16, first 2 shown]
	s_waitcnt lgkmcnt(0)
	s_barrier
	s_and_saveexec_b64 s[70:71], s[36:37]
	s_cbranch_execz .LBB1148_293
; %bb.278:                              ;   in Loop: Header=BB1148_103 Depth=2
	v_lshlrev_b32_e32 v64, 2, v182
	ds_read_b32 v66, v64
	v_add_u32_e32 v64, v33, v3
	ds_read_b64 v[64:65], v64 offset:1024
	v_mov_b32_e32 v67, v4
	v_mov_b32_e32 v68, s81
	s_waitcnt lgkmcnt(1)
	v_add_u32_e32 v66, v66, v2
	v_lshlrev_b64 v[66:67], 3, v[66:67]
	v_add_co_u32_e32 v66, vcc, s80, v66
	v_addc_co_u32_e32 v67, vcc, v68, v67, vcc
	s_waitcnt lgkmcnt(0)
	global_store_dwordx2 v[66:67], v[64:65], off
	s_or_b64 exec, exec, s[70:71]
	s_and_saveexec_b64 s[36:37], s[38:39]
	s_cbranch_execnz .LBB1148_294
.LBB1148_279:                           ;   in Loop: Header=BB1148_103 Depth=2
	s_or_b64 exec, exec, s[36:37]
	s_and_saveexec_b64 s[36:37], s[40:41]
	s_cbranch_execz .LBB1148_295
.LBB1148_280:                           ;   in Loop: Header=BB1148_103 Depth=2
	v_lshlrev_b32_e32 v64, 2, v180
	ds_read_b32 v66, v64
	ds_read_b64 v[64:65], v104 offset:4096
	v_mov_b32_e32 v67, v4
	v_mov_b32_e32 v68, s81
	s_waitcnt lgkmcnt(1)
	v_add_u32_e32 v66, v66, v6
	v_lshlrev_b64 v[66:67], 3, v[66:67]
	v_add_co_u32_e32 v66, vcc, s80, v66
	v_addc_co_u32_e32 v67, vcc, v68, v67, vcc
	s_waitcnt lgkmcnt(0)
	global_store_dwordx2 v[66:67], v[64:65], off
	s_or_b64 exec, exec, s[36:37]
	s_and_saveexec_b64 s[36:37], s[42:43]
	s_cbranch_execnz .LBB1148_296
.LBB1148_281:                           ;   in Loop: Header=BB1148_103 Depth=2
	s_or_b64 exec, exec, s[36:37]
	s_and_saveexec_b64 s[36:37], s[44:45]
	s_cbranch_execz .LBB1148_297
.LBB1148_282:                           ;   in Loop: Header=BB1148_103 Depth=2
	v_lshlrev_b32_e32 v64, 2, v177
	ds_read_b32 v66, v64
	ds_read_b64 v[64:65], v104 offset:8192
	v_mov_b32_e32 v67, v4
	v_mov_b32_e32 v68, s81
	s_waitcnt lgkmcnt(1)
	v_add_u32_e32 v66, v66, v10
	v_lshlrev_b64 v[66:67], 3, v[66:67]
	v_add_co_u32_e32 v66, vcc, s80, v66
	v_addc_co_u32_e32 v67, vcc, v68, v67, vcc
	s_waitcnt lgkmcnt(0)
	global_store_dwordx2 v[66:67], v[64:65], off
	s_or_b64 exec, exec, s[36:37]
	s_and_saveexec_b64 s[36:37], s[46:47]
	s_cbranch_execnz .LBB1148_298
.LBB1148_283:                           ;   in Loop: Header=BB1148_103 Depth=2
	s_or_b64 exec, exec, s[36:37]
	s_and_saveexec_b64 s[36:37], s[48:49]
	s_cbranch_execz .LBB1148_299
.LBB1148_284:                           ;   in Loop: Header=BB1148_103 Depth=2
	v_lshlrev_b32_e32 v64, 2, v175
	ds_read_b32 v66, v64
	ds_read_b64 v[64:65], v104 offset:12288
	v_mov_b32_e32 v67, v4
	v_mov_b32_e32 v68, s81
	s_waitcnt lgkmcnt(1)
	v_add_u32_e32 v66, v66, v14
	v_lshlrev_b64 v[66:67], 3, v[66:67]
	v_add_co_u32_e32 v66, vcc, s80, v66
	v_addc_co_u32_e32 v67, vcc, v68, v67, vcc
	s_waitcnt lgkmcnt(0)
	global_store_dwordx2 v[66:67], v[64:65], off
	s_or_b64 exec, exec, s[36:37]
	s_and_saveexec_b64 s[36:37], s[50:51]
	s_cbranch_execnz .LBB1148_300
.LBB1148_285:                           ;   in Loop: Header=BB1148_103 Depth=2
	s_or_b64 exec, exec, s[36:37]
	s_and_saveexec_b64 s[36:37], s[52:53]
	s_cbranch_execz .LBB1148_301
.LBB1148_286:                           ;   in Loop: Header=BB1148_103 Depth=2
	v_lshlrev_b32_e32 v64, 2, v172
	ds_read_b32 v66, v64
	ds_read_b64 v[64:65], v104 offset:16384
	v_mov_b32_e32 v67, v4
	v_mov_b32_e32 v68, s81
	s_waitcnt lgkmcnt(1)
	v_add_u32_e32 v66, v66, v18
	v_lshlrev_b64 v[66:67], 3, v[66:67]
	v_add_co_u32_e32 v66, vcc, s80, v66
	v_addc_co_u32_e32 v67, vcc, v68, v67, vcc
	s_waitcnt lgkmcnt(0)
	global_store_dwordx2 v[66:67], v[64:65], off
	s_or_b64 exec, exec, s[36:37]
	s_and_saveexec_b64 s[36:37], s[54:55]
	s_cbranch_execnz .LBB1148_302
.LBB1148_287:                           ;   in Loop: Header=BB1148_103 Depth=2
	s_or_b64 exec, exec, s[36:37]
	s_and_saveexec_b64 s[36:37], s[56:57]
	s_cbranch_execz .LBB1148_303
.LBB1148_288:                           ;   in Loop: Header=BB1148_103 Depth=2
	v_lshlrev_b32_e32 v64, 2, v169
	ds_read_b32 v66, v64
	ds_read_b64 v[64:65], v104 offset:20480
	v_mov_b32_e32 v67, v4
	v_mov_b32_e32 v68, s81
	s_waitcnt lgkmcnt(1)
	v_add_u32_e32 v66, v66, v22
	v_lshlrev_b64 v[66:67], 3, v[66:67]
	v_add_co_u32_e32 v66, vcc, s80, v66
	v_addc_co_u32_e32 v67, vcc, v68, v67, vcc
	s_waitcnt lgkmcnt(0)
	global_store_dwordx2 v[66:67], v[64:65], off
	s_or_b64 exec, exec, s[36:37]
	s_and_saveexec_b64 s[36:37], s[58:59]
	s_cbranch_execnz .LBB1148_304
.LBB1148_289:                           ;   in Loop: Header=BB1148_103 Depth=2
	s_or_b64 exec, exec, s[36:37]
	s_and_saveexec_b64 s[36:37], s[60:61]
	s_cbranch_execz .LBB1148_305
.LBB1148_290:                           ;   in Loop: Header=BB1148_103 Depth=2
	v_lshlrev_b32_e32 v64, 2, v167
	ds_read_b32 v66, v64
	ds_read_b64 v[64:65], v104 offset:24576
	v_mov_b32_e32 v67, v4
	v_mov_b32_e32 v68, s81
	s_waitcnt lgkmcnt(1)
	v_add_u32_e32 v66, v66, v26
	v_lshlrev_b64 v[66:67], 3, v[66:67]
	v_add_co_u32_e32 v66, vcc, s80, v66
	v_addc_co_u32_e32 v67, vcc, v68, v67, vcc
	s_waitcnt lgkmcnt(0)
	global_store_dwordx2 v[66:67], v[64:65], off
	s_or_b64 exec, exec, s[36:37]
	s_and_saveexec_b64 s[36:37], s[62:63]
	s_cbranch_execnz .LBB1148_306
.LBB1148_291:                           ;   in Loop: Header=BB1148_103 Depth=2
	s_or_b64 exec, exec, s[36:37]
	s_and_saveexec_b64 s[36:37], s[64:65]
	s_cbranch_execz .LBB1148_307
.LBB1148_292:                           ;   in Loop: Header=BB1148_103 Depth=2
	v_lshlrev_b32_e32 v64, 2, v165
	ds_read_b32 v66, v64
	ds_read_b64 v[64:65], v104 offset:28672
	v_mov_b32_e32 v67, v4
	v_mov_b32_e32 v68, s81
	s_waitcnt lgkmcnt(1)
	v_add_u32_e32 v66, v66, v30
	v_lshlrev_b64 v[66:67], 3, v[66:67]
	v_add_co_u32_e32 v66, vcc, s80, v66
	v_addc_co_u32_e32 v67, vcc, v68, v67, vcc
	s_waitcnt lgkmcnt(0)
	global_store_dwordx2 v[66:67], v[64:65], off
	s_or_b64 exec, exec, s[36:37]
	s_and_saveexec_b64 s[36:37], s[66:67]
	s_cbranch_execnz .LBB1148_308
	s_branch .LBB1148_309
.LBB1148_293:                           ;   in Loop: Header=BB1148_103 Depth=2
	s_or_b64 exec, exec, s[70:71]
	s_and_saveexec_b64 s[36:37], s[38:39]
	s_cbranch_execz .LBB1148_279
.LBB1148_294:                           ;   in Loop: Header=BB1148_103 Depth=2
	v_lshlrev_b32_e32 v64, 2, v181
	ds_read_b32 v66, v64
	ds_read_b64 v[64:65], v104 offset:2048
	v_mov_b32_e32 v67, v4
	v_mov_b32_e32 v68, s81
	s_waitcnt lgkmcnt(1)
	v_add_u32_e32 v66, v66, v7
	v_lshlrev_b64 v[66:67], 3, v[66:67]
	v_add_co_u32_e32 v66, vcc, s80, v66
	v_addc_co_u32_e32 v67, vcc, v68, v67, vcc
	s_waitcnt lgkmcnt(0)
	global_store_dwordx2 v[66:67], v[64:65], off
	s_or_b64 exec, exec, s[36:37]
	s_and_saveexec_b64 s[36:37], s[40:41]
	s_cbranch_execnz .LBB1148_280
.LBB1148_295:                           ;   in Loop: Header=BB1148_103 Depth=2
	s_or_b64 exec, exec, s[36:37]
	s_and_saveexec_b64 s[36:37], s[42:43]
	s_cbranch_execz .LBB1148_281
.LBB1148_296:                           ;   in Loop: Header=BB1148_103 Depth=2
	v_lshlrev_b32_e32 v64, 2, v179
	ds_read_b32 v66, v64
	ds_read_b64 v[64:65], v104 offset:6144
	v_mov_b32_e32 v67, v4
	v_mov_b32_e32 v68, s81
	s_waitcnt lgkmcnt(1)
	v_add_u32_e32 v66, v66, v8
	v_lshlrev_b64 v[66:67], 3, v[66:67]
	v_add_co_u32_e32 v66, vcc, s80, v66
	v_addc_co_u32_e32 v67, vcc, v68, v67, vcc
	s_waitcnt lgkmcnt(0)
	global_store_dwordx2 v[66:67], v[64:65], off
	s_or_b64 exec, exec, s[36:37]
	s_and_saveexec_b64 s[36:37], s[44:45]
	s_cbranch_execnz .LBB1148_282
.LBB1148_297:                           ;   in Loop: Header=BB1148_103 Depth=2
	s_or_b64 exec, exec, s[36:37]
	s_and_saveexec_b64 s[36:37], s[46:47]
	s_cbranch_execz .LBB1148_283
.LBB1148_298:                           ;   in Loop: Header=BB1148_103 Depth=2
	v_lshlrev_b32_e32 v64, 2, v176
	ds_read_b32 v66, v64
	ds_read_b64 v[64:65], v104 offset:10240
	v_mov_b32_e32 v67, v4
	v_mov_b32_e32 v68, s81
	s_waitcnt lgkmcnt(1)
	v_add_u32_e32 v66, v66, v12
	v_lshlrev_b64 v[66:67], 3, v[66:67]
	v_add_co_u32_e32 v66, vcc, s80, v66
	v_addc_co_u32_e32 v67, vcc, v68, v67, vcc
	s_waitcnt lgkmcnt(0)
	global_store_dwordx2 v[66:67], v[64:65], off
	s_or_b64 exec, exec, s[36:37]
	s_and_saveexec_b64 s[36:37], s[48:49]
	s_cbranch_execnz .LBB1148_284
.LBB1148_299:                           ;   in Loop: Header=BB1148_103 Depth=2
	s_or_b64 exec, exec, s[36:37]
	s_and_saveexec_b64 s[36:37], s[50:51]
	s_cbranch_execz .LBB1148_285
.LBB1148_300:                           ;   in Loop: Header=BB1148_103 Depth=2
	v_lshlrev_b32_e32 v64, 2, v174
	ds_read_b32 v66, v64
	ds_read_b64 v[64:65], v104 offset:14336
	v_mov_b32_e32 v67, v4
	v_mov_b32_e32 v68, s81
	s_waitcnt lgkmcnt(1)
	v_add_u32_e32 v66, v66, v16
	v_lshlrev_b64 v[66:67], 3, v[66:67]
	v_add_co_u32_e32 v66, vcc, s80, v66
	v_addc_co_u32_e32 v67, vcc, v68, v67, vcc
	s_waitcnt lgkmcnt(0)
	global_store_dwordx2 v[66:67], v[64:65], off
	s_or_b64 exec, exec, s[36:37]
	s_and_saveexec_b64 s[36:37], s[52:53]
	s_cbranch_execnz .LBB1148_286
.LBB1148_301:                           ;   in Loop: Header=BB1148_103 Depth=2
	s_or_b64 exec, exec, s[36:37]
	s_and_saveexec_b64 s[36:37], s[54:55]
	s_cbranch_execz .LBB1148_287
.LBB1148_302:                           ;   in Loop: Header=BB1148_103 Depth=2
	v_lshlrev_b32_e32 v64, 2, v171
	ds_read_b32 v66, v64
	ds_read_b64 v[64:65], v104 offset:18432
	v_mov_b32_e32 v67, v4
	v_mov_b32_e32 v68, s81
	s_waitcnt lgkmcnt(1)
	v_add_u32_e32 v66, v66, v20
	v_lshlrev_b64 v[66:67], 3, v[66:67]
	v_add_co_u32_e32 v66, vcc, s80, v66
	v_addc_co_u32_e32 v67, vcc, v68, v67, vcc
	s_waitcnt lgkmcnt(0)
	global_store_dwordx2 v[66:67], v[64:65], off
	s_or_b64 exec, exec, s[36:37]
	s_and_saveexec_b64 s[36:37], s[56:57]
	s_cbranch_execnz .LBB1148_288
.LBB1148_303:                           ;   in Loop: Header=BB1148_103 Depth=2
	s_or_b64 exec, exec, s[36:37]
	s_and_saveexec_b64 s[36:37], s[58:59]
	s_cbranch_execz .LBB1148_289
.LBB1148_304:                           ;   in Loop: Header=BB1148_103 Depth=2
	v_lshlrev_b32_e32 v64, 2, v168
	ds_read_b32 v66, v64
	ds_read_b64 v[64:65], v104 offset:22528
	v_mov_b32_e32 v67, v4
	v_mov_b32_e32 v68, s81
	s_waitcnt lgkmcnt(1)
	v_add_u32_e32 v66, v66, v24
	v_lshlrev_b64 v[66:67], 3, v[66:67]
	v_add_co_u32_e32 v66, vcc, s80, v66
	v_addc_co_u32_e32 v67, vcc, v68, v67, vcc
	s_waitcnt lgkmcnt(0)
	global_store_dwordx2 v[66:67], v[64:65], off
	s_or_b64 exec, exec, s[36:37]
	s_and_saveexec_b64 s[36:37], s[60:61]
	s_cbranch_execnz .LBB1148_290
.LBB1148_305:                           ;   in Loop: Header=BB1148_103 Depth=2
	s_or_b64 exec, exec, s[36:37]
	s_and_saveexec_b64 s[36:37], s[62:63]
	s_cbranch_execz .LBB1148_291
.LBB1148_306:                           ;   in Loop: Header=BB1148_103 Depth=2
	v_lshlrev_b32_e32 v64, 2, v166
	ds_read_b32 v66, v64
	ds_read_b64 v[64:65], v104 offset:26624
	v_mov_b32_e32 v67, v4
	v_mov_b32_e32 v68, s81
	s_waitcnt lgkmcnt(1)
	v_add_u32_e32 v66, v66, v28
	v_lshlrev_b64 v[66:67], 3, v[66:67]
	v_add_co_u32_e32 v66, vcc, s80, v66
	v_addc_co_u32_e32 v67, vcc, v68, v67, vcc
	s_waitcnt lgkmcnt(0)
	global_store_dwordx2 v[66:67], v[64:65], off
	s_or_b64 exec, exec, s[36:37]
	s_and_saveexec_b64 s[36:37], s[64:65]
	s_cbranch_execnz .LBB1148_292
.LBB1148_307:                           ;   in Loop: Header=BB1148_103 Depth=2
	s_or_b64 exec, exec, s[36:37]
	s_and_saveexec_b64 s[36:37], s[66:67]
	s_cbranch_execz .LBB1148_309
.LBB1148_308:                           ;   in Loop: Header=BB1148_103 Depth=2
	v_lshlrev_b32_e32 v64, 2, v164
	ds_read_b32 v66, v64
	ds_read_b64 v[64:65], v104 offset:30720
	v_mov_b32_e32 v67, v4
	v_mov_b32_e32 v68, s81
	s_waitcnt lgkmcnt(1)
	v_add_u32_e32 v66, v66, v32
	v_lshlrev_b64 v[66:67], 3, v[66:67]
	v_add_co_u32_e32 v66, vcc, s80, v66
	v_addc_co_u32_e32 v67, vcc, v68, v67, vcc
	s_waitcnt lgkmcnt(0)
	global_store_dwordx2 v[66:67], v[64:65], off
.LBB1148_309:                           ;   in Loop: Header=BB1148_103 Depth=2
	s_or_b64 exec, exec, s[36:37]
	s_barrier
	s_and_saveexec_b64 s[36:37], s[4:5]
	s_cbranch_execz .LBB1148_102
; %bb.310:                              ;   in Loop: Header=BB1148_103 Depth=2
	ds_read_b32 v64, v3
	s_waitcnt lgkmcnt(0)
	v_add_u32_e32 v5, v64, v5
	ds_write_b32 v3, v5
	s_branch .LBB1148_102
.LBB1148_311:                           ;   in Loop: Header=BB1148_17 Depth=1
	s_waitcnt lgkmcnt(0)
	s_barrier
	s_mov_b64 s[16:17], 0
	v_readlane_b32 s86, v236, 2
.LBB1148_312:                           ;   in Loop: Header=BB1148_17 Depth=1
	s_and_b64 vcc, exec, s[16:17]
	s_cbranch_vccz .LBB1148_606
; %bb.313:                              ;   in Loop: Header=BB1148_17 Depth=1
	v_readlane_b32 s16, v236, 3
	s_mov_b32 s24, s86
	s_mov_b32 s18, s16
	s_barrier
	s_waitcnt lgkmcnt(0)
                                        ; implicit-def: $vgpr62_vgpr63
                                        ; implicit-def: $vgpr0_vgpr1
                                        ; implicit-def: $vgpr34_vgpr35
                                        ; implicit-def: $vgpr36_vgpr37
                                        ; implicit-def: $vgpr38_vgpr39
                                        ; implicit-def: $vgpr40_vgpr41
                                        ; implicit-def: $vgpr42_vgpr43
                                        ; implicit-def: $vgpr44_vgpr45
                                        ; implicit-def: $vgpr46_vgpr47
                                        ; implicit-def: $vgpr48_vgpr49
                                        ; implicit-def: $vgpr50_vgpr51
                                        ; implicit-def: $vgpr52_vgpr53
                                        ; implicit-def: $vgpr54_vgpr55
                                        ; implicit-def: $vgpr56_vgpr57
                                        ; implicit-def: $vgpr58_vgpr59
                                        ; implicit-def: $vgpr60_vgpr61
	s_branch .LBB1148_315
.LBB1148_314:                           ;   in Loop: Header=BB1148_315 Depth=2
	s_or_b64 exec, exec, s[16:17]
	s_addk_i32 s24, 0xf000
	s_cmp_ge_u32 s25, s96
	s_mov_b32 s18, s25
	s_cbranch_scc1 .LBB1148_385
.LBB1148_315:                           ;   Parent Loop BB1148_17 Depth=1
                                        ; =>  This Inner Loop Header: Depth=2
	s_add_i32 s25, s18, 0x1000
	s_cmp_gt_u32 s25, s96
	s_cbranch_scc1 .LBB1148_318
; %bb.316:                              ;   in Loop: Header=BB1148_315 Depth=2
	s_mov_b32 s19, s90
	s_lshl_b64 s[16:17], s[18:19], 3
	v_mov_b32_e32 v5, s17
	v_add_co_u32_e32 v64, vcc, s16, v105
	v_addc_co_u32_e32 v65, vcc, v106, v5, vcc
	s_waitcnt vmcnt(11)
	v_add_co_u32_e32 v72, vcc, 0x1000, v64
	v_addc_co_u32_e32 v73, vcc, 0, v65, vcc
	s_waitcnt vmcnt(5)
	;; [unrolled: 3-line block ×3, first 2 shown]
	v_add_co_u32_e32 v82, vcc, s98, v64
	v_addc_co_u32_e32 v83, vcc, 0, v65, vcc
	v_add_co_u32_e32 v86, vcc, s99, v64
	v_addc_co_u32_e32 v87, vcc, 0, v65, vcc
	v_add_co_u32_e32 v88, vcc, s33, v64
	v_addc_co_u32_e32 v89, vcc, 0, v65, vcc
	v_add_co_u32_e32 v92, vcc, s68, v64
	v_addc_co_u32_e32 v93, vcc, 0, v65, vcc
	global_load_dwordx2 v[66:67], v[64:65], off
	global_load_dwordx2 v[68:69], v[64:65], off offset:2048
	global_load_dwordx2 v[70:71], v[72:73], off
	s_nop 0
	global_load_dwordx2 v[72:73], v[72:73], off offset:2048
	s_nop 0
	global_load_dwordx2 v[74:75], v[82:83], off
	global_load_dwordx2 v[76:77], v[82:83], off offset:2048
	global_load_dwordx2 v[80:81], v[88:89], off offset:-4096
	global_load_dwordx2 v[84:85], v[88:89], off
	s_nop 0
	global_load_dwordx2 v[88:89], v[88:89], off offset:2048
	s_nop 0
	global_load_dwordx2 v[78:79], v[78:79], off offset:2048
	;; [unrolled: 2-line block ×3, first 2 shown]
	s_nop 0
	global_load_dwordx2 v[90:91], v[92:93], off
	s_nop 0
	global_load_dwordx2 v[92:93], v[92:93], off offset:2048
	s_waitcnt vmcnt(13)
	v_add_co_u32_e32 v94, vcc, 0x7000, v64
	v_addc_co_u32_e32 v95, vcc, 0, v65, vcc
	global_load_dwordx2 v[82:83], v[82:83], off offset:-4096
	s_nop 0
	global_load_dwordx2 v[94:95], v[94:95], off
	v_add_co_u32_e32 v64, vcc, 0x7800, v64
	s_movk_i32 s26, 0x1000
	v_addc_co_u32_e32 v65, vcc, 0, v65, vcc
	s_mov_b64 s[16:17], -1
	s_cbranch_execz .LBB1148_319
; %bb.317:                              ;   in Loop: Header=BB1148_315 Depth=2
                                        ; implicit-def: $vgpr60_vgpr61
                                        ; implicit-def: $vgpr58_vgpr59
                                        ; implicit-def: $vgpr56_vgpr57
                                        ; implicit-def: $vgpr54_vgpr55
                                        ; implicit-def: $vgpr52_vgpr53
                                        ; implicit-def: $vgpr50_vgpr51
                                        ; implicit-def: $vgpr48_vgpr49
                                        ; implicit-def: $vgpr46_vgpr47
                                        ; implicit-def: $vgpr44_vgpr45
                                        ; implicit-def: $vgpr42_vgpr43
                                        ; implicit-def: $vgpr40_vgpr41
                                        ; implicit-def: $vgpr38_vgpr39
                                        ; implicit-def: $vgpr36_vgpr37
                                        ; implicit-def: $vgpr34_vgpr35
                                        ; implicit-def: $vgpr0_vgpr1
                                        ; implicit-def: $vgpr62_vgpr63
	v_mov_b32_e32 v5, s24
	s_and_saveexec_b64 s[18:19], s[16:17]
	s_cbranch_execnz .LBB1148_338
	s_branch .LBB1148_339
.LBB1148_318:                           ;   in Loop: Header=BB1148_315 Depth=2
	s_mov_b64 s[16:17], 0
                                        ; implicit-def: $sgpr26
                                        ; implicit-def: $vgpr66_vgpr67
                                        ; implicit-def: $vgpr68_vgpr69
                                        ; implicit-def: $vgpr70_vgpr71
                                        ; implicit-def: $vgpr72_vgpr73
                                        ; implicit-def: $vgpr82_vgpr83
                                        ; implicit-def: $vgpr78_vgpr79
                                        ; implicit-def: $vgpr74_vgpr75
                                        ; implicit-def: $vgpr76_vgpr77
                                        ; implicit-def: $vgpr80_vgpr81
                                        ; implicit-def: $vgpr86_vgpr87
                                        ; implicit-def: $vgpr84_vgpr85
                                        ; implicit-def: $vgpr88_vgpr89
                                        ; implicit-def: $vgpr90_vgpr91
                                        ; implicit-def: $vgpr92_vgpr93
                                        ; implicit-def: $vgpr94_vgpr95
                                        ; implicit-def: $vgpr64_vgpr65
.LBB1148_319:                           ;   in Loop: Header=BB1148_315 Depth=2
	s_mov_b32 s19, s90
	s_lshl_b64 s[20:21], s[18:19], 3
	s_add_u32 s20, s74, s20
	s_addc_u32 s21, s75, s21
	v_cmp_gt_u32_e32 vcc, s24, v2
	s_and_saveexec_b64 s[22:23], vcc
	s_cbranch_execz .LBB1148_371
; %bb.320:                              ;   in Loop: Header=BB1148_315 Depth=2
	global_load_dwordx2 v[60:61], v118, s[20:21]
	s_or_b64 exec, exec, s[22:23]
	v_cmp_gt_u32_e32 vcc, s24, v7
	s_and_saveexec_b64 s[22:23], vcc
	s_cbranch_execnz .LBB1148_372
.LBB1148_321:                           ;   in Loop: Header=BB1148_315 Depth=2
	s_or_b64 exec, exec, s[22:23]
	v_cmp_gt_u32_e32 vcc, s24, v6
	s_and_saveexec_b64 s[22:23], vcc
	s_cbranch_execz .LBB1148_373
.LBB1148_322:                           ;   in Loop: Header=BB1148_315 Depth=2
	global_load_dwordx2 v[56:57], v119, s[20:21]
	s_or_b64 exec, exec, s[22:23]
	v_cmp_gt_u32_e32 vcc, s24, v8
	s_and_saveexec_b64 s[22:23], vcc
	s_cbranch_execnz .LBB1148_374
.LBB1148_323:                           ;   in Loop: Header=BB1148_315 Depth=2
	s_or_b64 exec, exec, s[22:23]
	v_cmp_gt_u32_e32 vcc, s24, v10
	s_and_saveexec_b64 s[22:23], vcc
	s_cbranch_execz .LBB1148_375
.LBB1148_324:                           ;   in Loop: Header=BB1148_315 Depth=2
	global_load_dwordx2 v[52:53], v121, s[20:21]
	s_or_b64 exec, exec, s[22:23]
	v_cmp_gt_u32_e32 vcc, s24, v12
	s_and_saveexec_b64 s[22:23], vcc
	s_cbranch_execnz .LBB1148_376
.LBB1148_325:                           ;   in Loop: Header=BB1148_315 Depth=2
	s_or_b64 exec, exec, s[22:23]
	v_cmp_gt_u32_e32 vcc, s24, v14
	s_and_saveexec_b64 s[22:23], vcc
	s_cbranch_execz .LBB1148_377
.LBB1148_326:                           ;   in Loop: Header=BB1148_315 Depth=2
	global_load_dwordx2 v[48:49], v123, s[20:21]
	s_or_b64 exec, exec, s[22:23]
	v_cmp_gt_u32_e32 vcc, s24, v16
	s_and_saveexec_b64 s[22:23], vcc
	s_cbranch_execnz .LBB1148_378
.LBB1148_327:                           ;   in Loop: Header=BB1148_315 Depth=2
	s_or_b64 exec, exec, s[22:23]
	v_cmp_gt_u32_e32 vcc, s24, v18
	s_and_saveexec_b64 s[22:23], vcc
	s_cbranch_execz .LBB1148_379
.LBB1148_328:                           ;   in Loop: Header=BB1148_315 Depth=2
	global_load_dwordx2 v[44:45], v125, s[20:21]
	s_or_b64 exec, exec, s[22:23]
	v_cmp_gt_u32_e32 vcc, s24, v20
	s_and_saveexec_b64 s[22:23], vcc
	s_cbranch_execnz .LBB1148_380
.LBB1148_329:                           ;   in Loop: Header=BB1148_315 Depth=2
	s_or_b64 exec, exec, s[22:23]
	v_cmp_gt_u32_e32 vcc, s24, v22
	s_and_saveexec_b64 s[22:23], vcc
	s_cbranch_execz .LBB1148_381
.LBB1148_330:                           ;   in Loop: Header=BB1148_315 Depth=2
	global_load_dwordx2 v[40:41], v127, s[20:21]
	s_or_b64 exec, exec, s[22:23]
	v_cmp_gt_u32_e32 vcc, s24, v24
	s_and_saveexec_b64 s[22:23], vcc
	s_cbranch_execnz .LBB1148_382
.LBB1148_331:                           ;   in Loop: Header=BB1148_315 Depth=2
	s_or_b64 exec, exec, s[22:23]
	v_cmp_gt_u32_e32 vcc, s24, v26
	s_and_saveexec_b64 s[22:23], vcc
	s_cbranch_execz .LBB1148_383
.LBB1148_332:                           ;   in Loop: Header=BB1148_315 Depth=2
	global_load_dwordx2 v[36:37], v129, s[20:21]
	s_or_b64 exec, exec, s[22:23]
	v_cmp_gt_u32_e32 vcc, s24, v28
	s_and_saveexec_b64 s[22:23], vcc
	s_cbranch_execnz .LBB1148_384
.LBB1148_333:                           ;   in Loop: Header=BB1148_315 Depth=2
	s_or_b64 exec, exec, s[22:23]
	v_cmp_gt_u32_e32 vcc, s24, v30
	s_and_saveexec_b64 s[22:23], vcc
	s_cbranch_execz .LBB1148_335
.LBB1148_334:                           ;   in Loop: Header=BB1148_315 Depth=2
	global_load_dwordx2 v[0:1], v131, s[20:21]
.LBB1148_335:                           ;   in Loop: Header=BB1148_315 Depth=2
	s_or_b64 exec, exec, s[22:23]
	v_cmp_gt_u32_e32 vcc, s24, v32
                                        ; implicit-def: $sgpr26
                                        ; implicit-def: $vgpr64_vgpr65
	s_and_saveexec_b64 s[22:23], vcc
; %bb.336:                              ;   in Loop: Header=BB1148_315 Depth=2
	v_mov_b32_e32 v5, s21
	v_add_co_u32_e32 v64, vcc, s20, v132
	s_sub_i32 s26, s96, s18
	v_addc_co_u32_e32 v65, vcc, 0, v5, vcc
	s_or_b64 s[16:17], s[16:17], exec
                                        ; implicit-def: $vgpr62_vgpr63
; %bb.337:                              ;   in Loop: Header=BB1148_315 Depth=2
	s_or_b64 exec, exec, s[22:23]
	s_waitcnt vmcnt(0)
	v_pk_mov_b32 v[66:67], v[60:61], v[60:61] op_sel:[0,1]
	v_pk_mov_b32 v[68:69], v[58:59], v[58:59] op_sel:[0,1]
	v_pk_mov_b32 v[70:71], v[56:57], v[56:57] op_sel:[0,1]
	v_pk_mov_b32 v[72:73], v[54:55], v[54:55] op_sel:[0,1]
	v_pk_mov_b32 v[82:83], v[52:53], v[52:53] op_sel:[0,1]
	v_pk_mov_b32 v[78:79], v[50:51], v[50:51] op_sel:[0,1]
	v_pk_mov_b32 v[74:75], v[48:49], v[48:49] op_sel:[0,1]
	v_pk_mov_b32 v[76:77], v[46:47], v[46:47] op_sel:[0,1]
	v_pk_mov_b32 v[80:81], v[44:45], v[44:45] op_sel:[0,1]
	v_pk_mov_b32 v[86:87], v[42:43], v[42:43] op_sel:[0,1]
	v_pk_mov_b32 v[84:85], v[40:41], v[40:41] op_sel:[0,1]
	v_pk_mov_b32 v[88:89], v[38:39], v[38:39] op_sel:[0,1]
	v_pk_mov_b32 v[90:91], v[36:37], v[36:37] op_sel:[0,1]
	v_pk_mov_b32 v[92:93], v[34:35], v[34:35] op_sel:[0,1]
	v_pk_mov_b32 v[94:95], v[0:1], v[0:1] op_sel:[0,1]
	v_mov_b32_e32 v5, s24
	s_and_saveexec_b64 s[18:19], s[16:17]
	s_cbranch_execz .LBB1148_339
.LBB1148_338:                           ;   in Loop: Header=BB1148_315 Depth=2
	global_load_dwordx2 v[62:63], v[64:65], off
	v_mov_b32_e32 v5, s26
	s_waitcnt vmcnt(1)
	v_pk_mov_b32 v[0:1], v[94:95], v[94:95] op_sel:[0,1]
	v_pk_mov_b32 v[34:35], v[92:93], v[92:93] op_sel:[0,1]
	;; [unrolled: 1-line block ×15, first 2 shown]
.LBB1148_339:                           ;   in Loop: Header=BB1148_315 Depth=2
	s_or_b64 exec, exec, s[18:19]
	v_cmp_lt_u32_e32 vcc, v2, v5
	s_and_saveexec_b64 s[16:17], vcc
	s_cbranch_execz .LBB1148_355
; %bb.340:                              ;   in Loop: Header=BB1148_315 Depth=2
	v_cmp_gt_i64_e32 vcc, 0, v[60:61]
	v_ashrrev_i32_e32 v65, 31, v61
	v_cndmask_b32_e64 v64, v133, 0, vcc
	s_waitcnt vmcnt(14)
	v_not_b32_e32 v66, v65
	v_xor_b32_e32 v65, v64, v61
	v_xor_b32_e32 v64, v66, v60
	v_cmp_ne_u64_e32 vcc, s[90:91], v[64:65]
	v_cndmask_b32_e32 v65, v133, v65, vcc
	v_cndmask_b32_e32 v64, -1, v64, vcc
	v_lshrrev_b64 v[64:65], s69, v[64:65]
	v_and_b32_e32 v64, s95, v64
	v_lshl_or_b32 v64, v64, 4, v134
	ds_add_u32 v64, v117
	s_or_b64 exec, exec, s[16:17]
	v_cmp_lt_u32_e32 vcc, v7, v5
	s_and_saveexec_b64 s[16:17], vcc
	s_cbranch_execnz .LBB1148_356
.LBB1148_341:                           ;   in Loop: Header=BB1148_315 Depth=2
	s_or_b64 exec, exec, s[16:17]
	v_cmp_lt_u32_e32 vcc, v6, v5
	s_and_saveexec_b64 s[16:17], vcc
	s_cbranch_execz .LBB1148_357
.LBB1148_342:                           ;   in Loop: Header=BB1148_315 Depth=2
	v_cmp_gt_i64_e32 vcc, 0, v[56:57]
	v_ashrrev_i32_e32 v65, 31, v57
	v_cndmask_b32_e64 v64, v133, 0, vcc
	s_waitcnt vmcnt(14)
	v_not_b32_e32 v66, v65
	v_xor_b32_e32 v65, v64, v57
	v_xor_b32_e32 v64, v66, v56
	v_cmp_ne_u64_e32 vcc, s[90:91], v[64:65]
	v_cndmask_b32_e32 v65, v133, v65, vcc
	v_cndmask_b32_e32 v64, -1, v64, vcc
	v_lshrrev_b64 v[64:65], s69, v[64:65]
	v_and_b32_e32 v64, s95, v64
	v_lshl_or_b32 v64, v64, 4, v134
	ds_add_u32 v64, v117
	s_or_b64 exec, exec, s[16:17]
	v_cmp_lt_u32_e32 vcc, v8, v5
	s_and_saveexec_b64 s[16:17], vcc
	s_cbranch_execnz .LBB1148_358
.LBB1148_343:                           ;   in Loop: Header=BB1148_315 Depth=2
	s_or_b64 exec, exec, s[16:17]
	v_cmp_lt_u32_e32 vcc, v10, v5
	s_and_saveexec_b64 s[16:17], vcc
	s_cbranch_execz .LBB1148_359
.LBB1148_344:                           ;   in Loop: Header=BB1148_315 Depth=2
	v_cmp_gt_i64_e32 vcc, 0, v[52:53]
	v_ashrrev_i32_e32 v65, 31, v53
	v_cndmask_b32_e64 v64, v133, 0, vcc
	s_waitcnt vmcnt(14)
	v_not_b32_e32 v66, v65
	v_xor_b32_e32 v65, v64, v53
	v_xor_b32_e32 v64, v66, v52
	v_cmp_ne_u64_e32 vcc, s[90:91], v[64:65]
	v_cndmask_b32_e32 v65, v133, v65, vcc
	v_cndmask_b32_e32 v64, -1, v64, vcc
	v_lshrrev_b64 v[64:65], s69, v[64:65]
	v_and_b32_e32 v64, s95, v64
	v_lshl_or_b32 v64, v64, 4, v134
	ds_add_u32 v64, v117
	s_or_b64 exec, exec, s[16:17]
	v_cmp_lt_u32_e32 vcc, v12, v5
	s_and_saveexec_b64 s[16:17], vcc
	s_cbranch_execnz .LBB1148_360
.LBB1148_345:                           ;   in Loop: Header=BB1148_315 Depth=2
	s_or_b64 exec, exec, s[16:17]
	v_cmp_lt_u32_e32 vcc, v14, v5
	s_and_saveexec_b64 s[16:17], vcc
	s_cbranch_execz .LBB1148_361
.LBB1148_346:                           ;   in Loop: Header=BB1148_315 Depth=2
	v_cmp_gt_i64_e32 vcc, 0, v[48:49]
	v_ashrrev_i32_e32 v65, 31, v49
	v_cndmask_b32_e64 v64, v133, 0, vcc
	s_waitcnt vmcnt(14)
	v_not_b32_e32 v66, v65
	v_xor_b32_e32 v65, v64, v49
	v_xor_b32_e32 v64, v66, v48
	v_cmp_ne_u64_e32 vcc, s[90:91], v[64:65]
	v_cndmask_b32_e32 v65, v133, v65, vcc
	v_cndmask_b32_e32 v64, -1, v64, vcc
	v_lshrrev_b64 v[64:65], s69, v[64:65]
	v_and_b32_e32 v64, s95, v64
	v_lshl_or_b32 v64, v64, 4, v134
	ds_add_u32 v64, v117
	s_or_b64 exec, exec, s[16:17]
	v_cmp_lt_u32_e32 vcc, v16, v5
	s_and_saveexec_b64 s[16:17], vcc
	s_cbranch_execnz .LBB1148_362
.LBB1148_347:                           ;   in Loop: Header=BB1148_315 Depth=2
	s_or_b64 exec, exec, s[16:17]
	v_cmp_lt_u32_e32 vcc, v18, v5
	s_and_saveexec_b64 s[16:17], vcc
	s_cbranch_execz .LBB1148_363
.LBB1148_348:                           ;   in Loop: Header=BB1148_315 Depth=2
	v_cmp_gt_i64_e32 vcc, 0, v[44:45]
	v_ashrrev_i32_e32 v65, 31, v45
	v_cndmask_b32_e64 v64, v133, 0, vcc
	s_waitcnt vmcnt(14)
	v_not_b32_e32 v66, v65
	v_xor_b32_e32 v65, v64, v45
	v_xor_b32_e32 v64, v66, v44
	v_cmp_ne_u64_e32 vcc, s[90:91], v[64:65]
	v_cndmask_b32_e32 v65, v133, v65, vcc
	v_cndmask_b32_e32 v64, -1, v64, vcc
	v_lshrrev_b64 v[64:65], s69, v[64:65]
	v_and_b32_e32 v64, s95, v64
	v_lshl_or_b32 v64, v64, 4, v134
	ds_add_u32 v64, v117
	s_or_b64 exec, exec, s[16:17]
	v_cmp_lt_u32_e32 vcc, v20, v5
	s_and_saveexec_b64 s[16:17], vcc
	s_cbranch_execnz .LBB1148_364
.LBB1148_349:                           ;   in Loop: Header=BB1148_315 Depth=2
	s_or_b64 exec, exec, s[16:17]
	v_cmp_lt_u32_e32 vcc, v22, v5
	s_and_saveexec_b64 s[16:17], vcc
	s_cbranch_execz .LBB1148_365
.LBB1148_350:                           ;   in Loop: Header=BB1148_315 Depth=2
	v_cmp_gt_i64_e32 vcc, 0, v[40:41]
	v_ashrrev_i32_e32 v65, 31, v41
	v_cndmask_b32_e64 v64, v133, 0, vcc
	s_waitcnt vmcnt(14)
	v_not_b32_e32 v66, v65
	v_xor_b32_e32 v65, v64, v41
	v_xor_b32_e32 v64, v66, v40
	v_cmp_ne_u64_e32 vcc, s[90:91], v[64:65]
	v_cndmask_b32_e32 v65, v133, v65, vcc
	v_cndmask_b32_e32 v64, -1, v64, vcc
	v_lshrrev_b64 v[64:65], s69, v[64:65]
	v_and_b32_e32 v64, s95, v64
	v_lshl_or_b32 v64, v64, 4, v134
	ds_add_u32 v64, v117
	s_or_b64 exec, exec, s[16:17]
	v_cmp_lt_u32_e32 vcc, v24, v5
	s_and_saveexec_b64 s[16:17], vcc
	s_cbranch_execnz .LBB1148_366
.LBB1148_351:                           ;   in Loop: Header=BB1148_315 Depth=2
	s_or_b64 exec, exec, s[16:17]
	v_cmp_lt_u32_e32 vcc, v26, v5
	s_and_saveexec_b64 s[16:17], vcc
	s_cbranch_execz .LBB1148_367
.LBB1148_352:                           ;   in Loop: Header=BB1148_315 Depth=2
	v_cmp_gt_i64_e32 vcc, 0, v[36:37]
	v_ashrrev_i32_e32 v65, 31, v37
	v_cndmask_b32_e64 v64, v133, 0, vcc
	s_waitcnt vmcnt(14)
	v_not_b32_e32 v66, v65
	v_xor_b32_e32 v65, v64, v37
	v_xor_b32_e32 v64, v66, v36
	v_cmp_ne_u64_e32 vcc, s[90:91], v[64:65]
	v_cndmask_b32_e32 v65, v133, v65, vcc
	v_cndmask_b32_e32 v64, -1, v64, vcc
	v_lshrrev_b64 v[64:65], s69, v[64:65]
	v_and_b32_e32 v64, s95, v64
	v_lshl_or_b32 v64, v64, 4, v134
	ds_add_u32 v64, v117
	s_or_b64 exec, exec, s[16:17]
	v_cmp_lt_u32_e32 vcc, v28, v5
	s_and_saveexec_b64 s[16:17], vcc
	s_cbranch_execnz .LBB1148_368
.LBB1148_353:                           ;   in Loop: Header=BB1148_315 Depth=2
	s_or_b64 exec, exec, s[16:17]
	v_cmp_lt_u32_e32 vcc, v30, v5
	s_and_saveexec_b64 s[16:17], vcc
	s_cbranch_execz .LBB1148_369
.LBB1148_354:                           ;   in Loop: Header=BB1148_315 Depth=2
	v_cmp_gt_i64_e32 vcc, 0, v[0:1]
	v_ashrrev_i32_e32 v65, 31, v1
	v_cndmask_b32_e64 v64, v133, 0, vcc
	s_waitcnt vmcnt(14)
	v_not_b32_e32 v66, v65
	v_xor_b32_e32 v65, v64, v1
	v_xor_b32_e32 v64, v66, v0
	v_cmp_ne_u64_e32 vcc, s[90:91], v[64:65]
	v_cndmask_b32_e32 v65, v133, v65, vcc
	v_cndmask_b32_e32 v64, -1, v64, vcc
	v_lshrrev_b64 v[64:65], s69, v[64:65]
	v_and_b32_e32 v64, s95, v64
	v_lshl_or_b32 v64, v64, 4, v134
	ds_add_u32 v64, v117
	s_or_b64 exec, exec, s[16:17]
	v_cmp_lt_u32_e32 vcc, v32, v5
	s_and_saveexec_b64 s[16:17], vcc
	s_cbranch_execz .LBB1148_314
	s_branch .LBB1148_370
.LBB1148_355:                           ;   in Loop: Header=BB1148_315 Depth=2
	s_or_b64 exec, exec, s[16:17]
	v_cmp_lt_u32_e32 vcc, v7, v5
	s_and_saveexec_b64 s[16:17], vcc
	s_cbranch_execz .LBB1148_341
.LBB1148_356:                           ;   in Loop: Header=BB1148_315 Depth=2
	v_cmp_gt_i64_e32 vcc, 0, v[58:59]
	v_ashrrev_i32_e32 v65, 31, v59
	v_cndmask_b32_e64 v64, v133, 0, vcc
	s_waitcnt vmcnt(14)
	v_not_b32_e32 v66, v65
	v_xor_b32_e32 v65, v64, v59
	v_xor_b32_e32 v64, v66, v58
	v_cmp_ne_u64_e32 vcc, s[90:91], v[64:65]
	v_cndmask_b32_e32 v65, v133, v65, vcc
	v_cndmask_b32_e32 v64, -1, v64, vcc
	v_lshrrev_b64 v[64:65], s69, v[64:65]
	v_and_b32_e32 v64, s95, v64
	v_lshl_or_b32 v64, v64, 4, v134
	ds_add_u32 v64, v117
	s_or_b64 exec, exec, s[16:17]
	v_cmp_lt_u32_e32 vcc, v6, v5
	s_and_saveexec_b64 s[16:17], vcc
	s_cbranch_execnz .LBB1148_342
.LBB1148_357:                           ;   in Loop: Header=BB1148_315 Depth=2
	s_or_b64 exec, exec, s[16:17]
	v_cmp_lt_u32_e32 vcc, v8, v5
	s_and_saveexec_b64 s[16:17], vcc
	s_cbranch_execz .LBB1148_343
.LBB1148_358:                           ;   in Loop: Header=BB1148_315 Depth=2
	v_cmp_gt_i64_e32 vcc, 0, v[54:55]
	v_ashrrev_i32_e32 v65, 31, v55
	v_cndmask_b32_e64 v64, v133, 0, vcc
	s_waitcnt vmcnt(14)
	v_not_b32_e32 v66, v65
	v_xor_b32_e32 v65, v64, v55
	v_xor_b32_e32 v64, v66, v54
	v_cmp_ne_u64_e32 vcc, s[90:91], v[64:65]
	v_cndmask_b32_e32 v65, v133, v65, vcc
	v_cndmask_b32_e32 v64, -1, v64, vcc
	v_lshrrev_b64 v[64:65], s69, v[64:65]
	v_and_b32_e32 v64, s95, v64
	v_lshl_or_b32 v64, v64, 4, v134
	ds_add_u32 v64, v117
	s_or_b64 exec, exec, s[16:17]
	v_cmp_lt_u32_e32 vcc, v10, v5
	s_and_saveexec_b64 s[16:17], vcc
	s_cbranch_execnz .LBB1148_344
.LBB1148_359:                           ;   in Loop: Header=BB1148_315 Depth=2
	s_or_b64 exec, exec, s[16:17]
	v_cmp_lt_u32_e32 vcc, v12, v5
	s_and_saveexec_b64 s[16:17], vcc
	s_cbranch_execz .LBB1148_345
.LBB1148_360:                           ;   in Loop: Header=BB1148_315 Depth=2
	v_cmp_gt_i64_e32 vcc, 0, v[50:51]
	v_ashrrev_i32_e32 v65, 31, v51
	v_cndmask_b32_e64 v64, v133, 0, vcc
	s_waitcnt vmcnt(14)
	v_not_b32_e32 v66, v65
	v_xor_b32_e32 v65, v64, v51
	v_xor_b32_e32 v64, v66, v50
	v_cmp_ne_u64_e32 vcc, s[90:91], v[64:65]
	v_cndmask_b32_e32 v65, v133, v65, vcc
	v_cndmask_b32_e32 v64, -1, v64, vcc
	v_lshrrev_b64 v[64:65], s69, v[64:65]
	v_and_b32_e32 v64, s95, v64
	v_lshl_or_b32 v64, v64, 4, v134
	ds_add_u32 v64, v117
	s_or_b64 exec, exec, s[16:17]
	v_cmp_lt_u32_e32 vcc, v14, v5
	s_and_saveexec_b64 s[16:17], vcc
	s_cbranch_execnz .LBB1148_346
.LBB1148_361:                           ;   in Loop: Header=BB1148_315 Depth=2
	s_or_b64 exec, exec, s[16:17]
	v_cmp_lt_u32_e32 vcc, v16, v5
	s_and_saveexec_b64 s[16:17], vcc
	s_cbranch_execz .LBB1148_347
.LBB1148_362:                           ;   in Loop: Header=BB1148_315 Depth=2
	v_cmp_gt_i64_e32 vcc, 0, v[46:47]
	v_ashrrev_i32_e32 v65, 31, v47
	v_cndmask_b32_e64 v64, v133, 0, vcc
	s_waitcnt vmcnt(14)
	v_not_b32_e32 v66, v65
	v_xor_b32_e32 v65, v64, v47
	v_xor_b32_e32 v64, v66, v46
	v_cmp_ne_u64_e32 vcc, s[90:91], v[64:65]
	v_cndmask_b32_e32 v65, v133, v65, vcc
	v_cndmask_b32_e32 v64, -1, v64, vcc
	v_lshrrev_b64 v[64:65], s69, v[64:65]
	v_and_b32_e32 v64, s95, v64
	v_lshl_or_b32 v64, v64, 4, v134
	ds_add_u32 v64, v117
	s_or_b64 exec, exec, s[16:17]
	v_cmp_lt_u32_e32 vcc, v18, v5
	s_and_saveexec_b64 s[16:17], vcc
	s_cbranch_execnz .LBB1148_348
.LBB1148_363:                           ;   in Loop: Header=BB1148_315 Depth=2
	s_or_b64 exec, exec, s[16:17]
	v_cmp_lt_u32_e32 vcc, v20, v5
	s_and_saveexec_b64 s[16:17], vcc
	s_cbranch_execz .LBB1148_349
.LBB1148_364:                           ;   in Loop: Header=BB1148_315 Depth=2
	v_cmp_gt_i64_e32 vcc, 0, v[42:43]
	v_ashrrev_i32_e32 v65, 31, v43
	v_cndmask_b32_e64 v64, v133, 0, vcc
	s_waitcnt vmcnt(14)
	v_not_b32_e32 v66, v65
	v_xor_b32_e32 v65, v64, v43
	v_xor_b32_e32 v64, v66, v42
	v_cmp_ne_u64_e32 vcc, s[90:91], v[64:65]
	v_cndmask_b32_e32 v65, v133, v65, vcc
	v_cndmask_b32_e32 v64, -1, v64, vcc
	v_lshrrev_b64 v[64:65], s69, v[64:65]
	v_and_b32_e32 v64, s95, v64
	v_lshl_or_b32 v64, v64, 4, v134
	ds_add_u32 v64, v117
	s_or_b64 exec, exec, s[16:17]
	v_cmp_lt_u32_e32 vcc, v22, v5
	s_and_saveexec_b64 s[16:17], vcc
	s_cbranch_execnz .LBB1148_350
.LBB1148_365:                           ;   in Loop: Header=BB1148_315 Depth=2
	s_or_b64 exec, exec, s[16:17]
	v_cmp_lt_u32_e32 vcc, v24, v5
	s_and_saveexec_b64 s[16:17], vcc
	s_cbranch_execz .LBB1148_351
.LBB1148_366:                           ;   in Loop: Header=BB1148_315 Depth=2
	v_cmp_gt_i64_e32 vcc, 0, v[38:39]
	v_ashrrev_i32_e32 v65, 31, v39
	v_cndmask_b32_e64 v64, v133, 0, vcc
	s_waitcnt vmcnt(14)
	v_not_b32_e32 v66, v65
	v_xor_b32_e32 v65, v64, v39
	v_xor_b32_e32 v64, v66, v38
	v_cmp_ne_u64_e32 vcc, s[90:91], v[64:65]
	v_cndmask_b32_e32 v65, v133, v65, vcc
	v_cndmask_b32_e32 v64, -1, v64, vcc
	v_lshrrev_b64 v[64:65], s69, v[64:65]
	v_and_b32_e32 v64, s95, v64
	v_lshl_or_b32 v64, v64, 4, v134
	ds_add_u32 v64, v117
	s_or_b64 exec, exec, s[16:17]
	v_cmp_lt_u32_e32 vcc, v26, v5
	s_and_saveexec_b64 s[16:17], vcc
	s_cbranch_execnz .LBB1148_352
.LBB1148_367:                           ;   in Loop: Header=BB1148_315 Depth=2
	s_or_b64 exec, exec, s[16:17]
	v_cmp_lt_u32_e32 vcc, v28, v5
	s_and_saveexec_b64 s[16:17], vcc
	s_cbranch_execz .LBB1148_353
.LBB1148_368:                           ;   in Loop: Header=BB1148_315 Depth=2
	v_cmp_gt_i64_e32 vcc, 0, v[34:35]
	v_ashrrev_i32_e32 v65, 31, v35
	v_cndmask_b32_e64 v64, v133, 0, vcc
	s_waitcnt vmcnt(14)
	v_not_b32_e32 v66, v65
	v_xor_b32_e32 v65, v64, v35
	v_xor_b32_e32 v64, v66, v34
	v_cmp_ne_u64_e32 vcc, s[90:91], v[64:65]
	v_cndmask_b32_e32 v65, v133, v65, vcc
	v_cndmask_b32_e32 v64, -1, v64, vcc
	v_lshrrev_b64 v[64:65], s69, v[64:65]
	v_and_b32_e32 v64, s95, v64
	v_lshl_or_b32 v64, v64, 4, v134
	ds_add_u32 v64, v117
	s_or_b64 exec, exec, s[16:17]
	v_cmp_lt_u32_e32 vcc, v30, v5
	s_and_saveexec_b64 s[16:17], vcc
	s_cbranch_execnz .LBB1148_354
.LBB1148_369:                           ;   in Loop: Header=BB1148_315 Depth=2
	s_or_b64 exec, exec, s[16:17]
	v_cmp_lt_u32_e32 vcc, v32, v5
	s_and_saveexec_b64 s[16:17], vcc
	s_cbranch_execz .LBB1148_314
.LBB1148_370:                           ;   in Loop: Header=BB1148_315 Depth=2
	s_waitcnt vmcnt(0)
	v_cmp_gt_i64_e32 vcc, 0, v[62:63]
	v_ashrrev_i32_e32 v64, 31, v63
	v_cndmask_b32_e64 v5, v133, 0, vcc
	v_not_b32_e32 v64, v64
	v_xor_b32_e32 v65, v5, v63
	v_xor_b32_e32 v64, v64, v62
	v_cmp_ne_u64_e32 vcc, s[90:91], v[64:65]
	v_cndmask_b32_e32 v65, v133, v65, vcc
	v_cndmask_b32_e32 v64, -1, v64, vcc
	v_lshrrev_b64 v[64:65], s69, v[64:65]
	v_and_b32_e32 v5, s95, v64
	v_lshl_or_b32 v5, v5, 4, v134
	ds_add_u32 v5, v117
	s_branch .LBB1148_314
.LBB1148_371:                           ;   in Loop: Header=BB1148_315 Depth=2
	s_or_b64 exec, exec, s[22:23]
	v_cmp_gt_u32_e32 vcc, s24, v7
	s_and_saveexec_b64 s[22:23], vcc
	s_cbranch_execz .LBB1148_321
.LBB1148_372:                           ;   in Loop: Header=BB1148_315 Depth=2
	global_load_dwordx2 v[58:59], v118, s[20:21] offset:2048
	s_or_b64 exec, exec, s[22:23]
	v_cmp_gt_u32_e32 vcc, s24, v6
	s_and_saveexec_b64 s[22:23], vcc
	s_cbranch_execnz .LBB1148_322
.LBB1148_373:                           ;   in Loop: Header=BB1148_315 Depth=2
	s_or_b64 exec, exec, s[22:23]
	v_cmp_gt_u32_e32 vcc, s24, v8
	s_and_saveexec_b64 s[22:23], vcc
	s_cbranch_execz .LBB1148_323
.LBB1148_374:                           ;   in Loop: Header=BB1148_315 Depth=2
	global_load_dwordx2 v[54:55], v120, s[20:21]
	s_or_b64 exec, exec, s[22:23]
	v_cmp_gt_u32_e32 vcc, s24, v10
	s_and_saveexec_b64 s[22:23], vcc
	s_cbranch_execnz .LBB1148_324
.LBB1148_375:                           ;   in Loop: Header=BB1148_315 Depth=2
	s_or_b64 exec, exec, s[22:23]
	v_cmp_gt_u32_e32 vcc, s24, v12
	s_and_saveexec_b64 s[22:23], vcc
	s_cbranch_execz .LBB1148_325
.LBB1148_376:                           ;   in Loop: Header=BB1148_315 Depth=2
	global_load_dwordx2 v[50:51], v122, s[20:21]
	s_or_b64 exec, exec, s[22:23]
	v_cmp_gt_u32_e32 vcc, s24, v14
	s_and_saveexec_b64 s[22:23], vcc
	s_cbranch_execnz .LBB1148_326
.LBB1148_377:                           ;   in Loop: Header=BB1148_315 Depth=2
	s_or_b64 exec, exec, s[22:23]
	v_cmp_gt_u32_e32 vcc, s24, v16
	s_and_saveexec_b64 s[22:23], vcc
	s_cbranch_execz .LBB1148_327
.LBB1148_378:                           ;   in Loop: Header=BB1148_315 Depth=2
	global_load_dwordx2 v[46:47], v124, s[20:21]
	s_or_b64 exec, exec, s[22:23]
	v_cmp_gt_u32_e32 vcc, s24, v18
	s_and_saveexec_b64 s[22:23], vcc
	s_cbranch_execnz .LBB1148_328
.LBB1148_379:                           ;   in Loop: Header=BB1148_315 Depth=2
	s_or_b64 exec, exec, s[22:23]
	v_cmp_gt_u32_e32 vcc, s24, v20
	s_and_saveexec_b64 s[22:23], vcc
	s_cbranch_execz .LBB1148_329
.LBB1148_380:                           ;   in Loop: Header=BB1148_315 Depth=2
	global_load_dwordx2 v[42:43], v126, s[20:21]
	s_or_b64 exec, exec, s[22:23]
	v_cmp_gt_u32_e32 vcc, s24, v22
	s_and_saveexec_b64 s[22:23], vcc
	s_cbranch_execnz .LBB1148_330
.LBB1148_381:                           ;   in Loop: Header=BB1148_315 Depth=2
	s_or_b64 exec, exec, s[22:23]
	v_cmp_gt_u32_e32 vcc, s24, v24
	s_and_saveexec_b64 s[22:23], vcc
	s_cbranch_execz .LBB1148_331
.LBB1148_382:                           ;   in Loop: Header=BB1148_315 Depth=2
	global_load_dwordx2 v[38:39], v128, s[20:21]
	s_or_b64 exec, exec, s[22:23]
	v_cmp_gt_u32_e32 vcc, s24, v26
	s_and_saveexec_b64 s[22:23], vcc
	s_cbranch_execnz .LBB1148_332
.LBB1148_383:                           ;   in Loop: Header=BB1148_315 Depth=2
	s_or_b64 exec, exec, s[22:23]
	v_cmp_gt_u32_e32 vcc, s24, v28
	s_and_saveexec_b64 s[22:23], vcc
	s_cbranch_execz .LBB1148_333
.LBB1148_384:                           ;   in Loop: Header=BB1148_315 Depth=2
	global_load_dwordx2 v[34:35], v130, s[20:21]
	s_or_b64 exec, exec, s[22:23]
	v_cmp_gt_u32_e32 vcc, s24, v30
	s_and_saveexec_b64 s[22:23], vcc
	s_cbranch_execz .LBB1148_335
	s_branch .LBB1148_334
.LBB1148_385:                           ;   in Loop: Header=BB1148_17 Depth=1
	v_mov_b32_e32 v0, 0
	s_waitcnt lgkmcnt(0)
	s_barrier
	s_and_saveexec_b64 s[16:17], s[4:5]
	s_cbranch_execz .LBB1148_387
; %bb.386:                              ;   in Loop: Header=BB1148_17 Depth=1
	ds_read2_b64 v[34:37], v13 offset1:1
	s_waitcnt lgkmcnt(0)
	v_add_u32_e32 v0, v35, v34
	v_add3_u32 v0, v0, v36, v37
.LBB1148_387:                           ;   in Loop: Header=BB1148_17 Depth=1
	s_or_b64 exec, exec, s[16:17]
	s_nop 0
	v_mov_b32_dpp v1, v0 row_shr:1 row_mask:0xf bank_mask:0xf
	v_cmp_eq_u32_e64 s[16:17], 0, v136
	v_cndmask_b32_e64 v1, v1, 0, s[16:17]
	v_add_u32_e32 v0, v1, v0
	v_cmp_lt_u32_e64 s[18:19], 1, v136
	v_cmp_lt_u32_e64 s[20:21], 3, v136
	v_mov_b32_dpp v1, v0 row_shr:2 row_mask:0xf bank_mask:0xf
	v_cndmask_b32_e64 v1, 0, v1, s[18:19]
	v_add_u32_e32 v0, v0, v1
	v_cmp_lt_u32_e64 s[22:23], 7, v136
	v_cmp_lt_u32_e64 s[26:27], 31, v135
	v_mov_b32_dpp v1, v0 row_shr:4 row_mask:0xf bank_mask:0xf
	v_cndmask_b32_e64 v1, 0, v1, s[20:21]
	v_add_u32_e32 v0, v0, v1
	v_cmp_eq_u32_e64 s[24:25], 0, v138
	s_nop 0
	v_mov_b32_dpp v1, v0 row_shr:8 row_mask:0xf bank_mask:0xf
	v_cndmask_b32_e64 v1, 0, v1, s[22:23]
	v_add_u32_e32 v0, v0, v1
	s_nop 1
	v_mov_b32_dpp v1, v0 row_bcast:15 row_mask:0xf bank_mask:0xf
	v_and_b32_e32 v1, v137, v1
	v_add_u32_e32 v0, v0, v1
	s_nop 1
	v_mov_b32_dpp v1, v0 row_bcast:31 row_mask:0xf bank_mask:0xf
	v_cndmask_b32_e64 v1, 0, v1, s[26:27]
	v_add_u32_e32 v0, v0, v1
	s_and_saveexec_b64 s[28:29], s[6:7]
	s_cbranch_execz .LBB1148_389
; %bb.388:                              ;   in Loop: Header=BB1148_17 Depth=1
	ds_write_b32 v17, v0
.LBB1148_389:                           ;   in Loop: Header=BB1148_17 Depth=1
	s_or_b64 exec, exec, s[28:29]
	s_waitcnt lgkmcnt(0)
	s_barrier
	s_and_saveexec_b64 s[28:29], s[8:9]
	s_cbranch_execz .LBB1148_391
; %bb.390:                              ;   in Loop: Header=BB1148_17 Depth=1
	ds_read_b32 v1, v19
	v_cmp_ne_u32_e32 vcc, 0, v139
	s_waitcnt lgkmcnt(0)
	v_mov_b32_dpp v5, v1 row_shr:1 row_mask:0xf bank_mask:0xf
	v_cndmask_b32_e32 v5, 0, v5, vcc
	v_add_u32_e32 v1, v5, v1
	v_cmp_lt_u32_e32 vcc, 1, v139
	s_nop 0
	v_mov_b32_dpp v5, v1 row_shr:2 row_mask:0xf bank_mask:0xf
	v_cndmask_b32_e32 v5, 0, v5, vcc
	v_add_u32_e32 v1, v1, v5
	ds_write_b32 v19, v1
.LBB1148_391:                           ;   in Loop: Header=BB1148_17 Depth=1
	s_or_b64 exec, exec, s[28:29]
	v_mov_b32_e32 v1, 0
	s_waitcnt lgkmcnt(0)
	s_barrier
	s_and_saveexec_b64 s[28:29], s[10:11]
	s_cbranch_execz .LBB1148_393
; %bb.392:                              ;   in Loop: Header=BB1148_17 Depth=1
	ds_read_b32 v1, v21
.LBB1148_393:                           ;   in Loop: Header=BB1148_17 Depth=1
	s_or_b64 exec, exec, s[28:29]
	v_cmp_lt_i32_e32 vcc, v140, v141
	v_cndmask_b32_e32 v5, v140, v135, vcc
	s_waitcnt lgkmcnt(0)
	v_add_u32_e32 v0, v1, v0
	v_lshlrev_b32_e32 v159, 2, v5
	ds_bpermute_b32 v0, v159, v0
	v_cmp_eq_u32_e64 s[28:29], 0, v135
	s_waitcnt lgkmcnt(0)
	s_barrier
	s_and_saveexec_b64 s[30:31], s[4:5]
	s_cbranch_execz .LBB1148_395
; %bb.394:                              ;   in Loop: Header=BB1148_17 Depth=1
	v_cndmask_b32_e64 v0, v0, v1, s[28:29]
	v_readlane_b32 s34, v236, 3
	v_add_u32_e32 v0, s34, v0
	ds_write_b32 v3, v0
.LBB1148_395:                           ;   in Loop: Header=BB1148_17 Depth=1
	s_or_b64 exec, exec, s[30:31]
	s_load_dwordx2 s[30:31], s[92:93], 0x0
	v_readlane_b32 s34, v236, 1
	v_add_co_u32_e32 v160, vcc, v107, v142
	v_addc_co_u32_e32 v161, vcc, 0, v108, vcc
	s_waitcnt lgkmcnt(0)
	s_cmp_lt_u32 s34, s30
	v_readlane_b32 s30, v236, 0
	s_cselect_b32 s34, 12, 18
	s_cmp_lt_u32 s30, s31
	s_cselect_b32 s30, 14, 20
	s_add_u32 s30, s92, s30
	s_addc_u32 s31, s93, 0
	s_add_u32 s34, s92, s34
	global_load_ushort v5, v4, s[30:31]
	s_addc_u32 s35, s93, 0
	global_load_ushort v64, v4, s[34:35]
	v_add_co_u32_e32 v162, vcc, v109, v142
	v_addc_co_u32_e32 v163, vcc, 0, v110, vcc
	v_add_co_u32_e32 v170, vcc, 0x1e00, v162
	v_cmp_eq_u32_e64 s[30:31], 0, v139
	v_cmp_lt_u32_e64 s[34:35], 1, v139
	s_mov_b32 s85, s86
	v_addc_co_u32_e32 v173, vcc, 0, v163, vcc
                                        ; implicit-def: $vgpr0_vgpr1
                                        ; implicit-def: $vgpr34_vgpr35
                                        ; implicit-def: $vgpr36_vgpr37
                                        ; implicit-def: $vgpr40_vgpr41
                                        ; implicit-def: $vgpr44_vgpr45
                                        ; implicit-def: $vgpr48_vgpr49
                                        ; implicit-def: $vgpr52_vgpr53
                                        ; implicit-def: $vgpr56_vgpr57
                                        ; implicit-def: $vgpr38_vgpr39
                                        ; implicit-def: $vgpr42_vgpr43
                                        ; implicit-def: $vgpr46_vgpr47
                                        ; implicit-def: $vgpr50_vgpr51
                                        ; implicit-def: $vgpr54_vgpr55
                                        ; implicit-def: $vgpr58_vgpr59
                                        ; implicit-def: $vgpr60_vgpr61
                                        ; implicit-def: $vgpr62_vgpr63
                                        ; implicit-def: $vgpr164
                                        ; implicit-def: $vgpr165
                                        ; implicit-def: $vgpr166
                                        ; implicit-def: $vgpr167
                                        ; implicit-def: $vgpr168
                                        ; implicit-def: $vgpr169
                                        ; implicit-def: $vgpr171
                                        ; implicit-def: $vgpr172
                                        ; implicit-def: $vgpr174
                                        ; implicit-def: $vgpr175
                                        ; implicit-def: $vgpr176
                                        ; implicit-def: $vgpr178
                                        ; implicit-def: $vgpr179
                                        ; implicit-def: $vgpr180
                                        ; implicit-def: $vgpr181
                                        ; implicit-def: $vgpr182
	s_waitcnt vmcnt(1)
	v_mad_u32_u24 v5, v23, v5, v25
	s_waitcnt vmcnt(0)
	v_mad_u64_u32 v[64:65], s[36:37], v5, v64, v[2:3]
	v_readlane_b32 s36, v236, 3
	v_lshrrev_b32_e32 v177, 6, v64
	s_mov_b32 s70, s36
	s_branch .LBB1148_397
.LBB1148_396:                           ;   in Loop: Header=BB1148_397 Depth=2
	s_or_b64 exec, exec, s[36:37]
	s_addk_i32 s85, 0xf000
	s_cmp_lt_u32 s86, s96
	s_mov_b32 s70, s86
	s_cbranch_scc0 .LBB1148_605
.LBB1148_397:                           ;   Parent Loop BB1148_17 Depth=1
                                        ; =>  This Inner Loop Header: Depth=2
	s_add_i32 s86, s70, 0x1000
	s_cmp_gt_u32 s86, s96
	s_cbranch_scc1 .LBB1148_400
; %bb.398:                              ;   in Loop: Header=BB1148_397 Depth=2
	s_mov_b32 s71, s90
	s_lshl_b64 s[36:37], s[70:71], 3
	v_mov_b32_e32 v5, s37
	v_add_co_u32_e32 v68, vcc, s36, v162
	v_addc_co_u32_e32 v69, vcc, v163, v5, vcc
	global_load_dwordx2 v[64:65], v[68:69], off
	global_load_dwordx2 v[66:67], v[68:69], off offset:512
	global_load_dwordx2 v[74:75], v[68:69], off offset:1024
	;; [unrolled: 1-line block ×7, first 2 shown]
	v_add_co_u32_e32 v68, vcc, 0x1000, v68
	v_addc_co_u32_e32 v69, vcc, 0, v69, vcc
	global_load_dwordx2 v[92:93], v[68:69], off
	global_load_dwordx2 v[88:89], v[68:69], off offset:512
	global_load_dwordx2 v[84:85], v[68:69], off offset:1024
	;; [unrolled: 1-line block ×5, first 2 shown]
	s_nop 0
	global_load_dwordx2 v[68:69], v[68:69], off offset:3072
	s_movk_i32 s40, 0x1000
	s_mov_b64 s[36:37], -1
	s_cbranch_execz .LBB1148_401
; %bb.399:                              ;   in Loop: Header=BB1148_397 Depth=2
                                        ; implicit-def: $sgpr38_sgpr39
	v_pk_mov_b32 v[70:71], s[38:39], s[38:39] op_sel:[0,1]
	v_mov_b32_e32 v183, s85
	s_and_saveexec_b64 s[38:39], s[36:37]
	s_cbranch_execnz .LBB1148_432
	s_branch .LBB1148_433
.LBB1148_400:                           ;   in Loop: Header=BB1148_397 Depth=2
	s_mov_b64 s[36:37], 0
                                        ; implicit-def: $sgpr40
                                        ; implicit-def: $vgpr64_vgpr65
                                        ; implicit-def: $vgpr66_vgpr67
                                        ; implicit-def: $vgpr74_vgpr75
                                        ; implicit-def: $vgpr78_vgpr79
                                        ; implicit-def: $vgpr82_vgpr83
                                        ; implicit-def: $vgpr86_vgpr87
                                        ; implicit-def: $vgpr90_vgpr91
                                        ; implicit-def: $vgpr94_vgpr95
                                        ; implicit-def: $vgpr92_vgpr93
                                        ; implicit-def: $vgpr88_vgpr89
                                        ; implicit-def: $vgpr84_vgpr85
                                        ; implicit-def: $vgpr80_vgpr81
                                        ; implicit-def: $vgpr76_vgpr77
                                        ; implicit-def: $vgpr72_vgpr73
                                        ; implicit-def: $vgpr68_vgpr69
.LBB1148_401:                           ;   in Loop: Header=BB1148_397 Depth=2
	s_mov_b32 s71, s90
	s_lshl_b64 s[36:37], s[70:71], 3
	v_mov_b32_e32 v5, s37
	v_add_co_u32_e32 v70, vcc, s36, v162
	v_addc_co_u32_e32 v71, vcc, v163, v5, vcc
	s_waitcnt vmcnt(13)
	v_pk_mov_b32 v[66:67], -1, -1
	v_cmp_gt_u32_e32 vcc, s85, v143
	v_pk_mov_b32 v[64:65], v[66:67], v[66:67] op_sel:[0,1]
	s_and_saveexec_b64 s[36:37], vcc
	s_cbranch_execz .LBB1148_403
; %bb.402:                              ;   in Loop: Header=BB1148_397 Depth=2
	global_load_dwordx2 v[64:65], v[70:71], off
.LBB1148_403:                           ;   in Loop: Header=BB1148_397 Depth=2
	s_or_b64 exec, exec, s[36:37]
	v_cmp_gt_u32_e32 vcc, s85, v144
	s_and_saveexec_b64 s[36:37], vcc
	s_cbranch_execz .LBB1148_405
; %bb.404:                              ;   in Loop: Header=BB1148_397 Depth=2
	global_load_dwordx2 v[66:67], v[70:71], off offset:512
.LBB1148_405:                           ;   in Loop: Header=BB1148_397 Depth=2
	s_or_b64 exec, exec, s[36:37]
	s_waitcnt vmcnt(11)
	v_pk_mov_b32 v[78:79], -1, -1
	v_cmp_gt_u32_e32 vcc, s85, v145
	v_pk_mov_b32 v[74:75], v[78:79], v[78:79] op_sel:[0,1]
	s_and_saveexec_b64 s[36:37], vcc
	s_cbranch_execz .LBB1148_407
; %bb.406:                              ;   in Loop: Header=BB1148_397 Depth=2
	global_load_dwordx2 v[74:75], v[70:71], off offset:1024
.LBB1148_407:                           ;   in Loop: Header=BB1148_397 Depth=2
	s_or_b64 exec, exec, s[36:37]
	v_cmp_gt_u32_e32 vcc, s85, v146
	s_and_saveexec_b64 s[36:37], vcc
	s_cbranch_execz .LBB1148_409
; %bb.408:                              ;   in Loop: Header=BB1148_397 Depth=2
	global_load_dwordx2 v[78:79], v[70:71], off offset:1536
.LBB1148_409:                           ;   in Loop: Header=BB1148_397 Depth=2
	s_or_b64 exec, exec, s[36:37]
	s_waitcnt vmcnt(9)
	v_pk_mov_b32 v[86:87], -1, -1
	v_cmp_gt_u32_e32 vcc, s85, v147
	v_pk_mov_b32 v[82:83], v[86:87], v[86:87] op_sel:[0,1]
	s_and_saveexec_b64 s[36:37], vcc
	s_cbranch_execz .LBB1148_411
; %bb.410:                              ;   in Loop: Header=BB1148_397 Depth=2
	global_load_dwordx2 v[82:83], v[70:71], off offset:2048
.LBB1148_411:                           ;   in Loop: Header=BB1148_397 Depth=2
	;; [unrolled: 17-line block ×3, first 2 shown]
	s_or_b64 exec, exec, s[36:37]
	v_cmp_gt_u32_e32 vcc, s85, v150
	s_and_saveexec_b64 s[36:37], vcc
	s_cbranch_execz .LBB1148_417
; %bb.416:                              ;   in Loop: Header=BB1148_397 Depth=2
	global_load_dwordx2 v[94:95], v[70:71], off offset:3584
.LBB1148_417:                           ;   in Loop: Header=BB1148_397 Depth=2
	s_or_b64 exec, exec, s[36:37]
	s_waitcnt vmcnt(5)
	v_pk_mov_b32 v[88:89], -1, -1
	v_cmp_gt_u32_e32 vcc, s85, v151
	v_pk_mov_b32 v[92:93], v[88:89], v[88:89] op_sel:[0,1]
	s_and_saveexec_b64 s[36:37], vcc
	s_cbranch_execz .LBB1148_419
; %bb.418:                              ;   in Loop: Header=BB1148_397 Depth=2
	s_waitcnt vmcnt(0)
	v_add_co_u32_e32 v68, vcc, 0x1000, v70
	v_addc_co_u32_e32 v69, vcc, 0, v71, vcc
	global_load_dwordx2 v[92:93], v[68:69], off
.LBB1148_419:                           ;   in Loop: Header=BB1148_397 Depth=2
	s_or_b64 exec, exec, s[36:37]
	v_cmp_gt_u32_e32 vcc, s85, v152
	s_and_saveexec_b64 s[36:37], vcc
	s_cbranch_execz .LBB1148_421
; %bb.420:                              ;   in Loop: Header=BB1148_397 Depth=2
	s_waitcnt vmcnt(0)
	v_add_co_u32_e32 v68, vcc, 0x1000, v70
	v_addc_co_u32_e32 v69, vcc, 0, v71, vcc
	global_load_dwordx2 v[88:89], v[68:69], off offset:512
.LBB1148_421:                           ;   in Loop: Header=BB1148_397 Depth=2
	s_or_b64 exec, exec, s[36:37]
	s_waitcnt vmcnt(3)
	v_pk_mov_b32 v[80:81], -1, -1
	v_cmp_gt_u32_e32 vcc, s85, v153
	v_pk_mov_b32 v[84:85], v[80:81], v[80:81] op_sel:[0,1]
	s_and_saveexec_b64 s[36:37], vcc
	s_cbranch_execz .LBB1148_423
; %bb.422:                              ;   in Loop: Header=BB1148_397 Depth=2
	s_waitcnt vmcnt(0)
	v_add_co_u32_e32 v68, vcc, 0x1000, v70
	v_addc_co_u32_e32 v69, vcc, 0, v71, vcc
	global_load_dwordx2 v[84:85], v[68:69], off offset:1024
.LBB1148_423:                           ;   in Loop: Header=BB1148_397 Depth=2
	s_or_b64 exec, exec, s[36:37]
	v_cmp_gt_u32_e32 vcc, s85, v154
	s_and_saveexec_b64 s[36:37], vcc
	s_cbranch_execz .LBB1148_425
; %bb.424:                              ;   in Loop: Header=BB1148_397 Depth=2
	s_waitcnt vmcnt(0)
	v_add_co_u32_e32 v68, vcc, 0x1000, v70
	v_addc_co_u32_e32 v69, vcc, 0, v71, vcc
	global_load_dwordx2 v[80:81], v[68:69], off offset:1536
.LBB1148_425:                           ;   in Loop: Header=BB1148_397 Depth=2
	s_or_b64 exec, exec, s[36:37]
	s_waitcnt vmcnt(1)
	v_pk_mov_b32 v[72:73], -1, -1
	v_cmp_gt_u32_e32 vcc, s85, v155
	v_pk_mov_b32 v[76:77], v[72:73], v[72:73] op_sel:[0,1]
	s_and_saveexec_b64 s[36:37], vcc
	s_cbranch_execz .LBB1148_427
; %bb.426:                              ;   in Loop: Header=BB1148_397 Depth=2
	s_waitcnt vmcnt(0)
	v_add_co_u32_e32 v68, vcc, 0x1000, v70
	v_addc_co_u32_e32 v69, vcc, 0, v71, vcc
	global_load_dwordx2 v[76:77], v[68:69], off offset:2048
.LBB1148_427:                           ;   in Loop: Header=BB1148_397 Depth=2
	s_or_b64 exec, exec, s[36:37]
	v_cmp_gt_u32_e32 vcc, s85, v156
	s_and_saveexec_b64 s[36:37], vcc
	s_cbranch_execz .LBB1148_429
; %bb.428:                              ;   in Loop: Header=BB1148_397 Depth=2
	s_waitcnt vmcnt(0)
	v_add_co_u32_e32 v68, vcc, 0x1000, v70
	v_addc_co_u32_e32 v69, vcc, 0, v71, vcc
	global_load_dwordx2 v[72:73], v[68:69], off offset:2560
.LBB1148_429:                           ;   in Loop: Header=BB1148_397 Depth=2
	s_or_b64 exec, exec, s[36:37]
	v_cmp_gt_u32_e32 vcc, s85, v157
	s_waitcnt vmcnt(0)
	v_pk_mov_b32 v[68:69], -1, -1
	s_and_saveexec_b64 s[36:37], vcc
	s_cbranch_execz .LBB1148_431
; %bb.430:                              ;   in Loop: Header=BB1148_397 Depth=2
	v_add_co_u32_e32 v68, vcc, 0x1000, v70
	v_addc_co_u32_e32 v69, vcc, 0, v71, vcc
	global_load_dwordx2 v[68:69], v[68:69], off offset:3072
.LBB1148_431:                           ;   in Loop: Header=BB1148_397 Depth=2
	s_or_b64 exec, exec, s[36:37]
	s_sub_i32 s40, s96, s70
	v_cmp_gt_u32_e64 s[36:37], s85, v158
	s_mov_b64 s[38:39], -1
	v_pk_mov_b32 v[70:71], s[38:39], s[38:39] op_sel:[0,1]
	v_mov_b32_e32 v183, s85
	s_and_saveexec_b64 s[38:39], s[36:37]
	s_cbranch_execz .LBB1148_433
.LBB1148_432:                           ;   in Loop: Header=BB1148_397 Depth=2
	s_lshl_b64 s[36:37], s[70:71], 3
	v_mov_b32_e32 v5, s37
	v_add_co_u32_e32 v70, vcc, s36, v170
	v_addc_co_u32_e32 v71, vcc, v173, v5, vcc
	global_load_dwordx2 v[70:71], v[70:71], off
	v_mov_b32_e32 v183, s40
.LBB1148_433:                           ;   in Loop: Header=BB1148_397 Depth=2
	s_or_b64 exec, exec, s[38:39]
	s_waitcnt vmcnt(14)
	v_cmp_gt_i64_e32 vcc, 0, v[64:65]
	v_ashrrev_i32_e32 v96, 31, v65
	v_cndmask_b32_e64 v5, v133, 0, vcc
	v_not_b32_e32 v96, v96
	v_xor_b32_e32 v65, v5, v65
	v_xor_b32_e32 v64, v96, v64
	v_cmp_ne_u64_e32 vcc, s[90:91], v[64:65]
	v_cndmask_b32_e32 v97, v133, v65, vcc
	v_cndmask_b32_e32 v96, -1, v64, vcc
	v_lshrrev_b64 v[96:97], s69, v[96:97]
	v_add_u32_e32 v5, 0x410, v27
	v_and_b32_e32 v96, s95, v96
	ds_write2_b32 v5, v4, v4 offset1:1
	ds_write2_b32 v31, v4, v4 offset0:2 offset1:3
	ds_write_b32 v31, v4 offset:16
	v_mad_u32_u24 v5, v96, 5, v177
	v_lshl_add_u32 v184, v5, 2, v29
	v_and_b32_e32 v5, 1, v96
	v_add_co_u32_e32 v97, vcc, -1, v5
	v_addc_co_u32_e64 v98, s[36:37], 0, -1, vcc
	v_cmp_ne_u32_e32 vcc, 0, v5
	v_xor_b32_e32 v5, vcc_hi, v98
	v_and_b32_e32 v98, exec_hi, v5
	v_lshlrev_b32_e32 v5, 30, v96
	v_xor_b32_e32 v97, vcc_lo, v97
	v_cmp_gt_i64_e32 vcc, 0, v[4:5]
	v_not_b32_e32 v5, v5
	v_ashrrev_i32_e32 v5, 31, v5
	v_and_b32_e32 v97, exec_lo, v97
	v_xor_b32_e32 v99, vcc_hi, v5
	v_xor_b32_e32 v5, vcc_lo, v5
	v_and_b32_e32 v97, v97, v5
	v_lshlrev_b32_e32 v5, 29, v96
	v_cmp_gt_i64_e32 vcc, 0, v[4:5]
	v_not_b32_e32 v5, v5
	v_ashrrev_i32_e32 v5, 31, v5
	v_and_b32_e32 v98, v98, v99
	v_xor_b32_e32 v99, vcc_hi, v5
	v_xor_b32_e32 v5, vcc_lo, v5
	v_and_b32_e32 v97, v97, v5
	v_lshlrev_b32_e32 v5, 28, v96
	v_cmp_gt_i64_e32 vcc, 0, v[4:5]
	v_not_b32_e32 v5, v5
	v_ashrrev_i32_e32 v5, 31, v5
	v_and_b32_e32 v98, v98, v99
	;; [unrolled: 8-line block ×5, first 2 shown]
	v_xor_b32_e32 v99, vcc_hi, v5
	v_xor_b32_e32 v5, vcc_lo, v5
	v_and_b32_e32 v98, v98, v99
	v_and_b32_e32 v99, v97, v5
	v_lshlrev_b32_e32 v5, 24, v96
	v_cmp_gt_i64_e32 vcc, 0, v[4:5]
	v_not_b32_e32 v5, v5
	v_ashrrev_i32_e32 v5, 31, v5
	v_xor_b32_e32 v96, vcc_hi, v5
	v_xor_b32_e32 v5, vcc_lo, v5
	v_and_b32_e32 v97, v98, v96
	v_and_b32_e32 v96, v99, v5
	v_mbcnt_lo_u32_b32 v5, v96, 0
	v_mbcnt_hi_u32_b32 v185, v97, v5
	v_cmp_eq_u32_e32 vcc, 0, v185
	v_cmp_ne_u64_e64 s[36:37], 0, v[96:97]
	s_and_b64 s[38:39], s[36:37], vcc
	s_waitcnt lgkmcnt(0)
	s_barrier
	s_waitcnt lgkmcnt(0)
	; wave barrier
	s_and_saveexec_b64 s[36:37], s[38:39]
	s_cbranch_execz .LBB1148_435
; %bb.434:                              ;   in Loop: Header=BB1148_397 Depth=2
	v_bcnt_u32_b32 v5, v96, 0
	v_bcnt_u32_b32 v5, v97, v5
	ds_write_b32 v184, v5
.LBB1148_435:                           ;   in Loop: Header=BB1148_397 Depth=2
	s_or_b64 exec, exec, s[36:37]
	s_waitcnt vmcnt(13)
	v_cmp_gt_i64_e32 vcc, 0, v[66:67]
	v_ashrrev_i32_e32 v96, 31, v67
	v_cndmask_b32_e64 v5, v133, 0, vcc
	v_not_b32_e32 v96, v96
	v_xor_b32_e32 v67, v5, v67
	v_xor_b32_e32 v66, v96, v66
	v_cmp_ne_u64_e32 vcc, s[90:91], v[66:67]
	v_cndmask_b32_e32 v97, v133, v67, vcc
	v_cndmask_b32_e32 v96, -1, v66, vcc
	v_lshrrev_b64 v[96:97], s69, v[96:97]
	v_and_b32_e32 v96, s95, v96
	v_mul_u32_u24_e32 v5, 5, v96
	v_add_lshl_u32 v5, v5, v177, 2
	; wave barrier
	v_add_u32_e32 v187, 0x410, v5
	ds_read_b32 v186, v5 offset:1040
	v_and_b32_e32 v5, 1, v96
	v_add_co_u32_e32 v97, vcc, -1, v5
	v_addc_co_u32_e64 v98, s[36:37], 0, -1, vcc
	v_cmp_ne_u32_e32 vcc, 0, v5
	v_xor_b32_e32 v5, vcc_hi, v98
	v_and_b32_e32 v98, exec_hi, v5
	v_lshlrev_b32_e32 v5, 30, v96
	v_xor_b32_e32 v97, vcc_lo, v97
	v_cmp_gt_i64_e32 vcc, 0, v[4:5]
	v_not_b32_e32 v5, v5
	v_ashrrev_i32_e32 v5, 31, v5
	v_and_b32_e32 v97, exec_lo, v97
	v_xor_b32_e32 v99, vcc_hi, v5
	v_xor_b32_e32 v5, vcc_lo, v5
	v_and_b32_e32 v97, v97, v5
	v_lshlrev_b32_e32 v5, 29, v96
	v_cmp_gt_i64_e32 vcc, 0, v[4:5]
	v_not_b32_e32 v5, v5
	v_ashrrev_i32_e32 v5, 31, v5
	v_and_b32_e32 v98, v98, v99
	v_xor_b32_e32 v99, vcc_hi, v5
	v_xor_b32_e32 v5, vcc_lo, v5
	v_and_b32_e32 v97, v97, v5
	v_lshlrev_b32_e32 v5, 28, v96
	v_cmp_gt_i64_e32 vcc, 0, v[4:5]
	v_not_b32_e32 v5, v5
	v_ashrrev_i32_e32 v5, 31, v5
	v_and_b32_e32 v98, v98, v99
	;; [unrolled: 8-line block ×5, first 2 shown]
	v_xor_b32_e32 v99, vcc_hi, v5
	v_xor_b32_e32 v5, vcc_lo, v5
	v_and_b32_e32 v98, v98, v99
	v_and_b32_e32 v99, v97, v5
	v_lshlrev_b32_e32 v5, 24, v96
	v_cmp_gt_i64_e32 vcc, 0, v[4:5]
	v_not_b32_e32 v5, v5
	v_ashrrev_i32_e32 v5, 31, v5
	v_xor_b32_e32 v96, vcc_hi, v5
	v_xor_b32_e32 v5, vcc_lo, v5
	v_and_b32_e32 v97, v98, v96
	v_and_b32_e32 v96, v99, v5
	v_mbcnt_lo_u32_b32 v5, v96, 0
	v_mbcnt_hi_u32_b32 v188, v97, v5
	v_cmp_eq_u32_e32 vcc, 0, v188
	v_cmp_ne_u64_e64 s[36:37], 0, v[96:97]
	s_and_b64 s[38:39], s[36:37], vcc
	; wave barrier
	s_and_saveexec_b64 s[36:37], s[38:39]
	s_cbranch_execz .LBB1148_437
; %bb.436:                              ;   in Loop: Header=BB1148_397 Depth=2
	v_bcnt_u32_b32 v5, v96, 0
	v_bcnt_u32_b32 v5, v97, v5
	s_waitcnt lgkmcnt(0)
	v_add_u32_e32 v5, v186, v5
	ds_write_b32 v187, v5
.LBB1148_437:                           ;   in Loop: Header=BB1148_397 Depth=2
	s_or_b64 exec, exec, s[36:37]
	s_waitcnt vmcnt(12)
	v_cmp_gt_i64_e32 vcc, 0, v[74:75]
	v_ashrrev_i32_e32 v96, 31, v75
	v_cndmask_b32_e64 v5, v133, 0, vcc
	v_not_b32_e32 v96, v96
	v_xor_b32_e32 v75, v5, v75
	v_xor_b32_e32 v74, v96, v74
	v_cmp_ne_u64_e32 vcc, s[90:91], v[74:75]
	v_cndmask_b32_e32 v97, v133, v75, vcc
	v_cndmask_b32_e32 v96, -1, v74, vcc
	v_lshrrev_b64 v[96:97], s69, v[96:97]
	v_and_b32_e32 v96, s95, v96
	v_mul_u32_u24_e32 v5, 5, v96
	v_add_lshl_u32 v5, v5, v177, 2
	; wave barrier
	v_add_u32_e32 v190, 0x410, v5
	ds_read_b32 v189, v5 offset:1040
	v_and_b32_e32 v5, 1, v96
	v_add_co_u32_e32 v97, vcc, -1, v5
	v_addc_co_u32_e64 v98, s[36:37], 0, -1, vcc
	v_cmp_ne_u32_e32 vcc, 0, v5
	v_xor_b32_e32 v5, vcc_hi, v98
	v_and_b32_e32 v98, exec_hi, v5
	v_lshlrev_b32_e32 v5, 30, v96
	v_xor_b32_e32 v97, vcc_lo, v97
	v_cmp_gt_i64_e32 vcc, 0, v[4:5]
	v_not_b32_e32 v5, v5
	v_ashrrev_i32_e32 v5, 31, v5
	v_and_b32_e32 v97, exec_lo, v97
	v_xor_b32_e32 v99, vcc_hi, v5
	v_xor_b32_e32 v5, vcc_lo, v5
	v_and_b32_e32 v97, v97, v5
	v_lshlrev_b32_e32 v5, 29, v96
	v_cmp_gt_i64_e32 vcc, 0, v[4:5]
	v_not_b32_e32 v5, v5
	v_ashrrev_i32_e32 v5, 31, v5
	v_and_b32_e32 v98, v98, v99
	v_xor_b32_e32 v99, vcc_hi, v5
	v_xor_b32_e32 v5, vcc_lo, v5
	v_and_b32_e32 v97, v97, v5
	v_lshlrev_b32_e32 v5, 28, v96
	v_cmp_gt_i64_e32 vcc, 0, v[4:5]
	v_not_b32_e32 v5, v5
	v_ashrrev_i32_e32 v5, 31, v5
	v_and_b32_e32 v98, v98, v99
	v_xor_b32_e32 v99, vcc_hi, v5
	v_xor_b32_e32 v5, vcc_lo, v5
	v_and_b32_e32 v97, v97, v5
	v_lshlrev_b32_e32 v5, 27, v96
	v_cmp_gt_i64_e32 vcc, 0, v[4:5]
	v_not_b32_e32 v5, v5
	v_ashrrev_i32_e32 v5, 31, v5
	v_and_b32_e32 v98, v98, v99
	v_xor_b32_e32 v99, vcc_hi, v5
	v_xor_b32_e32 v5, vcc_lo, v5
	v_and_b32_e32 v97, v97, v5
	v_lshlrev_b32_e32 v5, 26, v96
	v_cmp_gt_i64_e32 vcc, 0, v[4:5]
	v_not_b32_e32 v5, v5
	v_ashrrev_i32_e32 v5, 31, v5
	v_and_b32_e32 v98, v98, v99
	v_xor_b32_e32 v99, vcc_hi, v5
	v_xor_b32_e32 v5, vcc_lo, v5
	v_and_b32_e32 v97, v97, v5
	v_lshlrev_b32_e32 v5, 25, v96
	v_cmp_gt_i64_e32 vcc, 0, v[4:5]
	v_not_b32_e32 v5, v5
	v_ashrrev_i32_e32 v5, 31, v5
	v_and_b32_e32 v98, v98, v99
	v_xor_b32_e32 v99, vcc_hi, v5
	v_xor_b32_e32 v5, vcc_lo, v5
	v_and_b32_e32 v98, v98, v99
	v_and_b32_e32 v99, v97, v5
	v_lshlrev_b32_e32 v5, 24, v96
	v_cmp_gt_i64_e32 vcc, 0, v[4:5]
	v_not_b32_e32 v5, v5
	v_ashrrev_i32_e32 v5, 31, v5
	v_xor_b32_e32 v96, vcc_hi, v5
	v_xor_b32_e32 v5, vcc_lo, v5
	v_and_b32_e32 v97, v98, v96
	v_and_b32_e32 v96, v99, v5
	v_mbcnt_lo_u32_b32 v5, v96, 0
	v_mbcnt_hi_u32_b32 v191, v97, v5
	v_cmp_eq_u32_e32 vcc, 0, v191
	v_cmp_ne_u64_e64 s[36:37], 0, v[96:97]
	s_and_b64 s[38:39], s[36:37], vcc
	; wave barrier
	s_and_saveexec_b64 s[36:37], s[38:39]
	s_cbranch_execz .LBB1148_439
; %bb.438:                              ;   in Loop: Header=BB1148_397 Depth=2
	v_bcnt_u32_b32 v5, v96, 0
	v_bcnt_u32_b32 v5, v97, v5
	s_waitcnt lgkmcnt(0)
	v_add_u32_e32 v5, v189, v5
	ds_write_b32 v190, v5
.LBB1148_439:                           ;   in Loop: Header=BB1148_397 Depth=2
	s_or_b64 exec, exec, s[36:37]
	s_waitcnt vmcnt(11)
	v_cmp_gt_i64_e32 vcc, 0, v[78:79]
	v_ashrrev_i32_e32 v96, 31, v79
	v_cndmask_b32_e64 v5, v133, 0, vcc
	v_not_b32_e32 v96, v96
	v_xor_b32_e32 v79, v5, v79
	v_xor_b32_e32 v78, v96, v78
	v_cmp_ne_u64_e32 vcc, s[90:91], v[78:79]
	v_cndmask_b32_e32 v97, v133, v79, vcc
	v_cndmask_b32_e32 v96, -1, v78, vcc
	v_lshrrev_b64 v[96:97], s69, v[96:97]
	v_and_b32_e32 v96, s95, v96
	v_mul_u32_u24_e32 v5, 5, v96
	v_add_lshl_u32 v5, v5, v177, 2
	; wave barrier
	v_add_u32_e32 v193, 0x410, v5
	ds_read_b32 v192, v5 offset:1040
	v_and_b32_e32 v5, 1, v96
	v_add_co_u32_e32 v97, vcc, -1, v5
	v_addc_co_u32_e64 v98, s[36:37], 0, -1, vcc
	v_cmp_ne_u32_e32 vcc, 0, v5
	v_xor_b32_e32 v5, vcc_hi, v98
	v_and_b32_e32 v98, exec_hi, v5
	v_lshlrev_b32_e32 v5, 30, v96
	v_xor_b32_e32 v97, vcc_lo, v97
	v_cmp_gt_i64_e32 vcc, 0, v[4:5]
	v_not_b32_e32 v5, v5
	v_ashrrev_i32_e32 v5, 31, v5
	v_and_b32_e32 v97, exec_lo, v97
	v_xor_b32_e32 v99, vcc_hi, v5
	v_xor_b32_e32 v5, vcc_lo, v5
	v_and_b32_e32 v97, v97, v5
	v_lshlrev_b32_e32 v5, 29, v96
	v_cmp_gt_i64_e32 vcc, 0, v[4:5]
	v_not_b32_e32 v5, v5
	v_ashrrev_i32_e32 v5, 31, v5
	v_and_b32_e32 v98, v98, v99
	v_xor_b32_e32 v99, vcc_hi, v5
	v_xor_b32_e32 v5, vcc_lo, v5
	v_and_b32_e32 v97, v97, v5
	v_lshlrev_b32_e32 v5, 28, v96
	v_cmp_gt_i64_e32 vcc, 0, v[4:5]
	v_not_b32_e32 v5, v5
	v_ashrrev_i32_e32 v5, 31, v5
	v_and_b32_e32 v98, v98, v99
	;; [unrolled: 8-line block ×5, first 2 shown]
	v_xor_b32_e32 v99, vcc_hi, v5
	v_xor_b32_e32 v5, vcc_lo, v5
	v_and_b32_e32 v98, v98, v99
	v_and_b32_e32 v99, v97, v5
	v_lshlrev_b32_e32 v5, 24, v96
	v_cmp_gt_i64_e32 vcc, 0, v[4:5]
	v_not_b32_e32 v5, v5
	v_ashrrev_i32_e32 v5, 31, v5
	v_xor_b32_e32 v96, vcc_hi, v5
	v_xor_b32_e32 v5, vcc_lo, v5
	v_and_b32_e32 v97, v98, v96
	v_and_b32_e32 v96, v99, v5
	v_mbcnt_lo_u32_b32 v5, v96, 0
	v_mbcnt_hi_u32_b32 v194, v97, v5
	v_cmp_eq_u32_e32 vcc, 0, v194
	v_cmp_ne_u64_e64 s[36:37], 0, v[96:97]
	s_and_b64 s[38:39], s[36:37], vcc
	; wave barrier
	s_and_saveexec_b64 s[36:37], s[38:39]
	s_cbranch_execz .LBB1148_441
; %bb.440:                              ;   in Loop: Header=BB1148_397 Depth=2
	v_bcnt_u32_b32 v5, v96, 0
	v_bcnt_u32_b32 v5, v97, v5
	s_waitcnt lgkmcnt(0)
	v_add_u32_e32 v5, v192, v5
	ds_write_b32 v193, v5
.LBB1148_441:                           ;   in Loop: Header=BB1148_397 Depth=2
	s_or_b64 exec, exec, s[36:37]
	s_waitcnt vmcnt(10)
	v_cmp_gt_i64_e32 vcc, 0, v[82:83]
	v_ashrrev_i32_e32 v96, 31, v83
	v_cndmask_b32_e64 v5, v133, 0, vcc
	v_not_b32_e32 v96, v96
	v_xor_b32_e32 v83, v5, v83
	v_xor_b32_e32 v82, v96, v82
	v_cmp_ne_u64_e32 vcc, s[90:91], v[82:83]
	v_cndmask_b32_e32 v97, v133, v83, vcc
	v_cndmask_b32_e32 v96, -1, v82, vcc
	v_lshrrev_b64 v[96:97], s69, v[96:97]
	v_and_b32_e32 v96, s95, v96
	v_mul_u32_u24_e32 v5, 5, v96
	v_add_lshl_u32 v5, v5, v177, 2
	; wave barrier
	v_add_u32_e32 v196, 0x410, v5
	ds_read_b32 v195, v5 offset:1040
	v_and_b32_e32 v5, 1, v96
	v_add_co_u32_e32 v97, vcc, -1, v5
	v_addc_co_u32_e64 v98, s[36:37], 0, -1, vcc
	v_cmp_ne_u32_e32 vcc, 0, v5
	v_xor_b32_e32 v5, vcc_hi, v98
	v_and_b32_e32 v98, exec_hi, v5
	v_lshlrev_b32_e32 v5, 30, v96
	v_xor_b32_e32 v97, vcc_lo, v97
	v_cmp_gt_i64_e32 vcc, 0, v[4:5]
	v_not_b32_e32 v5, v5
	v_ashrrev_i32_e32 v5, 31, v5
	v_and_b32_e32 v97, exec_lo, v97
	v_xor_b32_e32 v99, vcc_hi, v5
	v_xor_b32_e32 v5, vcc_lo, v5
	v_and_b32_e32 v97, v97, v5
	v_lshlrev_b32_e32 v5, 29, v96
	v_cmp_gt_i64_e32 vcc, 0, v[4:5]
	v_not_b32_e32 v5, v5
	v_ashrrev_i32_e32 v5, 31, v5
	v_and_b32_e32 v98, v98, v99
	v_xor_b32_e32 v99, vcc_hi, v5
	v_xor_b32_e32 v5, vcc_lo, v5
	v_and_b32_e32 v97, v97, v5
	v_lshlrev_b32_e32 v5, 28, v96
	v_cmp_gt_i64_e32 vcc, 0, v[4:5]
	v_not_b32_e32 v5, v5
	v_ashrrev_i32_e32 v5, 31, v5
	v_and_b32_e32 v98, v98, v99
	;; [unrolled: 8-line block ×5, first 2 shown]
	v_xor_b32_e32 v99, vcc_hi, v5
	v_xor_b32_e32 v5, vcc_lo, v5
	v_and_b32_e32 v98, v98, v99
	v_and_b32_e32 v99, v97, v5
	v_lshlrev_b32_e32 v5, 24, v96
	v_cmp_gt_i64_e32 vcc, 0, v[4:5]
	v_not_b32_e32 v5, v5
	v_ashrrev_i32_e32 v5, 31, v5
	v_xor_b32_e32 v96, vcc_hi, v5
	v_xor_b32_e32 v5, vcc_lo, v5
	v_and_b32_e32 v97, v98, v96
	v_and_b32_e32 v96, v99, v5
	v_mbcnt_lo_u32_b32 v5, v96, 0
	v_mbcnt_hi_u32_b32 v197, v97, v5
	v_cmp_eq_u32_e32 vcc, 0, v197
	v_cmp_ne_u64_e64 s[36:37], 0, v[96:97]
	s_and_b64 s[38:39], s[36:37], vcc
	; wave barrier
	s_and_saveexec_b64 s[36:37], s[38:39]
	s_cbranch_execz .LBB1148_443
; %bb.442:                              ;   in Loop: Header=BB1148_397 Depth=2
	v_bcnt_u32_b32 v5, v96, 0
	v_bcnt_u32_b32 v5, v97, v5
	s_waitcnt lgkmcnt(0)
	v_add_u32_e32 v5, v195, v5
	ds_write_b32 v196, v5
.LBB1148_443:                           ;   in Loop: Header=BB1148_397 Depth=2
	s_or_b64 exec, exec, s[36:37]
	s_waitcnt vmcnt(9)
	v_cmp_gt_i64_e32 vcc, 0, v[86:87]
	v_ashrrev_i32_e32 v96, 31, v87
	v_cndmask_b32_e64 v5, v133, 0, vcc
	v_not_b32_e32 v96, v96
	v_xor_b32_e32 v87, v5, v87
	v_xor_b32_e32 v86, v96, v86
	v_cmp_ne_u64_e32 vcc, s[90:91], v[86:87]
	v_cndmask_b32_e32 v97, v133, v87, vcc
	v_cndmask_b32_e32 v96, -1, v86, vcc
	v_lshrrev_b64 v[96:97], s69, v[96:97]
	v_and_b32_e32 v96, s95, v96
	v_mul_u32_u24_e32 v5, 5, v96
	v_add_lshl_u32 v5, v5, v177, 2
	; wave barrier
	v_add_u32_e32 v199, 0x410, v5
	ds_read_b32 v198, v5 offset:1040
	v_and_b32_e32 v5, 1, v96
	v_add_co_u32_e32 v97, vcc, -1, v5
	v_addc_co_u32_e64 v98, s[36:37], 0, -1, vcc
	v_cmp_ne_u32_e32 vcc, 0, v5
	v_xor_b32_e32 v5, vcc_hi, v98
	v_and_b32_e32 v98, exec_hi, v5
	v_lshlrev_b32_e32 v5, 30, v96
	v_xor_b32_e32 v97, vcc_lo, v97
	v_cmp_gt_i64_e32 vcc, 0, v[4:5]
	v_not_b32_e32 v5, v5
	v_ashrrev_i32_e32 v5, 31, v5
	v_and_b32_e32 v97, exec_lo, v97
	v_xor_b32_e32 v99, vcc_hi, v5
	v_xor_b32_e32 v5, vcc_lo, v5
	v_and_b32_e32 v97, v97, v5
	v_lshlrev_b32_e32 v5, 29, v96
	v_cmp_gt_i64_e32 vcc, 0, v[4:5]
	v_not_b32_e32 v5, v5
	v_ashrrev_i32_e32 v5, 31, v5
	v_and_b32_e32 v98, v98, v99
	v_xor_b32_e32 v99, vcc_hi, v5
	v_xor_b32_e32 v5, vcc_lo, v5
	v_and_b32_e32 v97, v97, v5
	v_lshlrev_b32_e32 v5, 28, v96
	v_cmp_gt_i64_e32 vcc, 0, v[4:5]
	v_not_b32_e32 v5, v5
	v_ashrrev_i32_e32 v5, 31, v5
	v_and_b32_e32 v98, v98, v99
	v_xor_b32_e32 v99, vcc_hi, v5
	v_xor_b32_e32 v5, vcc_lo, v5
	v_and_b32_e32 v97, v97, v5
	v_lshlrev_b32_e32 v5, 27, v96
	v_cmp_gt_i64_e32 vcc, 0, v[4:5]
	v_not_b32_e32 v5, v5
	v_ashrrev_i32_e32 v5, 31, v5
	v_and_b32_e32 v98, v98, v99
	v_xor_b32_e32 v99, vcc_hi, v5
	v_xor_b32_e32 v5, vcc_lo, v5
	v_and_b32_e32 v97, v97, v5
	v_lshlrev_b32_e32 v5, 26, v96
	v_cmp_gt_i64_e32 vcc, 0, v[4:5]
	v_not_b32_e32 v5, v5
	v_ashrrev_i32_e32 v5, 31, v5
	v_and_b32_e32 v98, v98, v99
	v_xor_b32_e32 v99, vcc_hi, v5
	v_xor_b32_e32 v5, vcc_lo, v5
	v_and_b32_e32 v97, v97, v5
	v_lshlrev_b32_e32 v5, 25, v96
	v_cmp_gt_i64_e32 vcc, 0, v[4:5]
	v_not_b32_e32 v5, v5
	v_ashrrev_i32_e32 v5, 31, v5
	v_and_b32_e32 v98, v98, v99
	v_xor_b32_e32 v99, vcc_hi, v5
	v_xor_b32_e32 v5, vcc_lo, v5
	v_and_b32_e32 v98, v98, v99
	v_and_b32_e32 v99, v97, v5
	v_lshlrev_b32_e32 v5, 24, v96
	v_cmp_gt_i64_e32 vcc, 0, v[4:5]
	v_not_b32_e32 v5, v5
	v_ashrrev_i32_e32 v5, 31, v5
	v_xor_b32_e32 v96, vcc_hi, v5
	v_xor_b32_e32 v5, vcc_lo, v5
	v_and_b32_e32 v97, v98, v96
	v_and_b32_e32 v96, v99, v5
	v_mbcnt_lo_u32_b32 v5, v96, 0
	v_mbcnt_hi_u32_b32 v200, v97, v5
	v_cmp_eq_u32_e32 vcc, 0, v200
	v_cmp_ne_u64_e64 s[36:37], 0, v[96:97]
	s_and_b64 s[38:39], s[36:37], vcc
	; wave barrier
	s_and_saveexec_b64 s[36:37], s[38:39]
	s_cbranch_execz .LBB1148_445
; %bb.444:                              ;   in Loop: Header=BB1148_397 Depth=2
	v_bcnt_u32_b32 v5, v96, 0
	v_bcnt_u32_b32 v5, v97, v5
	s_waitcnt lgkmcnt(0)
	v_add_u32_e32 v5, v198, v5
	ds_write_b32 v199, v5
.LBB1148_445:                           ;   in Loop: Header=BB1148_397 Depth=2
	s_or_b64 exec, exec, s[36:37]
	s_waitcnt vmcnt(8)
	v_cmp_gt_i64_e32 vcc, 0, v[90:91]
	v_ashrrev_i32_e32 v96, 31, v91
	v_cndmask_b32_e64 v5, v133, 0, vcc
	v_not_b32_e32 v96, v96
	v_xor_b32_e32 v91, v5, v91
	v_xor_b32_e32 v90, v96, v90
	v_cmp_ne_u64_e32 vcc, s[90:91], v[90:91]
	v_cndmask_b32_e32 v97, v133, v91, vcc
	v_cndmask_b32_e32 v96, -1, v90, vcc
	v_lshrrev_b64 v[96:97], s69, v[96:97]
	v_and_b32_e32 v96, s95, v96
	v_mul_u32_u24_e32 v5, 5, v96
	v_add_lshl_u32 v5, v5, v177, 2
	; wave barrier
	v_add_u32_e32 v202, 0x410, v5
	ds_read_b32 v201, v5 offset:1040
	v_and_b32_e32 v5, 1, v96
	v_add_co_u32_e32 v97, vcc, -1, v5
	v_addc_co_u32_e64 v98, s[36:37], 0, -1, vcc
	v_cmp_ne_u32_e32 vcc, 0, v5
	v_xor_b32_e32 v5, vcc_hi, v98
	v_and_b32_e32 v98, exec_hi, v5
	v_lshlrev_b32_e32 v5, 30, v96
	v_xor_b32_e32 v97, vcc_lo, v97
	v_cmp_gt_i64_e32 vcc, 0, v[4:5]
	v_not_b32_e32 v5, v5
	v_ashrrev_i32_e32 v5, 31, v5
	v_and_b32_e32 v97, exec_lo, v97
	v_xor_b32_e32 v99, vcc_hi, v5
	v_xor_b32_e32 v5, vcc_lo, v5
	v_and_b32_e32 v97, v97, v5
	v_lshlrev_b32_e32 v5, 29, v96
	v_cmp_gt_i64_e32 vcc, 0, v[4:5]
	v_not_b32_e32 v5, v5
	v_ashrrev_i32_e32 v5, 31, v5
	v_and_b32_e32 v98, v98, v99
	v_xor_b32_e32 v99, vcc_hi, v5
	v_xor_b32_e32 v5, vcc_lo, v5
	v_and_b32_e32 v97, v97, v5
	v_lshlrev_b32_e32 v5, 28, v96
	v_cmp_gt_i64_e32 vcc, 0, v[4:5]
	v_not_b32_e32 v5, v5
	v_ashrrev_i32_e32 v5, 31, v5
	v_and_b32_e32 v98, v98, v99
	;; [unrolled: 8-line block ×5, first 2 shown]
	v_xor_b32_e32 v99, vcc_hi, v5
	v_xor_b32_e32 v5, vcc_lo, v5
	v_and_b32_e32 v98, v98, v99
	v_and_b32_e32 v99, v97, v5
	v_lshlrev_b32_e32 v5, 24, v96
	v_cmp_gt_i64_e32 vcc, 0, v[4:5]
	v_not_b32_e32 v5, v5
	v_ashrrev_i32_e32 v5, 31, v5
	v_xor_b32_e32 v96, vcc_hi, v5
	v_xor_b32_e32 v5, vcc_lo, v5
	v_and_b32_e32 v97, v98, v96
	v_and_b32_e32 v96, v99, v5
	v_mbcnt_lo_u32_b32 v5, v96, 0
	v_mbcnt_hi_u32_b32 v203, v97, v5
	v_cmp_eq_u32_e32 vcc, 0, v203
	v_cmp_ne_u64_e64 s[36:37], 0, v[96:97]
	s_and_b64 s[38:39], s[36:37], vcc
	; wave barrier
	s_and_saveexec_b64 s[36:37], s[38:39]
	s_cbranch_execz .LBB1148_447
; %bb.446:                              ;   in Loop: Header=BB1148_397 Depth=2
	v_bcnt_u32_b32 v5, v96, 0
	v_bcnt_u32_b32 v5, v97, v5
	s_waitcnt lgkmcnt(0)
	v_add_u32_e32 v5, v201, v5
	ds_write_b32 v202, v5
.LBB1148_447:                           ;   in Loop: Header=BB1148_397 Depth=2
	s_or_b64 exec, exec, s[36:37]
	s_waitcnt vmcnt(7)
	v_cmp_gt_i64_e32 vcc, 0, v[94:95]
	v_ashrrev_i32_e32 v96, 31, v95
	v_cndmask_b32_e64 v5, v133, 0, vcc
	v_not_b32_e32 v96, v96
	v_xor_b32_e32 v95, v5, v95
	v_xor_b32_e32 v94, v96, v94
	v_cmp_ne_u64_e32 vcc, s[90:91], v[94:95]
	v_cndmask_b32_e32 v97, v133, v95, vcc
	v_cndmask_b32_e32 v96, -1, v94, vcc
	v_lshrrev_b64 v[96:97], s69, v[96:97]
	v_and_b32_e32 v96, s95, v96
	v_mul_u32_u24_e32 v5, 5, v96
	v_add_lshl_u32 v5, v5, v177, 2
	; wave barrier
	v_add_u32_e32 v205, 0x410, v5
	ds_read_b32 v204, v5 offset:1040
	v_and_b32_e32 v5, 1, v96
	v_add_co_u32_e32 v97, vcc, -1, v5
	v_addc_co_u32_e64 v98, s[36:37], 0, -1, vcc
	v_cmp_ne_u32_e32 vcc, 0, v5
	v_xor_b32_e32 v5, vcc_hi, v98
	v_and_b32_e32 v98, exec_hi, v5
	v_lshlrev_b32_e32 v5, 30, v96
	v_xor_b32_e32 v97, vcc_lo, v97
	v_cmp_gt_i64_e32 vcc, 0, v[4:5]
	v_not_b32_e32 v5, v5
	v_ashrrev_i32_e32 v5, 31, v5
	v_and_b32_e32 v97, exec_lo, v97
	v_xor_b32_e32 v99, vcc_hi, v5
	v_xor_b32_e32 v5, vcc_lo, v5
	v_and_b32_e32 v97, v97, v5
	v_lshlrev_b32_e32 v5, 29, v96
	v_cmp_gt_i64_e32 vcc, 0, v[4:5]
	v_not_b32_e32 v5, v5
	v_ashrrev_i32_e32 v5, 31, v5
	v_and_b32_e32 v98, v98, v99
	v_xor_b32_e32 v99, vcc_hi, v5
	v_xor_b32_e32 v5, vcc_lo, v5
	v_and_b32_e32 v97, v97, v5
	v_lshlrev_b32_e32 v5, 28, v96
	v_cmp_gt_i64_e32 vcc, 0, v[4:5]
	v_not_b32_e32 v5, v5
	v_ashrrev_i32_e32 v5, 31, v5
	v_and_b32_e32 v98, v98, v99
	;; [unrolled: 8-line block ×5, first 2 shown]
	v_xor_b32_e32 v99, vcc_hi, v5
	v_xor_b32_e32 v5, vcc_lo, v5
	v_and_b32_e32 v98, v98, v99
	v_and_b32_e32 v99, v97, v5
	v_lshlrev_b32_e32 v5, 24, v96
	v_cmp_gt_i64_e32 vcc, 0, v[4:5]
	v_not_b32_e32 v5, v5
	v_ashrrev_i32_e32 v5, 31, v5
	v_xor_b32_e32 v96, vcc_hi, v5
	v_xor_b32_e32 v5, vcc_lo, v5
	v_and_b32_e32 v97, v98, v96
	v_and_b32_e32 v96, v99, v5
	v_mbcnt_lo_u32_b32 v5, v96, 0
	v_mbcnt_hi_u32_b32 v206, v97, v5
	v_cmp_eq_u32_e32 vcc, 0, v206
	v_cmp_ne_u64_e64 s[36:37], 0, v[96:97]
	s_and_b64 s[38:39], s[36:37], vcc
	; wave barrier
	s_and_saveexec_b64 s[36:37], s[38:39]
	s_cbranch_execz .LBB1148_449
; %bb.448:                              ;   in Loop: Header=BB1148_397 Depth=2
	v_bcnt_u32_b32 v5, v96, 0
	v_bcnt_u32_b32 v5, v97, v5
	s_waitcnt lgkmcnt(0)
	v_add_u32_e32 v5, v204, v5
	ds_write_b32 v205, v5
.LBB1148_449:                           ;   in Loop: Header=BB1148_397 Depth=2
	s_or_b64 exec, exec, s[36:37]
	s_waitcnt vmcnt(6)
	v_cmp_gt_i64_e32 vcc, 0, v[92:93]
	v_ashrrev_i32_e32 v96, 31, v93
	v_cndmask_b32_e64 v5, v133, 0, vcc
	v_not_b32_e32 v96, v96
	v_xor_b32_e32 v93, v5, v93
	v_xor_b32_e32 v92, v96, v92
	v_cmp_ne_u64_e32 vcc, s[90:91], v[92:93]
	v_cndmask_b32_e32 v97, v133, v93, vcc
	v_cndmask_b32_e32 v96, -1, v92, vcc
	v_lshrrev_b64 v[96:97], s69, v[96:97]
	v_and_b32_e32 v96, s95, v96
	v_mul_u32_u24_e32 v5, 5, v96
	v_add_lshl_u32 v5, v5, v177, 2
	; wave barrier
	v_add_u32_e32 v208, 0x410, v5
	ds_read_b32 v207, v5 offset:1040
	v_and_b32_e32 v5, 1, v96
	v_add_co_u32_e32 v97, vcc, -1, v5
	v_addc_co_u32_e64 v98, s[36:37], 0, -1, vcc
	v_cmp_ne_u32_e32 vcc, 0, v5
	v_xor_b32_e32 v5, vcc_hi, v98
	v_and_b32_e32 v98, exec_hi, v5
	v_lshlrev_b32_e32 v5, 30, v96
	v_xor_b32_e32 v97, vcc_lo, v97
	v_cmp_gt_i64_e32 vcc, 0, v[4:5]
	v_not_b32_e32 v5, v5
	v_ashrrev_i32_e32 v5, 31, v5
	v_and_b32_e32 v97, exec_lo, v97
	v_xor_b32_e32 v99, vcc_hi, v5
	v_xor_b32_e32 v5, vcc_lo, v5
	v_and_b32_e32 v97, v97, v5
	v_lshlrev_b32_e32 v5, 29, v96
	v_cmp_gt_i64_e32 vcc, 0, v[4:5]
	v_not_b32_e32 v5, v5
	v_ashrrev_i32_e32 v5, 31, v5
	v_and_b32_e32 v98, v98, v99
	v_xor_b32_e32 v99, vcc_hi, v5
	v_xor_b32_e32 v5, vcc_lo, v5
	v_and_b32_e32 v97, v97, v5
	v_lshlrev_b32_e32 v5, 28, v96
	v_cmp_gt_i64_e32 vcc, 0, v[4:5]
	v_not_b32_e32 v5, v5
	v_ashrrev_i32_e32 v5, 31, v5
	v_and_b32_e32 v98, v98, v99
	;; [unrolled: 8-line block ×5, first 2 shown]
	v_xor_b32_e32 v99, vcc_hi, v5
	v_xor_b32_e32 v5, vcc_lo, v5
	v_and_b32_e32 v98, v98, v99
	v_and_b32_e32 v99, v97, v5
	v_lshlrev_b32_e32 v5, 24, v96
	v_cmp_gt_i64_e32 vcc, 0, v[4:5]
	v_not_b32_e32 v5, v5
	v_ashrrev_i32_e32 v5, 31, v5
	v_xor_b32_e32 v96, vcc_hi, v5
	v_xor_b32_e32 v5, vcc_lo, v5
	v_and_b32_e32 v97, v98, v96
	v_and_b32_e32 v96, v99, v5
	v_mbcnt_lo_u32_b32 v5, v96, 0
	v_mbcnt_hi_u32_b32 v209, v97, v5
	v_cmp_eq_u32_e32 vcc, 0, v209
	v_cmp_ne_u64_e64 s[36:37], 0, v[96:97]
	s_and_b64 s[38:39], s[36:37], vcc
	; wave barrier
	s_and_saveexec_b64 s[36:37], s[38:39]
	s_cbranch_execz .LBB1148_451
; %bb.450:                              ;   in Loop: Header=BB1148_397 Depth=2
	v_bcnt_u32_b32 v5, v96, 0
	v_bcnt_u32_b32 v5, v97, v5
	s_waitcnt lgkmcnt(0)
	v_add_u32_e32 v5, v207, v5
	ds_write_b32 v208, v5
.LBB1148_451:                           ;   in Loop: Header=BB1148_397 Depth=2
	s_or_b64 exec, exec, s[36:37]
	s_waitcnt vmcnt(5)
	v_cmp_gt_i64_e32 vcc, 0, v[88:89]
	v_ashrrev_i32_e32 v96, 31, v89
	v_cndmask_b32_e64 v5, v133, 0, vcc
	v_not_b32_e32 v96, v96
	v_xor_b32_e32 v89, v5, v89
	v_xor_b32_e32 v88, v96, v88
	v_cmp_ne_u64_e32 vcc, s[90:91], v[88:89]
	v_cndmask_b32_e32 v97, v133, v89, vcc
	v_cndmask_b32_e32 v96, -1, v88, vcc
	v_lshrrev_b64 v[96:97], s69, v[96:97]
	v_and_b32_e32 v96, s95, v96
	v_mul_u32_u24_e32 v5, 5, v96
	v_add_lshl_u32 v5, v5, v177, 2
	; wave barrier
	v_add_u32_e32 v211, 0x410, v5
	ds_read_b32 v210, v5 offset:1040
	v_and_b32_e32 v5, 1, v96
	v_add_co_u32_e32 v97, vcc, -1, v5
	v_addc_co_u32_e64 v98, s[36:37], 0, -1, vcc
	v_cmp_ne_u32_e32 vcc, 0, v5
	v_xor_b32_e32 v5, vcc_hi, v98
	v_and_b32_e32 v98, exec_hi, v5
	v_lshlrev_b32_e32 v5, 30, v96
	v_xor_b32_e32 v97, vcc_lo, v97
	v_cmp_gt_i64_e32 vcc, 0, v[4:5]
	v_not_b32_e32 v5, v5
	v_ashrrev_i32_e32 v5, 31, v5
	v_and_b32_e32 v97, exec_lo, v97
	v_xor_b32_e32 v99, vcc_hi, v5
	v_xor_b32_e32 v5, vcc_lo, v5
	v_and_b32_e32 v97, v97, v5
	v_lshlrev_b32_e32 v5, 29, v96
	v_cmp_gt_i64_e32 vcc, 0, v[4:5]
	v_not_b32_e32 v5, v5
	v_ashrrev_i32_e32 v5, 31, v5
	v_and_b32_e32 v98, v98, v99
	v_xor_b32_e32 v99, vcc_hi, v5
	v_xor_b32_e32 v5, vcc_lo, v5
	v_and_b32_e32 v97, v97, v5
	v_lshlrev_b32_e32 v5, 28, v96
	v_cmp_gt_i64_e32 vcc, 0, v[4:5]
	v_not_b32_e32 v5, v5
	v_ashrrev_i32_e32 v5, 31, v5
	v_and_b32_e32 v98, v98, v99
	;; [unrolled: 8-line block ×5, first 2 shown]
	v_xor_b32_e32 v99, vcc_hi, v5
	v_xor_b32_e32 v5, vcc_lo, v5
	v_and_b32_e32 v98, v98, v99
	v_and_b32_e32 v99, v97, v5
	v_lshlrev_b32_e32 v5, 24, v96
	v_cmp_gt_i64_e32 vcc, 0, v[4:5]
	v_not_b32_e32 v5, v5
	v_ashrrev_i32_e32 v5, 31, v5
	v_xor_b32_e32 v96, vcc_hi, v5
	v_xor_b32_e32 v5, vcc_lo, v5
	v_and_b32_e32 v97, v98, v96
	v_and_b32_e32 v96, v99, v5
	v_mbcnt_lo_u32_b32 v5, v96, 0
	v_mbcnt_hi_u32_b32 v212, v97, v5
	v_cmp_eq_u32_e32 vcc, 0, v212
	v_cmp_ne_u64_e64 s[36:37], 0, v[96:97]
	s_and_b64 s[38:39], s[36:37], vcc
	; wave barrier
	s_and_saveexec_b64 s[36:37], s[38:39]
	s_cbranch_execz .LBB1148_453
; %bb.452:                              ;   in Loop: Header=BB1148_397 Depth=2
	v_bcnt_u32_b32 v5, v96, 0
	v_bcnt_u32_b32 v5, v97, v5
	s_waitcnt lgkmcnt(0)
	v_add_u32_e32 v5, v210, v5
	ds_write_b32 v211, v5
.LBB1148_453:                           ;   in Loop: Header=BB1148_397 Depth=2
	s_or_b64 exec, exec, s[36:37]
	s_waitcnt vmcnt(4)
	v_cmp_gt_i64_e32 vcc, 0, v[84:85]
	v_ashrrev_i32_e32 v96, 31, v85
	v_cndmask_b32_e64 v5, v133, 0, vcc
	v_not_b32_e32 v96, v96
	v_xor_b32_e32 v85, v5, v85
	v_xor_b32_e32 v84, v96, v84
	v_cmp_ne_u64_e32 vcc, s[90:91], v[84:85]
	v_cndmask_b32_e32 v97, v133, v85, vcc
	v_cndmask_b32_e32 v96, -1, v84, vcc
	v_lshrrev_b64 v[96:97], s69, v[96:97]
	v_and_b32_e32 v96, s95, v96
	v_mul_u32_u24_e32 v5, 5, v96
	v_add_lshl_u32 v5, v5, v177, 2
	; wave barrier
	v_add_u32_e32 v214, 0x410, v5
	ds_read_b32 v213, v5 offset:1040
	v_and_b32_e32 v5, 1, v96
	v_add_co_u32_e32 v97, vcc, -1, v5
	v_addc_co_u32_e64 v98, s[36:37], 0, -1, vcc
	v_cmp_ne_u32_e32 vcc, 0, v5
	v_xor_b32_e32 v5, vcc_hi, v98
	v_and_b32_e32 v98, exec_hi, v5
	v_lshlrev_b32_e32 v5, 30, v96
	v_xor_b32_e32 v97, vcc_lo, v97
	v_cmp_gt_i64_e32 vcc, 0, v[4:5]
	v_not_b32_e32 v5, v5
	v_ashrrev_i32_e32 v5, 31, v5
	v_and_b32_e32 v97, exec_lo, v97
	v_xor_b32_e32 v99, vcc_hi, v5
	v_xor_b32_e32 v5, vcc_lo, v5
	v_and_b32_e32 v97, v97, v5
	v_lshlrev_b32_e32 v5, 29, v96
	v_cmp_gt_i64_e32 vcc, 0, v[4:5]
	v_not_b32_e32 v5, v5
	v_ashrrev_i32_e32 v5, 31, v5
	v_and_b32_e32 v98, v98, v99
	v_xor_b32_e32 v99, vcc_hi, v5
	v_xor_b32_e32 v5, vcc_lo, v5
	v_and_b32_e32 v97, v97, v5
	v_lshlrev_b32_e32 v5, 28, v96
	v_cmp_gt_i64_e32 vcc, 0, v[4:5]
	v_not_b32_e32 v5, v5
	v_ashrrev_i32_e32 v5, 31, v5
	v_and_b32_e32 v98, v98, v99
	;; [unrolled: 8-line block ×5, first 2 shown]
	v_xor_b32_e32 v99, vcc_hi, v5
	v_xor_b32_e32 v5, vcc_lo, v5
	v_and_b32_e32 v98, v98, v99
	v_and_b32_e32 v99, v97, v5
	v_lshlrev_b32_e32 v5, 24, v96
	v_cmp_gt_i64_e32 vcc, 0, v[4:5]
	v_not_b32_e32 v5, v5
	v_ashrrev_i32_e32 v5, 31, v5
	v_xor_b32_e32 v96, vcc_hi, v5
	v_xor_b32_e32 v5, vcc_lo, v5
	v_and_b32_e32 v97, v98, v96
	v_and_b32_e32 v96, v99, v5
	v_mbcnt_lo_u32_b32 v5, v96, 0
	v_mbcnt_hi_u32_b32 v215, v97, v5
	v_cmp_eq_u32_e32 vcc, 0, v215
	v_cmp_ne_u64_e64 s[36:37], 0, v[96:97]
	s_and_b64 s[38:39], s[36:37], vcc
	; wave barrier
	s_and_saveexec_b64 s[36:37], s[38:39]
	s_cbranch_execz .LBB1148_455
; %bb.454:                              ;   in Loop: Header=BB1148_397 Depth=2
	v_bcnt_u32_b32 v5, v96, 0
	v_bcnt_u32_b32 v5, v97, v5
	s_waitcnt lgkmcnt(0)
	v_add_u32_e32 v5, v213, v5
	ds_write_b32 v214, v5
.LBB1148_455:                           ;   in Loop: Header=BB1148_397 Depth=2
	s_or_b64 exec, exec, s[36:37]
	s_waitcnt vmcnt(3)
	v_cmp_gt_i64_e32 vcc, 0, v[80:81]
	v_ashrrev_i32_e32 v96, 31, v81
	v_cndmask_b32_e64 v5, v133, 0, vcc
	v_not_b32_e32 v96, v96
	v_xor_b32_e32 v81, v5, v81
	v_xor_b32_e32 v80, v96, v80
	v_cmp_ne_u64_e32 vcc, s[90:91], v[80:81]
	v_cndmask_b32_e32 v97, v133, v81, vcc
	v_cndmask_b32_e32 v96, -1, v80, vcc
	v_lshrrev_b64 v[96:97], s69, v[96:97]
	v_and_b32_e32 v96, s95, v96
	v_mul_u32_u24_e32 v5, 5, v96
	v_add_lshl_u32 v5, v5, v177, 2
	; wave barrier
	v_add_u32_e32 v217, 0x410, v5
	ds_read_b32 v216, v5 offset:1040
	v_and_b32_e32 v5, 1, v96
	v_add_co_u32_e32 v97, vcc, -1, v5
	v_addc_co_u32_e64 v98, s[36:37], 0, -1, vcc
	v_cmp_ne_u32_e32 vcc, 0, v5
	v_xor_b32_e32 v5, vcc_hi, v98
	v_and_b32_e32 v98, exec_hi, v5
	v_lshlrev_b32_e32 v5, 30, v96
	v_xor_b32_e32 v97, vcc_lo, v97
	v_cmp_gt_i64_e32 vcc, 0, v[4:5]
	v_not_b32_e32 v5, v5
	v_ashrrev_i32_e32 v5, 31, v5
	v_and_b32_e32 v97, exec_lo, v97
	v_xor_b32_e32 v99, vcc_hi, v5
	v_xor_b32_e32 v5, vcc_lo, v5
	v_and_b32_e32 v97, v97, v5
	v_lshlrev_b32_e32 v5, 29, v96
	v_cmp_gt_i64_e32 vcc, 0, v[4:5]
	v_not_b32_e32 v5, v5
	v_ashrrev_i32_e32 v5, 31, v5
	v_and_b32_e32 v98, v98, v99
	v_xor_b32_e32 v99, vcc_hi, v5
	v_xor_b32_e32 v5, vcc_lo, v5
	v_and_b32_e32 v97, v97, v5
	v_lshlrev_b32_e32 v5, 28, v96
	v_cmp_gt_i64_e32 vcc, 0, v[4:5]
	v_not_b32_e32 v5, v5
	v_ashrrev_i32_e32 v5, 31, v5
	v_and_b32_e32 v98, v98, v99
	;; [unrolled: 8-line block ×5, first 2 shown]
	v_xor_b32_e32 v99, vcc_hi, v5
	v_xor_b32_e32 v5, vcc_lo, v5
	v_and_b32_e32 v98, v98, v99
	v_and_b32_e32 v99, v97, v5
	v_lshlrev_b32_e32 v5, 24, v96
	v_cmp_gt_i64_e32 vcc, 0, v[4:5]
	v_not_b32_e32 v5, v5
	v_ashrrev_i32_e32 v5, 31, v5
	v_xor_b32_e32 v96, vcc_hi, v5
	v_xor_b32_e32 v5, vcc_lo, v5
	v_and_b32_e32 v97, v98, v96
	v_and_b32_e32 v96, v99, v5
	v_mbcnt_lo_u32_b32 v5, v96, 0
	v_mbcnt_hi_u32_b32 v218, v97, v5
	v_cmp_eq_u32_e32 vcc, 0, v218
	v_cmp_ne_u64_e64 s[36:37], 0, v[96:97]
	s_and_b64 s[38:39], s[36:37], vcc
	; wave barrier
	s_and_saveexec_b64 s[36:37], s[38:39]
	s_cbranch_execz .LBB1148_457
; %bb.456:                              ;   in Loop: Header=BB1148_397 Depth=2
	v_bcnt_u32_b32 v5, v96, 0
	v_bcnt_u32_b32 v5, v97, v5
	s_waitcnt lgkmcnt(0)
	v_add_u32_e32 v5, v216, v5
	ds_write_b32 v217, v5
.LBB1148_457:                           ;   in Loop: Header=BB1148_397 Depth=2
	s_or_b64 exec, exec, s[36:37]
	s_waitcnt vmcnt(2)
	v_cmp_gt_i64_e32 vcc, 0, v[76:77]
	v_ashrrev_i32_e32 v96, 31, v77
	v_cndmask_b32_e64 v5, v133, 0, vcc
	v_not_b32_e32 v96, v96
	v_xor_b32_e32 v77, v5, v77
	v_xor_b32_e32 v76, v96, v76
	v_cmp_ne_u64_e32 vcc, s[90:91], v[76:77]
	v_cndmask_b32_e32 v97, v133, v77, vcc
	v_cndmask_b32_e32 v96, -1, v76, vcc
	v_lshrrev_b64 v[96:97], s69, v[96:97]
	v_and_b32_e32 v96, s95, v96
	v_mul_u32_u24_e32 v5, 5, v96
	v_add_lshl_u32 v5, v5, v177, 2
	; wave barrier
	v_add_u32_e32 v220, 0x410, v5
	ds_read_b32 v219, v5 offset:1040
	v_and_b32_e32 v5, 1, v96
	v_add_co_u32_e32 v97, vcc, -1, v5
	v_addc_co_u32_e64 v98, s[36:37], 0, -1, vcc
	v_cmp_ne_u32_e32 vcc, 0, v5
	v_xor_b32_e32 v5, vcc_hi, v98
	v_and_b32_e32 v98, exec_hi, v5
	v_lshlrev_b32_e32 v5, 30, v96
	v_xor_b32_e32 v97, vcc_lo, v97
	v_cmp_gt_i64_e32 vcc, 0, v[4:5]
	v_not_b32_e32 v5, v5
	v_ashrrev_i32_e32 v5, 31, v5
	v_and_b32_e32 v97, exec_lo, v97
	v_xor_b32_e32 v99, vcc_hi, v5
	v_xor_b32_e32 v5, vcc_lo, v5
	v_and_b32_e32 v97, v97, v5
	v_lshlrev_b32_e32 v5, 29, v96
	v_cmp_gt_i64_e32 vcc, 0, v[4:5]
	v_not_b32_e32 v5, v5
	v_ashrrev_i32_e32 v5, 31, v5
	v_and_b32_e32 v98, v98, v99
	v_xor_b32_e32 v99, vcc_hi, v5
	v_xor_b32_e32 v5, vcc_lo, v5
	v_and_b32_e32 v97, v97, v5
	v_lshlrev_b32_e32 v5, 28, v96
	v_cmp_gt_i64_e32 vcc, 0, v[4:5]
	v_not_b32_e32 v5, v5
	v_ashrrev_i32_e32 v5, 31, v5
	v_and_b32_e32 v98, v98, v99
	;; [unrolled: 8-line block ×5, first 2 shown]
	v_xor_b32_e32 v99, vcc_hi, v5
	v_xor_b32_e32 v5, vcc_lo, v5
	v_and_b32_e32 v98, v98, v99
	v_and_b32_e32 v99, v97, v5
	v_lshlrev_b32_e32 v5, 24, v96
	v_cmp_gt_i64_e32 vcc, 0, v[4:5]
	v_not_b32_e32 v5, v5
	v_ashrrev_i32_e32 v5, 31, v5
	v_xor_b32_e32 v96, vcc_hi, v5
	v_xor_b32_e32 v5, vcc_lo, v5
	v_and_b32_e32 v97, v98, v96
	v_and_b32_e32 v96, v99, v5
	v_mbcnt_lo_u32_b32 v5, v96, 0
	v_mbcnt_hi_u32_b32 v221, v97, v5
	v_cmp_eq_u32_e32 vcc, 0, v221
	v_cmp_ne_u64_e64 s[36:37], 0, v[96:97]
	s_and_b64 s[38:39], s[36:37], vcc
	; wave barrier
	s_and_saveexec_b64 s[36:37], s[38:39]
	s_cbranch_execz .LBB1148_459
; %bb.458:                              ;   in Loop: Header=BB1148_397 Depth=2
	v_bcnt_u32_b32 v5, v96, 0
	v_bcnt_u32_b32 v5, v97, v5
	s_waitcnt lgkmcnt(0)
	v_add_u32_e32 v5, v219, v5
	ds_write_b32 v220, v5
.LBB1148_459:                           ;   in Loop: Header=BB1148_397 Depth=2
	s_or_b64 exec, exec, s[36:37]
	s_waitcnt vmcnt(1)
	v_cmp_gt_i64_e32 vcc, 0, v[72:73]
	v_ashrrev_i32_e32 v96, 31, v73
	v_cndmask_b32_e64 v5, v133, 0, vcc
	v_not_b32_e32 v96, v96
	v_xor_b32_e32 v73, v5, v73
	v_xor_b32_e32 v72, v96, v72
	v_cmp_ne_u64_e32 vcc, s[90:91], v[72:73]
	v_cndmask_b32_e32 v97, v133, v73, vcc
	v_cndmask_b32_e32 v96, -1, v72, vcc
	v_lshrrev_b64 v[96:97], s69, v[96:97]
	v_and_b32_e32 v96, s95, v96
	v_mul_u32_u24_e32 v5, 5, v96
	v_add_lshl_u32 v5, v5, v177, 2
	; wave barrier
	v_add_u32_e32 v223, 0x410, v5
	ds_read_b32 v222, v5 offset:1040
	v_and_b32_e32 v5, 1, v96
	v_add_co_u32_e32 v97, vcc, -1, v5
	v_addc_co_u32_e64 v98, s[36:37], 0, -1, vcc
	v_cmp_ne_u32_e32 vcc, 0, v5
	v_xor_b32_e32 v5, vcc_hi, v98
	v_and_b32_e32 v98, exec_hi, v5
	v_lshlrev_b32_e32 v5, 30, v96
	v_xor_b32_e32 v97, vcc_lo, v97
	v_cmp_gt_i64_e32 vcc, 0, v[4:5]
	v_not_b32_e32 v5, v5
	v_ashrrev_i32_e32 v5, 31, v5
	v_and_b32_e32 v97, exec_lo, v97
	v_xor_b32_e32 v99, vcc_hi, v5
	v_xor_b32_e32 v5, vcc_lo, v5
	v_and_b32_e32 v97, v97, v5
	v_lshlrev_b32_e32 v5, 29, v96
	v_cmp_gt_i64_e32 vcc, 0, v[4:5]
	v_not_b32_e32 v5, v5
	v_ashrrev_i32_e32 v5, 31, v5
	v_and_b32_e32 v98, v98, v99
	v_xor_b32_e32 v99, vcc_hi, v5
	v_xor_b32_e32 v5, vcc_lo, v5
	v_and_b32_e32 v97, v97, v5
	v_lshlrev_b32_e32 v5, 28, v96
	v_cmp_gt_i64_e32 vcc, 0, v[4:5]
	v_not_b32_e32 v5, v5
	v_ashrrev_i32_e32 v5, 31, v5
	v_and_b32_e32 v98, v98, v99
	;; [unrolled: 8-line block ×5, first 2 shown]
	v_xor_b32_e32 v99, vcc_hi, v5
	v_xor_b32_e32 v5, vcc_lo, v5
	v_and_b32_e32 v98, v98, v99
	v_and_b32_e32 v99, v97, v5
	v_lshlrev_b32_e32 v5, 24, v96
	v_cmp_gt_i64_e32 vcc, 0, v[4:5]
	v_not_b32_e32 v5, v5
	v_ashrrev_i32_e32 v5, 31, v5
	v_xor_b32_e32 v96, vcc_hi, v5
	v_xor_b32_e32 v5, vcc_lo, v5
	v_and_b32_e32 v97, v98, v96
	v_and_b32_e32 v96, v99, v5
	v_mbcnt_lo_u32_b32 v5, v96, 0
	v_mbcnt_hi_u32_b32 v224, v97, v5
	v_cmp_eq_u32_e32 vcc, 0, v224
	v_cmp_ne_u64_e64 s[36:37], 0, v[96:97]
	s_and_b64 s[38:39], s[36:37], vcc
	; wave barrier
	s_and_saveexec_b64 s[36:37], s[38:39]
	s_cbranch_execz .LBB1148_461
; %bb.460:                              ;   in Loop: Header=BB1148_397 Depth=2
	v_bcnt_u32_b32 v5, v96, 0
	v_bcnt_u32_b32 v5, v97, v5
	s_waitcnt lgkmcnt(0)
	v_add_u32_e32 v5, v222, v5
	ds_write_b32 v223, v5
.LBB1148_461:                           ;   in Loop: Header=BB1148_397 Depth=2
	s_or_b64 exec, exec, s[36:37]
	s_waitcnt vmcnt(0)
	v_cmp_gt_i64_e32 vcc, 0, v[68:69]
	v_ashrrev_i32_e32 v96, 31, v69
	v_cndmask_b32_e64 v5, v133, 0, vcc
	v_not_b32_e32 v96, v96
	v_xor_b32_e32 v69, v5, v69
	v_xor_b32_e32 v68, v96, v68
	v_cmp_ne_u64_e32 vcc, s[90:91], v[68:69]
	v_cndmask_b32_e32 v97, v133, v69, vcc
	v_cndmask_b32_e32 v96, -1, v68, vcc
	v_lshrrev_b64 v[96:97], s69, v[96:97]
	v_and_b32_e32 v96, s95, v96
	v_mul_u32_u24_e32 v5, 5, v96
	v_add_lshl_u32 v5, v5, v177, 2
	; wave barrier
	v_add_u32_e32 v226, 0x410, v5
	ds_read_b32 v225, v5 offset:1040
	v_and_b32_e32 v5, 1, v96
	v_add_co_u32_e32 v97, vcc, -1, v5
	v_addc_co_u32_e64 v98, s[36:37], 0, -1, vcc
	v_cmp_ne_u32_e32 vcc, 0, v5
	v_xor_b32_e32 v5, vcc_hi, v98
	v_and_b32_e32 v98, exec_hi, v5
	v_lshlrev_b32_e32 v5, 30, v96
	v_xor_b32_e32 v97, vcc_lo, v97
	v_cmp_gt_i64_e32 vcc, 0, v[4:5]
	v_not_b32_e32 v5, v5
	v_ashrrev_i32_e32 v5, 31, v5
	v_and_b32_e32 v97, exec_lo, v97
	v_xor_b32_e32 v99, vcc_hi, v5
	v_xor_b32_e32 v5, vcc_lo, v5
	v_and_b32_e32 v97, v97, v5
	v_lshlrev_b32_e32 v5, 29, v96
	v_cmp_gt_i64_e32 vcc, 0, v[4:5]
	v_not_b32_e32 v5, v5
	v_ashrrev_i32_e32 v5, 31, v5
	v_and_b32_e32 v98, v98, v99
	v_xor_b32_e32 v99, vcc_hi, v5
	v_xor_b32_e32 v5, vcc_lo, v5
	v_and_b32_e32 v97, v97, v5
	v_lshlrev_b32_e32 v5, 28, v96
	v_cmp_gt_i64_e32 vcc, 0, v[4:5]
	v_not_b32_e32 v5, v5
	v_ashrrev_i32_e32 v5, 31, v5
	v_and_b32_e32 v98, v98, v99
	;; [unrolled: 8-line block ×5, first 2 shown]
	v_xor_b32_e32 v99, vcc_hi, v5
	v_xor_b32_e32 v5, vcc_lo, v5
	v_and_b32_e32 v98, v98, v99
	v_and_b32_e32 v99, v97, v5
	v_lshlrev_b32_e32 v5, 24, v96
	v_cmp_gt_i64_e32 vcc, 0, v[4:5]
	v_not_b32_e32 v5, v5
	v_ashrrev_i32_e32 v5, 31, v5
	v_xor_b32_e32 v96, vcc_hi, v5
	v_xor_b32_e32 v5, vcc_lo, v5
	v_and_b32_e32 v97, v98, v96
	v_and_b32_e32 v96, v99, v5
	v_mbcnt_lo_u32_b32 v5, v96, 0
	v_mbcnt_hi_u32_b32 v227, v97, v5
	v_cmp_eq_u32_e32 vcc, 0, v227
	v_cmp_ne_u64_e64 s[36:37], 0, v[96:97]
	s_and_b64 s[38:39], s[36:37], vcc
	; wave barrier
	s_and_saveexec_b64 s[36:37], s[38:39]
	s_cbranch_execz .LBB1148_463
; %bb.462:                              ;   in Loop: Header=BB1148_397 Depth=2
	v_bcnt_u32_b32 v5, v96, 0
	v_bcnt_u32_b32 v5, v97, v5
	s_waitcnt lgkmcnt(0)
	v_add_u32_e32 v5, v225, v5
	ds_write_b32 v226, v5
.LBB1148_463:                           ;   in Loop: Header=BB1148_397 Depth=2
	s_or_b64 exec, exec, s[36:37]
	v_cmp_gt_i64_e32 vcc, 0, v[70:71]
	v_ashrrev_i32_e32 v96, 31, v71
	v_cndmask_b32_e64 v5, v133, 0, vcc
	v_not_b32_e32 v96, v96
	v_xor_b32_e32 v71, v5, v71
	v_xor_b32_e32 v70, v96, v70
	v_cmp_ne_u64_e32 vcc, s[90:91], v[70:71]
	v_cndmask_b32_e32 v97, v133, v71, vcc
	v_cndmask_b32_e32 v96, -1, v70, vcc
	v_lshrrev_b64 v[96:97], s69, v[96:97]
	v_and_b32_e32 v96, s95, v96
	v_mul_u32_u24_e32 v5, 5, v96
	v_add_lshl_u32 v5, v5, v177, 2
	; wave barrier
	v_add_u32_e32 v229, 0x410, v5
	ds_read_b32 v228, v5 offset:1040
	v_and_b32_e32 v5, 1, v96
	v_add_co_u32_e32 v97, vcc, -1, v5
	v_addc_co_u32_e64 v98, s[36:37], 0, -1, vcc
	v_cmp_ne_u32_e32 vcc, 0, v5
	v_xor_b32_e32 v5, vcc_hi, v98
	v_and_b32_e32 v98, exec_hi, v5
	v_lshlrev_b32_e32 v5, 30, v96
	v_xor_b32_e32 v97, vcc_lo, v97
	v_cmp_gt_i64_e32 vcc, 0, v[4:5]
	v_not_b32_e32 v5, v5
	v_ashrrev_i32_e32 v5, 31, v5
	v_and_b32_e32 v97, exec_lo, v97
	v_xor_b32_e32 v99, vcc_hi, v5
	v_xor_b32_e32 v5, vcc_lo, v5
	v_and_b32_e32 v97, v97, v5
	v_lshlrev_b32_e32 v5, 29, v96
	v_cmp_gt_i64_e32 vcc, 0, v[4:5]
	v_not_b32_e32 v5, v5
	v_ashrrev_i32_e32 v5, 31, v5
	v_and_b32_e32 v98, v98, v99
	v_xor_b32_e32 v99, vcc_hi, v5
	v_xor_b32_e32 v5, vcc_lo, v5
	v_and_b32_e32 v97, v97, v5
	v_lshlrev_b32_e32 v5, 28, v96
	v_cmp_gt_i64_e32 vcc, 0, v[4:5]
	v_not_b32_e32 v5, v5
	v_ashrrev_i32_e32 v5, 31, v5
	v_and_b32_e32 v98, v98, v99
	;; [unrolled: 8-line block ×5, first 2 shown]
	v_xor_b32_e32 v99, vcc_hi, v5
	v_xor_b32_e32 v5, vcc_lo, v5
	v_and_b32_e32 v98, v98, v99
	v_and_b32_e32 v99, v97, v5
	v_lshlrev_b32_e32 v5, 24, v96
	v_cmp_gt_i64_e32 vcc, 0, v[4:5]
	v_not_b32_e32 v5, v5
	v_ashrrev_i32_e32 v5, 31, v5
	v_xor_b32_e32 v96, vcc_hi, v5
	v_xor_b32_e32 v5, vcc_lo, v5
	v_and_b32_e32 v97, v98, v96
	v_and_b32_e32 v96, v99, v5
	v_mbcnt_lo_u32_b32 v5, v96, 0
	v_mbcnt_hi_u32_b32 v230, v97, v5
	v_cmp_eq_u32_e32 vcc, 0, v230
	v_cmp_ne_u64_e64 s[36:37], 0, v[96:97]
	s_and_b64 s[38:39], s[36:37], vcc
	; wave barrier
	s_and_saveexec_b64 s[36:37], s[38:39]
	s_cbranch_execz .LBB1148_465
; %bb.464:                              ;   in Loop: Header=BB1148_397 Depth=2
	v_bcnt_u32_b32 v5, v96, 0
	v_bcnt_u32_b32 v5, v97, v5
	s_waitcnt lgkmcnt(0)
	v_add_u32_e32 v5, v228, v5
	ds_write_b32 v229, v5
.LBB1148_465:                           ;   in Loop: Header=BB1148_397 Depth=2
	s_or_b64 exec, exec, s[36:37]
	; wave barrier
	s_waitcnt lgkmcnt(0)
	s_barrier
	ds_read_b32 v5, v27 offset:1040
	ds_read2_b32 v[98:99], v31 offset0:1 offset1:2
	ds_read2_b32 v[96:97], v31 offset0:3 offset1:4
	s_waitcnt lgkmcnt(1)
	v_add3_u32 v231, v98, v5, v99
	s_waitcnt lgkmcnt(0)
	v_add3_u32 v97, v231, v96, v97
	s_nop 1
	v_mov_b32_dpp v231, v97 row_shr:1 row_mask:0xf bank_mask:0xf
	v_cndmask_b32_e64 v231, v231, 0, s[16:17]
	v_add_u32_e32 v97, v231, v97
	s_nop 1
	v_mov_b32_dpp v231, v97 row_shr:2 row_mask:0xf bank_mask:0xf
	v_cndmask_b32_e64 v231, 0, v231, s[18:19]
	v_add_u32_e32 v97, v97, v231
	s_nop 1
	v_mov_b32_dpp v231, v97 row_shr:4 row_mask:0xf bank_mask:0xf
	v_cndmask_b32_e64 v231, 0, v231, s[20:21]
	v_add_u32_e32 v97, v97, v231
	s_nop 1
	v_mov_b32_dpp v231, v97 row_shr:8 row_mask:0xf bank_mask:0xf
	v_cndmask_b32_e64 v231, 0, v231, s[22:23]
	v_add_u32_e32 v97, v97, v231
	s_nop 1
	v_mov_b32_dpp v231, v97 row_bcast:15 row_mask:0xf bank_mask:0xf
	v_cndmask_b32_e64 v231, v231, 0, s[24:25]
	v_add_u32_e32 v97, v97, v231
	s_nop 1
	v_mov_b32_dpp v231, v97 row_bcast:31 row_mask:0xf bank_mask:0xf
	v_cndmask_b32_e64 v231, 0, v231, s[26:27]
	v_add_u32_e32 v97, v97, v231
	s_and_saveexec_b64 s[36:37], s[6:7]
	s_cbranch_execz .LBB1148_467
; %bb.466:                              ;   in Loop: Header=BB1148_397 Depth=2
	ds_write_b32 v15, v97 offset:1024
.LBB1148_467:                           ;   in Loop: Header=BB1148_397 Depth=2
	s_or_b64 exec, exec, s[36:37]
	s_waitcnt lgkmcnt(0)
	s_barrier
	s_and_saveexec_b64 s[36:37], s[8:9]
	s_cbranch_execz .LBB1148_469
; %bb.468:                              ;   in Loop: Header=BB1148_397 Depth=2
	ds_read_b32 v231, v33 offset:1024
	s_waitcnt lgkmcnt(0)
	s_nop 0
	v_mov_b32_dpp v232, v231 row_shr:1 row_mask:0xf bank_mask:0xf
	v_cndmask_b32_e64 v232, v232, 0, s[30:31]
	v_add_u32_e32 v231, v232, v231
	s_nop 1
	v_mov_b32_dpp v232, v231 row_shr:2 row_mask:0xf bank_mask:0xf
	v_cndmask_b32_e64 v232, 0, v232, s[34:35]
	v_add_u32_e32 v231, v231, v232
	ds_write_b32 v33, v231 offset:1024
.LBB1148_469:                           ;   in Loop: Header=BB1148_397 Depth=2
	s_or_b64 exec, exec, s[36:37]
	v_mov_b32_e32 v231, 0
	s_waitcnt lgkmcnt(0)
	s_barrier
	s_and_saveexec_b64 s[36:37], s[10:11]
	s_cbranch_execz .LBB1148_471
; %bb.470:                              ;   in Loop: Header=BB1148_397 Depth=2
	ds_read_b32 v231, v15 offset:1020
.LBB1148_471:                           ;   in Loop: Header=BB1148_397 Depth=2
	s_or_b64 exec, exec, s[36:37]
	s_waitcnt lgkmcnt(0)
	v_add_u32_e32 v97, v231, v97
	ds_bpermute_b32 v97, v159, v97
	s_waitcnt lgkmcnt(0)
	v_cndmask_b32_e64 v97, v97, v231, s[28:29]
	v_cndmask_b32_e64 v97, v97, 0, s[12:13]
	v_add_u32_e32 v5, v97, v5
	ds_write_b32 v27, v97 offset:1040
	v_add_u32_e32 v97, v5, v98
	v_add_u32_e32 v98, v97, v99
	ds_write2_b32 v31, v5, v97 offset0:1 offset1:2
	v_add_u32_e32 v5, v98, v96
	ds_write2_b32 v31, v98, v5 offset0:3 offset1:4
	s_waitcnt lgkmcnt(0)
	s_barrier
	ds_read_b32 v97, v187
	ds_read_b32 v235, v190
	;; [unrolled: 1-line block ×16, first 2 shown]
	ds_read_b32 v184, v27 offset:1040
	v_mov_b32_e32 v5, 0x1000
	s_and_saveexec_b64 s[36:37], s[14:15]
	s_cbranch_execz .LBB1148_473
; %bb.472:                              ;   in Loop: Header=BB1148_397 Depth=2
	ds_read_b32 v5, v27 offset:1060
.LBB1148_473:                           ;   in Loop: Header=BB1148_397 Depth=2
	s_or_b64 exec, exec, s[36:37]
	s_waitcnt lgkmcnt(0)
	s_barrier
	s_and_saveexec_b64 s[36:37], s[4:5]
	s_cbranch_execz .LBB1148_475
; %bb.474:                              ;   in Loop: Header=BB1148_397 Depth=2
	ds_read_b32 v208, v3
	s_waitcnt lgkmcnt(0)
	v_sub_u32_e32 v184, v208, v184
	ds_write_b32 v3, v184
.LBB1148_475:                           ;   in Loop: Header=BB1148_397 Depth=2
	s_or_b64 exec, exec, s[36:37]
	v_add_u32_e32 v186, v188, v186
	v_add_u32_e32 v189, v191, v189
	v_add_lshl_u32 v96, v96, v185, 3
	v_add_lshl_u32 v97, v186, v97, 3
	v_add_u32_e32 v198, v200, v198
	v_add_u32_e32 v195, v197, v195
	;; [unrolled: 1-line block ×3, first 2 shown]
	ds_write_b64 v96, v[64:65] offset:1024
	ds_write_b64 v97, v[66:67] offset:1024
	v_add_lshl_u32 v66, v189, v235, 3
	v_add_u32_e32 v213, v215, v213
	v_add_u32_e32 v210, v212, v210
	v_add_u32_e32 v207, v209, v207
	v_add_u32_e32 v204, v206, v204
	v_add_u32_e32 v201, v203, v201
	ds_write_b64 v66, v[74:75] offset:1024
	v_add_lshl_u32 v67, v192, v234, 3
	v_add_lshl_u32 v74, v195, v233, 3
	;; [unrolled: 1-line block ×3, first 2 shown]
	v_add_u32_e32 v216, v218, v216
	ds_write_b64 v67, v[78:79] offset:1024
	ds_write_b64 v74, v[82:83] offset:1024
	;; [unrolled: 1-line block ×3, first 2 shown]
	v_add_lshl_u32 v78, v201, v231, 3
	v_add_lshl_u32 v79, v204, v205, 3
	;; [unrolled: 1-line block ×5, first 2 shown]
	v_add_u32_e32 v214, v221, v219
	ds_write_b64 v78, v[90:91] offset:1024
	ds_write_b64 v79, v[94:95] offset:1024
	;; [unrolled: 1-line block ×5, first 2 shown]
	v_add_lshl_u32 v84, v216, v193, 3
	v_add_u32_e32 v211, v224, v222
	ds_write_b64 v84, v[80:81] offset:1024
	v_add_lshl_u32 v80, v214, v190, 3
	v_add_u32_e32 v208, v227, v225
	ds_write_b64 v80, v[76:77] offset:1024
	v_add_lshl_u32 v76, v211, v187, 3
	v_add_u32_e32 v184, v230, v228
	ds_write_b64 v76, v[72:73] offset:1024
	v_add_lshl_u32 v72, v208, v99, 3
	ds_write_b64 v72, v[68:69] offset:1024
	v_add_lshl_u32 v68, v184, v98, 3
	v_cmp_lt_u32_e64 s[36:37], v2, v183
	ds_write_b64 v68, v[70:71] offset:1024
	s_waitcnt lgkmcnt(0)
	s_barrier
	s_and_saveexec_b64 s[40:41], s[36:37]
	s_cbranch_execz .LBB1148_491
; %bb.476:                              ;   in Loop: Header=BB1148_397 Depth=2
	v_add_u32_e32 v64, v33, v3
	ds_read_b64 v[64:65], v64 offset:1024
	v_mov_b32_e32 v71, v4
	s_waitcnt lgkmcnt(0)
	v_cmp_ne_u64_e32 vcc, s[90:91], v[64:65]
	v_cndmask_b32_e32 v89, v133, v65, vcc
	v_cndmask_b32_e32 v88, -1, v64, vcc
	v_lshrrev_b64 v[88:89], s69, v[88:89]
	v_and_b32_e32 v70, s95, v88
	v_lshlrev_b32_e32 v70, 2, v70
	ds_read_b32 v70, v70
	v_cmp_gt_i64_e64 s[38:39], 0, v[64:65]
	v_cndmask_b32_e64 v69, v133, 0, s[38:39]
	v_ashrrev_i32_e32 v73, 31, v65
	v_not_b32_e32 v73, v73
	s_waitcnt lgkmcnt(0)
	v_add_u32_e32 v70, v70, v2
	v_lshlrev_b64 v[70:71], 3, v[70:71]
	v_xor_b32_e32 v65, v69, v65
	v_mov_b32_e32 v69, s77
	v_add_co_u32_e32 v70, vcc, s76, v70
	v_xor_b32_e32 v64, v73, v64
	v_addc_co_u32_e32 v71, vcc, v69, v71, vcc
	global_store_dwordx2 v[70:71], v[64:65], off
	s_or_b64 exec, exec, s[40:41]
	v_cmp_lt_u32_e64 s[38:39], v7, v183
	s_and_saveexec_b64 s[42:43], s[38:39]
	s_cbranch_execnz .LBB1148_492
.LBB1148_477:                           ;   in Loop: Header=BB1148_397 Depth=2
	s_or_b64 exec, exec, s[42:43]
	v_cmp_lt_u32_e64 s[40:41], v6, v183
	s_and_saveexec_b64 s[44:45], s[40:41]
	s_cbranch_execz .LBB1148_493
.LBB1148_478:                           ;   in Loop: Header=BB1148_397 Depth=2
	ds_read_b64 v[64:65], v104 offset:4096
	v_mov_b32_e32 v71, v4
	s_waitcnt lgkmcnt(0)
	v_cmp_ne_u64_e32 vcc, s[90:91], v[64:65]
	v_cndmask_b32_e32 v89, v133, v65, vcc
	v_cndmask_b32_e32 v88, -1, v64, vcc
	v_lshrrev_b64 v[88:89], s69, v[88:89]
	v_and_b32_e32 v70, s95, v88
	v_lshlrev_b32_e32 v70, 2, v70
	ds_read_b32 v70, v70
	v_cmp_gt_i64_e64 s[42:43], 0, v[64:65]
	v_cndmask_b32_e64 v69, v133, 0, s[42:43]
	v_ashrrev_i32_e32 v73, 31, v65
	v_not_b32_e32 v73, v73
	s_waitcnt lgkmcnt(0)
	v_add_u32_e32 v70, v70, v6
	v_lshlrev_b64 v[70:71], 3, v[70:71]
	v_xor_b32_e32 v65, v69, v65
	v_mov_b32_e32 v69, s77
	v_add_co_u32_e32 v70, vcc, s76, v70
	v_xor_b32_e32 v64, v73, v64
	v_addc_co_u32_e32 v71, vcc, v69, v71, vcc
	global_store_dwordx2 v[70:71], v[64:65], off
	s_or_b64 exec, exec, s[44:45]
	v_cmp_lt_u32_e64 s[42:43], v8, v183
	s_and_saveexec_b64 s[46:47], s[42:43]
	s_cbranch_execnz .LBB1148_494
.LBB1148_479:                           ;   in Loop: Header=BB1148_397 Depth=2
	s_or_b64 exec, exec, s[46:47]
	v_cmp_lt_u32_e64 s[44:45], v10, v183
	s_and_saveexec_b64 s[48:49], s[44:45]
	s_cbranch_execz .LBB1148_495
.LBB1148_480:                           ;   in Loop: Header=BB1148_397 Depth=2
	ds_read_b64 v[64:65], v104 offset:8192
	v_mov_b32_e32 v71, v4
	s_waitcnt lgkmcnt(0)
	v_cmp_ne_u64_e32 vcc, s[90:91], v[64:65]
	v_cndmask_b32_e32 v89, v133, v65, vcc
	v_cndmask_b32_e32 v88, -1, v64, vcc
	v_lshrrev_b64 v[88:89], s69, v[88:89]
	v_and_b32_e32 v70, s95, v88
	v_lshlrev_b32_e32 v70, 2, v70
	ds_read_b32 v70, v70
	v_cmp_gt_i64_e64 s[46:47], 0, v[64:65]
	v_cndmask_b32_e64 v69, v133, 0, s[46:47]
	v_ashrrev_i32_e32 v73, 31, v65
	v_not_b32_e32 v73, v73
	s_waitcnt lgkmcnt(0)
	v_add_u32_e32 v70, v70, v10
	v_lshlrev_b64 v[70:71], 3, v[70:71]
	v_xor_b32_e32 v65, v69, v65
	v_mov_b32_e32 v69, s77
	v_add_co_u32_e32 v70, vcc, s76, v70
	v_xor_b32_e32 v64, v73, v64
	v_addc_co_u32_e32 v71, vcc, v69, v71, vcc
	global_store_dwordx2 v[70:71], v[64:65], off
	s_or_b64 exec, exec, s[48:49]
	v_cmp_lt_u32_e64 s[46:47], v12, v183
	s_and_saveexec_b64 s[50:51], s[46:47]
	s_cbranch_execnz .LBB1148_496
.LBB1148_481:                           ;   in Loop: Header=BB1148_397 Depth=2
	s_or_b64 exec, exec, s[50:51]
	v_cmp_lt_u32_e64 s[48:49], v14, v183
	s_and_saveexec_b64 s[52:53], s[48:49]
	s_cbranch_execz .LBB1148_497
.LBB1148_482:                           ;   in Loop: Header=BB1148_397 Depth=2
	ds_read_b64 v[64:65], v104 offset:12288
	v_mov_b32_e32 v71, v4
	s_waitcnt lgkmcnt(0)
	v_cmp_ne_u64_e32 vcc, s[90:91], v[64:65]
	v_cndmask_b32_e32 v89, v133, v65, vcc
	v_cndmask_b32_e32 v88, -1, v64, vcc
	v_lshrrev_b64 v[88:89], s69, v[88:89]
	v_and_b32_e32 v70, s95, v88
	v_lshlrev_b32_e32 v70, 2, v70
	ds_read_b32 v70, v70
	v_cmp_gt_i64_e64 s[50:51], 0, v[64:65]
	v_cndmask_b32_e64 v69, v133, 0, s[50:51]
	v_ashrrev_i32_e32 v73, 31, v65
	v_not_b32_e32 v73, v73
	s_waitcnt lgkmcnt(0)
	v_add_u32_e32 v70, v70, v14
	v_lshlrev_b64 v[70:71], 3, v[70:71]
	v_xor_b32_e32 v65, v69, v65
	v_mov_b32_e32 v69, s77
	v_add_co_u32_e32 v70, vcc, s76, v70
	v_xor_b32_e32 v64, v73, v64
	v_addc_co_u32_e32 v71, vcc, v69, v71, vcc
	global_store_dwordx2 v[70:71], v[64:65], off
	s_or_b64 exec, exec, s[52:53]
	v_cmp_lt_u32_e64 s[50:51], v16, v183
	s_and_saveexec_b64 s[54:55], s[50:51]
	s_cbranch_execnz .LBB1148_498
.LBB1148_483:                           ;   in Loop: Header=BB1148_397 Depth=2
	s_or_b64 exec, exec, s[54:55]
	v_cmp_lt_u32_e64 s[52:53], v18, v183
	s_and_saveexec_b64 s[56:57], s[52:53]
	s_cbranch_execz .LBB1148_499
.LBB1148_484:                           ;   in Loop: Header=BB1148_397 Depth=2
	ds_read_b64 v[64:65], v104 offset:16384
	v_mov_b32_e32 v71, v4
	s_waitcnt lgkmcnt(0)
	v_cmp_ne_u64_e32 vcc, s[90:91], v[64:65]
	v_cndmask_b32_e32 v89, v133, v65, vcc
	v_cndmask_b32_e32 v88, -1, v64, vcc
	v_lshrrev_b64 v[88:89], s69, v[88:89]
	v_and_b32_e32 v70, s95, v88
	v_lshlrev_b32_e32 v70, 2, v70
	ds_read_b32 v70, v70
	v_cmp_gt_i64_e64 s[54:55], 0, v[64:65]
	v_cndmask_b32_e64 v69, v133, 0, s[54:55]
	v_ashrrev_i32_e32 v73, 31, v65
	v_not_b32_e32 v73, v73
	s_waitcnt lgkmcnt(0)
	v_add_u32_e32 v70, v70, v18
	v_lshlrev_b64 v[70:71], 3, v[70:71]
	v_xor_b32_e32 v65, v69, v65
	v_mov_b32_e32 v69, s77
	v_add_co_u32_e32 v70, vcc, s76, v70
	v_xor_b32_e32 v64, v73, v64
	v_addc_co_u32_e32 v71, vcc, v69, v71, vcc
	global_store_dwordx2 v[70:71], v[64:65], off
	s_or_b64 exec, exec, s[56:57]
	v_cmp_lt_u32_e64 s[54:55], v20, v183
	s_and_saveexec_b64 s[58:59], s[54:55]
	s_cbranch_execnz .LBB1148_500
.LBB1148_485:                           ;   in Loop: Header=BB1148_397 Depth=2
	s_or_b64 exec, exec, s[58:59]
	v_cmp_lt_u32_e64 s[56:57], v22, v183
	s_and_saveexec_b64 s[60:61], s[56:57]
	s_cbranch_execz .LBB1148_501
.LBB1148_486:                           ;   in Loop: Header=BB1148_397 Depth=2
	ds_read_b64 v[64:65], v104 offset:20480
	v_mov_b32_e32 v71, v4
	s_waitcnt lgkmcnt(0)
	v_cmp_ne_u64_e32 vcc, s[90:91], v[64:65]
	v_cndmask_b32_e32 v89, v133, v65, vcc
	v_cndmask_b32_e32 v88, -1, v64, vcc
	v_lshrrev_b64 v[88:89], s69, v[88:89]
	v_and_b32_e32 v70, s95, v88
	v_lshlrev_b32_e32 v70, 2, v70
	ds_read_b32 v70, v70
	v_cmp_gt_i64_e64 s[58:59], 0, v[64:65]
	v_cndmask_b32_e64 v69, v133, 0, s[58:59]
	v_ashrrev_i32_e32 v73, 31, v65
	v_not_b32_e32 v73, v73
	s_waitcnt lgkmcnt(0)
	v_add_u32_e32 v70, v70, v22
	v_lshlrev_b64 v[70:71], 3, v[70:71]
	v_xor_b32_e32 v65, v69, v65
	v_mov_b32_e32 v69, s77
	v_add_co_u32_e32 v70, vcc, s76, v70
	v_xor_b32_e32 v64, v73, v64
	v_addc_co_u32_e32 v71, vcc, v69, v71, vcc
	global_store_dwordx2 v[70:71], v[64:65], off
	s_or_b64 exec, exec, s[60:61]
	v_cmp_lt_u32_e64 s[58:59], v24, v183
	s_and_saveexec_b64 s[62:63], s[58:59]
	s_cbranch_execnz .LBB1148_502
.LBB1148_487:                           ;   in Loop: Header=BB1148_397 Depth=2
	s_or_b64 exec, exec, s[62:63]
	v_cmp_lt_u32_e64 s[60:61], v26, v183
	s_and_saveexec_b64 s[64:65], s[60:61]
	s_cbranch_execz .LBB1148_503
.LBB1148_488:                           ;   in Loop: Header=BB1148_397 Depth=2
	ds_read_b64 v[64:65], v104 offset:24576
	v_mov_b32_e32 v71, v4
	s_waitcnt lgkmcnt(0)
	v_cmp_ne_u64_e32 vcc, s[90:91], v[64:65]
	v_cndmask_b32_e32 v89, v133, v65, vcc
	v_cndmask_b32_e32 v88, -1, v64, vcc
	v_lshrrev_b64 v[88:89], s69, v[88:89]
	v_and_b32_e32 v70, s95, v88
	v_lshlrev_b32_e32 v70, 2, v70
	ds_read_b32 v70, v70
	v_cmp_gt_i64_e64 s[62:63], 0, v[64:65]
	v_cndmask_b32_e64 v69, v133, 0, s[62:63]
	v_ashrrev_i32_e32 v73, 31, v65
	v_not_b32_e32 v73, v73
	s_waitcnt lgkmcnt(0)
	v_add_u32_e32 v70, v70, v26
	v_lshlrev_b64 v[70:71], 3, v[70:71]
	v_xor_b32_e32 v65, v69, v65
	v_mov_b32_e32 v69, s77
	v_add_co_u32_e32 v70, vcc, s76, v70
	v_xor_b32_e32 v64, v73, v64
	v_addc_co_u32_e32 v71, vcc, v69, v71, vcc
	global_store_dwordx2 v[70:71], v[64:65], off
	s_or_b64 exec, exec, s[64:65]
	v_cmp_lt_u32_e64 s[62:63], v28, v183
	s_and_saveexec_b64 s[66:67], s[62:63]
	s_cbranch_execnz .LBB1148_504
.LBB1148_489:                           ;   in Loop: Header=BB1148_397 Depth=2
	s_or_b64 exec, exec, s[66:67]
	v_cmp_lt_u32_e64 s[64:65], v30, v183
	s_and_saveexec_b64 s[78:79], s[64:65]
	s_cbranch_execz .LBB1148_505
.LBB1148_490:                           ;   in Loop: Header=BB1148_397 Depth=2
	ds_read_b64 v[64:65], v104 offset:28672
	v_mov_b32_e32 v71, v4
	s_waitcnt lgkmcnt(0)
	v_cmp_ne_u64_e32 vcc, s[90:91], v[64:65]
	v_cndmask_b32_e32 v89, v133, v65, vcc
	v_cndmask_b32_e32 v88, -1, v64, vcc
	v_lshrrev_b64 v[88:89], s69, v[88:89]
	v_and_b32_e32 v70, s95, v88
	v_lshlrev_b32_e32 v70, 2, v70
	ds_read_b32 v70, v70
	v_cmp_gt_i64_e64 s[66:67], 0, v[64:65]
	v_cndmask_b32_e64 v69, v133, 0, s[66:67]
	v_ashrrev_i32_e32 v73, 31, v65
	v_not_b32_e32 v73, v73
	s_waitcnt lgkmcnt(0)
	v_add_u32_e32 v70, v70, v30
	v_lshlrev_b64 v[70:71], 3, v[70:71]
	v_xor_b32_e32 v65, v69, v65
	v_mov_b32_e32 v69, s77
	v_add_co_u32_e32 v70, vcc, s76, v70
	v_xor_b32_e32 v64, v73, v64
	v_addc_co_u32_e32 v71, vcc, v69, v71, vcc
	global_store_dwordx2 v[70:71], v[64:65], off
	s_or_b64 exec, exec, s[78:79]
	v_cmp_lt_u32_e64 s[66:67], v32, v183
	s_and_saveexec_b64 s[78:79], s[66:67]
	s_cbranch_execnz .LBB1148_506
	s_branch .LBB1148_507
.LBB1148_491:                           ;   in Loop: Header=BB1148_397 Depth=2
	s_or_b64 exec, exec, s[40:41]
	v_cmp_lt_u32_e64 s[38:39], v7, v183
	s_and_saveexec_b64 s[42:43], s[38:39]
	s_cbranch_execz .LBB1148_477
.LBB1148_492:                           ;   in Loop: Header=BB1148_397 Depth=2
	ds_read_b64 v[64:65], v104 offset:2048
	v_mov_b32_e32 v71, v4
	s_waitcnt lgkmcnt(0)
	v_cmp_ne_u64_e32 vcc, s[90:91], v[64:65]
	v_cndmask_b32_e32 v89, v133, v65, vcc
	v_cndmask_b32_e32 v88, -1, v64, vcc
	v_lshrrev_b64 v[88:89], s69, v[88:89]
	v_and_b32_e32 v70, s95, v88
	v_lshlrev_b32_e32 v70, 2, v70
	ds_read_b32 v70, v70
	v_cmp_gt_i64_e64 s[40:41], 0, v[64:65]
	v_cndmask_b32_e64 v69, v133, 0, s[40:41]
	v_ashrrev_i32_e32 v73, 31, v65
	v_not_b32_e32 v73, v73
	s_waitcnt lgkmcnt(0)
	v_add_u32_e32 v70, v70, v7
	v_lshlrev_b64 v[70:71], 3, v[70:71]
	v_xor_b32_e32 v65, v69, v65
	v_mov_b32_e32 v69, s77
	v_add_co_u32_e32 v70, vcc, s76, v70
	v_xor_b32_e32 v64, v73, v64
	v_addc_co_u32_e32 v71, vcc, v69, v71, vcc
	global_store_dwordx2 v[70:71], v[64:65], off
	s_or_b64 exec, exec, s[42:43]
	v_cmp_lt_u32_e64 s[40:41], v6, v183
	s_and_saveexec_b64 s[44:45], s[40:41]
	s_cbranch_execnz .LBB1148_478
.LBB1148_493:                           ;   in Loop: Header=BB1148_397 Depth=2
	s_or_b64 exec, exec, s[44:45]
	v_cmp_lt_u32_e64 s[42:43], v8, v183
	s_and_saveexec_b64 s[46:47], s[42:43]
	s_cbranch_execz .LBB1148_479
.LBB1148_494:                           ;   in Loop: Header=BB1148_397 Depth=2
	ds_read_b64 v[64:65], v104 offset:6144
	v_mov_b32_e32 v71, v4
	s_waitcnt lgkmcnt(0)
	v_cmp_ne_u64_e32 vcc, s[90:91], v[64:65]
	v_cndmask_b32_e32 v89, v133, v65, vcc
	v_cndmask_b32_e32 v88, -1, v64, vcc
	v_lshrrev_b64 v[88:89], s69, v[88:89]
	v_and_b32_e32 v70, s95, v88
	v_lshlrev_b32_e32 v70, 2, v70
	ds_read_b32 v70, v70
	v_cmp_gt_i64_e64 s[44:45], 0, v[64:65]
	v_cndmask_b32_e64 v69, v133, 0, s[44:45]
	v_ashrrev_i32_e32 v73, 31, v65
	v_not_b32_e32 v73, v73
	s_waitcnt lgkmcnt(0)
	v_add_u32_e32 v70, v70, v8
	v_lshlrev_b64 v[70:71], 3, v[70:71]
	v_xor_b32_e32 v65, v69, v65
	v_mov_b32_e32 v69, s77
	v_add_co_u32_e32 v70, vcc, s76, v70
	v_xor_b32_e32 v64, v73, v64
	v_addc_co_u32_e32 v71, vcc, v69, v71, vcc
	global_store_dwordx2 v[70:71], v[64:65], off
	s_or_b64 exec, exec, s[46:47]
	v_cmp_lt_u32_e64 s[44:45], v10, v183
	s_and_saveexec_b64 s[48:49], s[44:45]
	s_cbranch_execnz .LBB1148_480
.LBB1148_495:                           ;   in Loop: Header=BB1148_397 Depth=2
	s_or_b64 exec, exec, s[48:49]
	v_cmp_lt_u32_e64 s[46:47], v12, v183
	s_and_saveexec_b64 s[50:51], s[46:47]
	s_cbranch_execz .LBB1148_481
.LBB1148_496:                           ;   in Loop: Header=BB1148_397 Depth=2
	ds_read_b64 v[64:65], v104 offset:10240
	v_mov_b32_e32 v71, v4
	s_waitcnt lgkmcnt(0)
	v_cmp_ne_u64_e32 vcc, s[90:91], v[64:65]
	v_cndmask_b32_e32 v89, v133, v65, vcc
	v_cndmask_b32_e32 v88, -1, v64, vcc
	v_lshrrev_b64 v[88:89], s69, v[88:89]
	v_and_b32_e32 v70, s95, v88
	v_lshlrev_b32_e32 v70, 2, v70
	ds_read_b32 v70, v70
	v_cmp_gt_i64_e64 s[48:49], 0, v[64:65]
	v_cndmask_b32_e64 v69, v133, 0, s[48:49]
	v_ashrrev_i32_e32 v73, 31, v65
	v_not_b32_e32 v73, v73
	s_waitcnt lgkmcnt(0)
	v_add_u32_e32 v70, v70, v12
	v_lshlrev_b64 v[70:71], 3, v[70:71]
	v_xor_b32_e32 v65, v69, v65
	v_mov_b32_e32 v69, s77
	v_add_co_u32_e32 v70, vcc, s76, v70
	v_xor_b32_e32 v64, v73, v64
	v_addc_co_u32_e32 v71, vcc, v69, v71, vcc
	global_store_dwordx2 v[70:71], v[64:65], off
	s_or_b64 exec, exec, s[50:51]
	v_cmp_lt_u32_e64 s[48:49], v14, v183
	s_and_saveexec_b64 s[52:53], s[48:49]
	s_cbranch_execnz .LBB1148_482
.LBB1148_497:                           ;   in Loop: Header=BB1148_397 Depth=2
	s_or_b64 exec, exec, s[52:53]
	v_cmp_lt_u32_e64 s[50:51], v16, v183
	s_and_saveexec_b64 s[54:55], s[50:51]
	s_cbranch_execz .LBB1148_483
.LBB1148_498:                           ;   in Loop: Header=BB1148_397 Depth=2
	ds_read_b64 v[64:65], v104 offset:14336
	v_mov_b32_e32 v71, v4
	s_waitcnt lgkmcnt(0)
	v_cmp_ne_u64_e32 vcc, s[90:91], v[64:65]
	v_cndmask_b32_e32 v89, v133, v65, vcc
	v_cndmask_b32_e32 v88, -1, v64, vcc
	v_lshrrev_b64 v[88:89], s69, v[88:89]
	v_and_b32_e32 v70, s95, v88
	v_lshlrev_b32_e32 v70, 2, v70
	ds_read_b32 v70, v70
	v_cmp_gt_i64_e64 s[52:53], 0, v[64:65]
	v_cndmask_b32_e64 v69, v133, 0, s[52:53]
	v_ashrrev_i32_e32 v73, 31, v65
	v_not_b32_e32 v73, v73
	s_waitcnt lgkmcnt(0)
	v_add_u32_e32 v70, v70, v16
	v_lshlrev_b64 v[70:71], 3, v[70:71]
	v_xor_b32_e32 v65, v69, v65
	v_mov_b32_e32 v69, s77
	v_add_co_u32_e32 v70, vcc, s76, v70
	v_xor_b32_e32 v64, v73, v64
	v_addc_co_u32_e32 v71, vcc, v69, v71, vcc
	global_store_dwordx2 v[70:71], v[64:65], off
	s_or_b64 exec, exec, s[54:55]
	v_cmp_lt_u32_e64 s[52:53], v18, v183
	s_and_saveexec_b64 s[56:57], s[52:53]
	s_cbranch_execnz .LBB1148_484
.LBB1148_499:                           ;   in Loop: Header=BB1148_397 Depth=2
	s_or_b64 exec, exec, s[56:57]
	v_cmp_lt_u32_e64 s[54:55], v20, v183
	s_and_saveexec_b64 s[58:59], s[54:55]
	s_cbranch_execz .LBB1148_485
.LBB1148_500:                           ;   in Loop: Header=BB1148_397 Depth=2
	ds_read_b64 v[64:65], v104 offset:18432
	v_mov_b32_e32 v71, v4
	s_waitcnt lgkmcnt(0)
	v_cmp_ne_u64_e32 vcc, s[90:91], v[64:65]
	v_cndmask_b32_e32 v89, v133, v65, vcc
	v_cndmask_b32_e32 v88, -1, v64, vcc
	v_lshrrev_b64 v[88:89], s69, v[88:89]
	v_and_b32_e32 v70, s95, v88
	v_lshlrev_b32_e32 v70, 2, v70
	ds_read_b32 v70, v70
	v_cmp_gt_i64_e64 s[56:57], 0, v[64:65]
	v_cndmask_b32_e64 v69, v133, 0, s[56:57]
	v_ashrrev_i32_e32 v73, 31, v65
	v_not_b32_e32 v73, v73
	s_waitcnt lgkmcnt(0)
	v_add_u32_e32 v70, v70, v20
	v_lshlrev_b64 v[70:71], 3, v[70:71]
	v_xor_b32_e32 v65, v69, v65
	v_mov_b32_e32 v69, s77
	v_add_co_u32_e32 v70, vcc, s76, v70
	v_xor_b32_e32 v64, v73, v64
	v_addc_co_u32_e32 v71, vcc, v69, v71, vcc
	global_store_dwordx2 v[70:71], v[64:65], off
	s_or_b64 exec, exec, s[58:59]
	v_cmp_lt_u32_e64 s[56:57], v22, v183
	s_and_saveexec_b64 s[60:61], s[56:57]
	s_cbranch_execnz .LBB1148_486
.LBB1148_501:                           ;   in Loop: Header=BB1148_397 Depth=2
	s_or_b64 exec, exec, s[60:61]
	v_cmp_lt_u32_e64 s[58:59], v24, v183
	s_and_saveexec_b64 s[62:63], s[58:59]
	s_cbranch_execz .LBB1148_487
.LBB1148_502:                           ;   in Loop: Header=BB1148_397 Depth=2
	ds_read_b64 v[64:65], v104 offset:22528
	v_mov_b32_e32 v71, v4
	s_waitcnt lgkmcnt(0)
	v_cmp_ne_u64_e32 vcc, s[90:91], v[64:65]
	v_cndmask_b32_e32 v89, v133, v65, vcc
	v_cndmask_b32_e32 v88, -1, v64, vcc
	v_lshrrev_b64 v[88:89], s69, v[88:89]
	v_and_b32_e32 v70, s95, v88
	v_lshlrev_b32_e32 v70, 2, v70
	ds_read_b32 v70, v70
	v_cmp_gt_i64_e64 s[60:61], 0, v[64:65]
	v_cndmask_b32_e64 v69, v133, 0, s[60:61]
	v_ashrrev_i32_e32 v73, 31, v65
	v_not_b32_e32 v73, v73
	s_waitcnt lgkmcnt(0)
	v_add_u32_e32 v70, v70, v24
	v_lshlrev_b64 v[70:71], 3, v[70:71]
	v_xor_b32_e32 v65, v69, v65
	v_mov_b32_e32 v69, s77
	v_add_co_u32_e32 v70, vcc, s76, v70
	v_xor_b32_e32 v64, v73, v64
	v_addc_co_u32_e32 v71, vcc, v69, v71, vcc
	global_store_dwordx2 v[70:71], v[64:65], off
	s_or_b64 exec, exec, s[62:63]
	v_cmp_lt_u32_e64 s[60:61], v26, v183
	s_and_saveexec_b64 s[64:65], s[60:61]
	s_cbranch_execnz .LBB1148_488
.LBB1148_503:                           ;   in Loop: Header=BB1148_397 Depth=2
	s_or_b64 exec, exec, s[64:65]
	v_cmp_lt_u32_e64 s[62:63], v28, v183
	s_and_saveexec_b64 s[66:67], s[62:63]
	s_cbranch_execz .LBB1148_489
.LBB1148_504:                           ;   in Loop: Header=BB1148_397 Depth=2
	ds_read_b64 v[64:65], v104 offset:26624
	v_mov_b32_e32 v71, v4
	s_waitcnt lgkmcnt(0)
	v_cmp_ne_u64_e32 vcc, s[90:91], v[64:65]
	v_cndmask_b32_e32 v89, v133, v65, vcc
	v_cndmask_b32_e32 v88, -1, v64, vcc
	v_lshrrev_b64 v[88:89], s69, v[88:89]
	v_and_b32_e32 v70, s95, v88
	v_lshlrev_b32_e32 v70, 2, v70
	ds_read_b32 v70, v70
	v_cmp_gt_i64_e64 s[64:65], 0, v[64:65]
	v_cndmask_b32_e64 v69, v133, 0, s[64:65]
	v_ashrrev_i32_e32 v73, 31, v65
	v_not_b32_e32 v73, v73
	s_waitcnt lgkmcnt(0)
	v_add_u32_e32 v70, v70, v28
	v_lshlrev_b64 v[70:71], 3, v[70:71]
	v_xor_b32_e32 v65, v69, v65
	v_mov_b32_e32 v69, s77
	v_add_co_u32_e32 v70, vcc, s76, v70
	v_xor_b32_e32 v64, v73, v64
	v_addc_co_u32_e32 v71, vcc, v69, v71, vcc
	global_store_dwordx2 v[70:71], v[64:65], off
	s_or_b64 exec, exec, s[66:67]
	v_cmp_lt_u32_e64 s[64:65], v30, v183
	s_and_saveexec_b64 s[78:79], s[64:65]
	s_cbranch_execnz .LBB1148_490
.LBB1148_505:                           ;   in Loop: Header=BB1148_397 Depth=2
	s_or_b64 exec, exec, s[78:79]
	v_cmp_lt_u32_e64 s[66:67], v32, v183
	s_and_saveexec_b64 s[78:79], s[66:67]
	s_cbranch_execz .LBB1148_507
.LBB1148_506:                           ;   in Loop: Header=BB1148_397 Depth=2
	ds_read_b64 v[64:65], v104 offset:30720
	s_waitcnt lgkmcnt(0)
	v_cmp_ne_u64_e32 vcc, s[90:91], v[64:65]
	v_cndmask_b32_e32 v71, v133, v65, vcc
	v_cndmask_b32_e32 v70, -1, v64, vcc
	v_lshrrev_b64 v[70:71], s69, v[70:71]
	v_and_b32_e32 v69, s95, v70
	v_lshlrev_b32_e32 v69, 2, v69
	ds_read_b32 v69, v69
	v_cmp_gt_i64_e32 vcc, 0, v[64:65]
	v_ashrrev_i32_e32 v71, 31, v65
	v_cndmask_b32_e64 v70, v133, 0, vcc
	v_not_b32_e32 v71, v71
	v_xor_b32_e32 v65, v70, v65
	v_xor_b32_e32 v64, v71, v64
	s_waitcnt lgkmcnt(0)
	v_add_u32_e32 v70, v69, v32
	v_mov_b32_e32 v71, v4
	v_lshlrev_b64 v[70:71], 3, v[70:71]
	v_add_co_u32_e32 v70, vcc, s76, v70
	v_mov_b32_e32 v69, s77
	v_addc_co_u32_e32 v71, vcc, v69, v71, vcc
	global_store_dwordx2 v[70:71], v[64:65], off
.LBB1148_507:                           ;   in Loop: Header=BB1148_397 Depth=2
	s_or_b64 exec, exec, s[78:79]
	s_mov_b32 s71, s90
	s_lshl_b64 s[70:71], s[70:71], 3
	v_mov_b32_e32 v65, s71
	v_add_co_u32_e32 v64, vcc, s70, v160
	v_addc_co_u32_e32 v65, vcc, v161, v65, vcc
	v_cmp_lt_u32_e32 vcc, v143, v183
	s_and_saveexec_b64 s[70:71], vcc
	s_xor_b64 s[70:71], exec, s[70:71]
	s_cbranch_execz .LBB1148_539
; %bb.508:                              ;   in Loop: Header=BB1148_397 Depth=2
	global_load_dwordx2 v[62:63], v[64:65], off
	s_or_b64 exec, exec, s[70:71]
	v_cmp_lt_u32_e32 vcc, v144, v183
	s_and_saveexec_b64 s[70:71], vcc
	s_cbranch_execnz .LBB1148_540
.LBB1148_509:                           ;   in Loop: Header=BB1148_397 Depth=2
	s_or_b64 exec, exec, s[70:71]
	v_cmp_lt_u32_e32 vcc, v145, v183
	s_and_saveexec_b64 s[70:71], vcc
	s_cbranch_execz .LBB1148_541
.LBB1148_510:                           ;   in Loop: Header=BB1148_397 Depth=2
	global_load_dwordx2 v[58:59], v[64:65], off offset:1024
	s_or_b64 exec, exec, s[70:71]
	v_cmp_lt_u32_e32 vcc, v146, v183
	s_and_saveexec_b64 s[70:71], vcc
	s_cbranch_execnz .LBB1148_542
.LBB1148_511:                           ;   in Loop: Header=BB1148_397 Depth=2
	s_or_b64 exec, exec, s[70:71]
	v_cmp_lt_u32_e32 vcc, v147, v183
	s_and_saveexec_b64 s[70:71], vcc
	s_cbranch_execz .LBB1148_543
.LBB1148_512:                           ;   in Loop: Header=BB1148_397 Depth=2
	global_load_dwordx2 v[50:51], v[64:65], off offset:2048
	s_or_b64 exec, exec, s[70:71]
	v_cmp_lt_u32_e32 vcc, v148, v183
	s_and_saveexec_b64 s[70:71], vcc
	s_cbranch_execnz .LBB1148_544
.LBB1148_513:                           ;   in Loop: Header=BB1148_397 Depth=2
	s_or_b64 exec, exec, s[70:71]
	v_cmp_lt_u32_e32 vcc, v149, v183
	s_and_saveexec_b64 s[70:71], vcc
	s_cbranch_execz .LBB1148_545
.LBB1148_514:                           ;   in Loop: Header=BB1148_397 Depth=2
	global_load_dwordx2 v[42:43], v[64:65], off offset:3072
	s_or_b64 exec, exec, s[70:71]
	v_cmp_lt_u32_e32 vcc, v150, v183
	s_and_saveexec_b64 s[70:71], vcc
	s_cbranch_execnz .LBB1148_546
.LBB1148_515:                           ;   in Loop: Header=BB1148_397 Depth=2
	s_or_b64 exec, exec, s[70:71]
	v_cmp_lt_u32_e32 vcc, v151, v183
	s_and_saveexec_b64 s[70:71], vcc
	s_cbranch_execz .LBB1148_547
.LBB1148_516:                           ;   in Loop: Header=BB1148_397 Depth=2
	v_add_co_u32_e32 v56, vcc, 0x1000, v64
	v_addc_co_u32_e32 v57, vcc, 0, v65, vcc
	global_load_dwordx2 v[56:57], v[56:57], off
	s_or_b64 exec, exec, s[70:71]
	v_cmp_lt_u32_e32 vcc, v152, v183
	s_and_saveexec_b64 s[70:71], vcc
	s_cbranch_execnz .LBB1148_548
.LBB1148_517:                           ;   in Loop: Header=BB1148_397 Depth=2
	s_or_b64 exec, exec, s[70:71]
	v_cmp_lt_u32_e32 vcc, v153, v183
	s_and_saveexec_b64 s[70:71], vcc
	s_cbranch_execz .LBB1148_549
.LBB1148_518:                           ;   in Loop: Header=BB1148_397 Depth=2
	v_add_co_u32_e32 v48, vcc, 0x1000, v64
	v_addc_co_u32_e32 v49, vcc, 0, v65, vcc
	global_load_dwordx2 v[48:49], v[48:49], off offset:1024
	s_or_b64 exec, exec, s[70:71]
	v_cmp_lt_u32_e32 vcc, v154, v183
	s_and_saveexec_b64 s[70:71], vcc
	s_cbranch_execnz .LBB1148_550
.LBB1148_519:                           ;   in Loop: Header=BB1148_397 Depth=2
	s_or_b64 exec, exec, s[70:71]
	v_cmp_lt_u32_e32 vcc, v155, v183
	s_and_saveexec_b64 s[70:71], vcc
	s_cbranch_execz .LBB1148_551
.LBB1148_520:                           ;   in Loop: Header=BB1148_397 Depth=2
	v_add_co_u32_e32 v40, vcc, 0x1000, v64
	v_addc_co_u32_e32 v41, vcc, 0, v65, vcc
	global_load_dwordx2 v[40:41], v[40:41], off offset:2048
	s_or_b64 exec, exec, s[70:71]
	v_cmp_lt_u32_e32 vcc, v156, v183
	s_and_saveexec_b64 s[70:71], vcc
	s_cbranch_execnz .LBB1148_552
.LBB1148_521:                           ;   in Loop: Header=BB1148_397 Depth=2
	s_or_b64 exec, exec, s[70:71]
	v_cmp_lt_u32_e32 vcc, v157, v183
	s_and_saveexec_b64 s[70:71], vcc
	s_cbranch_execz .LBB1148_553
.LBB1148_522:                           ;   in Loop: Header=BB1148_397 Depth=2
	v_add_co_u32_e32 v34, vcc, 0x1000, v64
	v_addc_co_u32_e32 v35, vcc, 0, v65, vcc
	global_load_dwordx2 v[34:35], v[34:35], off offset:3072
	s_or_b64 exec, exec, s[70:71]
	v_cmp_lt_u32_e32 vcc, v158, v183
	s_and_saveexec_b64 s[70:71], vcc
	s_cbranch_execnz .LBB1148_554
.LBB1148_523:                           ;   in Loop: Header=BB1148_397 Depth=2
	s_or_b64 exec, exec, s[70:71]
	s_and_saveexec_b64 s[70:71], s[36:37]
	s_cbranch_execz .LBB1148_555
.LBB1148_524:                           ;   in Loop: Header=BB1148_397 Depth=2
	v_add_u32_e32 v64, v33, v3
	ds_read_b64 v[64:65], v64 offset:1024
	s_waitcnt lgkmcnt(0)
	v_cmp_ne_u64_e32 vcc, s[90:91], v[64:65]
	v_cndmask_b32_e32 v65, v133, v65, vcc
	v_cndmask_b32_e32 v64, -1, v64, vcc
	v_lshrrev_b64 v[64:65], s69, v[64:65]
	v_and_b32_e32 v182, s95, v64
	s_or_b64 exec, exec, s[70:71]
	s_and_saveexec_b64 s[70:71], s[38:39]
	s_cbranch_execnz .LBB1148_556
.LBB1148_525:                           ;   in Loop: Header=BB1148_397 Depth=2
	s_or_b64 exec, exec, s[70:71]
	s_and_saveexec_b64 s[70:71], s[40:41]
	s_cbranch_execz .LBB1148_557
.LBB1148_526:                           ;   in Loop: Header=BB1148_397 Depth=2
	ds_read_b64 v[64:65], v104 offset:4096
	s_waitcnt lgkmcnt(0)
	v_cmp_ne_u64_e32 vcc, s[90:91], v[64:65]
	v_cndmask_b32_e32 v65, v133, v65, vcc
	v_cndmask_b32_e32 v64, -1, v64, vcc
	v_lshrrev_b64 v[64:65], s69, v[64:65]
	v_and_b32_e32 v180, s95, v64
	s_or_b64 exec, exec, s[70:71]
	s_and_saveexec_b64 s[70:71], s[42:43]
	s_cbranch_execnz .LBB1148_558
.LBB1148_527:                           ;   in Loop: Header=BB1148_397 Depth=2
	s_or_b64 exec, exec, s[70:71]
	s_and_saveexec_b64 s[70:71], s[44:45]
	s_cbranch_execz .LBB1148_559
.LBB1148_528:                           ;   in Loop: Header=BB1148_397 Depth=2
	ds_read_b64 v[64:65], v104 offset:8192
	s_waitcnt lgkmcnt(0)
	v_cmp_ne_u64_e32 vcc, s[90:91], v[64:65]
	v_cndmask_b32_e32 v65, v133, v65, vcc
	v_cndmask_b32_e32 v64, -1, v64, vcc
	v_lshrrev_b64 v[64:65], s69, v[64:65]
	v_and_b32_e32 v178, s95, v64
	s_or_b64 exec, exec, s[70:71]
	s_and_saveexec_b64 s[70:71], s[46:47]
	s_cbranch_execnz .LBB1148_560
.LBB1148_529:                           ;   in Loop: Header=BB1148_397 Depth=2
	s_or_b64 exec, exec, s[70:71]
	s_and_saveexec_b64 s[70:71], s[48:49]
	s_cbranch_execz .LBB1148_561
.LBB1148_530:                           ;   in Loop: Header=BB1148_397 Depth=2
	ds_read_b64 v[64:65], v104 offset:12288
	s_waitcnt lgkmcnt(0)
	v_cmp_ne_u64_e32 vcc, s[90:91], v[64:65]
	v_cndmask_b32_e32 v65, v133, v65, vcc
	v_cndmask_b32_e32 v64, -1, v64, vcc
	v_lshrrev_b64 v[64:65], s69, v[64:65]
	v_and_b32_e32 v175, s95, v64
	s_or_b64 exec, exec, s[70:71]
	s_and_saveexec_b64 s[70:71], s[50:51]
	s_cbranch_execnz .LBB1148_562
.LBB1148_531:                           ;   in Loop: Header=BB1148_397 Depth=2
	s_or_b64 exec, exec, s[70:71]
	s_and_saveexec_b64 s[70:71], s[52:53]
	s_cbranch_execz .LBB1148_563
.LBB1148_532:                           ;   in Loop: Header=BB1148_397 Depth=2
	ds_read_b64 v[64:65], v104 offset:16384
	s_waitcnt lgkmcnt(0)
	v_cmp_ne_u64_e32 vcc, s[90:91], v[64:65]
	v_cndmask_b32_e32 v65, v133, v65, vcc
	v_cndmask_b32_e32 v64, -1, v64, vcc
	v_lshrrev_b64 v[64:65], s69, v[64:65]
	v_and_b32_e32 v172, s95, v64
	s_or_b64 exec, exec, s[70:71]
	s_and_saveexec_b64 s[70:71], s[54:55]
	s_cbranch_execnz .LBB1148_564
.LBB1148_533:                           ;   in Loop: Header=BB1148_397 Depth=2
	s_or_b64 exec, exec, s[70:71]
	s_and_saveexec_b64 s[70:71], s[56:57]
	s_cbranch_execz .LBB1148_565
.LBB1148_534:                           ;   in Loop: Header=BB1148_397 Depth=2
	ds_read_b64 v[64:65], v104 offset:20480
	s_waitcnt lgkmcnt(0)
	v_cmp_ne_u64_e32 vcc, s[90:91], v[64:65]
	v_cndmask_b32_e32 v65, v133, v65, vcc
	v_cndmask_b32_e32 v64, -1, v64, vcc
	v_lshrrev_b64 v[64:65], s69, v[64:65]
	v_and_b32_e32 v169, s95, v64
	s_or_b64 exec, exec, s[70:71]
	s_and_saveexec_b64 s[70:71], s[58:59]
	s_cbranch_execnz .LBB1148_566
.LBB1148_535:                           ;   in Loop: Header=BB1148_397 Depth=2
	s_or_b64 exec, exec, s[70:71]
	s_and_saveexec_b64 s[70:71], s[60:61]
	s_cbranch_execz .LBB1148_567
.LBB1148_536:                           ;   in Loop: Header=BB1148_397 Depth=2
	ds_read_b64 v[64:65], v104 offset:24576
	s_waitcnt lgkmcnt(0)
	v_cmp_ne_u64_e32 vcc, s[90:91], v[64:65]
	v_cndmask_b32_e32 v65, v133, v65, vcc
	v_cndmask_b32_e32 v64, -1, v64, vcc
	v_lshrrev_b64 v[64:65], s69, v[64:65]
	v_and_b32_e32 v167, s95, v64
	s_or_b64 exec, exec, s[70:71]
	s_and_saveexec_b64 s[70:71], s[62:63]
	s_cbranch_execnz .LBB1148_568
.LBB1148_537:                           ;   in Loop: Header=BB1148_397 Depth=2
	s_or_b64 exec, exec, s[70:71]
	s_and_saveexec_b64 s[70:71], s[64:65]
	s_cbranch_execz .LBB1148_569
.LBB1148_538:                           ;   in Loop: Header=BB1148_397 Depth=2
	ds_read_b64 v[64:65], v104 offset:28672
	s_waitcnt lgkmcnt(0)
	v_cmp_ne_u64_e32 vcc, s[90:91], v[64:65]
	v_cndmask_b32_e32 v65, v133, v65, vcc
	v_cndmask_b32_e32 v64, -1, v64, vcc
	v_lshrrev_b64 v[64:65], s69, v[64:65]
	v_and_b32_e32 v165, s95, v64
	s_or_b64 exec, exec, s[70:71]
	s_and_saveexec_b64 s[70:71], s[66:67]
	s_cbranch_execnz .LBB1148_570
	s_branch .LBB1148_571
.LBB1148_539:                           ;   in Loop: Header=BB1148_397 Depth=2
	s_or_b64 exec, exec, s[70:71]
	v_cmp_lt_u32_e32 vcc, v144, v183
	s_and_saveexec_b64 s[70:71], vcc
	s_cbranch_execz .LBB1148_509
.LBB1148_540:                           ;   in Loop: Header=BB1148_397 Depth=2
	global_load_dwordx2 v[60:61], v[64:65], off offset:512
	s_or_b64 exec, exec, s[70:71]
	v_cmp_lt_u32_e32 vcc, v145, v183
	s_and_saveexec_b64 s[70:71], vcc
	s_cbranch_execnz .LBB1148_510
.LBB1148_541:                           ;   in Loop: Header=BB1148_397 Depth=2
	s_or_b64 exec, exec, s[70:71]
	v_cmp_lt_u32_e32 vcc, v146, v183
	s_and_saveexec_b64 s[70:71], vcc
	s_cbranch_execz .LBB1148_511
.LBB1148_542:                           ;   in Loop: Header=BB1148_397 Depth=2
	global_load_dwordx2 v[54:55], v[64:65], off offset:1536
	s_or_b64 exec, exec, s[70:71]
	v_cmp_lt_u32_e32 vcc, v147, v183
	s_and_saveexec_b64 s[70:71], vcc
	s_cbranch_execnz .LBB1148_512
.LBB1148_543:                           ;   in Loop: Header=BB1148_397 Depth=2
	s_or_b64 exec, exec, s[70:71]
	v_cmp_lt_u32_e32 vcc, v148, v183
	s_and_saveexec_b64 s[70:71], vcc
	s_cbranch_execz .LBB1148_513
.LBB1148_544:                           ;   in Loop: Header=BB1148_397 Depth=2
	global_load_dwordx2 v[46:47], v[64:65], off offset:2560
	s_or_b64 exec, exec, s[70:71]
	v_cmp_lt_u32_e32 vcc, v149, v183
	s_and_saveexec_b64 s[70:71], vcc
	s_cbranch_execnz .LBB1148_514
.LBB1148_545:                           ;   in Loop: Header=BB1148_397 Depth=2
	s_or_b64 exec, exec, s[70:71]
	v_cmp_lt_u32_e32 vcc, v150, v183
	s_and_saveexec_b64 s[70:71], vcc
	s_cbranch_execz .LBB1148_515
.LBB1148_546:                           ;   in Loop: Header=BB1148_397 Depth=2
	global_load_dwordx2 v[38:39], v[64:65], off offset:3584
	s_or_b64 exec, exec, s[70:71]
	v_cmp_lt_u32_e32 vcc, v151, v183
	s_and_saveexec_b64 s[70:71], vcc
	s_cbranch_execnz .LBB1148_516
.LBB1148_547:                           ;   in Loop: Header=BB1148_397 Depth=2
	s_or_b64 exec, exec, s[70:71]
	v_cmp_lt_u32_e32 vcc, v152, v183
	s_and_saveexec_b64 s[70:71], vcc
	s_cbranch_execz .LBB1148_517
.LBB1148_548:                           ;   in Loop: Header=BB1148_397 Depth=2
	v_add_co_u32_e32 v52, vcc, 0x1000, v64
	v_addc_co_u32_e32 v53, vcc, 0, v65, vcc
	global_load_dwordx2 v[52:53], v[52:53], off offset:512
	s_or_b64 exec, exec, s[70:71]
	v_cmp_lt_u32_e32 vcc, v153, v183
	s_and_saveexec_b64 s[70:71], vcc
	s_cbranch_execnz .LBB1148_518
.LBB1148_549:                           ;   in Loop: Header=BB1148_397 Depth=2
	s_or_b64 exec, exec, s[70:71]
	v_cmp_lt_u32_e32 vcc, v154, v183
	s_and_saveexec_b64 s[70:71], vcc
	s_cbranch_execz .LBB1148_519
.LBB1148_550:                           ;   in Loop: Header=BB1148_397 Depth=2
	v_add_co_u32_e32 v44, vcc, 0x1000, v64
	v_addc_co_u32_e32 v45, vcc, 0, v65, vcc
	global_load_dwordx2 v[44:45], v[44:45], off offset:1536
	s_or_b64 exec, exec, s[70:71]
	v_cmp_lt_u32_e32 vcc, v155, v183
	s_and_saveexec_b64 s[70:71], vcc
	s_cbranch_execnz .LBB1148_520
.LBB1148_551:                           ;   in Loop: Header=BB1148_397 Depth=2
	s_or_b64 exec, exec, s[70:71]
	v_cmp_lt_u32_e32 vcc, v156, v183
	s_and_saveexec_b64 s[70:71], vcc
	s_cbranch_execz .LBB1148_521
.LBB1148_552:                           ;   in Loop: Header=BB1148_397 Depth=2
	v_add_co_u32_e32 v36, vcc, 0x1000, v64
	v_addc_co_u32_e32 v37, vcc, 0, v65, vcc
	global_load_dwordx2 v[36:37], v[36:37], off offset:2560
	s_or_b64 exec, exec, s[70:71]
	v_cmp_lt_u32_e32 vcc, v157, v183
	s_and_saveexec_b64 s[70:71], vcc
	s_cbranch_execnz .LBB1148_522
.LBB1148_553:                           ;   in Loop: Header=BB1148_397 Depth=2
	s_or_b64 exec, exec, s[70:71]
	v_cmp_lt_u32_e32 vcc, v158, v183
	s_and_saveexec_b64 s[70:71], vcc
	s_cbranch_execz .LBB1148_523
.LBB1148_554:                           ;   in Loop: Header=BB1148_397 Depth=2
	v_add_co_u32_e32 v0, vcc, 0x1000, v64
	v_addc_co_u32_e32 v1, vcc, 0, v65, vcc
	global_load_dwordx2 v[0:1], v[0:1], off offset:3584
	s_or_b64 exec, exec, s[70:71]
	s_and_saveexec_b64 s[70:71], s[36:37]
	s_cbranch_execnz .LBB1148_524
.LBB1148_555:                           ;   in Loop: Header=BB1148_397 Depth=2
	s_or_b64 exec, exec, s[70:71]
	s_and_saveexec_b64 s[70:71], s[38:39]
	s_cbranch_execz .LBB1148_525
.LBB1148_556:                           ;   in Loop: Header=BB1148_397 Depth=2
	ds_read_b64 v[64:65], v104 offset:2048
	s_waitcnt lgkmcnt(0)
	v_cmp_ne_u64_e32 vcc, s[90:91], v[64:65]
	v_cndmask_b32_e32 v65, v133, v65, vcc
	v_cndmask_b32_e32 v64, -1, v64, vcc
	v_lshrrev_b64 v[64:65], s69, v[64:65]
	v_and_b32_e32 v181, s95, v64
	s_or_b64 exec, exec, s[70:71]
	s_and_saveexec_b64 s[70:71], s[40:41]
	s_cbranch_execnz .LBB1148_526
.LBB1148_557:                           ;   in Loop: Header=BB1148_397 Depth=2
	s_or_b64 exec, exec, s[70:71]
	s_and_saveexec_b64 s[70:71], s[42:43]
	s_cbranch_execz .LBB1148_527
.LBB1148_558:                           ;   in Loop: Header=BB1148_397 Depth=2
	ds_read_b64 v[64:65], v104 offset:6144
	s_waitcnt lgkmcnt(0)
	v_cmp_ne_u64_e32 vcc, s[90:91], v[64:65]
	v_cndmask_b32_e32 v65, v133, v65, vcc
	v_cndmask_b32_e32 v64, -1, v64, vcc
	v_lshrrev_b64 v[64:65], s69, v[64:65]
	v_and_b32_e32 v179, s95, v64
	s_or_b64 exec, exec, s[70:71]
	s_and_saveexec_b64 s[70:71], s[44:45]
	s_cbranch_execnz .LBB1148_528
.LBB1148_559:                           ;   in Loop: Header=BB1148_397 Depth=2
	s_or_b64 exec, exec, s[70:71]
	s_and_saveexec_b64 s[70:71], s[46:47]
	s_cbranch_execz .LBB1148_529
.LBB1148_560:                           ;   in Loop: Header=BB1148_397 Depth=2
	ds_read_b64 v[64:65], v104 offset:10240
	s_waitcnt lgkmcnt(0)
	v_cmp_ne_u64_e32 vcc, s[90:91], v[64:65]
	v_cndmask_b32_e32 v65, v133, v65, vcc
	v_cndmask_b32_e32 v64, -1, v64, vcc
	v_lshrrev_b64 v[64:65], s69, v[64:65]
	v_and_b32_e32 v176, s95, v64
	s_or_b64 exec, exec, s[70:71]
	s_and_saveexec_b64 s[70:71], s[48:49]
	s_cbranch_execnz .LBB1148_530
.LBB1148_561:                           ;   in Loop: Header=BB1148_397 Depth=2
	s_or_b64 exec, exec, s[70:71]
	s_and_saveexec_b64 s[70:71], s[50:51]
	s_cbranch_execz .LBB1148_531
.LBB1148_562:                           ;   in Loop: Header=BB1148_397 Depth=2
	ds_read_b64 v[64:65], v104 offset:14336
	s_waitcnt lgkmcnt(0)
	v_cmp_ne_u64_e32 vcc, s[90:91], v[64:65]
	v_cndmask_b32_e32 v65, v133, v65, vcc
	v_cndmask_b32_e32 v64, -1, v64, vcc
	v_lshrrev_b64 v[64:65], s69, v[64:65]
	v_and_b32_e32 v174, s95, v64
	s_or_b64 exec, exec, s[70:71]
	s_and_saveexec_b64 s[70:71], s[52:53]
	s_cbranch_execnz .LBB1148_532
.LBB1148_563:                           ;   in Loop: Header=BB1148_397 Depth=2
	s_or_b64 exec, exec, s[70:71]
	s_and_saveexec_b64 s[70:71], s[54:55]
	s_cbranch_execz .LBB1148_533
.LBB1148_564:                           ;   in Loop: Header=BB1148_397 Depth=2
	ds_read_b64 v[64:65], v104 offset:18432
	s_waitcnt lgkmcnt(0)
	v_cmp_ne_u64_e32 vcc, s[90:91], v[64:65]
	v_cndmask_b32_e32 v65, v133, v65, vcc
	v_cndmask_b32_e32 v64, -1, v64, vcc
	v_lshrrev_b64 v[64:65], s69, v[64:65]
	v_and_b32_e32 v171, s95, v64
	s_or_b64 exec, exec, s[70:71]
	s_and_saveexec_b64 s[70:71], s[56:57]
	s_cbranch_execnz .LBB1148_534
.LBB1148_565:                           ;   in Loop: Header=BB1148_397 Depth=2
	s_or_b64 exec, exec, s[70:71]
	s_and_saveexec_b64 s[70:71], s[58:59]
	s_cbranch_execz .LBB1148_535
.LBB1148_566:                           ;   in Loop: Header=BB1148_397 Depth=2
	ds_read_b64 v[64:65], v104 offset:22528
	s_waitcnt lgkmcnt(0)
	v_cmp_ne_u64_e32 vcc, s[90:91], v[64:65]
	v_cndmask_b32_e32 v65, v133, v65, vcc
	v_cndmask_b32_e32 v64, -1, v64, vcc
	v_lshrrev_b64 v[64:65], s69, v[64:65]
	v_and_b32_e32 v168, s95, v64
	s_or_b64 exec, exec, s[70:71]
	s_and_saveexec_b64 s[70:71], s[60:61]
	s_cbranch_execnz .LBB1148_536
.LBB1148_567:                           ;   in Loop: Header=BB1148_397 Depth=2
	s_or_b64 exec, exec, s[70:71]
	s_and_saveexec_b64 s[70:71], s[62:63]
	s_cbranch_execz .LBB1148_537
.LBB1148_568:                           ;   in Loop: Header=BB1148_397 Depth=2
	ds_read_b64 v[64:65], v104 offset:26624
	s_waitcnt lgkmcnt(0)
	v_cmp_ne_u64_e32 vcc, s[90:91], v[64:65]
	v_cndmask_b32_e32 v65, v133, v65, vcc
	v_cndmask_b32_e32 v64, -1, v64, vcc
	v_lshrrev_b64 v[64:65], s69, v[64:65]
	v_and_b32_e32 v166, s95, v64
	s_or_b64 exec, exec, s[70:71]
	s_and_saveexec_b64 s[70:71], s[64:65]
	s_cbranch_execnz .LBB1148_538
.LBB1148_569:                           ;   in Loop: Header=BB1148_397 Depth=2
	s_or_b64 exec, exec, s[70:71]
	s_and_saveexec_b64 s[70:71], s[66:67]
	s_cbranch_execz .LBB1148_571
.LBB1148_570:                           ;   in Loop: Header=BB1148_397 Depth=2
	ds_read_b64 v[64:65], v104 offset:30720
	s_waitcnt lgkmcnt(0)
	v_cmp_ne_u64_e32 vcc, s[90:91], v[64:65]
	v_cndmask_b32_e32 v65, v133, v65, vcc
	v_cndmask_b32_e32 v64, -1, v64, vcc
	v_lshrrev_b64 v[64:65], s69, v[64:65]
	v_and_b32_e32 v164, s95, v64
.LBB1148_571:                           ;   in Loop: Header=BB1148_397 Depth=2
	s_or_b64 exec, exec, s[70:71]
	v_add_u32_e32 v64, 0x400, v96
	v_add_u32_e32 v65, 0x400, v97
	;; [unrolled: 1-line block ×16, first 2 shown]
	s_barrier
	s_waitcnt vmcnt(0)
	ds_write_b64 v64, v[62:63]
	ds_write_b64 v65, v[60:61]
	;; [unrolled: 1-line block ×16, first 2 shown]
	s_waitcnt lgkmcnt(0)
	s_barrier
	s_and_saveexec_b64 s[70:71], s[36:37]
	s_cbranch_execz .LBB1148_587
; %bb.572:                              ;   in Loop: Header=BB1148_397 Depth=2
	v_lshlrev_b32_e32 v64, 2, v182
	ds_read_b32 v66, v64
	v_add_u32_e32 v64, v33, v3
	ds_read_b64 v[64:65], v64 offset:1024
	v_mov_b32_e32 v67, v4
	v_mov_b32_e32 v68, s83
	s_waitcnt lgkmcnt(1)
	v_add_u32_e32 v66, v66, v2
	v_lshlrev_b64 v[66:67], 3, v[66:67]
	v_add_co_u32_e32 v66, vcc, s82, v66
	v_addc_co_u32_e32 v67, vcc, v68, v67, vcc
	s_waitcnt lgkmcnt(0)
	global_store_dwordx2 v[66:67], v[64:65], off
	s_or_b64 exec, exec, s[70:71]
	s_and_saveexec_b64 s[36:37], s[38:39]
	s_cbranch_execnz .LBB1148_588
.LBB1148_573:                           ;   in Loop: Header=BB1148_397 Depth=2
	s_or_b64 exec, exec, s[36:37]
	s_and_saveexec_b64 s[36:37], s[40:41]
	s_cbranch_execz .LBB1148_589
.LBB1148_574:                           ;   in Loop: Header=BB1148_397 Depth=2
	v_lshlrev_b32_e32 v64, 2, v180
	ds_read_b32 v66, v64
	ds_read_b64 v[64:65], v104 offset:4096
	v_mov_b32_e32 v67, v4
	v_mov_b32_e32 v68, s83
	s_waitcnt lgkmcnt(1)
	v_add_u32_e32 v66, v66, v6
	v_lshlrev_b64 v[66:67], 3, v[66:67]
	v_add_co_u32_e32 v66, vcc, s82, v66
	v_addc_co_u32_e32 v67, vcc, v68, v67, vcc
	s_waitcnt lgkmcnt(0)
	global_store_dwordx2 v[66:67], v[64:65], off
	s_or_b64 exec, exec, s[36:37]
	s_and_saveexec_b64 s[36:37], s[42:43]
	s_cbranch_execnz .LBB1148_590
.LBB1148_575:                           ;   in Loop: Header=BB1148_397 Depth=2
	s_or_b64 exec, exec, s[36:37]
	s_and_saveexec_b64 s[36:37], s[44:45]
	s_cbranch_execz .LBB1148_591
.LBB1148_576:                           ;   in Loop: Header=BB1148_397 Depth=2
	v_lshlrev_b32_e32 v64, 2, v178
	ds_read_b32 v66, v64
	ds_read_b64 v[64:65], v104 offset:8192
	v_mov_b32_e32 v67, v4
	v_mov_b32_e32 v68, s83
	s_waitcnt lgkmcnt(1)
	v_add_u32_e32 v66, v66, v10
	v_lshlrev_b64 v[66:67], 3, v[66:67]
	v_add_co_u32_e32 v66, vcc, s82, v66
	v_addc_co_u32_e32 v67, vcc, v68, v67, vcc
	s_waitcnt lgkmcnt(0)
	global_store_dwordx2 v[66:67], v[64:65], off
	s_or_b64 exec, exec, s[36:37]
	s_and_saveexec_b64 s[36:37], s[46:47]
	s_cbranch_execnz .LBB1148_592
.LBB1148_577:                           ;   in Loop: Header=BB1148_397 Depth=2
	s_or_b64 exec, exec, s[36:37]
	s_and_saveexec_b64 s[36:37], s[48:49]
	s_cbranch_execz .LBB1148_593
.LBB1148_578:                           ;   in Loop: Header=BB1148_397 Depth=2
	v_lshlrev_b32_e32 v64, 2, v175
	ds_read_b32 v66, v64
	ds_read_b64 v[64:65], v104 offset:12288
	v_mov_b32_e32 v67, v4
	v_mov_b32_e32 v68, s83
	s_waitcnt lgkmcnt(1)
	v_add_u32_e32 v66, v66, v14
	v_lshlrev_b64 v[66:67], 3, v[66:67]
	v_add_co_u32_e32 v66, vcc, s82, v66
	v_addc_co_u32_e32 v67, vcc, v68, v67, vcc
	s_waitcnt lgkmcnt(0)
	global_store_dwordx2 v[66:67], v[64:65], off
	s_or_b64 exec, exec, s[36:37]
	s_and_saveexec_b64 s[36:37], s[50:51]
	s_cbranch_execnz .LBB1148_594
.LBB1148_579:                           ;   in Loop: Header=BB1148_397 Depth=2
	s_or_b64 exec, exec, s[36:37]
	s_and_saveexec_b64 s[36:37], s[52:53]
	s_cbranch_execz .LBB1148_595
.LBB1148_580:                           ;   in Loop: Header=BB1148_397 Depth=2
	v_lshlrev_b32_e32 v64, 2, v172
	ds_read_b32 v66, v64
	ds_read_b64 v[64:65], v104 offset:16384
	v_mov_b32_e32 v67, v4
	v_mov_b32_e32 v68, s83
	s_waitcnt lgkmcnt(1)
	v_add_u32_e32 v66, v66, v18
	v_lshlrev_b64 v[66:67], 3, v[66:67]
	v_add_co_u32_e32 v66, vcc, s82, v66
	v_addc_co_u32_e32 v67, vcc, v68, v67, vcc
	s_waitcnt lgkmcnt(0)
	global_store_dwordx2 v[66:67], v[64:65], off
	s_or_b64 exec, exec, s[36:37]
	s_and_saveexec_b64 s[36:37], s[54:55]
	s_cbranch_execnz .LBB1148_596
.LBB1148_581:                           ;   in Loop: Header=BB1148_397 Depth=2
	s_or_b64 exec, exec, s[36:37]
	s_and_saveexec_b64 s[36:37], s[56:57]
	s_cbranch_execz .LBB1148_597
.LBB1148_582:                           ;   in Loop: Header=BB1148_397 Depth=2
	v_lshlrev_b32_e32 v64, 2, v169
	ds_read_b32 v66, v64
	ds_read_b64 v[64:65], v104 offset:20480
	v_mov_b32_e32 v67, v4
	v_mov_b32_e32 v68, s83
	s_waitcnt lgkmcnt(1)
	v_add_u32_e32 v66, v66, v22
	v_lshlrev_b64 v[66:67], 3, v[66:67]
	v_add_co_u32_e32 v66, vcc, s82, v66
	v_addc_co_u32_e32 v67, vcc, v68, v67, vcc
	s_waitcnt lgkmcnt(0)
	global_store_dwordx2 v[66:67], v[64:65], off
	s_or_b64 exec, exec, s[36:37]
	s_and_saveexec_b64 s[36:37], s[58:59]
	s_cbranch_execnz .LBB1148_598
.LBB1148_583:                           ;   in Loop: Header=BB1148_397 Depth=2
	s_or_b64 exec, exec, s[36:37]
	s_and_saveexec_b64 s[36:37], s[60:61]
	s_cbranch_execz .LBB1148_599
.LBB1148_584:                           ;   in Loop: Header=BB1148_397 Depth=2
	v_lshlrev_b32_e32 v64, 2, v167
	ds_read_b32 v66, v64
	ds_read_b64 v[64:65], v104 offset:24576
	v_mov_b32_e32 v67, v4
	v_mov_b32_e32 v68, s83
	s_waitcnt lgkmcnt(1)
	v_add_u32_e32 v66, v66, v26
	v_lshlrev_b64 v[66:67], 3, v[66:67]
	v_add_co_u32_e32 v66, vcc, s82, v66
	v_addc_co_u32_e32 v67, vcc, v68, v67, vcc
	s_waitcnt lgkmcnt(0)
	global_store_dwordx2 v[66:67], v[64:65], off
	s_or_b64 exec, exec, s[36:37]
	s_and_saveexec_b64 s[36:37], s[62:63]
	s_cbranch_execnz .LBB1148_600
.LBB1148_585:                           ;   in Loop: Header=BB1148_397 Depth=2
	s_or_b64 exec, exec, s[36:37]
	s_and_saveexec_b64 s[36:37], s[64:65]
	s_cbranch_execz .LBB1148_601
.LBB1148_586:                           ;   in Loop: Header=BB1148_397 Depth=2
	v_lshlrev_b32_e32 v64, 2, v165
	ds_read_b32 v66, v64
	ds_read_b64 v[64:65], v104 offset:28672
	v_mov_b32_e32 v67, v4
	v_mov_b32_e32 v68, s83
	s_waitcnt lgkmcnt(1)
	v_add_u32_e32 v66, v66, v30
	v_lshlrev_b64 v[66:67], 3, v[66:67]
	v_add_co_u32_e32 v66, vcc, s82, v66
	v_addc_co_u32_e32 v67, vcc, v68, v67, vcc
	s_waitcnt lgkmcnt(0)
	global_store_dwordx2 v[66:67], v[64:65], off
	s_or_b64 exec, exec, s[36:37]
	s_and_saveexec_b64 s[36:37], s[66:67]
	s_cbranch_execnz .LBB1148_602
	s_branch .LBB1148_603
.LBB1148_587:                           ;   in Loop: Header=BB1148_397 Depth=2
	s_or_b64 exec, exec, s[70:71]
	s_and_saveexec_b64 s[36:37], s[38:39]
	s_cbranch_execz .LBB1148_573
.LBB1148_588:                           ;   in Loop: Header=BB1148_397 Depth=2
	v_lshlrev_b32_e32 v64, 2, v181
	ds_read_b32 v66, v64
	ds_read_b64 v[64:65], v104 offset:2048
	v_mov_b32_e32 v67, v4
	v_mov_b32_e32 v68, s83
	s_waitcnt lgkmcnt(1)
	v_add_u32_e32 v66, v66, v7
	v_lshlrev_b64 v[66:67], 3, v[66:67]
	v_add_co_u32_e32 v66, vcc, s82, v66
	v_addc_co_u32_e32 v67, vcc, v68, v67, vcc
	s_waitcnt lgkmcnt(0)
	global_store_dwordx2 v[66:67], v[64:65], off
	s_or_b64 exec, exec, s[36:37]
	s_and_saveexec_b64 s[36:37], s[40:41]
	s_cbranch_execnz .LBB1148_574
.LBB1148_589:                           ;   in Loop: Header=BB1148_397 Depth=2
	s_or_b64 exec, exec, s[36:37]
	s_and_saveexec_b64 s[36:37], s[42:43]
	s_cbranch_execz .LBB1148_575
.LBB1148_590:                           ;   in Loop: Header=BB1148_397 Depth=2
	v_lshlrev_b32_e32 v64, 2, v179
	ds_read_b32 v66, v64
	ds_read_b64 v[64:65], v104 offset:6144
	v_mov_b32_e32 v67, v4
	v_mov_b32_e32 v68, s83
	s_waitcnt lgkmcnt(1)
	v_add_u32_e32 v66, v66, v8
	v_lshlrev_b64 v[66:67], 3, v[66:67]
	v_add_co_u32_e32 v66, vcc, s82, v66
	v_addc_co_u32_e32 v67, vcc, v68, v67, vcc
	s_waitcnt lgkmcnt(0)
	global_store_dwordx2 v[66:67], v[64:65], off
	s_or_b64 exec, exec, s[36:37]
	s_and_saveexec_b64 s[36:37], s[44:45]
	s_cbranch_execnz .LBB1148_576
.LBB1148_591:                           ;   in Loop: Header=BB1148_397 Depth=2
	s_or_b64 exec, exec, s[36:37]
	s_and_saveexec_b64 s[36:37], s[46:47]
	s_cbranch_execz .LBB1148_577
.LBB1148_592:                           ;   in Loop: Header=BB1148_397 Depth=2
	v_lshlrev_b32_e32 v64, 2, v176
	ds_read_b32 v66, v64
	ds_read_b64 v[64:65], v104 offset:10240
	v_mov_b32_e32 v67, v4
	v_mov_b32_e32 v68, s83
	s_waitcnt lgkmcnt(1)
	v_add_u32_e32 v66, v66, v12
	v_lshlrev_b64 v[66:67], 3, v[66:67]
	v_add_co_u32_e32 v66, vcc, s82, v66
	v_addc_co_u32_e32 v67, vcc, v68, v67, vcc
	s_waitcnt lgkmcnt(0)
	global_store_dwordx2 v[66:67], v[64:65], off
	s_or_b64 exec, exec, s[36:37]
	s_and_saveexec_b64 s[36:37], s[48:49]
	s_cbranch_execnz .LBB1148_578
.LBB1148_593:                           ;   in Loop: Header=BB1148_397 Depth=2
	s_or_b64 exec, exec, s[36:37]
	s_and_saveexec_b64 s[36:37], s[50:51]
	s_cbranch_execz .LBB1148_579
.LBB1148_594:                           ;   in Loop: Header=BB1148_397 Depth=2
	v_lshlrev_b32_e32 v64, 2, v174
	ds_read_b32 v66, v64
	ds_read_b64 v[64:65], v104 offset:14336
	v_mov_b32_e32 v67, v4
	v_mov_b32_e32 v68, s83
	s_waitcnt lgkmcnt(1)
	v_add_u32_e32 v66, v66, v16
	v_lshlrev_b64 v[66:67], 3, v[66:67]
	v_add_co_u32_e32 v66, vcc, s82, v66
	v_addc_co_u32_e32 v67, vcc, v68, v67, vcc
	s_waitcnt lgkmcnt(0)
	global_store_dwordx2 v[66:67], v[64:65], off
	s_or_b64 exec, exec, s[36:37]
	s_and_saveexec_b64 s[36:37], s[52:53]
	s_cbranch_execnz .LBB1148_580
.LBB1148_595:                           ;   in Loop: Header=BB1148_397 Depth=2
	s_or_b64 exec, exec, s[36:37]
	s_and_saveexec_b64 s[36:37], s[54:55]
	s_cbranch_execz .LBB1148_581
.LBB1148_596:                           ;   in Loop: Header=BB1148_397 Depth=2
	v_lshlrev_b32_e32 v64, 2, v171
	ds_read_b32 v66, v64
	ds_read_b64 v[64:65], v104 offset:18432
	v_mov_b32_e32 v67, v4
	v_mov_b32_e32 v68, s83
	s_waitcnt lgkmcnt(1)
	v_add_u32_e32 v66, v66, v20
	v_lshlrev_b64 v[66:67], 3, v[66:67]
	v_add_co_u32_e32 v66, vcc, s82, v66
	v_addc_co_u32_e32 v67, vcc, v68, v67, vcc
	s_waitcnt lgkmcnt(0)
	global_store_dwordx2 v[66:67], v[64:65], off
	s_or_b64 exec, exec, s[36:37]
	s_and_saveexec_b64 s[36:37], s[56:57]
	s_cbranch_execnz .LBB1148_582
.LBB1148_597:                           ;   in Loop: Header=BB1148_397 Depth=2
	s_or_b64 exec, exec, s[36:37]
	s_and_saveexec_b64 s[36:37], s[58:59]
	s_cbranch_execz .LBB1148_583
.LBB1148_598:                           ;   in Loop: Header=BB1148_397 Depth=2
	v_lshlrev_b32_e32 v64, 2, v168
	ds_read_b32 v66, v64
	ds_read_b64 v[64:65], v104 offset:22528
	v_mov_b32_e32 v67, v4
	v_mov_b32_e32 v68, s83
	s_waitcnt lgkmcnt(1)
	v_add_u32_e32 v66, v66, v24
	v_lshlrev_b64 v[66:67], 3, v[66:67]
	v_add_co_u32_e32 v66, vcc, s82, v66
	v_addc_co_u32_e32 v67, vcc, v68, v67, vcc
	s_waitcnt lgkmcnt(0)
	global_store_dwordx2 v[66:67], v[64:65], off
	s_or_b64 exec, exec, s[36:37]
	s_and_saveexec_b64 s[36:37], s[60:61]
	s_cbranch_execnz .LBB1148_584
.LBB1148_599:                           ;   in Loop: Header=BB1148_397 Depth=2
	s_or_b64 exec, exec, s[36:37]
	s_and_saveexec_b64 s[36:37], s[62:63]
	s_cbranch_execz .LBB1148_585
.LBB1148_600:                           ;   in Loop: Header=BB1148_397 Depth=2
	v_lshlrev_b32_e32 v64, 2, v166
	ds_read_b32 v66, v64
	ds_read_b64 v[64:65], v104 offset:26624
	v_mov_b32_e32 v67, v4
	v_mov_b32_e32 v68, s83
	s_waitcnt lgkmcnt(1)
	v_add_u32_e32 v66, v66, v28
	v_lshlrev_b64 v[66:67], 3, v[66:67]
	v_add_co_u32_e32 v66, vcc, s82, v66
	v_addc_co_u32_e32 v67, vcc, v68, v67, vcc
	s_waitcnt lgkmcnt(0)
	global_store_dwordx2 v[66:67], v[64:65], off
	s_or_b64 exec, exec, s[36:37]
	s_and_saveexec_b64 s[36:37], s[64:65]
	s_cbranch_execnz .LBB1148_586
.LBB1148_601:                           ;   in Loop: Header=BB1148_397 Depth=2
	s_or_b64 exec, exec, s[36:37]
	s_and_saveexec_b64 s[36:37], s[66:67]
	s_cbranch_execz .LBB1148_603
.LBB1148_602:                           ;   in Loop: Header=BB1148_397 Depth=2
	v_lshlrev_b32_e32 v64, 2, v164
	ds_read_b32 v66, v64
	ds_read_b64 v[64:65], v104 offset:30720
	v_mov_b32_e32 v67, v4
	v_mov_b32_e32 v68, s83
	s_waitcnt lgkmcnt(1)
	v_add_u32_e32 v66, v66, v32
	v_lshlrev_b64 v[66:67], 3, v[66:67]
	v_add_co_u32_e32 v66, vcc, s82, v66
	v_addc_co_u32_e32 v67, vcc, v68, v67, vcc
	s_waitcnt lgkmcnt(0)
	global_store_dwordx2 v[66:67], v[64:65], off
.LBB1148_603:                           ;   in Loop: Header=BB1148_397 Depth=2
	s_or_b64 exec, exec, s[36:37]
	s_barrier
	s_and_saveexec_b64 s[36:37], s[4:5]
	s_cbranch_execz .LBB1148_396
; %bb.604:                              ;   in Loop: Header=BB1148_397 Depth=2
	ds_read_b32 v64, v3
	s_waitcnt lgkmcnt(0)
	v_add_u32_e32 v5, v64, v5
	ds_write_b32 v3, v5
	s_branch .LBB1148_396
.LBB1148_605:                           ;   in Loop: Header=BB1148_17 Depth=1
	v_readlane_b32 s86, v236, 2
	s_waitcnt lgkmcnt(0)
	s_barrier
.LBB1148_606:                           ;   in Loop: Header=BB1148_17 Depth=1
	s_mov_b64 s[16:17], 0
.LBB1148_607:                           ;   in Loop: Header=BB1148_17 Depth=1
	s_andn2_b64 vcc, exec, s[16:17]
	s_cbranch_vccnz .LBB1148_16
; %bb.608:                              ;   in Loop: Header=BB1148_17 Depth=1
	s_lshl_b32 s16, -1, s94
	s_not_b32 s85, s16
	s_mov_b64 s[16:17], -1
	s_and_b64 vcc, exec, s[88:89]
	s_cbranch_vccz .LBB1148_902
; %bb.609:                              ;   in Loop: Header=BB1148_17 Depth=1
	v_readlane_b32 s16, v236, 3
	s_mov_b32 s24, s86
	s_mov_b32 s18, s16
	s_barrier
	s_waitcnt lgkmcnt(0)
                                        ; implicit-def: $vgpr62_vgpr63
                                        ; implicit-def: $vgpr0_vgpr1
                                        ; implicit-def: $vgpr34_vgpr35
                                        ; implicit-def: $vgpr36_vgpr37
                                        ; implicit-def: $vgpr38_vgpr39
                                        ; implicit-def: $vgpr40_vgpr41
                                        ; implicit-def: $vgpr42_vgpr43
                                        ; implicit-def: $vgpr44_vgpr45
                                        ; implicit-def: $vgpr46_vgpr47
                                        ; implicit-def: $vgpr48_vgpr49
                                        ; implicit-def: $vgpr50_vgpr51
                                        ; implicit-def: $vgpr52_vgpr53
                                        ; implicit-def: $vgpr54_vgpr55
                                        ; implicit-def: $vgpr56_vgpr57
                                        ; implicit-def: $vgpr58_vgpr59
                                        ; implicit-def: $vgpr60_vgpr61
	s_branch .LBB1148_611
.LBB1148_610:                           ;   in Loop: Header=BB1148_611 Depth=2
	s_or_b64 exec, exec, s[16:17]
	s_addk_i32 s24, 0xf000
	s_cmp_ge_u32 s25, s96
	s_mov_b32 s18, s25
	s_cbranch_scc1 .LBB1148_681
.LBB1148_611:                           ;   Parent Loop BB1148_17 Depth=1
                                        ; =>  This Inner Loop Header: Depth=2
	s_add_i32 s25, s18, 0x1000
	s_cmp_gt_u32 s25, s96
	s_cbranch_scc1 .LBB1148_614
; %bb.612:                              ;   in Loop: Header=BB1148_611 Depth=2
	s_mov_b32 s19, s90
	s_lshl_b64 s[16:17], s[18:19], 3
	v_mov_b32_e32 v5, s17
	v_add_co_u32_e32 v64, vcc, s16, v111
	v_addc_co_u32_e32 v65, vcc, v112, v5, vcc
	s_waitcnt vmcnt(11)
	v_add_co_u32_e32 v72, vcc, 0x1000, v64
	v_addc_co_u32_e32 v73, vcc, 0, v65, vcc
	s_waitcnt vmcnt(5)
	;; [unrolled: 3-line block ×3, first 2 shown]
	v_add_co_u32_e32 v82, vcc, s98, v64
	v_addc_co_u32_e32 v83, vcc, 0, v65, vcc
	v_add_co_u32_e32 v86, vcc, s99, v64
	v_addc_co_u32_e32 v87, vcc, 0, v65, vcc
	;; [unrolled: 2-line block ×4, first 2 shown]
	global_load_dwordx2 v[66:67], v[64:65], off
	global_load_dwordx2 v[68:69], v[64:65], off offset:2048
	global_load_dwordx2 v[70:71], v[72:73], off
	s_nop 0
	global_load_dwordx2 v[72:73], v[72:73], off offset:2048
	s_nop 0
	global_load_dwordx2 v[74:75], v[82:83], off
	global_load_dwordx2 v[76:77], v[82:83], off offset:2048
	global_load_dwordx2 v[80:81], v[88:89], off offset:-4096
	global_load_dwordx2 v[84:85], v[88:89], off
	s_nop 0
	global_load_dwordx2 v[88:89], v[88:89], off offset:2048
	s_nop 0
	global_load_dwordx2 v[78:79], v[78:79], off offset:2048
	s_nop 0
	global_load_dwordx2 v[86:87], v[86:87], off offset:2048
	s_nop 0
	global_load_dwordx2 v[90:91], v[92:93], off
	s_nop 0
	global_load_dwordx2 v[92:93], v[92:93], off offset:2048
	s_waitcnt vmcnt(13)
	v_add_co_u32_e32 v94, vcc, 0x7000, v64
	v_addc_co_u32_e32 v95, vcc, 0, v65, vcc
	global_load_dwordx2 v[82:83], v[82:83], off offset:-4096
	s_nop 0
	global_load_dwordx2 v[94:95], v[94:95], off
	v_add_co_u32_e32 v64, vcc, 0x7800, v64
	s_movk_i32 s26, 0x1000
	v_addc_co_u32_e32 v65, vcc, 0, v65, vcc
	s_mov_b64 s[16:17], -1
	s_cbranch_execz .LBB1148_615
; %bb.613:                              ;   in Loop: Header=BB1148_611 Depth=2
                                        ; implicit-def: $vgpr60_vgpr61
                                        ; implicit-def: $vgpr58_vgpr59
                                        ; implicit-def: $vgpr56_vgpr57
                                        ; implicit-def: $vgpr54_vgpr55
                                        ; implicit-def: $vgpr52_vgpr53
                                        ; implicit-def: $vgpr50_vgpr51
                                        ; implicit-def: $vgpr48_vgpr49
                                        ; implicit-def: $vgpr46_vgpr47
                                        ; implicit-def: $vgpr44_vgpr45
                                        ; implicit-def: $vgpr42_vgpr43
                                        ; implicit-def: $vgpr40_vgpr41
                                        ; implicit-def: $vgpr38_vgpr39
                                        ; implicit-def: $vgpr36_vgpr37
                                        ; implicit-def: $vgpr34_vgpr35
                                        ; implicit-def: $vgpr0_vgpr1
                                        ; implicit-def: $vgpr62_vgpr63
	v_mov_b32_e32 v5, s24
	s_and_saveexec_b64 s[18:19], s[16:17]
	s_cbranch_execnz .LBB1148_634
	s_branch .LBB1148_635
.LBB1148_614:                           ;   in Loop: Header=BB1148_611 Depth=2
	s_mov_b64 s[16:17], 0
                                        ; implicit-def: $sgpr26
                                        ; implicit-def: $vgpr66_vgpr67
                                        ; implicit-def: $vgpr68_vgpr69
                                        ; implicit-def: $vgpr70_vgpr71
                                        ; implicit-def: $vgpr72_vgpr73
                                        ; implicit-def: $vgpr82_vgpr83
                                        ; implicit-def: $vgpr78_vgpr79
                                        ; implicit-def: $vgpr74_vgpr75
                                        ; implicit-def: $vgpr76_vgpr77
                                        ; implicit-def: $vgpr80_vgpr81
                                        ; implicit-def: $vgpr86_vgpr87
                                        ; implicit-def: $vgpr84_vgpr85
                                        ; implicit-def: $vgpr88_vgpr89
                                        ; implicit-def: $vgpr90_vgpr91
                                        ; implicit-def: $vgpr92_vgpr93
                                        ; implicit-def: $vgpr94_vgpr95
                                        ; implicit-def: $vgpr64_vgpr65
.LBB1148_615:                           ;   in Loop: Header=BB1148_611 Depth=2
	s_mov_b32 s19, s90
	s_lshl_b64 s[20:21], s[18:19], 3
	s_add_u32 s20, s72, s20
	s_addc_u32 s21, s73, s21
	v_cmp_gt_u32_e32 vcc, s24, v2
	s_and_saveexec_b64 s[22:23], vcc
	s_cbranch_execz .LBB1148_667
; %bb.616:                              ;   in Loop: Header=BB1148_611 Depth=2
	global_load_dwordx2 v[60:61], v118, s[20:21]
	s_or_b64 exec, exec, s[22:23]
	v_cmp_gt_u32_e32 vcc, s24, v7
	s_and_saveexec_b64 s[22:23], vcc
	s_cbranch_execnz .LBB1148_668
.LBB1148_617:                           ;   in Loop: Header=BB1148_611 Depth=2
	s_or_b64 exec, exec, s[22:23]
	v_cmp_gt_u32_e32 vcc, s24, v6
	s_and_saveexec_b64 s[22:23], vcc
	s_cbranch_execz .LBB1148_669
.LBB1148_618:                           ;   in Loop: Header=BB1148_611 Depth=2
	global_load_dwordx2 v[56:57], v119, s[20:21]
	s_or_b64 exec, exec, s[22:23]
	v_cmp_gt_u32_e32 vcc, s24, v8
	s_and_saveexec_b64 s[22:23], vcc
	s_cbranch_execnz .LBB1148_670
.LBB1148_619:                           ;   in Loop: Header=BB1148_611 Depth=2
	s_or_b64 exec, exec, s[22:23]
	v_cmp_gt_u32_e32 vcc, s24, v10
	s_and_saveexec_b64 s[22:23], vcc
	s_cbranch_execz .LBB1148_671
.LBB1148_620:                           ;   in Loop: Header=BB1148_611 Depth=2
	global_load_dwordx2 v[52:53], v121, s[20:21]
	s_or_b64 exec, exec, s[22:23]
	v_cmp_gt_u32_e32 vcc, s24, v12
	s_and_saveexec_b64 s[22:23], vcc
	s_cbranch_execnz .LBB1148_672
.LBB1148_621:                           ;   in Loop: Header=BB1148_611 Depth=2
	s_or_b64 exec, exec, s[22:23]
	v_cmp_gt_u32_e32 vcc, s24, v14
	s_and_saveexec_b64 s[22:23], vcc
	s_cbranch_execz .LBB1148_673
.LBB1148_622:                           ;   in Loop: Header=BB1148_611 Depth=2
	global_load_dwordx2 v[48:49], v123, s[20:21]
	s_or_b64 exec, exec, s[22:23]
	v_cmp_gt_u32_e32 vcc, s24, v16
	s_and_saveexec_b64 s[22:23], vcc
	s_cbranch_execnz .LBB1148_674
.LBB1148_623:                           ;   in Loop: Header=BB1148_611 Depth=2
	s_or_b64 exec, exec, s[22:23]
	v_cmp_gt_u32_e32 vcc, s24, v18
	s_and_saveexec_b64 s[22:23], vcc
	s_cbranch_execz .LBB1148_675
.LBB1148_624:                           ;   in Loop: Header=BB1148_611 Depth=2
	global_load_dwordx2 v[44:45], v125, s[20:21]
	s_or_b64 exec, exec, s[22:23]
	v_cmp_gt_u32_e32 vcc, s24, v20
	s_and_saveexec_b64 s[22:23], vcc
	s_cbranch_execnz .LBB1148_676
.LBB1148_625:                           ;   in Loop: Header=BB1148_611 Depth=2
	s_or_b64 exec, exec, s[22:23]
	v_cmp_gt_u32_e32 vcc, s24, v22
	s_and_saveexec_b64 s[22:23], vcc
	s_cbranch_execz .LBB1148_677
.LBB1148_626:                           ;   in Loop: Header=BB1148_611 Depth=2
	global_load_dwordx2 v[40:41], v127, s[20:21]
	s_or_b64 exec, exec, s[22:23]
	v_cmp_gt_u32_e32 vcc, s24, v24
	s_and_saveexec_b64 s[22:23], vcc
	s_cbranch_execnz .LBB1148_678
.LBB1148_627:                           ;   in Loop: Header=BB1148_611 Depth=2
	s_or_b64 exec, exec, s[22:23]
	v_cmp_gt_u32_e32 vcc, s24, v26
	s_and_saveexec_b64 s[22:23], vcc
	s_cbranch_execz .LBB1148_679
.LBB1148_628:                           ;   in Loop: Header=BB1148_611 Depth=2
	global_load_dwordx2 v[36:37], v129, s[20:21]
	s_or_b64 exec, exec, s[22:23]
	v_cmp_gt_u32_e32 vcc, s24, v28
	s_and_saveexec_b64 s[22:23], vcc
	s_cbranch_execnz .LBB1148_680
.LBB1148_629:                           ;   in Loop: Header=BB1148_611 Depth=2
	s_or_b64 exec, exec, s[22:23]
	v_cmp_gt_u32_e32 vcc, s24, v30
	s_and_saveexec_b64 s[22:23], vcc
	s_cbranch_execz .LBB1148_631
.LBB1148_630:                           ;   in Loop: Header=BB1148_611 Depth=2
	global_load_dwordx2 v[0:1], v131, s[20:21]
.LBB1148_631:                           ;   in Loop: Header=BB1148_611 Depth=2
	s_or_b64 exec, exec, s[22:23]
	v_cmp_gt_u32_e32 vcc, s24, v32
                                        ; implicit-def: $sgpr26
                                        ; implicit-def: $vgpr64_vgpr65
	s_and_saveexec_b64 s[22:23], vcc
; %bb.632:                              ;   in Loop: Header=BB1148_611 Depth=2
	v_mov_b32_e32 v5, s21
	v_add_co_u32_e32 v64, vcc, s20, v132
	s_sub_i32 s26, s96, s18
	v_addc_co_u32_e32 v65, vcc, 0, v5, vcc
	s_or_b64 s[16:17], s[16:17], exec
                                        ; implicit-def: $vgpr62_vgpr63
; %bb.633:                              ;   in Loop: Header=BB1148_611 Depth=2
	s_or_b64 exec, exec, s[22:23]
	s_waitcnt vmcnt(0)
	v_pk_mov_b32 v[66:67], v[60:61], v[60:61] op_sel:[0,1]
	v_pk_mov_b32 v[68:69], v[58:59], v[58:59] op_sel:[0,1]
	;; [unrolled: 1-line block ×15, first 2 shown]
	v_mov_b32_e32 v5, s24
	s_and_saveexec_b64 s[18:19], s[16:17]
	s_cbranch_execz .LBB1148_635
.LBB1148_634:                           ;   in Loop: Header=BB1148_611 Depth=2
	global_load_dwordx2 v[62:63], v[64:65], off
	v_mov_b32_e32 v5, s26
	s_waitcnt vmcnt(1)
	v_pk_mov_b32 v[0:1], v[94:95], v[94:95] op_sel:[0,1]
	v_pk_mov_b32 v[34:35], v[92:93], v[92:93] op_sel:[0,1]
	;; [unrolled: 1-line block ×15, first 2 shown]
.LBB1148_635:                           ;   in Loop: Header=BB1148_611 Depth=2
	s_or_b64 exec, exec, s[18:19]
	v_cmp_lt_u32_e32 vcc, v2, v5
	s_and_saveexec_b64 s[16:17], vcc
	s_cbranch_execz .LBB1148_651
; %bb.636:                              ;   in Loop: Header=BB1148_611 Depth=2
	v_cmp_gt_i64_e32 vcc, 0, v[60:61]
	v_ashrrev_i32_e32 v65, 31, v61
	v_cndmask_b32_e64 v64, v133, 0, vcc
	s_waitcnt vmcnt(14)
	v_not_b32_e32 v66, v65
	v_xor_b32_e32 v65, v64, v61
	v_xor_b32_e32 v64, v66, v60
	v_cmp_ne_u64_e32 vcc, s[90:91], v[64:65]
	v_cndmask_b32_e32 v65, v133, v65, vcc
	v_cndmask_b32_e32 v64, -1, v64, vcc
	v_lshrrev_b64 v[64:65], s84, v[64:65]
	v_and_b32_e32 v64, s85, v64
	v_lshl_or_b32 v64, v64, 4, v134
	ds_add_u32 v64, v117
	s_or_b64 exec, exec, s[16:17]
	v_cmp_lt_u32_e32 vcc, v7, v5
	s_and_saveexec_b64 s[16:17], vcc
	s_cbranch_execnz .LBB1148_652
.LBB1148_637:                           ;   in Loop: Header=BB1148_611 Depth=2
	s_or_b64 exec, exec, s[16:17]
	v_cmp_lt_u32_e32 vcc, v6, v5
	s_and_saveexec_b64 s[16:17], vcc
	s_cbranch_execz .LBB1148_653
.LBB1148_638:                           ;   in Loop: Header=BB1148_611 Depth=2
	v_cmp_gt_i64_e32 vcc, 0, v[56:57]
	v_ashrrev_i32_e32 v65, 31, v57
	v_cndmask_b32_e64 v64, v133, 0, vcc
	s_waitcnt vmcnt(14)
	v_not_b32_e32 v66, v65
	v_xor_b32_e32 v65, v64, v57
	v_xor_b32_e32 v64, v66, v56
	v_cmp_ne_u64_e32 vcc, s[90:91], v[64:65]
	v_cndmask_b32_e32 v65, v133, v65, vcc
	v_cndmask_b32_e32 v64, -1, v64, vcc
	v_lshrrev_b64 v[64:65], s84, v[64:65]
	v_and_b32_e32 v64, s85, v64
	v_lshl_or_b32 v64, v64, 4, v134
	ds_add_u32 v64, v117
	s_or_b64 exec, exec, s[16:17]
	v_cmp_lt_u32_e32 vcc, v8, v5
	s_and_saveexec_b64 s[16:17], vcc
	s_cbranch_execnz .LBB1148_654
.LBB1148_639:                           ;   in Loop: Header=BB1148_611 Depth=2
	s_or_b64 exec, exec, s[16:17]
	v_cmp_lt_u32_e32 vcc, v10, v5
	s_and_saveexec_b64 s[16:17], vcc
	s_cbranch_execz .LBB1148_655
.LBB1148_640:                           ;   in Loop: Header=BB1148_611 Depth=2
	v_cmp_gt_i64_e32 vcc, 0, v[52:53]
	v_ashrrev_i32_e32 v65, 31, v53
	v_cndmask_b32_e64 v64, v133, 0, vcc
	s_waitcnt vmcnt(14)
	v_not_b32_e32 v66, v65
	v_xor_b32_e32 v65, v64, v53
	v_xor_b32_e32 v64, v66, v52
	v_cmp_ne_u64_e32 vcc, s[90:91], v[64:65]
	v_cndmask_b32_e32 v65, v133, v65, vcc
	v_cndmask_b32_e32 v64, -1, v64, vcc
	v_lshrrev_b64 v[64:65], s84, v[64:65]
	v_and_b32_e32 v64, s85, v64
	v_lshl_or_b32 v64, v64, 4, v134
	ds_add_u32 v64, v117
	s_or_b64 exec, exec, s[16:17]
	v_cmp_lt_u32_e32 vcc, v12, v5
	s_and_saveexec_b64 s[16:17], vcc
	s_cbranch_execnz .LBB1148_656
.LBB1148_641:                           ;   in Loop: Header=BB1148_611 Depth=2
	s_or_b64 exec, exec, s[16:17]
	v_cmp_lt_u32_e32 vcc, v14, v5
	s_and_saveexec_b64 s[16:17], vcc
	s_cbranch_execz .LBB1148_657
.LBB1148_642:                           ;   in Loop: Header=BB1148_611 Depth=2
	v_cmp_gt_i64_e32 vcc, 0, v[48:49]
	v_ashrrev_i32_e32 v65, 31, v49
	v_cndmask_b32_e64 v64, v133, 0, vcc
	s_waitcnt vmcnt(14)
	v_not_b32_e32 v66, v65
	v_xor_b32_e32 v65, v64, v49
	v_xor_b32_e32 v64, v66, v48
	v_cmp_ne_u64_e32 vcc, s[90:91], v[64:65]
	v_cndmask_b32_e32 v65, v133, v65, vcc
	v_cndmask_b32_e32 v64, -1, v64, vcc
	v_lshrrev_b64 v[64:65], s84, v[64:65]
	v_and_b32_e32 v64, s85, v64
	v_lshl_or_b32 v64, v64, 4, v134
	ds_add_u32 v64, v117
	s_or_b64 exec, exec, s[16:17]
	v_cmp_lt_u32_e32 vcc, v16, v5
	s_and_saveexec_b64 s[16:17], vcc
	s_cbranch_execnz .LBB1148_658
.LBB1148_643:                           ;   in Loop: Header=BB1148_611 Depth=2
	s_or_b64 exec, exec, s[16:17]
	v_cmp_lt_u32_e32 vcc, v18, v5
	s_and_saveexec_b64 s[16:17], vcc
	s_cbranch_execz .LBB1148_659
.LBB1148_644:                           ;   in Loop: Header=BB1148_611 Depth=2
	v_cmp_gt_i64_e32 vcc, 0, v[44:45]
	v_ashrrev_i32_e32 v65, 31, v45
	v_cndmask_b32_e64 v64, v133, 0, vcc
	s_waitcnt vmcnt(14)
	v_not_b32_e32 v66, v65
	v_xor_b32_e32 v65, v64, v45
	v_xor_b32_e32 v64, v66, v44
	v_cmp_ne_u64_e32 vcc, s[90:91], v[64:65]
	v_cndmask_b32_e32 v65, v133, v65, vcc
	v_cndmask_b32_e32 v64, -1, v64, vcc
	v_lshrrev_b64 v[64:65], s84, v[64:65]
	v_and_b32_e32 v64, s85, v64
	v_lshl_or_b32 v64, v64, 4, v134
	ds_add_u32 v64, v117
	s_or_b64 exec, exec, s[16:17]
	v_cmp_lt_u32_e32 vcc, v20, v5
	s_and_saveexec_b64 s[16:17], vcc
	s_cbranch_execnz .LBB1148_660
.LBB1148_645:                           ;   in Loop: Header=BB1148_611 Depth=2
	s_or_b64 exec, exec, s[16:17]
	v_cmp_lt_u32_e32 vcc, v22, v5
	s_and_saveexec_b64 s[16:17], vcc
	s_cbranch_execz .LBB1148_661
.LBB1148_646:                           ;   in Loop: Header=BB1148_611 Depth=2
	v_cmp_gt_i64_e32 vcc, 0, v[40:41]
	v_ashrrev_i32_e32 v65, 31, v41
	v_cndmask_b32_e64 v64, v133, 0, vcc
	s_waitcnt vmcnt(14)
	v_not_b32_e32 v66, v65
	v_xor_b32_e32 v65, v64, v41
	v_xor_b32_e32 v64, v66, v40
	v_cmp_ne_u64_e32 vcc, s[90:91], v[64:65]
	v_cndmask_b32_e32 v65, v133, v65, vcc
	v_cndmask_b32_e32 v64, -1, v64, vcc
	v_lshrrev_b64 v[64:65], s84, v[64:65]
	v_and_b32_e32 v64, s85, v64
	v_lshl_or_b32 v64, v64, 4, v134
	ds_add_u32 v64, v117
	s_or_b64 exec, exec, s[16:17]
	v_cmp_lt_u32_e32 vcc, v24, v5
	s_and_saveexec_b64 s[16:17], vcc
	s_cbranch_execnz .LBB1148_662
.LBB1148_647:                           ;   in Loop: Header=BB1148_611 Depth=2
	s_or_b64 exec, exec, s[16:17]
	v_cmp_lt_u32_e32 vcc, v26, v5
	s_and_saveexec_b64 s[16:17], vcc
	s_cbranch_execz .LBB1148_663
.LBB1148_648:                           ;   in Loop: Header=BB1148_611 Depth=2
	v_cmp_gt_i64_e32 vcc, 0, v[36:37]
	v_ashrrev_i32_e32 v65, 31, v37
	v_cndmask_b32_e64 v64, v133, 0, vcc
	s_waitcnt vmcnt(14)
	v_not_b32_e32 v66, v65
	v_xor_b32_e32 v65, v64, v37
	v_xor_b32_e32 v64, v66, v36
	v_cmp_ne_u64_e32 vcc, s[90:91], v[64:65]
	v_cndmask_b32_e32 v65, v133, v65, vcc
	v_cndmask_b32_e32 v64, -1, v64, vcc
	v_lshrrev_b64 v[64:65], s84, v[64:65]
	v_and_b32_e32 v64, s85, v64
	v_lshl_or_b32 v64, v64, 4, v134
	ds_add_u32 v64, v117
	s_or_b64 exec, exec, s[16:17]
	v_cmp_lt_u32_e32 vcc, v28, v5
	s_and_saveexec_b64 s[16:17], vcc
	s_cbranch_execnz .LBB1148_664
.LBB1148_649:                           ;   in Loop: Header=BB1148_611 Depth=2
	s_or_b64 exec, exec, s[16:17]
	v_cmp_lt_u32_e32 vcc, v30, v5
	s_and_saveexec_b64 s[16:17], vcc
	s_cbranch_execz .LBB1148_665
.LBB1148_650:                           ;   in Loop: Header=BB1148_611 Depth=2
	v_cmp_gt_i64_e32 vcc, 0, v[0:1]
	v_ashrrev_i32_e32 v65, 31, v1
	v_cndmask_b32_e64 v64, v133, 0, vcc
	s_waitcnt vmcnt(14)
	v_not_b32_e32 v66, v65
	v_xor_b32_e32 v65, v64, v1
	v_xor_b32_e32 v64, v66, v0
	v_cmp_ne_u64_e32 vcc, s[90:91], v[64:65]
	v_cndmask_b32_e32 v65, v133, v65, vcc
	v_cndmask_b32_e32 v64, -1, v64, vcc
	v_lshrrev_b64 v[64:65], s84, v[64:65]
	v_and_b32_e32 v64, s85, v64
	v_lshl_or_b32 v64, v64, 4, v134
	ds_add_u32 v64, v117
	s_or_b64 exec, exec, s[16:17]
	v_cmp_lt_u32_e32 vcc, v32, v5
	s_and_saveexec_b64 s[16:17], vcc
	s_cbranch_execz .LBB1148_610
	s_branch .LBB1148_666
.LBB1148_651:                           ;   in Loop: Header=BB1148_611 Depth=2
	s_or_b64 exec, exec, s[16:17]
	v_cmp_lt_u32_e32 vcc, v7, v5
	s_and_saveexec_b64 s[16:17], vcc
	s_cbranch_execz .LBB1148_637
.LBB1148_652:                           ;   in Loop: Header=BB1148_611 Depth=2
	v_cmp_gt_i64_e32 vcc, 0, v[58:59]
	v_ashrrev_i32_e32 v65, 31, v59
	v_cndmask_b32_e64 v64, v133, 0, vcc
	s_waitcnt vmcnt(14)
	v_not_b32_e32 v66, v65
	v_xor_b32_e32 v65, v64, v59
	v_xor_b32_e32 v64, v66, v58
	v_cmp_ne_u64_e32 vcc, s[90:91], v[64:65]
	v_cndmask_b32_e32 v65, v133, v65, vcc
	v_cndmask_b32_e32 v64, -1, v64, vcc
	v_lshrrev_b64 v[64:65], s84, v[64:65]
	v_and_b32_e32 v64, s85, v64
	v_lshl_or_b32 v64, v64, 4, v134
	ds_add_u32 v64, v117
	s_or_b64 exec, exec, s[16:17]
	v_cmp_lt_u32_e32 vcc, v6, v5
	s_and_saveexec_b64 s[16:17], vcc
	s_cbranch_execnz .LBB1148_638
.LBB1148_653:                           ;   in Loop: Header=BB1148_611 Depth=2
	s_or_b64 exec, exec, s[16:17]
	v_cmp_lt_u32_e32 vcc, v8, v5
	s_and_saveexec_b64 s[16:17], vcc
	s_cbranch_execz .LBB1148_639
.LBB1148_654:                           ;   in Loop: Header=BB1148_611 Depth=2
	v_cmp_gt_i64_e32 vcc, 0, v[54:55]
	v_ashrrev_i32_e32 v65, 31, v55
	v_cndmask_b32_e64 v64, v133, 0, vcc
	s_waitcnt vmcnt(14)
	v_not_b32_e32 v66, v65
	v_xor_b32_e32 v65, v64, v55
	v_xor_b32_e32 v64, v66, v54
	v_cmp_ne_u64_e32 vcc, s[90:91], v[64:65]
	v_cndmask_b32_e32 v65, v133, v65, vcc
	v_cndmask_b32_e32 v64, -1, v64, vcc
	v_lshrrev_b64 v[64:65], s84, v[64:65]
	v_and_b32_e32 v64, s85, v64
	v_lshl_or_b32 v64, v64, 4, v134
	ds_add_u32 v64, v117
	s_or_b64 exec, exec, s[16:17]
	v_cmp_lt_u32_e32 vcc, v10, v5
	s_and_saveexec_b64 s[16:17], vcc
	s_cbranch_execnz .LBB1148_640
.LBB1148_655:                           ;   in Loop: Header=BB1148_611 Depth=2
	s_or_b64 exec, exec, s[16:17]
	v_cmp_lt_u32_e32 vcc, v12, v5
	s_and_saveexec_b64 s[16:17], vcc
	s_cbranch_execz .LBB1148_641
.LBB1148_656:                           ;   in Loop: Header=BB1148_611 Depth=2
	v_cmp_gt_i64_e32 vcc, 0, v[50:51]
	v_ashrrev_i32_e32 v65, 31, v51
	v_cndmask_b32_e64 v64, v133, 0, vcc
	s_waitcnt vmcnt(14)
	v_not_b32_e32 v66, v65
	v_xor_b32_e32 v65, v64, v51
	v_xor_b32_e32 v64, v66, v50
	v_cmp_ne_u64_e32 vcc, s[90:91], v[64:65]
	v_cndmask_b32_e32 v65, v133, v65, vcc
	v_cndmask_b32_e32 v64, -1, v64, vcc
	v_lshrrev_b64 v[64:65], s84, v[64:65]
	v_and_b32_e32 v64, s85, v64
	v_lshl_or_b32 v64, v64, 4, v134
	ds_add_u32 v64, v117
	s_or_b64 exec, exec, s[16:17]
	v_cmp_lt_u32_e32 vcc, v14, v5
	s_and_saveexec_b64 s[16:17], vcc
	s_cbranch_execnz .LBB1148_642
.LBB1148_657:                           ;   in Loop: Header=BB1148_611 Depth=2
	s_or_b64 exec, exec, s[16:17]
	v_cmp_lt_u32_e32 vcc, v16, v5
	s_and_saveexec_b64 s[16:17], vcc
	s_cbranch_execz .LBB1148_643
.LBB1148_658:                           ;   in Loop: Header=BB1148_611 Depth=2
	v_cmp_gt_i64_e32 vcc, 0, v[46:47]
	v_ashrrev_i32_e32 v65, 31, v47
	v_cndmask_b32_e64 v64, v133, 0, vcc
	s_waitcnt vmcnt(14)
	v_not_b32_e32 v66, v65
	v_xor_b32_e32 v65, v64, v47
	v_xor_b32_e32 v64, v66, v46
	v_cmp_ne_u64_e32 vcc, s[90:91], v[64:65]
	v_cndmask_b32_e32 v65, v133, v65, vcc
	v_cndmask_b32_e32 v64, -1, v64, vcc
	v_lshrrev_b64 v[64:65], s84, v[64:65]
	v_and_b32_e32 v64, s85, v64
	v_lshl_or_b32 v64, v64, 4, v134
	ds_add_u32 v64, v117
	s_or_b64 exec, exec, s[16:17]
	v_cmp_lt_u32_e32 vcc, v18, v5
	s_and_saveexec_b64 s[16:17], vcc
	s_cbranch_execnz .LBB1148_644
.LBB1148_659:                           ;   in Loop: Header=BB1148_611 Depth=2
	s_or_b64 exec, exec, s[16:17]
	v_cmp_lt_u32_e32 vcc, v20, v5
	s_and_saveexec_b64 s[16:17], vcc
	s_cbranch_execz .LBB1148_645
.LBB1148_660:                           ;   in Loop: Header=BB1148_611 Depth=2
	v_cmp_gt_i64_e32 vcc, 0, v[42:43]
	v_ashrrev_i32_e32 v65, 31, v43
	v_cndmask_b32_e64 v64, v133, 0, vcc
	s_waitcnt vmcnt(14)
	v_not_b32_e32 v66, v65
	v_xor_b32_e32 v65, v64, v43
	v_xor_b32_e32 v64, v66, v42
	v_cmp_ne_u64_e32 vcc, s[90:91], v[64:65]
	v_cndmask_b32_e32 v65, v133, v65, vcc
	v_cndmask_b32_e32 v64, -1, v64, vcc
	v_lshrrev_b64 v[64:65], s84, v[64:65]
	v_and_b32_e32 v64, s85, v64
	v_lshl_or_b32 v64, v64, 4, v134
	ds_add_u32 v64, v117
	s_or_b64 exec, exec, s[16:17]
	v_cmp_lt_u32_e32 vcc, v22, v5
	s_and_saveexec_b64 s[16:17], vcc
	s_cbranch_execnz .LBB1148_646
.LBB1148_661:                           ;   in Loop: Header=BB1148_611 Depth=2
	s_or_b64 exec, exec, s[16:17]
	v_cmp_lt_u32_e32 vcc, v24, v5
	s_and_saveexec_b64 s[16:17], vcc
	s_cbranch_execz .LBB1148_647
.LBB1148_662:                           ;   in Loop: Header=BB1148_611 Depth=2
	v_cmp_gt_i64_e32 vcc, 0, v[38:39]
	v_ashrrev_i32_e32 v65, 31, v39
	v_cndmask_b32_e64 v64, v133, 0, vcc
	s_waitcnt vmcnt(14)
	v_not_b32_e32 v66, v65
	v_xor_b32_e32 v65, v64, v39
	v_xor_b32_e32 v64, v66, v38
	v_cmp_ne_u64_e32 vcc, s[90:91], v[64:65]
	v_cndmask_b32_e32 v65, v133, v65, vcc
	v_cndmask_b32_e32 v64, -1, v64, vcc
	v_lshrrev_b64 v[64:65], s84, v[64:65]
	v_and_b32_e32 v64, s85, v64
	v_lshl_or_b32 v64, v64, 4, v134
	ds_add_u32 v64, v117
	s_or_b64 exec, exec, s[16:17]
	v_cmp_lt_u32_e32 vcc, v26, v5
	s_and_saveexec_b64 s[16:17], vcc
	s_cbranch_execnz .LBB1148_648
.LBB1148_663:                           ;   in Loop: Header=BB1148_611 Depth=2
	s_or_b64 exec, exec, s[16:17]
	v_cmp_lt_u32_e32 vcc, v28, v5
	s_and_saveexec_b64 s[16:17], vcc
	s_cbranch_execz .LBB1148_649
.LBB1148_664:                           ;   in Loop: Header=BB1148_611 Depth=2
	v_cmp_gt_i64_e32 vcc, 0, v[34:35]
	v_ashrrev_i32_e32 v65, 31, v35
	v_cndmask_b32_e64 v64, v133, 0, vcc
	s_waitcnt vmcnt(14)
	v_not_b32_e32 v66, v65
	v_xor_b32_e32 v65, v64, v35
	v_xor_b32_e32 v64, v66, v34
	v_cmp_ne_u64_e32 vcc, s[90:91], v[64:65]
	v_cndmask_b32_e32 v65, v133, v65, vcc
	v_cndmask_b32_e32 v64, -1, v64, vcc
	v_lshrrev_b64 v[64:65], s84, v[64:65]
	v_and_b32_e32 v64, s85, v64
	v_lshl_or_b32 v64, v64, 4, v134
	ds_add_u32 v64, v117
	s_or_b64 exec, exec, s[16:17]
	v_cmp_lt_u32_e32 vcc, v30, v5
	s_and_saveexec_b64 s[16:17], vcc
	s_cbranch_execnz .LBB1148_650
.LBB1148_665:                           ;   in Loop: Header=BB1148_611 Depth=2
	s_or_b64 exec, exec, s[16:17]
	v_cmp_lt_u32_e32 vcc, v32, v5
	s_and_saveexec_b64 s[16:17], vcc
	s_cbranch_execz .LBB1148_610
.LBB1148_666:                           ;   in Loop: Header=BB1148_611 Depth=2
	s_waitcnt vmcnt(0)
	v_cmp_gt_i64_e32 vcc, 0, v[62:63]
	v_ashrrev_i32_e32 v64, 31, v63
	v_cndmask_b32_e64 v5, v133, 0, vcc
	v_not_b32_e32 v64, v64
	v_xor_b32_e32 v65, v5, v63
	v_xor_b32_e32 v64, v64, v62
	v_cmp_ne_u64_e32 vcc, s[90:91], v[64:65]
	v_cndmask_b32_e32 v65, v133, v65, vcc
	v_cndmask_b32_e32 v64, -1, v64, vcc
	v_lshrrev_b64 v[64:65], s84, v[64:65]
	v_and_b32_e32 v5, s85, v64
	v_lshl_or_b32 v5, v5, 4, v134
	ds_add_u32 v5, v117
	s_branch .LBB1148_610
.LBB1148_667:                           ;   in Loop: Header=BB1148_611 Depth=2
	s_or_b64 exec, exec, s[22:23]
	v_cmp_gt_u32_e32 vcc, s24, v7
	s_and_saveexec_b64 s[22:23], vcc
	s_cbranch_execz .LBB1148_617
.LBB1148_668:                           ;   in Loop: Header=BB1148_611 Depth=2
	global_load_dwordx2 v[58:59], v118, s[20:21] offset:2048
	s_or_b64 exec, exec, s[22:23]
	v_cmp_gt_u32_e32 vcc, s24, v6
	s_and_saveexec_b64 s[22:23], vcc
	s_cbranch_execnz .LBB1148_618
.LBB1148_669:                           ;   in Loop: Header=BB1148_611 Depth=2
	s_or_b64 exec, exec, s[22:23]
	v_cmp_gt_u32_e32 vcc, s24, v8
	s_and_saveexec_b64 s[22:23], vcc
	s_cbranch_execz .LBB1148_619
.LBB1148_670:                           ;   in Loop: Header=BB1148_611 Depth=2
	global_load_dwordx2 v[54:55], v120, s[20:21]
	s_or_b64 exec, exec, s[22:23]
	v_cmp_gt_u32_e32 vcc, s24, v10
	s_and_saveexec_b64 s[22:23], vcc
	s_cbranch_execnz .LBB1148_620
.LBB1148_671:                           ;   in Loop: Header=BB1148_611 Depth=2
	s_or_b64 exec, exec, s[22:23]
	v_cmp_gt_u32_e32 vcc, s24, v12
	s_and_saveexec_b64 s[22:23], vcc
	s_cbranch_execz .LBB1148_621
.LBB1148_672:                           ;   in Loop: Header=BB1148_611 Depth=2
	global_load_dwordx2 v[50:51], v122, s[20:21]
	s_or_b64 exec, exec, s[22:23]
	v_cmp_gt_u32_e32 vcc, s24, v14
	s_and_saveexec_b64 s[22:23], vcc
	s_cbranch_execnz .LBB1148_622
.LBB1148_673:                           ;   in Loop: Header=BB1148_611 Depth=2
	s_or_b64 exec, exec, s[22:23]
	v_cmp_gt_u32_e32 vcc, s24, v16
	s_and_saveexec_b64 s[22:23], vcc
	s_cbranch_execz .LBB1148_623
.LBB1148_674:                           ;   in Loop: Header=BB1148_611 Depth=2
	global_load_dwordx2 v[46:47], v124, s[20:21]
	s_or_b64 exec, exec, s[22:23]
	v_cmp_gt_u32_e32 vcc, s24, v18
	s_and_saveexec_b64 s[22:23], vcc
	s_cbranch_execnz .LBB1148_624
.LBB1148_675:                           ;   in Loop: Header=BB1148_611 Depth=2
	s_or_b64 exec, exec, s[22:23]
	v_cmp_gt_u32_e32 vcc, s24, v20
	s_and_saveexec_b64 s[22:23], vcc
	s_cbranch_execz .LBB1148_625
.LBB1148_676:                           ;   in Loop: Header=BB1148_611 Depth=2
	global_load_dwordx2 v[42:43], v126, s[20:21]
	s_or_b64 exec, exec, s[22:23]
	v_cmp_gt_u32_e32 vcc, s24, v22
	s_and_saveexec_b64 s[22:23], vcc
	s_cbranch_execnz .LBB1148_626
.LBB1148_677:                           ;   in Loop: Header=BB1148_611 Depth=2
	s_or_b64 exec, exec, s[22:23]
	v_cmp_gt_u32_e32 vcc, s24, v24
	s_and_saveexec_b64 s[22:23], vcc
	s_cbranch_execz .LBB1148_627
.LBB1148_678:                           ;   in Loop: Header=BB1148_611 Depth=2
	global_load_dwordx2 v[38:39], v128, s[20:21]
	s_or_b64 exec, exec, s[22:23]
	v_cmp_gt_u32_e32 vcc, s24, v26
	s_and_saveexec_b64 s[22:23], vcc
	s_cbranch_execnz .LBB1148_628
.LBB1148_679:                           ;   in Loop: Header=BB1148_611 Depth=2
	s_or_b64 exec, exec, s[22:23]
	v_cmp_gt_u32_e32 vcc, s24, v28
	s_and_saveexec_b64 s[22:23], vcc
	s_cbranch_execz .LBB1148_629
.LBB1148_680:                           ;   in Loop: Header=BB1148_611 Depth=2
	global_load_dwordx2 v[34:35], v130, s[20:21]
	s_or_b64 exec, exec, s[22:23]
	v_cmp_gt_u32_e32 vcc, s24, v30
	s_and_saveexec_b64 s[22:23], vcc
	s_cbranch_execz .LBB1148_631
	s_branch .LBB1148_630
.LBB1148_681:                           ;   in Loop: Header=BB1148_17 Depth=1
	v_mov_b32_e32 v0, 0
	s_waitcnt lgkmcnt(0)
	s_barrier
	s_and_saveexec_b64 s[16:17], s[4:5]
	s_cbranch_execz .LBB1148_683
; %bb.682:                              ;   in Loop: Header=BB1148_17 Depth=1
	ds_read2_b64 v[34:37], v13 offset1:1
	s_waitcnt lgkmcnt(0)
	v_add_u32_e32 v0, v35, v34
	v_add3_u32 v0, v0, v36, v37
.LBB1148_683:                           ;   in Loop: Header=BB1148_17 Depth=1
	s_or_b64 exec, exec, s[16:17]
	s_nop 0
	v_mov_b32_dpp v1, v0 row_shr:1 row_mask:0xf bank_mask:0xf
	v_cmp_eq_u32_e64 s[16:17], 0, v136
	v_cndmask_b32_e64 v1, v1, 0, s[16:17]
	v_add_u32_e32 v0, v1, v0
	v_cmp_lt_u32_e64 s[18:19], 1, v136
	v_cmp_lt_u32_e64 s[20:21], 3, v136
	v_mov_b32_dpp v1, v0 row_shr:2 row_mask:0xf bank_mask:0xf
	v_cndmask_b32_e64 v1, 0, v1, s[18:19]
	v_add_u32_e32 v0, v0, v1
	v_cmp_lt_u32_e64 s[22:23], 7, v136
	v_cmp_lt_u32_e64 s[26:27], 31, v135
	v_mov_b32_dpp v1, v0 row_shr:4 row_mask:0xf bank_mask:0xf
	v_cndmask_b32_e64 v1, 0, v1, s[20:21]
	v_add_u32_e32 v0, v0, v1
	v_cmp_eq_u32_e64 s[24:25], 0, v138
	s_nop 0
	v_mov_b32_dpp v1, v0 row_shr:8 row_mask:0xf bank_mask:0xf
	v_cndmask_b32_e64 v1, 0, v1, s[22:23]
	v_add_u32_e32 v0, v0, v1
	s_nop 1
	v_mov_b32_dpp v1, v0 row_bcast:15 row_mask:0xf bank_mask:0xf
	v_and_b32_e32 v1, v137, v1
	v_add_u32_e32 v0, v0, v1
	s_nop 1
	v_mov_b32_dpp v1, v0 row_bcast:31 row_mask:0xf bank_mask:0xf
	v_cndmask_b32_e64 v1, 0, v1, s[26:27]
	v_add_u32_e32 v0, v0, v1
	s_and_saveexec_b64 s[28:29], s[6:7]
	s_cbranch_execz .LBB1148_685
; %bb.684:                              ;   in Loop: Header=BB1148_17 Depth=1
	ds_write_b32 v17, v0
.LBB1148_685:                           ;   in Loop: Header=BB1148_17 Depth=1
	s_or_b64 exec, exec, s[28:29]
	s_waitcnt lgkmcnt(0)
	s_barrier
	s_and_saveexec_b64 s[28:29], s[8:9]
	s_cbranch_execz .LBB1148_687
; %bb.686:                              ;   in Loop: Header=BB1148_17 Depth=1
	ds_read_b32 v1, v19
	v_cmp_ne_u32_e32 vcc, 0, v139
	s_waitcnt lgkmcnt(0)
	v_mov_b32_dpp v5, v1 row_shr:1 row_mask:0xf bank_mask:0xf
	v_cndmask_b32_e32 v5, 0, v5, vcc
	v_add_u32_e32 v1, v5, v1
	v_cmp_lt_u32_e32 vcc, 1, v139
	s_nop 0
	v_mov_b32_dpp v5, v1 row_shr:2 row_mask:0xf bank_mask:0xf
	v_cndmask_b32_e32 v5, 0, v5, vcc
	v_add_u32_e32 v1, v1, v5
	ds_write_b32 v19, v1
.LBB1148_687:                           ;   in Loop: Header=BB1148_17 Depth=1
	s_or_b64 exec, exec, s[28:29]
	v_mov_b32_e32 v1, 0
	s_waitcnt lgkmcnt(0)
	s_barrier
	s_and_saveexec_b64 s[28:29], s[10:11]
	s_cbranch_execz .LBB1148_689
; %bb.688:                              ;   in Loop: Header=BB1148_17 Depth=1
	ds_read_b32 v1, v21
.LBB1148_689:                           ;   in Loop: Header=BB1148_17 Depth=1
	s_or_b64 exec, exec, s[28:29]
	v_cmp_lt_i32_e32 vcc, v140, v141
	v_cndmask_b32_e32 v5, v140, v135, vcc
	s_waitcnt lgkmcnt(0)
	v_add_u32_e32 v0, v1, v0
	v_lshlrev_b32_e32 v159, 2, v5
	ds_bpermute_b32 v0, v159, v0
	v_cmp_eq_u32_e64 s[28:29], 0, v135
	s_waitcnt lgkmcnt(0)
	s_barrier
	s_and_saveexec_b64 s[30:31], s[4:5]
	s_cbranch_execz .LBB1148_691
; %bb.690:                              ;   in Loop: Header=BB1148_17 Depth=1
	v_cndmask_b32_e64 v0, v0, v1, s[28:29]
	v_readlane_b32 s34, v236, 3
	v_add_u32_e32 v0, s34, v0
	ds_write_b32 v3, v0
.LBB1148_691:                           ;   in Loop: Header=BB1148_17 Depth=1
	s_or_b64 exec, exec, s[30:31]
	s_load_dwordx2 s[30:31], s[92:93], 0x0
	v_readlane_b32 s34, v236, 1
	v_add_co_u32_e32 v160, vcc, v113, v142
	v_addc_co_u32_e32 v161, vcc, 0, v114, vcc
	s_waitcnt lgkmcnt(0)
	s_cmp_lt_u32 s34, s30
	v_readlane_b32 s30, v236, 0
	s_cselect_b32 s34, 12, 18
	s_cmp_lt_u32 s30, s31
	s_cselect_b32 s30, 14, 20
	s_add_u32 s30, s92, s30
	s_addc_u32 s31, s93, 0
	s_add_u32 s34, s92, s34
	global_load_ushort v5, v4, s[30:31]
	s_addc_u32 s35, s93, 0
	global_load_ushort v64, v4, s[34:35]
	v_add_co_u32_e32 v162, vcc, v115, v142
	v_addc_co_u32_e32 v163, vcc, 0, v116, vcc
	v_add_co_u32_e32 v170, vcc, 0x1e00, v162
	v_cmp_eq_u32_e64 s[30:31], 0, v139
	v_cmp_lt_u32_e64 s[34:35], 1, v139
	v_addc_co_u32_e32 v173, vcc, 0, v163, vcc
                                        ; implicit-def: $vgpr0_vgpr1
                                        ; implicit-def: $vgpr34_vgpr35
                                        ; implicit-def: $vgpr36_vgpr37
                                        ; implicit-def: $vgpr40_vgpr41
                                        ; implicit-def: $vgpr44_vgpr45
                                        ; implicit-def: $vgpr48_vgpr49
                                        ; implicit-def: $vgpr52_vgpr53
                                        ; implicit-def: $vgpr56_vgpr57
                                        ; implicit-def: $vgpr38_vgpr39
                                        ; implicit-def: $vgpr42_vgpr43
                                        ; implicit-def: $vgpr46_vgpr47
                                        ; implicit-def: $vgpr50_vgpr51
                                        ; implicit-def: $vgpr54_vgpr55
                                        ; implicit-def: $vgpr58_vgpr59
                                        ; implicit-def: $vgpr60_vgpr61
                                        ; implicit-def: $vgpr62_vgpr63
                                        ; implicit-def: $vgpr164
                                        ; implicit-def: $vgpr165
                                        ; implicit-def: $vgpr166
                                        ; implicit-def: $vgpr167
                                        ; implicit-def: $vgpr168
                                        ; implicit-def: $vgpr169
                                        ; implicit-def: $vgpr171
                                        ; implicit-def: $vgpr172
                                        ; implicit-def: $vgpr174
                                        ; implicit-def: $vgpr175
                                        ; implicit-def: $vgpr176
                                        ; implicit-def: $vgpr178
                                        ; implicit-def: $vgpr179
                                        ; implicit-def: $vgpr180
                                        ; implicit-def: $vgpr181
                                        ; implicit-def: $vgpr182
	s_waitcnt vmcnt(1)
	v_mad_u32_u24 v5, v23, v5, v25
	s_waitcnt vmcnt(0)
	v_mad_u64_u32 v[64:65], s[36:37], v5, v64, v[2:3]
	v_readlane_b32 s36, v236, 3
	v_lshrrev_b32_e32 v177, 6, v64
	s_mov_b32 s78, s36
	s_branch .LBB1148_693
.LBB1148_692:                           ;   in Loop: Header=BB1148_693 Depth=2
	s_or_b64 exec, exec, s[36:37]
	s_addk_i32 s86, 0xf000
	s_cmp_lt_u32 s87, s96
	s_mov_b32 s78, s87
	s_cbranch_scc0 .LBB1148_901
.LBB1148_693:                           ;   Parent Loop BB1148_17 Depth=1
                                        ; =>  This Inner Loop Header: Depth=2
	s_add_i32 s87, s78, 0x1000
	s_cmp_gt_u32 s87, s96
	s_cbranch_scc1 .LBB1148_696
; %bb.694:                              ;   in Loop: Header=BB1148_693 Depth=2
	s_mov_b32 s79, s90
	s_lshl_b64 s[36:37], s[78:79], 3
	v_mov_b32_e32 v5, s37
	v_add_co_u32_e32 v68, vcc, s36, v162
	v_addc_co_u32_e32 v69, vcc, v163, v5, vcc
	global_load_dwordx2 v[64:65], v[68:69], off
	global_load_dwordx2 v[66:67], v[68:69], off offset:512
	global_load_dwordx2 v[74:75], v[68:69], off offset:1024
	;; [unrolled: 1-line block ×7, first 2 shown]
	v_add_co_u32_e32 v68, vcc, 0x1000, v68
	v_addc_co_u32_e32 v69, vcc, 0, v69, vcc
	global_load_dwordx2 v[92:93], v[68:69], off
	global_load_dwordx2 v[88:89], v[68:69], off offset:512
	global_load_dwordx2 v[84:85], v[68:69], off offset:1024
	;; [unrolled: 1-line block ×5, first 2 shown]
	s_nop 0
	global_load_dwordx2 v[68:69], v[68:69], off offset:3072
	s_movk_i32 s40, 0x1000
	s_mov_b64 s[36:37], -1
	s_cbranch_execz .LBB1148_697
; %bb.695:                              ;   in Loop: Header=BB1148_693 Depth=2
                                        ; implicit-def: $sgpr38_sgpr39
	v_pk_mov_b32 v[70:71], s[38:39], s[38:39] op_sel:[0,1]
	v_mov_b32_e32 v183, s86
	s_and_saveexec_b64 s[38:39], s[36:37]
	s_cbranch_execnz .LBB1148_728
	s_branch .LBB1148_729
.LBB1148_696:                           ;   in Loop: Header=BB1148_693 Depth=2
	s_mov_b64 s[36:37], 0
                                        ; implicit-def: $sgpr40
                                        ; implicit-def: $vgpr64_vgpr65
                                        ; implicit-def: $vgpr66_vgpr67
                                        ; implicit-def: $vgpr74_vgpr75
                                        ; implicit-def: $vgpr78_vgpr79
                                        ; implicit-def: $vgpr82_vgpr83
                                        ; implicit-def: $vgpr86_vgpr87
                                        ; implicit-def: $vgpr90_vgpr91
                                        ; implicit-def: $vgpr94_vgpr95
                                        ; implicit-def: $vgpr92_vgpr93
                                        ; implicit-def: $vgpr88_vgpr89
                                        ; implicit-def: $vgpr84_vgpr85
                                        ; implicit-def: $vgpr80_vgpr81
                                        ; implicit-def: $vgpr76_vgpr77
                                        ; implicit-def: $vgpr72_vgpr73
                                        ; implicit-def: $vgpr68_vgpr69
.LBB1148_697:                           ;   in Loop: Header=BB1148_693 Depth=2
	s_mov_b32 s79, s90
	s_lshl_b64 s[36:37], s[78:79], 3
	v_mov_b32_e32 v5, s37
	v_add_co_u32_e32 v70, vcc, s36, v162
	v_addc_co_u32_e32 v71, vcc, v163, v5, vcc
	s_waitcnt vmcnt(13)
	v_pk_mov_b32 v[66:67], -1, -1
	v_cmp_gt_u32_e32 vcc, s86, v143
	v_pk_mov_b32 v[64:65], v[66:67], v[66:67] op_sel:[0,1]
	s_and_saveexec_b64 s[36:37], vcc
	s_cbranch_execz .LBB1148_699
; %bb.698:                              ;   in Loop: Header=BB1148_693 Depth=2
	global_load_dwordx2 v[64:65], v[70:71], off
.LBB1148_699:                           ;   in Loop: Header=BB1148_693 Depth=2
	s_or_b64 exec, exec, s[36:37]
	v_cmp_gt_u32_e32 vcc, s86, v144
	s_and_saveexec_b64 s[36:37], vcc
	s_cbranch_execz .LBB1148_701
; %bb.700:                              ;   in Loop: Header=BB1148_693 Depth=2
	global_load_dwordx2 v[66:67], v[70:71], off offset:512
.LBB1148_701:                           ;   in Loop: Header=BB1148_693 Depth=2
	s_or_b64 exec, exec, s[36:37]
	s_waitcnt vmcnt(11)
	v_pk_mov_b32 v[78:79], -1, -1
	v_cmp_gt_u32_e32 vcc, s86, v145
	v_pk_mov_b32 v[74:75], v[78:79], v[78:79] op_sel:[0,1]
	s_and_saveexec_b64 s[36:37], vcc
	s_cbranch_execz .LBB1148_703
; %bb.702:                              ;   in Loop: Header=BB1148_693 Depth=2
	global_load_dwordx2 v[74:75], v[70:71], off offset:1024
.LBB1148_703:                           ;   in Loop: Header=BB1148_693 Depth=2
	s_or_b64 exec, exec, s[36:37]
	v_cmp_gt_u32_e32 vcc, s86, v146
	s_and_saveexec_b64 s[36:37], vcc
	s_cbranch_execz .LBB1148_705
; %bb.704:                              ;   in Loop: Header=BB1148_693 Depth=2
	global_load_dwordx2 v[78:79], v[70:71], off offset:1536
.LBB1148_705:                           ;   in Loop: Header=BB1148_693 Depth=2
	s_or_b64 exec, exec, s[36:37]
	s_waitcnt vmcnt(9)
	v_pk_mov_b32 v[86:87], -1, -1
	v_cmp_gt_u32_e32 vcc, s86, v147
	v_pk_mov_b32 v[82:83], v[86:87], v[86:87] op_sel:[0,1]
	s_and_saveexec_b64 s[36:37], vcc
	s_cbranch_execz .LBB1148_707
; %bb.706:                              ;   in Loop: Header=BB1148_693 Depth=2
	global_load_dwordx2 v[82:83], v[70:71], off offset:2048
.LBB1148_707:                           ;   in Loop: Header=BB1148_693 Depth=2
	;; [unrolled: 17-line block ×3, first 2 shown]
	s_or_b64 exec, exec, s[36:37]
	v_cmp_gt_u32_e32 vcc, s86, v150
	s_and_saveexec_b64 s[36:37], vcc
	s_cbranch_execz .LBB1148_713
; %bb.712:                              ;   in Loop: Header=BB1148_693 Depth=2
	global_load_dwordx2 v[94:95], v[70:71], off offset:3584
.LBB1148_713:                           ;   in Loop: Header=BB1148_693 Depth=2
	s_or_b64 exec, exec, s[36:37]
	s_waitcnt vmcnt(5)
	v_pk_mov_b32 v[88:89], -1, -1
	v_cmp_gt_u32_e32 vcc, s86, v151
	v_pk_mov_b32 v[92:93], v[88:89], v[88:89] op_sel:[0,1]
	s_and_saveexec_b64 s[36:37], vcc
	s_cbranch_execz .LBB1148_715
; %bb.714:                              ;   in Loop: Header=BB1148_693 Depth=2
	s_waitcnt vmcnt(0)
	v_add_co_u32_e32 v68, vcc, 0x1000, v70
	v_addc_co_u32_e32 v69, vcc, 0, v71, vcc
	global_load_dwordx2 v[92:93], v[68:69], off
.LBB1148_715:                           ;   in Loop: Header=BB1148_693 Depth=2
	s_or_b64 exec, exec, s[36:37]
	v_cmp_gt_u32_e32 vcc, s86, v152
	s_and_saveexec_b64 s[36:37], vcc
	s_cbranch_execz .LBB1148_717
; %bb.716:                              ;   in Loop: Header=BB1148_693 Depth=2
	s_waitcnt vmcnt(0)
	v_add_co_u32_e32 v68, vcc, 0x1000, v70
	v_addc_co_u32_e32 v69, vcc, 0, v71, vcc
	global_load_dwordx2 v[88:89], v[68:69], off offset:512
.LBB1148_717:                           ;   in Loop: Header=BB1148_693 Depth=2
	s_or_b64 exec, exec, s[36:37]
	s_waitcnt vmcnt(3)
	v_pk_mov_b32 v[80:81], -1, -1
	v_cmp_gt_u32_e32 vcc, s86, v153
	v_pk_mov_b32 v[84:85], v[80:81], v[80:81] op_sel:[0,1]
	s_and_saveexec_b64 s[36:37], vcc
	s_cbranch_execz .LBB1148_719
; %bb.718:                              ;   in Loop: Header=BB1148_693 Depth=2
	s_waitcnt vmcnt(0)
	v_add_co_u32_e32 v68, vcc, 0x1000, v70
	v_addc_co_u32_e32 v69, vcc, 0, v71, vcc
	global_load_dwordx2 v[84:85], v[68:69], off offset:1024
.LBB1148_719:                           ;   in Loop: Header=BB1148_693 Depth=2
	s_or_b64 exec, exec, s[36:37]
	v_cmp_gt_u32_e32 vcc, s86, v154
	s_and_saveexec_b64 s[36:37], vcc
	s_cbranch_execz .LBB1148_721
; %bb.720:                              ;   in Loop: Header=BB1148_693 Depth=2
	s_waitcnt vmcnt(0)
	v_add_co_u32_e32 v68, vcc, 0x1000, v70
	v_addc_co_u32_e32 v69, vcc, 0, v71, vcc
	global_load_dwordx2 v[80:81], v[68:69], off offset:1536
.LBB1148_721:                           ;   in Loop: Header=BB1148_693 Depth=2
	s_or_b64 exec, exec, s[36:37]
	s_waitcnt vmcnt(1)
	v_pk_mov_b32 v[72:73], -1, -1
	v_cmp_gt_u32_e32 vcc, s86, v155
	v_pk_mov_b32 v[76:77], v[72:73], v[72:73] op_sel:[0,1]
	s_and_saveexec_b64 s[36:37], vcc
	s_cbranch_execz .LBB1148_723
; %bb.722:                              ;   in Loop: Header=BB1148_693 Depth=2
	s_waitcnt vmcnt(0)
	v_add_co_u32_e32 v68, vcc, 0x1000, v70
	v_addc_co_u32_e32 v69, vcc, 0, v71, vcc
	global_load_dwordx2 v[76:77], v[68:69], off offset:2048
.LBB1148_723:                           ;   in Loop: Header=BB1148_693 Depth=2
	s_or_b64 exec, exec, s[36:37]
	v_cmp_gt_u32_e32 vcc, s86, v156
	s_and_saveexec_b64 s[36:37], vcc
	s_cbranch_execz .LBB1148_725
; %bb.724:                              ;   in Loop: Header=BB1148_693 Depth=2
	s_waitcnt vmcnt(0)
	v_add_co_u32_e32 v68, vcc, 0x1000, v70
	v_addc_co_u32_e32 v69, vcc, 0, v71, vcc
	global_load_dwordx2 v[72:73], v[68:69], off offset:2560
.LBB1148_725:                           ;   in Loop: Header=BB1148_693 Depth=2
	s_or_b64 exec, exec, s[36:37]
	v_cmp_gt_u32_e32 vcc, s86, v157
	s_waitcnt vmcnt(0)
	v_pk_mov_b32 v[68:69], -1, -1
	s_and_saveexec_b64 s[36:37], vcc
	s_cbranch_execz .LBB1148_727
; %bb.726:                              ;   in Loop: Header=BB1148_693 Depth=2
	v_add_co_u32_e32 v68, vcc, 0x1000, v70
	v_addc_co_u32_e32 v69, vcc, 0, v71, vcc
	global_load_dwordx2 v[68:69], v[68:69], off offset:3072
.LBB1148_727:                           ;   in Loop: Header=BB1148_693 Depth=2
	s_or_b64 exec, exec, s[36:37]
	s_sub_i32 s40, s96, s78
	v_cmp_gt_u32_e64 s[36:37], s86, v158
	s_mov_b64 s[38:39], -1
	v_pk_mov_b32 v[70:71], s[38:39], s[38:39] op_sel:[0,1]
	v_mov_b32_e32 v183, s86
	s_and_saveexec_b64 s[38:39], s[36:37]
	s_cbranch_execz .LBB1148_729
.LBB1148_728:                           ;   in Loop: Header=BB1148_693 Depth=2
	s_lshl_b64 s[36:37], s[78:79], 3
	v_mov_b32_e32 v5, s37
	v_add_co_u32_e32 v70, vcc, s36, v170
	v_addc_co_u32_e32 v71, vcc, v173, v5, vcc
	global_load_dwordx2 v[70:71], v[70:71], off
	v_mov_b32_e32 v183, s40
.LBB1148_729:                           ;   in Loop: Header=BB1148_693 Depth=2
	s_or_b64 exec, exec, s[38:39]
	s_waitcnt vmcnt(14)
	v_cmp_gt_i64_e32 vcc, 0, v[64:65]
	v_ashrrev_i32_e32 v96, 31, v65
	v_cndmask_b32_e64 v5, v133, 0, vcc
	v_not_b32_e32 v96, v96
	v_xor_b32_e32 v65, v5, v65
	v_xor_b32_e32 v64, v96, v64
	v_cmp_ne_u64_e32 vcc, s[90:91], v[64:65]
	v_cndmask_b32_e32 v97, v133, v65, vcc
	v_cndmask_b32_e32 v96, -1, v64, vcc
	v_lshrrev_b64 v[96:97], s84, v[96:97]
	v_add_u32_e32 v5, 0x410, v27
	v_and_b32_e32 v96, s85, v96
	ds_write2_b32 v5, v4, v4 offset1:1
	ds_write2_b32 v31, v4, v4 offset0:2 offset1:3
	ds_write_b32 v31, v4 offset:16
	v_mad_u32_u24 v5, v96, 5, v177
	v_lshl_add_u32 v184, v5, 2, v29
	v_and_b32_e32 v5, 1, v96
	v_add_co_u32_e32 v97, vcc, -1, v5
	v_addc_co_u32_e64 v98, s[36:37], 0, -1, vcc
	v_cmp_ne_u32_e32 vcc, 0, v5
	v_xor_b32_e32 v5, vcc_hi, v98
	v_and_b32_e32 v98, exec_hi, v5
	v_lshlrev_b32_e32 v5, 30, v96
	v_xor_b32_e32 v97, vcc_lo, v97
	v_cmp_gt_i64_e32 vcc, 0, v[4:5]
	v_not_b32_e32 v5, v5
	v_ashrrev_i32_e32 v5, 31, v5
	v_and_b32_e32 v97, exec_lo, v97
	v_xor_b32_e32 v99, vcc_hi, v5
	v_xor_b32_e32 v5, vcc_lo, v5
	v_and_b32_e32 v97, v97, v5
	v_lshlrev_b32_e32 v5, 29, v96
	v_cmp_gt_i64_e32 vcc, 0, v[4:5]
	v_not_b32_e32 v5, v5
	v_ashrrev_i32_e32 v5, 31, v5
	v_and_b32_e32 v98, v98, v99
	v_xor_b32_e32 v99, vcc_hi, v5
	v_xor_b32_e32 v5, vcc_lo, v5
	v_and_b32_e32 v97, v97, v5
	v_lshlrev_b32_e32 v5, 28, v96
	v_cmp_gt_i64_e32 vcc, 0, v[4:5]
	v_not_b32_e32 v5, v5
	v_ashrrev_i32_e32 v5, 31, v5
	v_and_b32_e32 v98, v98, v99
	v_xor_b32_e32 v99, vcc_hi, v5
	v_xor_b32_e32 v5, vcc_lo, v5
	v_and_b32_e32 v97, v97, v5
	v_lshlrev_b32_e32 v5, 27, v96
	v_cmp_gt_i64_e32 vcc, 0, v[4:5]
	v_not_b32_e32 v5, v5
	v_ashrrev_i32_e32 v5, 31, v5
	v_and_b32_e32 v98, v98, v99
	v_xor_b32_e32 v99, vcc_hi, v5
	v_xor_b32_e32 v5, vcc_lo, v5
	v_and_b32_e32 v97, v97, v5
	v_lshlrev_b32_e32 v5, 26, v96
	v_cmp_gt_i64_e32 vcc, 0, v[4:5]
	v_not_b32_e32 v5, v5
	v_ashrrev_i32_e32 v5, 31, v5
	v_and_b32_e32 v98, v98, v99
	v_xor_b32_e32 v99, vcc_hi, v5
	v_xor_b32_e32 v5, vcc_lo, v5
	v_and_b32_e32 v97, v97, v5
	v_lshlrev_b32_e32 v5, 25, v96
	v_cmp_gt_i64_e32 vcc, 0, v[4:5]
	v_not_b32_e32 v5, v5
	v_ashrrev_i32_e32 v5, 31, v5
	v_and_b32_e32 v98, v98, v99
	v_xor_b32_e32 v99, vcc_hi, v5
	v_xor_b32_e32 v5, vcc_lo, v5
	v_and_b32_e32 v98, v98, v99
	v_and_b32_e32 v99, v97, v5
	v_lshlrev_b32_e32 v5, 24, v96
	v_cmp_gt_i64_e32 vcc, 0, v[4:5]
	v_not_b32_e32 v5, v5
	v_ashrrev_i32_e32 v5, 31, v5
	v_xor_b32_e32 v96, vcc_hi, v5
	v_xor_b32_e32 v5, vcc_lo, v5
	v_and_b32_e32 v97, v98, v96
	v_and_b32_e32 v96, v99, v5
	v_mbcnt_lo_u32_b32 v5, v96, 0
	v_mbcnt_hi_u32_b32 v185, v97, v5
	v_cmp_eq_u32_e32 vcc, 0, v185
	v_cmp_ne_u64_e64 s[36:37], 0, v[96:97]
	s_and_b64 s[38:39], s[36:37], vcc
	s_waitcnt lgkmcnt(0)
	s_barrier
	s_waitcnt lgkmcnt(0)
	; wave barrier
	s_and_saveexec_b64 s[36:37], s[38:39]
	s_cbranch_execz .LBB1148_731
; %bb.730:                              ;   in Loop: Header=BB1148_693 Depth=2
	v_bcnt_u32_b32 v5, v96, 0
	v_bcnt_u32_b32 v5, v97, v5
	ds_write_b32 v184, v5
.LBB1148_731:                           ;   in Loop: Header=BB1148_693 Depth=2
	s_or_b64 exec, exec, s[36:37]
	s_waitcnt vmcnt(13)
	v_cmp_gt_i64_e32 vcc, 0, v[66:67]
	v_ashrrev_i32_e32 v96, 31, v67
	v_cndmask_b32_e64 v5, v133, 0, vcc
	v_not_b32_e32 v96, v96
	v_xor_b32_e32 v67, v5, v67
	v_xor_b32_e32 v66, v96, v66
	v_cmp_ne_u64_e32 vcc, s[90:91], v[66:67]
	v_cndmask_b32_e32 v97, v133, v67, vcc
	v_cndmask_b32_e32 v96, -1, v66, vcc
	v_lshrrev_b64 v[96:97], s84, v[96:97]
	v_and_b32_e32 v96, s85, v96
	v_mul_u32_u24_e32 v5, 5, v96
	v_add_lshl_u32 v5, v5, v177, 2
	; wave barrier
	v_add_u32_e32 v187, 0x410, v5
	ds_read_b32 v186, v5 offset:1040
	v_and_b32_e32 v5, 1, v96
	v_add_co_u32_e32 v97, vcc, -1, v5
	v_addc_co_u32_e64 v98, s[36:37], 0, -1, vcc
	v_cmp_ne_u32_e32 vcc, 0, v5
	v_xor_b32_e32 v5, vcc_hi, v98
	v_and_b32_e32 v98, exec_hi, v5
	v_lshlrev_b32_e32 v5, 30, v96
	v_xor_b32_e32 v97, vcc_lo, v97
	v_cmp_gt_i64_e32 vcc, 0, v[4:5]
	v_not_b32_e32 v5, v5
	v_ashrrev_i32_e32 v5, 31, v5
	v_and_b32_e32 v97, exec_lo, v97
	v_xor_b32_e32 v99, vcc_hi, v5
	v_xor_b32_e32 v5, vcc_lo, v5
	v_and_b32_e32 v97, v97, v5
	v_lshlrev_b32_e32 v5, 29, v96
	v_cmp_gt_i64_e32 vcc, 0, v[4:5]
	v_not_b32_e32 v5, v5
	v_ashrrev_i32_e32 v5, 31, v5
	v_and_b32_e32 v98, v98, v99
	v_xor_b32_e32 v99, vcc_hi, v5
	v_xor_b32_e32 v5, vcc_lo, v5
	v_and_b32_e32 v97, v97, v5
	v_lshlrev_b32_e32 v5, 28, v96
	v_cmp_gt_i64_e32 vcc, 0, v[4:5]
	v_not_b32_e32 v5, v5
	v_ashrrev_i32_e32 v5, 31, v5
	v_and_b32_e32 v98, v98, v99
	;; [unrolled: 8-line block ×5, first 2 shown]
	v_xor_b32_e32 v99, vcc_hi, v5
	v_xor_b32_e32 v5, vcc_lo, v5
	v_and_b32_e32 v98, v98, v99
	v_and_b32_e32 v99, v97, v5
	v_lshlrev_b32_e32 v5, 24, v96
	v_cmp_gt_i64_e32 vcc, 0, v[4:5]
	v_not_b32_e32 v5, v5
	v_ashrrev_i32_e32 v5, 31, v5
	v_xor_b32_e32 v96, vcc_hi, v5
	v_xor_b32_e32 v5, vcc_lo, v5
	v_and_b32_e32 v97, v98, v96
	v_and_b32_e32 v96, v99, v5
	v_mbcnt_lo_u32_b32 v5, v96, 0
	v_mbcnt_hi_u32_b32 v188, v97, v5
	v_cmp_eq_u32_e32 vcc, 0, v188
	v_cmp_ne_u64_e64 s[36:37], 0, v[96:97]
	s_and_b64 s[38:39], s[36:37], vcc
	; wave barrier
	s_and_saveexec_b64 s[36:37], s[38:39]
	s_cbranch_execz .LBB1148_733
; %bb.732:                              ;   in Loop: Header=BB1148_693 Depth=2
	v_bcnt_u32_b32 v5, v96, 0
	v_bcnt_u32_b32 v5, v97, v5
	s_waitcnt lgkmcnt(0)
	v_add_u32_e32 v5, v186, v5
	ds_write_b32 v187, v5
.LBB1148_733:                           ;   in Loop: Header=BB1148_693 Depth=2
	s_or_b64 exec, exec, s[36:37]
	s_waitcnt vmcnt(12)
	v_cmp_gt_i64_e32 vcc, 0, v[74:75]
	v_ashrrev_i32_e32 v96, 31, v75
	v_cndmask_b32_e64 v5, v133, 0, vcc
	v_not_b32_e32 v96, v96
	v_xor_b32_e32 v75, v5, v75
	v_xor_b32_e32 v74, v96, v74
	v_cmp_ne_u64_e32 vcc, s[90:91], v[74:75]
	v_cndmask_b32_e32 v97, v133, v75, vcc
	v_cndmask_b32_e32 v96, -1, v74, vcc
	v_lshrrev_b64 v[96:97], s84, v[96:97]
	v_and_b32_e32 v96, s85, v96
	v_mul_u32_u24_e32 v5, 5, v96
	v_add_lshl_u32 v5, v5, v177, 2
	; wave barrier
	v_add_u32_e32 v190, 0x410, v5
	ds_read_b32 v189, v5 offset:1040
	v_and_b32_e32 v5, 1, v96
	v_add_co_u32_e32 v97, vcc, -1, v5
	v_addc_co_u32_e64 v98, s[36:37], 0, -1, vcc
	v_cmp_ne_u32_e32 vcc, 0, v5
	v_xor_b32_e32 v5, vcc_hi, v98
	v_and_b32_e32 v98, exec_hi, v5
	v_lshlrev_b32_e32 v5, 30, v96
	v_xor_b32_e32 v97, vcc_lo, v97
	v_cmp_gt_i64_e32 vcc, 0, v[4:5]
	v_not_b32_e32 v5, v5
	v_ashrrev_i32_e32 v5, 31, v5
	v_and_b32_e32 v97, exec_lo, v97
	v_xor_b32_e32 v99, vcc_hi, v5
	v_xor_b32_e32 v5, vcc_lo, v5
	v_and_b32_e32 v97, v97, v5
	v_lshlrev_b32_e32 v5, 29, v96
	v_cmp_gt_i64_e32 vcc, 0, v[4:5]
	v_not_b32_e32 v5, v5
	v_ashrrev_i32_e32 v5, 31, v5
	v_and_b32_e32 v98, v98, v99
	v_xor_b32_e32 v99, vcc_hi, v5
	v_xor_b32_e32 v5, vcc_lo, v5
	v_and_b32_e32 v97, v97, v5
	v_lshlrev_b32_e32 v5, 28, v96
	v_cmp_gt_i64_e32 vcc, 0, v[4:5]
	v_not_b32_e32 v5, v5
	v_ashrrev_i32_e32 v5, 31, v5
	v_and_b32_e32 v98, v98, v99
	;; [unrolled: 8-line block ×5, first 2 shown]
	v_xor_b32_e32 v99, vcc_hi, v5
	v_xor_b32_e32 v5, vcc_lo, v5
	v_and_b32_e32 v98, v98, v99
	v_and_b32_e32 v99, v97, v5
	v_lshlrev_b32_e32 v5, 24, v96
	v_cmp_gt_i64_e32 vcc, 0, v[4:5]
	v_not_b32_e32 v5, v5
	v_ashrrev_i32_e32 v5, 31, v5
	v_xor_b32_e32 v96, vcc_hi, v5
	v_xor_b32_e32 v5, vcc_lo, v5
	v_and_b32_e32 v97, v98, v96
	v_and_b32_e32 v96, v99, v5
	v_mbcnt_lo_u32_b32 v5, v96, 0
	v_mbcnt_hi_u32_b32 v191, v97, v5
	v_cmp_eq_u32_e32 vcc, 0, v191
	v_cmp_ne_u64_e64 s[36:37], 0, v[96:97]
	s_and_b64 s[38:39], s[36:37], vcc
	; wave barrier
	s_and_saveexec_b64 s[36:37], s[38:39]
	s_cbranch_execz .LBB1148_735
; %bb.734:                              ;   in Loop: Header=BB1148_693 Depth=2
	v_bcnt_u32_b32 v5, v96, 0
	v_bcnt_u32_b32 v5, v97, v5
	s_waitcnt lgkmcnt(0)
	v_add_u32_e32 v5, v189, v5
	ds_write_b32 v190, v5
.LBB1148_735:                           ;   in Loop: Header=BB1148_693 Depth=2
	s_or_b64 exec, exec, s[36:37]
	s_waitcnt vmcnt(11)
	v_cmp_gt_i64_e32 vcc, 0, v[78:79]
	v_ashrrev_i32_e32 v96, 31, v79
	v_cndmask_b32_e64 v5, v133, 0, vcc
	v_not_b32_e32 v96, v96
	v_xor_b32_e32 v79, v5, v79
	v_xor_b32_e32 v78, v96, v78
	v_cmp_ne_u64_e32 vcc, s[90:91], v[78:79]
	v_cndmask_b32_e32 v97, v133, v79, vcc
	v_cndmask_b32_e32 v96, -1, v78, vcc
	v_lshrrev_b64 v[96:97], s84, v[96:97]
	v_and_b32_e32 v96, s85, v96
	v_mul_u32_u24_e32 v5, 5, v96
	v_add_lshl_u32 v5, v5, v177, 2
	; wave barrier
	v_add_u32_e32 v193, 0x410, v5
	ds_read_b32 v192, v5 offset:1040
	v_and_b32_e32 v5, 1, v96
	v_add_co_u32_e32 v97, vcc, -1, v5
	v_addc_co_u32_e64 v98, s[36:37], 0, -1, vcc
	v_cmp_ne_u32_e32 vcc, 0, v5
	v_xor_b32_e32 v5, vcc_hi, v98
	v_and_b32_e32 v98, exec_hi, v5
	v_lshlrev_b32_e32 v5, 30, v96
	v_xor_b32_e32 v97, vcc_lo, v97
	v_cmp_gt_i64_e32 vcc, 0, v[4:5]
	v_not_b32_e32 v5, v5
	v_ashrrev_i32_e32 v5, 31, v5
	v_and_b32_e32 v97, exec_lo, v97
	v_xor_b32_e32 v99, vcc_hi, v5
	v_xor_b32_e32 v5, vcc_lo, v5
	v_and_b32_e32 v97, v97, v5
	v_lshlrev_b32_e32 v5, 29, v96
	v_cmp_gt_i64_e32 vcc, 0, v[4:5]
	v_not_b32_e32 v5, v5
	v_ashrrev_i32_e32 v5, 31, v5
	v_and_b32_e32 v98, v98, v99
	v_xor_b32_e32 v99, vcc_hi, v5
	v_xor_b32_e32 v5, vcc_lo, v5
	v_and_b32_e32 v97, v97, v5
	v_lshlrev_b32_e32 v5, 28, v96
	v_cmp_gt_i64_e32 vcc, 0, v[4:5]
	v_not_b32_e32 v5, v5
	v_ashrrev_i32_e32 v5, 31, v5
	v_and_b32_e32 v98, v98, v99
	v_xor_b32_e32 v99, vcc_hi, v5
	v_xor_b32_e32 v5, vcc_lo, v5
	v_and_b32_e32 v97, v97, v5
	v_lshlrev_b32_e32 v5, 27, v96
	v_cmp_gt_i64_e32 vcc, 0, v[4:5]
	v_not_b32_e32 v5, v5
	v_ashrrev_i32_e32 v5, 31, v5
	v_and_b32_e32 v98, v98, v99
	v_xor_b32_e32 v99, vcc_hi, v5
	v_xor_b32_e32 v5, vcc_lo, v5
	v_and_b32_e32 v97, v97, v5
	v_lshlrev_b32_e32 v5, 26, v96
	v_cmp_gt_i64_e32 vcc, 0, v[4:5]
	v_not_b32_e32 v5, v5
	v_ashrrev_i32_e32 v5, 31, v5
	v_and_b32_e32 v98, v98, v99
	v_xor_b32_e32 v99, vcc_hi, v5
	v_xor_b32_e32 v5, vcc_lo, v5
	v_and_b32_e32 v97, v97, v5
	v_lshlrev_b32_e32 v5, 25, v96
	v_cmp_gt_i64_e32 vcc, 0, v[4:5]
	v_not_b32_e32 v5, v5
	v_ashrrev_i32_e32 v5, 31, v5
	v_and_b32_e32 v98, v98, v99
	v_xor_b32_e32 v99, vcc_hi, v5
	v_xor_b32_e32 v5, vcc_lo, v5
	v_and_b32_e32 v98, v98, v99
	v_and_b32_e32 v99, v97, v5
	v_lshlrev_b32_e32 v5, 24, v96
	v_cmp_gt_i64_e32 vcc, 0, v[4:5]
	v_not_b32_e32 v5, v5
	v_ashrrev_i32_e32 v5, 31, v5
	v_xor_b32_e32 v96, vcc_hi, v5
	v_xor_b32_e32 v5, vcc_lo, v5
	v_and_b32_e32 v97, v98, v96
	v_and_b32_e32 v96, v99, v5
	v_mbcnt_lo_u32_b32 v5, v96, 0
	v_mbcnt_hi_u32_b32 v194, v97, v5
	v_cmp_eq_u32_e32 vcc, 0, v194
	v_cmp_ne_u64_e64 s[36:37], 0, v[96:97]
	s_and_b64 s[38:39], s[36:37], vcc
	; wave barrier
	s_and_saveexec_b64 s[36:37], s[38:39]
	s_cbranch_execz .LBB1148_737
; %bb.736:                              ;   in Loop: Header=BB1148_693 Depth=2
	v_bcnt_u32_b32 v5, v96, 0
	v_bcnt_u32_b32 v5, v97, v5
	s_waitcnt lgkmcnt(0)
	v_add_u32_e32 v5, v192, v5
	ds_write_b32 v193, v5
.LBB1148_737:                           ;   in Loop: Header=BB1148_693 Depth=2
	s_or_b64 exec, exec, s[36:37]
	s_waitcnt vmcnt(10)
	v_cmp_gt_i64_e32 vcc, 0, v[82:83]
	v_ashrrev_i32_e32 v96, 31, v83
	v_cndmask_b32_e64 v5, v133, 0, vcc
	v_not_b32_e32 v96, v96
	v_xor_b32_e32 v83, v5, v83
	v_xor_b32_e32 v82, v96, v82
	v_cmp_ne_u64_e32 vcc, s[90:91], v[82:83]
	v_cndmask_b32_e32 v97, v133, v83, vcc
	v_cndmask_b32_e32 v96, -1, v82, vcc
	v_lshrrev_b64 v[96:97], s84, v[96:97]
	v_and_b32_e32 v96, s85, v96
	v_mul_u32_u24_e32 v5, 5, v96
	v_add_lshl_u32 v5, v5, v177, 2
	; wave barrier
	v_add_u32_e32 v196, 0x410, v5
	ds_read_b32 v195, v5 offset:1040
	v_and_b32_e32 v5, 1, v96
	v_add_co_u32_e32 v97, vcc, -1, v5
	v_addc_co_u32_e64 v98, s[36:37], 0, -1, vcc
	v_cmp_ne_u32_e32 vcc, 0, v5
	v_xor_b32_e32 v5, vcc_hi, v98
	v_and_b32_e32 v98, exec_hi, v5
	v_lshlrev_b32_e32 v5, 30, v96
	v_xor_b32_e32 v97, vcc_lo, v97
	v_cmp_gt_i64_e32 vcc, 0, v[4:5]
	v_not_b32_e32 v5, v5
	v_ashrrev_i32_e32 v5, 31, v5
	v_and_b32_e32 v97, exec_lo, v97
	v_xor_b32_e32 v99, vcc_hi, v5
	v_xor_b32_e32 v5, vcc_lo, v5
	v_and_b32_e32 v97, v97, v5
	v_lshlrev_b32_e32 v5, 29, v96
	v_cmp_gt_i64_e32 vcc, 0, v[4:5]
	v_not_b32_e32 v5, v5
	v_ashrrev_i32_e32 v5, 31, v5
	v_and_b32_e32 v98, v98, v99
	v_xor_b32_e32 v99, vcc_hi, v5
	v_xor_b32_e32 v5, vcc_lo, v5
	v_and_b32_e32 v97, v97, v5
	v_lshlrev_b32_e32 v5, 28, v96
	v_cmp_gt_i64_e32 vcc, 0, v[4:5]
	v_not_b32_e32 v5, v5
	v_ashrrev_i32_e32 v5, 31, v5
	v_and_b32_e32 v98, v98, v99
	;; [unrolled: 8-line block ×5, first 2 shown]
	v_xor_b32_e32 v99, vcc_hi, v5
	v_xor_b32_e32 v5, vcc_lo, v5
	v_and_b32_e32 v98, v98, v99
	v_and_b32_e32 v99, v97, v5
	v_lshlrev_b32_e32 v5, 24, v96
	v_cmp_gt_i64_e32 vcc, 0, v[4:5]
	v_not_b32_e32 v5, v5
	v_ashrrev_i32_e32 v5, 31, v5
	v_xor_b32_e32 v96, vcc_hi, v5
	v_xor_b32_e32 v5, vcc_lo, v5
	v_and_b32_e32 v97, v98, v96
	v_and_b32_e32 v96, v99, v5
	v_mbcnt_lo_u32_b32 v5, v96, 0
	v_mbcnt_hi_u32_b32 v197, v97, v5
	v_cmp_eq_u32_e32 vcc, 0, v197
	v_cmp_ne_u64_e64 s[36:37], 0, v[96:97]
	s_and_b64 s[38:39], s[36:37], vcc
	; wave barrier
	s_and_saveexec_b64 s[36:37], s[38:39]
	s_cbranch_execz .LBB1148_739
; %bb.738:                              ;   in Loop: Header=BB1148_693 Depth=2
	v_bcnt_u32_b32 v5, v96, 0
	v_bcnt_u32_b32 v5, v97, v5
	s_waitcnt lgkmcnt(0)
	v_add_u32_e32 v5, v195, v5
	ds_write_b32 v196, v5
.LBB1148_739:                           ;   in Loop: Header=BB1148_693 Depth=2
	s_or_b64 exec, exec, s[36:37]
	s_waitcnt vmcnt(9)
	v_cmp_gt_i64_e32 vcc, 0, v[86:87]
	v_ashrrev_i32_e32 v96, 31, v87
	v_cndmask_b32_e64 v5, v133, 0, vcc
	v_not_b32_e32 v96, v96
	v_xor_b32_e32 v87, v5, v87
	v_xor_b32_e32 v86, v96, v86
	v_cmp_ne_u64_e32 vcc, s[90:91], v[86:87]
	v_cndmask_b32_e32 v97, v133, v87, vcc
	v_cndmask_b32_e32 v96, -1, v86, vcc
	v_lshrrev_b64 v[96:97], s84, v[96:97]
	v_and_b32_e32 v96, s85, v96
	v_mul_u32_u24_e32 v5, 5, v96
	v_add_lshl_u32 v5, v5, v177, 2
	; wave barrier
	v_add_u32_e32 v199, 0x410, v5
	ds_read_b32 v198, v5 offset:1040
	v_and_b32_e32 v5, 1, v96
	v_add_co_u32_e32 v97, vcc, -1, v5
	v_addc_co_u32_e64 v98, s[36:37], 0, -1, vcc
	v_cmp_ne_u32_e32 vcc, 0, v5
	v_xor_b32_e32 v5, vcc_hi, v98
	v_and_b32_e32 v98, exec_hi, v5
	v_lshlrev_b32_e32 v5, 30, v96
	v_xor_b32_e32 v97, vcc_lo, v97
	v_cmp_gt_i64_e32 vcc, 0, v[4:5]
	v_not_b32_e32 v5, v5
	v_ashrrev_i32_e32 v5, 31, v5
	v_and_b32_e32 v97, exec_lo, v97
	v_xor_b32_e32 v99, vcc_hi, v5
	v_xor_b32_e32 v5, vcc_lo, v5
	v_and_b32_e32 v97, v97, v5
	v_lshlrev_b32_e32 v5, 29, v96
	v_cmp_gt_i64_e32 vcc, 0, v[4:5]
	v_not_b32_e32 v5, v5
	v_ashrrev_i32_e32 v5, 31, v5
	v_and_b32_e32 v98, v98, v99
	v_xor_b32_e32 v99, vcc_hi, v5
	v_xor_b32_e32 v5, vcc_lo, v5
	v_and_b32_e32 v97, v97, v5
	v_lshlrev_b32_e32 v5, 28, v96
	v_cmp_gt_i64_e32 vcc, 0, v[4:5]
	v_not_b32_e32 v5, v5
	v_ashrrev_i32_e32 v5, 31, v5
	v_and_b32_e32 v98, v98, v99
	;; [unrolled: 8-line block ×5, first 2 shown]
	v_xor_b32_e32 v99, vcc_hi, v5
	v_xor_b32_e32 v5, vcc_lo, v5
	v_and_b32_e32 v98, v98, v99
	v_and_b32_e32 v99, v97, v5
	v_lshlrev_b32_e32 v5, 24, v96
	v_cmp_gt_i64_e32 vcc, 0, v[4:5]
	v_not_b32_e32 v5, v5
	v_ashrrev_i32_e32 v5, 31, v5
	v_xor_b32_e32 v96, vcc_hi, v5
	v_xor_b32_e32 v5, vcc_lo, v5
	v_and_b32_e32 v97, v98, v96
	v_and_b32_e32 v96, v99, v5
	v_mbcnt_lo_u32_b32 v5, v96, 0
	v_mbcnt_hi_u32_b32 v200, v97, v5
	v_cmp_eq_u32_e32 vcc, 0, v200
	v_cmp_ne_u64_e64 s[36:37], 0, v[96:97]
	s_and_b64 s[38:39], s[36:37], vcc
	; wave barrier
	s_and_saveexec_b64 s[36:37], s[38:39]
	s_cbranch_execz .LBB1148_741
; %bb.740:                              ;   in Loop: Header=BB1148_693 Depth=2
	v_bcnt_u32_b32 v5, v96, 0
	v_bcnt_u32_b32 v5, v97, v5
	s_waitcnt lgkmcnt(0)
	v_add_u32_e32 v5, v198, v5
	ds_write_b32 v199, v5
.LBB1148_741:                           ;   in Loop: Header=BB1148_693 Depth=2
	s_or_b64 exec, exec, s[36:37]
	s_waitcnt vmcnt(8)
	v_cmp_gt_i64_e32 vcc, 0, v[90:91]
	v_ashrrev_i32_e32 v96, 31, v91
	v_cndmask_b32_e64 v5, v133, 0, vcc
	v_not_b32_e32 v96, v96
	v_xor_b32_e32 v91, v5, v91
	v_xor_b32_e32 v90, v96, v90
	v_cmp_ne_u64_e32 vcc, s[90:91], v[90:91]
	v_cndmask_b32_e32 v97, v133, v91, vcc
	v_cndmask_b32_e32 v96, -1, v90, vcc
	v_lshrrev_b64 v[96:97], s84, v[96:97]
	v_and_b32_e32 v96, s85, v96
	v_mul_u32_u24_e32 v5, 5, v96
	v_add_lshl_u32 v5, v5, v177, 2
	; wave barrier
	v_add_u32_e32 v202, 0x410, v5
	ds_read_b32 v201, v5 offset:1040
	v_and_b32_e32 v5, 1, v96
	v_add_co_u32_e32 v97, vcc, -1, v5
	v_addc_co_u32_e64 v98, s[36:37], 0, -1, vcc
	v_cmp_ne_u32_e32 vcc, 0, v5
	v_xor_b32_e32 v5, vcc_hi, v98
	v_and_b32_e32 v98, exec_hi, v5
	v_lshlrev_b32_e32 v5, 30, v96
	v_xor_b32_e32 v97, vcc_lo, v97
	v_cmp_gt_i64_e32 vcc, 0, v[4:5]
	v_not_b32_e32 v5, v5
	v_ashrrev_i32_e32 v5, 31, v5
	v_and_b32_e32 v97, exec_lo, v97
	v_xor_b32_e32 v99, vcc_hi, v5
	v_xor_b32_e32 v5, vcc_lo, v5
	v_and_b32_e32 v97, v97, v5
	v_lshlrev_b32_e32 v5, 29, v96
	v_cmp_gt_i64_e32 vcc, 0, v[4:5]
	v_not_b32_e32 v5, v5
	v_ashrrev_i32_e32 v5, 31, v5
	v_and_b32_e32 v98, v98, v99
	v_xor_b32_e32 v99, vcc_hi, v5
	v_xor_b32_e32 v5, vcc_lo, v5
	v_and_b32_e32 v97, v97, v5
	v_lshlrev_b32_e32 v5, 28, v96
	v_cmp_gt_i64_e32 vcc, 0, v[4:5]
	v_not_b32_e32 v5, v5
	v_ashrrev_i32_e32 v5, 31, v5
	v_and_b32_e32 v98, v98, v99
	;; [unrolled: 8-line block ×5, first 2 shown]
	v_xor_b32_e32 v99, vcc_hi, v5
	v_xor_b32_e32 v5, vcc_lo, v5
	v_and_b32_e32 v98, v98, v99
	v_and_b32_e32 v99, v97, v5
	v_lshlrev_b32_e32 v5, 24, v96
	v_cmp_gt_i64_e32 vcc, 0, v[4:5]
	v_not_b32_e32 v5, v5
	v_ashrrev_i32_e32 v5, 31, v5
	v_xor_b32_e32 v96, vcc_hi, v5
	v_xor_b32_e32 v5, vcc_lo, v5
	v_and_b32_e32 v97, v98, v96
	v_and_b32_e32 v96, v99, v5
	v_mbcnt_lo_u32_b32 v5, v96, 0
	v_mbcnt_hi_u32_b32 v203, v97, v5
	v_cmp_eq_u32_e32 vcc, 0, v203
	v_cmp_ne_u64_e64 s[36:37], 0, v[96:97]
	s_and_b64 s[38:39], s[36:37], vcc
	; wave barrier
	s_and_saveexec_b64 s[36:37], s[38:39]
	s_cbranch_execz .LBB1148_743
; %bb.742:                              ;   in Loop: Header=BB1148_693 Depth=2
	v_bcnt_u32_b32 v5, v96, 0
	v_bcnt_u32_b32 v5, v97, v5
	s_waitcnt lgkmcnt(0)
	v_add_u32_e32 v5, v201, v5
	ds_write_b32 v202, v5
.LBB1148_743:                           ;   in Loop: Header=BB1148_693 Depth=2
	s_or_b64 exec, exec, s[36:37]
	s_waitcnt vmcnt(7)
	v_cmp_gt_i64_e32 vcc, 0, v[94:95]
	v_ashrrev_i32_e32 v96, 31, v95
	v_cndmask_b32_e64 v5, v133, 0, vcc
	v_not_b32_e32 v96, v96
	v_xor_b32_e32 v95, v5, v95
	v_xor_b32_e32 v94, v96, v94
	v_cmp_ne_u64_e32 vcc, s[90:91], v[94:95]
	v_cndmask_b32_e32 v97, v133, v95, vcc
	v_cndmask_b32_e32 v96, -1, v94, vcc
	v_lshrrev_b64 v[96:97], s84, v[96:97]
	v_and_b32_e32 v96, s85, v96
	v_mul_u32_u24_e32 v5, 5, v96
	v_add_lshl_u32 v5, v5, v177, 2
	; wave barrier
	v_add_u32_e32 v205, 0x410, v5
	ds_read_b32 v204, v5 offset:1040
	v_and_b32_e32 v5, 1, v96
	v_add_co_u32_e32 v97, vcc, -1, v5
	v_addc_co_u32_e64 v98, s[36:37], 0, -1, vcc
	v_cmp_ne_u32_e32 vcc, 0, v5
	v_xor_b32_e32 v5, vcc_hi, v98
	v_and_b32_e32 v98, exec_hi, v5
	v_lshlrev_b32_e32 v5, 30, v96
	v_xor_b32_e32 v97, vcc_lo, v97
	v_cmp_gt_i64_e32 vcc, 0, v[4:5]
	v_not_b32_e32 v5, v5
	v_ashrrev_i32_e32 v5, 31, v5
	v_and_b32_e32 v97, exec_lo, v97
	v_xor_b32_e32 v99, vcc_hi, v5
	v_xor_b32_e32 v5, vcc_lo, v5
	v_and_b32_e32 v97, v97, v5
	v_lshlrev_b32_e32 v5, 29, v96
	v_cmp_gt_i64_e32 vcc, 0, v[4:5]
	v_not_b32_e32 v5, v5
	v_ashrrev_i32_e32 v5, 31, v5
	v_and_b32_e32 v98, v98, v99
	v_xor_b32_e32 v99, vcc_hi, v5
	v_xor_b32_e32 v5, vcc_lo, v5
	v_and_b32_e32 v97, v97, v5
	v_lshlrev_b32_e32 v5, 28, v96
	v_cmp_gt_i64_e32 vcc, 0, v[4:5]
	v_not_b32_e32 v5, v5
	v_ashrrev_i32_e32 v5, 31, v5
	v_and_b32_e32 v98, v98, v99
	v_xor_b32_e32 v99, vcc_hi, v5
	v_xor_b32_e32 v5, vcc_lo, v5
	v_and_b32_e32 v97, v97, v5
	v_lshlrev_b32_e32 v5, 27, v96
	v_cmp_gt_i64_e32 vcc, 0, v[4:5]
	v_not_b32_e32 v5, v5
	v_ashrrev_i32_e32 v5, 31, v5
	v_and_b32_e32 v98, v98, v99
	v_xor_b32_e32 v99, vcc_hi, v5
	v_xor_b32_e32 v5, vcc_lo, v5
	v_and_b32_e32 v97, v97, v5
	v_lshlrev_b32_e32 v5, 26, v96
	v_cmp_gt_i64_e32 vcc, 0, v[4:5]
	v_not_b32_e32 v5, v5
	v_ashrrev_i32_e32 v5, 31, v5
	v_and_b32_e32 v98, v98, v99
	v_xor_b32_e32 v99, vcc_hi, v5
	v_xor_b32_e32 v5, vcc_lo, v5
	v_and_b32_e32 v97, v97, v5
	v_lshlrev_b32_e32 v5, 25, v96
	v_cmp_gt_i64_e32 vcc, 0, v[4:5]
	v_not_b32_e32 v5, v5
	v_ashrrev_i32_e32 v5, 31, v5
	v_and_b32_e32 v98, v98, v99
	v_xor_b32_e32 v99, vcc_hi, v5
	v_xor_b32_e32 v5, vcc_lo, v5
	v_and_b32_e32 v98, v98, v99
	v_and_b32_e32 v99, v97, v5
	v_lshlrev_b32_e32 v5, 24, v96
	v_cmp_gt_i64_e32 vcc, 0, v[4:5]
	v_not_b32_e32 v5, v5
	v_ashrrev_i32_e32 v5, 31, v5
	v_xor_b32_e32 v96, vcc_hi, v5
	v_xor_b32_e32 v5, vcc_lo, v5
	v_and_b32_e32 v97, v98, v96
	v_and_b32_e32 v96, v99, v5
	v_mbcnt_lo_u32_b32 v5, v96, 0
	v_mbcnt_hi_u32_b32 v206, v97, v5
	v_cmp_eq_u32_e32 vcc, 0, v206
	v_cmp_ne_u64_e64 s[36:37], 0, v[96:97]
	s_and_b64 s[38:39], s[36:37], vcc
	; wave barrier
	s_and_saveexec_b64 s[36:37], s[38:39]
	s_cbranch_execz .LBB1148_745
; %bb.744:                              ;   in Loop: Header=BB1148_693 Depth=2
	v_bcnt_u32_b32 v5, v96, 0
	v_bcnt_u32_b32 v5, v97, v5
	s_waitcnt lgkmcnt(0)
	v_add_u32_e32 v5, v204, v5
	ds_write_b32 v205, v5
.LBB1148_745:                           ;   in Loop: Header=BB1148_693 Depth=2
	s_or_b64 exec, exec, s[36:37]
	s_waitcnt vmcnt(6)
	v_cmp_gt_i64_e32 vcc, 0, v[92:93]
	v_ashrrev_i32_e32 v96, 31, v93
	v_cndmask_b32_e64 v5, v133, 0, vcc
	v_not_b32_e32 v96, v96
	v_xor_b32_e32 v93, v5, v93
	v_xor_b32_e32 v92, v96, v92
	v_cmp_ne_u64_e32 vcc, s[90:91], v[92:93]
	v_cndmask_b32_e32 v97, v133, v93, vcc
	v_cndmask_b32_e32 v96, -1, v92, vcc
	v_lshrrev_b64 v[96:97], s84, v[96:97]
	v_and_b32_e32 v96, s85, v96
	v_mul_u32_u24_e32 v5, 5, v96
	v_add_lshl_u32 v5, v5, v177, 2
	; wave barrier
	v_add_u32_e32 v208, 0x410, v5
	ds_read_b32 v207, v5 offset:1040
	v_and_b32_e32 v5, 1, v96
	v_add_co_u32_e32 v97, vcc, -1, v5
	v_addc_co_u32_e64 v98, s[36:37], 0, -1, vcc
	v_cmp_ne_u32_e32 vcc, 0, v5
	v_xor_b32_e32 v5, vcc_hi, v98
	v_and_b32_e32 v98, exec_hi, v5
	v_lshlrev_b32_e32 v5, 30, v96
	v_xor_b32_e32 v97, vcc_lo, v97
	v_cmp_gt_i64_e32 vcc, 0, v[4:5]
	v_not_b32_e32 v5, v5
	v_ashrrev_i32_e32 v5, 31, v5
	v_and_b32_e32 v97, exec_lo, v97
	v_xor_b32_e32 v99, vcc_hi, v5
	v_xor_b32_e32 v5, vcc_lo, v5
	v_and_b32_e32 v97, v97, v5
	v_lshlrev_b32_e32 v5, 29, v96
	v_cmp_gt_i64_e32 vcc, 0, v[4:5]
	v_not_b32_e32 v5, v5
	v_ashrrev_i32_e32 v5, 31, v5
	v_and_b32_e32 v98, v98, v99
	v_xor_b32_e32 v99, vcc_hi, v5
	v_xor_b32_e32 v5, vcc_lo, v5
	v_and_b32_e32 v97, v97, v5
	v_lshlrev_b32_e32 v5, 28, v96
	v_cmp_gt_i64_e32 vcc, 0, v[4:5]
	v_not_b32_e32 v5, v5
	v_ashrrev_i32_e32 v5, 31, v5
	v_and_b32_e32 v98, v98, v99
	v_xor_b32_e32 v99, vcc_hi, v5
	v_xor_b32_e32 v5, vcc_lo, v5
	v_and_b32_e32 v97, v97, v5
	v_lshlrev_b32_e32 v5, 27, v96
	v_cmp_gt_i64_e32 vcc, 0, v[4:5]
	v_not_b32_e32 v5, v5
	v_ashrrev_i32_e32 v5, 31, v5
	v_and_b32_e32 v98, v98, v99
	v_xor_b32_e32 v99, vcc_hi, v5
	v_xor_b32_e32 v5, vcc_lo, v5
	v_and_b32_e32 v97, v97, v5
	v_lshlrev_b32_e32 v5, 26, v96
	v_cmp_gt_i64_e32 vcc, 0, v[4:5]
	v_not_b32_e32 v5, v5
	v_ashrrev_i32_e32 v5, 31, v5
	v_and_b32_e32 v98, v98, v99
	v_xor_b32_e32 v99, vcc_hi, v5
	v_xor_b32_e32 v5, vcc_lo, v5
	v_and_b32_e32 v97, v97, v5
	v_lshlrev_b32_e32 v5, 25, v96
	v_cmp_gt_i64_e32 vcc, 0, v[4:5]
	v_not_b32_e32 v5, v5
	v_ashrrev_i32_e32 v5, 31, v5
	v_and_b32_e32 v98, v98, v99
	v_xor_b32_e32 v99, vcc_hi, v5
	v_xor_b32_e32 v5, vcc_lo, v5
	v_and_b32_e32 v98, v98, v99
	v_and_b32_e32 v99, v97, v5
	v_lshlrev_b32_e32 v5, 24, v96
	v_cmp_gt_i64_e32 vcc, 0, v[4:5]
	v_not_b32_e32 v5, v5
	v_ashrrev_i32_e32 v5, 31, v5
	v_xor_b32_e32 v96, vcc_hi, v5
	v_xor_b32_e32 v5, vcc_lo, v5
	v_and_b32_e32 v97, v98, v96
	v_and_b32_e32 v96, v99, v5
	v_mbcnt_lo_u32_b32 v5, v96, 0
	v_mbcnt_hi_u32_b32 v209, v97, v5
	v_cmp_eq_u32_e32 vcc, 0, v209
	v_cmp_ne_u64_e64 s[36:37], 0, v[96:97]
	s_and_b64 s[38:39], s[36:37], vcc
	; wave barrier
	s_and_saveexec_b64 s[36:37], s[38:39]
	s_cbranch_execz .LBB1148_747
; %bb.746:                              ;   in Loop: Header=BB1148_693 Depth=2
	v_bcnt_u32_b32 v5, v96, 0
	v_bcnt_u32_b32 v5, v97, v5
	s_waitcnt lgkmcnt(0)
	v_add_u32_e32 v5, v207, v5
	ds_write_b32 v208, v5
.LBB1148_747:                           ;   in Loop: Header=BB1148_693 Depth=2
	s_or_b64 exec, exec, s[36:37]
	s_waitcnt vmcnt(5)
	v_cmp_gt_i64_e32 vcc, 0, v[88:89]
	v_ashrrev_i32_e32 v96, 31, v89
	v_cndmask_b32_e64 v5, v133, 0, vcc
	v_not_b32_e32 v96, v96
	v_xor_b32_e32 v89, v5, v89
	v_xor_b32_e32 v88, v96, v88
	v_cmp_ne_u64_e32 vcc, s[90:91], v[88:89]
	v_cndmask_b32_e32 v97, v133, v89, vcc
	v_cndmask_b32_e32 v96, -1, v88, vcc
	v_lshrrev_b64 v[96:97], s84, v[96:97]
	v_and_b32_e32 v96, s85, v96
	v_mul_u32_u24_e32 v5, 5, v96
	v_add_lshl_u32 v5, v5, v177, 2
	; wave barrier
	v_add_u32_e32 v211, 0x410, v5
	ds_read_b32 v210, v5 offset:1040
	v_and_b32_e32 v5, 1, v96
	v_add_co_u32_e32 v97, vcc, -1, v5
	v_addc_co_u32_e64 v98, s[36:37], 0, -1, vcc
	v_cmp_ne_u32_e32 vcc, 0, v5
	v_xor_b32_e32 v5, vcc_hi, v98
	v_and_b32_e32 v98, exec_hi, v5
	v_lshlrev_b32_e32 v5, 30, v96
	v_xor_b32_e32 v97, vcc_lo, v97
	v_cmp_gt_i64_e32 vcc, 0, v[4:5]
	v_not_b32_e32 v5, v5
	v_ashrrev_i32_e32 v5, 31, v5
	v_and_b32_e32 v97, exec_lo, v97
	v_xor_b32_e32 v99, vcc_hi, v5
	v_xor_b32_e32 v5, vcc_lo, v5
	v_and_b32_e32 v97, v97, v5
	v_lshlrev_b32_e32 v5, 29, v96
	v_cmp_gt_i64_e32 vcc, 0, v[4:5]
	v_not_b32_e32 v5, v5
	v_ashrrev_i32_e32 v5, 31, v5
	v_and_b32_e32 v98, v98, v99
	v_xor_b32_e32 v99, vcc_hi, v5
	v_xor_b32_e32 v5, vcc_lo, v5
	v_and_b32_e32 v97, v97, v5
	v_lshlrev_b32_e32 v5, 28, v96
	v_cmp_gt_i64_e32 vcc, 0, v[4:5]
	v_not_b32_e32 v5, v5
	v_ashrrev_i32_e32 v5, 31, v5
	v_and_b32_e32 v98, v98, v99
	;; [unrolled: 8-line block ×5, first 2 shown]
	v_xor_b32_e32 v99, vcc_hi, v5
	v_xor_b32_e32 v5, vcc_lo, v5
	v_and_b32_e32 v98, v98, v99
	v_and_b32_e32 v99, v97, v5
	v_lshlrev_b32_e32 v5, 24, v96
	v_cmp_gt_i64_e32 vcc, 0, v[4:5]
	v_not_b32_e32 v5, v5
	v_ashrrev_i32_e32 v5, 31, v5
	v_xor_b32_e32 v96, vcc_hi, v5
	v_xor_b32_e32 v5, vcc_lo, v5
	v_and_b32_e32 v97, v98, v96
	v_and_b32_e32 v96, v99, v5
	v_mbcnt_lo_u32_b32 v5, v96, 0
	v_mbcnt_hi_u32_b32 v212, v97, v5
	v_cmp_eq_u32_e32 vcc, 0, v212
	v_cmp_ne_u64_e64 s[36:37], 0, v[96:97]
	s_and_b64 s[38:39], s[36:37], vcc
	; wave barrier
	s_and_saveexec_b64 s[36:37], s[38:39]
	s_cbranch_execz .LBB1148_749
; %bb.748:                              ;   in Loop: Header=BB1148_693 Depth=2
	v_bcnt_u32_b32 v5, v96, 0
	v_bcnt_u32_b32 v5, v97, v5
	s_waitcnt lgkmcnt(0)
	v_add_u32_e32 v5, v210, v5
	ds_write_b32 v211, v5
.LBB1148_749:                           ;   in Loop: Header=BB1148_693 Depth=2
	s_or_b64 exec, exec, s[36:37]
	s_waitcnt vmcnt(4)
	v_cmp_gt_i64_e32 vcc, 0, v[84:85]
	v_ashrrev_i32_e32 v96, 31, v85
	v_cndmask_b32_e64 v5, v133, 0, vcc
	v_not_b32_e32 v96, v96
	v_xor_b32_e32 v85, v5, v85
	v_xor_b32_e32 v84, v96, v84
	v_cmp_ne_u64_e32 vcc, s[90:91], v[84:85]
	v_cndmask_b32_e32 v97, v133, v85, vcc
	v_cndmask_b32_e32 v96, -1, v84, vcc
	v_lshrrev_b64 v[96:97], s84, v[96:97]
	v_and_b32_e32 v96, s85, v96
	v_mul_u32_u24_e32 v5, 5, v96
	v_add_lshl_u32 v5, v5, v177, 2
	; wave barrier
	v_add_u32_e32 v214, 0x410, v5
	ds_read_b32 v213, v5 offset:1040
	v_and_b32_e32 v5, 1, v96
	v_add_co_u32_e32 v97, vcc, -1, v5
	v_addc_co_u32_e64 v98, s[36:37], 0, -1, vcc
	v_cmp_ne_u32_e32 vcc, 0, v5
	v_xor_b32_e32 v5, vcc_hi, v98
	v_and_b32_e32 v98, exec_hi, v5
	v_lshlrev_b32_e32 v5, 30, v96
	v_xor_b32_e32 v97, vcc_lo, v97
	v_cmp_gt_i64_e32 vcc, 0, v[4:5]
	v_not_b32_e32 v5, v5
	v_ashrrev_i32_e32 v5, 31, v5
	v_and_b32_e32 v97, exec_lo, v97
	v_xor_b32_e32 v99, vcc_hi, v5
	v_xor_b32_e32 v5, vcc_lo, v5
	v_and_b32_e32 v97, v97, v5
	v_lshlrev_b32_e32 v5, 29, v96
	v_cmp_gt_i64_e32 vcc, 0, v[4:5]
	v_not_b32_e32 v5, v5
	v_ashrrev_i32_e32 v5, 31, v5
	v_and_b32_e32 v98, v98, v99
	v_xor_b32_e32 v99, vcc_hi, v5
	v_xor_b32_e32 v5, vcc_lo, v5
	v_and_b32_e32 v97, v97, v5
	v_lshlrev_b32_e32 v5, 28, v96
	v_cmp_gt_i64_e32 vcc, 0, v[4:5]
	v_not_b32_e32 v5, v5
	v_ashrrev_i32_e32 v5, 31, v5
	v_and_b32_e32 v98, v98, v99
	;; [unrolled: 8-line block ×5, first 2 shown]
	v_xor_b32_e32 v99, vcc_hi, v5
	v_xor_b32_e32 v5, vcc_lo, v5
	v_and_b32_e32 v98, v98, v99
	v_and_b32_e32 v99, v97, v5
	v_lshlrev_b32_e32 v5, 24, v96
	v_cmp_gt_i64_e32 vcc, 0, v[4:5]
	v_not_b32_e32 v5, v5
	v_ashrrev_i32_e32 v5, 31, v5
	v_xor_b32_e32 v96, vcc_hi, v5
	v_xor_b32_e32 v5, vcc_lo, v5
	v_and_b32_e32 v97, v98, v96
	v_and_b32_e32 v96, v99, v5
	v_mbcnt_lo_u32_b32 v5, v96, 0
	v_mbcnt_hi_u32_b32 v215, v97, v5
	v_cmp_eq_u32_e32 vcc, 0, v215
	v_cmp_ne_u64_e64 s[36:37], 0, v[96:97]
	s_and_b64 s[38:39], s[36:37], vcc
	; wave barrier
	s_and_saveexec_b64 s[36:37], s[38:39]
	s_cbranch_execz .LBB1148_751
; %bb.750:                              ;   in Loop: Header=BB1148_693 Depth=2
	v_bcnt_u32_b32 v5, v96, 0
	v_bcnt_u32_b32 v5, v97, v5
	s_waitcnt lgkmcnt(0)
	v_add_u32_e32 v5, v213, v5
	ds_write_b32 v214, v5
.LBB1148_751:                           ;   in Loop: Header=BB1148_693 Depth=2
	s_or_b64 exec, exec, s[36:37]
	s_waitcnt vmcnt(3)
	v_cmp_gt_i64_e32 vcc, 0, v[80:81]
	v_ashrrev_i32_e32 v96, 31, v81
	v_cndmask_b32_e64 v5, v133, 0, vcc
	v_not_b32_e32 v96, v96
	v_xor_b32_e32 v81, v5, v81
	v_xor_b32_e32 v80, v96, v80
	v_cmp_ne_u64_e32 vcc, s[90:91], v[80:81]
	v_cndmask_b32_e32 v97, v133, v81, vcc
	v_cndmask_b32_e32 v96, -1, v80, vcc
	v_lshrrev_b64 v[96:97], s84, v[96:97]
	v_and_b32_e32 v96, s85, v96
	v_mul_u32_u24_e32 v5, 5, v96
	v_add_lshl_u32 v5, v5, v177, 2
	; wave barrier
	v_add_u32_e32 v217, 0x410, v5
	ds_read_b32 v216, v5 offset:1040
	v_and_b32_e32 v5, 1, v96
	v_add_co_u32_e32 v97, vcc, -1, v5
	v_addc_co_u32_e64 v98, s[36:37], 0, -1, vcc
	v_cmp_ne_u32_e32 vcc, 0, v5
	v_xor_b32_e32 v5, vcc_hi, v98
	v_and_b32_e32 v98, exec_hi, v5
	v_lshlrev_b32_e32 v5, 30, v96
	v_xor_b32_e32 v97, vcc_lo, v97
	v_cmp_gt_i64_e32 vcc, 0, v[4:5]
	v_not_b32_e32 v5, v5
	v_ashrrev_i32_e32 v5, 31, v5
	v_and_b32_e32 v97, exec_lo, v97
	v_xor_b32_e32 v99, vcc_hi, v5
	v_xor_b32_e32 v5, vcc_lo, v5
	v_and_b32_e32 v97, v97, v5
	v_lshlrev_b32_e32 v5, 29, v96
	v_cmp_gt_i64_e32 vcc, 0, v[4:5]
	v_not_b32_e32 v5, v5
	v_ashrrev_i32_e32 v5, 31, v5
	v_and_b32_e32 v98, v98, v99
	v_xor_b32_e32 v99, vcc_hi, v5
	v_xor_b32_e32 v5, vcc_lo, v5
	v_and_b32_e32 v97, v97, v5
	v_lshlrev_b32_e32 v5, 28, v96
	v_cmp_gt_i64_e32 vcc, 0, v[4:5]
	v_not_b32_e32 v5, v5
	v_ashrrev_i32_e32 v5, 31, v5
	v_and_b32_e32 v98, v98, v99
	;; [unrolled: 8-line block ×5, first 2 shown]
	v_xor_b32_e32 v99, vcc_hi, v5
	v_xor_b32_e32 v5, vcc_lo, v5
	v_and_b32_e32 v98, v98, v99
	v_and_b32_e32 v99, v97, v5
	v_lshlrev_b32_e32 v5, 24, v96
	v_cmp_gt_i64_e32 vcc, 0, v[4:5]
	v_not_b32_e32 v5, v5
	v_ashrrev_i32_e32 v5, 31, v5
	v_xor_b32_e32 v96, vcc_hi, v5
	v_xor_b32_e32 v5, vcc_lo, v5
	v_and_b32_e32 v97, v98, v96
	v_and_b32_e32 v96, v99, v5
	v_mbcnt_lo_u32_b32 v5, v96, 0
	v_mbcnt_hi_u32_b32 v218, v97, v5
	v_cmp_eq_u32_e32 vcc, 0, v218
	v_cmp_ne_u64_e64 s[36:37], 0, v[96:97]
	s_and_b64 s[38:39], s[36:37], vcc
	; wave barrier
	s_and_saveexec_b64 s[36:37], s[38:39]
	s_cbranch_execz .LBB1148_753
; %bb.752:                              ;   in Loop: Header=BB1148_693 Depth=2
	v_bcnt_u32_b32 v5, v96, 0
	v_bcnt_u32_b32 v5, v97, v5
	s_waitcnt lgkmcnt(0)
	v_add_u32_e32 v5, v216, v5
	ds_write_b32 v217, v5
.LBB1148_753:                           ;   in Loop: Header=BB1148_693 Depth=2
	s_or_b64 exec, exec, s[36:37]
	s_waitcnt vmcnt(2)
	v_cmp_gt_i64_e32 vcc, 0, v[76:77]
	v_ashrrev_i32_e32 v96, 31, v77
	v_cndmask_b32_e64 v5, v133, 0, vcc
	v_not_b32_e32 v96, v96
	v_xor_b32_e32 v77, v5, v77
	v_xor_b32_e32 v76, v96, v76
	v_cmp_ne_u64_e32 vcc, s[90:91], v[76:77]
	v_cndmask_b32_e32 v97, v133, v77, vcc
	v_cndmask_b32_e32 v96, -1, v76, vcc
	v_lshrrev_b64 v[96:97], s84, v[96:97]
	v_and_b32_e32 v96, s85, v96
	v_mul_u32_u24_e32 v5, 5, v96
	v_add_lshl_u32 v5, v5, v177, 2
	; wave barrier
	v_add_u32_e32 v220, 0x410, v5
	ds_read_b32 v219, v5 offset:1040
	v_and_b32_e32 v5, 1, v96
	v_add_co_u32_e32 v97, vcc, -1, v5
	v_addc_co_u32_e64 v98, s[36:37], 0, -1, vcc
	v_cmp_ne_u32_e32 vcc, 0, v5
	v_xor_b32_e32 v5, vcc_hi, v98
	v_and_b32_e32 v98, exec_hi, v5
	v_lshlrev_b32_e32 v5, 30, v96
	v_xor_b32_e32 v97, vcc_lo, v97
	v_cmp_gt_i64_e32 vcc, 0, v[4:5]
	v_not_b32_e32 v5, v5
	v_ashrrev_i32_e32 v5, 31, v5
	v_and_b32_e32 v97, exec_lo, v97
	v_xor_b32_e32 v99, vcc_hi, v5
	v_xor_b32_e32 v5, vcc_lo, v5
	v_and_b32_e32 v97, v97, v5
	v_lshlrev_b32_e32 v5, 29, v96
	v_cmp_gt_i64_e32 vcc, 0, v[4:5]
	v_not_b32_e32 v5, v5
	v_ashrrev_i32_e32 v5, 31, v5
	v_and_b32_e32 v98, v98, v99
	v_xor_b32_e32 v99, vcc_hi, v5
	v_xor_b32_e32 v5, vcc_lo, v5
	v_and_b32_e32 v97, v97, v5
	v_lshlrev_b32_e32 v5, 28, v96
	v_cmp_gt_i64_e32 vcc, 0, v[4:5]
	v_not_b32_e32 v5, v5
	v_ashrrev_i32_e32 v5, 31, v5
	v_and_b32_e32 v98, v98, v99
	;; [unrolled: 8-line block ×5, first 2 shown]
	v_xor_b32_e32 v99, vcc_hi, v5
	v_xor_b32_e32 v5, vcc_lo, v5
	v_and_b32_e32 v98, v98, v99
	v_and_b32_e32 v99, v97, v5
	v_lshlrev_b32_e32 v5, 24, v96
	v_cmp_gt_i64_e32 vcc, 0, v[4:5]
	v_not_b32_e32 v5, v5
	v_ashrrev_i32_e32 v5, 31, v5
	v_xor_b32_e32 v96, vcc_hi, v5
	v_xor_b32_e32 v5, vcc_lo, v5
	v_and_b32_e32 v97, v98, v96
	v_and_b32_e32 v96, v99, v5
	v_mbcnt_lo_u32_b32 v5, v96, 0
	v_mbcnt_hi_u32_b32 v221, v97, v5
	v_cmp_eq_u32_e32 vcc, 0, v221
	v_cmp_ne_u64_e64 s[36:37], 0, v[96:97]
	s_and_b64 s[38:39], s[36:37], vcc
	; wave barrier
	s_and_saveexec_b64 s[36:37], s[38:39]
	s_cbranch_execz .LBB1148_755
; %bb.754:                              ;   in Loop: Header=BB1148_693 Depth=2
	v_bcnt_u32_b32 v5, v96, 0
	v_bcnt_u32_b32 v5, v97, v5
	s_waitcnt lgkmcnt(0)
	v_add_u32_e32 v5, v219, v5
	ds_write_b32 v220, v5
.LBB1148_755:                           ;   in Loop: Header=BB1148_693 Depth=2
	s_or_b64 exec, exec, s[36:37]
	s_waitcnt vmcnt(1)
	v_cmp_gt_i64_e32 vcc, 0, v[72:73]
	v_ashrrev_i32_e32 v96, 31, v73
	v_cndmask_b32_e64 v5, v133, 0, vcc
	v_not_b32_e32 v96, v96
	v_xor_b32_e32 v73, v5, v73
	v_xor_b32_e32 v72, v96, v72
	v_cmp_ne_u64_e32 vcc, s[90:91], v[72:73]
	v_cndmask_b32_e32 v97, v133, v73, vcc
	v_cndmask_b32_e32 v96, -1, v72, vcc
	v_lshrrev_b64 v[96:97], s84, v[96:97]
	v_and_b32_e32 v96, s85, v96
	v_mul_u32_u24_e32 v5, 5, v96
	v_add_lshl_u32 v5, v5, v177, 2
	; wave barrier
	v_add_u32_e32 v223, 0x410, v5
	ds_read_b32 v222, v5 offset:1040
	v_and_b32_e32 v5, 1, v96
	v_add_co_u32_e32 v97, vcc, -1, v5
	v_addc_co_u32_e64 v98, s[36:37], 0, -1, vcc
	v_cmp_ne_u32_e32 vcc, 0, v5
	v_xor_b32_e32 v5, vcc_hi, v98
	v_and_b32_e32 v98, exec_hi, v5
	v_lshlrev_b32_e32 v5, 30, v96
	v_xor_b32_e32 v97, vcc_lo, v97
	v_cmp_gt_i64_e32 vcc, 0, v[4:5]
	v_not_b32_e32 v5, v5
	v_ashrrev_i32_e32 v5, 31, v5
	v_and_b32_e32 v97, exec_lo, v97
	v_xor_b32_e32 v99, vcc_hi, v5
	v_xor_b32_e32 v5, vcc_lo, v5
	v_and_b32_e32 v97, v97, v5
	v_lshlrev_b32_e32 v5, 29, v96
	v_cmp_gt_i64_e32 vcc, 0, v[4:5]
	v_not_b32_e32 v5, v5
	v_ashrrev_i32_e32 v5, 31, v5
	v_and_b32_e32 v98, v98, v99
	v_xor_b32_e32 v99, vcc_hi, v5
	v_xor_b32_e32 v5, vcc_lo, v5
	v_and_b32_e32 v97, v97, v5
	v_lshlrev_b32_e32 v5, 28, v96
	v_cmp_gt_i64_e32 vcc, 0, v[4:5]
	v_not_b32_e32 v5, v5
	v_ashrrev_i32_e32 v5, 31, v5
	v_and_b32_e32 v98, v98, v99
	;; [unrolled: 8-line block ×5, first 2 shown]
	v_xor_b32_e32 v99, vcc_hi, v5
	v_xor_b32_e32 v5, vcc_lo, v5
	v_and_b32_e32 v98, v98, v99
	v_and_b32_e32 v99, v97, v5
	v_lshlrev_b32_e32 v5, 24, v96
	v_cmp_gt_i64_e32 vcc, 0, v[4:5]
	v_not_b32_e32 v5, v5
	v_ashrrev_i32_e32 v5, 31, v5
	v_xor_b32_e32 v96, vcc_hi, v5
	v_xor_b32_e32 v5, vcc_lo, v5
	v_and_b32_e32 v97, v98, v96
	v_and_b32_e32 v96, v99, v5
	v_mbcnt_lo_u32_b32 v5, v96, 0
	v_mbcnt_hi_u32_b32 v224, v97, v5
	v_cmp_eq_u32_e32 vcc, 0, v224
	v_cmp_ne_u64_e64 s[36:37], 0, v[96:97]
	s_and_b64 s[38:39], s[36:37], vcc
	; wave barrier
	s_and_saveexec_b64 s[36:37], s[38:39]
	s_cbranch_execz .LBB1148_757
; %bb.756:                              ;   in Loop: Header=BB1148_693 Depth=2
	v_bcnt_u32_b32 v5, v96, 0
	v_bcnt_u32_b32 v5, v97, v5
	s_waitcnt lgkmcnt(0)
	v_add_u32_e32 v5, v222, v5
	ds_write_b32 v223, v5
.LBB1148_757:                           ;   in Loop: Header=BB1148_693 Depth=2
	s_or_b64 exec, exec, s[36:37]
	s_waitcnt vmcnt(0)
	v_cmp_gt_i64_e32 vcc, 0, v[68:69]
	v_ashrrev_i32_e32 v96, 31, v69
	v_cndmask_b32_e64 v5, v133, 0, vcc
	v_not_b32_e32 v96, v96
	v_xor_b32_e32 v69, v5, v69
	v_xor_b32_e32 v68, v96, v68
	v_cmp_ne_u64_e32 vcc, s[90:91], v[68:69]
	v_cndmask_b32_e32 v97, v133, v69, vcc
	v_cndmask_b32_e32 v96, -1, v68, vcc
	v_lshrrev_b64 v[96:97], s84, v[96:97]
	v_and_b32_e32 v96, s85, v96
	v_mul_u32_u24_e32 v5, 5, v96
	v_add_lshl_u32 v5, v5, v177, 2
	; wave barrier
	v_add_u32_e32 v226, 0x410, v5
	ds_read_b32 v225, v5 offset:1040
	v_and_b32_e32 v5, 1, v96
	v_add_co_u32_e32 v97, vcc, -1, v5
	v_addc_co_u32_e64 v98, s[36:37], 0, -1, vcc
	v_cmp_ne_u32_e32 vcc, 0, v5
	v_xor_b32_e32 v5, vcc_hi, v98
	v_and_b32_e32 v98, exec_hi, v5
	v_lshlrev_b32_e32 v5, 30, v96
	v_xor_b32_e32 v97, vcc_lo, v97
	v_cmp_gt_i64_e32 vcc, 0, v[4:5]
	v_not_b32_e32 v5, v5
	v_ashrrev_i32_e32 v5, 31, v5
	v_and_b32_e32 v97, exec_lo, v97
	v_xor_b32_e32 v99, vcc_hi, v5
	v_xor_b32_e32 v5, vcc_lo, v5
	v_and_b32_e32 v97, v97, v5
	v_lshlrev_b32_e32 v5, 29, v96
	v_cmp_gt_i64_e32 vcc, 0, v[4:5]
	v_not_b32_e32 v5, v5
	v_ashrrev_i32_e32 v5, 31, v5
	v_and_b32_e32 v98, v98, v99
	v_xor_b32_e32 v99, vcc_hi, v5
	v_xor_b32_e32 v5, vcc_lo, v5
	v_and_b32_e32 v97, v97, v5
	v_lshlrev_b32_e32 v5, 28, v96
	v_cmp_gt_i64_e32 vcc, 0, v[4:5]
	v_not_b32_e32 v5, v5
	v_ashrrev_i32_e32 v5, 31, v5
	v_and_b32_e32 v98, v98, v99
	v_xor_b32_e32 v99, vcc_hi, v5
	v_xor_b32_e32 v5, vcc_lo, v5
	v_and_b32_e32 v97, v97, v5
	v_lshlrev_b32_e32 v5, 27, v96
	v_cmp_gt_i64_e32 vcc, 0, v[4:5]
	v_not_b32_e32 v5, v5
	v_ashrrev_i32_e32 v5, 31, v5
	v_and_b32_e32 v98, v98, v99
	v_xor_b32_e32 v99, vcc_hi, v5
	v_xor_b32_e32 v5, vcc_lo, v5
	v_and_b32_e32 v97, v97, v5
	v_lshlrev_b32_e32 v5, 26, v96
	v_cmp_gt_i64_e32 vcc, 0, v[4:5]
	v_not_b32_e32 v5, v5
	v_ashrrev_i32_e32 v5, 31, v5
	v_and_b32_e32 v98, v98, v99
	v_xor_b32_e32 v99, vcc_hi, v5
	v_xor_b32_e32 v5, vcc_lo, v5
	v_and_b32_e32 v97, v97, v5
	v_lshlrev_b32_e32 v5, 25, v96
	v_cmp_gt_i64_e32 vcc, 0, v[4:5]
	v_not_b32_e32 v5, v5
	v_ashrrev_i32_e32 v5, 31, v5
	v_and_b32_e32 v98, v98, v99
	v_xor_b32_e32 v99, vcc_hi, v5
	v_xor_b32_e32 v5, vcc_lo, v5
	v_and_b32_e32 v98, v98, v99
	v_and_b32_e32 v99, v97, v5
	v_lshlrev_b32_e32 v5, 24, v96
	v_cmp_gt_i64_e32 vcc, 0, v[4:5]
	v_not_b32_e32 v5, v5
	v_ashrrev_i32_e32 v5, 31, v5
	v_xor_b32_e32 v96, vcc_hi, v5
	v_xor_b32_e32 v5, vcc_lo, v5
	v_and_b32_e32 v97, v98, v96
	v_and_b32_e32 v96, v99, v5
	v_mbcnt_lo_u32_b32 v5, v96, 0
	v_mbcnt_hi_u32_b32 v227, v97, v5
	v_cmp_eq_u32_e32 vcc, 0, v227
	v_cmp_ne_u64_e64 s[36:37], 0, v[96:97]
	s_and_b64 s[38:39], s[36:37], vcc
	; wave barrier
	s_and_saveexec_b64 s[36:37], s[38:39]
	s_cbranch_execz .LBB1148_759
; %bb.758:                              ;   in Loop: Header=BB1148_693 Depth=2
	v_bcnt_u32_b32 v5, v96, 0
	v_bcnt_u32_b32 v5, v97, v5
	s_waitcnt lgkmcnt(0)
	v_add_u32_e32 v5, v225, v5
	ds_write_b32 v226, v5
.LBB1148_759:                           ;   in Loop: Header=BB1148_693 Depth=2
	s_or_b64 exec, exec, s[36:37]
	v_cmp_gt_i64_e32 vcc, 0, v[70:71]
	v_ashrrev_i32_e32 v96, 31, v71
	v_cndmask_b32_e64 v5, v133, 0, vcc
	v_not_b32_e32 v96, v96
	v_xor_b32_e32 v71, v5, v71
	v_xor_b32_e32 v70, v96, v70
	v_cmp_ne_u64_e32 vcc, s[90:91], v[70:71]
	v_cndmask_b32_e32 v97, v133, v71, vcc
	v_cndmask_b32_e32 v96, -1, v70, vcc
	v_lshrrev_b64 v[96:97], s84, v[96:97]
	v_and_b32_e32 v96, s85, v96
	v_mul_u32_u24_e32 v5, 5, v96
	v_add_lshl_u32 v5, v5, v177, 2
	; wave barrier
	v_add_u32_e32 v229, 0x410, v5
	ds_read_b32 v228, v5 offset:1040
	v_and_b32_e32 v5, 1, v96
	v_add_co_u32_e32 v97, vcc, -1, v5
	v_addc_co_u32_e64 v98, s[36:37], 0, -1, vcc
	v_cmp_ne_u32_e32 vcc, 0, v5
	v_xor_b32_e32 v5, vcc_hi, v98
	v_and_b32_e32 v98, exec_hi, v5
	v_lshlrev_b32_e32 v5, 30, v96
	v_xor_b32_e32 v97, vcc_lo, v97
	v_cmp_gt_i64_e32 vcc, 0, v[4:5]
	v_not_b32_e32 v5, v5
	v_ashrrev_i32_e32 v5, 31, v5
	v_and_b32_e32 v97, exec_lo, v97
	v_xor_b32_e32 v99, vcc_hi, v5
	v_xor_b32_e32 v5, vcc_lo, v5
	v_and_b32_e32 v97, v97, v5
	v_lshlrev_b32_e32 v5, 29, v96
	v_cmp_gt_i64_e32 vcc, 0, v[4:5]
	v_not_b32_e32 v5, v5
	v_ashrrev_i32_e32 v5, 31, v5
	v_and_b32_e32 v98, v98, v99
	v_xor_b32_e32 v99, vcc_hi, v5
	v_xor_b32_e32 v5, vcc_lo, v5
	v_and_b32_e32 v97, v97, v5
	v_lshlrev_b32_e32 v5, 28, v96
	v_cmp_gt_i64_e32 vcc, 0, v[4:5]
	v_not_b32_e32 v5, v5
	v_ashrrev_i32_e32 v5, 31, v5
	v_and_b32_e32 v98, v98, v99
	;; [unrolled: 8-line block ×5, first 2 shown]
	v_xor_b32_e32 v99, vcc_hi, v5
	v_xor_b32_e32 v5, vcc_lo, v5
	v_and_b32_e32 v98, v98, v99
	v_and_b32_e32 v99, v97, v5
	v_lshlrev_b32_e32 v5, 24, v96
	v_cmp_gt_i64_e32 vcc, 0, v[4:5]
	v_not_b32_e32 v5, v5
	v_ashrrev_i32_e32 v5, 31, v5
	v_xor_b32_e32 v96, vcc_hi, v5
	v_xor_b32_e32 v5, vcc_lo, v5
	v_and_b32_e32 v97, v98, v96
	v_and_b32_e32 v96, v99, v5
	v_mbcnt_lo_u32_b32 v5, v96, 0
	v_mbcnt_hi_u32_b32 v230, v97, v5
	v_cmp_eq_u32_e32 vcc, 0, v230
	v_cmp_ne_u64_e64 s[36:37], 0, v[96:97]
	s_and_b64 s[38:39], s[36:37], vcc
	; wave barrier
	s_and_saveexec_b64 s[36:37], s[38:39]
	s_cbranch_execz .LBB1148_761
; %bb.760:                              ;   in Loop: Header=BB1148_693 Depth=2
	v_bcnt_u32_b32 v5, v96, 0
	v_bcnt_u32_b32 v5, v97, v5
	s_waitcnt lgkmcnt(0)
	v_add_u32_e32 v5, v228, v5
	ds_write_b32 v229, v5
.LBB1148_761:                           ;   in Loop: Header=BB1148_693 Depth=2
	s_or_b64 exec, exec, s[36:37]
	; wave barrier
	s_waitcnt lgkmcnt(0)
	s_barrier
	ds_read_b32 v5, v27 offset:1040
	ds_read2_b32 v[98:99], v31 offset0:1 offset1:2
	ds_read2_b32 v[96:97], v31 offset0:3 offset1:4
	s_waitcnt lgkmcnt(1)
	v_add3_u32 v231, v98, v5, v99
	s_waitcnt lgkmcnt(0)
	v_add3_u32 v97, v231, v96, v97
	s_nop 1
	v_mov_b32_dpp v231, v97 row_shr:1 row_mask:0xf bank_mask:0xf
	v_cndmask_b32_e64 v231, v231, 0, s[16:17]
	v_add_u32_e32 v97, v231, v97
	s_nop 1
	v_mov_b32_dpp v231, v97 row_shr:2 row_mask:0xf bank_mask:0xf
	v_cndmask_b32_e64 v231, 0, v231, s[18:19]
	v_add_u32_e32 v97, v97, v231
	;; [unrolled: 4-line block ×4, first 2 shown]
	s_nop 1
	v_mov_b32_dpp v231, v97 row_bcast:15 row_mask:0xf bank_mask:0xf
	v_cndmask_b32_e64 v231, v231, 0, s[24:25]
	v_add_u32_e32 v97, v97, v231
	s_nop 1
	v_mov_b32_dpp v231, v97 row_bcast:31 row_mask:0xf bank_mask:0xf
	v_cndmask_b32_e64 v231, 0, v231, s[26:27]
	v_add_u32_e32 v97, v97, v231
	s_and_saveexec_b64 s[36:37], s[6:7]
	s_cbranch_execz .LBB1148_763
; %bb.762:                              ;   in Loop: Header=BB1148_693 Depth=2
	ds_write_b32 v15, v97 offset:1024
.LBB1148_763:                           ;   in Loop: Header=BB1148_693 Depth=2
	s_or_b64 exec, exec, s[36:37]
	s_waitcnt lgkmcnt(0)
	s_barrier
	s_and_saveexec_b64 s[36:37], s[8:9]
	s_cbranch_execz .LBB1148_765
; %bb.764:                              ;   in Loop: Header=BB1148_693 Depth=2
	ds_read_b32 v231, v33 offset:1024
	s_waitcnt lgkmcnt(0)
	s_nop 0
	v_mov_b32_dpp v232, v231 row_shr:1 row_mask:0xf bank_mask:0xf
	v_cndmask_b32_e64 v232, v232, 0, s[30:31]
	v_add_u32_e32 v231, v232, v231
	s_nop 1
	v_mov_b32_dpp v232, v231 row_shr:2 row_mask:0xf bank_mask:0xf
	v_cndmask_b32_e64 v232, 0, v232, s[34:35]
	v_add_u32_e32 v231, v231, v232
	ds_write_b32 v33, v231 offset:1024
.LBB1148_765:                           ;   in Loop: Header=BB1148_693 Depth=2
	s_or_b64 exec, exec, s[36:37]
	v_mov_b32_e32 v231, 0
	s_waitcnt lgkmcnt(0)
	s_barrier
	s_and_saveexec_b64 s[36:37], s[10:11]
	s_cbranch_execz .LBB1148_767
; %bb.766:                              ;   in Loop: Header=BB1148_693 Depth=2
	ds_read_b32 v231, v15 offset:1020
.LBB1148_767:                           ;   in Loop: Header=BB1148_693 Depth=2
	s_or_b64 exec, exec, s[36:37]
	s_waitcnt lgkmcnt(0)
	v_add_u32_e32 v97, v231, v97
	ds_bpermute_b32 v97, v159, v97
	s_waitcnt lgkmcnt(0)
	v_cndmask_b32_e64 v97, v97, v231, s[28:29]
	v_cndmask_b32_e64 v97, v97, 0, s[12:13]
	v_add_u32_e32 v5, v97, v5
	ds_write_b32 v27, v97 offset:1040
	v_add_u32_e32 v97, v5, v98
	v_add_u32_e32 v98, v97, v99
	ds_write2_b32 v31, v5, v97 offset0:1 offset1:2
	v_add_u32_e32 v5, v98, v96
	ds_write2_b32 v31, v98, v5 offset0:3 offset1:4
	s_waitcnt lgkmcnt(0)
	s_barrier
	ds_read_b32 v97, v187
	ds_read_b32 v235, v190
	;; [unrolled: 1-line block ×16, first 2 shown]
	ds_read_b32 v184, v27 offset:1040
	v_mov_b32_e32 v5, 0x1000
	s_and_saveexec_b64 s[36:37], s[14:15]
	s_cbranch_execz .LBB1148_769
; %bb.768:                              ;   in Loop: Header=BB1148_693 Depth=2
	ds_read_b32 v5, v27 offset:1060
.LBB1148_769:                           ;   in Loop: Header=BB1148_693 Depth=2
	s_or_b64 exec, exec, s[36:37]
	s_waitcnt lgkmcnt(0)
	s_barrier
	s_and_saveexec_b64 s[36:37], s[4:5]
	s_cbranch_execz .LBB1148_771
; %bb.770:                              ;   in Loop: Header=BB1148_693 Depth=2
	ds_read_b32 v208, v3
	s_waitcnt lgkmcnt(0)
	v_sub_u32_e32 v184, v208, v184
	ds_write_b32 v3, v184
.LBB1148_771:                           ;   in Loop: Header=BB1148_693 Depth=2
	s_or_b64 exec, exec, s[36:37]
	v_add_u32_e32 v186, v188, v186
	v_add_u32_e32 v189, v191, v189
	v_add_lshl_u32 v96, v96, v185, 3
	v_add_lshl_u32 v97, v186, v97, 3
	v_add_u32_e32 v198, v200, v198
	v_add_u32_e32 v195, v197, v195
	;; [unrolled: 1-line block ×3, first 2 shown]
	ds_write_b64 v96, v[64:65] offset:1024
	ds_write_b64 v97, v[66:67] offset:1024
	v_add_lshl_u32 v66, v189, v235, 3
	v_add_u32_e32 v213, v215, v213
	v_add_u32_e32 v210, v212, v210
	;; [unrolled: 1-line block ×5, first 2 shown]
	ds_write_b64 v66, v[74:75] offset:1024
	v_add_lshl_u32 v67, v192, v234, 3
	v_add_lshl_u32 v74, v195, v233, 3
	;; [unrolled: 1-line block ×3, first 2 shown]
	v_add_u32_e32 v216, v218, v216
	ds_write_b64 v67, v[78:79] offset:1024
	ds_write_b64 v74, v[82:83] offset:1024
	;; [unrolled: 1-line block ×3, first 2 shown]
	v_add_lshl_u32 v78, v201, v231, 3
	v_add_lshl_u32 v79, v204, v205, 3
	;; [unrolled: 1-line block ×5, first 2 shown]
	v_add_u32_e32 v214, v221, v219
	ds_write_b64 v78, v[90:91] offset:1024
	ds_write_b64 v79, v[94:95] offset:1024
	;; [unrolled: 1-line block ×5, first 2 shown]
	v_add_lshl_u32 v84, v216, v193, 3
	v_add_u32_e32 v211, v224, v222
	ds_write_b64 v84, v[80:81] offset:1024
	v_add_lshl_u32 v80, v214, v190, 3
	v_add_u32_e32 v208, v227, v225
	ds_write_b64 v80, v[76:77] offset:1024
	;; [unrolled: 3-line block ×3, first 2 shown]
	v_add_lshl_u32 v72, v208, v99, 3
	ds_write_b64 v72, v[68:69] offset:1024
	v_add_lshl_u32 v68, v184, v98, 3
	v_cmp_lt_u32_e64 s[36:37], v2, v183
	ds_write_b64 v68, v[70:71] offset:1024
	s_waitcnt lgkmcnt(0)
	s_barrier
	s_and_saveexec_b64 s[40:41], s[36:37]
	s_cbranch_execz .LBB1148_787
; %bb.772:                              ;   in Loop: Header=BB1148_693 Depth=2
	v_add_u32_e32 v64, v33, v3
	ds_read_b64 v[64:65], v64 offset:1024
	v_mov_b32_e32 v71, v4
	s_waitcnt lgkmcnt(0)
	v_cmp_ne_u64_e32 vcc, s[90:91], v[64:65]
	v_cndmask_b32_e32 v89, v133, v65, vcc
	v_cndmask_b32_e32 v88, -1, v64, vcc
	v_lshrrev_b64 v[88:89], s84, v[88:89]
	v_and_b32_e32 v70, s85, v88
	v_lshlrev_b32_e32 v70, 2, v70
	ds_read_b32 v70, v70
	v_cmp_gt_i64_e64 s[38:39], 0, v[64:65]
	v_cndmask_b32_e64 v69, v133, 0, s[38:39]
	v_ashrrev_i32_e32 v73, 31, v65
	v_not_b32_e32 v73, v73
	s_waitcnt lgkmcnt(0)
	v_add_u32_e32 v70, v70, v2
	v_lshlrev_b64 v[70:71], 3, v[70:71]
	v_xor_b32_e32 v65, v69, v65
	v_mov_b32_e32 v69, s75
	v_add_co_u32_e32 v70, vcc, s74, v70
	v_xor_b32_e32 v64, v73, v64
	v_addc_co_u32_e32 v71, vcc, v69, v71, vcc
	global_store_dwordx2 v[70:71], v[64:65], off
	s_or_b64 exec, exec, s[40:41]
	v_cmp_lt_u32_e64 s[38:39], v7, v183
	s_and_saveexec_b64 s[42:43], s[38:39]
	s_cbranch_execnz .LBB1148_788
.LBB1148_773:                           ;   in Loop: Header=BB1148_693 Depth=2
	s_or_b64 exec, exec, s[42:43]
	v_cmp_lt_u32_e64 s[40:41], v6, v183
	s_and_saveexec_b64 s[44:45], s[40:41]
	s_cbranch_execz .LBB1148_789
.LBB1148_774:                           ;   in Loop: Header=BB1148_693 Depth=2
	ds_read_b64 v[64:65], v104 offset:4096
	v_mov_b32_e32 v71, v4
	s_waitcnt lgkmcnt(0)
	v_cmp_ne_u64_e32 vcc, s[90:91], v[64:65]
	v_cndmask_b32_e32 v89, v133, v65, vcc
	v_cndmask_b32_e32 v88, -1, v64, vcc
	v_lshrrev_b64 v[88:89], s84, v[88:89]
	v_and_b32_e32 v70, s85, v88
	v_lshlrev_b32_e32 v70, 2, v70
	ds_read_b32 v70, v70
	v_cmp_gt_i64_e64 s[42:43], 0, v[64:65]
	v_cndmask_b32_e64 v69, v133, 0, s[42:43]
	v_ashrrev_i32_e32 v73, 31, v65
	v_not_b32_e32 v73, v73
	s_waitcnt lgkmcnt(0)
	v_add_u32_e32 v70, v70, v6
	v_lshlrev_b64 v[70:71], 3, v[70:71]
	v_xor_b32_e32 v65, v69, v65
	v_mov_b32_e32 v69, s75
	v_add_co_u32_e32 v70, vcc, s74, v70
	v_xor_b32_e32 v64, v73, v64
	v_addc_co_u32_e32 v71, vcc, v69, v71, vcc
	global_store_dwordx2 v[70:71], v[64:65], off
	s_or_b64 exec, exec, s[44:45]
	v_cmp_lt_u32_e64 s[42:43], v8, v183
	s_and_saveexec_b64 s[46:47], s[42:43]
	s_cbranch_execnz .LBB1148_790
.LBB1148_775:                           ;   in Loop: Header=BB1148_693 Depth=2
	s_or_b64 exec, exec, s[46:47]
	v_cmp_lt_u32_e64 s[44:45], v10, v183
	s_and_saveexec_b64 s[48:49], s[44:45]
	s_cbranch_execz .LBB1148_791
.LBB1148_776:                           ;   in Loop: Header=BB1148_693 Depth=2
	ds_read_b64 v[64:65], v104 offset:8192
	v_mov_b32_e32 v71, v4
	s_waitcnt lgkmcnt(0)
	v_cmp_ne_u64_e32 vcc, s[90:91], v[64:65]
	v_cndmask_b32_e32 v89, v133, v65, vcc
	v_cndmask_b32_e32 v88, -1, v64, vcc
	v_lshrrev_b64 v[88:89], s84, v[88:89]
	v_and_b32_e32 v70, s85, v88
	v_lshlrev_b32_e32 v70, 2, v70
	ds_read_b32 v70, v70
	v_cmp_gt_i64_e64 s[46:47], 0, v[64:65]
	v_cndmask_b32_e64 v69, v133, 0, s[46:47]
	v_ashrrev_i32_e32 v73, 31, v65
	v_not_b32_e32 v73, v73
	s_waitcnt lgkmcnt(0)
	v_add_u32_e32 v70, v70, v10
	v_lshlrev_b64 v[70:71], 3, v[70:71]
	v_xor_b32_e32 v65, v69, v65
	v_mov_b32_e32 v69, s75
	v_add_co_u32_e32 v70, vcc, s74, v70
	v_xor_b32_e32 v64, v73, v64
	v_addc_co_u32_e32 v71, vcc, v69, v71, vcc
	global_store_dwordx2 v[70:71], v[64:65], off
	s_or_b64 exec, exec, s[48:49]
	v_cmp_lt_u32_e64 s[46:47], v12, v183
	s_and_saveexec_b64 s[50:51], s[46:47]
	s_cbranch_execnz .LBB1148_792
.LBB1148_777:                           ;   in Loop: Header=BB1148_693 Depth=2
	s_or_b64 exec, exec, s[50:51]
	v_cmp_lt_u32_e64 s[48:49], v14, v183
	s_and_saveexec_b64 s[52:53], s[48:49]
	s_cbranch_execz .LBB1148_793
.LBB1148_778:                           ;   in Loop: Header=BB1148_693 Depth=2
	ds_read_b64 v[64:65], v104 offset:12288
	v_mov_b32_e32 v71, v4
	s_waitcnt lgkmcnt(0)
	v_cmp_ne_u64_e32 vcc, s[90:91], v[64:65]
	v_cndmask_b32_e32 v89, v133, v65, vcc
	v_cndmask_b32_e32 v88, -1, v64, vcc
	v_lshrrev_b64 v[88:89], s84, v[88:89]
	v_and_b32_e32 v70, s85, v88
	v_lshlrev_b32_e32 v70, 2, v70
	ds_read_b32 v70, v70
	v_cmp_gt_i64_e64 s[50:51], 0, v[64:65]
	v_cndmask_b32_e64 v69, v133, 0, s[50:51]
	v_ashrrev_i32_e32 v73, 31, v65
	v_not_b32_e32 v73, v73
	s_waitcnt lgkmcnt(0)
	v_add_u32_e32 v70, v70, v14
	v_lshlrev_b64 v[70:71], 3, v[70:71]
	v_xor_b32_e32 v65, v69, v65
	v_mov_b32_e32 v69, s75
	v_add_co_u32_e32 v70, vcc, s74, v70
	v_xor_b32_e32 v64, v73, v64
	v_addc_co_u32_e32 v71, vcc, v69, v71, vcc
	global_store_dwordx2 v[70:71], v[64:65], off
	s_or_b64 exec, exec, s[52:53]
	v_cmp_lt_u32_e64 s[50:51], v16, v183
	s_and_saveexec_b64 s[54:55], s[50:51]
	s_cbranch_execnz .LBB1148_794
.LBB1148_779:                           ;   in Loop: Header=BB1148_693 Depth=2
	s_or_b64 exec, exec, s[54:55]
	v_cmp_lt_u32_e64 s[52:53], v18, v183
	s_and_saveexec_b64 s[56:57], s[52:53]
	s_cbranch_execz .LBB1148_795
.LBB1148_780:                           ;   in Loop: Header=BB1148_693 Depth=2
	ds_read_b64 v[64:65], v104 offset:16384
	v_mov_b32_e32 v71, v4
	s_waitcnt lgkmcnt(0)
	v_cmp_ne_u64_e32 vcc, s[90:91], v[64:65]
	v_cndmask_b32_e32 v89, v133, v65, vcc
	v_cndmask_b32_e32 v88, -1, v64, vcc
	v_lshrrev_b64 v[88:89], s84, v[88:89]
	v_and_b32_e32 v70, s85, v88
	v_lshlrev_b32_e32 v70, 2, v70
	ds_read_b32 v70, v70
	v_cmp_gt_i64_e64 s[54:55], 0, v[64:65]
	v_cndmask_b32_e64 v69, v133, 0, s[54:55]
	v_ashrrev_i32_e32 v73, 31, v65
	v_not_b32_e32 v73, v73
	s_waitcnt lgkmcnt(0)
	v_add_u32_e32 v70, v70, v18
	v_lshlrev_b64 v[70:71], 3, v[70:71]
	v_xor_b32_e32 v65, v69, v65
	v_mov_b32_e32 v69, s75
	v_add_co_u32_e32 v70, vcc, s74, v70
	v_xor_b32_e32 v64, v73, v64
	v_addc_co_u32_e32 v71, vcc, v69, v71, vcc
	global_store_dwordx2 v[70:71], v[64:65], off
	s_or_b64 exec, exec, s[56:57]
	v_cmp_lt_u32_e64 s[54:55], v20, v183
	s_and_saveexec_b64 s[58:59], s[54:55]
	s_cbranch_execnz .LBB1148_796
.LBB1148_781:                           ;   in Loop: Header=BB1148_693 Depth=2
	s_or_b64 exec, exec, s[58:59]
	v_cmp_lt_u32_e64 s[56:57], v22, v183
	s_and_saveexec_b64 s[60:61], s[56:57]
	s_cbranch_execz .LBB1148_797
.LBB1148_782:                           ;   in Loop: Header=BB1148_693 Depth=2
	ds_read_b64 v[64:65], v104 offset:20480
	v_mov_b32_e32 v71, v4
	s_waitcnt lgkmcnt(0)
	v_cmp_ne_u64_e32 vcc, s[90:91], v[64:65]
	v_cndmask_b32_e32 v89, v133, v65, vcc
	v_cndmask_b32_e32 v88, -1, v64, vcc
	v_lshrrev_b64 v[88:89], s84, v[88:89]
	v_and_b32_e32 v70, s85, v88
	v_lshlrev_b32_e32 v70, 2, v70
	ds_read_b32 v70, v70
	v_cmp_gt_i64_e64 s[58:59], 0, v[64:65]
	v_cndmask_b32_e64 v69, v133, 0, s[58:59]
	v_ashrrev_i32_e32 v73, 31, v65
	v_not_b32_e32 v73, v73
	s_waitcnt lgkmcnt(0)
	v_add_u32_e32 v70, v70, v22
	v_lshlrev_b64 v[70:71], 3, v[70:71]
	v_xor_b32_e32 v65, v69, v65
	v_mov_b32_e32 v69, s75
	v_add_co_u32_e32 v70, vcc, s74, v70
	v_xor_b32_e32 v64, v73, v64
	v_addc_co_u32_e32 v71, vcc, v69, v71, vcc
	global_store_dwordx2 v[70:71], v[64:65], off
	s_or_b64 exec, exec, s[60:61]
	v_cmp_lt_u32_e64 s[58:59], v24, v183
	s_and_saveexec_b64 s[62:63], s[58:59]
	s_cbranch_execnz .LBB1148_798
.LBB1148_783:                           ;   in Loop: Header=BB1148_693 Depth=2
	s_or_b64 exec, exec, s[62:63]
	v_cmp_lt_u32_e64 s[60:61], v26, v183
	s_and_saveexec_b64 s[64:65], s[60:61]
	s_cbranch_execz .LBB1148_799
.LBB1148_784:                           ;   in Loop: Header=BB1148_693 Depth=2
	ds_read_b64 v[64:65], v104 offset:24576
	v_mov_b32_e32 v71, v4
	s_waitcnt lgkmcnt(0)
	v_cmp_ne_u64_e32 vcc, s[90:91], v[64:65]
	v_cndmask_b32_e32 v89, v133, v65, vcc
	v_cndmask_b32_e32 v88, -1, v64, vcc
	v_lshrrev_b64 v[88:89], s84, v[88:89]
	v_and_b32_e32 v70, s85, v88
	v_lshlrev_b32_e32 v70, 2, v70
	ds_read_b32 v70, v70
	v_cmp_gt_i64_e64 s[62:63], 0, v[64:65]
	v_cndmask_b32_e64 v69, v133, 0, s[62:63]
	v_ashrrev_i32_e32 v73, 31, v65
	v_not_b32_e32 v73, v73
	s_waitcnt lgkmcnt(0)
	v_add_u32_e32 v70, v70, v26
	v_lshlrev_b64 v[70:71], 3, v[70:71]
	v_xor_b32_e32 v65, v69, v65
	v_mov_b32_e32 v69, s75
	v_add_co_u32_e32 v70, vcc, s74, v70
	v_xor_b32_e32 v64, v73, v64
	v_addc_co_u32_e32 v71, vcc, v69, v71, vcc
	global_store_dwordx2 v[70:71], v[64:65], off
	s_or_b64 exec, exec, s[64:65]
	v_cmp_lt_u32_e64 s[62:63], v28, v183
	s_and_saveexec_b64 s[66:67], s[62:63]
	s_cbranch_execnz .LBB1148_800
.LBB1148_785:                           ;   in Loop: Header=BB1148_693 Depth=2
	s_or_b64 exec, exec, s[66:67]
	v_cmp_lt_u32_e64 s[64:65], v30, v183
	s_and_saveexec_b64 s[70:71], s[64:65]
	s_cbranch_execz .LBB1148_801
.LBB1148_786:                           ;   in Loop: Header=BB1148_693 Depth=2
	ds_read_b64 v[64:65], v104 offset:28672
	v_mov_b32_e32 v71, v4
	s_waitcnt lgkmcnt(0)
	v_cmp_ne_u64_e32 vcc, s[90:91], v[64:65]
	v_cndmask_b32_e32 v89, v133, v65, vcc
	v_cndmask_b32_e32 v88, -1, v64, vcc
	v_lshrrev_b64 v[88:89], s84, v[88:89]
	v_and_b32_e32 v70, s85, v88
	v_lshlrev_b32_e32 v70, 2, v70
	ds_read_b32 v70, v70
	v_cmp_gt_i64_e64 s[66:67], 0, v[64:65]
	v_cndmask_b32_e64 v69, v133, 0, s[66:67]
	v_ashrrev_i32_e32 v73, 31, v65
	v_not_b32_e32 v73, v73
	s_waitcnt lgkmcnt(0)
	v_add_u32_e32 v70, v70, v30
	v_lshlrev_b64 v[70:71], 3, v[70:71]
	v_xor_b32_e32 v65, v69, v65
	v_mov_b32_e32 v69, s75
	v_add_co_u32_e32 v70, vcc, s74, v70
	v_xor_b32_e32 v64, v73, v64
	v_addc_co_u32_e32 v71, vcc, v69, v71, vcc
	global_store_dwordx2 v[70:71], v[64:65], off
	s_or_b64 exec, exec, s[70:71]
	v_cmp_lt_u32_e64 s[66:67], v32, v183
	s_and_saveexec_b64 s[94:95], s[66:67]
	s_cbranch_execnz .LBB1148_802
	s_branch .LBB1148_803
.LBB1148_787:                           ;   in Loop: Header=BB1148_693 Depth=2
	s_or_b64 exec, exec, s[40:41]
	v_cmp_lt_u32_e64 s[38:39], v7, v183
	s_and_saveexec_b64 s[42:43], s[38:39]
	s_cbranch_execz .LBB1148_773
.LBB1148_788:                           ;   in Loop: Header=BB1148_693 Depth=2
	ds_read_b64 v[64:65], v104 offset:2048
	v_mov_b32_e32 v71, v4
	s_waitcnt lgkmcnt(0)
	v_cmp_ne_u64_e32 vcc, s[90:91], v[64:65]
	v_cndmask_b32_e32 v89, v133, v65, vcc
	v_cndmask_b32_e32 v88, -1, v64, vcc
	v_lshrrev_b64 v[88:89], s84, v[88:89]
	v_and_b32_e32 v70, s85, v88
	v_lshlrev_b32_e32 v70, 2, v70
	ds_read_b32 v70, v70
	v_cmp_gt_i64_e64 s[40:41], 0, v[64:65]
	v_cndmask_b32_e64 v69, v133, 0, s[40:41]
	v_ashrrev_i32_e32 v73, 31, v65
	v_not_b32_e32 v73, v73
	s_waitcnt lgkmcnt(0)
	v_add_u32_e32 v70, v70, v7
	v_lshlrev_b64 v[70:71], 3, v[70:71]
	v_xor_b32_e32 v65, v69, v65
	v_mov_b32_e32 v69, s75
	v_add_co_u32_e32 v70, vcc, s74, v70
	v_xor_b32_e32 v64, v73, v64
	v_addc_co_u32_e32 v71, vcc, v69, v71, vcc
	global_store_dwordx2 v[70:71], v[64:65], off
	s_or_b64 exec, exec, s[42:43]
	v_cmp_lt_u32_e64 s[40:41], v6, v183
	s_and_saveexec_b64 s[44:45], s[40:41]
	s_cbranch_execnz .LBB1148_774
.LBB1148_789:                           ;   in Loop: Header=BB1148_693 Depth=2
	s_or_b64 exec, exec, s[44:45]
	v_cmp_lt_u32_e64 s[42:43], v8, v183
	s_and_saveexec_b64 s[46:47], s[42:43]
	s_cbranch_execz .LBB1148_775
.LBB1148_790:                           ;   in Loop: Header=BB1148_693 Depth=2
	ds_read_b64 v[64:65], v104 offset:6144
	v_mov_b32_e32 v71, v4
	s_waitcnt lgkmcnt(0)
	v_cmp_ne_u64_e32 vcc, s[90:91], v[64:65]
	v_cndmask_b32_e32 v89, v133, v65, vcc
	v_cndmask_b32_e32 v88, -1, v64, vcc
	v_lshrrev_b64 v[88:89], s84, v[88:89]
	v_and_b32_e32 v70, s85, v88
	v_lshlrev_b32_e32 v70, 2, v70
	ds_read_b32 v70, v70
	v_cmp_gt_i64_e64 s[44:45], 0, v[64:65]
	v_cndmask_b32_e64 v69, v133, 0, s[44:45]
	v_ashrrev_i32_e32 v73, 31, v65
	v_not_b32_e32 v73, v73
	s_waitcnt lgkmcnt(0)
	v_add_u32_e32 v70, v70, v8
	v_lshlrev_b64 v[70:71], 3, v[70:71]
	v_xor_b32_e32 v65, v69, v65
	v_mov_b32_e32 v69, s75
	v_add_co_u32_e32 v70, vcc, s74, v70
	v_xor_b32_e32 v64, v73, v64
	v_addc_co_u32_e32 v71, vcc, v69, v71, vcc
	global_store_dwordx2 v[70:71], v[64:65], off
	s_or_b64 exec, exec, s[46:47]
	v_cmp_lt_u32_e64 s[44:45], v10, v183
	s_and_saveexec_b64 s[48:49], s[44:45]
	s_cbranch_execnz .LBB1148_776
.LBB1148_791:                           ;   in Loop: Header=BB1148_693 Depth=2
	s_or_b64 exec, exec, s[48:49]
	v_cmp_lt_u32_e64 s[46:47], v12, v183
	s_and_saveexec_b64 s[50:51], s[46:47]
	s_cbranch_execz .LBB1148_777
.LBB1148_792:                           ;   in Loop: Header=BB1148_693 Depth=2
	ds_read_b64 v[64:65], v104 offset:10240
	v_mov_b32_e32 v71, v4
	s_waitcnt lgkmcnt(0)
	v_cmp_ne_u64_e32 vcc, s[90:91], v[64:65]
	v_cndmask_b32_e32 v89, v133, v65, vcc
	v_cndmask_b32_e32 v88, -1, v64, vcc
	v_lshrrev_b64 v[88:89], s84, v[88:89]
	v_and_b32_e32 v70, s85, v88
	v_lshlrev_b32_e32 v70, 2, v70
	ds_read_b32 v70, v70
	v_cmp_gt_i64_e64 s[48:49], 0, v[64:65]
	v_cndmask_b32_e64 v69, v133, 0, s[48:49]
	v_ashrrev_i32_e32 v73, 31, v65
	v_not_b32_e32 v73, v73
	s_waitcnt lgkmcnt(0)
	v_add_u32_e32 v70, v70, v12
	v_lshlrev_b64 v[70:71], 3, v[70:71]
	v_xor_b32_e32 v65, v69, v65
	v_mov_b32_e32 v69, s75
	v_add_co_u32_e32 v70, vcc, s74, v70
	v_xor_b32_e32 v64, v73, v64
	v_addc_co_u32_e32 v71, vcc, v69, v71, vcc
	global_store_dwordx2 v[70:71], v[64:65], off
	s_or_b64 exec, exec, s[50:51]
	v_cmp_lt_u32_e64 s[48:49], v14, v183
	s_and_saveexec_b64 s[52:53], s[48:49]
	s_cbranch_execnz .LBB1148_778
.LBB1148_793:                           ;   in Loop: Header=BB1148_693 Depth=2
	s_or_b64 exec, exec, s[52:53]
	v_cmp_lt_u32_e64 s[50:51], v16, v183
	s_and_saveexec_b64 s[54:55], s[50:51]
	s_cbranch_execz .LBB1148_779
.LBB1148_794:                           ;   in Loop: Header=BB1148_693 Depth=2
	ds_read_b64 v[64:65], v104 offset:14336
	v_mov_b32_e32 v71, v4
	s_waitcnt lgkmcnt(0)
	v_cmp_ne_u64_e32 vcc, s[90:91], v[64:65]
	v_cndmask_b32_e32 v89, v133, v65, vcc
	v_cndmask_b32_e32 v88, -1, v64, vcc
	v_lshrrev_b64 v[88:89], s84, v[88:89]
	v_and_b32_e32 v70, s85, v88
	v_lshlrev_b32_e32 v70, 2, v70
	ds_read_b32 v70, v70
	v_cmp_gt_i64_e64 s[52:53], 0, v[64:65]
	v_cndmask_b32_e64 v69, v133, 0, s[52:53]
	v_ashrrev_i32_e32 v73, 31, v65
	v_not_b32_e32 v73, v73
	s_waitcnt lgkmcnt(0)
	v_add_u32_e32 v70, v70, v16
	v_lshlrev_b64 v[70:71], 3, v[70:71]
	v_xor_b32_e32 v65, v69, v65
	v_mov_b32_e32 v69, s75
	v_add_co_u32_e32 v70, vcc, s74, v70
	v_xor_b32_e32 v64, v73, v64
	v_addc_co_u32_e32 v71, vcc, v69, v71, vcc
	global_store_dwordx2 v[70:71], v[64:65], off
	s_or_b64 exec, exec, s[54:55]
	v_cmp_lt_u32_e64 s[52:53], v18, v183
	s_and_saveexec_b64 s[56:57], s[52:53]
	s_cbranch_execnz .LBB1148_780
.LBB1148_795:                           ;   in Loop: Header=BB1148_693 Depth=2
	s_or_b64 exec, exec, s[56:57]
	v_cmp_lt_u32_e64 s[54:55], v20, v183
	s_and_saveexec_b64 s[58:59], s[54:55]
	s_cbranch_execz .LBB1148_781
.LBB1148_796:                           ;   in Loop: Header=BB1148_693 Depth=2
	ds_read_b64 v[64:65], v104 offset:18432
	v_mov_b32_e32 v71, v4
	s_waitcnt lgkmcnt(0)
	v_cmp_ne_u64_e32 vcc, s[90:91], v[64:65]
	v_cndmask_b32_e32 v89, v133, v65, vcc
	v_cndmask_b32_e32 v88, -1, v64, vcc
	v_lshrrev_b64 v[88:89], s84, v[88:89]
	v_and_b32_e32 v70, s85, v88
	v_lshlrev_b32_e32 v70, 2, v70
	ds_read_b32 v70, v70
	v_cmp_gt_i64_e64 s[56:57], 0, v[64:65]
	v_cndmask_b32_e64 v69, v133, 0, s[56:57]
	v_ashrrev_i32_e32 v73, 31, v65
	v_not_b32_e32 v73, v73
	s_waitcnt lgkmcnt(0)
	v_add_u32_e32 v70, v70, v20
	v_lshlrev_b64 v[70:71], 3, v[70:71]
	v_xor_b32_e32 v65, v69, v65
	v_mov_b32_e32 v69, s75
	v_add_co_u32_e32 v70, vcc, s74, v70
	v_xor_b32_e32 v64, v73, v64
	v_addc_co_u32_e32 v71, vcc, v69, v71, vcc
	global_store_dwordx2 v[70:71], v[64:65], off
	s_or_b64 exec, exec, s[58:59]
	v_cmp_lt_u32_e64 s[56:57], v22, v183
	s_and_saveexec_b64 s[60:61], s[56:57]
	s_cbranch_execnz .LBB1148_782
.LBB1148_797:                           ;   in Loop: Header=BB1148_693 Depth=2
	s_or_b64 exec, exec, s[60:61]
	v_cmp_lt_u32_e64 s[58:59], v24, v183
	s_and_saveexec_b64 s[62:63], s[58:59]
	s_cbranch_execz .LBB1148_783
.LBB1148_798:                           ;   in Loop: Header=BB1148_693 Depth=2
	ds_read_b64 v[64:65], v104 offset:22528
	v_mov_b32_e32 v71, v4
	s_waitcnt lgkmcnt(0)
	v_cmp_ne_u64_e32 vcc, s[90:91], v[64:65]
	v_cndmask_b32_e32 v89, v133, v65, vcc
	v_cndmask_b32_e32 v88, -1, v64, vcc
	v_lshrrev_b64 v[88:89], s84, v[88:89]
	v_and_b32_e32 v70, s85, v88
	v_lshlrev_b32_e32 v70, 2, v70
	ds_read_b32 v70, v70
	v_cmp_gt_i64_e64 s[60:61], 0, v[64:65]
	v_cndmask_b32_e64 v69, v133, 0, s[60:61]
	v_ashrrev_i32_e32 v73, 31, v65
	v_not_b32_e32 v73, v73
	s_waitcnt lgkmcnt(0)
	v_add_u32_e32 v70, v70, v24
	v_lshlrev_b64 v[70:71], 3, v[70:71]
	v_xor_b32_e32 v65, v69, v65
	v_mov_b32_e32 v69, s75
	v_add_co_u32_e32 v70, vcc, s74, v70
	v_xor_b32_e32 v64, v73, v64
	v_addc_co_u32_e32 v71, vcc, v69, v71, vcc
	global_store_dwordx2 v[70:71], v[64:65], off
	s_or_b64 exec, exec, s[62:63]
	v_cmp_lt_u32_e64 s[60:61], v26, v183
	s_and_saveexec_b64 s[64:65], s[60:61]
	s_cbranch_execnz .LBB1148_784
.LBB1148_799:                           ;   in Loop: Header=BB1148_693 Depth=2
	s_or_b64 exec, exec, s[64:65]
	v_cmp_lt_u32_e64 s[62:63], v28, v183
	s_and_saveexec_b64 s[66:67], s[62:63]
	s_cbranch_execz .LBB1148_785
.LBB1148_800:                           ;   in Loop: Header=BB1148_693 Depth=2
	ds_read_b64 v[64:65], v104 offset:26624
	v_mov_b32_e32 v71, v4
	s_waitcnt lgkmcnt(0)
	v_cmp_ne_u64_e32 vcc, s[90:91], v[64:65]
	v_cndmask_b32_e32 v89, v133, v65, vcc
	v_cndmask_b32_e32 v88, -1, v64, vcc
	v_lshrrev_b64 v[88:89], s84, v[88:89]
	v_and_b32_e32 v70, s85, v88
	v_lshlrev_b32_e32 v70, 2, v70
	ds_read_b32 v70, v70
	v_cmp_gt_i64_e64 s[64:65], 0, v[64:65]
	v_cndmask_b32_e64 v69, v133, 0, s[64:65]
	v_ashrrev_i32_e32 v73, 31, v65
	v_not_b32_e32 v73, v73
	s_waitcnt lgkmcnt(0)
	v_add_u32_e32 v70, v70, v28
	v_lshlrev_b64 v[70:71], 3, v[70:71]
	v_xor_b32_e32 v65, v69, v65
	v_mov_b32_e32 v69, s75
	v_add_co_u32_e32 v70, vcc, s74, v70
	v_xor_b32_e32 v64, v73, v64
	v_addc_co_u32_e32 v71, vcc, v69, v71, vcc
	global_store_dwordx2 v[70:71], v[64:65], off
	s_or_b64 exec, exec, s[66:67]
	v_cmp_lt_u32_e64 s[64:65], v30, v183
	s_and_saveexec_b64 s[70:71], s[64:65]
	s_cbranch_execnz .LBB1148_786
.LBB1148_801:                           ;   in Loop: Header=BB1148_693 Depth=2
	s_or_b64 exec, exec, s[70:71]
	v_cmp_lt_u32_e64 s[66:67], v32, v183
	s_and_saveexec_b64 s[94:95], s[66:67]
	s_cbranch_execz .LBB1148_803
.LBB1148_802:                           ;   in Loop: Header=BB1148_693 Depth=2
	ds_read_b64 v[64:65], v104 offset:30720
	v_mov_b32_e32 v71, v4
	s_waitcnt lgkmcnt(0)
	v_cmp_ne_u64_e32 vcc, s[90:91], v[64:65]
	v_cndmask_b32_e32 v89, v133, v65, vcc
	v_cndmask_b32_e32 v88, -1, v64, vcc
	v_lshrrev_b64 v[88:89], s84, v[88:89]
	v_and_b32_e32 v70, s85, v88
	v_lshlrev_b32_e32 v70, 2, v70
	ds_read_b32 v70, v70
	v_cmp_gt_i64_e64 s[70:71], 0, v[64:65]
	v_cndmask_b32_e64 v69, v133, 0, s[70:71]
	v_ashrrev_i32_e32 v73, 31, v65
	v_not_b32_e32 v73, v73
	s_waitcnt lgkmcnt(0)
	v_add_u32_e32 v70, v70, v32
	v_lshlrev_b64 v[70:71], 3, v[70:71]
	v_xor_b32_e32 v65, v69, v65
	v_mov_b32_e32 v69, s75
	v_add_co_u32_e32 v70, vcc, s74, v70
	v_xor_b32_e32 v64, v73, v64
	v_addc_co_u32_e32 v71, vcc, v69, v71, vcc
	global_store_dwordx2 v[70:71], v[64:65], off
.LBB1148_803:                           ;   in Loop: Header=BB1148_693 Depth=2
	s_or_b64 exec, exec, s[94:95]
	s_mov_b32 s79, s90
	s_lshl_b64 s[70:71], s[78:79], 3
	v_mov_b32_e32 v65, s71
	v_add_co_u32_e32 v64, vcc, s70, v160
	v_addc_co_u32_e32 v65, vcc, v161, v65, vcc
	v_cmp_lt_u32_e32 vcc, v143, v183
	s_and_saveexec_b64 s[70:71], vcc
	s_xor_b64 s[70:71], exec, s[70:71]
	s_cbranch_execz .LBB1148_835
; %bb.804:                              ;   in Loop: Header=BB1148_693 Depth=2
	global_load_dwordx2 v[62:63], v[64:65], off
	s_or_b64 exec, exec, s[70:71]
	v_cmp_lt_u32_e32 vcc, v144, v183
	s_and_saveexec_b64 s[70:71], vcc
	s_cbranch_execnz .LBB1148_836
.LBB1148_805:                           ;   in Loop: Header=BB1148_693 Depth=2
	s_or_b64 exec, exec, s[70:71]
	v_cmp_lt_u32_e32 vcc, v145, v183
	s_and_saveexec_b64 s[70:71], vcc
	s_cbranch_execz .LBB1148_837
.LBB1148_806:                           ;   in Loop: Header=BB1148_693 Depth=2
	global_load_dwordx2 v[58:59], v[64:65], off offset:1024
	s_or_b64 exec, exec, s[70:71]
	v_cmp_lt_u32_e32 vcc, v146, v183
	s_and_saveexec_b64 s[70:71], vcc
	s_cbranch_execnz .LBB1148_838
.LBB1148_807:                           ;   in Loop: Header=BB1148_693 Depth=2
	s_or_b64 exec, exec, s[70:71]
	v_cmp_lt_u32_e32 vcc, v147, v183
	s_and_saveexec_b64 s[70:71], vcc
	s_cbranch_execz .LBB1148_839
.LBB1148_808:                           ;   in Loop: Header=BB1148_693 Depth=2
	global_load_dwordx2 v[50:51], v[64:65], off offset:2048
	s_or_b64 exec, exec, s[70:71]
	v_cmp_lt_u32_e32 vcc, v148, v183
	s_and_saveexec_b64 s[70:71], vcc
	s_cbranch_execnz .LBB1148_840
.LBB1148_809:                           ;   in Loop: Header=BB1148_693 Depth=2
	s_or_b64 exec, exec, s[70:71]
	v_cmp_lt_u32_e32 vcc, v149, v183
	s_and_saveexec_b64 s[70:71], vcc
	s_cbranch_execz .LBB1148_841
.LBB1148_810:                           ;   in Loop: Header=BB1148_693 Depth=2
	global_load_dwordx2 v[42:43], v[64:65], off offset:3072
	s_or_b64 exec, exec, s[70:71]
	v_cmp_lt_u32_e32 vcc, v150, v183
	s_and_saveexec_b64 s[70:71], vcc
	s_cbranch_execnz .LBB1148_842
.LBB1148_811:                           ;   in Loop: Header=BB1148_693 Depth=2
	s_or_b64 exec, exec, s[70:71]
	v_cmp_lt_u32_e32 vcc, v151, v183
	s_and_saveexec_b64 s[70:71], vcc
	s_cbranch_execz .LBB1148_843
.LBB1148_812:                           ;   in Loop: Header=BB1148_693 Depth=2
	v_add_co_u32_e32 v56, vcc, 0x1000, v64
	v_addc_co_u32_e32 v57, vcc, 0, v65, vcc
	global_load_dwordx2 v[56:57], v[56:57], off
	s_or_b64 exec, exec, s[70:71]
	v_cmp_lt_u32_e32 vcc, v152, v183
	s_and_saveexec_b64 s[70:71], vcc
	s_cbranch_execnz .LBB1148_844
.LBB1148_813:                           ;   in Loop: Header=BB1148_693 Depth=2
	s_or_b64 exec, exec, s[70:71]
	v_cmp_lt_u32_e32 vcc, v153, v183
	s_and_saveexec_b64 s[70:71], vcc
	s_cbranch_execz .LBB1148_845
.LBB1148_814:                           ;   in Loop: Header=BB1148_693 Depth=2
	v_add_co_u32_e32 v48, vcc, 0x1000, v64
	v_addc_co_u32_e32 v49, vcc, 0, v65, vcc
	global_load_dwordx2 v[48:49], v[48:49], off offset:1024
	s_or_b64 exec, exec, s[70:71]
	v_cmp_lt_u32_e32 vcc, v154, v183
	s_and_saveexec_b64 s[70:71], vcc
	s_cbranch_execnz .LBB1148_846
.LBB1148_815:                           ;   in Loop: Header=BB1148_693 Depth=2
	s_or_b64 exec, exec, s[70:71]
	v_cmp_lt_u32_e32 vcc, v155, v183
	s_and_saveexec_b64 s[70:71], vcc
	s_cbranch_execz .LBB1148_847
.LBB1148_816:                           ;   in Loop: Header=BB1148_693 Depth=2
	v_add_co_u32_e32 v40, vcc, 0x1000, v64
	v_addc_co_u32_e32 v41, vcc, 0, v65, vcc
	global_load_dwordx2 v[40:41], v[40:41], off offset:2048
	s_or_b64 exec, exec, s[70:71]
	v_cmp_lt_u32_e32 vcc, v156, v183
	s_and_saveexec_b64 s[70:71], vcc
	s_cbranch_execnz .LBB1148_848
.LBB1148_817:                           ;   in Loop: Header=BB1148_693 Depth=2
	s_or_b64 exec, exec, s[70:71]
	v_cmp_lt_u32_e32 vcc, v157, v183
	s_and_saveexec_b64 s[70:71], vcc
	s_cbranch_execz .LBB1148_849
.LBB1148_818:                           ;   in Loop: Header=BB1148_693 Depth=2
	v_add_co_u32_e32 v34, vcc, 0x1000, v64
	v_addc_co_u32_e32 v35, vcc, 0, v65, vcc
	global_load_dwordx2 v[34:35], v[34:35], off offset:3072
	s_or_b64 exec, exec, s[70:71]
	v_cmp_lt_u32_e32 vcc, v158, v183
	s_and_saveexec_b64 s[70:71], vcc
	s_cbranch_execnz .LBB1148_850
.LBB1148_819:                           ;   in Loop: Header=BB1148_693 Depth=2
	s_or_b64 exec, exec, s[70:71]
	s_and_saveexec_b64 s[70:71], s[36:37]
	s_cbranch_execz .LBB1148_851
.LBB1148_820:                           ;   in Loop: Header=BB1148_693 Depth=2
	v_add_u32_e32 v64, v33, v3
	ds_read_b64 v[64:65], v64 offset:1024
	s_waitcnt lgkmcnt(0)
	v_cmp_ne_u64_e32 vcc, s[90:91], v[64:65]
	v_cndmask_b32_e32 v65, v133, v65, vcc
	v_cndmask_b32_e32 v64, -1, v64, vcc
	v_lshrrev_b64 v[64:65], s84, v[64:65]
	v_and_b32_e32 v182, s85, v64
	s_or_b64 exec, exec, s[70:71]
	s_and_saveexec_b64 s[70:71], s[38:39]
	s_cbranch_execnz .LBB1148_852
.LBB1148_821:                           ;   in Loop: Header=BB1148_693 Depth=2
	s_or_b64 exec, exec, s[70:71]
	s_and_saveexec_b64 s[70:71], s[40:41]
	s_cbranch_execz .LBB1148_853
.LBB1148_822:                           ;   in Loop: Header=BB1148_693 Depth=2
	ds_read_b64 v[64:65], v104 offset:4096
	s_waitcnt lgkmcnt(0)
	v_cmp_ne_u64_e32 vcc, s[90:91], v[64:65]
	v_cndmask_b32_e32 v65, v133, v65, vcc
	v_cndmask_b32_e32 v64, -1, v64, vcc
	v_lshrrev_b64 v[64:65], s84, v[64:65]
	v_and_b32_e32 v180, s85, v64
	s_or_b64 exec, exec, s[70:71]
	s_and_saveexec_b64 s[70:71], s[42:43]
	s_cbranch_execnz .LBB1148_854
.LBB1148_823:                           ;   in Loop: Header=BB1148_693 Depth=2
	s_or_b64 exec, exec, s[70:71]
	s_and_saveexec_b64 s[70:71], s[44:45]
	s_cbranch_execz .LBB1148_855
.LBB1148_824:                           ;   in Loop: Header=BB1148_693 Depth=2
	ds_read_b64 v[64:65], v104 offset:8192
	s_waitcnt lgkmcnt(0)
	v_cmp_ne_u64_e32 vcc, s[90:91], v[64:65]
	v_cndmask_b32_e32 v65, v133, v65, vcc
	v_cndmask_b32_e32 v64, -1, v64, vcc
	v_lshrrev_b64 v[64:65], s84, v[64:65]
	v_and_b32_e32 v178, s85, v64
	s_or_b64 exec, exec, s[70:71]
	s_and_saveexec_b64 s[70:71], s[46:47]
	s_cbranch_execnz .LBB1148_856
.LBB1148_825:                           ;   in Loop: Header=BB1148_693 Depth=2
	s_or_b64 exec, exec, s[70:71]
	s_and_saveexec_b64 s[70:71], s[48:49]
	s_cbranch_execz .LBB1148_857
.LBB1148_826:                           ;   in Loop: Header=BB1148_693 Depth=2
	ds_read_b64 v[64:65], v104 offset:12288
	s_waitcnt lgkmcnt(0)
	v_cmp_ne_u64_e32 vcc, s[90:91], v[64:65]
	v_cndmask_b32_e32 v65, v133, v65, vcc
	v_cndmask_b32_e32 v64, -1, v64, vcc
	v_lshrrev_b64 v[64:65], s84, v[64:65]
	v_and_b32_e32 v175, s85, v64
	s_or_b64 exec, exec, s[70:71]
	s_and_saveexec_b64 s[70:71], s[50:51]
	s_cbranch_execnz .LBB1148_858
.LBB1148_827:                           ;   in Loop: Header=BB1148_693 Depth=2
	s_or_b64 exec, exec, s[70:71]
	s_and_saveexec_b64 s[70:71], s[52:53]
	s_cbranch_execz .LBB1148_859
.LBB1148_828:                           ;   in Loop: Header=BB1148_693 Depth=2
	ds_read_b64 v[64:65], v104 offset:16384
	s_waitcnt lgkmcnt(0)
	v_cmp_ne_u64_e32 vcc, s[90:91], v[64:65]
	v_cndmask_b32_e32 v65, v133, v65, vcc
	v_cndmask_b32_e32 v64, -1, v64, vcc
	v_lshrrev_b64 v[64:65], s84, v[64:65]
	v_and_b32_e32 v172, s85, v64
	s_or_b64 exec, exec, s[70:71]
	s_and_saveexec_b64 s[70:71], s[54:55]
	s_cbranch_execnz .LBB1148_860
.LBB1148_829:                           ;   in Loop: Header=BB1148_693 Depth=2
	s_or_b64 exec, exec, s[70:71]
	s_and_saveexec_b64 s[70:71], s[56:57]
	s_cbranch_execz .LBB1148_861
.LBB1148_830:                           ;   in Loop: Header=BB1148_693 Depth=2
	ds_read_b64 v[64:65], v104 offset:20480
	s_waitcnt lgkmcnt(0)
	v_cmp_ne_u64_e32 vcc, s[90:91], v[64:65]
	v_cndmask_b32_e32 v65, v133, v65, vcc
	v_cndmask_b32_e32 v64, -1, v64, vcc
	v_lshrrev_b64 v[64:65], s84, v[64:65]
	v_and_b32_e32 v169, s85, v64
	s_or_b64 exec, exec, s[70:71]
	s_and_saveexec_b64 s[70:71], s[58:59]
	s_cbranch_execnz .LBB1148_862
.LBB1148_831:                           ;   in Loop: Header=BB1148_693 Depth=2
	s_or_b64 exec, exec, s[70:71]
	s_and_saveexec_b64 s[70:71], s[60:61]
	s_cbranch_execz .LBB1148_863
.LBB1148_832:                           ;   in Loop: Header=BB1148_693 Depth=2
	ds_read_b64 v[64:65], v104 offset:24576
	s_waitcnt lgkmcnt(0)
	v_cmp_ne_u64_e32 vcc, s[90:91], v[64:65]
	v_cndmask_b32_e32 v65, v133, v65, vcc
	v_cndmask_b32_e32 v64, -1, v64, vcc
	v_lshrrev_b64 v[64:65], s84, v[64:65]
	v_and_b32_e32 v167, s85, v64
	s_or_b64 exec, exec, s[70:71]
	s_and_saveexec_b64 s[70:71], s[62:63]
	s_cbranch_execnz .LBB1148_864
.LBB1148_833:                           ;   in Loop: Header=BB1148_693 Depth=2
	s_or_b64 exec, exec, s[70:71]
	s_and_saveexec_b64 s[70:71], s[64:65]
	s_cbranch_execz .LBB1148_865
.LBB1148_834:                           ;   in Loop: Header=BB1148_693 Depth=2
	ds_read_b64 v[64:65], v104 offset:28672
	s_waitcnt lgkmcnt(0)
	v_cmp_ne_u64_e32 vcc, s[90:91], v[64:65]
	v_cndmask_b32_e32 v65, v133, v65, vcc
	v_cndmask_b32_e32 v64, -1, v64, vcc
	v_lshrrev_b64 v[64:65], s84, v[64:65]
	v_and_b32_e32 v165, s85, v64
	s_or_b64 exec, exec, s[70:71]
	s_and_saveexec_b64 s[70:71], s[66:67]
	s_cbranch_execnz .LBB1148_866
	s_branch .LBB1148_867
.LBB1148_835:                           ;   in Loop: Header=BB1148_693 Depth=2
	s_or_b64 exec, exec, s[70:71]
	v_cmp_lt_u32_e32 vcc, v144, v183
	s_and_saveexec_b64 s[70:71], vcc
	s_cbranch_execz .LBB1148_805
.LBB1148_836:                           ;   in Loop: Header=BB1148_693 Depth=2
	global_load_dwordx2 v[60:61], v[64:65], off offset:512
	s_or_b64 exec, exec, s[70:71]
	v_cmp_lt_u32_e32 vcc, v145, v183
	s_and_saveexec_b64 s[70:71], vcc
	s_cbranch_execnz .LBB1148_806
.LBB1148_837:                           ;   in Loop: Header=BB1148_693 Depth=2
	s_or_b64 exec, exec, s[70:71]
	v_cmp_lt_u32_e32 vcc, v146, v183
	s_and_saveexec_b64 s[70:71], vcc
	s_cbranch_execz .LBB1148_807
.LBB1148_838:                           ;   in Loop: Header=BB1148_693 Depth=2
	global_load_dwordx2 v[54:55], v[64:65], off offset:1536
	s_or_b64 exec, exec, s[70:71]
	v_cmp_lt_u32_e32 vcc, v147, v183
	s_and_saveexec_b64 s[70:71], vcc
	s_cbranch_execnz .LBB1148_808
.LBB1148_839:                           ;   in Loop: Header=BB1148_693 Depth=2
	s_or_b64 exec, exec, s[70:71]
	v_cmp_lt_u32_e32 vcc, v148, v183
	s_and_saveexec_b64 s[70:71], vcc
	s_cbranch_execz .LBB1148_809
.LBB1148_840:                           ;   in Loop: Header=BB1148_693 Depth=2
	global_load_dwordx2 v[46:47], v[64:65], off offset:2560
	s_or_b64 exec, exec, s[70:71]
	v_cmp_lt_u32_e32 vcc, v149, v183
	s_and_saveexec_b64 s[70:71], vcc
	s_cbranch_execnz .LBB1148_810
.LBB1148_841:                           ;   in Loop: Header=BB1148_693 Depth=2
	s_or_b64 exec, exec, s[70:71]
	v_cmp_lt_u32_e32 vcc, v150, v183
	s_and_saveexec_b64 s[70:71], vcc
	s_cbranch_execz .LBB1148_811
.LBB1148_842:                           ;   in Loop: Header=BB1148_693 Depth=2
	global_load_dwordx2 v[38:39], v[64:65], off offset:3584
	s_or_b64 exec, exec, s[70:71]
	v_cmp_lt_u32_e32 vcc, v151, v183
	s_and_saveexec_b64 s[70:71], vcc
	s_cbranch_execnz .LBB1148_812
.LBB1148_843:                           ;   in Loop: Header=BB1148_693 Depth=2
	s_or_b64 exec, exec, s[70:71]
	v_cmp_lt_u32_e32 vcc, v152, v183
	s_and_saveexec_b64 s[70:71], vcc
	s_cbranch_execz .LBB1148_813
.LBB1148_844:                           ;   in Loop: Header=BB1148_693 Depth=2
	v_add_co_u32_e32 v52, vcc, 0x1000, v64
	v_addc_co_u32_e32 v53, vcc, 0, v65, vcc
	global_load_dwordx2 v[52:53], v[52:53], off offset:512
	s_or_b64 exec, exec, s[70:71]
	v_cmp_lt_u32_e32 vcc, v153, v183
	s_and_saveexec_b64 s[70:71], vcc
	s_cbranch_execnz .LBB1148_814
.LBB1148_845:                           ;   in Loop: Header=BB1148_693 Depth=2
	s_or_b64 exec, exec, s[70:71]
	v_cmp_lt_u32_e32 vcc, v154, v183
	s_and_saveexec_b64 s[70:71], vcc
	s_cbranch_execz .LBB1148_815
.LBB1148_846:                           ;   in Loop: Header=BB1148_693 Depth=2
	v_add_co_u32_e32 v44, vcc, 0x1000, v64
	v_addc_co_u32_e32 v45, vcc, 0, v65, vcc
	global_load_dwordx2 v[44:45], v[44:45], off offset:1536
	s_or_b64 exec, exec, s[70:71]
	v_cmp_lt_u32_e32 vcc, v155, v183
	s_and_saveexec_b64 s[70:71], vcc
	s_cbranch_execnz .LBB1148_816
.LBB1148_847:                           ;   in Loop: Header=BB1148_693 Depth=2
	s_or_b64 exec, exec, s[70:71]
	v_cmp_lt_u32_e32 vcc, v156, v183
	s_and_saveexec_b64 s[70:71], vcc
	s_cbranch_execz .LBB1148_817
.LBB1148_848:                           ;   in Loop: Header=BB1148_693 Depth=2
	v_add_co_u32_e32 v36, vcc, 0x1000, v64
	v_addc_co_u32_e32 v37, vcc, 0, v65, vcc
	global_load_dwordx2 v[36:37], v[36:37], off offset:2560
	s_or_b64 exec, exec, s[70:71]
	v_cmp_lt_u32_e32 vcc, v157, v183
	s_and_saveexec_b64 s[70:71], vcc
	s_cbranch_execnz .LBB1148_818
.LBB1148_849:                           ;   in Loop: Header=BB1148_693 Depth=2
	s_or_b64 exec, exec, s[70:71]
	v_cmp_lt_u32_e32 vcc, v158, v183
	s_and_saveexec_b64 s[70:71], vcc
	s_cbranch_execz .LBB1148_819
.LBB1148_850:                           ;   in Loop: Header=BB1148_693 Depth=2
	v_add_co_u32_e32 v0, vcc, 0x1000, v64
	v_addc_co_u32_e32 v1, vcc, 0, v65, vcc
	global_load_dwordx2 v[0:1], v[0:1], off offset:3584
	s_or_b64 exec, exec, s[70:71]
	s_and_saveexec_b64 s[70:71], s[36:37]
	s_cbranch_execnz .LBB1148_820
.LBB1148_851:                           ;   in Loop: Header=BB1148_693 Depth=2
	s_or_b64 exec, exec, s[70:71]
	s_and_saveexec_b64 s[70:71], s[38:39]
	s_cbranch_execz .LBB1148_821
.LBB1148_852:                           ;   in Loop: Header=BB1148_693 Depth=2
	ds_read_b64 v[64:65], v104 offset:2048
	s_waitcnt lgkmcnt(0)
	v_cmp_ne_u64_e32 vcc, s[90:91], v[64:65]
	v_cndmask_b32_e32 v65, v133, v65, vcc
	v_cndmask_b32_e32 v64, -1, v64, vcc
	v_lshrrev_b64 v[64:65], s84, v[64:65]
	v_and_b32_e32 v181, s85, v64
	s_or_b64 exec, exec, s[70:71]
	s_and_saveexec_b64 s[70:71], s[40:41]
	s_cbranch_execnz .LBB1148_822
.LBB1148_853:                           ;   in Loop: Header=BB1148_693 Depth=2
	s_or_b64 exec, exec, s[70:71]
	s_and_saveexec_b64 s[70:71], s[42:43]
	s_cbranch_execz .LBB1148_823
.LBB1148_854:                           ;   in Loop: Header=BB1148_693 Depth=2
	ds_read_b64 v[64:65], v104 offset:6144
	s_waitcnt lgkmcnt(0)
	v_cmp_ne_u64_e32 vcc, s[90:91], v[64:65]
	v_cndmask_b32_e32 v65, v133, v65, vcc
	v_cndmask_b32_e32 v64, -1, v64, vcc
	v_lshrrev_b64 v[64:65], s84, v[64:65]
	v_and_b32_e32 v179, s85, v64
	s_or_b64 exec, exec, s[70:71]
	s_and_saveexec_b64 s[70:71], s[44:45]
	s_cbranch_execnz .LBB1148_824
.LBB1148_855:                           ;   in Loop: Header=BB1148_693 Depth=2
	s_or_b64 exec, exec, s[70:71]
	s_and_saveexec_b64 s[70:71], s[46:47]
	s_cbranch_execz .LBB1148_825
.LBB1148_856:                           ;   in Loop: Header=BB1148_693 Depth=2
	ds_read_b64 v[64:65], v104 offset:10240
	s_waitcnt lgkmcnt(0)
	v_cmp_ne_u64_e32 vcc, s[90:91], v[64:65]
	v_cndmask_b32_e32 v65, v133, v65, vcc
	v_cndmask_b32_e32 v64, -1, v64, vcc
	v_lshrrev_b64 v[64:65], s84, v[64:65]
	v_and_b32_e32 v176, s85, v64
	s_or_b64 exec, exec, s[70:71]
	s_and_saveexec_b64 s[70:71], s[48:49]
	s_cbranch_execnz .LBB1148_826
.LBB1148_857:                           ;   in Loop: Header=BB1148_693 Depth=2
	s_or_b64 exec, exec, s[70:71]
	s_and_saveexec_b64 s[70:71], s[50:51]
	s_cbranch_execz .LBB1148_827
.LBB1148_858:                           ;   in Loop: Header=BB1148_693 Depth=2
	ds_read_b64 v[64:65], v104 offset:14336
	s_waitcnt lgkmcnt(0)
	v_cmp_ne_u64_e32 vcc, s[90:91], v[64:65]
	v_cndmask_b32_e32 v65, v133, v65, vcc
	v_cndmask_b32_e32 v64, -1, v64, vcc
	v_lshrrev_b64 v[64:65], s84, v[64:65]
	v_and_b32_e32 v174, s85, v64
	s_or_b64 exec, exec, s[70:71]
	s_and_saveexec_b64 s[70:71], s[52:53]
	s_cbranch_execnz .LBB1148_828
.LBB1148_859:                           ;   in Loop: Header=BB1148_693 Depth=2
	s_or_b64 exec, exec, s[70:71]
	s_and_saveexec_b64 s[70:71], s[54:55]
	s_cbranch_execz .LBB1148_829
.LBB1148_860:                           ;   in Loop: Header=BB1148_693 Depth=2
	ds_read_b64 v[64:65], v104 offset:18432
	s_waitcnt lgkmcnt(0)
	v_cmp_ne_u64_e32 vcc, s[90:91], v[64:65]
	v_cndmask_b32_e32 v65, v133, v65, vcc
	v_cndmask_b32_e32 v64, -1, v64, vcc
	v_lshrrev_b64 v[64:65], s84, v[64:65]
	v_and_b32_e32 v171, s85, v64
	s_or_b64 exec, exec, s[70:71]
	s_and_saveexec_b64 s[70:71], s[56:57]
	s_cbranch_execnz .LBB1148_830
.LBB1148_861:                           ;   in Loop: Header=BB1148_693 Depth=2
	s_or_b64 exec, exec, s[70:71]
	s_and_saveexec_b64 s[70:71], s[58:59]
	s_cbranch_execz .LBB1148_831
.LBB1148_862:                           ;   in Loop: Header=BB1148_693 Depth=2
	ds_read_b64 v[64:65], v104 offset:22528
	s_waitcnt lgkmcnt(0)
	v_cmp_ne_u64_e32 vcc, s[90:91], v[64:65]
	v_cndmask_b32_e32 v65, v133, v65, vcc
	v_cndmask_b32_e32 v64, -1, v64, vcc
	v_lshrrev_b64 v[64:65], s84, v[64:65]
	v_and_b32_e32 v168, s85, v64
	s_or_b64 exec, exec, s[70:71]
	s_and_saveexec_b64 s[70:71], s[60:61]
	s_cbranch_execnz .LBB1148_832
.LBB1148_863:                           ;   in Loop: Header=BB1148_693 Depth=2
	s_or_b64 exec, exec, s[70:71]
	s_and_saveexec_b64 s[70:71], s[62:63]
	s_cbranch_execz .LBB1148_833
.LBB1148_864:                           ;   in Loop: Header=BB1148_693 Depth=2
	ds_read_b64 v[64:65], v104 offset:26624
	s_waitcnt lgkmcnt(0)
	v_cmp_ne_u64_e32 vcc, s[90:91], v[64:65]
	v_cndmask_b32_e32 v65, v133, v65, vcc
	v_cndmask_b32_e32 v64, -1, v64, vcc
	v_lshrrev_b64 v[64:65], s84, v[64:65]
	v_and_b32_e32 v166, s85, v64
	s_or_b64 exec, exec, s[70:71]
	s_and_saveexec_b64 s[70:71], s[64:65]
	s_cbranch_execnz .LBB1148_834
.LBB1148_865:                           ;   in Loop: Header=BB1148_693 Depth=2
	s_or_b64 exec, exec, s[70:71]
	s_and_saveexec_b64 s[70:71], s[66:67]
	s_cbranch_execz .LBB1148_867
.LBB1148_866:                           ;   in Loop: Header=BB1148_693 Depth=2
	ds_read_b64 v[64:65], v104 offset:30720
	s_waitcnt lgkmcnt(0)
	v_cmp_ne_u64_e32 vcc, s[90:91], v[64:65]
	v_cndmask_b32_e32 v65, v133, v65, vcc
	v_cndmask_b32_e32 v64, -1, v64, vcc
	v_lshrrev_b64 v[64:65], s84, v[64:65]
	v_and_b32_e32 v164, s85, v64
.LBB1148_867:                           ;   in Loop: Header=BB1148_693 Depth=2
	s_or_b64 exec, exec, s[70:71]
	v_add_u32_e32 v64, 0x400, v96
	v_add_u32_e32 v65, 0x400, v97
	;; [unrolled: 1-line block ×16, first 2 shown]
	s_barrier
	s_waitcnt vmcnt(0)
	ds_write_b64 v64, v[62:63]
	ds_write_b64 v65, v[60:61]
	;; [unrolled: 1-line block ×16, first 2 shown]
	s_waitcnt lgkmcnt(0)
	s_barrier
	s_and_saveexec_b64 s[70:71], s[36:37]
	s_cbranch_execz .LBB1148_883
; %bb.868:                              ;   in Loop: Header=BB1148_693 Depth=2
	v_lshlrev_b32_e32 v64, 2, v182
	ds_read_b32 v66, v64
	v_add_u32_e32 v64, v33, v3
	ds_read_b64 v[64:65], v64 offset:1024
	v_mov_b32_e32 v67, v4
	v_mov_b32_e32 v68, s81
	s_waitcnt lgkmcnt(1)
	v_add_u32_e32 v66, v66, v2
	v_lshlrev_b64 v[66:67], 3, v[66:67]
	v_add_co_u32_e32 v66, vcc, s80, v66
	v_addc_co_u32_e32 v67, vcc, v68, v67, vcc
	s_waitcnt lgkmcnt(0)
	global_store_dwordx2 v[66:67], v[64:65], off
	s_or_b64 exec, exec, s[70:71]
	s_and_saveexec_b64 s[36:37], s[38:39]
	s_cbranch_execnz .LBB1148_884
.LBB1148_869:                           ;   in Loop: Header=BB1148_693 Depth=2
	s_or_b64 exec, exec, s[36:37]
	s_and_saveexec_b64 s[36:37], s[40:41]
	s_cbranch_execz .LBB1148_885
.LBB1148_870:                           ;   in Loop: Header=BB1148_693 Depth=2
	v_lshlrev_b32_e32 v64, 2, v180
	ds_read_b32 v66, v64
	ds_read_b64 v[64:65], v104 offset:4096
	v_mov_b32_e32 v67, v4
	v_mov_b32_e32 v68, s81
	s_waitcnt lgkmcnt(1)
	v_add_u32_e32 v66, v66, v6
	v_lshlrev_b64 v[66:67], 3, v[66:67]
	v_add_co_u32_e32 v66, vcc, s80, v66
	v_addc_co_u32_e32 v67, vcc, v68, v67, vcc
	s_waitcnt lgkmcnt(0)
	global_store_dwordx2 v[66:67], v[64:65], off
	s_or_b64 exec, exec, s[36:37]
	s_and_saveexec_b64 s[36:37], s[42:43]
	s_cbranch_execnz .LBB1148_886
.LBB1148_871:                           ;   in Loop: Header=BB1148_693 Depth=2
	s_or_b64 exec, exec, s[36:37]
	s_and_saveexec_b64 s[36:37], s[44:45]
	s_cbranch_execz .LBB1148_887
.LBB1148_872:                           ;   in Loop: Header=BB1148_693 Depth=2
	v_lshlrev_b32_e32 v64, 2, v178
	ds_read_b32 v66, v64
	ds_read_b64 v[64:65], v104 offset:8192
	v_mov_b32_e32 v67, v4
	v_mov_b32_e32 v68, s81
	s_waitcnt lgkmcnt(1)
	v_add_u32_e32 v66, v66, v10
	v_lshlrev_b64 v[66:67], 3, v[66:67]
	v_add_co_u32_e32 v66, vcc, s80, v66
	v_addc_co_u32_e32 v67, vcc, v68, v67, vcc
	s_waitcnt lgkmcnt(0)
	global_store_dwordx2 v[66:67], v[64:65], off
	s_or_b64 exec, exec, s[36:37]
	s_and_saveexec_b64 s[36:37], s[46:47]
	s_cbranch_execnz .LBB1148_888
.LBB1148_873:                           ;   in Loop: Header=BB1148_693 Depth=2
	s_or_b64 exec, exec, s[36:37]
	s_and_saveexec_b64 s[36:37], s[48:49]
	s_cbranch_execz .LBB1148_889
.LBB1148_874:                           ;   in Loop: Header=BB1148_693 Depth=2
	v_lshlrev_b32_e32 v64, 2, v175
	ds_read_b32 v66, v64
	ds_read_b64 v[64:65], v104 offset:12288
	v_mov_b32_e32 v67, v4
	v_mov_b32_e32 v68, s81
	s_waitcnt lgkmcnt(1)
	v_add_u32_e32 v66, v66, v14
	v_lshlrev_b64 v[66:67], 3, v[66:67]
	v_add_co_u32_e32 v66, vcc, s80, v66
	v_addc_co_u32_e32 v67, vcc, v68, v67, vcc
	s_waitcnt lgkmcnt(0)
	global_store_dwordx2 v[66:67], v[64:65], off
	s_or_b64 exec, exec, s[36:37]
	s_and_saveexec_b64 s[36:37], s[50:51]
	s_cbranch_execnz .LBB1148_890
.LBB1148_875:                           ;   in Loop: Header=BB1148_693 Depth=2
	s_or_b64 exec, exec, s[36:37]
	s_and_saveexec_b64 s[36:37], s[52:53]
	s_cbranch_execz .LBB1148_891
.LBB1148_876:                           ;   in Loop: Header=BB1148_693 Depth=2
	v_lshlrev_b32_e32 v64, 2, v172
	ds_read_b32 v66, v64
	ds_read_b64 v[64:65], v104 offset:16384
	v_mov_b32_e32 v67, v4
	v_mov_b32_e32 v68, s81
	s_waitcnt lgkmcnt(1)
	v_add_u32_e32 v66, v66, v18
	v_lshlrev_b64 v[66:67], 3, v[66:67]
	v_add_co_u32_e32 v66, vcc, s80, v66
	v_addc_co_u32_e32 v67, vcc, v68, v67, vcc
	s_waitcnt lgkmcnt(0)
	global_store_dwordx2 v[66:67], v[64:65], off
	s_or_b64 exec, exec, s[36:37]
	s_and_saveexec_b64 s[36:37], s[54:55]
	s_cbranch_execnz .LBB1148_892
.LBB1148_877:                           ;   in Loop: Header=BB1148_693 Depth=2
	s_or_b64 exec, exec, s[36:37]
	s_and_saveexec_b64 s[36:37], s[56:57]
	s_cbranch_execz .LBB1148_893
.LBB1148_878:                           ;   in Loop: Header=BB1148_693 Depth=2
	v_lshlrev_b32_e32 v64, 2, v169
	ds_read_b32 v66, v64
	ds_read_b64 v[64:65], v104 offset:20480
	v_mov_b32_e32 v67, v4
	v_mov_b32_e32 v68, s81
	s_waitcnt lgkmcnt(1)
	v_add_u32_e32 v66, v66, v22
	v_lshlrev_b64 v[66:67], 3, v[66:67]
	v_add_co_u32_e32 v66, vcc, s80, v66
	v_addc_co_u32_e32 v67, vcc, v68, v67, vcc
	s_waitcnt lgkmcnt(0)
	global_store_dwordx2 v[66:67], v[64:65], off
	s_or_b64 exec, exec, s[36:37]
	s_and_saveexec_b64 s[36:37], s[58:59]
	s_cbranch_execnz .LBB1148_894
.LBB1148_879:                           ;   in Loop: Header=BB1148_693 Depth=2
	s_or_b64 exec, exec, s[36:37]
	s_and_saveexec_b64 s[36:37], s[60:61]
	s_cbranch_execz .LBB1148_895
.LBB1148_880:                           ;   in Loop: Header=BB1148_693 Depth=2
	v_lshlrev_b32_e32 v64, 2, v167
	ds_read_b32 v66, v64
	ds_read_b64 v[64:65], v104 offset:24576
	v_mov_b32_e32 v67, v4
	v_mov_b32_e32 v68, s81
	s_waitcnt lgkmcnt(1)
	v_add_u32_e32 v66, v66, v26
	v_lshlrev_b64 v[66:67], 3, v[66:67]
	v_add_co_u32_e32 v66, vcc, s80, v66
	v_addc_co_u32_e32 v67, vcc, v68, v67, vcc
	s_waitcnt lgkmcnt(0)
	global_store_dwordx2 v[66:67], v[64:65], off
	s_or_b64 exec, exec, s[36:37]
	s_and_saveexec_b64 s[36:37], s[62:63]
	s_cbranch_execnz .LBB1148_896
.LBB1148_881:                           ;   in Loop: Header=BB1148_693 Depth=2
	s_or_b64 exec, exec, s[36:37]
	s_and_saveexec_b64 s[36:37], s[64:65]
	s_cbranch_execz .LBB1148_897
.LBB1148_882:                           ;   in Loop: Header=BB1148_693 Depth=2
	v_lshlrev_b32_e32 v64, 2, v165
	ds_read_b32 v66, v64
	ds_read_b64 v[64:65], v104 offset:28672
	v_mov_b32_e32 v67, v4
	v_mov_b32_e32 v68, s81
	s_waitcnt lgkmcnt(1)
	v_add_u32_e32 v66, v66, v30
	v_lshlrev_b64 v[66:67], 3, v[66:67]
	v_add_co_u32_e32 v66, vcc, s80, v66
	v_addc_co_u32_e32 v67, vcc, v68, v67, vcc
	s_waitcnt lgkmcnt(0)
	global_store_dwordx2 v[66:67], v[64:65], off
	s_or_b64 exec, exec, s[36:37]
	s_and_saveexec_b64 s[36:37], s[66:67]
	s_cbranch_execnz .LBB1148_898
	s_branch .LBB1148_899
.LBB1148_883:                           ;   in Loop: Header=BB1148_693 Depth=2
	s_or_b64 exec, exec, s[70:71]
	s_and_saveexec_b64 s[36:37], s[38:39]
	s_cbranch_execz .LBB1148_869
.LBB1148_884:                           ;   in Loop: Header=BB1148_693 Depth=2
	v_lshlrev_b32_e32 v64, 2, v181
	ds_read_b32 v66, v64
	ds_read_b64 v[64:65], v104 offset:2048
	v_mov_b32_e32 v67, v4
	v_mov_b32_e32 v68, s81
	s_waitcnt lgkmcnt(1)
	v_add_u32_e32 v66, v66, v7
	v_lshlrev_b64 v[66:67], 3, v[66:67]
	v_add_co_u32_e32 v66, vcc, s80, v66
	v_addc_co_u32_e32 v67, vcc, v68, v67, vcc
	s_waitcnt lgkmcnt(0)
	global_store_dwordx2 v[66:67], v[64:65], off
	s_or_b64 exec, exec, s[36:37]
	s_and_saveexec_b64 s[36:37], s[40:41]
	s_cbranch_execnz .LBB1148_870
.LBB1148_885:                           ;   in Loop: Header=BB1148_693 Depth=2
	s_or_b64 exec, exec, s[36:37]
	s_and_saveexec_b64 s[36:37], s[42:43]
	s_cbranch_execz .LBB1148_871
.LBB1148_886:                           ;   in Loop: Header=BB1148_693 Depth=2
	v_lshlrev_b32_e32 v64, 2, v179
	ds_read_b32 v66, v64
	ds_read_b64 v[64:65], v104 offset:6144
	v_mov_b32_e32 v67, v4
	v_mov_b32_e32 v68, s81
	s_waitcnt lgkmcnt(1)
	v_add_u32_e32 v66, v66, v8
	v_lshlrev_b64 v[66:67], 3, v[66:67]
	v_add_co_u32_e32 v66, vcc, s80, v66
	v_addc_co_u32_e32 v67, vcc, v68, v67, vcc
	s_waitcnt lgkmcnt(0)
	global_store_dwordx2 v[66:67], v[64:65], off
	s_or_b64 exec, exec, s[36:37]
	s_and_saveexec_b64 s[36:37], s[44:45]
	s_cbranch_execnz .LBB1148_872
.LBB1148_887:                           ;   in Loop: Header=BB1148_693 Depth=2
	s_or_b64 exec, exec, s[36:37]
	s_and_saveexec_b64 s[36:37], s[46:47]
	s_cbranch_execz .LBB1148_873
.LBB1148_888:                           ;   in Loop: Header=BB1148_693 Depth=2
	v_lshlrev_b32_e32 v64, 2, v176
	ds_read_b32 v66, v64
	ds_read_b64 v[64:65], v104 offset:10240
	v_mov_b32_e32 v67, v4
	v_mov_b32_e32 v68, s81
	s_waitcnt lgkmcnt(1)
	v_add_u32_e32 v66, v66, v12
	v_lshlrev_b64 v[66:67], 3, v[66:67]
	v_add_co_u32_e32 v66, vcc, s80, v66
	v_addc_co_u32_e32 v67, vcc, v68, v67, vcc
	s_waitcnt lgkmcnt(0)
	global_store_dwordx2 v[66:67], v[64:65], off
	s_or_b64 exec, exec, s[36:37]
	s_and_saveexec_b64 s[36:37], s[48:49]
	s_cbranch_execnz .LBB1148_874
.LBB1148_889:                           ;   in Loop: Header=BB1148_693 Depth=2
	s_or_b64 exec, exec, s[36:37]
	s_and_saveexec_b64 s[36:37], s[50:51]
	s_cbranch_execz .LBB1148_875
.LBB1148_890:                           ;   in Loop: Header=BB1148_693 Depth=2
	v_lshlrev_b32_e32 v64, 2, v174
	ds_read_b32 v66, v64
	ds_read_b64 v[64:65], v104 offset:14336
	v_mov_b32_e32 v67, v4
	v_mov_b32_e32 v68, s81
	s_waitcnt lgkmcnt(1)
	v_add_u32_e32 v66, v66, v16
	v_lshlrev_b64 v[66:67], 3, v[66:67]
	v_add_co_u32_e32 v66, vcc, s80, v66
	v_addc_co_u32_e32 v67, vcc, v68, v67, vcc
	s_waitcnt lgkmcnt(0)
	global_store_dwordx2 v[66:67], v[64:65], off
	s_or_b64 exec, exec, s[36:37]
	s_and_saveexec_b64 s[36:37], s[52:53]
	s_cbranch_execnz .LBB1148_876
.LBB1148_891:                           ;   in Loop: Header=BB1148_693 Depth=2
	s_or_b64 exec, exec, s[36:37]
	s_and_saveexec_b64 s[36:37], s[54:55]
	s_cbranch_execz .LBB1148_877
.LBB1148_892:                           ;   in Loop: Header=BB1148_693 Depth=2
	v_lshlrev_b32_e32 v64, 2, v171
	ds_read_b32 v66, v64
	ds_read_b64 v[64:65], v104 offset:18432
	v_mov_b32_e32 v67, v4
	v_mov_b32_e32 v68, s81
	s_waitcnt lgkmcnt(1)
	v_add_u32_e32 v66, v66, v20
	v_lshlrev_b64 v[66:67], 3, v[66:67]
	v_add_co_u32_e32 v66, vcc, s80, v66
	v_addc_co_u32_e32 v67, vcc, v68, v67, vcc
	s_waitcnt lgkmcnt(0)
	global_store_dwordx2 v[66:67], v[64:65], off
	s_or_b64 exec, exec, s[36:37]
	s_and_saveexec_b64 s[36:37], s[56:57]
	s_cbranch_execnz .LBB1148_878
.LBB1148_893:                           ;   in Loop: Header=BB1148_693 Depth=2
	s_or_b64 exec, exec, s[36:37]
	s_and_saveexec_b64 s[36:37], s[58:59]
	s_cbranch_execz .LBB1148_879
.LBB1148_894:                           ;   in Loop: Header=BB1148_693 Depth=2
	v_lshlrev_b32_e32 v64, 2, v168
	ds_read_b32 v66, v64
	ds_read_b64 v[64:65], v104 offset:22528
	v_mov_b32_e32 v67, v4
	v_mov_b32_e32 v68, s81
	s_waitcnt lgkmcnt(1)
	v_add_u32_e32 v66, v66, v24
	v_lshlrev_b64 v[66:67], 3, v[66:67]
	v_add_co_u32_e32 v66, vcc, s80, v66
	v_addc_co_u32_e32 v67, vcc, v68, v67, vcc
	s_waitcnt lgkmcnt(0)
	global_store_dwordx2 v[66:67], v[64:65], off
	s_or_b64 exec, exec, s[36:37]
	s_and_saveexec_b64 s[36:37], s[60:61]
	s_cbranch_execnz .LBB1148_880
.LBB1148_895:                           ;   in Loop: Header=BB1148_693 Depth=2
	s_or_b64 exec, exec, s[36:37]
	s_and_saveexec_b64 s[36:37], s[62:63]
	s_cbranch_execz .LBB1148_881
.LBB1148_896:                           ;   in Loop: Header=BB1148_693 Depth=2
	v_lshlrev_b32_e32 v64, 2, v166
	ds_read_b32 v66, v64
	ds_read_b64 v[64:65], v104 offset:26624
	v_mov_b32_e32 v67, v4
	v_mov_b32_e32 v68, s81
	s_waitcnt lgkmcnt(1)
	v_add_u32_e32 v66, v66, v28
	v_lshlrev_b64 v[66:67], 3, v[66:67]
	v_add_co_u32_e32 v66, vcc, s80, v66
	v_addc_co_u32_e32 v67, vcc, v68, v67, vcc
	s_waitcnt lgkmcnt(0)
	global_store_dwordx2 v[66:67], v[64:65], off
	s_or_b64 exec, exec, s[36:37]
	s_and_saveexec_b64 s[36:37], s[64:65]
	s_cbranch_execnz .LBB1148_882
.LBB1148_897:                           ;   in Loop: Header=BB1148_693 Depth=2
	s_or_b64 exec, exec, s[36:37]
	s_and_saveexec_b64 s[36:37], s[66:67]
	s_cbranch_execz .LBB1148_899
.LBB1148_898:                           ;   in Loop: Header=BB1148_693 Depth=2
	v_lshlrev_b32_e32 v64, 2, v164
	ds_read_b32 v66, v64
	ds_read_b64 v[64:65], v104 offset:30720
	v_mov_b32_e32 v67, v4
	v_mov_b32_e32 v68, s81
	s_waitcnt lgkmcnt(1)
	v_add_u32_e32 v66, v66, v32
	v_lshlrev_b64 v[66:67], 3, v[66:67]
	v_add_co_u32_e32 v66, vcc, s80, v66
	v_addc_co_u32_e32 v67, vcc, v68, v67, vcc
	s_waitcnt lgkmcnt(0)
	global_store_dwordx2 v[66:67], v[64:65], off
.LBB1148_899:                           ;   in Loop: Header=BB1148_693 Depth=2
	s_or_b64 exec, exec, s[36:37]
	s_barrier
	s_and_saveexec_b64 s[36:37], s[4:5]
	s_cbranch_execz .LBB1148_692
; %bb.900:                              ;   in Loop: Header=BB1148_693 Depth=2
	ds_read_b32 v64, v3
	s_waitcnt lgkmcnt(0)
	v_add_u32_e32 v5, v64, v5
	ds_write_b32 v3, v5
	s_branch .LBB1148_692
.LBB1148_901:                           ;   in Loop: Header=BB1148_17 Depth=1
	s_waitcnt lgkmcnt(0)
	s_barrier
	s_mov_b64 s[16:17], 0
	v_readlane_b32 s86, v236, 2
.LBB1148_902:                           ;   in Loop: Header=BB1148_17 Depth=1
	s_and_b64 vcc, exec, s[16:17]
	s_cbranch_vccz .LBB1148_16
; %bb.903:                              ;   in Loop: Header=BB1148_17 Depth=1
	v_readlane_b32 s16, v236, 3
	s_mov_b32 s24, s86
	s_mov_b32 s18, s16
	s_barrier
	s_waitcnt lgkmcnt(0)
                                        ; implicit-def: $vgpr62_vgpr63
                                        ; implicit-def: $vgpr0_vgpr1
                                        ; implicit-def: $vgpr34_vgpr35
                                        ; implicit-def: $vgpr36_vgpr37
                                        ; implicit-def: $vgpr38_vgpr39
                                        ; implicit-def: $vgpr40_vgpr41
                                        ; implicit-def: $vgpr42_vgpr43
                                        ; implicit-def: $vgpr44_vgpr45
                                        ; implicit-def: $vgpr46_vgpr47
                                        ; implicit-def: $vgpr48_vgpr49
                                        ; implicit-def: $vgpr50_vgpr51
                                        ; implicit-def: $vgpr52_vgpr53
                                        ; implicit-def: $vgpr54_vgpr55
                                        ; implicit-def: $vgpr56_vgpr57
                                        ; implicit-def: $vgpr58_vgpr59
                                        ; implicit-def: $vgpr60_vgpr61
	s_branch .LBB1148_905
.LBB1148_904:                           ;   in Loop: Header=BB1148_905 Depth=2
	s_or_b64 exec, exec, s[16:17]
	s_addk_i32 s24, 0xf000
	s_cmp_ge_u32 s25, s96
	s_mov_b32 s18, s25
	s_cbranch_scc1 .LBB1148_975
.LBB1148_905:                           ;   Parent Loop BB1148_17 Depth=1
                                        ; =>  This Inner Loop Header: Depth=2
	s_add_i32 s25, s18, 0x1000
	s_cmp_gt_u32 s25, s96
	s_cbranch_scc1 .LBB1148_908
; %bb.906:                              ;   in Loop: Header=BB1148_905 Depth=2
	s_mov_b32 s19, s90
	s_lshl_b64 s[16:17], s[18:19], 3
	v_mov_b32_e32 v5, s17
	v_add_co_u32_e32 v64, vcc, s16, v111
	v_addc_co_u32_e32 v65, vcc, v112, v5, vcc
	s_waitcnt vmcnt(11)
	v_add_co_u32_e32 v72, vcc, 0x1000, v64
	v_addc_co_u32_e32 v73, vcc, 0, v65, vcc
	s_waitcnt vmcnt(5)
	;; [unrolled: 3-line block ×3, first 2 shown]
	v_add_co_u32_e32 v82, vcc, s98, v64
	v_addc_co_u32_e32 v83, vcc, 0, v65, vcc
	v_add_co_u32_e32 v86, vcc, s99, v64
	v_addc_co_u32_e32 v87, vcc, 0, v65, vcc
	;; [unrolled: 2-line block ×4, first 2 shown]
	global_load_dwordx2 v[66:67], v[64:65], off
	global_load_dwordx2 v[68:69], v[64:65], off offset:2048
	global_load_dwordx2 v[70:71], v[72:73], off
	s_nop 0
	global_load_dwordx2 v[72:73], v[72:73], off offset:2048
	s_nop 0
	global_load_dwordx2 v[74:75], v[82:83], off
	global_load_dwordx2 v[76:77], v[82:83], off offset:2048
	global_load_dwordx2 v[80:81], v[88:89], off offset:-4096
	global_load_dwordx2 v[84:85], v[88:89], off
	s_nop 0
	global_load_dwordx2 v[88:89], v[88:89], off offset:2048
	s_nop 0
	global_load_dwordx2 v[78:79], v[78:79], off offset:2048
	;; [unrolled: 2-line block ×3, first 2 shown]
	s_nop 0
	global_load_dwordx2 v[90:91], v[92:93], off
	s_nop 0
	global_load_dwordx2 v[92:93], v[92:93], off offset:2048
	s_waitcnt vmcnt(13)
	v_add_co_u32_e32 v94, vcc, 0x7000, v64
	v_addc_co_u32_e32 v95, vcc, 0, v65, vcc
	global_load_dwordx2 v[82:83], v[82:83], off offset:-4096
	s_nop 0
	global_load_dwordx2 v[94:95], v[94:95], off
	v_add_co_u32_e32 v64, vcc, 0x7800, v64
	s_movk_i32 s26, 0x1000
	v_addc_co_u32_e32 v65, vcc, 0, v65, vcc
	s_mov_b64 s[16:17], -1
	s_cbranch_execz .LBB1148_909
; %bb.907:                              ;   in Loop: Header=BB1148_905 Depth=2
                                        ; implicit-def: $vgpr60_vgpr61
                                        ; implicit-def: $vgpr58_vgpr59
                                        ; implicit-def: $vgpr56_vgpr57
                                        ; implicit-def: $vgpr54_vgpr55
                                        ; implicit-def: $vgpr52_vgpr53
                                        ; implicit-def: $vgpr50_vgpr51
                                        ; implicit-def: $vgpr48_vgpr49
                                        ; implicit-def: $vgpr46_vgpr47
                                        ; implicit-def: $vgpr44_vgpr45
                                        ; implicit-def: $vgpr42_vgpr43
                                        ; implicit-def: $vgpr40_vgpr41
                                        ; implicit-def: $vgpr38_vgpr39
                                        ; implicit-def: $vgpr36_vgpr37
                                        ; implicit-def: $vgpr34_vgpr35
                                        ; implicit-def: $vgpr0_vgpr1
                                        ; implicit-def: $vgpr62_vgpr63
	v_mov_b32_e32 v5, s24
	s_and_saveexec_b64 s[18:19], s[16:17]
	s_cbranch_execnz .LBB1148_928
	s_branch .LBB1148_929
.LBB1148_908:                           ;   in Loop: Header=BB1148_905 Depth=2
	s_mov_b64 s[16:17], 0
                                        ; implicit-def: $sgpr26
                                        ; implicit-def: $vgpr66_vgpr67
                                        ; implicit-def: $vgpr68_vgpr69
                                        ; implicit-def: $vgpr70_vgpr71
                                        ; implicit-def: $vgpr72_vgpr73
                                        ; implicit-def: $vgpr82_vgpr83
                                        ; implicit-def: $vgpr78_vgpr79
                                        ; implicit-def: $vgpr74_vgpr75
                                        ; implicit-def: $vgpr76_vgpr77
                                        ; implicit-def: $vgpr80_vgpr81
                                        ; implicit-def: $vgpr86_vgpr87
                                        ; implicit-def: $vgpr84_vgpr85
                                        ; implicit-def: $vgpr88_vgpr89
                                        ; implicit-def: $vgpr90_vgpr91
                                        ; implicit-def: $vgpr92_vgpr93
                                        ; implicit-def: $vgpr94_vgpr95
                                        ; implicit-def: $vgpr64_vgpr65
.LBB1148_909:                           ;   in Loop: Header=BB1148_905 Depth=2
	s_mov_b32 s19, s90
	s_lshl_b64 s[20:21], s[18:19], 3
	s_add_u32 s20, s72, s20
	s_addc_u32 s21, s73, s21
	v_cmp_gt_u32_e32 vcc, s24, v2
	s_and_saveexec_b64 s[22:23], vcc
	s_cbranch_execz .LBB1148_961
; %bb.910:                              ;   in Loop: Header=BB1148_905 Depth=2
	global_load_dwordx2 v[60:61], v118, s[20:21]
	s_or_b64 exec, exec, s[22:23]
	v_cmp_gt_u32_e32 vcc, s24, v7
	s_and_saveexec_b64 s[22:23], vcc
	s_cbranch_execnz .LBB1148_962
.LBB1148_911:                           ;   in Loop: Header=BB1148_905 Depth=2
	s_or_b64 exec, exec, s[22:23]
	v_cmp_gt_u32_e32 vcc, s24, v6
	s_and_saveexec_b64 s[22:23], vcc
	s_cbranch_execz .LBB1148_963
.LBB1148_912:                           ;   in Loop: Header=BB1148_905 Depth=2
	global_load_dwordx2 v[56:57], v119, s[20:21]
	s_or_b64 exec, exec, s[22:23]
	v_cmp_gt_u32_e32 vcc, s24, v8
	s_and_saveexec_b64 s[22:23], vcc
	s_cbranch_execnz .LBB1148_964
.LBB1148_913:                           ;   in Loop: Header=BB1148_905 Depth=2
	s_or_b64 exec, exec, s[22:23]
	v_cmp_gt_u32_e32 vcc, s24, v10
	s_and_saveexec_b64 s[22:23], vcc
	s_cbranch_execz .LBB1148_965
.LBB1148_914:                           ;   in Loop: Header=BB1148_905 Depth=2
	global_load_dwordx2 v[52:53], v121, s[20:21]
	s_or_b64 exec, exec, s[22:23]
	v_cmp_gt_u32_e32 vcc, s24, v12
	s_and_saveexec_b64 s[22:23], vcc
	s_cbranch_execnz .LBB1148_966
.LBB1148_915:                           ;   in Loop: Header=BB1148_905 Depth=2
	s_or_b64 exec, exec, s[22:23]
	v_cmp_gt_u32_e32 vcc, s24, v14
	s_and_saveexec_b64 s[22:23], vcc
	s_cbranch_execz .LBB1148_967
.LBB1148_916:                           ;   in Loop: Header=BB1148_905 Depth=2
	global_load_dwordx2 v[48:49], v123, s[20:21]
	s_or_b64 exec, exec, s[22:23]
	v_cmp_gt_u32_e32 vcc, s24, v16
	s_and_saveexec_b64 s[22:23], vcc
	s_cbranch_execnz .LBB1148_968
.LBB1148_917:                           ;   in Loop: Header=BB1148_905 Depth=2
	s_or_b64 exec, exec, s[22:23]
	v_cmp_gt_u32_e32 vcc, s24, v18
	s_and_saveexec_b64 s[22:23], vcc
	s_cbranch_execz .LBB1148_969
.LBB1148_918:                           ;   in Loop: Header=BB1148_905 Depth=2
	global_load_dwordx2 v[44:45], v125, s[20:21]
	s_or_b64 exec, exec, s[22:23]
	v_cmp_gt_u32_e32 vcc, s24, v20
	s_and_saveexec_b64 s[22:23], vcc
	s_cbranch_execnz .LBB1148_970
.LBB1148_919:                           ;   in Loop: Header=BB1148_905 Depth=2
	s_or_b64 exec, exec, s[22:23]
	v_cmp_gt_u32_e32 vcc, s24, v22
	s_and_saveexec_b64 s[22:23], vcc
	s_cbranch_execz .LBB1148_971
.LBB1148_920:                           ;   in Loop: Header=BB1148_905 Depth=2
	global_load_dwordx2 v[40:41], v127, s[20:21]
	s_or_b64 exec, exec, s[22:23]
	v_cmp_gt_u32_e32 vcc, s24, v24
	s_and_saveexec_b64 s[22:23], vcc
	s_cbranch_execnz .LBB1148_972
.LBB1148_921:                           ;   in Loop: Header=BB1148_905 Depth=2
	s_or_b64 exec, exec, s[22:23]
	v_cmp_gt_u32_e32 vcc, s24, v26
	s_and_saveexec_b64 s[22:23], vcc
	s_cbranch_execz .LBB1148_973
.LBB1148_922:                           ;   in Loop: Header=BB1148_905 Depth=2
	global_load_dwordx2 v[36:37], v129, s[20:21]
	s_or_b64 exec, exec, s[22:23]
	v_cmp_gt_u32_e32 vcc, s24, v28
	s_and_saveexec_b64 s[22:23], vcc
	s_cbranch_execnz .LBB1148_974
.LBB1148_923:                           ;   in Loop: Header=BB1148_905 Depth=2
	s_or_b64 exec, exec, s[22:23]
	v_cmp_gt_u32_e32 vcc, s24, v30
	s_and_saveexec_b64 s[22:23], vcc
	s_cbranch_execz .LBB1148_925
.LBB1148_924:                           ;   in Loop: Header=BB1148_905 Depth=2
	global_load_dwordx2 v[0:1], v131, s[20:21]
.LBB1148_925:                           ;   in Loop: Header=BB1148_905 Depth=2
	s_or_b64 exec, exec, s[22:23]
	v_cmp_gt_u32_e32 vcc, s24, v32
                                        ; implicit-def: $sgpr26
                                        ; implicit-def: $vgpr64_vgpr65
	s_and_saveexec_b64 s[22:23], vcc
; %bb.926:                              ;   in Loop: Header=BB1148_905 Depth=2
	v_mov_b32_e32 v5, s21
	v_add_co_u32_e32 v64, vcc, s20, v132
	s_sub_i32 s26, s96, s18
	v_addc_co_u32_e32 v65, vcc, 0, v5, vcc
	s_or_b64 s[16:17], s[16:17], exec
                                        ; implicit-def: $vgpr62_vgpr63
; %bb.927:                              ;   in Loop: Header=BB1148_905 Depth=2
	s_or_b64 exec, exec, s[22:23]
	s_waitcnt vmcnt(0)
	v_pk_mov_b32 v[66:67], v[60:61], v[60:61] op_sel:[0,1]
	v_pk_mov_b32 v[68:69], v[58:59], v[58:59] op_sel:[0,1]
	;; [unrolled: 1-line block ×15, first 2 shown]
	v_mov_b32_e32 v5, s24
	s_and_saveexec_b64 s[18:19], s[16:17]
	s_cbranch_execz .LBB1148_929
.LBB1148_928:                           ;   in Loop: Header=BB1148_905 Depth=2
	global_load_dwordx2 v[62:63], v[64:65], off
	v_mov_b32_e32 v5, s26
	s_waitcnt vmcnt(1)
	v_pk_mov_b32 v[0:1], v[94:95], v[94:95] op_sel:[0,1]
	v_pk_mov_b32 v[34:35], v[92:93], v[92:93] op_sel:[0,1]
	;; [unrolled: 1-line block ×15, first 2 shown]
.LBB1148_929:                           ;   in Loop: Header=BB1148_905 Depth=2
	s_or_b64 exec, exec, s[18:19]
	v_cmp_lt_u32_e32 vcc, v2, v5
	s_and_saveexec_b64 s[16:17], vcc
	s_cbranch_execz .LBB1148_945
; %bb.930:                              ;   in Loop: Header=BB1148_905 Depth=2
	v_cmp_gt_i64_e32 vcc, 0, v[60:61]
	v_ashrrev_i32_e32 v65, 31, v61
	v_cndmask_b32_e64 v64, v133, 0, vcc
	s_waitcnt vmcnt(14)
	v_not_b32_e32 v66, v65
	v_xor_b32_e32 v65, v64, v61
	v_xor_b32_e32 v64, v66, v60
	v_cmp_ne_u64_e32 vcc, s[90:91], v[64:65]
	v_cndmask_b32_e32 v65, v133, v65, vcc
	v_cndmask_b32_e32 v64, -1, v64, vcc
	v_lshrrev_b64 v[64:65], s84, v[64:65]
	v_and_b32_e32 v64, s85, v64
	v_lshl_or_b32 v64, v64, 4, v134
	ds_add_u32 v64, v117
	s_or_b64 exec, exec, s[16:17]
	v_cmp_lt_u32_e32 vcc, v7, v5
	s_and_saveexec_b64 s[16:17], vcc
	s_cbranch_execnz .LBB1148_946
.LBB1148_931:                           ;   in Loop: Header=BB1148_905 Depth=2
	s_or_b64 exec, exec, s[16:17]
	v_cmp_lt_u32_e32 vcc, v6, v5
	s_and_saveexec_b64 s[16:17], vcc
	s_cbranch_execz .LBB1148_947
.LBB1148_932:                           ;   in Loop: Header=BB1148_905 Depth=2
	v_cmp_gt_i64_e32 vcc, 0, v[56:57]
	v_ashrrev_i32_e32 v65, 31, v57
	v_cndmask_b32_e64 v64, v133, 0, vcc
	s_waitcnt vmcnt(14)
	v_not_b32_e32 v66, v65
	v_xor_b32_e32 v65, v64, v57
	v_xor_b32_e32 v64, v66, v56
	v_cmp_ne_u64_e32 vcc, s[90:91], v[64:65]
	v_cndmask_b32_e32 v65, v133, v65, vcc
	v_cndmask_b32_e32 v64, -1, v64, vcc
	v_lshrrev_b64 v[64:65], s84, v[64:65]
	v_and_b32_e32 v64, s85, v64
	v_lshl_or_b32 v64, v64, 4, v134
	ds_add_u32 v64, v117
	s_or_b64 exec, exec, s[16:17]
	v_cmp_lt_u32_e32 vcc, v8, v5
	s_and_saveexec_b64 s[16:17], vcc
	s_cbranch_execnz .LBB1148_948
.LBB1148_933:                           ;   in Loop: Header=BB1148_905 Depth=2
	s_or_b64 exec, exec, s[16:17]
	v_cmp_lt_u32_e32 vcc, v10, v5
	s_and_saveexec_b64 s[16:17], vcc
	s_cbranch_execz .LBB1148_949
.LBB1148_934:                           ;   in Loop: Header=BB1148_905 Depth=2
	v_cmp_gt_i64_e32 vcc, 0, v[52:53]
	v_ashrrev_i32_e32 v65, 31, v53
	v_cndmask_b32_e64 v64, v133, 0, vcc
	s_waitcnt vmcnt(14)
	v_not_b32_e32 v66, v65
	v_xor_b32_e32 v65, v64, v53
	v_xor_b32_e32 v64, v66, v52
	v_cmp_ne_u64_e32 vcc, s[90:91], v[64:65]
	v_cndmask_b32_e32 v65, v133, v65, vcc
	v_cndmask_b32_e32 v64, -1, v64, vcc
	v_lshrrev_b64 v[64:65], s84, v[64:65]
	v_and_b32_e32 v64, s85, v64
	v_lshl_or_b32 v64, v64, 4, v134
	ds_add_u32 v64, v117
	s_or_b64 exec, exec, s[16:17]
	v_cmp_lt_u32_e32 vcc, v12, v5
	s_and_saveexec_b64 s[16:17], vcc
	s_cbranch_execnz .LBB1148_950
.LBB1148_935:                           ;   in Loop: Header=BB1148_905 Depth=2
	s_or_b64 exec, exec, s[16:17]
	v_cmp_lt_u32_e32 vcc, v14, v5
	s_and_saveexec_b64 s[16:17], vcc
	s_cbranch_execz .LBB1148_951
.LBB1148_936:                           ;   in Loop: Header=BB1148_905 Depth=2
	v_cmp_gt_i64_e32 vcc, 0, v[48:49]
	v_ashrrev_i32_e32 v65, 31, v49
	v_cndmask_b32_e64 v64, v133, 0, vcc
	s_waitcnt vmcnt(14)
	v_not_b32_e32 v66, v65
	v_xor_b32_e32 v65, v64, v49
	v_xor_b32_e32 v64, v66, v48
	v_cmp_ne_u64_e32 vcc, s[90:91], v[64:65]
	v_cndmask_b32_e32 v65, v133, v65, vcc
	v_cndmask_b32_e32 v64, -1, v64, vcc
	v_lshrrev_b64 v[64:65], s84, v[64:65]
	v_and_b32_e32 v64, s85, v64
	v_lshl_or_b32 v64, v64, 4, v134
	ds_add_u32 v64, v117
	s_or_b64 exec, exec, s[16:17]
	v_cmp_lt_u32_e32 vcc, v16, v5
	s_and_saveexec_b64 s[16:17], vcc
	s_cbranch_execnz .LBB1148_952
.LBB1148_937:                           ;   in Loop: Header=BB1148_905 Depth=2
	s_or_b64 exec, exec, s[16:17]
	v_cmp_lt_u32_e32 vcc, v18, v5
	s_and_saveexec_b64 s[16:17], vcc
	s_cbranch_execz .LBB1148_953
.LBB1148_938:                           ;   in Loop: Header=BB1148_905 Depth=2
	v_cmp_gt_i64_e32 vcc, 0, v[44:45]
	v_ashrrev_i32_e32 v65, 31, v45
	v_cndmask_b32_e64 v64, v133, 0, vcc
	s_waitcnt vmcnt(14)
	v_not_b32_e32 v66, v65
	v_xor_b32_e32 v65, v64, v45
	v_xor_b32_e32 v64, v66, v44
	v_cmp_ne_u64_e32 vcc, s[90:91], v[64:65]
	v_cndmask_b32_e32 v65, v133, v65, vcc
	v_cndmask_b32_e32 v64, -1, v64, vcc
	v_lshrrev_b64 v[64:65], s84, v[64:65]
	v_and_b32_e32 v64, s85, v64
	v_lshl_or_b32 v64, v64, 4, v134
	ds_add_u32 v64, v117
	s_or_b64 exec, exec, s[16:17]
	v_cmp_lt_u32_e32 vcc, v20, v5
	s_and_saveexec_b64 s[16:17], vcc
	s_cbranch_execnz .LBB1148_954
.LBB1148_939:                           ;   in Loop: Header=BB1148_905 Depth=2
	s_or_b64 exec, exec, s[16:17]
	v_cmp_lt_u32_e32 vcc, v22, v5
	s_and_saveexec_b64 s[16:17], vcc
	s_cbranch_execz .LBB1148_955
.LBB1148_940:                           ;   in Loop: Header=BB1148_905 Depth=2
	v_cmp_gt_i64_e32 vcc, 0, v[40:41]
	v_ashrrev_i32_e32 v65, 31, v41
	v_cndmask_b32_e64 v64, v133, 0, vcc
	s_waitcnt vmcnt(14)
	v_not_b32_e32 v66, v65
	v_xor_b32_e32 v65, v64, v41
	v_xor_b32_e32 v64, v66, v40
	v_cmp_ne_u64_e32 vcc, s[90:91], v[64:65]
	v_cndmask_b32_e32 v65, v133, v65, vcc
	v_cndmask_b32_e32 v64, -1, v64, vcc
	v_lshrrev_b64 v[64:65], s84, v[64:65]
	v_and_b32_e32 v64, s85, v64
	v_lshl_or_b32 v64, v64, 4, v134
	ds_add_u32 v64, v117
	s_or_b64 exec, exec, s[16:17]
	v_cmp_lt_u32_e32 vcc, v24, v5
	s_and_saveexec_b64 s[16:17], vcc
	s_cbranch_execnz .LBB1148_956
.LBB1148_941:                           ;   in Loop: Header=BB1148_905 Depth=2
	s_or_b64 exec, exec, s[16:17]
	v_cmp_lt_u32_e32 vcc, v26, v5
	s_and_saveexec_b64 s[16:17], vcc
	s_cbranch_execz .LBB1148_957
.LBB1148_942:                           ;   in Loop: Header=BB1148_905 Depth=2
	v_cmp_gt_i64_e32 vcc, 0, v[36:37]
	v_ashrrev_i32_e32 v65, 31, v37
	v_cndmask_b32_e64 v64, v133, 0, vcc
	s_waitcnt vmcnt(14)
	v_not_b32_e32 v66, v65
	v_xor_b32_e32 v65, v64, v37
	v_xor_b32_e32 v64, v66, v36
	v_cmp_ne_u64_e32 vcc, s[90:91], v[64:65]
	v_cndmask_b32_e32 v65, v133, v65, vcc
	v_cndmask_b32_e32 v64, -1, v64, vcc
	v_lshrrev_b64 v[64:65], s84, v[64:65]
	v_and_b32_e32 v64, s85, v64
	v_lshl_or_b32 v64, v64, 4, v134
	ds_add_u32 v64, v117
	s_or_b64 exec, exec, s[16:17]
	v_cmp_lt_u32_e32 vcc, v28, v5
	s_and_saveexec_b64 s[16:17], vcc
	s_cbranch_execnz .LBB1148_958
.LBB1148_943:                           ;   in Loop: Header=BB1148_905 Depth=2
	s_or_b64 exec, exec, s[16:17]
	v_cmp_lt_u32_e32 vcc, v30, v5
	s_and_saveexec_b64 s[16:17], vcc
	s_cbranch_execz .LBB1148_959
.LBB1148_944:                           ;   in Loop: Header=BB1148_905 Depth=2
	v_cmp_gt_i64_e32 vcc, 0, v[0:1]
	v_ashrrev_i32_e32 v65, 31, v1
	v_cndmask_b32_e64 v64, v133, 0, vcc
	s_waitcnt vmcnt(14)
	v_not_b32_e32 v66, v65
	v_xor_b32_e32 v65, v64, v1
	v_xor_b32_e32 v64, v66, v0
	v_cmp_ne_u64_e32 vcc, s[90:91], v[64:65]
	v_cndmask_b32_e32 v65, v133, v65, vcc
	v_cndmask_b32_e32 v64, -1, v64, vcc
	v_lshrrev_b64 v[64:65], s84, v[64:65]
	v_and_b32_e32 v64, s85, v64
	v_lshl_or_b32 v64, v64, 4, v134
	ds_add_u32 v64, v117
	s_or_b64 exec, exec, s[16:17]
	v_cmp_lt_u32_e32 vcc, v32, v5
	s_and_saveexec_b64 s[16:17], vcc
	s_cbranch_execz .LBB1148_904
	s_branch .LBB1148_960
.LBB1148_945:                           ;   in Loop: Header=BB1148_905 Depth=2
	s_or_b64 exec, exec, s[16:17]
	v_cmp_lt_u32_e32 vcc, v7, v5
	s_and_saveexec_b64 s[16:17], vcc
	s_cbranch_execz .LBB1148_931
.LBB1148_946:                           ;   in Loop: Header=BB1148_905 Depth=2
	v_cmp_gt_i64_e32 vcc, 0, v[58:59]
	v_ashrrev_i32_e32 v65, 31, v59
	v_cndmask_b32_e64 v64, v133, 0, vcc
	s_waitcnt vmcnt(14)
	v_not_b32_e32 v66, v65
	v_xor_b32_e32 v65, v64, v59
	v_xor_b32_e32 v64, v66, v58
	v_cmp_ne_u64_e32 vcc, s[90:91], v[64:65]
	v_cndmask_b32_e32 v65, v133, v65, vcc
	v_cndmask_b32_e32 v64, -1, v64, vcc
	v_lshrrev_b64 v[64:65], s84, v[64:65]
	v_and_b32_e32 v64, s85, v64
	v_lshl_or_b32 v64, v64, 4, v134
	ds_add_u32 v64, v117
	s_or_b64 exec, exec, s[16:17]
	v_cmp_lt_u32_e32 vcc, v6, v5
	s_and_saveexec_b64 s[16:17], vcc
	s_cbranch_execnz .LBB1148_932
.LBB1148_947:                           ;   in Loop: Header=BB1148_905 Depth=2
	s_or_b64 exec, exec, s[16:17]
	v_cmp_lt_u32_e32 vcc, v8, v5
	s_and_saveexec_b64 s[16:17], vcc
	s_cbranch_execz .LBB1148_933
.LBB1148_948:                           ;   in Loop: Header=BB1148_905 Depth=2
	v_cmp_gt_i64_e32 vcc, 0, v[54:55]
	v_ashrrev_i32_e32 v65, 31, v55
	v_cndmask_b32_e64 v64, v133, 0, vcc
	s_waitcnt vmcnt(14)
	v_not_b32_e32 v66, v65
	v_xor_b32_e32 v65, v64, v55
	v_xor_b32_e32 v64, v66, v54
	v_cmp_ne_u64_e32 vcc, s[90:91], v[64:65]
	v_cndmask_b32_e32 v65, v133, v65, vcc
	v_cndmask_b32_e32 v64, -1, v64, vcc
	v_lshrrev_b64 v[64:65], s84, v[64:65]
	v_and_b32_e32 v64, s85, v64
	v_lshl_or_b32 v64, v64, 4, v134
	ds_add_u32 v64, v117
	s_or_b64 exec, exec, s[16:17]
	v_cmp_lt_u32_e32 vcc, v10, v5
	s_and_saveexec_b64 s[16:17], vcc
	s_cbranch_execnz .LBB1148_934
.LBB1148_949:                           ;   in Loop: Header=BB1148_905 Depth=2
	s_or_b64 exec, exec, s[16:17]
	v_cmp_lt_u32_e32 vcc, v12, v5
	s_and_saveexec_b64 s[16:17], vcc
	s_cbranch_execz .LBB1148_935
.LBB1148_950:                           ;   in Loop: Header=BB1148_905 Depth=2
	v_cmp_gt_i64_e32 vcc, 0, v[50:51]
	v_ashrrev_i32_e32 v65, 31, v51
	v_cndmask_b32_e64 v64, v133, 0, vcc
	s_waitcnt vmcnt(14)
	v_not_b32_e32 v66, v65
	v_xor_b32_e32 v65, v64, v51
	v_xor_b32_e32 v64, v66, v50
	v_cmp_ne_u64_e32 vcc, s[90:91], v[64:65]
	v_cndmask_b32_e32 v65, v133, v65, vcc
	v_cndmask_b32_e32 v64, -1, v64, vcc
	v_lshrrev_b64 v[64:65], s84, v[64:65]
	v_and_b32_e32 v64, s85, v64
	v_lshl_or_b32 v64, v64, 4, v134
	ds_add_u32 v64, v117
	s_or_b64 exec, exec, s[16:17]
	v_cmp_lt_u32_e32 vcc, v14, v5
	s_and_saveexec_b64 s[16:17], vcc
	s_cbranch_execnz .LBB1148_936
.LBB1148_951:                           ;   in Loop: Header=BB1148_905 Depth=2
	s_or_b64 exec, exec, s[16:17]
	v_cmp_lt_u32_e32 vcc, v16, v5
	s_and_saveexec_b64 s[16:17], vcc
	s_cbranch_execz .LBB1148_937
.LBB1148_952:                           ;   in Loop: Header=BB1148_905 Depth=2
	v_cmp_gt_i64_e32 vcc, 0, v[46:47]
	v_ashrrev_i32_e32 v65, 31, v47
	v_cndmask_b32_e64 v64, v133, 0, vcc
	s_waitcnt vmcnt(14)
	v_not_b32_e32 v66, v65
	v_xor_b32_e32 v65, v64, v47
	v_xor_b32_e32 v64, v66, v46
	v_cmp_ne_u64_e32 vcc, s[90:91], v[64:65]
	v_cndmask_b32_e32 v65, v133, v65, vcc
	v_cndmask_b32_e32 v64, -1, v64, vcc
	v_lshrrev_b64 v[64:65], s84, v[64:65]
	v_and_b32_e32 v64, s85, v64
	v_lshl_or_b32 v64, v64, 4, v134
	ds_add_u32 v64, v117
	s_or_b64 exec, exec, s[16:17]
	v_cmp_lt_u32_e32 vcc, v18, v5
	s_and_saveexec_b64 s[16:17], vcc
	s_cbranch_execnz .LBB1148_938
.LBB1148_953:                           ;   in Loop: Header=BB1148_905 Depth=2
	s_or_b64 exec, exec, s[16:17]
	v_cmp_lt_u32_e32 vcc, v20, v5
	s_and_saveexec_b64 s[16:17], vcc
	s_cbranch_execz .LBB1148_939
.LBB1148_954:                           ;   in Loop: Header=BB1148_905 Depth=2
	v_cmp_gt_i64_e32 vcc, 0, v[42:43]
	v_ashrrev_i32_e32 v65, 31, v43
	v_cndmask_b32_e64 v64, v133, 0, vcc
	s_waitcnt vmcnt(14)
	v_not_b32_e32 v66, v65
	v_xor_b32_e32 v65, v64, v43
	v_xor_b32_e32 v64, v66, v42
	v_cmp_ne_u64_e32 vcc, s[90:91], v[64:65]
	v_cndmask_b32_e32 v65, v133, v65, vcc
	v_cndmask_b32_e32 v64, -1, v64, vcc
	v_lshrrev_b64 v[64:65], s84, v[64:65]
	v_and_b32_e32 v64, s85, v64
	v_lshl_or_b32 v64, v64, 4, v134
	ds_add_u32 v64, v117
	s_or_b64 exec, exec, s[16:17]
	v_cmp_lt_u32_e32 vcc, v22, v5
	s_and_saveexec_b64 s[16:17], vcc
	s_cbranch_execnz .LBB1148_940
.LBB1148_955:                           ;   in Loop: Header=BB1148_905 Depth=2
	s_or_b64 exec, exec, s[16:17]
	v_cmp_lt_u32_e32 vcc, v24, v5
	s_and_saveexec_b64 s[16:17], vcc
	s_cbranch_execz .LBB1148_941
.LBB1148_956:                           ;   in Loop: Header=BB1148_905 Depth=2
	v_cmp_gt_i64_e32 vcc, 0, v[38:39]
	v_ashrrev_i32_e32 v65, 31, v39
	v_cndmask_b32_e64 v64, v133, 0, vcc
	s_waitcnt vmcnt(14)
	v_not_b32_e32 v66, v65
	v_xor_b32_e32 v65, v64, v39
	v_xor_b32_e32 v64, v66, v38
	v_cmp_ne_u64_e32 vcc, s[90:91], v[64:65]
	v_cndmask_b32_e32 v65, v133, v65, vcc
	v_cndmask_b32_e32 v64, -1, v64, vcc
	v_lshrrev_b64 v[64:65], s84, v[64:65]
	v_and_b32_e32 v64, s85, v64
	v_lshl_or_b32 v64, v64, 4, v134
	ds_add_u32 v64, v117
	s_or_b64 exec, exec, s[16:17]
	v_cmp_lt_u32_e32 vcc, v26, v5
	s_and_saveexec_b64 s[16:17], vcc
	s_cbranch_execnz .LBB1148_942
.LBB1148_957:                           ;   in Loop: Header=BB1148_905 Depth=2
	s_or_b64 exec, exec, s[16:17]
	v_cmp_lt_u32_e32 vcc, v28, v5
	s_and_saveexec_b64 s[16:17], vcc
	s_cbranch_execz .LBB1148_943
.LBB1148_958:                           ;   in Loop: Header=BB1148_905 Depth=2
	v_cmp_gt_i64_e32 vcc, 0, v[34:35]
	v_ashrrev_i32_e32 v65, 31, v35
	v_cndmask_b32_e64 v64, v133, 0, vcc
	s_waitcnt vmcnt(14)
	v_not_b32_e32 v66, v65
	v_xor_b32_e32 v65, v64, v35
	v_xor_b32_e32 v64, v66, v34
	v_cmp_ne_u64_e32 vcc, s[90:91], v[64:65]
	v_cndmask_b32_e32 v65, v133, v65, vcc
	v_cndmask_b32_e32 v64, -1, v64, vcc
	v_lshrrev_b64 v[64:65], s84, v[64:65]
	v_and_b32_e32 v64, s85, v64
	v_lshl_or_b32 v64, v64, 4, v134
	ds_add_u32 v64, v117
	s_or_b64 exec, exec, s[16:17]
	v_cmp_lt_u32_e32 vcc, v30, v5
	s_and_saveexec_b64 s[16:17], vcc
	s_cbranch_execnz .LBB1148_944
.LBB1148_959:                           ;   in Loop: Header=BB1148_905 Depth=2
	s_or_b64 exec, exec, s[16:17]
	v_cmp_lt_u32_e32 vcc, v32, v5
	s_and_saveexec_b64 s[16:17], vcc
	s_cbranch_execz .LBB1148_904
.LBB1148_960:                           ;   in Loop: Header=BB1148_905 Depth=2
	s_waitcnt vmcnt(0)
	v_cmp_gt_i64_e32 vcc, 0, v[62:63]
	v_ashrrev_i32_e32 v64, 31, v63
	v_cndmask_b32_e64 v5, v133, 0, vcc
	v_not_b32_e32 v64, v64
	v_xor_b32_e32 v65, v5, v63
	v_xor_b32_e32 v64, v64, v62
	v_cmp_ne_u64_e32 vcc, s[90:91], v[64:65]
	v_cndmask_b32_e32 v65, v133, v65, vcc
	v_cndmask_b32_e32 v64, -1, v64, vcc
	v_lshrrev_b64 v[64:65], s84, v[64:65]
	v_and_b32_e32 v5, s85, v64
	v_lshl_or_b32 v5, v5, 4, v134
	ds_add_u32 v5, v117
	s_branch .LBB1148_904
.LBB1148_961:                           ;   in Loop: Header=BB1148_905 Depth=2
	s_or_b64 exec, exec, s[22:23]
	v_cmp_gt_u32_e32 vcc, s24, v7
	s_and_saveexec_b64 s[22:23], vcc
	s_cbranch_execz .LBB1148_911
.LBB1148_962:                           ;   in Loop: Header=BB1148_905 Depth=2
	global_load_dwordx2 v[58:59], v118, s[20:21] offset:2048
	s_or_b64 exec, exec, s[22:23]
	v_cmp_gt_u32_e32 vcc, s24, v6
	s_and_saveexec_b64 s[22:23], vcc
	s_cbranch_execnz .LBB1148_912
.LBB1148_963:                           ;   in Loop: Header=BB1148_905 Depth=2
	s_or_b64 exec, exec, s[22:23]
	v_cmp_gt_u32_e32 vcc, s24, v8
	s_and_saveexec_b64 s[22:23], vcc
	s_cbranch_execz .LBB1148_913
.LBB1148_964:                           ;   in Loop: Header=BB1148_905 Depth=2
	global_load_dwordx2 v[54:55], v120, s[20:21]
	s_or_b64 exec, exec, s[22:23]
	v_cmp_gt_u32_e32 vcc, s24, v10
	s_and_saveexec_b64 s[22:23], vcc
	s_cbranch_execnz .LBB1148_914
.LBB1148_965:                           ;   in Loop: Header=BB1148_905 Depth=2
	s_or_b64 exec, exec, s[22:23]
	v_cmp_gt_u32_e32 vcc, s24, v12
	s_and_saveexec_b64 s[22:23], vcc
	s_cbranch_execz .LBB1148_915
.LBB1148_966:                           ;   in Loop: Header=BB1148_905 Depth=2
	global_load_dwordx2 v[50:51], v122, s[20:21]
	s_or_b64 exec, exec, s[22:23]
	v_cmp_gt_u32_e32 vcc, s24, v14
	s_and_saveexec_b64 s[22:23], vcc
	s_cbranch_execnz .LBB1148_916
.LBB1148_967:                           ;   in Loop: Header=BB1148_905 Depth=2
	s_or_b64 exec, exec, s[22:23]
	v_cmp_gt_u32_e32 vcc, s24, v16
	s_and_saveexec_b64 s[22:23], vcc
	s_cbranch_execz .LBB1148_917
.LBB1148_968:                           ;   in Loop: Header=BB1148_905 Depth=2
	global_load_dwordx2 v[46:47], v124, s[20:21]
	s_or_b64 exec, exec, s[22:23]
	v_cmp_gt_u32_e32 vcc, s24, v18
	s_and_saveexec_b64 s[22:23], vcc
	s_cbranch_execnz .LBB1148_918
.LBB1148_969:                           ;   in Loop: Header=BB1148_905 Depth=2
	s_or_b64 exec, exec, s[22:23]
	v_cmp_gt_u32_e32 vcc, s24, v20
	s_and_saveexec_b64 s[22:23], vcc
	s_cbranch_execz .LBB1148_919
.LBB1148_970:                           ;   in Loop: Header=BB1148_905 Depth=2
	global_load_dwordx2 v[42:43], v126, s[20:21]
	s_or_b64 exec, exec, s[22:23]
	v_cmp_gt_u32_e32 vcc, s24, v22
	s_and_saveexec_b64 s[22:23], vcc
	s_cbranch_execnz .LBB1148_920
.LBB1148_971:                           ;   in Loop: Header=BB1148_905 Depth=2
	s_or_b64 exec, exec, s[22:23]
	v_cmp_gt_u32_e32 vcc, s24, v24
	s_and_saveexec_b64 s[22:23], vcc
	s_cbranch_execz .LBB1148_921
.LBB1148_972:                           ;   in Loop: Header=BB1148_905 Depth=2
	global_load_dwordx2 v[38:39], v128, s[20:21]
	s_or_b64 exec, exec, s[22:23]
	v_cmp_gt_u32_e32 vcc, s24, v26
	s_and_saveexec_b64 s[22:23], vcc
	s_cbranch_execnz .LBB1148_922
.LBB1148_973:                           ;   in Loop: Header=BB1148_905 Depth=2
	s_or_b64 exec, exec, s[22:23]
	v_cmp_gt_u32_e32 vcc, s24, v28
	s_and_saveexec_b64 s[22:23], vcc
	s_cbranch_execz .LBB1148_923
.LBB1148_974:                           ;   in Loop: Header=BB1148_905 Depth=2
	global_load_dwordx2 v[34:35], v130, s[20:21]
	s_or_b64 exec, exec, s[22:23]
	v_cmp_gt_u32_e32 vcc, s24, v30
	s_and_saveexec_b64 s[22:23], vcc
	s_cbranch_execz .LBB1148_925
	s_branch .LBB1148_924
.LBB1148_975:                           ;   in Loop: Header=BB1148_17 Depth=1
	v_mov_b32_e32 v0, 0
	s_waitcnt lgkmcnt(0)
	s_barrier
	s_and_saveexec_b64 s[16:17], s[4:5]
	s_cbranch_execz .LBB1148_977
; %bb.976:                              ;   in Loop: Header=BB1148_17 Depth=1
	ds_read2_b64 v[34:37], v13 offset1:1
	s_waitcnt lgkmcnt(0)
	v_add_u32_e32 v0, v35, v34
	v_add3_u32 v0, v0, v36, v37
.LBB1148_977:                           ;   in Loop: Header=BB1148_17 Depth=1
	s_or_b64 exec, exec, s[16:17]
	s_nop 0
	v_mov_b32_dpp v1, v0 row_shr:1 row_mask:0xf bank_mask:0xf
	v_cmp_eq_u32_e64 s[16:17], 0, v136
	v_cndmask_b32_e64 v1, v1, 0, s[16:17]
	v_add_u32_e32 v0, v1, v0
	v_cmp_lt_u32_e64 s[18:19], 1, v136
	v_cmp_lt_u32_e64 s[20:21], 3, v136
	v_mov_b32_dpp v1, v0 row_shr:2 row_mask:0xf bank_mask:0xf
	v_cndmask_b32_e64 v1, 0, v1, s[18:19]
	v_add_u32_e32 v0, v0, v1
	v_cmp_lt_u32_e64 s[22:23], 7, v136
	v_cmp_lt_u32_e64 s[26:27], 31, v135
	v_mov_b32_dpp v1, v0 row_shr:4 row_mask:0xf bank_mask:0xf
	v_cndmask_b32_e64 v1, 0, v1, s[20:21]
	v_add_u32_e32 v0, v0, v1
	v_cmp_eq_u32_e64 s[24:25], 0, v138
	s_nop 0
	v_mov_b32_dpp v1, v0 row_shr:8 row_mask:0xf bank_mask:0xf
	v_cndmask_b32_e64 v1, 0, v1, s[22:23]
	v_add_u32_e32 v0, v0, v1
	s_nop 1
	v_mov_b32_dpp v1, v0 row_bcast:15 row_mask:0xf bank_mask:0xf
	v_and_b32_e32 v1, v137, v1
	v_add_u32_e32 v0, v0, v1
	s_nop 1
	v_mov_b32_dpp v1, v0 row_bcast:31 row_mask:0xf bank_mask:0xf
	v_cndmask_b32_e64 v1, 0, v1, s[26:27]
	v_add_u32_e32 v0, v0, v1
	s_and_saveexec_b64 s[28:29], s[6:7]
	s_cbranch_execz .LBB1148_979
; %bb.978:                              ;   in Loop: Header=BB1148_17 Depth=1
	ds_write_b32 v17, v0
.LBB1148_979:                           ;   in Loop: Header=BB1148_17 Depth=1
	s_or_b64 exec, exec, s[28:29]
	s_waitcnt lgkmcnt(0)
	s_barrier
	s_and_saveexec_b64 s[28:29], s[8:9]
	s_cbranch_execz .LBB1148_981
; %bb.980:                              ;   in Loop: Header=BB1148_17 Depth=1
	ds_read_b32 v1, v19
	v_cmp_ne_u32_e32 vcc, 0, v139
	s_waitcnt lgkmcnt(0)
	v_mov_b32_dpp v5, v1 row_shr:1 row_mask:0xf bank_mask:0xf
	v_cndmask_b32_e32 v5, 0, v5, vcc
	v_add_u32_e32 v1, v5, v1
	v_cmp_lt_u32_e32 vcc, 1, v139
	s_nop 0
	v_mov_b32_dpp v5, v1 row_shr:2 row_mask:0xf bank_mask:0xf
	v_cndmask_b32_e32 v5, 0, v5, vcc
	v_add_u32_e32 v1, v1, v5
	ds_write_b32 v19, v1
.LBB1148_981:                           ;   in Loop: Header=BB1148_17 Depth=1
	s_or_b64 exec, exec, s[28:29]
	v_mov_b32_e32 v1, 0
	s_waitcnt lgkmcnt(0)
	s_barrier
	s_and_saveexec_b64 s[28:29], s[10:11]
	s_cbranch_execz .LBB1148_983
; %bb.982:                              ;   in Loop: Header=BB1148_17 Depth=1
	ds_read_b32 v1, v21
.LBB1148_983:                           ;   in Loop: Header=BB1148_17 Depth=1
	s_or_b64 exec, exec, s[28:29]
	v_cmp_lt_i32_e32 vcc, v140, v141
	v_cndmask_b32_e32 v5, v140, v135, vcc
	s_waitcnt lgkmcnt(0)
	v_add_u32_e32 v0, v1, v0
	v_lshlrev_b32_e32 v159, 2, v5
	ds_bpermute_b32 v0, v159, v0
	v_cmp_eq_u32_e64 s[28:29], 0, v135
	s_waitcnt lgkmcnt(0)
	s_barrier
	s_and_saveexec_b64 s[30:31], s[4:5]
	s_cbranch_execz .LBB1148_985
; %bb.984:                              ;   in Loop: Header=BB1148_17 Depth=1
	v_cndmask_b32_e64 v0, v0, v1, s[28:29]
	v_readlane_b32 s34, v236, 3
	v_add_u32_e32 v0, s34, v0
	ds_write_b32 v3, v0
.LBB1148_985:                           ;   in Loop: Header=BB1148_17 Depth=1
	s_or_b64 exec, exec, s[30:31]
	s_load_dwordx2 s[30:31], s[92:93], 0x0
	v_readlane_b32 s34, v236, 1
	v_add_co_u32_e32 v160, vcc, v113, v142
	v_addc_co_u32_e32 v161, vcc, 0, v114, vcc
	s_waitcnt lgkmcnt(0)
	s_cmp_lt_u32 s34, s30
	v_readlane_b32 s30, v236, 0
	s_cselect_b32 s34, 12, 18
	s_cmp_lt_u32 s30, s31
	s_cselect_b32 s30, 14, 20
	s_add_u32 s30, s92, s30
	s_addc_u32 s31, s93, 0
	s_add_u32 s34, s92, s34
	global_load_ushort v5, v4, s[30:31]
	s_addc_u32 s35, s93, 0
	global_load_ushort v64, v4, s[34:35]
	v_add_co_u32_e32 v162, vcc, v115, v142
	v_addc_co_u32_e32 v163, vcc, 0, v116, vcc
	v_add_co_u32_e32 v170, vcc, 0x1e00, v162
	v_cmp_eq_u32_e64 s[30:31], 0, v139
	v_cmp_lt_u32_e64 s[34:35], 1, v139
	v_addc_co_u32_e32 v173, vcc, 0, v163, vcc
                                        ; implicit-def: $vgpr0_vgpr1
                                        ; implicit-def: $vgpr34_vgpr35
                                        ; implicit-def: $vgpr36_vgpr37
                                        ; implicit-def: $vgpr40_vgpr41
                                        ; implicit-def: $vgpr44_vgpr45
                                        ; implicit-def: $vgpr48_vgpr49
                                        ; implicit-def: $vgpr52_vgpr53
                                        ; implicit-def: $vgpr56_vgpr57
                                        ; implicit-def: $vgpr38_vgpr39
                                        ; implicit-def: $vgpr42_vgpr43
                                        ; implicit-def: $vgpr46_vgpr47
                                        ; implicit-def: $vgpr50_vgpr51
                                        ; implicit-def: $vgpr54_vgpr55
                                        ; implicit-def: $vgpr58_vgpr59
                                        ; implicit-def: $vgpr60_vgpr61
                                        ; implicit-def: $vgpr62_vgpr63
                                        ; implicit-def: $vgpr164
                                        ; implicit-def: $vgpr165
                                        ; implicit-def: $vgpr166
                                        ; implicit-def: $vgpr167
                                        ; implicit-def: $vgpr168
                                        ; implicit-def: $vgpr169
                                        ; implicit-def: $vgpr171
                                        ; implicit-def: $vgpr172
                                        ; implicit-def: $vgpr174
                                        ; implicit-def: $vgpr175
                                        ; implicit-def: $vgpr176
                                        ; implicit-def: $vgpr178
                                        ; implicit-def: $vgpr179
                                        ; implicit-def: $vgpr180
                                        ; implicit-def: $vgpr181
                                        ; implicit-def: $vgpr182
	s_waitcnt vmcnt(1)
	v_mad_u32_u24 v5, v23, v5, v25
	s_waitcnt vmcnt(0)
	v_mad_u64_u32 v[64:65], s[36:37], v5, v64, v[2:3]
	v_readlane_b32 s36, v236, 3
	v_lshrrev_b32_e32 v177, 6, v64
	s_mov_b32 s78, s36
	s_branch .LBB1148_987
.LBB1148_986:                           ;   in Loop: Header=BB1148_987 Depth=2
	s_or_b64 exec, exec, s[36:37]
	s_addk_i32 s86, 0xf000
	s_cmp_lt_u32 s87, s96
	s_mov_b32 s78, s87
	s_cbranch_scc0 .LBB1148_15
.LBB1148_987:                           ;   Parent Loop BB1148_17 Depth=1
                                        ; =>  This Inner Loop Header: Depth=2
	s_add_i32 s87, s78, 0x1000
	s_cmp_gt_u32 s87, s96
	s_cbranch_scc1 .LBB1148_990
; %bb.988:                              ;   in Loop: Header=BB1148_987 Depth=2
	s_mov_b32 s79, s90
	s_lshl_b64 s[36:37], s[78:79], 3
	v_mov_b32_e32 v5, s37
	v_add_co_u32_e32 v68, vcc, s36, v162
	v_addc_co_u32_e32 v69, vcc, v163, v5, vcc
	global_load_dwordx2 v[64:65], v[68:69], off
	global_load_dwordx2 v[66:67], v[68:69], off offset:512
	global_load_dwordx2 v[74:75], v[68:69], off offset:1024
	;; [unrolled: 1-line block ×7, first 2 shown]
	v_add_co_u32_e32 v68, vcc, 0x1000, v68
	v_addc_co_u32_e32 v69, vcc, 0, v69, vcc
	global_load_dwordx2 v[92:93], v[68:69], off
	global_load_dwordx2 v[88:89], v[68:69], off offset:512
	global_load_dwordx2 v[84:85], v[68:69], off offset:1024
	;; [unrolled: 1-line block ×5, first 2 shown]
	s_nop 0
	global_load_dwordx2 v[68:69], v[68:69], off offset:3072
	s_movk_i32 s40, 0x1000
	s_mov_b64 s[36:37], -1
	s_cbranch_execz .LBB1148_991
; %bb.989:                              ;   in Loop: Header=BB1148_987 Depth=2
                                        ; implicit-def: $sgpr38_sgpr39
	v_pk_mov_b32 v[70:71], s[38:39], s[38:39] op_sel:[0,1]
	v_mov_b32_e32 v183, s86
	s_and_saveexec_b64 s[38:39], s[36:37]
	s_cbranch_execnz .LBB1148_1022
	s_branch .LBB1148_1023
.LBB1148_990:                           ;   in Loop: Header=BB1148_987 Depth=2
	s_mov_b64 s[36:37], 0
                                        ; implicit-def: $sgpr40
                                        ; implicit-def: $vgpr64_vgpr65
                                        ; implicit-def: $vgpr66_vgpr67
                                        ; implicit-def: $vgpr74_vgpr75
                                        ; implicit-def: $vgpr78_vgpr79
                                        ; implicit-def: $vgpr82_vgpr83
                                        ; implicit-def: $vgpr86_vgpr87
                                        ; implicit-def: $vgpr90_vgpr91
                                        ; implicit-def: $vgpr94_vgpr95
                                        ; implicit-def: $vgpr92_vgpr93
                                        ; implicit-def: $vgpr88_vgpr89
                                        ; implicit-def: $vgpr84_vgpr85
                                        ; implicit-def: $vgpr80_vgpr81
                                        ; implicit-def: $vgpr76_vgpr77
                                        ; implicit-def: $vgpr72_vgpr73
                                        ; implicit-def: $vgpr68_vgpr69
.LBB1148_991:                           ;   in Loop: Header=BB1148_987 Depth=2
	s_mov_b32 s79, s90
	s_lshl_b64 s[36:37], s[78:79], 3
	v_mov_b32_e32 v5, s37
	v_add_co_u32_e32 v70, vcc, s36, v162
	v_addc_co_u32_e32 v71, vcc, v163, v5, vcc
	s_waitcnt vmcnt(13)
	v_pk_mov_b32 v[66:67], -1, -1
	v_cmp_gt_u32_e32 vcc, s86, v143
	v_pk_mov_b32 v[64:65], v[66:67], v[66:67] op_sel:[0,1]
	s_and_saveexec_b64 s[36:37], vcc
	s_cbranch_execz .LBB1148_993
; %bb.992:                              ;   in Loop: Header=BB1148_987 Depth=2
	global_load_dwordx2 v[64:65], v[70:71], off
.LBB1148_993:                           ;   in Loop: Header=BB1148_987 Depth=2
	s_or_b64 exec, exec, s[36:37]
	v_cmp_gt_u32_e32 vcc, s86, v144
	s_and_saveexec_b64 s[36:37], vcc
	s_cbranch_execz .LBB1148_995
; %bb.994:                              ;   in Loop: Header=BB1148_987 Depth=2
	global_load_dwordx2 v[66:67], v[70:71], off offset:512
.LBB1148_995:                           ;   in Loop: Header=BB1148_987 Depth=2
	s_or_b64 exec, exec, s[36:37]
	s_waitcnt vmcnt(11)
	v_pk_mov_b32 v[78:79], -1, -1
	v_cmp_gt_u32_e32 vcc, s86, v145
	v_pk_mov_b32 v[74:75], v[78:79], v[78:79] op_sel:[0,1]
	s_and_saveexec_b64 s[36:37], vcc
	s_cbranch_execz .LBB1148_997
; %bb.996:                              ;   in Loop: Header=BB1148_987 Depth=2
	global_load_dwordx2 v[74:75], v[70:71], off offset:1024
.LBB1148_997:                           ;   in Loop: Header=BB1148_987 Depth=2
	s_or_b64 exec, exec, s[36:37]
	v_cmp_gt_u32_e32 vcc, s86, v146
	s_and_saveexec_b64 s[36:37], vcc
	s_cbranch_execz .LBB1148_999
; %bb.998:                              ;   in Loop: Header=BB1148_987 Depth=2
	global_load_dwordx2 v[78:79], v[70:71], off offset:1536
.LBB1148_999:                           ;   in Loop: Header=BB1148_987 Depth=2
	s_or_b64 exec, exec, s[36:37]
	s_waitcnt vmcnt(9)
	v_pk_mov_b32 v[86:87], -1, -1
	v_cmp_gt_u32_e32 vcc, s86, v147
	v_pk_mov_b32 v[82:83], v[86:87], v[86:87] op_sel:[0,1]
	s_and_saveexec_b64 s[36:37], vcc
	s_cbranch_execz .LBB1148_1001
; %bb.1000:                             ;   in Loop: Header=BB1148_987 Depth=2
	global_load_dwordx2 v[82:83], v[70:71], off offset:2048
.LBB1148_1001:                          ;   in Loop: Header=BB1148_987 Depth=2
	s_or_b64 exec, exec, s[36:37]
	v_cmp_gt_u32_e32 vcc, s86, v148
	s_and_saveexec_b64 s[36:37], vcc
	s_cbranch_execz .LBB1148_1003
; %bb.1002:                             ;   in Loop: Header=BB1148_987 Depth=2
	global_load_dwordx2 v[86:87], v[70:71], off offset:2560
.LBB1148_1003:                          ;   in Loop: Header=BB1148_987 Depth=2
	s_or_b64 exec, exec, s[36:37]
	s_waitcnt vmcnt(7)
	v_pk_mov_b32 v[94:95], -1, -1
	v_cmp_gt_u32_e32 vcc, s86, v149
	v_pk_mov_b32 v[90:91], v[94:95], v[94:95] op_sel:[0,1]
	s_and_saveexec_b64 s[36:37], vcc
	s_cbranch_execz .LBB1148_1005
; %bb.1004:                             ;   in Loop: Header=BB1148_987 Depth=2
	global_load_dwordx2 v[90:91], v[70:71], off offset:3072
.LBB1148_1005:                          ;   in Loop: Header=BB1148_987 Depth=2
	s_or_b64 exec, exec, s[36:37]
	v_cmp_gt_u32_e32 vcc, s86, v150
	s_and_saveexec_b64 s[36:37], vcc
	s_cbranch_execz .LBB1148_1007
; %bb.1006:                             ;   in Loop: Header=BB1148_987 Depth=2
	global_load_dwordx2 v[94:95], v[70:71], off offset:3584
.LBB1148_1007:                          ;   in Loop: Header=BB1148_987 Depth=2
	s_or_b64 exec, exec, s[36:37]
	s_waitcnt vmcnt(5)
	v_pk_mov_b32 v[88:89], -1, -1
	v_cmp_gt_u32_e32 vcc, s86, v151
	v_pk_mov_b32 v[92:93], v[88:89], v[88:89] op_sel:[0,1]
	s_and_saveexec_b64 s[36:37], vcc
	s_cbranch_execz .LBB1148_1009
; %bb.1008:                             ;   in Loop: Header=BB1148_987 Depth=2
	s_waitcnt vmcnt(0)
	v_add_co_u32_e32 v68, vcc, 0x1000, v70
	v_addc_co_u32_e32 v69, vcc, 0, v71, vcc
	global_load_dwordx2 v[92:93], v[68:69], off
.LBB1148_1009:                          ;   in Loop: Header=BB1148_987 Depth=2
	s_or_b64 exec, exec, s[36:37]
	v_cmp_gt_u32_e32 vcc, s86, v152
	s_and_saveexec_b64 s[36:37], vcc
	s_cbranch_execz .LBB1148_1011
; %bb.1010:                             ;   in Loop: Header=BB1148_987 Depth=2
	s_waitcnt vmcnt(0)
	v_add_co_u32_e32 v68, vcc, 0x1000, v70
	v_addc_co_u32_e32 v69, vcc, 0, v71, vcc
	global_load_dwordx2 v[88:89], v[68:69], off offset:512
.LBB1148_1011:                          ;   in Loop: Header=BB1148_987 Depth=2
	s_or_b64 exec, exec, s[36:37]
	s_waitcnt vmcnt(3)
	v_pk_mov_b32 v[80:81], -1, -1
	v_cmp_gt_u32_e32 vcc, s86, v153
	v_pk_mov_b32 v[84:85], v[80:81], v[80:81] op_sel:[0,1]
	s_and_saveexec_b64 s[36:37], vcc
	s_cbranch_execz .LBB1148_1013
; %bb.1012:                             ;   in Loop: Header=BB1148_987 Depth=2
	s_waitcnt vmcnt(0)
	v_add_co_u32_e32 v68, vcc, 0x1000, v70
	v_addc_co_u32_e32 v69, vcc, 0, v71, vcc
	global_load_dwordx2 v[84:85], v[68:69], off offset:1024
.LBB1148_1013:                          ;   in Loop: Header=BB1148_987 Depth=2
	s_or_b64 exec, exec, s[36:37]
	v_cmp_gt_u32_e32 vcc, s86, v154
	s_and_saveexec_b64 s[36:37], vcc
	s_cbranch_execz .LBB1148_1015
; %bb.1014:                             ;   in Loop: Header=BB1148_987 Depth=2
	s_waitcnt vmcnt(0)
	v_add_co_u32_e32 v68, vcc, 0x1000, v70
	v_addc_co_u32_e32 v69, vcc, 0, v71, vcc
	global_load_dwordx2 v[80:81], v[68:69], off offset:1536
.LBB1148_1015:                          ;   in Loop: Header=BB1148_987 Depth=2
	s_or_b64 exec, exec, s[36:37]
	s_waitcnt vmcnt(1)
	v_pk_mov_b32 v[72:73], -1, -1
	v_cmp_gt_u32_e32 vcc, s86, v155
	v_pk_mov_b32 v[76:77], v[72:73], v[72:73] op_sel:[0,1]
	s_and_saveexec_b64 s[36:37], vcc
	s_cbranch_execz .LBB1148_1017
; %bb.1016:                             ;   in Loop: Header=BB1148_987 Depth=2
	s_waitcnt vmcnt(0)
	v_add_co_u32_e32 v68, vcc, 0x1000, v70
	v_addc_co_u32_e32 v69, vcc, 0, v71, vcc
	global_load_dwordx2 v[76:77], v[68:69], off offset:2048
.LBB1148_1017:                          ;   in Loop: Header=BB1148_987 Depth=2
	s_or_b64 exec, exec, s[36:37]
	v_cmp_gt_u32_e32 vcc, s86, v156
	s_and_saveexec_b64 s[36:37], vcc
	s_cbranch_execz .LBB1148_1019
; %bb.1018:                             ;   in Loop: Header=BB1148_987 Depth=2
	s_waitcnt vmcnt(0)
	v_add_co_u32_e32 v68, vcc, 0x1000, v70
	v_addc_co_u32_e32 v69, vcc, 0, v71, vcc
	global_load_dwordx2 v[72:73], v[68:69], off offset:2560
.LBB1148_1019:                          ;   in Loop: Header=BB1148_987 Depth=2
	s_or_b64 exec, exec, s[36:37]
	v_cmp_gt_u32_e32 vcc, s86, v157
	s_waitcnt vmcnt(0)
	v_pk_mov_b32 v[68:69], -1, -1
	s_and_saveexec_b64 s[36:37], vcc
	s_cbranch_execz .LBB1148_1021
; %bb.1020:                             ;   in Loop: Header=BB1148_987 Depth=2
	v_add_co_u32_e32 v68, vcc, 0x1000, v70
	v_addc_co_u32_e32 v69, vcc, 0, v71, vcc
	global_load_dwordx2 v[68:69], v[68:69], off offset:3072
.LBB1148_1021:                          ;   in Loop: Header=BB1148_987 Depth=2
	s_or_b64 exec, exec, s[36:37]
	s_sub_i32 s40, s96, s78
	v_cmp_gt_u32_e64 s[36:37], s86, v158
	s_mov_b64 s[38:39], -1
	v_pk_mov_b32 v[70:71], s[38:39], s[38:39] op_sel:[0,1]
	v_mov_b32_e32 v183, s86
	s_and_saveexec_b64 s[38:39], s[36:37]
	s_cbranch_execz .LBB1148_1023
.LBB1148_1022:                          ;   in Loop: Header=BB1148_987 Depth=2
	s_lshl_b64 s[36:37], s[78:79], 3
	v_mov_b32_e32 v5, s37
	v_add_co_u32_e32 v70, vcc, s36, v170
	v_addc_co_u32_e32 v71, vcc, v173, v5, vcc
	global_load_dwordx2 v[70:71], v[70:71], off
	v_mov_b32_e32 v183, s40
.LBB1148_1023:                          ;   in Loop: Header=BB1148_987 Depth=2
	s_or_b64 exec, exec, s[38:39]
	s_waitcnt vmcnt(14)
	v_cmp_gt_i64_e32 vcc, 0, v[64:65]
	v_ashrrev_i32_e32 v96, 31, v65
	v_cndmask_b32_e64 v5, v133, 0, vcc
	v_not_b32_e32 v96, v96
	v_xor_b32_e32 v65, v5, v65
	v_xor_b32_e32 v64, v96, v64
	v_cmp_ne_u64_e32 vcc, s[90:91], v[64:65]
	v_cndmask_b32_e32 v97, v133, v65, vcc
	v_cndmask_b32_e32 v96, -1, v64, vcc
	v_lshrrev_b64 v[96:97], s84, v[96:97]
	v_add_u32_e32 v5, 0x410, v27
	v_and_b32_e32 v96, s85, v96
	ds_write2_b32 v5, v4, v4 offset1:1
	ds_write2_b32 v31, v4, v4 offset0:2 offset1:3
	ds_write_b32 v31, v4 offset:16
	v_mad_u32_u24 v5, v96, 5, v177
	v_lshl_add_u32 v184, v5, 2, v29
	v_and_b32_e32 v5, 1, v96
	v_add_co_u32_e32 v97, vcc, -1, v5
	v_addc_co_u32_e64 v98, s[36:37], 0, -1, vcc
	v_cmp_ne_u32_e32 vcc, 0, v5
	v_xor_b32_e32 v5, vcc_hi, v98
	v_and_b32_e32 v98, exec_hi, v5
	v_lshlrev_b32_e32 v5, 30, v96
	v_xor_b32_e32 v97, vcc_lo, v97
	v_cmp_gt_i64_e32 vcc, 0, v[4:5]
	v_not_b32_e32 v5, v5
	v_ashrrev_i32_e32 v5, 31, v5
	v_and_b32_e32 v97, exec_lo, v97
	v_xor_b32_e32 v99, vcc_hi, v5
	v_xor_b32_e32 v5, vcc_lo, v5
	v_and_b32_e32 v97, v97, v5
	v_lshlrev_b32_e32 v5, 29, v96
	v_cmp_gt_i64_e32 vcc, 0, v[4:5]
	v_not_b32_e32 v5, v5
	v_ashrrev_i32_e32 v5, 31, v5
	v_and_b32_e32 v98, v98, v99
	v_xor_b32_e32 v99, vcc_hi, v5
	v_xor_b32_e32 v5, vcc_lo, v5
	v_and_b32_e32 v97, v97, v5
	v_lshlrev_b32_e32 v5, 28, v96
	v_cmp_gt_i64_e32 vcc, 0, v[4:5]
	v_not_b32_e32 v5, v5
	v_ashrrev_i32_e32 v5, 31, v5
	v_and_b32_e32 v98, v98, v99
	;; [unrolled: 8-line block ×5, first 2 shown]
	v_xor_b32_e32 v99, vcc_hi, v5
	v_xor_b32_e32 v5, vcc_lo, v5
	v_and_b32_e32 v98, v98, v99
	v_and_b32_e32 v99, v97, v5
	v_lshlrev_b32_e32 v5, 24, v96
	v_cmp_gt_i64_e32 vcc, 0, v[4:5]
	v_not_b32_e32 v5, v5
	v_ashrrev_i32_e32 v5, 31, v5
	v_xor_b32_e32 v96, vcc_hi, v5
	v_xor_b32_e32 v5, vcc_lo, v5
	v_and_b32_e32 v97, v98, v96
	v_and_b32_e32 v96, v99, v5
	v_mbcnt_lo_u32_b32 v5, v96, 0
	v_mbcnt_hi_u32_b32 v185, v97, v5
	v_cmp_eq_u32_e32 vcc, 0, v185
	v_cmp_ne_u64_e64 s[36:37], 0, v[96:97]
	s_and_b64 s[38:39], s[36:37], vcc
	s_waitcnt lgkmcnt(0)
	s_barrier
	s_waitcnt lgkmcnt(0)
	; wave barrier
	s_and_saveexec_b64 s[36:37], s[38:39]
	s_cbranch_execz .LBB1148_1025
; %bb.1024:                             ;   in Loop: Header=BB1148_987 Depth=2
	v_bcnt_u32_b32 v5, v96, 0
	v_bcnt_u32_b32 v5, v97, v5
	ds_write_b32 v184, v5
.LBB1148_1025:                          ;   in Loop: Header=BB1148_987 Depth=2
	s_or_b64 exec, exec, s[36:37]
	s_waitcnt vmcnt(13)
	v_cmp_gt_i64_e32 vcc, 0, v[66:67]
	v_ashrrev_i32_e32 v96, 31, v67
	v_cndmask_b32_e64 v5, v133, 0, vcc
	v_not_b32_e32 v96, v96
	v_xor_b32_e32 v67, v5, v67
	v_xor_b32_e32 v66, v96, v66
	v_cmp_ne_u64_e32 vcc, s[90:91], v[66:67]
	v_cndmask_b32_e32 v97, v133, v67, vcc
	v_cndmask_b32_e32 v96, -1, v66, vcc
	v_lshrrev_b64 v[96:97], s84, v[96:97]
	v_and_b32_e32 v96, s85, v96
	v_mul_u32_u24_e32 v5, 5, v96
	v_add_lshl_u32 v5, v5, v177, 2
	; wave barrier
	v_add_u32_e32 v187, 0x410, v5
	ds_read_b32 v186, v5 offset:1040
	v_and_b32_e32 v5, 1, v96
	v_add_co_u32_e32 v97, vcc, -1, v5
	v_addc_co_u32_e64 v98, s[36:37], 0, -1, vcc
	v_cmp_ne_u32_e32 vcc, 0, v5
	v_xor_b32_e32 v5, vcc_hi, v98
	v_and_b32_e32 v98, exec_hi, v5
	v_lshlrev_b32_e32 v5, 30, v96
	v_xor_b32_e32 v97, vcc_lo, v97
	v_cmp_gt_i64_e32 vcc, 0, v[4:5]
	v_not_b32_e32 v5, v5
	v_ashrrev_i32_e32 v5, 31, v5
	v_and_b32_e32 v97, exec_lo, v97
	v_xor_b32_e32 v99, vcc_hi, v5
	v_xor_b32_e32 v5, vcc_lo, v5
	v_and_b32_e32 v97, v97, v5
	v_lshlrev_b32_e32 v5, 29, v96
	v_cmp_gt_i64_e32 vcc, 0, v[4:5]
	v_not_b32_e32 v5, v5
	v_ashrrev_i32_e32 v5, 31, v5
	v_and_b32_e32 v98, v98, v99
	v_xor_b32_e32 v99, vcc_hi, v5
	v_xor_b32_e32 v5, vcc_lo, v5
	v_and_b32_e32 v97, v97, v5
	v_lshlrev_b32_e32 v5, 28, v96
	v_cmp_gt_i64_e32 vcc, 0, v[4:5]
	v_not_b32_e32 v5, v5
	v_ashrrev_i32_e32 v5, 31, v5
	v_and_b32_e32 v98, v98, v99
	;; [unrolled: 8-line block ×5, first 2 shown]
	v_xor_b32_e32 v99, vcc_hi, v5
	v_xor_b32_e32 v5, vcc_lo, v5
	v_and_b32_e32 v98, v98, v99
	v_and_b32_e32 v99, v97, v5
	v_lshlrev_b32_e32 v5, 24, v96
	v_cmp_gt_i64_e32 vcc, 0, v[4:5]
	v_not_b32_e32 v5, v5
	v_ashrrev_i32_e32 v5, 31, v5
	v_xor_b32_e32 v96, vcc_hi, v5
	v_xor_b32_e32 v5, vcc_lo, v5
	v_and_b32_e32 v97, v98, v96
	v_and_b32_e32 v96, v99, v5
	v_mbcnt_lo_u32_b32 v5, v96, 0
	v_mbcnt_hi_u32_b32 v188, v97, v5
	v_cmp_eq_u32_e32 vcc, 0, v188
	v_cmp_ne_u64_e64 s[36:37], 0, v[96:97]
	s_and_b64 s[38:39], s[36:37], vcc
	; wave barrier
	s_and_saveexec_b64 s[36:37], s[38:39]
	s_cbranch_execz .LBB1148_1027
; %bb.1026:                             ;   in Loop: Header=BB1148_987 Depth=2
	v_bcnt_u32_b32 v5, v96, 0
	v_bcnt_u32_b32 v5, v97, v5
	s_waitcnt lgkmcnt(0)
	v_add_u32_e32 v5, v186, v5
	ds_write_b32 v187, v5
.LBB1148_1027:                          ;   in Loop: Header=BB1148_987 Depth=2
	s_or_b64 exec, exec, s[36:37]
	s_waitcnt vmcnt(12)
	v_cmp_gt_i64_e32 vcc, 0, v[74:75]
	v_ashrrev_i32_e32 v96, 31, v75
	v_cndmask_b32_e64 v5, v133, 0, vcc
	v_not_b32_e32 v96, v96
	v_xor_b32_e32 v75, v5, v75
	v_xor_b32_e32 v74, v96, v74
	v_cmp_ne_u64_e32 vcc, s[90:91], v[74:75]
	v_cndmask_b32_e32 v97, v133, v75, vcc
	v_cndmask_b32_e32 v96, -1, v74, vcc
	v_lshrrev_b64 v[96:97], s84, v[96:97]
	v_and_b32_e32 v96, s85, v96
	v_mul_u32_u24_e32 v5, 5, v96
	v_add_lshl_u32 v5, v5, v177, 2
	; wave barrier
	v_add_u32_e32 v190, 0x410, v5
	ds_read_b32 v189, v5 offset:1040
	v_and_b32_e32 v5, 1, v96
	v_add_co_u32_e32 v97, vcc, -1, v5
	v_addc_co_u32_e64 v98, s[36:37], 0, -1, vcc
	v_cmp_ne_u32_e32 vcc, 0, v5
	v_xor_b32_e32 v5, vcc_hi, v98
	v_and_b32_e32 v98, exec_hi, v5
	v_lshlrev_b32_e32 v5, 30, v96
	v_xor_b32_e32 v97, vcc_lo, v97
	v_cmp_gt_i64_e32 vcc, 0, v[4:5]
	v_not_b32_e32 v5, v5
	v_ashrrev_i32_e32 v5, 31, v5
	v_and_b32_e32 v97, exec_lo, v97
	v_xor_b32_e32 v99, vcc_hi, v5
	v_xor_b32_e32 v5, vcc_lo, v5
	v_and_b32_e32 v97, v97, v5
	v_lshlrev_b32_e32 v5, 29, v96
	v_cmp_gt_i64_e32 vcc, 0, v[4:5]
	v_not_b32_e32 v5, v5
	v_ashrrev_i32_e32 v5, 31, v5
	v_and_b32_e32 v98, v98, v99
	v_xor_b32_e32 v99, vcc_hi, v5
	v_xor_b32_e32 v5, vcc_lo, v5
	v_and_b32_e32 v97, v97, v5
	v_lshlrev_b32_e32 v5, 28, v96
	v_cmp_gt_i64_e32 vcc, 0, v[4:5]
	v_not_b32_e32 v5, v5
	v_ashrrev_i32_e32 v5, 31, v5
	v_and_b32_e32 v98, v98, v99
	;; [unrolled: 8-line block ×5, first 2 shown]
	v_xor_b32_e32 v99, vcc_hi, v5
	v_xor_b32_e32 v5, vcc_lo, v5
	v_and_b32_e32 v98, v98, v99
	v_and_b32_e32 v99, v97, v5
	v_lshlrev_b32_e32 v5, 24, v96
	v_cmp_gt_i64_e32 vcc, 0, v[4:5]
	v_not_b32_e32 v5, v5
	v_ashrrev_i32_e32 v5, 31, v5
	v_xor_b32_e32 v96, vcc_hi, v5
	v_xor_b32_e32 v5, vcc_lo, v5
	v_and_b32_e32 v97, v98, v96
	v_and_b32_e32 v96, v99, v5
	v_mbcnt_lo_u32_b32 v5, v96, 0
	v_mbcnt_hi_u32_b32 v191, v97, v5
	v_cmp_eq_u32_e32 vcc, 0, v191
	v_cmp_ne_u64_e64 s[36:37], 0, v[96:97]
	s_and_b64 s[38:39], s[36:37], vcc
	; wave barrier
	s_and_saveexec_b64 s[36:37], s[38:39]
	s_cbranch_execz .LBB1148_1029
; %bb.1028:                             ;   in Loop: Header=BB1148_987 Depth=2
	v_bcnt_u32_b32 v5, v96, 0
	v_bcnt_u32_b32 v5, v97, v5
	s_waitcnt lgkmcnt(0)
	v_add_u32_e32 v5, v189, v5
	ds_write_b32 v190, v5
.LBB1148_1029:                          ;   in Loop: Header=BB1148_987 Depth=2
	s_or_b64 exec, exec, s[36:37]
	s_waitcnt vmcnt(11)
	v_cmp_gt_i64_e32 vcc, 0, v[78:79]
	v_ashrrev_i32_e32 v96, 31, v79
	v_cndmask_b32_e64 v5, v133, 0, vcc
	v_not_b32_e32 v96, v96
	v_xor_b32_e32 v79, v5, v79
	v_xor_b32_e32 v78, v96, v78
	v_cmp_ne_u64_e32 vcc, s[90:91], v[78:79]
	v_cndmask_b32_e32 v97, v133, v79, vcc
	v_cndmask_b32_e32 v96, -1, v78, vcc
	v_lshrrev_b64 v[96:97], s84, v[96:97]
	v_and_b32_e32 v96, s85, v96
	v_mul_u32_u24_e32 v5, 5, v96
	v_add_lshl_u32 v5, v5, v177, 2
	; wave barrier
	v_add_u32_e32 v193, 0x410, v5
	ds_read_b32 v192, v5 offset:1040
	v_and_b32_e32 v5, 1, v96
	v_add_co_u32_e32 v97, vcc, -1, v5
	v_addc_co_u32_e64 v98, s[36:37], 0, -1, vcc
	v_cmp_ne_u32_e32 vcc, 0, v5
	v_xor_b32_e32 v5, vcc_hi, v98
	v_and_b32_e32 v98, exec_hi, v5
	v_lshlrev_b32_e32 v5, 30, v96
	v_xor_b32_e32 v97, vcc_lo, v97
	v_cmp_gt_i64_e32 vcc, 0, v[4:5]
	v_not_b32_e32 v5, v5
	v_ashrrev_i32_e32 v5, 31, v5
	v_and_b32_e32 v97, exec_lo, v97
	v_xor_b32_e32 v99, vcc_hi, v5
	v_xor_b32_e32 v5, vcc_lo, v5
	v_and_b32_e32 v97, v97, v5
	v_lshlrev_b32_e32 v5, 29, v96
	v_cmp_gt_i64_e32 vcc, 0, v[4:5]
	v_not_b32_e32 v5, v5
	v_ashrrev_i32_e32 v5, 31, v5
	v_and_b32_e32 v98, v98, v99
	v_xor_b32_e32 v99, vcc_hi, v5
	v_xor_b32_e32 v5, vcc_lo, v5
	v_and_b32_e32 v97, v97, v5
	v_lshlrev_b32_e32 v5, 28, v96
	v_cmp_gt_i64_e32 vcc, 0, v[4:5]
	v_not_b32_e32 v5, v5
	v_ashrrev_i32_e32 v5, 31, v5
	v_and_b32_e32 v98, v98, v99
	;; [unrolled: 8-line block ×5, first 2 shown]
	v_xor_b32_e32 v99, vcc_hi, v5
	v_xor_b32_e32 v5, vcc_lo, v5
	v_and_b32_e32 v98, v98, v99
	v_and_b32_e32 v99, v97, v5
	v_lshlrev_b32_e32 v5, 24, v96
	v_cmp_gt_i64_e32 vcc, 0, v[4:5]
	v_not_b32_e32 v5, v5
	v_ashrrev_i32_e32 v5, 31, v5
	v_xor_b32_e32 v96, vcc_hi, v5
	v_xor_b32_e32 v5, vcc_lo, v5
	v_and_b32_e32 v97, v98, v96
	v_and_b32_e32 v96, v99, v5
	v_mbcnt_lo_u32_b32 v5, v96, 0
	v_mbcnt_hi_u32_b32 v194, v97, v5
	v_cmp_eq_u32_e32 vcc, 0, v194
	v_cmp_ne_u64_e64 s[36:37], 0, v[96:97]
	s_and_b64 s[38:39], s[36:37], vcc
	; wave barrier
	s_and_saveexec_b64 s[36:37], s[38:39]
	s_cbranch_execz .LBB1148_1031
; %bb.1030:                             ;   in Loop: Header=BB1148_987 Depth=2
	v_bcnt_u32_b32 v5, v96, 0
	v_bcnt_u32_b32 v5, v97, v5
	s_waitcnt lgkmcnt(0)
	v_add_u32_e32 v5, v192, v5
	ds_write_b32 v193, v5
.LBB1148_1031:                          ;   in Loop: Header=BB1148_987 Depth=2
	s_or_b64 exec, exec, s[36:37]
	s_waitcnt vmcnt(10)
	v_cmp_gt_i64_e32 vcc, 0, v[82:83]
	v_ashrrev_i32_e32 v96, 31, v83
	v_cndmask_b32_e64 v5, v133, 0, vcc
	v_not_b32_e32 v96, v96
	v_xor_b32_e32 v83, v5, v83
	v_xor_b32_e32 v82, v96, v82
	v_cmp_ne_u64_e32 vcc, s[90:91], v[82:83]
	v_cndmask_b32_e32 v97, v133, v83, vcc
	v_cndmask_b32_e32 v96, -1, v82, vcc
	v_lshrrev_b64 v[96:97], s84, v[96:97]
	v_and_b32_e32 v96, s85, v96
	v_mul_u32_u24_e32 v5, 5, v96
	v_add_lshl_u32 v5, v5, v177, 2
	; wave barrier
	v_add_u32_e32 v196, 0x410, v5
	ds_read_b32 v195, v5 offset:1040
	v_and_b32_e32 v5, 1, v96
	v_add_co_u32_e32 v97, vcc, -1, v5
	v_addc_co_u32_e64 v98, s[36:37], 0, -1, vcc
	v_cmp_ne_u32_e32 vcc, 0, v5
	v_xor_b32_e32 v5, vcc_hi, v98
	v_and_b32_e32 v98, exec_hi, v5
	v_lshlrev_b32_e32 v5, 30, v96
	v_xor_b32_e32 v97, vcc_lo, v97
	v_cmp_gt_i64_e32 vcc, 0, v[4:5]
	v_not_b32_e32 v5, v5
	v_ashrrev_i32_e32 v5, 31, v5
	v_and_b32_e32 v97, exec_lo, v97
	v_xor_b32_e32 v99, vcc_hi, v5
	v_xor_b32_e32 v5, vcc_lo, v5
	v_and_b32_e32 v97, v97, v5
	v_lshlrev_b32_e32 v5, 29, v96
	v_cmp_gt_i64_e32 vcc, 0, v[4:5]
	v_not_b32_e32 v5, v5
	v_ashrrev_i32_e32 v5, 31, v5
	v_and_b32_e32 v98, v98, v99
	v_xor_b32_e32 v99, vcc_hi, v5
	v_xor_b32_e32 v5, vcc_lo, v5
	v_and_b32_e32 v97, v97, v5
	v_lshlrev_b32_e32 v5, 28, v96
	v_cmp_gt_i64_e32 vcc, 0, v[4:5]
	v_not_b32_e32 v5, v5
	v_ashrrev_i32_e32 v5, 31, v5
	v_and_b32_e32 v98, v98, v99
	;; [unrolled: 8-line block ×5, first 2 shown]
	v_xor_b32_e32 v99, vcc_hi, v5
	v_xor_b32_e32 v5, vcc_lo, v5
	v_and_b32_e32 v98, v98, v99
	v_and_b32_e32 v99, v97, v5
	v_lshlrev_b32_e32 v5, 24, v96
	v_cmp_gt_i64_e32 vcc, 0, v[4:5]
	v_not_b32_e32 v5, v5
	v_ashrrev_i32_e32 v5, 31, v5
	v_xor_b32_e32 v96, vcc_hi, v5
	v_xor_b32_e32 v5, vcc_lo, v5
	v_and_b32_e32 v97, v98, v96
	v_and_b32_e32 v96, v99, v5
	v_mbcnt_lo_u32_b32 v5, v96, 0
	v_mbcnt_hi_u32_b32 v197, v97, v5
	v_cmp_eq_u32_e32 vcc, 0, v197
	v_cmp_ne_u64_e64 s[36:37], 0, v[96:97]
	s_and_b64 s[38:39], s[36:37], vcc
	; wave barrier
	s_and_saveexec_b64 s[36:37], s[38:39]
	s_cbranch_execz .LBB1148_1033
; %bb.1032:                             ;   in Loop: Header=BB1148_987 Depth=2
	v_bcnt_u32_b32 v5, v96, 0
	v_bcnt_u32_b32 v5, v97, v5
	s_waitcnt lgkmcnt(0)
	v_add_u32_e32 v5, v195, v5
	ds_write_b32 v196, v5
.LBB1148_1033:                          ;   in Loop: Header=BB1148_987 Depth=2
	s_or_b64 exec, exec, s[36:37]
	s_waitcnt vmcnt(9)
	v_cmp_gt_i64_e32 vcc, 0, v[86:87]
	v_ashrrev_i32_e32 v96, 31, v87
	v_cndmask_b32_e64 v5, v133, 0, vcc
	v_not_b32_e32 v96, v96
	v_xor_b32_e32 v87, v5, v87
	v_xor_b32_e32 v86, v96, v86
	v_cmp_ne_u64_e32 vcc, s[90:91], v[86:87]
	v_cndmask_b32_e32 v97, v133, v87, vcc
	v_cndmask_b32_e32 v96, -1, v86, vcc
	v_lshrrev_b64 v[96:97], s84, v[96:97]
	v_and_b32_e32 v96, s85, v96
	v_mul_u32_u24_e32 v5, 5, v96
	v_add_lshl_u32 v5, v5, v177, 2
	; wave barrier
	v_add_u32_e32 v199, 0x410, v5
	ds_read_b32 v198, v5 offset:1040
	v_and_b32_e32 v5, 1, v96
	v_add_co_u32_e32 v97, vcc, -1, v5
	v_addc_co_u32_e64 v98, s[36:37], 0, -1, vcc
	v_cmp_ne_u32_e32 vcc, 0, v5
	v_xor_b32_e32 v5, vcc_hi, v98
	v_and_b32_e32 v98, exec_hi, v5
	v_lshlrev_b32_e32 v5, 30, v96
	v_xor_b32_e32 v97, vcc_lo, v97
	v_cmp_gt_i64_e32 vcc, 0, v[4:5]
	v_not_b32_e32 v5, v5
	v_ashrrev_i32_e32 v5, 31, v5
	v_and_b32_e32 v97, exec_lo, v97
	v_xor_b32_e32 v99, vcc_hi, v5
	v_xor_b32_e32 v5, vcc_lo, v5
	v_and_b32_e32 v97, v97, v5
	v_lshlrev_b32_e32 v5, 29, v96
	v_cmp_gt_i64_e32 vcc, 0, v[4:5]
	v_not_b32_e32 v5, v5
	v_ashrrev_i32_e32 v5, 31, v5
	v_and_b32_e32 v98, v98, v99
	v_xor_b32_e32 v99, vcc_hi, v5
	v_xor_b32_e32 v5, vcc_lo, v5
	v_and_b32_e32 v97, v97, v5
	v_lshlrev_b32_e32 v5, 28, v96
	v_cmp_gt_i64_e32 vcc, 0, v[4:5]
	v_not_b32_e32 v5, v5
	v_ashrrev_i32_e32 v5, 31, v5
	v_and_b32_e32 v98, v98, v99
	;; [unrolled: 8-line block ×5, first 2 shown]
	v_xor_b32_e32 v99, vcc_hi, v5
	v_xor_b32_e32 v5, vcc_lo, v5
	v_and_b32_e32 v98, v98, v99
	v_and_b32_e32 v99, v97, v5
	v_lshlrev_b32_e32 v5, 24, v96
	v_cmp_gt_i64_e32 vcc, 0, v[4:5]
	v_not_b32_e32 v5, v5
	v_ashrrev_i32_e32 v5, 31, v5
	v_xor_b32_e32 v96, vcc_hi, v5
	v_xor_b32_e32 v5, vcc_lo, v5
	v_and_b32_e32 v97, v98, v96
	v_and_b32_e32 v96, v99, v5
	v_mbcnt_lo_u32_b32 v5, v96, 0
	v_mbcnt_hi_u32_b32 v200, v97, v5
	v_cmp_eq_u32_e32 vcc, 0, v200
	v_cmp_ne_u64_e64 s[36:37], 0, v[96:97]
	s_and_b64 s[38:39], s[36:37], vcc
	; wave barrier
	s_and_saveexec_b64 s[36:37], s[38:39]
	s_cbranch_execz .LBB1148_1035
; %bb.1034:                             ;   in Loop: Header=BB1148_987 Depth=2
	v_bcnt_u32_b32 v5, v96, 0
	v_bcnt_u32_b32 v5, v97, v5
	s_waitcnt lgkmcnt(0)
	v_add_u32_e32 v5, v198, v5
	ds_write_b32 v199, v5
.LBB1148_1035:                          ;   in Loop: Header=BB1148_987 Depth=2
	s_or_b64 exec, exec, s[36:37]
	s_waitcnt vmcnt(8)
	v_cmp_gt_i64_e32 vcc, 0, v[90:91]
	v_ashrrev_i32_e32 v96, 31, v91
	v_cndmask_b32_e64 v5, v133, 0, vcc
	v_not_b32_e32 v96, v96
	v_xor_b32_e32 v91, v5, v91
	v_xor_b32_e32 v90, v96, v90
	v_cmp_ne_u64_e32 vcc, s[90:91], v[90:91]
	v_cndmask_b32_e32 v97, v133, v91, vcc
	v_cndmask_b32_e32 v96, -1, v90, vcc
	v_lshrrev_b64 v[96:97], s84, v[96:97]
	v_and_b32_e32 v96, s85, v96
	v_mul_u32_u24_e32 v5, 5, v96
	v_add_lshl_u32 v5, v5, v177, 2
	; wave barrier
	v_add_u32_e32 v202, 0x410, v5
	ds_read_b32 v201, v5 offset:1040
	v_and_b32_e32 v5, 1, v96
	v_add_co_u32_e32 v97, vcc, -1, v5
	v_addc_co_u32_e64 v98, s[36:37], 0, -1, vcc
	v_cmp_ne_u32_e32 vcc, 0, v5
	v_xor_b32_e32 v5, vcc_hi, v98
	v_and_b32_e32 v98, exec_hi, v5
	v_lshlrev_b32_e32 v5, 30, v96
	v_xor_b32_e32 v97, vcc_lo, v97
	v_cmp_gt_i64_e32 vcc, 0, v[4:5]
	v_not_b32_e32 v5, v5
	v_ashrrev_i32_e32 v5, 31, v5
	v_and_b32_e32 v97, exec_lo, v97
	v_xor_b32_e32 v99, vcc_hi, v5
	v_xor_b32_e32 v5, vcc_lo, v5
	v_and_b32_e32 v97, v97, v5
	v_lshlrev_b32_e32 v5, 29, v96
	v_cmp_gt_i64_e32 vcc, 0, v[4:5]
	v_not_b32_e32 v5, v5
	v_ashrrev_i32_e32 v5, 31, v5
	v_and_b32_e32 v98, v98, v99
	v_xor_b32_e32 v99, vcc_hi, v5
	v_xor_b32_e32 v5, vcc_lo, v5
	v_and_b32_e32 v97, v97, v5
	v_lshlrev_b32_e32 v5, 28, v96
	v_cmp_gt_i64_e32 vcc, 0, v[4:5]
	v_not_b32_e32 v5, v5
	v_ashrrev_i32_e32 v5, 31, v5
	v_and_b32_e32 v98, v98, v99
	;; [unrolled: 8-line block ×5, first 2 shown]
	v_xor_b32_e32 v99, vcc_hi, v5
	v_xor_b32_e32 v5, vcc_lo, v5
	v_and_b32_e32 v98, v98, v99
	v_and_b32_e32 v99, v97, v5
	v_lshlrev_b32_e32 v5, 24, v96
	v_cmp_gt_i64_e32 vcc, 0, v[4:5]
	v_not_b32_e32 v5, v5
	v_ashrrev_i32_e32 v5, 31, v5
	v_xor_b32_e32 v96, vcc_hi, v5
	v_xor_b32_e32 v5, vcc_lo, v5
	v_and_b32_e32 v97, v98, v96
	v_and_b32_e32 v96, v99, v5
	v_mbcnt_lo_u32_b32 v5, v96, 0
	v_mbcnt_hi_u32_b32 v203, v97, v5
	v_cmp_eq_u32_e32 vcc, 0, v203
	v_cmp_ne_u64_e64 s[36:37], 0, v[96:97]
	s_and_b64 s[38:39], s[36:37], vcc
	; wave barrier
	s_and_saveexec_b64 s[36:37], s[38:39]
	s_cbranch_execz .LBB1148_1037
; %bb.1036:                             ;   in Loop: Header=BB1148_987 Depth=2
	v_bcnt_u32_b32 v5, v96, 0
	v_bcnt_u32_b32 v5, v97, v5
	s_waitcnt lgkmcnt(0)
	v_add_u32_e32 v5, v201, v5
	ds_write_b32 v202, v5
.LBB1148_1037:                          ;   in Loop: Header=BB1148_987 Depth=2
	s_or_b64 exec, exec, s[36:37]
	s_waitcnt vmcnt(7)
	v_cmp_gt_i64_e32 vcc, 0, v[94:95]
	v_ashrrev_i32_e32 v96, 31, v95
	v_cndmask_b32_e64 v5, v133, 0, vcc
	v_not_b32_e32 v96, v96
	v_xor_b32_e32 v95, v5, v95
	v_xor_b32_e32 v94, v96, v94
	v_cmp_ne_u64_e32 vcc, s[90:91], v[94:95]
	v_cndmask_b32_e32 v97, v133, v95, vcc
	v_cndmask_b32_e32 v96, -1, v94, vcc
	v_lshrrev_b64 v[96:97], s84, v[96:97]
	v_and_b32_e32 v96, s85, v96
	v_mul_u32_u24_e32 v5, 5, v96
	v_add_lshl_u32 v5, v5, v177, 2
	; wave barrier
	v_add_u32_e32 v205, 0x410, v5
	ds_read_b32 v204, v5 offset:1040
	v_and_b32_e32 v5, 1, v96
	v_add_co_u32_e32 v97, vcc, -1, v5
	v_addc_co_u32_e64 v98, s[36:37], 0, -1, vcc
	v_cmp_ne_u32_e32 vcc, 0, v5
	v_xor_b32_e32 v5, vcc_hi, v98
	v_and_b32_e32 v98, exec_hi, v5
	v_lshlrev_b32_e32 v5, 30, v96
	v_xor_b32_e32 v97, vcc_lo, v97
	v_cmp_gt_i64_e32 vcc, 0, v[4:5]
	v_not_b32_e32 v5, v5
	v_ashrrev_i32_e32 v5, 31, v5
	v_and_b32_e32 v97, exec_lo, v97
	v_xor_b32_e32 v99, vcc_hi, v5
	v_xor_b32_e32 v5, vcc_lo, v5
	v_and_b32_e32 v97, v97, v5
	v_lshlrev_b32_e32 v5, 29, v96
	v_cmp_gt_i64_e32 vcc, 0, v[4:5]
	v_not_b32_e32 v5, v5
	v_ashrrev_i32_e32 v5, 31, v5
	v_and_b32_e32 v98, v98, v99
	v_xor_b32_e32 v99, vcc_hi, v5
	v_xor_b32_e32 v5, vcc_lo, v5
	v_and_b32_e32 v97, v97, v5
	v_lshlrev_b32_e32 v5, 28, v96
	v_cmp_gt_i64_e32 vcc, 0, v[4:5]
	v_not_b32_e32 v5, v5
	v_ashrrev_i32_e32 v5, 31, v5
	v_and_b32_e32 v98, v98, v99
	v_xor_b32_e32 v99, vcc_hi, v5
	v_xor_b32_e32 v5, vcc_lo, v5
	v_and_b32_e32 v97, v97, v5
	v_lshlrev_b32_e32 v5, 27, v96
	v_cmp_gt_i64_e32 vcc, 0, v[4:5]
	v_not_b32_e32 v5, v5
	v_ashrrev_i32_e32 v5, 31, v5
	v_and_b32_e32 v98, v98, v99
	v_xor_b32_e32 v99, vcc_hi, v5
	v_xor_b32_e32 v5, vcc_lo, v5
	v_and_b32_e32 v97, v97, v5
	v_lshlrev_b32_e32 v5, 26, v96
	v_cmp_gt_i64_e32 vcc, 0, v[4:5]
	v_not_b32_e32 v5, v5
	v_ashrrev_i32_e32 v5, 31, v5
	v_and_b32_e32 v98, v98, v99
	v_xor_b32_e32 v99, vcc_hi, v5
	v_xor_b32_e32 v5, vcc_lo, v5
	v_and_b32_e32 v97, v97, v5
	v_lshlrev_b32_e32 v5, 25, v96
	v_cmp_gt_i64_e32 vcc, 0, v[4:5]
	v_not_b32_e32 v5, v5
	v_ashrrev_i32_e32 v5, 31, v5
	v_and_b32_e32 v98, v98, v99
	v_xor_b32_e32 v99, vcc_hi, v5
	v_xor_b32_e32 v5, vcc_lo, v5
	v_and_b32_e32 v98, v98, v99
	v_and_b32_e32 v99, v97, v5
	v_lshlrev_b32_e32 v5, 24, v96
	v_cmp_gt_i64_e32 vcc, 0, v[4:5]
	v_not_b32_e32 v5, v5
	v_ashrrev_i32_e32 v5, 31, v5
	v_xor_b32_e32 v96, vcc_hi, v5
	v_xor_b32_e32 v5, vcc_lo, v5
	v_and_b32_e32 v97, v98, v96
	v_and_b32_e32 v96, v99, v5
	v_mbcnt_lo_u32_b32 v5, v96, 0
	v_mbcnt_hi_u32_b32 v206, v97, v5
	v_cmp_eq_u32_e32 vcc, 0, v206
	v_cmp_ne_u64_e64 s[36:37], 0, v[96:97]
	s_and_b64 s[38:39], s[36:37], vcc
	; wave barrier
	s_and_saveexec_b64 s[36:37], s[38:39]
	s_cbranch_execz .LBB1148_1039
; %bb.1038:                             ;   in Loop: Header=BB1148_987 Depth=2
	v_bcnt_u32_b32 v5, v96, 0
	v_bcnt_u32_b32 v5, v97, v5
	s_waitcnt lgkmcnt(0)
	v_add_u32_e32 v5, v204, v5
	ds_write_b32 v205, v5
.LBB1148_1039:                          ;   in Loop: Header=BB1148_987 Depth=2
	s_or_b64 exec, exec, s[36:37]
	s_waitcnt vmcnt(6)
	v_cmp_gt_i64_e32 vcc, 0, v[92:93]
	v_ashrrev_i32_e32 v96, 31, v93
	v_cndmask_b32_e64 v5, v133, 0, vcc
	v_not_b32_e32 v96, v96
	v_xor_b32_e32 v93, v5, v93
	v_xor_b32_e32 v92, v96, v92
	v_cmp_ne_u64_e32 vcc, s[90:91], v[92:93]
	v_cndmask_b32_e32 v97, v133, v93, vcc
	v_cndmask_b32_e32 v96, -1, v92, vcc
	v_lshrrev_b64 v[96:97], s84, v[96:97]
	v_and_b32_e32 v96, s85, v96
	v_mul_u32_u24_e32 v5, 5, v96
	v_add_lshl_u32 v5, v5, v177, 2
	; wave barrier
	v_add_u32_e32 v208, 0x410, v5
	ds_read_b32 v207, v5 offset:1040
	v_and_b32_e32 v5, 1, v96
	v_add_co_u32_e32 v97, vcc, -1, v5
	v_addc_co_u32_e64 v98, s[36:37], 0, -1, vcc
	v_cmp_ne_u32_e32 vcc, 0, v5
	v_xor_b32_e32 v5, vcc_hi, v98
	v_and_b32_e32 v98, exec_hi, v5
	v_lshlrev_b32_e32 v5, 30, v96
	v_xor_b32_e32 v97, vcc_lo, v97
	v_cmp_gt_i64_e32 vcc, 0, v[4:5]
	v_not_b32_e32 v5, v5
	v_ashrrev_i32_e32 v5, 31, v5
	v_and_b32_e32 v97, exec_lo, v97
	v_xor_b32_e32 v99, vcc_hi, v5
	v_xor_b32_e32 v5, vcc_lo, v5
	v_and_b32_e32 v97, v97, v5
	v_lshlrev_b32_e32 v5, 29, v96
	v_cmp_gt_i64_e32 vcc, 0, v[4:5]
	v_not_b32_e32 v5, v5
	v_ashrrev_i32_e32 v5, 31, v5
	v_and_b32_e32 v98, v98, v99
	v_xor_b32_e32 v99, vcc_hi, v5
	v_xor_b32_e32 v5, vcc_lo, v5
	v_and_b32_e32 v97, v97, v5
	v_lshlrev_b32_e32 v5, 28, v96
	v_cmp_gt_i64_e32 vcc, 0, v[4:5]
	v_not_b32_e32 v5, v5
	v_ashrrev_i32_e32 v5, 31, v5
	v_and_b32_e32 v98, v98, v99
	;; [unrolled: 8-line block ×5, first 2 shown]
	v_xor_b32_e32 v99, vcc_hi, v5
	v_xor_b32_e32 v5, vcc_lo, v5
	v_and_b32_e32 v98, v98, v99
	v_and_b32_e32 v99, v97, v5
	v_lshlrev_b32_e32 v5, 24, v96
	v_cmp_gt_i64_e32 vcc, 0, v[4:5]
	v_not_b32_e32 v5, v5
	v_ashrrev_i32_e32 v5, 31, v5
	v_xor_b32_e32 v96, vcc_hi, v5
	v_xor_b32_e32 v5, vcc_lo, v5
	v_and_b32_e32 v97, v98, v96
	v_and_b32_e32 v96, v99, v5
	v_mbcnt_lo_u32_b32 v5, v96, 0
	v_mbcnt_hi_u32_b32 v209, v97, v5
	v_cmp_eq_u32_e32 vcc, 0, v209
	v_cmp_ne_u64_e64 s[36:37], 0, v[96:97]
	s_and_b64 s[38:39], s[36:37], vcc
	; wave barrier
	s_and_saveexec_b64 s[36:37], s[38:39]
	s_cbranch_execz .LBB1148_1041
; %bb.1040:                             ;   in Loop: Header=BB1148_987 Depth=2
	v_bcnt_u32_b32 v5, v96, 0
	v_bcnt_u32_b32 v5, v97, v5
	s_waitcnt lgkmcnt(0)
	v_add_u32_e32 v5, v207, v5
	ds_write_b32 v208, v5
.LBB1148_1041:                          ;   in Loop: Header=BB1148_987 Depth=2
	s_or_b64 exec, exec, s[36:37]
	s_waitcnt vmcnt(5)
	v_cmp_gt_i64_e32 vcc, 0, v[88:89]
	v_ashrrev_i32_e32 v96, 31, v89
	v_cndmask_b32_e64 v5, v133, 0, vcc
	v_not_b32_e32 v96, v96
	v_xor_b32_e32 v89, v5, v89
	v_xor_b32_e32 v88, v96, v88
	v_cmp_ne_u64_e32 vcc, s[90:91], v[88:89]
	v_cndmask_b32_e32 v97, v133, v89, vcc
	v_cndmask_b32_e32 v96, -1, v88, vcc
	v_lshrrev_b64 v[96:97], s84, v[96:97]
	v_and_b32_e32 v96, s85, v96
	v_mul_u32_u24_e32 v5, 5, v96
	v_add_lshl_u32 v5, v5, v177, 2
	; wave barrier
	v_add_u32_e32 v211, 0x410, v5
	ds_read_b32 v210, v5 offset:1040
	v_and_b32_e32 v5, 1, v96
	v_add_co_u32_e32 v97, vcc, -1, v5
	v_addc_co_u32_e64 v98, s[36:37], 0, -1, vcc
	v_cmp_ne_u32_e32 vcc, 0, v5
	v_xor_b32_e32 v5, vcc_hi, v98
	v_and_b32_e32 v98, exec_hi, v5
	v_lshlrev_b32_e32 v5, 30, v96
	v_xor_b32_e32 v97, vcc_lo, v97
	v_cmp_gt_i64_e32 vcc, 0, v[4:5]
	v_not_b32_e32 v5, v5
	v_ashrrev_i32_e32 v5, 31, v5
	v_and_b32_e32 v97, exec_lo, v97
	v_xor_b32_e32 v99, vcc_hi, v5
	v_xor_b32_e32 v5, vcc_lo, v5
	v_and_b32_e32 v97, v97, v5
	v_lshlrev_b32_e32 v5, 29, v96
	v_cmp_gt_i64_e32 vcc, 0, v[4:5]
	v_not_b32_e32 v5, v5
	v_ashrrev_i32_e32 v5, 31, v5
	v_and_b32_e32 v98, v98, v99
	v_xor_b32_e32 v99, vcc_hi, v5
	v_xor_b32_e32 v5, vcc_lo, v5
	v_and_b32_e32 v97, v97, v5
	v_lshlrev_b32_e32 v5, 28, v96
	v_cmp_gt_i64_e32 vcc, 0, v[4:5]
	v_not_b32_e32 v5, v5
	v_ashrrev_i32_e32 v5, 31, v5
	v_and_b32_e32 v98, v98, v99
	v_xor_b32_e32 v99, vcc_hi, v5
	v_xor_b32_e32 v5, vcc_lo, v5
	v_and_b32_e32 v97, v97, v5
	v_lshlrev_b32_e32 v5, 27, v96
	v_cmp_gt_i64_e32 vcc, 0, v[4:5]
	v_not_b32_e32 v5, v5
	v_ashrrev_i32_e32 v5, 31, v5
	v_and_b32_e32 v98, v98, v99
	v_xor_b32_e32 v99, vcc_hi, v5
	v_xor_b32_e32 v5, vcc_lo, v5
	v_and_b32_e32 v97, v97, v5
	v_lshlrev_b32_e32 v5, 26, v96
	v_cmp_gt_i64_e32 vcc, 0, v[4:5]
	v_not_b32_e32 v5, v5
	v_ashrrev_i32_e32 v5, 31, v5
	v_and_b32_e32 v98, v98, v99
	v_xor_b32_e32 v99, vcc_hi, v5
	v_xor_b32_e32 v5, vcc_lo, v5
	v_and_b32_e32 v97, v97, v5
	v_lshlrev_b32_e32 v5, 25, v96
	v_cmp_gt_i64_e32 vcc, 0, v[4:5]
	v_not_b32_e32 v5, v5
	v_ashrrev_i32_e32 v5, 31, v5
	v_and_b32_e32 v98, v98, v99
	v_xor_b32_e32 v99, vcc_hi, v5
	v_xor_b32_e32 v5, vcc_lo, v5
	v_and_b32_e32 v98, v98, v99
	v_and_b32_e32 v99, v97, v5
	v_lshlrev_b32_e32 v5, 24, v96
	v_cmp_gt_i64_e32 vcc, 0, v[4:5]
	v_not_b32_e32 v5, v5
	v_ashrrev_i32_e32 v5, 31, v5
	v_xor_b32_e32 v96, vcc_hi, v5
	v_xor_b32_e32 v5, vcc_lo, v5
	v_and_b32_e32 v97, v98, v96
	v_and_b32_e32 v96, v99, v5
	v_mbcnt_lo_u32_b32 v5, v96, 0
	v_mbcnt_hi_u32_b32 v212, v97, v5
	v_cmp_eq_u32_e32 vcc, 0, v212
	v_cmp_ne_u64_e64 s[36:37], 0, v[96:97]
	s_and_b64 s[38:39], s[36:37], vcc
	; wave barrier
	s_and_saveexec_b64 s[36:37], s[38:39]
	s_cbranch_execz .LBB1148_1043
; %bb.1042:                             ;   in Loop: Header=BB1148_987 Depth=2
	v_bcnt_u32_b32 v5, v96, 0
	v_bcnt_u32_b32 v5, v97, v5
	s_waitcnt lgkmcnt(0)
	v_add_u32_e32 v5, v210, v5
	ds_write_b32 v211, v5
.LBB1148_1043:                          ;   in Loop: Header=BB1148_987 Depth=2
	s_or_b64 exec, exec, s[36:37]
	s_waitcnt vmcnt(4)
	v_cmp_gt_i64_e32 vcc, 0, v[84:85]
	v_ashrrev_i32_e32 v96, 31, v85
	v_cndmask_b32_e64 v5, v133, 0, vcc
	v_not_b32_e32 v96, v96
	v_xor_b32_e32 v85, v5, v85
	v_xor_b32_e32 v84, v96, v84
	v_cmp_ne_u64_e32 vcc, s[90:91], v[84:85]
	v_cndmask_b32_e32 v97, v133, v85, vcc
	v_cndmask_b32_e32 v96, -1, v84, vcc
	v_lshrrev_b64 v[96:97], s84, v[96:97]
	v_and_b32_e32 v96, s85, v96
	v_mul_u32_u24_e32 v5, 5, v96
	v_add_lshl_u32 v5, v5, v177, 2
	; wave barrier
	v_add_u32_e32 v214, 0x410, v5
	ds_read_b32 v213, v5 offset:1040
	v_and_b32_e32 v5, 1, v96
	v_add_co_u32_e32 v97, vcc, -1, v5
	v_addc_co_u32_e64 v98, s[36:37], 0, -1, vcc
	v_cmp_ne_u32_e32 vcc, 0, v5
	v_xor_b32_e32 v5, vcc_hi, v98
	v_and_b32_e32 v98, exec_hi, v5
	v_lshlrev_b32_e32 v5, 30, v96
	v_xor_b32_e32 v97, vcc_lo, v97
	v_cmp_gt_i64_e32 vcc, 0, v[4:5]
	v_not_b32_e32 v5, v5
	v_ashrrev_i32_e32 v5, 31, v5
	v_and_b32_e32 v97, exec_lo, v97
	v_xor_b32_e32 v99, vcc_hi, v5
	v_xor_b32_e32 v5, vcc_lo, v5
	v_and_b32_e32 v97, v97, v5
	v_lshlrev_b32_e32 v5, 29, v96
	v_cmp_gt_i64_e32 vcc, 0, v[4:5]
	v_not_b32_e32 v5, v5
	v_ashrrev_i32_e32 v5, 31, v5
	v_and_b32_e32 v98, v98, v99
	v_xor_b32_e32 v99, vcc_hi, v5
	v_xor_b32_e32 v5, vcc_lo, v5
	v_and_b32_e32 v97, v97, v5
	v_lshlrev_b32_e32 v5, 28, v96
	v_cmp_gt_i64_e32 vcc, 0, v[4:5]
	v_not_b32_e32 v5, v5
	v_ashrrev_i32_e32 v5, 31, v5
	v_and_b32_e32 v98, v98, v99
	;; [unrolled: 8-line block ×5, first 2 shown]
	v_xor_b32_e32 v99, vcc_hi, v5
	v_xor_b32_e32 v5, vcc_lo, v5
	v_and_b32_e32 v98, v98, v99
	v_and_b32_e32 v99, v97, v5
	v_lshlrev_b32_e32 v5, 24, v96
	v_cmp_gt_i64_e32 vcc, 0, v[4:5]
	v_not_b32_e32 v5, v5
	v_ashrrev_i32_e32 v5, 31, v5
	v_xor_b32_e32 v96, vcc_hi, v5
	v_xor_b32_e32 v5, vcc_lo, v5
	v_and_b32_e32 v97, v98, v96
	v_and_b32_e32 v96, v99, v5
	v_mbcnt_lo_u32_b32 v5, v96, 0
	v_mbcnt_hi_u32_b32 v215, v97, v5
	v_cmp_eq_u32_e32 vcc, 0, v215
	v_cmp_ne_u64_e64 s[36:37], 0, v[96:97]
	s_and_b64 s[38:39], s[36:37], vcc
	; wave barrier
	s_and_saveexec_b64 s[36:37], s[38:39]
	s_cbranch_execz .LBB1148_1045
; %bb.1044:                             ;   in Loop: Header=BB1148_987 Depth=2
	v_bcnt_u32_b32 v5, v96, 0
	v_bcnt_u32_b32 v5, v97, v5
	s_waitcnt lgkmcnt(0)
	v_add_u32_e32 v5, v213, v5
	ds_write_b32 v214, v5
.LBB1148_1045:                          ;   in Loop: Header=BB1148_987 Depth=2
	s_or_b64 exec, exec, s[36:37]
	s_waitcnt vmcnt(3)
	v_cmp_gt_i64_e32 vcc, 0, v[80:81]
	v_ashrrev_i32_e32 v96, 31, v81
	v_cndmask_b32_e64 v5, v133, 0, vcc
	v_not_b32_e32 v96, v96
	v_xor_b32_e32 v81, v5, v81
	v_xor_b32_e32 v80, v96, v80
	v_cmp_ne_u64_e32 vcc, s[90:91], v[80:81]
	v_cndmask_b32_e32 v97, v133, v81, vcc
	v_cndmask_b32_e32 v96, -1, v80, vcc
	v_lshrrev_b64 v[96:97], s84, v[96:97]
	v_and_b32_e32 v96, s85, v96
	v_mul_u32_u24_e32 v5, 5, v96
	v_add_lshl_u32 v5, v5, v177, 2
	; wave barrier
	v_add_u32_e32 v217, 0x410, v5
	ds_read_b32 v216, v5 offset:1040
	v_and_b32_e32 v5, 1, v96
	v_add_co_u32_e32 v97, vcc, -1, v5
	v_addc_co_u32_e64 v98, s[36:37], 0, -1, vcc
	v_cmp_ne_u32_e32 vcc, 0, v5
	v_xor_b32_e32 v5, vcc_hi, v98
	v_and_b32_e32 v98, exec_hi, v5
	v_lshlrev_b32_e32 v5, 30, v96
	v_xor_b32_e32 v97, vcc_lo, v97
	v_cmp_gt_i64_e32 vcc, 0, v[4:5]
	v_not_b32_e32 v5, v5
	v_ashrrev_i32_e32 v5, 31, v5
	v_and_b32_e32 v97, exec_lo, v97
	v_xor_b32_e32 v99, vcc_hi, v5
	v_xor_b32_e32 v5, vcc_lo, v5
	v_and_b32_e32 v97, v97, v5
	v_lshlrev_b32_e32 v5, 29, v96
	v_cmp_gt_i64_e32 vcc, 0, v[4:5]
	v_not_b32_e32 v5, v5
	v_ashrrev_i32_e32 v5, 31, v5
	v_and_b32_e32 v98, v98, v99
	v_xor_b32_e32 v99, vcc_hi, v5
	v_xor_b32_e32 v5, vcc_lo, v5
	v_and_b32_e32 v97, v97, v5
	v_lshlrev_b32_e32 v5, 28, v96
	v_cmp_gt_i64_e32 vcc, 0, v[4:5]
	v_not_b32_e32 v5, v5
	v_ashrrev_i32_e32 v5, 31, v5
	v_and_b32_e32 v98, v98, v99
	;; [unrolled: 8-line block ×5, first 2 shown]
	v_xor_b32_e32 v99, vcc_hi, v5
	v_xor_b32_e32 v5, vcc_lo, v5
	v_and_b32_e32 v98, v98, v99
	v_and_b32_e32 v99, v97, v5
	v_lshlrev_b32_e32 v5, 24, v96
	v_cmp_gt_i64_e32 vcc, 0, v[4:5]
	v_not_b32_e32 v5, v5
	v_ashrrev_i32_e32 v5, 31, v5
	v_xor_b32_e32 v96, vcc_hi, v5
	v_xor_b32_e32 v5, vcc_lo, v5
	v_and_b32_e32 v97, v98, v96
	v_and_b32_e32 v96, v99, v5
	v_mbcnt_lo_u32_b32 v5, v96, 0
	v_mbcnt_hi_u32_b32 v218, v97, v5
	v_cmp_eq_u32_e32 vcc, 0, v218
	v_cmp_ne_u64_e64 s[36:37], 0, v[96:97]
	s_and_b64 s[38:39], s[36:37], vcc
	; wave barrier
	s_and_saveexec_b64 s[36:37], s[38:39]
	s_cbranch_execz .LBB1148_1047
; %bb.1046:                             ;   in Loop: Header=BB1148_987 Depth=2
	v_bcnt_u32_b32 v5, v96, 0
	v_bcnt_u32_b32 v5, v97, v5
	s_waitcnt lgkmcnt(0)
	v_add_u32_e32 v5, v216, v5
	ds_write_b32 v217, v5
.LBB1148_1047:                          ;   in Loop: Header=BB1148_987 Depth=2
	s_or_b64 exec, exec, s[36:37]
	s_waitcnt vmcnt(2)
	v_cmp_gt_i64_e32 vcc, 0, v[76:77]
	v_ashrrev_i32_e32 v96, 31, v77
	v_cndmask_b32_e64 v5, v133, 0, vcc
	v_not_b32_e32 v96, v96
	v_xor_b32_e32 v77, v5, v77
	v_xor_b32_e32 v76, v96, v76
	v_cmp_ne_u64_e32 vcc, s[90:91], v[76:77]
	v_cndmask_b32_e32 v97, v133, v77, vcc
	v_cndmask_b32_e32 v96, -1, v76, vcc
	v_lshrrev_b64 v[96:97], s84, v[96:97]
	v_and_b32_e32 v96, s85, v96
	v_mul_u32_u24_e32 v5, 5, v96
	v_add_lshl_u32 v5, v5, v177, 2
	; wave barrier
	v_add_u32_e32 v220, 0x410, v5
	ds_read_b32 v219, v5 offset:1040
	v_and_b32_e32 v5, 1, v96
	v_add_co_u32_e32 v97, vcc, -1, v5
	v_addc_co_u32_e64 v98, s[36:37], 0, -1, vcc
	v_cmp_ne_u32_e32 vcc, 0, v5
	v_xor_b32_e32 v5, vcc_hi, v98
	v_and_b32_e32 v98, exec_hi, v5
	v_lshlrev_b32_e32 v5, 30, v96
	v_xor_b32_e32 v97, vcc_lo, v97
	v_cmp_gt_i64_e32 vcc, 0, v[4:5]
	v_not_b32_e32 v5, v5
	v_ashrrev_i32_e32 v5, 31, v5
	v_and_b32_e32 v97, exec_lo, v97
	v_xor_b32_e32 v99, vcc_hi, v5
	v_xor_b32_e32 v5, vcc_lo, v5
	v_and_b32_e32 v97, v97, v5
	v_lshlrev_b32_e32 v5, 29, v96
	v_cmp_gt_i64_e32 vcc, 0, v[4:5]
	v_not_b32_e32 v5, v5
	v_ashrrev_i32_e32 v5, 31, v5
	v_and_b32_e32 v98, v98, v99
	v_xor_b32_e32 v99, vcc_hi, v5
	v_xor_b32_e32 v5, vcc_lo, v5
	v_and_b32_e32 v97, v97, v5
	v_lshlrev_b32_e32 v5, 28, v96
	v_cmp_gt_i64_e32 vcc, 0, v[4:5]
	v_not_b32_e32 v5, v5
	v_ashrrev_i32_e32 v5, 31, v5
	v_and_b32_e32 v98, v98, v99
	;; [unrolled: 8-line block ×5, first 2 shown]
	v_xor_b32_e32 v99, vcc_hi, v5
	v_xor_b32_e32 v5, vcc_lo, v5
	v_and_b32_e32 v98, v98, v99
	v_and_b32_e32 v99, v97, v5
	v_lshlrev_b32_e32 v5, 24, v96
	v_cmp_gt_i64_e32 vcc, 0, v[4:5]
	v_not_b32_e32 v5, v5
	v_ashrrev_i32_e32 v5, 31, v5
	v_xor_b32_e32 v96, vcc_hi, v5
	v_xor_b32_e32 v5, vcc_lo, v5
	v_and_b32_e32 v97, v98, v96
	v_and_b32_e32 v96, v99, v5
	v_mbcnt_lo_u32_b32 v5, v96, 0
	v_mbcnt_hi_u32_b32 v221, v97, v5
	v_cmp_eq_u32_e32 vcc, 0, v221
	v_cmp_ne_u64_e64 s[36:37], 0, v[96:97]
	s_and_b64 s[38:39], s[36:37], vcc
	; wave barrier
	s_and_saveexec_b64 s[36:37], s[38:39]
	s_cbranch_execz .LBB1148_1049
; %bb.1048:                             ;   in Loop: Header=BB1148_987 Depth=2
	v_bcnt_u32_b32 v5, v96, 0
	v_bcnt_u32_b32 v5, v97, v5
	s_waitcnt lgkmcnt(0)
	v_add_u32_e32 v5, v219, v5
	ds_write_b32 v220, v5
.LBB1148_1049:                          ;   in Loop: Header=BB1148_987 Depth=2
	s_or_b64 exec, exec, s[36:37]
	s_waitcnt vmcnt(1)
	v_cmp_gt_i64_e32 vcc, 0, v[72:73]
	v_ashrrev_i32_e32 v96, 31, v73
	v_cndmask_b32_e64 v5, v133, 0, vcc
	v_not_b32_e32 v96, v96
	v_xor_b32_e32 v73, v5, v73
	v_xor_b32_e32 v72, v96, v72
	v_cmp_ne_u64_e32 vcc, s[90:91], v[72:73]
	v_cndmask_b32_e32 v97, v133, v73, vcc
	v_cndmask_b32_e32 v96, -1, v72, vcc
	v_lshrrev_b64 v[96:97], s84, v[96:97]
	v_and_b32_e32 v96, s85, v96
	v_mul_u32_u24_e32 v5, 5, v96
	v_add_lshl_u32 v5, v5, v177, 2
	; wave barrier
	v_add_u32_e32 v223, 0x410, v5
	ds_read_b32 v222, v5 offset:1040
	v_and_b32_e32 v5, 1, v96
	v_add_co_u32_e32 v97, vcc, -1, v5
	v_addc_co_u32_e64 v98, s[36:37], 0, -1, vcc
	v_cmp_ne_u32_e32 vcc, 0, v5
	v_xor_b32_e32 v5, vcc_hi, v98
	v_and_b32_e32 v98, exec_hi, v5
	v_lshlrev_b32_e32 v5, 30, v96
	v_xor_b32_e32 v97, vcc_lo, v97
	v_cmp_gt_i64_e32 vcc, 0, v[4:5]
	v_not_b32_e32 v5, v5
	v_ashrrev_i32_e32 v5, 31, v5
	v_and_b32_e32 v97, exec_lo, v97
	v_xor_b32_e32 v99, vcc_hi, v5
	v_xor_b32_e32 v5, vcc_lo, v5
	v_and_b32_e32 v97, v97, v5
	v_lshlrev_b32_e32 v5, 29, v96
	v_cmp_gt_i64_e32 vcc, 0, v[4:5]
	v_not_b32_e32 v5, v5
	v_ashrrev_i32_e32 v5, 31, v5
	v_and_b32_e32 v98, v98, v99
	v_xor_b32_e32 v99, vcc_hi, v5
	v_xor_b32_e32 v5, vcc_lo, v5
	v_and_b32_e32 v97, v97, v5
	v_lshlrev_b32_e32 v5, 28, v96
	v_cmp_gt_i64_e32 vcc, 0, v[4:5]
	v_not_b32_e32 v5, v5
	v_ashrrev_i32_e32 v5, 31, v5
	v_and_b32_e32 v98, v98, v99
	;; [unrolled: 8-line block ×5, first 2 shown]
	v_xor_b32_e32 v99, vcc_hi, v5
	v_xor_b32_e32 v5, vcc_lo, v5
	v_and_b32_e32 v98, v98, v99
	v_and_b32_e32 v99, v97, v5
	v_lshlrev_b32_e32 v5, 24, v96
	v_cmp_gt_i64_e32 vcc, 0, v[4:5]
	v_not_b32_e32 v5, v5
	v_ashrrev_i32_e32 v5, 31, v5
	v_xor_b32_e32 v96, vcc_hi, v5
	v_xor_b32_e32 v5, vcc_lo, v5
	v_and_b32_e32 v97, v98, v96
	v_and_b32_e32 v96, v99, v5
	v_mbcnt_lo_u32_b32 v5, v96, 0
	v_mbcnt_hi_u32_b32 v224, v97, v5
	v_cmp_eq_u32_e32 vcc, 0, v224
	v_cmp_ne_u64_e64 s[36:37], 0, v[96:97]
	s_and_b64 s[38:39], s[36:37], vcc
	; wave barrier
	s_and_saveexec_b64 s[36:37], s[38:39]
	s_cbranch_execz .LBB1148_1051
; %bb.1050:                             ;   in Loop: Header=BB1148_987 Depth=2
	v_bcnt_u32_b32 v5, v96, 0
	v_bcnt_u32_b32 v5, v97, v5
	s_waitcnt lgkmcnt(0)
	v_add_u32_e32 v5, v222, v5
	ds_write_b32 v223, v5
.LBB1148_1051:                          ;   in Loop: Header=BB1148_987 Depth=2
	s_or_b64 exec, exec, s[36:37]
	s_waitcnt vmcnt(0)
	v_cmp_gt_i64_e32 vcc, 0, v[68:69]
	v_ashrrev_i32_e32 v96, 31, v69
	v_cndmask_b32_e64 v5, v133, 0, vcc
	v_not_b32_e32 v96, v96
	v_xor_b32_e32 v69, v5, v69
	v_xor_b32_e32 v68, v96, v68
	v_cmp_ne_u64_e32 vcc, s[90:91], v[68:69]
	v_cndmask_b32_e32 v97, v133, v69, vcc
	v_cndmask_b32_e32 v96, -1, v68, vcc
	v_lshrrev_b64 v[96:97], s84, v[96:97]
	v_and_b32_e32 v96, s85, v96
	v_mul_u32_u24_e32 v5, 5, v96
	v_add_lshl_u32 v5, v5, v177, 2
	; wave barrier
	v_add_u32_e32 v226, 0x410, v5
	ds_read_b32 v225, v5 offset:1040
	v_and_b32_e32 v5, 1, v96
	v_add_co_u32_e32 v97, vcc, -1, v5
	v_addc_co_u32_e64 v98, s[36:37], 0, -1, vcc
	v_cmp_ne_u32_e32 vcc, 0, v5
	v_xor_b32_e32 v5, vcc_hi, v98
	v_and_b32_e32 v98, exec_hi, v5
	v_lshlrev_b32_e32 v5, 30, v96
	v_xor_b32_e32 v97, vcc_lo, v97
	v_cmp_gt_i64_e32 vcc, 0, v[4:5]
	v_not_b32_e32 v5, v5
	v_ashrrev_i32_e32 v5, 31, v5
	v_and_b32_e32 v97, exec_lo, v97
	v_xor_b32_e32 v99, vcc_hi, v5
	v_xor_b32_e32 v5, vcc_lo, v5
	v_and_b32_e32 v97, v97, v5
	v_lshlrev_b32_e32 v5, 29, v96
	v_cmp_gt_i64_e32 vcc, 0, v[4:5]
	v_not_b32_e32 v5, v5
	v_ashrrev_i32_e32 v5, 31, v5
	v_and_b32_e32 v98, v98, v99
	v_xor_b32_e32 v99, vcc_hi, v5
	v_xor_b32_e32 v5, vcc_lo, v5
	v_and_b32_e32 v97, v97, v5
	v_lshlrev_b32_e32 v5, 28, v96
	v_cmp_gt_i64_e32 vcc, 0, v[4:5]
	v_not_b32_e32 v5, v5
	v_ashrrev_i32_e32 v5, 31, v5
	v_and_b32_e32 v98, v98, v99
	;; [unrolled: 8-line block ×5, first 2 shown]
	v_xor_b32_e32 v99, vcc_hi, v5
	v_xor_b32_e32 v5, vcc_lo, v5
	v_and_b32_e32 v98, v98, v99
	v_and_b32_e32 v99, v97, v5
	v_lshlrev_b32_e32 v5, 24, v96
	v_cmp_gt_i64_e32 vcc, 0, v[4:5]
	v_not_b32_e32 v5, v5
	v_ashrrev_i32_e32 v5, 31, v5
	v_xor_b32_e32 v96, vcc_hi, v5
	v_xor_b32_e32 v5, vcc_lo, v5
	v_and_b32_e32 v97, v98, v96
	v_and_b32_e32 v96, v99, v5
	v_mbcnt_lo_u32_b32 v5, v96, 0
	v_mbcnt_hi_u32_b32 v227, v97, v5
	v_cmp_eq_u32_e32 vcc, 0, v227
	v_cmp_ne_u64_e64 s[36:37], 0, v[96:97]
	s_and_b64 s[38:39], s[36:37], vcc
	; wave barrier
	s_and_saveexec_b64 s[36:37], s[38:39]
	s_cbranch_execz .LBB1148_1053
; %bb.1052:                             ;   in Loop: Header=BB1148_987 Depth=2
	v_bcnt_u32_b32 v5, v96, 0
	v_bcnt_u32_b32 v5, v97, v5
	s_waitcnt lgkmcnt(0)
	v_add_u32_e32 v5, v225, v5
	ds_write_b32 v226, v5
.LBB1148_1053:                          ;   in Loop: Header=BB1148_987 Depth=2
	s_or_b64 exec, exec, s[36:37]
	v_cmp_gt_i64_e32 vcc, 0, v[70:71]
	v_ashrrev_i32_e32 v96, 31, v71
	v_cndmask_b32_e64 v5, v133, 0, vcc
	v_not_b32_e32 v96, v96
	v_xor_b32_e32 v71, v5, v71
	v_xor_b32_e32 v70, v96, v70
	v_cmp_ne_u64_e32 vcc, s[90:91], v[70:71]
	v_cndmask_b32_e32 v97, v133, v71, vcc
	v_cndmask_b32_e32 v96, -1, v70, vcc
	v_lshrrev_b64 v[96:97], s84, v[96:97]
	v_and_b32_e32 v96, s85, v96
	v_mul_u32_u24_e32 v5, 5, v96
	v_add_lshl_u32 v5, v5, v177, 2
	; wave barrier
	v_add_u32_e32 v229, 0x410, v5
	ds_read_b32 v228, v5 offset:1040
	v_and_b32_e32 v5, 1, v96
	v_add_co_u32_e32 v97, vcc, -1, v5
	v_addc_co_u32_e64 v98, s[36:37], 0, -1, vcc
	v_cmp_ne_u32_e32 vcc, 0, v5
	v_xor_b32_e32 v5, vcc_hi, v98
	v_and_b32_e32 v98, exec_hi, v5
	v_lshlrev_b32_e32 v5, 30, v96
	v_xor_b32_e32 v97, vcc_lo, v97
	v_cmp_gt_i64_e32 vcc, 0, v[4:5]
	v_not_b32_e32 v5, v5
	v_ashrrev_i32_e32 v5, 31, v5
	v_and_b32_e32 v97, exec_lo, v97
	v_xor_b32_e32 v99, vcc_hi, v5
	v_xor_b32_e32 v5, vcc_lo, v5
	v_and_b32_e32 v97, v97, v5
	v_lshlrev_b32_e32 v5, 29, v96
	v_cmp_gt_i64_e32 vcc, 0, v[4:5]
	v_not_b32_e32 v5, v5
	v_ashrrev_i32_e32 v5, 31, v5
	v_and_b32_e32 v98, v98, v99
	v_xor_b32_e32 v99, vcc_hi, v5
	v_xor_b32_e32 v5, vcc_lo, v5
	v_and_b32_e32 v97, v97, v5
	v_lshlrev_b32_e32 v5, 28, v96
	v_cmp_gt_i64_e32 vcc, 0, v[4:5]
	v_not_b32_e32 v5, v5
	v_ashrrev_i32_e32 v5, 31, v5
	v_and_b32_e32 v98, v98, v99
	;; [unrolled: 8-line block ×5, first 2 shown]
	v_xor_b32_e32 v99, vcc_hi, v5
	v_xor_b32_e32 v5, vcc_lo, v5
	v_and_b32_e32 v98, v98, v99
	v_and_b32_e32 v99, v97, v5
	v_lshlrev_b32_e32 v5, 24, v96
	v_cmp_gt_i64_e32 vcc, 0, v[4:5]
	v_not_b32_e32 v5, v5
	v_ashrrev_i32_e32 v5, 31, v5
	v_xor_b32_e32 v96, vcc_hi, v5
	v_xor_b32_e32 v5, vcc_lo, v5
	v_and_b32_e32 v97, v98, v96
	v_and_b32_e32 v96, v99, v5
	v_mbcnt_lo_u32_b32 v5, v96, 0
	v_mbcnt_hi_u32_b32 v230, v97, v5
	v_cmp_eq_u32_e32 vcc, 0, v230
	v_cmp_ne_u64_e64 s[36:37], 0, v[96:97]
	s_and_b64 s[38:39], s[36:37], vcc
	; wave barrier
	s_and_saveexec_b64 s[36:37], s[38:39]
	s_cbranch_execz .LBB1148_1055
; %bb.1054:                             ;   in Loop: Header=BB1148_987 Depth=2
	v_bcnt_u32_b32 v5, v96, 0
	v_bcnt_u32_b32 v5, v97, v5
	s_waitcnt lgkmcnt(0)
	v_add_u32_e32 v5, v228, v5
	ds_write_b32 v229, v5
.LBB1148_1055:                          ;   in Loop: Header=BB1148_987 Depth=2
	s_or_b64 exec, exec, s[36:37]
	; wave barrier
	s_waitcnt lgkmcnt(0)
	s_barrier
	ds_read_b32 v5, v27 offset:1040
	ds_read2_b32 v[98:99], v31 offset0:1 offset1:2
	ds_read2_b32 v[96:97], v31 offset0:3 offset1:4
	s_waitcnt lgkmcnt(1)
	v_add3_u32 v231, v98, v5, v99
	s_waitcnt lgkmcnt(0)
	v_add3_u32 v97, v231, v96, v97
	s_nop 1
	v_mov_b32_dpp v231, v97 row_shr:1 row_mask:0xf bank_mask:0xf
	v_cndmask_b32_e64 v231, v231, 0, s[16:17]
	v_add_u32_e32 v97, v231, v97
	s_nop 1
	v_mov_b32_dpp v231, v97 row_shr:2 row_mask:0xf bank_mask:0xf
	v_cndmask_b32_e64 v231, 0, v231, s[18:19]
	v_add_u32_e32 v97, v97, v231
	;; [unrolled: 4-line block ×4, first 2 shown]
	s_nop 1
	v_mov_b32_dpp v231, v97 row_bcast:15 row_mask:0xf bank_mask:0xf
	v_cndmask_b32_e64 v231, v231, 0, s[24:25]
	v_add_u32_e32 v97, v97, v231
	s_nop 1
	v_mov_b32_dpp v231, v97 row_bcast:31 row_mask:0xf bank_mask:0xf
	v_cndmask_b32_e64 v231, 0, v231, s[26:27]
	v_add_u32_e32 v97, v97, v231
	s_and_saveexec_b64 s[36:37], s[6:7]
	s_cbranch_execz .LBB1148_1057
; %bb.1056:                             ;   in Loop: Header=BB1148_987 Depth=2
	ds_write_b32 v15, v97 offset:1024
.LBB1148_1057:                          ;   in Loop: Header=BB1148_987 Depth=2
	s_or_b64 exec, exec, s[36:37]
	s_waitcnt lgkmcnt(0)
	s_barrier
	s_and_saveexec_b64 s[36:37], s[8:9]
	s_cbranch_execz .LBB1148_1059
; %bb.1058:                             ;   in Loop: Header=BB1148_987 Depth=2
	ds_read_b32 v231, v33 offset:1024
	s_waitcnt lgkmcnt(0)
	s_nop 0
	v_mov_b32_dpp v232, v231 row_shr:1 row_mask:0xf bank_mask:0xf
	v_cndmask_b32_e64 v232, v232, 0, s[30:31]
	v_add_u32_e32 v231, v232, v231
	s_nop 1
	v_mov_b32_dpp v232, v231 row_shr:2 row_mask:0xf bank_mask:0xf
	v_cndmask_b32_e64 v232, 0, v232, s[34:35]
	v_add_u32_e32 v231, v231, v232
	ds_write_b32 v33, v231 offset:1024
.LBB1148_1059:                          ;   in Loop: Header=BB1148_987 Depth=2
	s_or_b64 exec, exec, s[36:37]
	v_mov_b32_e32 v231, 0
	s_waitcnt lgkmcnt(0)
	s_barrier
	s_and_saveexec_b64 s[36:37], s[10:11]
	s_cbranch_execz .LBB1148_1061
; %bb.1060:                             ;   in Loop: Header=BB1148_987 Depth=2
	ds_read_b32 v231, v15 offset:1020
.LBB1148_1061:                          ;   in Loop: Header=BB1148_987 Depth=2
	s_or_b64 exec, exec, s[36:37]
	s_waitcnt lgkmcnt(0)
	v_add_u32_e32 v97, v231, v97
	ds_bpermute_b32 v97, v159, v97
	s_waitcnt lgkmcnt(0)
	v_cndmask_b32_e64 v97, v97, v231, s[28:29]
	v_cndmask_b32_e64 v97, v97, 0, s[12:13]
	v_add_u32_e32 v5, v97, v5
	ds_write_b32 v27, v97 offset:1040
	v_add_u32_e32 v97, v5, v98
	v_add_u32_e32 v98, v97, v99
	ds_write2_b32 v31, v5, v97 offset0:1 offset1:2
	v_add_u32_e32 v5, v98, v96
	ds_write2_b32 v31, v98, v5 offset0:3 offset1:4
	s_waitcnt lgkmcnt(0)
	s_barrier
	ds_read_b32 v97, v187
	ds_read_b32 v235, v190
	;; [unrolled: 1-line block ×16, first 2 shown]
	ds_read_b32 v184, v27 offset:1040
	v_mov_b32_e32 v5, 0x1000
	s_and_saveexec_b64 s[36:37], s[14:15]
	s_cbranch_execz .LBB1148_1063
; %bb.1062:                             ;   in Loop: Header=BB1148_987 Depth=2
	ds_read_b32 v5, v27 offset:1060
.LBB1148_1063:                          ;   in Loop: Header=BB1148_987 Depth=2
	s_or_b64 exec, exec, s[36:37]
	s_waitcnt lgkmcnt(0)
	s_barrier
	s_and_saveexec_b64 s[36:37], s[4:5]
	s_cbranch_execz .LBB1148_1065
; %bb.1064:                             ;   in Loop: Header=BB1148_987 Depth=2
	ds_read_b32 v208, v3
	s_waitcnt lgkmcnt(0)
	v_sub_u32_e32 v184, v208, v184
	ds_write_b32 v3, v184
.LBB1148_1065:                          ;   in Loop: Header=BB1148_987 Depth=2
	s_or_b64 exec, exec, s[36:37]
	v_add_u32_e32 v186, v188, v186
	v_add_u32_e32 v189, v191, v189
	v_add_lshl_u32 v96, v96, v185, 3
	v_add_lshl_u32 v97, v186, v97, 3
	v_add_u32_e32 v192, v194, v192
	ds_write_b64 v96, v[64:65] offset:1024
	ds_write_b64 v97, v[66:67] offset:1024
	v_add_lshl_u32 v67, v189, v235, 3
	v_add_u32_e32 v198, v200, v198
	v_add_u32_e32 v195, v197, v195
	ds_write_b64 v67, v[74:75] offset:1024
	v_add_lshl_u32 v74, v192, v234, 3
	v_add_u32_e32 v213, v215, v213
	v_add_u32_e32 v210, v212, v210
	;; [unrolled: 1-line block ×5, first 2 shown]
	ds_write_b64 v74, v[78:79] offset:1024
	v_add_lshl_u32 v75, v195, v233, 3
	v_add_lshl_u32 v78, v198, v232, 3
	v_add_u32_e32 v216, v218, v216
	ds_write_b64 v75, v[82:83] offset:1024
	ds_write_b64 v78, v[86:87] offset:1024
	v_add_lshl_u32 v79, v201, v231, 3
	v_add_lshl_u32 v82, v204, v205, 3
	;; [unrolled: 1-line block ×5, first 2 shown]
	v_add_u32_e32 v214, v221, v219
	ds_write_b64 v79, v[90:91] offset:1024
	ds_write_b64 v82, v[94:95] offset:1024
	;; [unrolled: 1-line block ×5, first 2 shown]
	v_add_lshl_u32 v84, v216, v193, 3
	v_add_u32_e32 v211, v224, v222
	ds_write_b64 v84, v[80:81] offset:1024
	v_add_lshl_u32 v80, v214, v190, 3
	v_add_u32_e32 v208, v227, v225
	ds_write_b64 v80, v[76:77] offset:1024
	;; [unrolled: 3-line block ×3, first 2 shown]
	v_add_lshl_u32 v72, v208, v99, 3
	ds_write_b64 v72, v[68:69] offset:1024
	v_add_lshl_u32 v68, v184, v98, 3
	v_cmp_lt_u32_e64 s[36:37], v2, v183
	v_add_u32_e32 v66, v33, v3
	ds_write_b64 v68, v[70:71] offset:1024
	s_waitcnt lgkmcnt(0)
	s_barrier
	s_and_saveexec_b64 s[40:41], s[36:37]
	s_cbranch_execz .LBB1148_1081
; %bb.1066:                             ;   in Loop: Header=BB1148_987 Depth=2
	ds_read_b64 v[64:65], v66 offset:1024
	v_mov_b32_e32 v71, v4
	s_waitcnt lgkmcnt(0)
	v_cmp_ne_u64_e32 vcc, s[90:91], v[64:65]
	v_cndmask_b32_e32 v89, v133, v65, vcc
	v_cndmask_b32_e32 v88, -1, v64, vcc
	v_lshrrev_b64 v[88:89], s84, v[88:89]
	v_and_b32_e32 v70, s85, v88
	v_lshlrev_b32_e32 v70, 2, v70
	ds_read_b32 v70, v70
	v_cmp_gt_i64_e64 s[38:39], 0, v[64:65]
	v_cndmask_b32_e64 v69, v133, 0, s[38:39]
	v_ashrrev_i32_e32 v73, 31, v65
	v_not_b32_e32 v73, v73
	s_waitcnt lgkmcnt(0)
	v_add_u32_e32 v70, v70, v2
	v_lshlrev_b64 v[70:71], 3, v[70:71]
	v_xor_b32_e32 v65, v69, v65
	v_mov_b32_e32 v69, s77
	v_add_co_u32_e32 v70, vcc, s76, v70
	v_xor_b32_e32 v64, v73, v64
	v_addc_co_u32_e32 v71, vcc, v69, v71, vcc
	global_store_dwordx2 v[70:71], v[64:65], off
	s_or_b64 exec, exec, s[40:41]
	v_cmp_lt_u32_e64 s[38:39], v7, v183
	s_and_saveexec_b64 s[42:43], s[38:39]
	s_cbranch_execnz .LBB1148_1082
.LBB1148_1067:                          ;   in Loop: Header=BB1148_987 Depth=2
	s_or_b64 exec, exec, s[42:43]
	v_cmp_lt_u32_e64 s[40:41], v6, v183
	s_and_saveexec_b64 s[44:45], s[40:41]
	s_cbranch_execz .LBB1148_1083
.LBB1148_1068:                          ;   in Loop: Header=BB1148_987 Depth=2
	ds_read_b64 v[64:65], v104 offset:4096
	v_mov_b32_e32 v71, v4
	s_waitcnt lgkmcnt(0)
	v_cmp_ne_u64_e32 vcc, s[90:91], v[64:65]
	v_cndmask_b32_e32 v89, v133, v65, vcc
	v_cndmask_b32_e32 v88, -1, v64, vcc
	v_lshrrev_b64 v[88:89], s84, v[88:89]
	v_and_b32_e32 v70, s85, v88
	v_lshlrev_b32_e32 v70, 2, v70
	ds_read_b32 v70, v70
	v_cmp_gt_i64_e64 s[42:43], 0, v[64:65]
	v_cndmask_b32_e64 v69, v133, 0, s[42:43]
	v_ashrrev_i32_e32 v73, 31, v65
	v_not_b32_e32 v73, v73
	s_waitcnt lgkmcnt(0)
	v_add_u32_e32 v70, v70, v6
	v_lshlrev_b64 v[70:71], 3, v[70:71]
	v_xor_b32_e32 v65, v69, v65
	v_mov_b32_e32 v69, s77
	v_add_co_u32_e32 v70, vcc, s76, v70
	v_xor_b32_e32 v64, v73, v64
	v_addc_co_u32_e32 v71, vcc, v69, v71, vcc
	global_store_dwordx2 v[70:71], v[64:65], off
	s_or_b64 exec, exec, s[44:45]
	v_cmp_lt_u32_e64 s[42:43], v8, v183
	s_and_saveexec_b64 s[46:47], s[42:43]
	s_cbranch_execnz .LBB1148_1084
.LBB1148_1069:                          ;   in Loop: Header=BB1148_987 Depth=2
	s_or_b64 exec, exec, s[46:47]
	v_cmp_lt_u32_e64 s[44:45], v10, v183
	s_and_saveexec_b64 s[48:49], s[44:45]
	s_cbranch_execz .LBB1148_1085
.LBB1148_1070:                          ;   in Loop: Header=BB1148_987 Depth=2
	ds_read_b64 v[64:65], v104 offset:8192
	v_mov_b32_e32 v71, v4
	s_waitcnt lgkmcnt(0)
	v_cmp_ne_u64_e32 vcc, s[90:91], v[64:65]
	v_cndmask_b32_e32 v89, v133, v65, vcc
	v_cndmask_b32_e32 v88, -1, v64, vcc
	v_lshrrev_b64 v[88:89], s84, v[88:89]
	v_and_b32_e32 v70, s85, v88
	v_lshlrev_b32_e32 v70, 2, v70
	ds_read_b32 v70, v70
	v_cmp_gt_i64_e64 s[46:47], 0, v[64:65]
	v_cndmask_b32_e64 v69, v133, 0, s[46:47]
	v_ashrrev_i32_e32 v73, 31, v65
	v_not_b32_e32 v73, v73
	s_waitcnt lgkmcnt(0)
	v_add_u32_e32 v70, v70, v10
	v_lshlrev_b64 v[70:71], 3, v[70:71]
	v_xor_b32_e32 v65, v69, v65
	v_mov_b32_e32 v69, s77
	v_add_co_u32_e32 v70, vcc, s76, v70
	v_xor_b32_e32 v64, v73, v64
	v_addc_co_u32_e32 v71, vcc, v69, v71, vcc
	global_store_dwordx2 v[70:71], v[64:65], off
	s_or_b64 exec, exec, s[48:49]
	v_cmp_lt_u32_e64 s[46:47], v12, v183
	s_and_saveexec_b64 s[50:51], s[46:47]
	s_cbranch_execnz .LBB1148_1086
.LBB1148_1071:                          ;   in Loop: Header=BB1148_987 Depth=2
	s_or_b64 exec, exec, s[50:51]
	v_cmp_lt_u32_e64 s[48:49], v14, v183
	s_and_saveexec_b64 s[52:53], s[48:49]
	s_cbranch_execz .LBB1148_1087
.LBB1148_1072:                          ;   in Loop: Header=BB1148_987 Depth=2
	ds_read_b64 v[64:65], v104 offset:12288
	v_mov_b32_e32 v71, v4
	s_waitcnt lgkmcnt(0)
	v_cmp_ne_u64_e32 vcc, s[90:91], v[64:65]
	v_cndmask_b32_e32 v89, v133, v65, vcc
	v_cndmask_b32_e32 v88, -1, v64, vcc
	v_lshrrev_b64 v[88:89], s84, v[88:89]
	v_and_b32_e32 v70, s85, v88
	v_lshlrev_b32_e32 v70, 2, v70
	ds_read_b32 v70, v70
	v_cmp_gt_i64_e64 s[50:51], 0, v[64:65]
	v_cndmask_b32_e64 v69, v133, 0, s[50:51]
	v_ashrrev_i32_e32 v73, 31, v65
	v_not_b32_e32 v73, v73
	s_waitcnt lgkmcnt(0)
	v_add_u32_e32 v70, v70, v14
	v_lshlrev_b64 v[70:71], 3, v[70:71]
	v_xor_b32_e32 v65, v69, v65
	v_mov_b32_e32 v69, s77
	v_add_co_u32_e32 v70, vcc, s76, v70
	v_xor_b32_e32 v64, v73, v64
	v_addc_co_u32_e32 v71, vcc, v69, v71, vcc
	global_store_dwordx2 v[70:71], v[64:65], off
	s_or_b64 exec, exec, s[52:53]
	v_cmp_lt_u32_e64 s[50:51], v16, v183
	s_and_saveexec_b64 s[54:55], s[50:51]
	s_cbranch_execnz .LBB1148_1088
.LBB1148_1073:                          ;   in Loop: Header=BB1148_987 Depth=2
	s_or_b64 exec, exec, s[54:55]
	v_cmp_lt_u32_e64 s[52:53], v18, v183
	s_and_saveexec_b64 s[56:57], s[52:53]
	s_cbranch_execz .LBB1148_1089
.LBB1148_1074:                          ;   in Loop: Header=BB1148_987 Depth=2
	ds_read_b64 v[64:65], v104 offset:16384
	v_mov_b32_e32 v71, v4
	s_waitcnt lgkmcnt(0)
	v_cmp_ne_u64_e32 vcc, s[90:91], v[64:65]
	v_cndmask_b32_e32 v89, v133, v65, vcc
	v_cndmask_b32_e32 v88, -1, v64, vcc
	v_lshrrev_b64 v[88:89], s84, v[88:89]
	v_and_b32_e32 v70, s85, v88
	v_lshlrev_b32_e32 v70, 2, v70
	ds_read_b32 v70, v70
	v_cmp_gt_i64_e64 s[54:55], 0, v[64:65]
	v_cndmask_b32_e64 v69, v133, 0, s[54:55]
	v_ashrrev_i32_e32 v73, 31, v65
	v_not_b32_e32 v73, v73
	s_waitcnt lgkmcnt(0)
	v_add_u32_e32 v70, v70, v18
	v_lshlrev_b64 v[70:71], 3, v[70:71]
	v_xor_b32_e32 v65, v69, v65
	v_mov_b32_e32 v69, s77
	v_add_co_u32_e32 v70, vcc, s76, v70
	v_xor_b32_e32 v64, v73, v64
	v_addc_co_u32_e32 v71, vcc, v69, v71, vcc
	global_store_dwordx2 v[70:71], v[64:65], off
	s_or_b64 exec, exec, s[56:57]
	v_cmp_lt_u32_e64 s[54:55], v20, v183
	s_and_saveexec_b64 s[58:59], s[54:55]
	s_cbranch_execnz .LBB1148_1090
.LBB1148_1075:                          ;   in Loop: Header=BB1148_987 Depth=2
	s_or_b64 exec, exec, s[58:59]
	v_cmp_lt_u32_e64 s[56:57], v22, v183
	s_and_saveexec_b64 s[60:61], s[56:57]
	s_cbranch_execz .LBB1148_1091
.LBB1148_1076:                          ;   in Loop: Header=BB1148_987 Depth=2
	ds_read_b64 v[64:65], v104 offset:20480
	v_mov_b32_e32 v71, v4
	s_waitcnt lgkmcnt(0)
	v_cmp_ne_u64_e32 vcc, s[90:91], v[64:65]
	v_cndmask_b32_e32 v89, v133, v65, vcc
	v_cndmask_b32_e32 v88, -1, v64, vcc
	v_lshrrev_b64 v[88:89], s84, v[88:89]
	v_and_b32_e32 v70, s85, v88
	v_lshlrev_b32_e32 v70, 2, v70
	ds_read_b32 v70, v70
	v_cmp_gt_i64_e64 s[58:59], 0, v[64:65]
	v_cndmask_b32_e64 v69, v133, 0, s[58:59]
	v_ashrrev_i32_e32 v73, 31, v65
	v_not_b32_e32 v73, v73
	s_waitcnt lgkmcnt(0)
	v_add_u32_e32 v70, v70, v22
	v_lshlrev_b64 v[70:71], 3, v[70:71]
	v_xor_b32_e32 v65, v69, v65
	v_mov_b32_e32 v69, s77
	v_add_co_u32_e32 v70, vcc, s76, v70
	v_xor_b32_e32 v64, v73, v64
	v_addc_co_u32_e32 v71, vcc, v69, v71, vcc
	global_store_dwordx2 v[70:71], v[64:65], off
	s_or_b64 exec, exec, s[60:61]
	v_cmp_lt_u32_e64 s[58:59], v24, v183
	s_and_saveexec_b64 s[62:63], s[58:59]
	s_cbranch_execnz .LBB1148_1092
.LBB1148_1077:                          ;   in Loop: Header=BB1148_987 Depth=2
	s_or_b64 exec, exec, s[62:63]
	v_cmp_lt_u32_e64 s[60:61], v26, v183
	s_and_saveexec_b64 s[64:65], s[60:61]
	s_cbranch_execz .LBB1148_1093
.LBB1148_1078:                          ;   in Loop: Header=BB1148_987 Depth=2
	ds_read_b64 v[64:65], v104 offset:24576
	v_mov_b32_e32 v71, v4
	s_waitcnt lgkmcnt(0)
	v_cmp_ne_u64_e32 vcc, s[90:91], v[64:65]
	v_cndmask_b32_e32 v89, v133, v65, vcc
	v_cndmask_b32_e32 v88, -1, v64, vcc
	v_lshrrev_b64 v[88:89], s84, v[88:89]
	v_and_b32_e32 v70, s85, v88
	v_lshlrev_b32_e32 v70, 2, v70
	ds_read_b32 v70, v70
	v_cmp_gt_i64_e64 s[62:63], 0, v[64:65]
	v_cndmask_b32_e64 v69, v133, 0, s[62:63]
	v_ashrrev_i32_e32 v73, 31, v65
	v_not_b32_e32 v73, v73
	s_waitcnt lgkmcnt(0)
	v_add_u32_e32 v70, v70, v26
	v_lshlrev_b64 v[70:71], 3, v[70:71]
	v_xor_b32_e32 v65, v69, v65
	v_mov_b32_e32 v69, s77
	v_add_co_u32_e32 v70, vcc, s76, v70
	v_xor_b32_e32 v64, v73, v64
	v_addc_co_u32_e32 v71, vcc, v69, v71, vcc
	global_store_dwordx2 v[70:71], v[64:65], off
	s_or_b64 exec, exec, s[64:65]
	v_cmp_lt_u32_e64 s[62:63], v28, v183
	s_and_saveexec_b64 s[66:67], s[62:63]
	s_cbranch_execnz .LBB1148_1094
.LBB1148_1079:                          ;   in Loop: Header=BB1148_987 Depth=2
	s_or_b64 exec, exec, s[66:67]
	v_cmp_lt_u32_e64 s[64:65], v30, v183
	s_and_saveexec_b64 s[70:71], s[64:65]
	s_cbranch_execz .LBB1148_1095
.LBB1148_1080:                          ;   in Loop: Header=BB1148_987 Depth=2
	ds_read_b64 v[64:65], v104 offset:28672
	v_mov_b32_e32 v71, v4
	s_waitcnt lgkmcnt(0)
	v_cmp_ne_u64_e32 vcc, s[90:91], v[64:65]
	v_cndmask_b32_e32 v89, v133, v65, vcc
	v_cndmask_b32_e32 v88, -1, v64, vcc
	v_lshrrev_b64 v[88:89], s84, v[88:89]
	v_and_b32_e32 v70, s85, v88
	v_lshlrev_b32_e32 v70, 2, v70
	ds_read_b32 v70, v70
	v_cmp_gt_i64_e64 s[66:67], 0, v[64:65]
	v_cndmask_b32_e64 v69, v133, 0, s[66:67]
	v_ashrrev_i32_e32 v73, 31, v65
	v_not_b32_e32 v73, v73
	s_waitcnt lgkmcnt(0)
	v_add_u32_e32 v70, v70, v30
	v_lshlrev_b64 v[70:71], 3, v[70:71]
	v_xor_b32_e32 v65, v69, v65
	v_mov_b32_e32 v69, s77
	v_add_co_u32_e32 v70, vcc, s76, v70
	v_xor_b32_e32 v64, v73, v64
	v_addc_co_u32_e32 v71, vcc, v69, v71, vcc
	global_store_dwordx2 v[70:71], v[64:65], off
	s_or_b64 exec, exec, s[70:71]
	v_cmp_lt_u32_e64 s[66:67], v32, v183
	s_and_saveexec_b64 s[94:95], s[66:67]
	s_cbranch_execnz .LBB1148_1096
	s_branch .LBB1148_1097
.LBB1148_1081:                          ;   in Loop: Header=BB1148_987 Depth=2
	s_or_b64 exec, exec, s[40:41]
	v_cmp_lt_u32_e64 s[38:39], v7, v183
	s_and_saveexec_b64 s[42:43], s[38:39]
	s_cbranch_execz .LBB1148_1067
.LBB1148_1082:                          ;   in Loop: Header=BB1148_987 Depth=2
	ds_read_b64 v[64:65], v104 offset:2048
	v_mov_b32_e32 v71, v4
	s_waitcnt lgkmcnt(0)
	v_cmp_ne_u64_e32 vcc, s[90:91], v[64:65]
	v_cndmask_b32_e32 v89, v133, v65, vcc
	v_cndmask_b32_e32 v88, -1, v64, vcc
	v_lshrrev_b64 v[88:89], s84, v[88:89]
	v_and_b32_e32 v70, s85, v88
	v_lshlrev_b32_e32 v70, 2, v70
	ds_read_b32 v70, v70
	v_cmp_gt_i64_e64 s[40:41], 0, v[64:65]
	v_cndmask_b32_e64 v69, v133, 0, s[40:41]
	v_ashrrev_i32_e32 v73, 31, v65
	v_not_b32_e32 v73, v73
	s_waitcnt lgkmcnt(0)
	v_add_u32_e32 v70, v70, v7
	v_lshlrev_b64 v[70:71], 3, v[70:71]
	v_xor_b32_e32 v65, v69, v65
	v_mov_b32_e32 v69, s77
	v_add_co_u32_e32 v70, vcc, s76, v70
	v_xor_b32_e32 v64, v73, v64
	v_addc_co_u32_e32 v71, vcc, v69, v71, vcc
	global_store_dwordx2 v[70:71], v[64:65], off
	s_or_b64 exec, exec, s[42:43]
	v_cmp_lt_u32_e64 s[40:41], v6, v183
	s_and_saveexec_b64 s[44:45], s[40:41]
	s_cbranch_execnz .LBB1148_1068
.LBB1148_1083:                          ;   in Loop: Header=BB1148_987 Depth=2
	s_or_b64 exec, exec, s[44:45]
	v_cmp_lt_u32_e64 s[42:43], v8, v183
	s_and_saveexec_b64 s[46:47], s[42:43]
	s_cbranch_execz .LBB1148_1069
.LBB1148_1084:                          ;   in Loop: Header=BB1148_987 Depth=2
	ds_read_b64 v[64:65], v104 offset:6144
	v_mov_b32_e32 v71, v4
	s_waitcnt lgkmcnt(0)
	v_cmp_ne_u64_e32 vcc, s[90:91], v[64:65]
	v_cndmask_b32_e32 v89, v133, v65, vcc
	v_cndmask_b32_e32 v88, -1, v64, vcc
	v_lshrrev_b64 v[88:89], s84, v[88:89]
	v_and_b32_e32 v70, s85, v88
	v_lshlrev_b32_e32 v70, 2, v70
	ds_read_b32 v70, v70
	v_cmp_gt_i64_e64 s[44:45], 0, v[64:65]
	v_cndmask_b32_e64 v69, v133, 0, s[44:45]
	v_ashrrev_i32_e32 v73, 31, v65
	v_not_b32_e32 v73, v73
	s_waitcnt lgkmcnt(0)
	v_add_u32_e32 v70, v70, v8
	v_lshlrev_b64 v[70:71], 3, v[70:71]
	v_xor_b32_e32 v65, v69, v65
	v_mov_b32_e32 v69, s77
	v_add_co_u32_e32 v70, vcc, s76, v70
	v_xor_b32_e32 v64, v73, v64
	v_addc_co_u32_e32 v71, vcc, v69, v71, vcc
	global_store_dwordx2 v[70:71], v[64:65], off
	s_or_b64 exec, exec, s[46:47]
	v_cmp_lt_u32_e64 s[44:45], v10, v183
	s_and_saveexec_b64 s[48:49], s[44:45]
	s_cbranch_execnz .LBB1148_1070
.LBB1148_1085:                          ;   in Loop: Header=BB1148_987 Depth=2
	s_or_b64 exec, exec, s[48:49]
	v_cmp_lt_u32_e64 s[46:47], v12, v183
	s_and_saveexec_b64 s[50:51], s[46:47]
	s_cbranch_execz .LBB1148_1071
.LBB1148_1086:                          ;   in Loop: Header=BB1148_987 Depth=2
	ds_read_b64 v[64:65], v104 offset:10240
	v_mov_b32_e32 v71, v4
	s_waitcnt lgkmcnt(0)
	v_cmp_ne_u64_e32 vcc, s[90:91], v[64:65]
	v_cndmask_b32_e32 v89, v133, v65, vcc
	v_cndmask_b32_e32 v88, -1, v64, vcc
	v_lshrrev_b64 v[88:89], s84, v[88:89]
	v_and_b32_e32 v70, s85, v88
	v_lshlrev_b32_e32 v70, 2, v70
	ds_read_b32 v70, v70
	v_cmp_gt_i64_e64 s[48:49], 0, v[64:65]
	v_cndmask_b32_e64 v69, v133, 0, s[48:49]
	v_ashrrev_i32_e32 v73, 31, v65
	v_not_b32_e32 v73, v73
	s_waitcnt lgkmcnt(0)
	v_add_u32_e32 v70, v70, v12
	v_lshlrev_b64 v[70:71], 3, v[70:71]
	v_xor_b32_e32 v65, v69, v65
	v_mov_b32_e32 v69, s77
	v_add_co_u32_e32 v70, vcc, s76, v70
	v_xor_b32_e32 v64, v73, v64
	v_addc_co_u32_e32 v71, vcc, v69, v71, vcc
	global_store_dwordx2 v[70:71], v[64:65], off
	s_or_b64 exec, exec, s[50:51]
	v_cmp_lt_u32_e64 s[48:49], v14, v183
	s_and_saveexec_b64 s[52:53], s[48:49]
	s_cbranch_execnz .LBB1148_1072
.LBB1148_1087:                          ;   in Loop: Header=BB1148_987 Depth=2
	s_or_b64 exec, exec, s[52:53]
	v_cmp_lt_u32_e64 s[50:51], v16, v183
	s_and_saveexec_b64 s[54:55], s[50:51]
	s_cbranch_execz .LBB1148_1073
.LBB1148_1088:                          ;   in Loop: Header=BB1148_987 Depth=2
	ds_read_b64 v[64:65], v104 offset:14336
	v_mov_b32_e32 v71, v4
	s_waitcnt lgkmcnt(0)
	v_cmp_ne_u64_e32 vcc, s[90:91], v[64:65]
	v_cndmask_b32_e32 v89, v133, v65, vcc
	v_cndmask_b32_e32 v88, -1, v64, vcc
	v_lshrrev_b64 v[88:89], s84, v[88:89]
	v_and_b32_e32 v70, s85, v88
	v_lshlrev_b32_e32 v70, 2, v70
	ds_read_b32 v70, v70
	v_cmp_gt_i64_e64 s[52:53], 0, v[64:65]
	v_cndmask_b32_e64 v69, v133, 0, s[52:53]
	v_ashrrev_i32_e32 v73, 31, v65
	v_not_b32_e32 v73, v73
	s_waitcnt lgkmcnt(0)
	v_add_u32_e32 v70, v70, v16
	v_lshlrev_b64 v[70:71], 3, v[70:71]
	v_xor_b32_e32 v65, v69, v65
	v_mov_b32_e32 v69, s77
	v_add_co_u32_e32 v70, vcc, s76, v70
	v_xor_b32_e32 v64, v73, v64
	v_addc_co_u32_e32 v71, vcc, v69, v71, vcc
	global_store_dwordx2 v[70:71], v[64:65], off
	s_or_b64 exec, exec, s[54:55]
	v_cmp_lt_u32_e64 s[52:53], v18, v183
	s_and_saveexec_b64 s[56:57], s[52:53]
	s_cbranch_execnz .LBB1148_1074
.LBB1148_1089:                          ;   in Loop: Header=BB1148_987 Depth=2
	s_or_b64 exec, exec, s[56:57]
	v_cmp_lt_u32_e64 s[54:55], v20, v183
	s_and_saveexec_b64 s[58:59], s[54:55]
	s_cbranch_execz .LBB1148_1075
.LBB1148_1090:                          ;   in Loop: Header=BB1148_987 Depth=2
	ds_read_b64 v[64:65], v104 offset:18432
	v_mov_b32_e32 v71, v4
	s_waitcnt lgkmcnt(0)
	v_cmp_ne_u64_e32 vcc, s[90:91], v[64:65]
	v_cndmask_b32_e32 v89, v133, v65, vcc
	v_cndmask_b32_e32 v88, -1, v64, vcc
	v_lshrrev_b64 v[88:89], s84, v[88:89]
	v_and_b32_e32 v70, s85, v88
	v_lshlrev_b32_e32 v70, 2, v70
	ds_read_b32 v70, v70
	v_cmp_gt_i64_e64 s[56:57], 0, v[64:65]
	v_cndmask_b32_e64 v69, v133, 0, s[56:57]
	v_ashrrev_i32_e32 v73, 31, v65
	v_not_b32_e32 v73, v73
	s_waitcnt lgkmcnt(0)
	v_add_u32_e32 v70, v70, v20
	v_lshlrev_b64 v[70:71], 3, v[70:71]
	v_xor_b32_e32 v65, v69, v65
	v_mov_b32_e32 v69, s77
	v_add_co_u32_e32 v70, vcc, s76, v70
	v_xor_b32_e32 v64, v73, v64
	v_addc_co_u32_e32 v71, vcc, v69, v71, vcc
	global_store_dwordx2 v[70:71], v[64:65], off
	s_or_b64 exec, exec, s[58:59]
	v_cmp_lt_u32_e64 s[56:57], v22, v183
	s_and_saveexec_b64 s[60:61], s[56:57]
	s_cbranch_execnz .LBB1148_1076
.LBB1148_1091:                          ;   in Loop: Header=BB1148_987 Depth=2
	s_or_b64 exec, exec, s[60:61]
	v_cmp_lt_u32_e64 s[58:59], v24, v183
	s_and_saveexec_b64 s[62:63], s[58:59]
	s_cbranch_execz .LBB1148_1077
.LBB1148_1092:                          ;   in Loop: Header=BB1148_987 Depth=2
	ds_read_b64 v[64:65], v104 offset:22528
	v_mov_b32_e32 v71, v4
	s_waitcnt lgkmcnt(0)
	v_cmp_ne_u64_e32 vcc, s[90:91], v[64:65]
	v_cndmask_b32_e32 v89, v133, v65, vcc
	v_cndmask_b32_e32 v88, -1, v64, vcc
	v_lshrrev_b64 v[88:89], s84, v[88:89]
	v_and_b32_e32 v70, s85, v88
	v_lshlrev_b32_e32 v70, 2, v70
	ds_read_b32 v70, v70
	v_cmp_gt_i64_e64 s[60:61], 0, v[64:65]
	v_cndmask_b32_e64 v69, v133, 0, s[60:61]
	v_ashrrev_i32_e32 v73, 31, v65
	v_not_b32_e32 v73, v73
	s_waitcnt lgkmcnt(0)
	v_add_u32_e32 v70, v70, v24
	v_lshlrev_b64 v[70:71], 3, v[70:71]
	v_xor_b32_e32 v65, v69, v65
	v_mov_b32_e32 v69, s77
	v_add_co_u32_e32 v70, vcc, s76, v70
	v_xor_b32_e32 v64, v73, v64
	v_addc_co_u32_e32 v71, vcc, v69, v71, vcc
	global_store_dwordx2 v[70:71], v[64:65], off
	s_or_b64 exec, exec, s[62:63]
	v_cmp_lt_u32_e64 s[60:61], v26, v183
	s_and_saveexec_b64 s[64:65], s[60:61]
	s_cbranch_execnz .LBB1148_1078
.LBB1148_1093:                          ;   in Loop: Header=BB1148_987 Depth=2
	s_or_b64 exec, exec, s[64:65]
	v_cmp_lt_u32_e64 s[62:63], v28, v183
	s_and_saveexec_b64 s[66:67], s[62:63]
	s_cbranch_execz .LBB1148_1079
.LBB1148_1094:                          ;   in Loop: Header=BB1148_987 Depth=2
	ds_read_b64 v[64:65], v104 offset:26624
	v_mov_b32_e32 v71, v4
	s_waitcnt lgkmcnt(0)
	v_cmp_ne_u64_e32 vcc, s[90:91], v[64:65]
	v_cndmask_b32_e32 v89, v133, v65, vcc
	v_cndmask_b32_e32 v88, -1, v64, vcc
	v_lshrrev_b64 v[88:89], s84, v[88:89]
	v_and_b32_e32 v70, s85, v88
	v_lshlrev_b32_e32 v70, 2, v70
	ds_read_b32 v70, v70
	v_cmp_gt_i64_e64 s[64:65], 0, v[64:65]
	v_cndmask_b32_e64 v69, v133, 0, s[64:65]
	v_ashrrev_i32_e32 v73, 31, v65
	v_not_b32_e32 v73, v73
	s_waitcnt lgkmcnt(0)
	v_add_u32_e32 v70, v70, v28
	v_lshlrev_b64 v[70:71], 3, v[70:71]
	v_xor_b32_e32 v65, v69, v65
	v_mov_b32_e32 v69, s77
	v_add_co_u32_e32 v70, vcc, s76, v70
	v_xor_b32_e32 v64, v73, v64
	v_addc_co_u32_e32 v71, vcc, v69, v71, vcc
	global_store_dwordx2 v[70:71], v[64:65], off
	s_or_b64 exec, exec, s[66:67]
	v_cmp_lt_u32_e64 s[64:65], v30, v183
	s_and_saveexec_b64 s[70:71], s[64:65]
	s_cbranch_execnz .LBB1148_1080
.LBB1148_1095:                          ;   in Loop: Header=BB1148_987 Depth=2
	s_or_b64 exec, exec, s[70:71]
	v_cmp_lt_u32_e64 s[66:67], v32, v183
	s_and_saveexec_b64 s[94:95], s[66:67]
	s_cbranch_execz .LBB1148_1097
.LBB1148_1096:                          ;   in Loop: Header=BB1148_987 Depth=2
	ds_read_b64 v[64:65], v104 offset:30720
	v_mov_b32_e32 v71, v4
	s_waitcnt lgkmcnt(0)
	v_cmp_ne_u64_e32 vcc, s[90:91], v[64:65]
	v_cndmask_b32_e32 v89, v133, v65, vcc
	v_cndmask_b32_e32 v88, -1, v64, vcc
	v_lshrrev_b64 v[88:89], s84, v[88:89]
	v_and_b32_e32 v70, s85, v88
	v_lshlrev_b32_e32 v70, 2, v70
	ds_read_b32 v70, v70
	v_cmp_gt_i64_e64 s[70:71], 0, v[64:65]
	v_cndmask_b32_e64 v69, v133, 0, s[70:71]
	v_ashrrev_i32_e32 v73, 31, v65
	v_not_b32_e32 v73, v73
	s_waitcnt lgkmcnt(0)
	v_add_u32_e32 v70, v70, v32
	v_lshlrev_b64 v[70:71], 3, v[70:71]
	v_xor_b32_e32 v65, v69, v65
	v_mov_b32_e32 v69, s77
	v_add_co_u32_e32 v70, vcc, s76, v70
	v_xor_b32_e32 v64, v73, v64
	v_addc_co_u32_e32 v71, vcc, v69, v71, vcc
	global_store_dwordx2 v[70:71], v[64:65], off
.LBB1148_1097:                          ;   in Loop: Header=BB1148_987 Depth=2
	s_or_b64 exec, exec, s[94:95]
	s_mov_b32 s79, s90
	s_lshl_b64 s[70:71], s[78:79], 3
	v_mov_b32_e32 v65, s71
	v_add_co_u32_e32 v64, vcc, s70, v160
	v_addc_co_u32_e32 v65, vcc, v161, v65, vcc
	v_cmp_lt_u32_e32 vcc, v143, v183
	s_and_saveexec_b64 s[70:71], vcc
	s_xor_b64 s[70:71], exec, s[70:71]
	s_cbranch_execz .LBB1148_1129
; %bb.1098:                             ;   in Loop: Header=BB1148_987 Depth=2
	global_load_dwordx2 v[62:63], v[64:65], off
	s_or_b64 exec, exec, s[70:71]
	v_cmp_lt_u32_e32 vcc, v144, v183
	s_and_saveexec_b64 s[70:71], vcc
	s_cbranch_execnz .LBB1148_1130
.LBB1148_1099:                          ;   in Loop: Header=BB1148_987 Depth=2
	s_or_b64 exec, exec, s[70:71]
	v_cmp_lt_u32_e32 vcc, v145, v183
	s_and_saveexec_b64 s[70:71], vcc
	s_cbranch_execz .LBB1148_1131
.LBB1148_1100:                          ;   in Loop: Header=BB1148_987 Depth=2
	global_load_dwordx2 v[58:59], v[64:65], off offset:1024
	s_or_b64 exec, exec, s[70:71]
	v_cmp_lt_u32_e32 vcc, v146, v183
	s_and_saveexec_b64 s[70:71], vcc
	s_cbranch_execnz .LBB1148_1132
.LBB1148_1101:                          ;   in Loop: Header=BB1148_987 Depth=2
	s_or_b64 exec, exec, s[70:71]
	v_cmp_lt_u32_e32 vcc, v147, v183
	s_and_saveexec_b64 s[70:71], vcc
	s_cbranch_execz .LBB1148_1133
.LBB1148_1102:                          ;   in Loop: Header=BB1148_987 Depth=2
	global_load_dwordx2 v[50:51], v[64:65], off offset:2048
	s_or_b64 exec, exec, s[70:71]
	v_cmp_lt_u32_e32 vcc, v148, v183
	s_and_saveexec_b64 s[70:71], vcc
	s_cbranch_execnz .LBB1148_1134
.LBB1148_1103:                          ;   in Loop: Header=BB1148_987 Depth=2
	s_or_b64 exec, exec, s[70:71]
	v_cmp_lt_u32_e32 vcc, v149, v183
	s_and_saveexec_b64 s[70:71], vcc
	s_cbranch_execz .LBB1148_1135
.LBB1148_1104:                          ;   in Loop: Header=BB1148_987 Depth=2
	global_load_dwordx2 v[42:43], v[64:65], off offset:3072
	s_or_b64 exec, exec, s[70:71]
	v_cmp_lt_u32_e32 vcc, v150, v183
	s_and_saveexec_b64 s[70:71], vcc
	s_cbranch_execnz .LBB1148_1136
.LBB1148_1105:                          ;   in Loop: Header=BB1148_987 Depth=2
	s_or_b64 exec, exec, s[70:71]
	v_cmp_lt_u32_e32 vcc, v151, v183
	s_and_saveexec_b64 s[70:71], vcc
	s_cbranch_execz .LBB1148_1137
.LBB1148_1106:                          ;   in Loop: Header=BB1148_987 Depth=2
	v_add_co_u32_e32 v56, vcc, 0x1000, v64
	v_addc_co_u32_e32 v57, vcc, 0, v65, vcc
	global_load_dwordx2 v[56:57], v[56:57], off
	s_or_b64 exec, exec, s[70:71]
	v_cmp_lt_u32_e32 vcc, v152, v183
	s_and_saveexec_b64 s[70:71], vcc
	s_cbranch_execnz .LBB1148_1138
.LBB1148_1107:                          ;   in Loop: Header=BB1148_987 Depth=2
	s_or_b64 exec, exec, s[70:71]
	v_cmp_lt_u32_e32 vcc, v153, v183
	s_and_saveexec_b64 s[70:71], vcc
	s_cbranch_execz .LBB1148_1139
.LBB1148_1108:                          ;   in Loop: Header=BB1148_987 Depth=2
	v_add_co_u32_e32 v48, vcc, 0x1000, v64
	v_addc_co_u32_e32 v49, vcc, 0, v65, vcc
	global_load_dwordx2 v[48:49], v[48:49], off offset:1024
	s_or_b64 exec, exec, s[70:71]
	v_cmp_lt_u32_e32 vcc, v154, v183
	s_and_saveexec_b64 s[70:71], vcc
	s_cbranch_execnz .LBB1148_1140
.LBB1148_1109:                          ;   in Loop: Header=BB1148_987 Depth=2
	s_or_b64 exec, exec, s[70:71]
	v_cmp_lt_u32_e32 vcc, v155, v183
	s_and_saveexec_b64 s[70:71], vcc
	s_cbranch_execz .LBB1148_1141
.LBB1148_1110:                          ;   in Loop: Header=BB1148_987 Depth=2
	v_add_co_u32_e32 v40, vcc, 0x1000, v64
	v_addc_co_u32_e32 v41, vcc, 0, v65, vcc
	global_load_dwordx2 v[40:41], v[40:41], off offset:2048
	s_or_b64 exec, exec, s[70:71]
	v_cmp_lt_u32_e32 vcc, v156, v183
	s_and_saveexec_b64 s[70:71], vcc
	s_cbranch_execnz .LBB1148_1142
.LBB1148_1111:                          ;   in Loop: Header=BB1148_987 Depth=2
	s_or_b64 exec, exec, s[70:71]
	v_cmp_lt_u32_e32 vcc, v157, v183
	s_and_saveexec_b64 s[70:71], vcc
	s_cbranch_execz .LBB1148_1143
.LBB1148_1112:                          ;   in Loop: Header=BB1148_987 Depth=2
	v_add_co_u32_e32 v34, vcc, 0x1000, v64
	v_addc_co_u32_e32 v35, vcc, 0, v65, vcc
	global_load_dwordx2 v[34:35], v[34:35], off offset:3072
	s_or_b64 exec, exec, s[70:71]
	v_cmp_lt_u32_e32 vcc, v158, v183
	s_and_saveexec_b64 s[70:71], vcc
	s_cbranch_execnz .LBB1148_1144
.LBB1148_1113:                          ;   in Loop: Header=BB1148_987 Depth=2
	s_or_b64 exec, exec, s[70:71]
	s_and_saveexec_b64 s[70:71], s[36:37]
	s_cbranch_execz .LBB1148_1145
.LBB1148_1114:                          ;   in Loop: Header=BB1148_987 Depth=2
	ds_read_b64 v[64:65], v66 offset:1024
	s_waitcnt lgkmcnt(0)
	v_cmp_ne_u64_e32 vcc, s[90:91], v[64:65]
	v_cndmask_b32_e32 v65, v133, v65, vcc
	v_cndmask_b32_e32 v64, -1, v64, vcc
	v_lshrrev_b64 v[64:65], s84, v[64:65]
	v_and_b32_e32 v182, s85, v64
	s_or_b64 exec, exec, s[70:71]
	s_and_saveexec_b64 s[70:71], s[38:39]
	s_cbranch_execnz .LBB1148_1146
.LBB1148_1115:                          ;   in Loop: Header=BB1148_987 Depth=2
	s_or_b64 exec, exec, s[70:71]
	s_and_saveexec_b64 s[70:71], s[40:41]
	s_cbranch_execz .LBB1148_1147
.LBB1148_1116:                          ;   in Loop: Header=BB1148_987 Depth=2
	ds_read_b64 v[64:65], v104 offset:4096
	s_waitcnt lgkmcnt(0)
	v_cmp_ne_u64_e32 vcc, s[90:91], v[64:65]
	v_cndmask_b32_e32 v65, v133, v65, vcc
	v_cndmask_b32_e32 v64, -1, v64, vcc
	v_lshrrev_b64 v[64:65], s84, v[64:65]
	v_and_b32_e32 v180, s85, v64
	s_or_b64 exec, exec, s[70:71]
	s_and_saveexec_b64 s[70:71], s[42:43]
	s_cbranch_execnz .LBB1148_1148
.LBB1148_1117:                          ;   in Loop: Header=BB1148_987 Depth=2
	s_or_b64 exec, exec, s[70:71]
	s_and_saveexec_b64 s[70:71], s[44:45]
	s_cbranch_execz .LBB1148_1149
.LBB1148_1118:                          ;   in Loop: Header=BB1148_987 Depth=2
	ds_read_b64 v[64:65], v104 offset:8192
	s_waitcnt lgkmcnt(0)
	v_cmp_ne_u64_e32 vcc, s[90:91], v[64:65]
	v_cndmask_b32_e32 v65, v133, v65, vcc
	v_cndmask_b32_e32 v64, -1, v64, vcc
	v_lshrrev_b64 v[64:65], s84, v[64:65]
	v_and_b32_e32 v178, s85, v64
	s_or_b64 exec, exec, s[70:71]
	s_and_saveexec_b64 s[70:71], s[46:47]
	s_cbranch_execnz .LBB1148_1150
.LBB1148_1119:                          ;   in Loop: Header=BB1148_987 Depth=2
	s_or_b64 exec, exec, s[70:71]
	s_and_saveexec_b64 s[70:71], s[48:49]
	s_cbranch_execz .LBB1148_1151
.LBB1148_1120:                          ;   in Loop: Header=BB1148_987 Depth=2
	ds_read_b64 v[64:65], v104 offset:12288
	s_waitcnt lgkmcnt(0)
	v_cmp_ne_u64_e32 vcc, s[90:91], v[64:65]
	v_cndmask_b32_e32 v65, v133, v65, vcc
	v_cndmask_b32_e32 v64, -1, v64, vcc
	v_lshrrev_b64 v[64:65], s84, v[64:65]
	v_and_b32_e32 v175, s85, v64
	s_or_b64 exec, exec, s[70:71]
	s_and_saveexec_b64 s[70:71], s[50:51]
	s_cbranch_execnz .LBB1148_1152
.LBB1148_1121:                          ;   in Loop: Header=BB1148_987 Depth=2
	s_or_b64 exec, exec, s[70:71]
	s_and_saveexec_b64 s[70:71], s[52:53]
	s_cbranch_execz .LBB1148_1153
.LBB1148_1122:                          ;   in Loop: Header=BB1148_987 Depth=2
	ds_read_b64 v[64:65], v104 offset:16384
	s_waitcnt lgkmcnt(0)
	v_cmp_ne_u64_e32 vcc, s[90:91], v[64:65]
	v_cndmask_b32_e32 v65, v133, v65, vcc
	v_cndmask_b32_e32 v64, -1, v64, vcc
	v_lshrrev_b64 v[64:65], s84, v[64:65]
	v_and_b32_e32 v172, s85, v64
	s_or_b64 exec, exec, s[70:71]
	s_and_saveexec_b64 s[70:71], s[54:55]
	s_cbranch_execnz .LBB1148_1154
.LBB1148_1123:                          ;   in Loop: Header=BB1148_987 Depth=2
	s_or_b64 exec, exec, s[70:71]
	s_and_saveexec_b64 s[70:71], s[56:57]
	s_cbranch_execz .LBB1148_1155
.LBB1148_1124:                          ;   in Loop: Header=BB1148_987 Depth=2
	ds_read_b64 v[64:65], v104 offset:20480
	s_waitcnt lgkmcnt(0)
	v_cmp_ne_u64_e32 vcc, s[90:91], v[64:65]
	v_cndmask_b32_e32 v65, v133, v65, vcc
	v_cndmask_b32_e32 v64, -1, v64, vcc
	v_lshrrev_b64 v[64:65], s84, v[64:65]
	v_and_b32_e32 v169, s85, v64
	s_or_b64 exec, exec, s[70:71]
	s_and_saveexec_b64 s[70:71], s[58:59]
	s_cbranch_execnz .LBB1148_1156
.LBB1148_1125:                          ;   in Loop: Header=BB1148_987 Depth=2
	s_or_b64 exec, exec, s[70:71]
	s_and_saveexec_b64 s[70:71], s[60:61]
	s_cbranch_execz .LBB1148_1157
.LBB1148_1126:                          ;   in Loop: Header=BB1148_987 Depth=2
	ds_read_b64 v[64:65], v104 offset:24576
	s_waitcnt lgkmcnt(0)
	v_cmp_ne_u64_e32 vcc, s[90:91], v[64:65]
	v_cndmask_b32_e32 v65, v133, v65, vcc
	v_cndmask_b32_e32 v64, -1, v64, vcc
	v_lshrrev_b64 v[64:65], s84, v[64:65]
	v_and_b32_e32 v167, s85, v64
	s_or_b64 exec, exec, s[70:71]
	s_and_saveexec_b64 s[70:71], s[62:63]
	s_cbranch_execnz .LBB1148_1158
.LBB1148_1127:                          ;   in Loop: Header=BB1148_987 Depth=2
	s_or_b64 exec, exec, s[70:71]
	s_and_saveexec_b64 s[70:71], s[64:65]
	s_cbranch_execz .LBB1148_1159
.LBB1148_1128:                          ;   in Loop: Header=BB1148_987 Depth=2
	ds_read_b64 v[64:65], v104 offset:28672
	s_waitcnt lgkmcnt(0)
	v_cmp_ne_u64_e32 vcc, s[90:91], v[64:65]
	v_cndmask_b32_e32 v65, v133, v65, vcc
	v_cndmask_b32_e32 v64, -1, v64, vcc
	v_lshrrev_b64 v[64:65], s84, v[64:65]
	v_and_b32_e32 v165, s85, v64
	s_or_b64 exec, exec, s[70:71]
	s_and_saveexec_b64 s[70:71], s[66:67]
	s_cbranch_execnz .LBB1148_1160
	s_branch .LBB1148_1161
.LBB1148_1129:                          ;   in Loop: Header=BB1148_987 Depth=2
	s_or_b64 exec, exec, s[70:71]
	v_cmp_lt_u32_e32 vcc, v144, v183
	s_and_saveexec_b64 s[70:71], vcc
	s_cbranch_execz .LBB1148_1099
.LBB1148_1130:                          ;   in Loop: Header=BB1148_987 Depth=2
	global_load_dwordx2 v[60:61], v[64:65], off offset:512
	s_or_b64 exec, exec, s[70:71]
	v_cmp_lt_u32_e32 vcc, v145, v183
	s_and_saveexec_b64 s[70:71], vcc
	s_cbranch_execnz .LBB1148_1100
.LBB1148_1131:                          ;   in Loop: Header=BB1148_987 Depth=2
	s_or_b64 exec, exec, s[70:71]
	v_cmp_lt_u32_e32 vcc, v146, v183
	s_and_saveexec_b64 s[70:71], vcc
	s_cbranch_execz .LBB1148_1101
.LBB1148_1132:                          ;   in Loop: Header=BB1148_987 Depth=2
	global_load_dwordx2 v[54:55], v[64:65], off offset:1536
	s_or_b64 exec, exec, s[70:71]
	v_cmp_lt_u32_e32 vcc, v147, v183
	s_and_saveexec_b64 s[70:71], vcc
	s_cbranch_execnz .LBB1148_1102
.LBB1148_1133:                          ;   in Loop: Header=BB1148_987 Depth=2
	s_or_b64 exec, exec, s[70:71]
	v_cmp_lt_u32_e32 vcc, v148, v183
	s_and_saveexec_b64 s[70:71], vcc
	s_cbranch_execz .LBB1148_1103
.LBB1148_1134:                          ;   in Loop: Header=BB1148_987 Depth=2
	global_load_dwordx2 v[46:47], v[64:65], off offset:2560
	s_or_b64 exec, exec, s[70:71]
	v_cmp_lt_u32_e32 vcc, v149, v183
	s_and_saveexec_b64 s[70:71], vcc
	s_cbranch_execnz .LBB1148_1104
.LBB1148_1135:                          ;   in Loop: Header=BB1148_987 Depth=2
	s_or_b64 exec, exec, s[70:71]
	v_cmp_lt_u32_e32 vcc, v150, v183
	s_and_saveexec_b64 s[70:71], vcc
	s_cbranch_execz .LBB1148_1105
.LBB1148_1136:                          ;   in Loop: Header=BB1148_987 Depth=2
	global_load_dwordx2 v[38:39], v[64:65], off offset:3584
	s_or_b64 exec, exec, s[70:71]
	v_cmp_lt_u32_e32 vcc, v151, v183
	s_and_saveexec_b64 s[70:71], vcc
	s_cbranch_execnz .LBB1148_1106
.LBB1148_1137:                          ;   in Loop: Header=BB1148_987 Depth=2
	s_or_b64 exec, exec, s[70:71]
	v_cmp_lt_u32_e32 vcc, v152, v183
	s_and_saveexec_b64 s[70:71], vcc
	s_cbranch_execz .LBB1148_1107
.LBB1148_1138:                          ;   in Loop: Header=BB1148_987 Depth=2
	v_add_co_u32_e32 v52, vcc, 0x1000, v64
	v_addc_co_u32_e32 v53, vcc, 0, v65, vcc
	global_load_dwordx2 v[52:53], v[52:53], off offset:512
	s_or_b64 exec, exec, s[70:71]
	v_cmp_lt_u32_e32 vcc, v153, v183
	s_and_saveexec_b64 s[70:71], vcc
	s_cbranch_execnz .LBB1148_1108
.LBB1148_1139:                          ;   in Loop: Header=BB1148_987 Depth=2
	s_or_b64 exec, exec, s[70:71]
	v_cmp_lt_u32_e32 vcc, v154, v183
	s_and_saveexec_b64 s[70:71], vcc
	s_cbranch_execz .LBB1148_1109
.LBB1148_1140:                          ;   in Loop: Header=BB1148_987 Depth=2
	v_add_co_u32_e32 v44, vcc, 0x1000, v64
	v_addc_co_u32_e32 v45, vcc, 0, v65, vcc
	global_load_dwordx2 v[44:45], v[44:45], off offset:1536
	s_or_b64 exec, exec, s[70:71]
	v_cmp_lt_u32_e32 vcc, v155, v183
	s_and_saveexec_b64 s[70:71], vcc
	s_cbranch_execnz .LBB1148_1110
.LBB1148_1141:                          ;   in Loop: Header=BB1148_987 Depth=2
	s_or_b64 exec, exec, s[70:71]
	v_cmp_lt_u32_e32 vcc, v156, v183
	s_and_saveexec_b64 s[70:71], vcc
	s_cbranch_execz .LBB1148_1111
.LBB1148_1142:                          ;   in Loop: Header=BB1148_987 Depth=2
	v_add_co_u32_e32 v36, vcc, 0x1000, v64
	v_addc_co_u32_e32 v37, vcc, 0, v65, vcc
	global_load_dwordx2 v[36:37], v[36:37], off offset:2560
	s_or_b64 exec, exec, s[70:71]
	v_cmp_lt_u32_e32 vcc, v157, v183
	s_and_saveexec_b64 s[70:71], vcc
	s_cbranch_execnz .LBB1148_1112
.LBB1148_1143:                          ;   in Loop: Header=BB1148_987 Depth=2
	s_or_b64 exec, exec, s[70:71]
	v_cmp_lt_u32_e32 vcc, v158, v183
	s_and_saveexec_b64 s[70:71], vcc
	s_cbranch_execz .LBB1148_1113
.LBB1148_1144:                          ;   in Loop: Header=BB1148_987 Depth=2
	v_add_co_u32_e32 v0, vcc, 0x1000, v64
	v_addc_co_u32_e32 v1, vcc, 0, v65, vcc
	global_load_dwordx2 v[0:1], v[0:1], off offset:3584
	s_or_b64 exec, exec, s[70:71]
	s_and_saveexec_b64 s[70:71], s[36:37]
	s_cbranch_execnz .LBB1148_1114
.LBB1148_1145:                          ;   in Loop: Header=BB1148_987 Depth=2
	s_or_b64 exec, exec, s[70:71]
	s_and_saveexec_b64 s[70:71], s[38:39]
	s_cbranch_execz .LBB1148_1115
.LBB1148_1146:                          ;   in Loop: Header=BB1148_987 Depth=2
	ds_read_b64 v[64:65], v104 offset:2048
	s_waitcnt lgkmcnt(0)
	v_cmp_ne_u64_e32 vcc, s[90:91], v[64:65]
	v_cndmask_b32_e32 v65, v133, v65, vcc
	v_cndmask_b32_e32 v64, -1, v64, vcc
	v_lshrrev_b64 v[64:65], s84, v[64:65]
	v_and_b32_e32 v181, s85, v64
	s_or_b64 exec, exec, s[70:71]
	s_and_saveexec_b64 s[70:71], s[40:41]
	s_cbranch_execnz .LBB1148_1116
.LBB1148_1147:                          ;   in Loop: Header=BB1148_987 Depth=2
	s_or_b64 exec, exec, s[70:71]
	s_and_saveexec_b64 s[70:71], s[42:43]
	s_cbranch_execz .LBB1148_1117
.LBB1148_1148:                          ;   in Loop: Header=BB1148_987 Depth=2
	ds_read_b64 v[64:65], v104 offset:6144
	s_waitcnt lgkmcnt(0)
	v_cmp_ne_u64_e32 vcc, s[90:91], v[64:65]
	v_cndmask_b32_e32 v65, v133, v65, vcc
	v_cndmask_b32_e32 v64, -1, v64, vcc
	v_lshrrev_b64 v[64:65], s84, v[64:65]
	v_and_b32_e32 v179, s85, v64
	s_or_b64 exec, exec, s[70:71]
	s_and_saveexec_b64 s[70:71], s[44:45]
	s_cbranch_execnz .LBB1148_1118
.LBB1148_1149:                          ;   in Loop: Header=BB1148_987 Depth=2
	s_or_b64 exec, exec, s[70:71]
	s_and_saveexec_b64 s[70:71], s[46:47]
	s_cbranch_execz .LBB1148_1119
.LBB1148_1150:                          ;   in Loop: Header=BB1148_987 Depth=2
	ds_read_b64 v[64:65], v104 offset:10240
	s_waitcnt lgkmcnt(0)
	v_cmp_ne_u64_e32 vcc, s[90:91], v[64:65]
	v_cndmask_b32_e32 v65, v133, v65, vcc
	v_cndmask_b32_e32 v64, -1, v64, vcc
	v_lshrrev_b64 v[64:65], s84, v[64:65]
	v_and_b32_e32 v176, s85, v64
	s_or_b64 exec, exec, s[70:71]
	s_and_saveexec_b64 s[70:71], s[48:49]
	s_cbranch_execnz .LBB1148_1120
.LBB1148_1151:                          ;   in Loop: Header=BB1148_987 Depth=2
	s_or_b64 exec, exec, s[70:71]
	s_and_saveexec_b64 s[70:71], s[50:51]
	s_cbranch_execz .LBB1148_1121
.LBB1148_1152:                          ;   in Loop: Header=BB1148_987 Depth=2
	ds_read_b64 v[64:65], v104 offset:14336
	s_waitcnt lgkmcnt(0)
	v_cmp_ne_u64_e32 vcc, s[90:91], v[64:65]
	v_cndmask_b32_e32 v65, v133, v65, vcc
	v_cndmask_b32_e32 v64, -1, v64, vcc
	v_lshrrev_b64 v[64:65], s84, v[64:65]
	v_and_b32_e32 v174, s85, v64
	s_or_b64 exec, exec, s[70:71]
	s_and_saveexec_b64 s[70:71], s[52:53]
	s_cbranch_execnz .LBB1148_1122
.LBB1148_1153:                          ;   in Loop: Header=BB1148_987 Depth=2
	s_or_b64 exec, exec, s[70:71]
	s_and_saveexec_b64 s[70:71], s[54:55]
	s_cbranch_execz .LBB1148_1123
.LBB1148_1154:                          ;   in Loop: Header=BB1148_987 Depth=2
	ds_read_b64 v[64:65], v104 offset:18432
	s_waitcnt lgkmcnt(0)
	v_cmp_ne_u64_e32 vcc, s[90:91], v[64:65]
	v_cndmask_b32_e32 v65, v133, v65, vcc
	v_cndmask_b32_e32 v64, -1, v64, vcc
	v_lshrrev_b64 v[64:65], s84, v[64:65]
	v_and_b32_e32 v171, s85, v64
	s_or_b64 exec, exec, s[70:71]
	s_and_saveexec_b64 s[70:71], s[56:57]
	s_cbranch_execnz .LBB1148_1124
.LBB1148_1155:                          ;   in Loop: Header=BB1148_987 Depth=2
	s_or_b64 exec, exec, s[70:71]
	s_and_saveexec_b64 s[70:71], s[58:59]
	s_cbranch_execz .LBB1148_1125
.LBB1148_1156:                          ;   in Loop: Header=BB1148_987 Depth=2
	ds_read_b64 v[64:65], v104 offset:22528
	s_waitcnt lgkmcnt(0)
	v_cmp_ne_u64_e32 vcc, s[90:91], v[64:65]
	v_cndmask_b32_e32 v65, v133, v65, vcc
	v_cndmask_b32_e32 v64, -1, v64, vcc
	v_lshrrev_b64 v[64:65], s84, v[64:65]
	v_and_b32_e32 v168, s85, v64
	s_or_b64 exec, exec, s[70:71]
	s_and_saveexec_b64 s[70:71], s[60:61]
	s_cbranch_execnz .LBB1148_1126
.LBB1148_1157:                          ;   in Loop: Header=BB1148_987 Depth=2
	s_or_b64 exec, exec, s[70:71]
	s_and_saveexec_b64 s[70:71], s[62:63]
	s_cbranch_execz .LBB1148_1127
.LBB1148_1158:                          ;   in Loop: Header=BB1148_987 Depth=2
	ds_read_b64 v[64:65], v104 offset:26624
	s_waitcnt lgkmcnt(0)
	v_cmp_ne_u64_e32 vcc, s[90:91], v[64:65]
	v_cndmask_b32_e32 v65, v133, v65, vcc
	v_cndmask_b32_e32 v64, -1, v64, vcc
	v_lshrrev_b64 v[64:65], s84, v[64:65]
	v_and_b32_e32 v166, s85, v64
	s_or_b64 exec, exec, s[70:71]
	s_and_saveexec_b64 s[70:71], s[64:65]
	s_cbranch_execnz .LBB1148_1128
.LBB1148_1159:                          ;   in Loop: Header=BB1148_987 Depth=2
	s_or_b64 exec, exec, s[70:71]
	s_and_saveexec_b64 s[70:71], s[66:67]
	s_cbranch_execz .LBB1148_1161
.LBB1148_1160:                          ;   in Loop: Header=BB1148_987 Depth=2
	ds_read_b64 v[64:65], v104 offset:30720
	s_waitcnt lgkmcnt(0)
	v_cmp_ne_u64_e32 vcc, s[90:91], v[64:65]
	v_cndmask_b32_e32 v65, v133, v65, vcc
	v_cndmask_b32_e32 v64, -1, v64, vcc
	v_lshrrev_b64 v[64:65], s84, v[64:65]
	v_and_b32_e32 v164, s85, v64
.LBB1148_1161:                          ;   in Loop: Header=BB1148_987 Depth=2
	s_or_b64 exec, exec, s[70:71]
	v_add_u32_e32 v64, 0x400, v96
	v_add_u32_e32 v65, 0x400, v97
	;; [unrolled: 1-line block ×16, first 2 shown]
	s_barrier
	s_waitcnt vmcnt(0)
	ds_write_b64 v64, v[62:63]
	ds_write_b64 v65, v[60:61]
	;; [unrolled: 1-line block ×16, first 2 shown]
	s_waitcnt lgkmcnt(0)
	s_barrier
	s_and_saveexec_b64 s[70:71], s[36:37]
	s_cbranch_execz .LBB1148_1177
; %bb.1162:                             ;   in Loop: Header=BB1148_987 Depth=2
	v_lshlrev_b32_e32 v64, 2, v182
	ds_read_b32 v68, v64
	ds_read_b64 v[64:65], v66 offset:1024
	v_mov_b32_e32 v67, v4
	v_mov_b32_e32 v69, s83
	s_waitcnt lgkmcnt(1)
	v_add_u32_e32 v66, v68, v2
	v_lshlrev_b64 v[66:67], 3, v[66:67]
	v_add_co_u32_e32 v66, vcc, s82, v66
	v_addc_co_u32_e32 v67, vcc, v69, v67, vcc
	s_waitcnt lgkmcnt(0)
	global_store_dwordx2 v[66:67], v[64:65], off
	s_or_b64 exec, exec, s[70:71]
	s_and_saveexec_b64 s[36:37], s[38:39]
	s_cbranch_execnz .LBB1148_1178
.LBB1148_1163:                          ;   in Loop: Header=BB1148_987 Depth=2
	s_or_b64 exec, exec, s[36:37]
	s_and_saveexec_b64 s[36:37], s[40:41]
	s_cbranch_execz .LBB1148_1179
.LBB1148_1164:                          ;   in Loop: Header=BB1148_987 Depth=2
	v_lshlrev_b32_e32 v64, 2, v180
	ds_read_b32 v66, v64
	ds_read_b64 v[64:65], v104 offset:4096
	v_mov_b32_e32 v67, v4
	v_mov_b32_e32 v68, s83
	s_waitcnt lgkmcnt(1)
	v_add_u32_e32 v66, v66, v6
	v_lshlrev_b64 v[66:67], 3, v[66:67]
	v_add_co_u32_e32 v66, vcc, s82, v66
	v_addc_co_u32_e32 v67, vcc, v68, v67, vcc
	s_waitcnt lgkmcnt(0)
	global_store_dwordx2 v[66:67], v[64:65], off
	s_or_b64 exec, exec, s[36:37]
	s_and_saveexec_b64 s[36:37], s[42:43]
	s_cbranch_execnz .LBB1148_1180
.LBB1148_1165:                          ;   in Loop: Header=BB1148_987 Depth=2
	s_or_b64 exec, exec, s[36:37]
	s_and_saveexec_b64 s[36:37], s[44:45]
	s_cbranch_execz .LBB1148_1181
.LBB1148_1166:                          ;   in Loop: Header=BB1148_987 Depth=2
	v_lshlrev_b32_e32 v64, 2, v178
	ds_read_b32 v66, v64
	ds_read_b64 v[64:65], v104 offset:8192
	v_mov_b32_e32 v67, v4
	v_mov_b32_e32 v68, s83
	s_waitcnt lgkmcnt(1)
	v_add_u32_e32 v66, v66, v10
	v_lshlrev_b64 v[66:67], 3, v[66:67]
	v_add_co_u32_e32 v66, vcc, s82, v66
	v_addc_co_u32_e32 v67, vcc, v68, v67, vcc
	s_waitcnt lgkmcnt(0)
	global_store_dwordx2 v[66:67], v[64:65], off
	s_or_b64 exec, exec, s[36:37]
	s_and_saveexec_b64 s[36:37], s[46:47]
	s_cbranch_execnz .LBB1148_1182
.LBB1148_1167:                          ;   in Loop: Header=BB1148_987 Depth=2
	s_or_b64 exec, exec, s[36:37]
	s_and_saveexec_b64 s[36:37], s[48:49]
	s_cbranch_execz .LBB1148_1183
.LBB1148_1168:                          ;   in Loop: Header=BB1148_987 Depth=2
	v_lshlrev_b32_e32 v64, 2, v175
	ds_read_b32 v66, v64
	ds_read_b64 v[64:65], v104 offset:12288
	v_mov_b32_e32 v67, v4
	v_mov_b32_e32 v68, s83
	s_waitcnt lgkmcnt(1)
	v_add_u32_e32 v66, v66, v14
	v_lshlrev_b64 v[66:67], 3, v[66:67]
	v_add_co_u32_e32 v66, vcc, s82, v66
	v_addc_co_u32_e32 v67, vcc, v68, v67, vcc
	s_waitcnt lgkmcnt(0)
	global_store_dwordx2 v[66:67], v[64:65], off
	s_or_b64 exec, exec, s[36:37]
	s_and_saveexec_b64 s[36:37], s[50:51]
	s_cbranch_execnz .LBB1148_1184
.LBB1148_1169:                          ;   in Loop: Header=BB1148_987 Depth=2
	s_or_b64 exec, exec, s[36:37]
	s_and_saveexec_b64 s[36:37], s[52:53]
	s_cbranch_execz .LBB1148_1185
.LBB1148_1170:                          ;   in Loop: Header=BB1148_987 Depth=2
	v_lshlrev_b32_e32 v64, 2, v172
	ds_read_b32 v66, v64
	ds_read_b64 v[64:65], v104 offset:16384
	v_mov_b32_e32 v67, v4
	v_mov_b32_e32 v68, s83
	s_waitcnt lgkmcnt(1)
	v_add_u32_e32 v66, v66, v18
	v_lshlrev_b64 v[66:67], 3, v[66:67]
	v_add_co_u32_e32 v66, vcc, s82, v66
	v_addc_co_u32_e32 v67, vcc, v68, v67, vcc
	s_waitcnt lgkmcnt(0)
	global_store_dwordx2 v[66:67], v[64:65], off
	s_or_b64 exec, exec, s[36:37]
	s_and_saveexec_b64 s[36:37], s[54:55]
	s_cbranch_execnz .LBB1148_1186
.LBB1148_1171:                          ;   in Loop: Header=BB1148_987 Depth=2
	s_or_b64 exec, exec, s[36:37]
	s_and_saveexec_b64 s[36:37], s[56:57]
	s_cbranch_execz .LBB1148_1187
.LBB1148_1172:                          ;   in Loop: Header=BB1148_987 Depth=2
	v_lshlrev_b32_e32 v64, 2, v169
	ds_read_b32 v66, v64
	ds_read_b64 v[64:65], v104 offset:20480
	v_mov_b32_e32 v67, v4
	v_mov_b32_e32 v68, s83
	s_waitcnt lgkmcnt(1)
	v_add_u32_e32 v66, v66, v22
	v_lshlrev_b64 v[66:67], 3, v[66:67]
	v_add_co_u32_e32 v66, vcc, s82, v66
	v_addc_co_u32_e32 v67, vcc, v68, v67, vcc
	s_waitcnt lgkmcnt(0)
	global_store_dwordx2 v[66:67], v[64:65], off
	s_or_b64 exec, exec, s[36:37]
	s_and_saveexec_b64 s[36:37], s[58:59]
	s_cbranch_execnz .LBB1148_1188
.LBB1148_1173:                          ;   in Loop: Header=BB1148_987 Depth=2
	s_or_b64 exec, exec, s[36:37]
	s_and_saveexec_b64 s[36:37], s[60:61]
	s_cbranch_execz .LBB1148_1189
.LBB1148_1174:                          ;   in Loop: Header=BB1148_987 Depth=2
	v_lshlrev_b32_e32 v64, 2, v167
	ds_read_b32 v66, v64
	ds_read_b64 v[64:65], v104 offset:24576
	v_mov_b32_e32 v67, v4
	v_mov_b32_e32 v68, s83
	s_waitcnt lgkmcnt(1)
	v_add_u32_e32 v66, v66, v26
	v_lshlrev_b64 v[66:67], 3, v[66:67]
	v_add_co_u32_e32 v66, vcc, s82, v66
	v_addc_co_u32_e32 v67, vcc, v68, v67, vcc
	s_waitcnt lgkmcnt(0)
	global_store_dwordx2 v[66:67], v[64:65], off
	s_or_b64 exec, exec, s[36:37]
	s_and_saveexec_b64 s[36:37], s[62:63]
	s_cbranch_execnz .LBB1148_1190
.LBB1148_1175:                          ;   in Loop: Header=BB1148_987 Depth=2
	s_or_b64 exec, exec, s[36:37]
	s_and_saveexec_b64 s[36:37], s[64:65]
	s_cbranch_execz .LBB1148_1191
.LBB1148_1176:                          ;   in Loop: Header=BB1148_987 Depth=2
	v_lshlrev_b32_e32 v64, 2, v165
	ds_read_b32 v66, v64
	ds_read_b64 v[64:65], v104 offset:28672
	v_mov_b32_e32 v67, v4
	v_mov_b32_e32 v68, s83
	s_waitcnt lgkmcnt(1)
	v_add_u32_e32 v66, v66, v30
	v_lshlrev_b64 v[66:67], 3, v[66:67]
	v_add_co_u32_e32 v66, vcc, s82, v66
	v_addc_co_u32_e32 v67, vcc, v68, v67, vcc
	s_waitcnt lgkmcnt(0)
	global_store_dwordx2 v[66:67], v[64:65], off
	s_or_b64 exec, exec, s[36:37]
	s_and_saveexec_b64 s[36:37], s[66:67]
	s_cbranch_execnz .LBB1148_1192
	s_branch .LBB1148_1193
.LBB1148_1177:                          ;   in Loop: Header=BB1148_987 Depth=2
	s_or_b64 exec, exec, s[70:71]
	s_and_saveexec_b64 s[36:37], s[38:39]
	s_cbranch_execz .LBB1148_1163
.LBB1148_1178:                          ;   in Loop: Header=BB1148_987 Depth=2
	v_lshlrev_b32_e32 v64, 2, v181
	ds_read_b32 v66, v64
	ds_read_b64 v[64:65], v104 offset:2048
	v_mov_b32_e32 v67, v4
	v_mov_b32_e32 v68, s83
	s_waitcnt lgkmcnt(1)
	v_add_u32_e32 v66, v66, v7
	v_lshlrev_b64 v[66:67], 3, v[66:67]
	v_add_co_u32_e32 v66, vcc, s82, v66
	v_addc_co_u32_e32 v67, vcc, v68, v67, vcc
	s_waitcnt lgkmcnt(0)
	global_store_dwordx2 v[66:67], v[64:65], off
	s_or_b64 exec, exec, s[36:37]
	s_and_saveexec_b64 s[36:37], s[40:41]
	s_cbranch_execnz .LBB1148_1164
.LBB1148_1179:                          ;   in Loop: Header=BB1148_987 Depth=2
	s_or_b64 exec, exec, s[36:37]
	s_and_saveexec_b64 s[36:37], s[42:43]
	s_cbranch_execz .LBB1148_1165
.LBB1148_1180:                          ;   in Loop: Header=BB1148_987 Depth=2
	v_lshlrev_b32_e32 v64, 2, v179
	ds_read_b32 v66, v64
	ds_read_b64 v[64:65], v104 offset:6144
	v_mov_b32_e32 v67, v4
	v_mov_b32_e32 v68, s83
	s_waitcnt lgkmcnt(1)
	v_add_u32_e32 v66, v66, v8
	v_lshlrev_b64 v[66:67], 3, v[66:67]
	v_add_co_u32_e32 v66, vcc, s82, v66
	v_addc_co_u32_e32 v67, vcc, v68, v67, vcc
	s_waitcnt lgkmcnt(0)
	global_store_dwordx2 v[66:67], v[64:65], off
	s_or_b64 exec, exec, s[36:37]
	s_and_saveexec_b64 s[36:37], s[44:45]
	s_cbranch_execnz .LBB1148_1166
.LBB1148_1181:                          ;   in Loop: Header=BB1148_987 Depth=2
	s_or_b64 exec, exec, s[36:37]
	s_and_saveexec_b64 s[36:37], s[46:47]
	s_cbranch_execz .LBB1148_1167
.LBB1148_1182:                          ;   in Loop: Header=BB1148_987 Depth=2
	v_lshlrev_b32_e32 v64, 2, v176
	ds_read_b32 v66, v64
	ds_read_b64 v[64:65], v104 offset:10240
	v_mov_b32_e32 v67, v4
	v_mov_b32_e32 v68, s83
	s_waitcnt lgkmcnt(1)
	v_add_u32_e32 v66, v66, v12
	v_lshlrev_b64 v[66:67], 3, v[66:67]
	v_add_co_u32_e32 v66, vcc, s82, v66
	v_addc_co_u32_e32 v67, vcc, v68, v67, vcc
	s_waitcnt lgkmcnt(0)
	global_store_dwordx2 v[66:67], v[64:65], off
	s_or_b64 exec, exec, s[36:37]
	s_and_saveexec_b64 s[36:37], s[48:49]
	s_cbranch_execnz .LBB1148_1168
.LBB1148_1183:                          ;   in Loop: Header=BB1148_987 Depth=2
	s_or_b64 exec, exec, s[36:37]
	s_and_saveexec_b64 s[36:37], s[50:51]
	s_cbranch_execz .LBB1148_1169
.LBB1148_1184:                          ;   in Loop: Header=BB1148_987 Depth=2
	v_lshlrev_b32_e32 v64, 2, v174
	ds_read_b32 v66, v64
	ds_read_b64 v[64:65], v104 offset:14336
	v_mov_b32_e32 v67, v4
	v_mov_b32_e32 v68, s83
	s_waitcnt lgkmcnt(1)
	v_add_u32_e32 v66, v66, v16
	v_lshlrev_b64 v[66:67], 3, v[66:67]
	v_add_co_u32_e32 v66, vcc, s82, v66
	v_addc_co_u32_e32 v67, vcc, v68, v67, vcc
	s_waitcnt lgkmcnt(0)
	global_store_dwordx2 v[66:67], v[64:65], off
	s_or_b64 exec, exec, s[36:37]
	s_and_saveexec_b64 s[36:37], s[52:53]
	s_cbranch_execnz .LBB1148_1170
.LBB1148_1185:                          ;   in Loop: Header=BB1148_987 Depth=2
	s_or_b64 exec, exec, s[36:37]
	s_and_saveexec_b64 s[36:37], s[54:55]
	s_cbranch_execz .LBB1148_1171
.LBB1148_1186:                          ;   in Loop: Header=BB1148_987 Depth=2
	v_lshlrev_b32_e32 v64, 2, v171
	ds_read_b32 v66, v64
	ds_read_b64 v[64:65], v104 offset:18432
	v_mov_b32_e32 v67, v4
	v_mov_b32_e32 v68, s83
	s_waitcnt lgkmcnt(1)
	v_add_u32_e32 v66, v66, v20
	v_lshlrev_b64 v[66:67], 3, v[66:67]
	v_add_co_u32_e32 v66, vcc, s82, v66
	v_addc_co_u32_e32 v67, vcc, v68, v67, vcc
	s_waitcnt lgkmcnt(0)
	global_store_dwordx2 v[66:67], v[64:65], off
	s_or_b64 exec, exec, s[36:37]
	s_and_saveexec_b64 s[36:37], s[56:57]
	s_cbranch_execnz .LBB1148_1172
.LBB1148_1187:                          ;   in Loop: Header=BB1148_987 Depth=2
	s_or_b64 exec, exec, s[36:37]
	s_and_saveexec_b64 s[36:37], s[58:59]
	s_cbranch_execz .LBB1148_1173
.LBB1148_1188:                          ;   in Loop: Header=BB1148_987 Depth=2
	v_lshlrev_b32_e32 v64, 2, v168
	ds_read_b32 v66, v64
	ds_read_b64 v[64:65], v104 offset:22528
	v_mov_b32_e32 v67, v4
	v_mov_b32_e32 v68, s83
	s_waitcnt lgkmcnt(1)
	v_add_u32_e32 v66, v66, v24
	v_lshlrev_b64 v[66:67], 3, v[66:67]
	v_add_co_u32_e32 v66, vcc, s82, v66
	v_addc_co_u32_e32 v67, vcc, v68, v67, vcc
	s_waitcnt lgkmcnt(0)
	global_store_dwordx2 v[66:67], v[64:65], off
	s_or_b64 exec, exec, s[36:37]
	s_and_saveexec_b64 s[36:37], s[60:61]
	s_cbranch_execnz .LBB1148_1174
.LBB1148_1189:                          ;   in Loop: Header=BB1148_987 Depth=2
	s_or_b64 exec, exec, s[36:37]
	s_and_saveexec_b64 s[36:37], s[62:63]
	s_cbranch_execz .LBB1148_1175
.LBB1148_1190:                          ;   in Loop: Header=BB1148_987 Depth=2
	v_lshlrev_b32_e32 v64, 2, v166
	ds_read_b32 v66, v64
	ds_read_b64 v[64:65], v104 offset:26624
	v_mov_b32_e32 v67, v4
	v_mov_b32_e32 v68, s83
	s_waitcnt lgkmcnt(1)
	v_add_u32_e32 v66, v66, v28
	v_lshlrev_b64 v[66:67], 3, v[66:67]
	v_add_co_u32_e32 v66, vcc, s82, v66
	v_addc_co_u32_e32 v67, vcc, v68, v67, vcc
	s_waitcnt lgkmcnt(0)
	global_store_dwordx2 v[66:67], v[64:65], off
	s_or_b64 exec, exec, s[36:37]
	s_and_saveexec_b64 s[36:37], s[64:65]
	s_cbranch_execnz .LBB1148_1176
.LBB1148_1191:                          ;   in Loop: Header=BB1148_987 Depth=2
	s_or_b64 exec, exec, s[36:37]
	s_and_saveexec_b64 s[36:37], s[66:67]
	s_cbranch_execz .LBB1148_1193
.LBB1148_1192:                          ;   in Loop: Header=BB1148_987 Depth=2
	v_lshlrev_b32_e32 v64, 2, v164
	ds_read_b32 v66, v64
	ds_read_b64 v[64:65], v104 offset:30720
	v_mov_b32_e32 v67, v4
	v_mov_b32_e32 v68, s83
	s_waitcnt lgkmcnt(1)
	v_add_u32_e32 v66, v66, v32
	v_lshlrev_b64 v[66:67], 3, v[66:67]
	v_add_co_u32_e32 v66, vcc, s82, v66
	v_addc_co_u32_e32 v67, vcc, v68, v67, vcc
	s_waitcnt lgkmcnt(0)
	global_store_dwordx2 v[66:67], v[64:65], off
.LBB1148_1193:                          ;   in Loop: Header=BB1148_987 Depth=2
	s_or_b64 exec, exec, s[36:37]
	s_barrier
	s_and_saveexec_b64 s[36:37], s[4:5]
	s_cbranch_execz .LBB1148_986
; %bb.1194:                             ;   in Loop: Header=BB1148_987 Depth=2
	ds_read_b32 v64, v3
	s_waitcnt lgkmcnt(0)
	v_add_u32_e32 v5, v64, v5
	ds_write_b32 v3, v5
	s_branch .LBB1148_986
.LBB1148_1195:
	s_endpgm
	.section	.rodata,"a",@progbits
	.p2align	6, 0x0
	.amdhsa_kernel _ZN7rocprim17ROCPRIM_400000_NS6detail17trampoline_kernelINS0_14default_configENS1_36segmented_radix_sort_config_selectorIdlEEZNS1_25segmented_radix_sort_implIS3_Lb1EPKdPdPKlPlN2at6native12_GLOBAL__N_18offset_tEEE10hipError_tPvRmT1_PNSt15iterator_traitsISK_E10value_typeET2_T3_PNSL_ISQ_E10value_typeET4_jRbjT5_SW_jjP12ihipStream_tbEUlT_E2_NS1_11comp_targetILNS1_3genE4ELNS1_11target_archE910ELNS1_3gpuE8ELNS1_3repE0EEENS1_30default_config_static_selectorELNS0_4arch9wavefront6targetE1EEEvSK_
		.amdhsa_group_segment_fixed_size 33808
		.amdhsa_private_segment_fixed_size 132
		.amdhsa_kernarg_size 336
		.amdhsa_user_sgpr_count 8
		.amdhsa_user_sgpr_private_segment_buffer 1
		.amdhsa_user_sgpr_dispatch_ptr 0
		.amdhsa_user_sgpr_queue_ptr 0
		.amdhsa_user_sgpr_kernarg_segment_ptr 1
		.amdhsa_user_sgpr_dispatch_id 0
		.amdhsa_user_sgpr_flat_scratch_init 1
		.amdhsa_user_sgpr_kernarg_preload_length 0
		.amdhsa_user_sgpr_kernarg_preload_offset 0
		.amdhsa_user_sgpr_private_segment_size 0
		.amdhsa_uses_dynamic_stack 0
		.amdhsa_system_sgpr_private_segment_wavefront_offset 1
		.amdhsa_system_sgpr_workgroup_id_x 1
		.amdhsa_system_sgpr_workgroup_id_y 1
		.amdhsa_system_sgpr_workgroup_id_z 0
		.amdhsa_system_sgpr_workgroup_info 0
		.amdhsa_system_vgpr_workitem_id 2
		.amdhsa_next_free_vgpr 280
		.amdhsa_next_free_sgpr 100
		.amdhsa_accum_offset 248
		.amdhsa_reserve_vcc 1
		.amdhsa_reserve_flat_scratch 1
		.amdhsa_float_round_mode_32 0
		.amdhsa_float_round_mode_16_64 0
		.amdhsa_float_denorm_mode_32 3
		.amdhsa_float_denorm_mode_16_64 3
		.amdhsa_dx10_clamp 1
		.amdhsa_ieee_mode 1
		.amdhsa_fp16_overflow 0
		.amdhsa_tg_split 0
		.amdhsa_exception_fp_ieee_invalid_op 0
		.amdhsa_exception_fp_denorm_src 0
		.amdhsa_exception_fp_ieee_div_zero 0
		.amdhsa_exception_fp_ieee_overflow 0
		.amdhsa_exception_fp_ieee_underflow 0
		.amdhsa_exception_fp_ieee_inexact 0
		.amdhsa_exception_int_div_zero 0
	.end_amdhsa_kernel
	.section	.text._ZN7rocprim17ROCPRIM_400000_NS6detail17trampoline_kernelINS0_14default_configENS1_36segmented_radix_sort_config_selectorIdlEEZNS1_25segmented_radix_sort_implIS3_Lb1EPKdPdPKlPlN2at6native12_GLOBAL__N_18offset_tEEE10hipError_tPvRmT1_PNSt15iterator_traitsISK_E10value_typeET2_T3_PNSL_ISQ_E10value_typeET4_jRbjT5_SW_jjP12ihipStream_tbEUlT_E2_NS1_11comp_targetILNS1_3genE4ELNS1_11target_archE910ELNS1_3gpuE8ELNS1_3repE0EEENS1_30default_config_static_selectorELNS0_4arch9wavefront6targetE1EEEvSK_,"axG",@progbits,_ZN7rocprim17ROCPRIM_400000_NS6detail17trampoline_kernelINS0_14default_configENS1_36segmented_radix_sort_config_selectorIdlEEZNS1_25segmented_radix_sort_implIS3_Lb1EPKdPdPKlPlN2at6native12_GLOBAL__N_18offset_tEEE10hipError_tPvRmT1_PNSt15iterator_traitsISK_E10value_typeET2_T3_PNSL_ISQ_E10value_typeET4_jRbjT5_SW_jjP12ihipStream_tbEUlT_E2_NS1_11comp_targetILNS1_3genE4ELNS1_11target_archE910ELNS1_3gpuE8ELNS1_3repE0EEENS1_30default_config_static_selectorELNS0_4arch9wavefront6targetE1EEEvSK_,comdat
.Lfunc_end1148:
	.size	_ZN7rocprim17ROCPRIM_400000_NS6detail17trampoline_kernelINS0_14default_configENS1_36segmented_radix_sort_config_selectorIdlEEZNS1_25segmented_radix_sort_implIS3_Lb1EPKdPdPKlPlN2at6native12_GLOBAL__N_18offset_tEEE10hipError_tPvRmT1_PNSt15iterator_traitsISK_E10value_typeET2_T3_PNSL_ISQ_E10value_typeET4_jRbjT5_SW_jjP12ihipStream_tbEUlT_E2_NS1_11comp_targetILNS1_3genE4ELNS1_11target_archE910ELNS1_3gpuE8ELNS1_3repE0EEENS1_30default_config_static_selectorELNS0_4arch9wavefront6targetE1EEEvSK_, .Lfunc_end1148-_ZN7rocprim17ROCPRIM_400000_NS6detail17trampoline_kernelINS0_14default_configENS1_36segmented_radix_sort_config_selectorIdlEEZNS1_25segmented_radix_sort_implIS3_Lb1EPKdPdPKlPlN2at6native12_GLOBAL__N_18offset_tEEE10hipError_tPvRmT1_PNSt15iterator_traitsISK_E10value_typeET2_T3_PNSL_ISQ_E10value_typeET4_jRbjT5_SW_jjP12ihipStream_tbEUlT_E2_NS1_11comp_targetILNS1_3genE4ELNS1_11target_archE910ELNS1_3gpuE8ELNS1_3repE0EEENS1_30default_config_static_selectorELNS0_4arch9wavefront6targetE1EEEvSK_
                                        ; -- End function
	.section	.AMDGPU.csdata,"",@progbits
; Kernel info:
; codeLenInByte = 74304
; NumSgprs: 106
; NumVgprs: 248
; NumAgprs: 32
; TotalNumVgprs: 280
; ScratchSize: 132
; MemoryBound: 0
; FloatMode: 240
; IeeeMode: 1
; LDSByteSize: 33808 bytes/workgroup (compile time only)
; SGPRBlocks: 13
; VGPRBlocks: 34
; NumSGPRsForWavesPerEU: 106
; NumVGPRsForWavesPerEU: 280
; AccumOffset: 248
; Occupancy: 1
; WaveLimiterHint : 1
; COMPUTE_PGM_RSRC2:SCRATCH_EN: 1
; COMPUTE_PGM_RSRC2:USER_SGPR: 8
; COMPUTE_PGM_RSRC2:TRAP_HANDLER: 0
; COMPUTE_PGM_RSRC2:TGID_X_EN: 1
; COMPUTE_PGM_RSRC2:TGID_Y_EN: 1
; COMPUTE_PGM_RSRC2:TGID_Z_EN: 0
; COMPUTE_PGM_RSRC2:TIDIG_COMP_CNT: 2
; COMPUTE_PGM_RSRC3_GFX90A:ACCUM_OFFSET: 61
; COMPUTE_PGM_RSRC3_GFX90A:TG_SPLIT: 0
	.section	.text._ZN7rocprim17ROCPRIM_400000_NS6detail17trampoline_kernelINS0_14default_configENS1_36segmented_radix_sort_config_selectorIdlEEZNS1_25segmented_radix_sort_implIS3_Lb1EPKdPdPKlPlN2at6native12_GLOBAL__N_18offset_tEEE10hipError_tPvRmT1_PNSt15iterator_traitsISK_E10value_typeET2_T3_PNSL_ISQ_E10value_typeET4_jRbjT5_SW_jjP12ihipStream_tbEUlT_E2_NS1_11comp_targetILNS1_3genE3ELNS1_11target_archE908ELNS1_3gpuE7ELNS1_3repE0EEENS1_30default_config_static_selectorELNS0_4arch9wavefront6targetE1EEEvSK_,"axG",@progbits,_ZN7rocprim17ROCPRIM_400000_NS6detail17trampoline_kernelINS0_14default_configENS1_36segmented_radix_sort_config_selectorIdlEEZNS1_25segmented_radix_sort_implIS3_Lb1EPKdPdPKlPlN2at6native12_GLOBAL__N_18offset_tEEE10hipError_tPvRmT1_PNSt15iterator_traitsISK_E10value_typeET2_T3_PNSL_ISQ_E10value_typeET4_jRbjT5_SW_jjP12ihipStream_tbEUlT_E2_NS1_11comp_targetILNS1_3genE3ELNS1_11target_archE908ELNS1_3gpuE7ELNS1_3repE0EEENS1_30default_config_static_selectorELNS0_4arch9wavefront6targetE1EEEvSK_,comdat
	.globl	_ZN7rocprim17ROCPRIM_400000_NS6detail17trampoline_kernelINS0_14default_configENS1_36segmented_radix_sort_config_selectorIdlEEZNS1_25segmented_radix_sort_implIS3_Lb1EPKdPdPKlPlN2at6native12_GLOBAL__N_18offset_tEEE10hipError_tPvRmT1_PNSt15iterator_traitsISK_E10value_typeET2_T3_PNSL_ISQ_E10value_typeET4_jRbjT5_SW_jjP12ihipStream_tbEUlT_E2_NS1_11comp_targetILNS1_3genE3ELNS1_11target_archE908ELNS1_3gpuE7ELNS1_3repE0EEENS1_30default_config_static_selectorELNS0_4arch9wavefront6targetE1EEEvSK_ ; -- Begin function _ZN7rocprim17ROCPRIM_400000_NS6detail17trampoline_kernelINS0_14default_configENS1_36segmented_radix_sort_config_selectorIdlEEZNS1_25segmented_radix_sort_implIS3_Lb1EPKdPdPKlPlN2at6native12_GLOBAL__N_18offset_tEEE10hipError_tPvRmT1_PNSt15iterator_traitsISK_E10value_typeET2_T3_PNSL_ISQ_E10value_typeET4_jRbjT5_SW_jjP12ihipStream_tbEUlT_E2_NS1_11comp_targetILNS1_3genE3ELNS1_11target_archE908ELNS1_3gpuE7ELNS1_3repE0EEENS1_30default_config_static_selectorELNS0_4arch9wavefront6targetE1EEEvSK_
	.p2align	8
	.type	_ZN7rocprim17ROCPRIM_400000_NS6detail17trampoline_kernelINS0_14default_configENS1_36segmented_radix_sort_config_selectorIdlEEZNS1_25segmented_radix_sort_implIS3_Lb1EPKdPdPKlPlN2at6native12_GLOBAL__N_18offset_tEEE10hipError_tPvRmT1_PNSt15iterator_traitsISK_E10value_typeET2_T3_PNSL_ISQ_E10value_typeET4_jRbjT5_SW_jjP12ihipStream_tbEUlT_E2_NS1_11comp_targetILNS1_3genE3ELNS1_11target_archE908ELNS1_3gpuE7ELNS1_3repE0EEENS1_30default_config_static_selectorELNS0_4arch9wavefront6targetE1EEEvSK_,@function
_ZN7rocprim17ROCPRIM_400000_NS6detail17trampoline_kernelINS0_14default_configENS1_36segmented_radix_sort_config_selectorIdlEEZNS1_25segmented_radix_sort_implIS3_Lb1EPKdPdPKlPlN2at6native12_GLOBAL__N_18offset_tEEE10hipError_tPvRmT1_PNSt15iterator_traitsISK_E10value_typeET2_T3_PNSL_ISQ_E10value_typeET4_jRbjT5_SW_jjP12ihipStream_tbEUlT_E2_NS1_11comp_targetILNS1_3genE3ELNS1_11target_archE908ELNS1_3gpuE7ELNS1_3repE0EEENS1_30default_config_static_selectorELNS0_4arch9wavefront6targetE1EEEvSK_: ; @_ZN7rocprim17ROCPRIM_400000_NS6detail17trampoline_kernelINS0_14default_configENS1_36segmented_radix_sort_config_selectorIdlEEZNS1_25segmented_radix_sort_implIS3_Lb1EPKdPdPKlPlN2at6native12_GLOBAL__N_18offset_tEEE10hipError_tPvRmT1_PNSt15iterator_traitsISK_E10value_typeET2_T3_PNSL_ISQ_E10value_typeET4_jRbjT5_SW_jjP12ihipStream_tbEUlT_E2_NS1_11comp_targetILNS1_3genE3ELNS1_11target_archE908ELNS1_3gpuE7ELNS1_3repE0EEENS1_30default_config_static_selectorELNS0_4arch9wavefront6targetE1EEEvSK_
; %bb.0:
	.section	.rodata,"a",@progbits
	.p2align	6, 0x0
	.amdhsa_kernel _ZN7rocprim17ROCPRIM_400000_NS6detail17trampoline_kernelINS0_14default_configENS1_36segmented_radix_sort_config_selectorIdlEEZNS1_25segmented_radix_sort_implIS3_Lb1EPKdPdPKlPlN2at6native12_GLOBAL__N_18offset_tEEE10hipError_tPvRmT1_PNSt15iterator_traitsISK_E10value_typeET2_T3_PNSL_ISQ_E10value_typeET4_jRbjT5_SW_jjP12ihipStream_tbEUlT_E2_NS1_11comp_targetILNS1_3genE3ELNS1_11target_archE908ELNS1_3gpuE7ELNS1_3repE0EEENS1_30default_config_static_selectorELNS0_4arch9wavefront6targetE1EEEvSK_
		.amdhsa_group_segment_fixed_size 0
		.amdhsa_private_segment_fixed_size 0
		.amdhsa_kernarg_size 80
		.amdhsa_user_sgpr_count 6
		.amdhsa_user_sgpr_private_segment_buffer 1
		.amdhsa_user_sgpr_dispatch_ptr 0
		.amdhsa_user_sgpr_queue_ptr 0
		.amdhsa_user_sgpr_kernarg_segment_ptr 1
		.amdhsa_user_sgpr_dispatch_id 0
		.amdhsa_user_sgpr_flat_scratch_init 0
		.amdhsa_user_sgpr_kernarg_preload_length 0
		.amdhsa_user_sgpr_kernarg_preload_offset 0
		.amdhsa_user_sgpr_private_segment_size 0
		.amdhsa_uses_dynamic_stack 0
		.amdhsa_system_sgpr_private_segment_wavefront_offset 0
		.amdhsa_system_sgpr_workgroup_id_x 1
		.amdhsa_system_sgpr_workgroup_id_y 0
		.amdhsa_system_sgpr_workgroup_id_z 0
		.amdhsa_system_sgpr_workgroup_info 0
		.amdhsa_system_vgpr_workitem_id 0
		.amdhsa_next_free_vgpr 1
		.amdhsa_next_free_sgpr 0
		.amdhsa_accum_offset 4
		.amdhsa_reserve_vcc 0
		.amdhsa_reserve_flat_scratch 0
		.amdhsa_float_round_mode_32 0
		.amdhsa_float_round_mode_16_64 0
		.amdhsa_float_denorm_mode_32 3
		.amdhsa_float_denorm_mode_16_64 3
		.amdhsa_dx10_clamp 1
		.amdhsa_ieee_mode 1
		.amdhsa_fp16_overflow 0
		.amdhsa_tg_split 0
		.amdhsa_exception_fp_ieee_invalid_op 0
		.amdhsa_exception_fp_denorm_src 0
		.amdhsa_exception_fp_ieee_div_zero 0
		.amdhsa_exception_fp_ieee_overflow 0
		.amdhsa_exception_fp_ieee_underflow 0
		.amdhsa_exception_fp_ieee_inexact 0
		.amdhsa_exception_int_div_zero 0
	.end_amdhsa_kernel
	.section	.text._ZN7rocprim17ROCPRIM_400000_NS6detail17trampoline_kernelINS0_14default_configENS1_36segmented_radix_sort_config_selectorIdlEEZNS1_25segmented_radix_sort_implIS3_Lb1EPKdPdPKlPlN2at6native12_GLOBAL__N_18offset_tEEE10hipError_tPvRmT1_PNSt15iterator_traitsISK_E10value_typeET2_T3_PNSL_ISQ_E10value_typeET4_jRbjT5_SW_jjP12ihipStream_tbEUlT_E2_NS1_11comp_targetILNS1_3genE3ELNS1_11target_archE908ELNS1_3gpuE7ELNS1_3repE0EEENS1_30default_config_static_selectorELNS0_4arch9wavefront6targetE1EEEvSK_,"axG",@progbits,_ZN7rocprim17ROCPRIM_400000_NS6detail17trampoline_kernelINS0_14default_configENS1_36segmented_radix_sort_config_selectorIdlEEZNS1_25segmented_radix_sort_implIS3_Lb1EPKdPdPKlPlN2at6native12_GLOBAL__N_18offset_tEEE10hipError_tPvRmT1_PNSt15iterator_traitsISK_E10value_typeET2_T3_PNSL_ISQ_E10value_typeET4_jRbjT5_SW_jjP12ihipStream_tbEUlT_E2_NS1_11comp_targetILNS1_3genE3ELNS1_11target_archE908ELNS1_3gpuE7ELNS1_3repE0EEENS1_30default_config_static_selectorELNS0_4arch9wavefront6targetE1EEEvSK_,comdat
.Lfunc_end1149:
	.size	_ZN7rocprim17ROCPRIM_400000_NS6detail17trampoline_kernelINS0_14default_configENS1_36segmented_radix_sort_config_selectorIdlEEZNS1_25segmented_radix_sort_implIS3_Lb1EPKdPdPKlPlN2at6native12_GLOBAL__N_18offset_tEEE10hipError_tPvRmT1_PNSt15iterator_traitsISK_E10value_typeET2_T3_PNSL_ISQ_E10value_typeET4_jRbjT5_SW_jjP12ihipStream_tbEUlT_E2_NS1_11comp_targetILNS1_3genE3ELNS1_11target_archE908ELNS1_3gpuE7ELNS1_3repE0EEENS1_30default_config_static_selectorELNS0_4arch9wavefront6targetE1EEEvSK_, .Lfunc_end1149-_ZN7rocprim17ROCPRIM_400000_NS6detail17trampoline_kernelINS0_14default_configENS1_36segmented_radix_sort_config_selectorIdlEEZNS1_25segmented_radix_sort_implIS3_Lb1EPKdPdPKlPlN2at6native12_GLOBAL__N_18offset_tEEE10hipError_tPvRmT1_PNSt15iterator_traitsISK_E10value_typeET2_T3_PNSL_ISQ_E10value_typeET4_jRbjT5_SW_jjP12ihipStream_tbEUlT_E2_NS1_11comp_targetILNS1_3genE3ELNS1_11target_archE908ELNS1_3gpuE7ELNS1_3repE0EEENS1_30default_config_static_selectorELNS0_4arch9wavefront6targetE1EEEvSK_
                                        ; -- End function
	.section	.AMDGPU.csdata,"",@progbits
; Kernel info:
; codeLenInByte = 0
; NumSgprs: 4
; NumVgprs: 0
; NumAgprs: 0
; TotalNumVgprs: 0
; ScratchSize: 0
; MemoryBound: 0
; FloatMode: 240
; IeeeMode: 1
; LDSByteSize: 0 bytes/workgroup (compile time only)
; SGPRBlocks: 0
; VGPRBlocks: 0
; NumSGPRsForWavesPerEU: 4
; NumVGPRsForWavesPerEU: 1
; AccumOffset: 4
; Occupancy: 8
; WaveLimiterHint : 0
; COMPUTE_PGM_RSRC2:SCRATCH_EN: 0
; COMPUTE_PGM_RSRC2:USER_SGPR: 6
; COMPUTE_PGM_RSRC2:TRAP_HANDLER: 0
; COMPUTE_PGM_RSRC2:TGID_X_EN: 1
; COMPUTE_PGM_RSRC2:TGID_Y_EN: 0
; COMPUTE_PGM_RSRC2:TGID_Z_EN: 0
; COMPUTE_PGM_RSRC2:TIDIG_COMP_CNT: 0
; COMPUTE_PGM_RSRC3_GFX90A:ACCUM_OFFSET: 0
; COMPUTE_PGM_RSRC3_GFX90A:TG_SPLIT: 0
	.section	.text._ZN7rocprim17ROCPRIM_400000_NS6detail17trampoline_kernelINS0_14default_configENS1_36segmented_radix_sort_config_selectorIdlEEZNS1_25segmented_radix_sort_implIS3_Lb1EPKdPdPKlPlN2at6native12_GLOBAL__N_18offset_tEEE10hipError_tPvRmT1_PNSt15iterator_traitsISK_E10value_typeET2_T3_PNSL_ISQ_E10value_typeET4_jRbjT5_SW_jjP12ihipStream_tbEUlT_E2_NS1_11comp_targetILNS1_3genE2ELNS1_11target_archE906ELNS1_3gpuE6ELNS1_3repE0EEENS1_30default_config_static_selectorELNS0_4arch9wavefront6targetE1EEEvSK_,"axG",@progbits,_ZN7rocprim17ROCPRIM_400000_NS6detail17trampoline_kernelINS0_14default_configENS1_36segmented_radix_sort_config_selectorIdlEEZNS1_25segmented_radix_sort_implIS3_Lb1EPKdPdPKlPlN2at6native12_GLOBAL__N_18offset_tEEE10hipError_tPvRmT1_PNSt15iterator_traitsISK_E10value_typeET2_T3_PNSL_ISQ_E10value_typeET4_jRbjT5_SW_jjP12ihipStream_tbEUlT_E2_NS1_11comp_targetILNS1_3genE2ELNS1_11target_archE906ELNS1_3gpuE6ELNS1_3repE0EEENS1_30default_config_static_selectorELNS0_4arch9wavefront6targetE1EEEvSK_,comdat
	.globl	_ZN7rocprim17ROCPRIM_400000_NS6detail17trampoline_kernelINS0_14default_configENS1_36segmented_radix_sort_config_selectorIdlEEZNS1_25segmented_radix_sort_implIS3_Lb1EPKdPdPKlPlN2at6native12_GLOBAL__N_18offset_tEEE10hipError_tPvRmT1_PNSt15iterator_traitsISK_E10value_typeET2_T3_PNSL_ISQ_E10value_typeET4_jRbjT5_SW_jjP12ihipStream_tbEUlT_E2_NS1_11comp_targetILNS1_3genE2ELNS1_11target_archE906ELNS1_3gpuE6ELNS1_3repE0EEENS1_30default_config_static_selectorELNS0_4arch9wavefront6targetE1EEEvSK_ ; -- Begin function _ZN7rocprim17ROCPRIM_400000_NS6detail17trampoline_kernelINS0_14default_configENS1_36segmented_radix_sort_config_selectorIdlEEZNS1_25segmented_radix_sort_implIS3_Lb1EPKdPdPKlPlN2at6native12_GLOBAL__N_18offset_tEEE10hipError_tPvRmT1_PNSt15iterator_traitsISK_E10value_typeET2_T3_PNSL_ISQ_E10value_typeET4_jRbjT5_SW_jjP12ihipStream_tbEUlT_E2_NS1_11comp_targetILNS1_3genE2ELNS1_11target_archE906ELNS1_3gpuE6ELNS1_3repE0EEENS1_30default_config_static_selectorELNS0_4arch9wavefront6targetE1EEEvSK_
	.p2align	8
	.type	_ZN7rocprim17ROCPRIM_400000_NS6detail17trampoline_kernelINS0_14default_configENS1_36segmented_radix_sort_config_selectorIdlEEZNS1_25segmented_radix_sort_implIS3_Lb1EPKdPdPKlPlN2at6native12_GLOBAL__N_18offset_tEEE10hipError_tPvRmT1_PNSt15iterator_traitsISK_E10value_typeET2_T3_PNSL_ISQ_E10value_typeET4_jRbjT5_SW_jjP12ihipStream_tbEUlT_E2_NS1_11comp_targetILNS1_3genE2ELNS1_11target_archE906ELNS1_3gpuE6ELNS1_3repE0EEENS1_30default_config_static_selectorELNS0_4arch9wavefront6targetE1EEEvSK_,@function
_ZN7rocprim17ROCPRIM_400000_NS6detail17trampoline_kernelINS0_14default_configENS1_36segmented_radix_sort_config_selectorIdlEEZNS1_25segmented_radix_sort_implIS3_Lb1EPKdPdPKlPlN2at6native12_GLOBAL__N_18offset_tEEE10hipError_tPvRmT1_PNSt15iterator_traitsISK_E10value_typeET2_T3_PNSL_ISQ_E10value_typeET4_jRbjT5_SW_jjP12ihipStream_tbEUlT_E2_NS1_11comp_targetILNS1_3genE2ELNS1_11target_archE906ELNS1_3gpuE6ELNS1_3repE0EEENS1_30default_config_static_selectorELNS0_4arch9wavefront6targetE1EEEvSK_: ; @_ZN7rocprim17ROCPRIM_400000_NS6detail17trampoline_kernelINS0_14default_configENS1_36segmented_radix_sort_config_selectorIdlEEZNS1_25segmented_radix_sort_implIS3_Lb1EPKdPdPKlPlN2at6native12_GLOBAL__N_18offset_tEEE10hipError_tPvRmT1_PNSt15iterator_traitsISK_E10value_typeET2_T3_PNSL_ISQ_E10value_typeET4_jRbjT5_SW_jjP12ihipStream_tbEUlT_E2_NS1_11comp_targetILNS1_3genE2ELNS1_11target_archE906ELNS1_3gpuE6ELNS1_3repE0EEENS1_30default_config_static_selectorELNS0_4arch9wavefront6targetE1EEEvSK_
; %bb.0:
	.section	.rodata,"a",@progbits
	.p2align	6, 0x0
	.amdhsa_kernel _ZN7rocprim17ROCPRIM_400000_NS6detail17trampoline_kernelINS0_14default_configENS1_36segmented_radix_sort_config_selectorIdlEEZNS1_25segmented_radix_sort_implIS3_Lb1EPKdPdPKlPlN2at6native12_GLOBAL__N_18offset_tEEE10hipError_tPvRmT1_PNSt15iterator_traitsISK_E10value_typeET2_T3_PNSL_ISQ_E10value_typeET4_jRbjT5_SW_jjP12ihipStream_tbEUlT_E2_NS1_11comp_targetILNS1_3genE2ELNS1_11target_archE906ELNS1_3gpuE6ELNS1_3repE0EEENS1_30default_config_static_selectorELNS0_4arch9wavefront6targetE1EEEvSK_
		.amdhsa_group_segment_fixed_size 0
		.amdhsa_private_segment_fixed_size 0
		.amdhsa_kernarg_size 80
		.amdhsa_user_sgpr_count 6
		.amdhsa_user_sgpr_private_segment_buffer 1
		.amdhsa_user_sgpr_dispatch_ptr 0
		.amdhsa_user_sgpr_queue_ptr 0
		.amdhsa_user_sgpr_kernarg_segment_ptr 1
		.amdhsa_user_sgpr_dispatch_id 0
		.amdhsa_user_sgpr_flat_scratch_init 0
		.amdhsa_user_sgpr_kernarg_preload_length 0
		.amdhsa_user_sgpr_kernarg_preload_offset 0
		.amdhsa_user_sgpr_private_segment_size 0
		.amdhsa_uses_dynamic_stack 0
		.amdhsa_system_sgpr_private_segment_wavefront_offset 0
		.amdhsa_system_sgpr_workgroup_id_x 1
		.amdhsa_system_sgpr_workgroup_id_y 0
		.amdhsa_system_sgpr_workgroup_id_z 0
		.amdhsa_system_sgpr_workgroup_info 0
		.amdhsa_system_vgpr_workitem_id 0
		.amdhsa_next_free_vgpr 1
		.amdhsa_next_free_sgpr 0
		.amdhsa_accum_offset 4
		.amdhsa_reserve_vcc 0
		.amdhsa_reserve_flat_scratch 0
		.amdhsa_float_round_mode_32 0
		.amdhsa_float_round_mode_16_64 0
		.amdhsa_float_denorm_mode_32 3
		.amdhsa_float_denorm_mode_16_64 3
		.amdhsa_dx10_clamp 1
		.amdhsa_ieee_mode 1
		.amdhsa_fp16_overflow 0
		.amdhsa_tg_split 0
		.amdhsa_exception_fp_ieee_invalid_op 0
		.amdhsa_exception_fp_denorm_src 0
		.amdhsa_exception_fp_ieee_div_zero 0
		.amdhsa_exception_fp_ieee_overflow 0
		.amdhsa_exception_fp_ieee_underflow 0
		.amdhsa_exception_fp_ieee_inexact 0
		.amdhsa_exception_int_div_zero 0
	.end_amdhsa_kernel
	.section	.text._ZN7rocprim17ROCPRIM_400000_NS6detail17trampoline_kernelINS0_14default_configENS1_36segmented_radix_sort_config_selectorIdlEEZNS1_25segmented_radix_sort_implIS3_Lb1EPKdPdPKlPlN2at6native12_GLOBAL__N_18offset_tEEE10hipError_tPvRmT1_PNSt15iterator_traitsISK_E10value_typeET2_T3_PNSL_ISQ_E10value_typeET4_jRbjT5_SW_jjP12ihipStream_tbEUlT_E2_NS1_11comp_targetILNS1_3genE2ELNS1_11target_archE906ELNS1_3gpuE6ELNS1_3repE0EEENS1_30default_config_static_selectorELNS0_4arch9wavefront6targetE1EEEvSK_,"axG",@progbits,_ZN7rocprim17ROCPRIM_400000_NS6detail17trampoline_kernelINS0_14default_configENS1_36segmented_radix_sort_config_selectorIdlEEZNS1_25segmented_radix_sort_implIS3_Lb1EPKdPdPKlPlN2at6native12_GLOBAL__N_18offset_tEEE10hipError_tPvRmT1_PNSt15iterator_traitsISK_E10value_typeET2_T3_PNSL_ISQ_E10value_typeET4_jRbjT5_SW_jjP12ihipStream_tbEUlT_E2_NS1_11comp_targetILNS1_3genE2ELNS1_11target_archE906ELNS1_3gpuE6ELNS1_3repE0EEENS1_30default_config_static_selectorELNS0_4arch9wavefront6targetE1EEEvSK_,comdat
.Lfunc_end1150:
	.size	_ZN7rocprim17ROCPRIM_400000_NS6detail17trampoline_kernelINS0_14default_configENS1_36segmented_radix_sort_config_selectorIdlEEZNS1_25segmented_radix_sort_implIS3_Lb1EPKdPdPKlPlN2at6native12_GLOBAL__N_18offset_tEEE10hipError_tPvRmT1_PNSt15iterator_traitsISK_E10value_typeET2_T3_PNSL_ISQ_E10value_typeET4_jRbjT5_SW_jjP12ihipStream_tbEUlT_E2_NS1_11comp_targetILNS1_3genE2ELNS1_11target_archE906ELNS1_3gpuE6ELNS1_3repE0EEENS1_30default_config_static_selectorELNS0_4arch9wavefront6targetE1EEEvSK_, .Lfunc_end1150-_ZN7rocprim17ROCPRIM_400000_NS6detail17trampoline_kernelINS0_14default_configENS1_36segmented_radix_sort_config_selectorIdlEEZNS1_25segmented_radix_sort_implIS3_Lb1EPKdPdPKlPlN2at6native12_GLOBAL__N_18offset_tEEE10hipError_tPvRmT1_PNSt15iterator_traitsISK_E10value_typeET2_T3_PNSL_ISQ_E10value_typeET4_jRbjT5_SW_jjP12ihipStream_tbEUlT_E2_NS1_11comp_targetILNS1_3genE2ELNS1_11target_archE906ELNS1_3gpuE6ELNS1_3repE0EEENS1_30default_config_static_selectorELNS0_4arch9wavefront6targetE1EEEvSK_
                                        ; -- End function
	.section	.AMDGPU.csdata,"",@progbits
; Kernel info:
; codeLenInByte = 0
; NumSgprs: 4
; NumVgprs: 0
; NumAgprs: 0
; TotalNumVgprs: 0
; ScratchSize: 0
; MemoryBound: 0
; FloatMode: 240
; IeeeMode: 1
; LDSByteSize: 0 bytes/workgroup (compile time only)
; SGPRBlocks: 0
; VGPRBlocks: 0
; NumSGPRsForWavesPerEU: 4
; NumVGPRsForWavesPerEU: 1
; AccumOffset: 4
; Occupancy: 8
; WaveLimiterHint : 0
; COMPUTE_PGM_RSRC2:SCRATCH_EN: 0
; COMPUTE_PGM_RSRC2:USER_SGPR: 6
; COMPUTE_PGM_RSRC2:TRAP_HANDLER: 0
; COMPUTE_PGM_RSRC2:TGID_X_EN: 1
; COMPUTE_PGM_RSRC2:TGID_Y_EN: 0
; COMPUTE_PGM_RSRC2:TGID_Z_EN: 0
; COMPUTE_PGM_RSRC2:TIDIG_COMP_CNT: 0
; COMPUTE_PGM_RSRC3_GFX90A:ACCUM_OFFSET: 0
; COMPUTE_PGM_RSRC3_GFX90A:TG_SPLIT: 0
	.section	.text._ZN7rocprim17ROCPRIM_400000_NS6detail17trampoline_kernelINS0_14default_configENS1_36segmented_radix_sort_config_selectorIdlEEZNS1_25segmented_radix_sort_implIS3_Lb1EPKdPdPKlPlN2at6native12_GLOBAL__N_18offset_tEEE10hipError_tPvRmT1_PNSt15iterator_traitsISK_E10value_typeET2_T3_PNSL_ISQ_E10value_typeET4_jRbjT5_SW_jjP12ihipStream_tbEUlT_E2_NS1_11comp_targetILNS1_3genE10ELNS1_11target_archE1201ELNS1_3gpuE5ELNS1_3repE0EEENS1_30default_config_static_selectorELNS0_4arch9wavefront6targetE1EEEvSK_,"axG",@progbits,_ZN7rocprim17ROCPRIM_400000_NS6detail17trampoline_kernelINS0_14default_configENS1_36segmented_radix_sort_config_selectorIdlEEZNS1_25segmented_radix_sort_implIS3_Lb1EPKdPdPKlPlN2at6native12_GLOBAL__N_18offset_tEEE10hipError_tPvRmT1_PNSt15iterator_traitsISK_E10value_typeET2_T3_PNSL_ISQ_E10value_typeET4_jRbjT5_SW_jjP12ihipStream_tbEUlT_E2_NS1_11comp_targetILNS1_3genE10ELNS1_11target_archE1201ELNS1_3gpuE5ELNS1_3repE0EEENS1_30default_config_static_selectorELNS0_4arch9wavefront6targetE1EEEvSK_,comdat
	.globl	_ZN7rocprim17ROCPRIM_400000_NS6detail17trampoline_kernelINS0_14default_configENS1_36segmented_radix_sort_config_selectorIdlEEZNS1_25segmented_radix_sort_implIS3_Lb1EPKdPdPKlPlN2at6native12_GLOBAL__N_18offset_tEEE10hipError_tPvRmT1_PNSt15iterator_traitsISK_E10value_typeET2_T3_PNSL_ISQ_E10value_typeET4_jRbjT5_SW_jjP12ihipStream_tbEUlT_E2_NS1_11comp_targetILNS1_3genE10ELNS1_11target_archE1201ELNS1_3gpuE5ELNS1_3repE0EEENS1_30default_config_static_selectorELNS0_4arch9wavefront6targetE1EEEvSK_ ; -- Begin function _ZN7rocprim17ROCPRIM_400000_NS6detail17trampoline_kernelINS0_14default_configENS1_36segmented_radix_sort_config_selectorIdlEEZNS1_25segmented_radix_sort_implIS3_Lb1EPKdPdPKlPlN2at6native12_GLOBAL__N_18offset_tEEE10hipError_tPvRmT1_PNSt15iterator_traitsISK_E10value_typeET2_T3_PNSL_ISQ_E10value_typeET4_jRbjT5_SW_jjP12ihipStream_tbEUlT_E2_NS1_11comp_targetILNS1_3genE10ELNS1_11target_archE1201ELNS1_3gpuE5ELNS1_3repE0EEENS1_30default_config_static_selectorELNS0_4arch9wavefront6targetE1EEEvSK_
	.p2align	8
	.type	_ZN7rocprim17ROCPRIM_400000_NS6detail17trampoline_kernelINS0_14default_configENS1_36segmented_radix_sort_config_selectorIdlEEZNS1_25segmented_radix_sort_implIS3_Lb1EPKdPdPKlPlN2at6native12_GLOBAL__N_18offset_tEEE10hipError_tPvRmT1_PNSt15iterator_traitsISK_E10value_typeET2_T3_PNSL_ISQ_E10value_typeET4_jRbjT5_SW_jjP12ihipStream_tbEUlT_E2_NS1_11comp_targetILNS1_3genE10ELNS1_11target_archE1201ELNS1_3gpuE5ELNS1_3repE0EEENS1_30default_config_static_selectorELNS0_4arch9wavefront6targetE1EEEvSK_,@function
_ZN7rocprim17ROCPRIM_400000_NS6detail17trampoline_kernelINS0_14default_configENS1_36segmented_radix_sort_config_selectorIdlEEZNS1_25segmented_radix_sort_implIS3_Lb1EPKdPdPKlPlN2at6native12_GLOBAL__N_18offset_tEEE10hipError_tPvRmT1_PNSt15iterator_traitsISK_E10value_typeET2_T3_PNSL_ISQ_E10value_typeET4_jRbjT5_SW_jjP12ihipStream_tbEUlT_E2_NS1_11comp_targetILNS1_3genE10ELNS1_11target_archE1201ELNS1_3gpuE5ELNS1_3repE0EEENS1_30default_config_static_selectorELNS0_4arch9wavefront6targetE1EEEvSK_: ; @_ZN7rocprim17ROCPRIM_400000_NS6detail17trampoline_kernelINS0_14default_configENS1_36segmented_radix_sort_config_selectorIdlEEZNS1_25segmented_radix_sort_implIS3_Lb1EPKdPdPKlPlN2at6native12_GLOBAL__N_18offset_tEEE10hipError_tPvRmT1_PNSt15iterator_traitsISK_E10value_typeET2_T3_PNSL_ISQ_E10value_typeET4_jRbjT5_SW_jjP12ihipStream_tbEUlT_E2_NS1_11comp_targetILNS1_3genE10ELNS1_11target_archE1201ELNS1_3gpuE5ELNS1_3repE0EEENS1_30default_config_static_selectorELNS0_4arch9wavefront6targetE1EEEvSK_
; %bb.0:
	.section	.rodata,"a",@progbits
	.p2align	6, 0x0
	.amdhsa_kernel _ZN7rocprim17ROCPRIM_400000_NS6detail17trampoline_kernelINS0_14default_configENS1_36segmented_radix_sort_config_selectorIdlEEZNS1_25segmented_radix_sort_implIS3_Lb1EPKdPdPKlPlN2at6native12_GLOBAL__N_18offset_tEEE10hipError_tPvRmT1_PNSt15iterator_traitsISK_E10value_typeET2_T3_PNSL_ISQ_E10value_typeET4_jRbjT5_SW_jjP12ihipStream_tbEUlT_E2_NS1_11comp_targetILNS1_3genE10ELNS1_11target_archE1201ELNS1_3gpuE5ELNS1_3repE0EEENS1_30default_config_static_selectorELNS0_4arch9wavefront6targetE1EEEvSK_
		.amdhsa_group_segment_fixed_size 0
		.amdhsa_private_segment_fixed_size 0
		.amdhsa_kernarg_size 80
		.amdhsa_user_sgpr_count 6
		.amdhsa_user_sgpr_private_segment_buffer 1
		.amdhsa_user_sgpr_dispatch_ptr 0
		.amdhsa_user_sgpr_queue_ptr 0
		.amdhsa_user_sgpr_kernarg_segment_ptr 1
		.amdhsa_user_sgpr_dispatch_id 0
		.amdhsa_user_sgpr_flat_scratch_init 0
		.amdhsa_user_sgpr_kernarg_preload_length 0
		.amdhsa_user_sgpr_kernarg_preload_offset 0
		.amdhsa_user_sgpr_private_segment_size 0
		.amdhsa_uses_dynamic_stack 0
		.amdhsa_system_sgpr_private_segment_wavefront_offset 0
		.amdhsa_system_sgpr_workgroup_id_x 1
		.amdhsa_system_sgpr_workgroup_id_y 0
		.amdhsa_system_sgpr_workgroup_id_z 0
		.amdhsa_system_sgpr_workgroup_info 0
		.amdhsa_system_vgpr_workitem_id 0
		.amdhsa_next_free_vgpr 1
		.amdhsa_next_free_sgpr 0
		.amdhsa_accum_offset 4
		.amdhsa_reserve_vcc 0
		.amdhsa_reserve_flat_scratch 0
		.amdhsa_float_round_mode_32 0
		.amdhsa_float_round_mode_16_64 0
		.amdhsa_float_denorm_mode_32 3
		.amdhsa_float_denorm_mode_16_64 3
		.amdhsa_dx10_clamp 1
		.amdhsa_ieee_mode 1
		.amdhsa_fp16_overflow 0
		.amdhsa_tg_split 0
		.amdhsa_exception_fp_ieee_invalid_op 0
		.amdhsa_exception_fp_denorm_src 0
		.amdhsa_exception_fp_ieee_div_zero 0
		.amdhsa_exception_fp_ieee_overflow 0
		.amdhsa_exception_fp_ieee_underflow 0
		.amdhsa_exception_fp_ieee_inexact 0
		.amdhsa_exception_int_div_zero 0
	.end_amdhsa_kernel
	.section	.text._ZN7rocprim17ROCPRIM_400000_NS6detail17trampoline_kernelINS0_14default_configENS1_36segmented_radix_sort_config_selectorIdlEEZNS1_25segmented_radix_sort_implIS3_Lb1EPKdPdPKlPlN2at6native12_GLOBAL__N_18offset_tEEE10hipError_tPvRmT1_PNSt15iterator_traitsISK_E10value_typeET2_T3_PNSL_ISQ_E10value_typeET4_jRbjT5_SW_jjP12ihipStream_tbEUlT_E2_NS1_11comp_targetILNS1_3genE10ELNS1_11target_archE1201ELNS1_3gpuE5ELNS1_3repE0EEENS1_30default_config_static_selectorELNS0_4arch9wavefront6targetE1EEEvSK_,"axG",@progbits,_ZN7rocprim17ROCPRIM_400000_NS6detail17trampoline_kernelINS0_14default_configENS1_36segmented_radix_sort_config_selectorIdlEEZNS1_25segmented_radix_sort_implIS3_Lb1EPKdPdPKlPlN2at6native12_GLOBAL__N_18offset_tEEE10hipError_tPvRmT1_PNSt15iterator_traitsISK_E10value_typeET2_T3_PNSL_ISQ_E10value_typeET4_jRbjT5_SW_jjP12ihipStream_tbEUlT_E2_NS1_11comp_targetILNS1_3genE10ELNS1_11target_archE1201ELNS1_3gpuE5ELNS1_3repE0EEENS1_30default_config_static_selectorELNS0_4arch9wavefront6targetE1EEEvSK_,comdat
.Lfunc_end1151:
	.size	_ZN7rocprim17ROCPRIM_400000_NS6detail17trampoline_kernelINS0_14default_configENS1_36segmented_radix_sort_config_selectorIdlEEZNS1_25segmented_radix_sort_implIS3_Lb1EPKdPdPKlPlN2at6native12_GLOBAL__N_18offset_tEEE10hipError_tPvRmT1_PNSt15iterator_traitsISK_E10value_typeET2_T3_PNSL_ISQ_E10value_typeET4_jRbjT5_SW_jjP12ihipStream_tbEUlT_E2_NS1_11comp_targetILNS1_3genE10ELNS1_11target_archE1201ELNS1_3gpuE5ELNS1_3repE0EEENS1_30default_config_static_selectorELNS0_4arch9wavefront6targetE1EEEvSK_, .Lfunc_end1151-_ZN7rocprim17ROCPRIM_400000_NS6detail17trampoline_kernelINS0_14default_configENS1_36segmented_radix_sort_config_selectorIdlEEZNS1_25segmented_radix_sort_implIS3_Lb1EPKdPdPKlPlN2at6native12_GLOBAL__N_18offset_tEEE10hipError_tPvRmT1_PNSt15iterator_traitsISK_E10value_typeET2_T3_PNSL_ISQ_E10value_typeET4_jRbjT5_SW_jjP12ihipStream_tbEUlT_E2_NS1_11comp_targetILNS1_3genE10ELNS1_11target_archE1201ELNS1_3gpuE5ELNS1_3repE0EEENS1_30default_config_static_selectorELNS0_4arch9wavefront6targetE1EEEvSK_
                                        ; -- End function
	.section	.AMDGPU.csdata,"",@progbits
; Kernel info:
; codeLenInByte = 0
; NumSgprs: 4
; NumVgprs: 0
; NumAgprs: 0
; TotalNumVgprs: 0
; ScratchSize: 0
; MemoryBound: 0
; FloatMode: 240
; IeeeMode: 1
; LDSByteSize: 0 bytes/workgroup (compile time only)
; SGPRBlocks: 0
; VGPRBlocks: 0
; NumSGPRsForWavesPerEU: 4
; NumVGPRsForWavesPerEU: 1
; AccumOffset: 4
; Occupancy: 8
; WaveLimiterHint : 0
; COMPUTE_PGM_RSRC2:SCRATCH_EN: 0
; COMPUTE_PGM_RSRC2:USER_SGPR: 6
; COMPUTE_PGM_RSRC2:TRAP_HANDLER: 0
; COMPUTE_PGM_RSRC2:TGID_X_EN: 1
; COMPUTE_PGM_RSRC2:TGID_Y_EN: 0
; COMPUTE_PGM_RSRC2:TGID_Z_EN: 0
; COMPUTE_PGM_RSRC2:TIDIG_COMP_CNT: 0
; COMPUTE_PGM_RSRC3_GFX90A:ACCUM_OFFSET: 0
; COMPUTE_PGM_RSRC3_GFX90A:TG_SPLIT: 0
	.section	.text._ZN7rocprim17ROCPRIM_400000_NS6detail17trampoline_kernelINS0_14default_configENS1_36segmented_radix_sort_config_selectorIdlEEZNS1_25segmented_radix_sort_implIS3_Lb1EPKdPdPKlPlN2at6native12_GLOBAL__N_18offset_tEEE10hipError_tPvRmT1_PNSt15iterator_traitsISK_E10value_typeET2_T3_PNSL_ISQ_E10value_typeET4_jRbjT5_SW_jjP12ihipStream_tbEUlT_E2_NS1_11comp_targetILNS1_3genE10ELNS1_11target_archE1200ELNS1_3gpuE4ELNS1_3repE0EEENS1_30default_config_static_selectorELNS0_4arch9wavefront6targetE1EEEvSK_,"axG",@progbits,_ZN7rocprim17ROCPRIM_400000_NS6detail17trampoline_kernelINS0_14default_configENS1_36segmented_radix_sort_config_selectorIdlEEZNS1_25segmented_radix_sort_implIS3_Lb1EPKdPdPKlPlN2at6native12_GLOBAL__N_18offset_tEEE10hipError_tPvRmT1_PNSt15iterator_traitsISK_E10value_typeET2_T3_PNSL_ISQ_E10value_typeET4_jRbjT5_SW_jjP12ihipStream_tbEUlT_E2_NS1_11comp_targetILNS1_3genE10ELNS1_11target_archE1200ELNS1_3gpuE4ELNS1_3repE0EEENS1_30default_config_static_selectorELNS0_4arch9wavefront6targetE1EEEvSK_,comdat
	.globl	_ZN7rocprim17ROCPRIM_400000_NS6detail17trampoline_kernelINS0_14default_configENS1_36segmented_radix_sort_config_selectorIdlEEZNS1_25segmented_radix_sort_implIS3_Lb1EPKdPdPKlPlN2at6native12_GLOBAL__N_18offset_tEEE10hipError_tPvRmT1_PNSt15iterator_traitsISK_E10value_typeET2_T3_PNSL_ISQ_E10value_typeET4_jRbjT5_SW_jjP12ihipStream_tbEUlT_E2_NS1_11comp_targetILNS1_3genE10ELNS1_11target_archE1200ELNS1_3gpuE4ELNS1_3repE0EEENS1_30default_config_static_selectorELNS0_4arch9wavefront6targetE1EEEvSK_ ; -- Begin function _ZN7rocprim17ROCPRIM_400000_NS6detail17trampoline_kernelINS0_14default_configENS1_36segmented_radix_sort_config_selectorIdlEEZNS1_25segmented_radix_sort_implIS3_Lb1EPKdPdPKlPlN2at6native12_GLOBAL__N_18offset_tEEE10hipError_tPvRmT1_PNSt15iterator_traitsISK_E10value_typeET2_T3_PNSL_ISQ_E10value_typeET4_jRbjT5_SW_jjP12ihipStream_tbEUlT_E2_NS1_11comp_targetILNS1_3genE10ELNS1_11target_archE1200ELNS1_3gpuE4ELNS1_3repE0EEENS1_30default_config_static_selectorELNS0_4arch9wavefront6targetE1EEEvSK_
	.p2align	8
	.type	_ZN7rocprim17ROCPRIM_400000_NS6detail17trampoline_kernelINS0_14default_configENS1_36segmented_radix_sort_config_selectorIdlEEZNS1_25segmented_radix_sort_implIS3_Lb1EPKdPdPKlPlN2at6native12_GLOBAL__N_18offset_tEEE10hipError_tPvRmT1_PNSt15iterator_traitsISK_E10value_typeET2_T3_PNSL_ISQ_E10value_typeET4_jRbjT5_SW_jjP12ihipStream_tbEUlT_E2_NS1_11comp_targetILNS1_3genE10ELNS1_11target_archE1200ELNS1_3gpuE4ELNS1_3repE0EEENS1_30default_config_static_selectorELNS0_4arch9wavefront6targetE1EEEvSK_,@function
_ZN7rocprim17ROCPRIM_400000_NS6detail17trampoline_kernelINS0_14default_configENS1_36segmented_radix_sort_config_selectorIdlEEZNS1_25segmented_radix_sort_implIS3_Lb1EPKdPdPKlPlN2at6native12_GLOBAL__N_18offset_tEEE10hipError_tPvRmT1_PNSt15iterator_traitsISK_E10value_typeET2_T3_PNSL_ISQ_E10value_typeET4_jRbjT5_SW_jjP12ihipStream_tbEUlT_E2_NS1_11comp_targetILNS1_3genE10ELNS1_11target_archE1200ELNS1_3gpuE4ELNS1_3repE0EEENS1_30default_config_static_selectorELNS0_4arch9wavefront6targetE1EEEvSK_: ; @_ZN7rocprim17ROCPRIM_400000_NS6detail17trampoline_kernelINS0_14default_configENS1_36segmented_radix_sort_config_selectorIdlEEZNS1_25segmented_radix_sort_implIS3_Lb1EPKdPdPKlPlN2at6native12_GLOBAL__N_18offset_tEEE10hipError_tPvRmT1_PNSt15iterator_traitsISK_E10value_typeET2_T3_PNSL_ISQ_E10value_typeET4_jRbjT5_SW_jjP12ihipStream_tbEUlT_E2_NS1_11comp_targetILNS1_3genE10ELNS1_11target_archE1200ELNS1_3gpuE4ELNS1_3repE0EEENS1_30default_config_static_selectorELNS0_4arch9wavefront6targetE1EEEvSK_
; %bb.0:
	.section	.rodata,"a",@progbits
	.p2align	6, 0x0
	.amdhsa_kernel _ZN7rocprim17ROCPRIM_400000_NS6detail17trampoline_kernelINS0_14default_configENS1_36segmented_radix_sort_config_selectorIdlEEZNS1_25segmented_radix_sort_implIS3_Lb1EPKdPdPKlPlN2at6native12_GLOBAL__N_18offset_tEEE10hipError_tPvRmT1_PNSt15iterator_traitsISK_E10value_typeET2_T3_PNSL_ISQ_E10value_typeET4_jRbjT5_SW_jjP12ihipStream_tbEUlT_E2_NS1_11comp_targetILNS1_3genE10ELNS1_11target_archE1200ELNS1_3gpuE4ELNS1_3repE0EEENS1_30default_config_static_selectorELNS0_4arch9wavefront6targetE1EEEvSK_
		.amdhsa_group_segment_fixed_size 0
		.amdhsa_private_segment_fixed_size 0
		.amdhsa_kernarg_size 80
		.amdhsa_user_sgpr_count 6
		.amdhsa_user_sgpr_private_segment_buffer 1
		.amdhsa_user_sgpr_dispatch_ptr 0
		.amdhsa_user_sgpr_queue_ptr 0
		.amdhsa_user_sgpr_kernarg_segment_ptr 1
		.amdhsa_user_sgpr_dispatch_id 0
		.amdhsa_user_sgpr_flat_scratch_init 0
		.amdhsa_user_sgpr_kernarg_preload_length 0
		.amdhsa_user_sgpr_kernarg_preload_offset 0
		.amdhsa_user_sgpr_private_segment_size 0
		.amdhsa_uses_dynamic_stack 0
		.amdhsa_system_sgpr_private_segment_wavefront_offset 0
		.amdhsa_system_sgpr_workgroup_id_x 1
		.amdhsa_system_sgpr_workgroup_id_y 0
		.amdhsa_system_sgpr_workgroup_id_z 0
		.amdhsa_system_sgpr_workgroup_info 0
		.amdhsa_system_vgpr_workitem_id 0
		.amdhsa_next_free_vgpr 1
		.amdhsa_next_free_sgpr 0
		.amdhsa_accum_offset 4
		.amdhsa_reserve_vcc 0
		.amdhsa_reserve_flat_scratch 0
		.amdhsa_float_round_mode_32 0
		.amdhsa_float_round_mode_16_64 0
		.amdhsa_float_denorm_mode_32 3
		.amdhsa_float_denorm_mode_16_64 3
		.amdhsa_dx10_clamp 1
		.amdhsa_ieee_mode 1
		.amdhsa_fp16_overflow 0
		.amdhsa_tg_split 0
		.amdhsa_exception_fp_ieee_invalid_op 0
		.amdhsa_exception_fp_denorm_src 0
		.amdhsa_exception_fp_ieee_div_zero 0
		.amdhsa_exception_fp_ieee_overflow 0
		.amdhsa_exception_fp_ieee_underflow 0
		.amdhsa_exception_fp_ieee_inexact 0
		.amdhsa_exception_int_div_zero 0
	.end_amdhsa_kernel
	.section	.text._ZN7rocprim17ROCPRIM_400000_NS6detail17trampoline_kernelINS0_14default_configENS1_36segmented_radix_sort_config_selectorIdlEEZNS1_25segmented_radix_sort_implIS3_Lb1EPKdPdPKlPlN2at6native12_GLOBAL__N_18offset_tEEE10hipError_tPvRmT1_PNSt15iterator_traitsISK_E10value_typeET2_T3_PNSL_ISQ_E10value_typeET4_jRbjT5_SW_jjP12ihipStream_tbEUlT_E2_NS1_11comp_targetILNS1_3genE10ELNS1_11target_archE1200ELNS1_3gpuE4ELNS1_3repE0EEENS1_30default_config_static_selectorELNS0_4arch9wavefront6targetE1EEEvSK_,"axG",@progbits,_ZN7rocprim17ROCPRIM_400000_NS6detail17trampoline_kernelINS0_14default_configENS1_36segmented_radix_sort_config_selectorIdlEEZNS1_25segmented_radix_sort_implIS3_Lb1EPKdPdPKlPlN2at6native12_GLOBAL__N_18offset_tEEE10hipError_tPvRmT1_PNSt15iterator_traitsISK_E10value_typeET2_T3_PNSL_ISQ_E10value_typeET4_jRbjT5_SW_jjP12ihipStream_tbEUlT_E2_NS1_11comp_targetILNS1_3genE10ELNS1_11target_archE1200ELNS1_3gpuE4ELNS1_3repE0EEENS1_30default_config_static_selectorELNS0_4arch9wavefront6targetE1EEEvSK_,comdat
.Lfunc_end1152:
	.size	_ZN7rocprim17ROCPRIM_400000_NS6detail17trampoline_kernelINS0_14default_configENS1_36segmented_radix_sort_config_selectorIdlEEZNS1_25segmented_radix_sort_implIS3_Lb1EPKdPdPKlPlN2at6native12_GLOBAL__N_18offset_tEEE10hipError_tPvRmT1_PNSt15iterator_traitsISK_E10value_typeET2_T3_PNSL_ISQ_E10value_typeET4_jRbjT5_SW_jjP12ihipStream_tbEUlT_E2_NS1_11comp_targetILNS1_3genE10ELNS1_11target_archE1200ELNS1_3gpuE4ELNS1_3repE0EEENS1_30default_config_static_selectorELNS0_4arch9wavefront6targetE1EEEvSK_, .Lfunc_end1152-_ZN7rocprim17ROCPRIM_400000_NS6detail17trampoline_kernelINS0_14default_configENS1_36segmented_radix_sort_config_selectorIdlEEZNS1_25segmented_radix_sort_implIS3_Lb1EPKdPdPKlPlN2at6native12_GLOBAL__N_18offset_tEEE10hipError_tPvRmT1_PNSt15iterator_traitsISK_E10value_typeET2_T3_PNSL_ISQ_E10value_typeET4_jRbjT5_SW_jjP12ihipStream_tbEUlT_E2_NS1_11comp_targetILNS1_3genE10ELNS1_11target_archE1200ELNS1_3gpuE4ELNS1_3repE0EEENS1_30default_config_static_selectorELNS0_4arch9wavefront6targetE1EEEvSK_
                                        ; -- End function
	.section	.AMDGPU.csdata,"",@progbits
; Kernel info:
; codeLenInByte = 0
; NumSgprs: 4
; NumVgprs: 0
; NumAgprs: 0
; TotalNumVgprs: 0
; ScratchSize: 0
; MemoryBound: 0
; FloatMode: 240
; IeeeMode: 1
; LDSByteSize: 0 bytes/workgroup (compile time only)
; SGPRBlocks: 0
; VGPRBlocks: 0
; NumSGPRsForWavesPerEU: 4
; NumVGPRsForWavesPerEU: 1
; AccumOffset: 4
; Occupancy: 8
; WaveLimiterHint : 0
; COMPUTE_PGM_RSRC2:SCRATCH_EN: 0
; COMPUTE_PGM_RSRC2:USER_SGPR: 6
; COMPUTE_PGM_RSRC2:TRAP_HANDLER: 0
; COMPUTE_PGM_RSRC2:TGID_X_EN: 1
; COMPUTE_PGM_RSRC2:TGID_Y_EN: 0
; COMPUTE_PGM_RSRC2:TGID_Z_EN: 0
; COMPUTE_PGM_RSRC2:TIDIG_COMP_CNT: 0
; COMPUTE_PGM_RSRC3_GFX90A:ACCUM_OFFSET: 0
; COMPUTE_PGM_RSRC3_GFX90A:TG_SPLIT: 0
	.section	.text._ZN7rocprim17ROCPRIM_400000_NS6detail17trampoline_kernelINS0_14default_configENS1_36segmented_radix_sort_config_selectorIdlEEZNS1_25segmented_radix_sort_implIS3_Lb1EPKdPdPKlPlN2at6native12_GLOBAL__N_18offset_tEEE10hipError_tPvRmT1_PNSt15iterator_traitsISK_E10value_typeET2_T3_PNSL_ISQ_E10value_typeET4_jRbjT5_SW_jjP12ihipStream_tbEUlT_E2_NS1_11comp_targetILNS1_3genE9ELNS1_11target_archE1100ELNS1_3gpuE3ELNS1_3repE0EEENS1_30default_config_static_selectorELNS0_4arch9wavefront6targetE1EEEvSK_,"axG",@progbits,_ZN7rocprim17ROCPRIM_400000_NS6detail17trampoline_kernelINS0_14default_configENS1_36segmented_radix_sort_config_selectorIdlEEZNS1_25segmented_radix_sort_implIS3_Lb1EPKdPdPKlPlN2at6native12_GLOBAL__N_18offset_tEEE10hipError_tPvRmT1_PNSt15iterator_traitsISK_E10value_typeET2_T3_PNSL_ISQ_E10value_typeET4_jRbjT5_SW_jjP12ihipStream_tbEUlT_E2_NS1_11comp_targetILNS1_3genE9ELNS1_11target_archE1100ELNS1_3gpuE3ELNS1_3repE0EEENS1_30default_config_static_selectorELNS0_4arch9wavefront6targetE1EEEvSK_,comdat
	.globl	_ZN7rocprim17ROCPRIM_400000_NS6detail17trampoline_kernelINS0_14default_configENS1_36segmented_radix_sort_config_selectorIdlEEZNS1_25segmented_radix_sort_implIS3_Lb1EPKdPdPKlPlN2at6native12_GLOBAL__N_18offset_tEEE10hipError_tPvRmT1_PNSt15iterator_traitsISK_E10value_typeET2_T3_PNSL_ISQ_E10value_typeET4_jRbjT5_SW_jjP12ihipStream_tbEUlT_E2_NS1_11comp_targetILNS1_3genE9ELNS1_11target_archE1100ELNS1_3gpuE3ELNS1_3repE0EEENS1_30default_config_static_selectorELNS0_4arch9wavefront6targetE1EEEvSK_ ; -- Begin function _ZN7rocprim17ROCPRIM_400000_NS6detail17trampoline_kernelINS0_14default_configENS1_36segmented_radix_sort_config_selectorIdlEEZNS1_25segmented_radix_sort_implIS3_Lb1EPKdPdPKlPlN2at6native12_GLOBAL__N_18offset_tEEE10hipError_tPvRmT1_PNSt15iterator_traitsISK_E10value_typeET2_T3_PNSL_ISQ_E10value_typeET4_jRbjT5_SW_jjP12ihipStream_tbEUlT_E2_NS1_11comp_targetILNS1_3genE9ELNS1_11target_archE1100ELNS1_3gpuE3ELNS1_3repE0EEENS1_30default_config_static_selectorELNS0_4arch9wavefront6targetE1EEEvSK_
	.p2align	8
	.type	_ZN7rocprim17ROCPRIM_400000_NS6detail17trampoline_kernelINS0_14default_configENS1_36segmented_radix_sort_config_selectorIdlEEZNS1_25segmented_radix_sort_implIS3_Lb1EPKdPdPKlPlN2at6native12_GLOBAL__N_18offset_tEEE10hipError_tPvRmT1_PNSt15iterator_traitsISK_E10value_typeET2_T3_PNSL_ISQ_E10value_typeET4_jRbjT5_SW_jjP12ihipStream_tbEUlT_E2_NS1_11comp_targetILNS1_3genE9ELNS1_11target_archE1100ELNS1_3gpuE3ELNS1_3repE0EEENS1_30default_config_static_selectorELNS0_4arch9wavefront6targetE1EEEvSK_,@function
_ZN7rocprim17ROCPRIM_400000_NS6detail17trampoline_kernelINS0_14default_configENS1_36segmented_radix_sort_config_selectorIdlEEZNS1_25segmented_radix_sort_implIS3_Lb1EPKdPdPKlPlN2at6native12_GLOBAL__N_18offset_tEEE10hipError_tPvRmT1_PNSt15iterator_traitsISK_E10value_typeET2_T3_PNSL_ISQ_E10value_typeET4_jRbjT5_SW_jjP12ihipStream_tbEUlT_E2_NS1_11comp_targetILNS1_3genE9ELNS1_11target_archE1100ELNS1_3gpuE3ELNS1_3repE0EEENS1_30default_config_static_selectorELNS0_4arch9wavefront6targetE1EEEvSK_: ; @_ZN7rocprim17ROCPRIM_400000_NS6detail17trampoline_kernelINS0_14default_configENS1_36segmented_radix_sort_config_selectorIdlEEZNS1_25segmented_radix_sort_implIS3_Lb1EPKdPdPKlPlN2at6native12_GLOBAL__N_18offset_tEEE10hipError_tPvRmT1_PNSt15iterator_traitsISK_E10value_typeET2_T3_PNSL_ISQ_E10value_typeET4_jRbjT5_SW_jjP12ihipStream_tbEUlT_E2_NS1_11comp_targetILNS1_3genE9ELNS1_11target_archE1100ELNS1_3gpuE3ELNS1_3repE0EEENS1_30default_config_static_selectorELNS0_4arch9wavefront6targetE1EEEvSK_
; %bb.0:
	.section	.rodata,"a",@progbits
	.p2align	6, 0x0
	.amdhsa_kernel _ZN7rocprim17ROCPRIM_400000_NS6detail17trampoline_kernelINS0_14default_configENS1_36segmented_radix_sort_config_selectorIdlEEZNS1_25segmented_radix_sort_implIS3_Lb1EPKdPdPKlPlN2at6native12_GLOBAL__N_18offset_tEEE10hipError_tPvRmT1_PNSt15iterator_traitsISK_E10value_typeET2_T3_PNSL_ISQ_E10value_typeET4_jRbjT5_SW_jjP12ihipStream_tbEUlT_E2_NS1_11comp_targetILNS1_3genE9ELNS1_11target_archE1100ELNS1_3gpuE3ELNS1_3repE0EEENS1_30default_config_static_selectorELNS0_4arch9wavefront6targetE1EEEvSK_
		.amdhsa_group_segment_fixed_size 0
		.amdhsa_private_segment_fixed_size 0
		.amdhsa_kernarg_size 80
		.amdhsa_user_sgpr_count 6
		.amdhsa_user_sgpr_private_segment_buffer 1
		.amdhsa_user_sgpr_dispatch_ptr 0
		.amdhsa_user_sgpr_queue_ptr 0
		.amdhsa_user_sgpr_kernarg_segment_ptr 1
		.amdhsa_user_sgpr_dispatch_id 0
		.amdhsa_user_sgpr_flat_scratch_init 0
		.amdhsa_user_sgpr_kernarg_preload_length 0
		.amdhsa_user_sgpr_kernarg_preload_offset 0
		.amdhsa_user_sgpr_private_segment_size 0
		.amdhsa_uses_dynamic_stack 0
		.amdhsa_system_sgpr_private_segment_wavefront_offset 0
		.amdhsa_system_sgpr_workgroup_id_x 1
		.amdhsa_system_sgpr_workgroup_id_y 0
		.amdhsa_system_sgpr_workgroup_id_z 0
		.amdhsa_system_sgpr_workgroup_info 0
		.amdhsa_system_vgpr_workitem_id 0
		.amdhsa_next_free_vgpr 1
		.amdhsa_next_free_sgpr 0
		.amdhsa_accum_offset 4
		.amdhsa_reserve_vcc 0
		.amdhsa_reserve_flat_scratch 0
		.amdhsa_float_round_mode_32 0
		.amdhsa_float_round_mode_16_64 0
		.amdhsa_float_denorm_mode_32 3
		.amdhsa_float_denorm_mode_16_64 3
		.amdhsa_dx10_clamp 1
		.amdhsa_ieee_mode 1
		.amdhsa_fp16_overflow 0
		.amdhsa_tg_split 0
		.amdhsa_exception_fp_ieee_invalid_op 0
		.amdhsa_exception_fp_denorm_src 0
		.amdhsa_exception_fp_ieee_div_zero 0
		.amdhsa_exception_fp_ieee_overflow 0
		.amdhsa_exception_fp_ieee_underflow 0
		.amdhsa_exception_fp_ieee_inexact 0
		.amdhsa_exception_int_div_zero 0
	.end_amdhsa_kernel
	.section	.text._ZN7rocprim17ROCPRIM_400000_NS6detail17trampoline_kernelINS0_14default_configENS1_36segmented_radix_sort_config_selectorIdlEEZNS1_25segmented_radix_sort_implIS3_Lb1EPKdPdPKlPlN2at6native12_GLOBAL__N_18offset_tEEE10hipError_tPvRmT1_PNSt15iterator_traitsISK_E10value_typeET2_T3_PNSL_ISQ_E10value_typeET4_jRbjT5_SW_jjP12ihipStream_tbEUlT_E2_NS1_11comp_targetILNS1_3genE9ELNS1_11target_archE1100ELNS1_3gpuE3ELNS1_3repE0EEENS1_30default_config_static_selectorELNS0_4arch9wavefront6targetE1EEEvSK_,"axG",@progbits,_ZN7rocprim17ROCPRIM_400000_NS6detail17trampoline_kernelINS0_14default_configENS1_36segmented_radix_sort_config_selectorIdlEEZNS1_25segmented_radix_sort_implIS3_Lb1EPKdPdPKlPlN2at6native12_GLOBAL__N_18offset_tEEE10hipError_tPvRmT1_PNSt15iterator_traitsISK_E10value_typeET2_T3_PNSL_ISQ_E10value_typeET4_jRbjT5_SW_jjP12ihipStream_tbEUlT_E2_NS1_11comp_targetILNS1_3genE9ELNS1_11target_archE1100ELNS1_3gpuE3ELNS1_3repE0EEENS1_30default_config_static_selectorELNS0_4arch9wavefront6targetE1EEEvSK_,comdat
.Lfunc_end1153:
	.size	_ZN7rocprim17ROCPRIM_400000_NS6detail17trampoline_kernelINS0_14default_configENS1_36segmented_radix_sort_config_selectorIdlEEZNS1_25segmented_radix_sort_implIS3_Lb1EPKdPdPKlPlN2at6native12_GLOBAL__N_18offset_tEEE10hipError_tPvRmT1_PNSt15iterator_traitsISK_E10value_typeET2_T3_PNSL_ISQ_E10value_typeET4_jRbjT5_SW_jjP12ihipStream_tbEUlT_E2_NS1_11comp_targetILNS1_3genE9ELNS1_11target_archE1100ELNS1_3gpuE3ELNS1_3repE0EEENS1_30default_config_static_selectorELNS0_4arch9wavefront6targetE1EEEvSK_, .Lfunc_end1153-_ZN7rocprim17ROCPRIM_400000_NS6detail17trampoline_kernelINS0_14default_configENS1_36segmented_radix_sort_config_selectorIdlEEZNS1_25segmented_radix_sort_implIS3_Lb1EPKdPdPKlPlN2at6native12_GLOBAL__N_18offset_tEEE10hipError_tPvRmT1_PNSt15iterator_traitsISK_E10value_typeET2_T3_PNSL_ISQ_E10value_typeET4_jRbjT5_SW_jjP12ihipStream_tbEUlT_E2_NS1_11comp_targetILNS1_3genE9ELNS1_11target_archE1100ELNS1_3gpuE3ELNS1_3repE0EEENS1_30default_config_static_selectorELNS0_4arch9wavefront6targetE1EEEvSK_
                                        ; -- End function
	.section	.AMDGPU.csdata,"",@progbits
; Kernel info:
; codeLenInByte = 0
; NumSgprs: 4
; NumVgprs: 0
; NumAgprs: 0
; TotalNumVgprs: 0
; ScratchSize: 0
; MemoryBound: 0
; FloatMode: 240
; IeeeMode: 1
; LDSByteSize: 0 bytes/workgroup (compile time only)
; SGPRBlocks: 0
; VGPRBlocks: 0
; NumSGPRsForWavesPerEU: 4
; NumVGPRsForWavesPerEU: 1
; AccumOffset: 4
; Occupancy: 8
; WaveLimiterHint : 0
; COMPUTE_PGM_RSRC2:SCRATCH_EN: 0
; COMPUTE_PGM_RSRC2:USER_SGPR: 6
; COMPUTE_PGM_RSRC2:TRAP_HANDLER: 0
; COMPUTE_PGM_RSRC2:TGID_X_EN: 1
; COMPUTE_PGM_RSRC2:TGID_Y_EN: 0
; COMPUTE_PGM_RSRC2:TGID_Z_EN: 0
; COMPUTE_PGM_RSRC2:TIDIG_COMP_CNT: 0
; COMPUTE_PGM_RSRC3_GFX90A:ACCUM_OFFSET: 0
; COMPUTE_PGM_RSRC3_GFX90A:TG_SPLIT: 0
	.section	.text._ZN7rocprim17ROCPRIM_400000_NS6detail17trampoline_kernelINS0_14default_configENS1_36segmented_radix_sort_config_selectorIdlEEZNS1_25segmented_radix_sort_implIS3_Lb1EPKdPdPKlPlN2at6native12_GLOBAL__N_18offset_tEEE10hipError_tPvRmT1_PNSt15iterator_traitsISK_E10value_typeET2_T3_PNSL_ISQ_E10value_typeET4_jRbjT5_SW_jjP12ihipStream_tbEUlT_E2_NS1_11comp_targetILNS1_3genE8ELNS1_11target_archE1030ELNS1_3gpuE2ELNS1_3repE0EEENS1_30default_config_static_selectorELNS0_4arch9wavefront6targetE1EEEvSK_,"axG",@progbits,_ZN7rocprim17ROCPRIM_400000_NS6detail17trampoline_kernelINS0_14default_configENS1_36segmented_radix_sort_config_selectorIdlEEZNS1_25segmented_radix_sort_implIS3_Lb1EPKdPdPKlPlN2at6native12_GLOBAL__N_18offset_tEEE10hipError_tPvRmT1_PNSt15iterator_traitsISK_E10value_typeET2_T3_PNSL_ISQ_E10value_typeET4_jRbjT5_SW_jjP12ihipStream_tbEUlT_E2_NS1_11comp_targetILNS1_3genE8ELNS1_11target_archE1030ELNS1_3gpuE2ELNS1_3repE0EEENS1_30default_config_static_selectorELNS0_4arch9wavefront6targetE1EEEvSK_,comdat
	.globl	_ZN7rocprim17ROCPRIM_400000_NS6detail17trampoline_kernelINS0_14default_configENS1_36segmented_radix_sort_config_selectorIdlEEZNS1_25segmented_radix_sort_implIS3_Lb1EPKdPdPKlPlN2at6native12_GLOBAL__N_18offset_tEEE10hipError_tPvRmT1_PNSt15iterator_traitsISK_E10value_typeET2_T3_PNSL_ISQ_E10value_typeET4_jRbjT5_SW_jjP12ihipStream_tbEUlT_E2_NS1_11comp_targetILNS1_3genE8ELNS1_11target_archE1030ELNS1_3gpuE2ELNS1_3repE0EEENS1_30default_config_static_selectorELNS0_4arch9wavefront6targetE1EEEvSK_ ; -- Begin function _ZN7rocprim17ROCPRIM_400000_NS6detail17trampoline_kernelINS0_14default_configENS1_36segmented_radix_sort_config_selectorIdlEEZNS1_25segmented_radix_sort_implIS3_Lb1EPKdPdPKlPlN2at6native12_GLOBAL__N_18offset_tEEE10hipError_tPvRmT1_PNSt15iterator_traitsISK_E10value_typeET2_T3_PNSL_ISQ_E10value_typeET4_jRbjT5_SW_jjP12ihipStream_tbEUlT_E2_NS1_11comp_targetILNS1_3genE8ELNS1_11target_archE1030ELNS1_3gpuE2ELNS1_3repE0EEENS1_30default_config_static_selectorELNS0_4arch9wavefront6targetE1EEEvSK_
	.p2align	8
	.type	_ZN7rocprim17ROCPRIM_400000_NS6detail17trampoline_kernelINS0_14default_configENS1_36segmented_radix_sort_config_selectorIdlEEZNS1_25segmented_radix_sort_implIS3_Lb1EPKdPdPKlPlN2at6native12_GLOBAL__N_18offset_tEEE10hipError_tPvRmT1_PNSt15iterator_traitsISK_E10value_typeET2_T3_PNSL_ISQ_E10value_typeET4_jRbjT5_SW_jjP12ihipStream_tbEUlT_E2_NS1_11comp_targetILNS1_3genE8ELNS1_11target_archE1030ELNS1_3gpuE2ELNS1_3repE0EEENS1_30default_config_static_selectorELNS0_4arch9wavefront6targetE1EEEvSK_,@function
_ZN7rocprim17ROCPRIM_400000_NS6detail17trampoline_kernelINS0_14default_configENS1_36segmented_radix_sort_config_selectorIdlEEZNS1_25segmented_radix_sort_implIS3_Lb1EPKdPdPKlPlN2at6native12_GLOBAL__N_18offset_tEEE10hipError_tPvRmT1_PNSt15iterator_traitsISK_E10value_typeET2_T3_PNSL_ISQ_E10value_typeET4_jRbjT5_SW_jjP12ihipStream_tbEUlT_E2_NS1_11comp_targetILNS1_3genE8ELNS1_11target_archE1030ELNS1_3gpuE2ELNS1_3repE0EEENS1_30default_config_static_selectorELNS0_4arch9wavefront6targetE1EEEvSK_: ; @_ZN7rocprim17ROCPRIM_400000_NS6detail17trampoline_kernelINS0_14default_configENS1_36segmented_radix_sort_config_selectorIdlEEZNS1_25segmented_radix_sort_implIS3_Lb1EPKdPdPKlPlN2at6native12_GLOBAL__N_18offset_tEEE10hipError_tPvRmT1_PNSt15iterator_traitsISK_E10value_typeET2_T3_PNSL_ISQ_E10value_typeET4_jRbjT5_SW_jjP12ihipStream_tbEUlT_E2_NS1_11comp_targetILNS1_3genE8ELNS1_11target_archE1030ELNS1_3gpuE2ELNS1_3repE0EEENS1_30default_config_static_selectorELNS0_4arch9wavefront6targetE1EEEvSK_
; %bb.0:
	.section	.rodata,"a",@progbits
	.p2align	6, 0x0
	.amdhsa_kernel _ZN7rocprim17ROCPRIM_400000_NS6detail17trampoline_kernelINS0_14default_configENS1_36segmented_radix_sort_config_selectorIdlEEZNS1_25segmented_radix_sort_implIS3_Lb1EPKdPdPKlPlN2at6native12_GLOBAL__N_18offset_tEEE10hipError_tPvRmT1_PNSt15iterator_traitsISK_E10value_typeET2_T3_PNSL_ISQ_E10value_typeET4_jRbjT5_SW_jjP12ihipStream_tbEUlT_E2_NS1_11comp_targetILNS1_3genE8ELNS1_11target_archE1030ELNS1_3gpuE2ELNS1_3repE0EEENS1_30default_config_static_selectorELNS0_4arch9wavefront6targetE1EEEvSK_
		.amdhsa_group_segment_fixed_size 0
		.amdhsa_private_segment_fixed_size 0
		.amdhsa_kernarg_size 80
		.amdhsa_user_sgpr_count 6
		.amdhsa_user_sgpr_private_segment_buffer 1
		.amdhsa_user_sgpr_dispatch_ptr 0
		.amdhsa_user_sgpr_queue_ptr 0
		.amdhsa_user_sgpr_kernarg_segment_ptr 1
		.amdhsa_user_sgpr_dispatch_id 0
		.amdhsa_user_sgpr_flat_scratch_init 0
		.amdhsa_user_sgpr_kernarg_preload_length 0
		.amdhsa_user_sgpr_kernarg_preload_offset 0
		.amdhsa_user_sgpr_private_segment_size 0
		.amdhsa_uses_dynamic_stack 0
		.amdhsa_system_sgpr_private_segment_wavefront_offset 0
		.amdhsa_system_sgpr_workgroup_id_x 1
		.amdhsa_system_sgpr_workgroup_id_y 0
		.amdhsa_system_sgpr_workgroup_id_z 0
		.amdhsa_system_sgpr_workgroup_info 0
		.amdhsa_system_vgpr_workitem_id 0
		.amdhsa_next_free_vgpr 1
		.amdhsa_next_free_sgpr 0
		.amdhsa_accum_offset 4
		.amdhsa_reserve_vcc 0
		.amdhsa_reserve_flat_scratch 0
		.amdhsa_float_round_mode_32 0
		.amdhsa_float_round_mode_16_64 0
		.amdhsa_float_denorm_mode_32 3
		.amdhsa_float_denorm_mode_16_64 3
		.amdhsa_dx10_clamp 1
		.amdhsa_ieee_mode 1
		.amdhsa_fp16_overflow 0
		.amdhsa_tg_split 0
		.amdhsa_exception_fp_ieee_invalid_op 0
		.amdhsa_exception_fp_denorm_src 0
		.amdhsa_exception_fp_ieee_div_zero 0
		.amdhsa_exception_fp_ieee_overflow 0
		.amdhsa_exception_fp_ieee_underflow 0
		.amdhsa_exception_fp_ieee_inexact 0
		.amdhsa_exception_int_div_zero 0
	.end_amdhsa_kernel
	.section	.text._ZN7rocprim17ROCPRIM_400000_NS6detail17trampoline_kernelINS0_14default_configENS1_36segmented_radix_sort_config_selectorIdlEEZNS1_25segmented_radix_sort_implIS3_Lb1EPKdPdPKlPlN2at6native12_GLOBAL__N_18offset_tEEE10hipError_tPvRmT1_PNSt15iterator_traitsISK_E10value_typeET2_T3_PNSL_ISQ_E10value_typeET4_jRbjT5_SW_jjP12ihipStream_tbEUlT_E2_NS1_11comp_targetILNS1_3genE8ELNS1_11target_archE1030ELNS1_3gpuE2ELNS1_3repE0EEENS1_30default_config_static_selectorELNS0_4arch9wavefront6targetE1EEEvSK_,"axG",@progbits,_ZN7rocprim17ROCPRIM_400000_NS6detail17trampoline_kernelINS0_14default_configENS1_36segmented_radix_sort_config_selectorIdlEEZNS1_25segmented_radix_sort_implIS3_Lb1EPKdPdPKlPlN2at6native12_GLOBAL__N_18offset_tEEE10hipError_tPvRmT1_PNSt15iterator_traitsISK_E10value_typeET2_T3_PNSL_ISQ_E10value_typeET4_jRbjT5_SW_jjP12ihipStream_tbEUlT_E2_NS1_11comp_targetILNS1_3genE8ELNS1_11target_archE1030ELNS1_3gpuE2ELNS1_3repE0EEENS1_30default_config_static_selectorELNS0_4arch9wavefront6targetE1EEEvSK_,comdat
.Lfunc_end1154:
	.size	_ZN7rocprim17ROCPRIM_400000_NS6detail17trampoline_kernelINS0_14default_configENS1_36segmented_radix_sort_config_selectorIdlEEZNS1_25segmented_radix_sort_implIS3_Lb1EPKdPdPKlPlN2at6native12_GLOBAL__N_18offset_tEEE10hipError_tPvRmT1_PNSt15iterator_traitsISK_E10value_typeET2_T3_PNSL_ISQ_E10value_typeET4_jRbjT5_SW_jjP12ihipStream_tbEUlT_E2_NS1_11comp_targetILNS1_3genE8ELNS1_11target_archE1030ELNS1_3gpuE2ELNS1_3repE0EEENS1_30default_config_static_selectorELNS0_4arch9wavefront6targetE1EEEvSK_, .Lfunc_end1154-_ZN7rocprim17ROCPRIM_400000_NS6detail17trampoline_kernelINS0_14default_configENS1_36segmented_radix_sort_config_selectorIdlEEZNS1_25segmented_radix_sort_implIS3_Lb1EPKdPdPKlPlN2at6native12_GLOBAL__N_18offset_tEEE10hipError_tPvRmT1_PNSt15iterator_traitsISK_E10value_typeET2_T3_PNSL_ISQ_E10value_typeET4_jRbjT5_SW_jjP12ihipStream_tbEUlT_E2_NS1_11comp_targetILNS1_3genE8ELNS1_11target_archE1030ELNS1_3gpuE2ELNS1_3repE0EEENS1_30default_config_static_selectorELNS0_4arch9wavefront6targetE1EEEvSK_
                                        ; -- End function
	.section	.AMDGPU.csdata,"",@progbits
; Kernel info:
; codeLenInByte = 0
; NumSgprs: 4
; NumVgprs: 0
; NumAgprs: 0
; TotalNumVgprs: 0
; ScratchSize: 0
; MemoryBound: 0
; FloatMode: 240
; IeeeMode: 1
; LDSByteSize: 0 bytes/workgroup (compile time only)
; SGPRBlocks: 0
; VGPRBlocks: 0
; NumSGPRsForWavesPerEU: 4
; NumVGPRsForWavesPerEU: 1
; AccumOffset: 4
; Occupancy: 8
; WaveLimiterHint : 0
; COMPUTE_PGM_RSRC2:SCRATCH_EN: 0
; COMPUTE_PGM_RSRC2:USER_SGPR: 6
; COMPUTE_PGM_RSRC2:TRAP_HANDLER: 0
; COMPUTE_PGM_RSRC2:TGID_X_EN: 1
; COMPUTE_PGM_RSRC2:TGID_Y_EN: 0
; COMPUTE_PGM_RSRC2:TGID_Z_EN: 0
; COMPUTE_PGM_RSRC2:TIDIG_COMP_CNT: 0
; COMPUTE_PGM_RSRC3_GFX90A:ACCUM_OFFSET: 0
; COMPUTE_PGM_RSRC3_GFX90A:TG_SPLIT: 0
	.section	.text._ZN7rocprim17ROCPRIM_400000_NS6detail17trampoline_kernelINS0_13select_configILj256ELj13ELNS0_17block_load_methodE3ELS4_3ELS4_3ELNS0_20block_scan_algorithmE0ELj4294967295EEENS1_25partition_config_selectorILNS1_17partition_subalgoE4EjNS0_10empty_typeEbEEZZNS1_14partition_implILS8_4ELb0ES6_15HIP_vector_typeIjLj2EENS0_17counting_iteratorIjlEEPS9_SG_NS0_5tupleIJPjSI_NS0_16reverse_iteratorISI_EEEEENSH_IJSG_SG_SG_EEES9_SI_JZNS1_25segmented_radix_sort_implINS0_14default_configELb0EPKdPdPKlPlN2at6native12_GLOBAL__N_18offset_tEEE10hipError_tPvRmT1_PNSt15iterator_traitsIS12_E10value_typeET2_T3_PNS13_IS18_E10value_typeET4_jRbjT5_S1E_jjP12ihipStream_tbEUljE_ZNSN_ISO_Lb0ESQ_SR_ST_SU_SY_EESZ_S10_S11_S12_S16_S17_S18_S1B_S1C_jS1D_jS1E_S1E_jjS1G_bEUljE0_EEESZ_S10_S11_S18_S1C_S1E_T6_T7_T9_mT8_S1G_bDpT10_ENKUlT_T0_E_clISt17integral_constantIbLb0EES1U_EEDaS1P_S1Q_EUlS1P_E_NS1_11comp_targetILNS1_3genE0ELNS1_11target_archE4294967295ELNS1_3gpuE0ELNS1_3repE0EEENS1_30default_config_static_selectorELNS0_4arch9wavefront6targetE1EEEvS12_,"axG",@progbits,_ZN7rocprim17ROCPRIM_400000_NS6detail17trampoline_kernelINS0_13select_configILj256ELj13ELNS0_17block_load_methodE3ELS4_3ELS4_3ELNS0_20block_scan_algorithmE0ELj4294967295EEENS1_25partition_config_selectorILNS1_17partition_subalgoE4EjNS0_10empty_typeEbEEZZNS1_14partition_implILS8_4ELb0ES6_15HIP_vector_typeIjLj2EENS0_17counting_iteratorIjlEEPS9_SG_NS0_5tupleIJPjSI_NS0_16reverse_iteratorISI_EEEEENSH_IJSG_SG_SG_EEES9_SI_JZNS1_25segmented_radix_sort_implINS0_14default_configELb0EPKdPdPKlPlN2at6native12_GLOBAL__N_18offset_tEEE10hipError_tPvRmT1_PNSt15iterator_traitsIS12_E10value_typeET2_T3_PNS13_IS18_E10value_typeET4_jRbjT5_S1E_jjP12ihipStream_tbEUljE_ZNSN_ISO_Lb0ESQ_SR_ST_SU_SY_EESZ_S10_S11_S12_S16_S17_S18_S1B_S1C_jS1D_jS1E_S1E_jjS1G_bEUljE0_EEESZ_S10_S11_S18_S1C_S1E_T6_T7_T9_mT8_S1G_bDpT10_ENKUlT_T0_E_clISt17integral_constantIbLb0EES1U_EEDaS1P_S1Q_EUlS1P_E_NS1_11comp_targetILNS1_3genE0ELNS1_11target_archE4294967295ELNS1_3gpuE0ELNS1_3repE0EEENS1_30default_config_static_selectorELNS0_4arch9wavefront6targetE1EEEvS12_,comdat
	.globl	_ZN7rocprim17ROCPRIM_400000_NS6detail17trampoline_kernelINS0_13select_configILj256ELj13ELNS0_17block_load_methodE3ELS4_3ELS4_3ELNS0_20block_scan_algorithmE0ELj4294967295EEENS1_25partition_config_selectorILNS1_17partition_subalgoE4EjNS0_10empty_typeEbEEZZNS1_14partition_implILS8_4ELb0ES6_15HIP_vector_typeIjLj2EENS0_17counting_iteratorIjlEEPS9_SG_NS0_5tupleIJPjSI_NS0_16reverse_iteratorISI_EEEEENSH_IJSG_SG_SG_EEES9_SI_JZNS1_25segmented_radix_sort_implINS0_14default_configELb0EPKdPdPKlPlN2at6native12_GLOBAL__N_18offset_tEEE10hipError_tPvRmT1_PNSt15iterator_traitsIS12_E10value_typeET2_T3_PNS13_IS18_E10value_typeET4_jRbjT5_S1E_jjP12ihipStream_tbEUljE_ZNSN_ISO_Lb0ESQ_SR_ST_SU_SY_EESZ_S10_S11_S12_S16_S17_S18_S1B_S1C_jS1D_jS1E_S1E_jjS1G_bEUljE0_EEESZ_S10_S11_S18_S1C_S1E_T6_T7_T9_mT8_S1G_bDpT10_ENKUlT_T0_E_clISt17integral_constantIbLb0EES1U_EEDaS1P_S1Q_EUlS1P_E_NS1_11comp_targetILNS1_3genE0ELNS1_11target_archE4294967295ELNS1_3gpuE0ELNS1_3repE0EEENS1_30default_config_static_selectorELNS0_4arch9wavefront6targetE1EEEvS12_ ; -- Begin function _ZN7rocprim17ROCPRIM_400000_NS6detail17trampoline_kernelINS0_13select_configILj256ELj13ELNS0_17block_load_methodE3ELS4_3ELS4_3ELNS0_20block_scan_algorithmE0ELj4294967295EEENS1_25partition_config_selectorILNS1_17partition_subalgoE4EjNS0_10empty_typeEbEEZZNS1_14partition_implILS8_4ELb0ES6_15HIP_vector_typeIjLj2EENS0_17counting_iteratorIjlEEPS9_SG_NS0_5tupleIJPjSI_NS0_16reverse_iteratorISI_EEEEENSH_IJSG_SG_SG_EEES9_SI_JZNS1_25segmented_radix_sort_implINS0_14default_configELb0EPKdPdPKlPlN2at6native12_GLOBAL__N_18offset_tEEE10hipError_tPvRmT1_PNSt15iterator_traitsIS12_E10value_typeET2_T3_PNS13_IS18_E10value_typeET4_jRbjT5_S1E_jjP12ihipStream_tbEUljE_ZNSN_ISO_Lb0ESQ_SR_ST_SU_SY_EESZ_S10_S11_S12_S16_S17_S18_S1B_S1C_jS1D_jS1E_S1E_jjS1G_bEUljE0_EEESZ_S10_S11_S18_S1C_S1E_T6_T7_T9_mT8_S1G_bDpT10_ENKUlT_T0_E_clISt17integral_constantIbLb0EES1U_EEDaS1P_S1Q_EUlS1P_E_NS1_11comp_targetILNS1_3genE0ELNS1_11target_archE4294967295ELNS1_3gpuE0ELNS1_3repE0EEENS1_30default_config_static_selectorELNS0_4arch9wavefront6targetE1EEEvS12_
	.p2align	8
	.type	_ZN7rocprim17ROCPRIM_400000_NS6detail17trampoline_kernelINS0_13select_configILj256ELj13ELNS0_17block_load_methodE3ELS4_3ELS4_3ELNS0_20block_scan_algorithmE0ELj4294967295EEENS1_25partition_config_selectorILNS1_17partition_subalgoE4EjNS0_10empty_typeEbEEZZNS1_14partition_implILS8_4ELb0ES6_15HIP_vector_typeIjLj2EENS0_17counting_iteratorIjlEEPS9_SG_NS0_5tupleIJPjSI_NS0_16reverse_iteratorISI_EEEEENSH_IJSG_SG_SG_EEES9_SI_JZNS1_25segmented_radix_sort_implINS0_14default_configELb0EPKdPdPKlPlN2at6native12_GLOBAL__N_18offset_tEEE10hipError_tPvRmT1_PNSt15iterator_traitsIS12_E10value_typeET2_T3_PNS13_IS18_E10value_typeET4_jRbjT5_S1E_jjP12ihipStream_tbEUljE_ZNSN_ISO_Lb0ESQ_SR_ST_SU_SY_EESZ_S10_S11_S12_S16_S17_S18_S1B_S1C_jS1D_jS1E_S1E_jjS1G_bEUljE0_EEESZ_S10_S11_S18_S1C_S1E_T6_T7_T9_mT8_S1G_bDpT10_ENKUlT_T0_E_clISt17integral_constantIbLb0EES1U_EEDaS1P_S1Q_EUlS1P_E_NS1_11comp_targetILNS1_3genE0ELNS1_11target_archE4294967295ELNS1_3gpuE0ELNS1_3repE0EEENS1_30default_config_static_selectorELNS0_4arch9wavefront6targetE1EEEvS12_,@function
_ZN7rocprim17ROCPRIM_400000_NS6detail17trampoline_kernelINS0_13select_configILj256ELj13ELNS0_17block_load_methodE3ELS4_3ELS4_3ELNS0_20block_scan_algorithmE0ELj4294967295EEENS1_25partition_config_selectorILNS1_17partition_subalgoE4EjNS0_10empty_typeEbEEZZNS1_14partition_implILS8_4ELb0ES6_15HIP_vector_typeIjLj2EENS0_17counting_iteratorIjlEEPS9_SG_NS0_5tupleIJPjSI_NS0_16reverse_iteratorISI_EEEEENSH_IJSG_SG_SG_EEES9_SI_JZNS1_25segmented_radix_sort_implINS0_14default_configELb0EPKdPdPKlPlN2at6native12_GLOBAL__N_18offset_tEEE10hipError_tPvRmT1_PNSt15iterator_traitsIS12_E10value_typeET2_T3_PNS13_IS18_E10value_typeET4_jRbjT5_S1E_jjP12ihipStream_tbEUljE_ZNSN_ISO_Lb0ESQ_SR_ST_SU_SY_EESZ_S10_S11_S12_S16_S17_S18_S1B_S1C_jS1D_jS1E_S1E_jjS1G_bEUljE0_EEESZ_S10_S11_S18_S1C_S1E_T6_T7_T9_mT8_S1G_bDpT10_ENKUlT_T0_E_clISt17integral_constantIbLb0EES1U_EEDaS1P_S1Q_EUlS1P_E_NS1_11comp_targetILNS1_3genE0ELNS1_11target_archE4294967295ELNS1_3gpuE0ELNS1_3repE0EEENS1_30default_config_static_selectorELNS0_4arch9wavefront6targetE1EEEvS12_: ; @_ZN7rocprim17ROCPRIM_400000_NS6detail17trampoline_kernelINS0_13select_configILj256ELj13ELNS0_17block_load_methodE3ELS4_3ELS4_3ELNS0_20block_scan_algorithmE0ELj4294967295EEENS1_25partition_config_selectorILNS1_17partition_subalgoE4EjNS0_10empty_typeEbEEZZNS1_14partition_implILS8_4ELb0ES6_15HIP_vector_typeIjLj2EENS0_17counting_iteratorIjlEEPS9_SG_NS0_5tupleIJPjSI_NS0_16reverse_iteratorISI_EEEEENSH_IJSG_SG_SG_EEES9_SI_JZNS1_25segmented_radix_sort_implINS0_14default_configELb0EPKdPdPKlPlN2at6native12_GLOBAL__N_18offset_tEEE10hipError_tPvRmT1_PNSt15iterator_traitsIS12_E10value_typeET2_T3_PNS13_IS18_E10value_typeET4_jRbjT5_S1E_jjP12ihipStream_tbEUljE_ZNSN_ISO_Lb0ESQ_SR_ST_SU_SY_EESZ_S10_S11_S12_S16_S17_S18_S1B_S1C_jS1D_jS1E_S1E_jjS1G_bEUljE0_EEESZ_S10_S11_S18_S1C_S1E_T6_T7_T9_mT8_S1G_bDpT10_ENKUlT_T0_E_clISt17integral_constantIbLb0EES1U_EEDaS1P_S1Q_EUlS1P_E_NS1_11comp_targetILNS1_3genE0ELNS1_11target_archE4294967295ELNS1_3gpuE0ELNS1_3repE0EEENS1_30default_config_static_selectorELNS0_4arch9wavefront6targetE1EEEvS12_
; %bb.0:
	.section	.rodata,"a",@progbits
	.p2align	6, 0x0
	.amdhsa_kernel _ZN7rocprim17ROCPRIM_400000_NS6detail17trampoline_kernelINS0_13select_configILj256ELj13ELNS0_17block_load_methodE3ELS4_3ELS4_3ELNS0_20block_scan_algorithmE0ELj4294967295EEENS1_25partition_config_selectorILNS1_17partition_subalgoE4EjNS0_10empty_typeEbEEZZNS1_14partition_implILS8_4ELb0ES6_15HIP_vector_typeIjLj2EENS0_17counting_iteratorIjlEEPS9_SG_NS0_5tupleIJPjSI_NS0_16reverse_iteratorISI_EEEEENSH_IJSG_SG_SG_EEES9_SI_JZNS1_25segmented_radix_sort_implINS0_14default_configELb0EPKdPdPKlPlN2at6native12_GLOBAL__N_18offset_tEEE10hipError_tPvRmT1_PNSt15iterator_traitsIS12_E10value_typeET2_T3_PNS13_IS18_E10value_typeET4_jRbjT5_S1E_jjP12ihipStream_tbEUljE_ZNSN_ISO_Lb0ESQ_SR_ST_SU_SY_EESZ_S10_S11_S12_S16_S17_S18_S1B_S1C_jS1D_jS1E_S1E_jjS1G_bEUljE0_EEESZ_S10_S11_S18_S1C_S1E_T6_T7_T9_mT8_S1G_bDpT10_ENKUlT_T0_E_clISt17integral_constantIbLb0EES1U_EEDaS1P_S1Q_EUlS1P_E_NS1_11comp_targetILNS1_3genE0ELNS1_11target_archE4294967295ELNS1_3gpuE0ELNS1_3repE0EEENS1_30default_config_static_selectorELNS0_4arch9wavefront6targetE1EEEvS12_
		.amdhsa_group_segment_fixed_size 0
		.amdhsa_private_segment_fixed_size 0
		.amdhsa_kernarg_size 176
		.amdhsa_user_sgpr_count 6
		.amdhsa_user_sgpr_private_segment_buffer 1
		.amdhsa_user_sgpr_dispatch_ptr 0
		.amdhsa_user_sgpr_queue_ptr 0
		.amdhsa_user_sgpr_kernarg_segment_ptr 1
		.amdhsa_user_sgpr_dispatch_id 0
		.amdhsa_user_sgpr_flat_scratch_init 0
		.amdhsa_user_sgpr_kernarg_preload_length 0
		.amdhsa_user_sgpr_kernarg_preload_offset 0
		.amdhsa_user_sgpr_private_segment_size 0
		.amdhsa_uses_dynamic_stack 0
		.amdhsa_system_sgpr_private_segment_wavefront_offset 0
		.amdhsa_system_sgpr_workgroup_id_x 1
		.amdhsa_system_sgpr_workgroup_id_y 0
		.amdhsa_system_sgpr_workgroup_id_z 0
		.amdhsa_system_sgpr_workgroup_info 0
		.amdhsa_system_vgpr_workitem_id 0
		.amdhsa_next_free_vgpr 1
		.amdhsa_next_free_sgpr 0
		.amdhsa_accum_offset 4
		.amdhsa_reserve_vcc 0
		.amdhsa_reserve_flat_scratch 0
		.amdhsa_float_round_mode_32 0
		.amdhsa_float_round_mode_16_64 0
		.amdhsa_float_denorm_mode_32 3
		.amdhsa_float_denorm_mode_16_64 3
		.amdhsa_dx10_clamp 1
		.amdhsa_ieee_mode 1
		.amdhsa_fp16_overflow 0
		.amdhsa_tg_split 0
		.amdhsa_exception_fp_ieee_invalid_op 0
		.amdhsa_exception_fp_denorm_src 0
		.amdhsa_exception_fp_ieee_div_zero 0
		.amdhsa_exception_fp_ieee_overflow 0
		.amdhsa_exception_fp_ieee_underflow 0
		.amdhsa_exception_fp_ieee_inexact 0
		.amdhsa_exception_int_div_zero 0
	.end_amdhsa_kernel
	.section	.text._ZN7rocprim17ROCPRIM_400000_NS6detail17trampoline_kernelINS0_13select_configILj256ELj13ELNS0_17block_load_methodE3ELS4_3ELS4_3ELNS0_20block_scan_algorithmE0ELj4294967295EEENS1_25partition_config_selectorILNS1_17partition_subalgoE4EjNS0_10empty_typeEbEEZZNS1_14partition_implILS8_4ELb0ES6_15HIP_vector_typeIjLj2EENS0_17counting_iteratorIjlEEPS9_SG_NS0_5tupleIJPjSI_NS0_16reverse_iteratorISI_EEEEENSH_IJSG_SG_SG_EEES9_SI_JZNS1_25segmented_radix_sort_implINS0_14default_configELb0EPKdPdPKlPlN2at6native12_GLOBAL__N_18offset_tEEE10hipError_tPvRmT1_PNSt15iterator_traitsIS12_E10value_typeET2_T3_PNS13_IS18_E10value_typeET4_jRbjT5_S1E_jjP12ihipStream_tbEUljE_ZNSN_ISO_Lb0ESQ_SR_ST_SU_SY_EESZ_S10_S11_S12_S16_S17_S18_S1B_S1C_jS1D_jS1E_S1E_jjS1G_bEUljE0_EEESZ_S10_S11_S18_S1C_S1E_T6_T7_T9_mT8_S1G_bDpT10_ENKUlT_T0_E_clISt17integral_constantIbLb0EES1U_EEDaS1P_S1Q_EUlS1P_E_NS1_11comp_targetILNS1_3genE0ELNS1_11target_archE4294967295ELNS1_3gpuE0ELNS1_3repE0EEENS1_30default_config_static_selectorELNS0_4arch9wavefront6targetE1EEEvS12_,"axG",@progbits,_ZN7rocprim17ROCPRIM_400000_NS6detail17trampoline_kernelINS0_13select_configILj256ELj13ELNS0_17block_load_methodE3ELS4_3ELS4_3ELNS0_20block_scan_algorithmE0ELj4294967295EEENS1_25partition_config_selectorILNS1_17partition_subalgoE4EjNS0_10empty_typeEbEEZZNS1_14partition_implILS8_4ELb0ES6_15HIP_vector_typeIjLj2EENS0_17counting_iteratorIjlEEPS9_SG_NS0_5tupleIJPjSI_NS0_16reverse_iteratorISI_EEEEENSH_IJSG_SG_SG_EEES9_SI_JZNS1_25segmented_radix_sort_implINS0_14default_configELb0EPKdPdPKlPlN2at6native12_GLOBAL__N_18offset_tEEE10hipError_tPvRmT1_PNSt15iterator_traitsIS12_E10value_typeET2_T3_PNS13_IS18_E10value_typeET4_jRbjT5_S1E_jjP12ihipStream_tbEUljE_ZNSN_ISO_Lb0ESQ_SR_ST_SU_SY_EESZ_S10_S11_S12_S16_S17_S18_S1B_S1C_jS1D_jS1E_S1E_jjS1G_bEUljE0_EEESZ_S10_S11_S18_S1C_S1E_T6_T7_T9_mT8_S1G_bDpT10_ENKUlT_T0_E_clISt17integral_constantIbLb0EES1U_EEDaS1P_S1Q_EUlS1P_E_NS1_11comp_targetILNS1_3genE0ELNS1_11target_archE4294967295ELNS1_3gpuE0ELNS1_3repE0EEENS1_30default_config_static_selectorELNS0_4arch9wavefront6targetE1EEEvS12_,comdat
.Lfunc_end1155:
	.size	_ZN7rocprim17ROCPRIM_400000_NS6detail17trampoline_kernelINS0_13select_configILj256ELj13ELNS0_17block_load_methodE3ELS4_3ELS4_3ELNS0_20block_scan_algorithmE0ELj4294967295EEENS1_25partition_config_selectorILNS1_17partition_subalgoE4EjNS0_10empty_typeEbEEZZNS1_14partition_implILS8_4ELb0ES6_15HIP_vector_typeIjLj2EENS0_17counting_iteratorIjlEEPS9_SG_NS0_5tupleIJPjSI_NS0_16reverse_iteratorISI_EEEEENSH_IJSG_SG_SG_EEES9_SI_JZNS1_25segmented_radix_sort_implINS0_14default_configELb0EPKdPdPKlPlN2at6native12_GLOBAL__N_18offset_tEEE10hipError_tPvRmT1_PNSt15iterator_traitsIS12_E10value_typeET2_T3_PNS13_IS18_E10value_typeET4_jRbjT5_S1E_jjP12ihipStream_tbEUljE_ZNSN_ISO_Lb0ESQ_SR_ST_SU_SY_EESZ_S10_S11_S12_S16_S17_S18_S1B_S1C_jS1D_jS1E_S1E_jjS1G_bEUljE0_EEESZ_S10_S11_S18_S1C_S1E_T6_T7_T9_mT8_S1G_bDpT10_ENKUlT_T0_E_clISt17integral_constantIbLb0EES1U_EEDaS1P_S1Q_EUlS1P_E_NS1_11comp_targetILNS1_3genE0ELNS1_11target_archE4294967295ELNS1_3gpuE0ELNS1_3repE0EEENS1_30default_config_static_selectorELNS0_4arch9wavefront6targetE1EEEvS12_, .Lfunc_end1155-_ZN7rocprim17ROCPRIM_400000_NS6detail17trampoline_kernelINS0_13select_configILj256ELj13ELNS0_17block_load_methodE3ELS4_3ELS4_3ELNS0_20block_scan_algorithmE0ELj4294967295EEENS1_25partition_config_selectorILNS1_17partition_subalgoE4EjNS0_10empty_typeEbEEZZNS1_14partition_implILS8_4ELb0ES6_15HIP_vector_typeIjLj2EENS0_17counting_iteratorIjlEEPS9_SG_NS0_5tupleIJPjSI_NS0_16reverse_iteratorISI_EEEEENSH_IJSG_SG_SG_EEES9_SI_JZNS1_25segmented_radix_sort_implINS0_14default_configELb0EPKdPdPKlPlN2at6native12_GLOBAL__N_18offset_tEEE10hipError_tPvRmT1_PNSt15iterator_traitsIS12_E10value_typeET2_T3_PNS13_IS18_E10value_typeET4_jRbjT5_S1E_jjP12ihipStream_tbEUljE_ZNSN_ISO_Lb0ESQ_SR_ST_SU_SY_EESZ_S10_S11_S12_S16_S17_S18_S1B_S1C_jS1D_jS1E_S1E_jjS1G_bEUljE0_EEESZ_S10_S11_S18_S1C_S1E_T6_T7_T9_mT8_S1G_bDpT10_ENKUlT_T0_E_clISt17integral_constantIbLb0EES1U_EEDaS1P_S1Q_EUlS1P_E_NS1_11comp_targetILNS1_3genE0ELNS1_11target_archE4294967295ELNS1_3gpuE0ELNS1_3repE0EEENS1_30default_config_static_selectorELNS0_4arch9wavefront6targetE1EEEvS12_
                                        ; -- End function
	.section	.AMDGPU.csdata,"",@progbits
; Kernel info:
; codeLenInByte = 0
; NumSgprs: 4
; NumVgprs: 0
; NumAgprs: 0
; TotalNumVgprs: 0
; ScratchSize: 0
; MemoryBound: 0
; FloatMode: 240
; IeeeMode: 1
; LDSByteSize: 0 bytes/workgroup (compile time only)
; SGPRBlocks: 0
; VGPRBlocks: 0
; NumSGPRsForWavesPerEU: 4
; NumVGPRsForWavesPerEU: 1
; AccumOffset: 4
; Occupancy: 8
; WaveLimiterHint : 0
; COMPUTE_PGM_RSRC2:SCRATCH_EN: 0
; COMPUTE_PGM_RSRC2:USER_SGPR: 6
; COMPUTE_PGM_RSRC2:TRAP_HANDLER: 0
; COMPUTE_PGM_RSRC2:TGID_X_EN: 1
; COMPUTE_PGM_RSRC2:TGID_Y_EN: 0
; COMPUTE_PGM_RSRC2:TGID_Z_EN: 0
; COMPUTE_PGM_RSRC2:TIDIG_COMP_CNT: 0
; COMPUTE_PGM_RSRC3_GFX90A:ACCUM_OFFSET: 0
; COMPUTE_PGM_RSRC3_GFX90A:TG_SPLIT: 0
	.section	.text._ZN7rocprim17ROCPRIM_400000_NS6detail17trampoline_kernelINS0_13select_configILj256ELj13ELNS0_17block_load_methodE3ELS4_3ELS4_3ELNS0_20block_scan_algorithmE0ELj4294967295EEENS1_25partition_config_selectorILNS1_17partition_subalgoE4EjNS0_10empty_typeEbEEZZNS1_14partition_implILS8_4ELb0ES6_15HIP_vector_typeIjLj2EENS0_17counting_iteratorIjlEEPS9_SG_NS0_5tupleIJPjSI_NS0_16reverse_iteratorISI_EEEEENSH_IJSG_SG_SG_EEES9_SI_JZNS1_25segmented_radix_sort_implINS0_14default_configELb0EPKdPdPKlPlN2at6native12_GLOBAL__N_18offset_tEEE10hipError_tPvRmT1_PNSt15iterator_traitsIS12_E10value_typeET2_T3_PNS13_IS18_E10value_typeET4_jRbjT5_S1E_jjP12ihipStream_tbEUljE_ZNSN_ISO_Lb0ESQ_SR_ST_SU_SY_EESZ_S10_S11_S12_S16_S17_S18_S1B_S1C_jS1D_jS1E_S1E_jjS1G_bEUljE0_EEESZ_S10_S11_S18_S1C_S1E_T6_T7_T9_mT8_S1G_bDpT10_ENKUlT_T0_E_clISt17integral_constantIbLb0EES1U_EEDaS1P_S1Q_EUlS1P_E_NS1_11comp_targetILNS1_3genE5ELNS1_11target_archE942ELNS1_3gpuE9ELNS1_3repE0EEENS1_30default_config_static_selectorELNS0_4arch9wavefront6targetE1EEEvS12_,"axG",@progbits,_ZN7rocprim17ROCPRIM_400000_NS6detail17trampoline_kernelINS0_13select_configILj256ELj13ELNS0_17block_load_methodE3ELS4_3ELS4_3ELNS0_20block_scan_algorithmE0ELj4294967295EEENS1_25partition_config_selectorILNS1_17partition_subalgoE4EjNS0_10empty_typeEbEEZZNS1_14partition_implILS8_4ELb0ES6_15HIP_vector_typeIjLj2EENS0_17counting_iteratorIjlEEPS9_SG_NS0_5tupleIJPjSI_NS0_16reverse_iteratorISI_EEEEENSH_IJSG_SG_SG_EEES9_SI_JZNS1_25segmented_radix_sort_implINS0_14default_configELb0EPKdPdPKlPlN2at6native12_GLOBAL__N_18offset_tEEE10hipError_tPvRmT1_PNSt15iterator_traitsIS12_E10value_typeET2_T3_PNS13_IS18_E10value_typeET4_jRbjT5_S1E_jjP12ihipStream_tbEUljE_ZNSN_ISO_Lb0ESQ_SR_ST_SU_SY_EESZ_S10_S11_S12_S16_S17_S18_S1B_S1C_jS1D_jS1E_S1E_jjS1G_bEUljE0_EEESZ_S10_S11_S18_S1C_S1E_T6_T7_T9_mT8_S1G_bDpT10_ENKUlT_T0_E_clISt17integral_constantIbLb0EES1U_EEDaS1P_S1Q_EUlS1P_E_NS1_11comp_targetILNS1_3genE5ELNS1_11target_archE942ELNS1_3gpuE9ELNS1_3repE0EEENS1_30default_config_static_selectorELNS0_4arch9wavefront6targetE1EEEvS12_,comdat
	.globl	_ZN7rocprim17ROCPRIM_400000_NS6detail17trampoline_kernelINS0_13select_configILj256ELj13ELNS0_17block_load_methodE3ELS4_3ELS4_3ELNS0_20block_scan_algorithmE0ELj4294967295EEENS1_25partition_config_selectorILNS1_17partition_subalgoE4EjNS0_10empty_typeEbEEZZNS1_14partition_implILS8_4ELb0ES6_15HIP_vector_typeIjLj2EENS0_17counting_iteratorIjlEEPS9_SG_NS0_5tupleIJPjSI_NS0_16reverse_iteratorISI_EEEEENSH_IJSG_SG_SG_EEES9_SI_JZNS1_25segmented_radix_sort_implINS0_14default_configELb0EPKdPdPKlPlN2at6native12_GLOBAL__N_18offset_tEEE10hipError_tPvRmT1_PNSt15iterator_traitsIS12_E10value_typeET2_T3_PNS13_IS18_E10value_typeET4_jRbjT5_S1E_jjP12ihipStream_tbEUljE_ZNSN_ISO_Lb0ESQ_SR_ST_SU_SY_EESZ_S10_S11_S12_S16_S17_S18_S1B_S1C_jS1D_jS1E_S1E_jjS1G_bEUljE0_EEESZ_S10_S11_S18_S1C_S1E_T6_T7_T9_mT8_S1G_bDpT10_ENKUlT_T0_E_clISt17integral_constantIbLb0EES1U_EEDaS1P_S1Q_EUlS1P_E_NS1_11comp_targetILNS1_3genE5ELNS1_11target_archE942ELNS1_3gpuE9ELNS1_3repE0EEENS1_30default_config_static_selectorELNS0_4arch9wavefront6targetE1EEEvS12_ ; -- Begin function _ZN7rocprim17ROCPRIM_400000_NS6detail17trampoline_kernelINS0_13select_configILj256ELj13ELNS0_17block_load_methodE3ELS4_3ELS4_3ELNS0_20block_scan_algorithmE0ELj4294967295EEENS1_25partition_config_selectorILNS1_17partition_subalgoE4EjNS0_10empty_typeEbEEZZNS1_14partition_implILS8_4ELb0ES6_15HIP_vector_typeIjLj2EENS0_17counting_iteratorIjlEEPS9_SG_NS0_5tupleIJPjSI_NS0_16reverse_iteratorISI_EEEEENSH_IJSG_SG_SG_EEES9_SI_JZNS1_25segmented_radix_sort_implINS0_14default_configELb0EPKdPdPKlPlN2at6native12_GLOBAL__N_18offset_tEEE10hipError_tPvRmT1_PNSt15iterator_traitsIS12_E10value_typeET2_T3_PNS13_IS18_E10value_typeET4_jRbjT5_S1E_jjP12ihipStream_tbEUljE_ZNSN_ISO_Lb0ESQ_SR_ST_SU_SY_EESZ_S10_S11_S12_S16_S17_S18_S1B_S1C_jS1D_jS1E_S1E_jjS1G_bEUljE0_EEESZ_S10_S11_S18_S1C_S1E_T6_T7_T9_mT8_S1G_bDpT10_ENKUlT_T0_E_clISt17integral_constantIbLb0EES1U_EEDaS1P_S1Q_EUlS1P_E_NS1_11comp_targetILNS1_3genE5ELNS1_11target_archE942ELNS1_3gpuE9ELNS1_3repE0EEENS1_30default_config_static_selectorELNS0_4arch9wavefront6targetE1EEEvS12_
	.p2align	8
	.type	_ZN7rocprim17ROCPRIM_400000_NS6detail17trampoline_kernelINS0_13select_configILj256ELj13ELNS0_17block_load_methodE3ELS4_3ELS4_3ELNS0_20block_scan_algorithmE0ELj4294967295EEENS1_25partition_config_selectorILNS1_17partition_subalgoE4EjNS0_10empty_typeEbEEZZNS1_14partition_implILS8_4ELb0ES6_15HIP_vector_typeIjLj2EENS0_17counting_iteratorIjlEEPS9_SG_NS0_5tupleIJPjSI_NS0_16reverse_iteratorISI_EEEEENSH_IJSG_SG_SG_EEES9_SI_JZNS1_25segmented_radix_sort_implINS0_14default_configELb0EPKdPdPKlPlN2at6native12_GLOBAL__N_18offset_tEEE10hipError_tPvRmT1_PNSt15iterator_traitsIS12_E10value_typeET2_T3_PNS13_IS18_E10value_typeET4_jRbjT5_S1E_jjP12ihipStream_tbEUljE_ZNSN_ISO_Lb0ESQ_SR_ST_SU_SY_EESZ_S10_S11_S12_S16_S17_S18_S1B_S1C_jS1D_jS1E_S1E_jjS1G_bEUljE0_EEESZ_S10_S11_S18_S1C_S1E_T6_T7_T9_mT8_S1G_bDpT10_ENKUlT_T0_E_clISt17integral_constantIbLb0EES1U_EEDaS1P_S1Q_EUlS1P_E_NS1_11comp_targetILNS1_3genE5ELNS1_11target_archE942ELNS1_3gpuE9ELNS1_3repE0EEENS1_30default_config_static_selectorELNS0_4arch9wavefront6targetE1EEEvS12_,@function
_ZN7rocprim17ROCPRIM_400000_NS6detail17trampoline_kernelINS0_13select_configILj256ELj13ELNS0_17block_load_methodE3ELS4_3ELS4_3ELNS0_20block_scan_algorithmE0ELj4294967295EEENS1_25partition_config_selectorILNS1_17partition_subalgoE4EjNS0_10empty_typeEbEEZZNS1_14partition_implILS8_4ELb0ES6_15HIP_vector_typeIjLj2EENS0_17counting_iteratorIjlEEPS9_SG_NS0_5tupleIJPjSI_NS0_16reverse_iteratorISI_EEEEENSH_IJSG_SG_SG_EEES9_SI_JZNS1_25segmented_radix_sort_implINS0_14default_configELb0EPKdPdPKlPlN2at6native12_GLOBAL__N_18offset_tEEE10hipError_tPvRmT1_PNSt15iterator_traitsIS12_E10value_typeET2_T3_PNS13_IS18_E10value_typeET4_jRbjT5_S1E_jjP12ihipStream_tbEUljE_ZNSN_ISO_Lb0ESQ_SR_ST_SU_SY_EESZ_S10_S11_S12_S16_S17_S18_S1B_S1C_jS1D_jS1E_S1E_jjS1G_bEUljE0_EEESZ_S10_S11_S18_S1C_S1E_T6_T7_T9_mT8_S1G_bDpT10_ENKUlT_T0_E_clISt17integral_constantIbLb0EES1U_EEDaS1P_S1Q_EUlS1P_E_NS1_11comp_targetILNS1_3genE5ELNS1_11target_archE942ELNS1_3gpuE9ELNS1_3repE0EEENS1_30default_config_static_selectorELNS0_4arch9wavefront6targetE1EEEvS12_: ; @_ZN7rocprim17ROCPRIM_400000_NS6detail17trampoline_kernelINS0_13select_configILj256ELj13ELNS0_17block_load_methodE3ELS4_3ELS4_3ELNS0_20block_scan_algorithmE0ELj4294967295EEENS1_25partition_config_selectorILNS1_17partition_subalgoE4EjNS0_10empty_typeEbEEZZNS1_14partition_implILS8_4ELb0ES6_15HIP_vector_typeIjLj2EENS0_17counting_iteratorIjlEEPS9_SG_NS0_5tupleIJPjSI_NS0_16reverse_iteratorISI_EEEEENSH_IJSG_SG_SG_EEES9_SI_JZNS1_25segmented_radix_sort_implINS0_14default_configELb0EPKdPdPKlPlN2at6native12_GLOBAL__N_18offset_tEEE10hipError_tPvRmT1_PNSt15iterator_traitsIS12_E10value_typeET2_T3_PNS13_IS18_E10value_typeET4_jRbjT5_S1E_jjP12ihipStream_tbEUljE_ZNSN_ISO_Lb0ESQ_SR_ST_SU_SY_EESZ_S10_S11_S12_S16_S17_S18_S1B_S1C_jS1D_jS1E_S1E_jjS1G_bEUljE0_EEESZ_S10_S11_S18_S1C_S1E_T6_T7_T9_mT8_S1G_bDpT10_ENKUlT_T0_E_clISt17integral_constantIbLb0EES1U_EEDaS1P_S1Q_EUlS1P_E_NS1_11comp_targetILNS1_3genE5ELNS1_11target_archE942ELNS1_3gpuE9ELNS1_3repE0EEENS1_30default_config_static_selectorELNS0_4arch9wavefront6targetE1EEEvS12_
; %bb.0:
	.section	.rodata,"a",@progbits
	.p2align	6, 0x0
	.amdhsa_kernel _ZN7rocprim17ROCPRIM_400000_NS6detail17trampoline_kernelINS0_13select_configILj256ELj13ELNS0_17block_load_methodE3ELS4_3ELS4_3ELNS0_20block_scan_algorithmE0ELj4294967295EEENS1_25partition_config_selectorILNS1_17partition_subalgoE4EjNS0_10empty_typeEbEEZZNS1_14partition_implILS8_4ELb0ES6_15HIP_vector_typeIjLj2EENS0_17counting_iteratorIjlEEPS9_SG_NS0_5tupleIJPjSI_NS0_16reverse_iteratorISI_EEEEENSH_IJSG_SG_SG_EEES9_SI_JZNS1_25segmented_radix_sort_implINS0_14default_configELb0EPKdPdPKlPlN2at6native12_GLOBAL__N_18offset_tEEE10hipError_tPvRmT1_PNSt15iterator_traitsIS12_E10value_typeET2_T3_PNS13_IS18_E10value_typeET4_jRbjT5_S1E_jjP12ihipStream_tbEUljE_ZNSN_ISO_Lb0ESQ_SR_ST_SU_SY_EESZ_S10_S11_S12_S16_S17_S18_S1B_S1C_jS1D_jS1E_S1E_jjS1G_bEUljE0_EEESZ_S10_S11_S18_S1C_S1E_T6_T7_T9_mT8_S1G_bDpT10_ENKUlT_T0_E_clISt17integral_constantIbLb0EES1U_EEDaS1P_S1Q_EUlS1P_E_NS1_11comp_targetILNS1_3genE5ELNS1_11target_archE942ELNS1_3gpuE9ELNS1_3repE0EEENS1_30default_config_static_selectorELNS0_4arch9wavefront6targetE1EEEvS12_
		.amdhsa_group_segment_fixed_size 0
		.amdhsa_private_segment_fixed_size 0
		.amdhsa_kernarg_size 176
		.amdhsa_user_sgpr_count 6
		.amdhsa_user_sgpr_private_segment_buffer 1
		.amdhsa_user_sgpr_dispatch_ptr 0
		.amdhsa_user_sgpr_queue_ptr 0
		.amdhsa_user_sgpr_kernarg_segment_ptr 1
		.amdhsa_user_sgpr_dispatch_id 0
		.amdhsa_user_sgpr_flat_scratch_init 0
		.amdhsa_user_sgpr_kernarg_preload_length 0
		.amdhsa_user_sgpr_kernarg_preload_offset 0
		.amdhsa_user_sgpr_private_segment_size 0
		.amdhsa_uses_dynamic_stack 0
		.amdhsa_system_sgpr_private_segment_wavefront_offset 0
		.amdhsa_system_sgpr_workgroup_id_x 1
		.amdhsa_system_sgpr_workgroup_id_y 0
		.amdhsa_system_sgpr_workgroup_id_z 0
		.amdhsa_system_sgpr_workgroup_info 0
		.amdhsa_system_vgpr_workitem_id 0
		.amdhsa_next_free_vgpr 1
		.amdhsa_next_free_sgpr 0
		.amdhsa_accum_offset 4
		.amdhsa_reserve_vcc 0
		.amdhsa_reserve_flat_scratch 0
		.amdhsa_float_round_mode_32 0
		.amdhsa_float_round_mode_16_64 0
		.amdhsa_float_denorm_mode_32 3
		.amdhsa_float_denorm_mode_16_64 3
		.amdhsa_dx10_clamp 1
		.amdhsa_ieee_mode 1
		.amdhsa_fp16_overflow 0
		.amdhsa_tg_split 0
		.amdhsa_exception_fp_ieee_invalid_op 0
		.amdhsa_exception_fp_denorm_src 0
		.amdhsa_exception_fp_ieee_div_zero 0
		.amdhsa_exception_fp_ieee_overflow 0
		.amdhsa_exception_fp_ieee_underflow 0
		.amdhsa_exception_fp_ieee_inexact 0
		.amdhsa_exception_int_div_zero 0
	.end_amdhsa_kernel
	.section	.text._ZN7rocprim17ROCPRIM_400000_NS6detail17trampoline_kernelINS0_13select_configILj256ELj13ELNS0_17block_load_methodE3ELS4_3ELS4_3ELNS0_20block_scan_algorithmE0ELj4294967295EEENS1_25partition_config_selectorILNS1_17partition_subalgoE4EjNS0_10empty_typeEbEEZZNS1_14partition_implILS8_4ELb0ES6_15HIP_vector_typeIjLj2EENS0_17counting_iteratorIjlEEPS9_SG_NS0_5tupleIJPjSI_NS0_16reverse_iteratorISI_EEEEENSH_IJSG_SG_SG_EEES9_SI_JZNS1_25segmented_radix_sort_implINS0_14default_configELb0EPKdPdPKlPlN2at6native12_GLOBAL__N_18offset_tEEE10hipError_tPvRmT1_PNSt15iterator_traitsIS12_E10value_typeET2_T3_PNS13_IS18_E10value_typeET4_jRbjT5_S1E_jjP12ihipStream_tbEUljE_ZNSN_ISO_Lb0ESQ_SR_ST_SU_SY_EESZ_S10_S11_S12_S16_S17_S18_S1B_S1C_jS1D_jS1E_S1E_jjS1G_bEUljE0_EEESZ_S10_S11_S18_S1C_S1E_T6_T7_T9_mT8_S1G_bDpT10_ENKUlT_T0_E_clISt17integral_constantIbLb0EES1U_EEDaS1P_S1Q_EUlS1P_E_NS1_11comp_targetILNS1_3genE5ELNS1_11target_archE942ELNS1_3gpuE9ELNS1_3repE0EEENS1_30default_config_static_selectorELNS0_4arch9wavefront6targetE1EEEvS12_,"axG",@progbits,_ZN7rocprim17ROCPRIM_400000_NS6detail17trampoline_kernelINS0_13select_configILj256ELj13ELNS0_17block_load_methodE3ELS4_3ELS4_3ELNS0_20block_scan_algorithmE0ELj4294967295EEENS1_25partition_config_selectorILNS1_17partition_subalgoE4EjNS0_10empty_typeEbEEZZNS1_14partition_implILS8_4ELb0ES6_15HIP_vector_typeIjLj2EENS0_17counting_iteratorIjlEEPS9_SG_NS0_5tupleIJPjSI_NS0_16reverse_iteratorISI_EEEEENSH_IJSG_SG_SG_EEES9_SI_JZNS1_25segmented_radix_sort_implINS0_14default_configELb0EPKdPdPKlPlN2at6native12_GLOBAL__N_18offset_tEEE10hipError_tPvRmT1_PNSt15iterator_traitsIS12_E10value_typeET2_T3_PNS13_IS18_E10value_typeET4_jRbjT5_S1E_jjP12ihipStream_tbEUljE_ZNSN_ISO_Lb0ESQ_SR_ST_SU_SY_EESZ_S10_S11_S12_S16_S17_S18_S1B_S1C_jS1D_jS1E_S1E_jjS1G_bEUljE0_EEESZ_S10_S11_S18_S1C_S1E_T6_T7_T9_mT8_S1G_bDpT10_ENKUlT_T0_E_clISt17integral_constantIbLb0EES1U_EEDaS1P_S1Q_EUlS1P_E_NS1_11comp_targetILNS1_3genE5ELNS1_11target_archE942ELNS1_3gpuE9ELNS1_3repE0EEENS1_30default_config_static_selectorELNS0_4arch9wavefront6targetE1EEEvS12_,comdat
.Lfunc_end1156:
	.size	_ZN7rocprim17ROCPRIM_400000_NS6detail17trampoline_kernelINS0_13select_configILj256ELj13ELNS0_17block_load_methodE3ELS4_3ELS4_3ELNS0_20block_scan_algorithmE0ELj4294967295EEENS1_25partition_config_selectorILNS1_17partition_subalgoE4EjNS0_10empty_typeEbEEZZNS1_14partition_implILS8_4ELb0ES6_15HIP_vector_typeIjLj2EENS0_17counting_iteratorIjlEEPS9_SG_NS0_5tupleIJPjSI_NS0_16reverse_iteratorISI_EEEEENSH_IJSG_SG_SG_EEES9_SI_JZNS1_25segmented_radix_sort_implINS0_14default_configELb0EPKdPdPKlPlN2at6native12_GLOBAL__N_18offset_tEEE10hipError_tPvRmT1_PNSt15iterator_traitsIS12_E10value_typeET2_T3_PNS13_IS18_E10value_typeET4_jRbjT5_S1E_jjP12ihipStream_tbEUljE_ZNSN_ISO_Lb0ESQ_SR_ST_SU_SY_EESZ_S10_S11_S12_S16_S17_S18_S1B_S1C_jS1D_jS1E_S1E_jjS1G_bEUljE0_EEESZ_S10_S11_S18_S1C_S1E_T6_T7_T9_mT8_S1G_bDpT10_ENKUlT_T0_E_clISt17integral_constantIbLb0EES1U_EEDaS1P_S1Q_EUlS1P_E_NS1_11comp_targetILNS1_3genE5ELNS1_11target_archE942ELNS1_3gpuE9ELNS1_3repE0EEENS1_30default_config_static_selectorELNS0_4arch9wavefront6targetE1EEEvS12_, .Lfunc_end1156-_ZN7rocprim17ROCPRIM_400000_NS6detail17trampoline_kernelINS0_13select_configILj256ELj13ELNS0_17block_load_methodE3ELS4_3ELS4_3ELNS0_20block_scan_algorithmE0ELj4294967295EEENS1_25partition_config_selectorILNS1_17partition_subalgoE4EjNS0_10empty_typeEbEEZZNS1_14partition_implILS8_4ELb0ES6_15HIP_vector_typeIjLj2EENS0_17counting_iteratorIjlEEPS9_SG_NS0_5tupleIJPjSI_NS0_16reverse_iteratorISI_EEEEENSH_IJSG_SG_SG_EEES9_SI_JZNS1_25segmented_radix_sort_implINS0_14default_configELb0EPKdPdPKlPlN2at6native12_GLOBAL__N_18offset_tEEE10hipError_tPvRmT1_PNSt15iterator_traitsIS12_E10value_typeET2_T3_PNS13_IS18_E10value_typeET4_jRbjT5_S1E_jjP12ihipStream_tbEUljE_ZNSN_ISO_Lb0ESQ_SR_ST_SU_SY_EESZ_S10_S11_S12_S16_S17_S18_S1B_S1C_jS1D_jS1E_S1E_jjS1G_bEUljE0_EEESZ_S10_S11_S18_S1C_S1E_T6_T7_T9_mT8_S1G_bDpT10_ENKUlT_T0_E_clISt17integral_constantIbLb0EES1U_EEDaS1P_S1Q_EUlS1P_E_NS1_11comp_targetILNS1_3genE5ELNS1_11target_archE942ELNS1_3gpuE9ELNS1_3repE0EEENS1_30default_config_static_selectorELNS0_4arch9wavefront6targetE1EEEvS12_
                                        ; -- End function
	.section	.AMDGPU.csdata,"",@progbits
; Kernel info:
; codeLenInByte = 0
; NumSgprs: 4
; NumVgprs: 0
; NumAgprs: 0
; TotalNumVgprs: 0
; ScratchSize: 0
; MemoryBound: 0
; FloatMode: 240
; IeeeMode: 1
; LDSByteSize: 0 bytes/workgroup (compile time only)
; SGPRBlocks: 0
; VGPRBlocks: 0
; NumSGPRsForWavesPerEU: 4
; NumVGPRsForWavesPerEU: 1
; AccumOffset: 4
; Occupancy: 8
; WaveLimiterHint : 0
; COMPUTE_PGM_RSRC2:SCRATCH_EN: 0
; COMPUTE_PGM_RSRC2:USER_SGPR: 6
; COMPUTE_PGM_RSRC2:TRAP_HANDLER: 0
; COMPUTE_PGM_RSRC2:TGID_X_EN: 1
; COMPUTE_PGM_RSRC2:TGID_Y_EN: 0
; COMPUTE_PGM_RSRC2:TGID_Z_EN: 0
; COMPUTE_PGM_RSRC2:TIDIG_COMP_CNT: 0
; COMPUTE_PGM_RSRC3_GFX90A:ACCUM_OFFSET: 0
; COMPUTE_PGM_RSRC3_GFX90A:TG_SPLIT: 0
	.section	.text._ZN7rocprim17ROCPRIM_400000_NS6detail17trampoline_kernelINS0_13select_configILj256ELj13ELNS0_17block_load_methodE3ELS4_3ELS4_3ELNS0_20block_scan_algorithmE0ELj4294967295EEENS1_25partition_config_selectorILNS1_17partition_subalgoE4EjNS0_10empty_typeEbEEZZNS1_14partition_implILS8_4ELb0ES6_15HIP_vector_typeIjLj2EENS0_17counting_iteratorIjlEEPS9_SG_NS0_5tupleIJPjSI_NS0_16reverse_iteratorISI_EEEEENSH_IJSG_SG_SG_EEES9_SI_JZNS1_25segmented_radix_sort_implINS0_14default_configELb0EPKdPdPKlPlN2at6native12_GLOBAL__N_18offset_tEEE10hipError_tPvRmT1_PNSt15iterator_traitsIS12_E10value_typeET2_T3_PNS13_IS18_E10value_typeET4_jRbjT5_S1E_jjP12ihipStream_tbEUljE_ZNSN_ISO_Lb0ESQ_SR_ST_SU_SY_EESZ_S10_S11_S12_S16_S17_S18_S1B_S1C_jS1D_jS1E_S1E_jjS1G_bEUljE0_EEESZ_S10_S11_S18_S1C_S1E_T6_T7_T9_mT8_S1G_bDpT10_ENKUlT_T0_E_clISt17integral_constantIbLb0EES1U_EEDaS1P_S1Q_EUlS1P_E_NS1_11comp_targetILNS1_3genE4ELNS1_11target_archE910ELNS1_3gpuE8ELNS1_3repE0EEENS1_30default_config_static_selectorELNS0_4arch9wavefront6targetE1EEEvS12_,"axG",@progbits,_ZN7rocprim17ROCPRIM_400000_NS6detail17trampoline_kernelINS0_13select_configILj256ELj13ELNS0_17block_load_methodE3ELS4_3ELS4_3ELNS0_20block_scan_algorithmE0ELj4294967295EEENS1_25partition_config_selectorILNS1_17partition_subalgoE4EjNS0_10empty_typeEbEEZZNS1_14partition_implILS8_4ELb0ES6_15HIP_vector_typeIjLj2EENS0_17counting_iteratorIjlEEPS9_SG_NS0_5tupleIJPjSI_NS0_16reverse_iteratorISI_EEEEENSH_IJSG_SG_SG_EEES9_SI_JZNS1_25segmented_radix_sort_implINS0_14default_configELb0EPKdPdPKlPlN2at6native12_GLOBAL__N_18offset_tEEE10hipError_tPvRmT1_PNSt15iterator_traitsIS12_E10value_typeET2_T3_PNS13_IS18_E10value_typeET4_jRbjT5_S1E_jjP12ihipStream_tbEUljE_ZNSN_ISO_Lb0ESQ_SR_ST_SU_SY_EESZ_S10_S11_S12_S16_S17_S18_S1B_S1C_jS1D_jS1E_S1E_jjS1G_bEUljE0_EEESZ_S10_S11_S18_S1C_S1E_T6_T7_T9_mT8_S1G_bDpT10_ENKUlT_T0_E_clISt17integral_constantIbLb0EES1U_EEDaS1P_S1Q_EUlS1P_E_NS1_11comp_targetILNS1_3genE4ELNS1_11target_archE910ELNS1_3gpuE8ELNS1_3repE0EEENS1_30default_config_static_selectorELNS0_4arch9wavefront6targetE1EEEvS12_,comdat
	.globl	_ZN7rocprim17ROCPRIM_400000_NS6detail17trampoline_kernelINS0_13select_configILj256ELj13ELNS0_17block_load_methodE3ELS4_3ELS4_3ELNS0_20block_scan_algorithmE0ELj4294967295EEENS1_25partition_config_selectorILNS1_17partition_subalgoE4EjNS0_10empty_typeEbEEZZNS1_14partition_implILS8_4ELb0ES6_15HIP_vector_typeIjLj2EENS0_17counting_iteratorIjlEEPS9_SG_NS0_5tupleIJPjSI_NS0_16reverse_iteratorISI_EEEEENSH_IJSG_SG_SG_EEES9_SI_JZNS1_25segmented_radix_sort_implINS0_14default_configELb0EPKdPdPKlPlN2at6native12_GLOBAL__N_18offset_tEEE10hipError_tPvRmT1_PNSt15iterator_traitsIS12_E10value_typeET2_T3_PNS13_IS18_E10value_typeET4_jRbjT5_S1E_jjP12ihipStream_tbEUljE_ZNSN_ISO_Lb0ESQ_SR_ST_SU_SY_EESZ_S10_S11_S12_S16_S17_S18_S1B_S1C_jS1D_jS1E_S1E_jjS1G_bEUljE0_EEESZ_S10_S11_S18_S1C_S1E_T6_T7_T9_mT8_S1G_bDpT10_ENKUlT_T0_E_clISt17integral_constantIbLb0EES1U_EEDaS1P_S1Q_EUlS1P_E_NS1_11comp_targetILNS1_3genE4ELNS1_11target_archE910ELNS1_3gpuE8ELNS1_3repE0EEENS1_30default_config_static_selectorELNS0_4arch9wavefront6targetE1EEEvS12_ ; -- Begin function _ZN7rocprim17ROCPRIM_400000_NS6detail17trampoline_kernelINS0_13select_configILj256ELj13ELNS0_17block_load_methodE3ELS4_3ELS4_3ELNS0_20block_scan_algorithmE0ELj4294967295EEENS1_25partition_config_selectorILNS1_17partition_subalgoE4EjNS0_10empty_typeEbEEZZNS1_14partition_implILS8_4ELb0ES6_15HIP_vector_typeIjLj2EENS0_17counting_iteratorIjlEEPS9_SG_NS0_5tupleIJPjSI_NS0_16reverse_iteratorISI_EEEEENSH_IJSG_SG_SG_EEES9_SI_JZNS1_25segmented_radix_sort_implINS0_14default_configELb0EPKdPdPKlPlN2at6native12_GLOBAL__N_18offset_tEEE10hipError_tPvRmT1_PNSt15iterator_traitsIS12_E10value_typeET2_T3_PNS13_IS18_E10value_typeET4_jRbjT5_S1E_jjP12ihipStream_tbEUljE_ZNSN_ISO_Lb0ESQ_SR_ST_SU_SY_EESZ_S10_S11_S12_S16_S17_S18_S1B_S1C_jS1D_jS1E_S1E_jjS1G_bEUljE0_EEESZ_S10_S11_S18_S1C_S1E_T6_T7_T9_mT8_S1G_bDpT10_ENKUlT_T0_E_clISt17integral_constantIbLb0EES1U_EEDaS1P_S1Q_EUlS1P_E_NS1_11comp_targetILNS1_3genE4ELNS1_11target_archE910ELNS1_3gpuE8ELNS1_3repE0EEENS1_30default_config_static_selectorELNS0_4arch9wavefront6targetE1EEEvS12_
	.p2align	8
	.type	_ZN7rocprim17ROCPRIM_400000_NS6detail17trampoline_kernelINS0_13select_configILj256ELj13ELNS0_17block_load_methodE3ELS4_3ELS4_3ELNS0_20block_scan_algorithmE0ELj4294967295EEENS1_25partition_config_selectorILNS1_17partition_subalgoE4EjNS0_10empty_typeEbEEZZNS1_14partition_implILS8_4ELb0ES6_15HIP_vector_typeIjLj2EENS0_17counting_iteratorIjlEEPS9_SG_NS0_5tupleIJPjSI_NS0_16reverse_iteratorISI_EEEEENSH_IJSG_SG_SG_EEES9_SI_JZNS1_25segmented_radix_sort_implINS0_14default_configELb0EPKdPdPKlPlN2at6native12_GLOBAL__N_18offset_tEEE10hipError_tPvRmT1_PNSt15iterator_traitsIS12_E10value_typeET2_T3_PNS13_IS18_E10value_typeET4_jRbjT5_S1E_jjP12ihipStream_tbEUljE_ZNSN_ISO_Lb0ESQ_SR_ST_SU_SY_EESZ_S10_S11_S12_S16_S17_S18_S1B_S1C_jS1D_jS1E_S1E_jjS1G_bEUljE0_EEESZ_S10_S11_S18_S1C_S1E_T6_T7_T9_mT8_S1G_bDpT10_ENKUlT_T0_E_clISt17integral_constantIbLb0EES1U_EEDaS1P_S1Q_EUlS1P_E_NS1_11comp_targetILNS1_3genE4ELNS1_11target_archE910ELNS1_3gpuE8ELNS1_3repE0EEENS1_30default_config_static_selectorELNS0_4arch9wavefront6targetE1EEEvS12_,@function
_ZN7rocprim17ROCPRIM_400000_NS6detail17trampoline_kernelINS0_13select_configILj256ELj13ELNS0_17block_load_methodE3ELS4_3ELS4_3ELNS0_20block_scan_algorithmE0ELj4294967295EEENS1_25partition_config_selectorILNS1_17partition_subalgoE4EjNS0_10empty_typeEbEEZZNS1_14partition_implILS8_4ELb0ES6_15HIP_vector_typeIjLj2EENS0_17counting_iteratorIjlEEPS9_SG_NS0_5tupleIJPjSI_NS0_16reverse_iteratorISI_EEEEENSH_IJSG_SG_SG_EEES9_SI_JZNS1_25segmented_radix_sort_implINS0_14default_configELb0EPKdPdPKlPlN2at6native12_GLOBAL__N_18offset_tEEE10hipError_tPvRmT1_PNSt15iterator_traitsIS12_E10value_typeET2_T3_PNS13_IS18_E10value_typeET4_jRbjT5_S1E_jjP12ihipStream_tbEUljE_ZNSN_ISO_Lb0ESQ_SR_ST_SU_SY_EESZ_S10_S11_S12_S16_S17_S18_S1B_S1C_jS1D_jS1E_S1E_jjS1G_bEUljE0_EEESZ_S10_S11_S18_S1C_S1E_T6_T7_T9_mT8_S1G_bDpT10_ENKUlT_T0_E_clISt17integral_constantIbLb0EES1U_EEDaS1P_S1Q_EUlS1P_E_NS1_11comp_targetILNS1_3genE4ELNS1_11target_archE910ELNS1_3gpuE8ELNS1_3repE0EEENS1_30default_config_static_selectorELNS0_4arch9wavefront6targetE1EEEvS12_: ; @_ZN7rocprim17ROCPRIM_400000_NS6detail17trampoline_kernelINS0_13select_configILj256ELj13ELNS0_17block_load_methodE3ELS4_3ELS4_3ELNS0_20block_scan_algorithmE0ELj4294967295EEENS1_25partition_config_selectorILNS1_17partition_subalgoE4EjNS0_10empty_typeEbEEZZNS1_14partition_implILS8_4ELb0ES6_15HIP_vector_typeIjLj2EENS0_17counting_iteratorIjlEEPS9_SG_NS0_5tupleIJPjSI_NS0_16reverse_iteratorISI_EEEEENSH_IJSG_SG_SG_EEES9_SI_JZNS1_25segmented_radix_sort_implINS0_14default_configELb0EPKdPdPKlPlN2at6native12_GLOBAL__N_18offset_tEEE10hipError_tPvRmT1_PNSt15iterator_traitsIS12_E10value_typeET2_T3_PNS13_IS18_E10value_typeET4_jRbjT5_S1E_jjP12ihipStream_tbEUljE_ZNSN_ISO_Lb0ESQ_SR_ST_SU_SY_EESZ_S10_S11_S12_S16_S17_S18_S1B_S1C_jS1D_jS1E_S1E_jjS1G_bEUljE0_EEESZ_S10_S11_S18_S1C_S1E_T6_T7_T9_mT8_S1G_bDpT10_ENKUlT_T0_E_clISt17integral_constantIbLb0EES1U_EEDaS1P_S1Q_EUlS1P_E_NS1_11comp_targetILNS1_3genE4ELNS1_11target_archE910ELNS1_3gpuE8ELNS1_3repE0EEENS1_30default_config_static_selectorELNS0_4arch9wavefront6targetE1EEEvS12_
; %bb.0:
	s_load_dwordx2 s[0:1], s[4:5], 0x68
	s_load_dword s7, s[4:5], 0x8
	s_load_dwordx2 s[56:57], s[4:5], 0x10
	s_load_dwordx4 s[44:47], s[4:5], 0x58
	s_mul_i32 s33, s6, 0xd00
	s_waitcnt lgkmcnt(0)
	v_mov_b32_e32 v3, s1
	v_mov_b32_e32 v2, s0
	s_load_dword s1, s[4:5], 0x80
	s_load_dwordx2 s[60:61], s[4:5], 0xa8
	s_load_dwordx8 s[36:43], s[4:5], 0x88
	s_load_dwordx4 s[48:51], s[46:47], 0x0
	s_waitcnt lgkmcnt(0)
	s_add_i32 s8, s1, -1
	s_mulk_i32 s1, 0xd00
	s_add_u32 s2, s56, s1
	s_addc_u32 s3, s57, 0
	s_cmp_eq_u32 s6, s8
	s_cselect_b64 s[30:31], -1, 0
	s_cmp_lg_u32 s6, s8
	v_cmp_lt_u64_e32 vcc, s[2:3], v[2:3]
	s_cselect_b64 s[2:3], -1, 0
	s_add_i32 s7, s7, s33
	s_or_b64 s[2:3], s[2:3], vcc
	s_add_i32 s7, s7, s56
	v_add_u32_e32 v1, s7, v0
	s_mov_b64 s[8:9], -1
	s_and_b64 vcc, exec, s[2:3]
	s_cbranch_vccz .LBB1157_2
; %bb.1:
	v_add_u32_e32 v2, 0x100, v1
	v_lshlrev_b32_e32 v14, 2, v0
	v_add_u32_e32 v3, 0x200, v1
	v_add_u32_e32 v4, 0x300, v1
	;; [unrolled: 1-line block ×11, first 2 shown]
	ds_write2st64_b32 v14, v1, v2 offset1:4
	ds_write2st64_b32 v14, v3, v4 offset0:8 offset1:12
	ds_write2st64_b32 v14, v5, v6 offset0:16 offset1:20
	;; [unrolled: 1-line block ×5, first 2 shown]
	ds_write_b32 v14, v13 offset:12288
	s_waitcnt lgkmcnt(0)
	s_barrier
	s_mov_b64 s[8:9], 0
.LBB1157_2:
	s_andn2_b64 vcc, exec, s[8:9]
	s_add_i32 s1, s1, s56
	s_cbranch_vccnz .LBB1157_4
; %bb.3:
	v_add_u32_e32 v2, 0x100, v1
	v_lshlrev_b32_e32 v14, 2, v0
	v_add_u32_e32 v3, 0x200, v1
	v_add_u32_e32 v4, 0x300, v1
	v_add_u32_e32 v5, 0x400, v1
	v_add_u32_e32 v6, 0x500, v1
	v_add_u32_e32 v7, 0x600, v1
	v_add_u32_e32 v8, 0x700, v1
	v_add_u32_e32 v9, 0x800, v1
	v_add_u32_e32 v10, 0x900, v1
	v_add_u32_e32 v11, 0xa00, v1
	v_add_u32_e32 v12, 0xb00, v1
	v_add_u32_e32 v13, 0xc00, v1
	ds_write2st64_b32 v14, v1, v2 offset1:4
	ds_write2st64_b32 v14, v3, v4 offset0:8 offset1:12
	ds_write2st64_b32 v14, v5, v6 offset0:16 offset1:20
	;; [unrolled: 1-line block ×5, first 2 shown]
	ds_write_b32 v14, v13 offset:12288
	s_waitcnt lgkmcnt(0)
	s_barrier
.LBB1157_4:
	v_mul_u32_u24_e32 v31, 13, v0
	v_lshlrev_b32_e32 v1, 2, v31
	s_load_dwordx4 s[52:55], s[4:5], 0x28
	s_load_dwordx2 s[34:35], s[4:5], 0x38
	s_waitcnt lgkmcnt(0)
	ds_read2_b32 v[18:19], v1 offset1:1
	ds_read2_b32 v[16:17], v1 offset0:2 offset1:3
	ds_read2_b32 v[14:15], v1 offset0:4 offset1:5
	;; [unrolled: 1-line block ×5, first 2 shown]
	ds_read_b32 v30, v1 offset:48
	v_cndmask_b32_e64 v1, 0, 1, s[2:3]
	s_sub_i32 s7, s0, s1
	v_cmp_ne_u32_e64 s[0:1], 1, v1
	s_andn2_b64 vcc, exec, s[2:3]
	s_waitcnt lgkmcnt(0)
	s_barrier
	s_cbranch_vccnz .LBB1157_32
; %bb.5:
	v_add_u32_e32 v1, s37, v18
	v_add_u32_e32 v2, s39, v18
	v_mul_lo_u32 v1, v1, s36
	v_mul_lo_u32 v2, v2, s38
	v_sub_u32_e32 v1, v1, v2
	v_cmp_lt_u32_e32 vcc, s40, v1
	v_cmp_ge_u32_e64 s[2:3], s40, v1
	s_mov_b64 s[64:65], 0
	s_mov_b64 s[62:63], 0
	s_and_saveexec_b64 s[8:9], s[2:3]
; %bb.6:
	v_add_u32_e32 v1, s42, v18
	v_add_u32_e32 v2, s60, v18
	v_mul_lo_u32 v1, v1, s41
	v_mul_lo_u32 v2, v2, s43
	v_sub_u32_e32 v1, v1, v2
	v_cmp_lt_u32_e64 s[2:3], s61, v1
	s_and_b64 s[62:63], s[2:3], exec
; %bb.7:
	s_or_b64 exec, exec, s[8:9]
	v_add_u32_e32 v1, s37, v19
	v_add_u32_e32 v2, s39, v19
	v_mul_lo_u32 v1, v1, s36
	v_mul_lo_u32 v2, v2, s38
	v_sub_u32_e32 v1, v1, v2
	v_cmp_lt_u32_e64 s[2:3], s40, v1
	v_cmp_ge_u32_e64 s[8:9], s40, v1
	s_and_saveexec_b64 s[10:11], s[8:9]
; %bb.8:
	v_add_u32_e32 v1, s42, v19
	v_add_u32_e32 v2, s60, v19
	v_mul_lo_u32 v1, v1, s41
	v_mul_lo_u32 v2, v2, s43
	v_sub_u32_e32 v1, v1, v2
	v_cmp_lt_u32_e64 s[8:9], s61, v1
	s_and_b64 s[64:65], s[8:9], exec
; %bb.9:
	s_or_b64 exec, exec, s[10:11]
	v_add_u32_e32 v1, s37, v16
	v_add_u32_e32 v2, s39, v16
	v_mul_lo_u32 v1, v1, s36
	v_mul_lo_u32 v2, v2, s38
	v_sub_u32_e32 v1, v1, v2
	v_cmp_lt_u32_e64 s[26:27], s40, v1
	v_cmp_ge_u32_e64 s[8:9], s40, v1
	s_mov_b64 s[68:69], 0
	s_mov_b64 s[66:67], 0
	s_and_saveexec_b64 s[10:11], s[8:9]
; %bb.10:
	v_add_u32_e32 v1, s42, v16
	v_add_u32_e32 v2, s60, v16
	v_mul_lo_u32 v1, v1, s41
	v_mul_lo_u32 v2, v2, s43
	v_sub_u32_e32 v1, v1, v2
	v_cmp_lt_u32_e64 s[8:9], s61, v1
	s_and_b64 s[66:67], s[8:9], exec
; %bb.11:
	s_or_b64 exec, exec, s[10:11]
	v_add_u32_e32 v1, s37, v17
	v_add_u32_e32 v2, s39, v17
	v_mul_lo_u32 v1, v1, s36
	v_mul_lo_u32 v2, v2, s38
	v_sub_u32_e32 v1, v1, v2
	v_cmp_lt_u32_e64 s[8:9], s40, v1
	v_cmp_ge_u32_e64 s[10:11], s40, v1
	s_and_saveexec_b64 s[12:13], s[10:11]
; %bb.12:
	v_add_u32_e32 v1, s42, v17
	v_add_u32_e32 v2, s60, v17
	v_mul_lo_u32 v1, v1, s41
	v_mul_lo_u32 v2, v2, s43
	v_sub_u32_e32 v1, v1, v2
	v_cmp_lt_u32_e64 s[10:11], s61, v1
	s_and_b64 s[68:69], s[10:11], exec
; %bb.13:
	s_or_b64 exec, exec, s[12:13]
	v_add_u32_e32 v1, s37, v14
	v_add_u32_e32 v2, s39, v14
	v_mul_lo_u32 v1, v1, s36
	v_mul_lo_u32 v2, v2, s38
	v_sub_u32_e32 v1, v1, v2
	v_cmp_lt_u32_e64 s[10:11], s40, v1
	;; [unrolled: 38-line block ×5, first 2 shown]
	v_cmp_ge_u32_e64 s[24:25], s40, v1
	s_mov_b64 s[84:85], 0
	s_mov_b64 s[86:87], 0
	s_and_saveexec_b64 s[28:29], s[24:25]
; %bb.26:
	v_add_u32_e32 v1, s42, v8
	v_add_u32_e32 v2, s60, v8
	v_mul_lo_u32 v1, v1, s41
	v_mul_lo_u32 v2, v2, s43
	v_sub_u32_e32 v1, v1, v2
	v_cmp_lt_u32_e64 s[24:25], s61, v1
	s_and_b64 s[86:87], s[24:25], exec
; %bb.27:
	s_or_b64 exec, exec, s[28:29]
	v_add_u32_e32 v1, s37, v9
	v_add_u32_e32 v2, s39, v9
	v_mul_lo_u32 v1, v1, s36
	v_mul_lo_u32 v2, v2, s38
	v_sub_u32_e32 v1, v1, v2
	v_cmp_lt_u32_e64 s[24:25], s40, v1
	v_cmp_ge_u32_e64 s[28:29], s40, v1
	s_and_saveexec_b64 s[46:47], s[28:29]
; %bb.28:
	v_add_u32_e32 v1, s42, v9
	v_add_u32_e32 v2, s60, v9
	v_mul_lo_u32 v1, v1, s41
	v_mul_lo_u32 v2, v2, s43
	v_sub_u32_e32 v1, v1, v2
	v_cmp_lt_u32_e64 s[28:29], s61, v1
	s_and_b64 s[84:85], s[28:29], exec
; %bb.29:
	s_or_b64 exec, exec, s[46:47]
	v_add_u32_e32 v1, s37, v30
	v_add_u32_e32 v2, s39, v30
	v_mul_lo_u32 v1, v1, s36
	v_mul_lo_u32 v2, v2, s38
	v_sub_u32_e32 v1, v1, v2
	v_cmp_ge_u32_e64 s[28:29], s40, v1
	s_mov_b64 s[46:47], -1
	s_mov_b64 s[78:79], 0
	s_mov_b64 s[58:59], 0
	s_and_saveexec_b64 s[88:89], s[28:29]
; %bb.30:
	v_add_u32_e32 v1, s42, v30
	v_add_u32_e32 v2, s60, v30
	v_mul_lo_u32 v1, v1, s41
	v_mul_lo_u32 v2, v2, s43
	v_sub_u32_e32 v1, v1, v2
	v_cmp_lt_u32_e64 s[28:29], s61, v1
	s_and_b64 s[58:59], s[28:29], exec
	s_xor_b64 s[46:47], exec, -1
; %bb.31:
	s_or_b64 exec, exec, s[88:89]
	v_cndmask_b32_e64 v52, 0, 1, s[86:87]
	v_cndmask_b32_e64 v55, 0, 1, s[24:25]
	;; [unrolled: 1-line block ×22, first 2 shown]
	v_cndmask_b32_e64 v32, 0, 1, vcc
	v_cndmask_b32_e64 v54, 0, 1, s[84:85]
	s_load_dwordx2 s[12:13], s[4:5], 0x78
	s_add_i32 s18, s7, 0xd00
	s_and_b64 vcc, exec, s[78:79]
	s_cbranch_vccnz .LBB1157_33
	s_branch .LBB1157_86
.LBB1157_32:
                                        ; implicit-def: $sgpr46_sgpr47
                                        ; implicit-def: $sgpr58_sgpr59
                                        ; implicit-def: $vgpr54
                                        ; implicit-def: $vgpr52
                                        ; implicit-def: $vgpr50
                                        ; implicit-def: $vgpr48
                                        ; implicit-def: $vgpr46
                                        ; implicit-def: $vgpr44
                                        ; implicit-def: $vgpr42
                                        ; implicit-def: $vgpr40
                                        ; implicit-def: $vgpr38
                                        ; implicit-def: $vgpr32
                                        ; implicit-def: $vgpr34
                                        ; implicit-def: $vgpr36
                                        ; implicit-def: $vgpr39
                                        ; implicit-def: $vgpr41
                                        ; implicit-def: $vgpr43
                                        ; implicit-def: $vgpr45
                                        ; implicit-def: $vgpr47
                                        ; implicit-def: $vgpr49
                                        ; implicit-def: $vgpr51
                                        ; implicit-def: $vgpr53
                                        ; implicit-def: $vgpr55
                                        ; implicit-def: $vgpr33
                                        ; implicit-def: $vgpr35
                                        ; implicit-def: $vgpr37
	s_load_dwordx2 s[12:13], s[4:5], 0x78
	s_add_i32 s18, s7, 0xd00
	s_cbranch_execz .LBB1157_86
.LBB1157_33:
	v_cmp_gt_u32_e32 vcc, s18, v31
	v_mov_b32_e32 v33, 0
	v_mov_b32_e32 v32, 0
	s_and_saveexec_b64 s[4:5], vcc
	s_cbranch_execz .LBB1157_37
; %bb.34:
	v_add_u32_e32 v1, s37, v18
	v_add_u32_e32 v2, s39, v18
	v_mul_lo_u32 v1, v1, s36
	v_mul_lo_u32 v2, v2, s38
	v_sub_u32_e32 v1, v1, v2
	v_cmp_lt_u32_e32 vcc, s40, v1
	v_cmp_ge_u32_e64 s[2:3], s40, v1
	s_mov_b64 s[10:11], 0
	s_and_saveexec_b64 s[8:9], s[2:3]
; %bb.35:
	v_add_u32_e32 v1, s42, v18
	v_add_u32_e32 v2, s60, v18
	v_mul_lo_u32 v1, v1, s41
	v_mul_lo_u32 v2, v2, s43
	v_sub_u32_e32 v1, v1, v2
	v_cmp_lt_u32_e64 s[2:3], s61, v1
	s_and_b64 s[10:11], s[2:3], exec
; %bb.36:
	s_or_b64 exec, exec, s[8:9]
	v_cndmask_b32_e64 v32, 0, 1, vcc
	v_cndmask_b32_e64 v33, 0, 1, s[10:11]
.LBB1157_37:
	s_or_b64 exec, exec, s[4:5]
	v_add_u32_e32 v1, 1, v31
	v_cmp_gt_u32_e32 vcc, s18, v1
	v_mov_b32_e32 v34, 0
	v_mov_b32_e32 v35, 0
	s_and_saveexec_b64 s[4:5], vcc
	s_cbranch_execz .LBB1157_41
; %bb.38:
	v_add_u32_e32 v1, s37, v19
	v_add_u32_e32 v2, s39, v19
	v_mul_lo_u32 v1, v1, s36
	v_mul_lo_u32 v2, v2, s38
	v_sub_u32_e32 v1, v1, v2
	v_cmp_lt_u32_e32 vcc, s40, v1
	v_cmp_ge_u32_e64 s[2:3], s40, v1
	s_mov_b64 s[10:11], 0
	s_and_saveexec_b64 s[8:9], s[2:3]
; %bb.39:
	v_add_u32_e32 v1, s42, v19
	v_add_u32_e32 v2, s60, v19
	v_mul_lo_u32 v1, v1, s41
	v_mul_lo_u32 v2, v2, s43
	v_sub_u32_e32 v1, v1, v2
	v_cmp_lt_u32_e64 s[2:3], s61, v1
	s_and_b64 s[10:11], s[2:3], exec
; %bb.40:
	s_or_b64 exec, exec, s[8:9]
	v_cndmask_b32_e64 v34, 0, 1, vcc
	v_cndmask_b32_e64 v35, 0, 1, s[10:11]
.LBB1157_41:
	s_or_b64 exec, exec, s[4:5]
	v_add_u32_e32 v1, 2, v31
	;; [unrolled: 30-line block ×12, first 2 shown]
	v_cmp_gt_u32_e32 vcc, s18, v1
	s_mov_b64 s[46:47], 0
	s_mov_b64 s[58:59], 0
	s_and_saveexec_b64 s[2:3], vcc
	s_cbranch_execz .LBB1157_85
; %bb.82:
	v_add_u32_e32 v1, s37, v30
	v_add_u32_e32 v2, s39, v30
	v_mul_lo_u32 v1, v1, s36
	v_mul_lo_u32 v2, v2, s38
	v_sub_u32_e32 v1, v1, v2
	v_cmp_ge_u32_e32 vcc, s40, v1
	s_mov_b64 s[8:9], -1
	s_mov_b64 s[10:11], 0
	s_and_saveexec_b64 s[4:5], vcc
; %bb.83:
	v_add_u32_e32 v1, s42, v30
	v_add_u32_e32 v2, s60, v30
	v_mul_lo_u32 v1, v1, s41
	v_mul_lo_u32 v2, v2, s43
	v_sub_u32_e32 v1, v1, v2
	v_cmp_lt_u32_e32 vcc, s61, v1
	s_and_b64 s[10:11], vcc, exec
	s_xor_b64 s[8:9], exec, -1
; %bb.84:
	s_or_b64 exec, exec, s[4:5]
	s_and_b64 s[58:59], s[10:11], exec
	s_and_b64 s[46:47], s[8:9], exec
.LBB1157_85:
	s_or_b64 exec, exec, s[2:3]
.LBB1157_86:
	v_and_b32_e32 v63, 0xff, v33
	v_and_b32_e32 v74, 0xff, v35
	;; [unrolled: 1-line block ×5, first 2 shown]
	v_add3_u32 v2, v74, v65, v63
	v_and_b32_e32 v76, 0xff, v42
	v_and_b32_e32 v69, 0xff, v44
	v_add3_u32 v2, v2, v75, v67
	v_and_b32_e32 v62, 0xff, v32
	v_and_b32_e32 v56, 0xff, v34
	;; [unrolled: 1-line block ×5, first 2 shown]
	v_add3_u32 v2, v2, v76, v69
	v_and_b32_e32 v57, 0xff, v39
	v_and_b32_e32 v66, 0xff, v41
	;; [unrolled: 1-line block ×4, first 2 shown]
	v_add3_u32 v3, v56, v64, v62
	v_add3_u32 v2, v2, v77, v71
	v_and_b32_e32 v58, 0xff, v43
	v_and_b32_e32 v68, 0xff, v45
	;; [unrolled: 1-line block ×3, first 2 shown]
	v_cndmask_b32_e64 v1, 0, 1, s[58:59]
	v_add3_u32 v3, v3, v57, v66
	v_add3_u32 v2, v2, v78, v73
	v_and_b32_e32 v59, 0xff, v47
	v_and_b32_e32 v70, 0xff, v49
	v_add3_u32 v3, v3, v58, v68
	v_add3_u32 v86, v2, v79, v1
	v_mbcnt_lo_u32_b32 v1, -1, 0
	v_and_b32_e32 v60, 0xff, v51
	v_and_b32_e32 v72, 0xff, v53
	v_add3_u32 v3, v3, v59, v70
	v_mbcnt_hi_u32_b32 v80, -1, v1
	v_and_b32_e32 v61, 0xff, v55
	v_add3_u32 v3, v3, v60, v72
	v_cndmask_b32_e64 v4, 0, 1, s[46:47]
	v_and_b32_e32 v84, 15, v80
	s_cmp_lg_u32 s6, 0
	v_add3_u32 v85, v3, v61, v4
	v_cmp_eq_u32_e64 s[4:5], 0, v84
	v_cmp_lt_u32_e64 s[2:3], 1, v84
	v_cmp_lt_u32_e64 s[8:9], 3, v84
	;; [unrolled: 1-line block ×3, first 2 shown]
	v_and_b32_e32 v83, 16, v80
	v_cmp_lt_u32_e32 vcc, 31, v80
	v_lshrrev_b32_e32 v81, 6, v0
	v_or_b32_e32 v82, 63, v0
	s_cbranch_scc0 .LBB1157_115
; %bb.87:
	v_mov_b32_dpp v1, v85 row_shr:1 row_mask:0xf bank_mask:0xf
	v_mov_b32_dpp v2, v86 row_shr:1 row_mask:0xf bank_mask:0xf
	v_add_u32_e32 v1, v1, v85
	v_add_u32_e32 v2, v2, v86
	v_cndmask_b32_e64 v2, v2, v86, s[4:5]
	v_cndmask_b32_e64 v1, v1, v85, s[4:5]
	s_nop 0
	v_mov_b32_dpp v4, v2 row_shr:2 row_mask:0xf bank_mask:0xf
	v_mov_b32_dpp v3, v1 row_shr:2 row_mask:0xf bank_mask:0xf
	v_add_u32_e32 v3, v1, v3
	v_add_u32_e32 v4, v2, v4
	v_cndmask_b32_e64 v2, v2, v4, s[2:3]
	v_cndmask_b32_e64 v1, v1, v3, s[2:3]
	s_nop 0
	v_mov_b32_dpp v4, v2 row_shr:4 row_mask:0xf bank_mask:0xf
	v_mov_b32_dpp v3, v1 row_shr:4 row_mask:0xf bank_mask:0xf
	v_add_u32_e32 v3, v1, v3
	v_add_u32_e32 v4, v2, v4
	v_cndmask_b32_e64 v2, v2, v4, s[8:9]
	v_cndmask_b32_e64 v1, v1, v3, s[8:9]
	v_cmp_eq_u32_e64 s[8:9], 0, v83
	v_mov_b32_dpp v4, v2 row_shr:8 row_mask:0xf bank_mask:0xf
	v_mov_b32_dpp v3, v1 row_shr:8 row_mask:0xf bank_mask:0xf
	v_add_u32_e32 v3, v1, v3
	v_add_u32_e32 v4, v2, v4
	v_cndmask_b32_e64 v2, v2, v4, s[10:11]
	v_cndmask_b32_e64 v1, v1, v3, s[10:11]
	s_nop 0
	v_mov_b32_dpp v4, v2 row_bcast:15 row_mask:0xf bank_mask:0xf
	v_mov_b32_dpp v3, v1 row_bcast:15 row_mask:0xf bank_mask:0xf
	v_add_u32_e32 v3, v1, v3
	v_add_u32_e32 v4, v2, v4
	v_cndmask_b32_e64 v2, v4, v2, s[8:9]
	v_cndmask_b32_e64 v1, v3, v1, s[8:9]
	s_nop 0
	v_mov_b32_dpp v4, v2 row_bcast:31 row_mask:0xf bank_mask:0xf
	v_mov_b32_dpp v3, v1 row_bcast:31 row_mask:0xf bank_mask:0xf
	v_add_u32_e32 v4, v2, v4
	v_add_u32_e32 v5, v1, v3
	v_cndmask_b32_e32 v3, v2, v4, vcc
	v_cndmask_b32_e32 v2, v1, v5, vcc
	v_cmp_eq_u32_e32 vcc, v82, v0
	s_and_saveexec_b64 s[8:9], vcc
	s_cbranch_execz .LBB1157_89
; %bb.88:
	v_lshlrev_b32_e32 v1, 3, v81
	ds_write_b64 v1, v[2:3]
.LBB1157_89:
	s_or_b64 exec, exec, s[8:9]
	v_cmp_gt_u32_e32 vcc, 4, v0
	s_waitcnt lgkmcnt(0)
	s_barrier
	s_and_saveexec_b64 s[8:9], vcc
	s_cbranch_execz .LBB1157_91
; %bb.90:
	v_lshlrev_b32_e32 v1, 3, v0
	ds_read_b64 v[4:5], v1
	v_and_b32_e32 v6, 3, v80
	v_cmp_eq_u32_e32 vcc, 0, v6
	s_waitcnt lgkmcnt(0)
	v_mov_b32_dpp v7, v4 row_shr:1 row_mask:0xf bank_mask:0xf
	v_mov_b32_dpp v20, v5 row_shr:1 row_mask:0xf bank_mask:0xf
	v_add_u32_e32 v7, v7, v4
	v_add_u32_e32 v20, v20, v5
	v_cndmask_b32_e32 v5, v20, v5, vcc
	v_cndmask_b32_e32 v4, v7, v4, vcc
	v_cmp_lt_u32_e32 vcc, 1, v6
	v_mov_b32_dpp v20, v5 row_shr:2 row_mask:0xf bank_mask:0xf
	v_mov_b32_dpp v7, v4 row_shr:2 row_mask:0xf bank_mask:0xf
	v_cndmask_b32_e32 v6, 0, v7, vcc
	v_cndmask_b32_e32 v7, 0, v20, vcc
	v_add_u32_e32 v5, v7, v5
	v_add_u32_e32 v4, v6, v4
	ds_write_b64 v1, v[4:5]
.LBB1157_91:
	s_or_b64 exec, exec, s[8:9]
	v_cmp_gt_u32_e32 vcc, 64, v0
	v_cmp_lt_u32_e64 s[8:9], 63, v0
	s_waitcnt lgkmcnt(0)
	s_barrier
	s_waitcnt lgkmcnt(0)
                                        ; implicit-def: $vgpr21
	s_and_saveexec_b64 s[10:11], s[8:9]
	s_xor_b64 s[8:9], exec, s[10:11]
	s_cbranch_execz .LBB1157_93
; %bb.92:
	v_lshl_add_u32 v1, v81, 3, -8
	ds_read_b64 v[20:21], v1
	s_waitcnt lgkmcnt(0)
	v_add_u32_e32 v3, v21, v3
	v_add_u32_e32 v2, v20, v2
.LBB1157_93:
	s_andn2_saveexec_b64 s[8:9], s[8:9]
; %bb.94:
                                        ; implicit-def: $vgpr20
; %bb.95:
	s_or_b64 exec, exec, s[8:9]
	v_add_u32_e32 v1, -1, v80
	v_and_b32_e32 v4, 64, v80
	v_cmp_lt_i32_e64 s[8:9], v1, v4
	v_cndmask_b32_e64 v1, v1, v80, s[8:9]
	v_lshlrev_b32_e32 v4, 2, v1
	ds_bpermute_b32 v1, v4, v2
	ds_bpermute_b32 v87, v4, v3
	v_cmp_eq_u32_e64 s[8:9], 0, v80
	s_and_saveexec_b64 s[10:11], vcc
	s_cbranch_execz .LBB1157_114
; %bb.96:
	v_mov_b32_e32 v7, 0
	ds_read_b64 v[22:23], v7 offset:24
	s_and_saveexec_b64 s[14:15], s[8:9]
	s_cbranch_execz .LBB1157_98
; %bb.97:
	s_add_i32 s16, s6, 64
	s_mov_b32 s17, 0
	s_lshl_b64 s[16:17], s[16:17], 4
	s_waitcnt lgkmcnt(0)
	v_and_b32_e32 v2, 0xff000000, v23
	v_and_b32_e32 v3, 0xff0000, v23
	s_add_u32 s16, s12, s16
	v_or_b32_e32 v2, v3, v2
	v_and_b32_e32 v3, 0xff00, v23
	s_addc_u32 s17, s13, s17
	v_or_b32_e32 v2, v2, v3
	v_or_b32_sdwa v5, v2, v23 dst_sel:DWORD dst_unused:UNUSED_PAD src0_sel:DWORD src1_sel:BYTE_0
	v_mov_b32_e32 v6, 1
	v_mov_b32_e32 v4, v22
	v_pk_mov_b32 v[2:3], s[16:17], s[16:17] op_sel:[0,1]
	;;#ASMSTART
	global_store_dwordx4 v[2:3], v[4:7] off	
s_waitcnt vmcnt(0)
	;;#ASMEND
.LBB1157_98:
	s_or_b64 exec, exec, s[14:15]
	v_xad_u32 v24, v80, -1, s6
	v_add_u32_e32 v6, 64, v24
	v_lshlrev_b64 v[2:3], 4, v[6:7]
	v_mov_b32_e32 v4, s13
	v_add_co_u32_e32 v26, vcc, s12, v2
	v_addc_co_u32_e32 v27, vcc, v4, v3, vcc
	;;#ASMSTART
	global_load_dwordx4 v[2:5], v[26:27] off glc	
s_waitcnt vmcnt(0)
	;;#ASMEND
	v_and_b32_e32 v5, 0xff, v3
	v_and_b32_e32 v6, 0xff00, v3
	v_or3_b32 v5, 0, v5, v6
	v_or3_b32 v2, v2, 0, 0
	v_and_b32_e32 v6, 0xff000000, v3
	v_and_b32_e32 v3, 0xff0000, v3
	v_or3_b32 v3, v5, v3, v6
	v_or3_b32 v2, v2, 0, 0
	v_cmp_eq_u16_sdwa s[16:17], v4, v7 src0_sel:BYTE_0 src1_sel:DWORD
	s_and_saveexec_b64 s[14:15], s[16:17]
	s_cbranch_execz .LBB1157_102
; %bb.99:
	s_mov_b64 s[16:17], 0
	v_mov_b32_e32 v6, 0
.LBB1157_100:                           ; =>This Inner Loop Header: Depth=1
	;;#ASMSTART
	global_load_dwordx4 v[2:5], v[26:27] off glc	
s_waitcnt vmcnt(0)
	;;#ASMEND
	v_cmp_ne_u16_sdwa s[20:21], v4, v6 src0_sel:BYTE_0 src1_sel:DWORD
	s_or_b64 s[16:17], s[20:21], s[16:17]
	s_andn2_b64 exec, exec, s[16:17]
	s_cbranch_execnz .LBB1157_100
; %bb.101:
	s_or_b64 exec, exec, s[16:17]
.LBB1157_102:
	s_or_b64 exec, exec, s[14:15]
	v_and_b32_e32 v89, 63, v80
	v_cmp_ne_u32_e32 vcc, 63, v89
	v_mov_b32_e32 v88, 2
	v_addc_co_u32_e32 v26, vcc, 0, v80, vcc
	v_cmp_eq_u16_sdwa s[14:15], v4, v88 src0_sel:BYTE_0 src1_sel:DWORD
	v_lshlrev_b64 v[6:7], v80, -1
	v_lshlrev_b32_e32 v90, 2, v26
	v_and_b32_e32 v5, s15, v7
	ds_bpermute_b32 v26, v90, v2
	ds_bpermute_b32 v27, v90, v3
	v_or_b32_e32 v5, 0x80000000, v5
	v_and_b32_e32 v25, s14, v6
	v_ffbl_b32_e32 v5, v5
	v_add_u32_e32 v5, 32, v5
	v_ffbl_b32_e32 v25, v25
	v_min_u32_e32 v5, v25, v5
	s_waitcnt lgkmcnt(1)
	v_add_u32_e32 v25, v26, v2
	s_waitcnt lgkmcnt(0)
	v_add_u32_e32 v26, v27, v3
	v_cmp_lt_u32_e32 vcc, v89, v5
	v_cndmask_b32_e32 v3, v3, v26, vcc
	v_cndmask_b32_e32 v2, v2, v25, vcc
	v_cmp_gt_u32_e32 vcc, 62, v89
	v_cndmask_b32_e64 v25, 0, 1, vcc
	v_lshlrev_b32_e32 v25, 1, v25
	v_add_lshl_u32 v91, v25, v80, 2
	ds_bpermute_b32 v25, v91, v2
	ds_bpermute_b32 v26, v91, v3
	v_add_u32_e32 v92, 2, v89
	v_cmp_gt_u32_e32 vcc, v92, v5
	v_add_u32_e32 v94, 4, v89
	s_waitcnt lgkmcnt(1)
	v_add_u32_e32 v25, v2, v25
	s_waitcnt lgkmcnt(0)
	v_add_u32_e32 v26, v3, v26
	v_cndmask_b32_e32 v3, v26, v3, vcc
	v_cndmask_b32_e32 v2, v25, v2, vcc
	v_cmp_gt_u32_e32 vcc, 60, v89
	v_cndmask_b32_e64 v25, 0, 1, vcc
	v_lshlrev_b32_e32 v25, 2, v25
	v_add_lshl_u32 v93, v25, v80, 2
	ds_bpermute_b32 v25, v93, v2
	ds_bpermute_b32 v26, v93, v3
	v_cmp_gt_u32_e32 vcc, v94, v5
	v_add_u32_e32 v96, 8, v89
	v_add_u32_e32 v98, 16, v89
	s_waitcnt lgkmcnt(1)
	v_add_u32_e32 v25, v2, v25
	s_waitcnt lgkmcnt(0)
	v_add_u32_e32 v26, v3, v26
	v_cndmask_b32_e32 v3, v26, v3, vcc
	v_cndmask_b32_e32 v2, v25, v2, vcc
	v_cmp_gt_u32_e32 vcc, 56, v89
	v_cndmask_b32_e64 v25, 0, 1, vcc
	v_lshlrev_b32_e32 v25, 3, v25
	v_add_lshl_u32 v95, v25, v80, 2
	ds_bpermute_b32 v25, v95, v2
	ds_bpermute_b32 v26, v95, v3
	v_cmp_gt_u32_e32 vcc, v96, v5
	v_add_u32_e32 v100, 32, v89
	s_waitcnt lgkmcnt(1)
	v_add_u32_e32 v25, v2, v25
	s_waitcnt lgkmcnt(0)
	v_add_u32_e32 v26, v3, v26
	v_cndmask_b32_e32 v3, v26, v3, vcc
	v_cndmask_b32_e32 v2, v25, v2, vcc
	v_cmp_gt_u32_e32 vcc, 48, v89
	v_cndmask_b32_e64 v25, 0, 1, vcc
	v_lshlrev_b32_e32 v25, 4, v25
	v_add_lshl_u32 v97, v25, v80, 2
	ds_bpermute_b32 v25, v97, v2
	ds_bpermute_b32 v26, v97, v3
	v_cmp_gt_u32_e32 vcc, v98, v5
	s_waitcnt lgkmcnt(1)
	v_add_u32_e32 v25, v2, v25
	s_waitcnt lgkmcnt(0)
	v_add_u32_e32 v26, v3, v26
	v_cndmask_b32_e32 v3, v26, v3, vcc
	v_cndmask_b32_e32 v2, v25, v2, vcc
	v_cmp_gt_u32_e32 vcc, 32, v89
	v_cndmask_b32_e64 v25, 0, 1, vcc
	v_lshlrev_b32_e32 v25, 5, v25
	v_add_lshl_u32 v99, v25, v80, 2
	ds_bpermute_b32 v25, v99, v2
	ds_bpermute_b32 v26, v99, v3
	v_cmp_le_u32_e32 vcc, v100, v5
	s_waitcnt lgkmcnt(1)
	v_cndmask_b32_e32 v5, 0, v25, vcc
	s_waitcnt lgkmcnt(0)
	v_cndmask_b32_e32 v25, 0, v26, vcc
	v_add_u32_e32 v3, v3, v25
	v_add_u32_e32 v2, v2, v5
	v_mov_b32_e32 v25, 0
	s_branch .LBB1157_104
.LBB1157_103:                           ;   in Loop: Header=BB1157_104 Depth=1
	s_or_b64 exec, exec, s[14:15]
	v_cmp_eq_u16_sdwa s[14:15], v4, v88 src0_sel:BYTE_0 src1_sel:DWORD
	v_and_b32_e32 v5, s15, v7
	ds_bpermute_b32 v29, v90, v2
	ds_bpermute_b32 v101, v90, v3
	v_or_b32_e32 v5, 0x80000000, v5
	v_and_b32_e32 v28, s14, v6
	v_ffbl_b32_e32 v5, v5
	v_add_u32_e32 v5, 32, v5
	v_ffbl_b32_e32 v28, v28
	v_min_u32_e32 v5, v28, v5
	s_waitcnt lgkmcnt(1)
	v_add_u32_e32 v28, v29, v2
	s_waitcnt lgkmcnt(0)
	v_add_u32_e32 v29, v101, v3
	v_cmp_lt_u32_e32 vcc, v89, v5
	v_cndmask_b32_e32 v3, v3, v29, vcc
	v_cndmask_b32_e32 v2, v2, v28, vcc
	ds_bpermute_b32 v28, v91, v2
	ds_bpermute_b32 v29, v91, v3
	v_cmp_gt_u32_e32 vcc, v92, v5
	v_subrev_u32_e32 v24, 64, v24
	s_waitcnt lgkmcnt(1)
	v_add_u32_e32 v28, v2, v28
	s_waitcnt lgkmcnt(0)
	v_add_u32_e32 v29, v3, v29
	v_cndmask_b32_e32 v3, v29, v3, vcc
	v_cndmask_b32_e32 v2, v28, v2, vcc
	ds_bpermute_b32 v28, v93, v2
	ds_bpermute_b32 v29, v93, v3
	v_cmp_gt_u32_e32 vcc, v94, v5
	s_waitcnt lgkmcnt(1)
	v_add_u32_e32 v28, v2, v28
	s_waitcnt lgkmcnt(0)
	v_add_u32_e32 v29, v3, v29
	v_cndmask_b32_e32 v3, v29, v3, vcc
	v_cndmask_b32_e32 v2, v28, v2, vcc
	ds_bpermute_b32 v28, v95, v2
	ds_bpermute_b32 v29, v95, v3
	v_cmp_gt_u32_e32 vcc, v96, v5
	;; [unrolled: 9-line block ×3, first 2 shown]
	s_waitcnt lgkmcnt(1)
	v_add_u32_e32 v28, v2, v28
	s_waitcnt lgkmcnt(0)
	v_add_u32_e32 v29, v3, v29
	v_cndmask_b32_e32 v3, v29, v3, vcc
	v_cndmask_b32_e32 v2, v28, v2, vcc
	ds_bpermute_b32 v28, v99, v2
	ds_bpermute_b32 v29, v99, v3
	v_cmp_le_u32_e32 vcc, v100, v5
	s_waitcnt lgkmcnt(1)
	v_cndmask_b32_e32 v5, 0, v28, vcc
	s_waitcnt lgkmcnt(0)
	v_cndmask_b32_e32 v28, 0, v29, vcc
	v_add3_u32 v3, v28, v27, v3
	v_add3_u32 v2, v5, v26, v2
.LBB1157_104:                           ; =>This Loop Header: Depth=1
                                        ;     Child Loop BB1157_107 Depth 2
	v_cmp_ne_u16_sdwa s[14:15], v4, v88 src0_sel:BYTE_0 src1_sel:DWORD
	v_cndmask_b32_e64 v4, 0, 1, s[14:15]
	;;#ASMSTART
	;;#ASMEND
	v_cmp_ne_u32_e32 vcc, 0, v4
	s_cmp_lg_u64 vcc, exec
	v_pk_mov_b32 v[26:27], v[2:3], v[2:3] op_sel:[0,1]
	s_cbranch_scc1 .LBB1157_109
; %bb.105:                              ;   in Loop: Header=BB1157_104 Depth=1
	v_lshlrev_b64 v[2:3], 4, v[24:25]
	v_mov_b32_e32 v4, s13
	v_add_co_u32_e32 v28, vcc, s12, v2
	v_addc_co_u32_e32 v29, vcc, v4, v3, vcc
	;;#ASMSTART
	global_load_dwordx4 v[2:5], v[28:29] off glc	
s_waitcnt vmcnt(0)
	;;#ASMEND
	v_and_b32_e32 v5, 0xff, v3
	v_and_b32_e32 v101, 0xff00, v3
	v_or3_b32 v5, 0, v5, v101
	v_or3_b32 v2, v2, 0, 0
	v_and_b32_e32 v101, 0xff000000, v3
	v_and_b32_e32 v3, 0xff0000, v3
	v_or3_b32 v3, v5, v3, v101
	v_or3_b32 v2, v2, 0, 0
	v_cmp_eq_u16_sdwa s[16:17], v4, v25 src0_sel:BYTE_0 src1_sel:DWORD
	s_and_saveexec_b64 s[14:15], s[16:17]
	s_cbranch_execz .LBB1157_103
; %bb.106:                              ;   in Loop: Header=BB1157_104 Depth=1
	s_mov_b64 s[16:17], 0
.LBB1157_107:                           ;   Parent Loop BB1157_104 Depth=1
                                        ; =>  This Inner Loop Header: Depth=2
	;;#ASMSTART
	global_load_dwordx4 v[2:5], v[28:29] off glc	
s_waitcnt vmcnt(0)
	;;#ASMEND
	v_cmp_ne_u16_sdwa s[20:21], v4, v25 src0_sel:BYTE_0 src1_sel:DWORD
	s_or_b64 s[16:17], s[20:21], s[16:17]
	s_andn2_b64 exec, exec, s[16:17]
	s_cbranch_execnz .LBB1157_107
; %bb.108:                              ;   in Loop: Header=BB1157_104 Depth=1
	s_or_b64 exec, exec, s[16:17]
	s_branch .LBB1157_103
.LBB1157_109:                           ;   in Loop: Header=BB1157_104 Depth=1
                                        ; implicit-def: $vgpr4
                                        ; implicit-def: $vgpr2_vgpr3
	s_cbranch_execz .LBB1157_104
; %bb.110:
	s_and_saveexec_b64 s[14:15], s[8:9]
	s_cbranch_execz .LBB1157_112
; %bb.111:
	s_add_i32 s6, s6, 64
	s_mov_b32 s7, 0
	v_add_u32_e32 v3, v27, v23
	s_lshl_b64 s[6:7], s[6:7], 4
	s_add_u32 s6, s12, s6
	v_and_b32_e32 v4, 0xff000000, v3
	v_and_b32_e32 v6, 0xff0000, v3
	s_addc_u32 s7, s13, s7
	v_or_b32_e32 v4, v6, v4
	v_and_b32_e32 v6, 0xff00, v3
	v_and_b32_e32 v3, 0xff, v3
	v_add_u32_e32 v2, v26, v22
	v_mov_b32_e32 v5, 0
	v_or3_b32 v3, v4, v6, v3
	v_mov_b32_e32 v4, 2
	v_pk_mov_b32 v[6:7], s[6:7], s[6:7] op_sel:[0,1]
	;;#ASMSTART
	global_store_dwordx4 v[6:7], v[2:5] off	
s_waitcnt vmcnt(0)
	;;#ASMEND
	s_movk_i32 s6, 0x3400
	v_add_u32_e64 v2, s6, 0
	ds_write2_b32 v2, v22, v23 offset1:2
	ds_write2_b32 v2, v26, v27 offset0:4 offset1:6
.LBB1157_112:
	s_or_b64 exec, exec, s[14:15]
	v_cmp_eq_u32_e32 vcc, 0, v0
	s_and_b64 exec, exec, vcc
	s_cbranch_execz .LBB1157_114
; %bb.113:
	v_mov_b32_e32 v2, 0
	ds_write_b64 v2, v[26:27] offset:24
.LBB1157_114:
	s_or_b64 exec, exec, s[10:11]
	v_mov_b32_e32 v2, 0
	s_waitcnt lgkmcnt(0)
	s_barrier
	ds_read_b64 v[6:7], v2 offset:24
	s_movk_i32 s6, 0x3400
	v_cndmask_b32_e64 v2, v87, v21, s[8:9]
	v_cndmask_b32_e64 v1, v1, v20, s[8:9]
	v_add_u32_e64 v4, s6, 0
	s_waitcnt lgkmcnt(0)
	v_add_u32_e32 v20, v6, v1
	v_add_u32_e32 v1, v7, v2
	s_barrier
	ds_read2_b32 v[2:3], v4 offset1:2
	ds_read2_b32 v[4:5], v4 offset0:4 offset1:6
	v_cmp_eq_u32_e32 vcc, 0, v0
	v_cndmask_b32_e32 v1, v1, v7, vcc
	v_cndmask_b32_e32 v20, v20, v6, vcc
	s_branch .LBB1157_125
.LBB1157_115:
                                        ; implicit-def: $vgpr1
                                        ; implicit-def: $vgpr4
                                        ; implicit-def: $vgpr2
                                        ; implicit-def: $vgpr20_vgpr21
	s_cbranch_execz .LBB1157_125
; %bb.116:
	s_nop 0
	v_mov_b32_dpp v1, v85 row_shr:1 row_mask:0xf bank_mask:0xf
	s_waitcnt lgkmcnt(0)
	v_mov_b32_dpp v2, v86 row_shr:1 row_mask:0xf bank_mask:0xf
	v_add_u32_e32 v1, v1, v85
	v_add_u32_e32 v2, v2, v86
	v_cndmask_b32_e64 v2, v2, v86, s[4:5]
	v_cndmask_b32_e64 v1, v1, v85, s[4:5]
	v_cmp_lt_u32_e32 vcc, 3, v84
	v_mov_b32_dpp v4, v2 row_shr:2 row_mask:0xf bank_mask:0xf
	v_mov_b32_dpp v3, v1 row_shr:2 row_mask:0xf bank_mask:0xf
	v_add_u32_e32 v3, v1, v3
	v_add_u32_e32 v4, v2, v4
	v_cndmask_b32_e64 v2, v2, v4, s[2:3]
	v_cndmask_b32_e64 v1, v1, v3, s[2:3]
	s_nop 0
	v_mov_b32_dpp v4, v2 row_shr:4 row_mask:0xf bank_mask:0xf
	v_mov_b32_dpp v3, v1 row_shr:4 row_mask:0xf bank_mask:0xf
	v_add_u32_e32 v3, v1, v3
	v_add_u32_e32 v4, v2, v4
	v_cndmask_b32_e32 v2, v2, v4, vcc
	v_cndmask_b32_e32 v1, v1, v3, vcc
	v_cmp_lt_u32_e32 vcc, 7, v84
	v_mov_b32_dpp v4, v2 row_shr:8 row_mask:0xf bank_mask:0xf
	v_mov_b32_dpp v3, v1 row_shr:8 row_mask:0xf bank_mask:0xf
	v_add_u32_e32 v3, v1, v3
	v_add_u32_e32 v4, v2, v4
	v_cndmask_b32_e32 v2, v2, v4, vcc
	v_cndmask_b32_e32 v1, v1, v3, vcc
	v_cmp_eq_u32_e32 vcc, 0, v83
	v_mov_b32_dpp v4, v2 row_bcast:15 row_mask:0xf bank_mask:0xf
	v_mov_b32_dpp v3, v1 row_bcast:15 row_mask:0xf bank_mask:0xf
	v_add_u32_e32 v3, v1, v3
	v_add_u32_e32 v4, v2, v4
	v_cndmask_b32_e32 v2, v4, v2, vcc
	v_cndmask_b32_e32 v1, v3, v1, vcc
	v_cmp_lt_u32_e32 vcc, 31, v80
	v_mov_b32_dpp v4, v2 row_bcast:31 row_mask:0xf bank_mask:0xf
	v_mov_b32_dpp v3, v1 row_bcast:31 row_mask:0xf bank_mask:0xf
	v_add_u32_e32 v4, v2, v4
	v_add_u32_e32 v5, v1, v3
	v_cndmask_b32_e32 v3, v2, v4, vcc
	v_cndmask_b32_e32 v2, v1, v5, vcc
	v_cmp_eq_u32_e32 vcc, v82, v0
	s_and_saveexec_b64 s[2:3], vcc
	s_cbranch_execz .LBB1157_118
; %bb.117:
	v_lshlrev_b32_e32 v1, 3, v81
	ds_write_b64 v1, v[2:3]
.LBB1157_118:
	s_or_b64 exec, exec, s[2:3]
	v_cmp_gt_u32_e32 vcc, 4, v0
	s_waitcnt lgkmcnt(0)
	s_barrier
	s_and_saveexec_b64 s[2:3], vcc
	s_cbranch_execz .LBB1157_120
; %bb.119:
	v_lshlrev_b32_e32 v1, 3, v0
	ds_read_b64 v[4:5], v1
	v_and_b32_e32 v6, 3, v80
	v_cmp_eq_u32_e32 vcc, 0, v6
	s_waitcnt lgkmcnt(0)
	v_mov_b32_dpp v7, v4 row_shr:1 row_mask:0xf bank_mask:0xf
	v_mov_b32_dpp v20, v5 row_shr:1 row_mask:0xf bank_mask:0xf
	v_add_u32_e32 v7, v7, v4
	v_add_u32_e32 v20, v20, v5
	v_cndmask_b32_e32 v5, v20, v5, vcc
	v_cndmask_b32_e32 v4, v7, v4, vcc
	v_cmp_lt_u32_e32 vcc, 1, v6
	v_mov_b32_dpp v20, v5 row_shr:2 row_mask:0xf bank_mask:0xf
	v_mov_b32_dpp v7, v4 row_shr:2 row_mask:0xf bank_mask:0xf
	v_cndmask_b32_e32 v6, 0, v7, vcc
	v_cndmask_b32_e32 v7, 0, v20, vcc
	v_add_u32_e32 v5, v7, v5
	v_add_u32_e32 v4, v6, v4
	ds_write_b64 v1, v[4:5]
.LBB1157_120:
	s_or_b64 exec, exec, s[2:3]
	v_cmp_lt_u32_e32 vcc, 63, v0
	v_mov_b32_e32 v4, 0
	v_mov_b32_e32 v6, 0
	;; [unrolled: 1-line block ×3, first 2 shown]
	s_waitcnt lgkmcnt(0)
	s_barrier
	s_and_saveexec_b64 s[2:3], vcc
	s_cbranch_execz .LBB1157_122
; %bb.121:
	v_lshl_add_u32 v1, v81, 3, -8
	ds_read_b64 v[6:7], v1
.LBB1157_122:
	s_or_b64 exec, exec, s[2:3]
	s_waitcnt lgkmcnt(0)
	v_add_u32_e32 v5, v7, v3
	v_add_u32_e32 v1, v6, v2
	v_add_u32_e32 v2, -1, v80
	v_and_b32_e32 v3, 64, v80
	v_cmp_lt_i32_e32 vcc, v2, v3
	v_cndmask_b32_e32 v2, v2, v80, vcc
	v_lshlrev_b32_e32 v20, 2, v2
	ds_read_b64 v[2:3], v4 offset:24
	ds_bpermute_b32 v1, v20, v1
	ds_bpermute_b32 v20, v20, v5
	v_cmp_eq_u32_e32 vcc, 0, v0
	s_waitcnt lgkmcnt(2)
	v_readfirstlane_b32 s4, v3
	s_and_saveexec_b64 s[2:3], vcc
	s_cbranch_execz .LBB1157_124
; %bb.123:
	s_add_u32 s6, s12, 0x400
	s_mov_b32 s8, 0
	s_addc_u32 s7, s13, 0
	s_and_b32 s9, s4, 0xff000000
	s_and_b32 s11, s4, 0xff0000
	s_mov_b32 s10, s8
	s_or_b64 s[10:11], s[10:11], s[8:9]
	s_and_b32 s9, s4, 0xff00
	s_or_b64 s[10:11], s[10:11], s[8:9]
	s_and_b32 s9, s4, 0xff
	s_or_b64 s[8:9], s[10:11], s[8:9]
	v_mov_b32_e32 v3, s9
	v_mov_b32_e32 v4, 2
	;; [unrolled: 1-line block ×3, first 2 shown]
	v_pk_mov_b32 v[22:23], s[6:7], s[6:7] op_sel:[0,1]
	;;#ASMSTART
	global_store_dwordx4 v[22:23], v[2:5] off	
s_waitcnt vmcnt(0)
	;;#ASMEND
.LBB1157_124:
	s_or_b64 exec, exec, s[2:3]
	v_cmp_eq_u32_e64 s[2:3], 0, v80
	s_waitcnt lgkmcnt(1)
	v_cndmask_b32_e64 v3, v1, v6, s[2:3]
	s_waitcnt lgkmcnt(0)
	v_cndmask_b32_e64 v1, v20, v7, s[2:3]
	v_mov_b32_e32 v4, 0
	v_cndmask_b32_e64 v1, v1, 0, vcc
	v_cndmask_b32_e64 v20, v3, 0, vcc
	s_barrier
	v_mov_b32_e32 v3, s4
	v_mov_b32_e32 v5, 0
.LBB1157_125:
	v_add_u32_e32 v24, v1, v63
	v_add_u32_e32 v25, v24, v74
	;; [unrolled: 1-line block ×14, first 2 shown]
	v_mov_b32_e32 v7, s49
	s_waitcnt lgkmcnt(0)
	v_add_co_u32_e32 v6, vcc, s48, v4
	v_add_u32_e32 v64, v58, v68
	v_add_u32_e32 v68, v66, v71
	v_addc_co_u32_e32 v7, vcc, 0, v7, vcc
	v_add_u32_e32 v69, v68, v78
	v_mov_b32_e32 v22, s51
	v_sub_co_u32_e32 v23, vcc, s50, v2
	v_add_u32_e32 v71, v69, v73
	v_subbrev_co_u32_e32 v73, vcc, 0, v22, vcc
	v_add_co_u32_e32 v22, vcc, v23, v5
	v_addc_co_u32_e32 v23, vcc, 0, v73, vcc
	v_lshlrev_b32_e32 v73, 1, v2
	v_sub_u32_e32 v1, v1, v5
	v_add_u32_e32 v74, v73, v3
	v_sub_u32_e32 v20, v20, v4
	v_add_u32_e32 v1, v1, v2
	v_add_u32_e32 v31, v74, v31
	v_and_b32_e32 v33, 1, v33
	v_add_u32_e32 v74, v20, v1
	v_and_b32_e32 v32, 1, v32
	v_sub_u32_e32 v74, v31, v74
	v_cmp_eq_u32_e32 vcc, 1, v33
	v_cndmask_b32_e32 v1, v74, v1, vcc
	v_cmp_eq_u32_e32 vcc, 1, v32
	v_cndmask_b32_e32 v1, v1, v20, vcc
	v_lshlrev_b32_e32 v1, 2, v1
	v_sub_u32_e32 v20, v24, v5
	ds_write_b32 v1, v18
	v_sub_u32_e32 v1, v21, v4
	v_add_u32_e32 v20, v20, v2
	v_add_u32_e32 v24, v20, v1
	v_and_b32_e32 v21, 1, v35
	v_sub_u32_e32 v24, v31, v24
	v_and_b32_e32 v18, 1, v34
	v_add_u32_e32 v24, 1, v24
	v_cmp_eq_u32_e32 vcc, 1, v21
	v_cndmask_b32_e32 v20, v24, v20, vcc
	v_cmp_eq_u32_e32 vcc, 1, v18
	v_cndmask_b32_e32 v1, v20, v1, vcc
	v_lshlrev_b32_e32 v1, 2, v1
	ds_write_b32 v1, v19
	v_sub_u32_e32 v19, v25, v5
	v_sub_u32_e32 v1, v26, v4
	v_add_u32_e32 v19, v19, v2
	v_add_u32_e32 v21, v19, v1
	v_and_b32_e32 v20, 1, v37
	v_sub_u32_e32 v21, v31, v21
	v_and_b32_e32 v18, 1, v36
	v_add_u32_e32 v21, 2, v21
	v_cmp_eq_u32_e32 vcc, 1, v20
	v_cndmask_b32_e32 v19, v21, v19, vcc
	v_cmp_eq_u32_e32 vcc, 1, v18
	v_cndmask_b32_e32 v1, v19, v1, vcc
	v_lshlrev_b32_e32 v1, 2, v1
	v_sub_u32_e32 v18, v28, v5
	ds_write_b32 v1, v16
	v_sub_u32_e32 v1, v27, v4
	v_add_u32_e32 v18, v18, v2
	v_add_u32_e32 v20, v1, v18
	v_and_b32_e32 v19, 1, v38
	v_sub_u32_e32 v20, v31, v20
	v_and_b32_e32 v16, 1, v39
	v_add_u32_e32 v20, 3, v20
	v_cmp_eq_u32_e32 vcc, 1, v19
	v_cndmask_b32_e32 v18, v20, v18, vcc
	v_cmp_eq_u32_e32 vcc, 1, v16
	v_cndmask_b32_e32 v1, v18, v1, vcc
	v_lshlrev_b32_e32 v1, 2, v1
	ds_write_b32 v1, v17
	v_sub_u32_e32 v17, v29, v5
	v_sub_u32_e32 v1, v56, v4
	v_add_u32_e32 v17, v17, v2
	v_add_u32_e32 v19, v1, v17
	v_and_b32_e32 v18, 1, v40
	v_sub_u32_e32 v19, v31, v19
	v_and_b32_e32 v16, 1, v41
	v_add_u32_e32 v19, 4, v19
	;; [unrolled: 28-line block ×3, first 2 shown]
	v_cmp_eq_u32_e32 vcc, 1, v16
	v_cndmask_b32_e32 v15, v17, v15, vcc
	v_cmp_eq_u32_e32 vcc, 1, v14
	v_cndmask_b32_e32 v1, v15, v1, vcc
	v_lshlrev_b32_e32 v1, 2, v1
	v_sub_u32_e32 v14, v65, v5
	ds_write_b32 v1, v12
	v_sub_u32_e32 v1, v64, v4
	v_add_u32_e32 v14, v14, v2
	v_add_u32_e32 v16, v1, v14
	v_and_b32_e32 v15, 1, v46
	v_sub_u32_e32 v16, v31, v16
	v_and_b32_e32 v12, 1, v47
	v_add_u32_e32 v16, 7, v16
	v_cmp_eq_u32_e32 vcc, 1, v15
	v_cndmask_b32_e32 v14, v16, v14, vcc
	v_cmp_eq_u32_e32 vcc, 1, v12
	v_cndmask_b32_e32 v1, v14, v1, vcc
	v_lshlrev_b32_e32 v1, 2, v1
	v_add_u32_e32 v59, v64, v59
	ds_write_b32 v1, v13
	v_sub_u32_e32 v13, v66, v5
	v_sub_u32_e32 v1, v59, v4
	v_add_u32_e32 v13, v13, v2
	v_add_u32_e32 v15, v1, v13
	v_and_b32_e32 v14, 1, v48
	v_sub_u32_e32 v15, v31, v15
	v_and_b32_e32 v12, 1, v49
	v_add_u32_e32 v15, 8, v15
	v_cmp_eq_u32_e32 vcc, 1, v14
	v_cndmask_b32_e32 v13, v15, v13, vcc
	v_cmp_eq_u32_e32 vcc, 1, v12
	v_cndmask_b32_e32 v1, v13, v1, vcc
	v_add_u32_e32 v67, v59, v70
	v_lshlrev_b32_e32 v1, 2, v1
	v_sub_u32_e32 v12, v68, v5
	ds_write_b32 v1, v10
	v_sub_u32_e32 v1, v67, v4
	v_add_u32_e32 v12, v12, v2
	v_add_u32_e32 v14, v1, v12
	v_and_b32_e32 v13, 1, v50
	v_sub_u32_e32 v14, v31, v14
	v_and_b32_e32 v10, 1, v51
	v_add_u32_e32 v14, 9, v14
	v_cmp_eq_u32_e32 vcc, 1, v13
	v_cndmask_b32_e32 v12, v14, v12, vcc
	v_cmp_eq_u32_e32 vcc, 1, v10
	v_cndmask_b32_e32 v1, v12, v1, vcc
	v_lshlrev_b32_e32 v1, 2, v1
	v_add_u32_e32 v60, v67, v60
	ds_write_b32 v1, v11
	v_sub_u32_e32 v11, v69, v5
	v_sub_u32_e32 v1, v60, v4
	v_add_u32_e32 v11, v11, v2
	v_add_u32_e32 v13, v1, v11
	v_and_b32_e32 v12, 1, v52
	v_sub_u32_e32 v13, v31, v13
	v_and_b32_e32 v10, 1, v53
	v_add_u32_e32 v13, 10, v13
	v_cmp_eq_u32_e32 vcc, 1, v12
	v_cndmask_b32_e32 v11, v13, v11, vcc
	v_cmp_eq_u32_e32 vcc, 1, v10
	v_cndmask_b32_e32 v1, v11, v1, vcc
	v_add_u32_e32 v70, v60, v72
	v_lshlrev_b32_e32 v1, 2, v1
	v_sub_u32_e32 v10, v71, v5
	ds_write_b32 v1, v8
	v_sub_u32_e32 v1, v70, v4
	v_add_u32_e32 v10, v10, v2
	v_add_u32_e32 v12, v1, v10
	v_and_b32_e32 v11, 1, v54
	v_sub_u32_e32 v12, v31, v12
	v_and_b32_e32 v8, 1, v55
	v_add_u32_e32 v12, 11, v12
	v_cmp_eq_u32_e32 vcc, 1, v11
	v_cndmask_b32_e32 v10, v12, v10, vcc
	v_cmp_eq_u32_e32 vcc, 1, v8
	v_cndmask_b32_e32 v1, v10, v1, vcc
	v_add_u32_e32 v72, v71, v79
	v_add_u32_e32 v61, v70, v61
	v_lshlrev_b32_e32 v1, 2, v1
	ds_write_b32 v1, v9
	v_sub_u32_e32 v1, v61, v4
	v_sub_u32_e32 v4, v72, v5
	v_add_u32_e32 v4, v4, v2
	v_add_u32_e32 v8, v1, v4
	v_sub_u32_e32 v8, v31, v8
	v_add_u32_e32 v8, 12, v8
	v_cndmask_b32_e64 v4, v8, v4, s[58:59]
	v_cndmask_b32_e64 v1, v4, v1, s[46:47]
	v_lshlrev_b32_e32 v1, 2, v1
	ds_write_b32 v1, v30
	v_add_co_u32_e32 v1, vcc, v3, v73
	v_addc_co_u32_e64 v4, s[2:3], 0, 0, vcc
	v_add_co_u32_e32 v1, vcc, v1, v22
	v_addc_co_u32_e32 v4, vcc, v4, v23, vcc
	s_add_u32 s4, s56, s33
	v_add_co_u32_e32 v1, vcc, v1, v6
	s_addc_u32 s5, s57, 0
	v_addc_co_u32_e32 v4, vcc, v4, v7, vcc
	v_mov_b32_e32 v8, s5
	v_sub_co_u32_e32 v1, vcc, s4, v1
	v_subb_co_u32_e32 v4, vcc, v8, v4, vcc
	v_lshlrev_b64 v[8:9], 2, v[22:23]
	v_mov_b32_e32 v10, s55
	v_add_co_u32_e32 v8, vcc, s54, v8
	v_addc_co_u32_e32 v9, vcc, v10, v9, vcc
	v_lshlrev_b64 v[10:11], 2, v[6:7]
	v_mov_b32_e32 v13, s53
	v_add_co_u32_e32 v10, vcc, s52, v10
	s_add_u32 s6, s34, -4
	v_addc_co_u32_e32 v11, vcc, v13, v11, vcc
	s_addc_u32 s7, s35, -1
	v_add_u32_e32 v12, v2, v3
	s_and_b64 vcc, exec, s[0:1]
	s_mov_b64 s[0:1], -1
	s_waitcnt lgkmcnt(0)
	s_barrier
	s_cbranch_vccz .LBB1157_129
; %bb.126:
	s_and_b64 vcc, exec, s[0:1]
	s_cbranch_vccnz .LBB1157_234
.LBB1157_127:
	v_cmp_eq_u32_e32 vcc, 0, v0
	s_and_b64 s[0:1], vcc, s[30:31]
	s_and_saveexec_b64 s[2:3], s[0:1]
	s_cbranch_execnz .LBB1157_352
.LBB1157_128:
	s_endpgm
.LBB1157_129:
	v_cmp_le_u32_e32 vcc, v2, v0
	s_and_saveexec_b64 s[0:1], vcc
	s_xor_b64 s[0:1], exec, s[0:1]
	s_cbranch_execz .LBB1157_135
; %bb.130:
	v_cmp_le_u32_e32 vcc, v12, v0
	s_and_saveexec_b64 s[2:3], vcc
	s_xor_b64 s[2:3], exec, s[2:3]
	s_cbranch_execz .LBB1157_132
; %bb.131:
	v_lshlrev_b32_e32 v13, 2, v0
	v_add_co_u32_e32 v14, vcc, v1, v0
	ds_read_b32 v13, v13
	v_addc_co_u32_e32 v15, vcc, 0, v4, vcc
	v_lshlrev_b64 v[14:15], 2, v[14:15]
	v_mov_b32_e32 v16, s35
	v_sub_co_u32_e32 v14, vcc, s34, v14
	v_subb_co_u32_e32 v15, vcc, v16, v15, vcc
	s_waitcnt lgkmcnt(0)
	global_store_dword v[14:15], v13, off offset:-4
.LBB1157_132:
	s_andn2_saveexec_b64 s[2:3], s[2:3]
	s_cbranch_execz .LBB1157_134
; %bb.133:
	v_lshlrev_b32_e32 v13, 2, v0
	ds_read_b32 v14, v13
	v_readfirstlane_b32 s4, v8
	v_readfirstlane_b32 s5, v9
	s_waitcnt lgkmcnt(0)
	s_nop 3
	global_store_dword v13, v14, s[4:5]
.LBB1157_134:
	s_or_b64 exec, exec, s[2:3]
.LBB1157_135:
	s_andn2_saveexec_b64 s[0:1], s[0:1]
	s_cbranch_execz .LBB1157_137
; %bb.136:
	v_lshlrev_b32_e32 v13, 2, v0
	ds_read_b32 v14, v13
	v_readfirstlane_b32 s2, v10
	v_readfirstlane_b32 s3, v11
	s_waitcnt lgkmcnt(0)
	s_nop 3
	global_store_dword v13, v14, s[2:3]
.LBB1157_137:
	s_or_b64 exec, exec, s[0:1]
	v_or_b32_e32 v13, 0x100, v0
	v_cmp_le_u32_e32 vcc, v2, v13
	s_and_saveexec_b64 s[0:1], vcc
	s_xor_b64 s[0:1], exec, s[0:1]
	s_cbranch_execz .LBB1157_143
; %bb.138:
	v_cmp_le_u32_e32 vcc, v12, v13
	s_and_saveexec_b64 s[2:3], vcc
	s_xor_b64 s[2:3], exec, s[2:3]
	s_cbranch_execz .LBB1157_140
; %bb.139:
	v_lshlrev_b32_e32 v13, 2, v0
	ds_read_b32 v13, v13 offset:1024
	v_add_co_u32_e32 v14, vcc, v1, v0
	v_addc_co_u32_e32 v15, vcc, 0, v4, vcc
	v_lshlrev_b64 v[14:15], 2, v[14:15]
	v_mov_b32_e32 v16, s7
	v_sub_co_u32_e32 v14, vcc, s6, v14
	v_subb_co_u32_e32 v15, vcc, v16, v15, vcc
	s_waitcnt lgkmcnt(0)
	global_store_dword v[14:15], v13, off offset:-1024
.LBB1157_140:
	s_andn2_saveexec_b64 s[2:3], s[2:3]
	s_cbranch_execz .LBB1157_142
; %bb.141:
	v_lshlrev_b32_e32 v13, 2, v0
	ds_read_b32 v14, v13 offset:1024
	v_readfirstlane_b32 s4, v8
	v_readfirstlane_b32 s5, v9
	s_waitcnt lgkmcnt(0)
	s_nop 3
	global_store_dword v13, v14, s[4:5] offset:1024
.LBB1157_142:
	s_or_b64 exec, exec, s[2:3]
.LBB1157_143:
	s_andn2_saveexec_b64 s[0:1], s[0:1]
	s_cbranch_execz .LBB1157_145
; %bb.144:
	v_lshlrev_b32_e32 v13, 2, v0
	ds_read_b32 v14, v13 offset:1024
	v_readfirstlane_b32 s2, v10
	v_readfirstlane_b32 s3, v11
	s_waitcnt lgkmcnt(0)
	s_nop 3
	global_store_dword v13, v14, s[2:3] offset:1024
.LBB1157_145:
	s_or_b64 exec, exec, s[0:1]
	v_or_b32_e32 v13, 0x200, v0
	v_cmp_le_u32_e32 vcc, v2, v13
	s_and_saveexec_b64 s[0:1], vcc
	s_xor_b64 s[0:1], exec, s[0:1]
	s_cbranch_execz .LBB1157_151
; %bb.146:
	v_cmp_le_u32_e32 vcc, v12, v13
	s_and_saveexec_b64 s[2:3], vcc
	s_xor_b64 s[2:3], exec, s[2:3]
	s_cbranch_execz .LBB1157_148
; %bb.147:
	v_lshlrev_b32_e32 v13, 2, v0
	ds_read_b32 v13, v13 offset:2048
	v_add_co_u32_e32 v14, vcc, v1, v0
	v_addc_co_u32_e32 v15, vcc, 0, v4, vcc
	v_lshlrev_b64 v[14:15], 2, v[14:15]
	v_mov_b32_e32 v16, s7
	v_sub_co_u32_e32 v14, vcc, s6, v14
	v_subb_co_u32_e32 v15, vcc, v16, v15, vcc
	s_waitcnt lgkmcnt(0)
	global_store_dword v[14:15], v13, off offset:-2048
.LBB1157_148:
	s_andn2_saveexec_b64 s[2:3], s[2:3]
	s_cbranch_execz .LBB1157_150
; %bb.149:
	v_lshlrev_b32_e32 v13, 2, v0
	ds_read_b32 v14, v13 offset:2048
	v_readfirstlane_b32 s4, v8
	v_readfirstlane_b32 s5, v9
	s_waitcnt lgkmcnt(0)
	s_nop 3
	global_store_dword v13, v14, s[4:5] offset:2048
.LBB1157_150:
	s_or_b64 exec, exec, s[2:3]
.LBB1157_151:
	s_andn2_saveexec_b64 s[0:1], s[0:1]
	s_cbranch_execz .LBB1157_153
; %bb.152:
	v_lshlrev_b32_e32 v13, 2, v0
	ds_read_b32 v14, v13 offset:2048
	v_readfirstlane_b32 s2, v10
	v_readfirstlane_b32 s3, v11
	s_waitcnt lgkmcnt(0)
	s_nop 3
	global_store_dword v13, v14, s[2:3] offset:2048
.LBB1157_153:
	s_or_b64 exec, exec, s[0:1]
	v_or_b32_e32 v13, 0x300, v0
	v_cmp_le_u32_e32 vcc, v2, v13
	s_and_saveexec_b64 s[0:1], vcc
	s_xor_b64 s[0:1], exec, s[0:1]
	s_cbranch_execz .LBB1157_159
; %bb.154:
	v_cmp_le_u32_e32 vcc, v12, v13
	s_and_saveexec_b64 s[2:3], vcc
	s_xor_b64 s[2:3], exec, s[2:3]
	s_cbranch_execz .LBB1157_156
; %bb.155:
	v_lshlrev_b32_e32 v13, 2, v0
	ds_read_b32 v13, v13 offset:3072
	v_add_co_u32_e32 v14, vcc, v1, v0
	v_addc_co_u32_e32 v15, vcc, 0, v4, vcc
	v_lshlrev_b64 v[14:15], 2, v[14:15]
	v_mov_b32_e32 v16, s7
	v_sub_co_u32_e32 v14, vcc, s6, v14
	v_subb_co_u32_e32 v15, vcc, v16, v15, vcc
	s_waitcnt lgkmcnt(0)
	global_store_dword v[14:15], v13, off offset:-3072
.LBB1157_156:
	s_andn2_saveexec_b64 s[2:3], s[2:3]
	s_cbranch_execz .LBB1157_158
; %bb.157:
	v_lshlrev_b32_e32 v13, 2, v0
	ds_read_b32 v14, v13 offset:3072
	v_readfirstlane_b32 s4, v8
	v_readfirstlane_b32 s5, v9
	s_waitcnt lgkmcnt(0)
	s_nop 3
	global_store_dword v13, v14, s[4:5] offset:3072
.LBB1157_158:
	s_or_b64 exec, exec, s[2:3]
.LBB1157_159:
	s_andn2_saveexec_b64 s[0:1], s[0:1]
	s_cbranch_execz .LBB1157_161
; %bb.160:
	v_lshlrev_b32_e32 v13, 2, v0
	ds_read_b32 v14, v13 offset:3072
	v_readfirstlane_b32 s2, v10
	v_readfirstlane_b32 s3, v11
	s_waitcnt lgkmcnt(0)
	s_nop 3
	global_store_dword v13, v14, s[2:3] offset:3072
.LBB1157_161:
	s_or_b64 exec, exec, s[0:1]
	v_or_b32_e32 v13, 0x400, v0
	v_cmp_le_u32_e32 vcc, v2, v13
	s_and_saveexec_b64 s[0:1], vcc
	s_xor_b64 s[0:1], exec, s[0:1]
	s_cbranch_execz .LBB1157_167
; %bb.162:
	v_cmp_le_u32_e32 vcc, v12, v13
	s_and_saveexec_b64 s[2:3], vcc
	s_xor_b64 s[2:3], exec, s[2:3]
	s_cbranch_execz .LBB1157_164
; %bb.163:
	v_lshlrev_b32_e32 v13, 2, v0
	ds_read_b32 v13, v13 offset:4096
	v_add_co_u32_e32 v14, vcc, v1, v0
	v_addc_co_u32_e32 v15, vcc, 0, v4, vcc
	v_lshlrev_b64 v[14:15], 2, v[14:15]
	v_mov_b32_e32 v16, s7
	v_sub_co_u32_e32 v14, vcc, s6, v14
	v_subb_co_u32_e32 v15, vcc, v16, v15, vcc
	s_waitcnt lgkmcnt(0)
	global_store_dword v[14:15], v13, off offset:-4096
                                        ; implicit-def: $vgpr13
.LBB1157_164:
	s_andn2_saveexec_b64 s[2:3], s[2:3]
	s_cbranch_execz .LBB1157_166
; %bb.165:
	v_lshlrev_b32_e32 v14, 2, v0
	ds_read_b32 v14, v14 offset:4096
	v_lshlrev_b32_e32 v13, 2, v13
	v_readfirstlane_b32 s4, v8
	v_readfirstlane_b32 s5, v9
	s_waitcnt lgkmcnt(0)
	s_nop 3
	global_store_dword v13, v14, s[4:5]
.LBB1157_166:
	s_or_b64 exec, exec, s[2:3]
                                        ; implicit-def: $vgpr13
.LBB1157_167:
	s_andn2_saveexec_b64 s[0:1], s[0:1]
	s_cbranch_execz .LBB1157_169
; %bb.168:
	v_lshlrev_b32_e32 v14, 2, v0
	ds_read_b32 v14, v14 offset:4096
	v_lshlrev_b32_e32 v13, 2, v13
	v_readfirstlane_b32 s2, v10
	v_readfirstlane_b32 s3, v11
	s_waitcnt lgkmcnt(0)
	s_nop 3
	global_store_dword v13, v14, s[2:3]
.LBB1157_169:
	s_or_b64 exec, exec, s[0:1]
	v_or_b32_e32 v13, 0x500, v0
	v_cmp_le_u32_e32 vcc, v2, v13
	s_and_saveexec_b64 s[0:1], vcc
	s_xor_b64 s[0:1], exec, s[0:1]
	s_cbranch_execz .LBB1157_175
; %bb.170:
	v_cmp_le_u32_e32 vcc, v12, v13
	s_and_saveexec_b64 s[2:3], vcc
	s_xor_b64 s[2:3], exec, s[2:3]
	s_cbranch_execz .LBB1157_172
; %bb.171:
	v_add_co_u32_e32 v14, vcc, v1, v13
	v_lshlrev_b32_e32 v13, 2, v0
	ds_read_b32 v13, v13 offset:5120
	v_addc_co_u32_e32 v15, vcc, 0, v4, vcc
	v_lshlrev_b64 v[14:15], 2, v[14:15]
	v_mov_b32_e32 v16, s7
	v_sub_co_u32_e32 v14, vcc, s6, v14
	v_subb_co_u32_e32 v15, vcc, v16, v15, vcc
	s_waitcnt lgkmcnt(0)
	global_store_dword v[14:15], v13, off
                                        ; implicit-def: $vgpr13
.LBB1157_172:
	s_andn2_saveexec_b64 s[2:3], s[2:3]
	s_cbranch_execz .LBB1157_174
; %bb.173:
	v_lshlrev_b32_e32 v14, 2, v0
	ds_read_b32 v14, v14 offset:5120
	v_lshlrev_b32_e32 v13, 2, v13
	v_readfirstlane_b32 s4, v8
	v_readfirstlane_b32 s5, v9
	s_waitcnt lgkmcnt(0)
	s_nop 3
	global_store_dword v13, v14, s[4:5]
.LBB1157_174:
	s_or_b64 exec, exec, s[2:3]
                                        ; implicit-def: $vgpr13
.LBB1157_175:
	s_andn2_saveexec_b64 s[0:1], s[0:1]
	s_cbranch_execz .LBB1157_177
; %bb.176:
	v_lshlrev_b32_e32 v14, 2, v0
	ds_read_b32 v14, v14 offset:5120
	v_lshlrev_b32_e32 v13, 2, v13
	v_readfirstlane_b32 s2, v10
	v_readfirstlane_b32 s3, v11
	s_waitcnt lgkmcnt(0)
	s_nop 3
	global_store_dword v13, v14, s[2:3]
.LBB1157_177:
	s_or_b64 exec, exec, s[0:1]
	v_or_b32_e32 v13, 0x600, v0
	v_cmp_le_u32_e32 vcc, v2, v13
	s_and_saveexec_b64 s[0:1], vcc
	s_xor_b64 s[0:1], exec, s[0:1]
	s_cbranch_execz .LBB1157_183
; %bb.178:
	v_cmp_le_u32_e32 vcc, v12, v13
	s_and_saveexec_b64 s[2:3], vcc
	s_xor_b64 s[2:3], exec, s[2:3]
	s_cbranch_execz .LBB1157_180
; %bb.179:
	v_add_co_u32_e32 v14, vcc, v1, v13
	v_lshlrev_b32_e32 v13, 2, v0
	ds_read_b32 v13, v13 offset:6144
	v_addc_co_u32_e32 v15, vcc, 0, v4, vcc
	v_lshlrev_b64 v[14:15], 2, v[14:15]
	v_mov_b32_e32 v16, s7
	v_sub_co_u32_e32 v14, vcc, s6, v14
	v_subb_co_u32_e32 v15, vcc, v16, v15, vcc
	s_waitcnt lgkmcnt(0)
	global_store_dword v[14:15], v13, off
                                        ; implicit-def: $vgpr13
.LBB1157_180:
	s_andn2_saveexec_b64 s[2:3], s[2:3]
	s_cbranch_execz .LBB1157_182
; %bb.181:
	v_lshlrev_b32_e32 v14, 2, v0
	ds_read_b32 v14, v14 offset:6144
	v_lshlrev_b32_e32 v13, 2, v13
	v_readfirstlane_b32 s4, v8
	v_readfirstlane_b32 s5, v9
	s_waitcnt lgkmcnt(0)
	s_nop 3
	global_store_dword v13, v14, s[4:5]
.LBB1157_182:
	s_or_b64 exec, exec, s[2:3]
                                        ; implicit-def: $vgpr13
.LBB1157_183:
	;; [unrolled: 51-line block ×8, first 2 shown]
	s_andn2_saveexec_b64 s[0:1], s[0:1]
	s_cbranch_execz .LBB1157_233
; %bb.232:
	v_lshlrev_b32_e32 v14, 2, v0
	ds_read_b32 v14, v14 offset:12288
	v_lshlrev_b32_e32 v13, 2, v13
	v_readfirstlane_b32 s2, v10
	v_readfirstlane_b32 s3, v11
	s_waitcnt lgkmcnt(0)
	s_nop 3
	global_store_dword v13, v14, s[2:3]
.LBB1157_233:
	s_or_b64 exec, exec, s[0:1]
	s_branch .LBB1157_127
.LBB1157_234:
	v_cmp_gt_u32_e32 vcc, s18, v0
	s_and_saveexec_b64 s[0:1], vcc
	s_cbranch_execz .LBB1157_243
; %bb.235:
	v_cmp_le_u32_e32 vcc, v2, v0
	s_and_saveexec_b64 s[2:3], vcc
	s_xor_b64 s[2:3], exec, s[2:3]
	s_cbranch_execz .LBB1157_241
; %bb.236:
	v_cmp_le_u32_e32 vcc, v12, v0
	s_and_saveexec_b64 s[4:5], vcc
	s_xor_b64 s[4:5], exec, s[4:5]
	s_cbranch_execz .LBB1157_238
; %bb.237:
	v_lshlrev_b32_e32 v13, 2, v0
	v_add_co_u32_e32 v14, vcc, v1, v0
	ds_read_b32 v13, v13
	v_addc_co_u32_e32 v15, vcc, 0, v4, vcc
	v_lshlrev_b64 v[14:15], 2, v[14:15]
	v_mov_b32_e32 v16, s35
	v_sub_co_u32_e32 v14, vcc, s34, v14
	v_subb_co_u32_e32 v15, vcc, v16, v15, vcc
	s_waitcnt lgkmcnt(0)
	global_store_dword v[14:15], v13, off offset:-4
.LBB1157_238:
	s_andn2_saveexec_b64 s[4:5], s[4:5]
	s_cbranch_execz .LBB1157_240
; %bb.239:
	v_lshlrev_b32_e32 v13, 2, v0
	ds_read_b32 v14, v13
	v_readfirstlane_b32 s8, v8
	v_readfirstlane_b32 s9, v9
	s_waitcnt lgkmcnt(0)
	s_nop 3
	global_store_dword v13, v14, s[8:9]
.LBB1157_240:
	s_or_b64 exec, exec, s[4:5]
.LBB1157_241:
	s_andn2_saveexec_b64 s[2:3], s[2:3]
	s_cbranch_execz .LBB1157_243
; %bb.242:
	v_lshlrev_b32_e32 v13, 2, v0
	ds_read_b32 v14, v13
	v_readfirstlane_b32 s2, v10
	v_readfirstlane_b32 s3, v11
	s_waitcnt lgkmcnt(0)
	s_nop 3
	global_store_dword v13, v14, s[2:3]
.LBB1157_243:
	s_or_b64 exec, exec, s[0:1]
	v_or_b32_e32 v13, 0x100, v0
	v_cmp_gt_u32_e32 vcc, s18, v13
	s_and_saveexec_b64 s[0:1], vcc
	s_cbranch_execz .LBB1157_252
; %bb.244:
	v_cmp_le_u32_e32 vcc, v2, v13
	s_and_saveexec_b64 s[2:3], vcc
	s_xor_b64 s[2:3], exec, s[2:3]
	s_cbranch_execz .LBB1157_250
; %bb.245:
	v_cmp_le_u32_e32 vcc, v12, v13
	s_and_saveexec_b64 s[4:5], vcc
	s_xor_b64 s[4:5], exec, s[4:5]
	s_cbranch_execz .LBB1157_247
; %bb.246:
	v_lshlrev_b32_e32 v13, 2, v0
	ds_read_b32 v13, v13 offset:1024
	v_add_co_u32_e32 v14, vcc, v1, v0
	v_addc_co_u32_e32 v15, vcc, 0, v4, vcc
	v_lshlrev_b64 v[14:15], 2, v[14:15]
	v_mov_b32_e32 v16, s7
	v_sub_co_u32_e32 v14, vcc, s6, v14
	v_subb_co_u32_e32 v15, vcc, v16, v15, vcc
	s_waitcnt lgkmcnt(0)
	global_store_dword v[14:15], v13, off offset:-1024
.LBB1157_247:
	s_andn2_saveexec_b64 s[4:5], s[4:5]
	s_cbranch_execz .LBB1157_249
; %bb.248:
	v_lshlrev_b32_e32 v13, 2, v0
	ds_read_b32 v14, v13 offset:1024
	v_readfirstlane_b32 s8, v8
	v_readfirstlane_b32 s9, v9
	s_waitcnt lgkmcnt(0)
	s_nop 3
	global_store_dword v13, v14, s[8:9] offset:1024
.LBB1157_249:
	s_or_b64 exec, exec, s[4:5]
.LBB1157_250:
	s_andn2_saveexec_b64 s[2:3], s[2:3]
	s_cbranch_execz .LBB1157_252
; %bb.251:
	v_lshlrev_b32_e32 v13, 2, v0
	ds_read_b32 v14, v13 offset:1024
	v_readfirstlane_b32 s2, v10
	v_readfirstlane_b32 s3, v11
	s_waitcnt lgkmcnt(0)
	s_nop 3
	global_store_dword v13, v14, s[2:3] offset:1024
.LBB1157_252:
	s_or_b64 exec, exec, s[0:1]
	v_or_b32_e32 v13, 0x200, v0
	v_cmp_gt_u32_e32 vcc, s18, v13
	s_and_saveexec_b64 s[0:1], vcc
	s_cbranch_execz .LBB1157_261
; %bb.253:
	v_cmp_le_u32_e32 vcc, v2, v13
	s_and_saveexec_b64 s[2:3], vcc
	s_xor_b64 s[2:3], exec, s[2:3]
	s_cbranch_execz .LBB1157_259
; %bb.254:
	v_cmp_le_u32_e32 vcc, v12, v13
	s_and_saveexec_b64 s[4:5], vcc
	s_xor_b64 s[4:5], exec, s[4:5]
	s_cbranch_execz .LBB1157_256
; %bb.255:
	v_lshlrev_b32_e32 v13, 2, v0
	ds_read_b32 v13, v13 offset:2048
	v_add_co_u32_e32 v14, vcc, v1, v0
	v_addc_co_u32_e32 v15, vcc, 0, v4, vcc
	v_lshlrev_b64 v[14:15], 2, v[14:15]
	v_mov_b32_e32 v16, s7
	v_sub_co_u32_e32 v14, vcc, s6, v14
	v_subb_co_u32_e32 v15, vcc, v16, v15, vcc
	s_waitcnt lgkmcnt(0)
	global_store_dword v[14:15], v13, off offset:-2048
.LBB1157_256:
	s_andn2_saveexec_b64 s[4:5], s[4:5]
	s_cbranch_execz .LBB1157_258
; %bb.257:
	v_lshlrev_b32_e32 v13, 2, v0
	ds_read_b32 v14, v13 offset:2048
	v_readfirstlane_b32 s8, v8
	v_readfirstlane_b32 s9, v9
	s_waitcnt lgkmcnt(0)
	s_nop 3
	global_store_dword v13, v14, s[8:9] offset:2048
.LBB1157_258:
	s_or_b64 exec, exec, s[4:5]
.LBB1157_259:
	s_andn2_saveexec_b64 s[2:3], s[2:3]
	s_cbranch_execz .LBB1157_261
; %bb.260:
	v_lshlrev_b32_e32 v13, 2, v0
	ds_read_b32 v14, v13 offset:2048
	v_readfirstlane_b32 s2, v10
	v_readfirstlane_b32 s3, v11
	s_waitcnt lgkmcnt(0)
	s_nop 3
	global_store_dword v13, v14, s[2:3] offset:2048
.LBB1157_261:
	;; [unrolled: 51-line block ×3, first 2 shown]
	s_or_b64 exec, exec, s[0:1]
	v_or_b32_e32 v13, 0x400, v0
	v_cmp_gt_u32_e32 vcc, s18, v13
	s_and_saveexec_b64 s[0:1], vcc
	s_cbranch_execz .LBB1157_279
; %bb.271:
	v_cmp_le_u32_e32 vcc, v2, v13
	s_and_saveexec_b64 s[2:3], vcc
	s_xor_b64 s[2:3], exec, s[2:3]
	s_cbranch_execz .LBB1157_277
; %bb.272:
	v_cmp_le_u32_e32 vcc, v12, v13
	s_and_saveexec_b64 s[4:5], vcc
	s_xor_b64 s[4:5], exec, s[4:5]
	s_cbranch_execz .LBB1157_274
; %bb.273:
	v_lshlrev_b32_e32 v13, 2, v0
	ds_read_b32 v13, v13 offset:4096
	v_add_co_u32_e32 v14, vcc, v1, v0
	v_addc_co_u32_e32 v15, vcc, 0, v4, vcc
	v_lshlrev_b64 v[14:15], 2, v[14:15]
	v_mov_b32_e32 v16, s7
	v_sub_co_u32_e32 v14, vcc, s6, v14
	v_subb_co_u32_e32 v15, vcc, v16, v15, vcc
	s_waitcnt lgkmcnt(0)
	global_store_dword v[14:15], v13, off offset:-4096
                                        ; implicit-def: $vgpr13
.LBB1157_274:
	s_andn2_saveexec_b64 s[4:5], s[4:5]
	s_cbranch_execz .LBB1157_276
; %bb.275:
	v_lshlrev_b32_e32 v14, 2, v0
	ds_read_b32 v14, v14 offset:4096
	v_lshlrev_b32_e32 v13, 2, v13
	v_readfirstlane_b32 s8, v8
	v_readfirstlane_b32 s9, v9
	s_waitcnt lgkmcnt(0)
	s_nop 3
	global_store_dword v13, v14, s[8:9]
.LBB1157_276:
	s_or_b64 exec, exec, s[4:5]
                                        ; implicit-def: $vgpr13
.LBB1157_277:
	s_andn2_saveexec_b64 s[2:3], s[2:3]
	s_cbranch_execz .LBB1157_279
; %bb.278:
	v_lshlrev_b32_e32 v14, 2, v0
	ds_read_b32 v14, v14 offset:4096
	v_lshlrev_b32_e32 v13, 2, v13
	v_readfirstlane_b32 s2, v10
	v_readfirstlane_b32 s3, v11
	s_waitcnt lgkmcnt(0)
	s_nop 3
	global_store_dword v13, v14, s[2:3]
.LBB1157_279:
	s_or_b64 exec, exec, s[0:1]
	v_or_b32_e32 v13, 0x500, v0
	v_cmp_gt_u32_e32 vcc, s18, v13
	s_and_saveexec_b64 s[0:1], vcc
	s_cbranch_execz .LBB1157_288
; %bb.280:
	v_cmp_le_u32_e32 vcc, v2, v13
	s_and_saveexec_b64 s[2:3], vcc
	s_xor_b64 s[2:3], exec, s[2:3]
	s_cbranch_execz .LBB1157_286
; %bb.281:
	v_cmp_le_u32_e32 vcc, v12, v13
	s_and_saveexec_b64 s[4:5], vcc
	s_xor_b64 s[4:5], exec, s[4:5]
	s_cbranch_execz .LBB1157_283
; %bb.282:
	v_add_co_u32_e32 v14, vcc, v1, v13
	v_lshlrev_b32_e32 v13, 2, v0
	ds_read_b32 v13, v13 offset:5120
	v_addc_co_u32_e32 v15, vcc, 0, v4, vcc
	v_lshlrev_b64 v[14:15], 2, v[14:15]
	v_mov_b32_e32 v16, s7
	v_sub_co_u32_e32 v14, vcc, s6, v14
	v_subb_co_u32_e32 v15, vcc, v16, v15, vcc
	s_waitcnt lgkmcnt(0)
	global_store_dword v[14:15], v13, off
                                        ; implicit-def: $vgpr13
.LBB1157_283:
	s_andn2_saveexec_b64 s[4:5], s[4:5]
	s_cbranch_execz .LBB1157_285
; %bb.284:
	v_lshlrev_b32_e32 v14, 2, v0
	ds_read_b32 v14, v14 offset:5120
	v_lshlrev_b32_e32 v13, 2, v13
	v_readfirstlane_b32 s8, v8
	v_readfirstlane_b32 s9, v9
	s_waitcnt lgkmcnt(0)
	s_nop 3
	global_store_dword v13, v14, s[8:9]
.LBB1157_285:
	s_or_b64 exec, exec, s[4:5]
                                        ; implicit-def: $vgpr13
.LBB1157_286:
	s_andn2_saveexec_b64 s[2:3], s[2:3]
	s_cbranch_execz .LBB1157_288
; %bb.287:
	v_lshlrev_b32_e32 v14, 2, v0
	ds_read_b32 v14, v14 offset:5120
	v_lshlrev_b32_e32 v13, 2, v13
	v_readfirstlane_b32 s2, v10
	v_readfirstlane_b32 s3, v11
	s_waitcnt lgkmcnt(0)
	s_nop 3
	global_store_dword v13, v14, s[2:3]
.LBB1157_288:
	s_or_b64 exec, exec, s[0:1]
	v_or_b32_e32 v13, 0x600, v0
	v_cmp_gt_u32_e32 vcc, s18, v13
	s_and_saveexec_b64 s[0:1], vcc
	s_cbranch_execz .LBB1157_297
; %bb.289:
	v_cmp_le_u32_e32 vcc, v2, v13
	s_and_saveexec_b64 s[2:3], vcc
	s_xor_b64 s[2:3], exec, s[2:3]
	s_cbranch_execz .LBB1157_295
; %bb.290:
	v_cmp_le_u32_e32 vcc, v12, v13
	s_and_saveexec_b64 s[4:5], vcc
	s_xor_b64 s[4:5], exec, s[4:5]
	s_cbranch_execz .LBB1157_292
; %bb.291:
	v_add_co_u32_e32 v14, vcc, v1, v13
	v_lshlrev_b32_e32 v13, 2, v0
	ds_read_b32 v13, v13 offset:6144
	v_addc_co_u32_e32 v15, vcc, 0, v4, vcc
	v_lshlrev_b64 v[14:15], 2, v[14:15]
	v_mov_b32_e32 v16, s7
	v_sub_co_u32_e32 v14, vcc, s6, v14
	v_subb_co_u32_e32 v15, vcc, v16, v15, vcc
	s_waitcnt lgkmcnt(0)
	global_store_dword v[14:15], v13, off
                                        ; implicit-def: $vgpr13
.LBB1157_292:
	s_andn2_saveexec_b64 s[4:5], s[4:5]
	s_cbranch_execz .LBB1157_294
; %bb.293:
	v_lshlrev_b32_e32 v14, 2, v0
	ds_read_b32 v14, v14 offset:6144
	v_lshlrev_b32_e32 v13, 2, v13
	v_readfirstlane_b32 s8, v8
	v_readfirstlane_b32 s9, v9
	s_waitcnt lgkmcnt(0)
	s_nop 3
	global_store_dword v13, v14, s[8:9]
.LBB1157_294:
	s_or_b64 exec, exec, s[4:5]
                                        ; implicit-def: $vgpr13
.LBB1157_295:
	s_andn2_saveexec_b64 s[2:3], s[2:3]
	s_cbranch_execz .LBB1157_297
; %bb.296:
	v_lshlrev_b32_e32 v14, 2, v0
	ds_read_b32 v14, v14 offset:6144
	v_lshlrev_b32_e32 v13, 2, v13
	v_readfirstlane_b32 s2, v10
	v_readfirstlane_b32 s3, v11
	s_waitcnt lgkmcnt(0)
	s_nop 3
	global_store_dword v13, v14, s[2:3]
.LBB1157_297:
	;; [unrolled: 55-line block ×7, first 2 shown]
	s_or_b64 exec, exec, s[0:1]
	v_or_b32_e32 v13, 0xc00, v0
	v_cmp_gt_u32_e32 vcc, s18, v13
	s_and_saveexec_b64 s[0:1], vcc
	s_cbranch_execz .LBB1157_351
; %bb.343:
	v_cmp_le_u32_e32 vcc, v2, v13
	s_and_saveexec_b64 s[2:3], vcc
	s_xor_b64 s[2:3], exec, s[2:3]
	s_cbranch_execz .LBB1157_349
; %bb.344:
	v_cmp_le_u32_e32 vcc, v12, v13
	s_and_saveexec_b64 s[4:5], vcc
	s_xor_b64 s[4:5], exec, s[4:5]
	s_cbranch_execz .LBB1157_346
; %bb.345:
	v_add_co_u32_e32 v8, vcc, v1, v13
	v_lshlrev_b32_e32 v1, 2, v0
	ds_read_b32 v1, v1 offset:12288
	v_addc_co_u32_e32 v9, vcc, 0, v4, vcc
	v_lshlrev_b64 v[8:9], 2, v[8:9]
	v_mov_b32_e32 v4, s7
	v_sub_co_u32_e32 v8, vcc, s6, v8
	v_subb_co_u32_e32 v9, vcc, v4, v9, vcc
	s_waitcnt lgkmcnt(0)
	global_store_dword v[8:9], v1, off
                                        ; implicit-def: $vgpr13
                                        ; implicit-def: $vgpr8_vgpr9
.LBB1157_346:
	s_andn2_saveexec_b64 s[4:5], s[4:5]
	s_cbranch_execz .LBB1157_348
; %bb.347:
	v_lshlrev_b32_e32 v1, 2, v0
	ds_read_b32 v1, v1 offset:12288
	v_lshlrev_b32_e32 v4, 2, v13
	v_readfirstlane_b32 s6, v8
	v_readfirstlane_b32 s7, v9
	s_waitcnt lgkmcnt(0)
	s_nop 3
	global_store_dword v4, v1, s[6:7]
.LBB1157_348:
	s_or_b64 exec, exec, s[4:5]
                                        ; implicit-def: $vgpr13
                                        ; implicit-def: $vgpr10_vgpr11
.LBB1157_349:
	s_andn2_saveexec_b64 s[2:3], s[2:3]
	s_cbranch_execz .LBB1157_351
; %bb.350:
	v_lshlrev_b32_e32 v1, 2, v0
	ds_read_b32 v1, v1 offset:12288
	v_lshlrev_b32_e32 v4, 2, v13
	v_readfirstlane_b32 s2, v10
	v_readfirstlane_b32 s3, v11
	s_waitcnt lgkmcnt(0)
	s_nop 3
	global_store_dword v4, v1, s[2:3]
.LBB1157_351:
	s_or_b64 exec, exec, s[0:1]
	v_cmp_eq_u32_e32 vcc, 0, v0
	s_and_b64 s[0:1], vcc, s[30:31]
	s_and_saveexec_b64 s[2:3], s[0:1]
	s_cbranch_execz .LBB1157_128
.LBB1157_352:
	v_add_co_u32_e32 v0, vcc, v6, v2
	v_addc_co_u32_e32 v1, vcc, 0, v7, vcc
	v_mov_b32_e32 v2, s51
	v_add_co_u32_e32 v3, vcc, s50, v3
	v_addc_co_u32_e32 v6, vcc, 0, v2, vcc
	v_add_co_u32_e32 v2, vcc, v3, v5
	v_mov_b32_e32 v4, 0
	v_addc_co_u32_e32 v3, vcc, 0, v6, vcc
	global_store_dwordx4 v4, v[0:3], s[44:45]
	s_endpgm
	.section	.rodata,"a",@progbits
	.p2align	6, 0x0
	.amdhsa_kernel _ZN7rocprim17ROCPRIM_400000_NS6detail17trampoline_kernelINS0_13select_configILj256ELj13ELNS0_17block_load_methodE3ELS4_3ELS4_3ELNS0_20block_scan_algorithmE0ELj4294967295EEENS1_25partition_config_selectorILNS1_17partition_subalgoE4EjNS0_10empty_typeEbEEZZNS1_14partition_implILS8_4ELb0ES6_15HIP_vector_typeIjLj2EENS0_17counting_iteratorIjlEEPS9_SG_NS0_5tupleIJPjSI_NS0_16reverse_iteratorISI_EEEEENSH_IJSG_SG_SG_EEES9_SI_JZNS1_25segmented_radix_sort_implINS0_14default_configELb0EPKdPdPKlPlN2at6native12_GLOBAL__N_18offset_tEEE10hipError_tPvRmT1_PNSt15iterator_traitsIS12_E10value_typeET2_T3_PNS13_IS18_E10value_typeET4_jRbjT5_S1E_jjP12ihipStream_tbEUljE_ZNSN_ISO_Lb0ESQ_SR_ST_SU_SY_EESZ_S10_S11_S12_S16_S17_S18_S1B_S1C_jS1D_jS1E_S1E_jjS1G_bEUljE0_EEESZ_S10_S11_S18_S1C_S1E_T6_T7_T9_mT8_S1G_bDpT10_ENKUlT_T0_E_clISt17integral_constantIbLb0EES1U_EEDaS1P_S1Q_EUlS1P_E_NS1_11comp_targetILNS1_3genE4ELNS1_11target_archE910ELNS1_3gpuE8ELNS1_3repE0EEENS1_30default_config_static_selectorELNS0_4arch9wavefront6targetE1EEEvS12_
		.amdhsa_group_segment_fixed_size 13340
		.amdhsa_private_segment_fixed_size 0
		.amdhsa_kernarg_size 176
		.amdhsa_user_sgpr_count 6
		.amdhsa_user_sgpr_private_segment_buffer 1
		.amdhsa_user_sgpr_dispatch_ptr 0
		.amdhsa_user_sgpr_queue_ptr 0
		.amdhsa_user_sgpr_kernarg_segment_ptr 1
		.amdhsa_user_sgpr_dispatch_id 0
		.amdhsa_user_sgpr_flat_scratch_init 0
		.amdhsa_user_sgpr_kernarg_preload_length 0
		.amdhsa_user_sgpr_kernarg_preload_offset 0
		.amdhsa_user_sgpr_private_segment_size 0
		.amdhsa_uses_dynamic_stack 0
		.amdhsa_system_sgpr_private_segment_wavefront_offset 0
		.amdhsa_system_sgpr_workgroup_id_x 1
		.amdhsa_system_sgpr_workgroup_id_y 0
		.amdhsa_system_sgpr_workgroup_id_z 0
		.amdhsa_system_sgpr_workgroup_info 0
		.amdhsa_system_vgpr_workitem_id 0
		.amdhsa_next_free_vgpr 102
		.amdhsa_next_free_sgpr 90
		.amdhsa_accum_offset 104
		.amdhsa_reserve_vcc 1
		.amdhsa_reserve_flat_scratch 0
		.amdhsa_float_round_mode_32 0
		.amdhsa_float_round_mode_16_64 0
		.amdhsa_float_denorm_mode_32 3
		.amdhsa_float_denorm_mode_16_64 3
		.amdhsa_dx10_clamp 1
		.amdhsa_ieee_mode 1
		.amdhsa_fp16_overflow 0
		.amdhsa_tg_split 0
		.amdhsa_exception_fp_ieee_invalid_op 0
		.amdhsa_exception_fp_denorm_src 0
		.amdhsa_exception_fp_ieee_div_zero 0
		.amdhsa_exception_fp_ieee_overflow 0
		.amdhsa_exception_fp_ieee_underflow 0
		.amdhsa_exception_fp_ieee_inexact 0
		.amdhsa_exception_int_div_zero 0
	.end_amdhsa_kernel
	.section	.text._ZN7rocprim17ROCPRIM_400000_NS6detail17trampoline_kernelINS0_13select_configILj256ELj13ELNS0_17block_load_methodE3ELS4_3ELS4_3ELNS0_20block_scan_algorithmE0ELj4294967295EEENS1_25partition_config_selectorILNS1_17partition_subalgoE4EjNS0_10empty_typeEbEEZZNS1_14partition_implILS8_4ELb0ES6_15HIP_vector_typeIjLj2EENS0_17counting_iteratorIjlEEPS9_SG_NS0_5tupleIJPjSI_NS0_16reverse_iteratorISI_EEEEENSH_IJSG_SG_SG_EEES9_SI_JZNS1_25segmented_radix_sort_implINS0_14default_configELb0EPKdPdPKlPlN2at6native12_GLOBAL__N_18offset_tEEE10hipError_tPvRmT1_PNSt15iterator_traitsIS12_E10value_typeET2_T3_PNS13_IS18_E10value_typeET4_jRbjT5_S1E_jjP12ihipStream_tbEUljE_ZNSN_ISO_Lb0ESQ_SR_ST_SU_SY_EESZ_S10_S11_S12_S16_S17_S18_S1B_S1C_jS1D_jS1E_S1E_jjS1G_bEUljE0_EEESZ_S10_S11_S18_S1C_S1E_T6_T7_T9_mT8_S1G_bDpT10_ENKUlT_T0_E_clISt17integral_constantIbLb0EES1U_EEDaS1P_S1Q_EUlS1P_E_NS1_11comp_targetILNS1_3genE4ELNS1_11target_archE910ELNS1_3gpuE8ELNS1_3repE0EEENS1_30default_config_static_selectorELNS0_4arch9wavefront6targetE1EEEvS12_,"axG",@progbits,_ZN7rocprim17ROCPRIM_400000_NS6detail17trampoline_kernelINS0_13select_configILj256ELj13ELNS0_17block_load_methodE3ELS4_3ELS4_3ELNS0_20block_scan_algorithmE0ELj4294967295EEENS1_25partition_config_selectorILNS1_17partition_subalgoE4EjNS0_10empty_typeEbEEZZNS1_14partition_implILS8_4ELb0ES6_15HIP_vector_typeIjLj2EENS0_17counting_iteratorIjlEEPS9_SG_NS0_5tupleIJPjSI_NS0_16reverse_iteratorISI_EEEEENSH_IJSG_SG_SG_EEES9_SI_JZNS1_25segmented_radix_sort_implINS0_14default_configELb0EPKdPdPKlPlN2at6native12_GLOBAL__N_18offset_tEEE10hipError_tPvRmT1_PNSt15iterator_traitsIS12_E10value_typeET2_T3_PNS13_IS18_E10value_typeET4_jRbjT5_S1E_jjP12ihipStream_tbEUljE_ZNSN_ISO_Lb0ESQ_SR_ST_SU_SY_EESZ_S10_S11_S12_S16_S17_S18_S1B_S1C_jS1D_jS1E_S1E_jjS1G_bEUljE0_EEESZ_S10_S11_S18_S1C_S1E_T6_T7_T9_mT8_S1G_bDpT10_ENKUlT_T0_E_clISt17integral_constantIbLb0EES1U_EEDaS1P_S1Q_EUlS1P_E_NS1_11comp_targetILNS1_3genE4ELNS1_11target_archE910ELNS1_3gpuE8ELNS1_3repE0EEENS1_30default_config_static_selectorELNS0_4arch9wavefront6targetE1EEEvS12_,comdat
.Lfunc_end1157:
	.size	_ZN7rocprim17ROCPRIM_400000_NS6detail17trampoline_kernelINS0_13select_configILj256ELj13ELNS0_17block_load_methodE3ELS4_3ELS4_3ELNS0_20block_scan_algorithmE0ELj4294967295EEENS1_25partition_config_selectorILNS1_17partition_subalgoE4EjNS0_10empty_typeEbEEZZNS1_14partition_implILS8_4ELb0ES6_15HIP_vector_typeIjLj2EENS0_17counting_iteratorIjlEEPS9_SG_NS0_5tupleIJPjSI_NS0_16reverse_iteratorISI_EEEEENSH_IJSG_SG_SG_EEES9_SI_JZNS1_25segmented_radix_sort_implINS0_14default_configELb0EPKdPdPKlPlN2at6native12_GLOBAL__N_18offset_tEEE10hipError_tPvRmT1_PNSt15iterator_traitsIS12_E10value_typeET2_T3_PNS13_IS18_E10value_typeET4_jRbjT5_S1E_jjP12ihipStream_tbEUljE_ZNSN_ISO_Lb0ESQ_SR_ST_SU_SY_EESZ_S10_S11_S12_S16_S17_S18_S1B_S1C_jS1D_jS1E_S1E_jjS1G_bEUljE0_EEESZ_S10_S11_S18_S1C_S1E_T6_T7_T9_mT8_S1G_bDpT10_ENKUlT_T0_E_clISt17integral_constantIbLb0EES1U_EEDaS1P_S1Q_EUlS1P_E_NS1_11comp_targetILNS1_3genE4ELNS1_11target_archE910ELNS1_3gpuE8ELNS1_3repE0EEENS1_30default_config_static_selectorELNS0_4arch9wavefront6targetE1EEEvS12_, .Lfunc_end1157-_ZN7rocprim17ROCPRIM_400000_NS6detail17trampoline_kernelINS0_13select_configILj256ELj13ELNS0_17block_load_methodE3ELS4_3ELS4_3ELNS0_20block_scan_algorithmE0ELj4294967295EEENS1_25partition_config_selectorILNS1_17partition_subalgoE4EjNS0_10empty_typeEbEEZZNS1_14partition_implILS8_4ELb0ES6_15HIP_vector_typeIjLj2EENS0_17counting_iteratorIjlEEPS9_SG_NS0_5tupleIJPjSI_NS0_16reverse_iteratorISI_EEEEENSH_IJSG_SG_SG_EEES9_SI_JZNS1_25segmented_radix_sort_implINS0_14default_configELb0EPKdPdPKlPlN2at6native12_GLOBAL__N_18offset_tEEE10hipError_tPvRmT1_PNSt15iterator_traitsIS12_E10value_typeET2_T3_PNS13_IS18_E10value_typeET4_jRbjT5_S1E_jjP12ihipStream_tbEUljE_ZNSN_ISO_Lb0ESQ_SR_ST_SU_SY_EESZ_S10_S11_S12_S16_S17_S18_S1B_S1C_jS1D_jS1E_S1E_jjS1G_bEUljE0_EEESZ_S10_S11_S18_S1C_S1E_T6_T7_T9_mT8_S1G_bDpT10_ENKUlT_T0_E_clISt17integral_constantIbLb0EES1U_EEDaS1P_S1Q_EUlS1P_E_NS1_11comp_targetILNS1_3genE4ELNS1_11target_archE910ELNS1_3gpuE8ELNS1_3repE0EEENS1_30default_config_static_selectorELNS0_4arch9wavefront6targetE1EEEvS12_
                                        ; -- End function
	.section	.AMDGPU.csdata,"",@progbits
; Kernel info:
; codeLenInByte = 13332
; NumSgprs: 94
; NumVgprs: 102
; NumAgprs: 0
; TotalNumVgprs: 102
; ScratchSize: 0
; MemoryBound: 0
; FloatMode: 240
; IeeeMode: 1
; LDSByteSize: 13340 bytes/workgroup (compile time only)
; SGPRBlocks: 11
; VGPRBlocks: 12
; NumSGPRsForWavesPerEU: 94
; NumVGPRsForWavesPerEU: 102
; AccumOffset: 104
; Occupancy: 4
; WaveLimiterHint : 1
; COMPUTE_PGM_RSRC2:SCRATCH_EN: 0
; COMPUTE_PGM_RSRC2:USER_SGPR: 6
; COMPUTE_PGM_RSRC2:TRAP_HANDLER: 0
; COMPUTE_PGM_RSRC2:TGID_X_EN: 1
; COMPUTE_PGM_RSRC2:TGID_Y_EN: 0
; COMPUTE_PGM_RSRC2:TGID_Z_EN: 0
; COMPUTE_PGM_RSRC2:TIDIG_COMP_CNT: 0
; COMPUTE_PGM_RSRC3_GFX90A:ACCUM_OFFSET: 25
; COMPUTE_PGM_RSRC3_GFX90A:TG_SPLIT: 0
	.section	.text._ZN7rocprim17ROCPRIM_400000_NS6detail17trampoline_kernelINS0_13select_configILj256ELj13ELNS0_17block_load_methodE3ELS4_3ELS4_3ELNS0_20block_scan_algorithmE0ELj4294967295EEENS1_25partition_config_selectorILNS1_17partition_subalgoE4EjNS0_10empty_typeEbEEZZNS1_14partition_implILS8_4ELb0ES6_15HIP_vector_typeIjLj2EENS0_17counting_iteratorIjlEEPS9_SG_NS0_5tupleIJPjSI_NS0_16reverse_iteratorISI_EEEEENSH_IJSG_SG_SG_EEES9_SI_JZNS1_25segmented_radix_sort_implINS0_14default_configELb0EPKdPdPKlPlN2at6native12_GLOBAL__N_18offset_tEEE10hipError_tPvRmT1_PNSt15iterator_traitsIS12_E10value_typeET2_T3_PNS13_IS18_E10value_typeET4_jRbjT5_S1E_jjP12ihipStream_tbEUljE_ZNSN_ISO_Lb0ESQ_SR_ST_SU_SY_EESZ_S10_S11_S12_S16_S17_S18_S1B_S1C_jS1D_jS1E_S1E_jjS1G_bEUljE0_EEESZ_S10_S11_S18_S1C_S1E_T6_T7_T9_mT8_S1G_bDpT10_ENKUlT_T0_E_clISt17integral_constantIbLb0EES1U_EEDaS1P_S1Q_EUlS1P_E_NS1_11comp_targetILNS1_3genE3ELNS1_11target_archE908ELNS1_3gpuE7ELNS1_3repE0EEENS1_30default_config_static_selectorELNS0_4arch9wavefront6targetE1EEEvS12_,"axG",@progbits,_ZN7rocprim17ROCPRIM_400000_NS6detail17trampoline_kernelINS0_13select_configILj256ELj13ELNS0_17block_load_methodE3ELS4_3ELS4_3ELNS0_20block_scan_algorithmE0ELj4294967295EEENS1_25partition_config_selectorILNS1_17partition_subalgoE4EjNS0_10empty_typeEbEEZZNS1_14partition_implILS8_4ELb0ES6_15HIP_vector_typeIjLj2EENS0_17counting_iteratorIjlEEPS9_SG_NS0_5tupleIJPjSI_NS0_16reverse_iteratorISI_EEEEENSH_IJSG_SG_SG_EEES9_SI_JZNS1_25segmented_radix_sort_implINS0_14default_configELb0EPKdPdPKlPlN2at6native12_GLOBAL__N_18offset_tEEE10hipError_tPvRmT1_PNSt15iterator_traitsIS12_E10value_typeET2_T3_PNS13_IS18_E10value_typeET4_jRbjT5_S1E_jjP12ihipStream_tbEUljE_ZNSN_ISO_Lb0ESQ_SR_ST_SU_SY_EESZ_S10_S11_S12_S16_S17_S18_S1B_S1C_jS1D_jS1E_S1E_jjS1G_bEUljE0_EEESZ_S10_S11_S18_S1C_S1E_T6_T7_T9_mT8_S1G_bDpT10_ENKUlT_T0_E_clISt17integral_constantIbLb0EES1U_EEDaS1P_S1Q_EUlS1P_E_NS1_11comp_targetILNS1_3genE3ELNS1_11target_archE908ELNS1_3gpuE7ELNS1_3repE0EEENS1_30default_config_static_selectorELNS0_4arch9wavefront6targetE1EEEvS12_,comdat
	.globl	_ZN7rocprim17ROCPRIM_400000_NS6detail17trampoline_kernelINS0_13select_configILj256ELj13ELNS0_17block_load_methodE3ELS4_3ELS4_3ELNS0_20block_scan_algorithmE0ELj4294967295EEENS1_25partition_config_selectorILNS1_17partition_subalgoE4EjNS0_10empty_typeEbEEZZNS1_14partition_implILS8_4ELb0ES6_15HIP_vector_typeIjLj2EENS0_17counting_iteratorIjlEEPS9_SG_NS0_5tupleIJPjSI_NS0_16reverse_iteratorISI_EEEEENSH_IJSG_SG_SG_EEES9_SI_JZNS1_25segmented_radix_sort_implINS0_14default_configELb0EPKdPdPKlPlN2at6native12_GLOBAL__N_18offset_tEEE10hipError_tPvRmT1_PNSt15iterator_traitsIS12_E10value_typeET2_T3_PNS13_IS18_E10value_typeET4_jRbjT5_S1E_jjP12ihipStream_tbEUljE_ZNSN_ISO_Lb0ESQ_SR_ST_SU_SY_EESZ_S10_S11_S12_S16_S17_S18_S1B_S1C_jS1D_jS1E_S1E_jjS1G_bEUljE0_EEESZ_S10_S11_S18_S1C_S1E_T6_T7_T9_mT8_S1G_bDpT10_ENKUlT_T0_E_clISt17integral_constantIbLb0EES1U_EEDaS1P_S1Q_EUlS1P_E_NS1_11comp_targetILNS1_3genE3ELNS1_11target_archE908ELNS1_3gpuE7ELNS1_3repE0EEENS1_30default_config_static_selectorELNS0_4arch9wavefront6targetE1EEEvS12_ ; -- Begin function _ZN7rocprim17ROCPRIM_400000_NS6detail17trampoline_kernelINS0_13select_configILj256ELj13ELNS0_17block_load_methodE3ELS4_3ELS4_3ELNS0_20block_scan_algorithmE0ELj4294967295EEENS1_25partition_config_selectorILNS1_17partition_subalgoE4EjNS0_10empty_typeEbEEZZNS1_14partition_implILS8_4ELb0ES6_15HIP_vector_typeIjLj2EENS0_17counting_iteratorIjlEEPS9_SG_NS0_5tupleIJPjSI_NS0_16reverse_iteratorISI_EEEEENSH_IJSG_SG_SG_EEES9_SI_JZNS1_25segmented_radix_sort_implINS0_14default_configELb0EPKdPdPKlPlN2at6native12_GLOBAL__N_18offset_tEEE10hipError_tPvRmT1_PNSt15iterator_traitsIS12_E10value_typeET2_T3_PNS13_IS18_E10value_typeET4_jRbjT5_S1E_jjP12ihipStream_tbEUljE_ZNSN_ISO_Lb0ESQ_SR_ST_SU_SY_EESZ_S10_S11_S12_S16_S17_S18_S1B_S1C_jS1D_jS1E_S1E_jjS1G_bEUljE0_EEESZ_S10_S11_S18_S1C_S1E_T6_T7_T9_mT8_S1G_bDpT10_ENKUlT_T0_E_clISt17integral_constantIbLb0EES1U_EEDaS1P_S1Q_EUlS1P_E_NS1_11comp_targetILNS1_3genE3ELNS1_11target_archE908ELNS1_3gpuE7ELNS1_3repE0EEENS1_30default_config_static_selectorELNS0_4arch9wavefront6targetE1EEEvS12_
	.p2align	8
	.type	_ZN7rocprim17ROCPRIM_400000_NS6detail17trampoline_kernelINS0_13select_configILj256ELj13ELNS0_17block_load_methodE3ELS4_3ELS4_3ELNS0_20block_scan_algorithmE0ELj4294967295EEENS1_25partition_config_selectorILNS1_17partition_subalgoE4EjNS0_10empty_typeEbEEZZNS1_14partition_implILS8_4ELb0ES6_15HIP_vector_typeIjLj2EENS0_17counting_iteratorIjlEEPS9_SG_NS0_5tupleIJPjSI_NS0_16reverse_iteratorISI_EEEEENSH_IJSG_SG_SG_EEES9_SI_JZNS1_25segmented_radix_sort_implINS0_14default_configELb0EPKdPdPKlPlN2at6native12_GLOBAL__N_18offset_tEEE10hipError_tPvRmT1_PNSt15iterator_traitsIS12_E10value_typeET2_T3_PNS13_IS18_E10value_typeET4_jRbjT5_S1E_jjP12ihipStream_tbEUljE_ZNSN_ISO_Lb0ESQ_SR_ST_SU_SY_EESZ_S10_S11_S12_S16_S17_S18_S1B_S1C_jS1D_jS1E_S1E_jjS1G_bEUljE0_EEESZ_S10_S11_S18_S1C_S1E_T6_T7_T9_mT8_S1G_bDpT10_ENKUlT_T0_E_clISt17integral_constantIbLb0EES1U_EEDaS1P_S1Q_EUlS1P_E_NS1_11comp_targetILNS1_3genE3ELNS1_11target_archE908ELNS1_3gpuE7ELNS1_3repE0EEENS1_30default_config_static_selectorELNS0_4arch9wavefront6targetE1EEEvS12_,@function
_ZN7rocprim17ROCPRIM_400000_NS6detail17trampoline_kernelINS0_13select_configILj256ELj13ELNS0_17block_load_methodE3ELS4_3ELS4_3ELNS0_20block_scan_algorithmE0ELj4294967295EEENS1_25partition_config_selectorILNS1_17partition_subalgoE4EjNS0_10empty_typeEbEEZZNS1_14partition_implILS8_4ELb0ES6_15HIP_vector_typeIjLj2EENS0_17counting_iteratorIjlEEPS9_SG_NS0_5tupleIJPjSI_NS0_16reverse_iteratorISI_EEEEENSH_IJSG_SG_SG_EEES9_SI_JZNS1_25segmented_radix_sort_implINS0_14default_configELb0EPKdPdPKlPlN2at6native12_GLOBAL__N_18offset_tEEE10hipError_tPvRmT1_PNSt15iterator_traitsIS12_E10value_typeET2_T3_PNS13_IS18_E10value_typeET4_jRbjT5_S1E_jjP12ihipStream_tbEUljE_ZNSN_ISO_Lb0ESQ_SR_ST_SU_SY_EESZ_S10_S11_S12_S16_S17_S18_S1B_S1C_jS1D_jS1E_S1E_jjS1G_bEUljE0_EEESZ_S10_S11_S18_S1C_S1E_T6_T7_T9_mT8_S1G_bDpT10_ENKUlT_T0_E_clISt17integral_constantIbLb0EES1U_EEDaS1P_S1Q_EUlS1P_E_NS1_11comp_targetILNS1_3genE3ELNS1_11target_archE908ELNS1_3gpuE7ELNS1_3repE0EEENS1_30default_config_static_selectorELNS0_4arch9wavefront6targetE1EEEvS12_: ; @_ZN7rocprim17ROCPRIM_400000_NS6detail17trampoline_kernelINS0_13select_configILj256ELj13ELNS0_17block_load_methodE3ELS4_3ELS4_3ELNS0_20block_scan_algorithmE0ELj4294967295EEENS1_25partition_config_selectorILNS1_17partition_subalgoE4EjNS0_10empty_typeEbEEZZNS1_14partition_implILS8_4ELb0ES6_15HIP_vector_typeIjLj2EENS0_17counting_iteratorIjlEEPS9_SG_NS0_5tupleIJPjSI_NS0_16reverse_iteratorISI_EEEEENSH_IJSG_SG_SG_EEES9_SI_JZNS1_25segmented_radix_sort_implINS0_14default_configELb0EPKdPdPKlPlN2at6native12_GLOBAL__N_18offset_tEEE10hipError_tPvRmT1_PNSt15iterator_traitsIS12_E10value_typeET2_T3_PNS13_IS18_E10value_typeET4_jRbjT5_S1E_jjP12ihipStream_tbEUljE_ZNSN_ISO_Lb0ESQ_SR_ST_SU_SY_EESZ_S10_S11_S12_S16_S17_S18_S1B_S1C_jS1D_jS1E_S1E_jjS1G_bEUljE0_EEESZ_S10_S11_S18_S1C_S1E_T6_T7_T9_mT8_S1G_bDpT10_ENKUlT_T0_E_clISt17integral_constantIbLb0EES1U_EEDaS1P_S1Q_EUlS1P_E_NS1_11comp_targetILNS1_3genE3ELNS1_11target_archE908ELNS1_3gpuE7ELNS1_3repE0EEENS1_30default_config_static_selectorELNS0_4arch9wavefront6targetE1EEEvS12_
; %bb.0:
	.section	.rodata,"a",@progbits
	.p2align	6, 0x0
	.amdhsa_kernel _ZN7rocprim17ROCPRIM_400000_NS6detail17trampoline_kernelINS0_13select_configILj256ELj13ELNS0_17block_load_methodE3ELS4_3ELS4_3ELNS0_20block_scan_algorithmE0ELj4294967295EEENS1_25partition_config_selectorILNS1_17partition_subalgoE4EjNS0_10empty_typeEbEEZZNS1_14partition_implILS8_4ELb0ES6_15HIP_vector_typeIjLj2EENS0_17counting_iteratorIjlEEPS9_SG_NS0_5tupleIJPjSI_NS0_16reverse_iteratorISI_EEEEENSH_IJSG_SG_SG_EEES9_SI_JZNS1_25segmented_radix_sort_implINS0_14default_configELb0EPKdPdPKlPlN2at6native12_GLOBAL__N_18offset_tEEE10hipError_tPvRmT1_PNSt15iterator_traitsIS12_E10value_typeET2_T3_PNS13_IS18_E10value_typeET4_jRbjT5_S1E_jjP12ihipStream_tbEUljE_ZNSN_ISO_Lb0ESQ_SR_ST_SU_SY_EESZ_S10_S11_S12_S16_S17_S18_S1B_S1C_jS1D_jS1E_S1E_jjS1G_bEUljE0_EEESZ_S10_S11_S18_S1C_S1E_T6_T7_T9_mT8_S1G_bDpT10_ENKUlT_T0_E_clISt17integral_constantIbLb0EES1U_EEDaS1P_S1Q_EUlS1P_E_NS1_11comp_targetILNS1_3genE3ELNS1_11target_archE908ELNS1_3gpuE7ELNS1_3repE0EEENS1_30default_config_static_selectorELNS0_4arch9wavefront6targetE1EEEvS12_
		.amdhsa_group_segment_fixed_size 0
		.amdhsa_private_segment_fixed_size 0
		.amdhsa_kernarg_size 176
		.amdhsa_user_sgpr_count 6
		.amdhsa_user_sgpr_private_segment_buffer 1
		.amdhsa_user_sgpr_dispatch_ptr 0
		.amdhsa_user_sgpr_queue_ptr 0
		.amdhsa_user_sgpr_kernarg_segment_ptr 1
		.amdhsa_user_sgpr_dispatch_id 0
		.amdhsa_user_sgpr_flat_scratch_init 0
		.amdhsa_user_sgpr_kernarg_preload_length 0
		.amdhsa_user_sgpr_kernarg_preload_offset 0
		.amdhsa_user_sgpr_private_segment_size 0
		.amdhsa_uses_dynamic_stack 0
		.amdhsa_system_sgpr_private_segment_wavefront_offset 0
		.amdhsa_system_sgpr_workgroup_id_x 1
		.amdhsa_system_sgpr_workgroup_id_y 0
		.amdhsa_system_sgpr_workgroup_id_z 0
		.amdhsa_system_sgpr_workgroup_info 0
		.amdhsa_system_vgpr_workitem_id 0
		.amdhsa_next_free_vgpr 1
		.amdhsa_next_free_sgpr 0
		.amdhsa_accum_offset 4
		.amdhsa_reserve_vcc 0
		.amdhsa_reserve_flat_scratch 0
		.amdhsa_float_round_mode_32 0
		.amdhsa_float_round_mode_16_64 0
		.amdhsa_float_denorm_mode_32 3
		.amdhsa_float_denorm_mode_16_64 3
		.amdhsa_dx10_clamp 1
		.amdhsa_ieee_mode 1
		.amdhsa_fp16_overflow 0
		.amdhsa_tg_split 0
		.amdhsa_exception_fp_ieee_invalid_op 0
		.amdhsa_exception_fp_denorm_src 0
		.amdhsa_exception_fp_ieee_div_zero 0
		.amdhsa_exception_fp_ieee_overflow 0
		.amdhsa_exception_fp_ieee_underflow 0
		.amdhsa_exception_fp_ieee_inexact 0
		.amdhsa_exception_int_div_zero 0
	.end_amdhsa_kernel
	.section	.text._ZN7rocprim17ROCPRIM_400000_NS6detail17trampoline_kernelINS0_13select_configILj256ELj13ELNS0_17block_load_methodE3ELS4_3ELS4_3ELNS0_20block_scan_algorithmE0ELj4294967295EEENS1_25partition_config_selectorILNS1_17partition_subalgoE4EjNS0_10empty_typeEbEEZZNS1_14partition_implILS8_4ELb0ES6_15HIP_vector_typeIjLj2EENS0_17counting_iteratorIjlEEPS9_SG_NS0_5tupleIJPjSI_NS0_16reverse_iteratorISI_EEEEENSH_IJSG_SG_SG_EEES9_SI_JZNS1_25segmented_radix_sort_implINS0_14default_configELb0EPKdPdPKlPlN2at6native12_GLOBAL__N_18offset_tEEE10hipError_tPvRmT1_PNSt15iterator_traitsIS12_E10value_typeET2_T3_PNS13_IS18_E10value_typeET4_jRbjT5_S1E_jjP12ihipStream_tbEUljE_ZNSN_ISO_Lb0ESQ_SR_ST_SU_SY_EESZ_S10_S11_S12_S16_S17_S18_S1B_S1C_jS1D_jS1E_S1E_jjS1G_bEUljE0_EEESZ_S10_S11_S18_S1C_S1E_T6_T7_T9_mT8_S1G_bDpT10_ENKUlT_T0_E_clISt17integral_constantIbLb0EES1U_EEDaS1P_S1Q_EUlS1P_E_NS1_11comp_targetILNS1_3genE3ELNS1_11target_archE908ELNS1_3gpuE7ELNS1_3repE0EEENS1_30default_config_static_selectorELNS0_4arch9wavefront6targetE1EEEvS12_,"axG",@progbits,_ZN7rocprim17ROCPRIM_400000_NS6detail17trampoline_kernelINS0_13select_configILj256ELj13ELNS0_17block_load_methodE3ELS4_3ELS4_3ELNS0_20block_scan_algorithmE0ELj4294967295EEENS1_25partition_config_selectorILNS1_17partition_subalgoE4EjNS0_10empty_typeEbEEZZNS1_14partition_implILS8_4ELb0ES6_15HIP_vector_typeIjLj2EENS0_17counting_iteratorIjlEEPS9_SG_NS0_5tupleIJPjSI_NS0_16reverse_iteratorISI_EEEEENSH_IJSG_SG_SG_EEES9_SI_JZNS1_25segmented_radix_sort_implINS0_14default_configELb0EPKdPdPKlPlN2at6native12_GLOBAL__N_18offset_tEEE10hipError_tPvRmT1_PNSt15iterator_traitsIS12_E10value_typeET2_T3_PNS13_IS18_E10value_typeET4_jRbjT5_S1E_jjP12ihipStream_tbEUljE_ZNSN_ISO_Lb0ESQ_SR_ST_SU_SY_EESZ_S10_S11_S12_S16_S17_S18_S1B_S1C_jS1D_jS1E_S1E_jjS1G_bEUljE0_EEESZ_S10_S11_S18_S1C_S1E_T6_T7_T9_mT8_S1G_bDpT10_ENKUlT_T0_E_clISt17integral_constantIbLb0EES1U_EEDaS1P_S1Q_EUlS1P_E_NS1_11comp_targetILNS1_3genE3ELNS1_11target_archE908ELNS1_3gpuE7ELNS1_3repE0EEENS1_30default_config_static_selectorELNS0_4arch9wavefront6targetE1EEEvS12_,comdat
.Lfunc_end1158:
	.size	_ZN7rocprim17ROCPRIM_400000_NS6detail17trampoline_kernelINS0_13select_configILj256ELj13ELNS0_17block_load_methodE3ELS4_3ELS4_3ELNS0_20block_scan_algorithmE0ELj4294967295EEENS1_25partition_config_selectorILNS1_17partition_subalgoE4EjNS0_10empty_typeEbEEZZNS1_14partition_implILS8_4ELb0ES6_15HIP_vector_typeIjLj2EENS0_17counting_iteratorIjlEEPS9_SG_NS0_5tupleIJPjSI_NS0_16reverse_iteratorISI_EEEEENSH_IJSG_SG_SG_EEES9_SI_JZNS1_25segmented_radix_sort_implINS0_14default_configELb0EPKdPdPKlPlN2at6native12_GLOBAL__N_18offset_tEEE10hipError_tPvRmT1_PNSt15iterator_traitsIS12_E10value_typeET2_T3_PNS13_IS18_E10value_typeET4_jRbjT5_S1E_jjP12ihipStream_tbEUljE_ZNSN_ISO_Lb0ESQ_SR_ST_SU_SY_EESZ_S10_S11_S12_S16_S17_S18_S1B_S1C_jS1D_jS1E_S1E_jjS1G_bEUljE0_EEESZ_S10_S11_S18_S1C_S1E_T6_T7_T9_mT8_S1G_bDpT10_ENKUlT_T0_E_clISt17integral_constantIbLb0EES1U_EEDaS1P_S1Q_EUlS1P_E_NS1_11comp_targetILNS1_3genE3ELNS1_11target_archE908ELNS1_3gpuE7ELNS1_3repE0EEENS1_30default_config_static_selectorELNS0_4arch9wavefront6targetE1EEEvS12_, .Lfunc_end1158-_ZN7rocprim17ROCPRIM_400000_NS6detail17trampoline_kernelINS0_13select_configILj256ELj13ELNS0_17block_load_methodE3ELS4_3ELS4_3ELNS0_20block_scan_algorithmE0ELj4294967295EEENS1_25partition_config_selectorILNS1_17partition_subalgoE4EjNS0_10empty_typeEbEEZZNS1_14partition_implILS8_4ELb0ES6_15HIP_vector_typeIjLj2EENS0_17counting_iteratorIjlEEPS9_SG_NS0_5tupleIJPjSI_NS0_16reverse_iteratorISI_EEEEENSH_IJSG_SG_SG_EEES9_SI_JZNS1_25segmented_radix_sort_implINS0_14default_configELb0EPKdPdPKlPlN2at6native12_GLOBAL__N_18offset_tEEE10hipError_tPvRmT1_PNSt15iterator_traitsIS12_E10value_typeET2_T3_PNS13_IS18_E10value_typeET4_jRbjT5_S1E_jjP12ihipStream_tbEUljE_ZNSN_ISO_Lb0ESQ_SR_ST_SU_SY_EESZ_S10_S11_S12_S16_S17_S18_S1B_S1C_jS1D_jS1E_S1E_jjS1G_bEUljE0_EEESZ_S10_S11_S18_S1C_S1E_T6_T7_T9_mT8_S1G_bDpT10_ENKUlT_T0_E_clISt17integral_constantIbLb0EES1U_EEDaS1P_S1Q_EUlS1P_E_NS1_11comp_targetILNS1_3genE3ELNS1_11target_archE908ELNS1_3gpuE7ELNS1_3repE0EEENS1_30default_config_static_selectorELNS0_4arch9wavefront6targetE1EEEvS12_
                                        ; -- End function
	.section	.AMDGPU.csdata,"",@progbits
; Kernel info:
; codeLenInByte = 0
; NumSgprs: 4
; NumVgprs: 0
; NumAgprs: 0
; TotalNumVgprs: 0
; ScratchSize: 0
; MemoryBound: 0
; FloatMode: 240
; IeeeMode: 1
; LDSByteSize: 0 bytes/workgroup (compile time only)
; SGPRBlocks: 0
; VGPRBlocks: 0
; NumSGPRsForWavesPerEU: 4
; NumVGPRsForWavesPerEU: 1
; AccumOffset: 4
; Occupancy: 8
; WaveLimiterHint : 0
; COMPUTE_PGM_RSRC2:SCRATCH_EN: 0
; COMPUTE_PGM_RSRC2:USER_SGPR: 6
; COMPUTE_PGM_RSRC2:TRAP_HANDLER: 0
; COMPUTE_PGM_RSRC2:TGID_X_EN: 1
; COMPUTE_PGM_RSRC2:TGID_Y_EN: 0
; COMPUTE_PGM_RSRC2:TGID_Z_EN: 0
; COMPUTE_PGM_RSRC2:TIDIG_COMP_CNT: 0
; COMPUTE_PGM_RSRC3_GFX90A:ACCUM_OFFSET: 0
; COMPUTE_PGM_RSRC3_GFX90A:TG_SPLIT: 0
	.section	.text._ZN7rocprim17ROCPRIM_400000_NS6detail17trampoline_kernelINS0_13select_configILj256ELj13ELNS0_17block_load_methodE3ELS4_3ELS4_3ELNS0_20block_scan_algorithmE0ELj4294967295EEENS1_25partition_config_selectorILNS1_17partition_subalgoE4EjNS0_10empty_typeEbEEZZNS1_14partition_implILS8_4ELb0ES6_15HIP_vector_typeIjLj2EENS0_17counting_iteratorIjlEEPS9_SG_NS0_5tupleIJPjSI_NS0_16reverse_iteratorISI_EEEEENSH_IJSG_SG_SG_EEES9_SI_JZNS1_25segmented_radix_sort_implINS0_14default_configELb0EPKdPdPKlPlN2at6native12_GLOBAL__N_18offset_tEEE10hipError_tPvRmT1_PNSt15iterator_traitsIS12_E10value_typeET2_T3_PNS13_IS18_E10value_typeET4_jRbjT5_S1E_jjP12ihipStream_tbEUljE_ZNSN_ISO_Lb0ESQ_SR_ST_SU_SY_EESZ_S10_S11_S12_S16_S17_S18_S1B_S1C_jS1D_jS1E_S1E_jjS1G_bEUljE0_EEESZ_S10_S11_S18_S1C_S1E_T6_T7_T9_mT8_S1G_bDpT10_ENKUlT_T0_E_clISt17integral_constantIbLb0EES1U_EEDaS1P_S1Q_EUlS1P_E_NS1_11comp_targetILNS1_3genE2ELNS1_11target_archE906ELNS1_3gpuE6ELNS1_3repE0EEENS1_30default_config_static_selectorELNS0_4arch9wavefront6targetE1EEEvS12_,"axG",@progbits,_ZN7rocprim17ROCPRIM_400000_NS6detail17trampoline_kernelINS0_13select_configILj256ELj13ELNS0_17block_load_methodE3ELS4_3ELS4_3ELNS0_20block_scan_algorithmE0ELj4294967295EEENS1_25partition_config_selectorILNS1_17partition_subalgoE4EjNS0_10empty_typeEbEEZZNS1_14partition_implILS8_4ELb0ES6_15HIP_vector_typeIjLj2EENS0_17counting_iteratorIjlEEPS9_SG_NS0_5tupleIJPjSI_NS0_16reverse_iteratorISI_EEEEENSH_IJSG_SG_SG_EEES9_SI_JZNS1_25segmented_radix_sort_implINS0_14default_configELb0EPKdPdPKlPlN2at6native12_GLOBAL__N_18offset_tEEE10hipError_tPvRmT1_PNSt15iterator_traitsIS12_E10value_typeET2_T3_PNS13_IS18_E10value_typeET4_jRbjT5_S1E_jjP12ihipStream_tbEUljE_ZNSN_ISO_Lb0ESQ_SR_ST_SU_SY_EESZ_S10_S11_S12_S16_S17_S18_S1B_S1C_jS1D_jS1E_S1E_jjS1G_bEUljE0_EEESZ_S10_S11_S18_S1C_S1E_T6_T7_T9_mT8_S1G_bDpT10_ENKUlT_T0_E_clISt17integral_constantIbLb0EES1U_EEDaS1P_S1Q_EUlS1P_E_NS1_11comp_targetILNS1_3genE2ELNS1_11target_archE906ELNS1_3gpuE6ELNS1_3repE0EEENS1_30default_config_static_selectorELNS0_4arch9wavefront6targetE1EEEvS12_,comdat
	.globl	_ZN7rocprim17ROCPRIM_400000_NS6detail17trampoline_kernelINS0_13select_configILj256ELj13ELNS0_17block_load_methodE3ELS4_3ELS4_3ELNS0_20block_scan_algorithmE0ELj4294967295EEENS1_25partition_config_selectorILNS1_17partition_subalgoE4EjNS0_10empty_typeEbEEZZNS1_14partition_implILS8_4ELb0ES6_15HIP_vector_typeIjLj2EENS0_17counting_iteratorIjlEEPS9_SG_NS0_5tupleIJPjSI_NS0_16reverse_iteratorISI_EEEEENSH_IJSG_SG_SG_EEES9_SI_JZNS1_25segmented_radix_sort_implINS0_14default_configELb0EPKdPdPKlPlN2at6native12_GLOBAL__N_18offset_tEEE10hipError_tPvRmT1_PNSt15iterator_traitsIS12_E10value_typeET2_T3_PNS13_IS18_E10value_typeET4_jRbjT5_S1E_jjP12ihipStream_tbEUljE_ZNSN_ISO_Lb0ESQ_SR_ST_SU_SY_EESZ_S10_S11_S12_S16_S17_S18_S1B_S1C_jS1D_jS1E_S1E_jjS1G_bEUljE0_EEESZ_S10_S11_S18_S1C_S1E_T6_T7_T9_mT8_S1G_bDpT10_ENKUlT_T0_E_clISt17integral_constantIbLb0EES1U_EEDaS1P_S1Q_EUlS1P_E_NS1_11comp_targetILNS1_3genE2ELNS1_11target_archE906ELNS1_3gpuE6ELNS1_3repE0EEENS1_30default_config_static_selectorELNS0_4arch9wavefront6targetE1EEEvS12_ ; -- Begin function _ZN7rocprim17ROCPRIM_400000_NS6detail17trampoline_kernelINS0_13select_configILj256ELj13ELNS0_17block_load_methodE3ELS4_3ELS4_3ELNS0_20block_scan_algorithmE0ELj4294967295EEENS1_25partition_config_selectorILNS1_17partition_subalgoE4EjNS0_10empty_typeEbEEZZNS1_14partition_implILS8_4ELb0ES6_15HIP_vector_typeIjLj2EENS0_17counting_iteratorIjlEEPS9_SG_NS0_5tupleIJPjSI_NS0_16reverse_iteratorISI_EEEEENSH_IJSG_SG_SG_EEES9_SI_JZNS1_25segmented_radix_sort_implINS0_14default_configELb0EPKdPdPKlPlN2at6native12_GLOBAL__N_18offset_tEEE10hipError_tPvRmT1_PNSt15iterator_traitsIS12_E10value_typeET2_T3_PNS13_IS18_E10value_typeET4_jRbjT5_S1E_jjP12ihipStream_tbEUljE_ZNSN_ISO_Lb0ESQ_SR_ST_SU_SY_EESZ_S10_S11_S12_S16_S17_S18_S1B_S1C_jS1D_jS1E_S1E_jjS1G_bEUljE0_EEESZ_S10_S11_S18_S1C_S1E_T6_T7_T9_mT8_S1G_bDpT10_ENKUlT_T0_E_clISt17integral_constantIbLb0EES1U_EEDaS1P_S1Q_EUlS1P_E_NS1_11comp_targetILNS1_3genE2ELNS1_11target_archE906ELNS1_3gpuE6ELNS1_3repE0EEENS1_30default_config_static_selectorELNS0_4arch9wavefront6targetE1EEEvS12_
	.p2align	8
	.type	_ZN7rocprim17ROCPRIM_400000_NS6detail17trampoline_kernelINS0_13select_configILj256ELj13ELNS0_17block_load_methodE3ELS4_3ELS4_3ELNS0_20block_scan_algorithmE0ELj4294967295EEENS1_25partition_config_selectorILNS1_17partition_subalgoE4EjNS0_10empty_typeEbEEZZNS1_14partition_implILS8_4ELb0ES6_15HIP_vector_typeIjLj2EENS0_17counting_iteratorIjlEEPS9_SG_NS0_5tupleIJPjSI_NS0_16reverse_iteratorISI_EEEEENSH_IJSG_SG_SG_EEES9_SI_JZNS1_25segmented_radix_sort_implINS0_14default_configELb0EPKdPdPKlPlN2at6native12_GLOBAL__N_18offset_tEEE10hipError_tPvRmT1_PNSt15iterator_traitsIS12_E10value_typeET2_T3_PNS13_IS18_E10value_typeET4_jRbjT5_S1E_jjP12ihipStream_tbEUljE_ZNSN_ISO_Lb0ESQ_SR_ST_SU_SY_EESZ_S10_S11_S12_S16_S17_S18_S1B_S1C_jS1D_jS1E_S1E_jjS1G_bEUljE0_EEESZ_S10_S11_S18_S1C_S1E_T6_T7_T9_mT8_S1G_bDpT10_ENKUlT_T0_E_clISt17integral_constantIbLb0EES1U_EEDaS1P_S1Q_EUlS1P_E_NS1_11comp_targetILNS1_3genE2ELNS1_11target_archE906ELNS1_3gpuE6ELNS1_3repE0EEENS1_30default_config_static_selectorELNS0_4arch9wavefront6targetE1EEEvS12_,@function
_ZN7rocprim17ROCPRIM_400000_NS6detail17trampoline_kernelINS0_13select_configILj256ELj13ELNS0_17block_load_methodE3ELS4_3ELS4_3ELNS0_20block_scan_algorithmE0ELj4294967295EEENS1_25partition_config_selectorILNS1_17partition_subalgoE4EjNS0_10empty_typeEbEEZZNS1_14partition_implILS8_4ELb0ES6_15HIP_vector_typeIjLj2EENS0_17counting_iteratorIjlEEPS9_SG_NS0_5tupleIJPjSI_NS0_16reverse_iteratorISI_EEEEENSH_IJSG_SG_SG_EEES9_SI_JZNS1_25segmented_radix_sort_implINS0_14default_configELb0EPKdPdPKlPlN2at6native12_GLOBAL__N_18offset_tEEE10hipError_tPvRmT1_PNSt15iterator_traitsIS12_E10value_typeET2_T3_PNS13_IS18_E10value_typeET4_jRbjT5_S1E_jjP12ihipStream_tbEUljE_ZNSN_ISO_Lb0ESQ_SR_ST_SU_SY_EESZ_S10_S11_S12_S16_S17_S18_S1B_S1C_jS1D_jS1E_S1E_jjS1G_bEUljE0_EEESZ_S10_S11_S18_S1C_S1E_T6_T7_T9_mT8_S1G_bDpT10_ENKUlT_T0_E_clISt17integral_constantIbLb0EES1U_EEDaS1P_S1Q_EUlS1P_E_NS1_11comp_targetILNS1_3genE2ELNS1_11target_archE906ELNS1_3gpuE6ELNS1_3repE0EEENS1_30default_config_static_selectorELNS0_4arch9wavefront6targetE1EEEvS12_: ; @_ZN7rocprim17ROCPRIM_400000_NS6detail17trampoline_kernelINS0_13select_configILj256ELj13ELNS0_17block_load_methodE3ELS4_3ELS4_3ELNS0_20block_scan_algorithmE0ELj4294967295EEENS1_25partition_config_selectorILNS1_17partition_subalgoE4EjNS0_10empty_typeEbEEZZNS1_14partition_implILS8_4ELb0ES6_15HIP_vector_typeIjLj2EENS0_17counting_iteratorIjlEEPS9_SG_NS0_5tupleIJPjSI_NS0_16reverse_iteratorISI_EEEEENSH_IJSG_SG_SG_EEES9_SI_JZNS1_25segmented_radix_sort_implINS0_14default_configELb0EPKdPdPKlPlN2at6native12_GLOBAL__N_18offset_tEEE10hipError_tPvRmT1_PNSt15iterator_traitsIS12_E10value_typeET2_T3_PNS13_IS18_E10value_typeET4_jRbjT5_S1E_jjP12ihipStream_tbEUljE_ZNSN_ISO_Lb0ESQ_SR_ST_SU_SY_EESZ_S10_S11_S12_S16_S17_S18_S1B_S1C_jS1D_jS1E_S1E_jjS1G_bEUljE0_EEESZ_S10_S11_S18_S1C_S1E_T6_T7_T9_mT8_S1G_bDpT10_ENKUlT_T0_E_clISt17integral_constantIbLb0EES1U_EEDaS1P_S1Q_EUlS1P_E_NS1_11comp_targetILNS1_3genE2ELNS1_11target_archE906ELNS1_3gpuE6ELNS1_3repE0EEENS1_30default_config_static_selectorELNS0_4arch9wavefront6targetE1EEEvS12_
; %bb.0:
	.section	.rodata,"a",@progbits
	.p2align	6, 0x0
	.amdhsa_kernel _ZN7rocprim17ROCPRIM_400000_NS6detail17trampoline_kernelINS0_13select_configILj256ELj13ELNS0_17block_load_methodE3ELS4_3ELS4_3ELNS0_20block_scan_algorithmE0ELj4294967295EEENS1_25partition_config_selectorILNS1_17partition_subalgoE4EjNS0_10empty_typeEbEEZZNS1_14partition_implILS8_4ELb0ES6_15HIP_vector_typeIjLj2EENS0_17counting_iteratorIjlEEPS9_SG_NS0_5tupleIJPjSI_NS0_16reverse_iteratorISI_EEEEENSH_IJSG_SG_SG_EEES9_SI_JZNS1_25segmented_radix_sort_implINS0_14default_configELb0EPKdPdPKlPlN2at6native12_GLOBAL__N_18offset_tEEE10hipError_tPvRmT1_PNSt15iterator_traitsIS12_E10value_typeET2_T3_PNS13_IS18_E10value_typeET4_jRbjT5_S1E_jjP12ihipStream_tbEUljE_ZNSN_ISO_Lb0ESQ_SR_ST_SU_SY_EESZ_S10_S11_S12_S16_S17_S18_S1B_S1C_jS1D_jS1E_S1E_jjS1G_bEUljE0_EEESZ_S10_S11_S18_S1C_S1E_T6_T7_T9_mT8_S1G_bDpT10_ENKUlT_T0_E_clISt17integral_constantIbLb0EES1U_EEDaS1P_S1Q_EUlS1P_E_NS1_11comp_targetILNS1_3genE2ELNS1_11target_archE906ELNS1_3gpuE6ELNS1_3repE0EEENS1_30default_config_static_selectorELNS0_4arch9wavefront6targetE1EEEvS12_
		.amdhsa_group_segment_fixed_size 0
		.amdhsa_private_segment_fixed_size 0
		.amdhsa_kernarg_size 176
		.amdhsa_user_sgpr_count 6
		.amdhsa_user_sgpr_private_segment_buffer 1
		.amdhsa_user_sgpr_dispatch_ptr 0
		.amdhsa_user_sgpr_queue_ptr 0
		.amdhsa_user_sgpr_kernarg_segment_ptr 1
		.amdhsa_user_sgpr_dispatch_id 0
		.amdhsa_user_sgpr_flat_scratch_init 0
		.amdhsa_user_sgpr_kernarg_preload_length 0
		.amdhsa_user_sgpr_kernarg_preload_offset 0
		.amdhsa_user_sgpr_private_segment_size 0
		.amdhsa_uses_dynamic_stack 0
		.amdhsa_system_sgpr_private_segment_wavefront_offset 0
		.amdhsa_system_sgpr_workgroup_id_x 1
		.amdhsa_system_sgpr_workgroup_id_y 0
		.amdhsa_system_sgpr_workgroup_id_z 0
		.amdhsa_system_sgpr_workgroup_info 0
		.amdhsa_system_vgpr_workitem_id 0
		.amdhsa_next_free_vgpr 1
		.amdhsa_next_free_sgpr 0
		.amdhsa_accum_offset 4
		.amdhsa_reserve_vcc 0
		.amdhsa_reserve_flat_scratch 0
		.amdhsa_float_round_mode_32 0
		.amdhsa_float_round_mode_16_64 0
		.amdhsa_float_denorm_mode_32 3
		.amdhsa_float_denorm_mode_16_64 3
		.amdhsa_dx10_clamp 1
		.amdhsa_ieee_mode 1
		.amdhsa_fp16_overflow 0
		.amdhsa_tg_split 0
		.amdhsa_exception_fp_ieee_invalid_op 0
		.amdhsa_exception_fp_denorm_src 0
		.amdhsa_exception_fp_ieee_div_zero 0
		.amdhsa_exception_fp_ieee_overflow 0
		.amdhsa_exception_fp_ieee_underflow 0
		.amdhsa_exception_fp_ieee_inexact 0
		.amdhsa_exception_int_div_zero 0
	.end_amdhsa_kernel
	.section	.text._ZN7rocprim17ROCPRIM_400000_NS6detail17trampoline_kernelINS0_13select_configILj256ELj13ELNS0_17block_load_methodE3ELS4_3ELS4_3ELNS0_20block_scan_algorithmE0ELj4294967295EEENS1_25partition_config_selectorILNS1_17partition_subalgoE4EjNS0_10empty_typeEbEEZZNS1_14partition_implILS8_4ELb0ES6_15HIP_vector_typeIjLj2EENS0_17counting_iteratorIjlEEPS9_SG_NS0_5tupleIJPjSI_NS0_16reverse_iteratorISI_EEEEENSH_IJSG_SG_SG_EEES9_SI_JZNS1_25segmented_radix_sort_implINS0_14default_configELb0EPKdPdPKlPlN2at6native12_GLOBAL__N_18offset_tEEE10hipError_tPvRmT1_PNSt15iterator_traitsIS12_E10value_typeET2_T3_PNS13_IS18_E10value_typeET4_jRbjT5_S1E_jjP12ihipStream_tbEUljE_ZNSN_ISO_Lb0ESQ_SR_ST_SU_SY_EESZ_S10_S11_S12_S16_S17_S18_S1B_S1C_jS1D_jS1E_S1E_jjS1G_bEUljE0_EEESZ_S10_S11_S18_S1C_S1E_T6_T7_T9_mT8_S1G_bDpT10_ENKUlT_T0_E_clISt17integral_constantIbLb0EES1U_EEDaS1P_S1Q_EUlS1P_E_NS1_11comp_targetILNS1_3genE2ELNS1_11target_archE906ELNS1_3gpuE6ELNS1_3repE0EEENS1_30default_config_static_selectorELNS0_4arch9wavefront6targetE1EEEvS12_,"axG",@progbits,_ZN7rocprim17ROCPRIM_400000_NS6detail17trampoline_kernelINS0_13select_configILj256ELj13ELNS0_17block_load_methodE3ELS4_3ELS4_3ELNS0_20block_scan_algorithmE0ELj4294967295EEENS1_25partition_config_selectorILNS1_17partition_subalgoE4EjNS0_10empty_typeEbEEZZNS1_14partition_implILS8_4ELb0ES6_15HIP_vector_typeIjLj2EENS0_17counting_iteratorIjlEEPS9_SG_NS0_5tupleIJPjSI_NS0_16reverse_iteratorISI_EEEEENSH_IJSG_SG_SG_EEES9_SI_JZNS1_25segmented_radix_sort_implINS0_14default_configELb0EPKdPdPKlPlN2at6native12_GLOBAL__N_18offset_tEEE10hipError_tPvRmT1_PNSt15iterator_traitsIS12_E10value_typeET2_T3_PNS13_IS18_E10value_typeET4_jRbjT5_S1E_jjP12ihipStream_tbEUljE_ZNSN_ISO_Lb0ESQ_SR_ST_SU_SY_EESZ_S10_S11_S12_S16_S17_S18_S1B_S1C_jS1D_jS1E_S1E_jjS1G_bEUljE0_EEESZ_S10_S11_S18_S1C_S1E_T6_T7_T9_mT8_S1G_bDpT10_ENKUlT_T0_E_clISt17integral_constantIbLb0EES1U_EEDaS1P_S1Q_EUlS1P_E_NS1_11comp_targetILNS1_3genE2ELNS1_11target_archE906ELNS1_3gpuE6ELNS1_3repE0EEENS1_30default_config_static_selectorELNS0_4arch9wavefront6targetE1EEEvS12_,comdat
.Lfunc_end1159:
	.size	_ZN7rocprim17ROCPRIM_400000_NS6detail17trampoline_kernelINS0_13select_configILj256ELj13ELNS0_17block_load_methodE3ELS4_3ELS4_3ELNS0_20block_scan_algorithmE0ELj4294967295EEENS1_25partition_config_selectorILNS1_17partition_subalgoE4EjNS0_10empty_typeEbEEZZNS1_14partition_implILS8_4ELb0ES6_15HIP_vector_typeIjLj2EENS0_17counting_iteratorIjlEEPS9_SG_NS0_5tupleIJPjSI_NS0_16reverse_iteratorISI_EEEEENSH_IJSG_SG_SG_EEES9_SI_JZNS1_25segmented_radix_sort_implINS0_14default_configELb0EPKdPdPKlPlN2at6native12_GLOBAL__N_18offset_tEEE10hipError_tPvRmT1_PNSt15iterator_traitsIS12_E10value_typeET2_T3_PNS13_IS18_E10value_typeET4_jRbjT5_S1E_jjP12ihipStream_tbEUljE_ZNSN_ISO_Lb0ESQ_SR_ST_SU_SY_EESZ_S10_S11_S12_S16_S17_S18_S1B_S1C_jS1D_jS1E_S1E_jjS1G_bEUljE0_EEESZ_S10_S11_S18_S1C_S1E_T6_T7_T9_mT8_S1G_bDpT10_ENKUlT_T0_E_clISt17integral_constantIbLb0EES1U_EEDaS1P_S1Q_EUlS1P_E_NS1_11comp_targetILNS1_3genE2ELNS1_11target_archE906ELNS1_3gpuE6ELNS1_3repE0EEENS1_30default_config_static_selectorELNS0_4arch9wavefront6targetE1EEEvS12_, .Lfunc_end1159-_ZN7rocprim17ROCPRIM_400000_NS6detail17trampoline_kernelINS0_13select_configILj256ELj13ELNS0_17block_load_methodE3ELS4_3ELS4_3ELNS0_20block_scan_algorithmE0ELj4294967295EEENS1_25partition_config_selectorILNS1_17partition_subalgoE4EjNS0_10empty_typeEbEEZZNS1_14partition_implILS8_4ELb0ES6_15HIP_vector_typeIjLj2EENS0_17counting_iteratorIjlEEPS9_SG_NS0_5tupleIJPjSI_NS0_16reverse_iteratorISI_EEEEENSH_IJSG_SG_SG_EEES9_SI_JZNS1_25segmented_radix_sort_implINS0_14default_configELb0EPKdPdPKlPlN2at6native12_GLOBAL__N_18offset_tEEE10hipError_tPvRmT1_PNSt15iterator_traitsIS12_E10value_typeET2_T3_PNS13_IS18_E10value_typeET4_jRbjT5_S1E_jjP12ihipStream_tbEUljE_ZNSN_ISO_Lb0ESQ_SR_ST_SU_SY_EESZ_S10_S11_S12_S16_S17_S18_S1B_S1C_jS1D_jS1E_S1E_jjS1G_bEUljE0_EEESZ_S10_S11_S18_S1C_S1E_T6_T7_T9_mT8_S1G_bDpT10_ENKUlT_T0_E_clISt17integral_constantIbLb0EES1U_EEDaS1P_S1Q_EUlS1P_E_NS1_11comp_targetILNS1_3genE2ELNS1_11target_archE906ELNS1_3gpuE6ELNS1_3repE0EEENS1_30default_config_static_selectorELNS0_4arch9wavefront6targetE1EEEvS12_
                                        ; -- End function
	.section	.AMDGPU.csdata,"",@progbits
; Kernel info:
; codeLenInByte = 0
; NumSgprs: 4
; NumVgprs: 0
; NumAgprs: 0
; TotalNumVgprs: 0
; ScratchSize: 0
; MemoryBound: 0
; FloatMode: 240
; IeeeMode: 1
; LDSByteSize: 0 bytes/workgroup (compile time only)
; SGPRBlocks: 0
; VGPRBlocks: 0
; NumSGPRsForWavesPerEU: 4
; NumVGPRsForWavesPerEU: 1
; AccumOffset: 4
; Occupancy: 8
; WaveLimiterHint : 0
; COMPUTE_PGM_RSRC2:SCRATCH_EN: 0
; COMPUTE_PGM_RSRC2:USER_SGPR: 6
; COMPUTE_PGM_RSRC2:TRAP_HANDLER: 0
; COMPUTE_PGM_RSRC2:TGID_X_EN: 1
; COMPUTE_PGM_RSRC2:TGID_Y_EN: 0
; COMPUTE_PGM_RSRC2:TGID_Z_EN: 0
; COMPUTE_PGM_RSRC2:TIDIG_COMP_CNT: 0
; COMPUTE_PGM_RSRC3_GFX90A:ACCUM_OFFSET: 0
; COMPUTE_PGM_RSRC3_GFX90A:TG_SPLIT: 0
	.section	.text._ZN7rocprim17ROCPRIM_400000_NS6detail17trampoline_kernelINS0_13select_configILj256ELj13ELNS0_17block_load_methodE3ELS4_3ELS4_3ELNS0_20block_scan_algorithmE0ELj4294967295EEENS1_25partition_config_selectorILNS1_17partition_subalgoE4EjNS0_10empty_typeEbEEZZNS1_14partition_implILS8_4ELb0ES6_15HIP_vector_typeIjLj2EENS0_17counting_iteratorIjlEEPS9_SG_NS0_5tupleIJPjSI_NS0_16reverse_iteratorISI_EEEEENSH_IJSG_SG_SG_EEES9_SI_JZNS1_25segmented_radix_sort_implINS0_14default_configELb0EPKdPdPKlPlN2at6native12_GLOBAL__N_18offset_tEEE10hipError_tPvRmT1_PNSt15iterator_traitsIS12_E10value_typeET2_T3_PNS13_IS18_E10value_typeET4_jRbjT5_S1E_jjP12ihipStream_tbEUljE_ZNSN_ISO_Lb0ESQ_SR_ST_SU_SY_EESZ_S10_S11_S12_S16_S17_S18_S1B_S1C_jS1D_jS1E_S1E_jjS1G_bEUljE0_EEESZ_S10_S11_S18_S1C_S1E_T6_T7_T9_mT8_S1G_bDpT10_ENKUlT_T0_E_clISt17integral_constantIbLb0EES1U_EEDaS1P_S1Q_EUlS1P_E_NS1_11comp_targetILNS1_3genE10ELNS1_11target_archE1200ELNS1_3gpuE4ELNS1_3repE0EEENS1_30default_config_static_selectorELNS0_4arch9wavefront6targetE1EEEvS12_,"axG",@progbits,_ZN7rocprim17ROCPRIM_400000_NS6detail17trampoline_kernelINS0_13select_configILj256ELj13ELNS0_17block_load_methodE3ELS4_3ELS4_3ELNS0_20block_scan_algorithmE0ELj4294967295EEENS1_25partition_config_selectorILNS1_17partition_subalgoE4EjNS0_10empty_typeEbEEZZNS1_14partition_implILS8_4ELb0ES6_15HIP_vector_typeIjLj2EENS0_17counting_iteratorIjlEEPS9_SG_NS0_5tupleIJPjSI_NS0_16reverse_iteratorISI_EEEEENSH_IJSG_SG_SG_EEES9_SI_JZNS1_25segmented_radix_sort_implINS0_14default_configELb0EPKdPdPKlPlN2at6native12_GLOBAL__N_18offset_tEEE10hipError_tPvRmT1_PNSt15iterator_traitsIS12_E10value_typeET2_T3_PNS13_IS18_E10value_typeET4_jRbjT5_S1E_jjP12ihipStream_tbEUljE_ZNSN_ISO_Lb0ESQ_SR_ST_SU_SY_EESZ_S10_S11_S12_S16_S17_S18_S1B_S1C_jS1D_jS1E_S1E_jjS1G_bEUljE0_EEESZ_S10_S11_S18_S1C_S1E_T6_T7_T9_mT8_S1G_bDpT10_ENKUlT_T0_E_clISt17integral_constantIbLb0EES1U_EEDaS1P_S1Q_EUlS1P_E_NS1_11comp_targetILNS1_3genE10ELNS1_11target_archE1200ELNS1_3gpuE4ELNS1_3repE0EEENS1_30default_config_static_selectorELNS0_4arch9wavefront6targetE1EEEvS12_,comdat
	.globl	_ZN7rocprim17ROCPRIM_400000_NS6detail17trampoline_kernelINS0_13select_configILj256ELj13ELNS0_17block_load_methodE3ELS4_3ELS4_3ELNS0_20block_scan_algorithmE0ELj4294967295EEENS1_25partition_config_selectorILNS1_17partition_subalgoE4EjNS0_10empty_typeEbEEZZNS1_14partition_implILS8_4ELb0ES6_15HIP_vector_typeIjLj2EENS0_17counting_iteratorIjlEEPS9_SG_NS0_5tupleIJPjSI_NS0_16reverse_iteratorISI_EEEEENSH_IJSG_SG_SG_EEES9_SI_JZNS1_25segmented_radix_sort_implINS0_14default_configELb0EPKdPdPKlPlN2at6native12_GLOBAL__N_18offset_tEEE10hipError_tPvRmT1_PNSt15iterator_traitsIS12_E10value_typeET2_T3_PNS13_IS18_E10value_typeET4_jRbjT5_S1E_jjP12ihipStream_tbEUljE_ZNSN_ISO_Lb0ESQ_SR_ST_SU_SY_EESZ_S10_S11_S12_S16_S17_S18_S1B_S1C_jS1D_jS1E_S1E_jjS1G_bEUljE0_EEESZ_S10_S11_S18_S1C_S1E_T6_T7_T9_mT8_S1G_bDpT10_ENKUlT_T0_E_clISt17integral_constantIbLb0EES1U_EEDaS1P_S1Q_EUlS1P_E_NS1_11comp_targetILNS1_3genE10ELNS1_11target_archE1200ELNS1_3gpuE4ELNS1_3repE0EEENS1_30default_config_static_selectorELNS0_4arch9wavefront6targetE1EEEvS12_ ; -- Begin function _ZN7rocprim17ROCPRIM_400000_NS6detail17trampoline_kernelINS0_13select_configILj256ELj13ELNS0_17block_load_methodE3ELS4_3ELS4_3ELNS0_20block_scan_algorithmE0ELj4294967295EEENS1_25partition_config_selectorILNS1_17partition_subalgoE4EjNS0_10empty_typeEbEEZZNS1_14partition_implILS8_4ELb0ES6_15HIP_vector_typeIjLj2EENS0_17counting_iteratorIjlEEPS9_SG_NS0_5tupleIJPjSI_NS0_16reverse_iteratorISI_EEEEENSH_IJSG_SG_SG_EEES9_SI_JZNS1_25segmented_radix_sort_implINS0_14default_configELb0EPKdPdPKlPlN2at6native12_GLOBAL__N_18offset_tEEE10hipError_tPvRmT1_PNSt15iterator_traitsIS12_E10value_typeET2_T3_PNS13_IS18_E10value_typeET4_jRbjT5_S1E_jjP12ihipStream_tbEUljE_ZNSN_ISO_Lb0ESQ_SR_ST_SU_SY_EESZ_S10_S11_S12_S16_S17_S18_S1B_S1C_jS1D_jS1E_S1E_jjS1G_bEUljE0_EEESZ_S10_S11_S18_S1C_S1E_T6_T7_T9_mT8_S1G_bDpT10_ENKUlT_T0_E_clISt17integral_constantIbLb0EES1U_EEDaS1P_S1Q_EUlS1P_E_NS1_11comp_targetILNS1_3genE10ELNS1_11target_archE1200ELNS1_3gpuE4ELNS1_3repE0EEENS1_30default_config_static_selectorELNS0_4arch9wavefront6targetE1EEEvS12_
	.p2align	8
	.type	_ZN7rocprim17ROCPRIM_400000_NS6detail17trampoline_kernelINS0_13select_configILj256ELj13ELNS0_17block_load_methodE3ELS4_3ELS4_3ELNS0_20block_scan_algorithmE0ELj4294967295EEENS1_25partition_config_selectorILNS1_17partition_subalgoE4EjNS0_10empty_typeEbEEZZNS1_14partition_implILS8_4ELb0ES6_15HIP_vector_typeIjLj2EENS0_17counting_iteratorIjlEEPS9_SG_NS0_5tupleIJPjSI_NS0_16reverse_iteratorISI_EEEEENSH_IJSG_SG_SG_EEES9_SI_JZNS1_25segmented_radix_sort_implINS0_14default_configELb0EPKdPdPKlPlN2at6native12_GLOBAL__N_18offset_tEEE10hipError_tPvRmT1_PNSt15iterator_traitsIS12_E10value_typeET2_T3_PNS13_IS18_E10value_typeET4_jRbjT5_S1E_jjP12ihipStream_tbEUljE_ZNSN_ISO_Lb0ESQ_SR_ST_SU_SY_EESZ_S10_S11_S12_S16_S17_S18_S1B_S1C_jS1D_jS1E_S1E_jjS1G_bEUljE0_EEESZ_S10_S11_S18_S1C_S1E_T6_T7_T9_mT8_S1G_bDpT10_ENKUlT_T0_E_clISt17integral_constantIbLb0EES1U_EEDaS1P_S1Q_EUlS1P_E_NS1_11comp_targetILNS1_3genE10ELNS1_11target_archE1200ELNS1_3gpuE4ELNS1_3repE0EEENS1_30default_config_static_selectorELNS0_4arch9wavefront6targetE1EEEvS12_,@function
_ZN7rocprim17ROCPRIM_400000_NS6detail17trampoline_kernelINS0_13select_configILj256ELj13ELNS0_17block_load_methodE3ELS4_3ELS4_3ELNS0_20block_scan_algorithmE0ELj4294967295EEENS1_25partition_config_selectorILNS1_17partition_subalgoE4EjNS0_10empty_typeEbEEZZNS1_14partition_implILS8_4ELb0ES6_15HIP_vector_typeIjLj2EENS0_17counting_iteratorIjlEEPS9_SG_NS0_5tupleIJPjSI_NS0_16reverse_iteratorISI_EEEEENSH_IJSG_SG_SG_EEES9_SI_JZNS1_25segmented_radix_sort_implINS0_14default_configELb0EPKdPdPKlPlN2at6native12_GLOBAL__N_18offset_tEEE10hipError_tPvRmT1_PNSt15iterator_traitsIS12_E10value_typeET2_T3_PNS13_IS18_E10value_typeET4_jRbjT5_S1E_jjP12ihipStream_tbEUljE_ZNSN_ISO_Lb0ESQ_SR_ST_SU_SY_EESZ_S10_S11_S12_S16_S17_S18_S1B_S1C_jS1D_jS1E_S1E_jjS1G_bEUljE0_EEESZ_S10_S11_S18_S1C_S1E_T6_T7_T9_mT8_S1G_bDpT10_ENKUlT_T0_E_clISt17integral_constantIbLb0EES1U_EEDaS1P_S1Q_EUlS1P_E_NS1_11comp_targetILNS1_3genE10ELNS1_11target_archE1200ELNS1_3gpuE4ELNS1_3repE0EEENS1_30default_config_static_selectorELNS0_4arch9wavefront6targetE1EEEvS12_: ; @_ZN7rocprim17ROCPRIM_400000_NS6detail17trampoline_kernelINS0_13select_configILj256ELj13ELNS0_17block_load_methodE3ELS4_3ELS4_3ELNS0_20block_scan_algorithmE0ELj4294967295EEENS1_25partition_config_selectorILNS1_17partition_subalgoE4EjNS0_10empty_typeEbEEZZNS1_14partition_implILS8_4ELb0ES6_15HIP_vector_typeIjLj2EENS0_17counting_iteratorIjlEEPS9_SG_NS0_5tupleIJPjSI_NS0_16reverse_iteratorISI_EEEEENSH_IJSG_SG_SG_EEES9_SI_JZNS1_25segmented_radix_sort_implINS0_14default_configELb0EPKdPdPKlPlN2at6native12_GLOBAL__N_18offset_tEEE10hipError_tPvRmT1_PNSt15iterator_traitsIS12_E10value_typeET2_T3_PNS13_IS18_E10value_typeET4_jRbjT5_S1E_jjP12ihipStream_tbEUljE_ZNSN_ISO_Lb0ESQ_SR_ST_SU_SY_EESZ_S10_S11_S12_S16_S17_S18_S1B_S1C_jS1D_jS1E_S1E_jjS1G_bEUljE0_EEESZ_S10_S11_S18_S1C_S1E_T6_T7_T9_mT8_S1G_bDpT10_ENKUlT_T0_E_clISt17integral_constantIbLb0EES1U_EEDaS1P_S1Q_EUlS1P_E_NS1_11comp_targetILNS1_3genE10ELNS1_11target_archE1200ELNS1_3gpuE4ELNS1_3repE0EEENS1_30default_config_static_selectorELNS0_4arch9wavefront6targetE1EEEvS12_
; %bb.0:
	.section	.rodata,"a",@progbits
	.p2align	6, 0x0
	.amdhsa_kernel _ZN7rocprim17ROCPRIM_400000_NS6detail17trampoline_kernelINS0_13select_configILj256ELj13ELNS0_17block_load_methodE3ELS4_3ELS4_3ELNS0_20block_scan_algorithmE0ELj4294967295EEENS1_25partition_config_selectorILNS1_17partition_subalgoE4EjNS0_10empty_typeEbEEZZNS1_14partition_implILS8_4ELb0ES6_15HIP_vector_typeIjLj2EENS0_17counting_iteratorIjlEEPS9_SG_NS0_5tupleIJPjSI_NS0_16reverse_iteratorISI_EEEEENSH_IJSG_SG_SG_EEES9_SI_JZNS1_25segmented_radix_sort_implINS0_14default_configELb0EPKdPdPKlPlN2at6native12_GLOBAL__N_18offset_tEEE10hipError_tPvRmT1_PNSt15iterator_traitsIS12_E10value_typeET2_T3_PNS13_IS18_E10value_typeET4_jRbjT5_S1E_jjP12ihipStream_tbEUljE_ZNSN_ISO_Lb0ESQ_SR_ST_SU_SY_EESZ_S10_S11_S12_S16_S17_S18_S1B_S1C_jS1D_jS1E_S1E_jjS1G_bEUljE0_EEESZ_S10_S11_S18_S1C_S1E_T6_T7_T9_mT8_S1G_bDpT10_ENKUlT_T0_E_clISt17integral_constantIbLb0EES1U_EEDaS1P_S1Q_EUlS1P_E_NS1_11comp_targetILNS1_3genE10ELNS1_11target_archE1200ELNS1_3gpuE4ELNS1_3repE0EEENS1_30default_config_static_selectorELNS0_4arch9wavefront6targetE1EEEvS12_
		.amdhsa_group_segment_fixed_size 0
		.amdhsa_private_segment_fixed_size 0
		.amdhsa_kernarg_size 176
		.amdhsa_user_sgpr_count 6
		.amdhsa_user_sgpr_private_segment_buffer 1
		.amdhsa_user_sgpr_dispatch_ptr 0
		.amdhsa_user_sgpr_queue_ptr 0
		.amdhsa_user_sgpr_kernarg_segment_ptr 1
		.amdhsa_user_sgpr_dispatch_id 0
		.amdhsa_user_sgpr_flat_scratch_init 0
		.amdhsa_user_sgpr_kernarg_preload_length 0
		.amdhsa_user_sgpr_kernarg_preload_offset 0
		.amdhsa_user_sgpr_private_segment_size 0
		.amdhsa_uses_dynamic_stack 0
		.amdhsa_system_sgpr_private_segment_wavefront_offset 0
		.amdhsa_system_sgpr_workgroup_id_x 1
		.amdhsa_system_sgpr_workgroup_id_y 0
		.amdhsa_system_sgpr_workgroup_id_z 0
		.amdhsa_system_sgpr_workgroup_info 0
		.amdhsa_system_vgpr_workitem_id 0
		.amdhsa_next_free_vgpr 1
		.amdhsa_next_free_sgpr 0
		.amdhsa_accum_offset 4
		.amdhsa_reserve_vcc 0
		.amdhsa_reserve_flat_scratch 0
		.amdhsa_float_round_mode_32 0
		.amdhsa_float_round_mode_16_64 0
		.amdhsa_float_denorm_mode_32 3
		.amdhsa_float_denorm_mode_16_64 3
		.amdhsa_dx10_clamp 1
		.amdhsa_ieee_mode 1
		.amdhsa_fp16_overflow 0
		.amdhsa_tg_split 0
		.amdhsa_exception_fp_ieee_invalid_op 0
		.amdhsa_exception_fp_denorm_src 0
		.amdhsa_exception_fp_ieee_div_zero 0
		.amdhsa_exception_fp_ieee_overflow 0
		.amdhsa_exception_fp_ieee_underflow 0
		.amdhsa_exception_fp_ieee_inexact 0
		.amdhsa_exception_int_div_zero 0
	.end_amdhsa_kernel
	.section	.text._ZN7rocprim17ROCPRIM_400000_NS6detail17trampoline_kernelINS0_13select_configILj256ELj13ELNS0_17block_load_methodE3ELS4_3ELS4_3ELNS0_20block_scan_algorithmE0ELj4294967295EEENS1_25partition_config_selectorILNS1_17partition_subalgoE4EjNS0_10empty_typeEbEEZZNS1_14partition_implILS8_4ELb0ES6_15HIP_vector_typeIjLj2EENS0_17counting_iteratorIjlEEPS9_SG_NS0_5tupleIJPjSI_NS0_16reverse_iteratorISI_EEEEENSH_IJSG_SG_SG_EEES9_SI_JZNS1_25segmented_radix_sort_implINS0_14default_configELb0EPKdPdPKlPlN2at6native12_GLOBAL__N_18offset_tEEE10hipError_tPvRmT1_PNSt15iterator_traitsIS12_E10value_typeET2_T3_PNS13_IS18_E10value_typeET4_jRbjT5_S1E_jjP12ihipStream_tbEUljE_ZNSN_ISO_Lb0ESQ_SR_ST_SU_SY_EESZ_S10_S11_S12_S16_S17_S18_S1B_S1C_jS1D_jS1E_S1E_jjS1G_bEUljE0_EEESZ_S10_S11_S18_S1C_S1E_T6_T7_T9_mT8_S1G_bDpT10_ENKUlT_T0_E_clISt17integral_constantIbLb0EES1U_EEDaS1P_S1Q_EUlS1P_E_NS1_11comp_targetILNS1_3genE10ELNS1_11target_archE1200ELNS1_3gpuE4ELNS1_3repE0EEENS1_30default_config_static_selectorELNS0_4arch9wavefront6targetE1EEEvS12_,"axG",@progbits,_ZN7rocprim17ROCPRIM_400000_NS6detail17trampoline_kernelINS0_13select_configILj256ELj13ELNS0_17block_load_methodE3ELS4_3ELS4_3ELNS0_20block_scan_algorithmE0ELj4294967295EEENS1_25partition_config_selectorILNS1_17partition_subalgoE4EjNS0_10empty_typeEbEEZZNS1_14partition_implILS8_4ELb0ES6_15HIP_vector_typeIjLj2EENS0_17counting_iteratorIjlEEPS9_SG_NS0_5tupleIJPjSI_NS0_16reverse_iteratorISI_EEEEENSH_IJSG_SG_SG_EEES9_SI_JZNS1_25segmented_radix_sort_implINS0_14default_configELb0EPKdPdPKlPlN2at6native12_GLOBAL__N_18offset_tEEE10hipError_tPvRmT1_PNSt15iterator_traitsIS12_E10value_typeET2_T3_PNS13_IS18_E10value_typeET4_jRbjT5_S1E_jjP12ihipStream_tbEUljE_ZNSN_ISO_Lb0ESQ_SR_ST_SU_SY_EESZ_S10_S11_S12_S16_S17_S18_S1B_S1C_jS1D_jS1E_S1E_jjS1G_bEUljE0_EEESZ_S10_S11_S18_S1C_S1E_T6_T7_T9_mT8_S1G_bDpT10_ENKUlT_T0_E_clISt17integral_constantIbLb0EES1U_EEDaS1P_S1Q_EUlS1P_E_NS1_11comp_targetILNS1_3genE10ELNS1_11target_archE1200ELNS1_3gpuE4ELNS1_3repE0EEENS1_30default_config_static_selectorELNS0_4arch9wavefront6targetE1EEEvS12_,comdat
.Lfunc_end1160:
	.size	_ZN7rocprim17ROCPRIM_400000_NS6detail17trampoline_kernelINS0_13select_configILj256ELj13ELNS0_17block_load_methodE3ELS4_3ELS4_3ELNS0_20block_scan_algorithmE0ELj4294967295EEENS1_25partition_config_selectorILNS1_17partition_subalgoE4EjNS0_10empty_typeEbEEZZNS1_14partition_implILS8_4ELb0ES6_15HIP_vector_typeIjLj2EENS0_17counting_iteratorIjlEEPS9_SG_NS0_5tupleIJPjSI_NS0_16reverse_iteratorISI_EEEEENSH_IJSG_SG_SG_EEES9_SI_JZNS1_25segmented_radix_sort_implINS0_14default_configELb0EPKdPdPKlPlN2at6native12_GLOBAL__N_18offset_tEEE10hipError_tPvRmT1_PNSt15iterator_traitsIS12_E10value_typeET2_T3_PNS13_IS18_E10value_typeET4_jRbjT5_S1E_jjP12ihipStream_tbEUljE_ZNSN_ISO_Lb0ESQ_SR_ST_SU_SY_EESZ_S10_S11_S12_S16_S17_S18_S1B_S1C_jS1D_jS1E_S1E_jjS1G_bEUljE0_EEESZ_S10_S11_S18_S1C_S1E_T6_T7_T9_mT8_S1G_bDpT10_ENKUlT_T0_E_clISt17integral_constantIbLb0EES1U_EEDaS1P_S1Q_EUlS1P_E_NS1_11comp_targetILNS1_3genE10ELNS1_11target_archE1200ELNS1_3gpuE4ELNS1_3repE0EEENS1_30default_config_static_selectorELNS0_4arch9wavefront6targetE1EEEvS12_, .Lfunc_end1160-_ZN7rocprim17ROCPRIM_400000_NS6detail17trampoline_kernelINS0_13select_configILj256ELj13ELNS0_17block_load_methodE3ELS4_3ELS4_3ELNS0_20block_scan_algorithmE0ELj4294967295EEENS1_25partition_config_selectorILNS1_17partition_subalgoE4EjNS0_10empty_typeEbEEZZNS1_14partition_implILS8_4ELb0ES6_15HIP_vector_typeIjLj2EENS0_17counting_iteratorIjlEEPS9_SG_NS0_5tupleIJPjSI_NS0_16reverse_iteratorISI_EEEEENSH_IJSG_SG_SG_EEES9_SI_JZNS1_25segmented_radix_sort_implINS0_14default_configELb0EPKdPdPKlPlN2at6native12_GLOBAL__N_18offset_tEEE10hipError_tPvRmT1_PNSt15iterator_traitsIS12_E10value_typeET2_T3_PNS13_IS18_E10value_typeET4_jRbjT5_S1E_jjP12ihipStream_tbEUljE_ZNSN_ISO_Lb0ESQ_SR_ST_SU_SY_EESZ_S10_S11_S12_S16_S17_S18_S1B_S1C_jS1D_jS1E_S1E_jjS1G_bEUljE0_EEESZ_S10_S11_S18_S1C_S1E_T6_T7_T9_mT8_S1G_bDpT10_ENKUlT_T0_E_clISt17integral_constantIbLb0EES1U_EEDaS1P_S1Q_EUlS1P_E_NS1_11comp_targetILNS1_3genE10ELNS1_11target_archE1200ELNS1_3gpuE4ELNS1_3repE0EEENS1_30default_config_static_selectorELNS0_4arch9wavefront6targetE1EEEvS12_
                                        ; -- End function
	.section	.AMDGPU.csdata,"",@progbits
; Kernel info:
; codeLenInByte = 0
; NumSgprs: 4
; NumVgprs: 0
; NumAgprs: 0
; TotalNumVgprs: 0
; ScratchSize: 0
; MemoryBound: 0
; FloatMode: 240
; IeeeMode: 1
; LDSByteSize: 0 bytes/workgroup (compile time only)
; SGPRBlocks: 0
; VGPRBlocks: 0
; NumSGPRsForWavesPerEU: 4
; NumVGPRsForWavesPerEU: 1
; AccumOffset: 4
; Occupancy: 8
; WaveLimiterHint : 0
; COMPUTE_PGM_RSRC2:SCRATCH_EN: 0
; COMPUTE_PGM_RSRC2:USER_SGPR: 6
; COMPUTE_PGM_RSRC2:TRAP_HANDLER: 0
; COMPUTE_PGM_RSRC2:TGID_X_EN: 1
; COMPUTE_PGM_RSRC2:TGID_Y_EN: 0
; COMPUTE_PGM_RSRC2:TGID_Z_EN: 0
; COMPUTE_PGM_RSRC2:TIDIG_COMP_CNT: 0
; COMPUTE_PGM_RSRC3_GFX90A:ACCUM_OFFSET: 0
; COMPUTE_PGM_RSRC3_GFX90A:TG_SPLIT: 0
	.section	.text._ZN7rocprim17ROCPRIM_400000_NS6detail17trampoline_kernelINS0_13select_configILj256ELj13ELNS0_17block_load_methodE3ELS4_3ELS4_3ELNS0_20block_scan_algorithmE0ELj4294967295EEENS1_25partition_config_selectorILNS1_17partition_subalgoE4EjNS0_10empty_typeEbEEZZNS1_14partition_implILS8_4ELb0ES6_15HIP_vector_typeIjLj2EENS0_17counting_iteratorIjlEEPS9_SG_NS0_5tupleIJPjSI_NS0_16reverse_iteratorISI_EEEEENSH_IJSG_SG_SG_EEES9_SI_JZNS1_25segmented_radix_sort_implINS0_14default_configELb0EPKdPdPKlPlN2at6native12_GLOBAL__N_18offset_tEEE10hipError_tPvRmT1_PNSt15iterator_traitsIS12_E10value_typeET2_T3_PNS13_IS18_E10value_typeET4_jRbjT5_S1E_jjP12ihipStream_tbEUljE_ZNSN_ISO_Lb0ESQ_SR_ST_SU_SY_EESZ_S10_S11_S12_S16_S17_S18_S1B_S1C_jS1D_jS1E_S1E_jjS1G_bEUljE0_EEESZ_S10_S11_S18_S1C_S1E_T6_T7_T9_mT8_S1G_bDpT10_ENKUlT_T0_E_clISt17integral_constantIbLb0EES1U_EEDaS1P_S1Q_EUlS1P_E_NS1_11comp_targetILNS1_3genE9ELNS1_11target_archE1100ELNS1_3gpuE3ELNS1_3repE0EEENS1_30default_config_static_selectorELNS0_4arch9wavefront6targetE1EEEvS12_,"axG",@progbits,_ZN7rocprim17ROCPRIM_400000_NS6detail17trampoline_kernelINS0_13select_configILj256ELj13ELNS0_17block_load_methodE3ELS4_3ELS4_3ELNS0_20block_scan_algorithmE0ELj4294967295EEENS1_25partition_config_selectorILNS1_17partition_subalgoE4EjNS0_10empty_typeEbEEZZNS1_14partition_implILS8_4ELb0ES6_15HIP_vector_typeIjLj2EENS0_17counting_iteratorIjlEEPS9_SG_NS0_5tupleIJPjSI_NS0_16reverse_iteratorISI_EEEEENSH_IJSG_SG_SG_EEES9_SI_JZNS1_25segmented_radix_sort_implINS0_14default_configELb0EPKdPdPKlPlN2at6native12_GLOBAL__N_18offset_tEEE10hipError_tPvRmT1_PNSt15iterator_traitsIS12_E10value_typeET2_T3_PNS13_IS18_E10value_typeET4_jRbjT5_S1E_jjP12ihipStream_tbEUljE_ZNSN_ISO_Lb0ESQ_SR_ST_SU_SY_EESZ_S10_S11_S12_S16_S17_S18_S1B_S1C_jS1D_jS1E_S1E_jjS1G_bEUljE0_EEESZ_S10_S11_S18_S1C_S1E_T6_T7_T9_mT8_S1G_bDpT10_ENKUlT_T0_E_clISt17integral_constantIbLb0EES1U_EEDaS1P_S1Q_EUlS1P_E_NS1_11comp_targetILNS1_3genE9ELNS1_11target_archE1100ELNS1_3gpuE3ELNS1_3repE0EEENS1_30default_config_static_selectorELNS0_4arch9wavefront6targetE1EEEvS12_,comdat
	.globl	_ZN7rocprim17ROCPRIM_400000_NS6detail17trampoline_kernelINS0_13select_configILj256ELj13ELNS0_17block_load_methodE3ELS4_3ELS4_3ELNS0_20block_scan_algorithmE0ELj4294967295EEENS1_25partition_config_selectorILNS1_17partition_subalgoE4EjNS0_10empty_typeEbEEZZNS1_14partition_implILS8_4ELb0ES6_15HIP_vector_typeIjLj2EENS0_17counting_iteratorIjlEEPS9_SG_NS0_5tupleIJPjSI_NS0_16reverse_iteratorISI_EEEEENSH_IJSG_SG_SG_EEES9_SI_JZNS1_25segmented_radix_sort_implINS0_14default_configELb0EPKdPdPKlPlN2at6native12_GLOBAL__N_18offset_tEEE10hipError_tPvRmT1_PNSt15iterator_traitsIS12_E10value_typeET2_T3_PNS13_IS18_E10value_typeET4_jRbjT5_S1E_jjP12ihipStream_tbEUljE_ZNSN_ISO_Lb0ESQ_SR_ST_SU_SY_EESZ_S10_S11_S12_S16_S17_S18_S1B_S1C_jS1D_jS1E_S1E_jjS1G_bEUljE0_EEESZ_S10_S11_S18_S1C_S1E_T6_T7_T9_mT8_S1G_bDpT10_ENKUlT_T0_E_clISt17integral_constantIbLb0EES1U_EEDaS1P_S1Q_EUlS1P_E_NS1_11comp_targetILNS1_3genE9ELNS1_11target_archE1100ELNS1_3gpuE3ELNS1_3repE0EEENS1_30default_config_static_selectorELNS0_4arch9wavefront6targetE1EEEvS12_ ; -- Begin function _ZN7rocprim17ROCPRIM_400000_NS6detail17trampoline_kernelINS0_13select_configILj256ELj13ELNS0_17block_load_methodE3ELS4_3ELS4_3ELNS0_20block_scan_algorithmE0ELj4294967295EEENS1_25partition_config_selectorILNS1_17partition_subalgoE4EjNS0_10empty_typeEbEEZZNS1_14partition_implILS8_4ELb0ES6_15HIP_vector_typeIjLj2EENS0_17counting_iteratorIjlEEPS9_SG_NS0_5tupleIJPjSI_NS0_16reverse_iteratorISI_EEEEENSH_IJSG_SG_SG_EEES9_SI_JZNS1_25segmented_radix_sort_implINS0_14default_configELb0EPKdPdPKlPlN2at6native12_GLOBAL__N_18offset_tEEE10hipError_tPvRmT1_PNSt15iterator_traitsIS12_E10value_typeET2_T3_PNS13_IS18_E10value_typeET4_jRbjT5_S1E_jjP12ihipStream_tbEUljE_ZNSN_ISO_Lb0ESQ_SR_ST_SU_SY_EESZ_S10_S11_S12_S16_S17_S18_S1B_S1C_jS1D_jS1E_S1E_jjS1G_bEUljE0_EEESZ_S10_S11_S18_S1C_S1E_T6_T7_T9_mT8_S1G_bDpT10_ENKUlT_T0_E_clISt17integral_constantIbLb0EES1U_EEDaS1P_S1Q_EUlS1P_E_NS1_11comp_targetILNS1_3genE9ELNS1_11target_archE1100ELNS1_3gpuE3ELNS1_3repE0EEENS1_30default_config_static_selectorELNS0_4arch9wavefront6targetE1EEEvS12_
	.p2align	8
	.type	_ZN7rocprim17ROCPRIM_400000_NS6detail17trampoline_kernelINS0_13select_configILj256ELj13ELNS0_17block_load_methodE3ELS4_3ELS4_3ELNS0_20block_scan_algorithmE0ELj4294967295EEENS1_25partition_config_selectorILNS1_17partition_subalgoE4EjNS0_10empty_typeEbEEZZNS1_14partition_implILS8_4ELb0ES6_15HIP_vector_typeIjLj2EENS0_17counting_iteratorIjlEEPS9_SG_NS0_5tupleIJPjSI_NS0_16reverse_iteratorISI_EEEEENSH_IJSG_SG_SG_EEES9_SI_JZNS1_25segmented_radix_sort_implINS0_14default_configELb0EPKdPdPKlPlN2at6native12_GLOBAL__N_18offset_tEEE10hipError_tPvRmT1_PNSt15iterator_traitsIS12_E10value_typeET2_T3_PNS13_IS18_E10value_typeET4_jRbjT5_S1E_jjP12ihipStream_tbEUljE_ZNSN_ISO_Lb0ESQ_SR_ST_SU_SY_EESZ_S10_S11_S12_S16_S17_S18_S1B_S1C_jS1D_jS1E_S1E_jjS1G_bEUljE0_EEESZ_S10_S11_S18_S1C_S1E_T6_T7_T9_mT8_S1G_bDpT10_ENKUlT_T0_E_clISt17integral_constantIbLb0EES1U_EEDaS1P_S1Q_EUlS1P_E_NS1_11comp_targetILNS1_3genE9ELNS1_11target_archE1100ELNS1_3gpuE3ELNS1_3repE0EEENS1_30default_config_static_selectorELNS0_4arch9wavefront6targetE1EEEvS12_,@function
_ZN7rocprim17ROCPRIM_400000_NS6detail17trampoline_kernelINS0_13select_configILj256ELj13ELNS0_17block_load_methodE3ELS4_3ELS4_3ELNS0_20block_scan_algorithmE0ELj4294967295EEENS1_25partition_config_selectorILNS1_17partition_subalgoE4EjNS0_10empty_typeEbEEZZNS1_14partition_implILS8_4ELb0ES6_15HIP_vector_typeIjLj2EENS0_17counting_iteratorIjlEEPS9_SG_NS0_5tupleIJPjSI_NS0_16reverse_iteratorISI_EEEEENSH_IJSG_SG_SG_EEES9_SI_JZNS1_25segmented_radix_sort_implINS0_14default_configELb0EPKdPdPKlPlN2at6native12_GLOBAL__N_18offset_tEEE10hipError_tPvRmT1_PNSt15iterator_traitsIS12_E10value_typeET2_T3_PNS13_IS18_E10value_typeET4_jRbjT5_S1E_jjP12ihipStream_tbEUljE_ZNSN_ISO_Lb0ESQ_SR_ST_SU_SY_EESZ_S10_S11_S12_S16_S17_S18_S1B_S1C_jS1D_jS1E_S1E_jjS1G_bEUljE0_EEESZ_S10_S11_S18_S1C_S1E_T6_T7_T9_mT8_S1G_bDpT10_ENKUlT_T0_E_clISt17integral_constantIbLb0EES1U_EEDaS1P_S1Q_EUlS1P_E_NS1_11comp_targetILNS1_3genE9ELNS1_11target_archE1100ELNS1_3gpuE3ELNS1_3repE0EEENS1_30default_config_static_selectorELNS0_4arch9wavefront6targetE1EEEvS12_: ; @_ZN7rocprim17ROCPRIM_400000_NS6detail17trampoline_kernelINS0_13select_configILj256ELj13ELNS0_17block_load_methodE3ELS4_3ELS4_3ELNS0_20block_scan_algorithmE0ELj4294967295EEENS1_25partition_config_selectorILNS1_17partition_subalgoE4EjNS0_10empty_typeEbEEZZNS1_14partition_implILS8_4ELb0ES6_15HIP_vector_typeIjLj2EENS0_17counting_iteratorIjlEEPS9_SG_NS0_5tupleIJPjSI_NS0_16reverse_iteratorISI_EEEEENSH_IJSG_SG_SG_EEES9_SI_JZNS1_25segmented_radix_sort_implINS0_14default_configELb0EPKdPdPKlPlN2at6native12_GLOBAL__N_18offset_tEEE10hipError_tPvRmT1_PNSt15iterator_traitsIS12_E10value_typeET2_T3_PNS13_IS18_E10value_typeET4_jRbjT5_S1E_jjP12ihipStream_tbEUljE_ZNSN_ISO_Lb0ESQ_SR_ST_SU_SY_EESZ_S10_S11_S12_S16_S17_S18_S1B_S1C_jS1D_jS1E_S1E_jjS1G_bEUljE0_EEESZ_S10_S11_S18_S1C_S1E_T6_T7_T9_mT8_S1G_bDpT10_ENKUlT_T0_E_clISt17integral_constantIbLb0EES1U_EEDaS1P_S1Q_EUlS1P_E_NS1_11comp_targetILNS1_3genE9ELNS1_11target_archE1100ELNS1_3gpuE3ELNS1_3repE0EEENS1_30default_config_static_selectorELNS0_4arch9wavefront6targetE1EEEvS12_
; %bb.0:
	.section	.rodata,"a",@progbits
	.p2align	6, 0x0
	.amdhsa_kernel _ZN7rocprim17ROCPRIM_400000_NS6detail17trampoline_kernelINS0_13select_configILj256ELj13ELNS0_17block_load_methodE3ELS4_3ELS4_3ELNS0_20block_scan_algorithmE0ELj4294967295EEENS1_25partition_config_selectorILNS1_17partition_subalgoE4EjNS0_10empty_typeEbEEZZNS1_14partition_implILS8_4ELb0ES6_15HIP_vector_typeIjLj2EENS0_17counting_iteratorIjlEEPS9_SG_NS0_5tupleIJPjSI_NS0_16reverse_iteratorISI_EEEEENSH_IJSG_SG_SG_EEES9_SI_JZNS1_25segmented_radix_sort_implINS0_14default_configELb0EPKdPdPKlPlN2at6native12_GLOBAL__N_18offset_tEEE10hipError_tPvRmT1_PNSt15iterator_traitsIS12_E10value_typeET2_T3_PNS13_IS18_E10value_typeET4_jRbjT5_S1E_jjP12ihipStream_tbEUljE_ZNSN_ISO_Lb0ESQ_SR_ST_SU_SY_EESZ_S10_S11_S12_S16_S17_S18_S1B_S1C_jS1D_jS1E_S1E_jjS1G_bEUljE0_EEESZ_S10_S11_S18_S1C_S1E_T6_T7_T9_mT8_S1G_bDpT10_ENKUlT_T0_E_clISt17integral_constantIbLb0EES1U_EEDaS1P_S1Q_EUlS1P_E_NS1_11comp_targetILNS1_3genE9ELNS1_11target_archE1100ELNS1_3gpuE3ELNS1_3repE0EEENS1_30default_config_static_selectorELNS0_4arch9wavefront6targetE1EEEvS12_
		.amdhsa_group_segment_fixed_size 0
		.amdhsa_private_segment_fixed_size 0
		.amdhsa_kernarg_size 176
		.amdhsa_user_sgpr_count 6
		.amdhsa_user_sgpr_private_segment_buffer 1
		.amdhsa_user_sgpr_dispatch_ptr 0
		.amdhsa_user_sgpr_queue_ptr 0
		.amdhsa_user_sgpr_kernarg_segment_ptr 1
		.amdhsa_user_sgpr_dispatch_id 0
		.amdhsa_user_sgpr_flat_scratch_init 0
		.amdhsa_user_sgpr_kernarg_preload_length 0
		.amdhsa_user_sgpr_kernarg_preload_offset 0
		.amdhsa_user_sgpr_private_segment_size 0
		.amdhsa_uses_dynamic_stack 0
		.amdhsa_system_sgpr_private_segment_wavefront_offset 0
		.amdhsa_system_sgpr_workgroup_id_x 1
		.amdhsa_system_sgpr_workgroup_id_y 0
		.amdhsa_system_sgpr_workgroup_id_z 0
		.amdhsa_system_sgpr_workgroup_info 0
		.amdhsa_system_vgpr_workitem_id 0
		.amdhsa_next_free_vgpr 1
		.amdhsa_next_free_sgpr 0
		.amdhsa_accum_offset 4
		.amdhsa_reserve_vcc 0
		.amdhsa_reserve_flat_scratch 0
		.amdhsa_float_round_mode_32 0
		.amdhsa_float_round_mode_16_64 0
		.amdhsa_float_denorm_mode_32 3
		.amdhsa_float_denorm_mode_16_64 3
		.amdhsa_dx10_clamp 1
		.amdhsa_ieee_mode 1
		.amdhsa_fp16_overflow 0
		.amdhsa_tg_split 0
		.amdhsa_exception_fp_ieee_invalid_op 0
		.amdhsa_exception_fp_denorm_src 0
		.amdhsa_exception_fp_ieee_div_zero 0
		.amdhsa_exception_fp_ieee_overflow 0
		.amdhsa_exception_fp_ieee_underflow 0
		.amdhsa_exception_fp_ieee_inexact 0
		.amdhsa_exception_int_div_zero 0
	.end_amdhsa_kernel
	.section	.text._ZN7rocprim17ROCPRIM_400000_NS6detail17trampoline_kernelINS0_13select_configILj256ELj13ELNS0_17block_load_methodE3ELS4_3ELS4_3ELNS0_20block_scan_algorithmE0ELj4294967295EEENS1_25partition_config_selectorILNS1_17partition_subalgoE4EjNS0_10empty_typeEbEEZZNS1_14partition_implILS8_4ELb0ES6_15HIP_vector_typeIjLj2EENS0_17counting_iteratorIjlEEPS9_SG_NS0_5tupleIJPjSI_NS0_16reverse_iteratorISI_EEEEENSH_IJSG_SG_SG_EEES9_SI_JZNS1_25segmented_radix_sort_implINS0_14default_configELb0EPKdPdPKlPlN2at6native12_GLOBAL__N_18offset_tEEE10hipError_tPvRmT1_PNSt15iterator_traitsIS12_E10value_typeET2_T3_PNS13_IS18_E10value_typeET4_jRbjT5_S1E_jjP12ihipStream_tbEUljE_ZNSN_ISO_Lb0ESQ_SR_ST_SU_SY_EESZ_S10_S11_S12_S16_S17_S18_S1B_S1C_jS1D_jS1E_S1E_jjS1G_bEUljE0_EEESZ_S10_S11_S18_S1C_S1E_T6_T7_T9_mT8_S1G_bDpT10_ENKUlT_T0_E_clISt17integral_constantIbLb0EES1U_EEDaS1P_S1Q_EUlS1P_E_NS1_11comp_targetILNS1_3genE9ELNS1_11target_archE1100ELNS1_3gpuE3ELNS1_3repE0EEENS1_30default_config_static_selectorELNS0_4arch9wavefront6targetE1EEEvS12_,"axG",@progbits,_ZN7rocprim17ROCPRIM_400000_NS6detail17trampoline_kernelINS0_13select_configILj256ELj13ELNS0_17block_load_methodE3ELS4_3ELS4_3ELNS0_20block_scan_algorithmE0ELj4294967295EEENS1_25partition_config_selectorILNS1_17partition_subalgoE4EjNS0_10empty_typeEbEEZZNS1_14partition_implILS8_4ELb0ES6_15HIP_vector_typeIjLj2EENS0_17counting_iteratorIjlEEPS9_SG_NS0_5tupleIJPjSI_NS0_16reverse_iteratorISI_EEEEENSH_IJSG_SG_SG_EEES9_SI_JZNS1_25segmented_radix_sort_implINS0_14default_configELb0EPKdPdPKlPlN2at6native12_GLOBAL__N_18offset_tEEE10hipError_tPvRmT1_PNSt15iterator_traitsIS12_E10value_typeET2_T3_PNS13_IS18_E10value_typeET4_jRbjT5_S1E_jjP12ihipStream_tbEUljE_ZNSN_ISO_Lb0ESQ_SR_ST_SU_SY_EESZ_S10_S11_S12_S16_S17_S18_S1B_S1C_jS1D_jS1E_S1E_jjS1G_bEUljE0_EEESZ_S10_S11_S18_S1C_S1E_T6_T7_T9_mT8_S1G_bDpT10_ENKUlT_T0_E_clISt17integral_constantIbLb0EES1U_EEDaS1P_S1Q_EUlS1P_E_NS1_11comp_targetILNS1_3genE9ELNS1_11target_archE1100ELNS1_3gpuE3ELNS1_3repE0EEENS1_30default_config_static_selectorELNS0_4arch9wavefront6targetE1EEEvS12_,comdat
.Lfunc_end1161:
	.size	_ZN7rocprim17ROCPRIM_400000_NS6detail17trampoline_kernelINS0_13select_configILj256ELj13ELNS0_17block_load_methodE3ELS4_3ELS4_3ELNS0_20block_scan_algorithmE0ELj4294967295EEENS1_25partition_config_selectorILNS1_17partition_subalgoE4EjNS0_10empty_typeEbEEZZNS1_14partition_implILS8_4ELb0ES6_15HIP_vector_typeIjLj2EENS0_17counting_iteratorIjlEEPS9_SG_NS0_5tupleIJPjSI_NS0_16reverse_iteratorISI_EEEEENSH_IJSG_SG_SG_EEES9_SI_JZNS1_25segmented_radix_sort_implINS0_14default_configELb0EPKdPdPKlPlN2at6native12_GLOBAL__N_18offset_tEEE10hipError_tPvRmT1_PNSt15iterator_traitsIS12_E10value_typeET2_T3_PNS13_IS18_E10value_typeET4_jRbjT5_S1E_jjP12ihipStream_tbEUljE_ZNSN_ISO_Lb0ESQ_SR_ST_SU_SY_EESZ_S10_S11_S12_S16_S17_S18_S1B_S1C_jS1D_jS1E_S1E_jjS1G_bEUljE0_EEESZ_S10_S11_S18_S1C_S1E_T6_T7_T9_mT8_S1G_bDpT10_ENKUlT_T0_E_clISt17integral_constantIbLb0EES1U_EEDaS1P_S1Q_EUlS1P_E_NS1_11comp_targetILNS1_3genE9ELNS1_11target_archE1100ELNS1_3gpuE3ELNS1_3repE0EEENS1_30default_config_static_selectorELNS0_4arch9wavefront6targetE1EEEvS12_, .Lfunc_end1161-_ZN7rocprim17ROCPRIM_400000_NS6detail17trampoline_kernelINS0_13select_configILj256ELj13ELNS0_17block_load_methodE3ELS4_3ELS4_3ELNS0_20block_scan_algorithmE0ELj4294967295EEENS1_25partition_config_selectorILNS1_17partition_subalgoE4EjNS0_10empty_typeEbEEZZNS1_14partition_implILS8_4ELb0ES6_15HIP_vector_typeIjLj2EENS0_17counting_iteratorIjlEEPS9_SG_NS0_5tupleIJPjSI_NS0_16reverse_iteratorISI_EEEEENSH_IJSG_SG_SG_EEES9_SI_JZNS1_25segmented_radix_sort_implINS0_14default_configELb0EPKdPdPKlPlN2at6native12_GLOBAL__N_18offset_tEEE10hipError_tPvRmT1_PNSt15iterator_traitsIS12_E10value_typeET2_T3_PNS13_IS18_E10value_typeET4_jRbjT5_S1E_jjP12ihipStream_tbEUljE_ZNSN_ISO_Lb0ESQ_SR_ST_SU_SY_EESZ_S10_S11_S12_S16_S17_S18_S1B_S1C_jS1D_jS1E_S1E_jjS1G_bEUljE0_EEESZ_S10_S11_S18_S1C_S1E_T6_T7_T9_mT8_S1G_bDpT10_ENKUlT_T0_E_clISt17integral_constantIbLb0EES1U_EEDaS1P_S1Q_EUlS1P_E_NS1_11comp_targetILNS1_3genE9ELNS1_11target_archE1100ELNS1_3gpuE3ELNS1_3repE0EEENS1_30default_config_static_selectorELNS0_4arch9wavefront6targetE1EEEvS12_
                                        ; -- End function
	.section	.AMDGPU.csdata,"",@progbits
; Kernel info:
; codeLenInByte = 0
; NumSgprs: 4
; NumVgprs: 0
; NumAgprs: 0
; TotalNumVgprs: 0
; ScratchSize: 0
; MemoryBound: 0
; FloatMode: 240
; IeeeMode: 1
; LDSByteSize: 0 bytes/workgroup (compile time only)
; SGPRBlocks: 0
; VGPRBlocks: 0
; NumSGPRsForWavesPerEU: 4
; NumVGPRsForWavesPerEU: 1
; AccumOffset: 4
; Occupancy: 8
; WaveLimiterHint : 0
; COMPUTE_PGM_RSRC2:SCRATCH_EN: 0
; COMPUTE_PGM_RSRC2:USER_SGPR: 6
; COMPUTE_PGM_RSRC2:TRAP_HANDLER: 0
; COMPUTE_PGM_RSRC2:TGID_X_EN: 1
; COMPUTE_PGM_RSRC2:TGID_Y_EN: 0
; COMPUTE_PGM_RSRC2:TGID_Z_EN: 0
; COMPUTE_PGM_RSRC2:TIDIG_COMP_CNT: 0
; COMPUTE_PGM_RSRC3_GFX90A:ACCUM_OFFSET: 0
; COMPUTE_PGM_RSRC3_GFX90A:TG_SPLIT: 0
	.section	.text._ZN7rocprim17ROCPRIM_400000_NS6detail17trampoline_kernelINS0_13select_configILj256ELj13ELNS0_17block_load_methodE3ELS4_3ELS4_3ELNS0_20block_scan_algorithmE0ELj4294967295EEENS1_25partition_config_selectorILNS1_17partition_subalgoE4EjNS0_10empty_typeEbEEZZNS1_14partition_implILS8_4ELb0ES6_15HIP_vector_typeIjLj2EENS0_17counting_iteratorIjlEEPS9_SG_NS0_5tupleIJPjSI_NS0_16reverse_iteratorISI_EEEEENSH_IJSG_SG_SG_EEES9_SI_JZNS1_25segmented_radix_sort_implINS0_14default_configELb0EPKdPdPKlPlN2at6native12_GLOBAL__N_18offset_tEEE10hipError_tPvRmT1_PNSt15iterator_traitsIS12_E10value_typeET2_T3_PNS13_IS18_E10value_typeET4_jRbjT5_S1E_jjP12ihipStream_tbEUljE_ZNSN_ISO_Lb0ESQ_SR_ST_SU_SY_EESZ_S10_S11_S12_S16_S17_S18_S1B_S1C_jS1D_jS1E_S1E_jjS1G_bEUljE0_EEESZ_S10_S11_S18_S1C_S1E_T6_T7_T9_mT8_S1G_bDpT10_ENKUlT_T0_E_clISt17integral_constantIbLb0EES1U_EEDaS1P_S1Q_EUlS1P_E_NS1_11comp_targetILNS1_3genE8ELNS1_11target_archE1030ELNS1_3gpuE2ELNS1_3repE0EEENS1_30default_config_static_selectorELNS0_4arch9wavefront6targetE1EEEvS12_,"axG",@progbits,_ZN7rocprim17ROCPRIM_400000_NS6detail17trampoline_kernelINS0_13select_configILj256ELj13ELNS0_17block_load_methodE3ELS4_3ELS4_3ELNS0_20block_scan_algorithmE0ELj4294967295EEENS1_25partition_config_selectorILNS1_17partition_subalgoE4EjNS0_10empty_typeEbEEZZNS1_14partition_implILS8_4ELb0ES6_15HIP_vector_typeIjLj2EENS0_17counting_iteratorIjlEEPS9_SG_NS0_5tupleIJPjSI_NS0_16reverse_iteratorISI_EEEEENSH_IJSG_SG_SG_EEES9_SI_JZNS1_25segmented_radix_sort_implINS0_14default_configELb0EPKdPdPKlPlN2at6native12_GLOBAL__N_18offset_tEEE10hipError_tPvRmT1_PNSt15iterator_traitsIS12_E10value_typeET2_T3_PNS13_IS18_E10value_typeET4_jRbjT5_S1E_jjP12ihipStream_tbEUljE_ZNSN_ISO_Lb0ESQ_SR_ST_SU_SY_EESZ_S10_S11_S12_S16_S17_S18_S1B_S1C_jS1D_jS1E_S1E_jjS1G_bEUljE0_EEESZ_S10_S11_S18_S1C_S1E_T6_T7_T9_mT8_S1G_bDpT10_ENKUlT_T0_E_clISt17integral_constantIbLb0EES1U_EEDaS1P_S1Q_EUlS1P_E_NS1_11comp_targetILNS1_3genE8ELNS1_11target_archE1030ELNS1_3gpuE2ELNS1_3repE0EEENS1_30default_config_static_selectorELNS0_4arch9wavefront6targetE1EEEvS12_,comdat
	.globl	_ZN7rocprim17ROCPRIM_400000_NS6detail17trampoline_kernelINS0_13select_configILj256ELj13ELNS0_17block_load_methodE3ELS4_3ELS4_3ELNS0_20block_scan_algorithmE0ELj4294967295EEENS1_25partition_config_selectorILNS1_17partition_subalgoE4EjNS0_10empty_typeEbEEZZNS1_14partition_implILS8_4ELb0ES6_15HIP_vector_typeIjLj2EENS0_17counting_iteratorIjlEEPS9_SG_NS0_5tupleIJPjSI_NS0_16reverse_iteratorISI_EEEEENSH_IJSG_SG_SG_EEES9_SI_JZNS1_25segmented_radix_sort_implINS0_14default_configELb0EPKdPdPKlPlN2at6native12_GLOBAL__N_18offset_tEEE10hipError_tPvRmT1_PNSt15iterator_traitsIS12_E10value_typeET2_T3_PNS13_IS18_E10value_typeET4_jRbjT5_S1E_jjP12ihipStream_tbEUljE_ZNSN_ISO_Lb0ESQ_SR_ST_SU_SY_EESZ_S10_S11_S12_S16_S17_S18_S1B_S1C_jS1D_jS1E_S1E_jjS1G_bEUljE0_EEESZ_S10_S11_S18_S1C_S1E_T6_T7_T9_mT8_S1G_bDpT10_ENKUlT_T0_E_clISt17integral_constantIbLb0EES1U_EEDaS1P_S1Q_EUlS1P_E_NS1_11comp_targetILNS1_3genE8ELNS1_11target_archE1030ELNS1_3gpuE2ELNS1_3repE0EEENS1_30default_config_static_selectorELNS0_4arch9wavefront6targetE1EEEvS12_ ; -- Begin function _ZN7rocprim17ROCPRIM_400000_NS6detail17trampoline_kernelINS0_13select_configILj256ELj13ELNS0_17block_load_methodE3ELS4_3ELS4_3ELNS0_20block_scan_algorithmE0ELj4294967295EEENS1_25partition_config_selectorILNS1_17partition_subalgoE4EjNS0_10empty_typeEbEEZZNS1_14partition_implILS8_4ELb0ES6_15HIP_vector_typeIjLj2EENS0_17counting_iteratorIjlEEPS9_SG_NS0_5tupleIJPjSI_NS0_16reverse_iteratorISI_EEEEENSH_IJSG_SG_SG_EEES9_SI_JZNS1_25segmented_radix_sort_implINS0_14default_configELb0EPKdPdPKlPlN2at6native12_GLOBAL__N_18offset_tEEE10hipError_tPvRmT1_PNSt15iterator_traitsIS12_E10value_typeET2_T3_PNS13_IS18_E10value_typeET4_jRbjT5_S1E_jjP12ihipStream_tbEUljE_ZNSN_ISO_Lb0ESQ_SR_ST_SU_SY_EESZ_S10_S11_S12_S16_S17_S18_S1B_S1C_jS1D_jS1E_S1E_jjS1G_bEUljE0_EEESZ_S10_S11_S18_S1C_S1E_T6_T7_T9_mT8_S1G_bDpT10_ENKUlT_T0_E_clISt17integral_constantIbLb0EES1U_EEDaS1P_S1Q_EUlS1P_E_NS1_11comp_targetILNS1_3genE8ELNS1_11target_archE1030ELNS1_3gpuE2ELNS1_3repE0EEENS1_30default_config_static_selectorELNS0_4arch9wavefront6targetE1EEEvS12_
	.p2align	8
	.type	_ZN7rocprim17ROCPRIM_400000_NS6detail17trampoline_kernelINS0_13select_configILj256ELj13ELNS0_17block_load_methodE3ELS4_3ELS4_3ELNS0_20block_scan_algorithmE0ELj4294967295EEENS1_25partition_config_selectorILNS1_17partition_subalgoE4EjNS0_10empty_typeEbEEZZNS1_14partition_implILS8_4ELb0ES6_15HIP_vector_typeIjLj2EENS0_17counting_iteratorIjlEEPS9_SG_NS0_5tupleIJPjSI_NS0_16reverse_iteratorISI_EEEEENSH_IJSG_SG_SG_EEES9_SI_JZNS1_25segmented_radix_sort_implINS0_14default_configELb0EPKdPdPKlPlN2at6native12_GLOBAL__N_18offset_tEEE10hipError_tPvRmT1_PNSt15iterator_traitsIS12_E10value_typeET2_T3_PNS13_IS18_E10value_typeET4_jRbjT5_S1E_jjP12ihipStream_tbEUljE_ZNSN_ISO_Lb0ESQ_SR_ST_SU_SY_EESZ_S10_S11_S12_S16_S17_S18_S1B_S1C_jS1D_jS1E_S1E_jjS1G_bEUljE0_EEESZ_S10_S11_S18_S1C_S1E_T6_T7_T9_mT8_S1G_bDpT10_ENKUlT_T0_E_clISt17integral_constantIbLb0EES1U_EEDaS1P_S1Q_EUlS1P_E_NS1_11comp_targetILNS1_3genE8ELNS1_11target_archE1030ELNS1_3gpuE2ELNS1_3repE0EEENS1_30default_config_static_selectorELNS0_4arch9wavefront6targetE1EEEvS12_,@function
_ZN7rocprim17ROCPRIM_400000_NS6detail17trampoline_kernelINS0_13select_configILj256ELj13ELNS0_17block_load_methodE3ELS4_3ELS4_3ELNS0_20block_scan_algorithmE0ELj4294967295EEENS1_25partition_config_selectorILNS1_17partition_subalgoE4EjNS0_10empty_typeEbEEZZNS1_14partition_implILS8_4ELb0ES6_15HIP_vector_typeIjLj2EENS0_17counting_iteratorIjlEEPS9_SG_NS0_5tupleIJPjSI_NS0_16reverse_iteratorISI_EEEEENSH_IJSG_SG_SG_EEES9_SI_JZNS1_25segmented_radix_sort_implINS0_14default_configELb0EPKdPdPKlPlN2at6native12_GLOBAL__N_18offset_tEEE10hipError_tPvRmT1_PNSt15iterator_traitsIS12_E10value_typeET2_T3_PNS13_IS18_E10value_typeET4_jRbjT5_S1E_jjP12ihipStream_tbEUljE_ZNSN_ISO_Lb0ESQ_SR_ST_SU_SY_EESZ_S10_S11_S12_S16_S17_S18_S1B_S1C_jS1D_jS1E_S1E_jjS1G_bEUljE0_EEESZ_S10_S11_S18_S1C_S1E_T6_T7_T9_mT8_S1G_bDpT10_ENKUlT_T0_E_clISt17integral_constantIbLb0EES1U_EEDaS1P_S1Q_EUlS1P_E_NS1_11comp_targetILNS1_3genE8ELNS1_11target_archE1030ELNS1_3gpuE2ELNS1_3repE0EEENS1_30default_config_static_selectorELNS0_4arch9wavefront6targetE1EEEvS12_: ; @_ZN7rocprim17ROCPRIM_400000_NS6detail17trampoline_kernelINS0_13select_configILj256ELj13ELNS0_17block_load_methodE3ELS4_3ELS4_3ELNS0_20block_scan_algorithmE0ELj4294967295EEENS1_25partition_config_selectorILNS1_17partition_subalgoE4EjNS0_10empty_typeEbEEZZNS1_14partition_implILS8_4ELb0ES6_15HIP_vector_typeIjLj2EENS0_17counting_iteratorIjlEEPS9_SG_NS0_5tupleIJPjSI_NS0_16reverse_iteratorISI_EEEEENSH_IJSG_SG_SG_EEES9_SI_JZNS1_25segmented_radix_sort_implINS0_14default_configELb0EPKdPdPKlPlN2at6native12_GLOBAL__N_18offset_tEEE10hipError_tPvRmT1_PNSt15iterator_traitsIS12_E10value_typeET2_T3_PNS13_IS18_E10value_typeET4_jRbjT5_S1E_jjP12ihipStream_tbEUljE_ZNSN_ISO_Lb0ESQ_SR_ST_SU_SY_EESZ_S10_S11_S12_S16_S17_S18_S1B_S1C_jS1D_jS1E_S1E_jjS1G_bEUljE0_EEESZ_S10_S11_S18_S1C_S1E_T6_T7_T9_mT8_S1G_bDpT10_ENKUlT_T0_E_clISt17integral_constantIbLb0EES1U_EEDaS1P_S1Q_EUlS1P_E_NS1_11comp_targetILNS1_3genE8ELNS1_11target_archE1030ELNS1_3gpuE2ELNS1_3repE0EEENS1_30default_config_static_selectorELNS0_4arch9wavefront6targetE1EEEvS12_
; %bb.0:
	.section	.rodata,"a",@progbits
	.p2align	6, 0x0
	.amdhsa_kernel _ZN7rocprim17ROCPRIM_400000_NS6detail17trampoline_kernelINS0_13select_configILj256ELj13ELNS0_17block_load_methodE3ELS4_3ELS4_3ELNS0_20block_scan_algorithmE0ELj4294967295EEENS1_25partition_config_selectorILNS1_17partition_subalgoE4EjNS0_10empty_typeEbEEZZNS1_14partition_implILS8_4ELb0ES6_15HIP_vector_typeIjLj2EENS0_17counting_iteratorIjlEEPS9_SG_NS0_5tupleIJPjSI_NS0_16reverse_iteratorISI_EEEEENSH_IJSG_SG_SG_EEES9_SI_JZNS1_25segmented_radix_sort_implINS0_14default_configELb0EPKdPdPKlPlN2at6native12_GLOBAL__N_18offset_tEEE10hipError_tPvRmT1_PNSt15iterator_traitsIS12_E10value_typeET2_T3_PNS13_IS18_E10value_typeET4_jRbjT5_S1E_jjP12ihipStream_tbEUljE_ZNSN_ISO_Lb0ESQ_SR_ST_SU_SY_EESZ_S10_S11_S12_S16_S17_S18_S1B_S1C_jS1D_jS1E_S1E_jjS1G_bEUljE0_EEESZ_S10_S11_S18_S1C_S1E_T6_T7_T9_mT8_S1G_bDpT10_ENKUlT_T0_E_clISt17integral_constantIbLb0EES1U_EEDaS1P_S1Q_EUlS1P_E_NS1_11comp_targetILNS1_3genE8ELNS1_11target_archE1030ELNS1_3gpuE2ELNS1_3repE0EEENS1_30default_config_static_selectorELNS0_4arch9wavefront6targetE1EEEvS12_
		.amdhsa_group_segment_fixed_size 0
		.amdhsa_private_segment_fixed_size 0
		.amdhsa_kernarg_size 176
		.amdhsa_user_sgpr_count 6
		.amdhsa_user_sgpr_private_segment_buffer 1
		.amdhsa_user_sgpr_dispatch_ptr 0
		.amdhsa_user_sgpr_queue_ptr 0
		.amdhsa_user_sgpr_kernarg_segment_ptr 1
		.amdhsa_user_sgpr_dispatch_id 0
		.amdhsa_user_sgpr_flat_scratch_init 0
		.amdhsa_user_sgpr_kernarg_preload_length 0
		.amdhsa_user_sgpr_kernarg_preload_offset 0
		.amdhsa_user_sgpr_private_segment_size 0
		.amdhsa_uses_dynamic_stack 0
		.amdhsa_system_sgpr_private_segment_wavefront_offset 0
		.amdhsa_system_sgpr_workgroup_id_x 1
		.amdhsa_system_sgpr_workgroup_id_y 0
		.amdhsa_system_sgpr_workgroup_id_z 0
		.amdhsa_system_sgpr_workgroup_info 0
		.amdhsa_system_vgpr_workitem_id 0
		.amdhsa_next_free_vgpr 1
		.amdhsa_next_free_sgpr 0
		.amdhsa_accum_offset 4
		.amdhsa_reserve_vcc 0
		.amdhsa_reserve_flat_scratch 0
		.amdhsa_float_round_mode_32 0
		.amdhsa_float_round_mode_16_64 0
		.amdhsa_float_denorm_mode_32 3
		.amdhsa_float_denorm_mode_16_64 3
		.amdhsa_dx10_clamp 1
		.amdhsa_ieee_mode 1
		.amdhsa_fp16_overflow 0
		.amdhsa_tg_split 0
		.amdhsa_exception_fp_ieee_invalid_op 0
		.amdhsa_exception_fp_denorm_src 0
		.amdhsa_exception_fp_ieee_div_zero 0
		.amdhsa_exception_fp_ieee_overflow 0
		.amdhsa_exception_fp_ieee_underflow 0
		.amdhsa_exception_fp_ieee_inexact 0
		.amdhsa_exception_int_div_zero 0
	.end_amdhsa_kernel
	.section	.text._ZN7rocprim17ROCPRIM_400000_NS6detail17trampoline_kernelINS0_13select_configILj256ELj13ELNS0_17block_load_methodE3ELS4_3ELS4_3ELNS0_20block_scan_algorithmE0ELj4294967295EEENS1_25partition_config_selectorILNS1_17partition_subalgoE4EjNS0_10empty_typeEbEEZZNS1_14partition_implILS8_4ELb0ES6_15HIP_vector_typeIjLj2EENS0_17counting_iteratorIjlEEPS9_SG_NS0_5tupleIJPjSI_NS0_16reverse_iteratorISI_EEEEENSH_IJSG_SG_SG_EEES9_SI_JZNS1_25segmented_radix_sort_implINS0_14default_configELb0EPKdPdPKlPlN2at6native12_GLOBAL__N_18offset_tEEE10hipError_tPvRmT1_PNSt15iterator_traitsIS12_E10value_typeET2_T3_PNS13_IS18_E10value_typeET4_jRbjT5_S1E_jjP12ihipStream_tbEUljE_ZNSN_ISO_Lb0ESQ_SR_ST_SU_SY_EESZ_S10_S11_S12_S16_S17_S18_S1B_S1C_jS1D_jS1E_S1E_jjS1G_bEUljE0_EEESZ_S10_S11_S18_S1C_S1E_T6_T7_T9_mT8_S1G_bDpT10_ENKUlT_T0_E_clISt17integral_constantIbLb0EES1U_EEDaS1P_S1Q_EUlS1P_E_NS1_11comp_targetILNS1_3genE8ELNS1_11target_archE1030ELNS1_3gpuE2ELNS1_3repE0EEENS1_30default_config_static_selectorELNS0_4arch9wavefront6targetE1EEEvS12_,"axG",@progbits,_ZN7rocprim17ROCPRIM_400000_NS6detail17trampoline_kernelINS0_13select_configILj256ELj13ELNS0_17block_load_methodE3ELS4_3ELS4_3ELNS0_20block_scan_algorithmE0ELj4294967295EEENS1_25partition_config_selectorILNS1_17partition_subalgoE4EjNS0_10empty_typeEbEEZZNS1_14partition_implILS8_4ELb0ES6_15HIP_vector_typeIjLj2EENS0_17counting_iteratorIjlEEPS9_SG_NS0_5tupleIJPjSI_NS0_16reverse_iteratorISI_EEEEENSH_IJSG_SG_SG_EEES9_SI_JZNS1_25segmented_radix_sort_implINS0_14default_configELb0EPKdPdPKlPlN2at6native12_GLOBAL__N_18offset_tEEE10hipError_tPvRmT1_PNSt15iterator_traitsIS12_E10value_typeET2_T3_PNS13_IS18_E10value_typeET4_jRbjT5_S1E_jjP12ihipStream_tbEUljE_ZNSN_ISO_Lb0ESQ_SR_ST_SU_SY_EESZ_S10_S11_S12_S16_S17_S18_S1B_S1C_jS1D_jS1E_S1E_jjS1G_bEUljE0_EEESZ_S10_S11_S18_S1C_S1E_T6_T7_T9_mT8_S1G_bDpT10_ENKUlT_T0_E_clISt17integral_constantIbLb0EES1U_EEDaS1P_S1Q_EUlS1P_E_NS1_11comp_targetILNS1_3genE8ELNS1_11target_archE1030ELNS1_3gpuE2ELNS1_3repE0EEENS1_30default_config_static_selectorELNS0_4arch9wavefront6targetE1EEEvS12_,comdat
.Lfunc_end1162:
	.size	_ZN7rocprim17ROCPRIM_400000_NS6detail17trampoline_kernelINS0_13select_configILj256ELj13ELNS0_17block_load_methodE3ELS4_3ELS4_3ELNS0_20block_scan_algorithmE0ELj4294967295EEENS1_25partition_config_selectorILNS1_17partition_subalgoE4EjNS0_10empty_typeEbEEZZNS1_14partition_implILS8_4ELb0ES6_15HIP_vector_typeIjLj2EENS0_17counting_iteratorIjlEEPS9_SG_NS0_5tupleIJPjSI_NS0_16reverse_iteratorISI_EEEEENSH_IJSG_SG_SG_EEES9_SI_JZNS1_25segmented_radix_sort_implINS0_14default_configELb0EPKdPdPKlPlN2at6native12_GLOBAL__N_18offset_tEEE10hipError_tPvRmT1_PNSt15iterator_traitsIS12_E10value_typeET2_T3_PNS13_IS18_E10value_typeET4_jRbjT5_S1E_jjP12ihipStream_tbEUljE_ZNSN_ISO_Lb0ESQ_SR_ST_SU_SY_EESZ_S10_S11_S12_S16_S17_S18_S1B_S1C_jS1D_jS1E_S1E_jjS1G_bEUljE0_EEESZ_S10_S11_S18_S1C_S1E_T6_T7_T9_mT8_S1G_bDpT10_ENKUlT_T0_E_clISt17integral_constantIbLb0EES1U_EEDaS1P_S1Q_EUlS1P_E_NS1_11comp_targetILNS1_3genE8ELNS1_11target_archE1030ELNS1_3gpuE2ELNS1_3repE0EEENS1_30default_config_static_selectorELNS0_4arch9wavefront6targetE1EEEvS12_, .Lfunc_end1162-_ZN7rocprim17ROCPRIM_400000_NS6detail17trampoline_kernelINS0_13select_configILj256ELj13ELNS0_17block_load_methodE3ELS4_3ELS4_3ELNS0_20block_scan_algorithmE0ELj4294967295EEENS1_25partition_config_selectorILNS1_17partition_subalgoE4EjNS0_10empty_typeEbEEZZNS1_14partition_implILS8_4ELb0ES6_15HIP_vector_typeIjLj2EENS0_17counting_iteratorIjlEEPS9_SG_NS0_5tupleIJPjSI_NS0_16reverse_iteratorISI_EEEEENSH_IJSG_SG_SG_EEES9_SI_JZNS1_25segmented_radix_sort_implINS0_14default_configELb0EPKdPdPKlPlN2at6native12_GLOBAL__N_18offset_tEEE10hipError_tPvRmT1_PNSt15iterator_traitsIS12_E10value_typeET2_T3_PNS13_IS18_E10value_typeET4_jRbjT5_S1E_jjP12ihipStream_tbEUljE_ZNSN_ISO_Lb0ESQ_SR_ST_SU_SY_EESZ_S10_S11_S12_S16_S17_S18_S1B_S1C_jS1D_jS1E_S1E_jjS1G_bEUljE0_EEESZ_S10_S11_S18_S1C_S1E_T6_T7_T9_mT8_S1G_bDpT10_ENKUlT_T0_E_clISt17integral_constantIbLb0EES1U_EEDaS1P_S1Q_EUlS1P_E_NS1_11comp_targetILNS1_3genE8ELNS1_11target_archE1030ELNS1_3gpuE2ELNS1_3repE0EEENS1_30default_config_static_selectorELNS0_4arch9wavefront6targetE1EEEvS12_
                                        ; -- End function
	.section	.AMDGPU.csdata,"",@progbits
; Kernel info:
; codeLenInByte = 0
; NumSgprs: 4
; NumVgprs: 0
; NumAgprs: 0
; TotalNumVgprs: 0
; ScratchSize: 0
; MemoryBound: 0
; FloatMode: 240
; IeeeMode: 1
; LDSByteSize: 0 bytes/workgroup (compile time only)
; SGPRBlocks: 0
; VGPRBlocks: 0
; NumSGPRsForWavesPerEU: 4
; NumVGPRsForWavesPerEU: 1
; AccumOffset: 4
; Occupancy: 8
; WaveLimiterHint : 0
; COMPUTE_PGM_RSRC2:SCRATCH_EN: 0
; COMPUTE_PGM_RSRC2:USER_SGPR: 6
; COMPUTE_PGM_RSRC2:TRAP_HANDLER: 0
; COMPUTE_PGM_RSRC2:TGID_X_EN: 1
; COMPUTE_PGM_RSRC2:TGID_Y_EN: 0
; COMPUTE_PGM_RSRC2:TGID_Z_EN: 0
; COMPUTE_PGM_RSRC2:TIDIG_COMP_CNT: 0
; COMPUTE_PGM_RSRC3_GFX90A:ACCUM_OFFSET: 0
; COMPUTE_PGM_RSRC3_GFX90A:TG_SPLIT: 0
	.section	.text._ZN7rocprim17ROCPRIM_400000_NS6detail17trampoline_kernelINS0_13select_configILj256ELj13ELNS0_17block_load_methodE3ELS4_3ELS4_3ELNS0_20block_scan_algorithmE0ELj4294967295EEENS1_25partition_config_selectorILNS1_17partition_subalgoE4EjNS0_10empty_typeEbEEZZNS1_14partition_implILS8_4ELb0ES6_15HIP_vector_typeIjLj2EENS0_17counting_iteratorIjlEEPS9_SG_NS0_5tupleIJPjSI_NS0_16reverse_iteratorISI_EEEEENSH_IJSG_SG_SG_EEES9_SI_JZNS1_25segmented_radix_sort_implINS0_14default_configELb0EPKdPdPKlPlN2at6native12_GLOBAL__N_18offset_tEEE10hipError_tPvRmT1_PNSt15iterator_traitsIS12_E10value_typeET2_T3_PNS13_IS18_E10value_typeET4_jRbjT5_S1E_jjP12ihipStream_tbEUljE_ZNSN_ISO_Lb0ESQ_SR_ST_SU_SY_EESZ_S10_S11_S12_S16_S17_S18_S1B_S1C_jS1D_jS1E_S1E_jjS1G_bEUljE0_EEESZ_S10_S11_S18_S1C_S1E_T6_T7_T9_mT8_S1G_bDpT10_ENKUlT_T0_E_clISt17integral_constantIbLb1EES1U_EEDaS1P_S1Q_EUlS1P_E_NS1_11comp_targetILNS1_3genE0ELNS1_11target_archE4294967295ELNS1_3gpuE0ELNS1_3repE0EEENS1_30default_config_static_selectorELNS0_4arch9wavefront6targetE1EEEvS12_,"axG",@progbits,_ZN7rocprim17ROCPRIM_400000_NS6detail17trampoline_kernelINS0_13select_configILj256ELj13ELNS0_17block_load_methodE3ELS4_3ELS4_3ELNS0_20block_scan_algorithmE0ELj4294967295EEENS1_25partition_config_selectorILNS1_17partition_subalgoE4EjNS0_10empty_typeEbEEZZNS1_14partition_implILS8_4ELb0ES6_15HIP_vector_typeIjLj2EENS0_17counting_iteratorIjlEEPS9_SG_NS0_5tupleIJPjSI_NS0_16reverse_iteratorISI_EEEEENSH_IJSG_SG_SG_EEES9_SI_JZNS1_25segmented_radix_sort_implINS0_14default_configELb0EPKdPdPKlPlN2at6native12_GLOBAL__N_18offset_tEEE10hipError_tPvRmT1_PNSt15iterator_traitsIS12_E10value_typeET2_T3_PNS13_IS18_E10value_typeET4_jRbjT5_S1E_jjP12ihipStream_tbEUljE_ZNSN_ISO_Lb0ESQ_SR_ST_SU_SY_EESZ_S10_S11_S12_S16_S17_S18_S1B_S1C_jS1D_jS1E_S1E_jjS1G_bEUljE0_EEESZ_S10_S11_S18_S1C_S1E_T6_T7_T9_mT8_S1G_bDpT10_ENKUlT_T0_E_clISt17integral_constantIbLb1EES1U_EEDaS1P_S1Q_EUlS1P_E_NS1_11comp_targetILNS1_3genE0ELNS1_11target_archE4294967295ELNS1_3gpuE0ELNS1_3repE0EEENS1_30default_config_static_selectorELNS0_4arch9wavefront6targetE1EEEvS12_,comdat
	.globl	_ZN7rocprim17ROCPRIM_400000_NS6detail17trampoline_kernelINS0_13select_configILj256ELj13ELNS0_17block_load_methodE3ELS4_3ELS4_3ELNS0_20block_scan_algorithmE0ELj4294967295EEENS1_25partition_config_selectorILNS1_17partition_subalgoE4EjNS0_10empty_typeEbEEZZNS1_14partition_implILS8_4ELb0ES6_15HIP_vector_typeIjLj2EENS0_17counting_iteratorIjlEEPS9_SG_NS0_5tupleIJPjSI_NS0_16reverse_iteratorISI_EEEEENSH_IJSG_SG_SG_EEES9_SI_JZNS1_25segmented_radix_sort_implINS0_14default_configELb0EPKdPdPKlPlN2at6native12_GLOBAL__N_18offset_tEEE10hipError_tPvRmT1_PNSt15iterator_traitsIS12_E10value_typeET2_T3_PNS13_IS18_E10value_typeET4_jRbjT5_S1E_jjP12ihipStream_tbEUljE_ZNSN_ISO_Lb0ESQ_SR_ST_SU_SY_EESZ_S10_S11_S12_S16_S17_S18_S1B_S1C_jS1D_jS1E_S1E_jjS1G_bEUljE0_EEESZ_S10_S11_S18_S1C_S1E_T6_T7_T9_mT8_S1G_bDpT10_ENKUlT_T0_E_clISt17integral_constantIbLb1EES1U_EEDaS1P_S1Q_EUlS1P_E_NS1_11comp_targetILNS1_3genE0ELNS1_11target_archE4294967295ELNS1_3gpuE0ELNS1_3repE0EEENS1_30default_config_static_selectorELNS0_4arch9wavefront6targetE1EEEvS12_ ; -- Begin function _ZN7rocprim17ROCPRIM_400000_NS6detail17trampoline_kernelINS0_13select_configILj256ELj13ELNS0_17block_load_methodE3ELS4_3ELS4_3ELNS0_20block_scan_algorithmE0ELj4294967295EEENS1_25partition_config_selectorILNS1_17partition_subalgoE4EjNS0_10empty_typeEbEEZZNS1_14partition_implILS8_4ELb0ES6_15HIP_vector_typeIjLj2EENS0_17counting_iteratorIjlEEPS9_SG_NS0_5tupleIJPjSI_NS0_16reverse_iteratorISI_EEEEENSH_IJSG_SG_SG_EEES9_SI_JZNS1_25segmented_radix_sort_implINS0_14default_configELb0EPKdPdPKlPlN2at6native12_GLOBAL__N_18offset_tEEE10hipError_tPvRmT1_PNSt15iterator_traitsIS12_E10value_typeET2_T3_PNS13_IS18_E10value_typeET4_jRbjT5_S1E_jjP12ihipStream_tbEUljE_ZNSN_ISO_Lb0ESQ_SR_ST_SU_SY_EESZ_S10_S11_S12_S16_S17_S18_S1B_S1C_jS1D_jS1E_S1E_jjS1G_bEUljE0_EEESZ_S10_S11_S18_S1C_S1E_T6_T7_T9_mT8_S1G_bDpT10_ENKUlT_T0_E_clISt17integral_constantIbLb1EES1U_EEDaS1P_S1Q_EUlS1P_E_NS1_11comp_targetILNS1_3genE0ELNS1_11target_archE4294967295ELNS1_3gpuE0ELNS1_3repE0EEENS1_30default_config_static_selectorELNS0_4arch9wavefront6targetE1EEEvS12_
	.p2align	8
	.type	_ZN7rocprim17ROCPRIM_400000_NS6detail17trampoline_kernelINS0_13select_configILj256ELj13ELNS0_17block_load_methodE3ELS4_3ELS4_3ELNS0_20block_scan_algorithmE0ELj4294967295EEENS1_25partition_config_selectorILNS1_17partition_subalgoE4EjNS0_10empty_typeEbEEZZNS1_14partition_implILS8_4ELb0ES6_15HIP_vector_typeIjLj2EENS0_17counting_iteratorIjlEEPS9_SG_NS0_5tupleIJPjSI_NS0_16reverse_iteratorISI_EEEEENSH_IJSG_SG_SG_EEES9_SI_JZNS1_25segmented_radix_sort_implINS0_14default_configELb0EPKdPdPKlPlN2at6native12_GLOBAL__N_18offset_tEEE10hipError_tPvRmT1_PNSt15iterator_traitsIS12_E10value_typeET2_T3_PNS13_IS18_E10value_typeET4_jRbjT5_S1E_jjP12ihipStream_tbEUljE_ZNSN_ISO_Lb0ESQ_SR_ST_SU_SY_EESZ_S10_S11_S12_S16_S17_S18_S1B_S1C_jS1D_jS1E_S1E_jjS1G_bEUljE0_EEESZ_S10_S11_S18_S1C_S1E_T6_T7_T9_mT8_S1G_bDpT10_ENKUlT_T0_E_clISt17integral_constantIbLb1EES1U_EEDaS1P_S1Q_EUlS1P_E_NS1_11comp_targetILNS1_3genE0ELNS1_11target_archE4294967295ELNS1_3gpuE0ELNS1_3repE0EEENS1_30default_config_static_selectorELNS0_4arch9wavefront6targetE1EEEvS12_,@function
_ZN7rocprim17ROCPRIM_400000_NS6detail17trampoline_kernelINS0_13select_configILj256ELj13ELNS0_17block_load_methodE3ELS4_3ELS4_3ELNS0_20block_scan_algorithmE0ELj4294967295EEENS1_25partition_config_selectorILNS1_17partition_subalgoE4EjNS0_10empty_typeEbEEZZNS1_14partition_implILS8_4ELb0ES6_15HIP_vector_typeIjLj2EENS0_17counting_iteratorIjlEEPS9_SG_NS0_5tupleIJPjSI_NS0_16reverse_iteratorISI_EEEEENSH_IJSG_SG_SG_EEES9_SI_JZNS1_25segmented_radix_sort_implINS0_14default_configELb0EPKdPdPKlPlN2at6native12_GLOBAL__N_18offset_tEEE10hipError_tPvRmT1_PNSt15iterator_traitsIS12_E10value_typeET2_T3_PNS13_IS18_E10value_typeET4_jRbjT5_S1E_jjP12ihipStream_tbEUljE_ZNSN_ISO_Lb0ESQ_SR_ST_SU_SY_EESZ_S10_S11_S12_S16_S17_S18_S1B_S1C_jS1D_jS1E_S1E_jjS1G_bEUljE0_EEESZ_S10_S11_S18_S1C_S1E_T6_T7_T9_mT8_S1G_bDpT10_ENKUlT_T0_E_clISt17integral_constantIbLb1EES1U_EEDaS1P_S1Q_EUlS1P_E_NS1_11comp_targetILNS1_3genE0ELNS1_11target_archE4294967295ELNS1_3gpuE0ELNS1_3repE0EEENS1_30default_config_static_selectorELNS0_4arch9wavefront6targetE1EEEvS12_: ; @_ZN7rocprim17ROCPRIM_400000_NS6detail17trampoline_kernelINS0_13select_configILj256ELj13ELNS0_17block_load_methodE3ELS4_3ELS4_3ELNS0_20block_scan_algorithmE0ELj4294967295EEENS1_25partition_config_selectorILNS1_17partition_subalgoE4EjNS0_10empty_typeEbEEZZNS1_14partition_implILS8_4ELb0ES6_15HIP_vector_typeIjLj2EENS0_17counting_iteratorIjlEEPS9_SG_NS0_5tupleIJPjSI_NS0_16reverse_iteratorISI_EEEEENSH_IJSG_SG_SG_EEES9_SI_JZNS1_25segmented_radix_sort_implINS0_14default_configELb0EPKdPdPKlPlN2at6native12_GLOBAL__N_18offset_tEEE10hipError_tPvRmT1_PNSt15iterator_traitsIS12_E10value_typeET2_T3_PNS13_IS18_E10value_typeET4_jRbjT5_S1E_jjP12ihipStream_tbEUljE_ZNSN_ISO_Lb0ESQ_SR_ST_SU_SY_EESZ_S10_S11_S12_S16_S17_S18_S1B_S1C_jS1D_jS1E_S1E_jjS1G_bEUljE0_EEESZ_S10_S11_S18_S1C_S1E_T6_T7_T9_mT8_S1G_bDpT10_ENKUlT_T0_E_clISt17integral_constantIbLb1EES1U_EEDaS1P_S1Q_EUlS1P_E_NS1_11comp_targetILNS1_3genE0ELNS1_11target_archE4294967295ELNS1_3gpuE0ELNS1_3repE0EEENS1_30default_config_static_selectorELNS0_4arch9wavefront6targetE1EEEvS12_
; %bb.0:
	.section	.rodata,"a",@progbits
	.p2align	6, 0x0
	.amdhsa_kernel _ZN7rocprim17ROCPRIM_400000_NS6detail17trampoline_kernelINS0_13select_configILj256ELj13ELNS0_17block_load_methodE3ELS4_3ELS4_3ELNS0_20block_scan_algorithmE0ELj4294967295EEENS1_25partition_config_selectorILNS1_17partition_subalgoE4EjNS0_10empty_typeEbEEZZNS1_14partition_implILS8_4ELb0ES6_15HIP_vector_typeIjLj2EENS0_17counting_iteratorIjlEEPS9_SG_NS0_5tupleIJPjSI_NS0_16reverse_iteratorISI_EEEEENSH_IJSG_SG_SG_EEES9_SI_JZNS1_25segmented_radix_sort_implINS0_14default_configELb0EPKdPdPKlPlN2at6native12_GLOBAL__N_18offset_tEEE10hipError_tPvRmT1_PNSt15iterator_traitsIS12_E10value_typeET2_T3_PNS13_IS18_E10value_typeET4_jRbjT5_S1E_jjP12ihipStream_tbEUljE_ZNSN_ISO_Lb0ESQ_SR_ST_SU_SY_EESZ_S10_S11_S12_S16_S17_S18_S1B_S1C_jS1D_jS1E_S1E_jjS1G_bEUljE0_EEESZ_S10_S11_S18_S1C_S1E_T6_T7_T9_mT8_S1G_bDpT10_ENKUlT_T0_E_clISt17integral_constantIbLb1EES1U_EEDaS1P_S1Q_EUlS1P_E_NS1_11comp_targetILNS1_3genE0ELNS1_11target_archE4294967295ELNS1_3gpuE0ELNS1_3repE0EEENS1_30default_config_static_selectorELNS0_4arch9wavefront6targetE1EEEvS12_
		.amdhsa_group_segment_fixed_size 0
		.amdhsa_private_segment_fixed_size 0
		.amdhsa_kernarg_size 184
		.amdhsa_user_sgpr_count 6
		.amdhsa_user_sgpr_private_segment_buffer 1
		.amdhsa_user_sgpr_dispatch_ptr 0
		.amdhsa_user_sgpr_queue_ptr 0
		.amdhsa_user_sgpr_kernarg_segment_ptr 1
		.amdhsa_user_sgpr_dispatch_id 0
		.amdhsa_user_sgpr_flat_scratch_init 0
		.amdhsa_user_sgpr_kernarg_preload_length 0
		.amdhsa_user_sgpr_kernarg_preload_offset 0
		.amdhsa_user_sgpr_private_segment_size 0
		.amdhsa_uses_dynamic_stack 0
		.amdhsa_system_sgpr_private_segment_wavefront_offset 0
		.amdhsa_system_sgpr_workgroup_id_x 1
		.amdhsa_system_sgpr_workgroup_id_y 0
		.amdhsa_system_sgpr_workgroup_id_z 0
		.amdhsa_system_sgpr_workgroup_info 0
		.amdhsa_system_vgpr_workitem_id 0
		.amdhsa_next_free_vgpr 1
		.amdhsa_next_free_sgpr 0
		.amdhsa_accum_offset 4
		.amdhsa_reserve_vcc 0
		.amdhsa_reserve_flat_scratch 0
		.amdhsa_float_round_mode_32 0
		.amdhsa_float_round_mode_16_64 0
		.amdhsa_float_denorm_mode_32 3
		.amdhsa_float_denorm_mode_16_64 3
		.amdhsa_dx10_clamp 1
		.amdhsa_ieee_mode 1
		.amdhsa_fp16_overflow 0
		.amdhsa_tg_split 0
		.amdhsa_exception_fp_ieee_invalid_op 0
		.amdhsa_exception_fp_denorm_src 0
		.amdhsa_exception_fp_ieee_div_zero 0
		.amdhsa_exception_fp_ieee_overflow 0
		.amdhsa_exception_fp_ieee_underflow 0
		.amdhsa_exception_fp_ieee_inexact 0
		.amdhsa_exception_int_div_zero 0
	.end_amdhsa_kernel
	.section	.text._ZN7rocprim17ROCPRIM_400000_NS6detail17trampoline_kernelINS0_13select_configILj256ELj13ELNS0_17block_load_methodE3ELS4_3ELS4_3ELNS0_20block_scan_algorithmE0ELj4294967295EEENS1_25partition_config_selectorILNS1_17partition_subalgoE4EjNS0_10empty_typeEbEEZZNS1_14partition_implILS8_4ELb0ES6_15HIP_vector_typeIjLj2EENS0_17counting_iteratorIjlEEPS9_SG_NS0_5tupleIJPjSI_NS0_16reverse_iteratorISI_EEEEENSH_IJSG_SG_SG_EEES9_SI_JZNS1_25segmented_radix_sort_implINS0_14default_configELb0EPKdPdPKlPlN2at6native12_GLOBAL__N_18offset_tEEE10hipError_tPvRmT1_PNSt15iterator_traitsIS12_E10value_typeET2_T3_PNS13_IS18_E10value_typeET4_jRbjT5_S1E_jjP12ihipStream_tbEUljE_ZNSN_ISO_Lb0ESQ_SR_ST_SU_SY_EESZ_S10_S11_S12_S16_S17_S18_S1B_S1C_jS1D_jS1E_S1E_jjS1G_bEUljE0_EEESZ_S10_S11_S18_S1C_S1E_T6_T7_T9_mT8_S1G_bDpT10_ENKUlT_T0_E_clISt17integral_constantIbLb1EES1U_EEDaS1P_S1Q_EUlS1P_E_NS1_11comp_targetILNS1_3genE0ELNS1_11target_archE4294967295ELNS1_3gpuE0ELNS1_3repE0EEENS1_30default_config_static_selectorELNS0_4arch9wavefront6targetE1EEEvS12_,"axG",@progbits,_ZN7rocprim17ROCPRIM_400000_NS6detail17trampoline_kernelINS0_13select_configILj256ELj13ELNS0_17block_load_methodE3ELS4_3ELS4_3ELNS0_20block_scan_algorithmE0ELj4294967295EEENS1_25partition_config_selectorILNS1_17partition_subalgoE4EjNS0_10empty_typeEbEEZZNS1_14partition_implILS8_4ELb0ES6_15HIP_vector_typeIjLj2EENS0_17counting_iteratorIjlEEPS9_SG_NS0_5tupleIJPjSI_NS0_16reverse_iteratorISI_EEEEENSH_IJSG_SG_SG_EEES9_SI_JZNS1_25segmented_radix_sort_implINS0_14default_configELb0EPKdPdPKlPlN2at6native12_GLOBAL__N_18offset_tEEE10hipError_tPvRmT1_PNSt15iterator_traitsIS12_E10value_typeET2_T3_PNS13_IS18_E10value_typeET4_jRbjT5_S1E_jjP12ihipStream_tbEUljE_ZNSN_ISO_Lb0ESQ_SR_ST_SU_SY_EESZ_S10_S11_S12_S16_S17_S18_S1B_S1C_jS1D_jS1E_S1E_jjS1G_bEUljE0_EEESZ_S10_S11_S18_S1C_S1E_T6_T7_T9_mT8_S1G_bDpT10_ENKUlT_T0_E_clISt17integral_constantIbLb1EES1U_EEDaS1P_S1Q_EUlS1P_E_NS1_11comp_targetILNS1_3genE0ELNS1_11target_archE4294967295ELNS1_3gpuE0ELNS1_3repE0EEENS1_30default_config_static_selectorELNS0_4arch9wavefront6targetE1EEEvS12_,comdat
.Lfunc_end1163:
	.size	_ZN7rocprim17ROCPRIM_400000_NS6detail17trampoline_kernelINS0_13select_configILj256ELj13ELNS0_17block_load_methodE3ELS4_3ELS4_3ELNS0_20block_scan_algorithmE0ELj4294967295EEENS1_25partition_config_selectorILNS1_17partition_subalgoE4EjNS0_10empty_typeEbEEZZNS1_14partition_implILS8_4ELb0ES6_15HIP_vector_typeIjLj2EENS0_17counting_iteratorIjlEEPS9_SG_NS0_5tupleIJPjSI_NS0_16reverse_iteratorISI_EEEEENSH_IJSG_SG_SG_EEES9_SI_JZNS1_25segmented_radix_sort_implINS0_14default_configELb0EPKdPdPKlPlN2at6native12_GLOBAL__N_18offset_tEEE10hipError_tPvRmT1_PNSt15iterator_traitsIS12_E10value_typeET2_T3_PNS13_IS18_E10value_typeET4_jRbjT5_S1E_jjP12ihipStream_tbEUljE_ZNSN_ISO_Lb0ESQ_SR_ST_SU_SY_EESZ_S10_S11_S12_S16_S17_S18_S1B_S1C_jS1D_jS1E_S1E_jjS1G_bEUljE0_EEESZ_S10_S11_S18_S1C_S1E_T6_T7_T9_mT8_S1G_bDpT10_ENKUlT_T0_E_clISt17integral_constantIbLb1EES1U_EEDaS1P_S1Q_EUlS1P_E_NS1_11comp_targetILNS1_3genE0ELNS1_11target_archE4294967295ELNS1_3gpuE0ELNS1_3repE0EEENS1_30default_config_static_selectorELNS0_4arch9wavefront6targetE1EEEvS12_, .Lfunc_end1163-_ZN7rocprim17ROCPRIM_400000_NS6detail17trampoline_kernelINS0_13select_configILj256ELj13ELNS0_17block_load_methodE3ELS4_3ELS4_3ELNS0_20block_scan_algorithmE0ELj4294967295EEENS1_25partition_config_selectorILNS1_17partition_subalgoE4EjNS0_10empty_typeEbEEZZNS1_14partition_implILS8_4ELb0ES6_15HIP_vector_typeIjLj2EENS0_17counting_iteratorIjlEEPS9_SG_NS0_5tupleIJPjSI_NS0_16reverse_iteratorISI_EEEEENSH_IJSG_SG_SG_EEES9_SI_JZNS1_25segmented_radix_sort_implINS0_14default_configELb0EPKdPdPKlPlN2at6native12_GLOBAL__N_18offset_tEEE10hipError_tPvRmT1_PNSt15iterator_traitsIS12_E10value_typeET2_T3_PNS13_IS18_E10value_typeET4_jRbjT5_S1E_jjP12ihipStream_tbEUljE_ZNSN_ISO_Lb0ESQ_SR_ST_SU_SY_EESZ_S10_S11_S12_S16_S17_S18_S1B_S1C_jS1D_jS1E_S1E_jjS1G_bEUljE0_EEESZ_S10_S11_S18_S1C_S1E_T6_T7_T9_mT8_S1G_bDpT10_ENKUlT_T0_E_clISt17integral_constantIbLb1EES1U_EEDaS1P_S1Q_EUlS1P_E_NS1_11comp_targetILNS1_3genE0ELNS1_11target_archE4294967295ELNS1_3gpuE0ELNS1_3repE0EEENS1_30default_config_static_selectorELNS0_4arch9wavefront6targetE1EEEvS12_
                                        ; -- End function
	.section	.AMDGPU.csdata,"",@progbits
; Kernel info:
; codeLenInByte = 0
; NumSgprs: 4
; NumVgprs: 0
; NumAgprs: 0
; TotalNumVgprs: 0
; ScratchSize: 0
; MemoryBound: 0
; FloatMode: 240
; IeeeMode: 1
; LDSByteSize: 0 bytes/workgroup (compile time only)
; SGPRBlocks: 0
; VGPRBlocks: 0
; NumSGPRsForWavesPerEU: 4
; NumVGPRsForWavesPerEU: 1
; AccumOffset: 4
; Occupancy: 8
; WaveLimiterHint : 0
; COMPUTE_PGM_RSRC2:SCRATCH_EN: 0
; COMPUTE_PGM_RSRC2:USER_SGPR: 6
; COMPUTE_PGM_RSRC2:TRAP_HANDLER: 0
; COMPUTE_PGM_RSRC2:TGID_X_EN: 1
; COMPUTE_PGM_RSRC2:TGID_Y_EN: 0
; COMPUTE_PGM_RSRC2:TGID_Z_EN: 0
; COMPUTE_PGM_RSRC2:TIDIG_COMP_CNT: 0
; COMPUTE_PGM_RSRC3_GFX90A:ACCUM_OFFSET: 0
; COMPUTE_PGM_RSRC3_GFX90A:TG_SPLIT: 0
	.section	.text._ZN7rocprim17ROCPRIM_400000_NS6detail17trampoline_kernelINS0_13select_configILj256ELj13ELNS0_17block_load_methodE3ELS4_3ELS4_3ELNS0_20block_scan_algorithmE0ELj4294967295EEENS1_25partition_config_selectorILNS1_17partition_subalgoE4EjNS0_10empty_typeEbEEZZNS1_14partition_implILS8_4ELb0ES6_15HIP_vector_typeIjLj2EENS0_17counting_iteratorIjlEEPS9_SG_NS0_5tupleIJPjSI_NS0_16reverse_iteratorISI_EEEEENSH_IJSG_SG_SG_EEES9_SI_JZNS1_25segmented_radix_sort_implINS0_14default_configELb0EPKdPdPKlPlN2at6native12_GLOBAL__N_18offset_tEEE10hipError_tPvRmT1_PNSt15iterator_traitsIS12_E10value_typeET2_T3_PNS13_IS18_E10value_typeET4_jRbjT5_S1E_jjP12ihipStream_tbEUljE_ZNSN_ISO_Lb0ESQ_SR_ST_SU_SY_EESZ_S10_S11_S12_S16_S17_S18_S1B_S1C_jS1D_jS1E_S1E_jjS1G_bEUljE0_EEESZ_S10_S11_S18_S1C_S1E_T6_T7_T9_mT8_S1G_bDpT10_ENKUlT_T0_E_clISt17integral_constantIbLb1EES1U_EEDaS1P_S1Q_EUlS1P_E_NS1_11comp_targetILNS1_3genE5ELNS1_11target_archE942ELNS1_3gpuE9ELNS1_3repE0EEENS1_30default_config_static_selectorELNS0_4arch9wavefront6targetE1EEEvS12_,"axG",@progbits,_ZN7rocprim17ROCPRIM_400000_NS6detail17trampoline_kernelINS0_13select_configILj256ELj13ELNS0_17block_load_methodE3ELS4_3ELS4_3ELNS0_20block_scan_algorithmE0ELj4294967295EEENS1_25partition_config_selectorILNS1_17partition_subalgoE4EjNS0_10empty_typeEbEEZZNS1_14partition_implILS8_4ELb0ES6_15HIP_vector_typeIjLj2EENS0_17counting_iteratorIjlEEPS9_SG_NS0_5tupleIJPjSI_NS0_16reverse_iteratorISI_EEEEENSH_IJSG_SG_SG_EEES9_SI_JZNS1_25segmented_radix_sort_implINS0_14default_configELb0EPKdPdPKlPlN2at6native12_GLOBAL__N_18offset_tEEE10hipError_tPvRmT1_PNSt15iterator_traitsIS12_E10value_typeET2_T3_PNS13_IS18_E10value_typeET4_jRbjT5_S1E_jjP12ihipStream_tbEUljE_ZNSN_ISO_Lb0ESQ_SR_ST_SU_SY_EESZ_S10_S11_S12_S16_S17_S18_S1B_S1C_jS1D_jS1E_S1E_jjS1G_bEUljE0_EEESZ_S10_S11_S18_S1C_S1E_T6_T7_T9_mT8_S1G_bDpT10_ENKUlT_T0_E_clISt17integral_constantIbLb1EES1U_EEDaS1P_S1Q_EUlS1P_E_NS1_11comp_targetILNS1_3genE5ELNS1_11target_archE942ELNS1_3gpuE9ELNS1_3repE0EEENS1_30default_config_static_selectorELNS0_4arch9wavefront6targetE1EEEvS12_,comdat
	.globl	_ZN7rocprim17ROCPRIM_400000_NS6detail17trampoline_kernelINS0_13select_configILj256ELj13ELNS0_17block_load_methodE3ELS4_3ELS4_3ELNS0_20block_scan_algorithmE0ELj4294967295EEENS1_25partition_config_selectorILNS1_17partition_subalgoE4EjNS0_10empty_typeEbEEZZNS1_14partition_implILS8_4ELb0ES6_15HIP_vector_typeIjLj2EENS0_17counting_iteratorIjlEEPS9_SG_NS0_5tupleIJPjSI_NS0_16reverse_iteratorISI_EEEEENSH_IJSG_SG_SG_EEES9_SI_JZNS1_25segmented_radix_sort_implINS0_14default_configELb0EPKdPdPKlPlN2at6native12_GLOBAL__N_18offset_tEEE10hipError_tPvRmT1_PNSt15iterator_traitsIS12_E10value_typeET2_T3_PNS13_IS18_E10value_typeET4_jRbjT5_S1E_jjP12ihipStream_tbEUljE_ZNSN_ISO_Lb0ESQ_SR_ST_SU_SY_EESZ_S10_S11_S12_S16_S17_S18_S1B_S1C_jS1D_jS1E_S1E_jjS1G_bEUljE0_EEESZ_S10_S11_S18_S1C_S1E_T6_T7_T9_mT8_S1G_bDpT10_ENKUlT_T0_E_clISt17integral_constantIbLb1EES1U_EEDaS1P_S1Q_EUlS1P_E_NS1_11comp_targetILNS1_3genE5ELNS1_11target_archE942ELNS1_3gpuE9ELNS1_3repE0EEENS1_30default_config_static_selectorELNS0_4arch9wavefront6targetE1EEEvS12_ ; -- Begin function _ZN7rocprim17ROCPRIM_400000_NS6detail17trampoline_kernelINS0_13select_configILj256ELj13ELNS0_17block_load_methodE3ELS4_3ELS4_3ELNS0_20block_scan_algorithmE0ELj4294967295EEENS1_25partition_config_selectorILNS1_17partition_subalgoE4EjNS0_10empty_typeEbEEZZNS1_14partition_implILS8_4ELb0ES6_15HIP_vector_typeIjLj2EENS0_17counting_iteratorIjlEEPS9_SG_NS0_5tupleIJPjSI_NS0_16reverse_iteratorISI_EEEEENSH_IJSG_SG_SG_EEES9_SI_JZNS1_25segmented_radix_sort_implINS0_14default_configELb0EPKdPdPKlPlN2at6native12_GLOBAL__N_18offset_tEEE10hipError_tPvRmT1_PNSt15iterator_traitsIS12_E10value_typeET2_T3_PNS13_IS18_E10value_typeET4_jRbjT5_S1E_jjP12ihipStream_tbEUljE_ZNSN_ISO_Lb0ESQ_SR_ST_SU_SY_EESZ_S10_S11_S12_S16_S17_S18_S1B_S1C_jS1D_jS1E_S1E_jjS1G_bEUljE0_EEESZ_S10_S11_S18_S1C_S1E_T6_T7_T9_mT8_S1G_bDpT10_ENKUlT_T0_E_clISt17integral_constantIbLb1EES1U_EEDaS1P_S1Q_EUlS1P_E_NS1_11comp_targetILNS1_3genE5ELNS1_11target_archE942ELNS1_3gpuE9ELNS1_3repE0EEENS1_30default_config_static_selectorELNS0_4arch9wavefront6targetE1EEEvS12_
	.p2align	8
	.type	_ZN7rocprim17ROCPRIM_400000_NS6detail17trampoline_kernelINS0_13select_configILj256ELj13ELNS0_17block_load_methodE3ELS4_3ELS4_3ELNS0_20block_scan_algorithmE0ELj4294967295EEENS1_25partition_config_selectorILNS1_17partition_subalgoE4EjNS0_10empty_typeEbEEZZNS1_14partition_implILS8_4ELb0ES6_15HIP_vector_typeIjLj2EENS0_17counting_iteratorIjlEEPS9_SG_NS0_5tupleIJPjSI_NS0_16reverse_iteratorISI_EEEEENSH_IJSG_SG_SG_EEES9_SI_JZNS1_25segmented_radix_sort_implINS0_14default_configELb0EPKdPdPKlPlN2at6native12_GLOBAL__N_18offset_tEEE10hipError_tPvRmT1_PNSt15iterator_traitsIS12_E10value_typeET2_T3_PNS13_IS18_E10value_typeET4_jRbjT5_S1E_jjP12ihipStream_tbEUljE_ZNSN_ISO_Lb0ESQ_SR_ST_SU_SY_EESZ_S10_S11_S12_S16_S17_S18_S1B_S1C_jS1D_jS1E_S1E_jjS1G_bEUljE0_EEESZ_S10_S11_S18_S1C_S1E_T6_T7_T9_mT8_S1G_bDpT10_ENKUlT_T0_E_clISt17integral_constantIbLb1EES1U_EEDaS1P_S1Q_EUlS1P_E_NS1_11comp_targetILNS1_3genE5ELNS1_11target_archE942ELNS1_3gpuE9ELNS1_3repE0EEENS1_30default_config_static_selectorELNS0_4arch9wavefront6targetE1EEEvS12_,@function
_ZN7rocprim17ROCPRIM_400000_NS6detail17trampoline_kernelINS0_13select_configILj256ELj13ELNS0_17block_load_methodE3ELS4_3ELS4_3ELNS0_20block_scan_algorithmE0ELj4294967295EEENS1_25partition_config_selectorILNS1_17partition_subalgoE4EjNS0_10empty_typeEbEEZZNS1_14partition_implILS8_4ELb0ES6_15HIP_vector_typeIjLj2EENS0_17counting_iteratorIjlEEPS9_SG_NS0_5tupleIJPjSI_NS0_16reverse_iteratorISI_EEEEENSH_IJSG_SG_SG_EEES9_SI_JZNS1_25segmented_radix_sort_implINS0_14default_configELb0EPKdPdPKlPlN2at6native12_GLOBAL__N_18offset_tEEE10hipError_tPvRmT1_PNSt15iterator_traitsIS12_E10value_typeET2_T3_PNS13_IS18_E10value_typeET4_jRbjT5_S1E_jjP12ihipStream_tbEUljE_ZNSN_ISO_Lb0ESQ_SR_ST_SU_SY_EESZ_S10_S11_S12_S16_S17_S18_S1B_S1C_jS1D_jS1E_S1E_jjS1G_bEUljE0_EEESZ_S10_S11_S18_S1C_S1E_T6_T7_T9_mT8_S1G_bDpT10_ENKUlT_T0_E_clISt17integral_constantIbLb1EES1U_EEDaS1P_S1Q_EUlS1P_E_NS1_11comp_targetILNS1_3genE5ELNS1_11target_archE942ELNS1_3gpuE9ELNS1_3repE0EEENS1_30default_config_static_selectorELNS0_4arch9wavefront6targetE1EEEvS12_: ; @_ZN7rocprim17ROCPRIM_400000_NS6detail17trampoline_kernelINS0_13select_configILj256ELj13ELNS0_17block_load_methodE3ELS4_3ELS4_3ELNS0_20block_scan_algorithmE0ELj4294967295EEENS1_25partition_config_selectorILNS1_17partition_subalgoE4EjNS0_10empty_typeEbEEZZNS1_14partition_implILS8_4ELb0ES6_15HIP_vector_typeIjLj2EENS0_17counting_iteratorIjlEEPS9_SG_NS0_5tupleIJPjSI_NS0_16reverse_iteratorISI_EEEEENSH_IJSG_SG_SG_EEES9_SI_JZNS1_25segmented_radix_sort_implINS0_14default_configELb0EPKdPdPKlPlN2at6native12_GLOBAL__N_18offset_tEEE10hipError_tPvRmT1_PNSt15iterator_traitsIS12_E10value_typeET2_T3_PNS13_IS18_E10value_typeET4_jRbjT5_S1E_jjP12ihipStream_tbEUljE_ZNSN_ISO_Lb0ESQ_SR_ST_SU_SY_EESZ_S10_S11_S12_S16_S17_S18_S1B_S1C_jS1D_jS1E_S1E_jjS1G_bEUljE0_EEESZ_S10_S11_S18_S1C_S1E_T6_T7_T9_mT8_S1G_bDpT10_ENKUlT_T0_E_clISt17integral_constantIbLb1EES1U_EEDaS1P_S1Q_EUlS1P_E_NS1_11comp_targetILNS1_3genE5ELNS1_11target_archE942ELNS1_3gpuE9ELNS1_3repE0EEENS1_30default_config_static_selectorELNS0_4arch9wavefront6targetE1EEEvS12_
; %bb.0:
	.section	.rodata,"a",@progbits
	.p2align	6, 0x0
	.amdhsa_kernel _ZN7rocprim17ROCPRIM_400000_NS6detail17trampoline_kernelINS0_13select_configILj256ELj13ELNS0_17block_load_methodE3ELS4_3ELS4_3ELNS0_20block_scan_algorithmE0ELj4294967295EEENS1_25partition_config_selectorILNS1_17partition_subalgoE4EjNS0_10empty_typeEbEEZZNS1_14partition_implILS8_4ELb0ES6_15HIP_vector_typeIjLj2EENS0_17counting_iteratorIjlEEPS9_SG_NS0_5tupleIJPjSI_NS0_16reverse_iteratorISI_EEEEENSH_IJSG_SG_SG_EEES9_SI_JZNS1_25segmented_radix_sort_implINS0_14default_configELb0EPKdPdPKlPlN2at6native12_GLOBAL__N_18offset_tEEE10hipError_tPvRmT1_PNSt15iterator_traitsIS12_E10value_typeET2_T3_PNS13_IS18_E10value_typeET4_jRbjT5_S1E_jjP12ihipStream_tbEUljE_ZNSN_ISO_Lb0ESQ_SR_ST_SU_SY_EESZ_S10_S11_S12_S16_S17_S18_S1B_S1C_jS1D_jS1E_S1E_jjS1G_bEUljE0_EEESZ_S10_S11_S18_S1C_S1E_T6_T7_T9_mT8_S1G_bDpT10_ENKUlT_T0_E_clISt17integral_constantIbLb1EES1U_EEDaS1P_S1Q_EUlS1P_E_NS1_11comp_targetILNS1_3genE5ELNS1_11target_archE942ELNS1_3gpuE9ELNS1_3repE0EEENS1_30default_config_static_selectorELNS0_4arch9wavefront6targetE1EEEvS12_
		.amdhsa_group_segment_fixed_size 0
		.amdhsa_private_segment_fixed_size 0
		.amdhsa_kernarg_size 184
		.amdhsa_user_sgpr_count 6
		.amdhsa_user_sgpr_private_segment_buffer 1
		.amdhsa_user_sgpr_dispatch_ptr 0
		.amdhsa_user_sgpr_queue_ptr 0
		.amdhsa_user_sgpr_kernarg_segment_ptr 1
		.amdhsa_user_sgpr_dispatch_id 0
		.amdhsa_user_sgpr_flat_scratch_init 0
		.amdhsa_user_sgpr_kernarg_preload_length 0
		.amdhsa_user_sgpr_kernarg_preload_offset 0
		.amdhsa_user_sgpr_private_segment_size 0
		.amdhsa_uses_dynamic_stack 0
		.amdhsa_system_sgpr_private_segment_wavefront_offset 0
		.amdhsa_system_sgpr_workgroup_id_x 1
		.amdhsa_system_sgpr_workgroup_id_y 0
		.amdhsa_system_sgpr_workgroup_id_z 0
		.amdhsa_system_sgpr_workgroup_info 0
		.amdhsa_system_vgpr_workitem_id 0
		.amdhsa_next_free_vgpr 1
		.amdhsa_next_free_sgpr 0
		.amdhsa_accum_offset 4
		.amdhsa_reserve_vcc 0
		.amdhsa_reserve_flat_scratch 0
		.amdhsa_float_round_mode_32 0
		.amdhsa_float_round_mode_16_64 0
		.amdhsa_float_denorm_mode_32 3
		.amdhsa_float_denorm_mode_16_64 3
		.amdhsa_dx10_clamp 1
		.amdhsa_ieee_mode 1
		.amdhsa_fp16_overflow 0
		.amdhsa_tg_split 0
		.amdhsa_exception_fp_ieee_invalid_op 0
		.amdhsa_exception_fp_denorm_src 0
		.amdhsa_exception_fp_ieee_div_zero 0
		.amdhsa_exception_fp_ieee_overflow 0
		.amdhsa_exception_fp_ieee_underflow 0
		.amdhsa_exception_fp_ieee_inexact 0
		.amdhsa_exception_int_div_zero 0
	.end_amdhsa_kernel
	.section	.text._ZN7rocprim17ROCPRIM_400000_NS6detail17trampoline_kernelINS0_13select_configILj256ELj13ELNS0_17block_load_methodE3ELS4_3ELS4_3ELNS0_20block_scan_algorithmE0ELj4294967295EEENS1_25partition_config_selectorILNS1_17partition_subalgoE4EjNS0_10empty_typeEbEEZZNS1_14partition_implILS8_4ELb0ES6_15HIP_vector_typeIjLj2EENS0_17counting_iteratorIjlEEPS9_SG_NS0_5tupleIJPjSI_NS0_16reverse_iteratorISI_EEEEENSH_IJSG_SG_SG_EEES9_SI_JZNS1_25segmented_radix_sort_implINS0_14default_configELb0EPKdPdPKlPlN2at6native12_GLOBAL__N_18offset_tEEE10hipError_tPvRmT1_PNSt15iterator_traitsIS12_E10value_typeET2_T3_PNS13_IS18_E10value_typeET4_jRbjT5_S1E_jjP12ihipStream_tbEUljE_ZNSN_ISO_Lb0ESQ_SR_ST_SU_SY_EESZ_S10_S11_S12_S16_S17_S18_S1B_S1C_jS1D_jS1E_S1E_jjS1G_bEUljE0_EEESZ_S10_S11_S18_S1C_S1E_T6_T7_T9_mT8_S1G_bDpT10_ENKUlT_T0_E_clISt17integral_constantIbLb1EES1U_EEDaS1P_S1Q_EUlS1P_E_NS1_11comp_targetILNS1_3genE5ELNS1_11target_archE942ELNS1_3gpuE9ELNS1_3repE0EEENS1_30default_config_static_selectorELNS0_4arch9wavefront6targetE1EEEvS12_,"axG",@progbits,_ZN7rocprim17ROCPRIM_400000_NS6detail17trampoline_kernelINS0_13select_configILj256ELj13ELNS0_17block_load_methodE3ELS4_3ELS4_3ELNS0_20block_scan_algorithmE0ELj4294967295EEENS1_25partition_config_selectorILNS1_17partition_subalgoE4EjNS0_10empty_typeEbEEZZNS1_14partition_implILS8_4ELb0ES6_15HIP_vector_typeIjLj2EENS0_17counting_iteratorIjlEEPS9_SG_NS0_5tupleIJPjSI_NS0_16reverse_iteratorISI_EEEEENSH_IJSG_SG_SG_EEES9_SI_JZNS1_25segmented_radix_sort_implINS0_14default_configELb0EPKdPdPKlPlN2at6native12_GLOBAL__N_18offset_tEEE10hipError_tPvRmT1_PNSt15iterator_traitsIS12_E10value_typeET2_T3_PNS13_IS18_E10value_typeET4_jRbjT5_S1E_jjP12ihipStream_tbEUljE_ZNSN_ISO_Lb0ESQ_SR_ST_SU_SY_EESZ_S10_S11_S12_S16_S17_S18_S1B_S1C_jS1D_jS1E_S1E_jjS1G_bEUljE0_EEESZ_S10_S11_S18_S1C_S1E_T6_T7_T9_mT8_S1G_bDpT10_ENKUlT_T0_E_clISt17integral_constantIbLb1EES1U_EEDaS1P_S1Q_EUlS1P_E_NS1_11comp_targetILNS1_3genE5ELNS1_11target_archE942ELNS1_3gpuE9ELNS1_3repE0EEENS1_30default_config_static_selectorELNS0_4arch9wavefront6targetE1EEEvS12_,comdat
.Lfunc_end1164:
	.size	_ZN7rocprim17ROCPRIM_400000_NS6detail17trampoline_kernelINS0_13select_configILj256ELj13ELNS0_17block_load_methodE3ELS4_3ELS4_3ELNS0_20block_scan_algorithmE0ELj4294967295EEENS1_25partition_config_selectorILNS1_17partition_subalgoE4EjNS0_10empty_typeEbEEZZNS1_14partition_implILS8_4ELb0ES6_15HIP_vector_typeIjLj2EENS0_17counting_iteratorIjlEEPS9_SG_NS0_5tupleIJPjSI_NS0_16reverse_iteratorISI_EEEEENSH_IJSG_SG_SG_EEES9_SI_JZNS1_25segmented_radix_sort_implINS0_14default_configELb0EPKdPdPKlPlN2at6native12_GLOBAL__N_18offset_tEEE10hipError_tPvRmT1_PNSt15iterator_traitsIS12_E10value_typeET2_T3_PNS13_IS18_E10value_typeET4_jRbjT5_S1E_jjP12ihipStream_tbEUljE_ZNSN_ISO_Lb0ESQ_SR_ST_SU_SY_EESZ_S10_S11_S12_S16_S17_S18_S1B_S1C_jS1D_jS1E_S1E_jjS1G_bEUljE0_EEESZ_S10_S11_S18_S1C_S1E_T6_T7_T9_mT8_S1G_bDpT10_ENKUlT_T0_E_clISt17integral_constantIbLb1EES1U_EEDaS1P_S1Q_EUlS1P_E_NS1_11comp_targetILNS1_3genE5ELNS1_11target_archE942ELNS1_3gpuE9ELNS1_3repE0EEENS1_30default_config_static_selectorELNS0_4arch9wavefront6targetE1EEEvS12_, .Lfunc_end1164-_ZN7rocprim17ROCPRIM_400000_NS6detail17trampoline_kernelINS0_13select_configILj256ELj13ELNS0_17block_load_methodE3ELS4_3ELS4_3ELNS0_20block_scan_algorithmE0ELj4294967295EEENS1_25partition_config_selectorILNS1_17partition_subalgoE4EjNS0_10empty_typeEbEEZZNS1_14partition_implILS8_4ELb0ES6_15HIP_vector_typeIjLj2EENS0_17counting_iteratorIjlEEPS9_SG_NS0_5tupleIJPjSI_NS0_16reverse_iteratorISI_EEEEENSH_IJSG_SG_SG_EEES9_SI_JZNS1_25segmented_radix_sort_implINS0_14default_configELb0EPKdPdPKlPlN2at6native12_GLOBAL__N_18offset_tEEE10hipError_tPvRmT1_PNSt15iterator_traitsIS12_E10value_typeET2_T3_PNS13_IS18_E10value_typeET4_jRbjT5_S1E_jjP12ihipStream_tbEUljE_ZNSN_ISO_Lb0ESQ_SR_ST_SU_SY_EESZ_S10_S11_S12_S16_S17_S18_S1B_S1C_jS1D_jS1E_S1E_jjS1G_bEUljE0_EEESZ_S10_S11_S18_S1C_S1E_T6_T7_T9_mT8_S1G_bDpT10_ENKUlT_T0_E_clISt17integral_constantIbLb1EES1U_EEDaS1P_S1Q_EUlS1P_E_NS1_11comp_targetILNS1_3genE5ELNS1_11target_archE942ELNS1_3gpuE9ELNS1_3repE0EEENS1_30default_config_static_selectorELNS0_4arch9wavefront6targetE1EEEvS12_
                                        ; -- End function
	.section	.AMDGPU.csdata,"",@progbits
; Kernel info:
; codeLenInByte = 0
; NumSgprs: 4
; NumVgprs: 0
; NumAgprs: 0
; TotalNumVgprs: 0
; ScratchSize: 0
; MemoryBound: 0
; FloatMode: 240
; IeeeMode: 1
; LDSByteSize: 0 bytes/workgroup (compile time only)
; SGPRBlocks: 0
; VGPRBlocks: 0
; NumSGPRsForWavesPerEU: 4
; NumVGPRsForWavesPerEU: 1
; AccumOffset: 4
; Occupancy: 8
; WaveLimiterHint : 0
; COMPUTE_PGM_RSRC2:SCRATCH_EN: 0
; COMPUTE_PGM_RSRC2:USER_SGPR: 6
; COMPUTE_PGM_RSRC2:TRAP_HANDLER: 0
; COMPUTE_PGM_RSRC2:TGID_X_EN: 1
; COMPUTE_PGM_RSRC2:TGID_Y_EN: 0
; COMPUTE_PGM_RSRC2:TGID_Z_EN: 0
; COMPUTE_PGM_RSRC2:TIDIG_COMP_CNT: 0
; COMPUTE_PGM_RSRC3_GFX90A:ACCUM_OFFSET: 0
; COMPUTE_PGM_RSRC3_GFX90A:TG_SPLIT: 0
	.section	.text._ZN7rocprim17ROCPRIM_400000_NS6detail17trampoline_kernelINS0_13select_configILj256ELj13ELNS0_17block_load_methodE3ELS4_3ELS4_3ELNS0_20block_scan_algorithmE0ELj4294967295EEENS1_25partition_config_selectorILNS1_17partition_subalgoE4EjNS0_10empty_typeEbEEZZNS1_14partition_implILS8_4ELb0ES6_15HIP_vector_typeIjLj2EENS0_17counting_iteratorIjlEEPS9_SG_NS0_5tupleIJPjSI_NS0_16reverse_iteratorISI_EEEEENSH_IJSG_SG_SG_EEES9_SI_JZNS1_25segmented_radix_sort_implINS0_14default_configELb0EPKdPdPKlPlN2at6native12_GLOBAL__N_18offset_tEEE10hipError_tPvRmT1_PNSt15iterator_traitsIS12_E10value_typeET2_T3_PNS13_IS18_E10value_typeET4_jRbjT5_S1E_jjP12ihipStream_tbEUljE_ZNSN_ISO_Lb0ESQ_SR_ST_SU_SY_EESZ_S10_S11_S12_S16_S17_S18_S1B_S1C_jS1D_jS1E_S1E_jjS1G_bEUljE0_EEESZ_S10_S11_S18_S1C_S1E_T6_T7_T9_mT8_S1G_bDpT10_ENKUlT_T0_E_clISt17integral_constantIbLb1EES1U_EEDaS1P_S1Q_EUlS1P_E_NS1_11comp_targetILNS1_3genE4ELNS1_11target_archE910ELNS1_3gpuE8ELNS1_3repE0EEENS1_30default_config_static_selectorELNS0_4arch9wavefront6targetE1EEEvS12_,"axG",@progbits,_ZN7rocprim17ROCPRIM_400000_NS6detail17trampoline_kernelINS0_13select_configILj256ELj13ELNS0_17block_load_methodE3ELS4_3ELS4_3ELNS0_20block_scan_algorithmE0ELj4294967295EEENS1_25partition_config_selectorILNS1_17partition_subalgoE4EjNS0_10empty_typeEbEEZZNS1_14partition_implILS8_4ELb0ES6_15HIP_vector_typeIjLj2EENS0_17counting_iteratorIjlEEPS9_SG_NS0_5tupleIJPjSI_NS0_16reverse_iteratorISI_EEEEENSH_IJSG_SG_SG_EEES9_SI_JZNS1_25segmented_radix_sort_implINS0_14default_configELb0EPKdPdPKlPlN2at6native12_GLOBAL__N_18offset_tEEE10hipError_tPvRmT1_PNSt15iterator_traitsIS12_E10value_typeET2_T3_PNS13_IS18_E10value_typeET4_jRbjT5_S1E_jjP12ihipStream_tbEUljE_ZNSN_ISO_Lb0ESQ_SR_ST_SU_SY_EESZ_S10_S11_S12_S16_S17_S18_S1B_S1C_jS1D_jS1E_S1E_jjS1G_bEUljE0_EEESZ_S10_S11_S18_S1C_S1E_T6_T7_T9_mT8_S1G_bDpT10_ENKUlT_T0_E_clISt17integral_constantIbLb1EES1U_EEDaS1P_S1Q_EUlS1P_E_NS1_11comp_targetILNS1_3genE4ELNS1_11target_archE910ELNS1_3gpuE8ELNS1_3repE0EEENS1_30default_config_static_selectorELNS0_4arch9wavefront6targetE1EEEvS12_,comdat
	.globl	_ZN7rocprim17ROCPRIM_400000_NS6detail17trampoline_kernelINS0_13select_configILj256ELj13ELNS0_17block_load_methodE3ELS4_3ELS4_3ELNS0_20block_scan_algorithmE0ELj4294967295EEENS1_25partition_config_selectorILNS1_17partition_subalgoE4EjNS0_10empty_typeEbEEZZNS1_14partition_implILS8_4ELb0ES6_15HIP_vector_typeIjLj2EENS0_17counting_iteratorIjlEEPS9_SG_NS0_5tupleIJPjSI_NS0_16reverse_iteratorISI_EEEEENSH_IJSG_SG_SG_EEES9_SI_JZNS1_25segmented_radix_sort_implINS0_14default_configELb0EPKdPdPKlPlN2at6native12_GLOBAL__N_18offset_tEEE10hipError_tPvRmT1_PNSt15iterator_traitsIS12_E10value_typeET2_T3_PNS13_IS18_E10value_typeET4_jRbjT5_S1E_jjP12ihipStream_tbEUljE_ZNSN_ISO_Lb0ESQ_SR_ST_SU_SY_EESZ_S10_S11_S12_S16_S17_S18_S1B_S1C_jS1D_jS1E_S1E_jjS1G_bEUljE0_EEESZ_S10_S11_S18_S1C_S1E_T6_T7_T9_mT8_S1G_bDpT10_ENKUlT_T0_E_clISt17integral_constantIbLb1EES1U_EEDaS1P_S1Q_EUlS1P_E_NS1_11comp_targetILNS1_3genE4ELNS1_11target_archE910ELNS1_3gpuE8ELNS1_3repE0EEENS1_30default_config_static_selectorELNS0_4arch9wavefront6targetE1EEEvS12_ ; -- Begin function _ZN7rocprim17ROCPRIM_400000_NS6detail17trampoline_kernelINS0_13select_configILj256ELj13ELNS0_17block_load_methodE3ELS4_3ELS4_3ELNS0_20block_scan_algorithmE0ELj4294967295EEENS1_25partition_config_selectorILNS1_17partition_subalgoE4EjNS0_10empty_typeEbEEZZNS1_14partition_implILS8_4ELb0ES6_15HIP_vector_typeIjLj2EENS0_17counting_iteratorIjlEEPS9_SG_NS0_5tupleIJPjSI_NS0_16reverse_iteratorISI_EEEEENSH_IJSG_SG_SG_EEES9_SI_JZNS1_25segmented_radix_sort_implINS0_14default_configELb0EPKdPdPKlPlN2at6native12_GLOBAL__N_18offset_tEEE10hipError_tPvRmT1_PNSt15iterator_traitsIS12_E10value_typeET2_T3_PNS13_IS18_E10value_typeET4_jRbjT5_S1E_jjP12ihipStream_tbEUljE_ZNSN_ISO_Lb0ESQ_SR_ST_SU_SY_EESZ_S10_S11_S12_S16_S17_S18_S1B_S1C_jS1D_jS1E_S1E_jjS1G_bEUljE0_EEESZ_S10_S11_S18_S1C_S1E_T6_T7_T9_mT8_S1G_bDpT10_ENKUlT_T0_E_clISt17integral_constantIbLb1EES1U_EEDaS1P_S1Q_EUlS1P_E_NS1_11comp_targetILNS1_3genE4ELNS1_11target_archE910ELNS1_3gpuE8ELNS1_3repE0EEENS1_30default_config_static_selectorELNS0_4arch9wavefront6targetE1EEEvS12_
	.p2align	8
	.type	_ZN7rocprim17ROCPRIM_400000_NS6detail17trampoline_kernelINS0_13select_configILj256ELj13ELNS0_17block_load_methodE3ELS4_3ELS4_3ELNS0_20block_scan_algorithmE0ELj4294967295EEENS1_25partition_config_selectorILNS1_17partition_subalgoE4EjNS0_10empty_typeEbEEZZNS1_14partition_implILS8_4ELb0ES6_15HIP_vector_typeIjLj2EENS0_17counting_iteratorIjlEEPS9_SG_NS0_5tupleIJPjSI_NS0_16reverse_iteratorISI_EEEEENSH_IJSG_SG_SG_EEES9_SI_JZNS1_25segmented_radix_sort_implINS0_14default_configELb0EPKdPdPKlPlN2at6native12_GLOBAL__N_18offset_tEEE10hipError_tPvRmT1_PNSt15iterator_traitsIS12_E10value_typeET2_T3_PNS13_IS18_E10value_typeET4_jRbjT5_S1E_jjP12ihipStream_tbEUljE_ZNSN_ISO_Lb0ESQ_SR_ST_SU_SY_EESZ_S10_S11_S12_S16_S17_S18_S1B_S1C_jS1D_jS1E_S1E_jjS1G_bEUljE0_EEESZ_S10_S11_S18_S1C_S1E_T6_T7_T9_mT8_S1G_bDpT10_ENKUlT_T0_E_clISt17integral_constantIbLb1EES1U_EEDaS1P_S1Q_EUlS1P_E_NS1_11comp_targetILNS1_3genE4ELNS1_11target_archE910ELNS1_3gpuE8ELNS1_3repE0EEENS1_30default_config_static_selectorELNS0_4arch9wavefront6targetE1EEEvS12_,@function
_ZN7rocprim17ROCPRIM_400000_NS6detail17trampoline_kernelINS0_13select_configILj256ELj13ELNS0_17block_load_methodE3ELS4_3ELS4_3ELNS0_20block_scan_algorithmE0ELj4294967295EEENS1_25partition_config_selectorILNS1_17partition_subalgoE4EjNS0_10empty_typeEbEEZZNS1_14partition_implILS8_4ELb0ES6_15HIP_vector_typeIjLj2EENS0_17counting_iteratorIjlEEPS9_SG_NS0_5tupleIJPjSI_NS0_16reverse_iteratorISI_EEEEENSH_IJSG_SG_SG_EEES9_SI_JZNS1_25segmented_radix_sort_implINS0_14default_configELb0EPKdPdPKlPlN2at6native12_GLOBAL__N_18offset_tEEE10hipError_tPvRmT1_PNSt15iterator_traitsIS12_E10value_typeET2_T3_PNS13_IS18_E10value_typeET4_jRbjT5_S1E_jjP12ihipStream_tbEUljE_ZNSN_ISO_Lb0ESQ_SR_ST_SU_SY_EESZ_S10_S11_S12_S16_S17_S18_S1B_S1C_jS1D_jS1E_S1E_jjS1G_bEUljE0_EEESZ_S10_S11_S18_S1C_S1E_T6_T7_T9_mT8_S1G_bDpT10_ENKUlT_T0_E_clISt17integral_constantIbLb1EES1U_EEDaS1P_S1Q_EUlS1P_E_NS1_11comp_targetILNS1_3genE4ELNS1_11target_archE910ELNS1_3gpuE8ELNS1_3repE0EEENS1_30default_config_static_selectorELNS0_4arch9wavefront6targetE1EEEvS12_: ; @_ZN7rocprim17ROCPRIM_400000_NS6detail17trampoline_kernelINS0_13select_configILj256ELj13ELNS0_17block_load_methodE3ELS4_3ELS4_3ELNS0_20block_scan_algorithmE0ELj4294967295EEENS1_25partition_config_selectorILNS1_17partition_subalgoE4EjNS0_10empty_typeEbEEZZNS1_14partition_implILS8_4ELb0ES6_15HIP_vector_typeIjLj2EENS0_17counting_iteratorIjlEEPS9_SG_NS0_5tupleIJPjSI_NS0_16reverse_iteratorISI_EEEEENSH_IJSG_SG_SG_EEES9_SI_JZNS1_25segmented_radix_sort_implINS0_14default_configELb0EPKdPdPKlPlN2at6native12_GLOBAL__N_18offset_tEEE10hipError_tPvRmT1_PNSt15iterator_traitsIS12_E10value_typeET2_T3_PNS13_IS18_E10value_typeET4_jRbjT5_S1E_jjP12ihipStream_tbEUljE_ZNSN_ISO_Lb0ESQ_SR_ST_SU_SY_EESZ_S10_S11_S12_S16_S17_S18_S1B_S1C_jS1D_jS1E_S1E_jjS1G_bEUljE0_EEESZ_S10_S11_S18_S1C_S1E_T6_T7_T9_mT8_S1G_bDpT10_ENKUlT_T0_E_clISt17integral_constantIbLb1EES1U_EEDaS1P_S1Q_EUlS1P_E_NS1_11comp_targetILNS1_3genE4ELNS1_11target_archE910ELNS1_3gpuE8ELNS1_3repE0EEENS1_30default_config_static_selectorELNS0_4arch9wavefront6targetE1EEEvS12_
; %bb.0:
	s_load_dwordx2 s[48:49], s[4:5], 0x10
	s_load_dwordx4 s[44:47], s[4:5], 0x28
	s_load_dwordx2 s[34:35], s[4:5], 0x38
	s_load_dwordx4 s[28:31], s[4:5], 0x58
	s_load_dwordx2 s[2:3], s[4:5], 0x68
	s_load_dwordx2 s[50:51], s[4:5], 0x78
	;; [unrolled: 1-line block ×3, first 2 shown]
	s_load_dwordx8 s[36:43], s[4:5], 0x90
	v_cmp_eq_u32_e64 s[0:1], 0, v0
	s_and_saveexec_b64 s[6:7], s[0:1]
	s_cbranch_execz .LBB1165_4
; %bb.1:
	s_mov_b64 s[10:11], exec
	v_mbcnt_lo_u32_b32 v1, s10, 0
	v_mbcnt_hi_u32_b32 v1, s11, v1
	v_cmp_eq_u32_e32 vcc, 0, v1
                                        ; implicit-def: $vgpr2
	s_and_saveexec_b64 s[8:9], vcc
	s_cbranch_execz .LBB1165_3
; %bb.2:
	s_load_dwordx2 s[12:13], s[4:5], 0x88
	s_bcnt1_i32_b64 s10, s[10:11]
	v_mov_b32_e32 v2, 0
	v_mov_b32_e32 v3, s10
	s_waitcnt lgkmcnt(0)
	global_atomic_add v2, v2, v3, s[12:13] glc
.LBB1165_3:
	s_or_b64 exec, exec, s[8:9]
	s_waitcnt vmcnt(0)
	v_readfirstlane_b32 s8, v2
	v_add_u32_e32 v1, s8, v1
	v_mov_b32_e32 v2, 0
	ds_write_b32 v2, v1
.LBB1165_4:
	s_or_b64 exec, exec, s[6:7]
	v_mov_b32_e32 v1, 0
	s_load_dword s7, s[4:5], 0x8
	s_load_dword s6, s[4:5], 0x80
	s_waitcnt lgkmcnt(0)
	s_barrier
	ds_read_b32 v8, v1
	s_waitcnt lgkmcnt(0)
	s_barrier
	global_load_dwordx4 v[2:5], v1, s[30:31]
	v_mov_b32_e32 v7, s3
	s_movk_i32 s3, 0xd00
	s_add_i32 s8, s7, s48
	v_mul_lo_u32 v34, v8, s3
	s_add_i32 s7, s6, -1
	s_mul_i32 s3, s6, 0xd00
	s_add_u32 s4, s48, s3
	v_readfirstlane_b32 s33, v8
	s_addc_u32 s5, s49, 0
	s_cmp_eq_u32 s33, s7
	v_mov_b32_e32 v6, s2
	s_cselect_b64 s[30:31], -1, 0
	s_cmp_lg_u32 s33, s7
	v_cmp_lt_u64_e32 vcc, s[4:5], v[6:7]
	s_cselect_b64 s[4:5], -1, 0
	s_or_b64 s[4:5], vcc, s[4:5]
	v_add_u32_e32 v1, s8, v34
	s_mov_b64 s[6:7], -1
	s_and_b64 vcc, exec, s[4:5]
	v_add_u32_e32 v1, v1, v0
	s_cbranch_vccz .LBB1165_6
; %bb.5:
	v_add_u32_e32 v6, 0x100, v1
	v_lshlrev_b32_e32 v18, 2, v0
	v_add_u32_e32 v7, 0x200, v1
	v_add_u32_e32 v8, 0x300, v1
	;; [unrolled: 1-line block ×11, first 2 shown]
	ds_write2st64_b32 v18, v1, v6 offset1:4
	ds_write2st64_b32 v18, v7, v8 offset0:8 offset1:12
	ds_write2st64_b32 v18, v9, v10 offset0:16 offset1:20
	;; [unrolled: 1-line block ×5, first 2 shown]
	ds_write_b32 v18, v17 offset:12288
	s_waitcnt lgkmcnt(0)
	s_barrier
	s_mov_b64 s[6:7], 0
.LBB1165_6:
	s_andn2_b64 vcc, exec, s[6:7]
	s_add_i32 s3, s3, s48
	s_cbranch_vccnz .LBB1165_8
; %bb.7:
	v_add_u32_e32 v6, 0x100, v1
	v_lshlrev_b32_e32 v18, 2, v0
	v_add_u32_e32 v7, 0x200, v1
	v_add_u32_e32 v8, 0x300, v1
	;; [unrolled: 1-line block ×11, first 2 shown]
	ds_write2st64_b32 v18, v1, v6 offset1:4
	ds_write2st64_b32 v18, v7, v8 offset0:8 offset1:12
	ds_write2st64_b32 v18, v9, v10 offset0:16 offset1:20
	;; [unrolled: 1-line block ×5, first 2 shown]
	ds_write_b32 v18, v17 offset:12288
	s_waitcnt lgkmcnt(0)
	s_barrier
.LBB1165_8:
	v_mul_u32_u24_e32 v36, 13, v0
	v_lshlrev_b32_e32 v1, 2, v36
	ds_read2_b32 v[22:23], v1 offset1:1
	ds_read2_b32 v[20:21], v1 offset0:2 offset1:3
	ds_read2_b32 v[18:19], v1 offset0:4 offset1:5
	;; [unrolled: 1-line block ×5, first 2 shown]
	ds_read_b32 v35, v1 offset:48
	v_cndmask_b32_e64 v1, 0, 1, s[4:5]
	s_sub_i32 s86, s2, s3
	v_cmp_ne_u32_e64 s[2:3], 1, v1
	s_andn2_b64 vcc, exec, s[4:5]
	s_waitcnt lgkmcnt(0)
	s_barrier
	s_cbranch_vccnz .LBB1165_36
; %bb.9:
	v_add_u32_e32 v1, s37, v22
	v_add_u32_e32 v6, s39, v22
	v_mul_lo_u32 v1, v1, s36
	v_mul_lo_u32 v6, v6, s38
	v_sub_u32_e32 v1, v1, v6
	v_cmp_lt_u32_e32 vcc, s40, v1
	v_cmp_ge_u32_e64 s[4:5], s40, v1
	s_mov_b64 s[60:61], 0
	s_mov_b64 s[58:59], 0
	s_and_saveexec_b64 s[6:7], s[4:5]
; %bb.10:
	v_add_u32_e32 v1, s42, v22
	v_add_u32_e32 v6, s56, v22
	v_mul_lo_u32 v1, v1, s41
	v_mul_lo_u32 v6, v6, s43
	v_sub_u32_e32 v1, v1, v6
	v_cmp_lt_u32_e64 s[4:5], s57, v1
	s_and_b64 s[58:59], s[4:5], exec
; %bb.11:
	s_or_b64 exec, exec, s[6:7]
	v_add_u32_e32 v1, s37, v23
	v_add_u32_e32 v6, s39, v23
	v_mul_lo_u32 v1, v1, s36
	v_mul_lo_u32 v6, v6, s38
	v_sub_u32_e32 v1, v1, v6
	v_cmp_lt_u32_e64 s[4:5], s40, v1
	v_cmp_ge_u32_e64 s[6:7], s40, v1
	s_and_saveexec_b64 s[8:9], s[6:7]
; %bb.12:
	v_add_u32_e32 v1, s42, v23
	v_add_u32_e32 v6, s56, v23
	v_mul_lo_u32 v1, v1, s41
	v_mul_lo_u32 v6, v6, s43
	v_sub_u32_e32 v1, v1, v6
	v_cmp_lt_u32_e64 s[6:7], s57, v1
	s_and_b64 s[60:61], s[6:7], exec
; %bb.13:
	s_or_b64 exec, exec, s[8:9]
	v_add_u32_e32 v1, s37, v20
	v_add_u32_e32 v6, s39, v20
	v_mul_lo_u32 v1, v1, s36
	v_mul_lo_u32 v6, v6, s38
	v_sub_u32_e32 v1, v1, v6
	v_cmp_lt_u32_e64 s[6:7], s40, v1
	v_cmp_ge_u32_e64 s[8:9], s40, v1
	s_mov_b64 s[64:65], 0
	s_mov_b64 s[62:63], 0
	s_and_saveexec_b64 s[10:11], s[8:9]
; %bb.14:
	v_add_u32_e32 v1, s42, v20
	v_add_u32_e32 v6, s56, v20
	v_mul_lo_u32 v1, v1, s41
	v_mul_lo_u32 v6, v6, s43
	v_sub_u32_e32 v1, v1, v6
	v_cmp_lt_u32_e64 s[8:9], s57, v1
	s_and_b64 s[62:63], s[8:9], exec
; %bb.15:
	s_or_b64 exec, exec, s[10:11]
	v_add_u32_e32 v1, s37, v21
	v_add_u32_e32 v6, s39, v21
	v_mul_lo_u32 v1, v1, s36
	v_mul_lo_u32 v6, v6, s38
	v_sub_u32_e32 v1, v1, v6
	v_cmp_lt_u32_e64 s[8:9], s40, v1
	v_cmp_ge_u32_e64 s[10:11], s40, v1
	s_and_saveexec_b64 s[12:13], s[10:11]
; %bb.16:
	v_add_u32_e32 v1, s42, v21
	v_add_u32_e32 v6, s56, v21
	v_mul_lo_u32 v1, v1, s41
	v_mul_lo_u32 v6, v6, s43
	v_sub_u32_e32 v1, v1, v6
	v_cmp_lt_u32_e64 s[10:11], s57, v1
	s_and_b64 s[64:65], s[10:11], exec
; %bb.17:
	s_or_b64 exec, exec, s[12:13]
	v_add_u32_e32 v1, s37, v18
	v_add_u32_e32 v6, s39, v18
	v_mul_lo_u32 v1, v1, s36
	v_mul_lo_u32 v6, v6, s38
	v_sub_u32_e32 v1, v1, v6
	v_cmp_lt_u32_e64 s[10:11], s40, v1
	;; [unrolled: 38-line block ×5, first 2 shown]
	v_cmp_ge_u32_e64 s[24:25], s40, v1
	s_mov_b64 s[80:81], 0
	s_mov_b64 s[82:83], 0
	s_and_saveexec_b64 s[26:27], s[24:25]
; %bb.30:
	v_add_u32_e32 v1, s42, v12
	v_add_u32_e32 v6, s56, v12
	v_mul_lo_u32 v1, v1, s41
	v_mul_lo_u32 v6, v6, s43
	v_sub_u32_e32 v1, v1, v6
	v_cmp_lt_u32_e64 s[24:25], s57, v1
	s_and_b64 s[82:83], s[24:25], exec
; %bb.31:
	s_or_b64 exec, exec, s[26:27]
	v_add_u32_e32 v1, s37, v13
	v_add_u32_e32 v6, s39, v13
	v_mul_lo_u32 v1, v1, s36
	v_mul_lo_u32 v6, v6, s38
	v_sub_u32_e32 v1, v1, v6
	v_cmp_lt_u32_e64 s[24:25], s40, v1
	v_cmp_ge_u32_e64 s[26:27], s40, v1
	s_and_saveexec_b64 s[52:53], s[26:27]
; %bb.32:
	v_add_u32_e32 v1, s42, v13
	v_add_u32_e32 v6, s56, v13
	v_mul_lo_u32 v1, v1, s41
	v_mul_lo_u32 v6, v6, s43
	v_sub_u32_e32 v1, v1, v6
	v_cmp_lt_u32_e64 s[26:27], s57, v1
	s_and_b64 s[80:81], s[26:27], exec
; %bb.33:
	s_or_b64 exec, exec, s[52:53]
	v_add_u32_e32 v1, s37, v35
	v_add_u32_e32 v6, s39, v35
	v_mul_lo_u32 v1, v1, s36
	v_mul_lo_u32 v6, v6, s38
	v_sub_u32_e32 v1, v1, v6
	v_cmp_ge_u32_e64 s[26:27], s40, v1
	s_mov_b64 s[52:53], -1
	s_mov_b64 s[74:75], 0
	s_mov_b64 s[54:55], 0
	s_and_saveexec_b64 s[84:85], s[26:27]
; %bb.34:
	v_add_u32_e32 v1, s42, v35
	v_add_u32_e32 v6, s56, v35
	v_mul_lo_u32 v1, v1, s41
	v_mul_lo_u32 v6, v6, s43
	v_sub_u32_e32 v1, v1, v6
	v_cmp_lt_u32_e64 s[26:27], s57, v1
	s_and_b64 s[54:55], s[26:27], exec
	s_xor_b64 s[52:53], exec, -1
; %bb.35:
	s_or_b64 exec, exec, s[84:85]
	v_cndmask_b32_e64 v57, 0, 1, s[82:83]
	v_cndmask_b32_e64 v60, 0, 1, s[24:25]
	;; [unrolled: 1-line block ×22, first 2 shown]
	v_cndmask_b32_e64 v37, 0, 1, vcc
	v_cndmask_b32_e64 v59, 0, 1, s[80:81]
	s_add_i32 s16, s86, 0xd00
	s_and_b64 vcc, exec, s[74:75]
	s_cbranch_vccnz .LBB1165_37
	s_branch .LBB1165_90
.LBB1165_36:
                                        ; implicit-def: $sgpr52_sgpr53
                                        ; implicit-def: $sgpr54_sgpr55
                                        ; implicit-def: $vgpr59
                                        ; implicit-def: $vgpr57
                                        ; implicit-def: $vgpr55
                                        ; implicit-def: $vgpr53
                                        ; implicit-def: $vgpr51
                                        ; implicit-def: $vgpr49
                                        ; implicit-def: $vgpr47
                                        ; implicit-def: $vgpr45
                                        ; implicit-def: $vgpr43
                                        ; implicit-def: $vgpr37
                                        ; implicit-def: $vgpr39
                                        ; implicit-def: $vgpr41
                                        ; implicit-def: $vgpr44
                                        ; implicit-def: $vgpr46
                                        ; implicit-def: $vgpr48
                                        ; implicit-def: $vgpr50
                                        ; implicit-def: $vgpr52
                                        ; implicit-def: $vgpr54
                                        ; implicit-def: $vgpr56
                                        ; implicit-def: $vgpr58
                                        ; implicit-def: $vgpr60
                                        ; implicit-def: $vgpr38
                                        ; implicit-def: $vgpr40
                                        ; implicit-def: $vgpr42
	s_add_i32 s16, s86, 0xd00
	s_cbranch_execz .LBB1165_90
.LBB1165_37:
	v_cmp_gt_u32_e32 vcc, s16, v36
	v_mov_b32_e32 v38, 0
	v_mov_b32_e32 v37, 0
	s_and_saveexec_b64 s[6:7], vcc
	s_cbranch_execz .LBB1165_41
; %bb.38:
	v_add_u32_e32 v1, s37, v22
	v_add_u32_e32 v6, s39, v22
	v_mul_lo_u32 v1, v1, s36
	v_mul_lo_u32 v6, v6, s38
	v_sub_u32_e32 v1, v1, v6
	v_cmp_lt_u32_e32 vcc, s40, v1
	v_cmp_ge_u32_e64 s[4:5], s40, v1
	s_mov_b64 s[10:11], 0
	s_and_saveexec_b64 s[8:9], s[4:5]
; %bb.39:
	v_add_u32_e32 v1, s42, v22
	v_add_u32_e32 v6, s56, v22
	v_mul_lo_u32 v1, v1, s41
	v_mul_lo_u32 v6, v6, s43
	v_sub_u32_e32 v1, v1, v6
	v_cmp_lt_u32_e64 s[4:5], s57, v1
	s_and_b64 s[10:11], s[4:5], exec
; %bb.40:
	s_or_b64 exec, exec, s[8:9]
	v_cndmask_b32_e64 v37, 0, 1, vcc
	v_cndmask_b32_e64 v38, 0, 1, s[10:11]
.LBB1165_41:
	s_or_b64 exec, exec, s[6:7]
	v_add_u32_e32 v1, 1, v36
	v_cmp_gt_u32_e32 vcc, s16, v1
	v_mov_b32_e32 v39, 0
	v_mov_b32_e32 v40, 0
	s_and_saveexec_b64 s[6:7], vcc
	s_cbranch_execz .LBB1165_45
; %bb.42:
	v_add_u32_e32 v1, s37, v23
	v_add_u32_e32 v6, s39, v23
	v_mul_lo_u32 v1, v1, s36
	v_mul_lo_u32 v6, v6, s38
	v_sub_u32_e32 v1, v1, v6
	v_cmp_lt_u32_e32 vcc, s40, v1
	v_cmp_ge_u32_e64 s[4:5], s40, v1
	s_mov_b64 s[10:11], 0
	s_and_saveexec_b64 s[8:9], s[4:5]
; %bb.43:
	v_add_u32_e32 v1, s42, v23
	v_add_u32_e32 v6, s56, v23
	v_mul_lo_u32 v1, v1, s41
	v_mul_lo_u32 v6, v6, s43
	v_sub_u32_e32 v1, v1, v6
	v_cmp_lt_u32_e64 s[4:5], s57, v1
	s_and_b64 s[10:11], s[4:5], exec
; %bb.44:
	s_or_b64 exec, exec, s[8:9]
	v_cndmask_b32_e64 v39, 0, 1, vcc
	v_cndmask_b32_e64 v40, 0, 1, s[10:11]
.LBB1165_45:
	s_or_b64 exec, exec, s[6:7]
	v_add_u32_e32 v1, 2, v36
	;; [unrolled: 30-line block ×12, first 2 shown]
	v_cmp_gt_u32_e32 vcc, s16, v1
	s_mov_b64 s[52:53], 0
	s_mov_b64 s[54:55], 0
	s_and_saveexec_b64 s[4:5], vcc
	s_cbranch_execz .LBB1165_89
; %bb.86:
	v_add_u32_e32 v1, s37, v35
	v_add_u32_e32 v6, s39, v35
	v_mul_lo_u32 v1, v1, s36
	v_mul_lo_u32 v6, v6, s38
	v_sub_u32_e32 v1, v1, v6
	v_cmp_ge_u32_e32 vcc, s40, v1
	s_mov_b64 s[8:9], -1
	s_mov_b64 s[10:11], 0
	s_and_saveexec_b64 s[6:7], vcc
; %bb.87:
	v_add_u32_e32 v1, s42, v35
	v_add_u32_e32 v6, s56, v35
	v_mul_lo_u32 v1, v1, s41
	v_mul_lo_u32 v6, v6, s43
	v_sub_u32_e32 v1, v1, v6
	v_cmp_lt_u32_e32 vcc, s57, v1
	s_and_b64 s[10:11], vcc, exec
	s_xor_b64 s[8:9], exec, -1
; %bb.88:
	s_or_b64 exec, exec, s[6:7]
	s_and_b64 s[54:55], s[10:11], exec
	s_and_b64 s[52:53], s[8:9], exec
.LBB1165_89:
	s_or_b64 exec, exec, s[4:5]
.LBB1165_90:
	v_and_b32_e32 v68, 0xff, v38
	v_and_b32_e32 v79, 0xff, v40
	;; [unrolled: 1-line block ×5, first 2 shown]
	v_add3_u32 v6, v79, v70, v68
	v_and_b32_e32 v81, 0xff, v47
	v_and_b32_e32 v74, 0xff, v49
	v_add3_u32 v6, v6, v80, v72
	v_and_b32_e32 v67, 0xff, v37
	v_and_b32_e32 v61, 0xff, v39
	;; [unrolled: 1-line block ×5, first 2 shown]
	v_add3_u32 v6, v6, v81, v74
	v_and_b32_e32 v62, 0xff, v44
	v_and_b32_e32 v71, 0xff, v46
	;; [unrolled: 1-line block ×4, first 2 shown]
	v_add3_u32 v7, v61, v69, v67
	v_add3_u32 v6, v6, v82, v76
	v_and_b32_e32 v63, 0xff, v48
	v_and_b32_e32 v73, 0xff, v50
	;; [unrolled: 1-line block ×3, first 2 shown]
	v_cndmask_b32_e64 v1, 0, 1, s[54:55]
	v_add3_u32 v7, v7, v62, v71
	v_add3_u32 v6, v6, v83, v78
	v_and_b32_e32 v64, 0xff, v52
	v_and_b32_e32 v75, 0xff, v54
	v_add3_u32 v7, v7, v63, v73
	v_add3_u32 v91, v6, v84, v1
	v_mbcnt_lo_u32_b32 v1, -1, 0
	v_and_b32_e32 v65, 0xff, v56
	v_and_b32_e32 v77, 0xff, v58
	v_add3_u32 v7, v7, v64, v75
	v_mbcnt_hi_u32_b32 v85, -1, v1
	v_and_b32_e32 v66, 0xff, v60
	v_add3_u32 v7, v7, v65, v77
	v_cndmask_b32_e64 v8, 0, 1, s[52:53]
	v_and_b32_e32 v89, 15, v85
	s_cmp_lg_u32 s33, 0
	v_add3_u32 v90, v7, v66, v8
	v_cmp_eq_u32_e64 s[6:7], 0, v89
	v_cmp_lt_u32_e64 s[4:5], 1, v89
	v_cmp_lt_u32_e64 s[10:11], 3, v89
	;; [unrolled: 1-line block ×3, first 2 shown]
	v_and_b32_e32 v88, 16, v85
	v_cmp_lt_u32_e32 vcc, 31, v85
	v_lshrrev_b32_e32 v86, 6, v0
	v_or_b32_e32 v87, 63, v0
	s_cbranch_scc0 .LBB1165_123
; %bb.91:
	v_mov_b32_dpp v1, v90 row_shr:1 row_mask:0xf bank_mask:0xf
	v_mov_b32_dpp v6, v91 row_shr:1 row_mask:0xf bank_mask:0xf
	v_add_u32_e32 v1, v1, v90
	v_add_u32_e32 v6, v6, v91
	v_cndmask_b32_e64 v6, v6, v91, s[6:7]
	v_cndmask_b32_e64 v1, v1, v90, s[6:7]
	s_nop 0
	v_mov_b32_dpp v8, v6 row_shr:2 row_mask:0xf bank_mask:0xf
	v_mov_b32_dpp v7, v1 row_shr:2 row_mask:0xf bank_mask:0xf
	v_add_u32_e32 v7, v1, v7
	v_add_u32_e32 v8, v6, v8
	v_cndmask_b32_e64 v6, v6, v8, s[4:5]
	v_cndmask_b32_e64 v1, v1, v7, s[4:5]
	s_nop 0
	;; [unrolled: 7-line block ×3, first 2 shown]
	v_mov_b32_dpp v8, v6 row_shr:8 row_mask:0xf bank_mask:0xf
	v_mov_b32_dpp v7, v1 row_shr:8 row_mask:0xf bank_mask:0xf
	v_add_u32_e32 v7, v1, v7
	v_add_u32_e32 v8, v6, v8
	v_cndmask_b32_e64 v6, v6, v8, s[8:9]
	v_cndmask_b32_e64 v1, v1, v7, s[8:9]
	v_cmp_eq_u32_e64 s[8:9], 0, v88
	v_mov_b32_dpp v8, v6 row_bcast:15 row_mask:0xf bank_mask:0xf
	v_mov_b32_dpp v7, v1 row_bcast:15 row_mask:0xf bank_mask:0xf
	v_add_u32_e32 v7, v1, v7
	v_add_u32_e32 v8, v6, v8
	v_cndmask_b32_e64 v6, v8, v6, s[8:9]
	v_cndmask_b32_e64 v1, v7, v1, s[8:9]
	s_nop 0
	v_mov_b32_dpp v8, v6 row_bcast:31 row_mask:0xf bank_mask:0xf
	v_mov_b32_dpp v7, v1 row_bcast:31 row_mask:0xf bank_mask:0xf
	v_add_u32_e32 v8, v6, v8
	v_add_u32_e32 v9, v1, v7
	v_cndmask_b32_e32 v7, v6, v8, vcc
	v_cndmask_b32_e32 v6, v1, v9, vcc
	v_cmp_eq_u32_e32 vcc, v87, v0
	s_and_saveexec_b64 s[8:9], vcc
	s_cbranch_execz .LBB1165_93
; %bb.92:
	v_lshlrev_b32_e32 v1, 3, v86
	ds_write_b64 v1, v[6:7]
.LBB1165_93:
	s_or_b64 exec, exec, s[8:9]
	v_cmp_gt_u32_e32 vcc, 4, v0
	s_waitcnt lgkmcnt(0)
	s_barrier
	s_and_saveexec_b64 s[8:9], vcc
	s_cbranch_execz .LBB1165_95
; %bb.94:
	v_lshlrev_b32_e32 v1, 3, v0
	ds_read_b64 v[8:9], v1
	v_and_b32_e32 v10, 3, v85
	v_cmp_eq_u32_e32 vcc, 0, v10
	s_waitcnt lgkmcnt(0)
	v_mov_b32_dpp v11, v8 row_shr:1 row_mask:0xf bank_mask:0xf
	v_mov_b32_dpp v24, v9 row_shr:1 row_mask:0xf bank_mask:0xf
	v_add_u32_e32 v11, v11, v8
	v_add_u32_e32 v24, v24, v9
	v_cndmask_b32_e32 v9, v24, v9, vcc
	v_cndmask_b32_e32 v8, v11, v8, vcc
	v_cmp_lt_u32_e32 vcc, 1, v10
	v_mov_b32_dpp v24, v9 row_shr:2 row_mask:0xf bank_mask:0xf
	v_mov_b32_dpp v11, v8 row_shr:2 row_mask:0xf bank_mask:0xf
	v_cndmask_b32_e32 v10, 0, v11, vcc
	v_cndmask_b32_e32 v11, 0, v24, vcc
	v_add_u32_e32 v9, v11, v9
	v_add_u32_e32 v8, v10, v8
	ds_write_b64 v1, v[8:9]
.LBB1165_95:
	s_or_b64 exec, exec, s[8:9]
	v_cmp_gt_u32_e32 vcc, 64, v0
	v_cmp_lt_u32_e64 s[8:9], 63, v0
	s_waitcnt lgkmcnt(0)
	s_barrier
	s_waitcnt lgkmcnt(0)
                                        ; implicit-def: $vgpr25
	s_and_saveexec_b64 s[10:11], s[8:9]
	s_xor_b64 s[8:9], exec, s[10:11]
	s_cbranch_execz .LBB1165_97
; %bb.96:
	v_lshl_add_u32 v1, v86, 3, -8
	ds_read_b64 v[24:25], v1
	s_waitcnt lgkmcnt(0)
	v_add_u32_e32 v7, v25, v7
	v_add_u32_e32 v6, v24, v6
.LBB1165_97:
	s_andn2_saveexec_b64 s[8:9], s[8:9]
; %bb.98:
                                        ; implicit-def: $vgpr24
; %bb.99:
	s_or_b64 exec, exec, s[8:9]
	v_add_u32_e32 v1, -1, v85
	v_and_b32_e32 v8, 64, v85
	v_cmp_lt_i32_e64 s[8:9], v1, v8
	v_cndmask_b32_e64 v1, v1, v85, s[8:9]
	v_lshlrev_b32_e32 v8, 2, v1
	ds_bpermute_b32 v1, v8, v6
	ds_bpermute_b32 v92, v8, v7
	v_cmp_eq_u32_e64 s[8:9], 0, v85
	s_and_saveexec_b64 s[10:11], vcc
	s_cbranch_execz .LBB1165_122
; %bb.100:
	v_mov_b32_e32 v11, 0
	ds_read_b64 v[26:27], v11 offset:24
	s_and_saveexec_b64 s[12:13], s[8:9]
	s_cbranch_execz .LBB1165_102
; %bb.101:
	s_add_i32 s14, s33, 64
	s_mov_b32 s15, 0
	s_lshl_b64 s[14:15], s[14:15], 4
	s_waitcnt lgkmcnt(0)
	v_and_b32_e32 v6, 0xff000000, v27
	v_and_b32_e32 v7, 0xff0000, v27
	s_add_u32 s14, s50, s14
	v_or_b32_e32 v6, v7, v6
	v_and_b32_e32 v7, 0xff00, v27
	s_addc_u32 s15, s51, s15
	v_or_b32_e32 v6, v6, v7
	v_or_b32_sdwa v9, v6, v27 dst_sel:DWORD dst_unused:UNUSED_PAD src0_sel:DWORD src1_sel:BYTE_0
	v_mov_b32_e32 v10, 1
	v_mov_b32_e32 v8, v26
	v_pk_mov_b32 v[6:7], s[14:15], s[14:15] op_sel:[0,1]
	;;#ASMSTART
	global_store_dwordx4 v[6:7], v[8:11] off	
s_waitcnt vmcnt(0)
	;;#ASMEND
.LBB1165_102:
	s_or_b64 exec, exec, s[12:13]
	v_xad_u32 v28, v85, -1, s33
	v_add_u32_e32 v10, 64, v28
	v_lshlrev_b64 v[6:7], 4, v[10:11]
	v_mov_b32_e32 v8, s51
	v_add_co_u32_e32 v30, vcc, s50, v6
	v_addc_co_u32_e32 v31, vcc, v8, v7, vcc
	;;#ASMSTART
	global_load_dwordx4 v[6:9], v[30:31] off glc	
s_waitcnt vmcnt(0)
	;;#ASMEND
	v_and_b32_e32 v9, 0xff, v7
	v_and_b32_e32 v10, 0xff00, v7
	v_or3_b32 v9, 0, v9, v10
	v_or3_b32 v6, v6, 0, 0
	v_and_b32_e32 v10, 0xff000000, v7
	v_and_b32_e32 v7, 0xff0000, v7
	v_or3_b32 v7, v9, v7, v10
	v_or3_b32 v6, v6, 0, 0
	v_cmp_eq_u16_sdwa s[14:15], v8, v11 src0_sel:BYTE_0 src1_sel:DWORD
	s_and_saveexec_b64 s[12:13], s[14:15]
	s_cbranch_execz .LBB1165_108
; %bb.103:
	s_mov_b32 s17, 1
	s_mov_b64 s[14:15], 0
	v_mov_b32_e32 v10, 0
.LBB1165_104:                           ; =>This Loop Header: Depth=1
                                        ;     Child Loop BB1165_105 Depth 2
	s_max_u32 s18, s17, 1
.LBB1165_105:                           ;   Parent Loop BB1165_104 Depth=1
                                        ; =>  This Inner Loop Header: Depth=2
	s_add_i32 s18, s18, -1
	s_cmp_eq_u32 s18, 0
	s_sleep 1
	s_cbranch_scc0 .LBB1165_105
; %bb.106:                              ;   in Loop: Header=BB1165_104 Depth=1
	s_cmp_lt_u32 s17, 32
	s_cselect_b64 s[18:19], -1, 0
	s_cmp_lg_u64 s[18:19], 0
	s_addc_u32 s17, s17, 0
	;;#ASMSTART
	global_load_dwordx4 v[6:9], v[30:31] off glc	
s_waitcnt vmcnt(0)
	;;#ASMEND
	v_cmp_ne_u16_sdwa s[18:19], v8, v10 src0_sel:BYTE_0 src1_sel:DWORD
	s_or_b64 s[14:15], s[18:19], s[14:15]
	s_andn2_b64 exec, exec, s[14:15]
	s_cbranch_execnz .LBB1165_104
; %bb.107:
	s_or_b64 exec, exec, s[14:15]
.LBB1165_108:
	s_or_b64 exec, exec, s[12:13]
	v_and_b32_e32 v94, 63, v85
	v_cmp_ne_u32_e32 vcc, 63, v94
	v_mov_b32_e32 v93, 2
	v_addc_co_u32_e32 v30, vcc, 0, v85, vcc
	v_cmp_eq_u16_sdwa s[12:13], v8, v93 src0_sel:BYTE_0 src1_sel:DWORD
	v_lshlrev_b64 v[10:11], v85, -1
	v_lshlrev_b32_e32 v95, 2, v30
	v_and_b32_e32 v9, s13, v11
	ds_bpermute_b32 v30, v95, v6
	ds_bpermute_b32 v31, v95, v7
	v_or_b32_e32 v9, 0x80000000, v9
	v_and_b32_e32 v29, s12, v10
	v_ffbl_b32_e32 v9, v9
	v_add_u32_e32 v9, 32, v9
	v_ffbl_b32_e32 v29, v29
	v_min_u32_e32 v9, v29, v9
	s_waitcnt lgkmcnt(1)
	v_add_u32_e32 v29, v30, v6
	s_waitcnt lgkmcnt(0)
	v_add_u32_e32 v30, v31, v7
	v_cmp_lt_u32_e32 vcc, v94, v9
	v_cndmask_b32_e32 v7, v7, v30, vcc
	v_cndmask_b32_e32 v6, v6, v29, vcc
	v_cmp_gt_u32_e32 vcc, 62, v94
	v_cndmask_b32_e64 v29, 0, 1, vcc
	v_lshlrev_b32_e32 v29, 1, v29
	v_add_lshl_u32 v96, v29, v85, 2
	ds_bpermute_b32 v29, v96, v6
	ds_bpermute_b32 v30, v96, v7
	v_add_u32_e32 v97, 2, v94
	v_cmp_gt_u32_e32 vcc, v97, v9
	v_add_u32_e32 v99, 4, v94
	s_waitcnt lgkmcnt(1)
	v_add_u32_e32 v29, v6, v29
	s_waitcnt lgkmcnt(0)
	v_add_u32_e32 v30, v7, v30
	v_cndmask_b32_e32 v7, v30, v7, vcc
	v_cndmask_b32_e32 v6, v29, v6, vcc
	v_cmp_gt_u32_e32 vcc, 60, v94
	v_cndmask_b32_e64 v29, 0, 1, vcc
	v_lshlrev_b32_e32 v29, 2, v29
	v_add_lshl_u32 v98, v29, v85, 2
	ds_bpermute_b32 v29, v98, v6
	ds_bpermute_b32 v30, v98, v7
	v_cmp_gt_u32_e32 vcc, v99, v9
	v_add_u32_e32 v101, 8, v94
	v_add_u32_e32 v103, 16, v94
	s_waitcnt lgkmcnt(1)
	v_add_u32_e32 v29, v6, v29
	s_waitcnt lgkmcnt(0)
	v_add_u32_e32 v30, v7, v30
	v_cndmask_b32_e32 v7, v30, v7, vcc
	v_cndmask_b32_e32 v6, v29, v6, vcc
	v_cmp_gt_u32_e32 vcc, 56, v94
	v_cndmask_b32_e64 v29, 0, 1, vcc
	v_lshlrev_b32_e32 v29, 3, v29
	v_add_lshl_u32 v100, v29, v85, 2
	ds_bpermute_b32 v29, v100, v6
	ds_bpermute_b32 v30, v100, v7
	v_cmp_gt_u32_e32 vcc, v101, v9
	v_add_u32_e32 v105, 32, v94
	s_waitcnt lgkmcnt(1)
	v_add_u32_e32 v29, v6, v29
	s_waitcnt lgkmcnt(0)
	v_add_u32_e32 v30, v7, v30
	v_cndmask_b32_e32 v7, v30, v7, vcc
	v_cndmask_b32_e32 v6, v29, v6, vcc
	v_cmp_gt_u32_e32 vcc, 48, v94
	v_cndmask_b32_e64 v29, 0, 1, vcc
	v_lshlrev_b32_e32 v29, 4, v29
	v_add_lshl_u32 v102, v29, v85, 2
	ds_bpermute_b32 v29, v102, v6
	ds_bpermute_b32 v30, v102, v7
	v_cmp_gt_u32_e32 vcc, v103, v9
	s_waitcnt lgkmcnt(1)
	v_add_u32_e32 v29, v6, v29
	s_waitcnt lgkmcnt(0)
	v_add_u32_e32 v30, v7, v30
	v_cndmask_b32_e32 v7, v30, v7, vcc
	v_cndmask_b32_e32 v6, v29, v6, vcc
	v_cmp_gt_u32_e32 vcc, 32, v94
	v_cndmask_b32_e64 v29, 0, 1, vcc
	v_lshlrev_b32_e32 v29, 5, v29
	v_add_lshl_u32 v104, v29, v85, 2
	ds_bpermute_b32 v29, v104, v6
	ds_bpermute_b32 v30, v104, v7
	v_cmp_le_u32_e32 vcc, v105, v9
	s_waitcnt lgkmcnt(1)
	v_cndmask_b32_e32 v9, 0, v29, vcc
	s_waitcnt lgkmcnt(0)
	v_cndmask_b32_e32 v29, 0, v30, vcc
	v_add_u32_e32 v7, v7, v29
	v_add_u32_e32 v6, v6, v9
	v_mov_b32_e32 v29, 0
	s_branch .LBB1165_110
.LBB1165_109:                           ;   in Loop: Header=BB1165_110 Depth=1
	s_or_b64 exec, exec, s[12:13]
	v_cmp_eq_u16_sdwa s[12:13], v8, v93 src0_sel:BYTE_0 src1_sel:DWORD
	v_and_b32_e32 v9, s13, v11
	ds_bpermute_b32 v33, v95, v6
	ds_bpermute_b32 v106, v95, v7
	v_or_b32_e32 v9, 0x80000000, v9
	v_and_b32_e32 v32, s12, v10
	v_ffbl_b32_e32 v9, v9
	v_add_u32_e32 v9, 32, v9
	v_ffbl_b32_e32 v32, v32
	v_min_u32_e32 v9, v32, v9
	s_waitcnt lgkmcnt(1)
	v_add_u32_e32 v32, v33, v6
	s_waitcnt lgkmcnt(0)
	v_add_u32_e32 v33, v106, v7
	v_cmp_lt_u32_e32 vcc, v94, v9
	v_cndmask_b32_e32 v7, v7, v33, vcc
	v_cndmask_b32_e32 v6, v6, v32, vcc
	ds_bpermute_b32 v32, v96, v6
	ds_bpermute_b32 v33, v96, v7
	v_cmp_gt_u32_e32 vcc, v97, v9
	v_subrev_u32_e32 v28, 64, v28
	s_waitcnt lgkmcnt(1)
	v_add_u32_e32 v32, v6, v32
	s_waitcnt lgkmcnt(0)
	v_add_u32_e32 v33, v7, v33
	v_cndmask_b32_e32 v7, v33, v7, vcc
	v_cndmask_b32_e32 v6, v32, v6, vcc
	ds_bpermute_b32 v32, v98, v6
	ds_bpermute_b32 v33, v98, v7
	v_cmp_gt_u32_e32 vcc, v99, v9
	s_waitcnt lgkmcnt(1)
	v_add_u32_e32 v32, v6, v32
	s_waitcnt lgkmcnt(0)
	v_add_u32_e32 v33, v7, v33
	v_cndmask_b32_e32 v7, v33, v7, vcc
	v_cndmask_b32_e32 v6, v32, v6, vcc
	ds_bpermute_b32 v32, v100, v6
	ds_bpermute_b32 v33, v100, v7
	v_cmp_gt_u32_e32 vcc, v101, v9
	;; [unrolled: 9-line block ×3, first 2 shown]
	s_waitcnt lgkmcnt(1)
	v_add_u32_e32 v32, v6, v32
	s_waitcnt lgkmcnt(0)
	v_add_u32_e32 v33, v7, v33
	v_cndmask_b32_e32 v7, v33, v7, vcc
	v_cndmask_b32_e32 v6, v32, v6, vcc
	ds_bpermute_b32 v32, v104, v6
	ds_bpermute_b32 v33, v104, v7
	v_cmp_le_u32_e32 vcc, v105, v9
	s_waitcnt lgkmcnt(1)
	v_cndmask_b32_e32 v9, 0, v32, vcc
	s_waitcnt lgkmcnt(0)
	v_cndmask_b32_e32 v32, 0, v33, vcc
	v_add3_u32 v7, v32, v31, v7
	v_add3_u32 v6, v9, v30, v6
.LBB1165_110:                           ; =>This Loop Header: Depth=1
                                        ;     Child Loop BB1165_113 Depth 2
                                        ;       Child Loop BB1165_114 Depth 3
	v_cmp_ne_u16_sdwa s[12:13], v8, v93 src0_sel:BYTE_0 src1_sel:DWORD
	v_cndmask_b32_e64 v8, 0, 1, s[12:13]
	;;#ASMSTART
	;;#ASMEND
	v_cmp_ne_u32_e32 vcc, 0, v8
	s_cmp_lg_u64 vcc, exec
	v_pk_mov_b32 v[30:31], v[6:7], v[6:7] op_sel:[0,1]
	s_cbranch_scc1 .LBB1165_117
; %bb.111:                              ;   in Loop: Header=BB1165_110 Depth=1
	v_lshlrev_b64 v[6:7], 4, v[28:29]
	v_mov_b32_e32 v8, s51
	v_add_co_u32_e32 v32, vcc, s50, v6
	v_addc_co_u32_e32 v33, vcc, v8, v7, vcc
	;;#ASMSTART
	global_load_dwordx4 v[6:9], v[32:33] off glc	
s_waitcnt vmcnt(0)
	;;#ASMEND
	v_and_b32_e32 v9, 0xff, v7
	v_and_b32_e32 v106, 0xff00, v7
	v_or3_b32 v9, 0, v9, v106
	v_or3_b32 v6, v6, 0, 0
	v_and_b32_e32 v106, 0xff000000, v7
	v_and_b32_e32 v7, 0xff0000, v7
	v_or3_b32 v7, v9, v7, v106
	v_or3_b32 v6, v6, 0, 0
	v_cmp_eq_u16_sdwa s[14:15], v8, v29 src0_sel:BYTE_0 src1_sel:DWORD
	s_and_saveexec_b64 s[12:13], s[14:15]
	s_cbranch_execz .LBB1165_109
; %bb.112:                              ;   in Loop: Header=BB1165_110 Depth=1
	s_mov_b32 s17, 1
	s_mov_b64 s[14:15], 0
.LBB1165_113:                           ;   Parent Loop BB1165_110 Depth=1
                                        ; =>  This Loop Header: Depth=2
                                        ;       Child Loop BB1165_114 Depth 3
	s_max_u32 s18, s17, 1
.LBB1165_114:                           ;   Parent Loop BB1165_110 Depth=1
                                        ;     Parent Loop BB1165_113 Depth=2
                                        ; =>    This Inner Loop Header: Depth=3
	s_add_i32 s18, s18, -1
	s_cmp_eq_u32 s18, 0
	s_sleep 1
	s_cbranch_scc0 .LBB1165_114
; %bb.115:                              ;   in Loop: Header=BB1165_113 Depth=2
	s_cmp_lt_u32 s17, 32
	s_cselect_b64 s[18:19], -1, 0
	s_cmp_lg_u64 s[18:19], 0
	s_addc_u32 s17, s17, 0
	;;#ASMSTART
	global_load_dwordx4 v[6:9], v[32:33] off glc	
s_waitcnt vmcnt(0)
	;;#ASMEND
	v_cmp_ne_u16_sdwa s[18:19], v8, v29 src0_sel:BYTE_0 src1_sel:DWORD
	s_or_b64 s[14:15], s[18:19], s[14:15]
	s_andn2_b64 exec, exec, s[14:15]
	s_cbranch_execnz .LBB1165_113
; %bb.116:                              ;   in Loop: Header=BB1165_110 Depth=1
	s_or_b64 exec, exec, s[14:15]
	s_branch .LBB1165_109
.LBB1165_117:                           ;   in Loop: Header=BB1165_110 Depth=1
                                        ; implicit-def: $vgpr8
                                        ; implicit-def: $vgpr6_vgpr7
	s_cbranch_execz .LBB1165_110
; %bb.118:
	s_and_saveexec_b64 s[12:13], s[8:9]
	s_cbranch_execz .LBB1165_120
; %bb.119:
	s_add_i32 s14, s33, 64
	s_mov_b32 s15, 0
	v_add_u32_e32 v7, v31, v27
	s_lshl_b64 s[14:15], s[14:15], 4
	s_add_u32 s14, s50, s14
	v_and_b32_e32 v8, 0xff000000, v7
	v_and_b32_e32 v10, 0xff0000, v7
	s_addc_u32 s15, s51, s15
	v_or_b32_e32 v8, v10, v8
	v_and_b32_e32 v10, 0xff00, v7
	v_and_b32_e32 v7, 0xff, v7
	v_add_u32_e32 v6, v30, v26
	v_mov_b32_e32 v9, 0
	v_or3_b32 v7, v8, v10, v7
	v_mov_b32_e32 v8, 2
	v_pk_mov_b32 v[10:11], s[14:15], s[14:15] op_sel:[0,1]
	;;#ASMSTART
	global_store_dwordx4 v[10:11], v[6:9] off	
s_waitcnt vmcnt(0)
	;;#ASMEND
	s_movk_i32 s14, 0x3400
	v_add_u32_e64 v6, s14, 0
	ds_write2_b32 v6, v26, v27 offset1:2
	ds_write2_b32 v6, v30, v31 offset0:4 offset1:6
.LBB1165_120:
	s_or_b64 exec, exec, s[12:13]
	s_and_b64 exec, exec, s[0:1]
	s_cbranch_execz .LBB1165_122
; %bb.121:
	v_mov_b32_e32 v6, 0
	ds_write_b64 v6, v[30:31] offset:24
.LBB1165_122:
	s_or_b64 exec, exec, s[10:11]
	v_mov_b32_e32 v6, 0
	s_waitcnt lgkmcnt(0)
	s_barrier
	ds_read_b64 v[10:11], v6 offset:24
	v_cndmask_b32_e64 v25, v92, v25, s[8:9]
	v_cndmask_b32_e64 v1, v1, v24, s[8:9]
	s_movk_i32 s8, 0x3400
	s_waitcnt lgkmcnt(0)
	v_add_u32_e32 v24, v10, v1
	v_add_u32_e64 v1, s8, 0
	s_barrier
	ds_read2_b32 v[6:7], v1 offset1:2
	ds_read2_b32 v[8:9], v1 offset0:4 offset1:6
	v_add_u32_e32 v1, v11, v25
	v_cndmask_b32_e64 v1, v1, v11, s[0:1]
	v_cndmask_b32_e64 v10, v24, v10, s[0:1]
	s_branch .LBB1165_133
.LBB1165_123:
                                        ; implicit-def: $vgpr1
                                        ; implicit-def: $vgpr8
                                        ; implicit-def: $vgpr6
                                        ; implicit-def: $vgpr10_vgpr11
	s_cbranch_execz .LBB1165_133
; %bb.124:
	s_nop 0
	v_mov_b32_dpp v1, v90 row_shr:1 row_mask:0xf bank_mask:0xf
	s_waitcnt lgkmcnt(1)
	v_mov_b32_dpp v6, v91 row_shr:1 row_mask:0xf bank_mask:0xf
	v_add_u32_e32 v1, v1, v90
	v_add_u32_e32 v6, v6, v91
	v_cndmask_b32_e64 v6, v6, v91, s[6:7]
	v_cndmask_b32_e64 v1, v1, v90, s[6:7]
	v_cmp_lt_u32_e32 vcc, 3, v89
	s_waitcnt lgkmcnt(0)
	v_mov_b32_dpp v8, v6 row_shr:2 row_mask:0xf bank_mask:0xf
	v_mov_b32_dpp v7, v1 row_shr:2 row_mask:0xf bank_mask:0xf
	v_add_u32_e32 v7, v1, v7
	v_add_u32_e32 v8, v6, v8
	v_cndmask_b32_e64 v6, v6, v8, s[4:5]
	v_cndmask_b32_e64 v1, v1, v7, s[4:5]
	s_nop 0
	v_mov_b32_dpp v8, v6 row_shr:4 row_mask:0xf bank_mask:0xf
	v_mov_b32_dpp v7, v1 row_shr:4 row_mask:0xf bank_mask:0xf
	v_add_u32_e32 v7, v1, v7
	v_add_u32_e32 v8, v6, v8
	v_cndmask_b32_e32 v6, v6, v8, vcc
	v_cndmask_b32_e32 v1, v1, v7, vcc
	v_cmp_lt_u32_e32 vcc, 7, v89
	v_mov_b32_dpp v8, v6 row_shr:8 row_mask:0xf bank_mask:0xf
	v_mov_b32_dpp v7, v1 row_shr:8 row_mask:0xf bank_mask:0xf
	v_add_u32_e32 v7, v1, v7
	v_add_u32_e32 v8, v6, v8
	v_cndmask_b32_e32 v6, v6, v8, vcc
	v_cndmask_b32_e32 v1, v1, v7, vcc
	v_cmp_eq_u32_e32 vcc, 0, v88
	v_mov_b32_dpp v8, v6 row_bcast:15 row_mask:0xf bank_mask:0xf
	v_mov_b32_dpp v7, v1 row_bcast:15 row_mask:0xf bank_mask:0xf
	v_add_u32_e32 v7, v1, v7
	v_add_u32_e32 v8, v6, v8
	v_cndmask_b32_e32 v6, v8, v6, vcc
	v_cndmask_b32_e32 v1, v7, v1, vcc
	v_cmp_lt_u32_e32 vcc, 31, v85
	v_mov_b32_dpp v8, v6 row_bcast:31 row_mask:0xf bank_mask:0xf
	v_mov_b32_dpp v7, v1 row_bcast:31 row_mask:0xf bank_mask:0xf
	v_add_u32_e32 v8, v6, v8
	v_add_u32_e32 v9, v1, v7
	v_cndmask_b32_e32 v7, v6, v8, vcc
	v_cndmask_b32_e32 v6, v1, v9, vcc
	v_cmp_eq_u32_e32 vcc, v87, v0
	s_and_saveexec_b64 s[4:5], vcc
	s_cbranch_execz .LBB1165_126
; %bb.125:
	v_lshlrev_b32_e32 v1, 3, v86
	ds_write_b64 v1, v[6:7]
.LBB1165_126:
	s_or_b64 exec, exec, s[4:5]
	v_cmp_gt_u32_e32 vcc, 4, v0
	s_waitcnt lgkmcnt(0)
	s_barrier
	s_and_saveexec_b64 s[4:5], vcc
	s_cbranch_execz .LBB1165_128
; %bb.127:
	v_lshlrev_b32_e32 v1, 3, v0
	ds_read_b64 v[8:9], v1
	v_and_b32_e32 v10, 3, v85
	v_cmp_eq_u32_e32 vcc, 0, v10
	s_waitcnt lgkmcnt(0)
	v_mov_b32_dpp v11, v8 row_shr:1 row_mask:0xf bank_mask:0xf
	v_mov_b32_dpp v24, v9 row_shr:1 row_mask:0xf bank_mask:0xf
	v_add_u32_e32 v11, v11, v8
	v_add_u32_e32 v24, v24, v9
	v_cndmask_b32_e32 v9, v24, v9, vcc
	v_cndmask_b32_e32 v8, v11, v8, vcc
	v_cmp_lt_u32_e32 vcc, 1, v10
	v_mov_b32_dpp v24, v9 row_shr:2 row_mask:0xf bank_mask:0xf
	v_mov_b32_dpp v11, v8 row_shr:2 row_mask:0xf bank_mask:0xf
	v_cndmask_b32_e32 v10, 0, v11, vcc
	v_cndmask_b32_e32 v11, 0, v24, vcc
	v_add_u32_e32 v9, v11, v9
	v_add_u32_e32 v8, v10, v8
	ds_write_b64 v1, v[8:9]
.LBB1165_128:
	s_or_b64 exec, exec, s[4:5]
	v_cmp_lt_u32_e32 vcc, 63, v0
	v_mov_b32_e32 v8, 0
	v_mov_b32_e32 v10, 0
	;; [unrolled: 1-line block ×3, first 2 shown]
	s_waitcnt lgkmcnt(0)
	s_barrier
	s_and_saveexec_b64 s[4:5], vcc
	s_cbranch_execz .LBB1165_130
; %bb.129:
	v_lshl_add_u32 v1, v86, 3, -8
	ds_read_b64 v[10:11], v1
.LBB1165_130:
	s_or_b64 exec, exec, s[4:5]
	s_waitcnt lgkmcnt(0)
	v_add_u32_e32 v9, v11, v7
	v_add_u32_e32 v1, v10, v6
	v_add_u32_e32 v6, -1, v85
	v_and_b32_e32 v7, 64, v85
	v_cmp_lt_i32_e32 vcc, v6, v7
	v_cndmask_b32_e32 v6, v6, v85, vcc
	v_lshlrev_b32_e32 v24, 2, v6
	ds_read_b64 v[6:7], v8 offset:24
	ds_bpermute_b32 v1, v24, v1
	ds_bpermute_b32 v24, v24, v9
	s_waitcnt lgkmcnt(2)
	v_readfirstlane_b32 s6, v7
	s_and_saveexec_b64 s[4:5], s[0:1]
	s_cbranch_execz .LBB1165_132
; %bb.131:
	s_add_u32 s8, s50, 0x400
	s_mov_b32 s10, 0
	s_addc_u32 s9, s51, 0
	s_and_b32 s11, s6, 0xff000000
	s_and_b32 s13, s6, 0xff0000
	s_mov_b32 s12, s10
	s_or_b64 s[12:13], s[12:13], s[10:11]
	s_and_b32 s11, s6, 0xff00
	s_or_b64 s[12:13], s[12:13], s[10:11]
	s_and_b32 s11, s6, 0xff
	s_or_b64 s[10:11], s[12:13], s[10:11]
	v_mov_b32_e32 v7, s11
	v_mov_b32_e32 v8, 2
	;; [unrolled: 1-line block ×3, first 2 shown]
	v_pk_mov_b32 v[26:27], s[8:9], s[8:9] op_sel:[0,1]
	;;#ASMSTART
	global_store_dwordx4 v[26:27], v[6:9] off	
s_waitcnt vmcnt(0)
	;;#ASMEND
.LBB1165_132:
	s_or_b64 exec, exec, s[4:5]
	v_cmp_eq_u32_e32 vcc, 0, v85
	s_waitcnt lgkmcnt(1)
	v_cndmask_b32_e32 v7, v1, v10, vcc
	s_waitcnt lgkmcnt(0)
	v_cndmask_b32_e32 v1, v24, v11, vcc
	v_mov_b32_e32 v8, 0
	v_cndmask_b32_e64 v1, v1, 0, s[0:1]
	v_cndmask_b32_e64 v10, v7, 0, s[0:1]
	s_barrier
	v_mov_b32_e32 v7, s6
	v_mov_b32_e32 v9, 0
.LBB1165_133:
	v_add_u32_e32 v11, v10, v67
	v_add_u32_e32 v26, v1, v68
	;; [unrolled: 1-line block ×13, first 2 shown]
	s_waitcnt vmcnt(0) lgkmcnt(0)
	v_add_co_u32_e32 v2, vcc, v2, v8
	v_add_u32_e32 v68, v62, v74
	v_add_u32_e32 v64, v67, v64
	v_addc_co_u32_e32 v3, vcc, 0, v3, vcc
	v_add_u32_e32 v69, v68, v82
	v_add_u32_e32 v70, v64, v75
	v_sub_co_u32_e32 v24, vcc, v4, v6
	v_add_u32_e32 v71, v69, v76
	v_add_u32_e32 v65, v70, v65
	v_subbrev_co_u32_e32 v25, vcc, 0, v5, vcc
	v_lshlrev_b32_e32 v76, 1, v6
	v_sub_u32_e32 v1, v1, v9
	v_add_u32_e32 v73, v65, v77
	v_add_co_u32_e32 v24, vcc, v24, v9
	v_add_u32_e32 v77, v76, v7
	v_sub_u32_e32 v10, v10, v8
	v_add_u32_e32 v1, v1, v6
	v_addc_co_u32_e32 v25, vcc, 0, v25, vcc
	v_add_u32_e32 v36, v77, v36
	v_and_b32_e32 v38, 1, v38
	v_add_u32_e32 v77, v10, v1
	v_and_b32_e32 v37, 1, v37
	v_sub_u32_e32 v77, v36, v77
	v_cmp_eq_u32_e32 vcc, 1, v38
	v_cndmask_b32_e32 v1, v77, v1, vcc
	v_cmp_eq_u32_e32 vcc, 1, v37
	v_cndmask_b32_e32 v1, v1, v10, vcc
	v_lshlrev_b32_e32 v1, 2, v1
	ds_write_b32 v1, v22
	v_sub_u32_e32 v1, v11, v8
	v_sub_u32_e32 v11, v26, v9
	v_add_u32_e32 v11, v11, v6
	v_add_u32_e32 v26, v11, v1
	v_and_b32_e32 v22, 1, v40
	v_sub_u32_e32 v26, v36, v26
	v_and_b32_e32 v10, 1, v39
	v_add_u32_e32 v26, 1, v26
	v_cmp_eq_u32_e32 vcc, 1, v22
	v_cndmask_b32_e32 v11, v26, v11, vcc
	v_cmp_eq_u32_e32 vcc, 1, v10
	v_cndmask_b32_e32 v1, v11, v1, vcc
	v_lshlrev_b32_e32 v1, 2, v1
	v_sub_u32_e32 v11, v27, v9
	ds_write_b32 v1, v23
	v_sub_u32_e32 v1, v28, v8
	v_add_u32_e32 v11, v11, v6
	v_add_u32_e32 v23, v11, v1
	v_and_b32_e32 v22, 1, v42
	v_sub_u32_e32 v23, v36, v23
	v_and_b32_e32 v10, 1, v41
	v_add_u32_e32 v23, 2, v23
	v_cmp_eq_u32_e32 vcc, 1, v22
	v_cndmask_b32_e32 v11, v23, v11, vcc
	v_cmp_eq_u32_e32 vcc, 1, v10
	v_cndmask_b32_e32 v1, v11, v1, vcc
	v_lshlrev_b32_e32 v1, 2, v1
	v_sub_u32_e32 v11, v30, v9
	ds_write_b32 v1, v20
	;; [unrolled: 14-line block ×8, first 2 shown]
	v_sub_u32_e32 v1, v70, v8
	v_add_u32_e32 v11, v11, v6
	v_add_u32_e32 v16, v1, v11
	v_and_b32_e32 v14, 1, v55
	v_sub_u32_e32 v16, v36, v16
	v_and_b32_e32 v10, 1, v56
	v_add_u32_e32 v16, 9, v16
	v_cmp_eq_u32_e32 vcc, 1, v14
	v_cndmask_b32_e32 v11, v16, v11, vcc
	v_cmp_eq_u32_e32 vcc, 1, v10
	v_add_u32_e32 v72, v71, v83
	v_cndmask_b32_e32 v1, v11, v1, vcc
	v_lshlrev_b32_e32 v1, 2, v1
	v_sub_u32_e32 v11, v72, v9
	ds_write_b32 v1, v15
	v_sub_u32_e32 v1, v65, v8
	v_add_u32_e32 v11, v11, v6
	v_add_u32_e32 v15, v1, v11
	v_and_b32_e32 v14, 1, v57
	v_sub_u32_e32 v15, v36, v15
	v_and_b32_e32 v10, 1, v58
	v_add_u32_e32 v15, 10, v15
	v_cmp_eq_u32_e32 vcc, 1, v14
	v_cndmask_b32_e32 v11, v15, v11, vcc
	v_cmp_eq_u32_e32 vcc, 1, v10
	v_add_u32_e32 v74, v72, v78
	v_cndmask_b32_e32 v1, v11, v1, vcc
	v_lshlrev_b32_e32 v1, 2, v1
	v_sub_u32_e32 v11, v74, v9
	ds_write_b32 v1, v12
	v_sub_u32_e32 v1, v73, v8
	v_add_u32_e32 v11, v11, v6
	v_add_u32_e32 v14, v1, v11
	v_and_b32_e32 v12, 1, v59
	v_sub_u32_e32 v14, v36, v14
	v_and_b32_e32 v10, 1, v60
	v_add_u32_e32 v14, 11, v14
	v_cmp_eq_u32_e32 vcc, 1, v12
	v_cndmask_b32_e32 v11, v14, v11, vcc
	v_cmp_eq_u32_e32 vcc, 1, v10
	v_cndmask_b32_e32 v1, v11, v1, vcc
	v_add_u32_e32 v75, v74, v84
	v_add_u32_e32 v66, v73, v66
	v_lshlrev_b32_e32 v1, 2, v1
	ds_write_b32 v1, v13
	v_sub_u32_e32 v1, v66, v8
	v_sub_u32_e32 v8, v75, v9
	v_add_u32_e32 v8, v8, v6
	v_add_u32_e32 v10, v1, v8
	v_sub_u32_e32 v10, v36, v10
	v_add_u32_e32 v10, 12, v10
	v_cndmask_b32_e64 v8, v10, v8, s[54:55]
	v_cndmask_b32_e64 v1, v8, v1, s[52:53]
	v_lshlrev_b32_e32 v1, 2, v1
	ds_write_b32 v1, v35
	v_mov_b32_e32 v1, s49
	v_add_co_u32_e32 v8, vcc, s48, v34
	v_addc_co_u32_e32 v10, vcc, 0, v1, vcc
	v_add_co_u32_e32 v1, vcc, v7, v76
	v_addc_co_u32_e64 v11, s[4:5], 0, 0, vcc
	v_add_co_u32_e32 v1, vcc, v1, v24
	v_addc_co_u32_e32 v11, vcc, v11, v25, vcc
	v_add_co_u32_e32 v1, vcc, v1, v2
	v_addc_co_u32_e32 v11, vcc, v11, v3, vcc
	v_sub_co_u32_e32 v1, vcc, v8, v1
	v_subb_co_u32_e32 v8, vcc, v10, v11, vcc
	v_lshlrev_b64 v[10:11], 2, v[24:25]
	v_mov_b32_e32 v12, s47
	v_add_co_u32_e32 v10, vcc, s46, v10
	v_addc_co_u32_e32 v11, vcc, v12, v11, vcc
	v_lshlrev_b64 v[12:13], 2, v[2:3]
	v_mov_b32_e32 v15, s45
	v_add_co_u32_e32 v12, vcc, s44, v12
	s_add_u32 s8, s34, -4
	v_addc_co_u32_e32 v13, vcc, v15, v13, vcc
	s_addc_u32 s9, s35, -1
	v_add_u32_e32 v14, v6, v7
	s_and_b64 vcc, exec, s[2:3]
	s_mov_b64 s[2:3], -1
	s_waitcnt lgkmcnt(0)
	s_barrier
	s_cbranch_vccz .LBB1165_137
; %bb.134:
	s_and_b64 vcc, exec, s[2:3]
	s_cbranch_vccnz .LBB1165_242
.LBB1165_135:
	s_and_b64 s[0:1], s[0:1], s[30:31]
	s_and_saveexec_b64 s[2:3], s[0:1]
	s_cbranch_execnz .LBB1165_360
.LBB1165_136:
	s_endpgm
.LBB1165_137:
	v_cmp_le_u32_e32 vcc, v6, v0
	s_and_saveexec_b64 s[2:3], vcc
	s_xor_b64 s[2:3], exec, s[2:3]
	s_cbranch_execz .LBB1165_143
; %bb.138:
	v_cmp_le_u32_e32 vcc, v14, v0
	s_and_saveexec_b64 s[4:5], vcc
	s_xor_b64 s[4:5], exec, s[4:5]
	s_cbranch_execz .LBB1165_140
; %bb.139:
	v_lshlrev_b32_e32 v15, 2, v0
	v_add_co_u32_e32 v16, vcc, v1, v0
	ds_read_b32 v15, v15
	v_addc_co_u32_e32 v17, vcc, 0, v8, vcc
	v_lshlrev_b64 v[16:17], 2, v[16:17]
	v_mov_b32_e32 v18, s35
	v_sub_co_u32_e32 v16, vcc, s34, v16
	v_subb_co_u32_e32 v17, vcc, v18, v17, vcc
	s_waitcnt lgkmcnt(0)
	global_store_dword v[16:17], v15, off offset:-4
.LBB1165_140:
	s_andn2_saveexec_b64 s[4:5], s[4:5]
	s_cbranch_execz .LBB1165_142
; %bb.141:
	v_lshlrev_b32_e32 v15, 2, v0
	ds_read_b32 v16, v15
	v_readfirstlane_b32 s6, v10
	v_readfirstlane_b32 s7, v11
	s_waitcnt lgkmcnt(0)
	s_nop 3
	global_store_dword v15, v16, s[6:7]
.LBB1165_142:
	s_or_b64 exec, exec, s[4:5]
.LBB1165_143:
	s_andn2_saveexec_b64 s[2:3], s[2:3]
	s_cbranch_execz .LBB1165_145
; %bb.144:
	v_lshlrev_b32_e32 v15, 2, v0
	ds_read_b32 v16, v15
	v_readfirstlane_b32 s4, v12
	v_readfirstlane_b32 s5, v13
	s_waitcnt lgkmcnt(0)
	s_nop 3
	global_store_dword v15, v16, s[4:5]
.LBB1165_145:
	s_or_b64 exec, exec, s[2:3]
	v_or_b32_e32 v15, 0x100, v0
	v_cmp_le_u32_e32 vcc, v6, v15
	s_and_saveexec_b64 s[2:3], vcc
	s_xor_b64 s[2:3], exec, s[2:3]
	s_cbranch_execz .LBB1165_151
; %bb.146:
	v_cmp_le_u32_e32 vcc, v14, v15
	s_and_saveexec_b64 s[4:5], vcc
	s_xor_b64 s[4:5], exec, s[4:5]
	s_cbranch_execz .LBB1165_148
; %bb.147:
	v_lshlrev_b32_e32 v15, 2, v0
	ds_read_b32 v15, v15 offset:1024
	v_add_co_u32_e32 v16, vcc, v1, v0
	v_addc_co_u32_e32 v17, vcc, 0, v8, vcc
	v_lshlrev_b64 v[16:17], 2, v[16:17]
	v_mov_b32_e32 v18, s9
	v_sub_co_u32_e32 v16, vcc, s8, v16
	v_subb_co_u32_e32 v17, vcc, v18, v17, vcc
	s_waitcnt lgkmcnt(0)
	global_store_dword v[16:17], v15, off offset:-1024
.LBB1165_148:
	s_andn2_saveexec_b64 s[4:5], s[4:5]
	s_cbranch_execz .LBB1165_150
; %bb.149:
	v_lshlrev_b32_e32 v15, 2, v0
	ds_read_b32 v16, v15 offset:1024
	v_readfirstlane_b32 s6, v10
	v_readfirstlane_b32 s7, v11
	s_waitcnt lgkmcnt(0)
	s_nop 3
	global_store_dword v15, v16, s[6:7] offset:1024
.LBB1165_150:
	s_or_b64 exec, exec, s[4:5]
.LBB1165_151:
	s_andn2_saveexec_b64 s[2:3], s[2:3]
	s_cbranch_execz .LBB1165_153
; %bb.152:
	v_lshlrev_b32_e32 v15, 2, v0
	ds_read_b32 v16, v15 offset:1024
	v_readfirstlane_b32 s4, v12
	v_readfirstlane_b32 s5, v13
	s_waitcnt lgkmcnt(0)
	s_nop 3
	global_store_dword v15, v16, s[4:5] offset:1024
.LBB1165_153:
	s_or_b64 exec, exec, s[2:3]
	v_or_b32_e32 v15, 0x200, v0
	v_cmp_le_u32_e32 vcc, v6, v15
	s_and_saveexec_b64 s[2:3], vcc
	s_xor_b64 s[2:3], exec, s[2:3]
	s_cbranch_execz .LBB1165_159
; %bb.154:
	v_cmp_le_u32_e32 vcc, v14, v15
	s_and_saveexec_b64 s[4:5], vcc
	s_xor_b64 s[4:5], exec, s[4:5]
	s_cbranch_execz .LBB1165_156
; %bb.155:
	v_lshlrev_b32_e32 v15, 2, v0
	ds_read_b32 v15, v15 offset:2048
	v_add_co_u32_e32 v16, vcc, v1, v0
	v_addc_co_u32_e32 v17, vcc, 0, v8, vcc
	v_lshlrev_b64 v[16:17], 2, v[16:17]
	v_mov_b32_e32 v18, s9
	v_sub_co_u32_e32 v16, vcc, s8, v16
	v_subb_co_u32_e32 v17, vcc, v18, v17, vcc
	s_waitcnt lgkmcnt(0)
	global_store_dword v[16:17], v15, off offset:-2048
.LBB1165_156:
	s_andn2_saveexec_b64 s[4:5], s[4:5]
	s_cbranch_execz .LBB1165_158
; %bb.157:
	v_lshlrev_b32_e32 v15, 2, v0
	ds_read_b32 v16, v15 offset:2048
	v_readfirstlane_b32 s6, v10
	v_readfirstlane_b32 s7, v11
	s_waitcnt lgkmcnt(0)
	s_nop 3
	global_store_dword v15, v16, s[6:7] offset:2048
.LBB1165_158:
	s_or_b64 exec, exec, s[4:5]
.LBB1165_159:
	s_andn2_saveexec_b64 s[2:3], s[2:3]
	s_cbranch_execz .LBB1165_161
; %bb.160:
	v_lshlrev_b32_e32 v15, 2, v0
	ds_read_b32 v16, v15 offset:2048
	v_readfirstlane_b32 s4, v12
	v_readfirstlane_b32 s5, v13
	s_waitcnt lgkmcnt(0)
	s_nop 3
	global_store_dword v15, v16, s[4:5] offset:2048
.LBB1165_161:
	;; [unrolled: 47-line block ×3, first 2 shown]
	s_or_b64 exec, exec, s[2:3]
	v_or_b32_e32 v15, 0x400, v0
	v_cmp_le_u32_e32 vcc, v6, v15
	s_and_saveexec_b64 s[2:3], vcc
	s_xor_b64 s[2:3], exec, s[2:3]
	s_cbranch_execz .LBB1165_175
; %bb.170:
	v_cmp_le_u32_e32 vcc, v14, v15
	s_and_saveexec_b64 s[4:5], vcc
	s_xor_b64 s[4:5], exec, s[4:5]
	s_cbranch_execz .LBB1165_172
; %bb.171:
	v_lshlrev_b32_e32 v15, 2, v0
	ds_read_b32 v15, v15 offset:4096
	v_add_co_u32_e32 v16, vcc, v1, v0
	v_addc_co_u32_e32 v17, vcc, 0, v8, vcc
	v_lshlrev_b64 v[16:17], 2, v[16:17]
	v_mov_b32_e32 v18, s9
	v_sub_co_u32_e32 v16, vcc, s8, v16
	v_subb_co_u32_e32 v17, vcc, v18, v17, vcc
	s_waitcnt lgkmcnt(0)
	global_store_dword v[16:17], v15, off offset:-4096
                                        ; implicit-def: $vgpr15
.LBB1165_172:
	s_andn2_saveexec_b64 s[4:5], s[4:5]
	s_cbranch_execz .LBB1165_174
; %bb.173:
	v_lshlrev_b32_e32 v16, 2, v0
	ds_read_b32 v16, v16 offset:4096
	v_lshlrev_b32_e32 v15, 2, v15
	v_readfirstlane_b32 s6, v10
	v_readfirstlane_b32 s7, v11
	s_waitcnt lgkmcnt(0)
	s_nop 3
	global_store_dword v15, v16, s[6:7]
.LBB1165_174:
	s_or_b64 exec, exec, s[4:5]
                                        ; implicit-def: $vgpr15
.LBB1165_175:
	s_andn2_saveexec_b64 s[2:3], s[2:3]
	s_cbranch_execz .LBB1165_177
; %bb.176:
	v_lshlrev_b32_e32 v16, 2, v0
	ds_read_b32 v16, v16 offset:4096
	v_lshlrev_b32_e32 v15, 2, v15
	v_readfirstlane_b32 s4, v12
	v_readfirstlane_b32 s5, v13
	s_waitcnt lgkmcnt(0)
	s_nop 3
	global_store_dword v15, v16, s[4:5]
.LBB1165_177:
	s_or_b64 exec, exec, s[2:3]
	v_or_b32_e32 v15, 0x500, v0
	v_cmp_le_u32_e32 vcc, v6, v15
	s_and_saveexec_b64 s[2:3], vcc
	s_xor_b64 s[2:3], exec, s[2:3]
	s_cbranch_execz .LBB1165_183
; %bb.178:
	v_cmp_le_u32_e32 vcc, v14, v15
	s_and_saveexec_b64 s[4:5], vcc
	s_xor_b64 s[4:5], exec, s[4:5]
	s_cbranch_execz .LBB1165_180
; %bb.179:
	v_add_co_u32_e32 v16, vcc, v1, v15
	v_lshlrev_b32_e32 v15, 2, v0
	ds_read_b32 v15, v15 offset:5120
	v_addc_co_u32_e32 v17, vcc, 0, v8, vcc
	v_lshlrev_b64 v[16:17], 2, v[16:17]
	v_mov_b32_e32 v18, s9
	v_sub_co_u32_e32 v16, vcc, s8, v16
	v_subb_co_u32_e32 v17, vcc, v18, v17, vcc
	s_waitcnt lgkmcnt(0)
	global_store_dword v[16:17], v15, off
                                        ; implicit-def: $vgpr15
.LBB1165_180:
	s_andn2_saveexec_b64 s[4:5], s[4:5]
	s_cbranch_execz .LBB1165_182
; %bb.181:
	v_lshlrev_b32_e32 v16, 2, v0
	ds_read_b32 v16, v16 offset:5120
	v_lshlrev_b32_e32 v15, 2, v15
	v_readfirstlane_b32 s6, v10
	v_readfirstlane_b32 s7, v11
	s_waitcnt lgkmcnt(0)
	s_nop 3
	global_store_dword v15, v16, s[6:7]
.LBB1165_182:
	s_or_b64 exec, exec, s[4:5]
                                        ; implicit-def: $vgpr15
.LBB1165_183:
	s_andn2_saveexec_b64 s[2:3], s[2:3]
	s_cbranch_execz .LBB1165_185
; %bb.184:
	v_lshlrev_b32_e32 v16, 2, v0
	ds_read_b32 v16, v16 offset:5120
	v_lshlrev_b32_e32 v15, 2, v15
	v_readfirstlane_b32 s4, v12
	v_readfirstlane_b32 s5, v13
	s_waitcnt lgkmcnt(0)
	s_nop 3
	global_store_dword v15, v16, s[4:5]
.LBB1165_185:
	s_or_b64 exec, exec, s[2:3]
	v_or_b32_e32 v15, 0x600, v0
	v_cmp_le_u32_e32 vcc, v6, v15
	s_and_saveexec_b64 s[2:3], vcc
	s_xor_b64 s[2:3], exec, s[2:3]
	s_cbranch_execz .LBB1165_191
; %bb.186:
	v_cmp_le_u32_e32 vcc, v14, v15
	s_and_saveexec_b64 s[4:5], vcc
	s_xor_b64 s[4:5], exec, s[4:5]
	s_cbranch_execz .LBB1165_188
; %bb.187:
	v_add_co_u32_e32 v16, vcc, v1, v15
	v_lshlrev_b32_e32 v15, 2, v0
	ds_read_b32 v15, v15 offset:6144
	v_addc_co_u32_e32 v17, vcc, 0, v8, vcc
	v_lshlrev_b64 v[16:17], 2, v[16:17]
	v_mov_b32_e32 v18, s9
	v_sub_co_u32_e32 v16, vcc, s8, v16
	v_subb_co_u32_e32 v17, vcc, v18, v17, vcc
	s_waitcnt lgkmcnt(0)
	global_store_dword v[16:17], v15, off
                                        ; implicit-def: $vgpr15
.LBB1165_188:
	s_andn2_saveexec_b64 s[4:5], s[4:5]
	s_cbranch_execz .LBB1165_190
; %bb.189:
	v_lshlrev_b32_e32 v16, 2, v0
	ds_read_b32 v16, v16 offset:6144
	v_lshlrev_b32_e32 v15, 2, v15
	v_readfirstlane_b32 s6, v10
	v_readfirstlane_b32 s7, v11
	s_waitcnt lgkmcnt(0)
	s_nop 3
	global_store_dword v15, v16, s[6:7]
.LBB1165_190:
	s_or_b64 exec, exec, s[4:5]
                                        ; implicit-def: $vgpr15
.LBB1165_191:
	;; [unrolled: 51-line block ×8, first 2 shown]
	s_andn2_saveexec_b64 s[2:3], s[2:3]
	s_cbranch_execz .LBB1165_241
; %bb.240:
	v_lshlrev_b32_e32 v16, 2, v0
	ds_read_b32 v16, v16 offset:12288
	v_lshlrev_b32_e32 v15, 2, v15
	v_readfirstlane_b32 s4, v12
	v_readfirstlane_b32 s5, v13
	s_waitcnt lgkmcnt(0)
	s_nop 3
	global_store_dword v15, v16, s[4:5]
.LBB1165_241:
	s_or_b64 exec, exec, s[2:3]
	s_branch .LBB1165_135
.LBB1165_242:
	v_cmp_gt_u32_e32 vcc, s16, v0
	s_and_saveexec_b64 s[2:3], vcc
	s_cbranch_execz .LBB1165_251
; %bb.243:
	v_cmp_le_u32_e32 vcc, v6, v0
	s_and_saveexec_b64 s[4:5], vcc
	s_xor_b64 s[4:5], exec, s[4:5]
	s_cbranch_execz .LBB1165_249
; %bb.244:
	v_cmp_le_u32_e32 vcc, v14, v0
	s_and_saveexec_b64 s[6:7], vcc
	s_xor_b64 s[6:7], exec, s[6:7]
	s_cbranch_execz .LBB1165_246
; %bb.245:
	v_lshlrev_b32_e32 v15, 2, v0
	v_add_co_u32_e32 v16, vcc, v1, v0
	ds_read_b32 v15, v15
	v_addc_co_u32_e32 v17, vcc, 0, v8, vcc
	v_lshlrev_b64 v[16:17], 2, v[16:17]
	v_mov_b32_e32 v18, s35
	v_sub_co_u32_e32 v16, vcc, s34, v16
	v_subb_co_u32_e32 v17, vcc, v18, v17, vcc
	s_waitcnt lgkmcnt(0)
	global_store_dword v[16:17], v15, off offset:-4
.LBB1165_246:
	s_andn2_saveexec_b64 s[6:7], s[6:7]
	s_cbranch_execz .LBB1165_248
; %bb.247:
	v_lshlrev_b32_e32 v15, 2, v0
	ds_read_b32 v16, v15
	v_readfirstlane_b32 s10, v10
	v_readfirstlane_b32 s11, v11
	s_waitcnt lgkmcnt(0)
	s_nop 3
	global_store_dword v15, v16, s[10:11]
.LBB1165_248:
	s_or_b64 exec, exec, s[6:7]
.LBB1165_249:
	s_andn2_saveexec_b64 s[4:5], s[4:5]
	s_cbranch_execz .LBB1165_251
; %bb.250:
	v_lshlrev_b32_e32 v15, 2, v0
	ds_read_b32 v16, v15
	v_readfirstlane_b32 s4, v12
	v_readfirstlane_b32 s5, v13
	s_waitcnt lgkmcnt(0)
	s_nop 3
	global_store_dword v15, v16, s[4:5]
.LBB1165_251:
	s_or_b64 exec, exec, s[2:3]
	v_or_b32_e32 v15, 0x100, v0
	v_cmp_gt_u32_e32 vcc, s16, v15
	s_and_saveexec_b64 s[2:3], vcc
	s_cbranch_execz .LBB1165_260
; %bb.252:
	v_cmp_le_u32_e32 vcc, v6, v15
	s_and_saveexec_b64 s[4:5], vcc
	s_xor_b64 s[4:5], exec, s[4:5]
	s_cbranch_execz .LBB1165_258
; %bb.253:
	v_cmp_le_u32_e32 vcc, v14, v15
	s_and_saveexec_b64 s[6:7], vcc
	s_xor_b64 s[6:7], exec, s[6:7]
	s_cbranch_execz .LBB1165_255
; %bb.254:
	v_lshlrev_b32_e32 v15, 2, v0
	ds_read_b32 v15, v15 offset:1024
	v_add_co_u32_e32 v16, vcc, v1, v0
	v_addc_co_u32_e32 v17, vcc, 0, v8, vcc
	v_lshlrev_b64 v[16:17], 2, v[16:17]
	v_mov_b32_e32 v18, s9
	v_sub_co_u32_e32 v16, vcc, s8, v16
	v_subb_co_u32_e32 v17, vcc, v18, v17, vcc
	s_waitcnt lgkmcnt(0)
	global_store_dword v[16:17], v15, off offset:-1024
.LBB1165_255:
	s_andn2_saveexec_b64 s[6:7], s[6:7]
	s_cbranch_execz .LBB1165_257
; %bb.256:
	v_lshlrev_b32_e32 v15, 2, v0
	ds_read_b32 v16, v15 offset:1024
	v_readfirstlane_b32 s10, v10
	v_readfirstlane_b32 s11, v11
	s_waitcnt lgkmcnt(0)
	s_nop 3
	global_store_dword v15, v16, s[10:11] offset:1024
.LBB1165_257:
	s_or_b64 exec, exec, s[6:7]
.LBB1165_258:
	s_andn2_saveexec_b64 s[4:5], s[4:5]
	s_cbranch_execz .LBB1165_260
; %bb.259:
	v_lshlrev_b32_e32 v15, 2, v0
	ds_read_b32 v16, v15 offset:1024
	v_readfirstlane_b32 s4, v12
	v_readfirstlane_b32 s5, v13
	s_waitcnt lgkmcnt(0)
	s_nop 3
	global_store_dword v15, v16, s[4:5] offset:1024
.LBB1165_260:
	s_or_b64 exec, exec, s[2:3]
	v_or_b32_e32 v15, 0x200, v0
	v_cmp_gt_u32_e32 vcc, s16, v15
	s_and_saveexec_b64 s[2:3], vcc
	s_cbranch_execz .LBB1165_269
; %bb.261:
	v_cmp_le_u32_e32 vcc, v6, v15
	s_and_saveexec_b64 s[4:5], vcc
	s_xor_b64 s[4:5], exec, s[4:5]
	s_cbranch_execz .LBB1165_267
; %bb.262:
	v_cmp_le_u32_e32 vcc, v14, v15
	s_and_saveexec_b64 s[6:7], vcc
	s_xor_b64 s[6:7], exec, s[6:7]
	s_cbranch_execz .LBB1165_264
; %bb.263:
	v_lshlrev_b32_e32 v15, 2, v0
	ds_read_b32 v15, v15 offset:2048
	v_add_co_u32_e32 v16, vcc, v1, v0
	v_addc_co_u32_e32 v17, vcc, 0, v8, vcc
	v_lshlrev_b64 v[16:17], 2, v[16:17]
	v_mov_b32_e32 v18, s9
	v_sub_co_u32_e32 v16, vcc, s8, v16
	v_subb_co_u32_e32 v17, vcc, v18, v17, vcc
	s_waitcnt lgkmcnt(0)
	global_store_dword v[16:17], v15, off offset:-2048
.LBB1165_264:
	s_andn2_saveexec_b64 s[6:7], s[6:7]
	s_cbranch_execz .LBB1165_266
; %bb.265:
	v_lshlrev_b32_e32 v15, 2, v0
	ds_read_b32 v16, v15 offset:2048
	v_readfirstlane_b32 s10, v10
	v_readfirstlane_b32 s11, v11
	s_waitcnt lgkmcnt(0)
	s_nop 3
	global_store_dword v15, v16, s[10:11] offset:2048
.LBB1165_266:
	s_or_b64 exec, exec, s[6:7]
.LBB1165_267:
	s_andn2_saveexec_b64 s[4:5], s[4:5]
	s_cbranch_execz .LBB1165_269
; %bb.268:
	v_lshlrev_b32_e32 v15, 2, v0
	ds_read_b32 v16, v15 offset:2048
	v_readfirstlane_b32 s4, v12
	v_readfirstlane_b32 s5, v13
	s_waitcnt lgkmcnt(0)
	s_nop 3
	global_store_dword v15, v16, s[4:5] offset:2048
.LBB1165_269:
	;; [unrolled: 51-line block ×3, first 2 shown]
	s_or_b64 exec, exec, s[2:3]
	v_or_b32_e32 v15, 0x400, v0
	v_cmp_gt_u32_e32 vcc, s16, v15
	s_and_saveexec_b64 s[2:3], vcc
	s_cbranch_execz .LBB1165_287
; %bb.279:
	v_cmp_le_u32_e32 vcc, v6, v15
	s_and_saveexec_b64 s[4:5], vcc
	s_xor_b64 s[4:5], exec, s[4:5]
	s_cbranch_execz .LBB1165_285
; %bb.280:
	v_cmp_le_u32_e32 vcc, v14, v15
	s_and_saveexec_b64 s[6:7], vcc
	s_xor_b64 s[6:7], exec, s[6:7]
	s_cbranch_execz .LBB1165_282
; %bb.281:
	v_lshlrev_b32_e32 v15, 2, v0
	ds_read_b32 v15, v15 offset:4096
	v_add_co_u32_e32 v16, vcc, v1, v0
	v_addc_co_u32_e32 v17, vcc, 0, v8, vcc
	v_lshlrev_b64 v[16:17], 2, v[16:17]
	v_mov_b32_e32 v18, s9
	v_sub_co_u32_e32 v16, vcc, s8, v16
	v_subb_co_u32_e32 v17, vcc, v18, v17, vcc
	s_waitcnt lgkmcnt(0)
	global_store_dword v[16:17], v15, off offset:-4096
                                        ; implicit-def: $vgpr15
.LBB1165_282:
	s_andn2_saveexec_b64 s[6:7], s[6:7]
	s_cbranch_execz .LBB1165_284
; %bb.283:
	v_lshlrev_b32_e32 v16, 2, v0
	ds_read_b32 v16, v16 offset:4096
	v_lshlrev_b32_e32 v15, 2, v15
	v_readfirstlane_b32 s10, v10
	v_readfirstlane_b32 s11, v11
	s_waitcnt lgkmcnt(0)
	s_nop 3
	global_store_dword v15, v16, s[10:11]
.LBB1165_284:
	s_or_b64 exec, exec, s[6:7]
                                        ; implicit-def: $vgpr15
.LBB1165_285:
	s_andn2_saveexec_b64 s[4:5], s[4:5]
	s_cbranch_execz .LBB1165_287
; %bb.286:
	v_lshlrev_b32_e32 v16, 2, v0
	ds_read_b32 v16, v16 offset:4096
	v_lshlrev_b32_e32 v15, 2, v15
	v_readfirstlane_b32 s4, v12
	v_readfirstlane_b32 s5, v13
	s_waitcnt lgkmcnt(0)
	s_nop 3
	global_store_dword v15, v16, s[4:5]
.LBB1165_287:
	s_or_b64 exec, exec, s[2:3]
	v_or_b32_e32 v15, 0x500, v0
	v_cmp_gt_u32_e32 vcc, s16, v15
	s_and_saveexec_b64 s[2:3], vcc
	s_cbranch_execz .LBB1165_296
; %bb.288:
	v_cmp_le_u32_e32 vcc, v6, v15
	s_and_saveexec_b64 s[4:5], vcc
	s_xor_b64 s[4:5], exec, s[4:5]
	s_cbranch_execz .LBB1165_294
; %bb.289:
	v_cmp_le_u32_e32 vcc, v14, v15
	s_and_saveexec_b64 s[6:7], vcc
	s_xor_b64 s[6:7], exec, s[6:7]
	s_cbranch_execz .LBB1165_291
; %bb.290:
	v_add_co_u32_e32 v16, vcc, v1, v15
	v_lshlrev_b32_e32 v15, 2, v0
	ds_read_b32 v15, v15 offset:5120
	v_addc_co_u32_e32 v17, vcc, 0, v8, vcc
	v_lshlrev_b64 v[16:17], 2, v[16:17]
	v_mov_b32_e32 v18, s9
	v_sub_co_u32_e32 v16, vcc, s8, v16
	v_subb_co_u32_e32 v17, vcc, v18, v17, vcc
	s_waitcnt lgkmcnt(0)
	global_store_dword v[16:17], v15, off
                                        ; implicit-def: $vgpr15
.LBB1165_291:
	s_andn2_saveexec_b64 s[6:7], s[6:7]
	s_cbranch_execz .LBB1165_293
; %bb.292:
	v_lshlrev_b32_e32 v16, 2, v0
	ds_read_b32 v16, v16 offset:5120
	v_lshlrev_b32_e32 v15, 2, v15
	v_readfirstlane_b32 s10, v10
	v_readfirstlane_b32 s11, v11
	s_waitcnt lgkmcnt(0)
	s_nop 3
	global_store_dword v15, v16, s[10:11]
.LBB1165_293:
	s_or_b64 exec, exec, s[6:7]
                                        ; implicit-def: $vgpr15
.LBB1165_294:
	s_andn2_saveexec_b64 s[4:5], s[4:5]
	s_cbranch_execz .LBB1165_296
; %bb.295:
	v_lshlrev_b32_e32 v16, 2, v0
	ds_read_b32 v16, v16 offset:5120
	v_lshlrev_b32_e32 v15, 2, v15
	v_readfirstlane_b32 s4, v12
	v_readfirstlane_b32 s5, v13
	s_waitcnt lgkmcnt(0)
	s_nop 3
	global_store_dword v15, v16, s[4:5]
.LBB1165_296:
	s_or_b64 exec, exec, s[2:3]
	v_or_b32_e32 v15, 0x600, v0
	v_cmp_gt_u32_e32 vcc, s16, v15
	s_and_saveexec_b64 s[2:3], vcc
	s_cbranch_execz .LBB1165_305
; %bb.297:
	v_cmp_le_u32_e32 vcc, v6, v15
	s_and_saveexec_b64 s[4:5], vcc
	s_xor_b64 s[4:5], exec, s[4:5]
	s_cbranch_execz .LBB1165_303
; %bb.298:
	v_cmp_le_u32_e32 vcc, v14, v15
	s_and_saveexec_b64 s[6:7], vcc
	s_xor_b64 s[6:7], exec, s[6:7]
	s_cbranch_execz .LBB1165_300
; %bb.299:
	v_add_co_u32_e32 v16, vcc, v1, v15
	v_lshlrev_b32_e32 v15, 2, v0
	ds_read_b32 v15, v15 offset:6144
	v_addc_co_u32_e32 v17, vcc, 0, v8, vcc
	v_lshlrev_b64 v[16:17], 2, v[16:17]
	v_mov_b32_e32 v18, s9
	v_sub_co_u32_e32 v16, vcc, s8, v16
	v_subb_co_u32_e32 v17, vcc, v18, v17, vcc
	s_waitcnt lgkmcnt(0)
	global_store_dword v[16:17], v15, off
                                        ; implicit-def: $vgpr15
.LBB1165_300:
	s_andn2_saveexec_b64 s[6:7], s[6:7]
	s_cbranch_execz .LBB1165_302
; %bb.301:
	v_lshlrev_b32_e32 v16, 2, v0
	ds_read_b32 v16, v16 offset:6144
	v_lshlrev_b32_e32 v15, 2, v15
	v_readfirstlane_b32 s10, v10
	v_readfirstlane_b32 s11, v11
	s_waitcnt lgkmcnt(0)
	s_nop 3
	global_store_dword v15, v16, s[10:11]
.LBB1165_302:
	s_or_b64 exec, exec, s[6:7]
                                        ; implicit-def: $vgpr15
.LBB1165_303:
	s_andn2_saveexec_b64 s[4:5], s[4:5]
	s_cbranch_execz .LBB1165_305
; %bb.304:
	v_lshlrev_b32_e32 v16, 2, v0
	ds_read_b32 v16, v16 offset:6144
	v_lshlrev_b32_e32 v15, 2, v15
	v_readfirstlane_b32 s4, v12
	v_readfirstlane_b32 s5, v13
	s_waitcnt lgkmcnt(0)
	s_nop 3
	global_store_dword v15, v16, s[4:5]
.LBB1165_305:
	;; [unrolled: 55-line block ×7, first 2 shown]
	s_or_b64 exec, exec, s[2:3]
	v_or_b32_e32 v15, 0xc00, v0
	v_cmp_gt_u32_e32 vcc, s16, v15
	s_and_saveexec_b64 s[2:3], vcc
	s_cbranch_execz .LBB1165_359
; %bb.351:
	v_cmp_le_u32_e32 vcc, v6, v15
	s_and_saveexec_b64 s[4:5], vcc
	s_xor_b64 s[4:5], exec, s[4:5]
	s_cbranch_execz .LBB1165_357
; %bb.352:
	v_cmp_le_u32_e32 vcc, v14, v15
	s_and_saveexec_b64 s[6:7], vcc
	s_xor_b64 s[6:7], exec, s[6:7]
	s_cbranch_execz .LBB1165_354
; %bb.353:
	v_add_co_u32_e32 v10, vcc, v1, v15
	v_lshlrev_b32_e32 v0, 2, v0
	v_addc_co_u32_e32 v11, vcc, 0, v8, vcc
	ds_read_b32 v8, v0 offset:12288
	v_lshlrev_b64 v[0:1], 2, v[10:11]
	v_mov_b32_e32 v10, s9
	v_sub_co_u32_e32 v0, vcc, s8, v0
	v_subb_co_u32_e32 v1, vcc, v10, v1, vcc
	s_waitcnt lgkmcnt(0)
	global_store_dword v[0:1], v8, off
                                        ; implicit-def: $vgpr0
                                        ; implicit-def: $vgpr15
                                        ; implicit-def: $vgpr10_vgpr11
.LBB1165_354:
	s_andn2_saveexec_b64 s[6:7], s[6:7]
	s_cbranch_execz .LBB1165_356
; %bb.355:
	v_lshlrev_b32_e32 v0, 2, v0
	ds_read_b32 v0, v0 offset:12288
	v_lshlrev_b32_e32 v1, 2, v15
	v_readfirstlane_b32 s8, v10
	v_readfirstlane_b32 s9, v11
	s_waitcnt lgkmcnt(0)
	s_nop 3
	global_store_dword v1, v0, s[8:9]
.LBB1165_356:
	s_or_b64 exec, exec, s[6:7]
                                        ; implicit-def: $vgpr0
                                        ; implicit-def: $vgpr15
                                        ; implicit-def: $vgpr12_vgpr13
.LBB1165_357:
	s_andn2_saveexec_b64 s[4:5], s[4:5]
	s_cbranch_execz .LBB1165_359
; %bb.358:
	v_lshlrev_b32_e32 v0, 2, v0
	ds_read_b32 v0, v0 offset:12288
	v_lshlrev_b32_e32 v1, 2, v15
	v_readfirstlane_b32 s4, v12
	v_readfirstlane_b32 s5, v13
	s_waitcnt lgkmcnt(0)
	s_nop 3
	global_store_dword v1, v0, s[4:5]
.LBB1165_359:
	s_or_b64 exec, exec, s[2:3]
	s_and_b64 s[0:1], s[0:1], s[30:31]
	s_and_saveexec_b64 s[2:3], s[0:1]
	s_cbranch_execz .LBB1165_136
.LBB1165_360:
	v_add_co_u32_e32 v0, vcc, v2, v6
	v_addc_co_u32_e32 v1, vcc, 0, v3, vcc
	v_add_co_u32_e32 v2, vcc, v4, v7
	v_addc_co_u32_e32 v3, vcc, 0, v5, vcc
	v_add_co_u32_e32 v2, vcc, v2, v9
	v_mov_b32_e32 v8, 0
	v_addc_co_u32_e32 v3, vcc, 0, v3, vcc
	global_store_dwordx4 v8, v[0:3], s[28:29]
	s_endpgm
	.section	.rodata,"a",@progbits
	.p2align	6, 0x0
	.amdhsa_kernel _ZN7rocprim17ROCPRIM_400000_NS6detail17trampoline_kernelINS0_13select_configILj256ELj13ELNS0_17block_load_methodE3ELS4_3ELS4_3ELNS0_20block_scan_algorithmE0ELj4294967295EEENS1_25partition_config_selectorILNS1_17partition_subalgoE4EjNS0_10empty_typeEbEEZZNS1_14partition_implILS8_4ELb0ES6_15HIP_vector_typeIjLj2EENS0_17counting_iteratorIjlEEPS9_SG_NS0_5tupleIJPjSI_NS0_16reverse_iteratorISI_EEEEENSH_IJSG_SG_SG_EEES9_SI_JZNS1_25segmented_radix_sort_implINS0_14default_configELb0EPKdPdPKlPlN2at6native12_GLOBAL__N_18offset_tEEE10hipError_tPvRmT1_PNSt15iterator_traitsIS12_E10value_typeET2_T3_PNS13_IS18_E10value_typeET4_jRbjT5_S1E_jjP12ihipStream_tbEUljE_ZNSN_ISO_Lb0ESQ_SR_ST_SU_SY_EESZ_S10_S11_S12_S16_S17_S18_S1B_S1C_jS1D_jS1E_S1E_jjS1G_bEUljE0_EEESZ_S10_S11_S18_S1C_S1E_T6_T7_T9_mT8_S1G_bDpT10_ENKUlT_T0_E_clISt17integral_constantIbLb1EES1U_EEDaS1P_S1Q_EUlS1P_E_NS1_11comp_targetILNS1_3genE4ELNS1_11target_archE910ELNS1_3gpuE8ELNS1_3repE0EEENS1_30default_config_static_selectorELNS0_4arch9wavefront6targetE1EEEvS12_
		.amdhsa_group_segment_fixed_size 13340
		.amdhsa_private_segment_fixed_size 0
		.amdhsa_kernarg_size 184
		.amdhsa_user_sgpr_count 6
		.amdhsa_user_sgpr_private_segment_buffer 1
		.amdhsa_user_sgpr_dispatch_ptr 0
		.amdhsa_user_sgpr_queue_ptr 0
		.amdhsa_user_sgpr_kernarg_segment_ptr 1
		.amdhsa_user_sgpr_dispatch_id 0
		.amdhsa_user_sgpr_flat_scratch_init 0
		.amdhsa_user_sgpr_kernarg_preload_length 0
		.amdhsa_user_sgpr_kernarg_preload_offset 0
		.amdhsa_user_sgpr_private_segment_size 0
		.amdhsa_uses_dynamic_stack 0
		.amdhsa_system_sgpr_private_segment_wavefront_offset 0
		.amdhsa_system_sgpr_workgroup_id_x 1
		.amdhsa_system_sgpr_workgroup_id_y 0
		.amdhsa_system_sgpr_workgroup_id_z 0
		.amdhsa_system_sgpr_workgroup_info 0
		.amdhsa_system_vgpr_workitem_id 0
		.amdhsa_next_free_vgpr 107
		.amdhsa_next_free_sgpr 87
		.amdhsa_accum_offset 108
		.amdhsa_reserve_vcc 1
		.amdhsa_reserve_flat_scratch 0
		.amdhsa_float_round_mode_32 0
		.amdhsa_float_round_mode_16_64 0
		.amdhsa_float_denorm_mode_32 3
		.amdhsa_float_denorm_mode_16_64 3
		.amdhsa_dx10_clamp 1
		.amdhsa_ieee_mode 1
		.amdhsa_fp16_overflow 0
		.amdhsa_tg_split 0
		.amdhsa_exception_fp_ieee_invalid_op 0
		.amdhsa_exception_fp_denorm_src 0
		.amdhsa_exception_fp_ieee_div_zero 0
		.amdhsa_exception_fp_ieee_overflow 0
		.amdhsa_exception_fp_ieee_underflow 0
		.amdhsa_exception_fp_ieee_inexact 0
		.amdhsa_exception_int_div_zero 0
	.end_amdhsa_kernel
	.section	.text._ZN7rocprim17ROCPRIM_400000_NS6detail17trampoline_kernelINS0_13select_configILj256ELj13ELNS0_17block_load_methodE3ELS4_3ELS4_3ELNS0_20block_scan_algorithmE0ELj4294967295EEENS1_25partition_config_selectorILNS1_17partition_subalgoE4EjNS0_10empty_typeEbEEZZNS1_14partition_implILS8_4ELb0ES6_15HIP_vector_typeIjLj2EENS0_17counting_iteratorIjlEEPS9_SG_NS0_5tupleIJPjSI_NS0_16reverse_iteratorISI_EEEEENSH_IJSG_SG_SG_EEES9_SI_JZNS1_25segmented_radix_sort_implINS0_14default_configELb0EPKdPdPKlPlN2at6native12_GLOBAL__N_18offset_tEEE10hipError_tPvRmT1_PNSt15iterator_traitsIS12_E10value_typeET2_T3_PNS13_IS18_E10value_typeET4_jRbjT5_S1E_jjP12ihipStream_tbEUljE_ZNSN_ISO_Lb0ESQ_SR_ST_SU_SY_EESZ_S10_S11_S12_S16_S17_S18_S1B_S1C_jS1D_jS1E_S1E_jjS1G_bEUljE0_EEESZ_S10_S11_S18_S1C_S1E_T6_T7_T9_mT8_S1G_bDpT10_ENKUlT_T0_E_clISt17integral_constantIbLb1EES1U_EEDaS1P_S1Q_EUlS1P_E_NS1_11comp_targetILNS1_3genE4ELNS1_11target_archE910ELNS1_3gpuE8ELNS1_3repE0EEENS1_30default_config_static_selectorELNS0_4arch9wavefront6targetE1EEEvS12_,"axG",@progbits,_ZN7rocprim17ROCPRIM_400000_NS6detail17trampoline_kernelINS0_13select_configILj256ELj13ELNS0_17block_load_methodE3ELS4_3ELS4_3ELNS0_20block_scan_algorithmE0ELj4294967295EEENS1_25partition_config_selectorILNS1_17partition_subalgoE4EjNS0_10empty_typeEbEEZZNS1_14partition_implILS8_4ELb0ES6_15HIP_vector_typeIjLj2EENS0_17counting_iteratorIjlEEPS9_SG_NS0_5tupleIJPjSI_NS0_16reverse_iteratorISI_EEEEENSH_IJSG_SG_SG_EEES9_SI_JZNS1_25segmented_radix_sort_implINS0_14default_configELb0EPKdPdPKlPlN2at6native12_GLOBAL__N_18offset_tEEE10hipError_tPvRmT1_PNSt15iterator_traitsIS12_E10value_typeET2_T3_PNS13_IS18_E10value_typeET4_jRbjT5_S1E_jjP12ihipStream_tbEUljE_ZNSN_ISO_Lb0ESQ_SR_ST_SU_SY_EESZ_S10_S11_S12_S16_S17_S18_S1B_S1C_jS1D_jS1E_S1E_jjS1G_bEUljE0_EEESZ_S10_S11_S18_S1C_S1E_T6_T7_T9_mT8_S1G_bDpT10_ENKUlT_T0_E_clISt17integral_constantIbLb1EES1U_EEDaS1P_S1Q_EUlS1P_E_NS1_11comp_targetILNS1_3genE4ELNS1_11target_archE910ELNS1_3gpuE8ELNS1_3repE0EEENS1_30default_config_static_selectorELNS0_4arch9wavefront6targetE1EEEvS12_,comdat
.Lfunc_end1165:
	.size	_ZN7rocprim17ROCPRIM_400000_NS6detail17trampoline_kernelINS0_13select_configILj256ELj13ELNS0_17block_load_methodE3ELS4_3ELS4_3ELNS0_20block_scan_algorithmE0ELj4294967295EEENS1_25partition_config_selectorILNS1_17partition_subalgoE4EjNS0_10empty_typeEbEEZZNS1_14partition_implILS8_4ELb0ES6_15HIP_vector_typeIjLj2EENS0_17counting_iteratorIjlEEPS9_SG_NS0_5tupleIJPjSI_NS0_16reverse_iteratorISI_EEEEENSH_IJSG_SG_SG_EEES9_SI_JZNS1_25segmented_radix_sort_implINS0_14default_configELb0EPKdPdPKlPlN2at6native12_GLOBAL__N_18offset_tEEE10hipError_tPvRmT1_PNSt15iterator_traitsIS12_E10value_typeET2_T3_PNS13_IS18_E10value_typeET4_jRbjT5_S1E_jjP12ihipStream_tbEUljE_ZNSN_ISO_Lb0ESQ_SR_ST_SU_SY_EESZ_S10_S11_S12_S16_S17_S18_S1B_S1C_jS1D_jS1E_S1E_jjS1G_bEUljE0_EEESZ_S10_S11_S18_S1C_S1E_T6_T7_T9_mT8_S1G_bDpT10_ENKUlT_T0_E_clISt17integral_constantIbLb1EES1U_EEDaS1P_S1Q_EUlS1P_E_NS1_11comp_targetILNS1_3genE4ELNS1_11target_archE910ELNS1_3gpuE8ELNS1_3repE0EEENS1_30default_config_static_selectorELNS0_4arch9wavefront6targetE1EEEvS12_, .Lfunc_end1165-_ZN7rocprim17ROCPRIM_400000_NS6detail17trampoline_kernelINS0_13select_configILj256ELj13ELNS0_17block_load_methodE3ELS4_3ELS4_3ELNS0_20block_scan_algorithmE0ELj4294967295EEENS1_25partition_config_selectorILNS1_17partition_subalgoE4EjNS0_10empty_typeEbEEZZNS1_14partition_implILS8_4ELb0ES6_15HIP_vector_typeIjLj2EENS0_17counting_iteratorIjlEEPS9_SG_NS0_5tupleIJPjSI_NS0_16reverse_iteratorISI_EEEEENSH_IJSG_SG_SG_EEES9_SI_JZNS1_25segmented_radix_sort_implINS0_14default_configELb0EPKdPdPKlPlN2at6native12_GLOBAL__N_18offset_tEEE10hipError_tPvRmT1_PNSt15iterator_traitsIS12_E10value_typeET2_T3_PNS13_IS18_E10value_typeET4_jRbjT5_S1E_jjP12ihipStream_tbEUljE_ZNSN_ISO_Lb0ESQ_SR_ST_SU_SY_EESZ_S10_S11_S12_S16_S17_S18_S1B_S1C_jS1D_jS1E_S1E_jjS1G_bEUljE0_EEESZ_S10_S11_S18_S1C_S1E_T6_T7_T9_mT8_S1G_bDpT10_ENKUlT_T0_E_clISt17integral_constantIbLb1EES1U_EEDaS1P_S1Q_EUlS1P_E_NS1_11comp_targetILNS1_3genE4ELNS1_11target_archE910ELNS1_3gpuE8ELNS1_3repE0EEENS1_30default_config_static_selectorELNS0_4arch9wavefront6targetE1EEEvS12_
                                        ; -- End function
	.section	.AMDGPU.csdata,"",@progbits
; Kernel info:
; codeLenInByte = 13512
; NumSgprs: 91
; NumVgprs: 107
; NumAgprs: 0
; TotalNumVgprs: 107
; ScratchSize: 0
; MemoryBound: 0
; FloatMode: 240
; IeeeMode: 1
; LDSByteSize: 13340 bytes/workgroup (compile time only)
; SGPRBlocks: 11
; VGPRBlocks: 13
; NumSGPRsForWavesPerEU: 91
; NumVGPRsForWavesPerEU: 107
; AccumOffset: 108
; Occupancy: 4
; WaveLimiterHint : 1
; COMPUTE_PGM_RSRC2:SCRATCH_EN: 0
; COMPUTE_PGM_RSRC2:USER_SGPR: 6
; COMPUTE_PGM_RSRC2:TRAP_HANDLER: 0
; COMPUTE_PGM_RSRC2:TGID_X_EN: 1
; COMPUTE_PGM_RSRC2:TGID_Y_EN: 0
; COMPUTE_PGM_RSRC2:TGID_Z_EN: 0
; COMPUTE_PGM_RSRC2:TIDIG_COMP_CNT: 0
; COMPUTE_PGM_RSRC3_GFX90A:ACCUM_OFFSET: 26
; COMPUTE_PGM_RSRC3_GFX90A:TG_SPLIT: 0
	.section	.text._ZN7rocprim17ROCPRIM_400000_NS6detail17trampoline_kernelINS0_13select_configILj256ELj13ELNS0_17block_load_methodE3ELS4_3ELS4_3ELNS0_20block_scan_algorithmE0ELj4294967295EEENS1_25partition_config_selectorILNS1_17partition_subalgoE4EjNS0_10empty_typeEbEEZZNS1_14partition_implILS8_4ELb0ES6_15HIP_vector_typeIjLj2EENS0_17counting_iteratorIjlEEPS9_SG_NS0_5tupleIJPjSI_NS0_16reverse_iteratorISI_EEEEENSH_IJSG_SG_SG_EEES9_SI_JZNS1_25segmented_radix_sort_implINS0_14default_configELb0EPKdPdPKlPlN2at6native12_GLOBAL__N_18offset_tEEE10hipError_tPvRmT1_PNSt15iterator_traitsIS12_E10value_typeET2_T3_PNS13_IS18_E10value_typeET4_jRbjT5_S1E_jjP12ihipStream_tbEUljE_ZNSN_ISO_Lb0ESQ_SR_ST_SU_SY_EESZ_S10_S11_S12_S16_S17_S18_S1B_S1C_jS1D_jS1E_S1E_jjS1G_bEUljE0_EEESZ_S10_S11_S18_S1C_S1E_T6_T7_T9_mT8_S1G_bDpT10_ENKUlT_T0_E_clISt17integral_constantIbLb1EES1U_EEDaS1P_S1Q_EUlS1P_E_NS1_11comp_targetILNS1_3genE3ELNS1_11target_archE908ELNS1_3gpuE7ELNS1_3repE0EEENS1_30default_config_static_selectorELNS0_4arch9wavefront6targetE1EEEvS12_,"axG",@progbits,_ZN7rocprim17ROCPRIM_400000_NS6detail17trampoline_kernelINS0_13select_configILj256ELj13ELNS0_17block_load_methodE3ELS4_3ELS4_3ELNS0_20block_scan_algorithmE0ELj4294967295EEENS1_25partition_config_selectorILNS1_17partition_subalgoE4EjNS0_10empty_typeEbEEZZNS1_14partition_implILS8_4ELb0ES6_15HIP_vector_typeIjLj2EENS0_17counting_iteratorIjlEEPS9_SG_NS0_5tupleIJPjSI_NS0_16reverse_iteratorISI_EEEEENSH_IJSG_SG_SG_EEES9_SI_JZNS1_25segmented_radix_sort_implINS0_14default_configELb0EPKdPdPKlPlN2at6native12_GLOBAL__N_18offset_tEEE10hipError_tPvRmT1_PNSt15iterator_traitsIS12_E10value_typeET2_T3_PNS13_IS18_E10value_typeET4_jRbjT5_S1E_jjP12ihipStream_tbEUljE_ZNSN_ISO_Lb0ESQ_SR_ST_SU_SY_EESZ_S10_S11_S12_S16_S17_S18_S1B_S1C_jS1D_jS1E_S1E_jjS1G_bEUljE0_EEESZ_S10_S11_S18_S1C_S1E_T6_T7_T9_mT8_S1G_bDpT10_ENKUlT_T0_E_clISt17integral_constantIbLb1EES1U_EEDaS1P_S1Q_EUlS1P_E_NS1_11comp_targetILNS1_3genE3ELNS1_11target_archE908ELNS1_3gpuE7ELNS1_3repE0EEENS1_30default_config_static_selectorELNS0_4arch9wavefront6targetE1EEEvS12_,comdat
	.globl	_ZN7rocprim17ROCPRIM_400000_NS6detail17trampoline_kernelINS0_13select_configILj256ELj13ELNS0_17block_load_methodE3ELS4_3ELS4_3ELNS0_20block_scan_algorithmE0ELj4294967295EEENS1_25partition_config_selectorILNS1_17partition_subalgoE4EjNS0_10empty_typeEbEEZZNS1_14partition_implILS8_4ELb0ES6_15HIP_vector_typeIjLj2EENS0_17counting_iteratorIjlEEPS9_SG_NS0_5tupleIJPjSI_NS0_16reverse_iteratorISI_EEEEENSH_IJSG_SG_SG_EEES9_SI_JZNS1_25segmented_radix_sort_implINS0_14default_configELb0EPKdPdPKlPlN2at6native12_GLOBAL__N_18offset_tEEE10hipError_tPvRmT1_PNSt15iterator_traitsIS12_E10value_typeET2_T3_PNS13_IS18_E10value_typeET4_jRbjT5_S1E_jjP12ihipStream_tbEUljE_ZNSN_ISO_Lb0ESQ_SR_ST_SU_SY_EESZ_S10_S11_S12_S16_S17_S18_S1B_S1C_jS1D_jS1E_S1E_jjS1G_bEUljE0_EEESZ_S10_S11_S18_S1C_S1E_T6_T7_T9_mT8_S1G_bDpT10_ENKUlT_T0_E_clISt17integral_constantIbLb1EES1U_EEDaS1P_S1Q_EUlS1P_E_NS1_11comp_targetILNS1_3genE3ELNS1_11target_archE908ELNS1_3gpuE7ELNS1_3repE0EEENS1_30default_config_static_selectorELNS0_4arch9wavefront6targetE1EEEvS12_ ; -- Begin function _ZN7rocprim17ROCPRIM_400000_NS6detail17trampoline_kernelINS0_13select_configILj256ELj13ELNS0_17block_load_methodE3ELS4_3ELS4_3ELNS0_20block_scan_algorithmE0ELj4294967295EEENS1_25partition_config_selectorILNS1_17partition_subalgoE4EjNS0_10empty_typeEbEEZZNS1_14partition_implILS8_4ELb0ES6_15HIP_vector_typeIjLj2EENS0_17counting_iteratorIjlEEPS9_SG_NS0_5tupleIJPjSI_NS0_16reverse_iteratorISI_EEEEENSH_IJSG_SG_SG_EEES9_SI_JZNS1_25segmented_radix_sort_implINS0_14default_configELb0EPKdPdPKlPlN2at6native12_GLOBAL__N_18offset_tEEE10hipError_tPvRmT1_PNSt15iterator_traitsIS12_E10value_typeET2_T3_PNS13_IS18_E10value_typeET4_jRbjT5_S1E_jjP12ihipStream_tbEUljE_ZNSN_ISO_Lb0ESQ_SR_ST_SU_SY_EESZ_S10_S11_S12_S16_S17_S18_S1B_S1C_jS1D_jS1E_S1E_jjS1G_bEUljE0_EEESZ_S10_S11_S18_S1C_S1E_T6_T7_T9_mT8_S1G_bDpT10_ENKUlT_T0_E_clISt17integral_constantIbLb1EES1U_EEDaS1P_S1Q_EUlS1P_E_NS1_11comp_targetILNS1_3genE3ELNS1_11target_archE908ELNS1_3gpuE7ELNS1_3repE0EEENS1_30default_config_static_selectorELNS0_4arch9wavefront6targetE1EEEvS12_
	.p2align	8
	.type	_ZN7rocprim17ROCPRIM_400000_NS6detail17trampoline_kernelINS0_13select_configILj256ELj13ELNS0_17block_load_methodE3ELS4_3ELS4_3ELNS0_20block_scan_algorithmE0ELj4294967295EEENS1_25partition_config_selectorILNS1_17partition_subalgoE4EjNS0_10empty_typeEbEEZZNS1_14partition_implILS8_4ELb0ES6_15HIP_vector_typeIjLj2EENS0_17counting_iteratorIjlEEPS9_SG_NS0_5tupleIJPjSI_NS0_16reverse_iteratorISI_EEEEENSH_IJSG_SG_SG_EEES9_SI_JZNS1_25segmented_radix_sort_implINS0_14default_configELb0EPKdPdPKlPlN2at6native12_GLOBAL__N_18offset_tEEE10hipError_tPvRmT1_PNSt15iterator_traitsIS12_E10value_typeET2_T3_PNS13_IS18_E10value_typeET4_jRbjT5_S1E_jjP12ihipStream_tbEUljE_ZNSN_ISO_Lb0ESQ_SR_ST_SU_SY_EESZ_S10_S11_S12_S16_S17_S18_S1B_S1C_jS1D_jS1E_S1E_jjS1G_bEUljE0_EEESZ_S10_S11_S18_S1C_S1E_T6_T7_T9_mT8_S1G_bDpT10_ENKUlT_T0_E_clISt17integral_constantIbLb1EES1U_EEDaS1P_S1Q_EUlS1P_E_NS1_11comp_targetILNS1_3genE3ELNS1_11target_archE908ELNS1_3gpuE7ELNS1_3repE0EEENS1_30default_config_static_selectorELNS0_4arch9wavefront6targetE1EEEvS12_,@function
_ZN7rocprim17ROCPRIM_400000_NS6detail17trampoline_kernelINS0_13select_configILj256ELj13ELNS0_17block_load_methodE3ELS4_3ELS4_3ELNS0_20block_scan_algorithmE0ELj4294967295EEENS1_25partition_config_selectorILNS1_17partition_subalgoE4EjNS0_10empty_typeEbEEZZNS1_14partition_implILS8_4ELb0ES6_15HIP_vector_typeIjLj2EENS0_17counting_iteratorIjlEEPS9_SG_NS0_5tupleIJPjSI_NS0_16reverse_iteratorISI_EEEEENSH_IJSG_SG_SG_EEES9_SI_JZNS1_25segmented_radix_sort_implINS0_14default_configELb0EPKdPdPKlPlN2at6native12_GLOBAL__N_18offset_tEEE10hipError_tPvRmT1_PNSt15iterator_traitsIS12_E10value_typeET2_T3_PNS13_IS18_E10value_typeET4_jRbjT5_S1E_jjP12ihipStream_tbEUljE_ZNSN_ISO_Lb0ESQ_SR_ST_SU_SY_EESZ_S10_S11_S12_S16_S17_S18_S1B_S1C_jS1D_jS1E_S1E_jjS1G_bEUljE0_EEESZ_S10_S11_S18_S1C_S1E_T6_T7_T9_mT8_S1G_bDpT10_ENKUlT_T0_E_clISt17integral_constantIbLb1EES1U_EEDaS1P_S1Q_EUlS1P_E_NS1_11comp_targetILNS1_3genE3ELNS1_11target_archE908ELNS1_3gpuE7ELNS1_3repE0EEENS1_30default_config_static_selectorELNS0_4arch9wavefront6targetE1EEEvS12_: ; @_ZN7rocprim17ROCPRIM_400000_NS6detail17trampoline_kernelINS0_13select_configILj256ELj13ELNS0_17block_load_methodE3ELS4_3ELS4_3ELNS0_20block_scan_algorithmE0ELj4294967295EEENS1_25partition_config_selectorILNS1_17partition_subalgoE4EjNS0_10empty_typeEbEEZZNS1_14partition_implILS8_4ELb0ES6_15HIP_vector_typeIjLj2EENS0_17counting_iteratorIjlEEPS9_SG_NS0_5tupleIJPjSI_NS0_16reverse_iteratorISI_EEEEENSH_IJSG_SG_SG_EEES9_SI_JZNS1_25segmented_radix_sort_implINS0_14default_configELb0EPKdPdPKlPlN2at6native12_GLOBAL__N_18offset_tEEE10hipError_tPvRmT1_PNSt15iterator_traitsIS12_E10value_typeET2_T3_PNS13_IS18_E10value_typeET4_jRbjT5_S1E_jjP12ihipStream_tbEUljE_ZNSN_ISO_Lb0ESQ_SR_ST_SU_SY_EESZ_S10_S11_S12_S16_S17_S18_S1B_S1C_jS1D_jS1E_S1E_jjS1G_bEUljE0_EEESZ_S10_S11_S18_S1C_S1E_T6_T7_T9_mT8_S1G_bDpT10_ENKUlT_T0_E_clISt17integral_constantIbLb1EES1U_EEDaS1P_S1Q_EUlS1P_E_NS1_11comp_targetILNS1_3genE3ELNS1_11target_archE908ELNS1_3gpuE7ELNS1_3repE0EEENS1_30default_config_static_selectorELNS0_4arch9wavefront6targetE1EEEvS12_
; %bb.0:
	.section	.rodata,"a",@progbits
	.p2align	6, 0x0
	.amdhsa_kernel _ZN7rocprim17ROCPRIM_400000_NS6detail17trampoline_kernelINS0_13select_configILj256ELj13ELNS0_17block_load_methodE3ELS4_3ELS4_3ELNS0_20block_scan_algorithmE0ELj4294967295EEENS1_25partition_config_selectorILNS1_17partition_subalgoE4EjNS0_10empty_typeEbEEZZNS1_14partition_implILS8_4ELb0ES6_15HIP_vector_typeIjLj2EENS0_17counting_iteratorIjlEEPS9_SG_NS0_5tupleIJPjSI_NS0_16reverse_iteratorISI_EEEEENSH_IJSG_SG_SG_EEES9_SI_JZNS1_25segmented_radix_sort_implINS0_14default_configELb0EPKdPdPKlPlN2at6native12_GLOBAL__N_18offset_tEEE10hipError_tPvRmT1_PNSt15iterator_traitsIS12_E10value_typeET2_T3_PNS13_IS18_E10value_typeET4_jRbjT5_S1E_jjP12ihipStream_tbEUljE_ZNSN_ISO_Lb0ESQ_SR_ST_SU_SY_EESZ_S10_S11_S12_S16_S17_S18_S1B_S1C_jS1D_jS1E_S1E_jjS1G_bEUljE0_EEESZ_S10_S11_S18_S1C_S1E_T6_T7_T9_mT8_S1G_bDpT10_ENKUlT_T0_E_clISt17integral_constantIbLb1EES1U_EEDaS1P_S1Q_EUlS1P_E_NS1_11comp_targetILNS1_3genE3ELNS1_11target_archE908ELNS1_3gpuE7ELNS1_3repE0EEENS1_30default_config_static_selectorELNS0_4arch9wavefront6targetE1EEEvS12_
		.amdhsa_group_segment_fixed_size 0
		.amdhsa_private_segment_fixed_size 0
		.amdhsa_kernarg_size 184
		.amdhsa_user_sgpr_count 6
		.amdhsa_user_sgpr_private_segment_buffer 1
		.amdhsa_user_sgpr_dispatch_ptr 0
		.amdhsa_user_sgpr_queue_ptr 0
		.amdhsa_user_sgpr_kernarg_segment_ptr 1
		.amdhsa_user_sgpr_dispatch_id 0
		.amdhsa_user_sgpr_flat_scratch_init 0
		.amdhsa_user_sgpr_kernarg_preload_length 0
		.amdhsa_user_sgpr_kernarg_preload_offset 0
		.amdhsa_user_sgpr_private_segment_size 0
		.amdhsa_uses_dynamic_stack 0
		.amdhsa_system_sgpr_private_segment_wavefront_offset 0
		.amdhsa_system_sgpr_workgroup_id_x 1
		.amdhsa_system_sgpr_workgroup_id_y 0
		.amdhsa_system_sgpr_workgroup_id_z 0
		.amdhsa_system_sgpr_workgroup_info 0
		.amdhsa_system_vgpr_workitem_id 0
		.amdhsa_next_free_vgpr 1
		.amdhsa_next_free_sgpr 0
		.amdhsa_accum_offset 4
		.amdhsa_reserve_vcc 0
		.amdhsa_reserve_flat_scratch 0
		.amdhsa_float_round_mode_32 0
		.amdhsa_float_round_mode_16_64 0
		.amdhsa_float_denorm_mode_32 3
		.amdhsa_float_denorm_mode_16_64 3
		.amdhsa_dx10_clamp 1
		.amdhsa_ieee_mode 1
		.amdhsa_fp16_overflow 0
		.amdhsa_tg_split 0
		.amdhsa_exception_fp_ieee_invalid_op 0
		.amdhsa_exception_fp_denorm_src 0
		.amdhsa_exception_fp_ieee_div_zero 0
		.amdhsa_exception_fp_ieee_overflow 0
		.amdhsa_exception_fp_ieee_underflow 0
		.amdhsa_exception_fp_ieee_inexact 0
		.amdhsa_exception_int_div_zero 0
	.end_amdhsa_kernel
	.section	.text._ZN7rocprim17ROCPRIM_400000_NS6detail17trampoline_kernelINS0_13select_configILj256ELj13ELNS0_17block_load_methodE3ELS4_3ELS4_3ELNS0_20block_scan_algorithmE0ELj4294967295EEENS1_25partition_config_selectorILNS1_17partition_subalgoE4EjNS0_10empty_typeEbEEZZNS1_14partition_implILS8_4ELb0ES6_15HIP_vector_typeIjLj2EENS0_17counting_iteratorIjlEEPS9_SG_NS0_5tupleIJPjSI_NS0_16reverse_iteratorISI_EEEEENSH_IJSG_SG_SG_EEES9_SI_JZNS1_25segmented_radix_sort_implINS0_14default_configELb0EPKdPdPKlPlN2at6native12_GLOBAL__N_18offset_tEEE10hipError_tPvRmT1_PNSt15iterator_traitsIS12_E10value_typeET2_T3_PNS13_IS18_E10value_typeET4_jRbjT5_S1E_jjP12ihipStream_tbEUljE_ZNSN_ISO_Lb0ESQ_SR_ST_SU_SY_EESZ_S10_S11_S12_S16_S17_S18_S1B_S1C_jS1D_jS1E_S1E_jjS1G_bEUljE0_EEESZ_S10_S11_S18_S1C_S1E_T6_T7_T9_mT8_S1G_bDpT10_ENKUlT_T0_E_clISt17integral_constantIbLb1EES1U_EEDaS1P_S1Q_EUlS1P_E_NS1_11comp_targetILNS1_3genE3ELNS1_11target_archE908ELNS1_3gpuE7ELNS1_3repE0EEENS1_30default_config_static_selectorELNS0_4arch9wavefront6targetE1EEEvS12_,"axG",@progbits,_ZN7rocprim17ROCPRIM_400000_NS6detail17trampoline_kernelINS0_13select_configILj256ELj13ELNS0_17block_load_methodE3ELS4_3ELS4_3ELNS0_20block_scan_algorithmE0ELj4294967295EEENS1_25partition_config_selectorILNS1_17partition_subalgoE4EjNS0_10empty_typeEbEEZZNS1_14partition_implILS8_4ELb0ES6_15HIP_vector_typeIjLj2EENS0_17counting_iteratorIjlEEPS9_SG_NS0_5tupleIJPjSI_NS0_16reverse_iteratorISI_EEEEENSH_IJSG_SG_SG_EEES9_SI_JZNS1_25segmented_radix_sort_implINS0_14default_configELb0EPKdPdPKlPlN2at6native12_GLOBAL__N_18offset_tEEE10hipError_tPvRmT1_PNSt15iterator_traitsIS12_E10value_typeET2_T3_PNS13_IS18_E10value_typeET4_jRbjT5_S1E_jjP12ihipStream_tbEUljE_ZNSN_ISO_Lb0ESQ_SR_ST_SU_SY_EESZ_S10_S11_S12_S16_S17_S18_S1B_S1C_jS1D_jS1E_S1E_jjS1G_bEUljE0_EEESZ_S10_S11_S18_S1C_S1E_T6_T7_T9_mT8_S1G_bDpT10_ENKUlT_T0_E_clISt17integral_constantIbLb1EES1U_EEDaS1P_S1Q_EUlS1P_E_NS1_11comp_targetILNS1_3genE3ELNS1_11target_archE908ELNS1_3gpuE7ELNS1_3repE0EEENS1_30default_config_static_selectorELNS0_4arch9wavefront6targetE1EEEvS12_,comdat
.Lfunc_end1166:
	.size	_ZN7rocprim17ROCPRIM_400000_NS6detail17trampoline_kernelINS0_13select_configILj256ELj13ELNS0_17block_load_methodE3ELS4_3ELS4_3ELNS0_20block_scan_algorithmE0ELj4294967295EEENS1_25partition_config_selectorILNS1_17partition_subalgoE4EjNS0_10empty_typeEbEEZZNS1_14partition_implILS8_4ELb0ES6_15HIP_vector_typeIjLj2EENS0_17counting_iteratorIjlEEPS9_SG_NS0_5tupleIJPjSI_NS0_16reverse_iteratorISI_EEEEENSH_IJSG_SG_SG_EEES9_SI_JZNS1_25segmented_radix_sort_implINS0_14default_configELb0EPKdPdPKlPlN2at6native12_GLOBAL__N_18offset_tEEE10hipError_tPvRmT1_PNSt15iterator_traitsIS12_E10value_typeET2_T3_PNS13_IS18_E10value_typeET4_jRbjT5_S1E_jjP12ihipStream_tbEUljE_ZNSN_ISO_Lb0ESQ_SR_ST_SU_SY_EESZ_S10_S11_S12_S16_S17_S18_S1B_S1C_jS1D_jS1E_S1E_jjS1G_bEUljE0_EEESZ_S10_S11_S18_S1C_S1E_T6_T7_T9_mT8_S1G_bDpT10_ENKUlT_T0_E_clISt17integral_constantIbLb1EES1U_EEDaS1P_S1Q_EUlS1P_E_NS1_11comp_targetILNS1_3genE3ELNS1_11target_archE908ELNS1_3gpuE7ELNS1_3repE0EEENS1_30default_config_static_selectorELNS0_4arch9wavefront6targetE1EEEvS12_, .Lfunc_end1166-_ZN7rocprim17ROCPRIM_400000_NS6detail17trampoline_kernelINS0_13select_configILj256ELj13ELNS0_17block_load_methodE3ELS4_3ELS4_3ELNS0_20block_scan_algorithmE0ELj4294967295EEENS1_25partition_config_selectorILNS1_17partition_subalgoE4EjNS0_10empty_typeEbEEZZNS1_14partition_implILS8_4ELb0ES6_15HIP_vector_typeIjLj2EENS0_17counting_iteratorIjlEEPS9_SG_NS0_5tupleIJPjSI_NS0_16reverse_iteratorISI_EEEEENSH_IJSG_SG_SG_EEES9_SI_JZNS1_25segmented_radix_sort_implINS0_14default_configELb0EPKdPdPKlPlN2at6native12_GLOBAL__N_18offset_tEEE10hipError_tPvRmT1_PNSt15iterator_traitsIS12_E10value_typeET2_T3_PNS13_IS18_E10value_typeET4_jRbjT5_S1E_jjP12ihipStream_tbEUljE_ZNSN_ISO_Lb0ESQ_SR_ST_SU_SY_EESZ_S10_S11_S12_S16_S17_S18_S1B_S1C_jS1D_jS1E_S1E_jjS1G_bEUljE0_EEESZ_S10_S11_S18_S1C_S1E_T6_T7_T9_mT8_S1G_bDpT10_ENKUlT_T0_E_clISt17integral_constantIbLb1EES1U_EEDaS1P_S1Q_EUlS1P_E_NS1_11comp_targetILNS1_3genE3ELNS1_11target_archE908ELNS1_3gpuE7ELNS1_3repE0EEENS1_30default_config_static_selectorELNS0_4arch9wavefront6targetE1EEEvS12_
                                        ; -- End function
	.section	.AMDGPU.csdata,"",@progbits
; Kernel info:
; codeLenInByte = 0
; NumSgprs: 4
; NumVgprs: 0
; NumAgprs: 0
; TotalNumVgprs: 0
; ScratchSize: 0
; MemoryBound: 0
; FloatMode: 240
; IeeeMode: 1
; LDSByteSize: 0 bytes/workgroup (compile time only)
; SGPRBlocks: 0
; VGPRBlocks: 0
; NumSGPRsForWavesPerEU: 4
; NumVGPRsForWavesPerEU: 1
; AccumOffset: 4
; Occupancy: 8
; WaveLimiterHint : 0
; COMPUTE_PGM_RSRC2:SCRATCH_EN: 0
; COMPUTE_PGM_RSRC2:USER_SGPR: 6
; COMPUTE_PGM_RSRC2:TRAP_HANDLER: 0
; COMPUTE_PGM_RSRC2:TGID_X_EN: 1
; COMPUTE_PGM_RSRC2:TGID_Y_EN: 0
; COMPUTE_PGM_RSRC2:TGID_Z_EN: 0
; COMPUTE_PGM_RSRC2:TIDIG_COMP_CNT: 0
; COMPUTE_PGM_RSRC3_GFX90A:ACCUM_OFFSET: 0
; COMPUTE_PGM_RSRC3_GFX90A:TG_SPLIT: 0
	.section	.text._ZN7rocprim17ROCPRIM_400000_NS6detail17trampoline_kernelINS0_13select_configILj256ELj13ELNS0_17block_load_methodE3ELS4_3ELS4_3ELNS0_20block_scan_algorithmE0ELj4294967295EEENS1_25partition_config_selectorILNS1_17partition_subalgoE4EjNS0_10empty_typeEbEEZZNS1_14partition_implILS8_4ELb0ES6_15HIP_vector_typeIjLj2EENS0_17counting_iteratorIjlEEPS9_SG_NS0_5tupleIJPjSI_NS0_16reverse_iteratorISI_EEEEENSH_IJSG_SG_SG_EEES9_SI_JZNS1_25segmented_radix_sort_implINS0_14default_configELb0EPKdPdPKlPlN2at6native12_GLOBAL__N_18offset_tEEE10hipError_tPvRmT1_PNSt15iterator_traitsIS12_E10value_typeET2_T3_PNS13_IS18_E10value_typeET4_jRbjT5_S1E_jjP12ihipStream_tbEUljE_ZNSN_ISO_Lb0ESQ_SR_ST_SU_SY_EESZ_S10_S11_S12_S16_S17_S18_S1B_S1C_jS1D_jS1E_S1E_jjS1G_bEUljE0_EEESZ_S10_S11_S18_S1C_S1E_T6_T7_T9_mT8_S1G_bDpT10_ENKUlT_T0_E_clISt17integral_constantIbLb1EES1U_EEDaS1P_S1Q_EUlS1P_E_NS1_11comp_targetILNS1_3genE2ELNS1_11target_archE906ELNS1_3gpuE6ELNS1_3repE0EEENS1_30default_config_static_selectorELNS0_4arch9wavefront6targetE1EEEvS12_,"axG",@progbits,_ZN7rocprim17ROCPRIM_400000_NS6detail17trampoline_kernelINS0_13select_configILj256ELj13ELNS0_17block_load_methodE3ELS4_3ELS4_3ELNS0_20block_scan_algorithmE0ELj4294967295EEENS1_25partition_config_selectorILNS1_17partition_subalgoE4EjNS0_10empty_typeEbEEZZNS1_14partition_implILS8_4ELb0ES6_15HIP_vector_typeIjLj2EENS0_17counting_iteratorIjlEEPS9_SG_NS0_5tupleIJPjSI_NS0_16reverse_iteratorISI_EEEEENSH_IJSG_SG_SG_EEES9_SI_JZNS1_25segmented_radix_sort_implINS0_14default_configELb0EPKdPdPKlPlN2at6native12_GLOBAL__N_18offset_tEEE10hipError_tPvRmT1_PNSt15iterator_traitsIS12_E10value_typeET2_T3_PNS13_IS18_E10value_typeET4_jRbjT5_S1E_jjP12ihipStream_tbEUljE_ZNSN_ISO_Lb0ESQ_SR_ST_SU_SY_EESZ_S10_S11_S12_S16_S17_S18_S1B_S1C_jS1D_jS1E_S1E_jjS1G_bEUljE0_EEESZ_S10_S11_S18_S1C_S1E_T6_T7_T9_mT8_S1G_bDpT10_ENKUlT_T0_E_clISt17integral_constantIbLb1EES1U_EEDaS1P_S1Q_EUlS1P_E_NS1_11comp_targetILNS1_3genE2ELNS1_11target_archE906ELNS1_3gpuE6ELNS1_3repE0EEENS1_30default_config_static_selectorELNS0_4arch9wavefront6targetE1EEEvS12_,comdat
	.globl	_ZN7rocprim17ROCPRIM_400000_NS6detail17trampoline_kernelINS0_13select_configILj256ELj13ELNS0_17block_load_methodE3ELS4_3ELS4_3ELNS0_20block_scan_algorithmE0ELj4294967295EEENS1_25partition_config_selectorILNS1_17partition_subalgoE4EjNS0_10empty_typeEbEEZZNS1_14partition_implILS8_4ELb0ES6_15HIP_vector_typeIjLj2EENS0_17counting_iteratorIjlEEPS9_SG_NS0_5tupleIJPjSI_NS0_16reverse_iteratorISI_EEEEENSH_IJSG_SG_SG_EEES9_SI_JZNS1_25segmented_radix_sort_implINS0_14default_configELb0EPKdPdPKlPlN2at6native12_GLOBAL__N_18offset_tEEE10hipError_tPvRmT1_PNSt15iterator_traitsIS12_E10value_typeET2_T3_PNS13_IS18_E10value_typeET4_jRbjT5_S1E_jjP12ihipStream_tbEUljE_ZNSN_ISO_Lb0ESQ_SR_ST_SU_SY_EESZ_S10_S11_S12_S16_S17_S18_S1B_S1C_jS1D_jS1E_S1E_jjS1G_bEUljE0_EEESZ_S10_S11_S18_S1C_S1E_T6_T7_T9_mT8_S1G_bDpT10_ENKUlT_T0_E_clISt17integral_constantIbLb1EES1U_EEDaS1P_S1Q_EUlS1P_E_NS1_11comp_targetILNS1_3genE2ELNS1_11target_archE906ELNS1_3gpuE6ELNS1_3repE0EEENS1_30default_config_static_selectorELNS0_4arch9wavefront6targetE1EEEvS12_ ; -- Begin function _ZN7rocprim17ROCPRIM_400000_NS6detail17trampoline_kernelINS0_13select_configILj256ELj13ELNS0_17block_load_methodE3ELS4_3ELS4_3ELNS0_20block_scan_algorithmE0ELj4294967295EEENS1_25partition_config_selectorILNS1_17partition_subalgoE4EjNS0_10empty_typeEbEEZZNS1_14partition_implILS8_4ELb0ES6_15HIP_vector_typeIjLj2EENS0_17counting_iteratorIjlEEPS9_SG_NS0_5tupleIJPjSI_NS0_16reverse_iteratorISI_EEEEENSH_IJSG_SG_SG_EEES9_SI_JZNS1_25segmented_radix_sort_implINS0_14default_configELb0EPKdPdPKlPlN2at6native12_GLOBAL__N_18offset_tEEE10hipError_tPvRmT1_PNSt15iterator_traitsIS12_E10value_typeET2_T3_PNS13_IS18_E10value_typeET4_jRbjT5_S1E_jjP12ihipStream_tbEUljE_ZNSN_ISO_Lb0ESQ_SR_ST_SU_SY_EESZ_S10_S11_S12_S16_S17_S18_S1B_S1C_jS1D_jS1E_S1E_jjS1G_bEUljE0_EEESZ_S10_S11_S18_S1C_S1E_T6_T7_T9_mT8_S1G_bDpT10_ENKUlT_T0_E_clISt17integral_constantIbLb1EES1U_EEDaS1P_S1Q_EUlS1P_E_NS1_11comp_targetILNS1_3genE2ELNS1_11target_archE906ELNS1_3gpuE6ELNS1_3repE0EEENS1_30default_config_static_selectorELNS0_4arch9wavefront6targetE1EEEvS12_
	.p2align	8
	.type	_ZN7rocprim17ROCPRIM_400000_NS6detail17trampoline_kernelINS0_13select_configILj256ELj13ELNS0_17block_load_methodE3ELS4_3ELS4_3ELNS0_20block_scan_algorithmE0ELj4294967295EEENS1_25partition_config_selectorILNS1_17partition_subalgoE4EjNS0_10empty_typeEbEEZZNS1_14partition_implILS8_4ELb0ES6_15HIP_vector_typeIjLj2EENS0_17counting_iteratorIjlEEPS9_SG_NS0_5tupleIJPjSI_NS0_16reverse_iteratorISI_EEEEENSH_IJSG_SG_SG_EEES9_SI_JZNS1_25segmented_radix_sort_implINS0_14default_configELb0EPKdPdPKlPlN2at6native12_GLOBAL__N_18offset_tEEE10hipError_tPvRmT1_PNSt15iterator_traitsIS12_E10value_typeET2_T3_PNS13_IS18_E10value_typeET4_jRbjT5_S1E_jjP12ihipStream_tbEUljE_ZNSN_ISO_Lb0ESQ_SR_ST_SU_SY_EESZ_S10_S11_S12_S16_S17_S18_S1B_S1C_jS1D_jS1E_S1E_jjS1G_bEUljE0_EEESZ_S10_S11_S18_S1C_S1E_T6_T7_T9_mT8_S1G_bDpT10_ENKUlT_T0_E_clISt17integral_constantIbLb1EES1U_EEDaS1P_S1Q_EUlS1P_E_NS1_11comp_targetILNS1_3genE2ELNS1_11target_archE906ELNS1_3gpuE6ELNS1_3repE0EEENS1_30default_config_static_selectorELNS0_4arch9wavefront6targetE1EEEvS12_,@function
_ZN7rocprim17ROCPRIM_400000_NS6detail17trampoline_kernelINS0_13select_configILj256ELj13ELNS0_17block_load_methodE3ELS4_3ELS4_3ELNS0_20block_scan_algorithmE0ELj4294967295EEENS1_25partition_config_selectorILNS1_17partition_subalgoE4EjNS0_10empty_typeEbEEZZNS1_14partition_implILS8_4ELb0ES6_15HIP_vector_typeIjLj2EENS0_17counting_iteratorIjlEEPS9_SG_NS0_5tupleIJPjSI_NS0_16reverse_iteratorISI_EEEEENSH_IJSG_SG_SG_EEES9_SI_JZNS1_25segmented_radix_sort_implINS0_14default_configELb0EPKdPdPKlPlN2at6native12_GLOBAL__N_18offset_tEEE10hipError_tPvRmT1_PNSt15iterator_traitsIS12_E10value_typeET2_T3_PNS13_IS18_E10value_typeET4_jRbjT5_S1E_jjP12ihipStream_tbEUljE_ZNSN_ISO_Lb0ESQ_SR_ST_SU_SY_EESZ_S10_S11_S12_S16_S17_S18_S1B_S1C_jS1D_jS1E_S1E_jjS1G_bEUljE0_EEESZ_S10_S11_S18_S1C_S1E_T6_T7_T9_mT8_S1G_bDpT10_ENKUlT_T0_E_clISt17integral_constantIbLb1EES1U_EEDaS1P_S1Q_EUlS1P_E_NS1_11comp_targetILNS1_3genE2ELNS1_11target_archE906ELNS1_3gpuE6ELNS1_3repE0EEENS1_30default_config_static_selectorELNS0_4arch9wavefront6targetE1EEEvS12_: ; @_ZN7rocprim17ROCPRIM_400000_NS6detail17trampoline_kernelINS0_13select_configILj256ELj13ELNS0_17block_load_methodE3ELS4_3ELS4_3ELNS0_20block_scan_algorithmE0ELj4294967295EEENS1_25partition_config_selectorILNS1_17partition_subalgoE4EjNS0_10empty_typeEbEEZZNS1_14partition_implILS8_4ELb0ES6_15HIP_vector_typeIjLj2EENS0_17counting_iteratorIjlEEPS9_SG_NS0_5tupleIJPjSI_NS0_16reverse_iteratorISI_EEEEENSH_IJSG_SG_SG_EEES9_SI_JZNS1_25segmented_radix_sort_implINS0_14default_configELb0EPKdPdPKlPlN2at6native12_GLOBAL__N_18offset_tEEE10hipError_tPvRmT1_PNSt15iterator_traitsIS12_E10value_typeET2_T3_PNS13_IS18_E10value_typeET4_jRbjT5_S1E_jjP12ihipStream_tbEUljE_ZNSN_ISO_Lb0ESQ_SR_ST_SU_SY_EESZ_S10_S11_S12_S16_S17_S18_S1B_S1C_jS1D_jS1E_S1E_jjS1G_bEUljE0_EEESZ_S10_S11_S18_S1C_S1E_T6_T7_T9_mT8_S1G_bDpT10_ENKUlT_T0_E_clISt17integral_constantIbLb1EES1U_EEDaS1P_S1Q_EUlS1P_E_NS1_11comp_targetILNS1_3genE2ELNS1_11target_archE906ELNS1_3gpuE6ELNS1_3repE0EEENS1_30default_config_static_selectorELNS0_4arch9wavefront6targetE1EEEvS12_
; %bb.0:
	.section	.rodata,"a",@progbits
	.p2align	6, 0x0
	.amdhsa_kernel _ZN7rocprim17ROCPRIM_400000_NS6detail17trampoline_kernelINS0_13select_configILj256ELj13ELNS0_17block_load_methodE3ELS4_3ELS4_3ELNS0_20block_scan_algorithmE0ELj4294967295EEENS1_25partition_config_selectorILNS1_17partition_subalgoE4EjNS0_10empty_typeEbEEZZNS1_14partition_implILS8_4ELb0ES6_15HIP_vector_typeIjLj2EENS0_17counting_iteratorIjlEEPS9_SG_NS0_5tupleIJPjSI_NS0_16reverse_iteratorISI_EEEEENSH_IJSG_SG_SG_EEES9_SI_JZNS1_25segmented_radix_sort_implINS0_14default_configELb0EPKdPdPKlPlN2at6native12_GLOBAL__N_18offset_tEEE10hipError_tPvRmT1_PNSt15iterator_traitsIS12_E10value_typeET2_T3_PNS13_IS18_E10value_typeET4_jRbjT5_S1E_jjP12ihipStream_tbEUljE_ZNSN_ISO_Lb0ESQ_SR_ST_SU_SY_EESZ_S10_S11_S12_S16_S17_S18_S1B_S1C_jS1D_jS1E_S1E_jjS1G_bEUljE0_EEESZ_S10_S11_S18_S1C_S1E_T6_T7_T9_mT8_S1G_bDpT10_ENKUlT_T0_E_clISt17integral_constantIbLb1EES1U_EEDaS1P_S1Q_EUlS1P_E_NS1_11comp_targetILNS1_3genE2ELNS1_11target_archE906ELNS1_3gpuE6ELNS1_3repE0EEENS1_30default_config_static_selectorELNS0_4arch9wavefront6targetE1EEEvS12_
		.amdhsa_group_segment_fixed_size 0
		.amdhsa_private_segment_fixed_size 0
		.amdhsa_kernarg_size 184
		.amdhsa_user_sgpr_count 6
		.amdhsa_user_sgpr_private_segment_buffer 1
		.amdhsa_user_sgpr_dispatch_ptr 0
		.amdhsa_user_sgpr_queue_ptr 0
		.amdhsa_user_sgpr_kernarg_segment_ptr 1
		.amdhsa_user_sgpr_dispatch_id 0
		.amdhsa_user_sgpr_flat_scratch_init 0
		.amdhsa_user_sgpr_kernarg_preload_length 0
		.amdhsa_user_sgpr_kernarg_preload_offset 0
		.amdhsa_user_sgpr_private_segment_size 0
		.amdhsa_uses_dynamic_stack 0
		.amdhsa_system_sgpr_private_segment_wavefront_offset 0
		.amdhsa_system_sgpr_workgroup_id_x 1
		.amdhsa_system_sgpr_workgroup_id_y 0
		.amdhsa_system_sgpr_workgroup_id_z 0
		.amdhsa_system_sgpr_workgroup_info 0
		.amdhsa_system_vgpr_workitem_id 0
		.amdhsa_next_free_vgpr 1
		.amdhsa_next_free_sgpr 0
		.amdhsa_accum_offset 4
		.amdhsa_reserve_vcc 0
		.amdhsa_reserve_flat_scratch 0
		.amdhsa_float_round_mode_32 0
		.amdhsa_float_round_mode_16_64 0
		.amdhsa_float_denorm_mode_32 3
		.amdhsa_float_denorm_mode_16_64 3
		.amdhsa_dx10_clamp 1
		.amdhsa_ieee_mode 1
		.amdhsa_fp16_overflow 0
		.amdhsa_tg_split 0
		.amdhsa_exception_fp_ieee_invalid_op 0
		.amdhsa_exception_fp_denorm_src 0
		.amdhsa_exception_fp_ieee_div_zero 0
		.amdhsa_exception_fp_ieee_overflow 0
		.amdhsa_exception_fp_ieee_underflow 0
		.amdhsa_exception_fp_ieee_inexact 0
		.amdhsa_exception_int_div_zero 0
	.end_amdhsa_kernel
	.section	.text._ZN7rocprim17ROCPRIM_400000_NS6detail17trampoline_kernelINS0_13select_configILj256ELj13ELNS0_17block_load_methodE3ELS4_3ELS4_3ELNS0_20block_scan_algorithmE0ELj4294967295EEENS1_25partition_config_selectorILNS1_17partition_subalgoE4EjNS0_10empty_typeEbEEZZNS1_14partition_implILS8_4ELb0ES6_15HIP_vector_typeIjLj2EENS0_17counting_iteratorIjlEEPS9_SG_NS0_5tupleIJPjSI_NS0_16reverse_iteratorISI_EEEEENSH_IJSG_SG_SG_EEES9_SI_JZNS1_25segmented_radix_sort_implINS0_14default_configELb0EPKdPdPKlPlN2at6native12_GLOBAL__N_18offset_tEEE10hipError_tPvRmT1_PNSt15iterator_traitsIS12_E10value_typeET2_T3_PNS13_IS18_E10value_typeET4_jRbjT5_S1E_jjP12ihipStream_tbEUljE_ZNSN_ISO_Lb0ESQ_SR_ST_SU_SY_EESZ_S10_S11_S12_S16_S17_S18_S1B_S1C_jS1D_jS1E_S1E_jjS1G_bEUljE0_EEESZ_S10_S11_S18_S1C_S1E_T6_T7_T9_mT8_S1G_bDpT10_ENKUlT_T0_E_clISt17integral_constantIbLb1EES1U_EEDaS1P_S1Q_EUlS1P_E_NS1_11comp_targetILNS1_3genE2ELNS1_11target_archE906ELNS1_3gpuE6ELNS1_3repE0EEENS1_30default_config_static_selectorELNS0_4arch9wavefront6targetE1EEEvS12_,"axG",@progbits,_ZN7rocprim17ROCPRIM_400000_NS6detail17trampoline_kernelINS0_13select_configILj256ELj13ELNS0_17block_load_methodE3ELS4_3ELS4_3ELNS0_20block_scan_algorithmE0ELj4294967295EEENS1_25partition_config_selectorILNS1_17partition_subalgoE4EjNS0_10empty_typeEbEEZZNS1_14partition_implILS8_4ELb0ES6_15HIP_vector_typeIjLj2EENS0_17counting_iteratorIjlEEPS9_SG_NS0_5tupleIJPjSI_NS0_16reverse_iteratorISI_EEEEENSH_IJSG_SG_SG_EEES9_SI_JZNS1_25segmented_radix_sort_implINS0_14default_configELb0EPKdPdPKlPlN2at6native12_GLOBAL__N_18offset_tEEE10hipError_tPvRmT1_PNSt15iterator_traitsIS12_E10value_typeET2_T3_PNS13_IS18_E10value_typeET4_jRbjT5_S1E_jjP12ihipStream_tbEUljE_ZNSN_ISO_Lb0ESQ_SR_ST_SU_SY_EESZ_S10_S11_S12_S16_S17_S18_S1B_S1C_jS1D_jS1E_S1E_jjS1G_bEUljE0_EEESZ_S10_S11_S18_S1C_S1E_T6_T7_T9_mT8_S1G_bDpT10_ENKUlT_T0_E_clISt17integral_constantIbLb1EES1U_EEDaS1P_S1Q_EUlS1P_E_NS1_11comp_targetILNS1_3genE2ELNS1_11target_archE906ELNS1_3gpuE6ELNS1_3repE0EEENS1_30default_config_static_selectorELNS0_4arch9wavefront6targetE1EEEvS12_,comdat
.Lfunc_end1167:
	.size	_ZN7rocprim17ROCPRIM_400000_NS6detail17trampoline_kernelINS0_13select_configILj256ELj13ELNS0_17block_load_methodE3ELS4_3ELS4_3ELNS0_20block_scan_algorithmE0ELj4294967295EEENS1_25partition_config_selectorILNS1_17partition_subalgoE4EjNS0_10empty_typeEbEEZZNS1_14partition_implILS8_4ELb0ES6_15HIP_vector_typeIjLj2EENS0_17counting_iteratorIjlEEPS9_SG_NS0_5tupleIJPjSI_NS0_16reverse_iteratorISI_EEEEENSH_IJSG_SG_SG_EEES9_SI_JZNS1_25segmented_radix_sort_implINS0_14default_configELb0EPKdPdPKlPlN2at6native12_GLOBAL__N_18offset_tEEE10hipError_tPvRmT1_PNSt15iterator_traitsIS12_E10value_typeET2_T3_PNS13_IS18_E10value_typeET4_jRbjT5_S1E_jjP12ihipStream_tbEUljE_ZNSN_ISO_Lb0ESQ_SR_ST_SU_SY_EESZ_S10_S11_S12_S16_S17_S18_S1B_S1C_jS1D_jS1E_S1E_jjS1G_bEUljE0_EEESZ_S10_S11_S18_S1C_S1E_T6_T7_T9_mT8_S1G_bDpT10_ENKUlT_T0_E_clISt17integral_constantIbLb1EES1U_EEDaS1P_S1Q_EUlS1P_E_NS1_11comp_targetILNS1_3genE2ELNS1_11target_archE906ELNS1_3gpuE6ELNS1_3repE0EEENS1_30default_config_static_selectorELNS0_4arch9wavefront6targetE1EEEvS12_, .Lfunc_end1167-_ZN7rocprim17ROCPRIM_400000_NS6detail17trampoline_kernelINS0_13select_configILj256ELj13ELNS0_17block_load_methodE3ELS4_3ELS4_3ELNS0_20block_scan_algorithmE0ELj4294967295EEENS1_25partition_config_selectorILNS1_17partition_subalgoE4EjNS0_10empty_typeEbEEZZNS1_14partition_implILS8_4ELb0ES6_15HIP_vector_typeIjLj2EENS0_17counting_iteratorIjlEEPS9_SG_NS0_5tupleIJPjSI_NS0_16reverse_iteratorISI_EEEEENSH_IJSG_SG_SG_EEES9_SI_JZNS1_25segmented_radix_sort_implINS0_14default_configELb0EPKdPdPKlPlN2at6native12_GLOBAL__N_18offset_tEEE10hipError_tPvRmT1_PNSt15iterator_traitsIS12_E10value_typeET2_T3_PNS13_IS18_E10value_typeET4_jRbjT5_S1E_jjP12ihipStream_tbEUljE_ZNSN_ISO_Lb0ESQ_SR_ST_SU_SY_EESZ_S10_S11_S12_S16_S17_S18_S1B_S1C_jS1D_jS1E_S1E_jjS1G_bEUljE0_EEESZ_S10_S11_S18_S1C_S1E_T6_T7_T9_mT8_S1G_bDpT10_ENKUlT_T0_E_clISt17integral_constantIbLb1EES1U_EEDaS1P_S1Q_EUlS1P_E_NS1_11comp_targetILNS1_3genE2ELNS1_11target_archE906ELNS1_3gpuE6ELNS1_3repE0EEENS1_30default_config_static_selectorELNS0_4arch9wavefront6targetE1EEEvS12_
                                        ; -- End function
	.section	.AMDGPU.csdata,"",@progbits
; Kernel info:
; codeLenInByte = 0
; NumSgprs: 4
; NumVgprs: 0
; NumAgprs: 0
; TotalNumVgprs: 0
; ScratchSize: 0
; MemoryBound: 0
; FloatMode: 240
; IeeeMode: 1
; LDSByteSize: 0 bytes/workgroup (compile time only)
; SGPRBlocks: 0
; VGPRBlocks: 0
; NumSGPRsForWavesPerEU: 4
; NumVGPRsForWavesPerEU: 1
; AccumOffset: 4
; Occupancy: 8
; WaveLimiterHint : 0
; COMPUTE_PGM_RSRC2:SCRATCH_EN: 0
; COMPUTE_PGM_RSRC2:USER_SGPR: 6
; COMPUTE_PGM_RSRC2:TRAP_HANDLER: 0
; COMPUTE_PGM_RSRC2:TGID_X_EN: 1
; COMPUTE_PGM_RSRC2:TGID_Y_EN: 0
; COMPUTE_PGM_RSRC2:TGID_Z_EN: 0
; COMPUTE_PGM_RSRC2:TIDIG_COMP_CNT: 0
; COMPUTE_PGM_RSRC3_GFX90A:ACCUM_OFFSET: 0
; COMPUTE_PGM_RSRC3_GFX90A:TG_SPLIT: 0
	.section	.text._ZN7rocprim17ROCPRIM_400000_NS6detail17trampoline_kernelINS0_13select_configILj256ELj13ELNS0_17block_load_methodE3ELS4_3ELS4_3ELNS0_20block_scan_algorithmE0ELj4294967295EEENS1_25partition_config_selectorILNS1_17partition_subalgoE4EjNS0_10empty_typeEbEEZZNS1_14partition_implILS8_4ELb0ES6_15HIP_vector_typeIjLj2EENS0_17counting_iteratorIjlEEPS9_SG_NS0_5tupleIJPjSI_NS0_16reverse_iteratorISI_EEEEENSH_IJSG_SG_SG_EEES9_SI_JZNS1_25segmented_radix_sort_implINS0_14default_configELb0EPKdPdPKlPlN2at6native12_GLOBAL__N_18offset_tEEE10hipError_tPvRmT1_PNSt15iterator_traitsIS12_E10value_typeET2_T3_PNS13_IS18_E10value_typeET4_jRbjT5_S1E_jjP12ihipStream_tbEUljE_ZNSN_ISO_Lb0ESQ_SR_ST_SU_SY_EESZ_S10_S11_S12_S16_S17_S18_S1B_S1C_jS1D_jS1E_S1E_jjS1G_bEUljE0_EEESZ_S10_S11_S18_S1C_S1E_T6_T7_T9_mT8_S1G_bDpT10_ENKUlT_T0_E_clISt17integral_constantIbLb1EES1U_EEDaS1P_S1Q_EUlS1P_E_NS1_11comp_targetILNS1_3genE10ELNS1_11target_archE1200ELNS1_3gpuE4ELNS1_3repE0EEENS1_30default_config_static_selectorELNS0_4arch9wavefront6targetE1EEEvS12_,"axG",@progbits,_ZN7rocprim17ROCPRIM_400000_NS6detail17trampoline_kernelINS0_13select_configILj256ELj13ELNS0_17block_load_methodE3ELS4_3ELS4_3ELNS0_20block_scan_algorithmE0ELj4294967295EEENS1_25partition_config_selectorILNS1_17partition_subalgoE4EjNS0_10empty_typeEbEEZZNS1_14partition_implILS8_4ELb0ES6_15HIP_vector_typeIjLj2EENS0_17counting_iteratorIjlEEPS9_SG_NS0_5tupleIJPjSI_NS0_16reverse_iteratorISI_EEEEENSH_IJSG_SG_SG_EEES9_SI_JZNS1_25segmented_radix_sort_implINS0_14default_configELb0EPKdPdPKlPlN2at6native12_GLOBAL__N_18offset_tEEE10hipError_tPvRmT1_PNSt15iterator_traitsIS12_E10value_typeET2_T3_PNS13_IS18_E10value_typeET4_jRbjT5_S1E_jjP12ihipStream_tbEUljE_ZNSN_ISO_Lb0ESQ_SR_ST_SU_SY_EESZ_S10_S11_S12_S16_S17_S18_S1B_S1C_jS1D_jS1E_S1E_jjS1G_bEUljE0_EEESZ_S10_S11_S18_S1C_S1E_T6_T7_T9_mT8_S1G_bDpT10_ENKUlT_T0_E_clISt17integral_constantIbLb1EES1U_EEDaS1P_S1Q_EUlS1P_E_NS1_11comp_targetILNS1_3genE10ELNS1_11target_archE1200ELNS1_3gpuE4ELNS1_3repE0EEENS1_30default_config_static_selectorELNS0_4arch9wavefront6targetE1EEEvS12_,comdat
	.globl	_ZN7rocprim17ROCPRIM_400000_NS6detail17trampoline_kernelINS0_13select_configILj256ELj13ELNS0_17block_load_methodE3ELS4_3ELS4_3ELNS0_20block_scan_algorithmE0ELj4294967295EEENS1_25partition_config_selectorILNS1_17partition_subalgoE4EjNS0_10empty_typeEbEEZZNS1_14partition_implILS8_4ELb0ES6_15HIP_vector_typeIjLj2EENS0_17counting_iteratorIjlEEPS9_SG_NS0_5tupleIJPjSI_NS0_16reverse_iteratorISI_EEEEENSH_IJSG_SG_SG_EEES9_SI_JZNS1_25segmented_radix_sort_implINS0_14default_configELb0EPKdPdPKlPlN2at6native12_GLOBAL__N_18offset_tEEE10hipError_tPvRmT1_PNSt15iterator_traitsIS12_E10value_typeET2_T3_PNS13_IS18_E10value_typeET4_jRbjT5_S1E_jjP12ihipStream_tbEUljE_ZNSN_ISO_Lb0ESQ_SR_ST_SU_SY_EESZ_S10_S11_S12_S16_S17_S18_S1B_S1C_jS1D_jS1E_S1E_jjS1G_bEUljE0_EEESZ_S10_S11_S18_S1C_S1E_T6_T7_T9_mT8_S1G_bDpT10_ENKUlT_T0_E_clISt17integral_constantIbLb1EES1U_EEDaS1P_S1Q_EUlS1P_E_NS1_11comp_targetILNS1_3genE10ELNS1_11target_archE1200ELNS1_3gpuE4ELNS1_3repE0EEENS1_30default_config_static_selectorELNS0_4arch9wavefront6targetE1EEEvS12_ ; -- Begin function _ZN7rocprim17ROCPRIM_400000_NS6detail17trampoline_kernelINS0_13select_configILj256ELj13ELNS0_17block_load_methodE3ELS4_3ELS4_3ELNS0_20block_scan_algorithmE0ELj4294967295EEENS1_25partition_config_selectorILNS1_17partition_subalgoE4EjNS0_10empty_typeEbEEZZNS1_14partition_implILS8_4ELb0ES6_15HIP_vector_typeIjLj2EENS0_17counting_iteratorIjlEEPS9_SG_NS0_5tupleIJPjSI_NS0_16reverse_iteratorISI_EEEEENSH_IJSG_SG_SG_EEES9_SI_JZNS1_25segmented_radix_sort_implINS0_14default_configELb0EPKdPdPKlPlN2at6native12_GLOBAL__N_18offset_tEEE10hipError_tPvRmT1_PNSt15iterator_traitsIS12_E10value_typeET2_T3_PNS13_IS18_E10value_typeET4_jRbjT5_S1E_jjP12ihipStream_tbEUljE_ZNSN_ISO_Lb0ESQ_SR_ST_SU_SY_EESZ_S10_S11_S12_S16_S17_S18_S1B_S1C_jS1D_jS1E_S1E_jjS1G_bEUljE0_EEESZ_S10_S11_S18_S1C_S1E_T6_T7_T9_mT8_S1G_bDpT10_ENKUlT_T0_E_clISt17integral_constantIbLb1EES1U_EEDaS1P_S1Q_EUlS1P_E_NS1_11comp_targetILNS1_3genE10ELNS1_11target_archE1200ELNS1_3gpuE4ELNS1_3repE0EEENS1_30default_config_static_selectorELNS0_4arch9wavefront6targetE1EEEvS12_
	.p2align	8
	.type	_ZN7rocprim17ROCPRIM_400000_NS6detail17trampoline_kernelINS0_13select_configILj256ELj13ELNS0_17block_load_methodE3ELS4_3ELS4_3ELNS0_20block_scan_algorithmE0ELj4294967295EEENS1_25partition_config_selectorILNS1_17partition_subalgoE4EjNS0_10empty_typeEbEEZZNS1_14partition_implILS8_4ELb0ES6_15HIP_vector_typeIjLj2EENS0_17counting_iteratorIjlEEPS9_SG_NS0_5tupleIJPjSI_NS0_16reverse_iteratorISI_EEEEENSH_IJSG_SG_SG_EEES9_SI_JZNS1_25segmented_radix_sort_implINS0_14default_configELb0EPKdPdPKlPlN2at6native12_GLOBAL__N_18offset_tEEE10hipError_tPvRmT1_PNSt15iterator_traitsIS12_E10value_typeET2_T3_PNS13_IS18_E10value_typeET4_jRbjT5_S1E_jjP12ihipStream_tbEUljE_ZNSN_ISO_Lb0ESQ_SR_ST_SU_SY_EESZ_S10_S11_S12_S16_S17_S18_S1B_S1C_jS1D_jS1E_S1E_jjS1G_bEUljE0_EEESZ_S10_S11_S18_S1C_S1E_T6_T7_T9_mT8_S1G_bDpT10_ENKUlT_T0_E_clISt17integral_constantIbLb1EES1U_EEDaS1P_S1Q_EUlS1P_E_NS1_11comp_targetILNS1_3genE10ELNS1_11target_archE1200ELNS1_3gpuE4ELNS1_3repE0EEENS1_30default_config_static_selectorELNS0_4arch9wavefront6targetE1EEEvS12_,@function
_ZN7rocprim17ROCPRIM_400000_NS6detail17trampoline_kernelINS0_13select_configILj256ELj13ELNS0_17block_load_methodE3ELS4_3ELS4_3ELNS0_20block_scan_algorithmE0ELj4294967295EEENS1_25partition_config_selectorILNS1_17partition_subalgoE4EjNS0_10empty_typeEbEEZZNS1_14partition_implILS8_4ELb0ES6_15HIP_vector_typeIjLj2EENS0_17counting_iteratorIjlEEPS9_SG_NS0_5tupleIJPjSI_NS0_16reverse_iteratorISI_EEEEENSH_IJSG_SG_SG_EEES9_SI_JZNS1_25segmented_radix_sort_implINS0_14default_configELb0EPKdPdPKlPlN2at6native12_GLOBAL__N_18offset_tEEE10hipError_tPvRmT1_PNSt15iterator_traitsIS12_E10value_typeET2_T3_PNS13_IS18_E10value_typeET4_jRbjT5_S1E_jjP12ihipStream_tbEUljE_ZNSN_ISO_Lb0ESQ_SR_ST_SU_SY_EESZ_S10_S11_S12_S16_S17_S18_S1B_S1C_jS1D_jS1E_S1E_jjS1G_bEUljE0_EEESZ_S10_S11_S18_S1C_S1E_T6_T7_T9_mT8_S1G_bDpT10_ENKUlT_T0_E_clISt17integral_constantIbLb1EES1U_EEDaS1P_S1Q_EUlS1P_E_NS1_11comp_targetILNS1_3genE10ELNS1_11target_archE1200ELNS1_3gpuE4ELNS1_3repE0EEENS1_30default_config_static_selectorELNS0_4arch9wavefront6targetE1EEEvS12_: ; @_ZN7rocprim17ROCPRIM_400000_NS6detail17trampoline_kernelINS0_13select_configILj256ELj13ELNS0_17block_load_methodE3ELS4_3ELS4_3ELNS0_20block_scan_algorithmE0ELj4294967295EEENS1_25partition_config_selectorILNS1_17partition_subalgoE4EjNS0_10empty_typeEbEEZZNS1_14partition_implILS8_4ELb0ES6_15HIP_vector_typeIjLj2EENS0_17counting_iteratorIjlEEPS9_SG_NS0_5tupleIJPjSI_NS0_16reverse_iteratorISI_EEEEENSH_IJSG_SG_SG_EEES9_SI_JZNS1_25segmented_radix_sort_implINS0_14default_configELb0EPKdPdPKlPlN2at6native12_GLOBAL__N_18offset_tEEE10hipError_tPvRmT1_PNSt15iterator_traitsIS12_E10value_typeET2_T3_PNS13_IS18_E10value_typeET4_jRbjT5_S1E_jjP12ihipStream_tbEUljE_ZNSN_ISO_Lb0ESQ_SR_ST_SU_SY_EESZ_S10_S11_S12_S16_S17_S18_S1B_S1C_jS1D_jS1E_S1E_jjS1G_bEUljE0_EEESZ_S10_S11_S18_S1C_S1E_T6_T7_T9_mT8_S1G_bDpT10_ENKUlT_T0_E_clISt17integral_constantIbLb1EES1U_EEDaS1P_S1Q_EUlS1P_E_NS1_11comp_targetILNS1_3genE10ELNS1_11target_archE1200ELNS1_3gpuE4ELNS1_3repE0EEENS1_30default_config_static_selectorELNS0_4arch9wavefront6targetE1EEEvS12_
; %bb.0:
	.section	.rodata,"a",@progbits
	.p2align	6, 0x0
	.amdhsa_kernel _ZN7rocprim17ROCPRIM_400000_NS6detail17trampoline_kernelINS0_13select_configILj256ELj13ELNS0_17block_load_methodE3ELS4_3ELS4_3ELNS0_20block_scan_algorithmE0ELj4294967295EEENS1_25partition_config_selectorILNS1_17partition_subalgoE4EjNS0_10empty_typeEbEEZZNS1_14partition_implILS8_4ELb0ES6_15HIP_vector_typeIjLj2EENS0_17counting_iteratorIjlEEPS9_SG_NS0_5tupleIJPjSI_NS0_16reverse_iteratorISI_EEEEENSH_IJSG_SG_SG_EEES9_SI_JZNS1_25segmented_radix_sort_implINS0_14default_configELb0EPKdPdPKlPlN2at6native12_GLOBAL__N_18offset_tEEE10hipError_tPvRmT1_PNSt15iterator_traitsIS12_E10value_typeET2_T3_PNS13_IS18_E10value_typeET4_jRbjT5_S1E_jjP12ihipStream_tbEUljE_ZNSN_ISO_Lb0ESQ_SR_ST_SU_SY_EESZ_S10_S11_S12_S16_S17_S18_S1B_S1C_jS1D_jS1E_S1E_jjS1G_bEUljE0_EEESZ_S10_S11_S18_S1C_S1E_T6_T7_T9_mT8_S1G_bDpT10_ENKUlT_T0_E_clISt17integral_constantIbLb1EES1U_EEDaS1P_S1Q_EUlS1P_E_NS1_11comp_targetILNS1_3genE10ELNS1_11target_archE1200ELNS1_3gpuE4ELNS1_3repE0EEENS1_30default_config_static_selectorELNS0_4arch9wavefront6targetE1EEEvS12_
		.amdhsa_group_segment_fixed_size 0
		.amdhsa_private_segment_fixed_size 0
		.amdhsa_kernarg_size 184
		.amdhsa_user_sgpr_count 6
		.amdhsa_user_sgpr_private_segment_buffer 1
		.amdhsa_user_sgpr_dispatch_ptr 0
		.amdhsa_user_sgpr_queue_ptr 0
		.amdhsa_user_sgpr_kernarg_segment_ptr 1
		.amdhsa_user_sgpr_dispatch_id 0
		.amdhsa_user_sgpr_flat_scratch_init 0
		.amdhsa_user_sgpr_kernarg_preload_length 0
		.amdhsa_user_sgpr_kernarg_preload_offset 0
		.amdhsa_user_sgpr_private_segment_size 0
		.amdhsa_uses_dynamic_stack 0
		.amdhsa_system_sgpr_private_segment_wavefront_offset 0
		.amdhsa_system_sgpr_workgroup_id_x 1
		.amdhsa_system_sgpr_workgroup_id_y 0
		.amdhsa_system_sgpr_workgroup_id_z 0
		.amdhsa_system_sgpr_workgroup_info 0
		.amdhsa_system_vgpr_workitem_id 0
		.amdhsa_next_free_vgpr 1
		.amdhsa_next_free_sgpr 0
		.amdhsa_accum_offset 4
		.amdhsa_reserve_vcc 0
		.amdhsa_reserve_flat_scratch 0
		.amdhsa_float_round_mode_32 0
		.amdhsa_float_round_mode_16_64 0
		.amdhsa_float_denorm_mode_32 3
		.amdhsa_float_denorm_mode_16_64 3
		.amdhsa_dx10_clamp 1
		.amdhsa_ieee_mode 1
		.amdhsa_fp16_overflow 0
		.amdhsa_tg_split 0
		.amdhsa_exception_fp_ieee_invalid_op 0
		.amdhsa_exception_fp_denorm_src 0
		.amdhsa_exception_fp_ieee_div_zero 0
		.amdhsa_exception_fp_ieee_overflow 0
		.amdhsa_exception_fp_ieee_underflow 0
		.amdhsa_exception_fp_ieee_inexact 0
		.amdhsa_exception_int_div_zero 0
	.end_amdhsa_kernel
	.section	.text._ZN7rocprim17ROCPRIM_400000_NS6detail17trampoline_kernelINS0_13select_configILj256ELj13ELNS0_17block_load_methodE3ELS4_3ELS4_3ELNS0_20block_scan_algorithmE0ELj4294967295EEENS1_25partition_config_selectorILNS1_17partition_subalgoE4EjNS0_10empty_typeEbEEZZNS1_14partition_implILS8_4ELb0ES6_15HIP_vector_typeIjLj2EENS0_17counting_iteratorIjlEEPS9_SG_NS0_5tupleIJPjSI_NS0_16reverse_iteratorISI_EEEEENSH_IJSG_SG_SG_EEES9_SI_JZNS1_25segmented_radix_sort_implINS0_14default_configELb0EPKdPdPKlPlN2at6native12_GLOBAL__N_18offset_tEEE10hipError_tPvRmT1_PNSt15iterator_traitsIS12_E10value_typeET2_T3_PNS13_IS18_E10value_typeET4_jRbjT5_S1E_jjP12ihipStream_tbEUljE_ZNSN_ISO_Lb0ESQ_SR_ST_SU_SY_EESZ_S10_S11_S12_S16_S17_S18_S1B_S1C_jS1D_jS1E_S1E_jjS1G_bEUljE0_EEESZ_S10_S11_S18_S1C_S1E_T6_T7_T9_mT8_S1G_bDpT10_ENKUlT_T0_E_clISt17integral_constantIbLb1EES1U_EEDaS1P_S1Q_EUlS1P_E_NS1_11comp_targetILNS1_3genE10ELNS1_11target_archE1200ELNS1_3gpuE4ELNS1_3repE0EEENS1_30default_config_static_selectorELNS0_4arch9wavefront6targetE1EEEvS12_,"axG",@progbits,_ZN7rocprim17ROCPRIM_400000_NS6detail17trampoline_kernelINS0_13select_configILj256ELj13ELNS0_17block_load_methodE3ELS4_3ELS4_3ELNS0_20block_scan_algorithmE0ELj4294967295EEENS1_25partition_config_selectorILNS1_17partition_subalgoE4EjNS0_10empty_typeEbEEZZNS1_14partition_implILS8_4ELb0ES6_15HIP_vector_typeIjLj2EENS0_17counting_iteratorIjlEEPS9_SG_NS0_5tupleIJPjSI_NS0_16reverse_iteratorISI_EEEEENSH_IJSG_SG_SG_EEES9_SI_JZNS1_25segmented_radix_sort_implINS0_14default_configELb0EPKdPdPKlPlN2at6native12_GLOBAL__N_18offset_tEEE10hipError_tPvRmT1_PNSt15iterator_traitsIS12_E10value_typeET2_T3_PNS13_IS18_E10value_typeET4_jRbjT5_S1E_jjP12ihipStream_tbEUljE_ZNSN_ISO_Lb0ESQ_SR_ST_SU_SY_EESZ_S10_S11_S12_S16_S17_S18_S1B_S1C_jS1D_jS1E_S1E_jjS1G_bEUljE0_EEESZ_S10_S11_S18_S1C_S1E_T6_T7_T9_mT8_S1G_bDpT10_ENKUlT_T0_E_clISt17integral_constantIbLb1EES1U_EEDaS1P_S1Q_EUlS1P_E_NS1_11comp_targetILNS1_3genE10ELNS1_11target_archE1200ELNS1_3gpuE4ELNS1_3repE0EEENS1_30default_config_static_selectorELNS0_4arch9wavefront6targetE1EEEvS12_,comdat
.Lfunc_end1168:
	.size	_ZN7rocprim17ROCPRIM_400000_NS6detail17trampoline_kernelINS0_13select_configILj256ELj13ELNS0_17block_load_methodE3ELS4_3ELS4_3ELNS0_20block_scan_algorithmE0ELj4294967295EEENS1_25partition_config_selectorILNS1_17partition_subalgoE4EjNS0_10empty_typeEbEEZZNS1_14partition_implILS8_4ELb0ES6_15HIP_vector_typeIjLj2EENS0_17counting_iteratorIjlEEPS9_SG_NS0_5tupleIJPjSI_NS0_16reverse_iteratorISI_EEEEENSH_IJSG_SG_SG_EEES9_SI_JZNS1_25segmented_radix_sort_implINS0_14default_configELb0EPKdPdPKlPlN2at6native12_GLOBAL__N_18offset_tEEE10hipError_tPvRmT1_PNSt15iterator_traitsIS12_E10value_typeET2_T3_PNS13_IS18_E10value_typeET4_jRbjT5_S1E_jjP12ihipStream_tbEUljE_ZNSN_ISO_Lb0ESQ_SR_ST_SU_SY_EESZ_S10_S11_S12_S16_S17_S18_S1B_S1C_jS1D_jS1E_S1E_jjS1G_bEUljE0_EEESZ_S10_S11_S18_S1C_S1E_T6_T7_T9_mT8_S1G_bDpT10_ENKUlT_T0_E_clISt17integral_constantIbLb1EES1U_EEDaS1P_S1Q_EUlS1P_E_NS1_11comp_targetILNS1_3genE10ELNS1_11target_archE1200ELNS1_3gpuE4ELNS1_3repE0EEENS1_30default_config_static_selectorELNS0_4arch9wavefront6targetE1EEEvS12_, .Lfunc_end1168-_ZN7rocprim17ROCPRIM_400000_NS6detail17trampoline_kernelINS0_13select_configILj256ELj13ELNS0_17block_load_methodE3ELS4_3ELS4_3ELNS0_20block_scan_algorithmE0ELj4294967295EEENS1_25partition_config_selectorILNS1_17partition_subalgoE4EjNS0_10empty_typeEbEEZZNS1_14partition_implILS8_4ELb0ES6_15HIP_vector_typeIjLj2EENS0_17counting_iteratorIjlEEPS9_SG_NS0_5tupleIJPjSI_NS0_16reverse_iteratorISI_EEEEENSH_IJSG_SG_SG_EEES9_SI_JZNS1_25segmented_radix_sort_implINS0_14default_configELb0EPKdPdPKlPlN2at6native12_GLOBAL__N_18offset_tEEE10hipError_tPvRmT1_PNSt15iterator_traitsIS12_E10value_typeET2_T3_PNS13_IS18_E10value_typeET4_jRbjT5_S1E_jjP12ihipStream_tbEUljE_ZNSN_ISO_Lb0ESQ_SR_ST_SU_SY_EESZ_S10_S11_S12_S16_S17_S18_S1B_S1C_jS1D_jS1E_S1E_jjS1G_bEUljE0_EEESZ_S10_S11_S18_S1C_S1E_T6_T7_T9_mT8_S1G_bDpT10_ENKUlT_T0_E_clISt17integral_constantIbLb1EES1U_EEDaS1P_S1Q_EUlS1P_E_NS1_11comp_targetILNS1_3genE10ELNS1_11target_archE1200ELNS1_3gpuE4ELNS1_3repE0EEENS1_30default_config_static_selectorELNS0_4arch9wavefront6targetE1EEEvS12_
                                        ; -- End function
	.section	.AMDGPU.csdata,"",@progbits
; Kernel info:
; codeLenInByte = 0
; NumSgprs: 4
; NumVgprs: 0
; NumAgprs: 0
; TotalNumVgprs: 0
; ScratchSize: 0
; MemoryBound: 0
; FloatMode: 240
; IeeeMode: 1
; LDSByteSize: 0 bytes/workgroup (compile time only)
; SGPRBlocks: 0
; VGPRBlocks: 0
; NumSGPRsForWavesPerEU: 4
; NumVGPRsForWavesPerEU: 1
; AccumOffset: 4
; Occupancy: 8
; WaveLimiterHint : 0
; COMPUTE_PGM_RSRC2:SCRATCH_EN: 0
; COMPUTE_PGM_RSRC2:USER_SGPR: 6
; COMPUTE_PGM_RSRC2:TRAP_HANDLER: 0
; COMPUTE_PGM_RSRC2:TGID_X_EN: 1
; COMPUTE_PGM_RSRC2:TGID_Y_EN: 0
; COMPUTE_PGM_RSRC2:TGID_Z_EN: 0
; COMPUTE_PGM_RSRC2:TIDIG_COMP_CNT: 0
; COMPUTE_PGM_RSRC3_GFX90A:ACCUM_OFFSET: 0
; COMPUTE_PGM_RSRC3_GFX90A:TG_SPLIT: 0
	.section	.text._ZN7rocprim17ROCPRIM_400000_NS6detail17trampoline_kernelINS0_13select_configILj256ELj13ELNS0_17block_load_methodE3ELS4_3ELS4_3ELNS0_20block_scan_algorithmE0ELj4294967295EEENS1_25partition_config_selectorILNS1_17partition_subalgoE4EjNS0_10empty_typeEbEEZZNS1_14partition_implILS8_4ELb0ES6_15HIP_vector_typeIjLj2EENS0_17counting_iteratorIjlEEPS9_SG_NS0_5tupleIJPjSI_NS0_16reverse_iteratorISI_EEEEENSH_IJSG_SG_SG_EEES9_SI_JZNS1_25segmented_radix_sort_implINS0_14default_configELb0EPKdPdPKlPlN2at6native12_GLOBAL__N_18offset_tEEE10hipError_tPvRmT1_PNSt15iterator_traitsIS12_E10value_typeET2_T3_PNS13_IS18_E10value_typeET4_jRbjT5_S1E_jjP12ihipStream_tbEUljE_ZNSN_ISO_Lb0ESQ_SR_ST_SU_SY_EESZ_S10_S11_S12_S16_S17_S18_S1B_S1C_jS1D_jS1E_S1E_jjS1G_bEUljE0_EEESZ_S10_S11_S18_S1C_S1E_T6_T7_T9_mT8_S1G_bDpT10_ENKUlT_T0_E_clISt17integral_constantIbLb1EES1U_EEDaS1P_S1Q_EUlS1P_E_NS1_11comp_targetILNS1_3genE9ELNS1_11target_archE1100ELNS1_3gpuE3ELNS1_3repE0EEENS1_30default_config_static_selectorELNS0_4arch9wavefront6targetE1EEEvS12_,"axG",@progbits,_ZN7rocprim17ROCPRIM_400000_NS6detail17trampoline_kernelINS0_13select_configILj256ELj13ELNS0_17block_load_methodE3ELS4_3ELS4_3ELNS0_20block_scan_algorithmE0ELj4294967295EEENS1_25partition_config_selectorILNS1_17partition_subalgoE4EjNS0_10empty_typeEbEEZZNS1_14partition_implILS8_4ELb0ES6_15HIP_vector_typeIjLj2EENS0_17counting_iteratorIjlEEPS9_SG_NS0_5tupleIJPjSI_NS0_16reverse_iteratorISI_EEEEENSH_IJSG_SG_SG_EEES9_SI_JZNS1_25segmented_radix_sort_implINS0_14default_configELb0EPKdPdPKlPlN2at6native12_GLOBAL__N_18offset_tEEE10hipError_tPvRmT1_PNSt15iterator_traitsIS12_E10value_typeET2_T3_PNS13_IS18_E10value_typeET4_jRbjT5_S1E_jjP12ihipStream_tbEUljE_ZNSN_ISO_Lb0ESQ_SR_ST_SU_SY_EESZ_S10_S11_S12_S16_S17_S18_S1B_S1C_jS1D_jS1E_S1E_jjS1G_bEUljE0_EEESZ_S10_S11_S18_S1C_S1E_T6_T7_T9_mT8_S1G_bDpT10_ENKUlT_T0_E_clISt17integral_constantIbLb1EES1U_EEDaS1P_S1Q_EUlS1P_E_NS1_11comp_targetILNS1_3genE9ELNS1_11target_archE1100ELNS1_3gpuE3ELNS1_3repE0EEENS1_30default_config_static_selectorELNS0_4arch9wavefront6targetE1EEEvS12_,comdat
	.globl	_ZN7rocprim17ROCPRIM_400000_NS6detail17trampoline_kernelINS0_13select_configILj256ELj13ELNS0_17block_load_methodE3ELS4_3ELS4_3ELNS0_20block_scan_algorithmE0ELj4294967295EEENS1_25partition_config_selectorILNS1_17partition_subalgoE4EjNS0_10empty_typeEbEEZZNS1_14partition_implILS8_4ELb0ES6_15HIP_vector_typeIjLj2EENS0_17counting_iteratorIjlEEPS9_SG_NS0_5tupleIJPjSI_NS0_16reverse_iteratorISI_EEEEENSH_IJSG_SG_SG_EEES9_SI_JZNS1_25segmented_radix_sort_implINS0_14default_configELb0EPKdPdPKlPlN2at6native12_GLOBAL__N_18offset_tEEE10hipError_tPvRmT1_PNSt15iterator_traitsIS12_E10value_typeET2_T3_PNS13_IS18_E10value_typeET4_jRbjT5_S1E_jjP12ihipStream_tbEUljE_ZNSN_ISO_Lb0ESQ_SR_ST_SU_SY_EESZ_S10_S11_S12_S16_S17_S18_S1B_S1C_jS1D_jS1E_S1E_jjS1G_bEUljE0_EEESZ_S10_S11_S18_S1C_S1E_T6_T7_T9_mT8_S1G_bDpT10_ENKUlT_T0_E_clISt17integral_constantIbLb1EES1U_EEDaS1P_S1Q_EUlS1P_E_NS1_11comp_targetILNS1_3genE9ELNS1_11target_archE1100ELNS1_3gpuE3ELNS1_3repE0EEENS1_30default_config_static_selectorELNS0_4arch9wavefront6targetE1EEEvS12_ ; -- Begin function _ZN7rocprim17ROCPRIM_400000_NS6detail17trampoline_kernelINS0_13select_configILj256ELj13ELNS0_17block_load_methodE3ELS4_3ELS4_3ELNS0_20block_scan_algorithmE0ELj4294967295EEENS1_25partition_config_selectorILNS1_17partition_subalgoE4EjNS0_10empty_typeEbEEZZNS1_14partition_implILS8_4ELb0ES6_15HIP_vector_typeIjLj2EENS0_17counting_iteratorIjlEEPS9_SG_NS0_5tupleIJPjSI_NS0_16reverse_iteratorISI_EEEEENSH_IJSG_SG_SG_EEES9_SI_JZNS1_25segmented_radix_sort_implINS0_14default_configELb0EPKdPdPKlPlN2at6native12_GLOBAL__N_18offset_tEEE10hipError_tPvRmT1_PNSt15iterator_traitsIS12_E10value_typeET2_T3_PNS13_IS18_E10value_typeET4_jRbjT5_S1E_jjP12ihipStream_tbEUljE_ZNSN_ISO_Lb0ESQ_SR_ST_SU_SY_EESZ_S10_S11_S12_S16_S17_S18_S1B_S1C_jS1D_jS1E_S1E_jjS1G_bEUljE0_EEESZ_S10_S11_S18_S1C_S1E_T6_T7_T9_mT8_S1G_bDpT10_ENKUlT_T0_E_clISt17integral_constantIbLb1EES1U_EEDaS1P_S1Q_EUlS1P_E_NS1_11comp_targetILNS1_3genE9ELNS1_11target_archE1100ELNS1_3gpuE3ELNS1_3repE0EEENS1_30default_config_static_selectorELNS0_4arch9wavefront6targetE1EEEvS12_
	.p2align	8
	.type	_ZN7rocprim17ROCPRIM_400000_NS6detail17trampoline_kernelINS0_13select_configILj256ELj13ELNS0_17block_load_methodE3ELS4_3ELS4_3ELNS0_20block_scan_algorithmE0ELj4294967295EEENS1_25partition_config_selectorILNS1_17partition_subalgoE4EjNS0_10empty_typeEbEEZZNS1_14partition_implILS8_4ELb0ES6_15HIP_vector_typeIjLj2EENS0_17counting_iteratorIjlEEPS9_SG_NS0_5tupleIJPjSI_NS0_16reverse_iteratorISI_EEEEENSH_IJSG_SG_SG_EEES9_SI_JZNS1_25segmented_radix_sort_implINS0_14default_configELb0EPKdPdPKlPlN2at6native12_GLOBAL__N_18offset_tEEE10hipError_tPvRmT1_PNSt15iterator_traitsIS12_E10value_typeET2_T3_PNS13_IS18_E10value_typeET4_jRbjT5_S1E_jjP12ihipStream_tbEUljE_ZNSN_ISO_Lb0ESQ_SR_ST_SU_SY_EESZ_S10_S11_S12_S16_S17_S18_S1B_S1C_jS1D_jS1E_S1E_jjS1G_bEUljE0_EEESZ_S10_S11_S18_S1C_S1E_T6_T7_T9_mT8_S1G_bDpT10_ENKUlT_T0_E_clISt17integral_constantIbLb1EES1U_EEDaS1P_S1Q_EUlS1P_E_NS1_11comp_targetILNS1_3genE9ELNS1_11target_archE1100ELNS1_3gpuE3ELNS1_3repE0EEENS1_30default_config_static_selectorELNS0_4arch9wavefront6targetE1EEEvS12_,@function
_ZN7rocprim17ROCPRIM_400000_NS6detail17trampoline_kernelINS0_13select_configILj256ELj13ELNS0_17block_load_methodE3ELS4_3ELS4_3ELNS0_20block_scan_algorithmE0ELj4294967295EEENS1_25partition_config_selectorILNS1_17partition_subalgoE4EjNS0_10empty_typeEbEEZZNS1_14partition_implILS8_4ELb0ES6_15HIP_vector_typeIjLj2EENS0_17counting_iteratorIjlEEPS9_SG_NS0_5tupleIJPjSI_NS0_16reverse_iteratorISI_EEEEENSH_IJSG_SG_SG_EEES9_SI_JZNS1_25segmented_radix_sort_implINS0_14default_configELb0EPKdPdPKlPlN2at6native12_GLOBAL__N_18offset_tEEE10hipError_tPvRmT1_PNSt15iterator_traitsIS12_E10value_typeET2_T3_PNS13_IS18_E10value_typeET4_jRbjT5_S1E_jjP12ihipStream_tbEUljE_ZNSN_ISO_Lb0ESQ_SR_ST_SU_SY_EESZ_S10_S11_S12_S16_S17_S18_S1B_S1C_jS1D_jS1E_S1E_jjS1G_bEUljE0_EEESZ_S10_S11_S18_S1C_S1E_T6_T7_T9_mT8_S1G_bDpT10_ENKUlT_T0_E_clISt17integral_constantIbLb1EES1U_EEDaS1P_S1Q_EUlS1P_E_NS1_11comp_targetILNS1_3genE9ELNS1_11target_archE1100ELNS1_3gpuE3ELNS1_3repE0EEENS1_30default_config_static_selectorELNS0_4arch9wavefront6targetE1EEEvS12_: ; @_ZN7rocprim17ROCPRIM_400000_NS6detail17trampoline_kernelINS0_13select_configILj256ELj13ELNS0_17block_load_methodE3ELS4_3ELS4_3ELNS0_20block_scan_algorithmE0ELj4294967295EEENS1_25partition_config_selectorILNS1_17partition_subalgoE4EjNS0_10empty_typeEbEEZZNS1_14partition_implILS8_4ELb0ES6_15HIP_vector_typeIjLj2EENS0_17counting_iteratorIjlEEPS9_SG_NS0_5tupleIJPjSI_NS0_16reverse_iteratorISI_EEEEENSH_IJSG_SG_SG_EEES9_SI_JZNS1_25segmented_radix_sort_implINS0_14default_configELb0EPKdPdPKlPlN2at6native12_GLOBAL__N_18offset_tEEE10hipError_tPvRmT1_PNSt15iterator_traitsIS12_E10value_typeET2_T3_PNS13_IS18_E10value_typeET4_jRbjT5_S1E_jjP12ihipStream_tbEUljE_ZNSN_ISO_Lb0ESQ_SR_ST_SU_SY_EESZ_S10_S11_S12_S16_S17_S18_S1B_S1C_jS1D_jS1E_S1E_jjS1G_bEUljE0_EEESZ_S10_S11_S18_S1C_S1E_T6_T7_T9_mT8_S1G_bDpT10_ENKUlT_T0_E_clISt17integral_constantIbLb1EES1U_EEDaS1P_S1Q_EUlS1P_E_NS1_11comp_targetILNS1_3genE9ELNS1_11target_archE1100ELNS1_3gpuE3ELNS1_3repE0EEENS1_30default_config_static_selectorELNS0_4arch9wavefront6targetE1EEEvS12_
; %bb.0:
	.section	.rodata,"a",@progbits
	.p2align	6, 0x0
	.amdhsa_kernel _ZN7rocprim17ROCPRIM_400000_NS6detail17trampoline_kernelINS0_13select_configILj256ELj13ELNS0_17block_load_methodE3ELS4_3ELS4_3ELNS0_20block_scan_algorithmE0ELj4294967295EEENS1_25partition_config_selectorILNS1_17partition_subalgoE4EjNS0_10empty_typeEbEEZZNS1_14partition_implILS8_4ELb0ES6_15HIP_vector_typeIjLj2EENS0_17counting_iteratorIjlEEPS9_SG_NS0_5tupleIJPjSI_NS0_16reverse_iteratorISI_EEEEENSH_IJSG_SG_SG_EEES9_SI_JZNS1_25segmented_radix_sort_implINS0_14default_configELb0EPKdPdPKlPlN2at6native12_GLOBAL__N_18offset_tEEE10hipError_tPvRmT1_PNSt15iterator_traitsIS12_E10value_typeET2_T3_PNS13_IS18_E10value_typeET4_jRbjT5_S1E_jjP12ihipStream_tbEUljE_ZNSN_ISO_Lb0ESQ_SR_ST_SU_SY_EESZ_S10_S11_S12_S16_S17_S18_S1B_S1C_jS1D_jS1E_S1E_jjS1G_bEUljE0_EEESZ_S10_S11_S18_S1C_S1E_T6_T7_T9_mT8_S1G_bDpT10_ENKUlT_T0_E_clISt17integral_constantIbLb1EES1U_EEDaS1P_S1Q_EUlS1P_E_NS1_11comp_targetILNS1_3genE9ELNS1_11target_archE1100ELNS1_3gpuE3ELNS1_3repE0EEENS1_30default_config_static_selectorELNS0_4arch9wavefront6targetE1EEEvS12_
		.amdhsa_group_segment_fixed_size 0
		.amdhsa_private_segment_fixed_size 0
		.amdhsa_kernarg_size 184
		.amdhsa_user_sgpr_count 6
		.amdhsa_user_sgpr_private_segment_buffer 1
		.amdhsa_user_sgpr_dispatch_ptr 0
		.amdhsa_user_sgpr_queue_ptr 0
		.amdhsa_user_sgpr_kernarg_segment_ptr 1
		.amdhsa_user_sgpr_dispatch_id 0
		.amdhsa_user_sgpr_flat_scratch_init 0
		.amdhsa_user_sgpr_kernarg_preload_length 0
		.amdhsa_user_sgpr_kernarg_preload_offset 0
		.amdhsa_user_sgpr_private_segment_size 0
		.amdhsa_uses_dynamic_stack 0
		.amdhsa_system_sgpr_private_segment_wavefront_offset 0
		.amdhsa_system_sgpr_workgroup_id_x 1
		.amdhsa_system_sgpr_workgroup_id_y 0
		.amdhsa_system_sgpr_workgroup_id_z 0
		.amdhsa_system_sgpr_workgroup_info 0
		.amdhsa_system_vgpr_workitem_id 0
		.amdhsa_next_free_vgpr 1
		.amdhsa_next_free_sgpr 0
		.amdhsa_accum_offset 4
		.amdhsa_reserve_vcc 0
		.amdhsa_reserve_flat_scratch 0
		.amdhsa_float_round_mode_32 0
		.amdhsa_float_round_mode_16_64 0
		.amdhsa_float_denorm_mode_32 3
		.amdhsa_float_denorm_mode_16_64 3
		.amdhsa_dx10_clamp 1
		.amdhsa_ieee_mode 1
		.amdhsa_fp16_overflow 0
		.amdhsa_tg_split 0
		.amdhsa_exception_fp_ieee_invalid_op 0
		.amdhsa_exception_fp_denorm_src 0
		.amdhsa_exception_fp_ieee_div_zero 0
		.amdhsa_exception_fp_ieee_overflow 0
		.amdhsa_exception_fp_ieee_underflow 0
		.amdhsa_exception_fp_ieee_inexact 0
		.amdhsa_exception_int_div_zero 0
	.end_amdhsa_kernel
	.section	.text._ZN7rocprim17ROCPRIM_400000_NS6detail17trampoline_kernelINS0_13select_configILj256ELj13ELNS0_17block_load_methodE3ELS4_3ELS4_3ELNS0_20block_scan_algorithmE0ELj4294967295EEENS1_25partition_config_selectorILNS1_17partition_subalgoE4EjNS0_10empty_typeEbEEZZNS1_14partition_implILS8_4ELb0ES6_15HIP_vector_typeIjLj2EENS0_17counting_iteratorIjlEEPS9_SG_NS0_5tupleIJPjSI_NS0_16reverse_iteratorISI_EEEEENSH_IJSG_SG_SG_EEES9_SI_JZNS1_25segmented_radix_sort_implINS0_14default_configELb0EPKdPdPKlPlN2at6native12_GLOBAL__N_18offset_tEEE10hipError_tPvRmT1_PNSt15iterator_traitsIS12_E10value_typeET2_T3_PNS13_IS18_E10value_typeET4_jRbjT5_S1E_jjP12ihipStream_tbEUljE_ZNSN_ISO_Lb0ESQ_SR_ST_SU_SY_EESZ_S10_S11_S12_S16_S17_S18_S1B_S1C_jS1D_jS1E_S1E_jjS1G_bEUljE0_EEESZ_S10_S11_S18_S1C_S1E_T6_T7_T9_mT8_S1G_bDpT10_ENKUlT_T0_E_clISt17integral_constantIbLb1EES1U_EEDaS1P_S1Q_EUlS1P_E_NS1_11comp_targetILNS1_3genE9ELNS1_11target_archE1100ELNS1_3gpuE3ELNS1_3repE0EEENS1_30default_config_static_selectorELNS0_4arch9wavefront6targetE1EEEvS12_,"axG",@progbits,_ZN7rocprim17ROCPRIM_400000_NS6detail17trampoline_kernelINS0_13select_configILj256ELj13ELNS0_17block_load_methodE3ELS4_3ELS4_3ELNS0_20block_scan_algorithmE0ELj4294967295EEENS1_25partition_config_selectorILNS1_17partition_subalgoE4EjNS0_10empty_typeEbEEZZNS1_14partition_implILS8_4ELb0ES6_15HIP_vector_typeIjLj2EENS0_17counting_iteratorIjlEEPS9_SG_NS0_5tupleIJPjSI_NS0_16reverse_iteratorISI_EEEEENSH_IJSG_SG_SG_EEES9_SI_JZNS1_25segmented_radix_sort_implINS0_14default_configELb0EPKdPdPKlPlN2at6native12_GLOBAL__N_18offset_tEEE10hipError_tPvRmT1_PNSt15iterator_traitsIS12_E10value_typeET2_T3_PNS13_IS18_E10value_typeET4_jRbjT5_S1E_jjP12ihipStream_tbEUljE_ZNSN_ISO_Lb0ESQ_SR_ST_SU_SY_EESZ_S10_S11_S12_S16_S17_S18_S1B_S1C_jS1D_jS1E_S1E_jjS1G_bEUljE0_EEESZ_S10_S11_S18_S1C_S1E_T6_T7_T9_mT8_S1G_bDpT10_ENKUlT_T0_E_clISt17integral_constantIbLb1EES1U_EEDaS1P_S1Q_EUlS1P_E_NS1_11comp_targetILNS1_3genE9ELNS1_11target_archE1100ELNS1_3gpuE3ELNS1_3repE0EEENS1_30default_config_static_selectorELNS0_4arch9wavefront6targetE1EEEvS12_,comdat
.Lfunc_end1169:
	.size	_ZN7rocprim17ROCPRIM_400000_NS6detail17trampoline_kernelINS0_13select_configILj256ELj13ELNS0_17block_load_methodE3ELS4_3ELS4_3ELNS0_20block_scan_algorithmE0ELj4294967295EEENS1_25partition_config_selectorILNS1_17partition_subalgoE4EjNS0_10empty_typeEbEEZZNS1_14partition_implILS8_4ELb0ES6_15HIP_vector_typeIjLj2EENS0_17counting_iteratorIjlEEPS9_SG_NS0_5tupleIJPjSI_NS0_16reverse_iteratorISI_EEEEENSH_IJSG_SG_SG_EEES9_SI_JZNS1_25segmented_radix_sort_implINS0_14default_configELb0EPKdPdPKlPlN2at6native12_GLOBAL__N_18offset_tEEE10hipError_tPvRmT1_PNSt15iterator_traitsIS12_E10value_typeET2_T3_PNS13_IS18_E10value_typeET4_jRbjT5_S1E_jjP12ihipStream_tbEUljE_ZNSN_ISO_Lb0ESQ_SR_ST_SU_SY_EESZ_S10_S11_S12_S16_S17_S18_S1B_S1C_jS1D_jS1E_S1E_jjS1G_bEUljE0_EEESZ_S10_S11_S18_S1C_S1E_T6_T7_T9_mT8_S1G_bDpT10_ENKUlT_T0_E_clISt17integral_constantIbLb1EES1U_EEDaS1P_S1Q_EUlS1P_E_NS1_11comp_targetILNS1_3genE9ELNS1_11target_archE1100ELNS1_3gpuE3ELNS1_3repE0EEENS1_30default_config_static_selectorELNS0_4arch9wavefront6targetE1EEEvS12_, .Lfunc_end1169-_ZN7rocprim17ROCPRIM_400000_NS6detail17trampoline_kernelINS0_13select_configILj256ELj13ELNS0_17block_load_methodE3ELS4_3ELS4_3ELNS0_20block_scan_algorithmE0ELj4294967295EEENS1_25partition_config_selectorILNS1_17partition_subalgoE4EjNS0_10empty_typeEbEEZZNS1_14partition_implILS8_4ELb0ES6_15HIP_vector_typeIjLj2EENS0_17counting_iteratorIjlEEPS9_SG_NS0_5tupleIJPjSI_NS0_16reverse_iteratorISI_EEEEENSH_IJSG_SG_SG_EEES9_SI_JZNS1_25segmented_radix_sort_implINS0_14default_configELb0EPKdPdPKlPlN2at6native12_GLOBAL__N_18offset_tEEE10hipError_tPvRmT1_PNSt15iterator_traitsIS12_E10value_typeET2_T3_PNS13_IS18_E10value_typeET4_jRbjT5_S1E_jjP12ihipStream_tbEUljE_ZNSN_ISO_Lb0ESQ_SR_ST_SU_SY_EESZ_S10_S11_S12_S16_S17_S18_S1B_S1C_jS1D_jS1E_S1E_jjS1G_bEUljE0_EEESZ_S10_S11_S18_S1C_S1E_T6_T7_T9_mT8_S1G_bDpT10_ENKUlT_T0_E_clISt17integral_constantIbLb1EES1U_EEDaS1P_S1Q_EUlS1P_E_NS1_11comp_targetILNS1_3genE9ELNS1_11target_archE1100ELNS1_3gpuE3ELNS1_3repE0EEENS1_30default_config_static_selectorELNS0_4arch9wavefront6targetE1EEEvS12_
                                        ; -- End function
	.section	.AMDGPU.csdata,"",@progbits
; Kernel info:
; codeLenInByte = 0
; NumSgprs: 4
; NumVgprs: 0
; NumAgprs: 0
; TotalNumVgprs: 0
; ScratchSize: 0
; MemoryBound: 0
; FloatMode: 240
; IeeeMode: 1
; LDSByteSize: 0 bytes/workgroup (compile time only)
; SGPRBlocks: 0
; VGPRBlocks: 0
; NumSGPRsForWavesPerEU: 4
; NumVGPRsForWavesPerEU: 1
; AccumOffset: 4
; Occupancy: 8
; WaveLimiterHint : 0
; COMPUTE_PGM_RSRC2:SCRATCH_EN: 0
; COMPUTE_PGM_RSRC2:USER_SGPR: 6
; COMPUTE_PGM_RSRC2:TRAP_HANDLER: 0
; COMPUTE_PGM_RSRC2:TGID_X_EN: 1
; COMPUTE_PGM_RSRC2:TGID_Y_EN: 0
; COMPUTE_PGM_RSRC2:TGID_Z_EN: 0
; COMPUTE_PGM_RSRC2:TIDIG_COMP_CNT: 0
; COMPUTE_PGM_RSRC3_GFX90A:ACCUM_OFFSET: 0
; COMPUTE_PGM_RSRC3_GFX90A:TG_SPLIT: 0
	.section	.text._ZN7rocprim17ROCPRIM_400000_NS6detail17trampoline_kernelINS0_13select_configILj256ELj13ELNS0_17block_load_methodE3ELS4_3ELS4_3ELNS0_20block_scan_algorithmE0ELj4294967295EEENS1_25partition_config_selectorILNS1_17partition_subalgoE4EjNS0_10empty_typeEbEEZZNS1_14partition_implILS8_4ELb0ES6_15HIP_vector_typeIjLj2EENS0_17counting_iteratorIjlEEPS9_SG_NS0_5tupleIJPjSI_NS0_16reverse_iteratorISI_EEEEENSH_IJSG_SG_SG_EEES9_SI_JZNS1_25segmented_radix_sort_implINS0_14default_configELb0EPKdPdPKlPlN2at6native12_GLOBAL__N_18offset_tEEE10hipError_tPvRmT1_PNSt15iterator_traitsIS12_E10value_typeET2_T3_PNS13_IS18_E10value_typeET4_jRbjT5_S1E_jjP12ihipStream_tbEUljE_ZNSN_ISO_Lb0ESQ_SR_ST_SU_SY_EESZ_S10_S11_S12_S16_S17_S18_S1B_S1C_jS1D_jS1E_S1E_jjS1G_bEUljE0_EEESZ_S10_S11_S18_S1C_S1E_T6_T7_T9_mT8_S1G_bDpT10_ENKUlT_T0_E_clISt17integral_constantIbLb1EES1U_EEDaS1P_S1Q_EUlS1P_E_NS1_11comp_targetILNS1_3genE8ELNS1_11target_archE1030ELNS1_3gpuE2ELNS1_3repE0EEENS1_30default_config_static_selectorELNS0_4arch9wavefront6targetE1EEEvS12_,"axG",@progbits,_ZN7rocprim17ROCPRIM_400000_NS6detail17trampoline_kernelINS0_13select_configILj256ELj13ELNS0_17block_load_methodE3ELS4_3ELS4_3ELNS0_20block_scan_algorithmE0ELj4294967295EEENS1_25partition_config_selectorILNS1_17partition_subalgoE4EjNS0_10empty_typeEbEEZZNS1_14partition_implILS8_4ELb0ES6_15HIP_vector_typeIjLj2EENS0_17counting_iteratorIjlEEPS9_SG_NS0_5tupleIJPjSI_NS0_16reverse_iteratorISI_EEEEENSH_IJSG_SG_SG_EEES9_SI_JZNS1_25segmented_radix_sort_implINS0_14default_configELb0EPKdPdPKlPlN2at6native12_GLOBAL__N_18offset_tEEE10hipError_tPvRmT1_PNSt15iterator_traitsIS12_E10value_typeET2_T3_PNS13_IS18_E10value_typeET4_jRbjT5_S1E_jjP12ihipStream_tbEUljE_ZNSN_ISO_Lb0ESQ_SR_ST_SU_SY_EESZ_S10_S11_S12_S16_S17_S18_S1B_S1C_jS1D_jS1E_S1E_jjS1G_bEUljE0_EEESZ_S10_S11_S18_S1C_S1E_T6_T7_T9_mT8_S1G_bDpT10_ENKUlT_T0_E_clISt17integral_constantIbLb1EES1U_EEDaS1P_S1Q_EUlS1P_E_NS1_11comp_targetILNS1_3genE8ELNS1_11target_archE1030ELNS1_3gpuE2ELNS1_3repE0EEENS1_30default_config_static_selectorELNS0_4arch9wavefront6targetE1EEEvS12_,comdat
	.globl	_ZN7rocprim17ROCPRIM_400000_NS6detail17trampoline_kernelINS0_13select_configILj256ELj13ELNS0_17block_load_methodE3ELS4_3ELS4_3ELNS0_20block_scan_algorithmE0ELj4294967295EEENS1_25partition_config_selectorILNS1_17partition_subalgoE4EjNS0_10empty_typeEbEEZZNS1_14partition_implILS8_4ELb0ES6_15HIP_vector_typeIjLj2EENS0_17counting_iteratorIjlEEPS9_SG_NS0_5tupleIJPjSI_NS0_16reverse_iteratorISI_EEEEENSH_IJSG_SG_SG_EEES9_SI_JZNS1_25segmented_radix_sort_implINS0_14default_configELb0EPKdPdPKlPlN2at6native12_GLOBAL__N_18offset_tEEE10hipError_tPvRmT1_PNSt15iterator_traitsIS12_E10value_typeET2_T3_PNS13_IS18_E10value_typeET4_jRbjT5_S1E_jjP12ihipStream_tbEUljE_ZNSN_ISO_Lb0ESQ_SR_ST_SU_SY_EESZ_S10_S11_S12_S16_S17_S18_S1B_S1C_jS1D_jS1E_S1E_jjS1G_bEUljE0_EEESZ_S10_S11_S18_S1C_S1E_T6_T7_T9_mT8_S1G_bDpT10_ENKUlT_T0_E_clISt17integral_constantIbLb1EES1U_EEDaS1P_S1Q_EUlS1P_E_NS1_11comp_targetILNS1_3genE8ELNS1_11target_archE1030ELNS1_3gpuE2ELNS1_3repE0EEENS1_30default_config_static_selectorELNS0_4arch9wavefront6targetE1EEEvS12_ ; -- Begin function _ZN7rocprim17ROCPRIM_400000_NS6detail17trampoline_kernelINS0_13select_configILj256ELj13ELNS0_17block_load_methodE3ELS4_3ELS4_3ELNS0_20block_scan_algorithmE0ELj4294967295EEENS1_25partition_config_selectorILNS1_17partition_subalgoE4EjNS0_10empty_typeEbEEZZNS1_14partition_implILS8_4ELb0ES6_15HIP_vector_typeIjLj2EENS0_17counting_iteratorIjlEEPS9_SG_NS0_5tupleIJPjSI_NS0_16reverse_iteratorISI_EEEEENSH_IJSG_SG_SG_EEES9_SI_JZNS1_25segmented_radix_sort_implINS0_14default_configELb0EPKdPdPKlPlN2at6native12_GLOBAL__N_18offset_tEEE10hipError_tPvRmT1_PNSt15iterator_traitsIS12_E10value_typeET2_T3_PNS13_IS18_E10value_typeET4_jRbjT5_S1E_jjP12ihipStream_tbEUljE_ZNSN_ISO_Lb0ESQ_SR_ST_SU_SY_EESZ_S10_S11_S12_S16_S17_S18_S1B_S1C_jS1D_jS1E_S1E_jjS1G_bEUljE0_EEESZ_S10_S11_S18_S1C_S1E_T6_T7_T9_mT8_S1G_bDpT10_ENKUlT_T0_E_clISt17integral_constantIbLb1EES1U_EEDaS1P_S1Q_EUlS1P_E_NS1_11comp_targetILNS1_3genE8ELNS1_11target_archE1030ELNS1_3gpuE2ELNS1_3repE0EEENS1_30default_config_static_selectorELNS0_4arch9wavefront6targetE1EEEvS12_
	.p2align	8
	.type	_ZN7rocprim17ROCPRIM_400000_NS6detail17trampoline_kernelINS0_13select_configILj256ELj13ELNS0_17block_load_methodE3ELS4_3ELS4_3ELNS0_20block_scan_algorithmE0ELj4294967295EEENS1_25partition_config_selectorILNS1_17partition_subalgoE4EjNS0_10empty_typeEbEEZZNS1_14partition_implILS8_4ELb0ES6_15HIP_vector_typeIjLj2EENS0_17counting_iteratorIjlEEPS9_SG_NS0_5tupleIJPjSI_NS0_16reverse_iteratorISI_EEEEENSH_IJSG_SG_SG_EEES9_SI_JZNS1_25segmented_radix_sort_implINS0_14default_configELb0EPKdPdPKlPlN2at6native12_GLOBAL__N_18offset_tEEE10hipError_tPvRmT1_PNSt15iterator_traitsIS12_E10value_typeET2_T3_PNS13_IS18_E10value_typeET4_jRbjT5_S1E_jjP12ihipStream_tbEUljE_ZNSN_ISO_Lb0ESQ_SR_ST_SU_SY_EESZ_S10_S11_S12_S16_S17_S18_S1B_S1C_jS1D_jS1E_S1E_jjS1G_bEUljE0_EEESZ_S10_S11_S18_S1C_S1E_T6_T7_T9_mT8_S1G_bDpT10_ENKUlT_T0_E_clISt17integral_constantIbLb1EES1U_EEDaS1P_S1Q_EUlS1P_E_NS1_11comp_targetILNS1_3genE8ELNS1_11target_archE1030ELNS1_3gpuE2ELNS1_3repE0EEENS1_30default_config_static_selectorELNS0_4arch9wavefront6targetE1EEEvS12_,@function
_ZN7rocprim17ROCPRIM_400000_NS6detail17trampoline_kernelINS0_13select_configILj256ELj13ELNS0_17block_load_methodE3ELS4_3ELS4_3ELNS0_20block_scan_algorithmE0ELj4294967295EEENS1_25partition_config_selectorILNS1_17partition_subalgoE4EjNS0_10empty_typeEbEEZZNS1_14partition_implILS8_4ELb0ES6_15HIP_vector_typeIjLj2EENS0_17counting_iteratorIjlEEPS9_SG_NS0_5tupleIJPjSI_NS0_16reverse_iteratorISI_EEEEENSH_IJSG_SG_SG_EEES9_SI_JZNS1_25segmented_radix_sort_implINS0_14default_configELb0EPKdPdPKlPlN2at6native12_GLOBAL__N_18offset_tEEE10hipError_tPvRmT1_PNSt15iterator_traitsIS12_E10value_typeET2_T3_PNS13_IS18_E10value_typeET4_jRbjT5_S1E_jjP12ihipStream_tbEUljE_ZNSN_ISO_Lb0ESQ_SR_ST_SU_SY_EESZ_S10_S11_S12_S16_S17_S18_S1B_S1C_jS1D_jS1E_S1E_jjS1G_bEUljE0_EEESZ_S10_S11_S18_S1C_S1E_T6_T7_T9_mT8_S1G_bDpT10_ENKUlT_T0_E_clISt17integral_constantIbLb1EES1U_EEDaS1P_S1Q_EUlS1P_E_NS1_11comp_targetILNS1_3genE8ELNS1_11target_archE1030ELNS1_3gpuE2ELNS1_3repE0EEENS1_30default_config_static_selectorELNS0_4arch9wavefront6targetE1EEEvS12_: ; @_ZN7rocprim17ROCPRIM_400000_NS6detail17trampoline_kernelINS0_13select_configILj256ELj13ELNS0_17block_load_methodE3ELS4_3ELS4_3ELNS0_20block_scan_algorithmE0ELj4294967295EEENS1_25partition_config_selectorILNS1_17partition_subalgoE4EjNS0_10empty_typeEbEEZZNS1_14partition_implILS8_4ELb0ES6_15HIP_vector_typeIjLj2EENS0_17counting_iteratorIjlEEPS9_SG_NS0_5tupleIJPjSI_NS0_16reverse_iteratorISI_EEEEENSH_IJSG_SG_SG_EEES9_SI_JZNS1_25segmented_radix_sort_implINS0_14default_configELb0EPKdPdPKlPlN2at6native12_GLOBAL__N_18offset_tEEE10hipError_tPvRmT1_PNSt15iterator_traitsIS12_E10value_typeET2_T3_PNS13_IS18_E10value_typeET4_jRbjT5_S1E_jjP12ihipStream_tbEUljE_ZNSN_ISO_Lb0ESQ_SR_ST_SU_SY_EESZ_S10_S11_S12_S16_S17_S18_S1B_S1C_jS1D_jS1E_S1E_jjS1G_bEUljE0_EEESZ_S10_S11_S18_S1C_S1E_T6_T7_T9_mT8_S1G_bDpT10_ENKUlT_T0_E_clISt17integral_constantIbLb1EES1U_EEDaS1P_S1Q_EUlS1P_E_NS1_11comp_targetILNS1_3genE8ELNS1_11target_archE1030ELNS1_3gpuE2ELNS1_3repE0EEENS1_30default_config_static_selectorELNS0_4arch9wavefront6targetE1EEEvS12_
; %bb.0:
	.section	.rodata,"a",@progbits
	.p2align	6, 0x0
	.amdhsa_kernel _ZN7rocprim17ROCPRIM_400000_NS6detail17trampoline_kernelINS0_13select_configILj256ELj13ELNS0_17block_load_methodE3ELS4_3ELS4_3ELNS0_20block_scan_algorithmE0ELj4294967295EEENS1_25partition_config_selectorILNS1_17partition_subalgoE4EjNS0_10empty_typeEbEEZZNS1_14partition_implILS8_4ELb0ES6_15HIP_vector_typeIjLj2EENS0_17counting_iteratorIjlEEPS9_SG_NS0_5tupleIJPjSI_NS0_16reverse_iteratorISI_EEEEENSH_IJSG_SG_SG_EEES9_SI_JZNS1_25segmented_radix_sort_implINS0_14default_configELb0EPKdPdPKlPlN2at6native12_GLOBAL__N_18offset_tEEE10hipError_tPvRmT1_PNSt15iterator_traitsIS12_E10value_typeET2_T3_PNS13_IS18_E10value_typeET4_jRbjT5_S1E_jjP12ihipStream_tbEUljE_ZNSN_ISO_Lb0ESQ_SR_ST_SU_SY_EESZ_S10_S11_S12_S16_S17_S18_S1B_S1C_jS1D_jS1E_S1E_jjS1G_bEUljE0_EEESZ_S10_S11_S18_S1C_S1E_T6_T7_T9_mT8_S1G_bDpT10_ENKUlT_T0_E_clISt17integral_constantIbLb1EES1U_EEDaS1P_S1Q_EUlS1P_E_NS1_11comp_targetILNS1_3genE8ELNS1_11target_archE1030ELNS1_3gpuE2ELNS1_3repE0EEENS1_30default_config_static_selectorELNS0_4arch9wavefront6targetE1EEEvS12_
		.amdhsa_group_segment_fixed_size 0
		.amdhsa_private_segment_fixed_size 0
		.amdhsa_kernarg_size 184
		.amdhsa_user_sgpr_count 6
		.amdhsa_user_sgpr_private_segment_buffer 1
		.amdhsa_user_sgpr_dispatch_ptr 0
		.amdhsa_user_sgpr_queue_ptr 0
		.amdhsa_user_sgpr_kernarg_segment_ptr 1
		.amdhsa_user_sgpr_dispatch_id 0
		.amdhsa_user_sgpr_flat_scratch_init 0
		.amdhsa_user_sgpr_kernarg_preload_length 0
		.amdhsa_user_sgpr_kernarg_preload_offset 0
		.amdhsa_user_sgpr_private_segment_size 0
		.amdhsa_uses_dynamic_stack 0
		.amdhsa_system_sgpr_private_segment_wavefront_offset 0
		.amdhsa_system_sgpr_workgroup_id_x 1
		.amdhsa_system_sgpr_workgroup_id_y 0
		.amdhsa_system_sgpr_workgroup_id_z 0
		.amdhsa_system_sgpr_workgroup_info 0
		.amdhsa_system_vgpr_workitem_id 0
		.amdhsa_next_free_vgpr 1
		.amdhsa_next_free_sgpr 0
		.amdhsa_accum_offset 4
		.amdhsa_reserve_vcc 0
		.amdhsa_reserve_flat_scratch 0
		.amdhsa_float_round_mode_32 0
		.amdhsa_float_round_mode_16_64 0
		.amdhsa_float_denorm_mode_32 3
		.amdhsa_float_denorm_mode_16_64 3
		.amdhsa_dx10_clamp 1
		.amdhsa_ieee_mode 1
		.amdhsa_fp16_overflow 0
		.amdhsa_tg_split 0
		.amdhsa_exception_fp_ieee_invalid_op 0
		.amdhsa_exception_fp_denorm_src 0
		.amdhsa_exception_fp_ieee_div_zero 0
		.amdhsa_exception_fp_ieee_overflow 0
		.amdhsa_exception_fp_ieee_underflow 0
		.amdhsa_exception_fp_ieee_inexact 0
		.amdhsa_exception_int_div_zero 0
	.end_amdhsa_kernel
	.section	.text._ZN7rocprim17ROCPRIM_400000_NS6detail17trampoline_kernelINS0_13select_configILj256ELj13ELNS0_17block_load_methodE3ELS4_3ELS4_3ELNS0_20block_scan_algorithmE0ELj4294967295EEENS1_25partition_config_selectorILNS1_17partition_subalgoE4EjNS0_10empty_typeEbEEZZNS1_14partition_implILS8_4ELb0ES6_15HIP_vector_typeIjLj2EENS0_17counting_iteratorIjlEEPS9_SG_NS0_5tupleIJPjSI_NS0_16reverse_iteratorISI_EEEEENSH_IJSG_SG_SG_EEES9_SI_JZNS1_25segmented_radix_sort_implINS0_14default_configELb0EPKdPdPKlPlN2at6native12_GLOBAL__N_18offset_tEEE10hipError_tPvRmT1_PNSt15iterator_traitsIS12_E10value_typeET2_T3_PNS13_IS18_E10value_typeET4_jRbjT5_S1E_jjP12ihipStream_tbEUljE_ZNSN_ISO_Lb0ESQ_SR_ST_SU_SY_EESZ_S10_S11_S12_S16_S17_S18_S1B_S1C_jS1D_jS1E_S1E_jjS1G_bEUljE0_EEESZ_S10_S11_S18_S1C_S1E_T6_T7_T9_mT8_S1G_bDpT10_ENKUlT_T0_E_clISt17integral_constantIbLb1EES1U_EEDaS1P_S1Q_EUlS1P_E_NS1_11comp_targetILNS1_3genE8ELNS1_11target_archE1030ELNS1_3gpuE2ELNS1_3repE0EEENS1_30default_config_static_selectorELNS0_4arch9wavefront6targetE1EEEvS12_,"axG",@progbits,_ZN7rocprim17ROCPRIM_400000_NS6detail17trampoline_kernelINS0_13select_configILj256ELj13ELNS0_17block_load_methodE3ELS4_3ELS4_3ELNS0_20block_scan_algorithmE0ELj4294967295EEENS1_25partition_config_selectorILNS1_17partition_subalgoE4EjNS0_10empty_typeEbEEZZNS1_14partition_implILS8_4ELb0ES6_15HIP_vector_typeIjLj2EENS0_17counting_iteratorIjlEEPS9_SG_NS0_5tupleIJPjSI_NS0_16reverse_iteratorISI_EEEEENSH_IJSG_SG_SG_EEES9_SI_JZNS1_25segmented_radix_sort_implINS0_14default_configELb0EPKdPdPKlPlN2at6native12_GLOBAL__N_18offset_tEEE10hipError_tPvRmT1_PNSt15iterator_traitsIS12_E10value_typeET2_T3_PNS13_IS18_E10value_typeET4_jRbjT5_S1E_jjP12ihipStream_tbEUljE_ZNSN_ISO_Lb0ESQ_SR_ST_SU_SY_EESZ_S10_S11_S12_S16_S17_S18_S1B_S1C_jS1D_jS1E_S1E_jjS1G_bEUljE0_EEESZ_S10_S11_S18_S1C_S1E_T6_T7_T9_mT8_S1G_bDpT10_ENKUlT_T0_E_clISt17integral_constantIbLb1EES1U_EEDaS1P_S1Q_EUlS1P_E_NS1_11comp_targetILNS1_3genE8ELNS1_11target_archE1030ELNS1_3gpuE2ELNS1_3repE0EEENS1_30default_config_static_selectorELNS0_4arch9wavefront6targetE1EEEvS12_,comdat
.Lfunc_end1170:
	.size	_ZN7rocprim17ROCPRIM_400000_NS6detail17trampoline_kernelINS0_13select_configILj256ELj13ELNS0_17block_load_methodE3ELS4_3ELS4_3ELNS0_20block_scan_algorithmE0ELj4294967295EEENS1_25partition_config_selectorILNS1_17partition_subalgoE4EjNS0_10empty_typeEbEEZZNS1_14partition_implILS8_4ELb0ES6_15HIP_vector_typeIjLj2EENS0_17counting_iteratorIjlEEPS9_SG_NS0_5tupleIJPjSI_NS0_16reverse_iteratorISI_EEEEENSH_IJSG_SG_SG_EEES9_SI_JZNS1_25segmented_radix_sort_implINS0_14default_configELb0EPKdPdPKlPlN2at6native12_GLOBAL__N_18offset_tEEE10hipError_tPvRmT1_PNSt15iterator_traitsIS12_E10value_typeET2_T3_PNS13_IS18_E10value_typeET4_jRbjT5_S1E_jjP12ihipStream_tbEUljE_ZNSN_ISO_Lb0ESQ_SR_ST_SU_SY_EESZ_S10_S11_S12_S16_S17_S18_S1B_S1C_jS1D_jS1E_S1E_jjS1G_bEUljE0_EEESZ_S10_S11_S18_S1C_S1E_T6_T7_T9_mT8_S1G_bDpT10_ENKUlT_T0_E_clISt17integral_constantIbLb1EES1U_EEDaS1P_S1Q_EUlS1P_E_NS1_11comp_targetILNS1_3genE8ELNS1_11target_archE1030ELNS1_3gpuE2ELNS1_3repE0EEENS1_30default_config_static_selectorELNS0_4arch9wavefront6targetE1EEEvS12_, .Lfunc_end1170-_ZN7rocprim17ROCPRIM_400000_NS6detail17trampoline_kernelINS0_13select_configILj256ELj13ELNS0_17block_load_methodE3ELS4_3ELS4_3ELNS0_20block_scan_algorithmE0ELj4294967295EEENS1_25partition_config_selectorILNS1_17partition_subalgoE4EjNS0_10empty_typeEbEEZZNS1_14partition_implILS8_4ELb0ES6_15HIP_vector_typeIjLj2EENS0_17counting_iteratorIjlEEPS9_SG_NS0_5tupleIJPjSI_NS0_16reverse_iteratorISI_EEEEENSH_IJSG_SG_SG_EEES9_SI_JZNS1_25segmented_radix_sort_implINS0_14default_configELb0EPKdPdPKlPlN2at6native12_GLOBAL__N_18offset_tEEE10hipError_tPvRmT1_PNSt15iterator_traitsIS12_E10value_typeET2_T3_PNS13_IS18_E10value_typeET4_jRbjT5_S1E_jjP12ihipStream_tbEUljE_ZNSN_ISO_Lb0ESQ_SR_ST_SU_SY_EESZ_S10_S11_S12_S16_S17_S18_S1B_S1C_jS1D_jS1E_S1E_jjS1G_bEUljE0_EEESZ_S10_S11_S18_S1C_S1E_T6_T7_T9_mT8_S1G_bDpT10_ENKUlT_T0_E_clISt17integral_constantIbLb1EES1U_EEDaS1P_S1Q_EUlS1P_E_NS1_11comp_targetILNS1_3genE8ELNS1_11target_archE1030ELNS1_3gpuE2ELNS1_3repE0EEENS1_30default_config_static_selectorELNS0_4arch9wavefront6targetE1EEEvS12_
                                        ; -- End function
	.section	.AMDGPU.csdata,"",@progbits
; Kernel info:
; codeLenInByte = 0
; NumSgprs: 4
; NumVgprs: 0
; NumAgprs: 0
; TotalNumVgprs: 0
; ScratchSize: 0
; MemoryBound: 0
; FloatMode: 240
; IeeeMode: 1
; LDSByteSize: 0 bytes/workgroup (compile time only)
; SGPRBlocks: 0
; VGPRBlocks: 0
; NumSGPRsForWavesPerEU: 4
; NumVGPRsForWavesPerEU: 1
; AccumOffset: 4
; Occupancy: 8
; WaveLimiterHint : 0
; COMPUTE_PGM_RSRC2:SCRATCH_EN: 0
; COMPUTE_PGM_RSRC2:USER_SGPR: 6
; COMPUTE_PGM_RSRC2:TRAP_HANDLER: 0
; COMPUTE_PGM_RSRC2:TGID_X_EN: 1
; COMPUTE_PGM_RSRC2:TGID_Y_EN: 0
; COMPUTE_PGM_RSRC2:TGID_Z_EN: 0
; COMPUTE_PGM_RSRC2:TIDIG_COMP_CNT: 0
; COMPUTE_PGM_RSRC3_GFX90A:ACCUM_OFFSET: 0
; COMPUTE_PGM_RSRC3_GFX90A:TG_SPLIT: 0
	.section	.text._ZN7rocprim17ROCPRIM_400000_NS6detail17trampoline_kernelINS0_13select_configILj256ELj13ELNS0_17block_load_methodE3ELS4_3ELS4_3ELNS0_20block_scan_algorithmE0ELj4294967295EEENS1_25partition_config_selectorILNS1_17partition_subalgoE4EjNS0_10empty_typeEbEEZZNS1_14partition_implILS8_4ELb0ES6_15HIP_vector_typeIjLj2EENS0_17counting_iteratorIjlEEPS9_SG_NS0_5tupleIJPjSI_NS0_16reverse_iteratorISI_EEEEENSH_IJSG_SG_SG_EEES9_SI_JZNS1_25segmented_radix_sort_implINS0_14default_configELb0EPKdPdPKlPlN2at6native12_GLOBAL__N_18offset_tEEE10hipError_tPvRmT1_PNSt15iterator_traitsIS12_E10value_typeET2_T3_PNS13_IS18_E10value_typeET4_jRbjT5_S1E_jjP12ihipStream_tbEUljE_ZNSN_ISO_Lb0ESQ_SR_ST_SU_SY_EESZ_S10_S11_S12_S16_S17_S18_S1B_S1C_jS1D_jS1E_S1E_jjS1G_bEUljE0_EEESZ_S10_S11_S18_S1C_S1E_T6_T7_T9_mT8_S1G_bDpT10_ENKUlT_T0_E_clISt17integral_constantIbLb1EES1T_IbLb0EEEEDaS1P_S1Q_EUlS1P_E_NS1_11comp_targetILNS1_3genE0ELNS1_11target_archE4294967295ELNS1_3gpuE0ELNS1_3repE0EEENS1_30default_config_static_selectorELNS0_4arch9wavefront6targetE1EEEvS12_,"axG",@progbits,_ZN7rocprim17ROCPRIM_400000_NS6detail17trampoline_kernelINS0_13select_configILj256ELj13ELNS0_17block_load_methodE3ELS4_3ELS4_3ELNS0_20block_scan_algorithmE0ELj4294967295EEENS1_25partition_config_selectorILNS1_17partition_subalgoE4EjNS0_10empty_typeEbEEZZNS1_14partition_implILS8_4ELb0ES6_15HIP_vector_typeIjLj2EENS0_17counting_iteratorIjlEEPS9_SG_NS0_5tupleIJPjSI_NS0_16reverse_iteratorISI_EEEEENSH_IJSG_SG_SG_EEES9_SI_JZNS1_25segmented_radix_sort_implINS0_14default_configELb0EPKdPdPKlPlN2at6native12_GLOBAL__N_18offset_tEEE10hipError_tPvRmT1_PNSt15iterator_traitsIS12_E10value_typeET2_T3_PNS13_IS18_E10value_typeET4_jRbjT5_S1E_jjP12ihipStream_tbEUljE_ZNSN_ISO_Lb0ESQ_SR_ST_SU_SY_EESZ_S10_S11_S12_S16_S17_S18_S1B_S1C_jS1D_jS1E_S1E_jjS1G_bEUljE0_EEESZ_S10_S11_S18_S1C_S1E_T6_T7_T9_mT8_S1G_bDpT10_ENKUlT_T0_E_clISt17integral_constantIbLb1EES1T_IbLb0EEEEDaS1P_S1Q_EUlS1P_E_NS1_11comp_targetILNS1_3genE0ELNS1_11target_archE4294967295ELNS1_3gpuE0ELNS1_3repE0EEENS1_30default_config_static_selectorELNS0_4arch9wavefront6targetE1EEEvS12_,comdat
	.globl	_ZN7rocprim17ROCPRIM_400000_NS6detail17trampoline_kernelINS0_13select_configILj256ELj13ELNS0_17block_load_methodE3ELS4_3ELS4_3ELNS0_20block_scan_algorithmE0ELj4294967295EEENS1_25partition_config_selectorILNS1_17partition_subalgoE4EjNS0_10empty_typeEbEEZZNS1_14partition_implILS8_4ELb0ES6_15HIP_vector_typeIjLj2EENS0_17counting_iteratorIjlEEPS9_SG_NS0_5tupleIJPjSI_NS0_16reverse_iteratorISI_EEEEENSH_IJSG_SG_SG_EEES9_SI_JZNS1_25segmented_radix_sort_implINS0_14default_configELb0EPKdPdPKlPlN2at6native12_GLOBAL__N_18offset_tEEE10hipError_tPvRmT1_PNSt15iterator_traitsIS12_E10value_typeET2_T3_PNS13_IS18_E10value_typeET4_jRbjT5_S1E_jjP12ihipStream_tbEUljE_ZNSN_ISO_Lb0ESQ_SR_ST_SU_SY_EESZ_S10_S11_S12_S16_S17_S18_S1B_S1C_jS1D_jS1E_S1E_jjS1G_bEUljE0_EEESZ_S10_S11_S18_S1C_S1E_T6_T7_T9_mT8_S1G_bDpT10_ENKUlT_T0_E_clISt17integral_constantIbLb1EES1T_IbLb0EEEEDaS1P_S1Q_EUlS1P_E_NS1_11comp_targetILNS1_3genE0ELNS1_11target_archE4294967295ELNS1_3gpuE0ELNS1_3repE0EEENS1_30default_config_static_selectorELNS0_4arch9wavefront6targetE1EEEvS12_ ; -- Begin function _ZN7rocprim17ROCPRIM_400000_NS6detail17trampoline_kernelINS0_13select_configILj256ELj13ELNS0_17block_load_methodE3ELS4_3ELS4_3ELNS0_20block_scan_algorithmE0ELj4294967295EEENS1_25partition_config_selectorILNS1_17partition_subalgoE4EjNS0_10empty_typeEbEEZZNS1_14partition_implILS8_4ELb0ES6_15HIP_vector_typeIjLj2EENS0_17counting_iteratorIjlEEPS9_SG_NS0_5tupleIJPjSI_NS0_16reverse_iteratorISI_EEEEENSH_IJSG_SG_SG_EEES9_SI_JZNS1_25segmented_radix_sort_implINS0_14default_configELb0EPKdPdPKlPlN2at6native12_GLOBAL__N_18offset_tEEE10hipError_tPvRmT1_PNSt15iterator_traitsIS12_E10value_typeET2_T3_PNS13_IS18_E10value_typeET4_jRbjT5_S1E_jjP12ihipStream_tbEUljE_ZNSN_ISO_Lb0ESQ_SR_ST_SU_SY_EESZ_S10_S11_S12_S16_S17_S18_S1B_S1C_jS1D_jS1E_S1E_jjS1G_bEUljE0_EEESZ_S10_S11_S18_S1C_S1E_T6_T7_T9_mT8_S1G_bDpT10_ENKUlT_T0_E_clISt17integral_constantIbLb1EES1T_IbLb0EEEEDaS1P_S1Q_EUlS1P_E_NS1_11comp_targetILNS1_3genE0ELNS1_11target_archE4294967295ELNS1_3gpuE0ELNS1_3repE0EEENS1_30default_config_static_selectorELNS0_4arch9wavefront6targetE1EEEvS12_
	.p2align	8
	.type	_ZN7rocprim17ROCPRIM_400000_NS6detail17trampoline_kernelINS0_13select_configILj256ELj13ELNS0_17block_load_methodE3ELS4_3ELS4_3ELNS0_20block_scan_algorithmE0ELj4294967295EEENS1_25partition_config_selectorILNS1_17partition_subalgoE4EjNS0_10empty_typeEbEEZZNS1_14partition_implILS8_4ELb0ES6_15HIP_vector_typeIjLj2EENS0_17counting_iteratorIjlEEPS9_SG_NS0_5tupleIJPjSI_NS0_16reverse_iteratorISI_EEEEENSH_IJSG_SG_SG_EEES9_SI_JZNS1_25segmented_radix_sort_implINS0_14default_configELb0EPKdPdPKlPlN2at6native12_GLOBAL__N_18offset_tEEE10hipError_tPvRmT1_PNSt15iterator_traitsIS12_E10value_typeET2_T3_PNS13_IS18_E10value_typeET4_jRbjT5_S1E_jjP12ihipStream_tbEUljE_ZNSN_ISO_Lb0ESQ_SR_ST_SU_SY_EESZ_S10_S11_S12_S16_S17_S18_S1B_S1C_jS1D_jS1E_S1E_jjS1G_bEUljE0_EEESZ_S10_S11_S18_S1C_S1E_T6_T7_T9_mT8_S1G_bDpT10_ENKUlT_T0_E_clISt17integral_constantIbLb1EES1T_IbLb0EEEEDaS1P_S1Q_EUlS1P_E_NS1_11comp_targetILNS1_3genE0ELNS1_11target_archE4294967295ELNS1_3gpuE0ELNS1_3repE0EEENS1_30default_config_static_selectorELNS0_4arch9wavefront6targetE1EEEvS12_,@function
_ZN7rocprim17ROCPRIM_400000_NS6detail17trampoline_kernelINS0_13select_configILj256ELj13ELNS0_17block_load_methodE3ELS4_3ELS4_3ELNS0_20block_scan_algorithmE0ELj4294967295EEENS1_25partition_config_selectorILNS1_17partition_subalgoE4EjNS0_10empty_typeEbEEZZNS1_14partition_implILS8_4ELb0ES6_15HIP_vector_typeIjLj2EENS0_17counting_iteratorIjlEEPS9_SG_NS0_5tupleIJPjSI_NS0_16reverse_iteratorISI_EEEEENSH_IJSG_SG_SG_EEES9_SI_JZNS1_25segmented_radix_sort_implINS0_14default_configELb0EPKdPdPKlPlN2at6native12_GLOBAL__N_18offset_tEEE10hipError_tPvRmT1_PNSt15iterator_traitsIS12_E10value_typeET2_T3_PNS13_IS18_E10value_typeET4_jRbjT5_S1E_jjP12ihipStream_tbEUljE_ZNSN_ISO_Lb0ESQ_SR_ST_SU_SY_EESZ_S10_S11_S12_S16_S17_S18_S1B_S1C_jS1D_jS1E_S1E_jjS1G_bEUljE0_EEESZ_S10_S11_S18_S1C_S1E_T6_T7_T9_mT8_S1G_bDpT10_ENKUlT_T0_E_clISt17integral_constantIbLb1EES1T_IbLb0EEEEDaS1P_S1Q_EUlS1P_E_NS1_11comp_targetILNS1_3genE0ELNS1_11target_archE4294967295ELNS1_3gpuE0ELNS1_3repE0EEENS1_30default_config_static_selectorELNS0_4arch9wavefront6targetE1EEEvS12_: ; @_ZN7rocprim17ROCPRIM_400000_NS6detail17trampoline_kernelINS0_13select_configILj256ELj13ELNS0_17block_load_methodE3ELS4_3ELS4_3ELNS0_20block_scan_algorithmE0ELj4294967295EEENS1_25partition_config_selectorILNS1_17partition_subalgoE4EjNS0_10empty_typeEbEEZZNS1_14partition_implILS8_4ELb0ES6_15HIP_vector_typeIjLj2EENS0_17counting_iteratorIjlEEPS9_SG_NS0_5tupleIJPjSI_NS0_16reverse_iteratorISI_EEEEENSH_IJSG_SG_SG_EEES9_SI_JZNS1_25segmented_radix_sort_implINS0_14default_configELb0EPKdPdPKlPlN2at6native12_GLOBAL__N_18offset_tEEE10hipError_tPvRmT1_PNSt15iterator_traitsIS12_E10value_typeET2_T3_PNS13_IS18_E10value_typeET4_jRbjT5_S1E_jjP12ihipStream_tbEUljE_ZNSN_ISO_Lb0ESQ_SR_ST_SU_SY_EESZ_S10_S11_S12_S16_S17_S18_S1B_S1C_jS1D_jS1E_S1E_jjS1G_bEUljE0_EEESZ_S10_S11_S18_S1C_S1E_T6_T7_T9_mT8_S1G_bDpT10_ENKUlT_T0_E_clISt17integral_constantIbLb1EES1T_IbLb0EEEEDaS1P_S1Q_EUlS1P_E_NS1_11comp_targetILNS1_3genE0ELNS1_11target_archE4294967295ELNS1_3gpuE0ELNS1_3repE0EEENS1_30default_config_static_selectorELNS0_4arch9wavefront6targetE1EEEvS12_
; %bb.0:
	.section	.rodata,"a",@progbits
	.p2align	6, 0x0
	.amdhsa_kernel _ZN7rocprim17ROCPRIM_400000_NS6detail17trampoline_kernelINS0_13select_configILj256ELj13ELNS0_17block_load_methodE3ELS4_3ELS4_3ELNS0_20block_scan_algorithmE0ELj4294967295EEENS1_25partition_config_selectorILNS1_17partition_subalgoE4EjNS0_10empty_typeEbEEZZNS1_14partition_implILS8_4ELb0ES6_15HIP_vector_typeIjLj2EENS0_17counting_iteratorIjlEEPS9_SG_NS0_5tupleIJPjSI_NS0_16reverse_iteratorISI_EEEEENSH_IJSG_SG_SG_EEES9_SI_JZNS1_25segmented_radix_sort_implINS0_14default_configELb0EPKdPdPKlPlN2at6native12_GLOBAL__N_18offset_tEEE10hipError_tPvRmT1_PNSt15iterator_traitsIS12_E10value_typeET2_T3_PNS13_IS18_E10value_typeET4_jRbjT5_S1E_jjP12ihipStream_tbEUljE_ZNSN_ISO_Lb0ESQ_SR_ST_SU_SY_EESZ_S10_S11_S12_S16_S17_S18_S1B_S1C_jS1D_jS1E_S1E_jjS1G_bEUljE0_EEESZ_S10_S11_S18_S1C_S1E_T6_T7_T9_mT8_S1G_bDpT10_ENKUlT_T0_E_clISt17integral_constantIbLb1EES1T_IbLb0EEEEDaS1P_S1Q_EUlS1P_E_NS1_11comp_targetILNS1_3genE0ELNS1_11target_archE4294967295ELNS1_3gpuE0ELNS1_3repE0EEENS1_30default_config_static_selectorELNS0_4arch9wavefront6targetE1EEEvS12_
		.amdhsa_group_segment_fixed_size 0
		.amdhsa_private_segment_fixed_size 0
		.amdhsa_kernarg_size 176
		.amdhsa_user_sgpr_count 6
		.amdhsa_user_sgpr_private_segment_buffer 1
		.amdhsa_user_sgpr_dispatch_ptr 0
		.amdhsa_user_sgpr_queue_ptr 0
		.amdhsa_user_sgpr_kernarg_segment_ptr 1
		.amdhsa_user_sgpr_dispatch_id 0
		.amdhsa_user_sgpr_flat_scratch_init 0
		.amdhsa_user_sgpr_kernarg_preload_length 0
		.amdhsa_user_sgpr_kernarg_preload_offset 0
		.amdhsa_user_sgpr_private_segment_size 0
		.amdhsa_uses_dynamic_stack 0
		.amdhsa_system_sgpr_private_segment_wavefront_offset 0
		.amdhsa_system_sgpr_workgroup_id_x 1
		.amdhsa_system_sgpr_workgroup_id_y 0
		.amdhsa_system_sgpr_workgroup_id_z 0
		.amdhsa_system_sgpr_workgroup_info 0
		.amdhsa_system_vgpr_workitem_id 0
		.amdhsa_next_free_vgpr 1
		.amdhsa_next_free_sgpr 0
		.amdhsa_accum_offset 4
		.amdhsa_reserve_vcc 0
		.amdhsa_reserve_flat_scratch 0
		.amdhsa_float_round_mode_32 0
		.amdhsa_float_round_mode_16_64 0
		.amdhsa_float_denorm_mode_32 3
		.amdhsa_float_denorm_mode_16_64 3
		.amdhsa_dx10_clamp 1
		.amdhsa_ieee_mode 1
		.amdhsa_fp16_overflow 0
		.amdhsa_tg_split 0
		.amdhsa_exception_fp_ieee_invalid_op 0
		.amdhsa_exception_fp_denorm_src 0
		.amdhsa_exception_fp_ieee_div_zero 0
		.amdhsa_exception_fp_ieee_overflow 0
		.amdhsa_exception_fp_ieee_underflow 0
		.amdhsa_exception_fp_ieee_inexact 0
		.amdhsa_exception_int_div_zero 0
	.end_amdhsa_kernel
	.section	.text._ZN7rocprim17ROCPRIM_400000_NS6detail17trampoline_kernelINS0_13select_configILj256ELj13ELNS0_17block_load_methodE3ELS4_3ELS4_3ELNS0_20block_scan_algorithmE0ELj4294967295EEENS1_25partition_config_selectorILNS1_17partition_subalgoE4EjNS0_10empty_typeEbEEZZNS1_14partition_implILS8_4ELb0ES6_15HIP_vector_typeIjLj2EENS0_17counting_iteratorIjlEEPS9_SG_NS0_5tupleIJPjSI_NS0_16reverse_iteratorISI_EEEEENSH_IJSG_SG_SG_EEES9_SI_JZNS1_25segmented_radix_sort_implINS0_14default_configELb0EPKdPdPKlPlN2at6native12_GLOBAL__N_18offset_tEEE10hipError_tPvRmT1_PNSt15iterator_traitsIS12_E10value_typeET2_T3_PNS13_IS18_E10value_typeET4_jRbjT5_S1E_jjP12ihipStream_tbEUljE_ZNSN_ISO_Lb0ESQ_SR_ST_SU_SY_EESZ_S10_S11_S12_S16_S17_S18_S1B_S1C_jS1D_jS1E_S1E_jjS1G_bEUljE0_EEESZ_S10_S11_S18_S1C_S1E_T6_T7_T9_mT8_S1G_bDpT10_ENKUlT_T0_E_clISt17integral_constantIbLb1EES1T_IbLb0EEEEDaS1P_S1Q_EUlS1P_E_NS1_11comp_targetILNS1_3genE0ELNS1_11target_archE4294967295ELNS1_3gpuE0ELNS1_3repE0EEENS1_30default_config_static_selectorELNS0_4arch9wavefront6targetE1EEEvS12_,"axG",@progbits,_ZN7rocprim17ROCPRIM_400000_NS6detail17trampoline_kernelINS0_13select_configILj256ELj13ELNS0_17block_load_methodE3ELS4_3ELS4_3ELNS0_20block_scan_algorithmE0ELj4294967295EEENS1_25partition_config_selectorILNS1_17partition_subalgoE4EjNS0_10empty_typeEbEEZZNS1_14partition_implILS8_4ELb0ES6_15HIP_vector_typeIjLj2EENS0_17counting_iteratorIjlEEPS9_SG_NS0_5tupleIJPjSI_NS0_16reverse_iteratorISI_EEEEENSH_IJSG_SG_SG_EEES9_SI_JZNS1_25segmented_radix_sort_implINS0_14default_configELb0EPKdPdPKlPlN2at6native12_GLOBAL__N_18offset_tEEE10hipError_tPvRmT1_PNSt15iterator_traitsIS12_E10value_typeET2_T3_PNS13_IS18_E10value_typeET4_jRbjT5_S1E_jjP12ihipStream_tbEUljE_ZNSN_ISO_Lb0ESQ_SR_ST_SU_SY_EESZ_S10_S11_S12_S16_S17_S18_S1B_S1C_jS1D_jS1E_S1E_jjS1G_bEUljE0_EEESZ_S10_S11_S18_S1C_S1E_T6_T7_T9_mT8_S1G_bDpT10_ENKUlT_T0_E_clISt17integral_constantIbLb1EES1T_IbLb0EEEEDaS1P_S1Q_EUlS1P_E_NS1_11comp_targetILNS1_3genE0ELNS1_11target_archE4294967295ELNS1_3gpuE0ELNS1_3repE0EEENS1_30default_config_static_selectorELNS0_4arch9wavefront6targetE1EEEvS12_,comdat
.Lfunc_end1171:
	.size	_ZN7rocprim17ROCPRIM_400000_NS6detail17trampoline_kernelINS0_13select_configILj256ELj13ELNS0_17block_load_methodE3ELS4_3ELS4_3ELNS0_20block_scan_algorithmE0ELj4294967295EEENS1_25partition_config_selectorILNS1_17partition_subalgoE4EjNS0_10empty_typeEbEEZZNS1_14partition_implILS8_4ELb0ES6_15HIP_vector_typeIjLj2EENS0_17counting_iteratorIjlEEPS9_SG_NS0_5tupleIJPjSI_NS0_16reverse_iteratorISI_EEEEENSH_IJSG_SG_SG_EEES9_SI_JZNS1_25segmented_radix_sort_implINS0_14default_configELb0EPKdPdPKlPlN2at6native12_GLOBAL__N_18offset_tEEE10hipError_tPvRmT1_PNSt15iterator_traitsIS12_E10value_typeET2_T3_PNS13_IS18_E10value_typeET4_jRbjT5_S1E_jjP12ihipStream_tbEUljE_ZNSN_ISO_Lb0ESQ_SR_ST_SU_SY_EESZ_S10_S11_S12_S16_S17_S18_S1B_S1C_jS1D_jS1E_S1E_jjS1G_bEUljE0_EEESZ_S10_S11_S18_S1C_S1E_T6_T7_T9_mT8_S1G_bDpT10_ENKUlT_T0_E_clISt17integral_constantIbLb1EES1T_IbLb0EEEEDaS1P_S1Q_EUlS1P_E_NS1_11comp_targetILNS1_3genE0ELNS1_11target_archE4294967295ELNS1_3gpuE0ELNS1_3repE0EEENS1_30default_config_static_selectorELNS0_4arch9wavefront6targetE1EEEvS12_, .Lfunc_end1171-_ZN7rocprim17ROCPRIM_400000_NS6detail17trampoline_kernelINS0_13select_configILj256ELj13ELNS0_17block_load_methodE3ELS4_3ELS4_3ELNS0_20block_scan_algorithmE0ELj4294967295EEENS1_25partition_config_selectorILNS1_17partition_subalgoE4EjNS0_10empty_typeEbEEZZNS1_14partition_implILS8_4ELb0ES6_15HIP_vector_typeIjLj2EENS0_17counting_iteratorIjlEEPS9_SG_NS0_5tupleIJPjSI_NS0_16reverse_iteratorISI_EEEEENSH_IJSG_SG_SG_EEES9_SI_JZNS1_25segmented_radix_sort_implINS0_14default_configELb0EPKdPdPKlPlN2at6native12_GLOBAL__N_18offset_tEEE10hipError_tPvRmT1_PNSt15iterator_traitsIS12_E10value_typeET2_T3_PNS13_IS18_E10value_typeET4_jRbjT5_S1E_jjP12ihipStream_tbEUljE_ZNSN_ISO_Lb0ESQ_SR_ST_SU_SY_EESZ_S10_S11_S12_S16_S17_S18_S1B_S1C_jS1D_jS1E_S1E_jjS1G_bEUljE0_EEESZ_S10_S11_S18_S1C_S1E_T6_T7_T9_mT8_S1G_bDpT10_ENKUlT_T0_E_clISt17integral_constantIbLb1EES1T_IbLb0EEEEDaS1P_S1Q_EUlS1P_E_NS1_11comp_targetILNS1_3genE0ELNS1_11target_archE4294967295ELNS1_3gpuE0ELNS1_3repE0EEENS1_30default_config_static_selectorELNS0_4arch9wavefront6targetE1EEEvS12_
                                        ; -- End function
	.section	.AMDGPU.csdata,"",@progbits
; Kernel info:
; codeLenInByte = 0
; NumSgprs: 4
; NumVgprs: 0
; NumAgprs: 0
; TotalNumVgprs: 0
; ScratchSize: 0
; MemoryBound: 0
; FloatMode: 240
; IeeeMode: 1
; LDSByteSize: 0 bytes/workgroup (compile time only)
; SGPRBlocks: 0
; VGPRBlocks: 0
; NumSGPRsForWavesPerEU: 4
; NumVGPRsForWavesPerEU: 1
; AccumOffset: 4
; Occupancy: 8
; WaveLimiterHint : 0
; COMPUTE_PGM_RSRC2:SCRATCH_EN: 0
; COMPUTE_PGM_RSRC2:USER_SGPR: 6
; COMPUTE_PGM_RSRC2:TRAP_HANDLER: 0
; COMPUTE_PGM_RSRC2:TGID_X_EN: 1
; COMPUTE_PGM_RSRC2:TGID_Y_EN: 0
; COMPUTE_PGM_RSRC2:TGID_Z_EN: 0
; COMPUTE_PGM_RSRC2:TIDIG_COMP_CNT: 0
; COMPUTE_PGM_RSRC3_GFX90A:ACCUM_OFFSET: 0
; COMPUTE_PGM_RSRC3_GFX90A:TG_SPLIT: 0
	.section	.text._ZN7rocprim17ROCPRIM_400000_NS6detail17trampoline_kernelINS0_13select_configILj256ELj13ELNS0_17block_load_methodE3ELS4_3ELS4_3ELNS0_20block_scan_algorithmE0ELj4294967295EEENS1_25partition_config_selectorILNS1_17partition_subalgoE4EjNS0_10empty_typeEbEEZZNS1_14partition_implILS8_4ELb0ES6_15HIP_vector_typeIjLj2EENS0_17counting_iteratorIjlEEPS9_SG_NS0_5tupleIJPjSI_NS0_16reverse_iteratorISI_EEEEENSH_IJSG_SG_SG_EEES9_SI_JZNS1_25segmented_radix_sort_implINS0_14default_configELb0EPKdPdPKlPlN2at6native12_GLOBAL__N_18offset_tEEE10hipError_tPvRmT1_PNSt15iterator_traitsIS12_E10value_typeET2_T3_PNS13_IS18_E10value_typeET4_jRbjT5_S1E_jjP12ihipStream_tbEUljE_ZNSN_ISO_Lb0ESQ_SR_ST_SU_SY_EESZ_S10_S11_S12_S16_S17_S18_S1B_S1C_jS1D_jS1E_S1E_jjS1G_bEUljE0_EEESZ_S10_S11_S18_S1C_S1E_T6_T7_T9_mT8_S1G_bDpT10_ENKUlT_T0_E_clISt17integral_constantIbLb1EES1T_IbLb0EEEEDaS1P_S1Q_EUlS1P_E_NS1_11comp_targetILNS1_3genE5ELNS1_11target_archE942ELNS1_3gpuE9ELNS1_3repE0EEENS1_30default_config_static_selectorELNS0_4arch9wavefront6targetE1EEEvS12_,"axG",@progbits,_ZN7rocprim17ROCPRIM_400000_NS6detail17trampoline_kernelINS0_13select_configILj256ELj13ELNS0_17block_load_methodE3ELS4_3ELS4_3ELNS0_20block_scan_algorithmE0ELj4294967295EEENS1_25partition_config_selectorILNS1_17partition_subalgoE4EjNS0_10empty_typeEbEEZZNS1_14partition_implILS8_4ELb0ES6_15HIP_vector_typeIjLj2EENS0_17counting_iteratorIjlEEPS9_SG_NS0_5tupleIJPjSI_NS0_16reverse_iteratorISI_EEEEENSH_IJSG_SG_SG_EEES9_SI_JZNS1_25segmented_radix_sort_implINS0_14default_configELb0EPKdPdPKlPlN2at6native12_GLOBAL__N_18offset_tEEE10hipError_tPvRmT1_PNSt15iterator_traitsIS12_E10value_typeET2_T3_PNS13_IS18_E10value_typeET4_jRbjT5_S1E_jjP12ihipStream_tbEUljE_ZNSN_ISO_Lb0ESQ_SR_ST_SU_SY_EESZ_S10_S11_S12_S16_S17_S18_S1B_S1C_jS1D_jS1E_S1E_jjS1G_bEUljE0_EEESZ_S10_S11_S18_S1C_S1E_T6_T7_T9_mT8_S1G_bDpT10_ENKUlT_T0_E_clISt17integral_constantIbLb1EES1T_IbLb0EEEEDaS1P_S1Q_EUlS1P_E_NS1_11comp_targetILNS1_3genE5ELNS1_11target_archE942ELNS1_3gpuE9ELNS1_3repE0EEENS1_30default_config_static_selectorELNS0_4arch9wavefront6targetE1EEEvS12_,comdat
	.globl	_ZN7rocprim17ROCPRIM_400000_NS6detail17trampoline_kernelINS0_13select_configILj256ELj13ELNS0_17block_load_methodE3ELS4_3ELS4_3ELNS0_20block_scan_algorithmE0ELj4294967295EEENS1_25partition_config_selectorILNS1_17partition_subalgoE4EjNS0_10empty_typeEbEEZZNS1_14partition_implILS8_4ELb0ES6_15HIP_vector_typeIjLj2EENS0_17counting_iteratorIjlEEPS9_SG_NS0_5tupleIJPjSI_NS0_16reverse_iteratorISI_EEEEENSH_IJSG_SG_SG_EEES9_SI_JZNS1_25segmented_radix_sort_implINS0_14default_configELb0EPKdPdPKlPlN2at6native12_GLOBAL__N_18offset_tEEE10hipError_tPvRmT1_PNSt15iterator_traitsIS12_E10value_typeET2_T3_PNS13_IS18_E10value_typeET4_jRbjT5_S1E_jjP12ihipStream_tbEUljE_ZNSN_ISO_Lb0ESQ_SR_ST_SU_SY_EESZ_S10_S11_S12_S16_S17_S18_S1B_S1C_jS1D_jS1E_S1E_jjS1G_bEUljE0_EEESZ_S10_S11_S18_S1C_S1E_T6_T7_T9_mT8_S1G_bDpT10_ENKUlT_T0_E_clISt17integral_constantIbLb1EES1T_IbLb0EEEEDaS1P_S1Q_EUlS1P_E_NS1_11comp_targetILNS1_3genE5ELNS1_11target_archE942ELNS1_3gpuE9ELNS1_3repE0EEENS1_30default_config_static_selectorELNS0_4arch9wavefront6targetE1EEEvS12_ ; -- Begin function _ZN7rocprim17ROCPRIM_400000_NS6detail17trampoline_kernelINS0_13select_configILj256ELj13ELNS0_17block_load_methodE3ELS4_3ELS4_3ELNS0_20block_scan_algorithmE0ELj4294967295EEENS1_25partition_config_selectorILNS1_17partition_subalgoE4EjNS0_10empty_typeEbEEZZNS1_14partition_implILS8_4ELb0ES6_15HIP_vector_typeIjLj2EENS0_17counting_iteratorIjlEEPS9_SG_NS0_5tupleIJPjSI_NS0_16reverse_iteratorISI_EEEEENSH_IJSG_SG_SG_EEES9_SI_JZNS1_25segmented_radix_sort_implINS0_14default_configELb0EPKdPdPKlPlN2at6native12_GLOBAL__N_18offset_tEEE10hipError_tPvRmT1_PNSt15iterator_traitsIS12_E10value_typeET2_T3_PNS13_IS18_E10value_typeET4_jRbjT5_S1E_jjP12ihipStream_tbEUljE_ZNSN_ISO_Lb0ESQ_SR_ST_SU_SY_EESZ_S10_S11_S12_S16_S17_S18_S1B_S1C_jS1D_jS1E_S1E_jjS1G_bEUljE0_EEESZ_S10_S11_S18_S1C_S1E_T6_T7_T9_mT8_S1G_bDpT10_ENKUlT_T0_E_clISt17integral_constantIbLb1EES1T_IbLb0EEEEDaS1P_S1Q_EUlS1P_E_NS1_11comp_targetILNS1_3genE5ELNS1_11target_archE942ELNS1_3gpuE9ELNS1_3repE0EEENS1_30default_config_static_selectorELNS0_4arch9wavefront6targetE1EEEvS12_
	.p2align	8
	.type	_ZN7rocprim17ROCPRIM_400000_NS6detail17trampoline_kernelINS0_13select_configILj256ELj13ELNS0_17block_load_methodE3ELS4_3ELS4_3ELNS0_20block_scan_algorithmE0ELj4294967295EEENS1_25partition_config_selectorILNS1_17partition_subalgoE4EjNS0_10empty_typeEbEEZZNS1_14partition_implILS8_4ELb0ES6_15HIP_vector_typeIjLj2EENS0_17counting_iteratorIjlEEPS9_SG_NS0_5tupleIJPjSI_NS0_16reverse_iteratorISI_EEEEENSH_IJSG_SG_SG_EEES9_SI_JZNS1_25segmented_radix_sort_implINS0_14default_configELb0EPKdPdPKlPlN2at6native12_GLOBAL__N_18offset_tEEE10hipError_tPvRmT1_PNSt15iterator_traitsIS12_E10value_typeET2_T3_PNS13_IS18_E10value_typeET4_jRbjT5_S1E_jjP12ihipStream_tbEUljE_ZNSN_ISO_Lb0ESQ_SR_ST_SU_SY_EESZ_S10_S11_S12_S16_S17_S18_S1B_S1C_jS1D_jS1E_S1E_jjS1G_bEUljE0_EEESZ_S10_S11_S18_S1C_S1E_T6_T7_T9_mT8_S1G_bDpT10_ENKUlT_T0_E_clISt17integral_constantIbLb1EES1T_IbLb0EEEEDaS1P_S1Q_EUlS1P_E_NS1_11comp_targetILNS1_3genE5ELNS1_11target_archE942ELNS1_3gpuE9ELNS1_3repE0EEENS1_30default_config_static_selectorELNS0_4arch9wavefront6targetE1EEEvS12_,@function
_ZN7rocprim17ROCPRIM_400000_NS6detail17trampoline_kernelINS0_13select_configILj256ELj13ELNS0_17block_load_methodE3ELS4_3ELS4_3ELNS0_20block_scan_algorithmE0ELj4294967295EEENS1_25partition_config_selectorILNS1_17partition_subalgoE4EjNS0_10empty_typeEbEEZZNS1_14partition_implILS8_4ELb0ES6_15HIP_vector_typeIjLj2EENS0_17counting_iteratorIjlEEPS9_SG_NS0_5tupleIJPjSI_NS0_16reverse_iteratorISI_EEEEENSH_IJSG_SG_SG_EEES9_SI_JZNS1_25segmented_radix_sort_implINS0_14default_configELb0EPKdPdPKlPlN2at6native12_GLOBAL__N_18offset_tEEE10hipError_tPvRmT1_PNSt15iterator_traitsIS12_E10value_typeET2_T3_PNS13_IS18_E10value_typeET4_jRbjT5_S1E_jjP12ihipStream_tbEUljE_ZNSN_ISO_Lb0ESQ_SR_ST_SU_SY_EESZ_S10_S11_S12_S16_S17_S18_S1B_S1C_jS1D_jS1E_S1E_jjS1G_bEUljE0_EEESZ_S10_S11_S18_S1C_S1E_T6_T7_T9_mT8_S1G_bDpT10_ENKUlT_T0_E_clISt17integral_constantIbLb1EES1T_IbLb0EEEEDaS1P_S1Q_EUlS1P_E_NS1_11comp_targetILNS1_3genE5ELNS1_11target_archE942ELNS1_3gpuE9ELNS1_3repE0EEENS1_30default_config_static_selectorELNS0_4arch9wavefront6targetE1EEEvS12_: ; @_ZN7rocprim17ROCPRIM_400000_NS6detail17trampoline_kernelINS0_13select_configILj256ELj13ELNS0_17block_load_methodE3ELS4_3ELS4_3ELNS0_20block_scan_algorithmE0ELj4294967295EEENS1_25partition_config_selectorILNS1_17partition_subalgoE4EjNS0_10empty_typeEbEEZZNS1_14partition_implILS8_4ELb0ES6_15HIP_vector_typeIjLj2EENS0_17counting_iteratorIjlEEPS9_SG_NS0_5tupleIJPjSI_NS0_16reverse_iteratorISI_EEEEENSH_IJSG_SG_SG_EEES9_SI_JZNS1_25segmented_radix_sort_implINS0_14default_configELb0EPKdPdPKlPlN2at6native12_GLOBAL__N_18offset_tEEE10hipError_tPvRmT1_PNSt15iterator_traitsIS12_E10value_typeET2_T3_PNS13_IS18_E10value_typeET4_jRbjT5_S1E_jjP12ihipStream_tbEUljE_ZNSN_ISO_Lb0ESQ_SR_ST_SU_SY_EESZ_S10_S11_S12_S16_S17_S18_S1B_S1C_jS1D_jS1E_S1E_jjS1G_bEUljE0_EEESZ_S10_S11_S18_S1C_S1E_T6_T7_T9_mT8_S1G_bDpT10_ENKUlT_T0_E_clISt17integral_constantIbLb1EES1T_IbLb0EEEEDaS1P_S1Q_EUlS1P_E_NS1_11comp_targetILNS1_3genE5ELNS1_11target_archE942ELNS1_3gpuE9ELNS1_3repE0EEENS1_30default_config_static_selectorELNS0_4arch9wavefront6targetE1EEEvS12_
; %bb.0:
	.section	.rodata,"a",@progbits
	.p2align	6, 0x0
	.amdhsa_kernel _ZN7rocprim17ROCPRIM_400000_NS6detail17trampoline_kernelINS0_13select_configILj256ELj13ELNS0_17block_load_methodE3ELS4_3ELS4_3ELNS0_20block_scan_algorithmE0ELj4294967295EEENS1_25partition_config_selectorILNS1_17partition_subalgoE4EjNS0_10empty_typeEbEEZZNS1_14partition_implILS8_4ELb0ES6_15HIP_vector_typeIjLj2EENS0_17counting_iteratorIjlEEPS9_SG_NS0_5tupleIJPjSI_NS0_16reverse_iteratorISI_EEEEENSH_IJSG_SG_SG_EEES9_SI_JZNS1_25segmented_radix_sort_implINS0_14default_configELb0EPKdPdPKlPlN2at6native12_GLOBAL__N_18offset_tEEE10hipError_tPvRmT1_PNSt15iterator_traitsIS12_E10value_typeET2_T3_PNS13_IS18_E10value_typeET4_jRbjT5_S1E_jjP12ihipStream_tbEUljE_ZNSN_ISO_Lb0ESQ_SR_ST_SU_SY_EESZ_S10_S11_S12_S16_S17_S18_S1B_S1C_jS1D_jS1E_S1E_jjS1G_bEUljE0_EEESZ_S10_S11_S18_S1C_S1E_T6_T7_T9_mT8_S1G_bDpT10_ENKUlT_T0_E_clISt17integral_constantIbLb1EES1T_IbLb0EEEEDaS1P_S1Q_EUlS1P_E_NS1_11comp_targetILNS1_3genE5ELNS1_11target_archE942ELNS1_3gpuE9ELNS1_3repE0EEENS1_30default_config_static_selectorELNS0_4arch9wavefront6targetE1EEEvS12_
		.amdhsa_group_segment_fixed_size 0
		.amdhsa_private_segment_fixed_size 0
		.amdhsa_kernarg_size 176
		.amdhsa_user_sgpr_count 6
		.amdhsa_user_sgpr_private_segment_buffer 1
		.amdhsa_user_sgpr_dispatch_ptr 0
		.amdhsa_user_sgpr_queue_ptr 0
		.amdhsa_user_sgpr_kernarg_segment_ptr 1
		.amdhsa_user_sgpr_dispatch_id 0
		.amdhsa_user_sgpr_flat_scratch_init 0
		.amdhsa_user_sgpr_kernarg_preload_length 0
		.amdhsa_user_sgpr_kernarg_preload_offset 0
		.amdhsa_user_sgpr_private_segment_size 0
		.amdhsa_uses_dynamic_stack 0
		.amdhsa_system_sgpr_private_segment_wavefront_offset 0
		.amdhsa_system_sgpr_workgroup_id_x 1
		.amdhsa_system_sgpr_workgroup_id_y 0
		.amdhsa_system_sgpr_workgroup_id_z 0
		.amdhsa_system_sgpr_workgroup_info 0
		.amdhsa_system_vgpr_workitem_id 0
		.amdhsa_next_free_vgpr 1
		.amdhsa_next_free_sgpr 0
		.amdhsa_accum_offset 4
		.amdhsa_reserve_vcc 0
		.amdhsa_reserve_flat_scratch 0
		.amdhsa_float_round_mode_32 0
		.amdhsa_float_round_mode_16_64 0
		.amdhsa_float_denorm_mode_32 3
		.amdhsa_float_denorm_mode_16_64 3
		.amdhsa_dx10_clamp 1
		.amdhsa_ieee_mode 1
		.amdhsa_fp16_overflow 0
		.amdhsa_tg_split 0
		.amdhsa_exception_fp_ieee_invalid_op 0
		.amdhsa_exception_fp_denorm_src 0
		.amdhsa_exception_fp_ieee_div_zero 0
		.amdhsa_exception_fp_ieee_overflow 0
		.amdhsa_exception_fp_ieee_underflow 0
		.amdhsa_exception_fp_ieee_inexact 0
		.amdhsa_exception_int_div_zero 0
	.end_amdhsa_kernel
	.section	.text._ZN7rocprim17ROCPRIM_400000_NS6detail17trampoline_kernelINS0_13select_configILj256ELj13ELNS0_17block_load_methodE3ELS4_3ELS4_3ELNS0_20block_scan_algorithmE0ELj4294967295EEENS1_25partition_config_selectorILNS1_17partition_subalgoE4EjNS0_10empty_typeEbEEZZNS1_14partition_implILS8_4ELb0ES6_15HIP_vector_typeIjLj2EENS0_17counting_iteratorIjlEEPS9_SG_NS0_5tupleIJPjSI_NS0_16reverse_iteratorISI_EEEEENSH_IJSG_SG_SG_EEES9_SI_JZNS1_25segmented_radix_sort_implINS0_14default_configELb0EPKdPdPKlPlN2at6native12_GLOBAL__N_18offset_tEEE10hipError_tPvRmT1_PNSt15iterator_traitsIS12_E10value_typeET2_T3_PNS13_IS18_E10value_typeET4_jRbjT5_S1E_jjP12ihipStream_tbEUljE_ZNSN_ISO_Lb0ESQ_SR_ST_SU_SY_EESZ_S10_S11_S12_S16_S17_S18_S1B_S1C_jS1D_jS1E_S1E_jjS1G_bEUljE0_EEESZ_S10_S11_S18_S1C_S1E_T6_T7_T9_mT8_S1G_bDpT10_ENKUlT_T0_E_clISt17integral_constantIbLb1EES1T_IbLb0EEEEDaS1P_S1Q_EUlS1P_E_NS1_11comp_targetILNS1_3genE5ELNS1_11target_archE942ELNS1_3gpuE9ELNS1_3repE0EEENS1_30default_config_static_selectorELNS0_4arch9wavefront6targetE1EEEvS12_,"axG",@progbits,_ZN7rocprim17ROCPRIM_400000_NS6detail17trampoline_kernelINS0_13select_configILj256ELj13ELNS0_17block_load_methodE3ELS4_3ELS4_3ELNS0_20block_scan_algorithmE0ELj4294967295EEENS1_25partition_config_selectorILNS1_17partition_subalgoE4EjNS0_10empty_typeEbEEZZNS1_14partition_implILS8_4ELb0ES6_15HIP_vector_typeIjLj2EENS0_17counting_iteratorIjlEEPS9_SG_NS0_5tupleIJPjSI_NS0_16reverse_iteratorISI_EEEEENSH_IJSG_SG_SG_EEES9_SI_JZNS1_25segmented_radix_sort_implINS0_14default_configELb0EPKdPdPKlPlN2at6native12_GLOBAL__N_18offset_tEEE10hipError_tPvRmT1_PNSt15iterator_traitsIS12_E10value_typeET2_T3_PNS13_IS18_E10value_typeET4_jRbjT5_S1E_jjP12ihipStream_tbEUljE_ZNSN_ISO_Lb0ESQ_SR_ST_SU_SY_EESZ_S10_S11_S12_S16_S17_S18_S1B_S1C_jS1D_jS1E_S1E_jjS1G_bEUljE0_EEESZ_S10_S11_S18_S1C_S1E_T6_T7_T9_mT8_S1G_bDpT10_ENKUlT_T0_E_clISt17integral_constantIbLb1EES1T_IbLb0EEEEDaS1P_S1Q_EUlS1P_E_NS1_11comp_targetILNS1_3genE5ELNS1_11target_archE942ELNS1_3gpuE9ELNS1_3repE0EEENS1_30default_config_static_selectorELNS0_4arch9wavefront6targetE1EEEvS12_,comdat
.Lfunc_end1172:
	.size	_ZN7rocprim17ROCPRIM_400000_NS6detail17trampoline_kernelINS0_13select_configILj256ELj13ELNS0_17block_load_methodE3ELS4_3ELS4_3ELNS0_20block_scan_algorithmE0ELj4294967295EEENS1_25partition_config_selectorILNS1_17partition_subalgoE4EjNS0_10empty_typeEbEEZZNS1_14partition_implILS8_4ELb0ES6_15HIP_vector_typeIjLj2EENS0_17counting_iteratorIjlEEPS9_SG_NS0_5tupleIJPjSI_NS0_16reverse_iteratorISI_EEEEENSH_IJSG_SG_SG_EEES9_SI_JZNS1_25segmented_radix_sort_implINS0_14default_configELb0EPKdPdPKlPlN2at6native12_GLOBAL__N_18offset_tEEE10hipError_tPvRmT1_PNSt15iterator_traitsIS12_E10value_typeET2_T3_PNS13_IS18_E10value_typeET4_jRbjT5_S1E_jjP12ihipStream_tbEUljE_ZNSN_ISO_Lb0ESQ_SR_ST_SU_SY_EESZ_S10_S11_S12_S16_S17_S18_S1B_S1C_jS1D_jS1E_S1E_jjS1G_bEUljE0_EEESZ_S10_S11_S18_S1C_S1E_T6_T7_T9_mT8_S1G_bDpT10_ENKUlT_T0_E_clISt17integral_constantIbLb1EES1T_IbLb0EEEEDaS1P_S1Q_EUlS1P_E_NS1_11comp_targetILNS1_3genE5ELNS1_11target_archE942ELNS1_3gpuE9ELNS1_3repE0EEENS1_30default_config_static_selectorELNS0_4arch9wavefront6targetE1EEEvS12_, .Lfunc_end1172-_ZN7rocprim17ROCPRIM_400000_NS6detail17trampoline_kernelINS0_13select_configILj256ELj13ELNS0_17block_load_methodE3ELS4_3ELS4_3ELNS0_20block_scan_algorithmE0ELj4294967295EEENS1_25partition_config_selectorILNS1_17partition_subalgoE4EjNS0_10empty_typeEbEEZZNS1_14partition_implILS8_4ELb0ES6_15HIP_vector_typeIjLj2EENS0_17counting_iteratorIjlEEPS9_SG_NS0_5tupleIJPjSI_NS0_16reverse_iteratorISI_EEEEENSH_IJSG_SG_SG_EEES9_SI_JZNS1_25segmented_radix_sort_implINS0_14default_configELb0EPKdPdPKlPlN2at6native12_GLOBAL__N_18offset_tEEE10hipError_tPvRmT1_PNSt15iterator_traitsIS12_E10value_typeET2_T3_PNS13_IS18_E10value_typeET4_jRbjT5_S1E_jjP12ihipStream_tbEUljE_ZNSN_ISO_Lb0ESQ_SR_ST_SU_SY_EESZ_S10_S11_S12_S16_S17_S18_S1B_S1C_jS1D_jS1E_S1E_jjS1G_bEUljE0_EEESZ_S10_S11_S18_S1C_S1E_T6_T7_T9_mT8_S1G_bDpT10_ENKUlT_T0_E_clISt17integral_constantIbLb1EES1T_IbLb0EEEEDaS1P_S1Q_EUlS1P_E_NS1_11comp_targetILNS1_3genE5ELNS1_11target_archE942ELNS1_3gpuE9ELNS1_3repE0EEENS1_30default_config_static_selectorELNS0_4arch9wavefront6targetE1EEEvS12_
                                        ; -- End function
	.section	.AMDGPU.csdata,"",@progbits
; Kernel info:
; codeLenInByte = 0
; NumSgprs: 4
; NumVgprs: 0
; NumAgprs: 0
; TotalNumVgprs: 0
; ScratchSize: 0
; MemoryBound: 0
; FloatMode: 240
; IeeeMode: 1
; LDSByteSize: 0 bytes/workgroup (compile time only)
; SGPRBlocks: 0
; VGPRBlocks: 0
; NumSGPRsForWavesPerEU: 4
; NumVGPRsForWavesPerEU: 1
; AccumOffset: 4
; Occupancy: 8
; WaveLimiterHint : 0
; COMPUTE_PGM_RSRC2:SCRATCH_EN: 0
; COMPUTE_PGM_RSRC2:USER_SGPR: 6
; COMPUTE_PGM_RSRC2:TRAP_HANDLER: 0
; COMPUTE_PGM_RSRC2:TGID_X_EN: 1
; COMPUTE_PGM_RSRC2:TGID_Y_EN: 0
; COMPUTE_PGM_RSRC2:TGID_Z_EN: 0
; COMPUTE_PGM_RSRC2:TIDIG_COMP_CNT: 0
; COMPUTE_PGM_RSRC3_GFX90A:ACCUM_OFFSET: 0
; COMPUTE_PGM_RSRC3_GFX90A:TG_SPLIT: 0
	.section	.text._ZN7rocprim17ROCPRIM_400000_NS6detail17trampoline_kernelINS0_13select_configILj256ELj13ELNS0_17block_load_methodE3ELS4_3ELS4_3ELNS0_20block_scan_algorithmE0ELj4294967295EEENS1_25partition_config_selectorILNS1_17partition_subalgoE4EjNS0_10empty_typeEbEEZZNS1_14partition_implILS8_4ELb0ES6_15HIP_vector_typeIjLj2EENS0_17counting_iteratorIjlEEPS9_SG_NS0_5tupleIJPjSI_NS0_16reverse_iteratorISI_EEEEENSH_IJSG_SG_SG_EEES9_SI_JZNS1_25segmented_radix_sort_implINS0_14default_configELb0EPKdPdPKlPlN2at6native12_GLOBAL__N_18offset_tEEE10hipError_tPvRmT1_PNSt15iterator_traitsIS12_E10value_typeET2_T3_PNS13_IS18_E10value_typeET4_jRbjT5_S1E_jjP12ihipStream_tbEUljE_ZNSN_ISO_Lb0ESQ_SR_ST_SU_SY_EESZ_S10_S11_S12_S16_S17_S18_S1B_S1C_jS1D_jS1E_S1E_jjS1G_bEUljE0_EEESZ_S10_S11_S18_S1C_S1E_T6_T7_T9_mT8_S1G_bDpT10_ENKUlT_T0_E_clISt17integral_constantIbLb1EES1T_IbLb0EEEEDaS1P_S1Q_EUlS1P_E_NS1_11comp_targetILNS1_3genE4ELNS1_11target_archE910ELNS1_3gpuE8ELNS1_3repE0EEENS1_30default_config_static_selectorELNS0_4arch9wavefront6targetE1EEEvS12_,"axG",@progbits,_ZN7rocprim17ROCPRIM_400000_NS6detail17trampoline_kernelINS0_13select_configILj256ELj13ELNS0_17block_load_methodE3ELS4_3ELS4_3ELNS0_20block_scan_algorithmE0ELj4294967295EEENS1_25partition_config_selectorILNS1_17partition_subalgoE4EjNS0_10empty_typeEbEEZZNS1_14partition_implILS8_4ELb0ES6_15HIP_vector_typeIjLj2EENS0_17counting_iteratorIjlEEPS9_SG_NS0_5tupleIJPjSI_NS0_16reverse_iteratorISI_EEEEENSH_IJSG_SG_SG_EEES9_SI_JZNS1_25segmented_radix_sort_implINS0_14default_configELb0EPKdPdPKlPlN2at6native12_GLOBAL__N_18offset_tEEE10hipError_tPvRmT1_PNSt15iterator_traitsIS12_E10value_typeET2_T3_PNS13_IS18_E10value_typeET4_jRbjT5_S1E_jjP12ihipStream_tbEUljE_ZNSN_ISO_Lb0ESQ_SR_ST_SU_SY_EESZ_S10_S11_S12_S16_S17_S18_S1B_S1C_jS1D_jS1E_S1E_jjS1G_bEUljE0_EEESZ_S10_S11_S18_S1C_S1E_T6_T7_T9_mT8_S1G_bDpT10_ENKUlT_T0_E_clISt17integral_constantIbLb1EES1T_IbLb0EEEEDaS1P_S1Q_EUlS1P_E_NS1_11comp_targetILNS1_3genE4ELNS1_11target_archE910ELNS1_3gpuE8ELNS1_3repE0EEENS1_30default_config_static_selectorELNS0_4arch9wavefront6targetE1EEEvS12_,comdat
	.globl	_ZN7rocprim17ROCPRIM_400000_NS6detail17trampoline_kernelINS0_13select_configILj256ELj13ELNS0_17block_load_methodE3ELS4_3ELS4_3ELNS0_20block_scan_algorithmE0ELj4294967295EEENS1_25partition_config_selectorILNS1_17partition_subalgoE4EjNS0_10empty_typeEbEEZZNS1_14partition_implILS8_4ELb0ES6_15HIP_vector_typeIjLj2EENS0_17counting_iteratorIjlEEPS9_SG_NS0_5tupleIJPjSI_NS0_16reverse_iteratorISI_EEEEENSH_IJSG_SG_SG_EEES9_SI_JZNS1_25segmented_radix_sort_implINS0_14default_configELb0EPKdPdPKlPlN2at6native12_GLOBAL__N_18offset_tEEE10hipError_tPvRmT1_PNSt15iterator_traitsIS12_E10value_typeET2_T3_PNS13_IS18_E10value_typeET4_jRbjT5_S1E_jjP12ihipStream_tbEUljE_ZNSN_ISO_Lb0ESQ_SR_ST_SU_SY_EESZ_S10_S11_S12_S16_S17_S18_S1B_S1C_jS1D_jS1E_S1E_jjS1G_bEUljE0_EEESZ_S10_S11_S18_S1C_S1E_T6_T7_T9_mT8_S1G_bDpT10_ENKUlT_T0_E_clISt17integral_constantIbLb1EES1T_IbLb0EEEEDaS1P_S1Q_EUlS1P_E_NS1_11comp_targetILNS1_3genE4ELNS1_11target_archE910ELNS1_3gpuE8ELNS1_3repE0EEENS1_30default_config_static_selectorELNS0_4arch9wavefront6targetE1EEEvS12_ ; -- Begin function _ZN7rocprim17ROCPRIM_400000_NS6detail17trampoline_kernelINS0_13select_configILj256ELj13ELNS0_17block_load_methodE3ELS4_3ELS4_3ELNS0_20block_scan_algorithmE0ELj4294967295EEENS1_25partition_config_selectorILNS1_17partition_subalgoE4EjNS0_10empty_typeEbEEZZNS1_14partition_implILS8_4ELb0ES6_15HIP_vector_typeIjLj2EENS0_17counting_iteratorIjlEEPS9_SG_NS0_5tupleIJPjSI_NS0_16reverse_iteratorISI_EEEEENSH_IJSG_SG_SG_EEES9_SI_JZNS1_25segmented_radix_sort_implINS0_14default_configELb0EPKdPdPKlPlN2at6native12_GLOBAL__N_18offset_tEEE10hipError_tPvRmT1_PNSt15iterator_traitsIS12_E10value_typeET2_T3_PNS13_IS18_E10value_typeET4_jRbjT5_S1E_jjP12ihipStream_tbEUljE_ZNSN_ISO_Lb0ESQ_SR_ST_SU_SY_EESZ_S10_S11_S12_S16_S17_S18_S1B_S1C_jS1D_jS1E_S1E_jjS1G_bEUljE0_EEESZ_S10_S11_S18_S1C_S1E_T6_T7_T9_mT8_S1G_bDpT10_ENKUlT_T0_E_clISt17integral_constantIbLb1EES1T_IbLb0EEEEDaS1P_S1Q_EUlS1P_E_NS1_11comp_targetILNS1_3genE4ELNS1_11target_archE910ELNS1_3gpuE8ELNS1_3repE0EEENS1_30default_config_static_selectorELNS0_4arch9wavefront6targetE1EEEvS12_
	.p2align	8
	.type	_ZN7rocprim17ROCPRIM_400000_NS6detail17trampoline_kernelINS0_13select_configILj256ELj13ELNS0_17block_load_methodE3ELS4_3ELS4_3ELNS0_20block_scan_algorithmE0ELj4294967295EEENS1_25partition_config_selectorILNS1_17partition_subalgoE4EjNS0_10empty_typeEbEEZZNS1_14partition_implILS8_4ELb0ES6_15HIP_vector_typeIjLj2EENS0_17counting_iteratorIjlEEPS9_SG_NS0_5tupleIJPjSI_NS0_16reverse_iteratorISI_EEEEENSH_IJSG_SG_SG_EEES9_SI_JZNS1_25segmented_radix_sort_implINS0_14default_configELb0EPKdPdPKlPlN2at6native12_GLOBAL__N_18offset_tEEE10hipError_tPvRmT1_PNSt15iterator_traitsIS12_E10value_typeET2_T3_PNS13_IS18_E10value_typeET4_jRbjT5_S1E_jjP12ihipStream_tbEUljE_ZNSN_ISO_Lb0ESQ_SR_ST_SU_SY_EESZ_S10_S11_S12_S16_S17_S18_S1B_S1C_jS1D_jS1E_S1E_jjS1G_bEUljE0_EEESZ_S10_S11_S18_S1C_S1E_T6_T7_T9_mT8_S1G_bDpT10_ENKUlT_T0_E_clISt17integral_constantIbLb1EES1T_IbLb0EEEEDaS1P_S1Q_EUlS1P_E_NS1_11comp_targetILNS1_3genE4ELNS1_11target_archE910ELNS1_3gpuE8ELNS1_3repE0EEENS1_30default_config_static_selectorELNS0_4arch9wavefront6targetE1EEEvS12_,@function
_ZN7rocprim17ROCPRIM_400000_NS6detail17trampoline_kernelINS0_13select_configILj256ELj13ELNS0_17block_load_methodE3ELS4_3ELS4_3ELNS0_20block_scan_algorithmE0ELj4294967295EEENS1_25partition_config_selectorILNS1_17partition_subalgoE4EjNS0_10empty_typeEbEEZZNS1_14partition_implILS8_4ELb0ES6_15HIP_vector_typeIjLj2EENS0_17counting_iteratorIjlEEPS9_SG_NS0_5tupleIJPjSI_NS0_16reverse_iteratorISI_EEEEENSH_IJSG_SG_SG_EEES9_SI_JZNS1_25segmented_radix_sort_implINS0_14default_configELb0EPKdPdPKlPlN2at6native12_GLOBAL__N_18offset_tEEE10hipError_tPvRmT1_PNSt15iterator_traitsIS12_E10value_typeET2_T3_PNS13_IS18_E10value_typeET4_jRbjT5_S1E_jjP12ihipStream_tbEUljE_ZNSN_ISO_Lb0ESQ_SR_ST_SU_SY_EESZ_S10_S11_S12_S16_S17_S18_S1B_S1C_jS1D_jS1E_S1E_jjS1G_bEUljE0_EEESZ_S10_S11_S18_S1C_S1E_T6_T7_T9_mT8_S1G_bDpT10_ENKUlT_T0_E_clISt17integral_constantIbLb1EES1T_IbLb0EEEEDaS1P_S1Q_EUlS1P_E_NS1_11comp_targetILNS1_3genE4ELNS1_11target_archE910ELNS1_3gpuE8ELNS1_3repE0EEENS1_30default_config_static_selectorELNS0_4arch9wavefront6targetE1EEEvS12_: ; @_ZN7rocprim17ROCPRIM_400000_NS6detail17trampoline_kernelINS0_13select_configILj256ELj13ELNS0_17block_load_methodE3ELS4_3ELS4_3ELNS0_20block_scan_algorithmE0ELj4294967295EEENS1_25partition_config_selectorILNS1_17partition_subalgoE4EjNS0_10empty_typeEbEEZZNS1_14partition_implILS8_4ELb0ES6_15HIP_vector_typeIjLj2EENS0_17counting_iteratorIjlEEPS9_SG_NS0_5tupleIJPjSI_NS0_16reverse_iteratorISI_EEEEENSH_IJSG_SG_SG_EEES9_SI_JZNS1_25segmented_radix_sort_implINS0_14default_configELb0EPKdPdPKlPlN2at6native12_GLOBAL__N_18offset_tEEE10hipError_tPvRmT1_PNSt15iterator_traitsIS12_E10value_typeET2_T3_PNS13_IS18_E10value_typeET4_jRbjT5_S1E_jjP12ihipStream_tbEUljE_ZNSN_ISO_Lb0ESQ_SR_ST_SU_SY_EESZ_S10_S11_S12_S16_S17_S18_S1B_S1C_jS1D_jS1E_S1E_jjS1G_bEUljE0_EEESZ_S10_S11_S18_S1C_S1E_T6_T7_T9_mT8_S1G_bDpT10_ENKUlT_T0_E_clISt17integral_constantIbLb1EES1T_IbLb0EEEEDaS1P_S1Q_EUlS1P_E_NS1_11comp_targetILNS1_3genE4ELNS1_11target_archE910ELNS1_3gpuE8ELNS1_3repE0EEENS1_30default_config_static_selectorELNS0_4arch9wavefront6targetE1EEEvS12_
; %bb.0:
	s_load_dwordx2 s[0:1], s[4:5], 0x68
	s_load_dword s7, s[4:5], 0x8
	s_load_dwordx2 s[56:57], s[4:5], 0x10
	s_load_dwordx4 s[44:47], s[4:5], 0x58
	s_mul_i32 s33, s6, 0xd00
	s_waitcnt lgkmcnt(0)
	v_mov_b32_e32 v3, s1
	v_mov_b32_e32 v2, s0
	s_load_dword s1, s[4:5], 0x80
	s_load_dwordx2 s[60:61], s[4:5], 0xa8
	s_load_dwordx8 s[36:43], s[4:5], 0x88
	s_load_dwordx4 s[48:51], s[46:47], 0x0
	s_waitcnt lgkmcnt(0)
	s_add_i32 s8, s1, -1
	s_mulk_i32 s1, 0xd00
	s_add_u32 s2, s56, s1
	s_addc_u32 s3, s57, 0
	s_cmp_eq_u32 s6, s8
	s_cselect_b64 s[30:31], -1, 0
	s_cmp_lg_u32 s6, s8
	v_cmp_lt_u64_e32 vcc, s[2:3], v[2:3]
	s_cselect_b64 s[2:3], -1, 0
	s_add_i32 s7, s7, s33
	s_or_b64 s[2:3], s[2:3], vcc
	s_add_i32 s7, s7, s56
	v_add_u32_e32 v1, s7, v0
	s_mov_b64 s[8:9], -1
	s_and_b64 vcc, exec, s[2:3]
	s_cbranch_vccz .LBB1173_2
; %bb.1:
	v_add_u32_e32 v2, 0x100, v1
	v_lshlrev_b32_e32 v14, 2, v0
	v_add_u32_e32 v3, 0x200, v1
	v_add_u32_e32 v4, 0x300, v1
	;; [unrolled: 1-line block ×11, first 2 shown]
	ds_write2st64_b32 v14, v1, v2 offset1:4
	ds_write2st64_b32 v14, v3, v4 offset0:8 offset1:12
	ds_write2st64_b32 v14, v5, v6 offset0:16 offset1:20
	;; [unrolled: 1-line block ×5, first 2 shown]
	ds_write_b32 v14, v13 offset:12288
	s_waitcnt lgkmcnt(0)
	s_barrier
	s_mov_b64 s[8:9], 0
.LBB1173_2:
	s_andn2_b64 vcc, exec, s[8:9]
	s_add_i32 s1, s1, s56
	s_cbranch_vccnz .LBB1173_4
; %bb.3:
	v_add_u32_e32 v2, 0x100, v1
	v_lshlrev_b32_e32 v14, 2, v0
	v_add_u32_e32 v3, 0x200, v1
	v_add_u32_e32 v4, 0x300, v1
	;; [unrolled: 1-line block ×11, first 2 shown]
	ds_write2st64_b32 v14, v1, v2 offset1:4
	ds_write2st64_b32 v14, v3, v4 offset0:8 offset1:12
	ds_write2st64_b32 v14, v5, v6 offset0:16 offset1:20
	;; [unrolled: 1-line block ×5, first 2 shown]
	ds_write_b32 v14, v13 offset:12288
	s_waitcnt lgkmcnt(0)
	s_barrier
.LBB1173_4:
	v_mul_u32_u24_e32 v31, 13, v0
	v_lshlrev_b32_e32 v1, 2, v31
	s_load_dwordx4 s[52:55], s[4:5], 0x28
	s_load_dwordx2 s[34:35], s[4:5], 0x38
	s_waitcnt lgkmcnt(0)
	ds_read2_b32 v[18:19], v1 offset1:1
	ds_read2_b32 v[16:17], v1 offset0:2 offset1:3
	ds_read2_b32 v[14:15], v1 offset0:4 offset1:5
	;; [unrolled: 1-line block ×5, first 2 shown]
	ds_read_b32 v30, v1 offset:48
	v_cndmask_b32_e64 v1, 0, 1, s[2:3]
	s_sub_i32 s7, s0, s1
	v_cmp_ne_u32_e64 s[0:1], 1, v1
	s_andn2_b64 vcc, exec, s[2:3]
	s_waitcnt lgkmcnt(0)
	s_barrier
	s_cbranch_vccnz .LBB1173_32
; %bb.5:
	v_add_u32_e32 v1, s37, v18
	v_add_u32_e32 v2, s39, v18
	v_mul_lo_u32 v1, v1, s36
	v_mul_lo_u32 v2, v2, s38
	v_sub_u32_e32 v1, v1, v2
	v_cmp_lt_u32_e32 vcc, s40, v1
	v_cmp_ge_u32_e64 s[2:3], s40, v1
	s_mov_b64 s[64:65], 0
	s_mov_b64 s[62:63], 0
	s_and_saveexec_b64 s[8:9], s[2:3]
; %bb.6:
	v_add_u32_e32 v1, s42, v18
	v_add_u32_e32 v2, s60, v18
	v_mul_lo_u32 v1, v1, s41
	v_mul_lo_u32 v2, v2, s43
	v_sub_u32_e32 v1, v1, v2
	v_cmp_lt_u32_e64 s[2:3], s61, v1
	s_and_b64 s[62:63], s[2:3], exec
; %bb.7:
	s_or_b64 exec, exec, s[8:9]
	v_add_u32_e32 v1, s37, v19
	v_add_u32_e32 v2, s39, v19
	v_mul_lo_u32 v1, v1, s36
	v_mul_lo_u32 v2, v2, s38
	v_sub_u32_e32 v1, v1, v2
	v_cmp_lt_u32_e64 s[2:3], s40, v1
	v_cmp_ge_u32_e64 s[8:9], s40, v1
	s_and_saveexec_b64 s[10:11], s[8:9]
; %bb.8:
	v_add_u32_e32 v1, s42, v19
	v_add_u32_e32 v2, s60, v19
	v_mul_lo_u32 v1, v1, s41
	v_mul_lo_u32 v2, v2, s43
	v_sub_u32_e32 v1, v1, v2
	v_cmp_lt_u32_e64 s[8:9], s61, v1
	s_and_b64 s[64:65], s[8:9], exec
; %bb.9:
	s_or_b64 exec, exec, s[10:11]
	v_add_u32_e32 v1, s37, v16
	v_add_u32_e32 v2, s39, v16
	v_mul_lo_u32 v1, v1, s36
	v_mul_lo_u32 v2, v2, s38
	v_sub_u32_e32 v1, v1, v2
	v_cmp_lt_u32_e64 s[26:27], s40, v1
	v_cmp_ge_u32_e64 s[8:9], s40, v1
	s_mov_b64 s[68:69], 0
	s_mov_b64 s[66:67], 0
	s_and_saveexec_b64 s[10:11], s[8:9]
; %bb.10:
	v_add_u32_e32 v1, s42, v16
	v_add_u32_e32 v2, s60, v16
	v_mul_lo_u32 v1, v1, s41
	v_mul_lo_u32 v2, v2, s43
	v_sub_u32_e32 v1, v1, v2
	v_cmp_lt_u32_e64 s[8:9], s61, v1
	s_and_b64 s[66:67], s[8:9], exec
; %bb.11:
	s_or_b64 exec, exec, s[10:11]
	v_add_u32_e32 v1, s37, v17
	v_add_u32_e32 v2, s39, v17
	v_mul_lo_u32 v1, v1, s36
	v_mul_lo_u32 v2, v2, s38
	v_sub_u32_e32 v1, v1, v2
	v_cmp_lt_u32_e64 s[8:9], s40, v1
	v_cmp_ge_u32_e64 s[10:11], s40, v1
	s_and_saveexec_b64 s[12:13], s[10:11]
; %bb.12:
	v_add_u32_e32 v1, s42, v17
	v_add_u32_e32 v2, s60, v17
	v_mul_lo_u32 v1, v1, s41
	v_mul_lo_u32 v2, v2, s43
	v_sub_u32_e32 v1, v1, v2
	v_cmp_lt_u32_e64 s[10:11], s61, v1
	s_and_b64 s[68:69], s[10:11], exec
; %bb.13:
	s_or_b64 exec, exec, s[12:13]
	v_add_u32_e32 v1, s37, v14
	v_add_u32_e32 v2, s39, v14
	v_mul_lo_u32 v1, v1, s36
	v_mul_lo_u32 v2, v2, s38
	v_sub_u32_e32 v1, v1, v2
	v_cmp_lt_u32_e64 s[10:11], s40, v1
	;; [unrolled: 38-line block ×5, first 2 shown]
	v_cmp_ge_u32_e64 s[24:25], s40, v1
	s_mov_b64 s[84:85], 0
	s_mov_b64 s[86:87], 0
	s_and_saveexec_b64 s[28:29], s[24:25]
; %bb.26:
	v_add_u32_e32 v1, s42, v8
	v_add_u32_e32 v2, s60, v8
	v_mul_lo_u32 v1, v1, s41
	v_mul_lo_u32 v2, v2, s43
	v_sub_u32_e32 v1, v1, v2
	v_cmp_lt_u32_e64 s[24:25], s61, v1
	s_and_b64 s[86:87], s[24:25], exec
; %bb.27:
	s_or_b64 exec, exec, s[28:29]
	v_add_u32_e32 v1, s37, v9
	v_add_u32_e32 v2, s39, v9
	v_mul_lo_u32 v1, v1, s36
	v_mul_lo_u32 v2, v2, s38
	v_sub_u32_e32 v1, v1, v2
	v_cmp_lt_u32_e64 s[24:25], s40, v1
	v_cmp_ge_u32_e64 s[28:29], s40, v1
	s_and_saveexec_b64 s[46:47], s[28:29]
; %bb.28:
	v_add_u32_e32 v1, s42, v9
	v_add_u32_e32 v2, s60, v9
	v_mul_lo_u32 v1, v1, s41
	v_mul_lo_u32 v2, v2, s43
	v_sub_u32_e32 v1, v1, v2
	v_cmp_lt_u32_e64 s[28:29], s61, v1
	s_and_b64 s[84:85], s[28:29], exec
; %bb.29:
	s_or_b64 exec, exec, s[46:47]
	v_add_u32_e32 v1, s37, v30
	v_add_u32_e32 v2, s39, v30
	v_mul_lo_u32 v1, v1, s36
	v_mul_lo_u32 v2, v2, s38
	v_sub_u32_e32 v1, v1, v2
	v_cmp_ge_u32_e64 s[28:29], s40, v1
	s_mov_b64 s[46:47], -1
	s_mov_b64 s[78:79], 0
	s_mov_b64 s[58:59], 0
	s_and_saveexec_b64 s[88:89], s[28:29]
; %bb.30:
	v_add_u32_e32 v1, s42, v30
	v_add_u32_e32 v2, s60, v30
	v_mul_lo_u32 v1, v1, s41
	v_mul_lo_u32 v2, v2, s43
	v_sub_u32_e32 v1, v1, v2
	v_cmp_lt_u32_e64 s[28:29], s61, v1
	s_and_b64 s[58:59], s[28:29], exec
	s_xor_b64 s[46:47], exec, -1
; %bb.31:
	s_or_b64 exec, exec, s[88:89]
	v_cndmask_b32_e64 v52, 0, 1, s[86:87]
	v_cndmask_b32_e64 v55, 0, 1, s[24:25]
	;; [unrolled: 1-line block ×22, first 2 shown]
	v_cndmask_b32_e64 v32, 0, 1, vcc
	v_cndmask_b32_e64 v54, 0, 1, s[84:85]
	s_load_dwordx2 s[12:13], s[4:5], 0x78
	s_add_i32 s18, s7, 0xd00
	s_and_b64 vcc, exec, s[78:79]
	s_cbranch_vccnz .LBB1173_33
	s_branch .LBB1173_86
.LBB1173_32:
                                        ; implicit-def: $sgpr46_sgpr47
                                        ; implicit-def: $sgpr58_sgpr59
                                        ; implicit-def: $vgpr54
                                        ; implicit-def: $vgpr52
                                        ; implicit-def: $vgpr50
                                        ; implicit-def: $vgpr48
                                        ; implicit-def: $vgpr46
                                        ; implicit-def: $vgpr44
                                        ; implicit-def: $vgpr42
                                        ; implicit-def: $vgpr40
                                        ; implicit-def: $vgpr38
                                        ; implicit-def: $vgpr32
                                        ; implicit-def: $vgpr34
                                        ; implicit-def: $vgpr36
                                        ; implicit-def: $vgpr39
                                        ; implicit-def: $vgpr41
                                        ; implicit-def: $vgpr43
                                        ; implicit-def: $vgpr45
                                        ; implicit-def: $vgpr47
                                        ; implicit-def: $vgpr49
                                        ; implicit-def: $vgpr51
                                        ; implicit-def: $vgpr53
                                        ; implicit-def: $vgpr55
                                        ; implicit-def: $vgpr33
                                        ; implicit-def: $vgpr35
                                        ; implicit-def: $vgpr37
	s_load_dwordx2 s[12:13], s[4:5], 0x78
	s_add_i32 s18, s7, 0xd00
	s_cbranch_execz .LBB1173_86
.LBB1173_33:
	v_cmp_gt_u32_e32 vcc, s18, v31
	v_mov_b32_e32 v33, 0
	v_mov_b32_e32 v32, 0
	s_and_saveexec_b64 s[4:5], vcc
	s_cbranch_execz .LBB1173_37
; %bb.34:
	v_add_u32_e32 v1, s37, v18
	v_add_u32_e32 v2, s39, v18
	v_mul_lo_u32 v1, v1, s36
	v_mul_lo_u32 v2, v2, s38
	v_sub_u32_e32 v1, v1, v2
	v_cmp_lt_u32_e32 vcc, s40, v1
	v_cmp_ge_u32_e64 s[2:3], s40, v1
	s_mov_b64 s[10:11], 0
	s_and_saveexec_b64 s[8:9], s[2:3]
; %bb.35:
	v_add_u32_e32 v1, s42, v18
	v_add_u32_e32 v2, s60, v18
	v_mul_lo_u32 v1, v1, s41
	v_mul_lo_u32 v2, v2, s43
	v_sub_u32_e32 v1, v1, v2
	v_cmp_lt_u32_e64 s[2:3], s61, v1
	s_and_b64 s[10:11], s[2:3], exec
; %bb.36:
	s_or_b64 exec, exec, s[8:9]
	v_cndmask_b32_e64 v32, 0, 1, vcc
	v_cndmask_b32_e64 v33, 0, 1, s[10:11]
.LBB1173_37:
	s_or_b64 exec, exec, s[4:5]
	v_add_u32_e32 v1, 1, v31
	v_cmp_gt_u32_e32 vcc, s18, v1
	v_mov_b32_e32 v34, 0
	v_mov_b32_e32 v35, 0
	s_and_saveexec_b64 s[4:5], vcc
	s_cbranch_execz .LBB1173_41
; %bb.38:
	v_add_u32_e32 v1, s37, v19
	v_add_u32_e32 v2, s39, v19
	v_mul_lo_u32 v1, v1, s36
	v_mul_lo_u32 v2, v2, s38
	v_sub_u32_e32 v1, v1, v2
	v_cmp_lt_u32_e32 vcc, s40, v1
	v_cmp_ge_u32_e64 s[2:3], s40, v1
	s_mov_b64 s[10:11], 0
	s_and_saveexec_b64 s[8:9], s[2:3]
; %bb.39:
	v_add_u32_e32 v1, s42, v19
	v_add_u32_e32 v2, s60, v19
	v_mul_lo_u32 v1, v1, s41
	v_mul_lo_u32 v2, v2, s43
	v_sub_u32_e32 v1, v1, v2
	v_cmp_lt_u32_e64 s[2:3], s61, v1
	s_and_b64 s[10:11], s[2:3], exec
; %bb.40:
	s_or_b64 exec, exec, s[8:9]
	v_cndmask_b32_e64 v34, 0, 1, vcc
	v_cndmask_b32_e64 v35, 0, 1, s[10:11]
.LBB1173_41:
	s_or_b64 exec, exec, s[4:5]
	v_add_u32_e32 v1, 2, v31
	v_cmp_gt_u32_e32 vcc, s18, v1
	v_mov_b32_e32 v36, 0
	v_mov_b32_e32 v37, 0
	s_and_saveexec_b64 s[4:5], vcc
	s_cbranch_execz .LBB1173_45
; %bb.42:
	v_add_u32_e32 v1, s37, v16
	v_add_u32_e32 v2, s39, v16
	v_mul_lo_u32 v1, v1, s36
	v_mul_lo_u32 v2, v2, s38
	v_sub_u32_e32 v1, v1, v2
	v_cmp_lt_u32_e32 vcc, s40, v1
	v_cmp_ge_u32_e64 s[2:3], s40, v1
	s_mov_b64 s[10:11], 0
	s_and_saveexec_b64 s[8:9], s[2:3]
; %bb.43:
	v_add_u32_e32 v1, s42, v16
	v_add_u32_e32 v2, s60, v16
	v_mul_lo_u32 v1, v1, s41
	v_mul_lo_u32 v2, v2, s43
	v_sub_u32_e32 v1, v1, v2
	v_cmp_lt_u32_e64 s[2:3], s61, v1
	s_and_b64 s[10:11], s[2:3], exec
; %bb.44:
	s_or_b64 exec, exec, s[8:9]
	v_cndmask_b32_e64 v36, 0, 1, vcc
	v_cndmask_b32_e64 v37, 0, 1, s[10:11]
.LBB1173_45:
	s_or_b64 exec, exec, s[4:5]
	v_add_u32_e32 v1, 3, v31
	v_cmp_gt_u32_e32 vcc, s18, v1
	v_mov_b32_e32 v38, 0
	v_mov_b32_e32 v39, 0
	s_and_saveexec_b64 s[4:5], vcc
	s_cbranch_execz .LBB1173_49
; %bb.46:
	v_add_u32_e32 v1, s37, v17
	v_add_u32_e32 v2, s39, v17
	v_mul_lo_u32 v1, v1, s36
	v_mul_lo_u32 v2, v2, s38
	v_sub_u32_e32 v1, v1, v2
	v_cmp_lt_u32_e32 vcc, s40, v1
	v_cmp_ge_u32_e64 s[2:3], s40, v1
	s_mov_b64 s[10:11], 0
	s_and_saveexec_b64 s[8:9], s[2:3]
; %bb.47:
	v_add_u32_e32 v1, s42, v17
	v_add_u32_e32 v2, s60, v17
	v_mul_lo_u32 v1, v1, s41
	v_mul_lo_u32 v2, v2, s43
	v_sub_u32_e32 v1, v1, v2
	v_cmp_lt_u32_e64 s[2:3], s61, v1
	s_and_b64 s[10:11], s[2:3], exec
; %bb.48:
	s_or_b64 exec, exec, s[8:9]
	v_cndmask_b32_e64 v39, 0, 1, vcc
	v_cndmask_b32_e64 v38, 0, 1, s[10:11]
.LBB1173_49:
	s_or_b64 exec, exec, s[4:5]
	v_add_u32_e32 v1, 4, v31
	v_cmp_gt_u32_e32 vcc, s18, v1
	v_mov_b32_e32 v40, 0
	v_mov_b32_e32 v41, 0
	s_and_saveexec_b64 s[4:5], vcc
	s_cbranch_execz .LBB1173_53
; %bb.50:
	v_add_u32_e32 v1, s37, v14
	v_add_u32_e32 v2, s39, v14
	v_mul_lo_u32 v1, v1, s36
	v_mul_lo_u32 v2, v2, s38
	v_sub_u32_e32 v1, v1, v2
	v_cmp_lt_u32_e32 vcc, s40, v1
	v_cmp_ge_u32_e64 s[2:3], s40, v1
	s_mov_b64 s[10:11], 0
	s_and_saveexec_b64 s[8:9], s[2:3]
; %bb.51:
	v_add_u32_e32 v1, s42, v14
	v_add_u32_e32 v2, s60, v14
	v_mul_lo_u32 v1, v1, s41
	v_mul_lo_u32 v2, v2, s43
	v_sub_u32_e32 v1, v1, v2
	v_cmp_lt_u32_e64 s[2:3], s61, v1
	s_and_b64 s[10:11], s[2:3], exec
; %bb.52:
	s_or_b64 exec, exec, s[8:9]
	v_cndmask_b32_e64 v41, 0, 1, vcc
	v_cndmask_b32_e64 v40, 0, 1, s[10:11]
.LBB1173_53:
	s_or_b64 exec, exec, s[4:5]
	v_add_u32_e32 v1, 5, v31
	v_cmp_gt_u32_e32 vcc, s18, v1
	v_mov_b32_e32 v42, 0
	v_mov_b32_e32 v43, 0
	s_and_saveexec_b64 s[4:5], vcc
	s_cbranch_execz .LBB1173_57
; %bb.54:
	v_add_u32_e32 v1, s37, v15
	v_add_u32_e32 v2, s39, v15
	v_mul_lo_u32 v1, v1, s36
	v_mul_lo_u32 v2, v2, s38
	v_sub_u32_e32 v1, v1, v2
	v_cmp_lt_u32_e32 vcc, s40, v1
	v_cmp_ge_u32_e64 s[2:3], s40, v1
	s_mov_b64 s[10:11], 0
	s_and_saveexec_b64 s[8:9], s[2:3]
; %bb.55:
	v_add_u32_e32 v1, s42, v15
	v_add_u32_e32 v2, s60, v15
	v_mul_lo_u32 v1, v1, s41
	v_mul_lo_u32 v2, v2, s43
	v_sub_u32_e32 v1, v1, v2
	v_cmp_lt_u32_e64 s[2:3], s61, v1
	s_and_b64 s[10:11], s[2:3], exec
; %bb.56:
	s_or_b64 exec, exec, s[8:9]
	v_cndmask_b32_e64 v43, 0, 1, vcc
	v_cndmask_b32_e64 v42, 0, 1, s[10:11]
.LBB1173_57:
	s_or_b64 exec, exec, s[4:5]
	v_add_u32_e32 v1, 6, v31
	v_cmp_gt_u32_e32 vcc, s18, v1
	v_mov_b32_e32 v44, 0
	v_mov_b32_e32 v45, 0
	s_and_saveexec_b64 s[4:5], vcc
	s_cbranch_execz .LBB1173_61
; %bb.58:
	v_add_u32_e32 v1, s37, v12
	v_add_u32_e32 v2, s39, v12
	v_mul_lo_u32 v1, v1, s36
	v_mul_lo_u32 v2, v2, s38
	v_sub_u32_e32 v1, v1, v2
	v_cmp_lt_u32_e32 vcc, s40, v1
	v_cmp_ge_u32_e64 s[2:3], s40, v1
	s_mov_b64 s[10:11], 0
	s_and_saveexec_b64 s[8:9], s[2:3]
; %bb.59:
	v_add_u32_e32 v1, s42, v12
	v_add_u32_e32 v2, s60, v12
	v_mul_lo_u32 v1, v1, s41
	v_mul_lo_u32 v2, v2, s43
	v_sub_u32_e32 v1, v1, v2
	v_cmp_lt_u32_e64 s[2:3], s61, v1
	s_and_b64 s[10:11], s[2:3], exec
; %bb.60:
	s_or_b64 exec, exec, s[8:9]
	v_cndmask_b32_e64 v45, 0, 1, vcc
	v_cndmask_b32_e64 v44, 0, 1, s[10:11]
.LBB1173_61:
	s_or_b64 exec, exec, s[4:5]
	v_add_u32_e32 v1, 7, v31
	v_cmp_gt_u32_e32 vcc, s18, v1
	v_mov_b32_e32 v46, 0
	v_mov_b32_e32 v47, 0
	s_and_saveexec_b64 s[4:5], vcc
	s_cbranch_execz .LBB1173_65
; %bb.62:
	v_add_u32_e32 v1, s37, v13
	v_add_u32_e32 v2, s39, v13
	v_mul_lo_u32 v1, v1, s36
	v_mul_lo_u32 v2, v2, s38
	v_sub_u32_e32 v1, v1, v2
	v_cmp_lt_u32_e32 vcc, s40, v1
	v_cmp_ge_u32_e64 s[2:3], s40, v1
	s_mov_b64 s[10:11], 0
	s_and_saveexec_b64 s[8:9], s[2:3]
; %bb.63:
	v_add_u32_e32 v1, s42, v13
	v_add_u32_e32 v2, s60, v13
	v_mul_lo_u32 v1, v1, s41
	v_mul_lo_u32 v2, v2, s43
	v_sub_u32_e32 v1, v1, v2
	v_cmp_lt_u32_e64 s[2:3], s61, v1
	s_and_b64 s[10:11], s[2:3], exec
; %bb.64:
	s_or_b64 exec, exec, s[8:9]
	v_cndmask_b32_e64 v47, 0, 1, vcc
	v_cndmask_b32_e64 v46, 0, 1, s[10:11]
.LBB1173_65:
	s_or_b64 exec, exec, s[4:5]
	v_add_u32_e32 v1, 8, v31
	v_cmp_gt_u32_e32 vcc, s18, v1
	v_mov_b32_e32 v48, 0
	v_mov_b32_e32 v49, 0
	s_and_saveexec_b64 s[4:5], vcc
	s_cbranch_execz .LBB1173_69
; %bb.66:
	v_add_u32_e32 v1, s37, v10
	v_add_u32_e32 v2, s39, v10
	v_mul_lo_u32 v1, v1, s36
	v_mul_lo_u32 v2, v2, s38
	v_sub_u32_e32 v1, v1, v2
	v_cmp_lt_u32_e32 vcc, s40, v1
	v_cmp_ge_u32_e64 s[2:3], s40, v1
	s_mov_b64 s[10:11], 0
	s_and_saveexec_b64 s[8:9], s[2:3]
; %bb.67:
	v_add_u32_e32 v1, s42, v10
	v_add_u32_e32 v2, s60, v10
	v_mul_lo_u32 v1, v1, s41
	v_mul_lo_u32 v2, v2, s43
	v_sub_u32_e32 v1, v1, v2
	v_cmp_lt_u32_e64 s[2:3], s61, v1
	s_and_b64 s[10:11], s[2:3], exec
; %bb.68:
	s_or_b64 exec, exec, s[8:9]
	v_cndmask_b32_e64 v49, 0, 1, vcc
	v_cndmask_b32_e64 v48, 0, 1, s[10:11]
.LBB1173_69:
	s_or_b64 exec, exec, s[4:5]
	v_add_u32_e32 v1, 9, v31
	v_cmp_gt_u32_e32 vcc, s18, v1
	v_mov_b32_e32 v50, 0
	v_mov_b32_e32 v51, 0
	s_and_saveexec_b64 s[4:5], vcc
	s_cbranch_execz .LBB1173_73
; %bb.70:
	v_add_u32_e32 v1, s37, v11
	v_add_u32_e32 v2, s39, v11
	v_mul_lo_u32 v1, v1, s36
	v_mul_lo_u32 v2, v2, s38
	v_sub_u32_e32 v1, v1, v2
	v_cmp_lt_u32_e32 vcc, s40, v1
	v_cmp_ge_u32_e64 s[2:3], s40, v1
	s_mov_b64 s[10:11], 0
	s_and_saveexec_b64 s[8:9], s[2:3]
; %bb.71:
	v_add_u32_e32 v1, s42, v11
	v_add_u32_e32 v2, s60, v11
	v_mul_lo_u32 v1, v1, s41
	v_mul_lo_u32 v2, v2, s43
	v_sub_u32_e32 v1, v1, v2
	v_cmp_lt_u32_e64 s[2:3], s61, v1
	s_and_b64 s[10:11], s[2:3], exec
; %bb.72:
	s_or_b64 exec, exec, s[8:9]
	v_cndmask_b32_e64 v51, 0, 1, vcc
	v_cndmask_b32_e64 v50, 0, 1, s[10:11]
.LBB1173_73:
	s_or_b64 exec, exec, s[4:5]
	v_add_u32_e32 v1, 10, v31
	v_cmp_gt_u32_e32 vcc, s18, v1
	v_mov_b32_e32 v52, 0
	v_mov_b32_e32 v53, 0
	s_and_saveexec_b64 s[4:5], vcc
	s_cbranch_execz .LBB1173_77
; %bb.74:
	v_add_u32_e32 v1, s37, v8
	v_add_u32_e32 v2, s39, v8
	v_mul_lo_u32 v1, v1, s36
	v_mul_lo_u32 v2, v2, s38
	v_sub_u32_e32 v1, v1, v2
	v_cmp_lt_u32_e32 vcc, s40, v1
	v_cmp_ge_u32_e64 s[2:3], s40, v1
	s_mov_b64 s[10:11], 0
	s_and_saveexec_b64 s[8:9], s[2:3]
; %bb.75:
	v_add_u32_e32 v1, s42, v8
	v_add_u32_e32 v2, s60, v8
	v_mul_lo_u32 v1, v1, s41
	v_mul_lo_u32 v2, v2, s43
	v_sub_u32_e32 v1, v1, v2
	v_cmp_lt_u32_e64 s[2:3], s61, v1
	s_and_b64 s[10:11], s[2:3], exec
; %bb.76:
	s_or_b64 exec, exec, s[8:9]
	v_cndmask_b32_e64 v53, 0, 1, vcc
	v_cndmask_b32_e64 v52, 0, 1, s[10:11]
.LBB1173_77:
	s_or_b64 exec, exec, s[4:5]
	v_add_u32_e32 v1, 11, v31
	v_cmp_gt_u32_e32 vcc, s18, v1
	v_mov_b32_e32 v54, 0
	v_mov_b32_e32 v55, 0
	s_and_saveexec_b64 s[4:5], vcc
	s_cbranch_execz .LBB1173_81
; %bb.78:
	v_add_u32_e32 v1, s37, v9
	v_add_u32_e32 v2, s39, v9
	v_mul_lo_u32 v1, v1, s36
	v_mul_lo_u32 v2, v2, s38
	v_sub_u32_e32 v1, v1, v2
	v_cmp_lt_u32_e32 vcc, s40, v1
	v_cmp_ge_u32_e64 s[2:3], s40, v1
	s_mov_b64 s[10:11], 0
	s_and_saveexec_b64 s[8:9], s[2:3]
; %bb.79:
	v_add_u32_e32 v1, s42, v9
	v_add_u32_e32 v2, s60, v9
	v_mul_lo_u32 v1, v1, s41
	v_mul_lo_u32 v2, v2, s43
	v_sub_u32_e32 v1, v1, v2
	v_cmp_lt_u32_e64 s[2:3], s61, v1
	s_and_b64 s[10:11], s[2:3], exec
; %bb.80:
	s_or_b64 exec, exec, s[8:9]
	v_cndmask_b32_e64 v55, 0, 1, vcc
	v_cndmask_b32_e64 v54, 0, 1, s[10:11]
.LBB1173_81:
	s_or_b64 exec, exec, s[4:5]
	v_add_u32_e32 v1, 12, v31
	v_cmp_gt_u32_e32 vcc, s18, v1
	s_mov_b64 s[46:47], 0
	s_mov_b64 s[58:59], 0
	s_and_saveexec_b64 s[2:3], vcc
	s_cbranch_execz .LBB1173_85
; %bb.82:
	v_add_u32_e32 v1, s37, v30
	v_add_u32_e32 v2, s39, v30
	v_mul_lo_u32 v1, v1, s36
	v_mul_lo_u32 v2, v2, s38
	v_sub_u32_e32 v1, v1, v2
	v_cmp_ge_u32_e32 vcc, s40, v1
	s_mov_b64 s[8:9], -1
	s_mov_b64 s[10:11], 0
	s_and_saveexec_b64 s[4:5], vcc
; %bb.83:
	v_add_u32_e32 v1, s42, v30
	v_add_u32_e32 v2, s60, v30
	v_mul_lo_u32 v1, v1, s41
	v_mul_lo_u32 v2, v2, s43
	v_sub_u32_e32 v1, v1, v2
	v_cmp_lt_u32_e32 vcc, s61, v1
	s_and_b64 s[10:11], vcc, exec
	s_xor_b64 s[8:9], exec, -1
; %bb.84:
	s_or_b64 exec, exec, s[4:5]
	s_and_b64 s[58:59], s[10:11], exec
	s_and_b64 s[46:47], s[8:9], exec
.LBB1173_85:
	s_or_b64 exec, exec, s[2:3]
.LBB1173_86:
	v_and_b32_e32 v63, 0xff, v33
	v_and_b32_e32 v74, 0xff, v35
	;; [unrolled: 1-line block ×5, first 2 shown]
	v_add3_u32 v2, v74, v65, v63
	v_and_b32_e32 v76, 0xff, v42
	v_and_b32_e32 v69, 0xff, v44
	v_add3_u32 v2, v2, v75, v67
	v_and_b32_e32 v62, 0xff, v32
	v_and_b32_e32 v56, 0xff, v34
	;; [unrolled: 1-line block ×5, first 2 shown]
	v_add3_u32 v2, v2, v76, v69
	v_and_b32_e32 v57, 0xff, v39
	v_and_b32_e32 v66, 0xff, v41
	;; [unrolled: 1-line block ×4, first 2 shown]
	v_add3_u32 v3, v56, v64, v62
	v_add3_u32 v2, v2, v77, v71
	v_and_b32_e32 v58, 0xff, v43
	v_and_b32_e32 v68, 0xff, v45
	;; [unrolled: 1-line block ×3, first 2 shown]
	v_cndmask_b32_e64 v1, 0, 1, s[58:59]
	v_add3_u32 v3, v3, v57, v66
	v_add3_u32 v2, v2, v78, v73
	v_and_b32_e32 v59, 0xff, v47
	v_and_b32_e32 v70, 0xff, v49
	v_add3_u32 v3, v3, v58, v68
	v_add3_u32 v86, v2, v79, v1
	v_mbcnt_lo_u32_b32 v1, -1, 0
	v_and_b32_e32 v60, 0xff, v51
	v_and_b32_e32 v72, 0xff, v53
	v_add3_u32 v3, v3, v59, v70
	v_mbcnt_hi_u32_b32 v80, -1, v1
	v_and_b32_e32 v61, 0xff, v55
	v_add3_u32 v3, v3, v60, v72
	v_cndmask_b32_e64 v4, 0, 1, s[46:47]
	v_and_b32_e32 v84, 15, v80
	s_cmp_lg_u32 s6, 0
	v_add3_u32 v85, v3, v61, v4
	v_cmp_eq_u32_e64 s[4:5], 0, v84
	v_cmp_lt_u32_e64 s[2:3], 1, v84
	v_cmp_lt_u32_e64 s[8:9], 3, v84
	;; [unrolled: 1-line block ×3, first 2 shown]
	v_and_b32_e32 v83, 16, v80
	v_cmp_lt_u32_e32 vcc, 31, v80
	v_lshrrev_b32_e32 v81, 6, v0
	v_or_b32_e32 v82, 63, v0
	s_cbranch_scc0 .LBB1173_119
; %bb.87:
	v_mov_b32_dpp v1, v85 row_shr:1 row_mask:0xf bank_mask:0xf
	v_mov_b32_dpp v2, v86 row_shr:1 row_mask:0xf bank_mask:0xf
	v_add_u32_e32 v1, v1, v85
	v_add_u32_e32 v2, v2, v86
	v_cndmask_b32_e64 v2, v2, v86, s[4:5]
	v_cndmask_b32_e64 v1, v1, v85, s[4:5]
	s_nop 0
	v_mov_b32_dpp v4, v2 row_shr:2 row_mask:0xf bank_mask:0xf
	v_mov_b32_dpp v3, v1 row_shr:2 row_mask:0xf bank_mask:0xf
	v_add_u32_e32 v3, v1, v3
	v_add_u32_e32 v4, v2, v4
	v_cndmask_b32_e64 v2, v2, v4, s[2:3]
	v_cndmask_b32_e64 v1, v1, v3, s[2:3]
	s_nop 0
	v_mov_b32_dpp v4, v2 row_shr:4 row_mask:0xf bank_mask:0xf
	v_mov_b32_dpp v3, v1 row_shr:4 row_mask:0xf bank_mask:0xf
	v_add_u32_e32 v3, v1, v3
	v_add_u32_e32 v4, v2, v4
	v_cndmask_b32_e64 v2, v2, v4, s[8:9]
	v_cndmask_b32_e64 v1, v1, v3, s[8:9]
	v_cmp_eq_u32_e64 s[8:9], 0, v83
	v_mov_b32_dpp v4, v2 row_shr:8 row_mask:0xf bank_mask:0xf
	v_mov_b32_dpp v3, v1 row_shr:8 row_mask:0xf bank_mask:0xf
	v_add_u32_e32 v3, v1, v3
	v_add_u32_e32 v4, v2, v4
	v_cndmask_b32_e64 v2, v2, v4, s[10:11]
	v_cndmask_b32_e64 v1, v1, v3, s[10:11]
	s_nop 0
	v_mov_b32_dpp v4, v2 row_bcast:15 row_mask:0xf bank_mask:0xf
	v_mov_b32_dpp v3, v1 row_bcast:15 row_mask:0xf bank_mask:0xf
	v_add_u32_e32 v3, v1, v3
	v_add_u32_e32 v4, v2, v4
	v_cndmask_b32_e64 v2, v4, v2, s[8:9]
	v_cndmask_b32_e64 v1, v3, v1, s[8:9]
	s_nop 0
	v_mov_b32_dpp v4, v2 row_bcast:31 row_mask:0xf bank_mask:0xf
	v_mov_b32_dpp v3, v1 row_bcast:31 row_mask:0xf bank_mask:0xf
	v_add_u32_e32 v4, v2, v4
	v_add_u32_e32 v5, v1, v3
	v_cndmask_b32_e32 v3, v2, v4, vcc
	v_cndmask_b32_e32 v2, v1, v5, vcc
	v_cmp_eq_u32_e32 vcc, v82, v0
	s_and_saveexec_b64 s[8:9], vcc
	s_cbranch_execz .LBB1173_89
; %bb.88:
	v_lshlrev_b32_e32 v1, 3, v81
	ds_write_b64 v1, v[2:3]
.LBB1173_89:
	s_or_b64 exec, exec, s[8:9]
	v_cmp_gt_u32_e32 vcc, 4, v0
	s_waitcnt lgkmcnt(0)
	s_barrier
	s_and_saveexec_b64 s[8:9], vcc
	s_cbranch_execz .LBB1173_91
; %bb.90:
	v_lshlrev_b32_e32 v1, 3, v0
	ds_read_b64 v[4:5], v1
	v_and_b32_e32 v6, 3, v80
	v_cmp_eq_u32_e32 vcc, 0, v6
	s_waitcnt lgkmcnt(0)
	v_mov_b32_dpp v7, v4 row_shr:1 row_mask:0xf bank_mask:0xf
	v_mov_b32_dpp v20, v5 row_shr:1 row_mask:0xf bank_mask:0xf
	v_add_u32_e32 v7, v7, v4
	v_add_u32_e32 v20, v20, v5
	v_cndmask_b32_e32 v5, v20, v5, vcc
	v_cndmask_b32_e32 v4, v7, v4, vcc
	v_cmp_lt_u32_e32 vcc, 1, v6
	v_mov_b32_dpp v20, v5 row_shr:2 row_mask:0xf bank_mask:0xf
	v_mov_b32_dpp v7, v4 row_shr:2 row_mask:0xf bank_mask:0xf
	v_cndmask_b32_e32 v6, 0, v7, vcc
	v_cndmask_b32_e32 v7, 0, v20, vcc
	v_add_u32_e32 v5, v7, v5
	v_add_u32_e32 v4, v6, v4
	ds_write_b64 v1, v[4:5]
.LBB1173_91:
	s_or_b64 exec, exec, s[8:9]
	v_cmp_gt_u32_e32 vcc, 64, v0
	v_cmp_lt_u32_e64 s[8:9], 63, v0
	s_waitcnt lgkmcnt(0)
	s_barrier
	s_waitcnt lgkmcnt(0)
                                        ; implicit-def: $vgpr21
	s_and_saveexec_b64 s[10:11], s[8:9]
	s_xor_b64 s[8:9], exec, s[10:11]
	s_cbranch_execz .LBB1173_93
; %bb.92:
	v_lshl_add_u32 v1, v81, 3, -8
	ds_read_b64 v[20:21], v1
	s_waitcnt lgkmcnt(0)
	v_add_u32_e32 v3, v21, v3
	v_add_u32_e32 v2, v20, v2
.LBB1173_93:
	s_andn2_saveexec_b64 s[8:9], s[8:9]
; %bb.94:
                                        ; implicit-def: $vgpr20
; %bb.95:
	s_or_b64 exec, exec, s[8:9]
	v_add_u32_e32 v1, -1, v80
	v_and_b32_e32 v4, 64, v80
	v_cmp_lt_i32_e64 s[8:9], v1, v4
	v_cndmask_b32_e64 v1, v1, v80, s[8:9]
	v_lshlrev_b32_e32 v4, 2, v1
	ds_bpermute_b32 v1, v4, v2
	ds_bpermute_b32 v87, v4, v3
	v_cmp_eq_u32_e64 s[8:9], 0, v80
	s_and_saveexec_b64 s[10:11], vcc
	s_cbranch_execz .LBB1173_118
; %bb.96:
	v_mov_b32_e32 v7, 0
	ds_read_b64 v[22:23], v7 offset:24
	s_and_saveexec_b64 s[14:15], s[8:9]
	s_cbranch_execz .LBB1173_98
; %bb.97:
	s_add_i32 s16, s6, 64
	s_mov_b32 s17, 0
	s_lshl_b64 s[16:17], s[16:17], 4
	s_waitcnt lgkmcnt(0)
	v_and_b32_e32 v2, 0xff000000, v23
	v_and_b32_e32 v3, 0xff0000, v23
	s_add_u32 s16, s12, s16
	v_or_b32_e32 v2, v3, v2
	v_and_b32_e32 v3, 0xff00, v23
	s_addc_u32 s17, s13, s17
	v_or_b32_e32 v2, v2, v3
	v_or_b32_sdwa v5, v2, v23 dst_sel:DWORD dst_unused:UNUSED_PAD src0_sel:DWORD src1_sel:BYTE_0
	v_mov_b32_e32 v6, 1
	v_mov_b32_e32 v4, v22
	v_pk_mov_b32 v[2:3], s[16:17], s[16:17] op_sel:[0,1]
	;;#ASMSTART
	global_store_dwordx4 v[2:3], v[4:7] off	
s_waitcnt vmcnt(0)
	;;#ASMEND
.LBB1173_98:
	s_or_b64 exec, exec, s[14:15]
	v_xad_u32 v24, v80, -1, s6
	v_add_u32_e32 v6, 64, v24
	v_lshlrev_b64 v[2:3], 4, v[6:7]
	v_mov_b32_e32 v4, s13
	v_add_co_u32_e32 v26, vcc, s12, v2
	v_addc_co_u32_e32 v27, vcc, v4, v3, vcc
	;;#ASMSTART
	global_load_dwordx4 v[2:5], v[26:27] off glc	
s_waitcnt vmcnt(0)
	;;#ASMEND
	v_and_b32_e32 v5, 0xff, v3
	v_and_b32_e32 v6, 0xff00, v3
	v_or3_b32 v5, 0, v5, v6
	v_or3_b32 v2, v2, 0, 0
	v_and_b32_e32 v6, 0xff000000, v3
	v_and_b32_e32 v3, 0xff0000, v3
	v_or3_b32 v3, v5, v3, v6
	v_or3_b32 v2, v2, 0, 0
	v_cmp_eq_u16_sdwa s[16:17], v4, v7 src0_sel:BYTE_0 src1_sel:DWORD
	s_and_saveexec_b64 s[14:15], s[16:17]
	s_cbranch_execz .LBB1173_104
; %bb.99:
	s_mov_b32 s7, 1
	s_mov_b64 s[16:17], 0
	v_mov_b32_e32 v6, 0
.LBB1173_100:                           ; =>This Loop Header: Depth=1
                                        ;     Child Loop BB1173_101 Depth 2
	s_max_u32 s19, s7, 1
.LBB1173_101:                           ;   Parent Loop BB1173_100 Depth=1
                                        ; =>  This Inner Loop Header: Depth=2
	s_add_i32 s19, s19, -1
	s_cmp_eq_u32 s19, 0
	s_sleep 1
	s_cbranch_scc0 .LBB1173_101
; %bb.102:                              ;   in Loop: Header=BB1173_100 Depth=1
	s_cmp_lt_u32 s7, 32
	s_cselect_b64 s[20:21], -1, 0
	s_cmp_lg_u64 s[20:21], 0
	s_addc_u32 s7, s7, 0
	;;#ASMSTART
	global_load_dwordx4 v[2:5], v[26:27] off glc	
s_waitcnt vmcnt(0)
	;;#ASMEND
	v_cmp_ne_u16_sdwa s[20:21], v4, v6 src0_sel:BYTE_0 src1_sel:DWORD
	s_or_b64 s[16:17], s[20:21], s[16:17]
	s_andn2_b64 exec, exec, s[16:17]
	s_cbranch_execnz .LBB1173_100
; %bb.103:
	s_or_b64 exec, exec, s[16:17]
.LBB1173_104:
	s_or_b64 exec, exec, s[14:15]
	v_and_b32_e32 v89, 63, v80
	v_cmp_ne_u32_e32 vcc, 63, v89
	v_mov_b32_e32 v88, 2
	v_addc_co_u32_e32 v26, vcc, 0, v80, vcc
	v_cmp_eq_u16_sdwa s[14:15], v4, v88 src0_sel:BYTE_0 src1_sel:DWORD
	v_lshlrev_b64 v[6:7], v80, -1
	v_lshlrev_b32_e32 v90, 2, v26
	v_and_b32_e32 v5, s15, v7
	ds_bpermute_b32 v26, v90, v2
	ds_bpermute_b32 v27, v90, v3
	v_or_b32_e32 v5, 0x80000000, v5
	v_and_b32_e32 v25, s14, v6
	v_ffbl_b32_e32 v5, v5
	v_add_u32_e32 v5, 32, v5
	v_ffbl_b32_e32 v25, v25
	v_min_u32_e32 v5, v25, v5
	s_waitcnt lgkmcnt(1)
	v_add_u32_e32 v25, v26, v2
	s_waitcnt lgkmcnt(0)
	v_add_u32_e32 v26, v27, v3
	v_cmp_lt_u32_e32 vcc, v89, v5
	v_cndmask_b32_e32 v3, v3, v26, vcc
	v_cndmask_b32_e32 v2, v2, v25, vcc
	v_cmp_gt_u32_e32 vcc, 62, v89
	v_cndmask_b32_e64 v25, 0, 1, vcc
	v_lshlrev_b32_e32 v25, 1, v25
	v_add_lshl_u32 v91, v25, v80, 2
	ds_bpermute_b32 v25, v91, v2
	ds_bpermute_b32 v26, v91, v3
	v_add_u32_e32 v92, 2, v89
	v_cmp_gt_u32_e32 vcc, v92, v5
	v_add_u32_e32 v94, 4, v89
	s_waitcnt lgkmcnt(1)
	v_add_u32_e32 v25, v2, v25
	s_waitcnt lgkmcnt(0)
	v_add_u32_e32 v26, v3, v26
	v_cndmask_b32_e32 v3, v26, v3, vcc
	v_cndmask_b32_e32 v2, v25, v2, vcc
	v_cmp_gt_u32_e32 vcc, 60, v89
	v_cndmask_b32_e64 v25, 0, 1, vcc
	v_lshlrev_b32_e32 v25, 2, v25
	v_add_lshl_u32 v93, v25, v80, 2
	ds_bpermute_b32 v25, v93, v2
	ds_bpermute_b32 v26, v93, v3
	v_cmp_gt_u32_e32 vcc, v94, v5
	v_add_u32_e32 v96, 8, v89
	v_add_u32_e32 v98, 16, v89
	s_waitcnt lgkmcnt(1)
	v_add_u32_e32 v25, v2, v25
	s_waitcnt lgkmcnt(0)
	v_add_u32_e32 v26, v3, v26
	v_cndmask_b32_e32 v3, v26, v3, vcc
	v_cndmask_b32_e32 v2, v25, v2, vcc
	v_cmp_gt_u32_e32 vcc, 56, v89
	v_cndmask_b32_e64 v25, 0, 1, vcc
	v_lshlrev_b32_e32 v25, 3, v25
	v_add_lshl_u32 v95, v25, v80, 2
	ds_bpermute_b32 v25, v95, v2
	ds_bpermute_b32 v26, v95, v3
	v_cmp_gt_u32_e32 vcc, v96, v5
	v_add_u32_e32 v100, 32, v89
	s_waitcnt lgkmcnt(1)
	v_add_u32_e32 v25, v2, v25
	s_waitcnt lgkmcnt(0)
	v_add_u32_e32 v26, v3, v26
	v_cndmask_b32_e32 v3, v26, v3, vcc
	v_cndmask_b32_e32 v2, v25, v2, vcc
	v_cmp_gt_u32_e32 vcc, 48, v89
	v_cndmask_b32_e64 v25, 0, 1, vcc
	v_lshlrev_b32_e32 v25, 4, v25
	v_add_lshl_u32 v97, v25, v80, 2
	ds_bpermute_b32 v25, v97, v2
	ds_bpermute_b32 v26, v97, v3
	v_cmp_gt_u32_e32 vcc, v98, v5
	s_waitcnt lgkmcnt(1)
	v_add_u32_e32 v25, v2, v25
	s_waitcnt lgkmcnt(0)
	v_add_u32_e32 v26, v3, v26
	v_cndmask_b32_e32 v3, v26, v3, vcc
	v_cndmask_b32_e32 v2, v25, v2, vcc
	v_cmp_gt_u32_e32 vcc, 32, v89
	v_cndmask_b32_e64 v25, 0, 1, vcc
	v_lshlrev_b32_e32 v25, 5, v25
	v_add_lshl_u32 v99, v25, v80, 2
	ds_bpermute_b32 v25, v99, v2
	ds_bpermute_b32 v26, v99, v3
	v_cmp_le_u32_e32 vcc, v100, v5
	s_waitcnt lgkmcnt(1)
	v_cndmask_b32_e32 v5, 0, v25, vcc
	s_waitcnt lgkmcnt(0)
	v_cndmask_b32_e32 v25, 0, v26, vcc
	v_add_u32_e32 v3, v3, v25
	v_add_u32_e32 v2, v2, v5
	v_mov_b32_e32 v25, 0
	s_branch .LBB1173_106
.LBB1173_105:                           ;   in Loop: Header=BB1173_106 Depth=1
	s_or_b64 exec, exec, s[14:15]
	v_cmp_eq_u16_sdwa s[14:15], v4, v88 src0_sel:BYTE_0 src1_sel:DWORD
	v_and_b32_e32 v5, s15, v7
	ds_bpermute_b32 v29, v90, v2
	ds_bpermute_b32 v101, v90, v3
	v_or_b32_e32 v5, 0x80000000, v5
	v_and_b32_e32 v28, s14, v6
	v_ffbl_b32_e32 v5, v5
	v_add_u32_e32 v5, 32, v5
	v_ffbl_b32_e32 v28, v28
	v_min_u32_e32 v5, v28, v5
	s_waitcnt lgkmcnt(1)
	v_add_u32_e32 v28, v29, v2
	s_waitcnt lgkmcnt(0)
	v_add_u32_e32 v29, v101, v3
	v_cmp_lt_u32_e32 vcc, v89, v5
	v_cndmask_b32_e32 v3, v3, v29, vcc
	v_cndmask_b32_e32 v2, v2, v28, vcc
	ds_bpermute_b32 v28, v91, v2
	ds_bpermute_b32 v29, v91, v3
	v_cmp_gt_u32_e32 vcc, v92, v5
	v_subrev_u32_e32 v24, 64, v24
	s_waitcnt lgkmcnt(1)
	v_add_u32_e32 v28, v2, v28
	s_waitcnt lgkmcnt(0)
	v_add_u32_e32 v29, v3, v29
	v_cndmask_b32_e32 v3, v29, v3, vcc
	v_cndmask_b32_e32 v2, v28, v2, vcc
	ds_bpermute_b32 v28, v93, v2
	ds_bpermute_b32 v29, v93, v3
	v_cmp_gt_u32_e32 vcc, v94, v5
	s_waitcnt lgkmcnt(1)
	v_add_u32_e32 v28, v2, v28
	s_waitcnt lgkmcnt(0)
	v_add_u32_e32 v29, v3, v29
	v_cndmask_b32_e32 v3, v29, v3, vcc
	v_cndmask_b32_e32 v2, v28, v2, vcc
	ds_bpermute_b32 v28, v95, v2
	ds_bpermute_b32 v29, v95, v3
	v_cmp_gt_u32_e32 vcc, v96, v5
	;; [unrolled: 9-line block ×3, first 2 shown]
	s_waitcnt lgkmcnt(1)
	v_add_u32_e32 v28, v2, v28
	s_waitcnt lgkmcnt(0)
	v_add_u32_e32 v29, v3, v29
	v_cndmask_b32_e32 v3, v29, v3, vcc
	v_cndmask_b32_e32 v2, v28, v2, vcc
	ds_bpermute_b32 v28, v99, v2
	ds_bpermute_b32 v29, v99, v3
	v_cmp_le_u32_e32 vcc, v100, v5
	s_waitcnt lgkmcnt(1)
	v_cndmask_b32_e32 v5, 0, v28, vcc
	s_waitcnt lgkmcnt(0)
	v_cndmask_b32_e32 v28, 0, v29, vcc
	v_add3_u32 v3, v28, v27, v3
	v_add3_u32 v2, v5, v26, v2
.LBB1173_106:                           ; =>This Loop Header: Depth=1
                                        ;     Child Loop BB1173_109 Depth 2
                                        ;       Child Loop BB1173_110 Depth 3
	v_cmp_ne_u16_sdwa s[14:15], v4, v88 src0_sel:BYTE_0 src1_sel:DWORD
	v_cndmask_b32_e64 v4, 0, 1, s[14:15]
	;;#ASMSTART
	;;#ASMEND
	v_cmp_ne_u32_e32 vcc, 0, v4
	s_cmp_lg_u64 vcc, exec
	v_pk_mov_b32 v[26:27], v[2:3], v[2:3] op_sel:[0,1]
	s_cbranch_scc1 .LBB1173_113
; %bb.107:                              ;   in Loop: Header=BB1173_106 Depth=1
	v_lshlrev_b64 v[2:3], 4, v[24:25]
	v_mov_b32_e32 v4, s13
	v_add_co_u32_e32 v28, vcc, s12, v2
	v_addc_co_u32_e32 v29, vcc, v4, v3, vcc
	;;#ASMSTART
	global_load_dwordx4 v[2:5], v[28:29] off glc	
s_waitcnt vmcnt(0)
	;;#ASMEND
	v_and_b32_e32 v5, 0xff, v3
	v_and_b32_e32 v101, 0xff00, v3
	v_or3_b32 v5, 0, v5, v101
	v_or3_b32 v2, v2, 0, 0
	v_and_b32_e32 v101, 0xff000000, v3
	v_and_b32_e32 v3, 0xff0000, v3
	v_or3_b32 v3, v5, v3, v101
	v_or3_b32 v2, v2, 0, 0
	v_cmp_eq_u16_sdwa s[16:17], v4, v25 src0_sel:BYTE_0 src1_sel:DWORD
	s_and_saveexec_b64 s[14:15], s[16:17]
	s_cbranch_execz .LBB1173_105
; %bb.108:                              ;   in Loop: Header=BB1173_106 Depth=1
	s_mov_b32 s7, 1
	s_mov_b64 s[16:17], 0
.LBB1173_109:                           ;   Parent Loop BB1173_106 Depth=1
                                        ; =>  This Loop Header: Depth=2
                                        ;       Child Loop BB1173_110 Depth 3
	s_max_u32 s19, s7, 1
.LBB1173_110:                           ;   Parent Loop BB1173_106 Depth=1
                                        ;     Parent Loop BB1173_109 Depth=2
                                        ; =>    This Inner Loop Header: Depth=3
	s_add_i32 s19, s19, -1
	s_cmp_eq_u32 s19, 0
	s_sleep 1
	s_cbranch_scc0 .LBB1173_110
; %bb.111:                              ;   in Loop: Header=BB1173_109 Depth=2
	s_cmp_lt_u32 s7, 32
	s_cselect_b64 s[20:21], -1, 0
	s_cmp_lg_u64 s[20:21], 0
	s_addc_u32 s7, s7, 0
	;;#ASMSTART
	global_load_dwordx4 v[2:5], v[28:29] off glc	
s_waitcnt vmcnt(0)
	;;#ASMEND
	v_cmp_ne_u16_sdwa s[20:21], v4, v25 src0_sel:BYTE_0 src1_sel:DWORD
	s_or_b64 s[16:17], s[20:21], s[16:17]
	s_andn2_b64 exec, exec, s[16:17]
	s_cbranch_execnz .LBB1173_109
; %bb.112:                              ;   in Loop: Header=BB1173_106 Depth=1
	s_or_b64 exec, exec, s[16:17]
	s_branch .LBB1173_105
.LBB1173_113:                           ;   in Loop: Header=BB1173_106 Depth=1
                                        ; implicit-def: $vgpr4
                                        ; implicit-def: $vgpr2_vgpr3
	s_cbranch_execz .LBB1173_106
; %bb.114:
	s_and_saveexec_b64 s[14:15], s[8:9]
	s_cbranch_execz .LBB1173_116
; %bb.115:
	s_add_i32 s6, s6, 64
	s_mov_b32 s7, 0
	v_add_u32_e32 v3, v27, v23
	s_lshl_b64 s[6:7], s[6:7], 4
	s_add_u32 s6, s12, s6
	v_and_b32_e32 v4, 0xff000000, v3
	v_and_b32_e32 v6, 0xff0000, v3
	s_addc_u32 s7, s13, s7
	v_or_b32_e32 v4, v6, v4
	v_and_b32_e32 v6, 0xff00, v3
	v_and_b32_e32 v3, 0xff, v3
	v_add_u32_e32 v2, v26, v22
	v_mov_b32_e32 v5, 0
	v_or3_b32 v3, v4, v6, v3
	v_mov_b32_e32 v4, 2
	v_pk_mov_b32 v[6:7], s[6:7], s[6:7] op_sel:[0,1]
	;;#ASMSTART
	global_store_dwordx4 v[6:7], v[2:5] off	
s_waitcnt vmcnt(0)
	;;#ASMEND
	s_movk_i32 s6, 0x3400
	v_add_u32_e64 v2, s6, 0
	ds_write2_b32 v2, v22, v23 offset1:2
	ds_write2_b32 v2, v26, v27 offset0:4 offset1:6
.LBB1173_116:
	s_or_b64 exec, exec, s[14:15]
	v_cmp_eq_u32_e32 vcc, 0, v0
	s_and_b64 exec, exec, vcc
	s_cbranch_execz .LBB1173_118
; %bb.117:
	v_mov_b32_e32 v2, 0
	ds_write_b64 v2, v[26:27] offset:24
.LBB1173_118:
	s_or_b64 exec, exec, s[10:11]
	v_mov_b32_e32 v2, 0
	s_waitcnt lgkmcnt(0)
	s_barrier
	ds_read_b64 v[6:7], v2 offset:24
	s_movk_i32 s6, 0x3400
	v_cndmask_b32_e64 v2, v87, v21, s[8:9]
	v_cndmask_b32_e64 v1, v1, v20, s[8:9]
	v_add_u32_e64 v4, s6, 0
	s_waitcnt lgkmcnt(0)
	v_add_u32_e32 v20, v6, v1
	v_add_u32_e32 v1, v7, v2
	s_barrier
	ds_read2_b32 v[2:3], v4 offset1:2
	ds_read2_b32 v[4:5], v4 offset0:4 offset1:6
	v_cmp_eq_u32_e32 vcc, 0, v0
	v_cndmask_b32_e32 v1, v1, v7, vcc
	v_cndmask_b32_e32 v20, v20, v6, vcc
	s_branch .LBB1173_129
.LBB1173_119:
                                        ; implicit-def: $vgpr1
                                        ; implicit-def: $vgpr4
                                        ; implicit-def: $vgpr2
                                        ; implicit-def: $vgpr20_vgpr21
	s_cbranch_execz .LBB1173_129
; %bb.120:
	s_nop 0
	v_mov_b32_dpp v1, v85 row_shr:1 row_mask:0xf bank_mask:0xf
	s_waitcnt lgkmcnt(0)
	v_mov_b32_dpp v2, v86 row_shr:1 row_mask:0xf bank_mask:0xf
	v_add_u32_e32 v1, v1, v85
	v_add_u32_e32 v2, v2, v86
	v_cndmask_b32_e64 v2, v2, v86, s[4:5]
	v_cndmask_b32_e64 v1, v1, v85, s[4:5]
	v_cmp_lt_u32_e32 vcc, 3, v84
	v_mov_b32_dpp v4, v2 row_shr:2 row_mask:0xf bank_mask:0xf
	v_mov_b32_dpp v3, v1 row_shr:2 row_mask:0xf bank_mask:0xf
	v_add_u32_e32 v3, v1, v3
	v_add_u32_e32 v4, v2, v4
	v_cndmask_b32_e64 v2, v2, v4, s[2:3]
	v_cndmask_b32_e64 v1, v1, v3, s[2:3]
	s_nop 0
	v_mov_b32_dpp v4, v2 row_shr:4 row_mask:0xf bank_mask:0xf
	v_mov_b32_dpp v3, v1 row_shr:4 row_mask:0xf bank_mask:0xf
	v_add_u32_e32 v3, v1, v3
	v_add_u32_e32 v4, v2, v4
	v_cndmask_b32_e32 v2, v2, v4, vcc
	v_cndmask_b32_e32 v1, v1, v3, vcc
	v_cmp_lt_u32_e32 vcc, 7, v84
	v_mov_b32_dpp v4, v2 row_shr:8 row_mask:0xf bank_mask:0xf
	v_mov_b32_dpp v3, v1 row_shr:8 row_mask:0xf bank_mask:0xf
	v_add_u32_e32 v3, v1, v3
	v_add_u32_e32 v4, v2, v4
	v_cndmask_b32_e32 v2, v2, v4, vcc
	v_cndmask_b32_e32 v1, v1, v3, vcc
	v_cmp_eq_u32_e32 vcc, 0, v83
	v_mov_b32_dpp v4, v2 row_bcast:15 row_mask:0xf bank_mask:0xf
	v_mov_b32_dpp v3, v1 row_bcast:15 row_mask:0xf bank_mask:0xf
	v_add_u32_e32 v3, v1, v3
	v_add_u32_e32 v4, v2, v4
	v_cndmask_b32_e32 v2, v4, v2, vcc
	v_cndmask_b32_e32 v1, v3, v1, vcc
	v_cmp_lt_u32_e32 vcc, 31, v80
	v_mov_b32_dpp v4, v2 row_bcast:31 row_mask:0xf bank_mask:0xf
	v_mov_b32_dpp v3, v1 row_bcast:31 row_mask:0xf bank_mask:0xf
	v_add_u32_e32 v4, v2, v4
	v_add_u32_e32 v5, v1, v3
	v_cndmask_b32_e32 v3, v2, v4, vcc
	v_cndmask_b32_e32 v2, v1, v5, vcc
	v_cmp_eq_u32_e32 vcc, v82, v0
	s_and_saveexec_b64 s[2:3], vcc
	s_cbranch_execz .LBB1173_122
; %bb.121:
	v_lshlrev_b32_e32 v1, 3, v81
	ds_write_b64 v1, v[2:3]
.LBB1173_122:
	s_or_b64 exec, exec, s[2:3]
	v_cmp_gt_u32_e32 vcc, 4, v0
	s_waitcnt lgkmcnt(0)
	s_barrier
	s_and_saveexec_b64 s[2:3], vcc
	s_cbranch_execz .LBB1173_124
; %bb.123:
	v_lshlrev_b32_e32 v1, 3, v0
	ds_read_b64 v[4:5], v1
	v_and_b32_e32 v6, 3, v80
	v_cmp_eq_u32_e32 vcc, 0, v6
	s_waitcnt lgkmcnt(0)
	v_mov_b32_dpp v7, v4 row_shr:1 row_mask:0xf bank_mask:0xf
	v_mov_b32_dpp v20, v5 row_shr:1 row_mask:0xf bank_mask:0xf
	v_add_u32_e32 v7, v7, v4
	v_add_u32_e32 v20, v20, v5
	v_cndmask_b32_e32 v5, v20, v5, vcc
	v_cndmask_b32_e32 v4, v7, v4, vcc
	v_cmp_lt_u32_e32 vcc, 1, v6
	v_mov_b32_dpp v20, v5 row_shr:2 row_mask:0xf bank_mask:0xf
	v_mov_b32_dpp v7, v4 row_shr:2 row_mask:0xf bank_mask:0xf
	v_cndmask_b32_e32 v6, 0, v7, vcc
	v_cndmask_b32_e32 v7, 0, v20, vcc
	v_add_u32_e32 v5, v7, v5
	v_add_u32_e32 v4, v6, v4
	ds_write_b64 v1, v[4:5]
.LBB1173_124:
	s_or_b64 exec, exec, s[2:3]
	v_cmp_lt_u32_e32 vcc, 63, v0
	v_mov_b32_e32 v4, 0
	v_mov_b32_e32 v6, 0
	;; [unrolled: 1-line block ×3, first 2 shown]
	s_waitcnt lgkmcnt(0)
	s_barrier
	s_and_saveexec_b64 s[2:3], vcc
	s_cbranch_execz .LBB1173_126
; %bb.125:
	v_lshl_add_u32 v1, v81, 3, -8
	ds_read_b64 v[6:7], v1
.LBB1173_126:
	s_or_b64 exec, exec, s[2:3]
	s_waitcnt lgkmcnt(0)
	v_add_u32_e32 v5, v7, v3
	v_add_u32_e32 v1, v6, v2
	v_add_u32_e32 v2, -1, v80
	v_and_b32_e32 v3, 64, v80
	v_cmp_lt_i32_e32 vcc, v2, v3
	v_cndmask_b32_e32 v2, v2, v80, vcc
	v_lshlrev_b32_e32 v20, 2, v2
	ds_read_b64 v[2:3], v4 offset:24
	ds_bpermute_b32 v1, v20, v1
	ds_bpermute_b32 v20, v20, v5
	v_cmp_eq_u32_e32 vcc, 0, v0
	s_waitcnt lgkmcnt(2)
	v_readfirstlane_b32 s4, v3
	s_and_saveexec_b64 s[2:3], vcc
	s_cbranch_execz .LBB1173_128
; %bb.127:
	s_add_u32 s6, s12, 0x400
	s_mov_b32 s8, 0
	s_addc_u32 s7, s13, 0
	s_and_b32 s9, s4, 0xff000000
	s_and_b32 s11, s4, 0xff0000
	s_mov_b32 s10, s8
	s_or_b64 s[10:11], s[10:11], s[8:9]
	s_and_b32 s9, s4, 0xff00
	s_or_b64 s[10:11], s[10:11], s[8:9]
	s_and_b32 s9, s4, 0xff
	s_or_b64 s[8:9], s[10:11], s[8:9]
	v_mov_b32_e32 v3, s9
	v_mov_b32_e32 v4, 2
	;; [unrolled: 1-line block ×3, first 2 shown]
	v_pk_mov_b32 v[22:23], s[6:7], s[6:7] op_sel:[0,1]
	;;#ASMSTART
	global_store_dwordx4 v[22:23], v[2:5] off	
s_waitcnt vmcnt(0)
	;;#ASMEND
.LBB1173_128:
	s_or_b64 exec, exec, s[2:3]
	v_cmp_eq_u32_e64 s[2:3], 0, v80
	s_waitcnt lgkmcnt(1)
	v_cndmask_b32_e64 v3, v1, v6, s[2:3]
	s_waitcnt lgkmcnt(0)
	v_cndmask_b32_e64 v1, v20, v7, s[2:3]
	v_mov_b32_e32 v4, 0
	v_cndmask_b32_e64 v1, v1, 0, vcc
	v_cndmask_b32_e64 v20, v3, 0, vcc
	s_barrier
	v_mov_b32_e32 v3, s4
	v_mov_b32_e32 v5, 0
.LBB1173_129:
	v_add_u32_e32 v24, v1, v63
	v_add_u32_e32 v25, v24, v74
	;; [unrolled: 1-line block ×14, first 2 shown]
	v_mov_b32_e32 v7, s49
	s_waitcnt lgkmcnt(0)
	v_add_co_u32_e32 v6, vcc, s48, v4
	v_add_u32_e32 v64, v58, v68
	v_add_u32_e32 v68, v66, v71
	v_addc_co_u32_e32 v7, vcc, 0, v7, vcc
	v_add_u32_e32 v69, v68, v78
	v_mov_b32_e32 v22, s51
	v_sub_co_u32_e32 v23, vcc, s50, v2
	v_add_u32_e32 v71, v69, v73
	v_subbrev_co_u32_e32 v73, vcc, 0, v22, vcc
	v_add_co_u32_e32 v22, vcc, v23, v5
	v_addc_co_u32_e32 v23, vcc, 0, v73, vcc
	v_lshlrev_b32_e32 v73, 1, v2
	v_sub_u32_e32 v1, v1, v5
	v_add_u32_e32 v74, v73, v3
	v_sub_u32_e32 v20, v20, v4
	v_add_u32_e32 v1, v1, v2
	v_add_u32_e32 v31, v74, v31
	v_and_b32_e32 v33, 1, v33
	v_add_u32_e32 v74, v20, v1
	v_and_b32_e32 v32, 1, v32
	v_sub_u32_e32 v74, v31, v74
	v_cmp_eq_u32_e32 vcc, 1, v33
	v_cndmask_b32_e32 v1, v74, v1, vcc
	v_cmp_eq_u32_e32 vcc, 1, v32
	v_cndmask_b32_e32 v1, v1, v20, vcc
	v_lshlrev_b32_e32 v1, 2, v1
	v_sub_u32_e32 v20, v24, v5
	ds_write_b32 v1, v18
	v_sub_u32_e32 v1, v21, v4
	v_add_u32_e32 v20, v20, v2
	v_add_u32_e32 v24, v20, v1
	v_and_b32_e32 v21, 1, v35
	v_sub_u32_e32 v24, v31, v24
	v_and_b32_e32 v18, 1, v34
	v_add_u32_e32 v24, 1, v24
	v_cmp_eq_u32_e32 vcc, 1, v21
	v_cndmask_b32_e32 v20, v24, v20, vcc
	v_cmp_eq_u32_e32 vcc, 1, v18
	v_cndmask_b32_e32 v1, v20, v1, vcc
	v_lshlrev_b32_e32 v1, 2, v1
	ds_write_b32 v1, v19
	v_sub_u32_e32 v19, v25, v5
	v_sub_u32_e32 v1, v26, v4
	v_add_u32_e32 v19, v19, v2
	v_add_u32_e32 v21, v19, v1
	v_and_b32_e32 v20, 1, v37
	v_sub_u32_e32 v21, v31, v21
	v_and_b32_e32 v18, 1, v36
	v_add_u32_e32 v21, 2, v21
	v_cmp_eq_u32_e32 vcc, 1, v20
	v_cndmask_b32_e32 v19, v21, v19, vcc
	v_cmp_eq_u32_e32 vcc, 1, v18
	v_cndmask_b32_e32 v1, v19, v1, vcc
	v_lshlrev_b32_e32 v1, 2, v1
	v_sub_u32_e32 v18, v28, v5
	ds_write_b32 v1, v16
	v_sub_u32_e32 v1, v27, v4
	v_add_u32_e32 v18, v18, v2
	v_add_u32_e32 v20, v1, v18
	v_and_b32_e32 v19, 1, v38
	v_sub_u32_e32 v20, v31, v20
	v_and_b32_e32 v16, 1, v39
	v_add_u32_e32 v20, 3, v20
	v_cmp_eq_u32_e32 vcc, 1, v19
	v_cndmask_b32_e32 v18, v20, v18, vcc
	v_cmp_eq_u32_e32 vcc, 1, v16
	v_cndmask_b32_e32 v1, v18, v1, vcc
	v_lshlrev_b32_e32 v1, 2, v1
	ds_write_b32 v1, v17
	v_sub_u32_e32 v17, v29, v5
	v_sub_u32_e32 v1, v56, v4
	v_add_u32_e32 v17, v17, v2
	v_add_u32_e32 v19, v1, v17
	v_and_b32_e32 v18, 1, v40
	v_sub_u32_e32 v19, v31, v19
	v_and_b32_e32 v16, 1, v41
	v_add_u32_e32 v19, 4, v19
	;; [unrolled: 28-line block ×3, first 2 shown]
	v_cmp_eq_u32_e32 vcc, 1, v16
	v_cndmask_b32_e32 v15, v17, v15, vcc
	v_cmp_eq_u32_e32 vcc, 1, v14
	v_cndmask_b32_e32 v1, v15, v1, vcc
	v_lshlrev_b32_e32 v1, 2, v1
	v_sub_u32_e32 v14, v65, v5
	ds_write_b32 v1, v12
	v_sub_u32_e32 v1, v64, v4
	v_add_u32_e32 v14, v14, v2
	v_add_u32_e32 v16, v1, v14
	v_and_b32_e32 v15, 1, v46
	v_sub_u32_e32 v16, v31, v16
	v_and_b32_e32 v12, 1, v47
	v_add_u32_e32 v16, 7, v16
	v_cmp_eq_u32_e32 vcc, 1, v15
	v_cndmask_b32_e32 v14, v16, v14, vcc
	v_cmp_eq_u32_e32 vcc, 1, v12
	v_cndmask_b32_e32 v1, v14, v1, vcc
	v_lshlrev_b32_e32 v1, 2, v1
	v_add_u32_e32 v59, v64, v59
	ds_write_b32 v1, v13
	v_sub_u32_e32 v13, v66, v5
	v_sub_u32_e32 v1, v59, v4
	v_add_u32_e32 v13, v13, v2
	v_add_u32_e32 v15, v1, v13
	v_and_b32_e32 v14, 1, v48
	v_sub_u32_e32 v15, v31, v15
	v_and_b32_e32 v12, 1, v49
	v_add_u32_e32 v15, 8, v15
	v_cmp_eq_u32_e32 vcc, 1, v14
	v_cndmask_b32_e32 v13, v15, v13, vcc
	v_cmp_eq_u32_e32 vcc, 1, v12
	v_cndmask_b32_e32 v1, v13, v1, vcc
	v_add_u32_e32 v67, v59, v70
	v_lshlrev_b32_e32 v1, 2, v1
	v_sub_u32_e32 v12, v68, v5
	ds_write_b32 v1, v10
	v_sub_u32_e32 v1, v67, v4
	v_add_u32_e32 v12, v12, v2
	v_add_u32_e32 v14, v1, v12
	v_and_b32_e32 v13, 1, v50
	v_sub_u32_e32 v14, v31, v14
	v_and_b32_e32 v10, 1, v51
	v_add_u32_e32 v14, 9, v14
	v_cmp_eq_u32_e32 vcc, 1, v13
	v_cndmask_b32_e32 v12, v14, v12, vcc
	v_cmp_eq_u32_e32 vcc, 1, v10
	v_cndmask_b32_e32 v1, v12, v1, vcc
	v_lshlrev_b32_e32 v1, 2, v1
	v_add_u32_e32 v60, v67, v60
	ds_write_b32 v1, v11
	v_sub_u32_e32 v11, v69, v5
	v_sub_u32_e32 v1, v60, v4
	v_add_u32_e32 v11, v11, v2
	v_add_u32_e32 v13, v1, v11
	v_and_b32_e32 v12, 1, v52
	v_sub_u32_e32 v13, v31, v13
	v_and_b32_e32 v10, 1, v53
	v_add_u32_e32 v13, 10, v13
	v_cmp_eq_u32_e32 vcc, 1, v12
	v_cndmask_b32_e32 v11, v13, v11, vcc
	v_cmp_eq_u32_e32 vcc, 1, v10
	v_cndmask_b32_e32 v1, v11, v1, vcc
	v_add_u32_e32 v70, v60, v72
	v_lshlrev_b32_e32 v1, 2, v1
	v_sub_u32_e32 v10, v71, v5
	ds_write_b32 v1, v8
	v_sub_u32_e32 v1, v70, v4
	v_add_u32_e32 v10, v10, v2
	v_add_u32_e32 v12, v1, v10
	v_and_b32_e32 v11, 1, v54
	v_sub_u32_e32 v12, v31, v12
	v_and_b32_e32 v8, 1, v55
	v_add_u32_e32 v12, 11, v12
	v_cmp_eq_u32_e32 vcc, 1, v11
	v_cndmask_b32_e32 v10, v12, v10, vcc
	v_cmp_eq_u32_e32 vcc, 1, v8
	v_cndmask_b32_e32 v1, v10, v1, vcc
	v_add_u32_e32 v72, v71, v79
	v_add_u32_e32 v61, v70, v61
	v_lshlrev_b32_e32 v1, 2, v1
	ds_write_b32 v1, v9
	v_sub_u32_e32 v1, v61, v4
	v_sub_u32_e32 v4, v72, v5
	v_add_u32_e32 v4, v4, v2
	v_add_u32_e32 v8, v1, v4
	v_sub_u32_e32 v8, v31, v8
	v_add_u32_e32 v8, 12, v8
	v_cndmask_b32_e64 v4, v8, v4, s[58:59]
	v_cndmask_b32_e64 v1, v4, v1, s[46:47]
	v_lshlrev_b32_e32 v1, 2, v1
	ds_write_b32 v1, v30
	v_add_co_u32_e32 v1, vcc, v3, v73
	v_addc_co_u32_e64 v4, s[2:3], 0, 0, vcc
	v_add_co_u32_e32 v1, vcc, v1, v22
	v_addc_co_u32_e32 v4, vcc, v4, v23, vcc
	s_add_u32 s4, s56, s33
	v_add_co_u32_e32 v1, vcc, v1, v6
	s_addc_u32 s5, s57, 0
	v_addc_co_u32_e32 v4, vcc, v4, v7, vcc
	v_mov_b32_e32 v8, s5
	v_sub_co_u32_e32 v1, vcc, s4, v1
	v_subb_co_u32_e32 v4, vcc, v8, v4, vcc
	v_lshlrev_b64 v[8:9], 2, v[22:23]
	v_mov_b32_e32 v10, s55
	v_add_co_u32_e32 v8, vcc, s54, v8
	v_addc_co_u32_e32 v9, vcc, v10, v9, vcc
	v_lshlrev_b64 v[10:11], 2, v[6:7]
	v_mov_b32_e32 v13, s53
	v_add_co_u32_e32 v10, vcc, s52, v10
	s_add_u32 s6, s34, -4
	v_addc_co_u32_e32 v11, vcc, v13, v11, vcc
	s_addc_u32 s7, s35, -1
	v_add_u32_e32 v12, v2, v3
	s_and_b64 vcc, exec, s[0:1]
	s_mov_b64 s[0:1], -1
	s_waitcnt lgkmcnt(0)
	s_barrier
	s_cbranch_vccz .LBB1173_133
; %bb.130:
	s_and_b64 vcc, exec, s[0:1]
	s_cbranch_vccnz .LBB1173_238
.LBB1173_131:
	v_cmp_eq_u32_e32 vcc, 0, v0
	s_and_b64 s[0:1], vcc, s[30:31]
	s_and_saveexec_b64 s[2:3], s[0:1]
	s_cbranch_execnz .LBB1173_356
.LBB1173_132:
	s_endpgm
.LBB1173_133:
	v_cmp_le_u32_e32 vcc, v2, v0
	s_and_saveexec_b64 s[0:1], vcc
	s_xor_b64 s[0:1], exec, s[0:1]
	s_cbranch_execz .LBB1173_139
; %bb.134:
	v_cmp_le_u32_e32 vcc, v12, v0
	s_and_saveexec_b64 s[2:3], vcc
	s_xor_b64 s[2:3], exec, s[2:3]
	s_cbranch_execz .LBB1173_136
; %bb.135:
	v_lshlrev_b32_e32 v13, 2, v0
	v_add_co_u32_e32 v14, vcc, v1, v0
	ds_read_b32 v13, v13
	v_addc_co_u32_e32 v15, vcc, 0, v4, vcc
	v_lshlrev_b64 v[14:15], 2, v[14:15]
	v_mov_b32_e32 v16, s35
	v_sub_co_u32_e32 v14, vcc, s34, v14
	v_subb_co_u32_e32 v15, vcc, v16, v15, vcc
	s_waitcnt lgkmcnt(0)
	global_store_dword v[14:15], v13, off offset:-4
.LBB1173_136:
	s_andn2_saveexec_b64 s[2:3], s[2:3]
	s_cbranch_execz .LBB1173_138
; %bb.137:
	v_lshlrev_b32_e32 v13, 2, v0
	ds_read_b32 v14, v13
	v_readfirstlane_b32 s4, v8
	v_readfirstlane_b32 s5, v9
	s_waitcnt lgkmcnt(0)
	s_nop 3
	global_store_dword v13, v14, s[4:5]
.LBB1173_138:
	s_or_b64 exec, exec, s[2:3]
.LBB1173_139:
	s_andn2_saveexec_b64 s[0:1], s[0:1]
	s_cbranch_execz .LBB1173_141
; %bb.140:
	v_lshlrev_b32_e32 v13, 2, v0
	ds_read_b32 v14, v13
	v_readfirstlane_b32 s2, v10
	v_readfirstlane_b32 s3, v11
	s_waitcnt lgkmcnt(0)
	s_nop 3
	global_store_dword v13, v14, s[2:3]
.LBB1173_141:
	s_or_b64 exec, exec, s[0:1]
	v_or_b32_e32 v13, 0x100, v0
	v_cmp_le_u32_e32 vcc, v2, v13
	s_and_saveexec_b64 s[0:1], vcc
	s_xor_b64 s[0:1], exec, s[0:1]
	s_cbranch_execz .LBB1173_147
; %bb.142:
	v_cmp_le_u32_e32 vcc, v12, v13
	s_and_saveexec_b64 s[2:3], vcc
	s_xor_b64 s[2:3], exec, s[2:3]
	s_cbranch_execz .LBB1173_144
; %bb.143:
	v_lshlrev_b32_e32 v13, 2, v0
	ds_read_b32 v13, v13 offset:1024
	v_add_co_u32_e32 v14, vcc, v1, v0
	v_addc_co_u32_e32 v15, vcc, 0, v4, vcc
	v_lshlrev_b64 v[14:15], 2, v[14:15]
	v_mov_b32_e32 v16, s7
	v_sub_co_u32_e32 v14, vcc, s6, v14
	v_subb_co_u32_e32 v15, vcc, v16, v15, vcc
	s_waitcnt lgkmcnt(0)
	global_store_dword v[14:15], v13, off offset:-1024
.LBB1173_144:
	s_andn2_saveexec_b64 s[2:3], s[2:3]
	s_cbranch_execz .LBB1173_146
; %bb.145:
	v_lshlrev_b32_e32 v13, 2, v0
	ds_read_b32 v14, v13 offset:1024
	v_readfirstlane_b32 s4, v8
	v_readfirstlane_b32 s5, v9
	s_waitcnt lgkmcnt(0)
	s_nop 3
	global_store_dword v13, v14, s[4:5] offset:1024
.LBB1173_146:
	s_or_b64 exec, exec, s[2:3]
.LBB1173_147:
	s_andn2_saveexec_b64 s[0:1], s[0:1]
	s_cbranch_execz .LBB1173_149
; %bb.148:
	v_lshlrev_b32_e32 v13, 2, v0
	ds_read_b32 v14, v13 offset:1024
	v_readfirstlane_b32 s2, v10
	v_readfirstlane_b32 s3, v11
	s_waitcnt lgkmcnt(0)
	s_nop 3
	global_store_dword v13, v14, s[2:3] offset:1024
.LBB1173_149:
	s_or_b64 exec, exec, s[0:1]
	v_or_b32_e32 v13, 0x200, v0
	v_cmp_le_u32_e32 vcc, v2, v13
	s_and_saveexec_b64 s[0:1], vcc
	s_xor_b64 s[0:1], exec, s[0:1]
	s_cbranch_execz .LBB1173_155
; %bb.150:
	v_cmp_le_u32_e32 vcc, v12, v13
	s_and_saveexec_b64 s[2:3], vcc
	s_xor_b64 s[2:3], exec, s[2:3]
	s_cbranch_execz .LBB1173_152
; %bb.151:
	v_lshlrev_b32_e32 v13, 2, v0
	ds_read_b32 v13, v13 offset:2048
	v_add_co_u32_e32 v14, vcc, v1, v0
	v_addc_co_u32_e32 v15, vcc, 0, v4, vcc
	v_lshlrev_b64 v[14:15], 2, v[14:15]
	v_mov_b32_e32 v16, s7
	v_sub_co_u32_e32 v14, vcc, s6, v14
	v_subb_co_u32_e32 v15, vcc, v16, v15, vcc
	s_waitcnt lgkmcnt(0)
	global_store_dword v[14:15], v13, off offset:-2048
.LBB1173_152:
	s_andn2_saveexec_b64 s[2:3], s[2:3]
	s_cbranch_execz .LBB1173_154
; %bb.153:
	v_lshlrev_b32_e32 v13, 2, v0
	ds_read_b32 v14, v13 offset:2048
	v_readfirstlane_b32 s4, v8
	v_readfirstlane_b32 s5, v9
	s_waitcnt lgkmcnt(0)
	s_nop 3
	global_store_dword v13, v14, s[4:5] offset:2048
.LBB1173_154:
	s_or_b64 exec, exec, s[2:3]
.LBB1173_155:
	s_andn2_saveexec_b64 s[0:1], s[0:1]
	s_cbranch_execz .LBB1173_157
; %bb.156:
	v_lshlrev_b32_e32 v13, 2, v0
	ds_read_b32 v14, v13 offset:2048
	v_readfirstlane_b32 s2, v10
	v_readfirstlane_b32 s3, v11
	s_waitcnt lgkmcnt(0)
	s_nop 3
	global_store_dword v13, v14, s[2:3] offset:2048
.LBB1173_157:
	;; [unrolled: 47-line block ×3, first 2 shown]
	s_or_b64 exec, exec, s[0:1]
	v_or_b32_e32 v13, 0x400, v0
	v_cmp_le_u32_e32 vcc, v2, v13
	s_and_saveexec_b64 s[0:1], vcc
	s_xor_b64 s[0:1], exec, s[0:1]
	s_cbranch_execz .LBB1173_171
; %bb.166:
	v_cmp_le_u32_e32 vcc, v12, v13
	s_and_saveexec_b64 s[2:3], vcc
	s_xor_b64 s[2:3], exec, s[2:3]
	s_cbranch_execz .LBB1173_168
; %bb.167:
	v_lshlrev_b32_e32 v13, 2, v0
	ds_read_b32 v13, v13 offset:4096
	v_add_co_u32_e32 v14, vcc, v1, v0
	v_addc_co_u32_e32 v15, vcc, 0, v4, vcc
	v_lshlrev_b64 v[14:15], 2, v[14:15]
	v_mov_b32_e32 v16, s7
	v_sub_co_u32_e32 v14, vcc, s6, v14
	v_subb_co_u32_e32 v15, vcc, v16, v15, vcc
	s_waitcnt lgkmcnt(0)
	global_store_dword v[14:15], v13, off offset:-4096
                                        ; implicit-def: $vgpr13
.LBB1173_168:
	s_andn2_saveexec_b64 s[2:3], s[2:3]
	s_cbranch_execz .LBB1173_170
; %bb.169:
	v_lshlrev_b32_e32 v14, 2, v0
	ds_read_b32 v14, v14 offset:4096
	v_lshlrev_b32_e32 v13, 2, v13
	v_readfirstlane_b32 s4, v8
	v_readfirstlane_b32 s5, v9
	s_waitcnt lgkmcnt(0)
	s_nop 3
	global_store_dword v13, v14, s[4:5]
.LBB1173_170:
	s_or_b64 exec, exec, s[2:3]
                                        ; implicit-def: $vgpr13
.LBB1173_171:
	s_andn2_saveexec_b64 s[0:1], s[0:1]
	s_cbranch_execz .LBB1173_173
; %bb.172:
	v_lshlrev_b32_e32 v14, 2, v0
	ds_read_b32 v14, v14 offset:4096
	v_lshlrev_b32_e32 v13, 2, v13
	v_readfirstlane_b32 s2, v10
	v_readfirstlane_b32 s3, v11
	s_waitcnt lgkmcnt(0)
	s_nop 3
	global_store_dword v13, v14, s[2:3]
.LBB1173_173:
	s_or_b64 exec, exec, s[0:1]
	v_or_b32_e32 v13, 0x500, v0
	v_cmp_le_u32_e32 vcc, v2, v13
	s_and_saveexec_b64 s[0:1], vcc
	s_xor_b64 s[0:1], exec, s[0:1]
	s_cbranch_execz .LBB1173_179
; %bb.174:
	v_cmp_le_u32_e32 vcc, v12, v13
	s_and_saveexec_b64 s[2:3], vcc
	s_xor_b64 s[2:3], exec, s[2:3]
	s_cbranch_execz .LBB1173_176
; %bb.175:
	v_add_co_u32_e32 v14, vcc, v1, v13
	v_lshlrev_b32_e32 v13, 2, v0
	ds_read_b32 v13, v13 offset:5120
	v_addc_co_u32_e32 v15, vcc, 0, v4, vcc
	v_lshlrev_b64 v[14:15], 2, v[14:15]
	v_mov_b32_e32 v16, s7
	v_sub_co_u32_e32 v14, vcc, s6, v14
	v_subb_co_u32_e32 v15, vcc, v16, v15, vcc
	s_waitcnt lgkmcnt(0)
	global_store_dword v[14:15], v13, off
                                        ; implicit-def: $vgpr13
.LBB1173_176:
	s_andn2_saveexec_b64 s[2:3], s[2:3]
	s_cbranch_execz .LBB1173_178
; %bb.177:
	v_lshlrev_b32_e32 v14, 2, v0
	ds_read_b32 v14, v14 offset:5120
	v_lshlrev_b32_e32 v13, 2, v13
	v_readfirstlane_b32 s4, v8
	v_readfirstlane_b32 s5, v9
	s_waitcnt lgkmcnt(0)
	s_nop 3
	global_store_dword v13, v14, s[4:5]
.LBB1173_178:
	s_or_b64 exec, exec, s[2:3]
                                        ; implicit-def: $vgpr13
.LBB1173_179:
	s_andn2_saveexec_b64 s[0:1], s[0:1]
	s_cbranch_execz .LBB1173_181
; %bb.180:
	v_lshlrev_b32_e32 v14, 2, v0
	ds_read_b32 v14, v14 offset:5120
	v_lshlrev_b32_e32 v13, 2, v13
	v_readfirstlane_b32 s2, v10
	v_readfirstlane_b32 s3, v11
	s_waitcnt lgkmcnt(0)
	s_nop 3
	global_store_dword v13, v14, s[2:3]
.LBB1173_181:
	s_or_b64 exec, exec, s[0:1]
	v_or_b32_e32 v13, 0x600, v0
	v_cmp_le_u32_e32 vcc, v2, v13
	s_and_saveexec_b64 s[0:1], vcc
	s_xor_b64 s[0:1], exec, s[0:1]
	s_cbranch_execz .LBB1173_187
; %bb.182:
	v_cmp_le_u32_e32 vcc, v12, v13
	s_and_saveexec_b64 s[2:3], vcc
	s_xor_b64 s[2:3], exec, s[2:3]
	s_cbranch_execz .LBB1173_184
; %bb.183:
	v_add_co_u32_e32 v14, vcc, v1, v13
	v_lshlrev_b32_e32 v13, 2, v0
	ds_read_b32 v13, v13 offset:6144
	v_addc_co_u32_e32 v15, vcc, 0, v4, vcc
	v_lshlrev_b64 v[14:15], 2, v[14:15]
	v_mov_b32_e32 v16, s7
	v_sub_co_u32_e32 v14, vcc, s6, v14
	v_subb_co_u32_e32 v15, vcc, v16, v15, vcc
	s_waitcnt lgkmcnt(0)
	global_store_dword v[14:15], v13, off
                                        ; implicit-def: $vgpr13
.LBB1173_184:
	s_andn2_saveexec_b64 s[2:3], s[2:3]
	s_cbranch_execz .LBB1173_186
; %bb.185:
	v_lshlrev_b32_e32 v14, 2, v0
	ds_read_b32 v14, v14 offset:6144
	v_lshlrev_b32_e32 v13, 2, v13
	v_readfirstlane_b32 s4, v8
	v_readfirstlane_b32 s5, v9
	s_waitcnt lgkmcnt(0)
	s_nop 3
	global_store_dword v13, v14, s[4:5]
.LBB1173_186:
	s_or_b64 exec, exec, s[2:3]
                                        ; implicit-def: $vgpr13
.LBB1173_187:
	s_andn2_saveexec_b64 s[0:1], s[0:1]
	s_cbranch_execz .LBB1173_189
; %bb.188:
	v_lshlrev_b32_e32 v14, 2, v0
	ds_read_b32 v14, v14 offset:6144
	v_lshlrev_b32_e32 v13, 2, v13
	v_readfirstlane_b32 s2, v10
	v_readfirstlane_b32 s3, v11
	s_waitcnt lgkmcnt(0)
	s_nop 3
	global_store_dword v13, v14, s[2:3]
.LBB1173_189:
	s_or_b64 exec, exec, s[0:1]
	v_or_b32_e32 v13, 0x700, v0
	v_cmp_le_u32_e32 vcc, v2, v13
	s_and_saveexec_b64 s[0:1], vcc
	s_xor_b64 s[0:1], exec, s[0:1]
	s_cbranch_execz .LBB1173_195
; %bb.190:
	v_cmp_le_u32_e32 vcc, v12, v13
	s_and_saveexec_b64 s[2:3], vcc
	s_xor_b64 s[2:3], exec, s[2:3]
	s_cbranch_execz .LBB1173_192
; %bb.191:
	v_add_co_u32_e32 v14, vcc, v1, v13
	v_lshlrev_b32_e32 v13, 2, v0
	ds_read_b32 v13, v13 offset:7168
	v_addc_co_u32_e32 v15, vcc, 0, v4, vcc
	v_lshlrev_b64 v[14:15], 2, v[14:15]
	v_mov_b32_e32 v16, s7
	v_sub_co_u32_e32 v14, vcc, s6, v14
	v_subb_co_u32_e32 v15, vcc, v16, v15, vcc
	s_waitcnt lgkmcnt(0)
	global_store_dword v[14:15], v13, off
                                        ; implicit-def: $vgpr13
.LBB1173_192:
	s_andn2_saveexec_b64 s[2:3], s[2:3]
	s_cbranch_execz .LBB1173_194
; %bb.193:
	v_lshlrev_b32_e32 v14, 2, v0
	ds_read_b32 v14, v14 offset:7168
	v_lshlrev_b32_e32 v13, 2, v13
	v_readfirstlane_b32 s4, v8
	v_readfirstlane_b32 s5, v9
	s_waitcnt lgkmcnt(0)
	s_nop 3
	global_store_dword v13, v14, s[4:5]
.LBB1173_194:
	s_or_b64 exec, exec, s[2:3]
                                        ; implicit-def: $vgpr13
.LBB1173_195:
	s_andn2_saveexec_b64 s[0:1], s[0:1]
	s_cbranch_execz .LBB1173_197
; %bb.196:
	v_lshlrev_b32_e32 v14, 2, v0
	ds_read_b32 v14, v14 offset:7168
	v_lshlrev_b32_e32 v13, 2, v13
	v_readfirstlane_b32 s2, v10
	v_readfirstlane_b32 s3, v11
	s_waitcnt lgkmcnt(0)
	s_nop 3
	global_store_dword v13, v14, s[2:3]
.LBB1173_197:
	s_or_b64 exec, exec, s[0:1]
	v_or_b32_e32 v13, 0x800, v0
	v_cmp_le_u32_e32 vcc, v2, v13
	s_and_saveexec_b64 s[0:1], vcc
	s_xor_b64 s[0:1], exec, s[0:1]
	s_cbranch_execz .LBB1173_203
; %bb.198:
	v_cmp_le_u32_e32 vcc, v12, v13
	s_and_saveexec_b64 s[2:3], vcc
	s_xor_b64 s[2:3], exec, s[2:3]
	s_cbranch_execz .LBB1173_200
; %bb.199:
	v_add_co_u32_e32 v14, vcc, v1, v13
	v_lshlrev_b32_e32 v13, 2, v0
	ds_read_b32 v13, v13 offset:8192
	v_addc_co_u32_e32 v15, vcc, 0, v4, vcc
	v_lshlrev_b64 v[14:15], 2, v[14:15]
	v_mov_b32_e32 v16, s7
	v_sub_co_u32_e32 v14, vcc, s6, v14
	v_subb_co_u32_e32 v15, vcc, v16, v15, vcc
	s_waitcnt lgkmcnt(0)
	global_store_dword v[14:15], v13, off
                                        ; implicit-def: $vgpr13
.LBB1173_200:
	s_andn2_saveexec_b64 s[2:3], s[2:3]
	s_cbranch_execz .LBB1173_202
; %bb.201:
	v_lshlrev_b32_e32 v14, 2, v0
	ds_read_b32 v14, v14 offset:8192
	v_lshlrev_b32_e32 v13, 2, v13
	v_readfirstlane_b32 s4, v8
	v_readfirstlane_b32 s5, v9
	s_waitcnt lgkmcnt(0)
	s_nop 3
	global_store_dword v13, v14, s[4:5]
.LBB1173_202:
	s_or_b64 exec, exec, s[2:3]
                                        ; implicit-def: $vgpr13
.LBB1173_203:
	s_andn2_saveexec_b64 s[0:1], s[0:1]
	s_cbranch_execz .LBB1173_205
; %bb.204:
	v_lshlrev_b32_e32 v14, 2, v0
	ds_read_b32 v14, v14 offset:8192
	v_lshlrev_b32_e32 v13, 2, v13
	v_readfirstlane_b32 s2, v10
	v_readfirstlane_b32 s3, v11
	s_waitcnt lgkmcnt(0)
	s_nop 3
	global_store_dword v13, v14, s[2:3]
.LBB1173_205:
	s_or_b64 exec, exec, s[0:1]
	v_or_b32_e32 v13, 0x900, v0
	v_cmp_le_u32_e32 vcc, v2, v13
	s_and_saveexec_b64 s[0:1], vcc
	s_xor_b64 s[0:1], exec, s[0:1]
	s_cbranch_execz .LBB1173_211
; %bb.206:
	v_cmp_le_u32_e32 vcc, v12, v13
	s_and_saveexec_b64 s[2:3], vcc
	s_xor_b64 s[2:3], exec, s[2:3]
	s_cbranch_execz .LBB1173_208
; %bb.207:
	v_add_co_u32_e32 v14, vcc, v1, v13
	v_lshlrev_b32_e32 v13, 2, v0
	ds_read_b32 v13, v13 offset:9216
	v_addc_co_u32_e32 v15, vcc, 0, v4, vcc
	v_lshlrev_b64 v[14:15], 2, v[14:15]
	v_mov_b32_e32 v16, s7
	v_sub_co_u32_e32 v14, vcc, s6, v14
	v_subb_co_u32_e32 v15, vcc, v16, v15, vcc
	s_waitcnt lgkmcnt(0)
	global_store_dword v[14:15], v13, off
                                        ; implicit-def: $vgpr13
.LBB1173_208:
	s_andn2_saveexec_b64 s[2:3], s[2:3]
	s_cbranch_execz .LBB1173_210
; %bb.209:
	v_lshlrev_b32_e32 v14, 2, v0
	ds_read_b32 v14, v14 offset:9216
	v_lshlrev_b32_e32 v13, 2, v13
	v_readfirstlane_b32 s4, v8
	v_readfirstlane_b32 s5, v9
	s_waitcnt lgkmcnt(0)
	s_nop 3
	global_store_dword v13, v14, s[4:5]
.LBB1173_210:
	s_or_b64 exec, exec, s[2:3]
                                        ; implicit-def: $vgpr13
.LBB1173_211:
	s_andn2_saveexec_b64 s[0:1], s[0:1]
	s_cbranch_execz .LBB1173_213
; %bb.212:
	v_lshlrev_b32_e32 v14, 2, v0
	ds_read_b32 v14, v14 offset:9216
	v_lshlrev_b32_e32 v13, 2, v13
	v_readfirstlane_b32 s2, v10
	v_readfirstlane_b32 s3, v11
	s_waitcnt lgkmcnt(0)
	s_nop 3
	global_store_dword v13, v14, s[2:3]
.LBB1173_213:
	s_or_b64 exec, exec, s[0:1]
	v_or_b32_e32 v13, 0xa00, v0
	v_cmp_le_u32_e32 vcc, v2, v13
	s_and_saveexec_b64 s[0:1], vcc
	s_xor_b64 s[0:1], exec, s[0:1]
	s_cbranch_execz .LBB1173_219
; %bb.214:
	v_cmp_le_u32_e32 vcc, v12, v13
	s_and_saveexec_b64 s[2:3], vcc
	s_xor_b64 s[2:3], exec, s[2:3]
	s_cbranch_execz .LBB1173_216
; %bb.215:
	v_add_co_u32_e32 v14, vcc, v1, v13
	v_lshlrev_b32_e32 v13, 2, v0
	ds_read_b32 v13, v13 offset:10240
	v_addc_co_u32_e32 v15, vcc, 0, v4, vcc
	v_lshlrev_b64 v[14:15], 2, v[14:15]
	v_mov_b32_e32 v16, s7
	v_sub_co_u32_e32 v14, vcc, s6, v14
	v_subb_co_u32_e32 v15, vcc, v16, v15, vcc
	s_waitcnt lgkmcnt(0)
	global_store_dword v[14:15], v13, off
                                        ; implicit-def: $vgpr13
.LBB1173_216:
	s_andn2_saveexec_b64 s[2:3], s[2:3]
	s_cbranch_execz .LBB1173_218
; %bb.217:
	v_lshlrev_b32_e32 v14, 2, v0
	ds_read_b32 v14, v14 offset:10240
	v_lshlrev_b32_e32 v13, 2, v13
	v_readfirstlane_b32 s4, v8
	v_readfirstlane_b32 s5, v9
	s_waitcnt lgkmcnt(0)
	s_nop 3
	global_store_dword v13, v14, s[4:5]
.LBB1173_218:
	s_or_b64 exec, exec, s[2:3]
                                        ; implicit-def: $vgpr13
.LBB1173_219:
	s_andn2_saveexec_b64 s[0:1], s[0:1]
	s_cbranch_execz .LBB1173_221
; %bb.220:
	v_lshlrev_b32_e32 v14, 2, v0
	ds_read_b32 v14, v14 offset:10240
	v_lshlrev_b32_e32 v13, 2, v13
	v_readfirstlane_b32 s2, v10
	v_readfirstlane_b32 s3, v11
	s_waitcnt lgkmcnt(0)
	s_nop 3
	global_store_dword v13, v14, s[2:3]
.LBB1173_221:
	s_or_b64 exec, exec, s[0:1]
	v_or_b32_e32 v13, 0xb00, v0
	v_cmp_le_u32_e32 vcc, v2, v13
	s_and_saveexec_b64 s[0:1], vcc
	s_xor_b64 s[0:1], exec, s[0:1]
	s_cbranch_execz .LBB1173_227
; %bb.222:
	v_cmp_le_u32_e32 vcc, v12, v13
	s_and_saveexec_b64 s[2:3], vcc
	s_xor_b64 s[2:3], exec, s[2:3]
	s_cbranch_execz .LBB1173_224
; %bb.223:
	v_add_co_u32_e32 v14, vcc, v1, v13
	v_lshlrev_b32_e32 v13, 2, v0
	ds_read_b32 v13, v13 offset:11264
	v_addc_co_u32_e32 v15, vcc, 0, v4, vcc
	v_lshlrev_b64 v[14:15], 2, v[14:15]
	v_mov_b32_e32 v16, s7
	v_sub_co_u32_e32 v14, vcc, s6, v14
	v_subb_co_u32_e32 v15, vcc, v16, v15, vcc
	s_waitcnt lgkmcnt(0)
	global_store_dword v[14:15], v13, off
                                        ; implicit-def: $vgpr13
.LBB1173_224:
	s_andn2_saveexec_b64 s[2:3], s[2:3]
	s_cbranch_execz .LBB1173_226
; %bb.225:
	v_lshlrev_b32_e32 v14, 2, v0
	ds_read_b32 v14, v14 offset:11264
	v_lshlrev_b32_e32 v13, 2, v13
	v_readfirstlane_b32 s4, v8
	v_readfirstlane_b32 s5, v9
	s_waitcnt lgkmcnt(0)
	s_nop 3
	global_store_dword v13, v14, s[4:5]
.LBB1173_226:
	s_or_b64 exec, exec, s[2:3]
                                        ; implicit-def: $vgpr13
.LBB1173_227:
	s_andn2_saveexec_b64 s[0:1], s[0:1]
	s_cbranch_execz .LBB1173_229
; %bb.228:
	v_lshlrev_b32_e32 v14, 2, v0
	ds_read_b32 v14, v14 offset:11264
	v_lshlrev_b32_e32 v13, 2, v13
	v_readfirstlane_b32 s2, v10
	v_readfirstlane_b32 s3, v11
	s_waitcnt lgkmcnt(0)
	s_nop 3
	global_store_dword v13, v14, s[2:3]
.LBB1173_229:
	s_or_b64 exec, exec, s[0:1]
	v_or_b32_e32 v13, 0xc00, v0
	v_cmp_le_u32_e32 vcc, v2, v13
	s_and_saveexec_b64 s[0:1], vcc
	s_xor_b64 s[0:1], exec, s[0:1]
	s_cbranch_execz .LBB1173_235
; %bb.230:
	v_cmp_le_u32_e32 vcc, v12, v13
	s_and_saveexec_b64 s[2:3], vcc
	s_xor_b64 s[2:3], exec, s[2:3]
	s_cbranch_execz .LBB1173_232
; %bb.231:
	v_add_co_u32_e32 v14, vcc, v1, v13
	v_lshlrev_b32_e32 v13, 2, v0
	ds_read_b32 v13, v13 offset:12288
	v_addc_co_u32_e32 v15, vcc, 0, v4, vcc
	v_lshlrev_b64 v[14:15], 2, v[14:15]
	v_mov_b32_e32 v16, s7
	v_sub_co_u32_e32 v14, vcc, s6, v14
	v_subb_co_u32_e32 v15, vcc, v16, v15, vcc
	s_waitcnt lgkmcnt(0)
	global_store_dword v[14:15], v13, off
                                        ; implicit-def: $vgpr13
.LBB1173_232:
	s_andn2_saveexec_b64 s[2:3], s[2:3]
	s_cbranch_execz .LBB1173_234
; %bb.233:
	v_lshlrev_b32_e32 v14, 2, v0
	ds_read_b32 v14, v14 offset:12288
	v_lshlrev_b32_e32 v13, 2, v13
	v_readfirstlane_b32 s4, v8
	v_readfirstlane_b32 s5, v9
	s_waitcnt lgkmcnt(0)
	s_nop 3
	global_store_dword v13, v14, s[4:5]
.LBB1173_234:
	s_or_b64 exec, exec, s[2:3]
                                        ; implicit-def: $vgpr13
.LBB1173_235:
	s_andn2_saveexec_b64 s[0:1], s[0:1]
	s_cbranch_execz .LBB1173_237
; %bb.236:
	v_lshlrev_b32_e32 v14, 2, v0
	ds_read_b32 v14, v14 offset:12288
	v_lshlrev_b32_e32 v13, 2, v13
	v_readfirstlane_b32 s2, v10
	v_readfirstlane_b32 s3, v11
	s_waitcnt lgkmcnt(0)
	s_nop 3
	global_store_dword v13, v14, s[2:3]
.LBB1173_237:
	s_or_b64 exec, exec, s[0:1]
	s_branch .LBB1173_131
.LBB1173_238:
	v_cmp_gt_u32_e32 vcc, s18, v0
	s_and_saveexec_b64 s[0:1], vcc
	s_cbranch_execz .LBB1173_247
; %bb.239:
	v_cmp_le_u32_e32 vcc, v2, v0
	s_and_saveexec_b64 s[2:3], vcc
	s_xor_b64 s[2:3], exec, s[2:3]
	s_cbranch_execz .LBB1173_245
; %bb.240:
	v_cmp_le_u32_e32 vcc, v12, v0
	s_and_saveexec_b64 s[4:5], vcc
	s_xor_b64 s[4:5], exec, s[4:5]
	s_cbranch_execz .LBB1173_242
; %bb.241:
	v_lshlrev_b32_e32 v13, 2, v0
	v_add_co_u32_e32 v14, vcc, v1, v0
	ds_read_b32 v13, v13
	v_addc_co_u32_e32 v15, vcc, 0, v4, vcc
	v_lshlrev_b64 v[14:15], 2, v[14:15]
	v_mov_b32_e32 v16, s35
	v_sub_co_u32_e32 v14, vcc, s34, v14
	v_subb_co_u32_e32 v15, vcc, v16, v15, vcc
	s_waitcnt lgkmcnt(0)
	global_store_dword v[14:15], v13, off offset:-4
.LBB1173_242:
	s_andn2_saveexec_b64 s[4:5], s[4:5]
	s_cbranch_execz .LBB1173_244
; %bb.243:
	v_lshlrev_b32_e32 v13, 2, v0
	ds_read_b32 v14, v13
	v_readfirstlane_b32 s8, v8
	v_readfirstlane_b32 s9, v9
	s_waitcnt lgkmcnt(0)
	s_nop 3
	global_store_dword v13, v14, s[8:9]
.LBB1173_244:
	s_or_b64 exec, exec, s[4:5]
.LBB1173_245:
	s_andn2_saveexec_b64 s[2:3], s[2:3]
	s_cbranch_execz .LBB1173_247
; %bb.246:
	v_lshlrev_b32_e32 v13, 2, v0
	ds_read_b32 v14, v13
	v_readfirstlane_b32 s2, v10
	v_readfirstlane_b32 s3, v11
	s_waitcnt lgkmcnt(0)
	s_nop 3
	global_store_dword v13, v14, s[2:3]
.LBB1173_247:
	s_or_b64 exec, exec, s[0:1]
	v_or_b32_e32 v13, 0x100, v0
	v_cmp_gt_u32_e32 vcc, s18, v13
	s_and_saveexec_b64 s[0:1], vcc
	s_cbranch_execz .LBB1173_256
; %bb.248:
	v_cmp_le_u32_e32 vcc, v2, v13
	s_and_saveexec_b64 s[2:3], vcc
	s_xor_b64 s[2:3], exec, s[2:3]
	s_cbranch_execz .LBB1173_254
; %bb.249:
	v_cmp_le_u32_e32 vcc, v12, v13
	s_and_saveexec_b64 s[4:5], vcc
	s_xor_b64 s[4:5], exec, s[4:5]
	s_cbranch_execz .LBB1173_251
; %bb.250:
	v_lshlrev_b32_e32 v13, 2, v0
	ds_read_b32 v13, v13 offset:1024
	v_add_co_u32_e32 v14, vcc, v1, v0
	v_addc_co_u32_e32 v15, vcc, 0, v4, vcc
	v_lshlrev_b64 v[14:15], 2, v[14:15]
	v_mov_b32_e32 v16, s7
	v_sub_co_u32_e32 v14, vcc, s6, v14
	v_subb_co_u32_e32 v15, vcc, v16, v15, vcc
	s_waitcnt lgkmcnt(0)
	global_store_dword v[14:15], v13, off offset:-1024
.LBB1173_251:
	s_andn2_saveexec_b64 s[4:5], s[4:5]
	s_cbranch_execz .LBB1173_253
; %bb.252:
	v_lshlrev_b32_e32 v13, 2, v0
	ds_read_b32 v14, v13 offset:1024
	v_readfirstlane_b32 s8, v8
	v_readfirstlane_b32 s9, v9
	s_waitcnt lgkmcnt(0)
	s_nop 3
	global_store_dword v13, v14, s[8:9] offset:1024
.LBB1173_253:
	s_or_b64 exec, exec, s[4:5]
.LBB1173_254:
	s_andn2_saveexec_b64 s[2:3], s[2:3]
	s_cbranch_execz .LBB1173_256
; %bb.255:
	v_lshlrev_b32_e32 v13, 2, v0
	ds_read_b32 v14, v13 offset:1024
	v_readfirstlane_b32 s2, v10
	v_readfirstlane_b32 s3, v11
	s_waitcnt lgkmcnt(0)
	s_nop 3
	global_store_dword v13, v14, s[2:3] offset:1024
.LBB1173_256:
	s_or_b64 exec, exec, s[0:1]
	v_or_b32_e32 v13, 0x200, v0
	v_cmp_gt_u32_e32 vcc, s18, v13
	s_and_saveexec_b64 s[0:1], vcc
	s_cbranch_execz .LBB1173_265
; %bb.257:
	v_cmp_le_u32_e32 vcc, v2, v13
	s_and_saveexec_b64 s[2:3], vcc
	s_xor_b64 s[2:3], exec, s[2:3]
	s_cbranch_execz .LBB1173_263
; %bb.258:
	v_cmp_le_u32_e32 vcc, v12, v13
	s_and_saveexec_b64 s[4:5], vcc
	s_xor_b64 s[4:5], exec, s[4:5]
	s_cbranch_execz .LBB1173_260
; %bb.259:
	v_lshlrev_b32_e32 v13, 2, v0
	ds_read_b32 v13, v13 offset:2048
	v_add_co_u32_e32 v14, vcc, v1, v0
	v_addc_co_u32_e32 v15, vcc, 0, v4, vcc
	v_lshlrev_b64 v[14:15], 2, v[14:15]
	v_mov_b32_e32 v16, s7
	v_sub_co_u32_e32 v14, vcc, s6, v14
	v_subb_co_u32_e32 v15, vcc, v16, v15, vcc
	s_waitcnt lgkmcnt(0)
	global_store_dword v[14:15], v13, off offset:-2048
.LBB1173_260:
	s_andn2_saveexec_b64 s[4:5], s[4:5]
	s_cbranch_execz .LBB1173_262
; %bb.261:
	v_lshlrev_b32_e32 v13, 2, v0
	ds_read_b32 v14, v13 offset:2048
	v_readfirstlane_b32 s8, v8
	v_readfirstlane_b32 s9, v9
	s_waitcnt lgkmcnt(0)
	s_nop 3
	global_store_dword v13, v14, s[8:9] offset:2048
.LBB1173_262:
	s_or_b64 exec, exec, s[4:5]
.LBB1173_263:
	s_andn2_saveexec_b64 s[2:3], s[2:3]
	s_cbranch_execz .LBB1173_265
; %bb.264:
	v_lshlrev_b32_e32 v13, 2, v0
	ds_read_b32 v14, v13 offset:2048
	v_readfirstlane_b32 s2, v10
	v_readfirstlane_b32 s3, v11
	s_waitcnt lgkmcnt(0)
	s_nop 3
	global_store_dword v13, v14, s[2:3] offset:2048
.LBB1173_265:
	;; [unrolled: 51-line block ×3, first 2 shown]
	s_or_b64 exec, exec, s[0:1]
	v_or_b32_e32 v13, 0x400, v0
	v_cmp_gt_u32_e32 vcc, s18, v13
	s_and_saveexec_b64 s[0:1], vcc
	s_cbranch_execz .LBB1173_283
; %bb.275:
	v_cmp_le_u32_e32 vcc, v2, v13
	s_and_saveexec_b64 s[2:3], vcc
	s_xor_b64 s[2:3], exec, s[2:3]
	s_cbranch_execz .LBB1173_281
; %bb.276:
	v_cmp_le_u32_e32 vcc, v12, v13
	s_and_saveexec_b64 s[4:5], vcc
	s_xor_b64 s[4:5], exec, s[4:5]
	s_cbranch_execz .LBB1173_278
; %bb.277:
	v_lshlrev_b32_e32 v13, 2, v0
	ds_read_b32 v13, v13 offset:4096
	v_add_co_u32_e32 v14, vcc, v1, v0
	v_addc_co_u32_e32 v15, vcc, 0, v4, vcc
	v_lshlrev_b64 v[14:15], 2, v[14:15]
	v_mov_b32_e32 v16, s7
	v_sub_co_u32_e32 v14, vcc, s6, v14
	v_subb_co_u32_e32 v15, vcc, v16, v15, vcc
	s_waitcnt lgkmcnt(0)
	global_store_dword v[14:15], v13, off offset:-4096
                                        ; implicit-def: $vgpr13
.LBB1173_278:
	s_andn2_saveexec_b64 s[4:5], s[4:5]
	s_cbranch_execz .LBB1173_280
; %bb.279:
	v_lshlrev_b32_e32 v14, 2, v0
	ds_read_b32 v14, v14 offset:4096
	v_lshlrev_b32_e32 v13, 2, v13
	v_readfirstlane_b32 s8, v8
	v_readfirstlane_b32 s9, v9
	s_waitcnt lgkmcnt(0)
	s_nop 3
	global_store_dword v13, v14, s[8:9]
.LBB1173_280:
	s_or_b64 exec, exec, s[4:5]
                                        ; implicit-def: $vgpr13
.LBB1173_281:
	s_andn2_saveexec_b64 s[2:3], s[2:3]
	s_cbranch_execz .LBB1173_283
; %bb.282:
	v_lshlrev_b32_e32 v14, 2, v0
	ds_read_b32 v14, v14 offset:4096
	v_lshlrev_b32_e32 v13, 2, v13
	v_readfirstlane_b32 s2, v10
	v_readfirstlane_b32 s3, v11
	s_waitcnt lgkmcnt(0)
	s_nop 3
	global_store_dword v13, v14, s[2:3]
.LBB1173_283:
	s_or_b64 exec, exec, s[0:1]
	v_or_b32_e32 v13, 0x500, v0
	v_cmp_gt_u32_e32 vcc, s18, v13
	s_and_saveexec_b64 s[0:1], vcc
	s_cbranch_execz .LBB1173_292
; %bb.284:
	v_cmp_le_u32_e32 vcc, v2, v13
	s_and_saveexec_b64 s[2:3], vcc
	s_xor_b64 s[2:3], exec, s[2:3]
	s_cbranch_execz .LBB1173_290
; %bb.285:
	v_cmp_le_u32_e32 vcc, v12, v13
	s_and_saveexec_b64 s[4:5], vcc
	s_xor_b64 s[4:5], exec, s[4:5]
	s_cbranch_execz .LBB1173_287
; %bb.286:
	v_add_co_u32_e32 v14, vcc, v1, v13
	v_lshlrev_b32_e32 v13, 2, v0
	ds_read_b32 v13, v13 offset:5120
	v_addc_co_u32_e32 v15, vcc, 0, v4, vcc
	v_lshlrev_b64 v[14:15], 2, v[14:15]
	v_mov_b32_e32 v16, s7
	v_sub_co_u32_e32 v14, vcc, s6, v14
	v_subb_co_u32_e32 v15, vcc, v16, v15, vcc
	s_waitcnt lgkmcnt(0)
	global_store_dword v[14:15], v13, off
                                        ; implicit-def: $vgpr13
.LBB1173_287:
	s_andn2_saveexec_b64 s[4:5], s[4:5]
	s_cbranch_execz .LBB1173_289
; %bb.288:
	v_lshlrev_b32_e32 v14, 2, v0
	ds_read_b32 v14, v14 offset:5120
	v_lshlrev_b32_e32 v13, 2, v13
	v_readfirstlane_b32 s8, v8
	v_readfirstlane_b32 s9, v9
	s_waitcnt lgkmcnt(0)
	s_nop 3
	global_store_dword v13, v14, s[8:9]
.LBB1173_289:
	s_or_b64 exec, exec, s[4:5]
                                        ; implicit-def: $vgpr13
.LBB1173_290:
	s_andn2_saveexec_b64 s[2:3], s[2:3]
	s_cbranch_execz .LBB1173_292
; %bb.291:
	v_lshlrev_b32_e32 v14, 2, v0
	ds_read_b32 v14, v14 offset:5120
	v_lshlrev_b32_e32 v13, 2, v13
	v_readfirstlane_b32 s2, v10
	v_readfirstlane_b32 s3, v11
	s_waitcnt lgkmcnt(0)
	s_nop 3
	global_store_dword v13, v14, s[2:3]
.LBB1173_292:
	s_or_b64 exec, exec, s[0:1]
	v_or_b32_e32 v13, 0x600, v0
	v_cmp_gt_u32_e32 vcc, s18, v13
	s_and_saveexec_b64 s[0:1], vcc
	s_cbranch_execz .LBB1173_301
; %bb.293:
	v_cmp_le_u32_e32 vcc, v2, v13
	s_and_saveexec_b64 s[2:3], vcc
	s_xor_b64 s[2:3], exec, s[2:3]
	s_cbranch_execz .LBB1173_299
; %bb.294:
	v_cmp_le_u32_e32 vcc, v12, v13
	s_and_saveexec_b64 s[4:5], vcc
	s_xor_b64 s[4:5], exec, s[4:5]
	s_cbranch_execz .LBB1173_296
; %bb.295:
	v_add_co_u32_e32 v14, vcc, v1, v13
	v_lshlrev_b32_e32 v13, 2, v0
	ds_read_b32 v13, v13 offset:6144
	v_addc_co_u32_e32 v15, vcc, 0, v4, vcc
	v_lshlrev_b64 v[14:15], 2, v[14:15]
	v_mov_b32_e32 v16, s7
	v_sub_co_u32_e32 v14, vcc, s6, v14
	v_subb_co_u32_e32 v15, vcc, v16, v15, vcc
	s_waitcnt lgkmcnt(0)
	global_store_dword v[14:15], v13, off
                                        ; implicit-def: $vgpr13
.LBB1173_296:
	s_andn2_saveexec_b64 s[4:5], s[4:5]
	s_cbranch_execz .LBB1173_298
; %bb.297:
	v_lshlrev_b32_e32 v14, 2, v0
	ds_read_b32 v14, v14 offset:6144
	v_lshlrev_b32_e32 v13, 2, v13
	v_readfirstlane_b32 s8, v8
	v_readfirstlane_b32 s9, v9
	s_waitcnt lgkmcnt(0)
	s_nop 3
	global_store_dword v13, v14, s[8:9]
.LBB1173_298:
	s_or_b64 exec, exec, s[4:5]
                                        ; implicit-def: $vgpr13
.LBB1173_299:
	s_andn2_saveexec_b64 s[2:3], s[2:3]
	s_cbranch_execz .LBB1173_301
; %bb.300:
	v_lshlrev_b32_e32 v14, 2, v0
	ds_read_b32 v14, v14 offset:6144
	v_lshlrev_b32_e32 v13, 2, v13
	v_readfirstlane_b32 s2, v10
	v_readfirstlane_b32 s3, v11
	s_waitcnt lgkmcnt(0)
	s_nop 3
	global_store_dword v13, v14, s[2:3]
.LBB1173_301:
	;; [unrolled: 55-line block ×7, first 2 shown]
	s_or_b64 exec, exec, s[0:1]
	v_or_b32_e32 v13, 0xc00, v0
	v_cmp_gt_u32_e32 vcc, s18, v13
	s_and_saveexec_b64 s[0:1], vcc
	s_cbranch_execz .LBB1173_355
; %bb.347:
	v_cmp_le_u32_e32 vcc, v2, v13
	s_and_saveexec_b64 s[2:3], vcc
	s_xor_b64 s[2:3], exec, s[2:3]
	s_cbranch_execz .LBB1173_353
; %bb.348:
	v_cmp_le_u32_e32 vcc, v12, v13
	s_and_saveexec_b64 s[4:5], vcc
	s_xor_b64 s[4:5], exec, s[4:5]
	s_cbranch_execz .LBB1173_350
; %bb.349:
	v_add_co_u32_e32 v8, vcc, v1, v13
	v_lshlrev_b32_e32 v1, 2, v0
	ds_read_b32 v1, v1 offset:12288
	v_addc_co_u32_e32 v9, vcc, 0, v4, vcc
	v_lshlrev_b64 v[8:9], 2, v[8:9]
	v_mov_b32_e32 v4, s7
	v_sub_co_u32_e32 v8, vcc, s6, v8
	v_subb_co_u32_e32 v9, vcc, v4, v9, vcc
	s_waitcnt lgkmcnt(0)
	global_store_dword v[8:9], v1, off
                                        ; implicit-def: $vgpr13
                                        ; implicit-def: $vgpr8_vgpr9
.LBB1173_350:
	s_andn2_saveexec_b64 s[4:5], s[4:5]
	s_cbranch_execz .LBB1173_352
; %bb.351:
	v_lshlrev_b32_e32 v1, 2, v0
	ds_read_b32 v1, v1 offset:12288
	v_lshlrev_b32_e32 v4, 2, v13
	v_readfirstlane_b32 s6, v8
	v_readfirstlane_b32 s7, v9
	s_waitcnt lgkmcnt(0)
	s_nop 3
	global_store_dword v4, v1, s[6:7]
.LBB1173_352:
	s_or_b64 exec, exec, s[4:5]
                                        ; implicit-def: $vgpr13
                                        ; implicit-def: $vgpr10_vgpr11
.LBB1173_353:
	s_andn2_saveexec_b64 s[2:3], s[2:3]
	s_cbranch_execz .LBB1173_355
; %bb.354:
	v_lshlrev_b32_e32 v1, 2, v0
	ds_read_b32 v1, v1 offset:12288
	v_lshlrev_b32_e32 v4, 2, v13
	v_readfirstlane_b32 s2, v10
	v_readfirstlane_b32 s3, v11
	s_waitcnt lgkmcnt(0)
	s_nop 3
	global_store_dword v4, v1, s[2:3]
.LBB1173_355:
	s_or_b64 exec, exec, s[0:1]
	v_cmp_eq_u32_e32 vcc, 0, v0
	s_and_b64 s[0:1], vcc, s[30:31]
	s_and_saveexec_b64 s[2:3], s[0:1]
	s_cbranch_execz .LBB1173_132
.LBB1173_356:
	v_add_co_u32_e32 v0, vcc, v6, v2
	v_addc_co_u32_e32 v1, vcc, 0, v7, vcc
	v_mov_b32_e32 v2, s51
	v_add_co_u32_e32 v3, vcc, s50, v3
	v_addc_co_u32_e32 v6, vcc, 0, v2, vcc
	v_add_co_u32_e32 v2, vcc, v3, v5
	v_mov_b32_e32 v4, 0
	v_addc_co_u32_e32 v3, vcc, 0, v6, vcc
	global_store_dwordx4 v4, v[0:3], s[44:45]
	s_endpgm
	.section	.rodata,"a",@progbits
	.p2align	6, 0x0
	.amdhsa_kernel _ZN7rocprim17ROCPRIM_400000_NS6detail17trampoline_kernelINS0_13select_configILj256ELj13ELNS0_17block_load_methodE3ELS4_3ELS4_3ELNS0_20block_scan_algorithmE0ELj4294967295EEENS1_25partition_config_selectorILNS1_17partition_subalgoE4EjNS0_10empty_typeEbEEZZNS1_14partition_implILS8_4ELb0ES6_15HIP_vector_typeIjLj2EENS0_17counting_iteratorIjlEEPS9_SG_NS0_5tupleIJPjSI_NS0_16reverse_iteratorISI_EEEEENSH_IJSG_SG_SG_EEES9_SI_JZNS1_25segmented_radix_sort_implINS0_14default_configELb0EPKdPdPKlPlN2at6native12_GLOBAL__N_18offset_tEEE10hipError_tPvRmT1_PNSt15iterator_traitsIS12_E10value_typeET2_T3_PNS13_IS18_E10value_typeET4_jRbjT5_S1E_jjP12ihipStream_tbEUljE_ZNSN_ISO_Lb0ESQ_SR_ST_SU_SY_EESZ_S10_S11_S12_S16_S17_S18_S1B_S1C_jS1D_jS1E_S1E_jjS1G_bEUljE0_EEESZ_S10_S11_S18_S1C_S1E_T6_T7_T9_mT8_S1G_bDpT10_ENKUlT_T0_E_clISt17integral_constantIbLb1EES1T_IbLb0EEEEDaS1P_S1Q_EUlS1P_E_NS1_11comp_targetILNS1_3genE4ELNS1_11target_archE910ELNS1_3gpuE8ELNS1_3repE0EEENS1_30default_config_static_selectorELNS0_4arch9wavefront6targetE1EEEvS12_
		.amdhsa_group_segment_fixed_size 13340
		.amdhsa_private_segment_fixed_size 0
		.amdhsa_kernarg_size 176
		.amdhsa_user_sgpr_count 6
		.amdhsa_user_sgpr_private_segment_buffer 1
		.amdhsa_user_sgpr_dispatch_ptr 0
		.amdhsa_user_sgpr_queue_ptr 0
		.amdhsa_user_sgpr_kernarg_segment_ptr 1
		.amdhsa_user_sgpr_dispatch_id 0
		.amdhsa_user_sgpr_flat_scratch_init 0
		.amdhsa_user_sgpr_kernarg_preload_length 0
		.amdhsa_user_sgpr_kernarg_preload_offset 0
		.amdhsa_user_sgpr_private_segment_size 0
		.amdhsa_uses_dynamic_stack 0
		.amdhsa_system_sgpr_private_segment_wavefront_offset 0
		.amdhsa_system_sgpr_workgroup_id_x 1
		.amdhsa_system_sgpr_workgroup_id_y 0
		.amdhsa_system_sgpr_workgroup_id_z 0
		.amdhsa_system_sgpr_workgroup_info 0
		.amdhsa_system_vgpr_workitem_id 0
		.amdhsa_next_free_vgpr 102
		.amdhsa_next_free_sgpr 90
		.amdhsa_accum_offset 104
		.amdhsa_reserve_vcc 1
		.amdhsa_reserve_flat_scratch 0
		.amdhsa_float_round_mode_32 0
		.amdhsa_float_round_mode_16_64 0
		.amdhsa_float_denorm_mode_32 3
		.amdhsa_float_denorm_mode_16_64 3
		.amdhsa_dx10_clamp 1
		.amdhsa_ieee_mode 1
		.amdhsa_fp16_overflow 0
		.amdhsa_tg_split 0
		.amdhsa_exception_fp_ieee_invalid_op 0
		.amdhsa_exception_fp_denorm_src 0
		.amdhsa_exception_fp_ieee_div_zero 0
		.amdhsa_exception_fp_ieee_overflow 0
		.amdhsa_exception_fp_ieee_underflow 0
		.amdhsa_exception_fp_ieee_inexact 0
		.amdhsa_exception_int_div_zero 0
	.end_amdhsa_kernel
	.section	.text._ZN7rocprim17ROCPRIM_400000_NS6detail17trampoline_kernelINS0_13select_configILj256ELj13ELNS0_17block_load_methodE3ELS4_3ELS4_3ELNS0_20block_scan_algorithmE0ELj4294967295EEENS1_25partition_config_selectorILNS1_17partition_subalgoE4EjNS0_10empty_typeEbEEZZNS1_14partition_implILS8_4ELb0ES6_15HIP_vector_typeIjLj2EENS0_17counting_iteratorIjlEEPS9_SG_NS0_5tupleIJPjSI_NS0_16reverse_iteratorISI_EEEEENSH_IJSG_SG_SG_EEES9_SI_JZNS1_25segmented_radix_sort_implINS0_14default_configELb0EPKdPdPKlPlN2at6native12_GLOBAL__N_18offset_tEEE10hipError_tPvRmT1_PNSt15iterator_traitsIS12_E10value_typeET2_T3_PNS13_IS18_E10value_typeET4_jRbjT5_S1E_jjP12ihipStream_tbEUljE_ZNSN_ISO_Lb0ESQ_SR_ST_SU_SY_EESZ_S10_S11_S12_S16_S17_S18_S1B_S1C_jS1D_jS1E_S1E_jjS1G_bEUljE0_EEESZ_S10_S11_S18_S1C_S1E_T6_T7_T9_mT8_S1G_bDpT10_ENKUlT_T0_E_clISt17integral_constantIbLb1EES1T_IbLb0EEEEDaS1P_S1Q_EUlS1P_E_NS1_11comp_targetILNS1_3genE4ELNS1_11target_archE910ELNS1_3gpuE8ELNS1_3repE0EEENS1_30default_config_static_selectorELNS0_4arch9wavefront6targetE1EEEvS12_,"axG",@progbits,_ZN7rocprim17ROCPRIM_400000_NS6detail17trampoline_kernelINS0_13select_configILj256ELj13ELNS0_17block_load_methodE3ELS4_3ELS4_3ELNS0_20block_scan_algorithmE0ELj4294967295EEENS1_25partition_config_selectorILNS1_17partition_subalgoE4EjNS0_10empty_typeEbEEZZNS1_14partition_implILS8_4ELb0ES6_15HIP_vector_typeIjLj2EENS0_17counting_iteratorIjlEEPS9_SG_NS0_5tupleIJPjSI_NS0_16reverse_iteratorISI_EEEEENSH_IJSG_SG_SG_EEES9_SI_JZNS1_25segmented_radix_sort_implINS0_14default_configELb0EPKdPdPKlPlN2at6native12_GLOBAL__N_18offset_tEEE10hipError_tPvRmT1_PNSt15iterator_traitsIS12_E10value_typeET2_T3_PNS13_IS18_E10value_typeET4_jRbjT5_S1E_jjP12ihipStream_tbEUljE_ZNSN_ISO_Lb0ESQ_SR_ST_SU_SY_EESZ_S10_S11_S12_S16_S17_S18_S1B_S1C_jS1D_jS1E_S1E_jjS1G_bEUljE0_EEESZ_S10_S11_S18_S1C_S1E_T6_T7_T9_mT8_S1G_bDpT10_ENKUlT_T0_E_clISt17integral_constantIbLb1EES1T_IbLb0EEEEDaS1P_S1Q_EUlS1P_E_NS1_11comp_targetILNS1_3genE4ELNS1_11target_archE910ELNS1_3gpuE8ELNS1_3repE0EEENS1_30default_config_static_selectorELNS0_4arch9wavefront6targetE1EEEvS12_,comdat
.Lfunc_end1173:
	.size	_ZN7rocprim17ROCPRIM_400000_NS6detail17trampoline_kernelINS0_13select_configILj256ELj13ELNS0_17block_load_methodE3ELS4_3ELS4_3ELNS0_20block_scan_algorithmE0ELj4294967295EEENS1_25partition_config_selectorILNS1_17partition_subalgoE4EjNS0_10empty_typeEbEEZZNS1_14partition_implILS8_4ELb0ES6_15HIP_vector_typeIjLj2EENS0_17counting_iteratorIjlEEPS9_SG_NS0_5tupleIJPjSI_NS0_16reverse_iteratorISI_EEEEENSH_IJSG_SG_SG_EEES9_SI_JZNS1_25segmented_radix_sort_implINS0_14default_configELb0EPKdPdPKlPlN2at6native12_GLOBAL__N_18offset_tEEE10hipError_tPvRmT1_PNSt15iterator_traitsIS12_E10value_typeET2_T3_PNS13_IS18_E10value_typeET4_jRbjT5_S1E_jjP12ihipStream_tbEUljE_ZNSN_ISO_Lb0ESQ_SR_ST_SU_SY_EESZ_S10_S11_S12_S16_S17_S18_S1B_S1C_jS1D_jS1E_S1E_jjS1G_bEUljE0_EEESZ_S10_S11_S18_S1C_S1E_T6_T7_T9_mT8_S1G_bDpT10_ENKUlT_T0_E_clISt17integral_constantIbLb1EES1T_IbLb0EEEEDaS1P_S1Q_EUlS1P_E_NS1_11comp_targetILNS1_3genE4ELNS1_11target_archE910ELNS1_3gpuE8ELNS1_3repE0EEENS1_30default_config_static_selectorELNS0_4arch9wavefront6targetE1EEEvS12_, .Lfunc_end1173-_ZN7rocprim17ROCPRIM_400000_NS6detail17trampoline_kernelINS0_13select_configILj256ELj13ELNS0_17block_load_methodE3ELS4_3ELS4_3ELNS0_20block_scan_algorithmE0ELj4294967295EEENS1_25partition_config_selectorILNS1_17partition_subalgoE4EjNS0_10empty_typeEbEEZZNS1_14partition_implILS8_4ELb0ES6_15HIP_vector_typeIjLj2EENS0_17counting_iteratorIjlEEPS9_SG_NS0_5tupleIJPjSI_NS0_16reverse_iteratorISI_EEEEENSH_IJSG_SG_SG_EEES9_SI_JZNS1_25segmented_radix_sort_implINS0_14default_configELb0EPKdPdPKlPlN2at6native12_GLOBAL__N_18offset_tEEE10hipError_tPvRmT1_PNSt15iterator_traitsIS12_E10value_typeET2_T3_PNS13_IS18_E10value_typeET4_jRbjT5_S1E_jjP12ihipStream_tbEUljE_ZNSN_ISO_Lb0ESQ_SR_ST_SU_SY_EESZ_S10_S11_S12_S16_S17_S18_S1B_S1C_jS1D_jS1E_S1E_jjS1G_bEUljE0_EEESZ_S10_S11_S18_S1C_S1E_T6_T7_T9_mT8_S1G_bDpT10_ENKUlT_T0_E_clISt17integral_constantIbLb1EES1T_IbLb0EEEEDaS1P_S1Q_EUlS1P_E_NS1_11comp_targetILNS1_3genE4ELNS1_11target_archE910ELNS1_3gpuE8ELNS1_3repE0EEENS1_30default_config_static_selectorELNS0_4arch9wavefront6targetE1EEEvS12_
                                        ; -- End function
	.section	.AMDGPU.csdata,"",@progbits
; Kernel info:
; codeLenInByte = 13412
; NumSgprs: 94
; NumVgprs: 102
; NumAgprs: 0
; TotalNumVgprs: 102
; ScratchSize: 0
; MemoryBound: 0
; FloatMode: 240
; IeeeMode: 1
; LDSByteSize: 13340 bytes/workgroup (compile time only)
; SGPRBlocks: 11
; VGPRBlocks: 12
; NumSGPRsForWavesPerEU: 94
; NumVGPRsForWavesPerEU: 102
; AccumOffset: 104
; Occupancy: 4
; WaveLimiterHint : 1
; COMPUTE_PGM_RSRC2:SCRATCH_EN: 0
; COMPUTE_PGM_RSRC2:USER_SGPR: 6
; COMPUTE_PGM_RSRC2:TRAP_HANDLER: 0
; COMPUTE_PGM_RSRC2:TGID_X_EN: 1
; COMPUTE_PGM_RSRC2:TGID_Y_EN: 0
; COMPUTE_PGM_RSRC2:TGID_Z_EN: 0
; COMPUTE_PGM_RSRC2:TIDIG_COMP_CNT: 0
; COMPUTE_PGM_RSRC3_GFX90A:ACCUM_OFFSET: 25
; COMPUTE_PGM_RSRC3_GFX90A:TG_SPLIT: 0
	.section	.text._ZN7rocprim17ROCPRIM_400000_NS6detail17trampoline_kernelINS0_13select_configILj256ELj13ELNS0_17block_load_methodE3ELS4_3ELS4_3ELNS0_20block_scan_algorithmE0ELj4294967295EEENS1_25partition_config_selectorILNS1_17partition_subalgoE4EjNS0_10empty_typeEbEEZZNS1_14partition_implILS8_4ELb0ES6_15HIP_vector_typeIjLj2EENS0_17counting_iteratorIjlEEPS9_SG_NS0_5tupleIJPjSI_NS0_16reverse_iteratorISI_EEEEENSH_IJSG_SG_SG_EEES9_SI_JZNS1_25segmented_radix_sort_implINS0_14default_configELb0EPKdPdPKlPlN2at6native12_GLOBAL__N_18offset_tEEE10hipError_tPvRmT1_PNSt15iterator_traitsIS12_E10value_typeET2_T3_PNS13_IS18_E10value_typeET4_jRbjT5_S1E_jjP12ihipStream_tbEUljE_ZNSN_ISO_Lb0ESQ_SR_ST_SU_SY_EESZ_S10_S11_S12_S16_S17_S18_S1B_S1C_jS1D_jS1E_S1E_jjS1G_bEUljE0_EEESZ_S10_S11_S18_S1C_S1E_T6_T7_T9_mT8_S1G_bDpT10_ENKUlT_T0_E_clISt17integral_constantIbLb1EES1T_IbLb0EEEEDaS1P_S1Q_EUlS1P_E_NS1_11comp_targetILNS1_3genE3ELNS1_11target_archE908ELNS1_3gpuE7ELNS1_3repE0EEENS1_30default_config_static_selectorELNS0_4arch9wavefront6targetE1EEEvS12_,"axG",@progbits,_ZN7rocprim17ROCPRIM_400000_NS6detail17trampoline_kernelINS0_13select_configILj256ELj13ELNS0_17block_load_methodE3ELS4_3ELS4_3ELNS0_20block_scan_algorithmE0ELj4294967295EEENS1_25partition_config_selectorILNS1_17partition_subalgoE4EjNS0_10empty_typeEbEEZZNS1_14partition_implILS8_4ELb0ES6_15HIP_vector_typeIjLj2EENS0_17counting_iteratorIjlEEPS9_SG_NS0_5tupleIJPjSI_NS0_16reverse_iteratorISI_EEEEENSH_IJSG_SG_SG_EEES9_SI_JZNS1_25segmented_radix_sort_implINS0_14default_configELb0EPKdPdPKlPlN2at6native12_GLOBAL__N_18offset_tEEE10hipError_tPvRmT1_PNSt15iterator_traitsIS12_E10value_typeET2_T3_PNS13_IS18_E10value_typeET4_jRbjT5_S1E_jjP12ihipStream_tbEUljE_ZNSN_ISO_Lb0ESQ_SR_ST_SU_SY_EESZ_S10_S11_S12_S16_S17_S18_S1B_S1C_jS1D_jS1E_S1E_jjS1G_bEUljE0_EEESZ_S10_S11_S18_S1C_S1E_T6_T7_T9_mT8_S1G_bDpT10_ENKUlT_T0_E_clISt17integral_constantIbLb1EES1T_IbLb0EEEEDaS1P_S1Q_EUlS1P_E_NS1_11comp_targetILNS1_3genE3ELNS1_11target_archE908ELNS1_3gpuE7ELNS1_3repE0EEENS1_30default_config_static_selectorELNS0_4arch9wavefront6targetE1EEEvS12_,comdat
	.globl	_ZN7rocprim17ROCPRIM_400000_NS6detail17trampoline_kernelINS0_13select_configILj256ELj13ELNS0_17block_load_methodE3ELS4_3ELS4_3ELNS0_20block_scan_algorithmE0ELj4294967295EEENS1_25partition_config_selectorILNS1_17partition_subalgoE4EjNS0_10empty_typeEbEEZZNS1_14partition_implILS8_4ELb0ES6_15HIP_vector_typeIjLj2EENS0_17counting_iteratorIjlEEPS9_SG_NS0_5tupleIJPjSI_NS0_16reverse_iteratorISI_EEEEENSH_IJSG_SG_SG_EEES9_SI_JZNS1_25segmented_radix_sort_implINS0_14default_configELb0EPKdPdPKlPlN2at6native12_GLOBAL__N_18offset_tEEE10hipError_tPvRmT1_PNSt15iterator_traitsIS12_E10value_typeET2_T3_PNS13_IS18_E10value_typeET4_jRbjT5_S1E_jjP12ihipStream_tbEUljE_ZNSN_ISO_Lb0ESQ_SR_ST_SU_SY_EESZ_S10_S11_S12_S16_S17_S18_S1B_S1C_jS1D_jS1E_S1E_jjS1G_bEUljE0_EEESZ_S10_S11_S18_S1C_S1E_T6_T7_T9_mT8_S1G_bDpT10_ENKUlT_T0_E_clISt17integral_constantIbLb1EES1T_IbLb0EEEEDaS1P_S1Q_EUlS1P_E_NS1_11comp_targetILNS1_3genE3ELNS1_11target_archE908ELNS1_3gpuE7ELNS1_3repE0EEENS1_30default_config_static_selectorELNS0_4arch9wavefront6targetE1EEEvS12_ ; -- Begin function _ZN7rocprim17ROCPRIM_400000_NS6detail17trampoline_kernelINS0_13select_configILj256ELj13ELNS0_17block_load_methodE3ELS4_3ELS4_3ELNS0_20block_scan_algorithmE0ELj4294967295EEENS1_25partition_config_selectorILNS1_17partition_subalgoE4EjNS0_10empty_typeEbEEZZNS1_14partition_implILS8_4ELb0ES6_15HIP_vector_typeIjLj2EENS0_17counting_iteratorIjlEEPS9_SG_NS0_5tupleIJPjSI_NS0_16reverse_iteratorISI_EEEEENSH_IJSG_SG_SG_EEES9_SI_JZNS1_25segmented_radix_sort_implINS0_14default_configELb0EPKdPdPKlPlN2at6native12_GLOBAL__N_18offset_tEEE10hipError_tPvRmT1_PNSt15iterator_traitsIS12_E10value_typeET2_T3_PNS13_IS18_E10value_typeET4_jRbjT5_S1E_jjP12ihipStream_tbEUljE_ZNSN_ISO_Lb0ESQ_SR_ST_SU_SY_EESZ_S10_S11_S12_S16_S17_S18_S1B_S1C_jS1D_jS1E_S1E_jjS1G_bEUljE0_EEESZ_S10_S11_S18_S1C_S1E_T6_T7_T9_mT8_S1G_bDpT10_ENKUlT_T0_E_clISt17integral_constantIbLb1EES1T_IbLb0EEEEDaS1P_S1Q_EUlS1P_E_NS1_11comp_targetILNS1_3genE3ELNS1_11target_archE908ELNS1_3gpuE7ELNS1_3repE0EEENS1_30default_config_static_selectorELNS0_4arch9wavefront6targetE1EEEvS12_
	.p2align	8
	.type	_ZN7rocprim17ROCPRIM_400000_NS6detail17trampoline_kernelINS0_13select_configILj256ELj13ELNS0_17block_load_methodE3ELS4_3ELS4_3ELNS0_20block_scan_algorithmE0ELj4294967295EEENS1_25partition_config_selectorILNS1_17partition_subalgoE4EjNS0_10empty_typeEbEEZZNS1_14partition_implILS8_4ELb0ES6_15HIP_vector_typeIjLj2EENS0_17counting_iteratorIjlEEPS9_SG_NS0_5tupleIJPjSI_NS0_16reverse_iteratorISI_EEEEENSH_IJSG_SG_SG_EEES9_SI_JZNS1_25segmented_radix_sort_implINS0_14default_configELb0EPKdPdPKlPlN2at6native12_GLOBAL__N_18offset_tEEE10hipError_tPvRmT1_PNSt15iterator_traitsIS12_E10value_typeET2_T3_PNS13_IS18_E10value_typeET4_jRbjT5_S1E_jjP12ihipStream_tbEUljE_ZNSN_ISO_Lb0ESQ_SR_ST_SU_SY_EESZ_S10_S11_S12_S16_S17_S18_S1B_S1C_jS1D_jS1E_S1E_jjS1G_bEUljE0_EEESZ_S10_S11_S18_S1C_S1E_T6_T7_T9_mT8_S1G_bDpT10_ENKUlT_T0_E_clISt17integral_constantIbLb1EES1T_IbLb0EEEEDaS1P_S1Q_EUlS1P_E_NS1_11comp_targetILNS1_3genE3ELNS1_11target_archE908ELNS1_3gpuE7ELNS1_3repE0EEENS1_30default_config_static_selectorELNS0_4arch9wavefront6targetE1EEEvS12_,@function
_ZN7rocprim17ROCPRIM_400000_NS6detail17trampoline_kernelINS0_13select_configILj256ELj13ELNS0_17block_load_methodE3ELS4_3ELS4_3ELNS0_20block_scan_algorithmE0ELj4294967295EEENS1_25partition_config_selectorILNS1_17partition_subalgoE4EjNS0_10empty_typeEbEEZZNS1_14partition_implILS8_4ELb0ES6_15HIP_vector_typeIjLj2EENS0_17counting_iteratorIjlEEPS9_SG_NS0_5tupleIJPjSI_NS0_16reverse_iteratorISI_EEEEENSH_IJSG_SG_SG_EEES9_SI_JZNS1_25segmented_radix_sort_implINS0_14default_configELb0EPKdPdPKlPlN2at6native12_GLOBAL__N_18offset_tEEE10hipError_tPvRmT1_PNSt15iterator_traitsIS12_E10value_typeET2_T3_PNS13_IS18_E10value_typeET4_jRbjT5_S1E_jjP12ihipStream_tbEUljE_ZNSN_ISO_Lb0ESQ_SR_ST_SU_SY_EESZ_S10_S11_S12_S16_S17_S18_S1B_S1C_jS1D_jS1E_S1E_jjS1G_bEUljE0_EEESZ_S10_S11_S18_S1C_S1E_T6_T7_T9_mT8_S1G_bDpT10_ENKUlT_T0_E_clISt17integral_constantIbLb1EES1T_IbLb0EEEEDaS1P_S1Q_EUlS1P_E_NS1_11comp_targetILNS1_3genE3ELNS1_11target_archE908ELNS1_3gpuE7ELNS1_3repE0EEENS1_30default_config_static_selectorELNS0_4arch9wavefront6targetE1EEEvS12_: ; @_ZN7rocprim17ROCPRIM_400000_NS6detail17trampoline_kernelINS0_13select_configILj256ELj13ELNS0_17block_load_methodE3ELS4_3ELS4_3ELNS0_20block_scan_algorithmE0ELj4294967295EEENS1_25partition_config_selectorILNS1_17partition_subalgoE4EjNS0_10empty_typeEbEEZZNS1_14partition_implILS8_4ELb0ES6_15HIP_vector_typeIjLj2EENS0_17counting_iteratorIjlEEPS9_SG_NS0_5tupleIJPjSI_NS0_16reverse_iteratorISI_EEEEENSH_IJSG_SG_SG_EEES9_SI_JZNS1_25segmented_radix_sort_implINS0_14default_configELb0EPKdPdPKlPlN2at6native12_GLOBAL__N_18offset_tEEE10hipError_tPvRmT1_PNSt15iterator_traitsIS12_E10value_typeET2_T3_PNS13_IS18_E10value_typeET4_jRbjT5_S1E_jjP12ihipStream_tbEUljE_ZNSN_ISO_Lb0ESQ_SR_ST_SU_SY_EESZ_S10_S11_S12_S16_S17_S18_S1B_S1C_jS1D_jS1E_S1E_jjS1G_bEUljE0_EEESZ_S10_S11_S18_S1C_S1E_T6_T7_T9_mT8_S1G_bDpT10_ENKUlT_T0_E_clISt17integral_constantIbLb1EES1T_IbLb0EEEEDaS1P_S1Q_EUlS1P_E_NS1_11comp_targetILNS1_3genE3ELNS1_11target_archE908ELNS1_3gpuE7ELNS1_3repE0EEENS1_30default_config_static_selectorELNS0_4arch9wavefront6targetE1EEEvS12_
; %bb.0:
	.section	.rodata,"a",@progbits
	.p2align	6, 0x0
	.amdhsa_kernel _ZN7rocprim17ROCPRIM_400000_NS6detail17trampoline_kernelINS0_13select_configILj256ELj13ELNS0_17block_load_methodE3ELS4_3ELS4_3ELNS0_20block_scan_algorithmE0ELj4294967295EEENS1_25partition_config_selectorILNS1_17partition_subalgoE4EjNS0_10empty_typeEbEEZZNS1_14partition_implILS8_4ELb0ES6_15HIP_vector_typeIjLj2EENS0_17counting_iteratorIjlEEPS9_SG_NS0_5tupleIJPjSI_NS0_16reverse_iteratorISI_EEEEENSH_IJSG_SG_SG_EEES9_SI_JZNS1_25segmented_radix_sort_implINS0_14default_configELb0EPKdPdPKlPlN2at6native12_GLOBAL__N_18offset_tEEE10hipError_tPvRmT1_PNSt15iterator_traitsIS12_E10value_typeET2_T3_PNS13_IS18_E10value_typeET4_jRbjT5_S1E_jjP12ihipStream_tbEUljE_ZNSN_ISO_Lb0ESQ_SR_ST_SU_SY_EESZ_S10_S11_S12_S16_S17_S18_S1B_S1C_jS1D_jS1E_S1E_jjS1G_bEUljE0_EEESZ_S10_S11_S18_S1C_S1E_T6_T7_T9_mT8_S1G_bDpT10_ENKUlT_T0_E_clISt17integral_constantIbLb1EES1T_IbLb0EEEEDaS1P_S1Q_EUlS1P_E_NS1_11comp_targetILNS1_3genE3ELNS1_11target_archE908ELNS1_3gpuE7ELNS1_3repE0EEENS1_30default_config_static_selectorELNS0_4arch9wavefront6targetE1EEEvS12_
		.amdhsa_group_segment_fixed_size 0
		.amdhsa_private_segment_fixed_size 0
		.amdhsa_kernarg_size 176
		.amdhsa_user_sgpr_count 6
		.amdhsa_user_sgpr_private_segment_buffer 1
		.amdhsa_user_sgpr_dispatch_ptr 0
		.amdhsa_user_sgpr_queue_ptr 0
		.amdhsa_user_sgpr_kernarg_segment_ptr 1
		.amdhsa_user_sgpr_dispatch_id 0
		.amdhsa_user_sgpr_flat_scratch_init 0
		.amdhsa_user_sgpr_kernarg_preload_length 0
		.amdhsa_user_sgpr_kernarg_preload_offset 0
		.amdhsa_user_sgpr_private_segment_size 0
		.amdhsa_uses_dynamic_stack 0
		.amdhsa_system_sgpr_private_segment_wavefront_offset 0
		.amdhsa_system_sgpr_workgroup_id_x 1
		.amdhsa_system_sgpr_workgroup_id_y 0
		.amdhsa_system_sgpr_workgroup_id_z 0
		.amdhsa_system_sgpr_workgroup_info 0
		.amdhsa_system_vgpr_workitem_id 0
		.amdhsa_next_free_vgpr 1
		.amdhsa_next_free_sgpr 0
		.amdhsa_accum_offset 4
		.amdhsa_reserve_vcc 0
		.amdhsa_reserve_flat_scratch 0
		.amdhsa_float_round_mode_32 0
		.amdhsa_float_round_mode_16_64 0
		.amdhsa_float_denorm_mode_32 3
		.amdhsa_float_denorm_mode_16_64 3
		.amdhsa_dx10_clamp 1
		.amdhsa_ieee_mode 1
		.amdhsa_fp16_overflow 0
		.amdhsa_tg_split 0
		.amdhsa_exception_fp_ieee_invalid_op 0
		.amdhsa_exception_fp_denorm_src 0
		.amdhsa_exception_fp_ieee_div_zero 0
		.amdhsa_exception_fp_ieee_overflow 0
		.amdhsa_exception_fp_ieee_underflow 0
		.amdhsa_exception_fp_ieee_inexact 0
		.amdhsa_exception_int_div_zero 0
	.end_amdhsa_kernel
	.section	.text._ZN7rocprim17ROCPRIM_400000_NS6detail17trampoline_kernelINS0_13select_configILj256ELj13ELNS0_17block_load_methodE3ELS4_3ELS4_3ELNS0_20block_scan_algorithmE0ELj4294967295EEENS1_25partition_config_selectorILNS1_17partition_subalgoE4EjNS0_10empty_typeEbEEZZNS1_14partition_implILS8_4ELb0ES6_15HIP_vector_typeIjLj2EENS0_17counting_iteratorIjlEEPS9_SG_NS0_5tupleIJPjSI_NS0_16reverse_iteratorISI_EEEEENSH_IJSG_SG_SG_EEES9_SI_JZNS1_25segmented_radix_sort_implINS0_14default_configELb0EPKdPdPKlPlN2at6native12_GLOBAL__N_18offset_tEEE10hipError_tPvRmT1_PNSt15iterator_traitsIS12_E10value_typeET2_T3_PNS13_IS18_E10value_typeET4_jRbjT5_S1E_jjP12ihipStream_tbEUljE_ZNSN_ISO_Lb0ESQ_SR_ST_SU_SY_EESZ_S10_S11_S12_S16_S17_S18_S1B_S1C_jS1D_jS1E_S1E_jjS1G_bEUljE0_EEESZ_S10_S11_S18_S1C_S1E_T6_T7_T9_mT8_S1G_bDpT10_ENKUlT_T0_E_clISt17integral_constantIbLb1EES1T_IbLb0EEEEDaS1P_S1Q_EUlS1P_E_NS1_11comp_targetILNS1_3genE3ELNS1_11target_archE908ELNS1_3gpuE7ELNS1_3repE0EEENS1_30default_config_static_selectorELNS0_4arch9wavefront6targetE1EEEvS12_,"axG",@progbits,_ZN7rocprim17ROCPRIM_400000_NS6detail17trampoline_kernelINS0_13select_configILj256ELj13ELNS0_17block_load_methodE3ELS4_3ELS4_3ELNS0_20block_scan_algorithmE0ELj4294967295EEENS1_25partition_config_selectorILNS1_17partition_subalgoE4EjNS0_10empty_typeEbEEZZNS1_14partition_implILS8_4ELb0ES6_15HIP_vector_typeIjLj2EENS0_17counting_iteratorIjlEEPS9_SG_NS0_5tupleIJPjSI_NS0_16reverse_iteratorISI_EEEEENSH_IJSG_SG_SG_EEES9_SI_JZNS1_25segmented_radix_sort_implINS0_14default_configELb0EPKdPdPKlPlN2at6native12_GLOBAL__N_18offset_tEEE10hipError_tPvRmT1_PNSt15iterator_traitsIS12_E10value_typeET2_T3_PNS13_IS18_E10value_typeET4_jRbjT5_S1E_jjP12ihipStream_tbEUljE_ZNSN_ISO_Lb0ESQ_SR_ST_SU_SY_EESZ_S10_S11_S12_S16_S17_S18_S1B_S1C_jS1D_jS1E_S1E_jjS1G_bEUljE0_EEESZ_S10_S11_S18_S1C_S1E_T6_T7_T9_mT8_S1G_bDpT10_ENKUlT_T0_E_clISt17integral_constantIbLb1EES1T_IbLb0EEEEDaS1P_S1Q_EUlS1P_E_NS1_11comp_targetILNS1_3genE3ELNS1_11target_archE908ELNS1_3gpuE7ELNS1_3repE0EEENS1_30default_config_static_selectorELNS0_4arch9wavefront6targetE1EEEvS12_,comdat
.Lfunc_end1174:
	.size	_ZN7rocprim17ROCPRIM_400000_NS6detail17trampoline_kernelINS0_13select_configILj256ELj13ELNS0_17block_load_methodE3ELS4_3ELS4_3ELNS0_20block_scan_algorithmE0ELj4294967295EEENS1_25partition_config_selectorILNS1_17partition_subalgoE4EjNS0_10empty_typeEbEEZZNS1_14partition_implILS8_4ELb0ES6_15HIP_vector_typeIjLj2EENS0_17counting_iteratorIjlEEPS9_SG_NS0_5tupleIJPjSI_NS0_16reverse_iteratorISI_EEEEENSH_IJSG_SG_SG_EEES9_SI_JZNS1_25segmented_radix_sort_implINS0_14default_configELb0EPKdPdPKlPlN2at6native12_GLOBAL__N_18offset_tEEE10hipError_tPvRmT1_PNSt15iterator_traitsIS12_E10value_typeET2_T3_PNS13_IS18_E10value_typeET4_jRbjT5_S1E_jjP12ihipStream_tbEUljE_ZNSN_ISO_Lb0ESQ_SR_ST_SU_SY_EESZ_S10_S11_S12_S16_S17_S18_S1B_S1C_jS1D_jS1E_S1E_jjS1G_bEUljE0_EEESZ_S10_S11_S18_S1C_S1E_T6_T7_T9_mT8_S1G_bDpT10_ENKUlT_T0_E_clISt17integral_constantIbLb1EES1T_IbLb0EEEEDaS1P_S1Q_EUlS1P_E_NS1_11comp_targetILNS1_3genE3ELNS1_11target_archE908ELNS1_3gpuE7ELNS1_3repE0EEENS1_30default_config_static_selectorELNS0_4arch9wavefront6targetE1EEEvS12_, .Lfunc_end1174-_ZN7rocprim17ROCPRIM_400000_NS6detail17trampoline_kernelINS0_13select_configILj256ELj13ELNS0_17block_load_methodE3ELS4_3ELS4_3ELNS0_20block_scan_algorithmE0ELj4294967295EEENS1_25partition_config_selectorILNS1_17partition_subalgoE4EjNS0_10empty_typeEbEEZZNS1_14partition_implILS8_4ELb0ES6_15HIP_vector_typeIjLj2EENS0_17counting_iteratorIjlEEPS9_SG_NS0_5tupleIJPjSI_NS0_16reverse_iteratorISI_EEEEENSH_IJSG_SG_SG_EEES9_SI_JZNS1_25segmented_radix_sort_implINS0_14default_configELb0EPKdPdPKlPlN2at6native12_GLOBAL__N_18offset_tEEE10hipError_tPvRmT1_PNSt15iterator_traitsIS12_E10value_typeET2_T3_PNS13_IS18_E10value_typeET4_jRbjT5_S1E_jjP12ihipStream_tbEUljE_ZNSN_ISO_Lb0ESQ_SR_ST_SU_SY_EESZ_S10_S11_S12_S16_S17_S18_S1B_S1C_jS1D_jS1E_S1E_jjS1G_bEUljE0_EEESZ_S10_S11_S18_S1C_S1E_T6_T7_T9_mT8_S1G_bDpT10_ENKUlT_T0_E_clISt17integral_constantIbLb1EES1T_IbLb0EEEEDaS1P_S1Q_EUlS1P_E_NS1_11comp_targetILNS1_3genE3ELNS1_11target_archE908ELNS1_3gpuE7ELNS1_3repE0EEENS1_30default_config_static_selectorELNS0_4arch9wavefront6targetE1EEEvS12_
                                        ; -- End function
	.section	.AMDGPU.csdata,"",@progbits
; Kernel info:
; codeLenInByte = 0
; NumSgprs: 4
; NumVgprs: 0
; NumAgprs: 0
; TotalNumVgprs: 0
; ScratchSize: 0
; MemoryBound: 0
; FloatMode: 240
; IeeeMode: 1
; LDSByteSize: 0 bytes/workgroup (compile time only)
; SGPRBlocks: 0
; VGPRBlocks: 0
; NumSGPRsForWavesPerEU: 4
; NumVGPRsForWavesPerEU: 1
; AccumOffset: 4
; Occupancy: 8
; WaveLimiterHint : 0
; COMPUTE_PGM_RSRC2:SCRATCH_EN: 0
; COMPUTE_PGM_RSRC2:USER_SGPR: 6
; COMPUTE_PGM_RSRC2:TRAP_HANDLER: 0
; COMPUTE_PGM_RSRC2:TGID_X_EN: 1
; COMPUTE_PGM_RSRC2:TGID_Y_EN: 0
; COMPUTE_PGM_RSRC2:TGID_Z_EN: 0
; COMPUTE_PGM_RSRC2:TIDIG_COMP_CNT: 0
; COMPUTE_PGM_RSRC3_GFX90A:ACCUM_OFFSET: 0
; COMPUTE_PGM_RSRC3_GFX90A:TG_SPLIT: 0
	.section	.text._ZN7rocprim17ROCPRIM_400000_NS6detail17trampoline_kernelINS0_13select_configILj256ELj13ELNS0_17block_load_methodE3ELS4_3ELS4_3ELNS0_20block_scan_algorithmE0ELj4294967295EEENS1_25partition_config_selectorILNS1_17partition_subalgoE4EjNS0_10empty_typeEbEEZZNS1_14partition_implILS8_4ELb0ES6_15HIP_vector_typeIjLj2EENS0_17counting_iteratorIjlEEPS9_SG_NS0_5tupleIJPjSI_NS0_16reverse_iteratorISI_EEEEENSH_IJSG_SG_SG_EEES9_SI_JZNS1_25segmented_radix_sort_implINS0_14default_configELb0EPKdPdPKlPlN2at6native12_GLOBAL__N_18offset_tEEE10hipError_tPvRmT1_PNSt15iterator_traitsIS12_E10value_typeET2_T3_PNS13_IS18_E10value_typeET4_jRbjT5_S1E_jjP12ihipStream_tbEUljE_ZNSN_ISO_Lb0ESQ_SR_ST_SU_SY_EESZ_S10_S11_S12_S16_S17_S18_S1B_S1C_jS1D_jS1E_S1E_jjS1G_bEUljE0_EEESZ_S10_S11_S18_S1C_S1E_T6_T7_T9_mT8_S1G_bDpT10_ENKUlT_T0_E_clISt17integral_constantIbLb1EES1T_IbLb0EEEEDaS1P_S1Q_EUlS1P_E_NS1_11comp_targetILNS1_3genE2ELNS1_11target_archE906ELNS1_3gpuE6ELNS1_3repE0EEENS1_30default_config_static_selectorELNS0_4arch9wavefront6targetE1EEEvS12_,"axG",@progbits,_ZN7rocprim17ROCPRIM_400000_NS6detail17trampoline_kernelINS0_13select_configILj256ELj13ELNS0_17block_load_methodE3ELS4_3ELS4_3ELNS0_20block_scan_algorithmE0ELj4294967295EEENS1_25partition_config_selectorILNS1_17partition_subalgoE4EjNS0_10empty_typeEbEEZZNS1_14partition_implILS8_4ELb0ES6_15HIP_vector_typeIjLj2EENS0_17counting_iteratorIjlEEPS9_SG_NS0_5tupleIJPjSI_NS0_16reverse_iteratorISI_EEEEENSH_IJSG_SG_SG_EEES9_SI_JZNS1_25segmented_radix_sort_implINS0_14default_configELb0EPKdPdPKlPlN2at6native12_GLOBAL__N_18offset_tEEE10hipError_tPvRmT1_PNSt15iterator_traitsIS12_E10value_typeET2_T3_PNS13_IS18_E10value_typeET4_jRbjT5_S1E_jjP12ihipStream_tbEUljE_ZNSN_ISO_Lb0ESQ_SR_ST_SU_SY_EESZ_S10_S11_S12_S16_S17_S18_S1B_S1C_jS1D_jS1E_S1E_jjS1G_bEUljE0_EEESZ_S10_S11_S18_S1C_S1E_T6_T7_T9_mT8_S1G_bDpT10_ENKUlT_T0_E_clISt17integral_constantIbLb1EES1T_IbLb0EEEEDaS1P_S1Q_EUlS1P_E_NS1_11comp_targetILNS1_3genE2ELNS1_11target_archE906ELNS1_3gpuE6ELNS1_3repE0EEENS1_30default_config_static_selectorELNS0_4arch9wavefront6targetE1EEEvS12_,comdat
	.globl	_ZN7rocprim17ROCPRIM_400000_NS6detail17trampoline_kernelINS0_13select_configILj256ELj13ELNS0_17block_load_methodE3ELS4_3ELS4_3ELNS0_20block_scan_algorithmE0ELj4294967295EEENS1_25partition_config_selectorILNS1_17partition_subalgoE4EjNS0_10empty_typeEbEEZZNS1_14partition_implILS8_4ELb0ES6_15HIP_vector_typeIjLj2EENS0_17counting_iteratorIjlEEPS9_SG_NS0_5tupleIJPjSI_NS0_16reverse_iteratorISI_EEEEENSH_IJSG_SG_SG_EEES9_SI_JZNS1_25segmented_radix_sort_implINS0_14default_configELb0EPKdPdPKlPlN2at6native12_GLOBAL__N_18offset_tEEE10hipError_tPvRmT1_PNSt15iterator_traitsIS12_E10value_typeET2_T3_PNS13_IS18_E10value_typeET4_jRbjT5_S1E_jjP12ihipStream_tbEUljE_ZNSN_ISO_Lb0ESQ_SR_ST_SU_SY_EESZ_S10_S11_S12_S16_S17_S18_S1B_S1C_jS1D_jS1E_S1E_jjS1G_bEUljE0_EEESZ_S10_S11_S18_S1C_S1E_T6_T7_T9_mT8_S1G_bDpT10_ENKUlT_T0_E_clISt17integral_constantIbLb1EES1T_IbLb0EEEEDaS1P_S1Q_EUlS1P_E_NS1_11comp_targetILNS1_3genE2ELNS1_11target_archE906ELNS1_3gpuE6ELNS1_3repE0EEENS1_30default_config_static_selectorELNS0_4arch9wavefront6targetE1EEEvS12_ ; -- Begin function _ZN7rocprim17ROCPRIM_400000_NS6detail17trampoline_kernelINS0_13select_configILj256ELj13ELNS0_17block_load_methodE3ELS4_3ELS4_3ELNS0_20block_scan_algorithmE0ELj4294967295EEENS1_25partition_config_selectorILNS1_17partition_subalgoE4EjNS0_10empty_typeEbEEZZNS1_14partition_implILS8_4ELb0ES6_15HIP_vector_typeIjLj2EENS0_17counting_iteratorIjlEEPS9_SG_NS0_5tupleIJPjSI_NS0_16reverse_iteratorISI_EEEEENSH_IJSG_SG_SG_EEES9_SI_JZNS1_25segmented_radix_sort_implINS0_14default_configELb0EPKdPdPKlPlN2at6native12_GLOBAL__N_18offset_tEEE10hipError_tPvRmT1_PNSt15iterator_traitsIS12_E10value_typeET2_T3_PNS13_IS18_E10value_typeET4_jRbjT5_S1E_jjP12ihipStream_tbEUljE_ZNSN_ISO_Lb0ESQ_SR_ST_SU_SY_EESZ_S10_S11_S12_S16_S17_S18_S1B_S1C_jS1D_jS1E_S1E_jjS1G_bEUljE0_EEESZ_S10_S11_S18_S1C_S1E_T6_T7_T9_mT8_S1G_bDpT10_ENKUlT_T0_E_clISt17integral_constantIbLb1EES1T_IbLb0EEEEDaS1P_S1Q_EUlS1P_E_NS1_11comp_targetILNS1_3genE2ELNS1_11target_archE906ELNS1_3gpuE6ELNS1_3repE0EEENS1_30default_config_static_selectorELNS0_4arch9wavefront6targetE1EEEvS12_
	.p2align	8
	.type	_ZN7rocprim17ROCPRIM_400000_NS6detail17trampoline_kernelINS0_13select_configILj256ELj13ELNS0_17block_load_methodE3ELS4_3ELS4_3ELNS0_20block_scan_algorithmE0ELj4294967295EEENS1_25partition_config_selectorILNS1_17partition_subalgoE4EjNS0_10empty_typeEbEEZZNS1_14partition_implILS8_4ELb0ES6_15HIP_vector_typeIjLj2EENS0_17counting_iteratorIjlEEPS9_SG_NS0_5tupleIJPjSI_NS0_16reverse_iteratorISI_EEEEENSH_IJSG_SG_SG_EEES9_SI_JZNS1_25segmented_radix_sort_implINS0_14default_configELb0EPKdPdPKlPlN2at6native12_GLOBAL__N_18offset_tEEE10hipError_tPvRmT1_PNSt15iterator_traitsIS12_E10value_typeET2_T3_PNS13_IS18_E10value_typeET4_jRbjT5_S1E_jjP12ihipStream_tbEUljE_ZNSN_ISO_Lb0ESQ_SR_ST_SU_SY_EESZ_S10_S11_S12_S16_S17_S18_S1B_S1C_jS1D_jS1E_S1E_jjS1G_bEUljE0_EEESZ_S10_S11_S18_S1C_S1E_T6_T7_T9_mT8_S1G_bDpT10_ENKUlT_T0_E_clISt17integral_constantIbLb1EES1T_IbLb0EEEEDaS1P_S1Q_EUlS1P_E_NS1_11comp_targetILNS1_3genE2ELNS1_11target_archE906ELNS1_3gpuE6ELNS1_3repE0EEENS1_30default_config_static_selectorELNS0_4arch9wavefront6targetE1EEEvS12_,@function
_ZN7rocprim17ROCPRIM_400000_NS6detail17trampoline_kernelINS0_13select_configILj256ELj13ELNS0_17block_load_methodE3ELS4_3ELS4_3ELNS0_20block_scan_algorithmE0ELj4294967295EEENS1_25partition_config_selectorILNS1_17partition_subalgoE4EjNS0_10empty_typeEbEEZZNS1_14partition_implILS8_4ELb0ES6_15HIP_vector_typeIjLj2EENS0_17counting_iteratorIjlEEPS9_SG_NS0_5tupleIJPjSI_NS0_16reverse_iteratorISI_EEEEENSH_IJSG_SG_SG_EEES9_SI_JZNS1_25segmented_radix_sort_implINS0_14default_configELb0EPKdPdPKlPlN2at6native12_GLOBAL__N_18offset_tEEE10hipError_tPvRmT1_PNSt15iterator_traitsIS12_E10value_typeET2_T3_PNS13_IS18_E10value_typeET4_jRbjT5_S1E_jjP12ihipStream_tbEUljE_ZNSN_ISO_Lb0ESQ_SR_ST_SU_SY_EESZ_S10_S11_S12_S16_S17_S18_S1B_S1C_jS1D_jS1E_S1E_jjS1G_bEUljE0_EEESZ_S10_S11_S18_S1C_S1E_T6_T7_T9_mT8_S1G_bDpT10_ENKUlT_T0_E_clISt17integral_constantIbLb1EES1T_IbLb0EEEEDaS1P_S1Q_EUlS1P_E_NS1_11comp_targetILNS1_3genE2ELNS1_11target_archE906ELNS1_3gpuE6ELNS1_3repE0EEENS1_30default_config_static_selectorELNS0_4arch9wavefront6targetE1EEEvS12_: ; @_ZN7rocprim17ROCPRIM_400000_NS6detail17trampoline_kernelINS0_13select_configILj256ELj13ELNS0_17block_load_methodE3ELS4_3ELS4_3ELNS0_20block_scan_algorithmE0ELj4294967295EEENS1_25partition_config_selectorILNS1_17partition_subalgoE4EjNS0_10empty_typeEbEEZZNS1_14partition_implILS8_4ELb0ES6_15HIP_vector_typeIjLj2EENS0_17counting_iteratorIjlEEPS9_SG_NS0_5tupleIJPjSI_NS0_16reverse_iteratorISI_EEEEENSH_IJSG_SG_SG_EEES9_SI_JZNS1_25segmented_radix_sort_implINS0_14default_configELb0EPKdPdPKlPlN2at6native12_GLOBAL__N_18offset_tEEE10hipError_tPvRmT1_PNSt15iterator_traitsIS12_E10value_typeET2_T3_PNS13_IS18_E10value_typeET4_jRbjT5_S1E_jjP12ihipStream_tbEUljE_ZNSN_ISO_Lb0ESQ_SR_ST_SU_SY_EESZ_S10_S11_S12_S16_S17_S18_S1B_S1C_jS1D_jS1E_S1E_jjS1G_bEUljE0_EEESZ_S10_S11_S18_S1C_S1E_T6_T7_T9_mT8_S1G_bDpT10_ENKUlT_T0_E_clISt17integral_constantIbLb1EES1T_IbLb0EEEEDaS1P_S1Q_EUlS1P_E_NS1_11comp_targetILNS1_3genE2ELNS1_11target_archE906ELNS1_3gpuE6ELNS1_3repE0EEENS1_30default_config_static_selectorELNS0_4arch9wavefront6targetE1EEEvS12_
; %bb.0:
	.section	.rodata,"a",@progbits
	.p2align	6, 0x0
	.amdhsa_kernel _ZN7rocprim17ROCPRIM_400000_NS6detail17trampoline_kernelINS0_13select_configILj256ELj13ELNS0_17block_load_methodE3ELS4_3ELS4_3ELNS0_20block_scan_algorithmE0ELj4294967295EEENS1_25partition_config_selectorILNS1_17partition_subalgoE4EjNS0_10empty_typeEbEEZZNS1_14partition_implILS8_4ELb0ES6_15HIP_vector_typeIjLj2EENS0_17counting_iteratorIjlEEPS9_SG_NS0_5tupleIJPjSI_NS0_16reverse_iteratorISI_EEEEENSH_IJSG_SG_SG_EEES9_SI_JZNS1_25segmented_radix_sort_implINS0_14default_configELb0EPKdPdPKlPlN2at6native12_GLOBAL__N_18offset_tEEE10hipError_tPvRmT1_PNSt15iterator_traitsIS12_E10value_typeET2_T3_PNS13_IS18_E10value_typeET4_jRbjT5_S1E_jjP12ihipStream_tbEUljE_ZNSN_ISO_Lb0ESQ_SR_ST_SU_SY_EESZ_S10_S11_S12_S16_S17_S18_S1B_S1C_jS1D_jS1E_S1E_jjS1G_bEUljE0_EEESZ_S10_S11_S18_S1C_S1E_T6_T7_T9_mT8_S1G_bDpT10_ENKUlT_T0_E_clISt17integral_constantIbLb1EES1T_IbLb0EEEEDaS1P_S1Q_EUlS1P_E_NS1_11comp_targetILNS1_3genE2ELNS1_11target_archE906ELNS1_3gpuE6ELNS1_3repE0EEENS1_30default_config_static_selectorELNS0_4arch9wavefront6targetE1EEEvS12_
		.amdhsa_group_segment_fixed_size 0
		.amdhsa_private_segment_fixed_size 0
		.amdhsa_kernarg_size 176
		.amdhsa_user_sgpr_count 6
		.amdhsa_user_sgpr_private_segment_buffer 1
		.amdhsa_user_sgpr_dispatch_ptr 0
		.amdhsa_user_sgpr_queue_ptr 0
		.amdhsa_user_sgpr_kernarg_segment_ptr 1
		.amdhsa_user_sgpr_dispatch_id 0
		.amdhsa_user_sgpr_flat_scratch_init 0
		.amdhsa_user_sgpr_kernarg_preload_length 0
		.amdhsa_user_sgpr_kernarg_preload_offset 0
		.amdhsa_user_sgpr_private_segment_size 0
		.amdhsa_uses_dynamic_stack 0
		.amdhsa_system_sgpr_private_segment_wavefront_offset 0
		.amdhsa_system_sgpr_workgroup_id_x 1
		.amdhsa_system_sgpr_workgroup_id_y 0
		.amdhsa_system_sgpr_workgroup_id_z 0
		.amdhsa_system_sgpr_workgroup_info 0
		.amdhsa_system_vgpr_workitem_id 0
		.amdhsa_next_free_vgpr 1
		.amdhsa_next_free_sgpr 0
		.amdhsa_accum_offset 4
		.amdhsa_reserve_vcc 0
		.amdhsa_reserve_flat_scratch 0
		.amdhsa_float_round_mode_32 0
		.amdhsa_float_round_mode_16_64 0
		.amdhsa_float_denorm_mode_32 3
		.amdhsa_float_denorm_mode_16_64 3
		.amdhsa_dx10_clamp 1
		.amdhsa_ieee_mode 1
		.amdhsa_fp16_overflow 0
		.amdhsa_tg_split 0
		.amdhsa_exception_fp_ieee_invalid_op 0
		.amdhsa_exception_fp_denorm_src 0
		.amdhsa_exception_fp_ieee_div_zero 0
		.amdhsa_exception_fp_ieee_overflow 0
		.amdhsa_exception_fp_ieee_underflow 0
		.amdhsa_exception_fp_ieee_inexact 0
		.amdhsa_exception_int_div_zero 0
	.end_amdhsa_kernel
	.section	.text._ZN7rocprim17ROCPRIM_400000_NS6detail17trampoline_kernelINS0_13select_configILj256ELj13ELNS0_17block_load_methodE3ELS4_3ELS4_3ELNS0_20block_scan_algorithmE0ELj4294967295EEENS1_25partition_config_selectorILNS1_17partition_subalgoE4EjNS0_10empty_typeEbEEZZNS1_14partition_implILS8_4ELb0ES6_15HIP_vector_typeIjLj2EENS0_17counting_iteratorIjlEEPS9_SG_NS0_5tupleIJPjSI_NS0_16reverse_iteratorISI_EEEEENSH_IJSG_SG_SG_EEES9_SI_JZNS1_25segmented_radix_sort_implINS0_14default_configELb0EPKdPdPKlPlN2at6native12_GLOBAL__N_18offset_tEEE10hipError_tPvRmT1_PNSt15iterator_traitsIS12_E10value_typeET2_T3_PNS13_IS18_E10value_typeET4_jRbjT5_S1E_jjP12ihipStream_tbEUljE_ZNSN_ISO_Lb0ESQ_SR_ST_SU_SY_EESZ_S10_S11_S12_S16_S17_S18_S1B_S1C_jS1D_jS1E_S1E_jjS1G_bEUljE0_EEESZ_S10_S11_S18_S1C_S1E_T6_T7_T9_mT8_S1G_bDpT10_ENKUlT_T0_E_clISt17integral_constantIbLb1EES1T_IbLb0EEEEDaS1P_S1Q_EUlS1P_E_NS1_11comp_targetILNS1_3genE2ELNS1_11target_archE906ELNS1_3gpuE6ELNS1_3repE0EEENS1_30default_config_static_selectorELNS0_4arch9wavefront6targetE1EEEvS12_,"axG",@progbits,_ZN7rocprim17ROCPRIM_400000_NS6detail17trampoline_kernelINS0_13select_configILj256ELj13ELNS0_17block_load_methodE3ELS4_3ELS4_3ELNS0_20block_scan_algorithmE0ELj4294967295EEENS1_25partition_config_selectorILNS1_17partition_subalgoE4EjNS0_10empty_typeEbEEZZNS1_14partition_implILS8_4ELb0ES6_15HIP_vector_typeIjLj2EENS0_17counting_iteratorIjlEEPS9_SG_NS0_5tupleIJPjSI_NS0_16reverse_iteratorISI_EEEEENSH_IJSG_SG_SG_EEES9_SI_JZNS1_25segmented_radix_sort_implINS0_14default_configELb0EPKdPdPKlPlN2at6native12_GLOBAL__N_18offset_tEEE10hipError_tPvRmT1_PNSt15iterator_traitsIS12_E10value_typeET2_T3_PNS13_IS18_E10value_typeET4_jRbjT5_S1E_jjP12ihipStream_tbEUljE_ZNSN_ISO_Lb0ESQ_SR_ST_SU_SY_EESZ_S10_S11_S12_S16_S17_S18_S1B_S1C_jS1D_jS1E_S1E_jjS1G_bEUljE0_EEESZ_S10_S11_S18_S1C_S1E_T6_T7_T9_mT8_S1G_bDpT10_ENKUlT_T0_E_clISt17integral_constantIbLb1EES1T_IbLb0EEEEDaS1P_S1Q_EUlS1P_E_NS1_11comp_targetILNS1_3genE2ELNS1_11target_archE906ELNS1_3gpuE6ELNS1_3repE0EEENS1_30default_config_static_selectorELNS0_4arch9wavefront6targetE1EEEvS12_,comdat
.Lfunc_end1175:
	.size	_ZN7rocprim17ROCPRIM_400000_NS6detail17trampoline_kernelINS0_13select_configILj256ELj13ELNS0_17block_load_methodE3ELS4_3ELS4_3ELNS0_20block_scan_algorithmE0ELj4294967295EEENS1_25partition_config_selectorILNS1_17partition_subalgoE4EjNS0_10empty_typeEbEEZZNS1_14partition_implILS8_4ELb0ES6_15HIP_vector_typeIjLj2EENS0_17counting_iteratorIjlEEPS9_SG_NS0_5tupleIJPjSI_NS0_16reverse_iteratorISI_EEEEENSH_IJSG_SG_SG_EEES9_SI_JZNS1_25segmented_radix_sort_implINS0_14default_configELb0EPKdPdPKlPlN2at6native12_GLOBAL__N_18offset_tEEE10hipError_tPvRmT1_PNSt15iterator_traitsIS12_E10value_typeET2_T3_PNS13_IS18_E10value_typeET4_jRbjT5_S1E_jjP12ihipStream_tbEUljE_ZNSN_ISO_Lb0ESQ_SR_ST_SU_SY_EESZ_S10_S11_S12_S16_S17_S18_S1B_S1C_jS1D_jS1E_S1E_jjS1G_bEUljE0_EEESZ_S10_S11_S18_S1C_S1E_T6_T7_T9_mT8_S1G_bDpT10_ENKUlT_T0_E_clISt17integral_constantIbLb1EES1T_IbLb0EEEEDaS1P_S1Q_EUlS1P_E_NS1_11comp_targetILNS1_3genE2ELNS1_11target_archE906ELNS1_3gpuE6ELNS1_3repE0EEENS1_30default_config_static_selectorELNS0_4arch9wavefront6targetE1EEEvS12_, .Lfunc_end1175-_ZN7rocprim17ROCPRIM_400000_NS6detail17trampoline_kernelINS0_13select_configILj256ELj13ELNS0_17block_load_methodE3ELS4_3ELS4_3ELNS0_20block_scan_algorithmE0ELj4294967295EEENS1_25partition_config_selectorILNS1_17partition_subalgoE4EjNS0_10empty_typeEbEEZZNS1_14partition_implILS8_4ELb0ES6_15HIP_vector_typeIjLj2EENS0_17counting_iteratorIjlEEPS9_SG_NS0_5tupleIJPjSI_NS0_16reverse_iteratorISI_EEEEENSH_IJSG_SG_SG_EEES9_SI_JZNS1_25segmented_radix_sort_implINS0_14default_configELb0EPKdPdPKlPlN2at6native12_GLOBAL__N_18offset_tEEE10hipError_tPvRmT1_PNSt15iterator_traitsIS12_E10value_typeET2_T3_PNS13_IS18_E10value_typeET4_jRbjT5_S1E_jjP12ihipStream_tbEUljE_ZNSN_ISO_Lb0ESQ_SR_ST_SU_SY_EESZ_S10_S11_S12_S16_S17_S18_S1B_S1C_jS1D_jS1E_S1E_jjS1G_bEUljE0_EEESZ_S10_S11_S18_S1C_S1E_T6_T7_T9_mT8_S1G_bDpT10_ENKUlT_T0_E_clISt17integral_constantIbLb1EES1T_IbLb0EEEEDaS1P_S1Q_EUlS1P_E_NS1_11comp_targetILNS1_3genE2ELNS1_11target_archE906ELNS1_3gpuE6ELNS1_3repE0EEENS1_30default_config_static_selectorELNS0_4arch9wavefront6targetE1EEEvS12_
                                        ; -- End function
	.section	.AMDGPU.csdata,"",@progbits
; Kernel info:
; codeLenInByte = 0
; NumSgprs: 4
; NumVgprs: 0
; NumAgprs: 0
; TotalNumVgprs: 0
; ScratchSize: 0
; MemoryBound: 0
; FloatMode: 240
; IeeeMode: 1
; LDSByteSize: 0 bytes/workgroup (compile time only)
; SGPRBlocks: 0
; VGPRBlocks: 0
; NumSGPRsForWavesPerEU: 4
; NumVGPRsForWavesPerEU: 1
; AccumOffset: 4
; Occupancy: 8
; WaveLimiterHint : 0
; COMPUTE_PGM_RSRC2:SCRATCH_EN: 0
; COMPUTE_PGM_RSRC2:USER_SGPR: 6
; COMPUTE_PGM_RSRC2:TRAP_HANDLER: 0
; COMPUTE_PGM_RSRC2:TGID_X_EN: 1
; COMPUTE_PGM_RSRC2:TGID_Y_EN: 0
; COMPUTE_PGM_RSRC2:TGID_Z_EN: 0
; COMPUTE_PGM_RSRC2:TIDIG_COMP_CNT: 0
; COMPUTE_PGM_RSRC3_GFX90A:ACCUM_OFFSET: 0
; COMPUTE_PGM_RSRC3_GFX90A:TG_SPLIT: 0
	.section	.text._ZN7rocprim17ROCPRIM_400000_NS6detail17trampoline_kernelINS0_13select_configILj256ELj13ELNS0_17block_load_methodE3ELS4_3ELS4_3ELNS0_20block_scan_algorithmE0ELj4294967295EEENS1_25partition_config_selectorILNS1_17partition_subalgoE4EjNS0_10empty_typeEbEEZZNS1_14partition_implILS8_4ELb0ES6_15HIP_vector_typeIjLj2EENS0_17counting_iteratorIjlEEPS9_SG_NS0_5tupleIJPjSI_NS0_16reverse_iteratorISI_EEEEENSH_IJSG_SG_SG_EEES9_SI_JZNS1_25segmented_radix_sort_implINS0_14default_configELb0EPKdPdPKlPlN2at6native12_GLOBAL__N_18offset_tEEE10hipError_tPvRmT1_PNSt15iterator_traitsIS12_E10value_typeET2_T3_PNS13_IS18_E10value_typeET4_jRbjT5_S1E_jjP12ihipStream_tbEUljE_ZNSN_ISO_Lb0ESQ_SR_ST_SU_SY_EESZ_S10_S11_S12_S16_S17_S18_S1B_S1C_jS1D_jS1E_S1E_jjS1G_bEUljE0_EEESZ_S10_S11_S18_S1C_S1E_T6_T7_T9_mT8_S1G_bDpT10_ENKUlT_T0_E_clISt17integral_constantIbLb1EES1T_IbLb0EEEEDaS1P_S1Q_EUlS1P_E_NS1_11comp_targetILNS1_3genE10ELNS1_11target_archE1200ELNS1_3gpuE4ELNS1_3repE0EEENS1_30default_config_static_selectorELNS0_4arch9wavefront6targetE1EEEvS12_,"axG",@progbits,_ZN7rocprim17ROCPRIM_400000_NS6detail17trampoline_kernelINS0_13select_configILj256ELj13ELNS0_17block_load_methodE3ELS4_3ELS4_3ELNS0_20block_scan_algorithmE0ELj4294967295EEENS1_25partition_config_selectorILNS1_17partition_subalgoE4EjNS0_10empty_typeEbEEZZNS1_14partition_implILS8_4ELb0ES6_15HIP_vector_typeIjLj2EENS0_17counting_iteratorIjlEEPS9_SG_NS0_5tupleIJPjSI_NS0_16reverse_iteratorISI_EEEEENSH_IJSG_SG_SG_EEES9_SI_JZNS1_25segmented_radix_sort_implINS0_14default_configELb0EPKdPdPKlPlN2at6native12_GLOBAL__N_18offset_tEEE10hipError_tPvRmT1_PNSt15iterator_traitsIS12_E10value_typeET2_T3_PNS13_IS18_E10value_typeET4_jRbjT5_S1E_jjP12ihipStream_tbEUljE_ZNSN_ISO_Lb0ESQ_SR_ST_SU_SY_EESZ_S10_S11_S12_S16_S17_S18_S1B_S1C_jS1D_jS1E_S1E_jjS1G_bEUljE0_EEESZ_S10_S11_S18_S1C_S1E_T6_T7_T9_mT8_S1G_bDpT10_ENKUlT_T0_E_clISt17integral_constantIbLb1EES1T_IbLb0EEEEDaS1P_S1Q_EUlS1P_E_NS1_11comp_targetILNS1_3genE10ELNS1_11target_archE1200ELNS1_3gpuE4ELNS1_3repE0EEENS1_30default_config_static_selectorELNS0_4arch9wavefront6targetE1EEEvS12_,comdat
	.globl	_ZN7rocprim17ROCPRIM_400000_NS6detail17trampoline_kernelINS0_13select_configILj256ELj13ELNS0_17block_load_methodE3ELS4_3ELS4_3ELNS0_20block_scan_algorithmE0ELj4294967295EEENS1_25partition_config_selectorILNS1_17partition_subalgoE4EjNS0_10empty_typeEbEEZZNS1_14partition_implILS8_4ELb0ES6_15HIP_vector_typeIjLj2EENS0_17counting_iteratorIjlEEPS9_SG_NS0_5tupleIJPjSI_NS0_16reverse_iteratorISI_EEEEENSH_IJSG_SG_SG_EEES9_SI_JZNS1_25segmented_radix_sort_implINS0_14default_configELb0EPKdPdPKlPlN2at6native12_GLOBAL__N_18offset_tEEE10hipError_tPvRmT1_PNSt15iterator_traitsIS12_E10value_typeET2_T3_PNS13_IS18_E10value_typeET4_jRbjT5_S1E_jjP12ihipStream_tbEUljE_ZNSN_ISO_Lb0ESQ_SR_ST_SU_SY_EESZ_S10_S11_S12_S16_S17_S18_S1B_S1C_jS1D_jS1E_S1E_jjS1G_bEUljE0_EEESZ_S10_S11_S18_S1C_S1E_T6_T7_T9_mT8_S1G_bDpT10_ENKUlT_T0_E_clISt17integral_constantIbLb1EES1T_IbLb0EEEEDaS1P_S1Q_EUlS1P_E_NS1_11comp_targetILNS1_3genE10ELNS1_11target_archE1200ELNS1_3gpuE4ELNS1_3repE0EEENS1_30default_config_static_selectorELNS0_4arch9wavefront6targetE1EEEvS12_ ; -- Begin function _ZN7rocprim17ROCPRIM_400000_NS6detail17trampoline_kernelINS0_13select_configILj256ELj13ELNS0_17block_load_methodE3ELS4_3ELS4_3ELNS0_20block_scan_algorithmE0ELj4294967295EEENS1_25partition_config_selectorILNS1_17partition_subalgoE4EjNS0_10empty_typeEbEEZZNS1_14partition_implILS8_4ELb0ES6_15HIP_vector_typeIjLj2EENS0_17counting_iteratorIjlEEPS9_SG_NS0_5tupleIJPjSI_NS0_16reverse_iteratorISI_EEEEENSH_IJSG_SG_SG_EEES9_SI_JZNS1_25segmented_radix_sort_implINS0_14default_configELb0EPKdPdPKlPlN2at6native12_GLOBAL__N_18offset_tEEE10hipError_tPvRmT1_PNSt15iterator_traitsIS12_E10value_typeET2_T3_PNS13_IS18_E10value_typeET4_jRbjT5_S1E_jjP12ihipStream_tbEUljE_ZNSN_ISO_Lb0ESQ_SR_ST_SU_SY_EESZ_S10_S11_S12_S16_S17_S18_S1B_S1C_jS1D_jS1E_S1E_jjS1G_bEUljE0_EEESZ_S10_S11_S18_S1C_S1E_T6_T7_T9_mT8_S1G_bDpT10_ENKUlT_T0_E_clISt17integral_constantIbLb1EES1T_IbLb0EEEEDaS1P_S1Q_EUlS1P_E_NS1_11comp_targetILNS1_3genE10ELNS1_11target_archE1200ELNS1_3gpuE4ELNS1_3repE0EEENS1_30default_config_static_selectorELNS0_4arch9wavefront6targetE1EEEvS12_
	.p2align	8
	.type	_ZN7rocprim17ROCPRIM_400000_NS6detail17trampoline_kernelINS0_13select_configILj256ELj13ELNS0_17block_load_methodE3ELS4_3ELS4_3ELNS0_20block_scan_algorithmE0ELj4294967295EEENS1_25partition_config_selectorILNS1_17partition_subalgoE4EjNS0_10empty_typeEbEEZZNS1_14partition_implILS8_4ELb0ES6_15HIP_vector_typeIjLj2EENS0_17counting_iteratorIjlEEPS9_SG_NS0_5tupleIJPjSI_NS0_16reverse_iteratorISI_EEEEENSH_IJSG_SG_SG_EEES9_SI_JZNS1_25segmented_radix_sort_implINS0_14default_configELb0EPKdPdPKlPlN2at6native12_GLOBAL__N_18offset_tEEE10hipError_tPvRmT1_PNSt15iterator_traitsIS12_E10value_typeET2_T3_PNS13_IS18_E10value_typeET4_jRbjT5_S1E_jjP12ihipStream_tbEUljE_ZNSN_ISO_Lb0ESQ_SR_ST_SU_SY_EESZ_S10_S11_S12_S16_S17_S18_S1B_S1C_jS1D_jS1E_S1E_jjS1G_bEUljE0_EEESZ_S10_S11_S18_S1C_S1E_T6_T7_T9_mT8_S1G_bDpT10_ENKUlT_T0_E_clISt17integral_constantIbLb1EES1T_IbLb0EEEEDaS1P_S1Q_EUlS1P_E_NS1_11comp_targetILNS1_3genE10ELNS1_11target_archE1200ELNS1_3gpuE4ELNS1_3repE0EEENS1_30default_config_static_selectorELNS0_4arch9wavefront6targetE1EEEvS12_,@function
_ZN7rocprim17ROCPRIM_400000_NS6detail17trampoline_kernelINS0_13select_configILj256ELj13ELNS0_17block_load_methodE3ELS4_3ELS4_3ELNS0_20block_scan_algorithmE0ELj4294967295EEENS1_25partition_config_selectorILNS1_17partition_subalgoE4EjNS0_10empty_typeEbEEZZNS1_14partition_implILS8_4ELb0ES6_15HIP_vector_typeIjLj2EENS0_17counting_iteratorIjlEEPS9_SG_NS0_5tupleIJPjSI_NS0_16reverse_iteratorISI_EEEEENSH_IJSG_SG_SG_EEES9_SI_JZNS1_25segmented_radix_sort_implINS0_14default_configELb0EPKdPdPKlPlN2at6native12_GLOBAL__N_18offset_tEEE10hipError_tPvRmT1_PNSt15iterator_traitsIS12_E10value_typeET2_T3_PNS13_IS18_E10value_typeET4_jRbjT5_S1E_jjP12ihipStream_tbEUljE_ZNSN_ISO_Lb0ESQ_SR_ST_SU_SY_EESZ_S10_S11_S12_S16_S17_S18_S1B_S1C_jS1D_jS1E_S1E_jjS1G_bEUljE0_EEESZ_S10_S11_S18_S1C_S1E_T6_T7_T9_mT8_S1G_bDpT10_ENKUlT_T0_E_clISt17integral_constantIbLb1EES1T_IbLb0EEEEDaS1P_S1Q_EUlS1P_E_NS1_11comp_targetILNS1_3genE10ELNS1_11target_archE1200ELNS1_3gpuE4ELNS1_3repE0EEENS1_30default_config_static_selectorELNS0_4arch9wavefront6targetE1EEEvS12_: ; @_ZN7rocprim17ROCPRIM_400000_NS6detail17trampoline_kernelINS0_13select_configILj256ELj13ELNS0_17block_load_methodE3ELS4_3ELS4_3ELNS0_20block_scan_algorithmE0ELj4294967295EEENS1_25partition_config_selectorILNS1_17partition_subalgoE4EjNS0_10empty_typeEbEEZZNS1_14partition_implILS8_4ELb0ES6_15HIP_vector_typeIjLj2EENS0_17counting_iteratorIjlEEPS9_SG_NS0_5tupleIJPjSI_NS0_16reverse_iteratorISI_EEEEENSH_IJSG_SG_SG_EEES9_SI_JZNS1_25segmented_radix_sort_implINS0_14default_configELb0EPKdPdPKlPlN2at6native12_GLOBAL__N_18offset_tEEE10hipError_tPvRmT1_PNSt15iterator_traitsIS12_E10value_typeET2_T3_PNS13_IS18_E10value_typeET4_jRbjT5_S1E_jjP12ihipStream_tbEUljE_ZNSN_ISO_Lb0ESQ_SR_ST_SU_SY_EESZ_S10_S11_S12_S16_S17_S18_S1B_S1C_jS1D_jS1E_S1E_jjS1G_bEUljE0_EEESZ_S10_S11_S18_S1C_S1E_T6_T7_T9_mT8_S1G_bDpT10_ENKUlT_T0_E_clISt17integral_constantIbLb1EES1T_IbLb0EEEEDaS1P_S1Q_EUlS1P_E_NS1_11comp_targetILNS1_3genE10ELNS1_11target_archE1200ELNS1_3gpuE4ELNS1_3repE0EEENS1_30default_config_static_selectorELNS0_4arch9wavefront6targetE1EEEvS12_
; %bb.0:
	.section	.rodata,"a",@progbits
	.p2align	6, 0x0
	.amdhsa_kernel _ZN7rocprim17ROCPRIM_400000_NS6detail17trampoline_kernelINS0_13select_configILj256ELj13ELNS0_17block_load_methodE3ELS4_3ELS4_3ELNS0_20block_scan_algorithmE0ELj4294967295EEENS1_25partition_config_selectorILNS1_17partition_subalgoE4EjNS0_10empty_typeEbEEZZNS1_14partition_implILS8_4ELb0ES6_15HIP_vector_typeIjLj2EENS0_17counting_iteratorIjlEEPS9_SG_NS0_5tupleIJPjSI_NS0_16reverse_iteratorISI_EEEEENSH_IJSG_SG_SG_EEES9_SI_JZNS1_25segmented_radix_sort_implINS0_14default_configELb0EPKdPdPKlPlN2at6native12_GLOBAL__N_18offset_tEEE10hipError_tPvRmT1_PNSt15iterator_traitsIS12_E10value_typeET2_T3_PNS13_IS18_E10value_typeET4_jRbjT5_S1E_jjP12ihipStream_tbEUljE_ZNSN_ISO_Lb0ESQ_SR_ST_SU_SY_EESZ_S10_S11_S12_S16_S17_S18_S1B_S1C_jS1D_jS1E_S1E_jjS1G_bEUljE0_EEESZ_S10_S11_S18_S1C_S1E_T6_T7_T9_mT8_S1G_bDpT10_ENKUlT_T0_E_clISt17integral_constantIbLb1EES1T_IbLb0EEEEDaS1P_S1Q_EUlS1P_E_NS1_11comp_targetILNS1_3genE10ELNS1_11target_archE1200ELNS1_3gpuE4ELNS1_3repE0EEENS1_30default_config_static_selectorELNS0_4arch9wavefront6targetE1EEEvS12_
		.amdhsa_group_segment_fixed_size 0
		.amdhsa_private_segment_fixed_size 0
		.amdhsa_kernarg_size 176
		.amdhsa_user_sgpr_count 6
		.amdhsa_user_sgpr_private_segment_buffer 1
		.amdhsa_user_sgpr_dispatch_ptr 0
		.amdhsa_user_sgpr_queue_ptr 0
		.amdhsa_user_sgpr_kernarg_segment_ptr 1
		.amdhsa_user_sgpr_dispatch_id 0
		.amdhsa_user_sgpr_flat_scratch_init 0
		.amdhsa_user_sgpr_kernarg_preload_length 0
		.amdhsa_user_sgpr_kernarg_preload_offset 0
		.amdhsa_user_sgpr_private_segment_size 0
		.amdhsa_uses_dynamic_stack 0
		.amdhsa_system_sgpr_private_segment_wavefront_offset 0
		.amdhsa_system_sgpr_workgroup_id_x 1
		.amdhsa_system_sgpr_workgroup_id_y 0
		.amdhsa_system_sgpr_workgroup_id_z 0
		.amdhsa_system_sgpr_workgroup_info 0
		.amdhsa_system_vgpr_workitem_id 0
		.amdhsa_next_free_vgpr 1
		.amdhsa_next_free_sgpr 0
		.amdhsa_accum_offset 4
		.amdhsa_reserve_vcc 0
		.amdhsa_reserve_flat_scratch 0
		.amdhsa_float_round_mode_32 0
		.amdhsa_float_round_mode_16_64 0
		.amdhsa_float_denorm_mode_32 3
		.amdhsa_float_denorm_mode_16_64 3
		.amdhsa_dx10_clamp 1
		.amdhsa_ieee_mode 1
		.amdhsa_fp16_overflow 0
		.amdhsa_tg_split 0
		.amdhsa_exception_fp_ieee_invalid_op 0
		.amdhsa_exception_fp_denorm_src 0
		.amdhsa_exception_fp_ieee_div_zero 0
		.amdhsa_exception_fp_ieee_overflow 0
		.amdhsa_exception_fp_ieee_underflow 0
		.amdhsa_exception_fp_ieee_inexact 0
		.amdhsa_exception_int_div_zero 0
	.end_amdhsa_kernel
	.section	.text._ZN7rocprim17ROCPRIM_400000_NS6detail17trampoline_kernelINS0_13select_configILj256ELj13ELNS0_17block_load_methodE3ELS4_3ELS4_3ELNS0_20block_scan_algorithmE0ELj4294967295EEENS1_25partition_config_selectorILNS1_17partition_subalgoE4EjNS0_10empty_typeEbEEZZNS1_14partition_implILS8_4ELb0ES6_15HIP_vector_typeIjLj2EENS0_17counting_iteratorIjlEEPS9_SG_NS0_5tupleIJPjSI_NS0_16reverse_iteratorISI_EEEEENSH_IJSG_SG_SG_EEES9_SI_JZNS1_25segmented_radix_sort_implINS0_14default_configELb0EPKdPdPKlPlN2at6native12_GLOBAL__N_18offset_tEEE10hipError_tPvRmT1_PNSt15iterator_traitsIS12_E10value_typeET2_T3_PNS13_IS18_E10value_typeET4_jRbjT5_S1E_jjP12ihipStream_tbEUljE_ZNSN_ISO_Lb0ESQ_SR_ST_SU_SY_EESZ_S10_S11_S12_S16_S17_S18_S1B_S1C_jS1D_jS1E_S1E_jjS1G_bEUljE0_EEESZ_S10_S11_S18_S1C_S1E_T6_T7_T9_mT8_S1G_bDpT10_ENKUlT_T0_E_clISt17integral_constantIbLb1EES1T_IbLb0EEEEDaS1P_S1Q_EUlS1P_E_NS1_11comp_targetILNS1_3genE10ELNS1_11target_archE1200ELNS1_3gpuE4ELNS1_3repE0EEENS1_30default_config_static_selectorELNS0_4arch9wavefront6targetE1EEEvS12_,"axG",@progbits,_ZN7rocprim17ROCPRIM_400000_NS6detail17trampoline_kernelINS0_13select_configILj256ELj13ELNS0_17block_load_methodE3ELS4_3ELS4_3ELNS0_20block_scan_algorithmE0ELj4294967295EEENS1_25partition_config_selectorILNS1_17partition_subalgoE4EjNS0_10empty_typeEbEEZZNS1_14partition_implILS8_4ELb0ES6_15HIP_vector_typeIjLj2EENS0_17counting_iteratorIjlEEPS9_SG_NS0_5tupleIJPjSI_NS0_16reverse_iteratorISI_EEEEENSH_IJSG_SG_SG_EEES9_SI_JZNS1_25segmented_radix_sort_implINS0_14default_configELb0EPKdPdPKlPlN2at6native12_GLOBAL__N_18offset_tEEE10hipError_tPvRmT1_PNSt15iterator_traitsIS12_E10value_typeET2_T3_PNS13_IS18_E10value_typeET4_jRbjT5_S1E_jjP12ihipStream_tbEUljE_ZNSN_ISO_Lb0ESQ_SR_ST_SU_SY_EESZ_S10_S11_S12_S16_S17_S18_S1B_S1C_jS1D_jS1E_S1E_jjS1G_bEUljE0_EEESZ_S10_S11_S18_S1C_S1E_T6_T7_T9_mT8_S1G_bDpT10_ENKUlT_T0_E_clISt17integral_constantIbLb1EES1T_IbLb0EEEEDaS1P_S1Q_EUlS1P_E_NS1_11comp_targetILNS1_3genE10ELNS1_11target_archE1200ELNS1_3gpuE4ELNS1_3repE0EEENS1_30default_config_static_selectorELNS0_4arch9wavefront6targetE1EEEvS12_,comdat
.Lfunc_end1176:
	.size	_ZN7rocprim17ROCPRIM_400000_NS6detail17trampoline_kernelINS0_13select_configILj256ELj13ELNS0_17block_load_methodE3ELS4_3ELS4_3ELNS0_20block_scan_algorithmE0ELj4294967295EEENS1_25partition_config_selectorILNS1_17partition_subalgoE4EjNS0_10empty_typeEbEEZZNS1_14partition_implILS8_4ELb0ES6_15HIP_vector_typeIjLj2EENS0_17counting_iteratorIjlEEPS9_SG_NS0_5tupleIJPjSI_NS0_16reverse_iteratorISI_EEEEENSH_IJSG_SG_SG_EEES9_SI_JZNS1_25segmented_radix_sort_implINS0_14default_configELb0EPKdPdPKlPlN2at6native12_GLOBAL__N_18offset_tEEE10hipError_tPvRmT1_PNSt15iterator_traitsIS12_E10value_typeET2_T3_PNS13_IS18_E10value_typeET4_jRbjT5_S1E_jjP12ihipStream_tbEUljE_ZNSN_ISO_Lb0ESQ_SR_ST_SU_SY_EESZ_S10_S11_S12_S16_S17_S18_S1B_S1C_jS1D_jS1E_S1E_jjS1G_bEUljE0_EEESZ_S10_S11_S18_S1C_S1E_T6_T7_T9_mT8_S1G_bDpT10_ENKUlT_T0_E_clISt17integral_constantIbLb1EES1T_IbLb0EEEEDaS1P_S1Q_EUlS1P_E_NS1_11comp_targetILNS1_3genE10ELNS1_11target_archE1200ELNS1_3gpuE4ELNS1_3repE0EEENS1_30default_config_static_selectorELNS0_4arch9wavefront6targetE1EEEvS12_, .Lfunc_end1176-_ZN7rocprim17ROCPRIM_400000_NS6detail17trampoline_kernelINS0_13select_configILj256ELj13ELNS0_17block_load_methodE3ELS4_3ELS4_3ELNS0_20block_scan_algorithmE0ELj4294967295EEENS1_25partition_config_selectorILNS1_17partition_subalgoE4EjNS0_10empty_typeEbEEZZNS1_14partition_implILS8_4ELb0ES6_15HIP_vector_typeIjLj2EENS0_17counting_iteratorIjlEEPS9_SG_NS0_5tupleIJPjSI_NS0_16reverse_iteratorISI_EEEEENSH_IJSG_SG_SG_EEES9_SI_JZNS1_25segmented_radix_sort_implINS0_14default_configELb0EPKdPdPKlPlN2at6native12_GLOBAL__N_18offset_tEEE10hipError_tPvRmT1_PNSt15iterator_traitsIS12_E10value_typeET2_T3_PNS13_IS18_E10value_typeET4_jRbjT5_S1E_jjP12ihipStream_tbEUljE_ZNSN_ISO_Lb0ESQ_SR_ST_SU_SY_EESZ_S10_S11_S12_S16_S17_S18_S1B_S1C_jS1D_jS1E_S1E_jjS1G_bEUljE0_EEESZ_S10_S11_S18_S1C_S1E_T6_T7_T9_mT8_S1G_bDpT10_ENKUlT_T0_E_clISt17integral_constantIbLb1EES1T_IbLb0EEEEDaS1P_S1Q_EUlS1P_E_NS1_11comp_targetILNS1_3genE10ELNS1_11target_archE1200ELNS1_3gpuE4ELNS1_3repE0EEENS1_30default_config_static_selectorELNS0_4arch9wavefront6targetE1EEEvS12_
                                        ; -- End function
	.section	.AMDGPU.csdata,"",@progbits
; Kernel info:
; codeLenInByte = 0
; NumSgprs: 4
; NumVgprs: 0
; NumAgprs: 0
; TotalNumVgprs: 0
; ScratchSize: 0
; MemoryBound: 0
; FloatMode: 240
; IeeeMode: 1
; LDSByteSize: 0 bytes/workgroup (compile time only)
; SGPRBlocks: 0
; VGPRBlocks: 0
; NumSGPRsForWavesPerEU: 4
; NumVGPRsForWavesPerEU: 1
; AccumOffset: 4
; Occupancy: 8
; WaveLimiterHint : 0
; COMPUTE_PGM_RSRC2:SCRATCH_EN: 0
; COMPUTE_PGM_RSRC2:USER_SGPR: 6
; COMPUTE_PGM_RSRC2:TRAP_HANDLER: 0
; COMPUTE_PGM_RSRC2:TGID_X_EN: 1
; COMPUTE_PGM_RSRC2:TGID_Y_EN: 0
; COMPUTE_PGM_RSRC2:TGID_Z_EN: 0
; COMPUTE_PGM_RSRC2:TIDIG_COMP_CNT: 0
; COMPUTE_PGM_RSRC3_GFX90A:ACCUM_OFFSET: 0
; COMPUTE_PGM_RSRC3_GFX90A:TG_SPLIT: 0
	.section	.text._ZN7rocprim17ROCPRIM_400000_NS6detail17trampoline_kernelINS0_13select_configILj256ELj13ELNS0_17block_load_methodE3ELS4_3ELS4_3ELNS0_20block_scan_algorithmE0ELj4294967295EEENS1_25partition_config_selectorILNS1_17partition_subalgoE4EjNS0_10empty_typeEbEEZZNS1_14partition_implILS8_4ELb0ES6_15HIP_vector_typeIjLj2EENS0_17counting_iteratorIjlEEPS9_SG_NS0_5tupleIJPjSI_NS0_16reverse_iteratorISI_EEEEENSH_IJSG_SG_SG_EEES9_SI_JZNS1_25segmented_radix_sort_implINS0_14default_configELb0EPKdPdPKlPlN2at6native12_GLOBAL__N_18offset_tEEE10hipError_tPvRmT1_PNSt15iterator_traitsIS12_E10value_typeET2_T3_PNS13_IS18_E10value_typeET4_jRbjT5_S1E_jjP12ihipStream_tbEUljE_ZNSN_ISO_Lb0ESQ_SR_ST_SU_SY_EESZ_S10_S11_S12_S16_S17_S18_S1B_S1C_jS1D_jS1E_S1E_jjS1G_bEUljE0_EEESZ_S10_S11_S18_S1C_S1E_T6_T7_T9_mT8_S1G_bDpT10_ENKUlT_T0_E_clISt17integral_constantIbLb1EES1T_IbLb0EEEEDaS1P_S1Q_EUlS1P_E_NS1_11comp_targetILNS1_3genE9ELNS1_11target_archE1100ELNS1_3gpuE3ELNS1_3repE0EEENS1_30default_config_static_selectorELNS0_4arch9wavefront6targetE1EEEvS12_,"axG",@progbits,_ZN7rocprim17ROCPRIM_400000_NS6detail17trampoline_kernelINS0_13select_configILj256ELj13ELNS0_17block_load_methodE3ELS4_3ELS4_3ELNS0_20block_scan_algorithmE0ELj4294967295EEENS1_25partition_config_selectorILNS1_17partition_subalgoE4EjNS0_10empty_typeEbEEZZNS1_14partition_implILS8_4ELb0ES6_15HIP_vector_typeIjLj2EENS0_17counting_iteratorIjlEEPS9_SG_NS0_5tupleIJPjSI_NS0_16reverse_iteratorISI_EEEEENSH_IJSG_SG_SG_EEES9_SI_JZNS1_25segmented_radix_sort_implINS0_14default_configELb0EPKdPdPKlPlN2at6native12_GLOBAL__N_18offset_tEEE10hipError_tPvRmT1_PNSt15iterator_traitsIS12_E10value_typeET2_T3_PNS13_IS18_E10value_typeET4_jRbjT5_S1E_jjP12ihipStream_tbEUljE_ZNSN_ISO_Lb0ESQ_SR_ST_SU_SY_EESZ_S10_S11_S12_S16_S17_S18_S1B_S1C_jS1D_jS1E_S1E_jjS1G_bEUljE0_EEESZ_S10_S11_S18_S1C_S1E_T6_T7_T9_mT8_S1G_bDpT10_ENKUlT_T0_E_clISt17integral_constantIbLb1EES1T_IbLb0EEEEDaS1P_S1Q_EUlS1P_E_NS1_11comp_targetILNS1_3genE9ELNS1_11target_archE1100ELNS1_3gpuE3ELNS1_3repE0EEENS1_30default_config_static_selectorELNS0_4arch9wavefront6targetE1EEEvS12_,comdat
	.globl	_ZN7rocprim17ROCPRIM_400000_NS6detail17trampoline_kernelINS0_13select_configILj256ELj13ELNS0_17block_load_methodE3ELS4_3ELS4_3ELNS0_20block_scan_algorithmE0ELj4294967295EEENS1_25partition_config_selectorILNS1_17partition_subalgoE4EjNS0_10empty_typeEbEEZZNS1_14partition_implILS8_4ELb0ES6_15HIP_vector_typeIjLj2EENS0_17counting_iteratorIjlEEPS9_SG_NS0_5tupleIJPjSI_NS0_16reverse_iteratorISI_EEEEENSH_IJSG_SG_SG_EEES9_SI_JZNS1_25segmented_radix_sort_implINS0_14default_configELb0EPKdPdPKlPlN2at6native12_GLOBAL__N_18offset_tEEE10hipError_tPvRmT1_PNSt15iterator_traitsIS12_E10value_typeET2_T3_PNS13_IS18_E10value_typeET4_jRbjT5_S1E_jjP12ihipStream_tbEUljE_ZNSN_ISO_Lb0ESQ_SR_ST_SU_SY_EESZ_S10_S11_S12_S16_S17_S18_S1B_S1C_jS1D_jS1E_S1E_jjS1G_bEUljE0_EEESZ_S10_S11_S18_S1C_S1E_T6_T7_T9_mT8_S1G_bDpT10_ENKUlT_T0_E_clISt17integral_constantIbLb1EES1T_IbLb0EEEEDaS1P_S1Q_EUlS1P_E_NS1_11comp_targetILNS1_3genE9ELNS1_11target_archE1100ELNS1_3gpuE3ELNS1_3repE0EEENS1_30default_config_static_selectorELNS0_4arch9wavefront6targetE1EEEvS12_ ; -- Begin function _ZN7rocprim17ROCPRIM_400000_NS6detail17trampoline_kernelINS0_13select_configILj256ELj13ELNS0_17block_load_methodE3ELS4_3ELS4_3ELNS0_20block_scan_algorithmE0ELj4294967295EEENS1_25partition_config_selectorILNS1_17partition_subalgoE4EjNS0_10empty_typeEbEEZZNS1_14partition_implILS8_4ELb0ES6_15HIP_vector_typeIjLj2EENS0_17counting_iteratorIjlEEPS9_SG_NS0_5tupleIJPjSI_NS0_16reverse_iteratorISI_EEEEENSH_IJSG_SG_SG_EEES9_SI_JZNS1_25segmented_radix_sort_implINS0_14default_configELb0EPKdPdPKlPlN2at6native12_GLOBAL__N_18offset_tEEE10hipError_tPvRmT1_PNSt15iterator_traitsIS12_E10value_typeET2_T3_PNS13_IS18_E10value_typeET4_jRbjT5_S1E_jjP12ihipStream_tbEUljE_ZNSN_ISO_Lb0ESQ_SR_ST_SU_SY_EESZ_S10_S11_S12_S16_S17_S18_S1B_S1C_jS1D_jS1E_S1E_jjS1G_bEUljE0_EEESZ_S10_S11_S18_S1C_S1E_T6_T7_T9_mT8_S1G_bDpT10_ENKUlT_T0_E_clISt17integral_constantIbLb1EES1T_IbLb0EEEEDaS1P_S1Q_EUlS1P_E_NS1_11comp_targetILNS1_3genE9ELNS1_11target_archE1100ELNS1_3gpuE3ELNS1_3repE0EEENS1_30default_config_static_selectorELNS0_4arch9wavefront6targetE1EEEvS12_
	.p2align	8
	.type	_ZN7rocprim17ROCPRIM_400000_NS6detail17trampoline_kernelINS0_13select_configILj256ELj13ELNS0_17block_load_methodE3ELS4_3ELS4_3ELNS0_20block_scan_algorithmE0ELj4294967295EEENS1_25partition_config_selectorILNS1_17partition_subalgoE4EjNS0_10empty_typeEbEEZZNS1_14partition_implILS8_4ELb0ES6_15HIP_vector_typeIjLj2EENS0_17counting_iteratorIjlEEPS9_SG_NS0_5tupleIJPjSI_NS0_16reverse_iteratorISI_EEEEENSH_IJSG_SG_SG_EEES9_SI_JZNS1_25segmented_radix_sort_implINS0_14default_configELb0EPKdPdPKlPlN2at6native12_GLOBAL__N_18offset_tEEE10hipError_tPvRmT1_PNSt15iterator_traitsIS12_E10value_typeET2_T3_PNS13_IS18_E10value_typeET4_jRbjT5_S1E_jjP12ihipStream_tbEUljE_ZNSN_ISO_Lb0ESQ_SR_ST_SU_SY_EESZ_S10_S11_S12_S16_S17_S18_S1B_S1C_jS1D_jS1E_S1E_jjS1G_bEUljE0_EEESZ_S10_S11_S18_S1C_S1E_T6_T7_T9_mT8_S1G_bDpT10_ENKUlT_T0_E_clISt17integral_constantIbLb1EES1T_IbLb0EEEEDaS1P_S1Q_EUlS1P_E_NS1_11comp_targetILNS1_3genE9ELNS1_11target_archE1100ELNS1_3gpuE3ELNS1_3repE0EEENS1_30default_config_static_selectorELNS0_4arch9wavefront6targetE1EEEvS12_,@function
_ZN7rocprim17ROCPRIM_400000_NS6detail17trampoline_kernelINS0_13select_configILj256ELj13ELNS0_17block_load_methodE3ELS4_3ELS4_3ELNS0_20block_scan_algorithmE0ELj4294967295EEENS1_25partition_config_selectorILNS1_17partition_subalgoE4EjNS0_10empty_typeEbEEZZNS1_14partition_implILS8_4ELb0ES6_15HIP_vector_typeIjLj2EENS0_17counting_iteratorIjlEEPS9_SG_NS0_5tupleIJPjSI_NS0_16reverse_iteratorISI_EEEEENSH_IJSG_SG_SG_EEES9_SI_JZNS1_25segmented_radix_sort_implINS0_14default_configELb0EPKdPdPKlPlN2at6native12_GLOBAL__N_18offset_tEEE10hipError_tPvRmT1_PNSt15iterator_traitsIS12_E10value_typeET2_T3_PNS13_IS18_E10value_typeET4_jRbjT5_S1E_jjP12ihipStream_tbEUljE_ZNSN_ISO_Lb0ESQ_SR_ST_SU_SY_EESZ_S10_S11_S12_S16_S17_S18_S1B_S1C_jS1D_jS1E_S1E_jjS1G_bEUljE0_EEESZ_S10_S11_S18_S1C_S1E_T6_T7_T9_mT8_S1G_bDpT10_ENKUlT_T0_E_clISt17integral_constantIbLb1EES1T_IbLb0EEEEDaS1P_S1Q_EUlS1P_E_NS1_11comp_targetILNS1_3genE9ELNS1_11target_archE1100ELNS1_3gpuE3ELNS1_3repE0EEENS1_30default_config_static_selectorELNS0_4arch9wavefront6targetE1EEEvS12_: ; @_ZN7rocprim17ROCPRIM_400000_NS6detail17trampoline_kernelINS0_13select_configILj256ELj13ELNS0_17block_load_methodE3ELS4_3ELS4_3ELNS0_20block_scan_algorithmE0ELj4294967295EEENS1_25partition_config_selectorILNS1_17partition_subalgoE4EjNS0_10empty_typeEbEEZZNS1_14partition_implILS8_4ELb0ES6_15HIP_vector_typeIjLj2EENS0_17counting_iteratorIjlEEPS9_SG_NS0_5tupleIJPjSI_NS0_16reverse_iteratorISI_EEEEENSH_IJSG_SG_SG_EEES9_SI_JZNS1_25segmented_radix_sort_implINS0_14default_configELb0EPKdPdPKlPlN2at6native12_GLOBAL__N_18offset_tEEE10hipError_tPvRmT1_PNSt15iterator_traitsIS12_E10value_typeET2_T3_PNS13_IS18_E10value_typeET4_jRbjT5_S1E_jjP12ihipStream_tbEUljE_ZNSN_ISO_Lb0ESQ_SR_ST_SU_SY_EESZ_S10_S11_S12_S16_S17_S18_S1B_S1C_jS1D_jS1E_S1E_jjS1G_bEUljE0_EEESZ_S10_S11_S18_S1C_S1E_T6_T7_T9_mT8_S1G_bDpT10_ENKUlT_T0_E_clISt17integral_constantIbLb1EES1T_IbLb0EEEEDaS1P_S1Q_EUlS1P_E_NS1_11comp_targetILNS1_3genE9ELNS1_11target_archE1100ELNS1_3gpuE3ELNS1_3repE0EEENS1_30default_config_static_selectorELNS0_4arch9wavefront6targetE1EEEvS12_
; %bb.0:
	.section	.rodata,"a",@progbits
	.p2align	6, 0x0
	.amdhsa_kernel _ZN7rocprim17ROCPRIM_400000_NS6detail17trampoline_kernelINS0_13select_configILj256ELj13ELNS0_17block_load_methodE3ELS4_3ELS4_3ELNS0_20block_scan_algorithmE0ELj4294967295EEENS1_25partition_config_selectorILNS1_17partition_subalgoE4EjNS0_10empty_typeEbEEZZNS1_14partition_implILS8_4ELb0ES6_15HIP_vector_typeIjLj2EENS0_17counting_iteratorIjlEEPS9_SG_NS0_5tupleIJPjSI_NS0_16reverse_iteratorISI_EEEEENSH_IJSG_SG_SG_EEES9_SI_JZNS1_25segmented_radix_sort_implINS0_14default_configELb0EPKdPdPKlPlN2at6native12_GLOBAL__N_18offset_tEEE10hipError_tPvRmT1_PNSt15iterator_traitsIS12_E10value_typeET2_T3_PNS13_IS18_E10value_typeET4_jRbjT5_S1E_jjP12ihipStream_tbEUljE_ZNSN_ISO_Lb0ESQ_SR_ST_SU_SY_EESZ_S10_S11_S12_S16_S17_S18_S1B_S1C_jS1D_jS1E_S1E_jjS1G_bEUljE0_EEESZ_S10_S11_S18_S1C_S1E_T6_T7_T9_mT8_S1G_bDpT10_ENKUlT_T0_E_clISt17integral_constantIbLb1EES1T_IbLb0EEEEDaS1P_S1Q_EUlS1P_E_NS1_11comp_targetILNS1_3genE9ELNS1_11target_archE1100ELNS1_3gpuE3ELNS1_3repE0EEENS1_30default_config_static_selectorELNS0_4arch9wavefront6targetE1EEEvS12_
		.amdhsa_group_segment_fixed_size 0
		.amdhsa_private_segment_fixed_size 0
		.amdhsa_kernarg_size 176
		.amdhsa_user_sgpr_count 6
		.amdhsa_user_sgpr_private_segment_buffer 1
		.amdhsa_user_sgpr_dispatch_ptr 0
		.amdhsa_user_sgpr_queue_ptr 0
		.amdhsa_user_sgpr_kernarg_segment_ptr 1
		.amdhsa_user_sgpr_dispatch_id 0
		.amdhsa_user_sgpr_flat_scratch_init 0
		.amdhsa_user_sgpr_kernarg_preload_length 0
		.amdhsa_user_sgpr_kernarg_preload_offset 0
		.amdhsa_user_sgpr_private_segment_size 0
		.amdhsa_uses_dynamic_stack 0
		.amdhsa_system_sgpr_private_segment_wavefront_offset 0
		.amdhsa_system_sgpr_workgroup_id_x 1
		.amdhsa_system_sgpr_workgroup_id_y 0
		.amdhsa_system_sgpr_workgroup_id_z 0
		.amdhsa_system_sgpr_workgroup_info 0
		.amdhsa_system_vgpr_workitem_id 0
		.amdhsa_next_free_vgpr 1
		.amdhsa_next_free_sgpr 0
		.amdhsa_accum_offset 4
		.amdhsa_reserve_vcc 0
		.amdhsa_reserve_flat_scratch 0
		.amdhsa_float_round_mode_32 0
		.amdhsa_float_round_mode_16_64 0
		.amdhsa_float_denorm_mode_32 3
		.amdhsa_float_denorm_mode_16_64 3
		.amdhsa_dx10_clamp 1
		.amdhsa_ieee_mode 1
		.amdhsa_fp16_overflow 0
		.amdhsa_tg_split 0
		.amdhsa_exception_fp_ieee_invalid_op 0
		.amdhsa_exception_fp_denorm_src 0
		.amdhsa_exception_fp_ieee_div_zero 0
		.amdhsa_exception_fp_ieee_overflow 0
		.amdhsa_exception_fp_ieee_underflow 0
		.amdhsa_exception_fp_ieee_inexact 0
		.amdhsa_exception_int_div_zero 0
	.end_amdhsa_kernel
	.section	.text._ZN7rocprim17ROCPRIM_400000_NS6detail17trampoline_kernelINS0_13select_configILj256ELj13ELNS0_17block_load_methodE3ELS4_3ELS4_3ELNS0_20block_scan_algorithmE0ELj4294967295EEENS1_25partition_config_selectorILNS1_17partition_subalgoE4EjNS0_10empty_typeEbEEZZNS1_14partition_implILS8_4ELb0ES6_15HIP_vector_typeIjLj2EENS0_17counting_iteratorIjlEEPS9_SG_NS0_5tupleIJPjSI_NS0_16reverse_iteratorISI_EEEEENSH_IJSG_SG_SG_EEES9_SI_JZNS1_25segmented_radix_sort_implINS0_14default_configELb0EPKdPdPKlPlN2at6native12_GLOBAL__N_18offset_tEEE10hipError_tPvRmT1_PNSt15iterator_traitsIS12_E10value_typeET2_T3_PNS13_IS18_E10value_typeET4_jRbjT5_S1E_jjP12ihipStream_tbEUljE_ZNSN_ISO_Lb0ESQ_SR_ST_SU_SY_EESZ_S10_S11_S12_S16_S17_S18_S1B_S1C_jS1D_jS1E_S1E_jjS1G_bEUljE0_EEESZ_S10_S11_S18_S1C_S1E_T6_T7_T9_mT8_S1G_bDpT10_ENKUlT_T0_E_clISt17integral_constantIbLb1EES1T_IbLb0EEEEDaS1P_S1Q_EUlS1P_E_NS1_11comp_targetILNS1_3genE9ELNS1_11target_archE1100ELNS1_3gpuE3ELNS1_3repE0EEENS1_30default_config_static_selectorELNS0_4arch9wavefront6targetE1EEEvS12_,"axG",@progbits,_ZN7rocprim17ROCPRIM_400000_NS6detail17trampoline_kernelINS0_13select_configILj256ELj13ELNS0_17block_load_methodE3ELS4_3ELS4_3ELNS0_20block_scan_algorithmE0ELj4294967295EEENS1_25partition_config_selectorILNS1_17partition_subalgoE4EjNS0_10empty_typeEbEEZZNS1_14partition_implILS8_4ELb0ES6_15HIP_vector_typeIjLj2EENS0_17counting_iteratorIjlEEPS9_SG_NS0_5tupleIJPjSI_NS0_16reverse_iteratorISI_EEEEENSH_IJSG_SG_SG_EEES9_SI_JZNS1_25segmented_radix_sort_implINS0_14default_configELb0EPKdPdPKlPlN2at6native12_GLOBAL__N_18offset_tEEE10hipError_tPvRmT1_PNSt15iterator_traitsIS12_E10value_typeET2_T3_PNS13_IS18_E10value_typeET4_jRbjT5_S1E_jjP12ihipStream_tbEUljE_ZNSN_ISO_Lb0ESQ_SR_ST_SU_SY_EESZ_S10_S11_S12_S16_S17_S18_S1B_S1C_jS1D_jS1E_S1E_jjS1G_bEUljE0_EEESZ_S10_S11_S18_S1C_S1E_T6_T7_T9_mT8_S1G_bDpT10_ENKUlT_T0_E_clISt17integral_constantIbLb1EES1T_IbLb0EEEEDaS1P_S1Q_EUlS1P_E_NS1_11comp_targetILNS1_3genE9ELNS1_11target_archE1100ELNS1_3gpuE3ELNS1_3repE0EEENS1_30default_config_static_selectorELNS0_4arch9wavefront6targetE1EEEvS12_,comdat
.Lfunc_end1177:
	.size	_ZN7rocprim17ROCPRIM_400000_NS6detail17trampoline_kernelINS0_13select_configILj256ELj13ELNS0_17block_load_methodE3ELS4_3ELS4_3ELNS0_20block_scan_algorithmE0ELj4294967295EEENS1_25partition_config_selectorILNS1_17partition_subalgoE4EjNS0_10empty_typeEbEEZZNS1_14partition_implILS8_4ELb0ES6_15HIP_vector_typeIjLj2EENS0_17counting_iteratorIjlEEPS9_SG_NS0_5tupleIJPjSI_NS0_16reverse_iteratorISI_EEEEENSH_IJSG_SG_SG_EEES9_SI_JZNS1_25segmented_radix_sort_implINS0_14default_configELb0EPKdPdPKlPlN2at6native12_GLOBAL__N_18offset_tEEE10hipError_tPvRmT1_PNSt15iterator_traitsIS12_E10value_typeET2_T3_PNS13_IS18_E10value_typeET4_jRbjT5_S1E_jjP12ihipStream_tbEUljE_ZNSN_ISO_Lb0ESQ_SR_ST_SU_SY_EESZ_S10_S11_S12_S16_S17_S18_S1B_S1C_jS1D_jS1E_S1E_jjS1G_bEUljE0_EEESZ_S10_S11_S18_S1C_S1E_T6_T7_T9_mT8_S1G_bDpT10_ENKUlT_T0_E_clISt17integral_constantIbLb1EES1T_IbLb0EEEEDaS1P_S1Q_EUlS1P_E_NS1_11comp_targetILNS1_3genE9ELNS1_11target_archE1100ELNS1_3gpuE3ELNS1_3repE0EEENS1_30default_config_static_selectorELNS0_4arch9wavefront6targetE1EEEvS12_, .Lfunc_end1177-_ZN7rocprim17ROCPRIM_400000_NS6detail17trampoline_kernelINS0_13select_configILj256ELj13ELNS0_17block_load_methodE3ELS4_3ELS4_3ELNS0_20block_scan_algorithmE0ELj4294967295EEENS1_25partition_config_selectorILNS1_17partition_subalgoE4EjNS0_10empty_typeEbEEZZNS1_14partition_implILS8_4ELb0ES6_15HIP_vector_typeIjLj2EENS0_17counting_iteratorIjlEEPS9_SG_NS0_5tupleIJPjSI_NS0_16reverse_iteratorISI_EEEEENSH_IJSG_SG_SG_EEES9_SI_JZNS1_25segmented_radix_sort_implINS0_14default_configELb0EPKdPdPKlPlN2at6native12_GLOBAL__N_18offset_tEEE10hipError_tPvRmT1_PNSt15iterator_traitsIS12_E10value_typeET2_T3_PNS13_IS18_E10value_typeET4_jRbjT5_S1E_jjP12ihipStream_tbEUljE_ZNSN_ISO_Lb0ESQ_SR_ST_SU_SY_EESZ_S10_S11_S12_S16_S17_S18_S1B_S1C_jS1D_jS1E_S1E_jjS1G_bEUljE0_EEESZ_S10_S11_S18_S1C_S1E_T6_T7_T9_mT8_S1G_bDpT10_ENKUlT_T0_E_clISt17integral_constantIbLb1EES1T_IbLb0EEEEDaS1P_S1Q_EUlS1P_E_NS1_11comp_targetILNS1_3genE9ELNS1_11target_archE1100ELNS1_3gpuE3ELNS1_3repE0EEENS1_30default_config_static_selectorELNS0_4arch9wavefront6targetE1EEEvS12_
                                        ; -- End function
	.section	.AMDGPU.csdata,"",@progbits
; Kernel info:
; codeLenInByte = 0
; NumSgprs: 4
; NumVgprs: 0
; NumAgprs: 0
; TotalNumVgprs: 0
; ScratchSize: 0
; MemoryBound: 0
; FloatMode: 240
; IeeeMode: 1
; LDSByteSize: 0 bytes/workgroup (compile time only)
; SGPRBlocks: 0
; VGPRBlocks: 0
; NumSGPRsForWavesPerEU: 4
; NumVGPRsForWavesPerEU: 1
; AccumOffset: 4
; Occupancy: 8
; WaveLimiterHint : 0
; COMPUTE_PGM_RSRC2:SCRATCH_EN: 0
; COMPUTE_PGM_RSRC2:USER_SGPR: 6
; COMPUTE_PGM_RSRC2:TRAP_HANDLER: 0
; COMPUTE_PGM_RSRC2:TGID_X_EN: 1
; COMPUTE_PGM_RSRC2:TGID_Y_EN: 0
; COMPUTE_PGM_RSRC2:TGID_Z_EN: 0
; COMPUTE_PGM_RSRC2:TIDIG_COMP_CNT: 0
; COMPUTE_PGM_RSRC3_GFX90A:ACCUM_OFFSET: 0
; COMPUTE_PGM_RSRC3_GFX90A:TG_SPLIT: 0
	.section	.text._ZN7rocprim17ROCPRIM_400000_NS6detail17trampoline_kernelINS0_13select_configILj256ELj13ELNS0_17block_load_methodE3ELS4_3ELS4_3ELNS0_20block_scan_algorithmE0ELj4294967295EEENS1_25partition_config_selectorILNS1_17partition_subalgoE4EjNS0_10empty_typeEbEEZZNS1_14partition_implILS8_4ELb0ES6_15HIP_vector_typeIjLj2EENS0_17counting_iteratorIjlEEPS9_SG_NS0_5tupleIJPjSI_NS0_16reverse_iteratorISI_EEEEENSH_IJSG_SG_SG_EEES9_SI_JZNS1_25segmented_radix_sort_implINS0_14default_configELb0EPKdPdPKlPlN2at6native12_GLOBAL__N_18offset_tEEE10hipError_tPvRmT1_PNSt15iterator_traitsIS12_E10value_typeET2_T3_PNS13_IS18_E10value_typeET4_jRbjT5_S1E_jjP12ihipStream_tbEUljE_ZNSN_ISO_Lb0ESQ_SR_ST_SU_SY_EESZ_S10_S11_S12_S16_S17_S18_S1B_S1C_jS1D_jS1E_S1E_jjS1G_bEUljE0_EEESZ_S10_S11_S18_S1C_S1E_T6_T7_T9_mT8_S1G_bDpT10_ENKUlT_T0_E_clISt17integral_constantIbLb1EES1T_IbLb0EEEEDaS1P_S1Q_EUlS1P_E_NS1_11comp_targetILNS1_3genE8ELNS1_11target_archE1030ELNS1_3gpuE2ELNS1_3repE0EEENS1_30default_config_static_selectorELNS0_4arch9wavefront6targetE1EEEvS12_,"axG",@progbits,_ZN7rocprim17ROCPRIM_400000_NS6detail17trampoline_kernelINS0_13select_configILj256ELj13ELNS0_17block_load_methodE3ELS4_3ELS4_3ELNS0_20block_scan_algorithmE0ELj4294967295EEENS1_25partition_config_selectorILNS1_17partition_subalgoE4EjNS0_10empty_typeEbEEZZNS1_14partition_implILS8_4ELb0ES6_15HIP_vector_typeIjLj2EENS0_17counting_iteratorIjlEEPS9_SG_NS0_5tupleIJPjSI_NS0_16reverse_iteratorISI_EEEEENSH_IJSG_SG_SG_EEES9_SI_JZNS1_25segmented_radix_sort_implINS0_14default_configELb0EPKdPdPKlPlN2at6native12_GLOBAL__N_18offset_tEEE10hipError_tPvRmT1_PNSt15iterator_traitsIS12_E10value_typeET2_T3_PNS13_IS18_E10value_typeET4_jRbjT5_S1E_jjP12ihipStream_tbEUljE_ZNSN_ISO_Lb0ESQ_SR_ST_SU_SY_EESZ_S10_S11_S12_S16_S17_S18_S1B_S1C_jS1D_jS1E_S1E_jjS1G_bEUljE0_EEESZ_S10_S11_S18_S1C_S1E_T6_T7_T9_mT8_S1G_bDpT10_ENKUlT_T0_E_clISt17integral_constantIbLb1EES1T_IbLb0EEEEDaS1P_S1Q_EUlS1P_E_NS1_11comp_targetILNS1_3genE8ELNS1_11target_archE1030ELNS1_3gpuE2ELNS1_3repE0EEENS1_30default_config_static_selectorELNS0_4arch9wavefront6targetE1EEEvS12_,comdat
	.globl	_ZN7rocprim17ROCPRIM_400000_NS6detail17trampoline_kernelINS0_13select_configILj256ELj13ELNS0_17block_load_methodE3ELS4_3ELS4_3ELNS0_20block_scan_algorithmE0ELj4294967295EEENS1_25partition_config_selectorILNS1_17partition_subalgoE4EjNS0_10empty_typeEbEEZZNS1_14partition_implILS8_4ELb0ES6_15HIP_vector_typeIjLj2EENS0_17counting_iteratorIjlEEPS9_SG_NS0_5tupleIJPjSI_NS0_16reverse_iteratorISI_EEEEENSH_IJSG_SG_SG_EEES9_SI_JZNS1_25segmented_radix_sort_implINS0_14default_configELb0EPKdPdPKlPlN2at6native12_GLOBAL__N_18offset_tEEE10hipError_tPvRmT1_PNSt15iterator_traitsIS12_E10value_typeET2_T3_PNS13_IS18_E10value_typeET4_jRbjT5_S1E_jjP12ihipStream_tbEUljE_ZNSN_ISO_Lb0ESQ_SR_ST_SU_SY_EESZ_S10_S11_S12_S16_S17_S18_S1B_S1C_jS1D_jS1E_S1E_jjS1G_bEUljE0_EEESZ_S10_S11_S18_S1C_S1E_T6_T7_T9_mT8_S1G_bDpT10_ENKUlT_T0_E_clISt17integral_constantIbLb1EES1T_IbLb0EEEEDaS1P_S1Q_EUlS1P_E_NS1_11comp_targetILNS1_3genE8ELNS1_11target_archE1030ELNS1_3gpuE2ELNS1_3repE0EEENS1_30default_config_static_selectorELNS0_4arch9wavefront6targetE1EEEvS12_ ; -- Begin function _ZN7rocprim17ROCPRIM_400000_NS6detail17trampoline_kernelINS0_13select_configILj256ELj13ELNS0_17block_load_methodE3ELS4_3ELS4_3ELNS0_20block_scan_algorithmE0ELj4294967295EEENS1_25partition_config_selectorILNS1_17partition_subalgoE4EjNS0_10empty_typeEbEEZZNS1_14partition_implILS8_4ELb0ES6_15HIP_vector_typeIjLj2EENS0_17counting_iteratorIjlEEPS9_SG_NS0_5tupleIJPjSI_NS0_16reverse_iteratorISI_EEEEENSH_IJSG_SG_SG_EEES9_SI_JZNS1_25segmented_radix_sort_implINS0_14default_configELb0EPKdPdPKlPlN2at6native12_GLOBAL__N_18offset_tEEE10hipError_tPvRmT1_PNSt15iterator_traitsIS12_E10value_typeET2_T3_PNS13_IS18_E10value_typeET4_jRbjT5_S1E_jjP12ihipStream_tbEUljE_ZNSN_ISO_Lb0ESQ_SR_ST_SU_SY_EESZ_S10_S11_S12_S16_S17_S18_S1B_S1C_jS1D_jS1E_S1E_jjS1G_bEUljE0_EEESZ_S10_S11_S18_S1C_S1E_T6_T7_T9_mT8_S1G_bDpT10_ENKUlT_T0_E_clISt17integral_constantIbLb1EES1T_IbLb0EEEEDaS1P_S1Q_EUlS1P_E_NS1_11comp_targetILNS1_3genE8ELNS1_11target_archE1030ELNS1_3gpuE2ELNS1_3repE0EEENS1_30default_config_static_selectorELNS0_4arch9wavefront6targetE1EEEvS12_
	.p2align	8
	.type	_ZN7rocprim17ROCPRIM_400000_NS6detail17trampoline_kernelINS0_13select_configILj256ELj13ELNS0_17block_load_methodE3ELS4_3ELS4_3ELNS0_20block_scan_algorithmE0ELj4294967295EEENS1_25partition_config_selectorILNS1_17partition_subalgoE4EjNS0_10empty_typeEbEEZZNS1_14partition_implILS8_4ELb0ES6_15HIP_vector_typeIjLj2EENS0_17counting_iteratorIjlEEPS9_SG_NS0_5tupleIJPjSI_NS0_16reverse_iteratorISI_EEEEENSH_IJSG_SG_SG_EEES9_SI_JZNS1_25segmented_radix_sort_implINS0_14default_configELb0EPKdPdPKlPlN2at6native12_GLOBAL__N_18offset_tEEE10hipError_tPvRmT1_PNSt15iterator_traitsIS12_E10value_typeET2_T3_PNS13_IS18_E10value_typeET4_jRbjT5_S1E_jjP12ihipStream_tbEUljE_ZNSN_ISO_Lb0ESQ_SR_ST_SU_SY_EESZ_S10_S11_S12_S16_S17_S18_S1B_S1C_jS1D_jS1E_S1E_jjS1G_bEUljE0_EEESZ_S10_S11_S18_S1C_S1E_T6_T7_T9_mT8_S1G_bDpT10_ENKUlT_T0_E_clISt17integral_constantIbLb1EES1T_IbLb0EEEEDaS1P_S1Q_EUlS1P_E_NS1_11comp_targetILNS1_3genE8ELNS1_11target_archE1030ELNS1_3gpuE2ELNS1_3repE0EEENS1_30default_config_static_selectorELNS0_4arch9wavefront6targetE1EEEvS12_,@function
_ZN7rocprim17ROCPRIM_400000_NS6detail17trampoline_kernelINS0_13select_configILj256ELj13ELNS0_17block_load_methodE3ELS4_3ELS4_3ELNS0_20block_scan_algorithmE0ELj4294967295EEENS1_25partition_config_selectorILNS1_17partition_subalgoE4EjNS0_10empty_typeEbEEZZNS1_14partition_implILS8_4ELb0ES6_15HIP_vector_typeIjLj2EENS0_17counting_iteratorIjlEEPS9_SG_NS0_5tupleIJPjSI_NS0_16reverse_iteratorISI_EEEEENSH_IJSG_SG_SG_EEES9_SI_JZNS1_25segmented_radix_sort_implINS0_14default_configELb0EPKdPdPKlPlN2at6native12_GLOBAL__N_18offset_tEEE10hipError_tPvRmT1_PNSt15iterator_traitsIS12_E10value_typeET2_T3_PNS13_IS18_E10value_typeET4_jRbjT5_S1E_jjP12ihipStream_tbEUljE_ZNSN_ISO_Lb0ESQ_SR_ST_SU_SY_EESZ_S10_S11_S12_S16_S17_S18_S1B_S1C_jS1D_jS1E_S1E_jjS1G_bEUljE0_EEESZ_S10_S11_S18_S1C_S1E_T6_T7_T9_mT8_S1G_bDpT10_ENKUlT_T0_E_clISt17integral_constantIbLb1EES1T_IbLb0EEEEDaS1P_S1Q_EUlS1P_E_NS1_11comp_targetILNS1_3genE8ELNS1_11target_archE1030ELNS1_3gpuE2ELNS1_3repE0EEENS1_30default_config_static_selectorELNS0_4arch9wavefront6targetE1EEEvS12_: ; @_ZN7rocprim17ROCPRIM_400000_NS6detail17trampoline_kernelINS0_13select_configILj256ELj13ELNS0_17block_load_methodE3ELS4_3ELS4_3ELNS0_20block_scan_algorithmE0ELj4294967295EEENS1_25partition_config_selectorILNS1_17partition_subalgoE4EjNS0_10empty_typeEbEEZZNS1_14partition_implILS8_4ELb0ES6_15HIP_vector_typeIjLj2EENS0_17counting_iteratorIjlEEPS9_SG_NS0_5tupleIJPjSI_NS0_16reverse_iteratorISI_EEEEENSH_IJSG_SG_SG_EEES9_SI_JZNS1_25segmented_radix_sort_implINS0_14default_configELb0EPKdPdPKlPlN2at6native12_GLOBAL__N_18offset_tEEE10hipError_tPvRmT1_PNSt15iterator_traitsIS12_E10value_typeET2_T3_PNS13_IS18_E10value_typeET4_jRbjT5_S1E_jjP12ihipStream_tbEUljE_ZNSN_ISO_Lb0ESQ_SR_ST_SU_SY_EESZ_S10_S11_S12_S16_S17_S18_S1B_S1C_jS1D_jS1E_S1E_jjS1G_bEUljE0_EEESZ_S10_S11_S18_S1C_S1E_T6_T7_T9_mT8_S1G_bDpT10_ENKUlT_T0_E_clISt17integral_constantIbLb1EES1T_IbLb0EEEEDaS1P_S1Q_EUlS1P_E_NS1_11comp_targetILNS1_3genE8ELNS1_11target_archE1030ELNS1_3gpuE2ELNS1_3repE0EEENS1_30default_config_static_selectorELNS0_4arch9wavefront6targetE1EEEvS12_
; %bb.0:
	.section	.rodata,"a",@progbits
	.p2align	6, 0x0
	.amdhsa_kernel _ZN7rocprim17ROCPRIM_400000_NS6detail17trampoline_kernelINS0_13select_configILj256ELj13ELNS0_17block_load_methodE3ELS4_3ELS4_3ELNS0_20block_scan_algorithmE0ELj4294967295EEENS1_25partition_config_selectorILNS1_17partition_subalgoE4EjNS0_10empty_typeEbEEZZNS1_14partition_implILS8_4ELb0ES6_15HIP_vector_typeIjLj2EENS0_17counting_iteratorIjlEEPS9_SG_NS0_5tupleIJPjSI_NS0_16reverse_iteratorISI_EEEEENSH_IJSG_SG_SG_EEES9_SI_JZNS1_25segmented_radix_sort_implINS0_14default_configELb0EPKdPdPKlPlN2at6native12_GLOBAL__N_18offset_tEEE10hipError_tPvRmT1_PNSt15iterator_traitsIS12_E10value_typeET2_T3_PNS13_IS18_E10value_typeET4_jRbjT5_S1E_jjP12ihipStream_tbEUljE_ZNSN_ISO_Lb0ESQ_SR_ST_SU_SY_EESZ_S10_S11_S12_S16_S17_S18_S1B_S1C_jS1D_jS1E_S1E_jjS1G_bEUljE0_EEESZ_S10_S11_S18_S1C_S1E_T6_T7_T9_mT8_S1G_bDpT10_ENKUlT_T0_E_clISt17integral_constantIbLb1EES1T_IbLb0EEEEDaS1P_S1Q_EUlS1P_E_NS1_11comp_targetILNS1_3genE8ELNS1_11target_archE1030ELNS1_3gpuE2ELNS1_3repE0EEENS1_30default_config_static_selectorELNS0_4arch9wavefront6targetE1EEEvS12_
		.amdhsa_group_segment_fixed_size 0
		.amdhsa_private_segment_fixed_size 0
		.amdhsa_kernarg_size 176
		.amdhsa_user_sgpr_count 6
		.amdhsa_user_sgpr_private_segment_buffer 1
		.amdhsa_user_sgpr_dispatch_ptr 0
		.amdhsa_user_sgpr_queue_ptr 0
		.amdhsa_user_sgpr_kernarg_segment_ptr 1
		.amdhsa_user_sgpr_dispatch_id 0
		.amdhsa_user_sgpr_flat_scratch_init 0
		.amdhsa_user_sgpr_kernarg_preload_length 0
		.amdhsa_user_sgpr_kernarg_preload_offset 0
		.amdhsa_user_sgpr_private_segment_size 0
		.amdhsa_uses_dynamic_stack 0
		.amdhsa_system_sgpr_private_segment_wavefront_offset 0
		.amdhsa_system_sgpr_workgroup_id_x 1
		.amdhsa_system_sgpr_workgroup_id_y 0
		.amdhsa_system_sgpr_workgroup_id_z 0
		.amdhsa_system_sgpr_workgroup_info 0
		.amdhsa_system_vgpr_workitem_id 0
		.amdhsa_next_free_vgpr 1
		.amdhsa_next_free_sgpr 0
		.amdhsa_accum_offset 4
		.amdhsa_reserve_vcc 0
		.amdhsa_reserve_flat_scratch 0
		.amdhsa_float_round_mode_32 0
		.amdhsa_float_round_mode_16_64 0
		.amdhsa_float_denorm_mode_32 3
		.amdhsa_float_denorm_mode_16_64 3
		.amdhsa_dx10_clamp 1
		.amdhsa_ieee_mode 1
		.amdhsa_fp16_overflow 0
		.amdhsa_tg_split 0
		.amdhsa_exception_fp_ieee_invalid_op 0
		.amdhsa_exception_fp_denorm_src 0
		.amdhsa_exception_fp_ieee_div_zero 0
		.amdhsa_exception_fp_ieee_overflow 0
		.amdhsa_exception_fp_ieee_underflow 0
		.amdhsa_exception_fp_ieee_inexact 0
		.amdhsa_exception_int_div_zero 0
	.end_amdhsa_kernel
	.section	.text._ZN7rocprim17ROCPRIM_400000_NS6detail17trampoline_kernelINS0_13select_configILj256ELj13ELNS0_17block_load_methodE3ELS4_3ELS4_3ELNS0_20block_scan_algorithmE0ELj4294967295EEENS1_25partition_config_selectorILNS1_17partition_subalgoE4EjNS0_10empty_typeEbEEZZNS1_14partition_implILS8_4ELb0ES6_15HIP_vector_typeIjLj2EENS0_17counting_iteratorIjlEEPS9_SG_NS0_5tupleIJPjSI_NS0_16reverse_iteratorISI_EEEEENSH_IJSG_SG_SG_EEES9_SI_JZNS1_25segmented_radix_sort_implINS0_14default_configELb0EPKdPdPKlPlN2at6native12_GLOBAL__N_18offset_tEEE10hipError_tPvRmT1_PNSt15iterator_traitsIS12_E10value_typeET2_T3_PNS13_IS18_E10value_typeET4_jRbjT5_S1E_jjP12ihipStream_tbEUljE_ZNSN_ISO_Lb0ESQ_SR_ST_SU_SY_EESZ_S10_S11_S12_S16_S17_S18_S1B_S1C_jS1D_jS1E_S1E_jjS1G_bEUljE0_EEESZ_S10_S11_S18_S1C_S1E_T6_T7_T9_mT8_S1G_bDpT10_ENKUlT_T0_E_clISt17integral_constantIbLb1EES1T_IbLb0EEEEDaS1P_S1Q_EUlS1P_E_NS1_11comp_targetILNS1_3genE8ELNS1_11target_archE1030ELNS1_3gpuE2ELNS1_3repE0EEENS1_30default_config_static_selectorELNS0_4arch9wavefront6targetE1EEEvS12_,"axG",@progbits,_ZN7rocprim17ROCPRIM_400000_NS6detail17trampoline_kernelINS0_13select_configILj256ELj13ELNS0_17block_load_methodE3ELS4_3ELS4_3ELNS0_20block_scan_algorithmE0ELj4294967295EEENS1_25partition_config_selectorILNS1_17partition_subalgoE4EjNS0_10empty_typeEbEEZZNS1_14partition_implILS8_4ELb0ES6_15HIP_vector_typeIjLj2EENS0_17counting_iteratorIjlEEPS9_SG_NS0_5tupleIJPjSI_NS0_16reverse_iteratorISI_EEEEENSH_IJSG_SG_SG_EEES9_SI_JZNS1_25segmented_radix_sort_implINS0_14default_configELb0EPKdPdPKlPlN2at6native12_GLOBAL__N_18offset_tEEE10hipError_tPvRmT1_PNSt15iterator_traitsIS12_E10value_typeET2_T3_PNS13_IS18_E10value_typeET4_jRbjT5_S1E_jjP12ihipStream_tbEUljE_ZNSN_ISO_Lb0ESQ_SR_ST_SU_SY_EESZ_S10_S11_S12_S16_S17_S18_S1B_S1C_jS1D_jS1E_S1E_jjS1G_bEUljE0_EEESZ_S10_S11_S18_S1C_S1E_T6_T7_T9_mT8_S1G_bDpT10_ENKUlT_T0_E_clISt17integral_constantIbLb1EES1T_IbLb0EEEEDaS1P_S1Q_EUlS1P_E_NS1_11comp_targetILNS1_3genE8ELNS1_11target_archE1030ELNS1_3gpuE2ELNS1_3repE0EEENS1_30default_config_static_selectorELNS0_4arch9wavefront6targetE1EEEvS12_,comdat
.Lfunc_end1178:
	.size	_ZN7rocprim17ROCPRIM_400000_NS6detail17trampoline_kernelINS0_13select_configILj256ELj13ELNS0_17block_load_methodE3ELS4_3ELS4_3ELNS0_20block_scan_algorithmE0ELj4294967295EEENS1_25partition_config_selectorILNS1_17partition_subalgoE4EjNS0_10empty_typeEbEEZZNS1_14partition_implILS8_4ELb0ES6_15HIP_vector_typeIjLj2EENS0_17counting_iteratorIjlEEPS9_SG_NS0_5tupleIJPjSI_NS0_16reverse_iteratorISI_EEEEENSH_IJSG_SG_SG_EEES9_SI_JZNS1_25segmented_radix_sort_implINS0_14default_configELb0EPKdPdPKlPlN2at6native12_GLOBAL__N_18offset_tEEE10hipError_tPvRmT1_PNSt15iterator_traitsIS12_E10value_typeET2_T3_PNS13_IS18_E10value_typeET4_jRbjT5_S1E_jjP12ihipStream_tbEUljE_ZNSN_ISO_Lb0ESQ_SR_ST_SU_SY_EESZ_S10_S11_S12_S16_S17_S18_S1B_S1C_jS1D_jS1E_S1E_jjS1G_bEUljE0_EEESZ_S10_S11_S18_S1C_S1E_T6_T7_T9_mT8_S1G_bDpT10_ENKUlT_T0_E_clISt17integral_constantIbLb1EES1T_IbLb0EEEEDaS1P_S1Q_EUlS1P_E_NS1_11comp_targetILNS1_3genE8ELNS1_11target_archE1030ELNS1_3gpuE2ELNS1_3repE0EEENS1_30default_config_static_selectorELNS0_4arch9wavefront6targetE1EEEvS12_, .Lfunc_end1178-_ZN7rocprim17ROCPRIM_400000_NS6detail17trampoline_kernelINS0_13select_configILj256ELj13ELNS0_17block_load_methodE3ELS4_3ELS4_3ELNS0_20block_scan_algorithmE0ELj4294967295EEENS1_25partition_config_selectorILNS1_17partition_subalgoE4EjNS0_10empty_typeEbEEZZNS1_14partition_implILS8_4ELb0ES6_15HIP_vector_typeIjLj2EENS0_17counting_iteratorIjlEEPS9_SG_NS0_5tupleIJPjSI_NS0_16reverse_iteratorISI_EEEEENSH_IJSG_SG_SG_EEES9_SI_JZNS1_25segmented_radix_sort_implINS0_14default_configELb0EPKdPdPKlPlN2at6native12_GLOBAL__N_18offset_tEEE10hipError_tPvRmT1_PNSt15iterator_traitsIS12_E10value_typeET2_T3_PNS13_IS18_E10value_typeET4_jRbjT5_S1E_jjP12ihipStream_tbEUljE_ZNSN_ISO_Lb0ESQ_SR_ST_SU_SY_EESZ_S10_S11_S12_S16_S17_S18_S1B_S1C_jS1D_jS1E_S1E_jjS1G_bEUljE0_EEESZ_S10_S11_S18_S1C_S1E_T6_T7_T9_mT8_S1G_bDpT10_ENKUlT_T0_E_clISt17integral_constantIbLb1EES1T_IbLb0EEEEDaS1P_S1Q_EUlS1P_E_NS1_11comp_targetILNS1_3genE8ELNS1_11target_archE1030ELNS1_3gpuE2ELNS1_3repE0EEENS1_30default_config_static_selectorELNS0_4arch9wavefront6targetE1EEEvS12_
                                        ; -- End function
	.section	.AMDGPU.csdata,"",@progbits
; Kernel info:
; codeLenInByte = 0
; NumSgprs: 4
; NumVgprs: 0
; NumAgprs: 0
; TotalNumVgprs: 0
; ScratchSize: 0
; MemoryBound: 0
; FloatMode: 240
; IeeeMode: 1
; LDSByteSize: 0 bytes/workgroup (compile time only)
; SGPRBlocks: 0
; VGPRBlocks: 0
; NumSGPRsForWavesPerEU: 4
; NumVGPRsForWavesPerEU: 1
; AccumOffset: 4
; Occupancy: 8
; WaveLimiterHint : 0
; COMPUTE_PGM_RSRC2:SCRATCH_EN: 0
; COMPUTE_PGM_RSRC2:USER_SGPR: 6
; COMPUTE_PGM_RSRC2:TRAP_HANDLER: 0
; COMPUTE_PGM_RSRC2:TGID_X_EN: 1
; COMPUTE_PGM_RSRC2:TGID_Y_EN: 0
; COMPUTE_PGM_RSRC2:TGID_Z_EN: 0
; COMPUTE_PGM_RSRC2:TIDIG_COMP_CNT: 0
; COMPUTE_PGM_RSRC3_GFX90A:ACCUM_OFFSET: 0
; COMPUTE_PGM_RSRC3_GFX90A:TG_SPLIT: 0
	.section	.text._ZN7rocprim17ROCPRIM_400000_NS6detail17trampoline_kernelINS0_13select_configILj256ELj13ELNS0_17block_load_methodE3ELS4_3ELS4_3ELNS0_20block_scan_algorithmE0ELj4294967295EEENS1_25partition_config_selectorILNS1_17partition_subalgoE4EjNS0_10empty_typeEbEEZZNS1_14partition_implILS8_4ELb0ES6_15HIP_vector_typeIjLj2EENS0_17counting_iteratorIjlEEPS9_SG_NS0_5tupleIJPjSI_NS0_16reverse_iteratorISI_EEEEENSH_IJSG_SG_SG_EEES9_SI_JZNS1_25segmented_radix_sort_implINS0_14default_configELb0EPKdPdPKlPlN2at6native12_GLOBAL__N_18offset_tEEE10hipError_tPvRmT1_PNSt15iterator_traitsIS12_E10value_typeET2_T3_PNS13_IS18_E10value_typeET4_jRbjT5_S1E_jjP12ihipStream_tbEUljE_ZNSN_ISO_Lb0ESQ_SR_ST_SU_SY_EESZ_S10_S11_S12_S16_S17_S18_S1B_S1C_jS1D_jS1E_S1E_jjS1G_bEUljE0_EEESZ_S10_S11_S18_S1C_S1E_T6_T7_T9_mT8_S1G_bDpT10_ENKUlT_T0_E_clISt17integral_constantIbLb0EES1T_IbLb1EEEEDaS1P_S1Q_EUlS1P_E_NS1_11comp_targetILNS1_3genE0ELNS1_11target_archE4294967295ELNS1_3gpuE0ELNS1_3repE0EEENS1_30default_config_static_selectorELNS0_4arch9wavefront6targetE1EEEvS12_,"axG",@progbits,_ZN7rocprim17ROCPRIM_400000_NS6detail17trampoline_kernelINS0_13select_configILj256ELj13ELNS0_17block_load_methodE3ELS4_3ELS4_3ELNS0_20block_scan_algorithmE0ELj4294967295EEENS1_25partition_config_selectorILNS1_17partition_subalgoE4EjNS0_10empty_typeEbEEZZNS1_14partition_implILS8_4ELb0ES6_15HIP_vector_typeIjLj2EENS0_17counting_iteratorIjlEEPS9_SG_NS0_5tupleIJPjSI_NS0_16reverse_iteratorISI_EEEEENSH_IJSG_SG_SG_EEES9_SI_JZNS1_25segmented_radix_sort_implINS0_14default_configELb0EPKdPdPKlPlN2at6native12_GLOBAL__N_18offset_tEEE10hipError_tPvRmT1_PNSt15iterator_traitsIS12_E10value_typeET2_T3_PNS13_IS18_E10value_typeET4_jRbjT5_S1E_jjP12ihipStream_tbEUljE_ZNSN_ISO_Lb0ESQ_SR_ST_SU_SY_EESZ_S10_S11_S12_S16_S17_S18_S1B_S1C_jS1D_jS1E_S1E_jjS1G_bEUljE0_EEESZ_S10_S11_S18_S1C_S1E_T6_T7_T9_mT8_S1G_bDpT10_ENKUlT_T0_E_clISt17integral_constantIbLb0EES1T_IbLb1EEEEDaS1P_S1Q_EUlS1P_E_NS1_11comp_targetILNS1_3genE0ELNS1_11target_archE4294967295ELNS1_3gpuE0ELNS1_3repE0EEENS1_30default_config_static_selectorELNS0_4arch9wavefront6targetE1EEEvS12_,comdat
	.globl	_ZN7rocprim17ROCPRIM_400000_NS6detail17trampoline_kernelINS0_13select_configILj256ELj13ELNS0_17block_load_methodE3ELS4_3ELS4_3ELNS0_20block_scan_algorithmE0ELj4294967295EEENS1_25partition_config_selectorILNS1_17partition_subalgoE4EjNS0_10empty_typeEbEEZZNS1_14partition_implILS8_4ELb0ES6_15HIP_vector_typeIjLj2EENS0_17counting_iteratorIjlEEPS9_SG_NS0_5tupleIJPjSI_NS0_16reverse_iteratorISI_EEEEENSH_IJSG_SG_SG_EEES9_SI_JZNS1_25segmented_radix_sort_implINS0_14default_configELb0EPKdPdPKlPlN2at6native12_GLOBAL__N_18offset_tEEE10hipError_tPvRmT1_PNSt15iterator_traitsIS12_E10value_typeET2_T3_PNS13_IS18_E10value_typeET4_jRbjT5_S1E_jjP12ihipStream_tbEUljE_ZNSN_ISO_Lb0ESQ_SR_ST_SU_SY_EESZ_S10_S11_S12_S16_S17_S18_S1B_S1C_jS1D_jS1E_S1E_jjS1G_bEUljE0_EEESZ_S10_S11_S18_S1C_S1E_T6_T7_T9_mT8_S1G_bDpT10_ENKUlT_T0_E_clISt17integral_constantIbLb0EES1T_IbLb1EEEEDaS1P_S1Q_EUlS1P_E_NS1_11comp_targetILNS1_3genE0ELNS1_11target_archE4294967295ELNS1_3gpuE0ELNS1_3repE0EEENS1_30default_config_static_selectorELNS0_4arch9wavefront6targetE1EEEvS12_ ; -- Begin function _ZN7rocprim17ROCPRIM_400000_NS6detail17trampoline_kernelINS0_13select_configILj256ELj13ELNS0_17block_load_methodE3ELS4_3ELS4_3ELNS0_20block_scan_algorithmE0ELj4294967295EEENS1_25partition_config_selectorILNS1_17partition_subalgoE4EjNS0_10empty_typeEbEEZZNS1_14partition_implILS8_4ELb0ES6_15HIP_vector_typeIjLj2EENS0_17counting_iteratorIjlEEPS9_SG_NS0_5tupleIJPjSI_NS0_16reverse_iteratorISI_EEEEENSH_IJSG_SG_SG_EEES9_SI_JZNS1_25segmented_radix_sort_implINS0_14default_configELb0EPKdPdPKlPlN2at6native12_GLOBAL__N_18offset_tEEE10hipError_tPvRmT1_PNSt15iterator_traitsIS12_E10value_typeET2_T3_PNS13_IS18_E10value_typeET4_jRbjT5_S1E_jjP12ihipStream_tbEUljE_ZNSN_ISO_Lb0ESQ_SR_ST_SU_SY_EESZ_S10_S11_S12_S16_S17_S18_S1B_S1C_jS1D_jS1E_S1E_jjS1G_bEUljE0_EEESZ_S10_S11_S18_S1C_S1E_T6_T7_T9_mT8_S1G_bDpT10_ENKUlT_T0_E_clISt17integral_constantIbLb0EES1T_IbLb1EEEEDaS1P_S1Q_EUlS1P_E_NS1_11comp_targetILNS1_3genE0ELNS1_11target_archE4294967295ELNS1_3gpuE0ELNS1_3repE0EEENS1_30default_config_static_selectorELNS0_4arch9wavefront6targetE1EEEvS12_
	.p2align	8
	.type	_ZN7rocprim17ROCPRIM_400000_NS6detail17trampoline_kernelINS0_13select_configILj256ELj13ELNS0_17block_load_methodE3ELS4_3ELS4_3ELNS0_20block_scan_algorithmE0ELj4294967295EEENS1_25partition_config_selectorILNS1_17partition_subalgoE4EjNS0_10empty_typeEbEEZZNS1_14partition_implILS8_4ELb0ES6_15HIP_vector_typeIjLj2EENS0_17counting_iteratorIjlEEPS9_SG_NS0_5tupleIJPjSI_NS0_16reverse_iteratorISI_EEEEENSH_IJSG_SG_SG_EEES9_SI_JZNS1_25segmented_radix_sort_implINS0_14default_configELb0EPKdPdPKlPlN2at6native12_GLOBAL__N_18offset_tEEE10hipError_tPvRmT1_PNSt15iterator_traitsIS12_E10value_typeET2_T3_PNS13_IS18_E10value_typeET4_jRbjT5_S1E_jjP12ihipStream_tbEUljE_ZNSN_ISO_Lb0ESQ_SR_ST_SU_SY_EESZ_S10_S11_S12_S16_S17_S18_S1B_S1C_jS1D_jS1E_S1E_jjS1G_bEUljE0_EEESZ_S10_S11_S18_S1C_S1E_T6_T7_T9_mT8_S1G_bDpT10_ENKUlT_T0_E_clISt17integral_constantIbLb0EES1T_IbLb1EEEEDaS1P_S1Q_EUlS1P_E_NS1_11comp_targetILNS1_3genE0ELNS1_11target_archE4294967295ELNS1_3gpuE0ELNS1_3repE0EEENS1_30default_config_static_selectorELNS0_4arch9wavefront6targetE1EEEvS12_,@function
_ZN7rocprim17ROCPRIM_400000_NS6detail17trampoline_kernelINS0_13select_configILj256ELj13ELNS0_17block_load_methodE3ELS4_3ELS4_3ELNS0_20block_scan_algorithmE0ELj4294967295EEENS1_25partition_config_selectorILNS1_17partition_subalgoE4EjNS0_10empty_typeEbEEZZNS1_14partition_implILS8_4ELb0ES6_15HIP_vector_typeIjLj2EENS0_17counting_iteratorIjlEEPS9_SG_NS0_5tupleIJPjSI_NS0_16reverse_iteratorISI_EEEEENSH_IJSG_SG_SG_EEES9_SI_JZNS1_25segmented_radix_sort_implINS0_14default_configELb0EPKdPdPKlPlN2at6native12_GLOBAL__N_18offset_tEEE10hipError_tPvRmT1_PNSt15iterator_traitsIS12_E10value_typeET2_T3_PNS13_IS18_E10value_typeET4_jRbjT5_S1E_jjP12ihipStream_tbEUljE_ZNSN_ISO_Lb0ESQ_SR_ST_SU_SY_EESZ_S10_S11_S12_S16_S17_S18_S1B_S1C_jS1D_jS1E_S1E_jjS1G_bEUljE0_EEESZ_S10_S11_S18_S1C_S1E_T6_T7_T9_mT8_S1G_bDpT10_ENKUlT_T0_E_clISt17integral_constantIbLb0EES1T_IbLb1EEEEDaS1P_S1Q_EUlS1P_E_NS1_11comp_targetILNS1_3genE0ELNS1_11target_archE4294967295ELNS1_3gpuE0ELNS1_3repE0EEENS1_30default_config_static_selectorELNS0_4arch9wavefront6targetE1EEEvS12_: ; @_ZN7rocprim17ROCPRIM_400000_NS6detail17trampoline_kernelINS0_13select_configILj256ELj13ELNS0_17block_load_methodE3ELS4_3ELS4_3ELNS0_20block_scan_algorithmE0ELj4294967295EEENS1_25partition_config_selectorILNS1_17partition_subalgoE4EjNS0_10empty_typeEbEEZZNS1_14partition_implILS8_4ELb0ES6_15HIP_vector_typeIjLj2EENS0_17counting_iteratorIjlEEPS9_SG_NS0_5tupleIJPjSI_NS0_16reverse_iteratorISI_EEEEENSH_IJSG_SG_SG_EEES9_SI_JZNS1_25segmented_radix_sort_implINS0_14default_configELb0EPKdPdPKlPlN2at6native12_GLOBAL__N_18offset_tEEE10hipError_tPvRmT1_PNSt15iterator_traitsIS12_E10value_typeET2_T3_PNS13_IS18_E10value_typeET4_jRbjT5_S1E_jjP12ihipStream_tbEUljE_ZNSN_ISO_Lb0ESQ_SR_ST_SU_SY_EESZ_S10_S11_S12_S16_S17_S18_S1B_S1C_jS1D_jS1E_S1E_jjS1G_bEUljE0_EEESZ_S10_S11_S18_S1C_S1E_T6_T7_T9_mT8_S1G_bDpT10_ENKUlT_T0_E_clISt17integral_constantIbLb0EES1T_IbLb1EEEEDaS1P_S1Q_EUlS1P_E_NS1_11comp_targetILNS1_3genE0ELNS1_11target_archE4294967295ELNS1_3gpuE0ELNS1_3repE0EEENS1_30default_config_static_selectorELNS0_4arch9wavefront6targetE1EEEvS12_
; %bb.0:
	.section	.rodata,"a",@progbits
	.p2align	6, 0x0
	.amdhsa_kernel _ZN7rocprim17ROCPRIM_400000_NS6detail17trampoline_kernelINS0_13select_configILj256ELj13ELNS0_17block_load_methodE3ELS4_3ELS4_3ELNS0_20block_scan_algorithmE0ELj4294967295EEENS1_25partition_config_selectorILNS1_17partition_subalgoE4EjNS0_10empty_typeEbEEZZNS1_14partition_implILS8_4ELb0ES6_15HIP_vector_typeIjLj2EENS0_17counting_iteratorIjlEEPS9_SG_NS0_5tupleIJPjSI_NS0_16reverse_iteratorISI_EEEEENSH_IJSG_SG_SG_EEES9_SI_JZNS1_25segmented_radix_sort_implINS0_14default_configELb0EPKdPdPKlPlN2at6native12_GLOBAL__N_18offset_tEEE10hipError_tPvRmT1_PNSt15iterator_traitsIS12_E10value_typeET2_T3_PNS13_IS18_E10value_typeET4_jRbjT5_S1E_jjP12ihipStream_tbEUljE_ZNSN_ISO_Lb0ESQ_SR_ST_SU_SY_EESZ_S10_S11_S12_S16_S17_S18_S1B_S1C_jS1D_jS1E_S1E_jjS1G_bEUljE0_EEESZ_S10_S11_S18_S1C_S1E_T6_T7_T9_mT8_S1G_bDpT10_ENKUlT_T0_E_clISt17integral_constantIbLb0EES1T_IbLb1EEEEDaS1P_S1Q_EUlS1P_E_NS1_11comp_targetILNS1_3genE0ELNS1_11target_archE4294967295ELNS1_3gpuE0ELNS1_3repE0EEENS1_30default_config_static_selectorELNS0_4arch9wavefront6targetE1EEEvS12_
		.amdhsa_group_segment_fixed_size 0
		.amdhsa_private_segment_fixed_size 0
		.amdhsa_kernarg_size 184
		.amdhsa_user_sgpr_count 6
		.amdhsa_user_sgpr_private_segment_buffer 1
		.amdhsa_user_sgpr_dispatch_ptr 0
		.amdhsa_user_sgpr_queue_ptr 0
		.amdhsa_user_sgpr_kernarg_segment_ptr 1
		.amdhsa_user_sgpr_dispatch_id 0
		.amdhsa_user_sgpr_flat_scratch_init 0
		.amdhsa_user_sgpr_kernarg_preload_length 0
		.amdhsa_user_sgpr_kernarg_preload_offset 0
		.amdhsa_user_sgpr_private_segment_size 0
		.amdhsa_uses_dynamic_stack 0
		.amdhsa_system_sgpr_private_segment_wavefront_offset 0
		.amdhsa_system_sgpr_workgroup_id_x 1
		.amdhsa_system_sgpr_workgroup_id_y 0
		.amdhsa_system_sgpr_workgroup_id_z 0
		.amdhsa_system_sgpr_workgroup_info 0
		.amdhsa_system_vgpr_workitem_id 0
		.amdhsa_next_free_vgpr 1
		.amdhsa_next_free_sgpr 0
		.amdhsa_accum_offset 4
		.amdhsa_reserve_vcc 0
		.amdhsa_reserve_flat_scratch 0
		.amdhsa_float_round_mode_32 0
		.amdhsa_float_round_mode_16_64 0
		.amdhsa_float_denorm_mode_32 3
		.amdhsa_float_denorm_mode_16_64 3
		.amdhsa_dx10_clamp 1
		.amdhsa_ieee_mode 1
		.amdhsa_fp16_overflow 0
		.amdhsa_tg_split 0
		.amdhsa_exception_fp_ieee_invalid_op 0
		.amdhsa_exception_fp_denorm_src 0
		.amdhsa_exception_fp_ieee_div_zero 0
		.amdhsa_exception_fp_ieee_overflow 0
		.amdhsa_exception_fp_ieee_underflow 0
		.amdhsa_exception_fp_ieee_inexact 0
		.amdhsa_exception_int_div_zero 0
	.end_amdhsa_kernel
	.section	.text._ZN7rocprim17ROCPRIM_400000_NS6detail17trampoline_kernelINS0_13select_configILj256ELj13ELNS0_17block_load_methodE3ELS4_3ELS4_3ELNS0_20block_scan_algorithmE0ELj4294967295EEENS1_25partition_config_selectorILNS1_17partition_subalgoE4EjNS0_10empty_typeEbEEZZNS1_14partition_implILS8_4ELb0ES6_15HIP_vector_typeIjLj2EENS0_17counting_iteratorIjlEEPS9_SG_NS0_5tupleIJPjSI_NS0_16reverse_iteratorISI_EEEEENSH_IJSG_SG_SG_EEES9_SI_JZNS1_25segmented_radix_sort_implINS0_14default_configELb0EPKdPdPKlPlN2at6native12_GLOBAL__N_18offset_tEEE10hipError_tPvRmT1_PNSt15iterator_traitsIS12_E10value_typeET2_T3_PNS13_IS18_E10value_typeET4_jRbjT5_S1E_jjP12ihipStream_tbEUljE_ZNSN_ISO_Lb0ESQ_SR_ST_SU_SY_EESZ_S10_S11_S12_S16_S17_S18_S1B_S1C_jS1D_jS1E_S1E_jjS1G_bEUljE0_EEESZ_S10_S11_S18_S1C_S1E_T6_T7_T9_mT8_S1G_bDpT10_ENKUlT_T0_E_clISt17integral_constantIbLb0EES1T_IbLb1EEEEDaS1P_S1Q_EUlS1P_E_NS1_11comp_targetILNS1_3genE0ELNS1_11target_archE4294967295ELNS1_3gpuE0ELNS1_3repE0EEENS1_30default_config_static_selectorELNS0_4arch9wavefront6targetE1EEEvS12_,"axG",@progbits,_ZN7rocprim17ROCPRIM_400000_NS6detail17trampoline_kernelINS0_13select_configILj256ELj13ELNS0_17block_load_methodE3ELS4_3ELS4_3ELNS0_20block_scan_algorithmE0ELj4294967295EEENS1_25partition_config_selectorILNS1_17partition_subalgoE4EjNS0_10empty_typeEbEEZZNS1_14partition_implILS8_4ELb0ES6_15HIP_vector_typeIjLj2EENS0_17counting_iteratorIjlEEPS9_SG_NS0_5tupleIJPjSI_NS0_16reverse_iteratorISI_EEEEENSH_IJSG_SG_SG_EEES9_SI_JZNS1_25segmented_radix_sort_implINS0_14default_configELb0EPKdPdPKlPlN2at6native12_GLOBAL__N_18offset_tEEE10hipError_tPvRmT1_PNSt15iterator_traitsIS12_E10value_typeET2_T3_PNS13_IS18_E10value_typeET4_jRbjT5_S1E_jjP12ihipStream_tbEUljE_ZNSN_ISO_Lb0ESQ_SR_ST_SU_SY_EESZ_S10_S11_S12_S16_S17_S18_S1B_S1C_jS1D_jS1E_S1E_jjS1G_bEUljE0_EEESZ_S10_S11_S18_S1C_S1E_T6_T7_T9_mT8_S1G_bDpT10_ENKUlT_T0_E_clISt17integral_constantIbLb0EES1T_IbLb1EEEEDaS1P_S1Q_EUlS1P_E_NS1_11comp_targetILNS1_3genE0ELNS1_11target_archE4294967295ELNS1_3gpuE0ELNS1_3repE0EEENS1_30default_config_static_selectorELNS0_4arch9wavefront6targetE1EEEvS12_,comdat
.Lfunc_end1179:
	.size	_ZN7rocprim17ROCPRIM_400000_NS6detail17trampoline_kernelINS0_13select_configILj256ELj13ELNS0_17block_load_methodE3ELS4_3ELS4_3ELNS0_20block_scan_algorithmE0ELj4294967295EEENS1_25partition_config_selectorILNS1_17partition_subalgoE4EjNS0_10empty_typeEbEEZZNS1_14partition_implILS8_4ELb0ES6_15HIP_vector_typeIjLj2EENS0_17counting_iteratorIjlEEPS9_SG_NS0_5tupleIJPjSI_NS0_16reverse_iteratorISI_EEEEENSH_IJSG_SG_SG_EEES9_SI_JZNS1_25segmented_radix_sort_implINS0_14default_configELb0EPKdPdPKlPlN2at6native12_GLOBAL__N_18offset_tEEE10hipError_tPvRmT1_PNSt15iterator_traitsIS12_E10value_typeET2_T3_PNS13_IS18_E10value_typeET4_jRbjT5_S1E_jjP12ihipStream_tbEUljE_ZNSN_ISO_Lb0ESQ_SR_ST_SU_SY_EESZ_S10_S11_S12_S16_S17_S18_S1B_S1C_jS1D_jS1E_S1E_jjS1G_bEUljE0_EEESZ_S10_S11_S18_S1C_S1E_T6_T7_T9_mT8_S1G_bDpT10_ENKUlT_T0_E_clISt17integral_constantIbLb0EES1T_IbLb1EEEEDaS1P_S1Q_EUlS1P_E_NS1_11comp_targetILNS1_3genE0ELNS1_11target_archE4294967295ELNS1_3gpuE0ELNS1_3repE0EEENS1_30default_config_static_selectorELNS0_4arch9wavefront6targetE1EEEvS12_, .Lfunc_end1179-_ZN7rocprim17ROCPRIM_400000_NS6detail17trampoline_kernelINS0_13select_configILj256ELj13ELNS0_17block_load_methodE3ELS4_3ELS4_3ELNS0_20block_scan_algorithmE0ELj4294967295EEENS1_25partition_config_selectorILNS1_17partition_subalgoE4EjNS0_10empty_typeEbEEZZNS1_14partition_implILS8_4ELb0ES6_15HIP_vector_typeIjLj2EENS0_17counting_iteratorIjlEEPS9_SG_NS0_5tupleIJPjSI_NS0_16reverse_iteratorISI_EEEEENSH_IJSG_SG_SG_EEES9_SI_JZNS1_25segmented_radix_sort_implINS0_14default_configELb0EPKdPdPKlPlN2at6native12_GLOBAL__N_18offset_tEEE10hipError_tPvRmT1_PNSt15iterator_traitsIS12_E10value_typeET2_T3_PNS13_IS18_E10value_typeET4_jRbjT5_S1E_jjP12ihipStream_tbEUljE_ZNSN_ISO_Lb0ESQ_SR_ST_SU_SY_EESZ_S10_S11_S12_S16_S17_S18_S1B_S1C_jS1D_jS1E_S1E_jjS1G_bEUljE0_EEESZ_S10_S11_S18_S1C_S1E_T6_T7_T9_mT8_S1G_bDpT10_ENKUlT_T0_E_clISt17integral_constantIbLb0EES1T_IbLb1EEEEDaS1P_S1Q_EUlS1P_E_NS1_11comp_targetILNS1_3genE0ELNS1_11target_archE4294967295ELNS1_3gpuE0ELNS1_3repE0EEENS1_30default_config_static_selectorELNS0_4arch9wavefront6targetE1EEEvS12_
                                        ; -- End function
	.section	.AMDGPU.csdata,"",@progbits
; Kernel info:
; codeLenInByte = 0
; NumSgprs: 4
; NumVgprs: 0
; NumAgprs: 0
; TotalNumVgprs: 0
; ScratchSize: 0
; MemoryBound: 0
; FloatMode: 240
; IeeeMode: 1
; LDSByteSize: 0 bytes/workgroup (compile time only)
; SGPRBlocks: 0
; VGPRBlocks: 0
; NumSGPRsForWavesPerEU: 4
; NumVGPRsForWavesPerEU: 1
; AccumOffset: 4
; Occupancy: 8
; WaveLimiterHint : 0
; COMPUTE_PGM_RSRC2:SCRATCH_EN: 0
; COMPUTE_PGM_RSRC2:USER_SGPR: 6
; COMPUTE_PGM_RSRC2:TRAP_HANDLER: 0
; COMPUTE_PGM_RSRC2:TGID_X_EN: 1
; COMPUTE_PGM_RSRC2:TGID_Y_EN: 0
; COMPUTE_PGM_RSRC2:TGID_Z_EN: 0
; COMPUTE_PGM_RSRC2:TIDIG_COMP_CNT: 0
; COMPUTE_PGM_RSRC3_GFX90A:ACCUM_OFFSET: 0
; COMPUTE_PGM_RSRC3_GFX90A:TG_SPLIT: 0
	.section	.text._ZN7rocprim17ROCPRIM_400000_NS6detail17trampoline_kernelINS0_13select_configILj256ELj13ELNS0_17block_load_methodE3ELS4_3ELS4_3ELNS0_20block_scan_algorithmE0ELj4294967295EEENS1_25partition_config_selectorILNS1_17partition_subalgoE4EjNS0_10empty_typeEbEEZZNS1_14partition_implILS8_4ELb0ES6_15HIP_vector_typeIjLj2EENS0_17counting_iteratorIjlEEPS9_SG_NS0_5tupleIJPjSI_NS0_16reverse_iteratorISI_EEEEENSH_IJSG_SG_SG_EEES9_SI_JZNS1_25segmented_radix_sort_implINS0_14default_configELb0EPKdPdPKlPlN2at6native12_GLOBAL__N_18offset_tEEE10hipError_tPvRmT1_PNSt15iterator_traitsIS12_E10value_typeET2_T3_PNS13_IS18_E10value_typeET4_jRbjT5_S1E_jjP12ihipStream_tbEUljE_ZNSN_ISO_Lb0ESQ_SR_ST_SU_SY_EESZ_S10_S11_S12_S16_S17_S18_S1B_S1C_jS1D_jS1E_S1E_jjS1G_bEUljE0_EEESZ_S10_S11_S18_S1C_S1E_T6_T7_T9_mT8_S1G_bDpT10_ENKUlT_T0_E_clISt17integral_constantIbLb0EES1T_IbLb1EEEEDaS1P_S1Q_EUlS1P_E_NS1_11comp_targetILNS1_3genE5ELNS1_11target_archE942ELNS1_3gpuE9ELNS1_3repE0EEENS1_30default_config_static_selectorELNS0_4arch9wavefront6targetE1EEEvS12_,"axG",@progbits,_ZN7rocprim17ROCPRIM_400000_NS6detail17trampoline_kernelINS0_13select_configILj256ELj13ELNS0_17block_load_methodE3ELS4_3ELS4_3ELNS0_20block_scan_algorithmE0ELj4294967295EEENS1_25partition_config_selectorILNS1_17partition_subalgoE4EjNS0_10empty_typeEbEEZZNS1_14partition_implILS8_4ELb0ES6_15HIP_vector_typeIjLj2EENS0_17counting_iteratorIjlEEPS9_SG_NS0_5tupleIJPjSI_NS0_16reverse_iteratorISI_EEEEENSH_IJSG_SG_SG_EEES9_SI_JZNS1_25segmented_radix_sort_implINS0_14default_configELb0EPKdPdPKlPlN2at6native12_GLOBAL__N_18offset_tEEE10hipError_tPvRmT1_PNSt15iterator_traitsIS12_E10value_typeET2_T3_PNS13_IS18_E10value_typeET4_jRbjT5_S1E_jjP12ihipStream_tbEUljE_ZNSN_ISO_Lb0ESQ_SR_ST_SU_SY_EESZ_S10_S11_S12_S16_S17_S18_S1B_S1C_jS1D_jS1E_S1E_jjS1G_bEUljE0_EEESZ_S10_S11_S18_S1C_S1E_T6_T7_T9_mT8_S1G_bDpT10_ENKUlT_T0_E_clISt17integral_constantIbLb0EES1T_IbLb1EEEEDaS1P_S1Q_EUlS1P_E_NS1_11comp_targetILNS1_3genE5ELNS1_11target_archE942ELNS1_3gpuE9ELNS1_3repE0EEENS1_30default_config_static_selectorELNS0_4arch9wavefront6targetE1EEEvS12_,comdat
	.globl	_ZN7rocprim17ROCPRIM_400000_NS6detail17trampoline_kernelINS0_13select_configILj256ELj13ELNS0_17block_load_methodE3ELS4_3ELS4_3ELNS0_20block_scan_algorithmE0ELj4294967295EEENS1_25partition_config_selectorILNS1_17partition_subalgoE4EjNS0_10empty_typeEbEEZZNS1_14partition_implILS8_4ELb0ES6_15HIP_vector_typeIjLj2EENS0_17counting_iteratorIjlEEPS9_SG_NS0_5tupleIJPjSI_NS0_16reverse_iteratorISI_EEEEENSH_IJSG_SG_SG_EEES9_SI_JZNS1_25segmented_radix_sort_implINS0_14default_configELb0EPKdPdPKlPlN2at6native12_GLOBAL__N_18offset_tEEE10hipError_tPvRmT1_PNSt15iterator_traitsIS12_E10value_typeET2_T3_PNS13_IS18_E10value_typeET4_jRbjT5_S1E_jjP12ihipStream_tbEUljE_ZNSN_ISO_Lb0ESQ_SR_ST_SU_SY_EESZ_S10_S11_S12_S16_S17_S18_S1B_S1C_jS1D_jS1E_S1E_jjS1G_bEUljE0_EEESZ_S10_S11_S18_S1C_S1E_T6_T7_T9_mT8_S1G_bDpT10_ENKUlT_T0_E_clISt17integral_constantIbLb0EES1T_IbLb1EEEEDaS1P_S1Q_EUlS1P_E_NS1_11comp_targetILNS1_3genE5ELNS1_11target_archE942ELNS1_3gpuE9ELNS1_3repE0EEENS1_30default_config_static_selectorELNS0_4arch9wavefront6targetE1EEEvS12_ ; -- Begin function _ZN7rocprim17ROCPRIM_400000_NS6detail17trampoline_kernelINS0_13select_configILj256ELj13ELNS0_17block_load_methodE3ELS4_3ELS4_3ELNS0_20block_scan_algorithmE0ELj4294967295EEENS1_25partition_config_selectorILNS1_17partition_subalgoE4EjNS0_10empty_typeEbEEZZNS1_14partition_implILS8_4ELb0ES6_15HIP_vector_typeIjLj2EENS0_17counting_iteratorIjlEEPS9_SG_NS0_5tupleIJPjSI_NS0_16reverse_iteratorISI_EEEEENSH_IJSG_SG_SG_EEES9_SI_JZNS1_25segmented_radix_sort_implINS0_14default_configELb0EPKdPdPKlPlN2at6native12_GLOBAL__N_18offset_tEEE10hipError_tPvRmT1_PNSt15iterator_traitsIS12_E10value_typeET2_T3_PNS13_IS18_E10value_typeET4_jRbjT5_S1E_jjP12ihipStream_tbEUljE_ZNSN_ISO_Lb0ESQ_SR_ST_SU_SY_EESZ_S10_S11_S12_S16_S17_S18_S1B_S1C_jS1D_jS1E_S1E_jjS1G_bEUljE0_EEESZ_S10_S11_S18_S1C_S1E_T6_T7_T9_mT8_S1G_bDpT10_ENKUlT_T0_E_clISt17integral_constantIbLb0EES1T_IbLb1EEEEDaS1P_S1Q_EUlS1P_E_NS1_11comp_targetILNS1_3genE5ELNS1_11target_archE942ELNS1_3gpuE9ELNS1_3repE0EEENS1_30default_config_static_selectorELNS0_4arch9wavefront6targetE1EEEvS12_
	.p2align	8
	.type	_ZN7rocprim17ROCPRIM_400000_NS6detail17trampoline_kernelINS0_13select_configILj256ELj13ELNS0_17block_load_methodE3ELS4_3ELS4_3ELNS0_20block_scan_algorithmE0ELj4294967295EEENS1_25partition_config_selectorILNS1_17partition_subalgoE4EjNS0_10empty_typeEbEEZZNS1_14partition_implILS8_4ELb0ES6_15HIP_vector_typeIjLj2EENS0_17counting_iteratorIjlEEPS9_SG_NS0_5tupleIJPjSI_NS0_16reverse_iteratorISI_EEEEENSH_IJSG_SG_SG_EEES9_SI_JZNS1_25segmented_radix_sort_implINS0_14default_configELb0EPKdPdPKlPlN2at6native12_GLOBAL__N_18offset_tEEE10hipError_tPvRmT1_PNSt15iterator_traitsIS12_E10value_typeET2_T3_PNS13_IS18_E10value_typeET4_jRbjT5_S1E_jjP12ihipStream_tbEUljE_ZNSN_ISO_Lb0ESQ_SR_ST_SU_SY_EESZ_S10_S11_S12_S16_S17_S18_S1B_S1C_jS1D_jS1E_S1E_jjS1G_bEUljE0_EEESZ_S10_S11_S18_S1C_S1E_T6_T7_T9_mT8_S1G_bDpT10_ENKUlT_T0_E_clISt17integral_constantIbLb0EES1T_IbLb1EEEEDaS1P_S1Q_EUlS1P_E_NS1_11comp_targetILNS1_3genE5ELNS1_11target_archE942ELNS1_3gpuE9ELNS1_3repE0EEENS1_30default_config_static_selectorELNS0_4arch9wavefront6targetE1EEEvS12_,@function
_ZN7rocprim17ROCPRIM_400000_NS6detail17trampoline_kernelINS0_13select_configILj256ELj13ELNS0_17block_load_methodE3ELS4_3ELS4_3ELNS0_20block_scan_algorithmE0ELj4294967295EEENS1_25partition_config_selectorILNS1_17partition_subalgoE4EjNS0_10empty_typeEbEEZZNS1_14partition_implILS8_4ELb0ES6_15HIP_vector_typeIjLj2EENS0_17counting_iteratorIjlEEPS9_SG_NS0_5tupleIJPjSI_NS0_16reverse_iteratorISI_EEEEENSH_IJSG_SG_SG_EEES9_SI_JZNS1_25segmented_radix_sort_implINS0_14default_configELb0EPKdPdPKlPlN2at6native12_GLOBAL__N_18offset_tEEE10hipError_tPvRmT1_PNSt15iterator_traitsIS12_E10value_typeET2_T3_PNS13_IS18_E10value_typeET4_jRbjT5_S1E_jjP12ihipStream_tbEUljE_ZNSN_ISO_Lb0ESQ_SR_ST_SU_SY_EESZ_S10_S11_S12_S16_S17_S18_S1B_S1C_jS1D_jS1E_S1E_jjS1G_bEUljE0_EEESZ_S10_S11_S18_S1C_S1E_T6_T7_T9_mT8_S1G_bDpT10_ENKUlT_T0_E_clISt17integral_constantIbLb0EES1T_IbLb1EEEEDaS1P_S1Q_EUlS1P_E_NS1_11comp_targetILNS1_3genE5ELNS1_11target_archE942ELNS1_3gpuE9ELNS1_3repE0EEENS1_30default_config_static_selectorELNS0_4arch9wavefront6targetE1EEEvS12_: ; @_ZN7rocprim17ROCPRIM_400000_NS6detail17trampoline_kernelINS0_13select_configILj256ELj13ELNS0_17block_load_methodE3ELS4_3ELS4_3ELNS0_20block_scan_algorithmE0ELj4294967295EEENS1_25partition_config_selectorILNS1_17partition_subalgoE4EjNS0_10empty_typeEbEEZZNS1_14partition_implILS8_4ELb0ES6_15HIP_vector_typeIjLj2EENS0_17counting_iteratorIjlEEPS9_SG_NS0_5tupleIJPjSI_NS0_16reverse_iteratorISI_EEEEENSH_IJSG_SG_SG_EEES9_SI_JZNS1_25segmented_radix_sort_implINS0_14default_configELb0EPKdPdPKlPlN2at6native12_GLOBAL__N_18offset_tEEE10hipError_tPvRmT1_PNSt15iterator_traitsIS12_E10value_typeET2_T3_PNS13_IS18_E10value_typeET4_jRbjT5_S1E_jjP12ihipStream_tbEUljE_ZNSN_ISO_Lb0ESQ_SR_ST_SU_SY_EESZ_S10_S11_S12_S16_S17_S18_S1B_S1C_jS1D_jS1E_S1E_jjS1G_bEUljE0_EEESZ_S10_S11_S18_S1C_S1E_T6_T7_T9_mT8_S1G_bDpT10_ENKUlT_T0_E_clISt17integral_constantIbLb0EES1T_IbLb1EEEEDaS1P_S1Q_EUlS1P_E_NS1_11comp_targetILNS1_3genE5ELNS1_11target_archE942ELNS1_3gpuE9ELNS1_3repE0EEENS1_30default_config_static_selectorELNS0_4arch9wavefront6targetE1EEEvS12_
; %bb.0:
	.section	.rodata,"a",@progbits
	.p2align	6, 0x0
	.amdhsa_kernel _ZN7rocprim17ROCPRIM_400000_NS6detail17trampoline_kernelINS0_13select_configILj256ELj13ELNS0_17block_load_methodE3ELS4_3ELS4_3ELNS0_20block_scan_algorithmE0ELj4294967295EEENS1_25partition_config_selectorILNS1_17partition_subalgoE4EjNS0_10empty_typeEbEEZZNS1_14partition_implILS8_4ELb0ES6_15HIP_vector_typeIjLj2EENS0_17counting_iteratorIjlEEPS9_SG_NS0_5tupleIJPjSI_NS0_16reverse_iteratorISI_EEEEENSH_IJSG_SG_SG_EEES9_SI_JZNS1_25segmented_radix_sort_implINS0_14default_configELb0EPKdPdPKlPlN2at6native12_GLOBAL__N_18offset_tEEE10hipError_tPvRmT1_PNSt15iterator_traitsIS12_E10value_typeET2_T3_PNS13_IS18_E10value_typeET4_jRbjT5_S1E_jjP12ihipStream_tbEUljE_ZNSN_ISO_Lb0ESQ_SR_ST_SU_SY_EESZ_S10_S11_S12_S16_S17_S18_S1B_S1C_jS1D_jS1E_S1E_jjS1G_bEUljE0_EEESZ_S10_S11_S18_S1C_S1E_T6_T7_T9_mT8_S1G_bDpT10_ENKUlT_T0_E_clISt17integral_constantIbLb0EES1T_IbLb1EEEEDaS1P_S1Q_EUlS1P_E_NS1_11comp_targetILNS1_3genE5ELNS1_11target_archE942ELNS1_3gpuE9ELNS1_3repE0EEENS1_30default_config_static_selectorELNS0_4arch9wavefront6targetE1EEEvS12_
		.amdhsa_group_segment_fixed_size 0
		.amdhsa_private_segment_fixed_size 0
		.amdhsa_kernarg_size 184
		.amdhsa_user_sgpr_count 6
		.amdhsa_user_sgpr_private_segment_buffer 1
		.amdhsa_user_sgpr_dispatch_ptr 0
		.amdhsa_user_sgpr_queue_ptr 0
		.amdhsa_user_sgpr_kernarg_segment_ptr 1
		.amdhsa_user_sgpr_dispatch_id 0
		.amdhsa_user_sgpr_flat_scratch_init 0
		.amdhsa_user_sgpr_kernarg_preload_length 0
		.amdhsa_user_sgpr_kernarg_preload_offset 0
		.amdhsa_user_sgpr_private_segment_size 0
		.amdhsa_uses_dynamic_stack 0
		.amdhsa_system_sgpr_private_segment_wavefront_offset 0
		.amdhsa_system_sgpr_workgroup_id_x 1
		.amdhsa_system_sgpr_workgroup_id_y 0
		.amdhsa_system_sgpr_workgroup_id_z 0
		.amdhsa_system_sgpr_workgroup_info 0
		.amdhsa_system_vgpr_workitem_id 0
		.amdhsa_next_free_vgpr 1
		.amdhsa_next_free_sgpr 0
		.amdhsa_accum_offset 4
		.amdhsa_reserve_vcc 0
		.amdhsa_reserve_flat_scratch 0
		.amdhsa_float_round_mode_32 0
		.amdhsa_float_round_mode_16_64 0
		.amdhsa_float_denorm_mode_32 3
		.amdhsa_float_denorm_mode_16_64 3
		.amdhsa_dx10_clamp 1
		.amdhsa_ieee_mode 1
		.amdhsa_fp16_overflow 0
		.amdhsa_tg_split 0
		.amdhsa_exception_fp_ieee_invalid_op 0
		.amdhsa_exception_fp_denorm_src 0
		.amdhsa_exception_fp_ieee_div_zero 0
		.amdhsa_exception_fp_ieee_overflow 0
		.amdhsa_exception_fp_ieee_underflow 0
		.amdhsa_exception_fp_ieee_inexact 0
		.amdhsa_exception_int_div_zero 0
	.end_amdhsa_kernel
	.section	.text._ZN7rocprim17ROCPRIM_400000_NS6detail17trampoline_kernelINS0_13select_configILj256ELj13ELNS0_17block_load_methodE3ELS4_3ELS4_3ELNS0_20block_scan_algorithmE0ELj4294967295EEENS1_25partition_config_selectorILNS1_17partition_subalgoE4EjNS0_10empty_typeEbEEZZNS1_14partition_implILS8_4ELb0ES6_15HIP_vector_typeIjLj2EENS0_17counting_iteratorIjlEEPS9_SG_NS0_5tupleIJPjSI_NS0_16reverse_iteratorISI_EEEEENSH_IJSG_SG_SG_EEES9_SI_JZNS1_25segmented_radix_sort_implINS0_14default_configELb0EPKdPdPKlPlN2at6native12_GLOBAL__N_18offset_tEEE10hipError_tPvRmT1_PNSt15iterator_traitsIS12_E10value_typeET2_T3_PNS13_IS18_E10value_typeET4_jRbjT5_S1E_jjP12ihipStream_tbEUljE_ZNSN_ISO_Lb0ESQ_SR_ST_SU_SY_EESZ_S10_S11_S12_S16_S17_S18_S1B_S1C_jS1D_jS1E_S1E_jjS1G_bEUljE0_EEESZ_S10_S11_S18_S1C_S1E_T6_T7_T9_mT8_S1G_bDpT10_ENKUlT_T0_E_clISt17integral_constantIbLb0EES1T_IbLb1EEEEDaS1P_S1Q_EUlS1P_E_NS1_11comp_targetILNS1_3genE5ELNS1_11target_archE942ELNS1_3gpuE9ELNS1_3repE0EEENS1_30default_config_static_selectorELNS0_4arch9wavefront6targetE1EEEvS12_,"axG",@progbits,_ZN7rocprim17ROCPRIM_400000_NS6detail17trampoline_kernelINS0_13select_configILj256ELj13ELNS0_17block_load_methodE3ELS4_3ELS4_3ELNS0_20block_scan_algorithmE0ELj4294967295EEENS1_25partition_config_selectorILNS1_17partition_subalgoE4EjNS0_10empty_typeEbEEZZNS1_14partition_implILS8_4ELb0ES6_15HIP_vector_typeIjLj2EENS0_17counting_iteratorIjlEEPS9_SG_NS0_5tupleIJPjSI_NS0_16reverse_iteratorISI_EEEEENSH_IJSG_SG_SG_EEES9_SI_JZNS1_25segmented_radix_sort_implINS0_14default_configELb0EPKdPdPKlPlN2at6native12_GLOBAL__N_18offset_tEEE10hipError_tPvRmT1_PNSt15iterator_traitsIS12_E10value_typeET2_T3_PNS13_IS18_E10value_typeET4_jRbjT5_S1E_jjP12ihipStream_tbEUljE_ZNSN_ISO_Lb0ESQ_SR_ST_SU_SY_EESZ_S10_S11_S12_S16_S17_S18_S1B_S1C_jS1D_jS1E_S1E_jjS1G_bEUljE0_EEESZ_S10_S11_S18_S1C_S1E_T6_T7_T9_mT8_S1G_bDpT10_ENKUlT_T0_E_clISt17integral_constantIbLb0EES1T_IbLb1EEEEDaS1P_S1Q_EUlS1P_E_NS1_11comp_targetILNS1_3genE5ELNS1_11target_archE942ELNS1_3gpuE9ELNS1_3repE0EEENS1_30default_config_static_selectorELNS0_4arch9wavefront6targetE1EEEvS12_,comdat
.Lfunc_end1180:
	.size	_ZN7rocprim17ROCPRIM_400000_NS6detail17trampoline_kernelINS0_13select_configILj256ELj13ELNS0_17block_load_methodE3ELS4_3ELS4_3ELNS0_20block_scan_algorithmE0ELj4294967295EEENS1_25partition_config_selectorILNS1_17partition_subalgoE4EjNS0_10empty_typeEbEEZZNS1_14partition_implILS8_4ELb0ES6_15HIP_vector_typeIjLj2EENS0_17counting_iteratorIjlEEPS9_SG_NS0_5tupleIJPjSI_NS0_16reverse_iteratorISI_EEEEENSH_IJSG_SG_SG_EEES9_SI_JZNS1_25segmented_radix_sort_implINS0_14default_configELb0EPKdPdPKlPlN2at6native12_GLOBAL__N_18offset_tEEE10hipError_tPvRmT1_PNSt15iterator_traitsIS12_E10value_typeET2_T3_PNS13_IS18_E10value_typeET4_jRbjT5_S1E_jjP12ihipStream_tbEUljE_ZNSN_ISO_Lb0ESQ_SR_ST_SU_SY_EESZ_S10_S11_S12_S16_S17_S18_S1B_S1C_jS1D_jS1E_S1E_jjS1G_bEUljE0_EEESZ_S10_S11_S18_S1C_S1E_T6_T7_T9_mT8_S1G_bDpT10_ENKUlT_T0_E_clISt17integral_constantIbLb0EES1T_IbLb1EEEEDaS1P_S1Q_EUlS1P_E_NS1_11comp_targetILNS1_3genE5ELNS1_11target_archE942ELNS1_3gpuE9ELNS1_3repE0EEENS1_30default_config_static_selectorELNS0_4arch9wavefront6targetE1EEEvS12_, .Lfunc_end1180-_ZN7rocprim17ROCPRIM_400000_NS6detail17trampoline_kernelINS0_13select_configILj256ELj13ELNS0_17block_load_methodE3ELS4_3ELS4_3ELNS0_20block_scan_algorithmE0ELj4294967295EEENS1_25partition_config_selectorILNS1_17partition_subalgoE4EjNS0_10empty_typeEbEEZZNS1_14partition_implILS8_4ELb0ES6_15HIP_vector_typeIjLj2EENS0_17counting_iteratorIjlEEPS9_SG_NS0_5tupleIJPjSI_NS0_16reverse_iteratorISI_EEEEENSH_IJSG_SG_SG_EEES9_SI_JZNS1_25segmented_radix_sort_implINS0_14default_configELb0EPKdPdPKlPlN2at6native12_GLOBAL__N_18offset_tEEE10hipError_tPvRmT1_PNSt15iterator_traitsIS12_E10value_typeET2_T3_PNS13_IS18_E10value_typeET4_jRbjT5_S1E_jjP12ihipStream_tbEUljE_ZNSN_ISO_Lb0ESQ_SR_ST_SU_SY_EESZ_S10_S11_S12_S16_S17_S18_S1B_S1C_jS1D_jS1E_S1E_jjS1G_bEUljE0_EEESZ_S10_S11_S18_S1C_S1E_T6_T7_T9_mT8_S1G_bDpT10_ENKUlT_T0_E_clISt17integral_constantIbLb0EES1T_IbLb1EEEEDaS1P_S1Q_EUlS1P_E_NS1_11comp_targetILNS1_3genE5ELNS1_11target_archE942ELNS1_3gpuE9ELNS1_3repE0EEENS1_30default_config_static_selectorELNS0_4arch9wavefront6targetE1EEEvS12_
                                        ; -- End function
	.section	.AMDGPU.csdata,"",@progbits
; Kernel info:
; codeLenInByte = 0
; NumSgprs: 4
; NumVgprs: 0
; NumAgprs: 0
; TotalNumVgprs: 0
; ScratchSize: 0
; MemoryBound: 0
; FloatMode: 240
; IeeeMode: 1
; LDSByteSize: 0 bytes/workgroup (compile time only)
; SGPRBlocks: 0
; VGPRBlocks: 0
; NumSGPRsForWavesPerEU: 4
; NumVGPRsForWavesPerEU: 1
; AccumOffset: 4
; Occupancy: 8
; WaveLimiterHint : 0
; COMPUTE_PGM_RSRC2:SCRATCH_EN: 0
; COMPUTE_PGM_RSRC2:USER_SGPR: 6
; COMPUTE_PGM_RSRC2:TRAP_HANDLER: 0
; COMPUTE_PGM_RSRC2:TGID_X_EN: 1
; COMPUTE_PGM_RSRC2:TGID_Y_EN: 0
; COMPUTE_PGM_RSRC2:TGID_Z_EN: 0
; COMPUTE_PGM_RSRC2:TIDIG_COMP_CNT: 0
; COMPUTE_PGM_RSRC3_GFX90A:ACCUM_OFFSET: 0
; COMPUTE_PGM_RSRC3_GFX90A:TG_SPLIT: 0
	.section	.text._ZN7rocprim17ROCPRIM_400000_NS6detail17trampoline_kernelINS0_13select_configILj256ELj13ELNS0_17block_load_methodE3ELS4_3ELS4_3ELNS0_20block_scan_algorithmE0ELj4294967295EEENS1_25partition_config_selectorILNS1_17partition_subalgoE4EjNS0_10empty_typeEbEEZZNS1_14partition_implILS8_4ELb0ES6_15HIP_vector_typeIjLj2EENS0_17counting_iteratorIjlEEPS9_SG_NS0_5tupleIJPjSI_NS0_16reverse_iteratorISI_EEEEENSH_IJSG_SG_SG_EEES9_SI_JZNS1_25segmented_radix_sort_implINS0_14default_configELb0EPKdPdPKlPlN2at6native12_GLOBAL__N_18offset_tEEE10hipError_tPvRmT1_PNSt15iterator_traitsIS12_E10value_typeET2_T3_PNS13_IS18_E10value_typeET4_jRbjT5_S1E_jjP12ihipStream_tbEUljE_ZNSN_ISO_Lb0ESQ_SR_ST_SU_SY_EESZ_S10_S11_S12_S16_S17_S18_S1B_S1C_jS1D_jS1E_S1E_jjS1G_bEUljE0_EEESZ_S10_S11_S18_S1C_S1E_T6_T7_T9_mT8_S1G_bDpT10_ENKUlT_T0_E_clISt17integral_constantIbLb0EES1T_IbLb1EEEEDaS1P_S1Q_EUlS1P_E_NS1_11comp_targetILNS1_3genE4ELNS1_11target_archE910ELNS1_3gpuE8ELNS1_3repE0EEENS1_30default_config_static_selectorELNS0_4arch9wavefront6targetE1EEEvS12_,"axG",@progbits,_ZN7rocprim17ROCPRIM_400000_NS6detail17trampoline_kernelINS0_13select_configILj256ELj13ELNS0_17block_load_methodE3ELS4_3ELS4_3ELNS0_20block_scan_algorithmE0ELj4294967295EEENS1_25partition_config_selectorILNS1_17partition_subalgoE4EjNS0_10empty_typeEbEEZZNS1_14partition_implILS8_4ELb0ES6_15HIP_vector_typeIjLj2EENS0_17counting_iteratorIjlEEPS9_SG_NS0_5tupleIJPjSI_NS0_16reverse_iteratorISI_EEEEENSH_IJSG_SG_SG_EEES9_SI_JZNS1_25segmented_radix_sort_implINS0_14default_configELb0EPKdPdPKlPlN2at6native12_GLOBAL__N_18offset_tEEE10hipError_tPvRmT1_PNSt15iterator_traitsIS12_E10value_typeET2_T3_PNS13_IS18_E10value_typeET4_jRbjT5_S1E_jjP12ihipStream_tbEUljE_ZNSN_ISO_Lb0ESQ_SR_ST_SU_SY_EESZ_S10_S11_S12_S16_S17_S18_S1B_S1C_jS1D_jS1E_S1E_jjS1G_bEUljE0_EEESZ_S10_S11_S18_S1C_S1E_T6_T7_T9_mT8_S1G_bDpT10_ENKUlT_T0_E_clISt17integral_constantIbLb0EES1T_IbLb1EEEEDaS1P_S1Q_EUlS1P_E_NS1_11comp_targetILNS1_3genE4ELNS1_11target_archE910ELNS1_3gpuE8ELNS1_3repE0EEENS1_30default_config_static_selectorELNS0_4arch9wavefront6targetE1EEEvS12_,comdat
	.globl	_ZN7rocprim17ROCPRIM_400000_NS6detail17trampoline_kernelINS0_13select_configILj256ELj13ELNS0_17block_load_methodE3ELS4_3ELS4_3ELNS0_20block_scan_algorithmE0ELj4294967295EEENS1_25partition_config_selectorILNS1_17partition_subalgoE4EjNS0_10empty_typeEbEEZZNS1_14partition_implILS8_4ELb0ES6_15HIP_vector_typeIjLj2EENS0_17counting_iteratorIjlEEPS9_SG_NS0_5tupleIJPjSI_NS0_16reverse_iteratorISI_EEEEENSH_IJSG_SG_SG_EEES9_SI_JZNS1_25segmented_radix_sort_implINS0_14default_configELb0EPKdPdPKlPlN2at6native12_GLOBAL__N_18offset_tEEE10hipError_tPvRmT1_PNSt15iterator_traitsIS12_E10value_typeET2_T3_PNS13_IS18_E10value_typeET4_jRbjT5_S1E_jjP12ihipStream_tbEUljE_ZNSN_ISO_Lb0ESQ_SR_ST_SU_SY_EESZ_S10_S11_S12_S16_S17_S18_S1B_S1C_jS1D_jS1E_S1E_jjS1G_bEUljE0_EEESZ_S10_S11_S18_S1C_S1E_T6_T7_T9_mT8_S1G_bDpT10_ENKUlT_T0_E_clISt17integral_constantIbLb0EES1T_IbLb1EEEEDaS1P_S1Q_EUlS1P_E_NS1_11comp_targetILNS1_3genE4ELNS1_11target_archE910ELNS1_3gpuE8ELNS1_3repE0EEENS1_30default_config_static_selectorELNS0_4arch9wavefront6targetE1EEEvS12_ ; -- Begin function _ZN7rocprim17ROCPRIM_400000_NS6detail17trampoline_kernelINS0_13select_configILj256ELj13ELNS0_17block_load_methodE3ELS4_3ELS4_3ELNS0_20block_scan_algorithmE0ELj4294967295EEENS1_25partition_config_selectorILNS1_17partition_subalgoE4EjNS0_10empty_typeEbEEZZNS1_14partition_implILS8_4ELb0ES6_15HIP_vector_typeIjLj2EENS0_17counting_iteratorIjlEEPS9_SG_NS0_5tupleIJPjSI_NS0_16reverse_iteratorISI_EEEEENSH_IJSG_SG_SG_EEES9_SI_JZNS1_25segmented_radix_sort_implINS0_14default_configELb0EPKdPdPKlPlN2at6native12_GLOBAL__N_18offset_tEEE10hipError_tPvRmT1_PNSt15iterator_traitsIS12_E10value_typeET2_T3_PNS13_IS18_E10value_typeET4_jRbjT5_S1E_jjP12ihipStream_tbEUljE_ZNSN_ISO_Lb0ESQ_SR_ST_SU_SY_EESZ_S10_S11_S12_S16_S17_S18_S1B_S1C_jS1D_jS1E_S1E_jjS1G_bEUljE0_EEESZ_S10_S11_S18_S1C_S1E_T6_T7_T9_mT8_S1G_bDpT10_ENKUlT_T0_E_clISt17integral_constantIbLb0EES1T_IbLb1EEEEDaS1P_S1Q_EUlS1P_E_NS1_11comp_targetILNS1_3genE4ELNS1_11target_archE910ELNS1_3gpuE8ELNS1_3repE0EEENS1_30default_config_static_selectorELNS0_4arch9wavefront6targetE1EEEvS12_
	.p2align	8
	.type	_ZN7rocprim17ROCPRIM_400000_NS6detail17trampoline_kernelINS0_13select_configILj256ELj13ELNS0_17block_load_methodE3ELS4_3ELS4_3ELNS0_20block_scan_algorithmE0ELj4294967295EEENS1_25partition_config_selectorILNS1_17partition_subalgoE4EjNS0_10empty_typeEbEEZZNS1_14partition_implILS8_4ELb0ES6_15HIP_vector_typeIjLj2EENS0_17counting_iteratorIjlEEPS9_SG_NS0_5tupleIJPjSI_NS0_16reverse_iteratorISI_EEEEENSH_IJSG_SG_SG_EEES9_SI_JZNS1_25segmented_radix_sort_implINS0_14default_configELb0EPKdPdPKlPlN2at6native12_GLOBAL__N_18offset_tEEE10hipError_tPvRmT1_PNSt15iterator_traitsIS12_E10value_typeET2_T3_PNS13_IS18_E10value_typeET4_jRbjT5_S1E_jjP12ihipStream_tbEUljE_ZNSN_ISO_Lb0ESQ_SR_ST_SU_SY_EESZ_S10_S11_S12_S16_S17_S18_S1B_S1C_jS1D_jS1E_S1E_jjS1G_bEUljE0_EEESZ_S10_S11_S18_S1C_S1E_T6_T7_T9_mT8_S1G_bDpT10_ENKUlT_T0_E_clISt17integral_constantIbLb0EES1T_IbLb1EEEEDaS1P_S1Q_EUlS1P_E_NS1_11comp_targetILNS1_3genE4ELNS1_11target_archE910ELNS1_3gpuE8ELNS1_3repE0EEENS1_30default_config_static_selectorELNS0_4arch9wavefront6targetE1EEEvS12_,@function
_ZN7rocprim17ROCPRIM_400000_NS6detail17trampoline_kernelINS0_13select_configILj256ELj13ELNS0_17block_load_methodE3ELS4_3ELS4_3ELNS0_20block_scan_algorithmE0ELj4294967295EEENS1_25partition_config_selectorILNS1_17partition_subalgoE4EjNS0_10empty_typeEbEEZZNS1_14partition_implILS8_4ELb0ES6_15HIP_vector_typeIjLj2EENS0_17counting_iteratorIjlEEPS9_SG_NS0_5tupleIJPjSI_NS0_16reverse_iteratorISI_EEEEENSH_IJSG_SG_SG_EEES9_SI_JZNS1_25segmented_radix_sort_implINS0_14default_configELb0EPKdPdPKlPlN2at6native12_GLOBAL__N_18offset_tEEE10hipError_tPvRmT1_PNSt15iterator_traitsIS12_E10value_typeET2_T3_PNS13_IS18_E10value_typeET4_jRbjT5_S1E_jjP12ihipStream_tbEUljE_ZNSN_ISO_Lb0ESQ_SR_ST_SU_SY_EESZ_S10_S11_S12_S16_S17_S18_S1B_S1C_jS1D_jS1E_S1E_jjS1G_bEUljE0_EEESZ_S10_S11_S18_S1C_S1E_T6_T7_T9_mT8_S1G_bDpT10_ENKUlT_T0_E_clISt17integral_constantIbLb0EES1T_IbLb1EEEEDaS1P_S1Q_EUlS1P_E_NS1_11comp_targetILNS1_3genE4ELNS1_11target_archE910ELNS1_3gpuE8ELNS1_3repE0EEENS1_30default_config_static_selectorELNS0_4arch9wavefront6targetE1EEEvS12_: ; @_ZN7rocprim17ROCPRIM_400000_NS6detail17trampoline_kernelINS0_13select_configILj256ELj13ELNS0_17block_load_methodE3ELS4_3ELS4_3ELNS0_20block_scan_algorithmE0ELj4294967295EEENS1_25partition_config_selectorILNS1_17partition_subalgoE4EjNS0_10empty_typeEbEEZZNS1_14partition_implILS8_4ELb0ES6_15HIP_vector_typeIjLj2EENS0_17counting_iteratorIjlEEPS9_SG_NS0_5tupleIJPjSI_NS0_16reverse_iteratorISI_EEEEENSH_IJSG_SG_SG_EEES9_SI_JZNS1_25segmented_radix_sort_implINS0_14default_configELb0EPKdPdPKlPlN2at6native12_GLOBAL__N_18offset_tEEE10hipError_tPvRmT1_PNSt15iterator_traitsIS12_E10value_typeET2_T3_PNS13_IS18_E10value_typeET4_jRbjT5_S1E_jjP12ihipStream_tbEUljE_ZNSN_ISO_Lb0ESQ_SR_ST_SU_SY_EESZ_S10_S11_S12_S16_S17_S18_S1B_S1C_jS1D_jS1E_S1E_jjS1G_bEUljE0_EEESZ_S10_S11_S18_S1C_S1E_T6_T7_T9_mT8_S1G_bDpT10_ENKUlT_T0_E_clISt17integral_constantIbLb0EES1T_IbLb1EEEEDaS1P_S1Q_EUlS1P_E_NS1_11comp_targetILNS1_3genE4ELNS1_11target_archE910ELNS1_3gpuE8ELNS1_3repE0EEENS1_30default_config_static_selectorELNS0_4arch9wavefront6targetE1EEEvS12_
; %bb.0:
	s_load_dwordx2 s[48:49], s[4:5], 0x10
	s_load_dwordx4 s[44:47], s[4:5], 0x28
	s_load_dwordx2 s[34:35], s[4:5], 0x38
	s_load_dwordx4 s[28:31], s[4:5], 0x58
	s_load_dwordx2 s[2:3], s[4:5], 0x68
	s_load_dwordx2 s[50:51], s[4:5], 0x78
	;; [unrolled: 1-line block ×3, first 2 shown]
	s_load_dwordx8 s[36:43], s[4:5], 0x90
	v_cmp_eq_u32_e64 s[0:1], 0, v0
	s_and_saveexec_b64 s[6:7], s[0:1]
	s_cbranch_execz .LBB1181_4
; %bb.1:
	s_mov_b64 s[10:11], exec
	v_mbcnt_lo_u32_b32 v1, s10, 0
	v_mbcnt_hi_u32_b32 v1, s11, v1
	v_cmp_eq_u32_e32 vcc, 0, v1
                                        ; implicit-def: $vgpr2
	s_and_saveexec_b64 s[8:9], vcc
	s_cbranch_execz .LBB1181_3
; %bb.2:
	s_load_dwordx2 s[12:13], s[4:5], 0x88
	s_bcnt1_i32_b64 s10, s[10:11]
	v_mov_b32_e32 v2, 0
	v_mov_b32_e32 v3, s10
	s_waitcnt lgkmcnt(0)
	global_atomic_add v2, v2, v3, s[12:13] glc
.LBB1181_3:
	s_or_b64 exec, exec, s[8:9]
	s_waitcnt vmcnt(0)
	v_readfirstlane_b32 s8, v2
	v_add_u32_e32 v1, s8, v1
	v_mov_b32_e32 v2, 0
	ds_write_b32 v2, v1
.LBB1181_4:
	s_or_b64 exec, exec, s[6:7]
	v_mov_b32_e32 v1, 0
	s_load_dword s7, s[4:5], 0x8
	s_load_dword s6, s[4:5], 0x80
	s_waitcnt lgkmcnt(0)
	s_barrier
	ds_read_b32 v8, v1
	s_waitcnt lgkmcnt(0)
	s_barrier
	global_load_dwordx4 v[2:5], v1, s[30:31]
	v_mov_b32_e32 v7, s3
	s_movk_i32 s3, 0xd00
	s_add_i32 s8, s7, s48
	v_mul_lo_u32 v34, v8, s3
	s_add_i32 s7, s6, -1
	s_mul_i32 s3, s6, 0xd00
	s_add_u32 s4, s48, s3
	v_readfirstlane_b32 s33, v8
	s_addc_u32 s5, s49, 0
	s_cmp_eq_u32 s33, s7
	v_mov_b32_e32 v6, s2
	s_cselect_b64 s[30:31], -1, 0
	s_cmp_lg_u32 s33, s7
	v_cmp_lt_u64_e32 vcc, s[4:5], v[6:7]
	s_cselect_b64 s[4:5], -1, 0
	s_or_b64 s[4:5], vcc, s[4:5]
	v_add_u32_e32 v1, s8, v34
	s_mov_b64 s[6:7], -1
	s_and_b64 vcc, exec, s[4:5]
	v_add_u32_e32 v1, v1, v0
	s_cbranch_vccz .LBB1181_6
; %bb.5:
	v_add_u32_e32 v6, 0x100, v1
	v_lshlrev_b32_e32 v18, 2, v0
	v_add_u32_e32 v7, 0x200, v1
	v_add_u32_e32 v8, 0x300, v1
	v_add_u32_e32 v9, 0x400, v1
	v_add_u32_e32 v10, 0x500, v1
	v_add_u32_e32 v11, 0x600, v1
	v_add_u32_e32 v12, 0x700, v1
	v_add_u32_e32 v13, 0x800, v1
	v_add_u32_e32 v14, 0x900, v1
	v_add_u32_e32 v15, 0xa00, v1
	v_add_u32_e32 v16, 0xb00, v1
	v_add_u32_e32 v17, 0xc00, v1
	ds_write2st64_b32 v18, v1, v6 offset1:4
	ds_write2st64_b32 v18, v7, v8 offset0:8 offset1:12
	ds_write2st64_b32 v18, v9, v10 offset0:16 offset1:20
	;; [unrolled: 1-line block ×5, first 2 shown]
	ds_write_b32 v18, v17 offset:12288
	s_waitcnt lgkmcnt(0)
	s_barrier
	s_mov_b64 s[6:7], 0
.LBB1181_6:
	s_andn2_b64 vcc, exec, s[6:7]
	s_add_i32 s3, s3, s48
	s_cbranch_vccnz .LBB1181_8
; %bb.7:
	v_add_u32_e32 v6, 0x100, v1
	v_lshlrev_b32_e32 v18, 2, v0
	v_add_u32_e32 v7, 0x200, v1
	v_add_u32_e32 v8, 0x300, v1
	v_add_u32_e32 v9, 0x400, v1
	v_add_u32_e32 v10, 0x500, v1
	v_add_u32_e32 v11, 0x600, v1
	v_add_u32_e32 v12, 0x700, v1
	v_add_u32_e32 v13, 0x800, v1
	v_add_u32_e32 v14, 0x900, v1
	v_add_u32_e32 v15, 0xa00, v1
	v_add_u32_e32 v16, 0xb00, v1
	v_add_u32_e32 v17, 0xc00, v1
	ds_write2st64_b32 v18, v1, v6 offset1:4
	ds_write2st64_b32 v18, v7, v8 offset0:8 offset1:12
	ds_write2st64_b32 v18, v9, v10 offset0:16 offset1:20
	;; [unrolled: 1-line block ×5, first 2 shown]
	ds_write_b32 v18, v17 offset:12288
	s_waitcnt lgkmcnt(0)
	s_barrier
.LBB1181_8:
	v_mul_u32_u24_e32 v36, 13, v0
	v_lshlrev_b32_e32 v1, 2, v36
	ds_read2_b32 v[22:23], v1 offset1:1
	ds_read2_b32 v[20:21], v1 offset0:2 offset1:3
	ds_read2_b32 v[18:19], v1 offset0:4 offset1:5
	;; [unrolled: 1-line block ×5, first 2 shown]
	ds_read_b32 v35, v1 offset:48
	v_cndmask_b32_e64 v1, 0, 1, s[4:5]
	s_sub_i32 s86, s2, s3
	v_cmp_ne_u32_e64 s[2:3], 1, v1
	s_andn2_b64 vcc, exec, s[4:5]
	s_waitcnt lgkmcnt(0)
	s_barrier
	s_cbranch_vccnz .LBB1181_36
; %bb.9:
	v_add_u32_e32 v1, s37, v22
	v_add_u32_e32 v6, s39, v22
	v_mul_lo_u32 v1, v1, s36
	v_mul_lo_u32 v6, v6, s38
	v_sub_u32_e32 v1, v1, v6
	v_cmp_lt_u32_e32 vcc, s40, v1
	v_cmp_ge_u32_e64 s[4:5], s40, v1
	s_mov_b64 s[60:61], 0
	s_mov_b64 s[58:59], 0
	s_and_saveexec_b64 s[6:7], s[4:5]
; %bb.10:
	v_add_u32_e32 v1, s42, v22
	v_add_u32_e32 v6, s56, v22
	v_mul_lo_u32 v1, v1, s41
	v_mul_lo_u32 v6, v6, s43
	v_sub_u32_e32 v1, v1, v6
	v_cmp_lt_u32_e64 s[4:5], s57, v1
	s_and_b64 s[58:59], s[4:5], exec
; %bb.11:
	s_or_b64 exec, exec, s[6:7]
	v_add_u32_e32 v1, s37, v23
	v_add_u32_e32 v6, s39, v23
	v_mul_lo_u32 v1, v1, s36
	v_mul_lo_u32 v6, v6, s38
	v_sub_u32_e32 v1, v1, v6
	v_cmp_lt_u32_e64 s[4:5], s40, v1
	v_cmp_ge_u32_e64 s[6:7], s40, v1
	s_and_saveexec_b64 s[8:9], s[6:7]
; %bb.12:
	v_add_u32_e32 v1, s42, v23
	v_add_u32_e32 v6, s56, v23
	v_mul_lo_u32 v1, v1, s41
	v_mul_lo_u32 v6, v6, s43
	v_sub_u32_e32 v1, v1, v6
	v_cmp_lt_u32_e64 s[6:7], s57, v1
	s_and_b64 s[60:61], s[6:7], exec
; %bb.13:
	s_or_b64 exec, exec, s[8:9]
	v_add_u32_e32 v1, s37, v20
	v_add_u32_e32 v6, s39, v20
	v_mul_lo_u32 v1, v1, s36
	v_mul_lo_u32 v6, v6, s38
	v_sub_u32_e32 v1, v1, v6
	v_cmp_lt_u32_e64 s[6:7], s40, v1
	v_cmp_ge_u32_e64 s[8:9], s40, v1
	s_mov_b64 s[64:65], 0
	s_mov_b64 s[62:63], 0
	s_and_saveexec_b64 s[10:11], s[8:9]
; %bb.14:
	v_add_u32_e32 v1, s42, v20
	v_add_u32_e32 v6, s56, v20
	v_mul_lo_u32 v1, v1, s41
	v_mul_lo_u32 v6, v6, s43
	v_sub_u32_e32 v1, v1, v6
	v_cmp_lt_u32_e64 s[8:9], s57, v1
	s_and_b64 s[62:63], s[8:9], exec
; %bb.15:
	s_or_b64 exec, exec, s[10:11]
	v_add_u32_e32 v1, s37, v21
	v_add_u32_e32 v6, s39, v21
	v_mul_lo_u32 v1, v1, s36
	v_mul_lo_u32 v6, v6, s38
	v_sub_u32_e32 v1, v1, v6
	v_cmp_lt_u32_e64 s[8:9], s40, v1
	v_cmp_ge_u32_e64 s[10:11], s40, v1
	s_and_saveexec_b64 s[12:13], s[10:11]
; %bb.16:
	v_add_u32_e32 v1, s42, v21
	v_add_u32_e32 v6, s56, v21
	v_mul_lo_u32 v1, v1, s41
	v_mul_lo_u32 v6, v6, s43
	v_sub_u32_e32 v1, v1, v6
	v_cmp_lt_u32_e64 s[10:11], s57, v1
	s_and_b64 s[64:65], s[10:11], exec
; %bb.17:
	s_or_b64 exec, exec, s[12:13]
	v_add_u32_e32 v1, s37, v18
	v_add_u32_e32 v6, s39, v18
	v_mul_lo_u32 v1, v1, s36
	v_mul_lo_u32 v6, v6, s38
	v_sub_u32_e32 v1, v1, v6
	v_cmp_lt_u32_e64 s[10:11], s40, v1
	;; [unrolled: 38-line block ×5, first 2 shown]
	v_cmp_ge_u32_e64 s[24:25], s40, v1
	s_mov_b64 s[80:81], 0
	s_mov_b64 s[82:83], 0
	s_and_saveexec_b64 s[26:27], s[24:25]
; %bb.30:
	v_add_u32_e32 v1, s42, v12
	v_add_u32_e32 v6, s56, v12
	v_mul_lo_u32 v1, v1, s41
	v_mul_lo_u32 v6, v6, s43
	v_sub_u32_e32 v1, v1, v6
	v_cmp_lt_u32_e64 s[24:25], s57, v1
	s_and_b64 s[82:83], s[24:25], exec
; %bb.31:
	s_or_b64 exec, exec, s[26:27]
	v_add_u32_e32 v1, s37, v13
	v_add_u32_e32 v6, s39, v13
	v_mul_lo_u32 v1, v1, s36
	v_mul_lo_u32 v6, v6, s38
	v_sub_u32_e32 v1, v1, v6
	v_cmp_lt_u32_e64 s[24:25], s40, v1
	v_cmp_ge_u32_e64 s[26:27], s40, v1
	s_and_saveexec_b64 s[52:53], s[26:27]
; %bb.32:
	v_add_u32_e32 v1, s42, v13
	v_add_u32_e32 v6, s56, v13
	v_mul_lo_u32 v1, v1, s41
	v_mul_lo_u32 v6, v6, s43
	v_sub_u32_e32 v1, v1, v6
	v_cmp_lt_u32_e64 s[26:27], s57, v1
	s_and_b64 s[80:81], s[26:27], exec
; %bb.33:
	s_or_b64 exec, exec, s[52:53]
	v_add_u32_e32 v1, s37, v35
	v_add_u32_e32 v6, s39, v35
	v_mul_lo_u32 v1, v1, s36
	v_mul_lo_u32 v6, v6, s38
	v_sub_u32_e32 v1, v1, v6
	v_cmp_ge_u32_e64 s[26:27], s40, v1
	s_mov_b64 s[52:53], -1
	s_mov_b64 s[74:75], 0
	s_mov_b64 s[54:55], 0
	s_and_saveexec_b64 s[84:85], s[26:27]
; %bb.34:
	v_add_u32_e32 v1, s42, v35
	v_add_u32_e32 v6, s56, v35
	v_mul_lo_u32 v1, v1, s41
	v_mul_lo_u32 v6, v6, s43
	v_sub_u32_e32 v1, v1, v6
	v_cmp_lt_u32_e64 s[26:27], s57, v1
	s_and_b64 s[54:55], s[26:27], exec
	s_xor_b64 s[52:53], exec, -1
; %bb.35:
	s_or_b64 exec, exec, s[84:85]
	v_cndmask_b32_e64 v57, 0, 1, s[82:83]
	v_cndmask_b32_e64 v60, 0, 1, s[24:25]
	;; [unrolled: 1-line block ×22, first 2 shown]
	v_cndmask_b32_e64 v37, 0, 1, vcc
	v_cndmask_b32_e64 v59, 0, 1, s[80:81]
	s_add_i32 s16, s86, 0xd00
	s_and_b64 vcc, exec, s[74:75]
	s_cbranch_vccnz .LBB1181_37
	s_branch .LBB1181_90
.LBB1181_36:
                                        ; implicit-def: $sgpr52_sgpr53
                                        ; implicit-def: $sgpr54_sgpr55
                                        ; implicit-def: $vgpr59
                                        ; implicit-def: $vgpr57
                                        ; implicit-def: $vgpr55
                                        ; implicit-def: $vgpr53
                                        ; implicit-def: $vgpr51
                                        ; implicit-def: $vgpr49
                                        ; implicit-def: $vgpr47
                                        ; implicit-def: $vgpr45
                                        ; implicit-def: $vgpr43
                                        ; implicit-def: $vgpr37
                                        ; implicit-def: $vgpr39
                                        ; implicit-def: $vgpr41
                                        ; implicit-def: $vgpr44
                                        ; implicit-def: $vgpr46
                                        ; implicit-def: $vgpr48
                                        ; implicit-def: $vgpr50
                                        ; implicit-def: $vgpr52
                                        ; implicit-def: $vgpr54
                                        ; implicit-def: $vgpr56
                                        ; implicit-def: $vgpr58
                                        ; implicit-def: $vgpr60
                                        ; implicit-def: $vgpr38
                                        ; implicit-def: $vgpr40
                                        ; implicit-def: $vgpr42
	s_add_i32 s16, s86, 0xd00
	s_cbranch_execz .LBB1181_90
.LBB1181_37:
	v_cmp_gt_u32_e32 vcc, s16, v36
	v_mov_b32_e32 v38, 0
	v_mov_b32_e32 v37, 0
	s_and_saveexec_b64 s[6:7], vcc
	s_cbranch_execz .LBB1181_41
; %bb.38:
	v_add_u32_e32 v1, s37, v22
	v_add_u32_e32 v6, s39, v22
	v_mul_lo_u32 v1, v1, s36
	v_mul_lo_u32 v6, v6, s38
	v_sub_u32_e32 v1, v1, v6
	v_cmp_lt_u32_e32 vcc, s40, v1
	v_cmp_ge_u32_e64 s[4:5], s40, v1
	s_mov_b64 s[10:11], 0
	s_and_saveexec_b64 s[8:9], s[4:5]
; %bb.39:
	v_add_u32_e32 v1, s42, v22
	v_add_u32_e32 v6, s56, v22
	v_mul_lo_u32 v1, v1, s41
	v_mul_lo_u32 v6, v6, s43
	v_sub_u32_e32 v1, v1, v6
	v_cmp_lt_u32_e64 s[4:5], s57, v1
	s_and_b64 s[10:11], s[4:5], exec
; %bb.40:
	s_or_b64 exec, exec, s[8:9]
	v_cndmask_b32_e64 v37, 0, 1, vcc
	v_cndmask_b32_e64 v38, 0, 1, s[10:11]
.LBB1181_41:
	s_or_b64 exec, exec, s[6:7]
	v_add_u32_e32 v1, 1, v36
	v_cmp_gt_u32_e32 vcc, s16, v1
	v_mov_b32_e32 v39, 0
	v_mov_b32_e32 v40, 0
	s_and_saveexec_b64 s[6:7], vcc
	s_cbranch_execz .LBB1181_45
; %bb.42:
	v_add_u32_e32 v1, s37, v23
	v_add_u32_e32 v6, s39, v23
	v_mul_lo_u32 v1, v1, s36
	v_mul_lo_u32 v6, v6, s38
	v_sub_u32_e32 v1, v1, v6
	v_cmp_lt_u32_e32 vcc, s40, v1
	v_cmp_ge_u32_e64 s[4:5], s40, v1
	s_mov_b64 s[10:11], 0
	s_and_saveexec_b64 s[8:9], s[4:5]
; %bb.43:
	v_add_u32_e32 v1, s42, v23
	v_add_u32_e32 v6, s56, v23
	v_mul_lo_u32 v1, v1, s41
	v_mul_lo_u32 v6, v6, s43
	v_sub_u32_e32 v1, v1, v6
	v_cmp_lt_u32_e64 s[4:5], s57, v1
	s_and_b64 s[10:11], s[4:5], exec
; %bb.44:
	s_or_b64 exec, exec, s[8:9]
	v_cndmask_b32_e64 v39, 0, 1, vcc
	v_cndmask_b32_e64 v40, 0, 1, s[10:11]
.LBB1181_45:
	s_or_b64 exec, exec, s[6:7]
	v_add_u32_e32 v1, 2, v36
	;; [unrolled: 30-line block ×12, first 2 shown]
	v_cmp_gt_u32_e32 vcc, s16, v1
	s_mov_b64 s[52:53], 0
	s_mov_b64 s[54:55], 0
	s_and_saveexec_b64 s[4:5], vcc
	s_cbranch_execz .LBB1181_89
; %bb.86:
	v_add_u32_e32 v1, s37, v35
	v_add_u32_e32 v6, s39, v35
	v_mul_lo_u32 v1, v1, s36
	v_mul_lo_u32 v6, v6, s38
	v_sub_u32_e32 v1, v1, v6
	v_cmp_ge_u32_e32 vcc, s40, v1
	s_mov_b64 s[8:9], -1
	s_mov_b64 s[10:11], 0
	s_and_saveexec_b64 s[6:7], vcc
; %bb.87:
	v_add_u32_e32 v1, s42, v35
	v_add_u32_e32 v6, s56, v35
	v_mul_lo_u32 v1, v1, s41
	v_mul_lo_u32 v6, v6, s43
	v_sub_u32_e32 v1, v1, v6
	v_cmp_lt_u32_e32 vcc, s57, v1
	s_and_b64 s[10:11], vcc, exec
	s_xor_b64 s[8:9], exec, -1
; %bb.88:
	s_or_b64 exec, exec, s[6:7]
	s_and_b64 s[54:55], s[10:11], exec
	s_and_b64 s[52:53], s[8:9], exec
.LBB1181_89:
	s_or_b64 exec, exec, s[4:5]
.LBB1181_90:
	v_and_b32_e32 v68, 0xff, v38
	v_and_b32_e32 v79, 0xff, v40
	;; [unrolled: 1-line block ×5, first 2 shown]
	v_add3_u32 v6, v79, v70, v68
	v_and_b32_e32 v81, 0xff, v47
	v_and_b32_e32 v74, 0xff, v49
	v_add3_u32 v6, v6, v80, v72
	v_and_b32_e32 v67, 0xff, v37
	v_and_b32_e32 v61, 0xff, v39
	;; [unrolled: 1-line block ×5, first 2 shown]
	v_add3_u32 v6, v6, v81, v74
	v_and_b32_e32 v62, 0xff, v44
	v_and_b32_e32 v71, 0xff, v46
	;; [unrolled: 1-line block ×4, first 2 shown]
	v_add3_u32 v7, v61, v69, v67
	v_add3_u32 v6, v6, v82, v76
	v_and_b32_e32 v63, 0xff, v48
	v_and_b32_e32 v73, 0xff, v50
	;; [unrolled: 1-line block ×3, first 2 shown]
	v_cndmask_b32_e64 v1, 0, 1, s[54:55]
	v_add3_u32 v7, v7, v62, v71
	v_add3_u32 v6, v6, v83, v78
	v_and_b32_e32 v64, 0xff, v52
	v_and_b32_e32 v75, 0xff, v54
	v_add3_u32 v7, v7, v63, v73
	v_add3_u32 v91, v6, v84, v1
	v_mbcnt_lo_u32_b32 v1, -1, 0
	v_and_b32_e32 v65, 0xff, v56
	v_and_b32_e32 v77, 0xff, v58
	v_add3_u32 v7, v7, v64, v75
	v_mbcnt_hi_u32_b32 v85, -1, v1
	v_and_b32_e32 v66, 0xff, v60
	v_add3_u32 v7, v7, v65, v77
	v_cndmask_b32_e64 v8, 0, 1, s[52:53]
	v_and_b32_e32 v89, 15, v85
	s_cmp_lg_u32 s33, 0
	v_add3_u32 v90, v7, v66, v8
	v_cmp_eq_u32_e64 s[6:7], 0, v89
	v_cmp_lt_u32_e64 s[4:5], 1, v89
	v_cmp_lt_u32_e64 s[10:11], 3, v89
	;; [unrolled: 1-line block ×3, first 2 shown]
	v_and_b32_e32 v88, 16, v85
	v_cmp_lt_u32_e32 vcc, 31, v85
	v_lshrrev_b32_e32 v86, 6, v0
	v_or_b32_e32 v87, 63, v0
	s_cbranch_scc0 .LBB1181_119
; %bb.91:
	v_mov_b32_dpp v1, v90 row_shr:1 row_mask:0xf bank_mask:0xf
	v_mov_b32_dpp v6, v91 row_shr:1 row_mask:0xf bank_mask:0xf
	v_add_u32_e32 v1, v1, v90
	v_add_u32_e32 v6, v6, v91
	v_cndmask_b32_e64 v6, v6, v91, s[6:7]
	v_cndmask_b32_e64 v1, v1, v90, s[6:7]
	s_nop 0
	v_mov_b32_dpp v8, v6 row_shr:2 row_mask:0xf bank_mask:0xf
	v_mov_b32_dpp v7, v1 row_shr:2 row_mask:0xf bank_mask:0xf
	v_add_u32_e32 v7, v1, v7
	v_add_u32_e32 v8, v6, v8
	v_cndmask_b32_e64 v6, v6, v8, s[4:5]
	v_cndmask_b32_e64 v1, v1, v7, s[4:5]
	s_nop 0
	;; [unrolled: 7-line block ×3, first 2 shown]
	v_mov_b32_dpp v8, v6 row_shr:8 row_mask:0xf bank_mask:0xf
	v_mov_b32_dpp v7, v1 row_shr:8 row_mask:0xf bank_mask:0xf
	v_add_u32_e32 v7, v1, v7
	v_add_u32_e32 v8, v6, v8
	v_cndmask_b32_e64 v6, v6, v8, s[8:9]
	v_cndmask_b32_e64 v1, v1, v7, s[8:9]
	v_cmp_eq_u32_e64 s[8:9], 0, v88
	v_mov_b32_dpp v8, v6 row_bcast:15 row_mask:0xf bank_mask:0xf
	v_mov_b32_dpp v7, v1 row_bcast:15 row_mask:0xf bank_mask:0xf
	v_add_u32_e32 v7, v1, v7
	v_add_u32_e32 v8, v6, v8
	v_cndmask_b32_e64 v6, v8, v6, s[8:9]
	v_cndmask_b32_e64 v1, v7, v1, s[8:9]
	s_nop 0
	v_mov_b32_dpp v8, v6 row_bcast:31 row_mask:0xf bank_mask:0xf
	v_mov_b32_dpp v7, v1 row_bcast:31 row_mask:0xf bank_mask:0xf
	v_add_u32_e32 v8, v6, v8
	v_add_u32_e32 v9, v1, v7
	v_cndmask_b32_e32 v7, v6, v8, vcc
	v_cndmask_b32_e32 v6, v1, v9, vcc
	v_cmp_eq_u32_e32 vcc, v87, v0
	s_and_saveexec_b64 s[8:9], vcc
	s_cbranch_execz .LBB1181_93
; %bb.92:
	v_lshlrev_b32_e32 v1, 3, v86
	ds_write_b64 v1, v[6:7]
.LBB1181_93:
	s_or_b64 exec, exec, s[8:9]
	v_cmp_gt_u32_e32 vcc, 4, v0
	s_waitcnt lgkmcnt(0)
	s_barrier
	s_and_saveexec_b64 s[8:9], vcc
	s_cbranch_execz .LBB1181_95
; %bb.94:
	v_lshlrev_b32_e32 v1, 3, v0
	ds_read_b64 v[8:9], v1
	v_and_b32_e32 v10, 3, v85
	v_cmp_eq_u32_e32 vcc, 0, v10
	s_waitcnt lgkmcnt(0)
	v_mov_b32_dpp v11, v8 row_shr:1 row_mask:0xf bank_mask:0xf
	v_mov_b32_dpp v24, v9 row_shr:1 row_mask:0xf bank_mask:0xf
	v_add_u32_e32 v11, v11, v8
	v_add_u32_e32 v24, v24, v9
	v_cndmask_b32_e32 v9, v24, v9, vcc
	v_cndmask_b32_e32 v8, v11, v8, vcc
	v_cmp_lt_u32_e32 vcc, 1, v10
	v_mov_b32_dpp v24, v9 row_shr:2 row_mask:0xf bank_mask:0xf
	v_mov_b32_dpp v11, v8 row_shr:2 row_mask:0xf bank_mask:0xf
	v_cndmask_b32_e32 v10, 0, v11, vcc
	v_cndmask_b32_e32 v11, 0, v24, vcc
	v_add_u32_e32 v9, v11, v9
	v_add_u32_e32 v8, v10, v8
	ds_write_b64 v1, v[8:9]
.LBB1181_95:
	s_or_b64 exec, exec, s[8:9]
	v_cmp_gt_u32_e32 vcc, 64, v0
	v_cmp_lt_u32_e64 s[8:9], 63, v0
	s_waitcnt lgkmcnt(0)
	s_barrier
	s_waitcnt lgkmcnt(0)
                                        ; implicit-def: $vgpr25
	s_and_saveexec_b64 s[10:11], s[8:9]
	s_xor_b64 s[8:9], exec, s[10:11]
	s_cbranch_execz .LBB1181_97
; %bb.96:
	v_lshl_add_u32 v1, v86, 3, -8
	ds_read_b64 v[24:25], v1
	s_waitcnt lgkmcnt(0)
	v_add_u32_e32 v7, v25, v7
	v_add_u32_e32 v6, v24, v6
.LBB1181_97:
	s_andn2_saveexec_b64 s[8:9], s[8:9]
; %bb.98:
                                        ; implicit-def: $vgpr24
; %bb.99:
	s_or_b64 exec, exec, s[8:9]
	v_add_u32_e32 v1, -1, v85
	v_and_b32_e32 v8, 64, v85
	v_cmp_lt_i32_e64 s[8:9], v1, v8
	v_cndmask_b32_e64 v1, v1, v85, s[8:9]
	v_lshlrev_b32_e32 v8, 2, v1
	ds_bpermute_b32 v1, v8, v6
	ds_bpermute_b32 v92, v8, v7
	v_cmp_eq_u32_e64 s[8:9], 0, v85
	s_and_saveexec_b64 s[10:11], vcc
	s_cbranch_execz .LBB1181_118
; %bb.100:
	v_mov_b32_e32 v11, 0
	ds_read_b64 v[26:27], v11 offset:24
	s_and_saveexec_b64 s[12:13], s[8:9]
	s_cbranch_execz .LBB1181_102
; %bb.101:
	s_add_i32 s14, s33, 64
	s_mov_b32 s15, 0
	s_lshl_b64 s[14:15], s[14:15], 4
	s_waitcnt lgkmcnt(0)
	v_and_b32_e32 v6, 0xff000000, v27
	v_and_b32_e32 v7, 0xff0000, v27
	s_add_u32 s14, s50, s14
	v_or_b32_e32 v6, v7, v6
	v_and_b32_e32 v7, 0xff00, v27
	s_addc_u32 s15, s51, s15
	v_or_b32_e32 v6, v6, v7
	v_or_b32_sdwa v9, v6, v27 dst_sel:DWORD dst_unused:UNUSED_PAD src0_sel:DWORD src1_sel:BYTE_0
	v_mov_b32_e32 v10, 1
	v_mov_b32_e32 v8, v26
	v_pk_mov_b32 v[6:7], s[14:15], s[14:15] op_sel:[0,1]
	;;#ASMSTART
	global_store_dwordx4 v[6:7], v[8:11] off	
s_waitcnt vmcnt(0)
	;;#ASMEND
.LBB1181_102:
	s_or_b64 exec, exec, s[12:13]
	v_xad_u32 v28, v85, -1, s33
	v_add_u32_e32 v10, 64, v28
	v_lshlrev_b64 v[6:7], 4, v[10:11]
	v_mov_b32_e32 v8, s51
	v_add_co_u32_e32 v30, vcc, s50, v6
	v_addc_co_u32_e32 v31, vcc, v8, v7, vcc
	;;#ASMSTART
	global_load_dwordx4 v[6:9], v[30:31] off glc	
s_waitcnt vmcnt(0)
	;;#ASMEND
	v_and_b32_e32 v9, 0xff, v7
	v_and_b32_e32 v10, 0xff00, v7
	v_or3_b32 v9, 0, v9, v10
	v_or3_b32 v6, v6, 0, 0
	v_and_b32_e32 v10, 0xff000000, v7
	v_and_b32_e32 v7, 0xff0000, v7
	v_or3_b32 v7, v9, v7, v10
	v_or3_b32 v6, v6, 0, 0
	v_cmp_eq_u16_sdwa s[14:15], v8, v11 src0_sel:BYTE_0 src1_sel:DWORD
	s_and_saveexec_b64 s[12:13], s[14:15]
	s_cbranch_execz .LBB1181_106
; %bb.103:
	s_mov_b64 s[14:15], 0
	v_mov_b32_e32 v10, 0
.LBB1181_104:                           ; =>This Inner Loop Header: Depth=1
	;;#ASMSTART
	global_load_dwordx4 v[6:9], v[30:31] off glc	
s_waitcnt vmcnt(0)
	;;#ASMEND
	v_cmp_ne_u16_sdwa s[18:19], v8, v10 src0_sel:BYTE_0 src1_sel:DWORD
	s_or_b64 s[14:15], s[18:19], s[14:15]
	s_andn2_b64 exec, exec, s[14:15]
	s_cbranch_execnz .LBB1181_104
; %bb.105:
	s_or_b64 exec, exec, s[14:15]
.LBB1181_106:
	s_or_b64 exec, exec, s[12:13]
	v_and_b32_e32 v94, 63, v85
	v_cmp_ne_u32_e32 vcc, 63, v94
	v_mov_b32_e32 v93, 2
	v_addc_co_u32_e32 v30, vcc, 0, v85, vcc
	v_cmp_eq_u16_sdwa s[12:13], v8, v93 src0_sel:BYTE_0 src1_sel:DWORD
	v_lshlrev_b64 v[10:11], v85, -1
	v_lshlrev_b32_e32 v95, 2, v30
	v_and_b32_e32 v9, s13, v11
	ds_bpermute_b32 v30, v95, v6
	ds_bpermute_b32 v31, v95, v7
	v_or_b32_e32 v9, 0x80000000, v9
	v_and_b32_e32 v29, s12, v10
	v_ffbl_b32_e32 v9, v9
	v_add_u32_e32 v9, 32, v9
	v_ffbl_b32_e32 v29, v29
	v_min_u32_e32 v9, v29, v9
	s_waitcnt lgkmcnt(1)
	v_add_u32_e32 v29, v30, v6
	s_waitcnt lgkmcnt(0)
	v_add_u32_e32 v30, v31, v7
	v_cmp_lt_u32_e32 vcc, v94, v9
	v_cndmask_b32_e32 v7, v7, v30, vcc
	v_cndmask_b32_e32 v6, v6, v29, vcc
	v_cmp_gt_u32_e32 vcc, 62, v94
	v_cndmask_b32_e64 v29, 0, 1, vcc
	v_lshlrev_b32_e32 v29, 1, v29
	v_add_lshl_u32 v96, v29, v85, 2
	ds_bpermute_b32 v29, v96, v6
	ds_bpermute_b32 v30, v96, v7
	v_add_u32_e32 v97, 2, v94
	v_cmp_gt_u32_e32 vcc, v97, v9
	v_add_u32_e32 v99, 4, v94
	s_waitcnt lgkmcnt(1)
	v_add_u32_e32 v29, v6, v29
	s_waitcnt lgkmcnt(0)
	v_add_u32_e32 v30, v7, v30
	v_cndmask_b32_e32 v7, v30, v7, vcc
	v_cndmask_b32_e32 v6, v29, v6, vcc
	v_cmp_gt_u32_e32 vcc, 60, v94
	v_cndmask_b32_e64 v29, 0, 1, vcc
	v_lshlrev_b32_e32 v29, 2, v29
	v_add_lshl_u32 v98, v29, v85, 2
	ds_bpermute_b32 v29, v98, v6
	ds_bpermute_b32 v30, v98, v7
	v_cmp_gt_u32_e32 vcc, v99, v9
	v_add_u32_e32 v101, 8, v94
	v_add_u32_e32 v103, 16, v94
	s_waitcnt lgkmcnt(1)
	v_add_u32_e32 v29, v6, v29
	s_waitcnt lgkmcnt(0)
	v_add_u32_e32 v30, v7, v30
	v_cndmask_b32_e32 v7, v30, v7, vcc
	v_cndmask_b32_e32 v6, v29, v6, vcc
	v_cmp_gt_u32_e32 vcc, 56, v94
	v_cndmask_b32_e64 v29, 0, 1, vcc
	v_lshlrev_b32_e32 v29, 3, v29
	v_add_lshl_u32 v100, v29, v85, 2
	ds_bpermute_b32 v29, v100, v6
	ds_bpermute_b32 v30, v100, v7
	v_cmp_gt_u32_e32 vcc, v101, v9
	v_add_u32_e32 v105, 32, v94
	s_waitcnt lgkmcnt(1)
	v_add_u32_e32 v29, v6, v29
	s_waitcnt lgkmcnt(0)
	v_add_u32_e32 v30, v7, v30
	v_cndmask_b32_e32 v7, v30, v7, vcc
	v_cndmask_b32_e32 v6, v29, v6, vcc
	v_cmp_gt_u32_e32 vcc, 48, v94
	v_cndmask_b32_e64 v29, 0, 1, vcc
	v_lshlrev_b32_e32 v29, 4, v29
	v_add_lshl_u32 v102, v29, v85, 2
	ds_bpermute_b32 v29, v102, v6
	ds_bpermute_b32 v30, v102, v7
	v_cmp_gt_u32_e32 vcc, v103, v9
	s_waitcnt lgkmcnt(1)
	v_add_u32_e32 v29, v6, v29
	s_waitcnt lgkmcnt(0)
	v_add_u32_e32 v30, v7, v30
	v_cndmask_b32_e32 v7, v30, v7, vcc
	v_cndmask_b32_e32 v6, v29, v6, vcc
	v_cmp_gt_u32_e32 vcc, 32, v94
	v_cndmask_b32_e64 v29, 0, 1, vcc
	v_lshlrev_b32_e32 v29, 5, v29
	v_add_lshl_u32 v104, v29, v85, 2
	ds_bpermute_b32 v29, v104, v6
	ds_bpermute_b32 v30, v104, v7
	v_cmp_le_u32_e32 vcc, v105, v9
	s_waitcnt lgkmcnt(1)
	v_cndmask_b32_e32 v9, 0, v29, vcc
	s_waitcnt lgkmcnt(0)
	v_cndmask_b32_e32 v29, 0, v30, vcc
	v_add_u32_e32 v7, v7, v29
	v_add_u32_e32 v6, v6, v9
	v_mov_b32_e32 v29, 0
	s_branch .LBB1181_108
.LBB1181_107:                           ;   in Loop: Header=BB1181_108 Depth=1
	s_or_b64 exec, exec, s[12:13]
	v_cmp_eq_u16_sdwa s[12:13], v8, v93 src0_sel:BYTE_0 src1_sel:DWORD
	v_and_b32_e32 v9, s13, v11
	ds_bpermute_b32 v33, v95, v6
	ds_bpermute_b32 v106, v95, v7
	v_or_b32_e32 v9, 0x80000000, v9
	v_and_b32_e32 v32, s12, v10
	v_ffbl_b32_e32 v9, v9
	v_add_u32_e32 v9, 32, v9
	v_ffbl_b32_e32 v32, v32
	v_min_u32_e32 v9, v32, v9
	s_waitcnt lgkmcnt(1)
	v_add_u32_e32 v32, v33, v6
	s_waitcnt lgkmcnt(0)
	v_add_u32_e32 v33, v106, v7
	v_cmp_lt_u32_e32 vcc, v94, v9
	v_cndmask_b32_e32 v7, v7, v33, vcc
	v_cndmask_b32_e32 v6, v6, v32, vcc
	ds_bpermute_b32 v32, v96, v6
	ds_bpermute_b32 v33, v96, v7
	v_cmp_gt_u32_e32 vcc, v97, v9
	v_subrev_u32_e32 v28, 64, v28
	s_waitcnt lgkmcnt(1)
	v_add_u32_e32 v32, v6, v32
	s_waitcnt lgkmcnt(0)
	v_add_u32_e32 v33, v7, v33
	v_cndmask_b32_e32 v7, v33, v7, vcc
	v_cndmask_b32_e32 v6, v32, v6, vcc
	ds_bpermute_b32 v32, v98, v6
	ds_bpermute_b32 v33, v98, v7
	v_cmp_gt_u32_e32 vcc, v99, v9
	s_waitcnt lgkmcnt(1)
	v_add_u32_e32 v32, v6, v32
	s_waitcnt lgkmcnt(0)
	v_add_u32_e32 v33, v7, v33
	v_cndmask_b32_e32 v7, v33, v7, vcc
	v_cndmask_b32_e32 v6, v32, v6, vcc
	ds_bpermute_b32 v32, v100, v6
	ds_bpermute_b32 v33, v100, v7
	v_cmp_gt_u32_e32 vcc, v101, v9
	;; [unrolled: 9-line block ×3, first 2 shown]
	s_waitcnt lgkmcnt(1)
	v_add_u32_e32 v32, v6, v32
	s_waitcnt lgkmcnt(0)
	v_add_u32_e32 v33, v7, v33
	v_cndmask_b32_e32 v7, v33, v7, vcc
	v_cndmask_b32_e32 v6, v32, v6, vcc
	ds_bpermute_b32 v32, v104, v6
	ds_bpermute_b32 v33, v104, v7
	v_cmp_le_u32_e32 vcc, v105, v9
	s_waitcnt lgkmcnt(1)
	v_cndmask_b32_e32 v9, 0, v32, vcc
	s_waitcnt lgkmcnt(0)
	v_cndmask_b32_e32 v32, 0, v33, vcc
	v_add3_u32 v7, v32, v31, v7
	v_add3_u32 v6, v9, v30, v6
.LBB1181_108:                           ; =>This Loop Header: Depth=1
                                        ;     Child Loop BB1181_111 Depth 2
	v_cmp_ne_u16_sdwa s[12:13], v8, v93 src0_sel:BYTE_0 src1_sel:DWORD
	v_cndmask_b32_e64 v8, 0, 1, s[12:13]
	;;#ASMSTART
	;;#ASMEND
	v_cmp_ne_u32_e32 vcc, 0, v8
	s_cmp_lg_u64 vcc, exec
	v_pk_mov_b32 v[30:31], v[6:7], v[6:7] op_sel:[0,1]
	s_cbranch_scc1 .LBB1181_113
; %bb.109:                              ;   in Loop: Header=BB1181_108 Depth=1
	v_lshlrev_b64 v[6:7], 4, v[28:29]
	v_mov_b32_e32 v8, s51
	v_add_co_u32_e32 v32, vcc, s50, v6
	v_addc_co_u32_e32 v33, vcc, v8, v7, vcc
	;;#ASMSTART
	global_load_dwordx4 v[6:9], v[32:33] off glc	
s_waitcnt vmcnt(0)
	;;#ASMEND
	v_and_b32_e32 v9, 0xff, v7
	v_and_b32_e32 v106, 0xff00, v7
	v_or3_b32 v9, 0, v9, v106
	v_or3_b32 v6, v6, 0, 0
	v_and_b32_e32 v106, 0xff000000, v7
	v_and_b32_e32 v7, 0xff0000, v7
	v_or3_b32 v7, v9, v7, v106
	v_or3_b32 v6, v6, 0, 0
	v_cmp_eq_u16_sdwa s[14:15], v8, v29 src0_sel:BYTE_0 src1_sel:DWORD
	s_and_saveexec_b64 s[12:13], s[14:15]
	s_cbranch_execz .LBB1181_107
; %bb.110:                              ;   in Loop: Header=BB1181_108 Depth=1
	s_mov_b64 s[14:15], 0
.LBB1181_111:                           ;   Parent Loop BB1181_108 Depth=1
                                        ; =>  This Inner Loop Header: Depth=2
	;;#ASMSTART
	global_load_dwordx4 v[6:9], v[32:33] off glc	
s_waitcnt vmcnt(0)
	;;#ASMEND
	v_cmp_ne_u16_sdwa s[18:19], v8, v29 src0_sel:BYTE_0 src1_sel:DWORD
	s_or_b64 s[14:15], s[18:19], s[14:15]
	s_andn2_b64 exec, exec, s[14:15]
	s_cbranch_execnz .LBB1181_111
; %bb.112:                              ;   in Loop: Header=BB1181_108 Depth=1
	s_or_b64 exec, exec, s[14:15]
	s_branch .LBB1181_107
.LBB1181_113:                           ;   in Loop: Header=BB1181_108 Depth=1
                                        ; implicit-def: $vgpr8
                                        ; implicit-def: $vgpr6_vgpr7
	s_cbranch_execz .LBB1181_108
; %bb.114:
	s_and_saveexec_b64 s[12:13], s[8:9]
	s_cbranch_execz .LBB1181_116
; %bb.115:
	s_add_i32 s14, s33, 64
	s_mov_b32 s15, 0
	v_add_u32_e32 v7, v31, v27
	s_lshl_b64 s[14:15], s[14:15], 4
	s_add_u32 s14, s50, s14
	v_and_b32_e32 v8, 0xff000000, v7
	v_and_b32_e32 v10, 0xff0000, v7
	s_addc_u32 s15, s51, s15
	v_or_b32_e32 v8, v10, v8
	v_and_b32_e32 v10, 0xff00, v7
	v_and_b32_e32 v7, 0xff, v7
	v_add_u32_e32 v6, v30, v26
	v_mov_b32_e32 v9, 0
	v_or3_b32 v7, v8, v10, v7
	v_mov_b32_e32 v8, 2
	v_pk_mov_b32 v[10:11], s[14:15], s[14:15] op_sel:[0,1]
	;;#ASMSTART
	global_store_dwordx4 v[10:11], v[6:9] off	
s_waitcnt vmcnt(0)
	;;#ASMEND
	s_movk_i32 s14, 0x3400
	v_add_u32_e64 v6, s14, 0
	ds_write2_b32 v6, v26, v27 offset1:2
	ds_write2_b32 v6, v30, v31 offset0:4 offset1:6
.LBB1181_116:
	s_or_b64 exec, exec, s[12:13]
	s_and_b64 exec, exec, s[0:1]
	s_cbranch_execz .LBB1181_118
; %bb.117:
	v_mov_b32_e32 v6, 0
	ds_write_b64 v6, v[30:31] offset:24
.LBB1181_118:
	s_or_b64 exec, exec, s[10:11]
	v_mov_b32_e32 v6, 0
	s_waitcnt lgkmcnt(0)
	s_barrier
	ds_read_b64 v[10:11], v6 offset:24
	v_cndmask_b32_e64 v25, v92, v25, s[8:9]
	v_cndmask_b32_e64 v1, v1, v24, s[8:9]
	s_movk_i32 s8, 0x3400
	s_waitcnt lgkmcnt(0)
	v_add_u32_e32 v24, v10, v1
	v_add_u32_e64 v1, s8, 0
	s_barrier
	ds_read2_b32 v[6:7], v1 offset1:2
	ds_read2_b32 v[8:9], v1 offset0:4 offset1:6
	v_add_u32_e32 v1, v11, v25
	v_cndmask_b32_e64 v1, v1, v11, s[0:1]
	v_cndmask_b32_e64 v10, v24, v10, s[0:1]
	s_branch .LBB1181_129
.LBB1181_119:
                                        ; implicit-def: $vgpr1
                                        ; implicit-def: $vgpr8
                                        ; implicit-def: $vgpr6
                                        ; implicit-def: $vgpr10_vgpr11
	s_cbranch_execz .LBB1181_129
; %bb.120:
	s_nop 0
	v_mov_b32_dpp v1, v90 row_shr:1 row_mask:0xf bank_mask:0xf
	s_waitcnt lgkmcnt(1)
	v_mov_b32_dpp v6, v91 row_shr:1 row_mask:0xf bank_mask:0xf
	v_add_u32_e32 v1, v1, v90
	v_add_u32_e32 v6, v6, v91
	v_cndmask_b32_e64 v6, v6, v91, s[6:7]
	v_cndmask_b32_e64 v1, v1, v90, s[6:7]
	v_cmp_lt_u32_e32 vcc, 3, v89
	s_waitcnt lgkmcnt(0)
	v_mov_b32_dpp v8, v6 row_shr:2 row_mask:0xf bank_mask:0xf
	v_mov_b32_dpp v7, v1 row_shr:2 row_mask:0xf bank_mask:0xf
	v_add_u32_e32 v7, v1, v7
	v_add_u32_e32 v8, v6, v8
	v_cndmask_b32_e64 v6, v6, v8, s[4:5]
	v_cndmask_b32_e64 v1, v1, v7, s[4:5]
	s_nop 0
	v_mov_b32_dpp v8, v6 row_shr:4 row_mask:0xf bank_mask:0xf
	v_mov_b32_dpp v7, v1 row_shr:4 row_mask:0xf bank_mask:0xf
	v_add_u32_e32 v7, v1, v7
	v_add_u32_e32 v8, v6, v8
	v_cndmask_b32_e32 v6, v6, v8, vcc
	v_cndmask_b32_e32 v1, v1, v7, vcc
	v_cmp_lt_u32_e32 vcc, 7, v89
	v_mov_b32_dpp v8, v6 row_shr:8 row_mask:0xf bank_mask:0xf
	v_mov_b32_dpp v7, v1 row_shr:8 row_mask:0xf bank_mask:0xf
	v_add_u32_e32 v7, v1, v7
	v_add_u32_e32 v8, v6, v8
	v_cndmask_b32_e32 v6, v6, v8, vcc
	v_cndmask_b32_e32 v1, v1, v7, vcc
	v_cmp_eq_u32_e32 vcc, 0, v88
	v_mov_b32_dpp v8, v6 row_bcast:15 row_mask:0xf bank_mask:0xf
	v_mov_b32_dpp v7, v1 row_bcast:15 row_mask:0xf bank_mask:0xf
	v_add_u32_e32 v7, v1, v7
	v_add_u32_e32 v8, v6, v8
	v_cndmask_b32_e32 v6, v8, v6, vcc
	v_cndmask_b32_e32 v1, v7, v1, vcc
	v_cmp_lt_u32_e32 vcc, 31, v85
	v_mov_b32_dpp v8, v6 row_bcast:31 row_mask:0xf bank_mask:0xf
	v_mov_b32_dpp v7, v1 row_bcast:31 row_mask:0xf bank_mask:0xf
	v_add_u32_e32 v8, v6, v8
	v_add_u32_e32 v9, v1, v7
	v_cndmask_b32_e32 v7, v6, v8, vcc
	v_cndmask_b32_e32 v6, v1, v9, vcc
	v_cmp_eq_u32_e32 vcc, v87, v0
	s_and_saveexec_b64 s[4:5], vcc
	s_cbranch_execz .LBB1181_122
; %bb.121:
	v_lshlrev_b32_e32 v1, 3, v86
	ds_write_b64 v1, v[6:7]
.LBB1181_122:
	s_or_b64 exec, exec, s[4:5]
	v_cmp_gt_u32_e32 vcc, 4, v0
	s_waitcnt lgkmcnt(0)
	s_barrier
	s_and_saveexec_b64 s[4:5], vcc
	s_cbranch_execz .LBB1181_124
; %bb.123:
	v_lshlrev_b32_e32 v1, 3, v0
	ds_read_b64 v[8:9], v1
	v_and_b32_e32 v10, 3, v85
	v_cmp_eq_u32_e32 vcc, 0, v10
	s_waitcnt lgkmcnt(0)
	v_mov_b32_dpp v11, v8 row_shr:1 row_mask:0xf bank_mask:0xf
	v_mov_b32_dpp v24, v9 row_shr:1 row_mask:0xf bank_mask:0xf
	v_add_u32_e32 v11, v11, v8
	v_add_u32_e32 v24, v24, v9
	v_cndmask_b32_e32 v9, v24, v9, vcc
	v_cndmask_b32_e32 v8, v11, v8, vcc
	v_cmp_lt_u32_e32 vcc, 1, v10
	v_mov_b32_dpp v24, v9 row_shr:2 row_mask:0xf bank_mask:0xf
	v_mov_b32_dpp v11, v8 row_shr:2 row_mask:0xf bank_mask:0xf
	v_cndmask_b32_e32 v10, 0, v11, vcc
	v_cndmask_b32_e32 v11, 0, v24, vcc
	v_add_u32_e32 v9, v11, v9
	v_add_u32_e32 v8, v10, v8
	ds_write_b64 v1, v[8:9]
.LBB1181_124:
	s_or_b64 exec, exec, s[4:5]
	v_cmp_lt_u32_e32 vcc, 63, v0
	v_mov_b32_e32 v8, 0
	v_mov_b32_e32 v10, 0
	;; [unrolled: 1-line block ×3, first 2 shown]
	s_waitcnt lgkmcnt(0)
	s_barrier
	s_and_saveexec_b64 s[4:5], vcc
	s_cbranch_execz .LBB1181_126
; %bb.125:
	v_lshl_add_u32 v1, v86, 3, -8
	ds_read_b64 v[10:11], v1
.LBB1181_126:
	s_or_b64 exec, exec, s[4:5]
	s_waitcnt lgkmcnt(0)
	v_add_u32_e32 v9, v11, v7
	v_add_u32_e32 v1, v10, v6
	v_add_u32_e32 v6, -1, v85
	v_and_b32_e32 v7, 64, v85
	v_cmp_lt_i32_e32 vcc, v6, v7
	v_cndmask_b32_e32 v6, v6, v85, vcc
	v_lshlrev_b32_e32 v24, 2, v6
	ds_read_b64 v[6:7], v8 offset:24
	ds_bpermute_b32 v1, v24, v1
	ds_bpermute_b32 v24, v24, v9
	s_waitcnt lgkmcnt(2)
	v_readfirstlane_b32 s6, v7
	s_and_saveexec_b64 s[4:5], s[0:1]
	s_cbranch_execz .LBB1181_128
; %bb.127:
	s_add_u32 s8, s50, 0x400
	s_mov_b32 s10, 0
	s_addc_u32 s9, s51, 0
	s_and_b32 s11, s6, 0xff000000
	s_and_b32 s13, s6, 0xff0000
	s_mov_b32 s12, s10
	s_or_b64 s[12:13], s[12:13], s[10:11]
	s_and_b32 s11, s6, 0xff00
	s_or_b64 s[12:13], s[12:13], s[10:11]
	s_and_b32 s11, s6, 0xff
	s_or_b64 s[10:11], s[12:13], s[10:11]
	v_mov_b32_e32 v7, s11
	v_mov_b32_e32 v8, 2
	;; [unrolled: 1-line block ×3, first 2 shown]
	v_pk_mov_b32 v[26:27], s[8:9], s[8:9] op_sel:[0,1]
	;;#ASMSTART
	global_store_dwordx4 v[26:27], v[6:9] off	
s_waitcnt vmcnt(0)
	;;#ASMEND
.LBB1181_128:
	s_or_b64 exec, exec, s[4:5]
	v_cmp_eq_u32_e32 vcc, 0, v85
	s_waitcnt lgkmcnt(1)
	v_cndmask_b32_e32 v7, v1, v10, vcc
	s_waitcnt lgkmcnt(0)
	v_cndmask_b32_e32 v1, v24, v11, vcc
	v_mov_b32_e32 v8, 0
	v_cndmask_b32_e64 v1, v1, 0, s[0:1]
	v_cndmask_b32_e64 v10, v7, 0, s[0:1]
	s_barrier
	v_mov_b32_e32 v7, s6
	v_mov_b32_e32 v9, 0
.LBB1181_129:
	v_add_u32_e32 v11, v10, v67
	v_add_u32_e32 v26, v1, v68
	;; [unrolled: 1-line block ×13, first 2 shown]
	s_waitcnt vmcnt(0) lgkmcnt(0)
	v_add_co_u32_e32 v2, vcc, v2, v8
	v_add_u32_e32 v68, v62, v74
	v_add_u32_e32 v64, v67, v64
	v_addc_co_u32_e32 v3, vcc, 0, v3, vcc
	v_add_u32_e32 v69, v68, v82
	v_add_u32_e32 v70, v64, v75
	v_sub_co_u32_e32 v24, vcc, v4, v6
	v_add_u32_e32 v71, v69, v76
	v_add_u32_e32 v65, v70, v65
	v_subbrev_co_u32_e32 v25, vcc, 0, v5, vcc
	v_lshlrev_b32_e32 v76, 1, v6
	v_sub_u32_e32 v1, v1, v9
	v_add_u32_e32 v73, v65, v77
	v_add_co_u32_e32 v24, vcc, v24, v9
	v_add_u32_e32 v77, v76, v7
	v_sub_u32_e32 v10, v10, v8
	v_add_u32_e32 v1, v1, v6
	v_addc_co_u32_e32 v25, vcc, 0, v25, vcc
	v_add_u32_e32 v36, v77, v36
	v_and_b32_e32 v38, 1, v38
	v_add_u32_e32 v77, v10, v1
	v_and_b32_e32 v37, 1, v37
	v_sub_u32_e32 v77, v36, v77
	v_cmp_eq_u32_e32 vcc, 1, v38
	v_cndmask_b32_e32 v1, v77, v1, vcc
	v_cmp_eq_u32_e32 vcc, 1, v37
	v_cndmask_b32_e32 v1, v1, v10, vcc
	v_lshlrev_b32_e32 v1, 2, v1
	ds_write_b32 v1, v22
	v_sub_u32_e32 v1, v11, v8
	v_sub_u32_e32 v11, v26, v9
	v_add_u32_e32 v11, v11, v6
	v_add_u32_e32 v26, v11, v1
	v_and_b32_e32 v22, 1, v40
	v_sub_u32_e32 v26, v36, v26
	v_and_b32_e32 v10, 1, v39
	v_add_u32_e32 v26, 1, v26
	v_cmp_eq_u32_e32 vcc, 1, v22
	v_cndmask_b32_e32 v11, v26, v11, vcc
	v_cmp_eq_u32_e32 vcc, 1, v10
	v_cndmask_b32_e32 v1, v11, v1, vcc
	v_lshlrev_b32_e32 v1, 2, v1
	v_sub_u32_e32 v11, v27, v9
	ds_write_b32 v1, v23
	v_sub_u32_e32 v1, v28, v8
	v_add_u32_e32 v11, v11, v6
	v_add_u32_e32 v23, v11, v1
	v_and_b32_e32 v22, 1, v42
	v_sub_u32_e32 v23, v36, v23
	v_and_b32_e32 v10, 1, v41
	v_add_u32_e32 v23, 2, v23
	v_cmp_eq_u32_e32 vcc, 1, v22
	v_cndmask_b32_e32 v11, v23, v11, vcc
	v_cmp_eq_u32_e32 vcc, 1, v10
	v_cndmask_b32_e32 v1, v11, v1, vcc
	v_lshlrev_b32_e32 v1, 2, v1
	v_sub_u32_e32 v11, v30, v9
	ds_write_b32 v1, v20
	;; [unrolled: 14-line block ×8, first 2 shown]
	v_sub_u32_e32 v1, v70, v8
	v_add_u32_e32 v11, v11, v6
	v_add_u32_e32 v16, v1, v11
	v_and_b32_e32 v14, 1, v55
	v_sub_u32_e32 v16, v36, v16
	v_and_b32_e32 v10, 1, v56
	v_add_u32_e32 v16, 9, v16
	v_cmp_eq_u32_e32 vcc, 1, v14
	v_cndmask_b32_e32 v11, v16, v11, vcc
	v_cmp_eq_u32_e32 vcc, 1, v10
	v_add_u32_e32 v72, v71, v83
	v_cndmask_b32_e32 v1, v11, v1, vcc
	v_lshlrev_b32_e32 v1, 2, v1
	v_sub_u32_e32 v11, v72, v9
	ds_write_b32 v1, v15
	v_sub_u32_e32 v1, v65, v8
	v_add_u32_e32 v11, v11, v6
	v_add_u32_e32 v15, v1, v11
	v_and_b32_e32 v14, 1, v57
	v_sub_u32_e32 v15, v36, v15
	v_and_b32_e32 v10, 1, v58
	v_add_u32_e32 v15, 10, v15
	v_cmp_eq_u32_e32 vcc, 1, v14
	v_cndmask_b32_e32 v11, v15, v11, vcc
	v_cmp_eq_u32_e32 vcc, 1, v10
	v_add_u32_e32 v74, v72, v78
	v_cndmask_b32_e32 v1, v11, v1, vcc
	v_lshlrev_b32_e32 v1, 2, v1
	v_sub_u32_e32 v11, v74, v9
	ds_write_b32 v1, v12
	v_sub_u32_e32 v1, v73, v8
	v_add_u32_e32 v11, v11, v6
	v_add_u32_e32 v14, v1, v11
	v_and_b32_e32 v12, 1, v59
	v_sub_u32_e32 v14, v36, v14
	v_and_b32_e32 v10, 1, v60
	v_add_u32_e32 v14, 11, v14
	v_cmp_eq_u32_e32 vcc, 1, v12
	v_cndmask_b32_e32 v11, v14, v11, vcc
	v_cmp_eq_u32_e32 vcc, 1, v10
	v_cndmask_b32_e32 v1, v11, v1, vcc
	v_add_u32_e32 v75, v74, v84
	v_add_u32_e32 v66, v73, v66
	v_lshlrev_b32_e32 v1, 2, v1
	ds_write_b32 v1, v13
	v_sub_u32_e32 v1, v66, v8
	v_sub_u32_e32 v8, v75, v9
	v_add_u32_e32 v8, v8, v6
	v_add_u32_e32 v10, v1, v8
	v_sub_u32_e32 v10, v36, v10
	v_add_u32_e32 v10, 12, v10
	v_cndmask_b32_e64 v8, v10, v8, s[54:55]
	v_cndmask_b32_e64 v1, v8, v1, s[52:53]
	v_lshlrev_b32_e32 v1, 2, v1
	ds_write_b32 v1, v35
	v_mov_b32_e32 v1, s49
	v_add_co_u32_e32 v8, vcc, s48, v34
	v_addc_co_u32_e32 v10, vcc, 0, v1, vcc
	v_add_co_u32_e32 v1, vcc, v7, v76
	v_addc_co_u32_e64 v11, s[4:5], 0, 0, vcc
	v_add_co_u32_e32 v1, vcc, v1, v24
	v_addc_co_u32_e32 v11, vcc, v11, v25, vcc
	v_add_co_u32_e32 v1, vcc, v1, v2
	v_addc_co_u32_e32 v11, vcc, v11, v3, vcc
	v_sub_co_u32_e32 v1, vcc, v8, v1
	v_subb_co_u32_e32 v8, vcc, v10, v11, vcc
	v_lshlrev_b64 v[10:11], 2, v[24:25]
	v_mov_b32_e32 v12, s47
	v_add_co_u32_e32 v10, vcc, s46, v10
	v_addc_co_u32_e32 v11, vcc, v12, v11, vcc
	v_lshlrev_b64 v[12:13], 2, v[2:3]
	v_mov_b32_e32 v15, s45
	v_add_co_u32_e32 v12, vcc, s44, v12
	s_add_u32 s8, s34, -4
	v_addc_co_u32_e32 v13, vcc, v15, v13, vcc
	s_addc_u32 s9, s35, -1
	v_add_u32_e32 v14, v6, v7
	s_and_b64 vcc, exec, s[2:3]
	s_mov_b64 s[2:3], -1
	s_waitcnt lgkmcnt(0)
	s_barrier
	s_cbranch_vccz .LBB1181_133
; %bb.130:
	s_and_b64 vcc, exec, s[2:3]
	s_cbranch_vccnz .LBB1181_238
.LBB1181_131:
	s_and_b64 s[0:1], s[0:1], s[30:31]
	s_and_saveexec_b64 s[2:3], s[0:1]
	s_cbranch_execnz .LBB1181_356
.LBB1181_132:
	s_endpgm
.LBB1181_133:
	v_cmp_le_u32_e32 vcc, v6, v0
	s_and_saveexec_b64 s[2:3], vcc
	s_xor_b64 s[2:3], exec, s[2:3]
	s_cbranch_execz .LBB1181_139
; %bb.134:
	v_cmp_le_u32_e32 vcc, v14, v0
	s_and_saveexec_b64 s[4:5], vcc
	s_xor_b64 s[4:5], exec, s[4:5]
	s_cbranch_execz .LBB1181_136
; %bb.135:
	v_lshlrev_b32_e32 v15, 2, v0
	v_add_co_u32_e32 v16, vcc, v1, v0
	ds_read_b32 v15, v15
	v_addc_co_u32_e32 v17, vcc, 0, v8, vcc
	v_lshlrev_b64 v[16:17], 2, v[16:17]
	v_mov_b32_e32 v18, s35
	v_sub_co_u32_e32 v16, vcc, s34, v16
	v_subb_co_u32_e32 v17, vcc, v18, v17, vcc
	s_waitcnt lgkmcnt(0)
	global_store_dword v[16:17], v15, off offset:-4
.LBB1181_136:
	s_andn2_saveexec_b64 s[4:5], s[4:5]
	s_cbranch_execz .LBB1181_138
; %bb.137:
	v_lshlrev_b32_e32 v15, 2, v0
	ds_read_b32 v16, v15
	v_readfirstlane_b32 s6, v10
	v_readfirstlane_b32 s7, v11
	s_waitcnt lgkmcnt(0)
	s_nop 3
	global_store_dword v15, v16, s[6:7]
.LBB1181_138:
	s_or_b64 exec, exec, s[4:5]
.LBB1181_139:
	s_andn2_saveexec_b64 s[2:3], s[2:3]
	s_cbranch_execz .LBB1181_141
; %bb.140:
	v_lshlrev_b32_e32 v15, 2, v0
	ds_read_b32 v16, v15
	v_readfirstlane_b32 s4, v12
	v_readfirstlane_b32 s5, v13
	s_waitcnt lgkmcnt(0)
	s_nop 3
	global_store_dword v15, v16, s[4:5]
.LBB1181_141:
	s_or_b64 exec, exec, s[2:3]
	v_or_b32_e32 v15, 0x100, v0
	v_cmp_le_u32_e32 vcc, v6, v15
	s_and_saveexec_b64 s[2:3], vcc
	s_xor_b64 s[2:3], exec, s[2:3]
	s_cbranch_execz .LBB1181_147
; %bb.142:
	v_cmp_le_u32_e32 vcc, v14, v15
	s_and_saveexec_b64 s[4:5], vcc
	s_xor_b64 s[4:5], exec, s[4:5]
	s_cbranch_execz .LBB1181_144
; %bb.143:
	v_lshlrev_b32_e32 v15, 2, v0
	ds_read_b32 v15, v15 offset:1024
	v_add_co_u32_e32 v16, vcc, v1, v0
	v_addc_co_u32_e32 v17, vcc, 0, v8, vcc
	v_lshlrev_b64 v[16:17], 2, v[16:17]
	v_mov_b32_e32 v18, s9
	v_sub_co_u32_e32 v16, vcc, s8, v16
	v_subb_co_u32_e32 v17, vcc, v18, v17, vcc
	s_waitcnt lgkmcnt(0)
	global_store_dword v[16:17], v15, off offset:-1024
.LBB1181_144:
	s_andn2_saveexec_b64 s[4:5], s[4:5]
	s_cbranch_execz .LBB1181_146
; %bb.145:
	v_lshlrev_b32_e32 v15, 2, v0
	ds_read_b32 v16, v15 offset:1024
	v_readfirstlane_b32 s6, v10
	v_readfirstlane_b32 s7, v11
	s_waitcnt lgkmcnt(0)
	s_nop 3
	global_store_dword v15, v16, s[6:7] offset:1024
.LBB1181_146:
	s_or_b64 exec, exec, s[4:5]
.LBB1181_147:
	s_andn2_saveexec_b64 s[2:3], s[2:3]
	s_cbranch_execz .LBB1181_149
; %bb.148:
	v_lshlrev_b32_e32 v15, 2, v0
	ds_read_b32 v16, v15 offset:1024
	v_readfirstlane_b32 s4, v12
	v_readfirstlane_b32 s5, v13
	s_waitcnt lgkmcnt(0)
	s_nop 3
	global_store_dword v15, v16, s[4:5] offset:1024
.LBB1181_149:
	s_or_b64 exec, exec, s[2:3]
	v_or_b32_e32 v15, 0x200, v0
	v_cmp_le_u32_e32 vcc, v6, v15
	s_and_saveexec_b64 s[2:3], vcc
	s_xor_b64 s[2:3], exec, s[2:3]
	s_cbranch_execz .LBB1181_155
; %bb.150:
	v_cmp_le_u32_e32 vcc, v14, v15
	s_and_saveexec_b64 s[4:5], vcc
	s_xor_b64 s[4:5], exec, s[4:5]
	s_cbranch_execz .LBB1181_152
; %bb.151:
	v_lshlrev_b32_e32 v15, 2, v0
	ds_read_b32 v15, v15 offset:2048
	v_add_co_u32_e32 v16, vcc, v1, v0
	v_addc_co_u32_e32 v17, vcc, 0, v8, vcc
	v_lshlrev_b64 v[16:17], 2, v[16:17]
	v_mov_b32_e32 v18, s9
	v_sub_co_u32_e32 v16, vcc, s8, v16
	v_subb_co_u32_e32 v17, vcc, v18, v17, vcc
	s_waitcnt lgkmcnt(0)
	global_store_dword v[16:17], v15, off offset:-2048
.LBB1181_152:
	s_andn2_saveexec_b64 s[4:5], s[4:5]
	s_cbranch_execz .LBB1181_154
; %bb.153:
	v_lshlrev_b32_e32 v15, 2, v0
	ds_read_b32 v16, v15 offset:2048
	v_readfirstlane_b32 s6, v10
	v_readfirstlane_b32 s7, v11
	s_waitcnt lgkmcnt(0)
	s_nop 3
	global_store_dword v15, v16, s[6:7] offset:2048
.LBB1181_154:
	s_or_b64 exec, exec, s[4:5]
.LBB1181_155:
	s_andn2_saveexec_b64 s[2:3], s[2:3]
	s_cbranch_execz .LBB1181_157
; %bb.156:
	v_lshlrev_b32_e32 v15, 2, v0
	ds_read_b32 v16, v15 offset:2048
	v_readfirstlane_b32 s4, v12
	v_readfirstlane_b32 s5, v13
	s_waitcnt lgkmcnt(0)
	s_nop 3
	global_store_dword v15, v16, s[4:5] offset:2048
.LBB1181_157:
	;; [unrolled: 47-line block ×3, first 2 shown]
	s_or_b64 exec, exec, s[2:3]
	v_or_b32_e32 v15, 0x400, v0
	v_cmp_le_u32_e32 vcc, v6, v15
	s_and_saveexec_b64 s[2:3], vcc
	s_xor_b64 s[2:3], exec, s[2:3]
	s_cbranch_execz .LBB1181_171
; %bb.166:
	v_cmp_le_u32_e32 vcc, v14, v15
	s_and_saveexec_b64 s[4:5], vcc
	s_xor_b64 s[4:5], exec, s[4:5]
	s_cbranch_execz .LBB1181_168
; %bb.167:
	v_lshlrev_b32_e32 v15, 2, v0
	ds_read_b32 v15, v15 offset:4096
	v_add_co_u32_e32 v16, vcc, v1, v0
	v_addc_co_u32_e32 v17, vcc, 0, v8, vcc
	v_lshlrev_b64 v[16:17], 2, v[16:17]
	v_mov_b32_e32 v18, s9
	v_sub_co_u32_e32 v16, vcc, s8, v16
	v_subb_co_u32_e32 v17, vcc, v18, v17, vcc
	s_waitcnt lgkmcnt(0)
	global_store_dword v[16:17], v15, off offset:-4096
                                        ; implicit-def: $vgpr15
.LBB1181_168:
	s_andn2_saveexec_b64 s[4:5], s[4:5]
	s_cbranch_execz .LBB1181_170
; %bb.169:
	v_lshlrev_b32_e32 v16, 2, v0
	ds_read_b32 v16, v16 offset:4096
	v_lshlrev_b32_e32 v15, 2, v15
	v_readfirstlane_b32 s6, v10
	v_readfirstlane_b32 s7, v11
	s_waitcnt lgkmcnt(0)
	s_nop 3
	global_store_dword v15, v16, s[6:7]
.LBB1181_170:
	s_or_b64 exec, exec, s[4:5]
                                        ; implicit-def: $vgpr15
.LBB1181_171:
	s_andn2_saveexec_b64 s[2:3], s[2:3]
	s_cbranch_execz .LBB1181_173
; %bb.172:
	v_lshlrev_b32_e32 v16, 2, v0
	ds_read_b32 v16, v16 offset:4096
	v_lshlrev_b32_e32 v15, 2, v15
	v_readfirstlane_b32 s4, v12
	v_readfirstlane_b32 s5, v13
	s_waitcnt lgkmcnt(0)
	s_nop 3
	global_store_dword v15, v16, s[4:5]
.LBB1181_173:
	s_or_b64 exec, exec, s[2:3]
	v_or_b32_e32 v15, 0x500, v0
	v_cmp_le_u32_e32 vcc, v6, v15
	s_and_saveexec_b64 s[2:3], vcc
	s_xor_b64 s[2:3], exec, s[2:3]
	s_cbranch_execz .LBB1181_179
; %bb.174:
	v_cmp_le_u32_e32 vcc, v14, v15
	s_and_saveexec_b64 s[4:5], vcc
	s_xor_b64 s[4:5], exec, s[4:5]
	s_cbranch_execz .LBB1181_176
; %bb.175:
	v_add_co_u32_e32 v16, vcc, v1, v15
	v_lshlrev_b32_e32 v15, 2, v0
	ds_read_b32 v15, v15 offset:5120
	v_addc_co_u32_e32 v17, vcc, 0, v8, vcc
	v_lshlrev_b64 v[16:17], 2, v[16:17]
	v_mov_b32_e32 v18, s9
	v_sub_co_u32_e32 v16, vcc, s8, v16
	v_subb_co_u32_e32 v17, vcc, v18, v17, vcc
	s_waitcnt lgkmcnt(0)
	global_store_dword v[16:17], v15, off
                                        ; implicit-def: $vgpr15
.LBB1181_176:
	s_andn2_saveexec_b64 s[4:5], s[4:5]
	s_cbranch_execz .LBB1181_178
; %bb.177:
	v_lshlrev_b32_e32 v16, 2, v0
	ds_read_b32 v16, v16 offset:5120
	v_lshlrev_b32_e32 v15, 2, v15
	v_readfirstlane_b32 s6, v10
	v_readfirstlane_b32 s7, v11
	s_waitcnt lgkmcnt(0)
	s_nop 3
	global_store_dword v15, v16, s[6:7]
.LBB1181_178:
	s_or_b64 exec, exec, s[4:5]
                                        ; implicit-def: $vgpr15
.LBB1181_179:
	s_andn2_saveexec_b64 s[2:3], s[2:3]
	s_cbranch_execz .LBB1181_181
; %bb.180:
	v_lshlrev_b32_e32 v16, 2, v0
	ds_read_b32 v16, v16 offset:5120
	v_lshlrev_b32_e32 v15, 2, v15
	v_readfirstlane_b32 s4, v12
	v_readfirstlane_b32 s5, v13
	s_waitcnt lgkmcnt(0)
	s_nop 3
	global_store_dword v15, v16, s[4:5]
.LBB1181_181:
	s_or_b64 exec, exec, s[2:3]
	v_or_b32_e32 v15, 0x600, v0
	v_cmp_le_u32_e32 vcc, v6, v15
	s_and_saveexec_b64 s[2:3], vcc
	s_xor_b64 s[2:3], exec, s[2:3]
	s_cbranch_execz .LBB1181_187
; %bb.182:
	v_cmp_le_u32_e32 vcc, v14, v15
	s_and_saveexec_b64 s[4:5], vcc
	s_xor_b64 s[4:5], exec, s[4:5]
	s_cbranch_execz .LBB1181_184
; %bb.183:
	v_add_co_u32_e32 v16, vcc, v1, v15
	v_lshlrev_b32_e32 v15, 2, v0
	ds_read_b32 v15, v15 offset:6144
	v_addc_co_u32_e32 v17, vcc, 0, v8, vcc
	v_lshlrev_b64 v[16:17], 2, v[16:17]
	v_mov_b32_e32 v18, s9
	v_sub_co_u32_e32 v16, vcc, s8, v16
	v_subb_co_u32_e32 v17, vcc, v18, v17, vcc
	s_waitcnt lgkmcnt(0)
	global_store_dword v[16:17], v15, off
                                        ; implicit-def: $vgpr15
.LBB1181_184:
	s_andn2_saveexec_b64 s[4:5], s[4:5]
	s_cbranch_execz .LBB1181_186
; %bb.185:
	v_lshlrev_b32_e32 v16, 2, v0
	ds_read_b32 v16, v16 offset:6144
	v_lshlrev_b32_e32 v15, 2, v15
	v_readfirstlane_b32 s6, v10
	v_readfirstlane_b32 s7, v11
	s_waitcnt lgkmcnt(0)
	s_nop 3
	global_store_dword v15, v16, s[6:7]
.LBB1181_186:
	s_or_b64 exec, exec, s[4:5]
                                        ; implicit-def: $vgpr15
.LBB1181_187:
	s_andn2_saveexec_b64 s[2:3], s[2:3]
	s_cbranch_execz .LBB1181_189
; %bb.188:
	v_lshlrev_b32_e32 v16, 2, v0
	ds_read_b32 v16, v16 offset:6144
	v_lshlrev_b32_e32 v15, 2, v15
	v_readfirstlane_b32 s4, v12
	v_readfirstlane_b32 s5, v13
	s_waitcnt lgkmcnt(0)
	s_nop 3
	global_store_dword v15, v16, s[4:5]
.LBB1181_189:
	s_or_b64 exec, exec, s[2:3]
	v_or_b32_e32 v15, 0x700, v0
	v_cmp_le_u32_e32 vcc, v6, v15
	s_and_saveexec_b64 s[2:3], vcc
	s_xor_b64 s[2:3], exec, s[2:3]
	s_cbranch_execz .LBB1181_195
; %bb.190:
	v_cmp_le_u32_e32 vcc, v14, v15
	s_and_saveexec_b64 s[4:5], vcc
	s_xor_b64 s[4:5], exec, s[4:5]
	s_cbranch_execz .LBB1181_192
; %bb.191:
	v_add_co_u32_e32 v16, vcc, v1, v15
	v_lshlrev_b32_e32 v15, 2, v0
	ds_read_b32 v15, v15 offset:7168
	v_addc_co_u32_e32 v17, vcc, 0, v8, vcc
	v_lshlrev_b64 v[16:17], 2, v[16:17]
	v_mov_b32_e32 v18, s9
	v_sub_co_u32_e32 v16, vcc, s8, v16
	v_subb_co_u32_e32 v17, vcc, v18, v17, vcc
	s_waitcnt lgkmcnt(0)
	global_store_dword v[16:17], v15, off
                                        ; implicit-def: $vgpr15
.LBB1181_192:
	s_andn2_saveexec_b64 s[4:5], s[4:5]
	s_cbranch_execz .LBB1181_194
; %bb.193:
	v_lshlrev_b32_e32 v16, 2, v0
	ds_read_b32 v16, v16 offset:7168
	v_lshlrev_b32_e32 v15, 2, v15
	v_readfirstlane_b32 s6, v10
	v_readfirstlane_b32 s7, v11
	s_waitcnt lgkmcnt(0)
	s_nop 3
	global_store_dword v15, v16, s[6:7]
.LBB1181_194:
	s_or_b64 exec, exec, s[4:5]
                                        ; implicit-def: $vgpr15
.LBB1181_195:
	s_andn2_saveexec_b64 s[2:3], s[2:3]
	s_cbranch_execz .LBB1181_197
; %bb.196:
	v_lshlrev_b32_e32 v16, 2, v0
	ds_read_b32 v16, v16 offset:7168
	v_lshlrev_b32_e32 v15, 2, v15
	v_readfirstlane_b32 s4, v12
	v_readfirstlane_b32 s5, v13
	s_waitcnt lgkmcnt(0)
	s_nop 3
	global_store_dword v15, v16, s[4:5]
.LBB1181_197:
	s_or_b64 exec, exec, s[2:3]
	v_or_b32_e32 v15, 0x800, v0
	v_cmp_le_u32_e32 vcc, v6, v15
	s_and_saveexec_b64 s[2:3], vcc
	s_xor_b64 s[2:3], exec, s[2:3]
	s_cbranch_execz .LBB1181_203
; %bb.198:
	v_cmp_le_u32_e32 vcc, v14, v15
	s_and_saveexec_b64 s[4:5], vcc
	s_xor_b64 s[4:5], exec, s[4:5]
	s_cbranch_execz .LBB1181_200
; %bb.199:
	v_add_co_u32_e32 v16, vcc, v1, v15
	v_lshlrev_b32_e32 v15, 2, v0
	ds_read_b32 v15, v15 offset:8192
	v_addc_co_u32_e32 v17, vcc, 0, v8, vcc
	v_lshlrev_b64 v[16:17], 2, v[16:17]
	v_mov_b32_e32 v18, s9
	v_sub_co_u32_e32 v16, vcc, s8, v16
	v_subb_co_u32_e32 v17, vcc, v18, v17, vcc
	s_waitcnt lgkmcnt(0)
	global_store_dword v[16:17], v15, off
                                        ; implicit-def: $vgpr15
.LBB1181_200:
	s_andn2_saveexec_b64 s[4:5], s[4:5]
	s_cbranch_execz .LBB1181_202
; %bb.201:
	v_lshlrev_b32_e32 v16, 2, v0
	ds_read_b32 v16, v16 offset:8192
	v_lshlrev_b32_e32 v15, 2, v15
	v_readfirstlane_b32 s6, v10
	v_readfirstlane_b32 s7, v11
	s_waitcnt lgkmcnt(0)
	s_nop 3
	global_store_dword v15, v16, s[6:7]
.LBB1181_202:
	s_or_b64 exec, exec, s[4:5]
                                        ; implicit-def: $vgpr15
.LBB1181_203:
	s_andn2_saveexec_b64 s[2:3], s[2:3]
	s_cbranch_execz .LBB1181_205
; %bb.204:
	v_lshlrev_b32_e32 v16, 2, v0
	ds_read_b32 v16, v16 offset:8192
	v_lshlrev_b32_e32 v15, 2, v15
	v_readfirstlane_b32 s4, v12
	v_readfirstlane_b32 s5, v13
	s_waitcnt lgkmcnt(0)
	s_nop 3
	global_store_dword v15, v16, s[4:5]
.LBB1181_205:
	s_or_b64 exec, exec, s[2:3]
	v_or_b32_e32 v15, 0x900, v0
	v_cmp_le_u32_e32 vcc, v6, v15
	s_and_saveexec_b64 s[2:3], vcc
	s_xor_b64 s[2:3], exec, s[2:3]
	s_cbranch_execz .LBB1181_211
; %bb.206:
	v_cmp_le_u32_e32 vcc, v14, v15
	s_and_saveexec_b64 s[4:5], vcc
	s_xor_b64 s[4:5], exec, s[4:5]
	s_cbranch_execz .LBB1181_208
; %bb.207:
	v_add_co_u32_e32 v16, vcc, v1, v15
	v_lshlrev_b32_e32 v15, 2, v0
	ds_read_b32 v15, v15 offset:9216
	v_addc_co_u32_e32 v17, vcc, 0, v8, vcc
	v_lshlrev_b64 v[16:17], 2, v[16:17]
	v_mov_b32_e32 v18, s9
	v_sub_co_u32_e32 v16, vcc, s8, v16
	v_subb_co_u32_e32 v17, vcc, v18, v17, vcc
	s_waitcnt lgkmcnt(0)
	global_store_dword v[16:17], v15, off
                                        ; implicit-def: $vgpr15
.LBB1181_208:
	s_andn2_saveexec_b64 s[4:5], s[4:5]
	s_cbranch_execz .LBB1181_210
; %bb.209:
	v_lshlrev_b32_e32 v16, 2, v0
	ds_read_b32 v16, v16 offset:9216
	v_lshlrev_b32_e32 v15, 2, v15
	v_readfirstlane_b32 s6, v10
	v_readfirstlane_b32 s7, v11
	s_waitcnt lgkmcnt(0)
	s_nop 3
	global_store_dword v15, v16, s[6:7]
.LBB1181_210:
	s_or_b64 exec, exec, s[4:5]
                                        ; implicit-def: $vgpr15
.LBB1181_211:
	s_andn2_saveexec_b64 s[2:3], s[2:3]
	s_cbranch_execz .LBB1181_213
; %bb.212:
	v_lshlrev_b32_e32 v16, 2, v0
	ds_read_b32 v16, v16 offset:9216
	v_lshlrev_b32_e32 v15, 2, v15
	v_readfirstlane_b32 s4, v12
	v_readfirstlane_b32 s5, v13
	s_waitcnt lgkmcnt(0)
	s_nop 3
	global_store_dword v15, v16, s[4:5]
.LBB1181_213:
	s_or_b64 exec, exec, s[2:3]
	v_or_b32_e32 v15, 0xa00, v0
	v_cmp_le_u32_e32 vcc, v6, v15
	s_and_saveexec_b64 s[2:3], vcc
	s_xor_b64 s[2:3], exec, s[2:3]
	s_cbranch_execz .LBB1181_219
; %bb.214:
	v_cmp_le_u32_e32 vcc, v14, v15
	s_and_saveexec_b64 s[4:5], vcc
	s_xor_b64 s[4:5], exec, s[4:5]
	s_cbranch_execz .LBB1181_216
; %bb.215:
	v_add_co_u32_e32 v16, vcc, v1, v15
	v_lshlrev_b32_e32 v15, 2, v0
	ds_read_b32 v15, v15 offset:10240
	v_addc_co_u32_e32 v17, vcc, 0, v8, vcc
	v_lshlrev_b64 v[16:17], 2, v[16:17]
	v_mov_b32_e32 v18, s9
	v_sub_co_u32_e32 v16, vcc, s8, v16
	v_subb_co_u32_e32 v17, vcc, v18, v17, vcc
	s_waitcnt lgkmcnt(0)
	global_store_dword v[16:17], v15, off
                                        ; implicit-def: $vgpr15
.LBB1181_216:
	s_andn2_saveexec_b64 s[4:5], s[4:5]
	s_cbranch_execz .LBB1181_218
; %bb.217:
	v_lshlrev_b32_e32 v16, 2, v0
	ds_read_b32 v16, v16 offset:10240
	v_lshlrev_b32_e32 v15, 2, v15
	v_readfirstlane_b32 s6, v10
	v_readfirstlane_b32 s7, v11
	s_waitcnt lgkmcnt(0)
	s_nop 3
	global_store_dword v15, v16, s[6:7]
.LBB1181_218:
	s_or_b64 exec, exec, s[4:5]
                                        ; implicit-def: $vgpr15
.LBB1181_219:
	s_andn2_saveexec_b64 s[2:3], s[2:3]
	s_cbranch_execz .LBB1181_221
; %bb.220:
	v_lshlrev_b32_e32 v16, 2, v0
	ds_read_b32 v16, v16 offset:10240
	v_lshlrev_b32_e32 v15, 2, v15
	v_readfirstlane_b32 s4, v12
	v_readfirstlane_b32 s5, v13
	s_waitcnt lgkmcnt(0)
	s_nop 3
	global_store_dword v15, v16, s[4:5]
.LBB1181_221:
	s_or_b64 exec, exec, s[2:3]
	v_or_b32_e32 v15, 0xb00, v0
	v_cmp_le_u32_e32 vcc, v6, v15
	s_and_saveexec_b64 s[2:3], vcc
	s_xor_b64 s[2:3], exec, s[2:3]
	s_cbranch_execz .LBB1181_227
; %bb.222:
	v_cmp_le_u32_e32 vcc, v14, v15
	s_and_saveexec_b64 s[4:5], vcc
	s_xor_b64 s[4:5], exec, s[4:5]
	s_cbranch_execz .LBB1181_224
; %bb.223:
	v_add_co_u32_e32 v16, vcc, v1, v15
	v_lshlrev_b32_e32 v15, 2, v0
	ds_read_b32 v15, v15 offset:11264
	v_addc_co_u32_e32 v17, vcc, 0, v8, vcc
	v_lshlrev_b64 v[16:17], 2, v[16:17]
	v_mov_b32_e32 v18, s9
	v_sub_co_u32_e32 v16, vcc, s8, v16
	v_subb_co_u32_e32 v17, vcc, v18, v17, vcc
	s_waitcnt lgkmcnt(0)
	global_store_dword v[16:17], v15, off
                                        ; implicit-def: $vgpr15
.LBB1181_224:
	s_andn2_saveexec_b64 s[4:5], s[4:5]
	s_cbranch_execz .LBB1181_226
; %bb.225:
	v_lshlrev_b32_e32 v16, 2, v0
	ds_read_b32 v16, v16 offset:11264
	v_lshlrev_b32_e32 v15, 2, v15
	v_readfirstlane_b32 s6, v10
	v_readfirstlane_b32 s7, v11
	s_waitcnt lgkmcnt(0)
	s_nop 3
	global_store_dword v15, v16, s[6:7]
.LBB1181_226:
	s_or_b64 exec, exec, s[4:5]
                                        ; implicit-def: $vgpr15
.LBB1181_227:
	s_andn2_saveexec_b64 s[2:3], s[2:3]
	s_cbranch_execz .LBB1181_229
; %bb.228:
	v_lshlrev_b32_e32 v16, 2, v0
	ds_read_b32 v16, v16 offset:11264
	v_lshlrev_b32_e32 v15, 2, v15
	v_readfirstlane_b32 s4, v12
	v_readfirstlane_b32 s5, v13
	s_waitcnt lgkmcnt(0)
	s_nop 3
	global_store_dword v15, v16, s[4:5]
.LBB1181_229:
	s_or_b64 exec, exec, s[2:3]
	v_or_b32_e32 v15, 0xc00, v0
	v_cmp_le_u32_e32 vcc, v6, v15
	s_and_saveexec_b64 s[2:3], vcc
	s_xor_b64 s[2:3], exec, s[2:3]
	s_cbranch_execz .LBB1181_235
; %bb.230:
	v_cmp_le_u32_e32 vcc, v14, v15
	s_and_saveexec_b64 s[4:5], vcc
	s_xor_b64 s[4:5], exec, s[4:5]
	s_cbranch_execz .LBB1181_232
; %bb.231:
	v_add_co_u32_e32 v16, vcc, v1, v15
	v_lshlrev_b32_e32 v15, 2, v0
	ds_read_b32 v15, v15 offset:12288
	v_addc_co_u32_e32 v17, vcc, 0, v8, vcc
	v_lshlrev_b64 v[16:17], 2, v[16:17]
	v_mov_b32_e32 v18, s9
	v_sub_co_u32_e32 v16, vcc, s8, v16
	v_subb_co_u32_e32 v17, vcc, v18, v17, vcc
	s_waitcnt lgkmcnt(0)
	global_store_dword v[16:17], v15, off
                                        ; implicit-def: $vgpr15
.LBB1181_232:
	s_andn2_saveexec_b64 s[4:5], s[4:5]
	s_cbranch_execz .LBB1181_234
; %bb.233:
	v_lshlrev_b32_e32 v16, 2, v0
	ds_read_b32 v16, v16 offset:12288
	v_lshlrev_b32_e32 v15, 2, v15
	v_readfirstlane_b32 s6, v10
	v_readfirstlane_b32 s7, v11
	s_waitcnt lgkmcnt(0)
	s_nop 3
	global_store_dword v15, v16, s[6:7]
.LBB1181_234:
	s_or_b64 exec, exec, s[4:5]
                                        ; implicit-def: $vgpr15
.LBB1181_235:
	s_andn2_saveexec_b64 s[2:3], s[2:3]
	s_cbranch_execz .LBB1181_237
; %bb.236:
	v_lshlrev_b32_e32 v16, 2, v0
	ds_read_b32 v16, v16 offset:12288
	v_lshlrev_b32_e32 v15, 2, v15
	v_readfirstlane_b32 s4, v12
	v_readfirstlane_b32 s5, v13
	s_waitcnt lgkmcnt(0)
	s_nop 3
	global_store_dword v15, v16, s[4:5]
.LBB1181_237:
	s_or_b64 exec, exec, s[2:3]
	s_branch .LBB1181_131
.LBB1181_238:
	v_cmp_gt_u32_e32 vcc, s16, v0
	s_and_saveexec_b64 s[2:3], vcc
	s_cbranch_execz .LBB1181_247
; %bb.239:
	v_cmp_le_u32_e32 vcc, v6, v0
	s_and_saveexec_b64 s[4:5], vcc
	s_xor_b64 s[4:5], exec, s[4:5]
	s_cbranch_execz .LBB1181_245
; %bb.240:
	v_cmp_le_u32_e32 vcc, v14, v0
	s_and_saveexec_b64 s[6:7], vcc
	s_xor_b64 s[6:7], exec, s[6:7]
	s_cbranch_execz .LBB1181_242
; %bb.241:
	v_lshlrev_b32_e32 v15, 2, v0
	v_add_co_u32_e32 v16, vcc, v1, v0
	ds_read_b32 v15, v15
	v_addc_co_u32_e32 v17, vcc, 0, v8, vcc
	v_lshlrev_b64 v[16:17], 2, v[16:17]
	v_mov_b32_e32 v18, s35
	v_sub_co_u32_e32 v16, vcc, s34, v16
	v_subb_co_u32_e32 v17, vcc, v18, v17, vcc
	s_waitcnt lgkmcnt(0)
	global_store_dword v[16:17], v15, off offset:-4
.LBB1181_242:
	s_andn2_saveexec_b64 s[6:7], s[6:7]
	s_cbranch_execz .LBB1181_244
; %bb.243:
	v_lshlrev_b32_e32 v15, 2, v0
	ds_read_b32 v16, v15
	v_readfirstlane_b32 s10, v10
	v_readfirstlane_b32 s11, v11
	s_waitcnt lgkmcnt(0)
	s_nop 3
	global_store_dword v15, v16, s[10:11]
.LBB1181_244:
	s_or_b64 exec, exec, s[6:7]
.LBB1181_245:
	s_andn2_saveexec_b64 s[4:5], s[4:5]
	s_cbranch_execz .LBB1181_247
; %bb.246:
	v_lshlrev_b32_e32 v15, 2, v0
	ds_read_b32 v16, v15
	v_readfirstlane_b32 s4, v12
	v_readfirstlane_b32 s5, v13
	s_waitcnt lgkmcnt(0)
	s_nop 3
	global_store_dword v15, v16, s[4:5]
.LBB1181_247:
	s_or_b64 exec, exec, s[2:3]
	v_or_b32_e32 v15, 0x100, v0
	v_cmp_gt_u32_e32 vcc, s16, v15
	s_and_saveexec_b64 s[2:3], vcc
	s_cbranch_execz .LBB1181_256
; %bb.248:
	v_cmp_le_u32_e32 vcc, v6, v15
	s_and_saveexec_b64 s[4:5], vcc
	s_xor_b64 s[4:5], exec, s[4:5]
	s_cbranch_execz .LBB1181_254
; %bb.249:
	v_cmp_le_u32_e32 vcc, v14, v15
	s_and_saveexec_b64 s[6:7], vcc
	s_xor_b64 s[6:7], exec, s[6:7]
	s_cbranch_execz .LBB1181_251
; %bb.250:
	v_lshlrev_b32_e32 v15, 2, v0
	ds_read_b32 v15, v15 offset:1024
	v_add_co_u32_e32 v16, vcc, v1, v0
	v_addc_co_u32_e32 v17, vcc, 0, v8, vcc
	v_lshlrev_b64 v[16:17], 2, v[16:17]
	v_mov_b32_e32 v18, s9
	v_sub_co_u32_e32 v16, vcc, s8, v16
	v_subb_co_u32_e32 v17, vcc, v18, v17, vcc
	s_waitcnt lgkmcnt(0)
	global_store_dword v[16:17], v15, off offset:-1024
.LBB1181_251:
	s_andn2_saveexec_b64 s[6:7], s[6:7]
	s_cbranch_execz .LBB1181_253
; %bb.252:
	v_lshlrev_b32_e32 v15, 2, v0
	ds_read_b32 v16, v15 offset:1024
	v_readfirstlane_b32 s10, v10
	v_readfirstlane_b32 s11, v11
	s_waitcnt lgkmcnt(0)
	s_nop 3
	global_store_dword v15, v16, s[10:11] offset:1024
.LBB1181_253:
	s_or_b64 exec, exec, s[6:7]
.LBB1181_254:
	s_andn2_saveexec_b64 s[4:5], s[4:5]
	s_cbranch_execz .LBB1181_256
; %bb.255:
	v_lshlrev_b32_e32 v15, 2, v0
	ds_read_b32 v16, v15 offset:1024
	v_readfirstlane_b32 s4, v12
	v_readfirstlane_b32 s5, v13
	s_waitcnt lgkmcnt(0)
	s_nop 3
	global_store_dword v15, v16, s[4:5] offset:1024
.LBB1181_256:
	s_or_b64 exec, exec, s[2:3]
	v_or_b32_e32 v15, 0x200, v0
	v_cmp_gt_u32_e32 vcc, s16, v15
	s_and_saveexec_b64 s[2:3], vcc
	s_cbranch_execz .LBB1181_265
; %bb.257:
	v_cmp_le_u32_e32 vcc, v6, v15
	s_and_saveexec_b64 s[4:5], vcc
	s_xor_b64 s[4:5], exec, s[4:5]
	s_cbranch_execz .LBB1181_263
; %bb.258:
	v_cmp_le_u32_e32 vcc, v14, v15
	s_and_saveexec_b64 s[6:7], vcc
	s_xor_b64 s[6:7], exec, s[6:7]
	s_cbranch_execz .LBB1181_260
; %bb.259:
	v_lshlrev_b32_e32 v15, 2, v0
	ds_read_b32 v15, v15 offset:2048
	v_add_co_u32_e32 v16, vcc, v1, v0
	v_addc_co_u32_e32 v17, vcc, 0, v8, vcc
	v_lshlrev_b64 v[16:17], 2, v[16:17]
	v_mov_b32_e32 v18, s9
	v_sub_co_u32_e32 v16, vcc, s8, v16
	v_subb_co_u32_e32 v17, vcc, v18, v17, vcc
	s_waitcnt lgkmcnt(0)
	global_store_dword v[16:17], v15, off offset:-2048
.LBB1181_260:
	s_andn2_saveexec_b64 s[6:7], s[6:7]
	s_cbranch_execz .LBB1181_262
; %bb.261:
	v_lshlrev_b32_e32 v15, 2, v0
	ds_read_b32 v16, v15 offset:2048
	v_readfirstlane_b32 s10, v10
	v_readfirstlane_b32 s11, v11
	s_waitcnt lgkmcnt(0)
	s_nop 3
	global_store_dword v15, v16, s[10:11] offset:2048
.LBB1181_262:
	s_or_b64 exec, exec, s[6:7]
.LBB1181_263:
	s_andn2_saveexec_b64 s[4:5], s[4:5]
	s_cbranch_execz .LBB1181_265
; %bb.264:
	v_lshlrev_b32_e32 v15, 2, v0
	ds_read_b32 v16, v15 offset:2048
	v_readfirstlane_b32 s4, v12
	v_readfirstlane_b32 s5, v13
	s_waitcnt lgkmcnt(0)
	s_nop 3
	global_store_dword v15, v16, s[4:5] offset:2048
.LBB1181_265:
	;; [unrolled: 51-line block ×3, first 2 shown]
	s_or_b64 exec, exec, s[2:3]
	v_or_b32_e32 v15, 0x400, v0
	v_cmp_gt_u32_e32 vcc, s16, v15
	s_and_saveexec_b64 s[2:3], vcc
	s_cbranch_execz .LBB1181_283
; %bb.275:
	v_cmp_le_u32_e32 vcc, v6, v15
	s_and_saveexec_b64 s[4:5], vcc
	s_xor_b64 s[4:5], exec, s[4:5]
	s_cbranch_execz .LBB1181_281
; %bb.276:
	v_cmp_le_u32_e32 vcc, v14, v15
	s_and_saveexec_b64 s[6:7], vcc
	s_xor_b64 s[6:7], exec, s[6:7]
	s_cbranch_execz .LBB1181_278
; %bb.277:
	v_lshlrev_b32_e32 v15, 2, v0
	ds_read_b32 v15, v15 offset:4096
	v_add_co_u32_e32 v16, vcc, v1, v0
	v_addc_co_u32_e32 v17, vcc, 0, v8, vcc
	v_lshlrev_b64 v[16:17], 2, v[16:17]
	v_mov_b32_e32 v18, s9
	v_sub_co_u32_e32 v16, vcc, s8, v16
	v_subb_co_u32_e32 v17, vcc, v18, v17, vcc
	s_waitcnt lgkmcnt(0)
	global_store_dword v[16:17], v15, off offset:-4096
                                        ; implicit-def: $vgpr15
.LBB1181_278:
	s_andn2_saveexec_b64 s[6:7], s[6:7]
	s_cbranch_execz .LBB1181_280
; %bb.279:
	v_lshlrev_b32_e32 v16, 2, v0
	ds_read_b32 v16, v16 offset:4096
	v_lshlrev_b32_e32 v15, 2, v15
	v_readfirstlane_b32 s10, v10
	v_readfirstlane_b32 s11, v11
	s_waitcnt lgkmcnt(0)
	s_nop 3
	global_store_dword v15, v16, s[10:11]
.LBB1181_280:
	s_or_b64 exec, exec, s[6:7]
                                        ; implicit-def: $vgpr15
.LBB1181_281:
	s_andn2_saveexec_b64 s[4:5], s[4:5]
	s_cbranch_execz .LBB1181_283
; %bb.282:
	v_lshlrev_b32_e32 v16, 2, v0
	ds_read_b32 v16, v16 offset:4096
	v_lshlrev_b32_e32 v15, 2, v15
	v_readfirstlane_b32 s4, v12
	v_readfirstlane_b32 s5, v13
	s_waitcnt lgkmcnt(0)
	s_nop 3
	global_store_dword v15, v16, s[4:5]
.LBB1181_283:
	s_or_b64 exec, exec, s[2:3]
	v_or_b32_e32 v15, 0x500, v0
	v_cmp_gt_u32_e32 vcc, s16, v15
	s_and_saveexec_b64 s[2:3], vcc
	s_cbranch_execz .LBB1181_292
; %bb.284:
	v_cmp_le_u32_e32 vcc, v6, v15
	s_and_saveexec_b64 s[4:5], vcc
	s_xor_b64 s[4:5], exec, s[4:5]
	s_cbranch_execz .LBB1181_290
; %bb.285:
	v_cmp_le_u32_e32 vcc, v14, v15
	s_and_saveexec_b64 s[6:7], vcc
	s_xor_b64 s[6:7], exec, s[6:7]
	s_cbranch_execz .LBB1181_287
; %bb.286:
	v_add_co_u32_e32 v16, vcc, v1, v15
	v_lshlrev_b32_e32 v15, 2, v0
	ds_read_b32 v15, v15 offset:5120
	v_addc_co_u32_e32 v17, vcc, 0, v8, vcc
	v_lshlrev_b64 v[16:17], 2, v[16:17]
	v_mov_b32_e32 v18, s9
	v_sub_co_u32_e32 v16, vcc, s8, v16
	v_subb_co_u32_e32 v17, vcc, v18, v17, vcc
	s_waitcnt lgkmcnt(0)
	global_store_dword v[16:17], v15, off
                                        ; implicit-def: $vgpr15
.LBB1181_287:
	s_andn2_saveexec_b64 s[6:7], s[6:7]
	s_cbranch_execz .LBB1181_289
; %bb.288:
	v_lshlrev_b32_e32 v16, 2, v0
	ds_read_b32 v16, v16 offset:5120
	v_lshlrev_b32_e32 v15, 2, v15
	v_readfirstlane_b32 s10, v10
	v_readfirstlane_b32 s11, v11
	s_waitcnt lgkmcnt(0)
	s_nop 3
	global_store_dword v15, v16, s[10:11]
.LBB1181_289:
	s_or_b64 exec, exec, s[6:7]
                                        ; implicit-def: $vgpr15
.LBB1181_290:
	s_andn2_saveexec_b64 s[4:5], s[4:5]
	s_cbranch_execz .LBB1181_292
; %bb.291:
	v_lshlrev_b32_e32 v16, 2, v0
	ds_read_b32 v16, v16 offset:5120
	v_lshlrev_b32_e32 v15, 2, v15
	v_readfirstlane_b32 s4, v12
	v_readfirstlane_b32 s5, v13
	s_waitcnt lgkmcnt(0)
	s_nop 3
	global_store_dword v15, v16, s[4:5]
.LBB1181_292:
	s_or_b64 exec, exec, s[2:3]
	v_or_b32_e32 v15, 0x600, v0
	v_cmp_gt_u32_e32 vcc, s16, v15
	s_and_saveexec_b64 s[2:3], vcc
	s_cbranch_execz .LBB1181_301
; %bb.293:
	v_cmp_le_u32_e32 vcc, v6, v15
	s_and_saveexec_b64 s[4:5], vcc
	s_xor_b64 s[4:5], exec, s[4:5]
	s_cbranch_execz .LBB1181_299
; %bb.294:
	v_cmp_le_u32_e32 vcc, v14, v15
	s_and_saveexec_b64 s[6:7], vcc
	s_xor_b64 s[6:7], exec, s[6:7]
	s_cbranch_execz .LBB1181_296
; %bb.295:
	v_add_co_u32_e32 v16, vcc, v1, v15
	v_lshlrev_b32_e32 v15, 2, v0
	ds_read_b32 v15, v15 offset:6144
	v_addc_co_u32_e32 v17, vcc, 0, v8, vcc
	v_lshlrev_b64 v[16:17], 2, v[16:17]
	v_mov_b32_e32 v18, s9
	v_sub_co_u32_e32 v16, vcc, s8, v16
	v_subb_co_u32_e32 v17, vcc, v18, v17, vcc
	s_waitcnt lgkmcnt(0)
	global_store_dword v[16:17], v15, off
                                        ; implicit-def: $vgpr15
.LBB1181_296:
	s_andn2_saveexec_b64 s[6:7], s[6:7]
	s_cbranch_execz .LBB1181_298
; %bb.297:
	v_lshlrev_b32_e32 v16, 2, v0
	ds_read_b32 v16, v16 offset:6144
	v_lshlrev_b32_e32 v15, 2, v15
	v_readfirstlane_b32 s10, v10
	v_readfirstlane_b32 s11, v11
	s_waitcnt lgkmcnt(0)
	s_nop 3
	global_store_dword v15, v16, s[10:11]
.LBB1181_298:
	s_or_b64 exec, exec, s[6:7]
                                        ; implicit-def: $vgpr15
.LBB1181_299:
	s_andn2_saveexec_b64 s[4:5], s[4:5]
	s_cbranch_execz .LBB1181_301
; %bb.300:
	v_lshlrev_b32_e32 v16, 2, v0
	ds_read_b32 v16, v16 offset:6144
	v_lshlrev_b32_e32 v15, 2, v15
	v_readfirstlane_b32 s4, v12
	v_readfirstlane_b32 s5, v13
	s_waitcnt lgkmcnt(0)
	s_nop 3
	global_store_dword v15, v16, s[4:5]
.LBB1181_301:
	;; [unrolled: 55-line block ×7, first 2 shown]
	s_or_b64 exec, exec, s[2:3]
	v_or_b32_e32 v15, 0xc00, v0
	v_cmp_gt_u32_e32 vcc, s16, v15
	s_and_saveexec_b64 s[2:3], vcc
	s_cbranch_execz .LBB1181_355
; %bb.347:
	v_cmp_le_u32_e32 vcc, v6, v15
	s_and_saveexec_b64 s[4:5], vcc
	s_xor_b64 s[4:5], exec, s[4:5]
	s_cbranch_execz .LBB1181_353
; %bb.348:
	v_cmp_le_u32_e32 vcc, v14, v15
	s_and_saveexec_b64 s[6:7], vcc
	s_xor_b64 s[6:7], exec, s[6:7]
	s_cbranch_execz .LBB1181_350
; %bb.349:
	v_add_co_u32_e32 v10, vcc, v1, v15
	v_lshlrev_b32_e32 v0, 2, v0
	v_addc_co_u32_e32 v11, vcc, 0, v8, vcc
	ds_read_b32 v8, v0 offset:12288
	v_lshlrev_b64 v[0:1], 2, v[10:11]
	v_mov_b32_e32 v10, s9
	v_sub_co_u32_e32 v0, vcc, s8, v0
	v_subb_co_u32_e32 v1, vcc, v10, v1, vcc
	s_waitcnt lgkmcnt(0)
	global_store_dword v[0:1], v8, off
                                        ; implicit-def: $vgpr0
                                        ; implicit-def: $vgpr15
                                        ; implicit-def: $vgpr10_vgpr11
.LBB1181_350:
	s_andn2_saveexec_b64 s[6:7], s[6:7]
	s_cbranch_execz .LBB1181_352
; %bb.351:
	v_lshlrev_b32_e32 v0, 2, v0
	ds_read_b32 v0, v0 offset:12288
	v_lshlrev_b32_e32 v1, 2, v15
	v_readfirstlane_b32 s8, v10
	v_readfirstlane_b32 s9, v11
	s_waitcnt lgkmcnt(0)
	s_nop 3
	global_store_dword v1, v0, s[8:9]
.LBB1181_352:
	s_or_b64 exec, exec, s[6:7]
                                        ; implicit-def: $vgpr0
                                        ; implicit-def: $vgpr15
                                        ; implicit-def: $vgpr12_vgpr13
.LBB1181_353:
	s_andn2_saveexec_b64 s[4:5], s[4:5]
	s_cbranch_execz .LBB1181_355
; %bb.354:
	v_lshlrev_b32_e32 v0, 2, v0
	ds_read_b32 v0, v0 offset:12288
	v_lshlrev_b32_e32 v1, 2, v15
	v_readfirstlane_b32 s4, v12
	v_readfirstlane_b32 s5, v13
	s_waitcnt lgkmcnt(0)
	s_nop 3
	global_store_dword v1, v0, s[4:5]
.LBB1181_355:
	s_or_b64 exec, exec, s[2:3]
	s_and_b64 s[0:1], s[0:1], s[30:31]
	s_and_saveexec_b64 s[2:3], s[0:1]
	s_cbranch_execz .LBB1181_132
.LBB1181_356:
	v_add_co_u32_e32 v0, vcc, v2, v6
	v_addc_co_u32_e32 v1, vcc, 0, v3, vcc
	v_add_co_u32_e32 v2, vcc, v4, v7
	v_addc_co_u32_e32 v3, vcc, 0, v5, vcc
	v_add_co_u32_e32 v2, vcc, v2, v9
	v_mov_b32_e32 v8, 0
	v_addc_co_u32_e32 v3, vcc, 0, v3, vcc
	global_store_dwordx4 v8, v[0:3], s[28:29]
	s_endpgm
	.section	.rodata,"a",@progbits
	.p2align	6, 0x0
	.amdhsa_kernel _ZN7rocprim17ROCPRIM_400000_NS6detail17trampoline_kernelINS0_13select_configILj256ELj13ELNS0_17block_load_methodE3ELS4_3ELS4_3ELNS0_20block_scan_algorithmE0ELj4294967295EEENS1_25partition_config_selectorILNS1_17partition_subalgoE4EjNS0_10empty_typeEbEEZZNS1_14partition_implILS8_4ELb0ES6_15HIP_vector_typeIjLj2EENS0_17counting_iteratorIjlEEPS9_SG_NS0_5tupleIJPjSI_NS0_16reverse_iteratorISI_EEEEENSH_IJSG_SG_SG_EEES9_SI_JZNS1_25segmented_radix_sort_implINS0_14default_configELb0EPKdPdPKlPlN2at6native12_GLOBAL__N_18offset_tEEE10hipError_tPvRmT1_PNSt15iterator_traitsIS12_E10value_typeET2_T3_PNS13_IS18_E10value_typeET4_jRbjT5_S1E_jjP12ihipStream_tbEUljE_ZNSN_ISO_Lb0ESQ_SR_ST_SU_SY_EESZ_S10_S11_S12_S16_S17_S18_S1B_S1C_jS1D_jS1E_S1E_jjS1G_bEUljE0_EEESZ_S10_S11_S18_S1C_S1E_T6_T7_T9_mT8_S1G_bDpT10_ENKUlT_T0_E_clISt17integral_constantIbLb0EES1T_IbLb1EEEEDaS1P_S1Q_EUlS1P_E_NS1_11comp_targetILNS1_3genE4ELNS1_11target_archE910ELNS1_3gpuE8ELNS1_3repE0EEENS1_30default_config_static_selectorELNS0_4arch9wavefront6targetE1EEEvS12_
		.amdhsa_group_segment_fixed_size 13340
		.amdhsa_private_segment_fixed_size 0
		.amdhsa_kernarg_size 184
		.amdhsa_user_sgpr_count 6
		.amdhsa_user_sgpr_private_segment_buffer 1
		.amdhsa_user_sgpr_dispatch_ptr 0
		.amdhsa_user_sgpr_queue_ptr 0
		.amdhsa_user_sgpr_kernarg_segment_ptr 1
		.amdhsa_user_sgpr_dispatch_id 0
		.amdhsa_user_sgpr_flat_scratch_init 0
		.amdhsa_user_sgpr_kernarg_preload_length 0
		.amdhsa_user_sgpr_kernarg_preload_offset 0
		.amdhsa_user_sgpr_private_segment_size 0
		.amdhsa_uses_dynamic_stack 0
		.amdhsa_system_sgpr_private_segment_wavefront_offset 0
		.amdhsa_system_sgpr_workgroup_id_x 1
		.amdhsa_system_sgpr_workgroup_id_y 0
		.amdhsa_system_sgpr_workgroup_id_z 0
		.amdhsa_system_sgpr_workgroup_info 0
		.amdhsa_system_vgpr_workitem_id 0
		.amdhsa_next_free_vgpr 107
		.amdhsa_next_free_sgpr 87
		.amdhsa_accum_offset 108
		.amdhsa_reserve_vcc 1
		.amdhsa_reserve_flat_scratch 0
		.amdhsa_float_round_mode_32 0
		.amdhsa_float_round_mode_16_64 0
		.amdhsa_float_denorm_mode_32 3
		.amdhsa_float_denorm_mode_16_64 3
		.amdhsa_dx10_clamp 1
		.amdhsa_ieee_mode 1
		.amdhsa_fp16_overflow 0
		.amdhsa_tg_split 0
		.amdhsa_exception_fp_ieee_invalid_op 0
		.amdhsa_exception_fp_denorm_src 0
		.amdhsa_exception_fp_ieee_div_zero 0
		.amdhsa_exception_fp_ieee_overflow 0
		.amdhsa_exception_fp_ieee_underflow 0
		.amdhsa_exception_fp_ieee_inexact 0
		.amdhsa_exception_int_div_zero 0
	.end_amdhsa_kernel
	.section	.text._ZN7rocprim17ROCPRIM_400000_NS6detail17trampoline_kernelINS0_13select_configILj256ELj13ELNS0_17block_load_methodE3ELS4_3ELS4_3ELNS0_20block_scan_algorithmE0ELj4294967295EEENS1_25partition_config_selectorILNS1_17partition_subalgoE4EjNS0_10empty_typeEbEEZZNS1_14partition_implILS8_4ELb0ES6_15HIP_vector_typeIjLj2EENS0_17counting_iteratorIjlEEPS9_SG_NS0_5tupleIJPjSI_NS0_16reverse_iteratorISI_EEEEENSH_IJSG_SG_SG_EEES9_SI_JZNS1_25segmented_radix_sort_implINS0_14default_configELb0EPKdPdPKlPlN2at6native12_GLOBAL__N_18offset_tEEE10hipError_tPvRmT1_PNSt15iterator_traitsIS12_E10value_typeET2_T3_PNS13_IS18_E10value_typeET4_jRbjT5_S1E_jjP12ihipStream_tbEUljE_ZNSN_ISO_Lb0ESQ_SR_ST_SU_SY_EESZ_S10_S11_S12_S16_S17_S18_S1B_S1C_jS1D_jS1E_S1E_jjS1G_bEUljE0_EEESZ_S10_S11_S18_S1C_S1E_T6_T7_T9_mT8_S1G_bDpT10_ENKUlT_T0_E_clISt17integral_constantIbLb0EES1T_IbLb1EEEEDaS1P_S1Q_EUlS1P_E_NS1_11comp_targetILNS1_3genE4ELNS1_11target_archE910ELNS1_3gpuE8ELNS1_3repE0EEENS1_30default_config_static_selectorELNS0_4arch9wavefront6targetE1EEEvS12_,"axG",@progbits,_ZN7rocprim17ROCPRIM_400000_NS6detail17trampoline_kernelINS0_13select_configILj256ELj13ELNS0_17block_load_methodE3ELS4_3ELS4_3ELNS0_20block_scan_algorithmE0ELj4294967295EEENS1_25partition_config_selectorILNS1_17partition_subalgoE4EjNS0_10empty_typeEbEEZZNS1_14partition_implILS8_4ELb0ES6_15HIP_vector_typeIjLj2EENS0_17counting_iteratorIjlEEPS9_SG_NS0_5tupleIJPjSI_NS0_16reverse_iteratorISI_EEEEENSH_IJSG_SG_SG_EEES9_SI_JZNS1_25segmented_radix_sort_implINS0_14default_configELb0EPKdPdPKlPlN2at6native12_GLOBAL__N_18offset_tEEE10hipError_tPvRmT1_PNSt15iterator_traitsIS12_E10value_typeET2_T3_PNS13_IS18_E10value_typeET4_jRbjT5_S1E_jjP12ihipStream_tbEUljE_ZNSN_ISO_Lb0ESQ_SR_ST_SU_SY_EESZ_S10_S11_S12_S16_S17_S18_S1B_S1C_jS1D_jS1E_S1E_jjS1G_bEUljE0_EEESZ_S10_S11_S18_S1C_S1E_T6_T7_T9_mT8_S1G_bDpT10_ENKUlT_T0_E_clISt17integral_constantIbLb0EES1T_IbLb1EEEEDaS1P_S1Q_EUlS1P_E_NS1_11comp_targetILNS1_3genE4ELNS1_11target_archE910ELNS1_3gpuE8ELNS1_3repE0EEENS1_30default_config_static_selectorELNS0_4arch9wavefront6targetE1EEEvS12_,comdat
.Lfunc_end1181:
	.size	_ZN7rocprim17ROCPRIM_400000_NS6detail17trampoline_kernelINS0_13select_configILj256ELj13ELNS0_17block_load_methodE3ELS4_3ELS4_3ELNS0_20block_scan_algorithmE0ELj4294967295EEENS1_25partition_config_selectorILNS1_17partition_subalgoE4EjNS0_10empty_typeEbEEZZNS1_14partition_implILS8_4ELb0ES6_15HIP_vector_typeIjLj2EENS0_17counting_iteratorIjlEEPS9_SG_NS0_5tupleIJPjSI_NS0_16reverse_iteratorISI_EEEEENSH_IJSG_SG_SG_EEES9_SI_JZNS1_25segmented_radix_sort_implINS0_14default_configELb0EPKdPdPKlPlN2at6native12_GLOBAL__N_18offset_tEEE10hipError_tPvRmT1_PNSt15iterator_traitsIS12_E10value_typeET2_T3_PNS13_IS18_E10value_typeET4_jRbjT5_S1E_jjP12ihipStream_tbEUljE_ZNSN_ISO_Lb0ESQ_SR_ST_SU_SY_EESZ_S10_S11_S12_S16_S17_S18_S1B_S1C_jS1D_jS1E_S1E_jjS1G_bEUljE0_EEESZ_S10_S11_S18_S1C_S1E_T6_T7_T9_mT8_S1G_bDpT10_ENKUlT_T0_E_clISt17integral_constantIbLb0EES1T_IbLb1EEEEDaS1P_S1Q_EUlS1P_E_NS1_11comp_targetILNS1_3genE4ELNS1_11target_archE910ELNS1_3gpuE8ELNS1_3repE0EEENS1_30default_config_static_selectorELNS0_4arch9wavefront6targetE1EEEvS12_, .Lfunc_end1181-_ZN7rocprim17ROCPRIM_400000_NS6detail17trampoline_kernelINS0_13select_configILj256ELj13ELNS0_17block_load_methodE3ELS4_3ELS4_3ELNS0_20block_scan_algorithmE0ELj4294967295EEENS1_25partition_config_selectorILNS1_17partition_subalgoE4EjNS0_10empty_typeEbEEZZNS1_14partition_implILS8_4ELb0ES6_15HIP_vector_typeIjLj2EENS0_17counting_iteratorIjlEEPS9_SG_NS0_5tupleIJPjSI_NS0_16reverse_iteratorISI_EEEEENSH_IJSG_SG_SG_EEES9_SI_JZNS1_25segmented_radix_sort_implINS0_14default_configELb0EPKdPdPKlPlN2at6native12_GLOBAL__N_18offset_tEEE10hipError_tPvRmT1_PNSt15iterator_traitsIS12_E10value_typeET2_T3_PNS13_IS18_E10value_typeET4_jRbjT5_S1E_jjP12ihipStream_tbEUljE_ZNSN_ISO_Lb0ESQ_SR_ST_SU_SY_EESZ_S10_S11_S12_S16_S17_S18_S1B_S1C_jS1D_jS1E_S1E_jjS1G_bEUljE0_EEESZ_S10_S11_S18_S1C_S1E_T6_T7_T9_mT8_S1G_bDpT10_ENKUlT_T0_E_clISt17integral_constantIbLb0EES1T_IbLb1EEEEDaS1P_S1Q_EUlS1P_E_NS1_11comp_targetILNS1_3genE4ELNS1_11target_archE910ELNS1_3gpuE8ELNS1_3repE0EEENS1_30default_config_static_selectorELNS0_4arch9wavefront6targetE1EEEvS12_
                                        ; -- End function
	.section	.AMDGPU.csdata,"",@progbits
; Kernel info:
; codeLenInByte = 13432
; NumSgprs: 91
; NumVgprs: 107
; NumAgprs: 0
; TotalNumVgprs: 107
; ScratchSize: 0
; MemoryBound: 0
; FloatMode: 240
; IeeeMode: 1
; LDSByteSize: 13340 bytes/workgroup (compile time only)
; SGPRBlocks: 11
; VGPRBlocks: 13
; NumSGPRsForWavesPerEU: 91
; NumVGPRsForWavesPerEU: 107
; AccumOffset: 108
; Occupancy: 4
; WaveLimiterHint : 1
; COMPUTE_PGM_RSRC2:SCRATCH_EN: 0
; COMPUTE_PGM_RSRC2:USER_SGPR: 6
; COMPUTE_PGM_RSRC2:TRAP_HANDLER: 0
; COMPUTE_PGM_RSRC2:TGID_X_EN: 1
; COMPUTE_PGM_RSRC2:TGID_Y_EN: 0
; COMPUTE_PGM_RSRC2:TGID_Z_EN: 0
; COMPUTE_PGM_RSRC2:TIDIG_COMP_CNT: 0
; COMPUTE_PGM_RSRC3_GFX90A:ACCUM_OFFSET: 26
; COMPUTE_PGM_RSRC3_GFX90A:TG_SPLIT: 0
	.section	.text._ZN7rocprim17ROCPRIM_400000_NS6detail17trampoline_kernelINS0_13select_configILj256ELj13ELNS0_17block_load_methodE3ELS4_3ELS4_3ELNS0_20block_scan_algorithmE0ELj4294967295EEENS1_25partition_config_selectorILNS1_17partition_subalgoE4EjNS0_10empty_typeEbEEZZNS1_14partition_implILS8_4ELb0ES6_15HIP_vector_typeIjLj2EENS0_17counting_iteratorIjlEEPS9_SG_NS0_5tupleIJPjSI_NS0_16reverse_iteratorISI_EEEEENSH_IJSG_SG_SG_EEES9_SI_JZNS1_25segmented_radix_sort_implINS0_14default_configELb0EPKdPdPKlPlN2at6native12_GLOBAL__N_18offset_tEEE10hipError_tPvRmT1_PNSt15iterator_traitsIS12_E10value_typeET2_T3_PNS13_IS18_E10value_typeET4_jRbjT5_S1E_jjP12ihipStream_tbEUljE_ZNSN_ISO_Lb0ESQ_SR_ST_SU_SY_EESZ_S10_S11_S12_S16_S17_S18_S1B_S1C_jS1D_jS1E_S1E_jjS1G_bEUljE0_EEESZ_S10_S11_S18_S1C_S1E_T6_T7_T9_mT8_S1G_bDpT10_ENKUlT_T0_E_clISt17integral_constantIbLb0EES1T_IbLb1EEEEDaS1P_S1Q_EUlS1P_E_NS1_11comp_targetILNS1_3genE3ELNS1_11target_archE908ELNS1_3gpuE7ELNS1_3repE0EEENS1_30default_config_static_selectorELNS0_4arch9wavefront6targetE1EEEvS12_,"axG",@progbits,_ZN7rocprim17ROCPRIM_400000_NS6detail17trampoline_kernelINS0_13select_configILj256ELj13ELNS0_17block_load_methodE3ELS4_3ELS4_3ELNS0_20block_scan_algorithmE0ELj4294967295EEENS1_25partition_config_selectorILNS1_17partition_subalgoE4EjNS0_10empty_typeEbEEZZNS1_14partition_implILS8_4ELb0ES6_15HIP_vector_typeIjLj2EENS0_17counting_iteratorIjlEEPS9_SG_NS0_5tupleIJPjSI_NS0_16reverse_iteratorISI_EEEEENSH_IJSG_SG_SG_EEES9_SI_JZNS1_25segmented_radix_sort_implINS0_14default_configELb0EPKdPdPKlPlN2at6native12_GLOBAL__N_18offset_tEEE10hipError_tPvRmT1_PNSt15iterator_traitsIS12_E10value_typeET2_T3_PNS13_IS18_E10value_typeET4_jRbjT5_S1E_jjP12ihipStream_tbEUljE_ZNSN_ISO_Lb0ESQ_SR_ST_SU_SY_EESZ_S10_S11_S12_S16_S17_S18_S1B_S1C_jS1D_jS1E_S1E_jjS1G_bEUljE0_EEESZ_S10_S11_S18_S1C_S1E_T6_T7_T9_mT8_S1G_bDpT10_ENKUlT_T0_E_clISt17integral_constantIbLb0EES1T_IbLb1EEEEDaS1P_S1Q_EUlS1P_E_NS1_11comp_targetILNS1_3genE3ELNS1_11target_archE908ELNS1_3gpuE7ELNS1_3repE0EEENS1_30default_config_static_selectorELNS0_4arch9wavefront6targetE1EEEvS12_,comdat
	.globl	_ZN7rocprim17ROCPRIM_400000_NS6detail17trampoline_kernelINS0_13select_configILj256ELj13ELNS0_17block_load_methodE3ELS4_3ELS4_3ELNS0_20block_scan_algorithmE0ELj4294967295EEENS1_25partition_config_selectorILNS1_17partition_subalgoE4EjNS0_10empty_typeEbEEZZNS1_14partition_implILS8_4ELb0ES6_15HIP_vector_typeIjLj2EENS0_17counting_iteratorIjlEEPS9_SG_NS0_5tupleIJPjSI_NS0_16reverse_iteratorISI_EEEEENSH_IJSG_SG_SG_EEES9_SI_JZNS1_25segmented_radix_sort_implINS0_14default_configELb0EPKdPdPKlPlN2at6native12_GLOBAL__N_18offset_tEEE10hipError_tPvRmT1_PNSt15iterator_traitsIS12_E10value_typeET2_T3_PNS13_IS18_E10value_typeET4_jRbjT5_S1E_jjP12ihipStream_tbEUljE_ZNSN_ISO_Lb0ESQ_SR_ST_SU_SY_EESZ_S10_S11_S12_S16_S17_S18_S1B_S1C_jS1D_jS1E_S1E_jjS1G_bEUljE0_EEESZ_S10_S11_S18_S1C_S1E_T6_T7_T9_mT8_S1G_bDpT10_ENKUlT_T0_E_clISt17integral_constantIbLb0EES1T_IbLb1EEEEDaS1P_S1Q_EUlS1P_E_NS1_11comp_targetILNS1_3genE3ELNS1_11target_archE908ELNS1_3gpuE7ELNS1_3repE0EEENS1_30default_config_static_selectorELNS0_4arch9wavefront6targetE1EEEvS12_ ; -- Begin function _ZN7rocprim17ROCPRIM_400000_NS6detail17trampoline_kernelINS0_13select_configILj256ELj13ELNS0_17block_load_methodE3ELS4_3ELS4_3ELNS0_20block_scan_algorithmE0ELj4294967295EEENS1_25partition_config_selectorILNS1_17partition_subalgoE4EjNS0_10empty_typeEbEEZZNS1_14partition_implILS8_4ELb0ES6_15HIP_vector_typeIjLj2EENS0_17counting_iteratorIjlEEPS9_SG_NS0_5tupleIJPjSI_NS0_16reverse_iteratorISI_EEEEENSH_IJSG_SG_SG_EEES9_SI_JZNS1_25segmented_radix_sort_implINS0_14default_configELb0EPKdPdPKlPlN2at6native12_GLOBAL__N_18offset_tEEE10hipError_tPvRmT1_PNSt15iterator_traitsIS12_E10value_typeET2_T3_PNS13_IS18_E10value_typeET4_jRbjT5_S1E_jjP12ihipStream_tbEUljE_ZNSN_ISO_Lb0ESQ_SR_ST_SU_SY_EESZ_S10_S11_S12_S16_S17_S18_S1B_S1C_jS1D_jS1E_S1E_jjS1G_bEUljE0_EEESZ_S10_S11_S18_S1C_S1E_T6_T7_T9_mT8_S1G_bDpT10_ENKUlT_T0_E_clISt17integral_constantIbLb0EES1T_IbLb1EEEEDaS1P_S1Q_EUlS1P_E_NS1_11comp_targetILNS1_3genE3ELNS1_11target_archE908ELNS1_3gpuE7ELNS1_3repE0EEENS1_30default_config_static_selectorELNS0_4arch9wavefront6targetE1EEEvS12_
	.p2align	8
	.type	_ZN7rocprim17ROCPRIM_400000_NS6detail17trampoline_kernelINS0_13select_configILj256ELj13ELNS0_17block_load_methodE3ELS4_3ELS4_3ELNS0_20block_scan_algorithmE0ELj4294967295EEENS1_25partition_config_selectorILNS1_17partition_subalgoE4EjNS0_10empty_typeEbEEZZNS1_14partition_implILS8_4ELb0ES6_15HIP_vector_typeIjLj2EENS0_17counting_iteratorIjlEEPS9_SG_NS0_5tupleIJPjSI_NS0_16reverse_iteratorISI_EEEEENSH_IJSG_SG_SG_EEES9_SI_JZNS1_25segmented_radix_sort_implINS0_14default_configELb0EPKdPdPKlPlN2at6native12_GLOBAL__N_18offset_tEEE10hipError_tPvRmT1_PNSt15iterator_traitsIS12_E10value_typeET2_T3_PNS13_IS18_E10value_typeET4_jRbjT5_S1E_jjP12ihipStream_tbEUljE_ZNSN_ISO_Lb0ESQ_SR_ST_SU_SY_EESZ_S10_S11_S12_S16_S17_S18_S1B_S1C_jS1D_jS1E_S1E_jjS1G_bEUljE0_EEESZ_S10_S11_S18_S1C_S1E_T6_T7_T9_mT8_S1G_bDpT10_ENKUlT_T0_E_clISt17integral_constantIbLb0EES1T_IbLb1EEEEDaS1P_S1Q_EUlS1P_E_NS1_11comp_targetILNS1_3genE3ELNS1_11target_archE908ELNS1_3gpuE7ELNS1_3repE0EEENS1_30default_config_static_selectorELNS0_4arch9wavefront6targetE1EEEvS12_,@function
_ZN7rocprim17ROCPRIM_400000_NS6detail17trampoline_kernelINS0_13select_configILj256ELj13ELNS0_17block_load_methodE3ELS4_3ELS4_3ELNS0_20block_scan_algorithmE0ELj4294967295EEENS1_25partition_config_selectorILNS1_17partition_subalgoE4EjNS0_10empty_typeEbEEZZNS1_14partition_implILS8_4ELb0ES6_15HIP_vector_typeIjLj2EENS0_17counting_iteratorIjlEEPS9_SG_NS0_5tupleIJPjSI_NS0_16reverse_iteratorISI_EEEEENSH_IJSG_SG_SG_EEES9_SI_JZNS1_25segmented_radix_sort_implINS0_14default_configELb0EPKdPdPKlPlN2at6native12_GLOBAL__N_18offset_tEEE10hipError_tPvRmT1_PNSt15iterator_traitsIS12_E10value_typeET2_T3_PNS13_IS18_E10value_typeET4_jRbjT5_S1E_jjP12ihipStream_tbEUljE_ZNSN_ISO_Lb0ESQ_SR_ST_SU_SY_EESZ_S10_S11_S12_S16_S17_S18_S1B_S1C_jS1D_jS1E_S1E_jjS1G_bEUljE0_EEESZ_S10_S11_S18_S1C_S1E_T6_T7_T9_mT8_S1G_bDpT10_ENKUlT_T0_E_clISt17integral_constantIbLb0EES1T_IbLb1EEEEDaS1P_S1Q_EUlS1P_E_NS1_11comp_targetILNS1_3genE3ELNS1_11target_archE908ELNS1_3gpuE7ELNS1_3repE0EEENS1_30default_config_static_selectorELNS0_4arch9wavefront6targetE1EEEvS12_: ; @_ZN7rocprim17ROCPRIM_400000_NS6detail17trampoline_kernelINS0_13select_configILj256ELj13ELNS0_17block_load_methodE3ELS4_3ELS4_3ELNS0_20block_scan_algorithmE0ELj4294967295EEENS1_25partition_config_selectorILNS1_17partition_subalgoE4EjNS0_10empty_typeEbEEZZNS1_14partition_implILS8_4ELb0ES6_15HIP_vector_typeIjLj2EENS0_17counting_iteratorIjlEEPS9_SG_NS0_5tupleIJPjSI_NS0_16reverse_iteratorISI_EEEEENSH_IJSG_SG_SG_EEES9_SI_JZNS1_25segmented_radix_sort_implINS0_14default_configELb0EPKdPdPKlPlN2at6native12_GLOBAL__N_18offset_tEEE10hipError_tPvRmT1_PNSt15iterator_traitsIS12_E10value_typeET2_T3_PNS13_IS18_E10value_typeET4_jRbjT5_S1E_jjP12ihipStream_tbEUljE_ZNSN_ISO_Lb0ESQ_SR_ST_SU_SY_EESZ_S10_S11_S12_S16_S17_S18_S1B_S1C_jS1D_jS1E_S1E_jjS1G_bEUljE0_EEESZ_S10_S11_S18_S1C_S1E_T6_T7_T9_mT8_S1G_bDpT10_ENKUlT_T0_E_clISt17integral_constantIbLb0EES1T_IbLb1EEEEDaS1P_S1Q_EUlS1P_E_NS1_11comp_targetILNS1_3genE3ELNS1_11target_archE908ELNS1_3gpuE7ELNS1_3repE0EEENS1_30default_config_static_selectorELNS0_4arch9wavefront6targetE1EEEvS12_
; %bb.0:
	.section	.rodata,"a",@progbits
	.p2align	6, 0x0
	.amdhsa_kernel _ZN7rocprim17ROCPRIM_400000_NS6detail17trampoline_kernelINS0_13select_configILj256ELj13ELNS0_17block_load_methodE3ELS4_3ELS4_3ELNS0_20block_scan_algorithmE0ELj4294967295EEENS1_25partition_config_selectorILNS1_17partition_subalgoE4EjNS0_10empty_typeEbEEZZNS1_14partition_implILS8_4ELb0ES6_15HIP_vector_typeIjLj2EENS0_17counting_iteratorIjlEEPS9_SG_NS0_5tupleIJPjSI_NS0_16reverse_iteratorISI_EEEEENSH_IJSG_SG_SG_EEES9_SI_JZNS1_25segmented_radix_sort_implINS0_14default_configELb0EPKdPdPKlPlN2at6native12_GLOBAL__N_18offset_tEEE10hipError_tPvRmT1_PNSt15iterator_traitsIS12_E10value_typeET2_T3_PNS13_IS18_E10value_typeET4_jRbjT5_S1E_jjP12ihipStream_tbEUljE_ZNSN_ISO_Lb0ESQ_SR_ST_SU_SY_EESZ_S10_S11_S12_S16_S17_S18_S1B_S1C_jS1D_jS1E_S1E_jjS1G_bEUljE0_EEESZ_S10_S11_S18_S1C_S1E_T6_T7_T9_mT8_S1G_bDpT10_ENKUlT_T0_E_clISt17integral_constantIbLb0EES1T_IbLb1EEEEDaS1P_S1Q_EUlS1P_E_NS1_11comp_targetILNS1_3genE3ELNS1_11target_archE908ELNS1_3gpuE7ELNS1_3repE0EEENS1_30default_config_static_selectorELNS0_4arch9wavefront6targetE1EEEvS12_
		.amdhsa_group_segment_fixed_size 0
		.amdhsa_private_segment_fixed_size 0
		.amdhsa_kernarg_size 184
		.amdhsa_user_sgpr_count 6
		.amdhsa_user_sgpr_private_segment_buffer 1
		.amdhsa_user_sgpr_dispatch_ptr 0
		.amdhsa_user_sgpr_queue_ptr 0
		.amdhsa_user_sgpr_kernarg_segment_ptr 1
		.amdhsa_user_sgpr_dispatch_id 0
		.amdhsa_user_sgpr_flat_scratch_init 0
		.amdhsa_user_sgpr_kernarg_preload_length 0
		.amdhsa_user_sgpr_kernarg_preload_offset 0
		.amdhsa_user_sgpr_private_segment_size 0
		.amdhsa_uses_dynamic_stack 0
		.amdhsa_system_sgpr_private_segment_wavefront_offset 0
		.amdhsa_system_sgpr_workgroup_id_x 1
		.amdhsa_system_sgpr_workgroup_id_y 0
		.amdhsa_system_sgpr_workgroup_id_z 0
		.amdhsa_system_sgpr_workgroup_info 0
		.amdhsa_system_vgpr_workitem_id 0
		.amdhsa_next_free_vgpr 1
		.amdhsa_next_free_sgpr 0
		.amdhsa_accum_offset 4
		.amdhsa_reserve_vcc 0
		.amdhsa_reserve_flat_scratch 0
		.amdhsa_float_round_mode_32 0
		.amdhsa_float_round_mode_16_64 0
		.amdhsa_float_denorm_mode_32 3
		.amdhsa_float_denorm_mode_16_64 3
		.amdhsa_dx10_clamp 1
		.amdhsa_ieee_mode 1
		.amdhsa_fp16_overflow 0
		.amdhsa_tg_split 0
		.amdhsa_exception_fp_ieee_invalid_op 0
		.amdhsa_exception_fp_denorm_src 0
		.amdhsa_exception_fp_ieee_div_zero 0
		.amdhsa_exception_fp_ieee_overflow 0
		.amdhsa_exception_fp_ieee_underflow 0
		.amdhsa_exception_fp_ieee_inexact 0
		.amdhsa_exception_int_div_zero 0
	.end_amdhsa_kernel
	.section	.text._ZN7rocprim17ROCPRIM_400000_NS6detail17trampoline_kernelINS0_13select_configILj256ELj13ELNS0_17block_load_methodE3ELS4_3ELS4_3ELNS0_20block_scan_algorithmE0ELj4294967295EEENS1_25partition_config_selectorILNS1_17partition_subalgoE4EjNS0_10empty_typeEbEEZZNS1_14partition_implILS8_4ELb0ES6_15HIP_vector_typeIjLj2EENS0_17counting_iteratorIjlEEPS9_SG_NS0_5tupleIJPjSI_NS0_16reverse_iteratorISI_EEEEENSH_IJSG_SG_SG_EEES9_SI_JZNS1_25segmented_radix_sort_implINS0_14default_configELb0EPKdPdPKlPlN2at6native12_GLOBAL__N_18offset_tEEE10hipError_tPvRmT1_PNSt15iterator_traitsIS12_E10value_typeET2_T3_PNS13_IS18_E10value_typeET4_jRbjT5_S1E_jjP12ihipStream_tbEUljE_ZNSN_ISO_Lb0ESQ_SR_ST_SU_SY_EESZ_S10_S11_S12_S16_S17_S18_S1B_S1C_jS1D_jS1E_S1E_jjS1G_bEUljE0_EEESZ_S10_S11_S18_S1C_S1E_T6_T7_T9_mT8_S1G_bDpT10_ENKUlT_T0_E_clISt17integral_constantIbLb0EES1T_IbLb1EEEEDaS1P_S1Q_EUlS1P_E_NS1_11comp_targetILNS1_3genE3ELNS1_11target_archE908ELNS1_3gpuE7ELNS1_3repE0EEENS1_30default_config_static_selectorELNS0_4arch9wavefront6targetE1EEEvS12_,"axG",@progbits,_ZN7rocprim17ROCPRIM_400000_NS6detail17trampoline_kernelINS0_13select_configILj256ELj13ELNS0_17block_load_methodE3ELS4_3ELS4_3ELNS0_20block_scan_algorithmE0ELj4294967295EEENS1_25partition_config_selectorILNS1_17partition_subalgoE4EjNS0_10empty_typeEbEEZZNS1_14partition_implILS8_4ELb0ES6_15HIP_vector_typeIjLj2EENS0_17counting_iteratorIjlEEPS9_SG_NS0_5tupleIJPjSI_NS0_16reverse_iteratorISI_EEEEENSH_IJSG_SG_SG_EEES9_SI_JZNS1_25segmented_radix_sort_implINS0_14default_configELb0EPKdPdPKlPlN2at6native12_GLOBAL__N_18offset_tEEE10hipError_tPvRmT1_PNSt15iterator_traitsIS12_E10value_typeET2_T3_PNS13_IS18_E10value_typeET4_jRbjT5_S1E_jjP12ihipStream_tbEUljE_ZNSN_ISO_Lb0ESQ_SR_ST_SU_SY_EESZ_S10_S11_S12_S16_S17_S18_S1B_S1C_jS1D_jS1E_S1E_jjS1G_bEUljE0_EEESZ_S10_S11_S18_S1C_S1E_T6_T7_T9_mT8_S1G_bDpT10_ENKUlT_T0_E_clISt17integral_constantIbLb0EES1T_IbLb1EEEEDaS1P_S1Q_EUlS1P_E_NS1_11comp_targetILNS1_3genE3ELNS1_11target_archE908ELNS1_3gpuE7ELNS1_3repE0EEENS1_30default_config_static_selectorELNS0_4arch9wavefront6targetE1EEEvS12_,comdat
.Lfunc_end1182:
	.size	_ZN7rocprim17ROCPRIM_400000_NS6detail17trampoline_kernelINS0_13select_configILj256ELj13ELNS0_17block_load_methodE3ELS4_3ELS4_3ELNS0_20block_scan_algorithmE0ELj4294967295EEENS1_25partition_config_selectorILNS1_17partition_subalgoE4EjNS0_10empty_typeEbEEZZNS1_14partition_implILS8_4ELb0ES6_15HIP_vector_typeIjLj2EENS0_17counting_iteratorIjlEEPS9_SG_NS0_5tupleIJPjSI_NS0_16reverse_iteratorISI_EEEEENSH_IJSG_SG_SG_EEES9_SI_JZNS1_25segmented_radix_sort_implINS0_14default_configELb0EPKdPdPKlPlN2at6native12_GLOBAL__N_18offset_tEEE10hipError_tPvRmT1_PNSt15iterator_traitsIS12_E10value_typeET2_T3_PNS13_IS18_E10value_typeET4_jRbjT5_S1E_jjP12ihipStream_tbEUljE_ZNSN_ISO_Lb0ESQ_SR_ST_SU_SY_EESZ_S10_S11_S12_S16_S17_S18_S1B_S1C_jS1D_jS1E_S1E_jjS1G_bEUljE0_EEESZ_S10_S11_S18_S1C_S1E_T6_T7_T9_mT8_S1G_bDpT10_ENKUlT_T0_E_clISt17integral_constantIbLb0EES1T_IbLb1EEEEDaS1P_S1Q_EUlS1P_E_NS1_11comp_targetILNS1_3genE3ELNS1_11target_archE908ELNS1_3gpuE7ELNS1_3repE0EEENS1_30default_config_static_selectorELNS0_4arch9wavefront6targetE1EEEvS12_, .Lfunc_end1182-_ZN7rocprim17ROCPRIM_400000_NS6detail17trampoline_kernelINS0_13select_configILj256ELj13ELNS0_17block_load_methodE3ELS4_3ELS4_3ELNS0_20block_scan_algorithmE0ELj4294967295EEENS1_25partition_config_selectorILNS1_17partition_subalgoE4EjNS0_10empty_typeEbEEZZNS1_14partition_implILS8_4ELb0ES6_15HIP_vector_typeIjLj2EENS0_17counting_iteratorIjlEEPS9_SG_NS0_5tupleIJPjSI_NS0_16reverse_iteratorISI_EEEEENSH_IJSG_SG_SG_EEES9_SI_JZNS1_25segmented_radix_sort_implINS0_14default_configELb0EPKdPdPKlPlN2at6native12_GLOBAL__N_18offset_tEEE10hipError_tPvRmT1_PNSt15iterator_traitsIS12_E10value_typeET2_T3_PNS13_IS18_E10value_typeET4_jRbjT5_S1E_jjP12ihipStream_tbEUljE_ZNSN_ISO_Lb0ESQ_SR_ST_SU_SY_EESZ_S10_S11_S12_S16_S17_S18_S1B_S1C_jS1D_jS1E_S1E_jjS1G_bEUljE0_EEESZ_S10_S11_S18_S1C_S1E_T6_T7_T9_mT8_S1G_bDpT10_ENKUlT_T0_E_clISt17integral_constantIbLb0EES1T_IbLb1EEEEDaS1P_S1Q_EUlS1P_E_NS1_11comp_targetILNS1_3genE3ELNS1_11target_archE908ELNS1_3gpuE7ELNS1_3repE0EEENS1_30default_config_static_selectorELNS0_4arch9wavefront6targetE1EEEvS12_
                                        ; -- End function
	.section	.AMDGPU.csdata,"",@progbits
; Kernel info:
; codeLenInByte = 0
; NumSgprs: 4
; NumVgprs: 0
; NumAgprs: 0
; TotalNumVgprs: 0
; ScratchSize: 0
; MemoryBound: 0
; FloatMode: 240
; IeeeMode: 1
; LDSByteSize: 0 bytes/workgroup (compile time only)
; SGPRBlocks: 0
; VGPRBlocks: 0
; NumSGPRsForWavesPerEU: 4
; NumVGPRsForWavesPerEU: 1
; AccumOffset: 4
; Occupancy: 8
; WaveLimiterHint : 0
; COMPUTE_PGM_RSRC2:SCRATCH_EN: 0
; COMPUTE_PGM_RSRC2:USER_SGPR: 6
; COMPUTE_PGM_RSRC2:TRAP_HANDLER: 0
; COMPUTE_PGM_RSRC2:TGID_X_EN: 1
; COMPUTE_PGM_RSRC2:TGID_Y_EN: 0
; COMPUTE_PGM_RSRC2:TGID_Z_EN: 0
; COMPUTE_PGM_RSRC2:TIDIG_COMP_CNT: 0
; COMPUTE_PGM_RSRC3_GFX90A:ACCUM_OFFSET: 0
; COMPUTE_PGM_RSRC3_GFX90A:TG_SPLIT: 0
	.section	.text._ZN7rocprim17ROCPRIM_400000_NS6detail17trampoline_kernelINS0_13select_configILj256ELj13ELNS0_17block_load_methodE3ELS4_3ELS4_3ELNS0_20block_scan_algorithmE0ELj4294967295EEENS1_25partition_config_selectorILNS1_17partition_subalgoE4EjNS0_10empty_typeEbEEZZNS1_14partition_implILS8_4ELb0ES6_15HIP_vector_typeIjLj2EENS0_17counting_iteratorIjlEEPS9_SG_NS0_5tupleIJPjSI_NS0_16reverse_iteratorISI_EEEEENSH_IJSG_SG_SG_EEES9_SI_JZNS1_25segmented_radix_sort_implINS0_14default_configELb0EPKdPdPKlPlN2at6native12_GLOBAL__N_18offset_tEEE10hipError_tPvRmT1_PNSt15iterator_traitsIS12_E10value_typeET2_T3_PNS13_IS18_E10value_typeET4_jRbjT5_S1E_jjP12ihipStream_tbEUljE_ZNSN_ISO_Lb0ESQ_SR_ST_SU_SY_EESZ_S10_S11_S12_S16_S17_S18_S1B_S1C_jS1D_jS1E_S1E_jjS1G_bEUljE0_EEESZ_S10_S11_S18_S1C_S1E_T6_T7_T9_mT8_S1G_bDpT10_ENKUlT_T0_E_clISt17integral_constantIbLb0EES1T_IbLb1EEEEDaS1P_S1Q_EUlS1P_E_NS1_11comp_targetILNS1_3genE2ELNS1_11target_archE906ELNS1_3gpuE6ELNS1_3repE0EEENS1_30default_config_static_selectorELNS0_4arch9wavefront6targetE1EEEvS12_,"axG",@progbits,_ZN7rocprim17ROCPRIM_400000_NS6detail17trampoline_kernelINS0_13select_configILj256ELj13ELNS0_17block_load_methodE3ELS4_3ELS4_3ELNS0_20block_scan_algorithmE0ELj4294967295EEENS1_25partition_config_selectorILNS1_17partition_subalgoE4EjNS0_10empty_typeEbEEZZNS1_14partition_implILS8_4ELb0ES6_15HIP_vector_typeIjLj2EENS0_17counting_iteratorIjlEEPS9_SG_NS0_5tupleIJPjSI_NS0_16reverse_iteratorISI_EEEEENSH_IJSG_SG_SG_EEES9_SI_JZNS1_25segmented_radix_sort_implINS0_14default_configELb0EPKdPdPKlPlN2at6native12_GLOBAL__N_18offset_tEEE10hipError_tPvRmT1_PNSt15iterator_traitsIS12_E10value_typeET2_T3_PNS13_IS18_E10value_typeET4_jRbjT5_S1E_jjP12ihipStream_tbEUljE_ZNSN_ISO_Lb0ESQ_SR_ST_SU_SY_EESZ_S10_S11_S12_S16_S17_S18_S1B_S1C_jS1D_jS1E_S1E_jjS1G_bEUljE0_EEESZ_S10_S11_S18_S1C_S1E_T6_T7_T9_mT8_S1G_bDpT10_ENKUlT_T0_E_clISt17integral_constantIbLb0EES1T_IbLb1EEEEDaS1P_S1Q_EUlS1P_E_NS1_11comp_targetILNS1_3genE2ELNS1_11target_archE906ELNS1_3gpuE6ELNS1_3repE0EEENS1_30default_config_static_selectorELNS0_4arch9wavefront6targetE1EEEvS12_,comdat
	.globl	_ZN7rocprim17ROCPRIM_400000_NS6detail17trampoline_kernelINS0_13select_configILj256ELj13ELNS0_17block_load_methodE3ELS4_3ELS4_3ELNS0_20block_scan_algorithmE0ELj4294967295EEENS1_25partition_config_selectorILNS1_17partition_subalgoE4EjNS0_10empty_typeEbEEZZNS1_14partition_implILS8_4ELb0ES6_15HIP_vector_typeIjLj2EENS0_17counting_iteratorIjlEEPS9_SG_NS0_5tupleIJPjSI_NS0_16reverse_iteratorISI_EEEEENSH_IJSG_SG_SG_EEES9_SI_JZNS1_25segmented_radix_sort_implINS0_14default_configELb0EPKdPdPKlPlN2at6native12_GLOBAL__N_18offset_tEEE10hipError_tPvRmT1_PNSt15iterator_traitsIS12_E10value_typeET2_T3_PNS13_IS18_E10value_typeET4_jRbjT5_S1E_jjP12ihipStream_tbEUljE_ZNSN_ISO_Lb0ESQ_SR_ST_SU_SY_EESZ_S10_S11_S12_S16_S17_S18_S1B_S1C_jS1D_jS1E_S1E_jjS1G_bEUljE0_EEESZ_S10_S11_S18_S1C_S1E_T6_T7_T9_mT8_S1G_bDpT10_ENKUlT_T0_E_clISt17integral_constantIbLb0EES1T_IbLb1EEEEDaS1P_S1Q_EUlS1P_E_NS1_11comp_targetILNS1_3genE2ELNS1_11target_archE906ELNS1_3gpuE6ELNS1_3repE0EEENS1_30default_config_static_selectorELNS0_4arch9wavefront6targetE1EEEvS12_ ; -- Begin function _ZN7rocprim17ROCPRIM_400000_NS6detail17trampoline_kernelINS0_13select_configILj256ELj13ELNS0_17block_load_methodE3ELS4_3ELS4_3ELNS0_20block_scan_algorithmE0ELj4294967295EEENS1_25partition_config_selectorILNS1_17partition_subalgoE4EjNS0_10empty_typeEbEEZZNS1_14partition_implILS8_4ELb0ES6_15HIP_vector_typeIjLj2EENS0_17counting_iteratorIjlEEPS9_SG_NS0_5tupleIJPjSI_NS0_16reverse_iteratorISI_EEEEENSH_IJSG_SG_SG_EEES9_SI_JZNS1_25segmented_radix_sort_implINS0_14default_configELb0EPKdPdPKlPlN2at6native12_GLOBAL__N_18offset_tEEE10hipError_tPvRmT1_PNSt15iterator_traitsIS12_E10value_typeET2_T3_PNS13_IS18_E10value_typeET4_jRbjT5_S1E_jjP12ihipStream_tbEUljE_ZNSN_ISO_Lb0ESQ_SR_ST_SU_SY_EESZ_S10_S11_S12_S16_S17_S18_S1B_S1C_jS1D_jS1E_S1E_jjS1G_bEUljE0_EEESZ_S10_S11_S18_S1C_S1E_T6_T7_T9_mT8_S1G_bDpT10_ENKUlT_T0_E_clISt17integral_constantIbLb0EES1T_IbLb1EEEEDaS1P_S1Q_EUlS1P_E_NS1_11comp_targetILNS1_3genE2ELNS1_11target_archE906ELNS1_3gpuE6ELNS1_3repE0EEENS1_30default_config_static_selectorELNS0_4arch9wavefront6targetE1EEEvS12_
	.p2align	8
	.type	_ZN7rocprim17ROCPRIM_400000_NS6detail17trampoline_kernelINS0_13select_configILj256ELj13ELNS0_17block_load_methodE3ELS4_3ELS4_3ELNS0_20block_scan_algorithmE0ELj4294967295EEENS1_25partition_config_selectorILNS1_17partition_subalgoE4EjNS0_10empty_typeEbEEZZNS1_14partition_implILS8_4ELb0ES6_15HIP_vector_typeIjLj2EENS0_17counting_iteratorIjlEEPS9_SG_NS0_5tupleIJPjSI_NS0_16reverse_iteratorISI_EEEEENSH_IJSG_SG_SG_EEES9_SI_JZNS1_25segmented_radix_sort_implINS0_14default_configELb0EPKdPdPKlPlN2at6native12_GLOBAL__N_18offset_tEEE10hipError_tPvRmT1_PNSt15iterator_traitsIS12_E10value_typeET2_T3_PNS13_IS18_E10value_typeET4_jRbjT5_S1E_jjP12ihipStream_tbEUljE_ZNSN_ISO_Lb0ESQ_SR_ST_SU_SY_EESZ_S10_S11_S12_S16_S17_S18_S1B_S1C_jS1D_jS1E_S1E_jjS1G_bEUljE0_EEESZ_S10_S11_S18_S1C_S1E_T6_T7_T9_mT8_S1G_bDpT10_ENKUlT_T0_E_clISt17integral_constantIbLb0EES1T_IbLb1EEEEDaS1P_S1Q_EUlS1P_E_NS1_11comp_targetILNS1_3genE2ELNS1_11target_archE906ELNS1_3gpuE6ELNS1_3repE0EEENS1_30default_config_static_selectorELNS0_4arch9wavefront6targetE1EEEvS12_,@function
_ZN7rocprim17ROCPRIM_400000_NS6detail17trampoline_kernelINS0_13select_configILj256ELj13ELNS0_17block_load_methodE3ELS4_3ELS4_3ELNS0_20block_scan_algorithmE0ELj4294967295EEENS1_25partition_config_selectorILNS1_17partition_subalgoE4EjNS0_10empty_typeEbEEZZNS1_14partition_implILS8_4ELb0ES6_15HIP_vector_typeIjLj2EENS0_17counting_iteratorIjlEEPS9_SG_NS0_5tupleIJPjSI_NS0_16reverse_iteratorISI_EEEEENSH_IJSG_SG_SG_EEES9_SI_JZNS1_25segmented_radix_sort_implINS0_14default_configELb0EPKdPdPKlPlN2at6native12_GLOBAL__N_18offset_tEEE10hipError_tPvRmT1_PNSt15iterator_traitsIS12_E10value_typeET2_T3_PNS13_IS18_E10value_typeET4_jRbjT5_S1E_jjP12ihipStream_tbEUljE_ZNSN_ISO_Lb0ESQ_SR_ST_SU_SY_EESZ_S10_S11_S12_S16_S17_S18_S1B_S1C_jS1D_jS1E_S1E_jjS1G_bEUljE0_EEESZ_S10_S11_S18_S1C_S1E_T6_T7_T9_mT8_S1G_bDpT10_ENKUlT_T0_E_clISt17integral_constantIbLb0EES1T_IbLb1EEEEDaS1P_S1Q_EUlS1P_E_NS1_11comp_targetILNS1_3genE2ELNS1_11target_archE906ELNS1_3gpuE6ELNS1_3repE0EEENS1_30default_config_static_selectorELNS0_4arch9wavefront6targetE1EEEvS12_: ; @_ZN7rocprim17ROCPRIM_400000_NS6detail17trampoline_kernelINS0_13select_configILj256ELj13ELNS0_17block_load_methodE3ELS4_3ELS4_3ELNS0_20block_scan_algorithmE0ELj4294967295EEENS1_25partition_config_selectorILNS1_17partition_subalgoE4EjNS0_10empty_typeEbEEZZNS1_14partition_implILS8_4ELb0ES6_15HIP_vector_typeIjLj2EENS0_17counting_iteratorIjlEEPS9_SG_NS0_5tupleIJPjSI_NS0_16reverse_iteratorISI_EEEEENSH_IJSG_SG_SG_EEES9_SI_JZNS1_25segmented_radix_sort_implINS0_14default_configELb0EPKdPdPKlPlN2at6native12_GLOBAL__N_18offset_tEEE10hipError_tPvRmT1_PNSt15iterator_traitsIS12_E10value_typeET2_T3_PNS13_IS18_E10value_typeET4_jRbjT5_S1E_jjP12ihipStream_tbEUljE_ZNSN_ISO_Lb0ESQ_SR_ST_SU_SY_EESZ_S10_S11_S12_S16_S17_S18_S1B_S1C_jS1D_jS1E_S1E_jjS1G_bEUljE0_EEESZ_S10_S11_S18_S1C_S1E_T6_T7_T9_mT8_S1G_bDpT10_ENKUlT_T0_E_clISt17integral_constantIbLb0EES1T_IbLb1EEEEDaS1P_S1Q_EUlS1P_E_NS1_11comp_targetILNS1_3genE2ELNS1_11target_archE906ELNS1_3gpuE6ELNS1_3repE0EEENS1_30default_config_static_selectorELNS0_4arch9wavefront6targetE1EEEvS12_
; %bb.0:
	.section	.rodata,"a",@progbits
	.p2align	6, 0x0
	.amdhsa_kernel _ZN7rocprim17ROCPRIM_400000_NS6detail17trampoline_kernelINS0_13select_configILj256ELj13ELNS0_17block_load_methodE3ELS4_3ELS4_3ELNS0_20block_scan_algorithmE0ELj4294967295EEENS1_25partition_config_selectorILNS1_17partition_subalgoE4EjNS0_10empty_typeEbEEZZNS1_14partition_implILS8_4ELb0ES6_15HIP_vector_typeIjLj2EENS0_17counting_iteratorIjlEEPS9_SG_NS0_5tupleIJPjSI_NS0_16reverse_iteratorISI_EEEEENSH_IJSG_SG_SG_EEES9_SI_JZNS1_25segmented_radix_sort_implINS0_14default_configELb0EPKdPdPKlPlN2at6native12_GLOBAL__N_18offset_tEEE10hipError_tPvRmT1_PNSt15iterator_traitsIS12_E10value_typeET2_T3_PNS13_IS18_E10value_typeET4_jRbjT5_S1E_jjP12ihipStream_tbEUljE_ZNSN_ISO_Lb0ESQ_SR_ST_SU_SY_EESZ_S10_S11_S12_S16_S17_S18_S1B_S1C_jS1D_jS1E_S1E_jjS1G_bEUljE0_EEESZ_S10_S11_S18_S1C_S1E_T6_T7_T9_mT8_S1G_bDpT10_ENKUlT_T0_E_clISt17integral_constantIbLb0EES1T_IbLb1EEEEDaS1P_S1Q_EUlS1P_E_NS1_11comp_targetILNS1_3genE2ELNS1_11target_archE906ELNS1_3gpuE6ELNS1_3repE0EEENS1_30default_config_static_selectorELNS0_4arch9wavefront6targetE1EEEvS12_
		.amdhsa_group_segment_fixed_size 0
		.amdhsa_private_segment_fixed_size 0
		.amdhsa_kernarg_size 184
		.amdhsa_user_sgpr_count 6
		.amdhsa_user_sgpr_private_segment_buffer 1
		.amdhsa_user_sgpr_dispatch_ptr 0
		.amdhsa_user_sgpr_queue_ptr 0
		.amdhsa_user_sgpr_kernarg_segment_ptr 1
		.amdhsa_user_sgpr_dispatch_id 0
		.amdhsa_user_sgpr_flat_scratch_init 0
		.amdhsa_user_sgpr_kernarg_preload_length 0
		.amdhsa_user_sgpr_kernarg_preload_offset 0
		.amdhsa_user_sgpr_private_segment_size 0
		.amdhsa_uses_dynamic_stack 0
		.amdhsa_system_sgpr_private_segment_wavefront_offset 0
		.amdhsa_system_sgpr_workgroup_id_x 1
		.amdhsa_system_sgpr_workgroup_id_y 0
		.amdhsa_system_sgpr_workgroup_id_z 0
		.amdhsa_system_sgpr_workgroup_info 0
		.amdhsa_system_vgpr_workitem_id 0
		.amdhsa_next_free_vgpr 1
		.amdhsa_next_free_sgpr 0
		.amdhsa_accum_offset 4
		.amdhsa_reserve_vcc 0
		.amdhsa_reserve_flat_scratch 0
		.amdhsa_float_round_mode_32 0
		.amdhsa_float_round_mode_16_64 0
		.amdhsa_float_denorm_mode_32 3
		.amdhsa_float_denorm_mode_16_64 3
		.amdhsa_dx10_clamp 1
		.amdhsa_ieee_mode 1
		.amdhsa_fp16_overflow 0
		.amdhsa_tg_split 0
		.amdhsa_exception_fp_ieee_invalid_op 0
		.amdhsa_exception_fp_denorm_src 0
		.amdhsa_exception_fp_ieee_div_zero 0
		.amdhsa_exception_fp_ieee_overflow 0
		.amdhsa_exception_fp_ieee_underflow 0
		.amdhsa_exception_fp_ieee_inexact 0
		.amdhsa_exception_int_div_zero 0
	.end_amdhsa_kernel
	.section	.text._ZN7rocprim17ROCPRIM_400000_NS6detail17trampoline_kernelINS0_13select_configILj256ELj13ELNS0_17block_load_methodE3ELS4_3ELS4_3ELNS0_20block_scan_algorithmE0ELj4294967295EEENS1_25partition_config_selectorILNS1_17partition_subalgoE4EjNS0_10empty_typeEbEEZZNS1_14partition_implILS8_4ELb0ES6_15HIP_vector_typeIjLj2EENS0_17counting_iteratorIjlEEPS9_SG_NS0_5tupleIJPjSI_NS0_16reverse_iteratorISI_EEEEENSH_IJSG_SG_SG_EEES9_SI_JZNS1_25segmented_radix_sort_implINS0_14default_configELb0EPKdPdPKlPlN2at6native12_GLOBAL__N_18offset_tEEE10hipError_tPvRmT1_PNSt15iterator_traitsIS12_E10value_typeET2_T3_PNS13_IS18_E10value_typeET4_jRbjT5_S1E_jjP12ihipStream_tbEUljE_ZNSN_ISO_Lb0ESQ_SR_ST_SU_SY_EESZ_S10_S11_S12_S16_S17_S18_S1B_S1C_jS1D_jS1E_S1E_jjS1G_bEUljE0_EEESZ_S10_S11_S18_S1C_S1E_T6_T7_T9_mT8_S1G_bDpT10_ENKUlT_T0_E_clISt17integral_constantIbLb0EES1T_IbLb1EEEEDaS1P_S1Q_EUlS1P_E_NS1_11comp_targetILNS1_3genE2ELNS1_11target_archE906ELNS1_3gpuE6ELNS1_3repE0EEENS1_30default_config_static_selectorELNS0_4arch9wavefront6targetE1EEEvS12_,"axG",@progbits,_ZN7rocprim17ROCPRIM_400000_NS6detail17trampoline_kernelINS0_13select_configILj256ELj13ELNS0_17block_load_methodE3ELS4_3ELS4_3ELNS0_20block_scan_algorithmE0ELj4294967295EEENS1_25partition_config_selectorILNS1_17partition_subalgoE4EjNS0_10empty_typeEbEEZZNS1_14partition_implILS8_4ELb0ES6_15HIP_vector_typeIjLj2EENS0_17counting_iteratorIjlEEPS9_SG_NS0_5tupleIJPjSI_NS0_16reverse_iteratorISI_EEEEENSH_IJSG_SG_SG_EEES9_SI_JZNS1_25segmented_radix_sort_implINS0_14default_configELb0EPKdPdPKlPlN2at6native12_GLOBAL__N_18offset_tEEE10hipError_tPvRmT1_PNSt15iterator_traitsIS12_E10value_typeET2_T3_PNS13_IS18_E10value_typeET4_jRbjT5_S1E_jjP12ihipStream_tbEUljE_ZNSN_ISO_Lb0ESQ_SR_ST_SU_SY_EESZ_S10_S11_S12_S16_S17_S18_S1B_S1C_jS1D_jS1E_S1E_jjS1G_bEUljE0_EEESZ_S10_S11_S18_S1C_S1E_T6_T7_T9_mT8_S1G_bDpT10_ENKUlT_T0_E_clISt17integral_constantIbLb0EES1T_IbLb1EEEEDaS1P_S1Q_EUlS1P_E_NS1_11comp_targetILNS1_3genE2ELNS1_11target_archE906ELNS1_3gpuE6ELNS1_3repE0EEENS1_30default_config_static_selectorELNS0_4arch9wavefront6targetE1EEEvS12_,comdat
.Lfunc_end1183:
	.size	_ZN7rocprim17ROCPRIM_400000_NS6detail17trampoline_kernelINS0_13select_configILj256ELj13ELNS0_17block_load_methodE3ELS4_3ELS4_3ELNS0_20block_scan_algorithmE0ELj4294967295EEENS1_25partition_config_selectorILNS1_17partition_subalgoE4EjNS0_10empty_typeEbEEZZNS1_14partition_implILS8_4ELb0ES6_15HIP_vector_typeIjLj2EENS0_17counting_iteratorIjlEEPS9_SG_NS0_5tupleIJPjSI_NS0_16reverse_iteratorISI_EEEEENSH_IJSG_SG_SG_EEES9_SI_JZNS1_25segmented_radix_sort_implINS0_14default_configELb0EPKdPdPKlPlN2at6native12_GLOBAL__N_18offset_tEEE10hipError_tPvRmT1_PNSt15iterator_traitsIS12_E10value_typeET2_T3_PNS13_IS18_E10value_typeET4_jRbjT5_S1E_jjP12ihipStream_tbEUljE_ZNSN_ISO_Lb0ESQ_SR_ST_SU_SY_EESZ_S10_S11_S12_S16_S17_S18_S1B_S1C_jS1D_jS1E_S1E_jjS1G_bEUljE0_EEESZ_S10_S11_S18_S1C_S1E_T6_T7_T9_mT8_S1G_bDpT10_ENKUlT_T0_E_clISt17integral_constantIbLb0EES1T_IbLb1EEEEDaS1P_S1Q_EUlS1P_E_NS1_11comp_targetILNS1_3genE2ELNS1_11target_archE906ELNS1_3gpuE6ELNS1_3repE0EEENS1_30default_config_static_selectorELNS0_4arch9wavefront6targetE1EEEvS12_, .Lfunc_end1183-_ZN7rocprim17ROCPRIM_400000_NS6detail17trampoline_kernelINS0_13select_configILj256ELj13ELNS0_17block_load_methodE3ELS4_3ELS4_3ELNS0_20block_scan_algorithmE0ELj4294967295EEENS1_25partition_config_selectorILNS1_17partition_subalgoE4EjNS0_10empty_typeEbEEZZNS1_14partition_implILS8_4ELb0ES6_15HIP_vector_typeIjLj2EENS0_17counting_iteratorIjlEEPS9_SG_NS0_5tupleIJPjSI_NS0_16reverse_iteratorISI_EEEEENSH_IJSG_SG_SG_EEES9_SI_JZNS1_25segmented_radix_sort_implINS0_14default_configELb0EPKdPdPKlPlN2at6native12_GLOBAL__N_18offset_tEEE10hipError_tPvRmT1_PNSt15iterator_traitsIS12_E10value_typeET2_T3_PNS13_IS18_E10value_typeET4_jRbjT5_S1E_jjP12ihipStream_tbEUljE_ZNSN_ISO_Lb0ESQ_SR_ST_SU_SY_EESZ_S10_S11_S12_S16_S17_S18_S1B_S1C_jS1D_jS1E_S1E_jjS1G_bEUljE0_EEESZ_S10_S11_S18_S1C_S1E_T6_T7_T9_mT8_S1G_bDpT10_ENKUlT_T0_E_clISt17integral_constantIbLb0EES1T_IbLb1EEEEDaS1P_S1Q_EUlS1P_E_NS1_11comp_targetILNS1_3genE2ELNS1_11target_archE906ELNS1_3gpuE6ELNS1_3repE0EEENS1_30default_config_static_selectorELNS0_4arch9wavefront6targetE1EEEvS12_
                                        ; -- End function
	.section	.AMDGPU.csdata,"",@progbits
; Kernel info:
; codeLenInByte = 0
; NumSgprs: 4
; NumVgprs: 0
; NumAgprs: 0
; TotalNumVgprs: 0
; ScratchSize: 0
; MemoryBound: 0
; FloatMode: 240
; IeeeMode: 1
; LDSByteSize: 0 bytes/workgroup (compile time only)
; SGPRBlocks: 0
; VGPRBlocks: 0
; NumSGPRsForWavesPerEU: 4
; NumVGPRsForWavesPerEU: 1
; AccumOffset: 4
; Occupancy: 8
; WaveLimiterHint : 0
; COMPUTE_PGM_RSRC2:SCRATCH_EN: 0
; COMPUTE_PGM_RSRC2:USER_SGPR: 6
; COMPUTE_PGM_RSRC2:TRAP_HANDLER: 0
; COMPUTE_PGM_RSRC2:TGID_X_EN: 1
; COMPUTE_PGM_RSRC2:TGID_Y_EN: 0
; COMPUTE_PGM_RSRC2:TGID_Z_EN: 0
; COMPUTE_PGM_RSRC2:TIDIG_COMP_CNT: 0
; COMPUTE_PGM_RSRC3_GFX90A:ACCUM_OFFSET: 0
; COMPUTE_PGM_RSRC3_GFX90A:TG_SPLIT: 0
	.section	.text._ZN7rocprim17ROCPRIM_400000_NS6detail17trampoline_kernelINS0_13select_configILj256ELj13ELNS0_17block_load_methodE3ELS4_3ELS4_3ELNS0_20block_scan_algorithmE0ELj4294967295EEENS1_25partition_config_selectorILNS1_17partition_subalgoE4EjNS0_10empty_typeEbEEZZNS1_14partition_implILS8_4ELb0ES6_15HIP_vector_typeIjLj2EENS0_17counting_iteratorIjlEEPS9_SG_NS0_5tupleIJPjSI_NS0_16reverse_iteratorISI_EEEEENSH_IJSG_SG_SG_EEES9_SI_JZNS1_25segmented_radix_sort_implINS0_14default_configELb0EPKdPdPKlPlN2at6native12_GLOBAL__N_18offset_tEEE10hipError_tPvRmT1_PNSt15iterator_traitsIS12_E10value_typeET2_T3_PNS13_IS18_E10value_typeET4_jRbjT5_S1E_jjP12ihipStream_tbEUljE_ZNSN_ISO_Lb0ESQ_SR_ST_SU_SY_EESZ_S10_S11_S12_S16_S17_S18_S1B_S1C_jS1D_jS1E_S1E_jjS1G_bEUljE0_EEESZ_S10_S11_S18_S1C_S1E_T6_T7_T9_mT8_S1G_bDpT10_ENKUlT_T0_E_clISt17integral_constantIbLb0EES1T_IbLb1EEEEDaS1P_S1Q_EUlS1P_E_NS1_11comp_targetILNS1_3genE10ELNS1_11target_archE1200ELNS1_3gpuE4ELNS1_3repE0EEENS1_30default_config_static_selectorELNS0_4arch9wavefront6targetE1EEEvS12_,"axG",@progbits,_ZN7rocprim17ROCPRIM_400000_NS6detail17trampoline_kernelINS0_13select_configILj256ELj13ELNS0_17block_load_methodE3ELS4_3ELS4_3ELNS0_20block_scan_algorithmE0ELj4294967295EEENS1_25partition_config_selectorILNS1_17partition_subalgoE4EjNS0_10empty_typeEbEEZZNS1_14partition_implILS8_4ELb0ES6_15HIP_vector_typeIjLj2EENS0_17counting_iteratorIjlEEPS9_SG_NS0_5tupleIJPjSI_NS0_16reverse_iteratorISI_EEEEENSH_IJSG_SG_SG_EEES9_SI_JZNS1_25segmented_radix_sort_implINS0_14default_configELb0EPKdPdPKlPlN2at6native12_GLOBAL__N_18offset_tEEE10hipError_tPvRmT1_PNSt15iterator_traitsIS12_E10value_typeET2_T3_PNS13_IS18_E10value_typeET4_jRbjT5_S1E_jjP12ihipStream_tbEUljE_ZNSN_ISO_Lb0ESQ_SR_ST_SU_SY_EESZ_S10_S11_S12_S16_S17_S18_S1B_S1C_jS1D_jS1E_S1E_jjS1G_bEUljE0_EEESZ_S10_S11_S18_S1C_S1E_T6_T7_T9_mT8_S1G_bDpT10_ENKUlT_T0_E_clISt17integral_constantIbLb0EES1T_IbLb1EEEEDaS1P_S1Q_EUlS1P_E_NS1_11comp_targetILNS1_3genE10ELNS1_11target_archE1200ELNS1_3gpuE4ELNS1_3repE0EEENS1_30default_config_static_selectorELNS0_4arch9wavefront6targetE1EEEvS12_,comdat
	.globl	_ZN7rocprim17ROCPRIM_400000_NS6detail17trampoline_kernelINS0_13select_configILj256ELj13ELNS0_17block_load_methodE3ELS4_3ELS4_3ELNS0_20block_scan_algorithmE0ELj4294967295EEENS1_25partition_config_selectorILNS1_17partition_subalgoE4EjNS0_10empty_typeEbEEZZNS1_14partition_implILS8_4ELb0ES6_15HIP_vector_typeIjLj2EENS0_17counting_iteratorIjlEEPS9_SG_NS0_5tupleIJPjSI_NS0_16reverse_iteratorISI_EEEEENSH_IJSG_SG_SG_EEES9_SI_JZNS1_25segmented_radix_sort_implINS0_14default_configELb0EPKdPdPKlPlN2at6native12_GLOBAL__N_18offset_tEEE10hipError_tPvRmT1_PNSt15iterator_traitsIS12_E10value_typeET2_T3_PNS13_IS18_E10value_typeET4_jRbjT5_S1E_jjP12ihipStream_tbEUljE_ZNSN_ISO_Lb0ESQ_SR_ST_SU_SY_EESZ_S10_S11_S12_S16_S17_S18_S1B_S1C_jS1D_jS1E_S1E_jjS1G_bEUljE0_EEESZ_S10_S11_S18_S1C_S1E_T6_T7_T9_mT8_S1G_bDpT10_ENKUlT_T0_E_clISt17integral_constantIbLb0EES1T_IbLb1EEEEDaS1P_S1Q_EUlS1P_E_NS1_11comp_targetILNS1_3genE10ELNS1_11target_archE1200ELNS1_3gpuE4ELNS1_3repE0EEENS1_30default_config_static_selectorELNS0_4arch9wavefront6targetE1EEEvS12_ ; -- Begin function _ZN7rocprim17ROCPRIM_400000_NS6detail17trampoline_kernelINS0_13select_configILj256ELj13ELNS0_17block_load_methodE3ELS4_3ELS4_3ELNS0_20block_scan_algorithmE0ELj4294967295EEENS1_25partition_config_selectorILNS1_17partition_subalgoE4EjNS0_10empty_typeEbEEZZNS1_14partition_implILS8_4ELb0ES6_15HIP_vector_typeIjLj2EENS0_17counting_iteratorIjlEEPS9_SG_NS0_5tupleIJPjSI_NS0_16reverse_iteratorISI_EEEEENSH_IJSG_SG_SG_EEES9_SI_JZNS1_25segmented_radix_sort_implINS0_14default_configELb0EPKdPdPKlPlN2at6native12_GLOBAL__N_18offset_tEEE10hipError_tPvRmT1_PNSt15iterator_traitsIS12_E10value_typeET2_T3_PNS13_IS18_E10value_typeET4_jRbjT5_S1E_jjP12ihipStream_tbEUljE_ZNSN_ISO_Lb0ESQ_SR_ST_SU_SY_EESZ_S10_S11_S12_S16_S17_S18_S1B_S1C_jS1D_jS1E_S1E_jjS1G_bEUljE0_EEESZ_S10_S11_S18_S1C_S1E_T6_T7_T9_mT8_S1G_bDpT10_ENKUlT_T0_E_clISt17integral_constantIbLb0EES1T_IbLb1EEEEDaS1P_S1Q_EUlS1P_E_NS1_11comp_targetILNS1_3genE10ELNS1_11target_archE1200ELNS1_3gpuE4ELNS1_3repE0EEENS1_30default_config_static_selectorELNS0_4arch9wavefront6targetE1EEEvS12_
	.p2align	8
	.type	_ZN7rocprim17ROCPRIM_400000_NS6detail17trampoline_kernelINS0_13select_configILj256ELj13ELNS0_17block_load_methodE3ELS4_3ELS4_3ELNS0_20block_scan_algorithmE0ELj4294967295EEENS1_25partition_config_selectorILNS1_17partition_subalgoE4EjNS0_10empty_typeEbEEZZNS1_14partition_implILS8_4ELb0ES6_15HIP_vector_typeIjLj2EENS0_17counting_iteratorIjlEEPS9_SG_NS0_5tupleIJPjSI_NS0_16reverse_iteratorISI_EEEEENSH_IJSG_SG_SG_EEES9_SI_JZNS1_25segmented_radix_sort_implINS0_14default_configELb0EPKdPdPKlPlN2at6native12_GLOBAL__N_18offset_tEEE10hipError_tPvRmT1_PNSt15iterator_traitsIS12_E10value_typeET2_T3_PNS13_IS18_E10value_typeET4_jRbjT5_S1E_jjP12ihipStream_tbEUljE_ZNSN_ISO_Lb0ESQ_SR_ST_SU_SY_EESZ_S10_S11_S12_S16_S17_S18_S1B_S1C_jS1D_jS1E_S1E_jjS1G_bEUljE0_EEESZ_S10_S11_S18_S1C_S1E_T6_T7_T9_mT8_S1G_bDpT10_ENKUlT_T0_E_clISt17integral_constantIbLb0EES1T_IbLb1EEEEDaS1P_S1Q_EUlS1P_E_NS1_11comp_targetILNS1_3genE10ELNS1_11target_archE1200ELNS1_3gpuE4ELNS1_3repE0EEENS1_30default_config_static_selectorELNS0_4arch9wavefront6targetE1EEEvS12_,@function
_ZN7rocprim17ROCPRIM_400000_NS6detail17trampoline_kernelINS0_13select_configILj256ELj13ELNS0_17block_load_methodE3ELS4_3ELS4_3ELNS0_20block_scan_algorithmE0ELj4294967295EEENS1_25partition_config_selectorILNS1_17partition_subalgoE4EjNS0_10empty_typeEbEEZZNS1_14partition_implILS8_4ELb0ES6_15HIP_vector_typeIjLj2EENS0_17counting_iteratorIjlEEPS9_SG_NS0_5tupleIJPjSI_NS0_16reverse_iteratorISI_EEEEENSH_IJSG_SG_SG_EEES9_SI_JZNS1_25segmented_radix_sort_implINS0_14default_configELb0EPKdPdPKlPlN2at6native12_GLOBAL__N_18offset_tEEE10hipError_tPvRmT1_PNSt15iterator_traitsIS12_E10value_typeET2_T3_PNS13_IS18_E10value_typeET4_jRbjT5_S1E_jjP12ihipStream_tbEUljE_ZNSN_ISO_Lb0ESQ_SR_ST_SU_SY_EESZ_S10_S11_S12_S16_S17_S18_S1B_S1C_jS1D_jS1E_S1E_jjS1G_bEUljE0_EEESZ_S10_S11_S18_S1C_S1E_T6_T7_T9_mT8_S1G_bDpT10_ENKUlT_T0_E_clISt17integral_constantIbLb0EES1T_IbLb1EEEEDaS1P_S1Q_EUlS1P_E_NS1_11comp_targetILNS1_3genE10ELNS1_11target_archE1200ELNS1_3gpuE4ELNS1_3repE0EEENS1_30default_config_static_selectorELNS0_4arch9wavefront6targetE1EEEvS12_: ; @_ZN7rocprim17ROCPRIM_400000_NS6detail17trampoline_kernelINS0_13select_configILj256ELj13ELNS0_17block_load_methodE3ELS4_3ELS4_3ELNS0_20block_scan_algorithmE0ELj4294967295EEENS1_25partition_config_selectorILNS1_17partition_subalgoE4EjNS0_10empty_typeEbEEZZNS1_14partition_implILS8_4ELb0ES6_15HIP_vector_typeIjLj2EENS0_17counting_iteratorIjlEEPS9_SG_NS0_5tupleIJPjSI_NS0_16reverse_iteratorISI_EEEEENSH_IJSG_SG_SG_EEES9_SI_JZNS1_25segmented_radix_sort_implINS0_14default_configELb0EPKdPdPKlPlN2at6native12_GLOBAL__N_18offset_tEEE10hipError_tPvRmT1_PNSt15iterator_traitsIS12_E10value_typeET2_T3_PNS13_IS18_E10value_typeET4_jRbjT5_S1E_jjP12ihipStream_tbEUljE_ZNSN_ISO_Lb0ESQ_SR_ST_SU_SY_EESZ_S10_S11_S12_S16_S17_S18_S1B_S1C_jS1D_jS1E_S1E_jjS1G_bEUljE0_EEESZ_S10_S11_S18_S1C_S1E_T6_T7_T9_mT8_S1G_bDpT10_ENKUlT_T0_E_clISt17integral_constantIbLb0EES1T_IbLb1EEEEDaS1P_S1Q_EUlS1P_E_NS1_11comp_targetILNS1_3genE10ELNS1_11target_archE1200ELNS1_3gpuE4ELNS1_3repE0EEENS1_30default_config_static_selectorELNS0_4arch9wavefront6targetE1EEEvS12_
; %bb.0:
	.section	.rodata,"a",@progbits
	.p2align	6, 0x0
	.amdhsa_kernel _ZN7rocprim17ROCPRIM_400000_NS6detail17trampoline_kernelINS0_13select_configILj256ELj13ELNS0_17block_load_methodE3ELS4_3ELS4_3ELNS0_20block_scan_algorithmE0ELj4294967295EEENS1_25partition_config_selectorILNS1_17partition_subalgoE4EjNS0_10empty_typeEbEEZZNS1_14partition_implILS8_4ELb0ES6_15HIP_vector_typeIjLj2EENS0_17counting_iteratorIjlEEPS9_SG_NS0_5tupleIJPjSI_NS0_16reverse_iteratorISI_EEEEENSH_IJSG_SG_SG_EEES9_SI_JZNS1_25segmented_radix_sort_implINS0_14default_configELb0EPKdPdPKlPlN2at6native12_GLOBAL__N_18offset_tEEE10hipError_tPvRmT1_PNSt15iterator_traitsIS12_E10value_typeET2_T3_PNS13_IS18_E10value_typeET4_jRbjT5_S1E_jjP12ihipStream_tbEUljE_ZNSN_ISO_Lb0ESQ_SR_ST_SU_SY_EESZ_S10_S11_S12_S16_S17_S18_S1B_S1C_jS1D_jS1E_S1E_jjS1G_bEUljE0_EEESZ_S10_S11_S18_S1C_S1E_T6_T7_T9_mT8_S1G_bDpT10_ENKUlT_T0_E_clISt17integral_constantIbLb0EES1T_IbLb1EEEEDaS1P_S1Q_EUlS1P_E_NS1_11comp_targetILNS1_3genE10ELNS1_11target_archE1200ELNS1_3gpuE4ELNS1_3repE0EEENS1_30default_config_static_selectorELNS0_4arch9wavefront6targetE1EEEvS12_
		.amdhsa_group_segment_fixed_size 0
		.amdhsa_private_segment_fixed_size 0
		.amdhsa_kernarg_size 184
		.amdhsa_user_sgpr_count 6
		.amdhsa_user_sgpr_private_segment_buffer 1
		.amdhsa_user_sgpr_dispatch_ptr 0
		.amdhsa_user_sgpr_queue_ptr 0
		.amdhsa_user_sgpr_kernarg_segment_ptr 1
		.amdhsa_user_sgpr_dispatch_id 0
		.amdhsa_user_sgpr_flat_scratch_init 0
		.amdhsa_user_sgpr_kernarg_preload_length 0
		.amdhsa_user_sgpr_kernarg_preload_offset 0
		.amdhsa_user_sgpr_private_segment_size 0
		.amdhsa_uses_dynamic_stack 0
		.amdhsa_system_sgpr_private_segment_wavefront_offset 0
		.amdhsa_system_sgpr_workgroup_id_x 1
		.amdhsa_system_sgpr_workgroup_id_y 0
		.amdhsa_system_sgpr_workgroup_id_z 0
		.amdhsa_system_sgpr_workgroup_info 0
		.amdhsa_system_vgpr_workitem_id 0
		.amdhsa_next_free_vgpr 1
		.amdhsa_next_free_sgpr 0
		.amdhsa_accum_offset 4
		.amdhsa_reserve_vcc 0
		.amdhsa_reserve_flat_scratch 0
		.amdhsa_float_round_mode_32 0
		.amdhsa_float_round_mode_16_64 0
		.amdhsa_float_denorm_mode_32 3
		.amdhsa_float_denorm_mode_16_64 3
		.amdhsa_dx10_clamp 1
		.amdhsa_ieee_mode 1
		.amdhsa_fp16_overflow 0
		.amdhsa_tg_split 0
		.amdhsa_exception_fp_ieee_invalid_op 0
		.amdhsa_exception_fp_denorm_src 0
		.amdhsa_exception_fp_ieee_div_zero 0
		.amdhsa_exception_fp_ieee_overflow 0
		.amdhsa_exception_fp_ieee_underflow 0
		.amdhsa_exception_fp_ieee_inexact 0
		.amdhsa_exception_int_div_zero 0
	.end_amdhsa_kernel
	.section	.text._ZN7rocprim17ROCPRIM_400000_NS6detail17trampoline_kernelINS0_13select_configILj256ELj13ELNS0_17block_load_methodE3ELS4_3ELS4_3ELNS0_20block_scan_algorithmE0ELj4294967295EEENS1_25partition_config_selectorILNS1_17partition_subalgoE4EjNS0_10empty_typeEbEEZZNS1_14partition_implILS8_4ELb0ES6_15HIP_vector_typeIjLj2EENS0_17counting_iteratorIjlEEPS9_SG_NS0_5tupleIJPjSI_NS0_16reverse_iteratorISI_EEEEENSH_IJSG_SG_SG_EEES9_SI_JZNS1_25segmented_radix_sort_implINS0_14default_configELb0EPKdPdPKlPlN2at6native12_GLOBAL__N_18offset_tEEE10hipError_tPvRmT1_PNSt15iterator_traitsIS12_E10value_typeET2_T3_PNS13_IS18_E10value_typeET4_jRbjT5_S1E_jjP12ihipStream_tbEUljE_ZNSN_ISO_Lb0ESQ_SR_ST_SU_SY_EESZ_S10_S11_S12_S16_S17_S18_S1B_S1C_jS1D_jS1E_S1E_jjS1G_bEUljE0_EEESZ_S10_S11_S18_S1C_S1E_T6_T7_T9_mT8_S1G_bDpT10_ENKUlT_T0_E_clISt17integral_constantIbLb0EES1T_IbLb1EEEEDaS1P_S1Q_EUlS1P_E_NS1_11comp_targetILNS1_3genE10ELNS1_11target_archE1200ELNS1_3gpuE4ELNS1_3repE0EEENS1_30default_config_static_selectorELNS0_4arch9wavefront6targetE1EEEvS12_,"axG",@progbits,_ZN7rocprim17ROCPRIM_400000_NS6detail17trampoline_kernelINS0_13select_configILj256ELj13ELNS0_17block_load_methodE3ELS4_3ELS4_3ELNS0_20block_scan_algorithmE0ELj4294967295EEENS1_25partition_config_selectorILNS1_17partition_subalgoE4EjNS0_10empty_typeEbEEZZNS1_14partition_implILS8_4ELb0ES6_15HIP_vector_typeIjLj2EENS0_17counting_iteratorIjlEEPS9_SG_NS0_5tupleIJPjSI_NS0_16reverse_iteratorISI_EEEEENSH_IJSG_SG_SG_EEES9_SI_JZNS1_25segmented_radix_sort_implINS0_14default_configELb0EPKdPdPKlPlN2at6native12_GLOBAL__N_18offset_tEEE10hipError_tPvRmT1_PNSt15iterator_traitsIS12_E10value_typeET2_T3_PNS13_IS18_E10value_typeET4_jRbjT5_S1E_jjP12ihipStream_tbEUljE_ZNSN_ISO_Lb0ESQ_SR_ST_SU_SY_EESZ_S10_S11_S12_S16_S17_S18_S1B_S1C_jS1D_jS1E_S1E_jjS1G_bEUljE0_EEESZ_S10_S11_S18_S1C_S1E_T6_T7_T9_mT8_S1G_bDpT10_ENKUlT_T0_E_clISt17integral_constantIbLb0EES1T_IbLb1EEEEDaS1P_S1Q_EUlS1P_E_NS1_11comp_targetILNS1_3genE10ELNS1_11target_archE1200ELNS1_3gpuE4ELNS1_3repE0EEENS1_30default_config_static_selectorELNS0_4arch9wavefront6targetE1EEEvS12_,comdat
.Lfunc_end1184:
	.size	_ZN7rocprim17ROCPRIM_400000_NS6detail17trampoline_kernelINS0_13select_configILj256ELj13ELNS0_17block_load_methodE3ELS4_3ELS4_3ELNS0_20block_scan_algorithmE0ELj4294967295EEENS1_25partition_config_selectorILNS1_17partition_subalgoE4EjNS0_10empty_typeEbEEZZNS1_14partition_implILS8_4ELb0ES6_15HIP_vector_typeIjLj2EENS0_17counting_iteratorIjlEEPS9_SG_NS0_5tupleIJPjSI_NS0_16reverse_iteratorISI_EEEEENSH_IJSG_SG_SG_EEES9_SI_JZNS1_25segmented_radix_sort_implINS0_14default_configELb0EPKdPdPKlPlN2at6native12_GLOBAL__N_18offset_tEEE10hipError_tPvRmT1_PNSt15iterator_traitsIS12_E10value_typeET2_T3_PNS13_IS18_E10value_typeET4_jRbjT5_S1E_jjP12ihipStream_tbEUljE_ZNSN_ISO_Lb0ESQ_SR_ST_SU_SY_EESZ_S10_S11_S12_S16_S17_S18_S1B_S1C_jS1D_jS1E_S1E_jjS1G_bEUljE0_EEESZ_S10_S11_S18_S1C_S1E_T6_T7_T9_mT8_S1G_bDpT10_ENKUlT_T0_E_clISt17integral_constantIbLb0EES1T_IbLb1EEEEDaS1P_S1Q_EUlS1P_E_NS1_11comp_targetILNS1_3genE10ELNS1_11target_archE1200ELNS1_3gpuE4ELNS1_3repE0EEENS1_30default_config_static_selectorELNS0_4arch9wavefront6targetE1EEEvS12_, .Lfunc_end1184-_ZN7rocprim17ROCPRIM_400000_NS6detail17trampoline_kernelINS0_13select_configILj256ELj13ELNS0_17block_load_methodE3ELS4_3ELS4_3ELNS0_20block_scan_algorithmE0ELj4294967295EEENS1_25partition_config_selectorILNS1_17partition_subalgoE4EjNS0_10empty_typeEbEEZZNS1_14partition_implILS8_4ELb0ES6_15HIP_vector_typeIjLj2EENS0_17counting_iteratorIjlEEPS9_SG_NS0_5tupleIJPjSI_NS0_16reverse_iteratorISI_EEEEENSH_IJSG_SG_SG_EEES9_SI_JZNS1_25segmented_radix_sort_implINS0_14default_configELb0EPKdPdPKlPlN2at6native12_GLOBAL__N_18offset_tEEE10hipError_tPvRmT1_PNSt15iterator_traitsIS12_E10value_typeET2_T3_PNS13_IS18_E10value_typeET4_jRbjT5_S1E_jjP12ihipStream_tbEUljE_ZNSN_ISO_Lb0ESQ_SR_ST_SU_SY_EESZ_S10_S11_S12_S16_S17_S18_S1B_S1C_jS1D_jS1E_S1E_jjS1G_bEUljE0_EEESZ_S10_S11_S18_S1C_S1E_T6_T7_T9_mT8_S1G_bDpT10_ENKUlT_T0_E_clISt17integral_constantIbLb0EES1T_IbLb1EEEEDaS1P_S1Q_EUlS1P_E_NS1_11comp_targetILNS1_3genE10ELNS1_11target_archE1200ELNS1_3gpuE4ELNS1_3repE0EEENS1_30default_config_static_selectorELNS0_4arch9wavefront6targetE1EEEvS12_
                                        ; -- End function
	.section	.AMDGPU.csdata,"",@progbits
; Kernel info:
; codeLenInByte = 0
; NumSgprs: 4
; NumVgprs: 0
; NumAgprs: 0
; TotalNumVgprs: 0
; ScratchSize: 0
; MemoryBound: 0
; FloatMode: 240
; IeeeMode: 1
; LDSByteSize: 0 bytes/workgroup (compile time only)
; SGPRBlocks: 0
; VGPRBlocks: 0
; NumSGPRsForWavesPerEU: 4
; NumVGPRsForWavesPerEU: 1
; AccumOffset: 4
; Occupancy: 8
; WaveLimiterHint : 0
; COMPUTE_PGM_RSRC2:SCRATCH_EN: 0
; COMPUTE_PGM_RSRC2:USER_SGPR: 6
; COMPUTE_PGM_RSRC2:TRAP_HANDLER: 0
; COMPUTE_PGM_RSRC2:TGID_X_EN: 1
; COMPUTE_PGM_RSRC2:TGID_Y_EN: 0
; COMPUTE_PGM_RSRC2:TGID_Z_EN: 0
; COMPUTE_PGM_RSRC2:TIDIG_COMP_CNT: 0
; COMPUTE_PGM_RSRC3_GFX90A:ACCUM_OFFSET: 0
; COMPUTE_PGM_RSRC3_GFX90A:TG_SPLIT: 0
	.section	.text._ZN7rocprim17ROCPRIM_400000_NS6detail17trampoline_kernelINS0_13select_configILj256ELj13ELNS0_17block_load_methodE3ELS4_3ELS4_3ELNS0_20block_scan_algorithmE0ELj4294967295EEENS1_25partition_config_selectorILNS1_17partition_subalgoE4EjNS0_10empty_typeEbEEZZNS1_14partition_implILS8_4ELb0ES6_15HIP_vector_typeIjLj2EENS0_17counting_iteratorIjlEEPS9_SG_NS0_5tupleIJPjSI_NS0_16reverse_iteratorISI_EEEEENSH_IJSG_SG_SG_EEES9_SI_JZNS1_25segmented_radix_sort_implINS0_14default_configELb0EPKdPdPKlPlN2at6native12_GLOBAL__N_18offset_tEEE10hipError_tPvRmT1_PNSt15iterator_traitsIS12_E10value_typeET2_T3_PNS13_IS18_E10value_typeET4_jRbjT5_S1E_jjP12ihipStream_tbEUljE_ZNSN_ISO_Lb0ESQ_SR_ST_SU_SY_EESZ_S10_S11_S12_S16_S17_S18_S1B_S1C_jS1D_jS1E_S1E_jjS1G_bEUljE0_EEESZ_S10_S11_S18_S1C_S1E_T6_T7_T9_mT8_S1G_bDpT10_ENKUlT_T0_E_clISt17integral_constantIbLb0EES1T_IbLb1EEEEDaS1P_S1Q_EUlS1P_E_NS1_11comp_targetILNS1_3genE9ELNS1_11target_archE1100ELNS1_3gpuE3ELNS1_3repE0EEENS1_30default_config_static_selectorELNS0_4arch9wavefront6targetE1EEEvS12_,"axG",@progbits,_ZN7rocprim17ROCPRIM_400000_NS6detail17trampoline_kernelINS0_13select_configILj256ELj13ELNS0_17block_load_methodE3ELS4_3ELS4_3ELNS0_20block_scan_algorithmE0ELj4294967295EEENS1_25partition_config_selectorILNS1_17partition_subalgoE4EjNS0_10empty_typeEbEEZZNS1_14partition_implILS8_4ELb0ES6_15HIP_vector_typeIjLj2EENS0_17counting_iteratorIjlEEPS9_SG_NS0_5tupleIJPjSI_NS0_16reverse_iteratorISI_EEEEENSH_IJSG_SG_SG_EEES9_SI_JZNS1_25segmented_radix_sort_implINS0_14default_configELb0EPKdPdPKlPlN2at6native12_GLOBAL__N_18offset_tEEE10hipError_tPvRmT1_PNSt15iterator_traitsIS12_E10value_typeET2_T3_PNS13_IS18_E10value_typeET4_jRbjT5_S1E_jjP12ihipStream_tbEUljE_ZNSN_ISO_Lb0ESQ_SR_ST_SU_SY_EESZ_S10_S11_S12_S16_S17_S18_S1B_S1C_jS1D_jS1E_S1E_jjS1G_bEUljE0_EEESZ_S10_S11_S18_S1C_S1E_T6_T7_T9_mT8_S1G_bDpT10_ENKUlT_T0_E_clISt17integral_constantIbLb0EES1T_IbLb1EEEEDaS1P_S1Q_EUlS1P_E_NS1_11comp_targetILNS1_3genE9ELNS1_11target_archE1100ELNS1_3gpuE3ELNS1_3repE0EEENS1_30default_config_static_selectorELNS0_4arch9wavefront6targetE1EEEvS12_,comdat
	.globl	_ZN7rocprim17ROCPRIM_400000_NS6detail17trampoline_kernelINS0_13select_configILj256ELj13ELNS0_17block_load_methodE3ELS4_3ELS4_3ELNS0_20block_scan_algorithmE0ELj4294967295EEENS1_25partition_config_selectorILNS1_17partition_subalgoE4EjNS0_10empty_typeEbEEZZNS1_14partition_implILS8_4ELb0ES6_15HIP_vector_typeIjLj2EENS0_17counting_iteratorIjlEEPS9_SG_NS0_5tupleIJPjSI_NS0_16reverse_iteratorISI_EEEEENSH_IJSG_SG_SG_EEES9_SI_JZNS1_25segmented_radix_sort_implINS0_14default_configELb0EPKdPdPKlPlN2at6native12_GLOBAL__N_18offset_tEEE10hipError_tPvRmT1_PNSt15iterator_traitsIS12_E10value_typeET2_T3_PNS13_IS18_E10value_typeET4_jRbjT5_S1E_jjP12ihipStream_tbEUljE_ZNSN_ISO_Lb0ESQ_SR_ST_SU_SY_EESZ_S10_S11_S12_S16_S17_S18_S1B_S1C_jS1D_jS1E_S1E_jjS1G_bEUljE0_EEESZ_S10_S11_S18_S1C_S1E_T6_T7_T9_mT8_S1G_bDpT10_ENKUlT_T0_E_clISt17integral_constantIbLb0EES1T_IbLb1EEEEDaS1P_S1Q_EUlS1P_E_NS1_11comp_targetILNS1_3genE9ELNS1_11target_archE1100ELNS1_3gpuE3ELNS1_3repE0EEENS1_30default_config_static_selectorELNS0_4arch9wavefront6targetE1EEEvS12_ ; -- Begin function _ZN7rocprim17ROCPRIM_400000_NS6detail17trampoline_kernelINS0_13select_configILj256ELj13ELNS0_17block_load_methodE3ELS4_3ELS4_3ELNS0_20block_scan_algorithmE0ELj4294967295EEENS1_25partition_config_selectorILNS1_17partition_subalgoE4EjNS0_10empty_typeEbEEZZNS1_14partition_implILS8_4ELb0ES6_15HIP_vector_typeIjLj2EENS0_17counting_iteratorIjlEEPS9_SG_NS0_5tupleIJPjSI_NS0_16reverse_iteratorISI_EEEEENSH_IJSG_SG_SG_EEES9_SI_JZNS1_25segmented_radix_sort_implINS0_14default_configELb0EPKdPdPKlPlN2at6native12_GLOBAL__N_18offset_tEEE10hipError_tPvRmT1_PNSt15iterator_traitsIS12_E10value_typeET2_T3_PNS13_IS18_E10value_typeET4_jRbjT5_S1E_jjP12ihipStream_tbEUljE_ZNSN_ISO_Lb0ESQ_SR_ST_SU_SY_EESZ_S10_S11_S12_S16_S17_S18_S1B_S1C_jS1D_jS1E_S1E_jjS1G_bEUljE0_EEESZ_S10_S11_S18_S1C_S1E_T6_T7_T9_mT8_S1G_bDpT10_ENKUlT_T0_E_clISt17integral_constantIbLb0EES1T_IbLb1EEEEDaS1P_S1Q_EUlS1P_E_NS1_11comp_targetILNS1_3genE9ELNS1_11target_archE1100ELNS1_3gpuE3ELNS1_3repE0EEENS1_30default_config_static_selectorELNS0_4arch9wavefront6targetE1EEEvS12_
	.p2align	8
	.type	_ZN7rocprim17ROCPRIM_400000_NS6detail17trampoline_kernelINS0_13select_configILj256ELj13ELNS0_17block_load_methodE3ELS4_3ELS4_3ELNS0_20block_scan_algorithmE0ELj4294967295EEENS1_25partition_config_selectorILNS1_17partition_subalgoE4EjNS0_10empty_typeEbEEZZNS1_14partition_implILS8_4ELb0ES6_15HIP_vector_typeIjLj2EENS0_17counting_iteratorIjlEEPS9_SG_NS0_5tupleIJPjSI_NS0_16reverse_iteratorISI_EEEEENSH_IJSG_SG_SG_EEES9_SI_JZNS1_25segmented_radix_sort_implINS0_14default_configELb0EPKdPdPKlPlN2at6native12_GLOBAL__N_18offset_tEEE10hipError_tPvRmT1_PNSt15iterator_traitsIS12_E10value_typeET2_T3_PNS13_IS18_E10value_typeET4_jRbjT5_S1E_jjP12ihipStream_tbEUljE_ZNSN_ISO_Lb0ESQ_SR_ST_SU_SY_EESZ_S10_S11_S12_S16_S17_S18_S1B_S1C_jS1D_jS1E_S1E_jjS1G_bEUljE0_EEESZ_S10_S11_S18_S1C_S1E_T6_T7_T9_mT8_S1G_bDpT10_ENKUlT_T0_E_clISt17integral_constantIbLb0EES1T_IbLb1EEEEDaS1P_S1Q_EUlS1P_E_NS1_11comp_targetILNS1_3genE9ELNS1_11target_archE1100ELNS1_3gpuE3ELNS1_3repE0EEENS1_30default_config_static_selectorELNS0_4arch9wavefront6targetE1EEEvS12_,@function
_ZN7rocprim17ROCPRIM_400000_NS6detail17trampoline_kernelINS0_13select_configILj256ELj13ELNS0_17block_load_methodE3ELS4_3ELS4_3ELNS0_20block_scan_algorithmE0ELj4294967295EEENS1_25partition_config_selectorILNS1_17partition_subalgoE4EjNS0_10empty_typeEbEEZZNS1_14partition_implILS8_4ELb0ES6_15HIP_vector_typeIjLj2EENS0_17counting_iteratorIjlEEPS9_SG_NS0_5tupleIJPjSI_NS0_16reverse_iteratorISI_EEEEENSH_IJSG_SG_SG_EEES9_SI_JZNS1_25segmented_radix_sort_implINS0_14default_configELb0EPKdPdPKlPlN2at6native12_GLOBAL__N_18offset_tEEE10hipError_tPvRmT1_PNSt15iterator_traitsIS12_E10value_typeET2_T3_PNS13_IS18_E10value_typeET4_jRbjT5_S1E_jjP12ihipStream_tbEUljE_ZNSN_ISO_Lb0ESQ_SR_ST_SU_SY_EESZ_S10_S11_S12_S16_S17_S18_S1B_S1C_jS1D_jS1E_S1E_jjS1G_bEUljE0_EEESZ_S10_S11_S18_S1C_S1E_T6_T7_T9_mT8_S1G_bDpT10_ENKUlT_T0_E_clISt17integral_constantIbLb0EES1T_IbLb1EEEEDaS1P_S1Q_EUlS1P_E_NS1_11comp_targetILNS1_3genE9ELNS1_11target_archE1100ELNS1_3gpuE3ELNS1_3repE0EEENS1_30default_config_static_selectorELNS0_4arch9wavefront6targetE1EEEvS12_: ; @_ZN7rocprim17ROCPRIM_400000_NS6detail17trampoline_kernelINS0_13select_configILj256ELj13ELNS0_17block_load_methodE3ELS4_3ELS4_3ELNS0_20block_scan_algorithmE0ELj4294967295EEENS1_25partition_config_selectorILNS1_17partition_subalgoE4EjNS0_10empty_typeEbEEZZNS1_14partition_implILS8_4ELb0ES6_15HIP_vector_typeIjLj2EENS0_17counting_iteratorIjlEEPS9_SG_NS0_5tupleIJPjSI_NS0_16reverse_iteratorISI_EEEEENSH_IJSG_SG_SG_EEES9_SI_JZNS1_25segmented_radix_sort_implINS0_14default_configELb0EPKdPdPKlPlN2at6native12_GLOBAL__N_18offset_tEEE10hipError_tPvRmT1_PNSt15iterator_traitsIS12_E10value_typeET2_T3_PNS13_IS18_E10value_typeET4_jRbjT5_S1E_jjP12ihipStream_tbEUljE_ZNSN_ISO_Lb0ESQ_SR_ST_SU_SY_EESZ_S10_S11_S12_S16_S17_S18_S1B_S1C_jS1D_jS1E_S1E_jjS1G_bEUljE0_EEESZ_S10_S11_S18_S1C_S1E_T6_T7_T9_mT8_S1G_bDpT10_ENKUlT_T0_E_clISt17integral_constantIbLb0EES1T_IbLb1EEEEDaS1P_S1Q_EUlS1P_E_NS1_11comp_targetILNS1_3genE9ELNS1_11target_archE1100ELNS1_3gpuE3ELNS1_3repE0EEENS1_30default_config_static_selectorELNS0_4arch9wavefront6targetE1EEEvS12_
; %bb.0:
	.section	.rodata,"a",@progbits
	.p2align	6, 0x0
	.amdhsa_kernel _ZN7rocprim17ROCPRIM_400000_NS6detail17trampoline_kernelINS0_13select_configILj256ELj13ELNS0_17block_load_methodE3ELS4_3ELS4_3ELNS0_20block_scan_algorithmE0ELj4294967295EEENS1_25partition_config_selectorILNS1_17partition_subalgoE4EjNS0_10empty_typeEbEEZZNS1_14partition_implILS8_4ELb0ES6_15HIP_vector_typeIjLj2EENS0_17counting_iteratorIjlEEPS9_SG_NS0_5tupleIJPjSI_NS0_16reverse_iteratorISI_EEEEENSH_IJSG_SG_SG_EEES9_SI_JZNS1_25segmented_radix_sort_implINS0_14default_configELb0EPKdPdPKlPlN2at6native12_GLOBAL__N_18offset_tEEE10hipError_tPvRmT1_PNSt15iterator_traitsIS12_E10value_typeET2_T3_PNS13_IS18_E10value_typeET4_jRbjT5_S1E_jjP12ihipStream_tbEUljE_ZNSN_ISO_Lb0ESQ_SR_ST_SU_SY_EESZ_S10_S11_S12_S16_S17_S18_S1B_S1C_jS1D_jS1E_S1E_jjS1G_bEUljE0_EEESZ_S10_S11_S18_S1C_S1E_T6_T7_T9_mT8_S1G_bDpT10_ENKUlT_T0_E_clISt17integral_constantIbLb0EES1T_IbLb1EEEEDaS1P_S1Q_EUlS1P_E_NS1_11comp_targetILNS1_3genE9ELNS1_11target_archE1100ELNS1_3gpuE3ELNS1_3repE0EEENS1_30default_config_static_selectorELNS0_4arch9wavefront6targetE1EEEvS12_
		.amdhsa_group_segment_fixed_size 0
		.amdhsa_private_segment_fixed_size 0
		.amdhsa_kernarg_size 184
		.amdhsa_user_sgpr_count 6
		.amdhsa_user_sgpr_private_segment_buffer 1
		.amdhsa_user_sgpr_dispatch_ptr 0
		.amdhsa_user_sgpr_queue_ptr 0
		.amdhsa_user_sgpr_kernarg_segment_ptr 1
		.amdhsa_user_sgpr_dispatch_id 0
		.amdhsa_user_sgpr_flat_scratch_init 0
		.amdhsa_user_sgpr_kernarg_preload_length 0
		.amdhsa_user_sgpr_kernarg_preload_offset 0
		.amdhsa_user_sgpr_private_segment_size 0
		.amdhsa_uses_dynamic_stack 0
		.amdhsa_system_sgpr_private_segment_wavefront_offset 0
		.amdhsa_system_sgpr_workgroup_id_x 1
		.amdhsa_system_sgpr_workgroup_id_y 0
		.amdhsa_system_sgpr_workgroup_id_z 0
		.amdhsa_system_sgpr_workgroup_info 0
		.amdhsa_system_vgpr_workitem_id 0
		.amdhsa_next_free_vgpr 1
		.amdhsa_next_free_sgpr 0
		.amdhsa_accum_offset 4
		.amdhsa_reserve_vcc 0
		.amdhsa_reserve_flat_scratch 0
		.amdhsa_float_round_mode_32 0
		.amdhsa_float_round_mode_16_64 0
		.amdhsa_float_denorm_mode_32 3
		.amdhsa_float_denorm_mode_16_64 3
		.amdhsa_dx10_clamp 1
		.amdhsa_ieee_mode 1
		.amdhsa_fp16_overflow 0
		.amdhsa_tg_split 0
		.amdhsa_exception_fp_ieee_invalid_op 0
		.amdhsa_exception_fp_denorm_src 0
		.amdhsa_exception_fp_ieee_div_zero 0
		.amdhsa_exception_fp_ieee_overflow 0
		.amdhsa_exception_fp_ieee_underflow 0
		.amdhsa_exception_fp_ieee_inexact 0
		.amdhsa_exception_int_div_zero 0
	.end_amdhsa_kernel
	.section	.text._ZN7rocprim17ROCPRIM_400000_NS6detail17trampoline_kernelINS0_13select_configILj256ELj13ELNS0_17block_load_methodE3ELS4_3ELS4_3ELNS0_20block_scan_algorithmE0ELj4294967295EEENS1_25partition_config_selectorILNS1_17partition_subalgoE4EjNS0_10empty_typeEbEEZZNS1_14partition_implILS8_4ELb0ES6_15HIP_vector_typeIjLj2EENS0_17counting_iteratorIjlEEPS9_SG_NS0_5tupleIJPjSI_NS0_16reverse_iteratorISI_EEEEENSH_IJSG_SG_SG_EEES9_SI_JZNS1_25segmented_radix_sort_implINS0_14default_configELb0EPKdPdPKlPlN2at6native12_GLOBAL__N_18offset_tEEE10hipError_tPvRmT1_PNSt15iterator_traitsIS12_E10value_typeET2_T3_PNS13_IS18_E10value_typeET4_jRbjT5_S1E_jjP12ihipStream_tbEUljE_ZNSN_ISO_Lb0ESQ_SR_ST_SU_SY_EESZ_S10_S11_S12_S16_S17_S18_S1B_S1C_jS1D_jS1E_S1E_jjS1G_bEUljE0_EEESZ_S10_S11_S18_S1C_S1E_T6_T7_T9_mT8_S1G_bDpT10_ENKUlT_T0_E_clISt17integral_constantIbLb0EES1T_IbLb1EEEEDaS1P_S1Q_EUlS1P_E_NS1_11comp_targetILNS1_3genE9ELNS1_11target_archE1100ELNS1_3gpuE3ELNS1_3repE0EEENS1_30default_config_static_selectorELNS0_4arch9wavefront6targetE1EEEvS12_,"axG",@progbits,_ZN7rocprim17ROCPRIM_400000_NS6detail17trampoline_kernelINS0_13select_configILj256ELj13ELNS0_17block_load_methodE3ELS4_3ELS4_3ELNS0_20block_scan_algorithmE0ELj4294967295EEENS1_25partition_config_selectorILNS1_17partition_subalgoE4EjNS0_10empty_typeEbEEZZNS1_14partition_implILS8_4ELb0ES6_15HIP_vector_typeIjLj2EENS0_17counting_iteratorIjlEEPS9_SG_NS0_5tupleIJPjSI_NS0_16reverse_iteratorISI_EEEEENSH_IJSG_SG_SG_EEES9_SI_JZNS1_25segmented_radix_sort_implINS0_14default_configELb0EPKdPdPKlPlN2at6native12_GLOBAL__N_18offset_tEEE10hipError_tPvRmT1_PNSt15iterator_traitsIS12_E10value_typeET2_T3_PNS13_IS18_E10value_typeET4_jRbjT5_S1E_jjP12ihipStream_tbEUljE_ZNSN_ISO_Lb0ESQ_SR_ST_SU_SY_EESZ_S10_S11_S12_S16_S17_S18_S1B_S1C_jS1D_jS1E_S1E_jjS1G_bEUljE0_EEESZ_S10_S11_S18_S1C_S1E_T6_T7_T9_mT8_S1G_bDpT10_ENKUlT_T0_E_clISt17integral_constantIbLb0EES1T_IbLb1EEEEDaS1P_S1Q_EUlS1P_E_NS1_11comp_targetILNS1_3genE9ELNS1_11target_archE1100ELNS1_3gpuE3ELNS1_3repE0EEENS1_30default_config_static_selectorELNS0_4arch9wavefront6targetE1EEEvS12_,comdat
.Lfunc_end1185:
	.size	_ZN7rocprim17ROCPRIM_400000_NS6detail17trampoline_kernelINS0_13select_configILj256ELj13ELNS0_17block_load_methodE3ELS4_3ELS4_3ELNS0_20block_scan_algorithmE0ELj4294967295EEENS1_25partition_config_selectorILNS1_17partition_subalgoE4EjNS0_10empty_typeEbEEZZNS1_14partition_implILS8_4ELb0ES6_15HIP_vector_typeIjLj2EENS0_17counting_iteratorIjlEEPS9_SG_NS0_5tupleIJPjSI_NS0_16reverse_iteratorISI_EEEEENSH_IJSG_SG_SG_EEES9_SI_JZNS1_25segmented_radix_sort_implINS0_14default_configELb0EPKdPdPKlPlN2at6native12_GLOBAL__N_18offset_tEEE10hipError_tPvRmT1_PNSt15iterator_traitsIS12_E10value_typeET2_T3_PNS13_IS18_E10value_typeET4_jRbjT5_S1E_jjP12ihipStream_tbEUljE_ZNSN_ISO_Lb0ESQ_SR_ST_SU_SY_EESZ_S10_S11_S12_S16_S17_S18_S1B_S1C_jS1D_jS1E_S1E_jjS1G_bEUljE0_EEESZ_S10_S11_S18_S1C_S1E_T6_T7_T9_mT8_S1G_bDpT10_ENKUlT_T0_E_clISt17integral_constantIbLb0EES1T_IbLb1EEEEDaS1P_S1Q_EUlS1P_E_NS1_11comp_targetILNS1_3genE9ELNS1_11target_archE1100ELNS1_3gpuE3ELNS1_3repE0EEENS1_30default_config_static_selectorELNS0_4arch9wavefront6targetE1EEEvS12_, .Lfunc_end1185-_ZN7rocprim17ROCPRIM_400000_NS6detail17trampoline_kernelINS0_13select_configILj256ELj13ELNS0_17block_load_methodE3ELS4_3ELS4_3ELNS0_20block_scan_algorithmE0ELj4294967295EEENS1_25partition_config_selectorILNS1_17partition_subalgoE4EjNS0_10empty_typeEbEEZZNS1_14partition_implILS8_4ELb0ES6_15HIP_vector_typeIjLj2EENS0_17counting_iteratorIjlEEPS9_SG_NS0_5tupleIJPjSI_NS0_16reverse_iteratorISI_EEEEENSH_IJSG_SG_SG_EEES9_SI_JZNS1_25segmented_radix_sort_implINS0_14default_configELb0EPKdPdPKlPlN2at6native12_GLOBAL__N_18offset_tEEE10hipError_tPvRmT1_PNSt15iterator_traitsIS12_E10value_typeET2_T3_PNS13_IS18_E10value_typeET4_jRbjT5_S1E_jjP12ihipStream_tbEUljE_ZNSN_ISO_Lb0ESQ_SR_ST_SU_SY_EESZ_S10_S11_S12_S16_S17_S18_S1B_S1C_jS1D_jS1E_S1E_jjS1G_bEUljE0_EEESZ_S10_S11_S18_S1C_S1E_T6_T7_T9_mT8_S1G_bDpT10_ENKUlT_T0_E_clISt17integral_constantIbLb0EES1T_IbLb1EEEEDaS1P_S1Q_EUlS1P_E_NS1_11comp_targetILNS1_3genE9ELNS1_11target_archE1100ELNS1_3gpuE3ELNS1_3repE0EEENS1_30default_config_static_selectorELNS0_4arch9wavefront6targetE1EEEvS12_
                                        ; -- End function
	.section	.AMDGPU.csdata,"",@progbits
; Kernel info:
; codeLenInByte = 0
; NumSgprs: 4
; NumVgprs: 0
; NumAgprs: 0
; TotalNumVgprs: 0
; ScratchSize: 0
; MemoryBound: 0
; FloatMode: 240
; IeeeMode: 1
; LDSByteSize: 0 bytes/workgroup (compile time only)
; SGPRBlocks: 0
; VGPRBlocks: 0
; NumSGPRsForWavesPerEU: 4
; NumVGPRsForWavesPerEU: 1
; AccumOffset: 4
; Occupancy: 8
; WaveLimiterHint : 0
; COMPUTE_PGM_RSRC2:SCRATCH_EN: 0
; COMPUTE_PGM_RSRC2:USER_SGPR: 6
; COMPUTE_PGM_RSRC2:TRAP_HANDLER: 0
; COMPUTE_PGM_RSRC2:TGID_X_EN: 1
; COMPUTE_PGM_RSRC2:TGID_Y_EN: 0
; COMPUTE_PGM_RSRC2:TGID_Z_EN: 0
; COMPUTE_PGM_RSRC2:TIDIG_COMP_CNT: 0
; COMPUTE_PGM_RSRC3_GFX90A:ACCUM_OFFSET: 0
; COMPUTE_PGM_RSRC3_GFX90A:TG_SPLIT: 0
	.section	.text._ZN7rocprim17ROCPRIM_400000_NS6detail17trampoline_kernelINS0_13select_configILj256ELj13ELNS0_17block_load_methodE3ELS4_3ELS4_3ELNS0_20block_scan_algorithmE0ELj4294967295EEENS1_25partition_config_selectorILNS1_17partition_subalgoE4EjNS0_10empty_typeEbEEZZNS1_14partition_implILS8_4ELb0ES6_15HIP_vector_typeIjLj2EENS0_17counting_iteratorIjlEEPS9_SG_NS0_5tupleIJPjSI_NS0_16reverse_iteratorISI_EEEEENSH_IJSG_SG_SG_EEES9_SI_JZNS1_25segmented_radix_sort_implINS0_14default_configELb0EPKdPdPKlPlN2at6native12_GLOBAL__N_18offset_tEEE10hipError_tPvRmT1_PNSt15iterator_traitsIS12_E10value_typeET2_T3_PNS13_IS18_E10value_typeET4_jRbjT5_S1E_jjP12ihipStream_tbEUljE_ZNSN_ISO_Lb0ESQ_SR_ST_SU_SY_EESZ_S10_S11_S12_S16_S17_S18_S1B_S1C_jS1D_jS1E_S1E_jjS1G_bEUljE0_EEESZ_S10_S11_S18_S1C_S1E_T6_T7_T9_mT8_S1G_bDpT10_ENKUlT_T0_E_clISt17integral_constantIbLb0EES1T_IbLb1EEEEDaS1P_S1Q_EUlS1P_E_NS1_11comp_targetILNS1_3genE8ELNS1_11target_archE1030ELNS1_3gpuE2ELNS1_3repE0EEENS1_30default_config_static_selectorELNS0_4arch9wavefront6targetE1EEEvS12_,"axG",@progbits,_ZN7rocprim17ROCPRIM_400000_NS6detail17trampoline_kernelINS0_13select_configILj256ELj13ELNS0_17block_load_methodE3ELS4_3ELS4_3ELNS0_20block_scan_algorithmE0ELj4294967295EEENS1_25partition_config_selectorILNS1_17partition_subalgoE4EjNS0_10empty_typeEbEEZZNS1_14partition_implILS8_4ELb0ES6_15HIP_vector_typeIjLj2EENS0_17counting_iteratorIjlEEPS9_SG_NS0_5tupleIJPjSI_NS0_16reverse_iteratorISI_EEEEENSH_IJSG_SG_SG_EEES9_SI_JZNS1_25segmented_radix_sort_implINS0_14default_configELb0EPKdPdPKlPlN2at6native12_GLOBAL__N_18offset_tEEE10hipError_tPvRmT1_PNSt15iterator_traitsIS12_E10value_typeET2_T3_PNS13_IS18_E10value_typeET4_jRbjT5_S1E_jjP12ihipStream_tbEUljE_ZNSN_ISO_Lb0ESQ_SR_ST_SU_SY_EESZ_S10_S11_S12_S16_S17_S18_S1B_S1C_jS1D_jS1E_S1E_jjS1G_bEUljE0_EEESZ_S10_S11_S18_S1C_S1E_T6_T7_T9_mT8_S1G_bDpT10_ENKUlT_T0_E_clISt17integral_constantIbLb0EES1T_IbLb1EEEEDaS1P_S1Q_EUlS1P_E_NS1_11comp_targetILNS1_3genE8ELNS1_11target_archE1030ELNS1_3gpuE2ELNS1_3repE0EEENS1_30default_config_static_selectorELNS0_4arch9wavefront6targetE1EEEvS12_,comdat
	.globl	_ZN7rocprim17ROCPRIM_400000_NS6detail17trampoline_kernelINS0_13select_configILj256ELj13ELNS0_17block_load_methodE3ELS4_3ELS4_3ELNS0_20block_scan_algorithmE0ELj4294967295EEENS1_25partition_config_selectorILNS1_17partition_subalgoE4EjNS0_10empty_typeEbEEZZNS1_14partition_implILS8_4ELb0ES6_15HIP_vector_typeIjLj2EENS0_17counting_iteratorIjlEEPS9_SG_NS0_5tupleIJPjSI_NS0_16reverse_iteratorISI_EEEEENSH_IJSG_SG_SG_EEES9_SI_JZNS1_25segmented_radix_sort_implINS0_14default_configELb0EPKdPdPKlPlN2at6native12_GLOBAL__N_18offset_tEEE10hipError_tPvRmT1_PNSt15iterator_traitsIS12_E10value_typeET2_T3_PNS13_IS18_E10value_typeET4_jRbjT5_S1E_jjP12ihipStream_tbEUljE_ZNSN_ISO_Lb0ESQ_SR_ST_SU_SY_EESZ_S10_S11_S12_S16_S17_S18_S1B_S1C_jS1D_jS1E_S1E_jjS1G_bEUljE0_EEESZ_S10_S11_S18_S1C_S1E_T6_T7_T9_mT8_S1G_bDpT10_ENKUlT_T0_E_clISt17integral_constantIbLb0EES1T_IbLb1EEEEDaS1P_S1Q_EUlS1P_E_NS1_11comp_targetILNS1_3genE8ELNS1_11target_archE1030ELNS1_3gpuE2ELNS1_3repE0EEENS1_30default_config_static_selectorELNS0_4arch9wavefront6targetE1EEEvS12_ ; -- Begin function _ZN7rocprim17ROCPRIM_400000_NS6detail17trampoline_kernelINS0_13select_configILj256ELj13ELNS0_17block_load_methodE3ELS4_3ELS4_3ELNS0_20block_scan_algorithmE0ELj4294967295EEENS1_25partition_config_selectorILNS1_17partition_subalgoE4EjNS0_10empty_typeEbEEZZNS1_14partition_implILS8_4ELb0ES6_15HIP_vector_typeIjLj2EENS0_17counting_iteratorIjlEEPS9_SG_NS0_5tupleIJPjSI_NS0_16reverse_iteratorISI_EEEEENSH_IJSG_SG_SG_EEES9_SI_JZNS1_25segmented_radix_sort_implINS0_14default_configELb0EPKdPdPKlPlN2at6native12_GLOBAL__N_18offset_tEEE10hipError_tPvRmT1_PNSt15iterator_traitsIS12_E10value_typeET2_T3_PNS13_IS18_E10value_typeET4_jRbjT5_S1E_jjP12ihipStream_tbEUljE_ZNSN_ISO_Lb0ESQ_SR_ST_SU_SY_EESZ_S10_S11_S12_S16_S17_S18_S1B_S1C_jS1D_jS1E_S1E_jjS1G_bEUljE0_EEESZ_S10_S11_S18_S1C_S1E_T6_T7_T9_mT8_S1G_bDpT10_ENKUlT_T0_E_clISt17integral_constantIbLb0EES1T_IbLb1EEEEDaS1P_S1Q_EUlS1P_E_NS1_11comp_targetILNS1_3genE8ELNS1_11target_archE1030ELNS1_3gpuE2ELNS1_3repE0EEENS1_30default_config_static_selectorELNS0_4arch9wavefront6targetE1EEEvS12_
	.p2align	8
	.type	_ZN7rocprim17ROCPRIM_400000_NS6detail17trampoline_kernelINS0_13select_configILj256ELj13ELNS0_17block_load_methodE3ELS4_3ELS4_3ELNS0_20block_scan_algorithmE0ELj4294967295EEENS1_25partition_config_selectorILNS1_17partition_subalgoE4EjNS0_10empty_typeEbEEZZNS1_14partition_implILS8_4ELb0ES6_15HIP_vector_typeIjLj2EENS0_17counting_iteratorIjlEEPS9_SG_NS0_5tupleIJPjSI_NS0_16reverse_iteratorISI_EEEEENSH_IJSG_SG_SG_EEES9_SI_JZNS1_25segmented_radix_sort_implINS0_14default_configELb0EPKdPdPKlPlN2at6native12_GLOBAL__N_18offset_tEEE10hipError_tPvRmT1_PNSt15iterator_traitsIS12_E10value_typeET2_T3_PNS13_IS18_E10value_typeET4_jRbjT5_S1E_jjP12ihipStream_tbEUljE_ZNSN_ISO_Lb0ESQ_SR_ST_SU_SY_EESZ_S10_S11_S12_S16_S17_S18_S1B_S1C_jS1D_jS1E_S1E_jjS1G_bEUljE0_EEESZ_S10_S11_S18_S1C_S1E_T6_T7_T9_mT8_S1G_bDpT10_ENKUlT_T0_E_clISt17integral_constantIbLb0EES1T_IbLb1EEEEDaS1P_S1Q_EUlS1P_E_NS1_11comp_targetILNS1_3genE8ELNS1_11target_archE1030ELNS1_3gpuE2ELNS1_3repE0EEENS1_30default_config_static_selectorELNS0_4arch9wavefront6targetE1EEEvS12_,@function
_ZN7rocprim17ROCPRIM_400000_NS6detail17trampoline_kernelINS0_13select_configILj256ELj13ELNS0_17block_load_methodE3ELS4_3ELS4_3ELNS0_20block_scan_algorithmE0ELj4294967295EEENS1_25partition_config_selectorILNS1_17partition_subalgoE4EjNS0_10empty_typeEbEEZZNS1_14partition_implILS8_4ELb0ES6_15HIP_vector_typeIjLj2EENS0_17counting_iteratorIjlEEPS9_SG_NS0_5tupleIJPjSI_NS0_16reverse_iteratorISI_EEEEENSH_IJSG_SG_SG_EEES9_SI_JZNS1_25segmented_radix_sort_implINS0_14default_configELb0EPKdPdPKlPlN2at6native12_GLOBAL__N_18offset_tEEE10hipError_tPvRmT1_PNSt15iterator_traitsIS12_E10value_typeET2_T3_PNS13_IS18_E10value_typeET4_jRbjT5_S1E_jjP12ihipStream_tbEUljE_ZNSN_ISO_Lb0ESQ_SR_ST_SU_SY_EESZ_S10_S11_S12_S16_S17_S18_S1B_S1C_jS1D_jS1E_S1E_jjS1G_bEUljE0_EEESZ_S10_S11_S18_S1C_S1E_T6_T7_T9_mT8_S1G_bDpT10_ENKUlT_T0_E_clISt17integral_constantIbLb0EES1T_IbLb1EEEEDaS1P_S1Q_EUlS1P_E_NS1_11comp_targetILNS1_3genE8ELNS1_11target_archE1030ELNS1_3gpuE2ELNS1_3repE0EEENS1_30default_config_static_selectorELNS0_4arch9wavefront6targetE1EEEvS12_: ; @_ZN7rocprim17ROCPRIM_400000_NS6detail17trampoline_kernelINS0_13select_configILj256ELj13ELNS0_17block_load_methodE3ELS4_3ELS4_3ELNS0_20block_scan_algorithmE0ELj4294967295EEENS1_25partition_config_selectorILNS1_17partition_subalgoE4EjNS0_10empty_typeEbEEZZNS1_14partition_implILS8_4ELb0ES6_15HIP_vector_typeIjLj2EENS0_17counting_iteratorIjlEEPS9_SG_NS0_5tupleIJPjSI_NS0_16reverse_iteratorISI_EEEEENSH_IJSG_SG_SG_EEES9_SI_JZNS1_25segmented_radix_sort_implINS0_14default_configELb0EPKdPdPKlPlN2at6native12_GLOBAL__N_18offset_tEEE10hipError_tPvRmT1_PNSt15iterator_traitsIS12_E10value_typeET2_T3_PNS13_IS18_E10value_typeET4_jRbjT5_S1E_jjP12ihipStream_tbEUljE_ZNSN_ISO_Lb0ESQ_SR_ST_SU_SY_EESZ_S10_S11_S12_S16_S17_S18_S1B_S1C_jS1D_jS1E_S1E_jjS1G_bEUljE0_EEESZ_S10_S11_S18_S1C_S1E_T6_T7_T9_mT8_S1G_bDpT10_ENKUlT_T0_E_clISt17integral_constantIbLb0EES1T_IbLb1EEEEDaS1P_S1Q_EUlS1P_E_NS1_11comp_targetILNS1_3genE8ELNS1_11target_archE1030ELNS1_3gpuE2ELNS1_3repE0EEENS1_30default_config_static_selectorELNS0_4arch9wavefront6targetE1EEEvS12_
; %bb.0:
	.section	.rodata,"a",@progbits
	.p2align	6, 0x0
	.amdhsa_kernel _ZN7rocprim17ROCPRIM_400000_NS6detail17trampoline_kernelINS0_13select_configILj256ELj13ELNS0_17block_load_methodE3ELS4_3ELS4_3ELNS0_20block_scan_algorithmE0ELj4294967295EEENS1_25partition_config_selectorILNS1_17partition_subalgoE4EjNS0_10empty_typeEbEEZZNS1_14partition_implILS8_4ELb0ES6_15HIP_vector_typeIjLj2EENS0_17counting_iteratorIjlEEPS9_SG_NS0_5tupleIJPjSI_NS0_16reverse_iteratorISI_EEEEENSH_IJSG_SG_SG_EEES9_SI_JZNS1_25segmented_radix_sort_implINS0_14default_configELb0EPKdPdPKlPlN2at6native12_GLOBAL__N_18offset_tEEE10hipError_tPvRmT1_PNSt15iterator_traitsIS12_E10value_typeET2_T3_PNS13_IS18_E10value_typeET4_jRbjT5_S1E_jjP12ihipStream_tbEUljE_ZNSN_ISO_Lb0ESQ_SR_ST_SU_SY_EESZ_S10_S11_S12_S16_S17_S18_S1B_S1C_jS1D_jS1E_S1E_jjS1G_bEUljE0_EEESZ_S10_S11_S18_S1C_S1E_T6_T7_T9_mT8_S1G_bDpT10_ENKUlT_T0_E_clISt17integral_constantIbLb0EES1T_IbLb1EEEEDaS1P_S1Q_EUlS1P_E_NS1_11comp_targetILNS1_3genE8ELNS1_11target_archE1030ELNS1_3gpuE2ELNS1_3repE0EEENS1_30default_config_static_selectorELNS0_4arch9wavefront6targetE1EEEvS12_
		.amdhsa_group_segment_fixed_size 0
		.amdhsa_private_segment_fixed_size 0
		.amdhsa_kernarg_size 184
		.amdhsa_user_sgpr_count 6
		.amdhsa_user_sgpr_private_segment_buffer 1
		.amdhsa_user_sgpr_dispatch_ptr 0
		.amdhsa_user_sgpr_queue_ptr 0
		.amdhsa_user_sgpr_kernarg_segment_ptr 1
		.amdhsa_user_sgpr_dispatch_id 0
		.amdhsa_user_sgpr_flat_scratch_init 0
		.amdhsa_user_sgpr_kernarg_preload_length 0
		.amdhsa_user_sgpr_kernarg_preload_offset 0
		.amdhsa_user_sgpr_private_segment_size 0
		.amdhsa_uses_dynamic_stack 0
		.amdhsa_system_sgpr_private_segment_wavefront_offset 0
		.amdhsa_system_sgpr_workgroup_id_x 1
		.amdhsa_system_sgpr_workgroup_id_y 0
		.amdhsa_system_sgpr_workgroup_id_z 0
		.amdhsa_system_sgpr_workgroup_info 0
		.amdhsa_system_vgpr_workitem_id 0
		.amdhsa_next_free_vgpr 1
		.amdhsa_next_free_sgpr 0
		.amdhsa_accum_offset 4
		.amdhsa_reserve_vcc 0
		.amdhsa_reserve_flat_scratch 0
		.amdhsa_float_round_mode_32 0
		.amdhsa_float_round_mode_16_64 0
		.amdhsa_float_denorm_mode_32 3
		.amdhsa_float_denorm_mode_16_64 3
		.amdhsa_dx10_clamp 1
		.amdhsa_ieee_mode 1
		.amdhsa_fp16_overflow 0
		.amdhsa_tg_split 0
		.amdhsa_exception_fp_ieee_invalid_op 0
		.amdhsa_exception_fp_denorm_src 0
		.amdhsa_exception_fp_ieee_div_zero 0
		.amdhsa_exception_fp_ieee_overflow 0
		.amdhsa_exception_fp_ieee_underflow 0
		.amdhsa_exception_fp_ieee_inexact 0
		.amdhsa_exception_int_div_zero 0
	.end_amdhsa_kernel
	.section	.text._ZN7rocprim17ROCPRIM_400000_NS6detail17trampoline_kernelINS0_13select_configILj256ELj13ELNS0_17block_load_methodE3ELS4_3ELS4_3ELNS0_20block_scan_algorithmE0ELj4294967295EEENS1_25partition_config_selectorILNS1_17partition_subalgoE4EjNS0_10empty_typeEbEEZZNS1_14partition_implILS8_4ELb0ES6_15HIP_vector_typeIjLj2EENS0_17counting_iteratorIjlEEPS9_SG_NS0_5tupleIJPjSI_NS0_16reverse_iteratorISI_EEEEENSH_IJSG_SG_SG_EEES9_SI_JZNS1_25segmented_radix_sort_implINS0_14default_configELb0EPKdPdPKlPlN2at6native12_GLOBAL__N_18offset_tEEE10hipError_tPvRmT1_PNSt15iterator_traitsIS12_E10value_typeET2_T3_PNS13_IS18_E10value_typeET4_jRbjT5_S1E_jjP12ihipStream_tbEUljE_ZNSN_ISO_Lb0ESQ_SR_ST_SU_SY_EESZ_S10_S11_S12_S16_S17_S18_S1B_S1C_jS1D_jS1E_S1E_jjS1G_bEUljE0_EEESZ_S10_S11_S18_S1C_S1E_T6_T7_T9_mT8_S1G_bDpT10_ENKUlT_T0_E_clISt17integral_constantIbLb0EES1T_IbLb1EEEEDaS1P_S1Q_EUlS1P_E_NS1_11comp_targetILNS1_3genE8ELNS1_11target_archE1030ELNS1_3gpuE2ELNS1_3repE0EEENS1_30default_config_static_selectorELNS0_4arch9wavefront6targetE1EEEvS12_,"axG",@progbits,_ZN7rocprim17ROCPRIM_400000_NS6detail17trampoline_kernelINS0_13select_configILj256ELj13ELNS0_17block_load_methodE3ELS4_3ELS4_3ELNS0_20block_scan_algorithmE0ELj4294967295EEENS1_25partition_config_selectorILNS1_17partition_subalgoE4EjNS0_10empty_typeEbEEZZNS1_14partition_implILS8_4ELb0ES6_15HIP_vector_typeIjLj2EENS0_17counting_iteratorIjlEEPS9_SG_NS0_5tupleIJPjSI_NS0_16reverse_iteratorISI_EEEEENSH_IJSG_SG_SG_EEES9_SI_JZNS1_25segmented_radix_sort_implINS0_14default_configELb0EPKdPdPKlPlN2at6native12_GLOBAL__N_18offset_tEEE10hipError_tPvRmT1_PNSt15iterator_traitsIS12_E10value_typeET2_T3_PNS13_IS18_E10value_typeET4_jRbjT5_S1E_jjP12ihipStream_tbEUljE_ZNSN_ISO_Lb0ESQ_SR_ST_SU_SY_EESZ_S10_S11_S12_S16_S17_S18_S1B_S1C_jS1D_jS1E_S1E_jjS1G_bEUljE0_EEESZ_S10_S11_S18_S1C_S1E_T6_T7_T9_mT8_S1G_bDpT10_ENKUlT_T0_E_clISt17integral_constantIbLb0EES1T_IbLb1EEEEDaS1P_S1Q_EUlS1P_E_NS1_11comp_targetILNS1_3genE8ELNS1_11target_archE1030ELNS1_3gpuE2ELNS1_3repE0EEENS1_30default_config_static_selectorELNS0_4arch9wavefront6targetE1EEEvS12_,comdat
.Lfunc_end1186:
	.size	_ZN7rocprim17ROCPRIM_400000_NS6detail17trampoline_kernelINS0_13select_configILj256ELj13ELNS0_17block_load_methodE3ELS4_3ELS4_3ELNS0_20block_scan_algorithmE0ELj4294967295EEENS1_25partition_config_selectorILNS1_17partition_subalgoE4EjNS0_10empty_typeEbEEZZNS1_14partition_implILS8_4ELb0ES6_15HIP_vector_typeIjLj2EENS0_17counting_iteratorIjlEEPS9_SG_NS0_5tupleIJPjSI_NS0_16reverse_iteratorISI_EEEEENSH_IJSG_SG_SG_EEES9_SI_JZNS1_25segmented_radix_sort_implINS0_14default_configELb0EPKdPdPKlPlN2at6native12_GLOBAL__N_18offset_tEEE10hipError_tPvRmT1_PNSt15iterator_traitsIS12_E10value_typeET2_T3_PNS13_IS18_E10value_typeET4_jRbjT5_S1E_jjP12ihipStream_tbEUljE_ZNSN_ISO_Lb0ESQ_SR_ST_SU_SY_EESZ_S10_S11_S12_S16_S17_S18_S1B_S1C_jS1D_jS1E_S1E_jjS1G_bEUljE0_EEESZ_S10_S11_S18_S1C_S1E_T6_T7_T9_mT8_S1G_bDpT10_ENKUlT_T0_E_clISt17integral_constantIbLb0EES1T_IbLb1EEEEDaS1P_S1Q_EUlS1P_E_NS1_11comp_targetILNS1_3genE8ELNS1_11target_archE1030ELNS1_3gpuE2ELNS1_3repE0EEENS1_30default_config_static_selectorELNS0_4arch9wavefront6targetE1EEEvS12_, .Lfunc_end1186-_ZN7rocprim17ROCPRIM_400000_NS6detail17trampoline_kernelINS0_13select_configILj256ELj13ELNS0_17block_load_methodE3ELS4_3ELS4_3ELNS0_20block_scan_algorithmE0ELj4294967295EEENS1_25partition_config_selectorILNS1_17partition_subalgoE4EjNS0_10empty_typeEbEEZZNS1_14partition_implILS8_4ELb0ES6_15HIP_vector_typeIjLj2EENS0_17counting_iteratorIjlEEPS9_SG_NS0_5tupleIJPjSI_NS0_16reverse_iteratorISI_EEEEENSH_IJSG_SG_SG_EEES9_SI_JZNS1_25segmented_radix_sort_implINS0_14default_configELb0EPKdPdPKlPlN2at6native12_GLOBAL__N_18offset_tEEE10hipError_tPvRmT1_PNSt15iterator_traitsIS12_E10value_typeET2_T3_PNS13_IS18_E10value_typeET4_jRbjT5_S1E_jjP12ihipStream_tbEUljE_ZNSN_ISO_Lb0ESQ_SR_ST_SU_SY_EESZ_S10_S11_S12_S16_S17_S18_S1B_S1C_jS1D_jS1E_S1E_jjS1G_bEUljE0_EEESZ_S10_S11_S18_S1C_S1E_T6_T7_T9_mT8_S1G_bDpT10_ENKUlT_T0_E_clISt17integral_constantIbLb0EES1T_IbLb1EEEEDaS1P_S1Q_EUlS1P_E_NS1_11comp_targetILNS1_3genE8ELNS1_11target_archE1030ELNS1_3gpuE2ELNS1_3repE0EEENS1_30default_config_static_selectorELNS0_4arch9wavefront6targetE1EEEvS12_
                                        ; -- End function
	.section	.AMDGPU.csdata,"",@progbits
; Kernel info:
; codeLenInByte = 0
; NumSgprs: 4
; NumVgprs: 0
; NumAgprs: 0
; TotalNumVgprs: 0
; ScratchSize: 0
; MemoryBound: 0
; FloatMode: 240
; IeeeMode: 1
; LDSByteSize: 0 bytes/workgroup (compile time only)
; SGPRBlocks: 0
; VGPRBlocks: 0
; NumSGPRsForWavesPerEU: 4
; NumVGPRsForWavesPerEU: 1
; AccumOffset: 4
; Occupancy: 8
; WaveLimiterHint : 0
; COMPUTE_PGM_RSRC2:SCRATCH_EN: 0
; COMPUTE_PGM_RSRC2:USER_SGPR: 6
; COMPUTE_PGM_RSRC2:TRAP_HANDLER: 0
; COMPUTE_PGM_RSRC2:TGID_X_EN: 1
; COMPUTE_PGM_RSRC2:TGID_Y_EN: 0
; COMPUTE_PGM_RSRC2:TGID_Z_EN: 0
; COMPUTE_PGM_RSRC2:TIDIG_COMP_CNT: 0
; COMPUTE_PGM_RSRC3_GFX90A:ACCUM_OFFSET: 0
; COMPUTE_PGM_RSRC3_GFX90A:TG_SPLIT: 0
	.section	.text._ZN7rocprim17ROCPRIM_400000_NS6detail17trampoline_kernelINS0_13select_configILj256ELj13ELNS0_17block_load_methodE3ELS4_3ELS4_3ELNS0_20block_scan_algorithmE0ELj4294967295EEENS1_25partition_config_selectorILNS1_17partition_subalgoE3EjNS0_10empty_typeEbEEZZNS1_14partition_implILS8_3ELb0ES6_jNS0_17counting_iteratorIjlEEPS9_SE_NS0_5tupleIJPjSE_EEENSF_IJSE_SE_EEES9_SG_JZNS1_25segmented_radix_sort_implINS0_14default_configELb0EPKdPdPKlPlN2at6native12_GLOBAL__N_18offset_tEEE10hipError_tPvRmT1_PNSt15iterator_traitsISY_E10value_typeET2_T3_PNSZ_IS14_E10value_typeET4_jRbjT5_S1A_jjP12ihipStream_tbEUljE_EEESV_SW_SX_S14_S18_S1A_T6_T7_T9_mT8_S1C_bDpT10_ENKUlT_T0_E_clISt17integral_constantIbLb0EES1P_EEDaS1K_S1L_EUlS1K_E_NS1_11comp_targetILNS1_3genE0ELNS1_11target_archE4294967295ELNS1_3gpuE0ELNS1_3repE0EEENS1_30default_config_static_selectorELNS0_4arch9wavefront6targetE1EEEvSY_,"axG",@progbits,_ZN7rocprim17ROCPRIM_400000_NS6detail17trampoline_kernelINS0_13select_configILj256ELj13ELNS0_17block_load_methodE3ELS4_3ELS4_3ELNS0_20block_scan_algorithmE0ELj4294967295EEENS1_25partition_config_selectorILNS1_17partition_subalgoE3EjNS0_10empty_typeEbEEZZNS1_14partition_implILS8_3ELb0ES6_jNS0_17counting_iteratorIjlEEPS9_SE_NS0_5tupleIJPjSE_EEENSF_IJSE_SE_EEES9_SG_JZNS1_25segmented_radix_sort_implINS0_14default_configELb0EPKdPdPKlPlN2at6native12_GLOBAL__N_18offset_tEEE10hipError_tPvRmT1_PNSt15iterator_traitsISY_E10value_typeET2_T3_PNSZ_IS14_E10value_typeET4_jRbjT5_S1A_jjP12ihipStream_tbEUljE_EEESV_SW_SX_S14_S18_S1A_T6_T7_T9_mT8_S1C_bDpT10_ENKUlT_T0_E_clISt17integral_constantIbLb0EES1P_EEDaS1K_S1L_EUlS1K_E_NS1_11comp_targetILNS1_3genE0ELNS1_11target_archE4294967295ELNS1_3gpuE0ELNS1_3repE0EEENS1_30default_config_static_selectorELNS0_4arch9wavefront6targetE1EEEvSY_,comdat
	.globl	_ZN7rocprim17ROCPRIM_400000_NS6detail17trampoline_kernelINS0_13select_configILj256ELj13ELNS0_17block_load_methodE3ELS4_3ELS4_3ELNS0_20block_scan_algorithmE0ELj4294967295EEENS1_25partition_config_selectorILNS1_17partition_subalgoE3EjNS0_10empty_typeEbEEZZNS1_14partition_implILS8_3ELb0ES6_jNS0_17counting_iteratorIjlEEPS9_SE_NS0_5tupleIJPjSE_EEENSF_IJSE_SE_EEES9_SG_JZNS1_25segmented_radix_sort_implINS0_14default_configELb0EPKdPdPKlPlN2at6native12_GLOBAL__N_18offset_tEEE10hipError_tPvRmT1_PNSt15iterator_traitsISY_E10value_typeET2_T3_PNSZ_IS14_E10value_typeET4_jRbjT5_S1A_jjP12ihipStream_tbEUljE_EEESV_SW_SX_S14_S18_S1A_T6_T7_T9_mT8_S1C_bDpT10_ENKUlT_T0_E_clISt17integral_constantIbLb0EES1P_EEDaS1K_S1L_EUlS1K_E_NS1_11comp_targetILNS1_3genE0ELNS1_11target_archE4294967295ELNS1_3gpuE0ELNS1_3repE0EEENS1_30default_config_static_selectorELNS0_4arch9wavefront6targetE1EEEvSY_ ; -- Begin function _ZN7rocprim17ROCPRIM_400000_NS6detail17trampoline_kernelINS0_13select_configILj256ELj13ELNS0_17block_load_methodE3ELS4_3ELS4_3ELNS0_20block_scan_algorithmE0ELj4294967295EEENS1_25partition_config_selectorILNS1_17partition_subalgoE3EjNS0_10empty_typeEbEEZZNS1_14partition_implILS8_3ELb0ES6_jNS0_17counting_iteratorIjlEEPS9_SE_NS0_5tupleIJPjSE_EEENSF_IJSE_SE_EEES9_SG_JZNS1_25segmented_radix_sort_implINS0_14default_configELb0EPKdPdPKlPlN2at6native12_GLOBAL__N_18offset_tEEE10hipError_tPvRmT1_PNSt15iterator_traitsISY_E10value_typeET2_T3_PNSZ_IS14_E10value_typeET4_jRbjT5_S1A_jjP12ihipStream_tbEUljE_EEESV_SW_SX_S14_S18_S1A_T6_T7_T9_mT8_S1C_bDpT10_ENKUlT_T0_E_clISt17integral_constantIbLb0EES1P_EEDaS1K_S1L_EUlS1K_E_NS1_11comp_targetILNS1_3genE0ELNS1_11target_archE4294967295ELNS1_3gpuE0ELNS1_3repE0EEENS1_30default_config_static_selectorELNS0_4arch9wavefront6targetE1EEEvSY_
	.p2align	8
	.type	_ZN7rocprim17ROCPRIM_400000_NS6detail17trampoline_kernelINS0_13select_configILj256ELj13ELNS0_17block_load_methodE3ELS4_3ELS4_3ELNS0_20block_scan_algorithmE0ELj4294967295EEENS1_25partition_config_selectorILNS1_17partition_subalgoE3EjNS0_10empty_typeEbEEZZNS1_14partition_implILS8_3ELb0ES6_jNS0_17counting_iteratorIjlEEPS9_SE_NS0_5tupleIJPjSE_EEENSF_IJSE_SE_EEES9_SG_JZNS1_25segmented_radix_sort_implINS0_14default_configELb0EPKdPdPKlPlN2at6native12_GLOBAL__N_18offset_tEEE10hipError_tPvRmT1_PNSt15iterator_traitsISY_E10value_typeET2_T3_PNSZ_IS14_E10value_typeET4_jRbjT5_S1A_jjP12ihipStream_tbEUljE_EEESV_SW_SX_S14_S18_S1A_T6_T7_T9_mT8_S1C_bDpT10_ENKUlT_T0_E_clISt17integral_constantIbLb0EES1P_EEDaS1K_S1L_EUlS1K_E_NS1_11comp_targetILNS1_3genE0ELNS1_11target_archE4294967295ELNS1_3gpuE0ELNS1_3repE0EEENS1_30default_config_static_selectorELNS0_4arch9wavefront6targetE1EEEvSY_,@function
_ZN7rocprim17ROCPRIM_400000_NS6detail17trampoline_kernelINS0_13select_configILj256ELj13ELNS0_17block_load_methodE3ELS4_3ELS4_3ELNS0_20block_scan_algorithmE0ELj4294967295EEENS1_25partition_config_selectorILNS1_17partition_subalgoE3EjNS0_10empty_typeEbEEZZNS1_14partition_implILS8_3ELb0ES6_jNS0_17counting_iteratorIjlEEPS9_SE_NS0_5tupleIJPjSE_EEENSF_IJSE_SE_EEES9_SG_JZNS1_25segmented_radix_sort_implINS0_14default_configELb0EPKdPdPKlPlN2at6native12_GLOBAL__N_18offset_tEEE10hipError_tPvRmT1_PNSt15iterator_traitsISY_E10value_typeET2_T3_PNSZ_IS14_E10value_typeET4_jRbjT5_S1A_jjP12ihipStream_tbEUljE_EEESV_SW_SX_S14_S18_S1A_T6_T7_T9_mT8_S1C_bDpT10_ENKUlT_T0_E_clISt17integral_constantIbLb0EES1P_EEDaS1K_S1L_EUlS1K_E_NS1_11comp_targetILNS1_3genE0ELNS1_11target_archE4294967295ELNS1_3gpuE0ELNS1_3repE0EEENS1_30default_config_static_selectorELNS0_4arch9wavefront6targetE1EEEvSY_: ; @_ZN7rocprim17ROCPRIM_400000_NS6detail17trampoline_kernelINS0_13select_configILj256ELj13ELNS0_17block_load_methodE3ELS4_3ELS4_3ELNS0_20block_scan_algorithmE0ELj4294967295EEENS1_25partition_config_selectorILNS1_17partition_subalgoE3EjNS0_10empty_typeEbEEZZNS1_14partition_implILS8_3ELb0ES6_jNS0_17counting_iteratorIjlEEPS9_SE_NS0_5tupleIJPjSE_EEENSF_IJSE_SE_EEES9_SG_JZNS1_25segmented_radix_sort_implINS0_14default_configELb0EPKdPdPKlPlN2at6native12_GLOBAL__N_18offset_tEEE10hipError_tPvRmT1_PNSt15iterator_traitsISY_E10value_typeET2_T3_PNSZ_IS14_E10value_typeET4_jRbjT5_S1A_jjP12ihipStream_tbEUljE_EEESV_SW_SX_S14_S18_S1A_T6_T7_T9_mT8_S1C_bDpT10_ENKUlT_T0_E_clISt17integral_constantIbLb0EES1P_EEDaS1K_S1L_EUlS1K_E_NS1_11comp_targetILNS1_3genE0ELNS1_11target_archE4294967295ELNS1_3gpuE0ELNS1_3repE0EEENS1_30default_config_static_selectorELNS0_4arch9wavefront6targetE1EEEvSY_
; %bb.0:
	.section	.rodata,"a",@progbits
	.p2align	6, 0x0
	.amdhsa_kernel _ZN7rocprim17ROCPRIM_400000_NS6detail17trampoline_kernelINS0_13select_configILj256ELj13ELNS0_17block_load_methodE3ELS4_3ELS4_3ELNS0_20block_scan_algorithmE0ELj4294967295EEENS1_25partition_config_selectorILNS1_17partition_subalgoE3EjNS0_10empty_typeEbEEZZNS1_14partition_implILS8_3ELb0ES6_jNS0_17counting_iteratorIjlEEPS9_SE_NS0_5tupleIJPjSE_EEENSF_IJSE_SE_EEES9_SG_JZNS1_25segmented_radix_sort_implINS0_14default_configELb0EPKdPdPKlPlN2at6native12_GLOBAL__N_18offset_tEEE10hipError_tPvRmT1_PNSt15iterator_traitsISY_E10value_typeET2_T3_PNSZ_IS14_E10value_typeET4_jRbjT5_S1A_jjP12ihipStream_tbEUljE_EEESV_SW_SX_S14_S18_S1A_T6_T7_T9_mT8_S1C_bDpT10_ENKUlT_T0_E_clISt17integral_constantIbLb0EES1P_EEDaS1K_S1L_EUlS1K_E_NS1_11comp_targetILNS1_3genE0ELNS1_11target_archE4294967295ELNS1_3gpuE0ELNS1_3repE0EEENS1_30default_config_static_selectorELNS0_4arch9wavefront6targetE1EEEvSY_
		.amdhsa_group_segment_fixed_size 0
		.amdhsa_private_segment_fixed_size 0
		.amdhsa_kernarg_size 144
		.amdhsa_user_sgpr_count 6
		.amdhsa_user_sgpr_private_segment_buffer 1
		.amdhsa_user_sgpr_dispatch_ptr 0
		.amdhsa_user_sgpr_queue_ptr 0
		.amdhsa_user_sgpr_kernarg_segment_ptr 1
		.amdhsa_user_sgpr_dispatch_id 0
		.amdhsa_user_sgpr_flat_scratch_init 0
		.amdhsa_user_sgpr_kernarg_preload_length 0
		.amdhsa_user_sgpr_kernarg_preload_offset 0
		.amdhsa_user_sgpr_private_segment_size 0
		.amdhsa_uses_dynamic_stack 0
		.amdhsa_system_sgpr_private_segment_wavefront_offset 0
		.amdhsa_system_sgpr_workgroup_id_x 1
		.amdhsa_system_sgpr_workgroup_id_y 0
		.amdhsa_system_sgpr_workgroup_id_z 0
		.amdhsa_system_sgpr_workgroup_info 0
		.amdhsa_system_vgpr_workitem_id 0
		.amdhsa_next_free_vgpr 1
		.amdhsa_next_free_sgpr 0
		.amdhsa_accum_offset 4
		.amdhsa_reserve_vcc 0
		.amdhsa_reserve_flat_scratch 0
		.amdhsa_float_round_mode_32 0
		.amdhsa_float_round_mode_16_64 0
		.amdhsa_float_denorm_mode_32 3
		.amdhsa_float_denorm_mode_16_64 3
		.amdhsa_dx10_clamp 1
		.amdhsa_ieee_mode 1
		.amdhsa_fp16_overflow 0
		.amdhsa_tg_split 0
		.amdhsa_exception_fp_ieee_invalid_op 0
		.amdhsa_exception_fp_denorm_src 0
		.amdhsa_exception_fp_ieee_div_zero 0
		.amdhsa_exception_fp_ieee_overflow 0
		.amdhsa_exception_fp_ieee_underflow 0
		.amdhsa_exception_fp_ieee_inexact 0
		.amdhsa_exception_int_div_zero 0
	.end_amdhsa_kernel
	.section	.text._ZN7rocprim17ROCPRIM_400000_NS6detail17trampoline_kernelINS0_13select_configILj256ELj13ELNS0_17block_load_methodE3ELS4_3ELS4_3ELNS0_20block_scan_algorithmE0ELj4294967295EEENS1_25partition_config_selectorILNS1_17partition_subalgoE3EjNS0_10empty_typeEbEEZZNS1_14partition_implILS8_3ELb0ES6_jNS0_17counting_iteratorIjlEEPS9_SE_NS0_5tupleIJPjSE_EEENSF_IJSE_SE_EEES9_SG_JZNS1_25segmented_radix_sort_implINS0_14default_configELb0EPKdPdPKlPlN2at6native12_GLOBAL__N_18offset_tEEE10hipError_tPvRmT1_PNSt15iterator_traitsISY_E10value_typeET2_T3_PNSZ_IS14_E10value_typeET4_jRbjT5_S1A_jjP12ihipStream_tbEUljE_EEESV_SW_SX_S14_S18_S1A_T6_T7_T9_mT8_S1C_bDpT10_ENKUlT_T0_E_clISt17integral_constantIbLb0EES1P_EEDaS1K_S1L_EUlS1K_E_NS1_11comp_targetILNS1_3genE0ELNS1_11target_archE4294967295ELNS1_3gpuE0ELNS1_3repE0EEENS1_30default_config_static_selectorELNS0_4arch9wavefront6targetE1EEEvSY_,"axG",@progbits,_ZN7rocprim17ROCPRIM_400000_NS6detail17trampoline_kernelINS0_13select_configILj256ELj13ELNS0_17block_load_methodE3ELS4_3ELS4_3ELNS0_20block_scan_algorithmE0ELj4294967295EEENS1_25partition_config_selectorILNS1_17partition_subalgoE3EjNS0_10empty_typeEbEEZZNS1_14partition_implILS8_3ELb0ES6_jNS0_17counting_iteratorIjlEEPS9_SE_NS0_5tupleIJPjSE_EEENSF_IJSE_SE_EEES9_SG_JZNS1_25segmented_radix_sort_implINS0_14default_configELb0EPKdPdPKlPlN2at6native12_GLOBAL__N_18offset_tEEE10hipError_tPvRmT1_PNSt15iterator_traitsISY_E10value_typeET2_T3_PNSZ_IS14_E10value_typeET4_jRbjT5_S1A_jjP12ihipStream_tbEUljE_EEESV_SW_SX_S14_S18_S1A_T6_T7_T9_mT8_S1C_bDpT10_ENKUlT_T0_E_clISt17integral_constantIbLb0EES1P_EEDaS1K_S1L_EUlS1K_E_NS1_11comp_targetILNS1_3genE0ELNS1_11target_archE4294967295ELNS1_3gpuE0ELNS1_3repE0EEENS1_30default_config_static_selectorELNS0_4arch9wavefront6targetE1EEEvSY_,comdat
.Lfunc_end1187:
	.size	_ZN7rocprim17ROCPRIM_400000_NS6detail17trampoline_kernelINS0_13select_configILj256ELj13ELNS0_17block_load_methodE3ELS4_3ELS4_3ELNS0_20block_scan_algorithmE0ELj4294967295EEENS1_25partition_config_selectorILNS1_17partition_subalgoE3EjNS0_10empty_typeEbEEZZNS1_14partition_implILS8_3ELb0ES6_jNS0_17counting_iteratorIjlEEPS9_SE_NS0_5tupleIJPjSE_EEENSF_IJSE_SE_EEES9_SG_JZNS1_25segmented_radix_sort_implINS0_14default_configELb0EPKdPdPKlPlN2at6native12_GLOBAL__N_18offset_tEEE10hipError_tPvRmT1_PNSt15iterator_traitsISY_E10value_typeET2_T3_PNSZ_IS14_E10value_typeET4_jRbjT5_S1A_jjP12ihipStream_tbEUljE_EEESV_SW_SX_S14_S18_S1A_T6_T7_T9_mT8_S1C_bDpT10_ENKUlT_T0_E_clISt17integral_constantIbLb0EES1P_EEDaS1K_S1L_EUlS1K_E_NS1_11comp_targetILNS1_3genE0ELNS1_11target_archE4294967295ELNS1_3gpuE0ELNS1_3repE0EEENS1_30default_config_static_selectorELNS0_4arch9wavefront6targetE1EEEvSY_, .Lfunc_end1187-_ZN7rocprim17ROCPRIM_400000_NS6detail17trampoline_kernelINS0_13select_configILj256ELj13ELNS0_17block_load_methodE3ELS4_3ELS4_3ELNS0_20block_scan_algorithmE0ELj4294967295EEENS1_25partition_config_selectorILNS1_17partition_subalgoE3EjNS0_10empty_typeEbEEZZNS1_14partition_implILS8_3ELb0ES6_jNS0_17counting_iteratorIjlEEPS9_SE_NS0_5tupleIJPjSE_EEENSF_IJSE_SE_EEES9_SG_JZNS1_25segmented_radix_sort_implINS0_14default_configELb0EPKdPdPKlPlN2at6native12_GLOBAL__N_18offset_tEEE10hipError_tPvRmT1_PNSt15iterator_traitsISY_E10value_typeET2_T3_PNSZ_IS14_E10value_typeET4_jRbjT5_S1A_jjP12ihipStream_tbEUljE_EEESV_SW_SX_S14_S18_S1A_T6_T7_T9_mT8_S1C_bDpT10_ENKUlT_T0_E_clISt17integral_constantIbLb0EES1P_EEDaS1K_S1L_EUlS1K_E_NS1_11comp_targetILNS1_3genE0ELNS1_11target_archE4294967295ELNS1_3gpuE0ELNS1_3repE0EEENS1_30default_config_static_selectorELNS0_4arch9wavefront6targetE1EEEvSY_
                                        ; -- End function
	.section	.AMDGPU.csdata,"",@progbits
; Kernel info:
; codeLenInByte = 0
; NumSgprs: 4
; NumVgprs: 0
; NumAgprs: 0
; TotalNumVgprs: 0
; ScratchSize: 0
; MemoryBound: 0
; FloatMode: 240
; IeeeMode: 1
; LDSByteSize: 0 bytes/workgroup (compile time only)
; SGPRBlocks: 0
; VGPRBlocks: 0
; NumSGPRsForWavesPerEU: 4
; NumVGPRsForWavesPerEU: 1
; AccumOffset: 4
; Occupancy: 8
; WaveLimiterHint : 0
; COMPUTE_PGM_RSRC2:SCRATCH_EN: 0
; COMPUTE_PGM_RSRC2:USER_SGPR: 6
; COMPUTE_PGM_RSRC2:TRAP_HANDLER: 0
; COMPUTE_PGM_RSRC2:TGID_X_EN: 1
; COMPUTE_PGM_RSRC2:TGID_Y_EN: 0
; COMPUTE_PGM_RSRC2:TGID_Z_EN: 0
; COMPUTE_PGM_RSRC2:TIDIG_COMP_CNT: 0
; COMPUTE_PGM_RSRC3_GFX90A:ACCUM_OFFSET: 0
; COMPUTE_PGM_RSRC3_GFX90A:TG_SPLIT: 0
	.section	.text._ZN7rocprim17ROCPRIM_400000_NS6detail17trampoline_kernelINS0_13select_configILj256ELj13ELNS0_17block_load_methodE3ELS4_3ELS4_3ELNS0_20block_scan_algorithmE0ELj4294967295EEENS1_25partition_config_selectorILNS1_17partition_subalgoE3EjNS0_10empty_typeEbEEZZNS1_14partition_implILS8_3ELb0ES6_jNS0_17counting_iteratorIjlEEPS9_SE_NS0_5tupleIJPjSE_EEENSF_IJSE_SE_EEES9_SG_JZNS1_25segmented_radix_sort_implINS0_14default_configELb0EPKdPdPKlPlN2at6native12_GLOBAL__N_18offset_tEEE10hipError_tPvRmT1_PNSt15iterator_traitsISY_E10value_typeET2_T3_PNSZ_IS14_E10value_typeET4_jRbjT5_S1A_jjP12ihipStream_tbEUljE_EEESV_SW_SX_S14_S18_S1A_T6_T7_T9_mT8_S1C_bDpT10_ENKUlT_T0_E_clISt17integral_constantIbLb0EES1P_EEDaS1K_S1L_EUlS1K_E_NS1_11comp_targetILNS1_3genE5ELNS1_11target_archE942ELNS1_3gpuE9ELNS1_3repE0EEENS1_30default_config_static_selectorELNS0_4arch9wavefront6targetE1EEEvSY_,"axG",@progbits,_ZN7rocprim17ROCPRIM_400000_NS6detail17trampoline_kernelINS0_13select_configILj256ELj13ELNS0_17block_load_methodE3ELS4_3ELS4_3ELNS0_20block_scan_algorithmE0ELj4294967295EEENS1_25partition_config_selectorILNS1_17partition_subalgoE3EjNS0_10empty_typeEbEEZZNS1_14partition_implILS8_3ELb0ES6_jNS0_17counting_iteratorIjlEEPS9_SE_NS0_5tupleIJPjSE_EEENSF_IJSE_SE_EEES9_SG_JZNS1_25segmented_radix_sort_implINS0_14default_configELb0EPKdPdPKlPlN2at6native12_GLOBAL__N_18offset_tEEE10hipError_tPvRmT1_PNSt15iterator_traitsISY_E10value_typeET2_T3_PNSZ_IS14_E10value_typeET4_jRbjT5_S1A_jjP12ihipStream_tbEUljE_EEESV_SW_SX_S14_S18_S1A_T6_T7_T9_mT8_S1C_bDpT10_ENKUlT_T0_E_clISt17integral_constantIbLb0EES1P_EEDaS1K_S1L_EUlS1K_E_NS1_11comp_targetILNS1_3genE5ELNS1_11target_archE942ELNS1_3gpuE9ELNS1_3repE0EEENS1_30default_config_static_selectorELNS0_4arch9wavefront6targetE1EEEvSY_,comdat
	.globl	_ZN7rocprim17ROCPRIM_400000_NS6detail17trampoline_kernelINS0_13select_configILj256ELj13ELNS0_17block_load_methodE3ELS4_3ELS4_3ELNS0_20block_scan_algorithmE0ELj4294967295EEENS1_25partition_config_selectorILNS1_17partition_subalgoE3EjNS0_10empty_typeEbEEZZNS1_14partition_implILS8_3ELb0ES6_jNS0_17counting_iteratorIjlEEPS9_SE_NS0_5tupleIJPjSE_EEENSF_IJSE_SE_EEES9_SG_JZNS1_25segmented_radix_sort_implINS0_14default_configELb0EPKdPdPKlPlN2at6native12_GLOBAL__N_18offset_tEEE10hipError_tPvRmT1_PNSt15iterator_traitsISY_E10value_typeET2_T3_PNSZ_IS14_E10value_typeET4_jRbjT5_S1A_jjP12ihipStream_tbEUljE_EEESV_SW_SX_S14_S18_S1A_T6_T7_T9_mT8_S1C_bDpT10_ENKUlT_T0_E_clISt17integral_constantIbLb0EES1P_EEDaS1K_S1L_EUlS1K_E_NS1_11comp_targetILNS1_3genE5ELNS1_11target_archE942ELNS1_3gpuE9ELNS1_3repE0EEENS1_30default_config_static_selectorELNS0_4arch9wavefront6targetE1EEEvSY_ ; -- Begin function _ZN7rocprim17ROCPRIM_400000_NS6detail17trampoline_kernelINS0_13select_configILj256ELj13ELNS0_17block_load_methodE3ELS4_3ELS4_3ELNS0_20block_scan_algorithmE0ELj4294967295EEENS1_25partition_config_selectorILNS1_17partition_subalgoE3EjNS0_10empty_typeEbEEZZNS1_14partition_implILS8_3ELb0ES6_jNS0_17counting_iteratorIjlEEPS9_SE_NS0_5tupleIJPjSE_EEENSF_IJSE_SE_EEES9_SG_JZNS1_25segmented_radix_sort_implINS0_14default_configELb0EPKdPdPKlPlN2at6native12_GLOBAL__N_18offset_tEEE10hipError_tPvRmT1_PNSt15iterator_traitsISY_E10value_typeET2_T3_PNSZ_IS14_E10value_typeET4_jRbjT5_S1A_jjP12ihipStream_tbEUljE_EEESV_SW_SX_S14_S18_S1A_T6_T7_T9_mT8_S1C_bDpT10_ENKUlT_T0_E_clISt17integral_constantIbLb0EES1P_EEDaS1K_S1L_EUlS1K_E_NS1_11comp_targetILNS1_3genE5ELNS1_11target_archE942ELNS1_3gpuE9ELNS1_3repE0EEENS1_30default_config_static_selectorELNS0_4arch9wavefront6targetE1EEEvSY_
	.p2align	8
	.type	_ZN7rocprim17ROCPRIM_400000_NS6detail17trampoline_kernelINS0_13select_configILj256ELj13ELNS0_17block_load_methodE3ELS4_3ELS4_3ELNS0_20block_scan_algorithmE0ELj4294967295EEENS1_25partition_config_selectorILNS1_17partition_subalgoE3EjNS0_10empty_typeEbEEZZNS1_14partition_implILS8_3ELb0ES6_jNS0_17counting_iteratorIjlEEPS9_SE_NS0_5tupleIJPjSE_EEENSF_IJSE_SE_EEES9_SG_JZNS1_25segmented_radix_sort_implINS0_14default_configELb0EPKdPdPKlPlN2at6native12_GLOBAL__N_18offset_tEEE10hipError_tPvRmT1_PNSt15iterator_traitsISY_E10value_typeET2_T3_PNSZ_IS14_E10value_typeET4_jRbjT5_S1A_jjP12ihipStream_tbEUljE_EEESV_SW_SX_S14_S18_S1A_T6_T7_T9_mT8_S1C_bDpT10_ENKUlT_T0_E_clISt17integral_constantIbLb0EES1P_EEDaS1K_S1L_EUlS1K_E_NS1_11comp_targetILNS1_3genE5ELNS1_11target_archE942ELNS1_3gpuE9ELNS1_3repE0EEENS1_30default_config_static_selectorELNS0_4arch9wavefront6targetE1EEEvSY_,@function
_ZN7rocprim17ROCPRIM_400000_NS6detail17trampoline_kernelINS0_13select_configILj256ELj13ELNS0_17block_load_methodE3ELS4_3ELS4_3ELNS0_20block_scan_algorithmE0ELj4294967295EEENS1_25partition_config_selectorILNS1_17partition_subalgoE3EjNS0_10empty_typeEbEEZZNS1_14partition_implILS8_3ELb0ES6_jNS0_17counting_iteratorIjlEEPS9_SE_NS0_5tupleIJPjSE_EEENSF_IJSE_SE_EEES9_SG_JZNS1_25segmented_radix_sort_implINS0_14default_configELb0EPKdPdPKlPlN2at6native12_GLOBAL__N_18offset_tEEE10hipError_tPvRmT1_PNSt15iterator_traitsISY_E10value_typeET2_T3_PNSZ_IS14_E10value_typeET4_jRbjT5_S1A_jjP12ihipStream_tbEUljE_EEESV_SW_SX_S14_S18_S1A_T6_T7_T9_mT8_S1C_bDpT10_ENKUlT_T0_E_clISt17integral_constantIbLb0EES1P_EEDaS1K_S1L_EUlS1K_E_NS1_11comp_targetILNS1_3genE5ELNS1_11target_archE942ELNS1_3gpuE9ELNS1_3repE0EEENS1_30default_config_static_selectorELNS0_4arch9wavefront6targetE1EEEvSY_: ; @_ZN7rocprim17ROCPRIM_400000_NS6detail17trampoline_kernelINS0_13select_configILj256ELj13ELNS0_17block_load_methodE3ELS4_3ELS4_3ELNS0_20block_scan_algorithmE0ELj4294967295EEENS1_25partition_config_selectorILNS1_17partition_subalgoE3EjNS0_10empty_typeEbEEZZNS1_14partition_implILS8_3ELb0ES6_jNS0_17counting_iteratorIjlEEPS9_SE_NS0_5tupleIJPjSE_EEENSF_IJSE_SE_EEES9_SG_JZNS1_25segmented_radix_sort_implINS0_14default_configELb0EPKdPdPKlPlN2at6native12_GLOBAL__N_18offset_tEEE10hipError_tPvRmT1_PNSt15iterator_traitsISY_E10value_typeET2_T3_PNSZ_IS14_E10value_typeET4_jRbjT5_S1A_jjP12ihipStream_tbEUljE_EEESV_SW_SX_S14_S18_S1A_T6_T7_T9_mT8_S1C_bDpT10_ENKUlT_T0_E_clISt17integral_constantIbLb0EES1P_EEDaS1K_S1L_EUlS1K_E_NS1_11comp_targetILNS1_3genE5ELNS1_11target_archE942ELNS1_3gpuE9ELNS1_3repE0EEENS1_30default_config_static_selectorELNS0_4arch9wavefront6targetE1EEEvSY_
; %bb.0:
	.section	.rodata,"a",@progbits
	.p2align	6, 0x0
	.amdhsa_kernel _ZN7rocprim17ROCPRIM_400000_NS6detail17trampoline_kernelINS0_13select_configILj256ELj13ELNS0_17block_load_methodE3ELS4_3ELS4_3ELNS0_20block_scan_algorithmE0ELj4294967295EEENS1_25partition_config_selectorILNS1_17partition_subalgoE3EjNS0_10empty_typeEbEEZZNS1_14partition_implILS8_3ELb0ES6_jNS0_17counting_iteratorIjlEEPS9_SE_NS0_5tupleIJPjSE_EEENSF_IJSE_SE_EEES9_SG_JZNS1_25segmented_radix_sort_implINS0_14default_configELb0EPKdPdPKlPlN2at6native12_GLOBAL__N_18offset_tEEE10hipError_tPvRmT1_PNSt15iterator_traitsISY_E10value_typeET2_T3_PNSZ_IS14_E10value_typeET4_jRbjT5_S1A_jjP12ihipStream_tbEUljE_EEESV_SW_SX_S14_S18_S1A_T6_T7_T9_mT8_S1C_bDpT10_ENKUlT_T0_E_clISt17integral_constantIbLb0EES1P_EEDaS1K_S1L_EUlS1K_E_NS1_11comp_targetILNS1_3genE5ELNS1_11target_archE942ELNS1_3gpuE9ELNS1_3repE0EEENS1_30default_config_static_selectorELNS0_4arch9wavefront6targetE1EEEvSY_
		.amdhsa_group_segment_fixed_size 0
		.amdhsa_private_segment_fixed_size 0
		.amdhsa_kernarg_size 144
		.amdhsa_user_sgpr_count 6
		.amdhsa_user_sgpr_private_segment_buffer 1
		.amdhsa_user_sgpr_dispatch_ptr 0
		.amdhsa_user_sgpr_queue_ptr 0
		.amdhsa_user_sgpr_kernarg_segment_ptr 1
		.amdhsa_user_sgpr_dispatch_id 0
		.amdhsa_user_sgpr_flat_scratch_init 0
		.amdhsa_user_sgpr_kernarg_preload_length 0
		.amdhsa_user_sgpr_kernarg_preload_offset 0
		.amdhsa_user_sgpr_private_segment_size 0
		.amdhsa_uses_dynamic_stack 0
		.amdhsa_system_sgpr_private_segment_wavefront_offset 0
		.amdhsa_system_sgpr_workgroup_id_x 1
		.amdhsa_system_sgpr_workgroup_id_y 0
		.amdhsa_system_sgpr_workgroup_id_z 0
		.amdhsa_system_sgpr_workgroup_info 0
		.amdhsa_system_vgpr_workitem_id 0
		.amdhsa_next_free_vgpr 1
		.amdhsa_next_free_sgpr 0
		.amdhsa_accum_offset 4
		.amdhsa_reserve_vcc 0
		.amdhsa_reserve_flat_scratch 0
		.amdhsa_float_round_mode_32 0
		.amdhsa_float_round_mode_16_64 0
		.amdhsa_float_denorm_mode_32 3
		.amdhsa_float_denorm_mode_16_64 3
		.amdhsa_dx10_clamp 1
		.amdhsa_ieee_mode 1
		.amdhsa_fp16_overflow 0
		.amdhsa_tg_split 0
		.amdhsa_exception_fp_ieee_invalid_op 0
		.amdhsa_exception_fp_denorm_src 0
		.amdhsa_exception_fp_ieee_div_zero 0
		.amdhsa_exception_fp_ieee_overflow 0
		.amdhsa_exception_fp_ieee_underflow 0
		.amdhsa_exception_fp_ieee_inexact 0
		.amdhsa_exception_int_div_zero 0
	.end_amdhsa_kernel
	.section	.text._ZN7rocprim17ROCPRIM_400000_NS6detail17trampoline_kernelINS0_13select_configILj256ELj13ELNS0_17block_load_methodE3ELS4_3ELS4_3ELNS0_20block_scan_algorithmE0ELj4294967295EEENS1_25partition_config_selectorILNS1_17partition_subalgoE3EjNS0_10empty_typeEbEEZZNS1_14partition_implILS8_3ELb0ES6_jNS0_17counting_iteratorIjlEEPS9_SE_NS0_5tupleIJPjSE_EEENSF_IJSE_SE_EEES9_SG_JZNS1_25segmented_radix_sort_implINS0_14default_configELb0EPKdPdPKlPlN2at6native12_GLOBAL__N_18offset_tEEE10hipError_tPvRmT1_PNSt15iterator_traitsISY_E10value_typeET2_T3_PNSZ_IS14_E10value_typeET4_jRbjT5_S1A_jjP12ihipStream_tbEUljE_EEESV_SW_SX_S14_S18_S1A_T6_T7_T9_mT8_S1C_bDpT10_ENKUlT_T0_E_clISt17integral_constantIbLb0EES1P_EEDaS1K_S1L_EUlS1K_E_NS1_11comp_targetILNS1_3genE5ELNS1_11target_archE942ELNS1_3gpuE9ELNS1_3repE0EEENS1_30default_config_static_selectorELNS0_4arch9wavefront6targetE1EEEvSY_,"axG",@progbits,_ZN7rocprim17ROCPRIM_400000_NS6detail17trampoline_kernelINS0_13select_configILj256ELj13ELNS0_17block_load_methodE3ELS4_3ELS4_3ELNS0_20block_scan_algorithmE0ELj4294967295EEENS1_25partition_config_selectorILNS1_17partition_subalgoE3EjNS0_10empty_typeEbEEZZNS1_14partition_implILS8_3ELb0ES6_jNS0_17counting_iteratorIjlEEPS9_SE_NS0_5tupleIJPjSE_EEENSF_IJSE_SE_EEES9_SG_JZNS1_25segmented_radix_sort_implINS0_14default_configELb0EPKdPdPKlPlN2at6native12_GLOBAL__N_18offset_tEEE10hipError_tPvRmT1_PNSt15iterator_traitsISY_E10value_typeET2_T3_PNSZ_IS14_E10value_typeET4_jRbjT5_S1A_jjP12ihipStream_tbEUljE_EEESV_SW_SX_S14_S18_S1A_T6_T7_T9_mT8_S1C_bDpT10_ENKUlT_T0_E_clISt17integral_constantIbLb0EES1P_EEDaS1K_S1L_EUlS1K_E_NS1_11comp_targetILNS1_3genE5ELNS1_11target_archE942ELNS1_3gpuE9ELNS1_3repE0EEENS1_30default_config_static_selectorELNS0_4arch9wavefront6targetE1EEEvSY_,comdat
.Lfunc_end1188:
	.size	_ZN7rocprim17ROCPRIM_400000_NS6detail17trampoline_kernelINS0_13select_configILj256ELj13ELNS0_17block_load_methodE3ELS4_3ELS4_3ELNS0_20block_scan_algorithmE0ELj4294967295EEENS1_25partition_config_selectorILNS1_17partition_subalgoE3EjNS0_10empty_typeEbEEZZNS1_14partition_implILS8_3ELb0ES6_jNS0_17counting_iteratorIjlEEPS9_SE_NS0_5tupleIJPjSE_EEENSF_IJSE_SE_EEES9_SG_JZNS1_25segmented_radix_sort_implINS0_14default_configELb0EPKdPdPKlPlN2at6native12_GLOBAL__N_18offset_tEEE10hipError_tPvRmT1_PNSt15iterator_traitsISY_E10value_typeET2_T3_PNSZ_IS14_E10value_typeET4_jRbjT5_S1A_jjP12ihipStream_tbEUljE_EEESV_SW_SX_S14_S18_S1A_T6_T7_T9_mT8_S1C_bDpT10_ENKUlT_T0_E_clISt17integral_constantIbLb0EES1P_EEDaS1K_S1L_EUlS1K_E_NS1_11comp_targetILNS1_3genE5ELNS1_11target_archE942ELNS1_3gpuE9ELNS1_3repE0EEENS1_30default_config_static_selectorELNS0_4arch9wavefront6targetE1EEEvSY_, .Lfunc_end1188-_ZN7rocprim17ROCPRIM_400000_NS6detail17trampoline_kernelINS0_13select_configILj256ELj13ELNS0_17block_load_methodE3ELS4_3ELS4_3ELNS0_20block_scan_algorithmE0ELj4294967295EEENS1_25partition_config_selectorILNS1_17partition_subalgoE3EjNS0_10empty_typeEbEEZZNS1_14partition_implILS8_3ELb0ES6_jNS0_17counting_iteratorIjlEEPS9_SE_NS0_5tupleIJPjSE_EEENSF_IJSE_SE_EEES9_SG_JZNS1_25segmented_radix_sort_implINS0_14default_configELb0EPKdPdPKlPlN2at6native12_GLOBAL__N_18offset_tEEE10hipError_tPvRmT1_PNSt15iterator_traitsISY_E10value_typeET2_T3_PNSZ_IS14_E10value_typeET4_jRbjT5_S1A_jjP12ihipStream_tbEUljE_EEESV_SW_SX_S14_S18_S1A_T6_T7_T9_mT8_S1C_bDpT10_ENKUlT_T0_E_clISt17integral_constantIbLb0EES1P_EEDaS1K_S1L_EUlS1K_E_NS1_11comp_targetILNS1_3genE5ELNS1_11target_archE942ELNS1_3gpuE9ELNS1_3repE0EEENS1_30default_config_static_selectorELNS0_4arch9wavefront6targetE1EEEvSY_
                                        ; -- End function
	.section	.AMDGPU.csdata,"",@progbits
; Kernel info:
; codeLenInByte = 0
; NumSgprs: 4
; NumVgprs: 0
; NumAgprs: 0
; TotalNumVgprs: 0
; ScratchSize: 0
; MemoryBound: 0
; FloatMode: 240
; IeeeMode: 1
; LDSByteSize: 0 bytes/workgroup (compile time only)
; SGPRBlocks: 0
; VGPRBlocks: 0
; NumSGPRsForWavesPerEU: 4
; NumVGPRsForWavesPerEU: 1
; AccumOffset: 4
; Occupancy: 8
; WaveLimiterHint : 0
; COMPUTE_PGM_RSRC2:SCRATCH_EN: 0
; COMPUTE_PGM_RSRC2:USER_SGPR: 6
; COMPUTE_PGM_RSRC2:TRAP_HANDLER: 0
; COMPUTE_PGM_RSRC2:TGID_X_EN: 1
; COMPUTE_PGM_RSRC2:TGID_Y_EN: 0
; COMPUTE_PGM_RSRC2:TGID_Z_EN: 0
; COMPUTE_PGM_RSRC2:TIDIG_COMP_CNT: 0
; COMPUTE_PGM_RSRC3_GFX90A:ACCUM_OFFSET: 0
; COMPUTE_PGM_RSRC3_GFX90A:TG_SPLIT: 0
	.section	.text._ZN7rocprim17ROCPRIM_400000_NS6detail17trampoline_kernelINS0_13select_configILj256ELj13ELNS0_17block_load_methodE3ELS4_3ELS4_3ELNS0_20block_scan_algorithmE0ELj4294967295EEENS1_25partition_config_selectorILNS1_17partition_subalgoE3EjNS0_10empty_typeEbEEZZNS1_14partition_implILS8_3ELb0ES6_jNS0_17counting_iteratorIjlEEPS9_SE_NS0_5tupleIJPjSE_EEENSF_IJSE_SE_EEES9_SG_JZNS1_25segmented_radix_sort_implINS0_14default_configELb0EPKdPdPKlPlN2at6native12_GLOBAL__N_18offset_tEEE10hipError_tPvRmT1_PNSt15iterator_traitsISY_E10value_typeET2_T3_PNSZ_IS14_E10value_typeET4_jRbjT5_S1A_jjP12ihipStream_tbEUljE_EEESV_SW_SX_S14_S18_S1A_T6_T7_T9_mT8_S1C_bDpT10_ENKUlT_T0_E_clISt17integral_constantIbLb0EES1P_EEDaS1K_S1L_EUlS1K_E_NS1_11comp_targetILNS1_3genE4ELNS1_11target_archE910ELNS1_3gpuE8ELNS1_3repE0EEENS1_30default_config_static_selectorELNS0_4arch9wavefront6targetE1EEEvSY_,"axG",@progbits,_ZN7rocprim17ROCPRIM_400000_NS6detail17trampoline_kernelINS0_13select_configILj256ELj13ELNS0_17block_load_methodE3ELS4_3ELS4_3ELNS0_20block_scan_algorithmE0ELj4294967295EEENS1_25partition_config_selectorILNS1_17partition_subalgoE3EjNS0_10empty_typeEbEEZZNS1_14partition_implILS8_3ELb0ES6_jNS0_17counting_iteratorIjlEEPS9_SE_NS0_5tupleIJPjSE_EEENSF_IJSE_SE_EEES9_SG_JZNS1_25segmented_radix_sort_implINS0_14default_configELb0EPKdPdPKlPlN2at6native12_GLOBAL__N_18offset_tEEE10hipError_tPvRmT1_PNSt15iterator_traitsISY_E10value_typeET2_T3_PNSZ_IS14_E10value_typeET4_jRbjT5_S1A_jjP12ihipStream_tbEUljE_EEESV_SW_SX_S14_S18_S1A_T6_T7_T9_mT8_S1C_bDpT10_ENKUlT_T0_E_clISt17integral_constantIbLb0EES1P_EEDaS1K_S1L_EUlS1K_E_NS1_11comp_targetILNS1_3genE4ELNS1_11target_archE910ELNS1_3gpuE8ELNS1_3repE0EEENS1_30default_config_static_selectorELNS0_4arch9wavefront6targetE1EEEvSY_,comdat
	.globl	_ZN7rocprim17ROCPRIM_400000_NS6detail17trampoline_kernelINS0_13select_configILj256ELj13ELNS0_17block_load_methodE3ELS4_3ELS4_3ELNS0_20block_scan_algorithmE0ELj4294967295EEENS1_25partition_config_selectorILNS1_17partition_subalgoE3EjNS0_10empty_typeEbEEZZNS1_14partition_implILS8_3ELb0ES6_jNS0_17counting_iteratorIjlEEPS9_SE_NS0_5tupleIJPjSE_EEENSF_IJSE_SE_EEES9_SG_JZNS1_25segmented_radix_sort_implINS0_14default_configELb0EPKdPdPKlPlN2at6native12_GLOBAL__N_18offset_tEEE10hipError_tPvRmT1_PNSt15iterator_traitsISY_E10value_typeET2_T3_PNSZ_IS14_E10value_typeET4_jRbjT5_S1A_jjP12ihipStream_tbEUljE_EEESV_SW_SX_S14_S18_S1A_T6_T7_T9_mT8_S1C_bDpT10_ENKUlT_T0_E_clISt17integral_constantIbLb0EES1P_EEDaS1K_S1L_EUlS1K_E_NS1_11comp_targetILNS1_3genE4ELNS1_11target_archE910ELNS1_3gpuE8ELNS1_3repE0EEENS1_30default_config_static_selectorELNS0_4arch9wavefront6targetE1EEEvSY_ ; -- Begin function _ZN7rocprim17ROCPRIM_400000_NS6detail17trampoline_kernelINS0_13select_configILj256ELj13ELNS0_17block_load_methodE3ELS4_3ELS4_3ELNS0_20block_scan_algorithmE0ELj4294967295EEENS1_25partition_config_selectorILNS1_17partition_subalgoE3EjNS0_10empty_typeEbEEZZNS1_14partition_implILS8_3ELb0ES6_jNS0_17counting_iteratorIjlEEPS9_SE_NS0_5tupleIJPjSE_EEENSF_IJSE_SE_EEES9_SG_JZNS1_25segmented_radix_sort_implINS0_14default_configELb0EPKdPdPKlPlN2at6native12_GLOBAL__N_18offset_tEEE10hipError_tPvRmT1_PNSt15iterator_traitsISY_E10value_typeET2_T3_PNSZ_IS14_E10value_typeET4_jRbjT5_S1A_jjP12ihipStream_tbEUljE_EEESV_SW_SX_S14_S18_S1A_T6_T7_T9_mT8_S1C_bDpT10_ENKUlT_T0_E_clISt17integral_constantIbLb0EES1P_EEDaS1K_S1L_EUlS1K_E_NS1_11comp_targetILNS1_3genE4ELNS1_11target_archE910ELNS1_3gpuE8ELNS1_3repE0EEENS1_30default_config_static_selectorELNS0_4arch9wavefront6targetE1EEEvSY_
	.p2align	8
	.type	_ZN7rocprim17ROCPRIM_400000_NS6detail17trampoline_kernelINS0_13select_configILj256ELj13ELNS0_17block_load_methodE3ELS4_3ELS4_3ELNS0_20block_scan_algorithmE0ELj4294967295EEENS1_25partition_config_selectorILNS1_17partition_subalgoE3EjNS0_10empty_typeEbEEZZNS1_14partition_implILS8_3ELb0ES6_jNS0_17counting_iteratorIjlEEPS9_SE_NS0_5tupleIJPjSE_EEENSF_IJSE_SE_EEES9_SG_JZNS1_25segmented_radix_sort_implINS0_14default_configELb0EPKdPdPKlPlN2at6native12_GLOBAL__N_18offset_tEEE10hipError_tPvRmT1_PNSt15iterator_traitsISY_E10value_typeET2_T3_PNSZ_IS14_E10value_typeET4_jRbjT5_S1A_jjP12ihipStream_tbEUljE_EEESV_SW_SX_S14_S18_S1A_T6_T7_T9_mT8_S1C_bDpT10_ENKUlT_T0_E_clISt17integral_constantIbLb0EES1P_EEDaS1K_S1L_EUlS1K_E_NS1_11comp_targetILNS1_3genE4ELNS1_11target_archE910ELNS1_3gpuE8ELNS1_3repE0EEENS1_30default_config_static_selectorELNS0_4arch9wavefront6targetE1EEEvSY_,@function
_ZN7rocprim17ROCPRIM_400000_NS6detail17trampoline_kernelINS0_13select_configILj256ELj13ELNS0_17block_load_methodE3ELS4_3ELS4_3ELNS0_20block_scan_algorithmE0ELj4294967295EEENS1_25partition_config_selectorILNS1_17partition_subalgoE3EjNS0_10empty_typeEbEEZZNS1_14partition_implILS8_3ELb0ES6_jNS0_17counting_iteratorIjlEEPS9_SE_NS0_5tupleIJPjSE_EEENSF_IJSE_SE_EEES9_SG_JZNS1_25segmented_radix_sort_implINS0_14default_configELb0EPKdPdPKlPlN2at6native12_GLOBAL__N_18offset_tEEE10hipError_tPvRmT1_PNSt15iterator_traitsISY_E10value_typeET2_T3_PNSZ_IS14_E10value_typeET4_jRbjT5_S1A_jjP12ihipStream_tbEUljE_EEESV_SW_SX_S14_S18_S1A_T6_T7_T9_mT8_S1C_bDpT10_ENKUlT_T0_E_clISt17integral_constantIbLb0EES1P_EEDaS1K_S1L_EUlS1K_E_NS1_11comp_targetILNS1_3genE4ELNS1_11target_archE910ELNS1_3gpuE8ELNS1_3repE0EEENS1_30default_config_static_selectorELNS0_4arch9wavefront6targetE1EEEvSY_: ; @_ZN7rocprim17ROCPRIM_400000_NS6detail17trampoline_kernelINS0_13select_configILj256ELj13ELNS0_17block_load_methodE3ELS4_3ELS4_3ELNS0_20block_scan_algorithmE0ELj4294967295EEENS1_25partition_config_selectorILNS1_17partition_subalgoE3EjNS0_10empty_typeEbEEZZNS1_14partition_implILS8_3ELb0ES6_jNS0_17counting_iteratorIjlEEPS9_SE_NS0_5tupleIJPjSE_EEENSF_IJSE_SE_EEES9_SG_JZNS1_25segmented_radix_sort_implINS0_14default_configELb0EPKdPdPKlPlN2at6native12_GLOBAL__N_18offset_tEEE10hipError_tPvRmT1_PNSt15iterator_traitsISY_E10value_typeET2_T3_PNSZ_IS14_E10value_typeET4_jRbjT5_S1A_jjP12ihipStream_tbEUljE_EEESV_SW_SX_S14_S18_S1A_T6_T7_T9_mT8_S1C_bDpT10_ENKUlT_T0_E_clISt17integral_constantIbLb0EES1P_EEDaS1K_S1L_EUlS1K_E_NS1_11comp_targetILNS1_3genE4ELNS1_11target_archE910ELNS1_3gpuE8ELNS1_3repE0EEENS1_30default_config_static_selectorELNS0_4arch9wavefront6targetE1EEEvSY_
; %bb.0:
	s_load_dwordx2 s[26:27], s[4:5], 0x58
	s_load_dwordx4 s[20:23], s[4:5], 0x48
	s_load_dword s13, s[4:5], 0x8
	s_load_dwordx2 s[28:29], s[4:5], 0x10
	s_load_dword s12, s[4:5], 0x70
	s_load_dword s7, s[4:5], 0x88
	s_load_dwordx4 s[8:11], s[4:5], 0x78
	s_waitcnt lgkmcnt(0)
	s_load_dwordx2 s[30:31], s[22:23], 0x0
	v_pk_mov_b32 v[2:3], s[26:27], s[26:27] op_sel:[0,1]
	s_add_i32 s2, s12, -1
	s_mulk_i32 s12, 0xd00
	s_add_u32 s0, s28, s12
	s_addc_u32 s1, s29, 0
	s_cmp_eq_u32 s6, s2
	s_cselect_b64 s[22:23], -1, 0
	s_cmp_lg_u32 s6, s2
	s_mul_i32 s42, s6, 0xd00
	v_cmp_lt_u64_e32 vcc, s[0:1], v[2:3]
	s_cselect_b64 s[0:1], -1, 0
	s_or_b64 s[2:3], s[0:1], vcc
	s_add_i32 s0, s13, s42
	s_add_i32 s0, s0, s28
	v_add_u32_e32 v2, s0, v0
	s_mov_b64 s[0:1], -1
	s_and_b64 vcc, exec, s[2:3]
	v_lshlrev_b32_e32 v1, 2, v0
	s_cbranch_vccz .LBB1189_2
; %bb.1:
	v_add_u32_e32 v3, 0x100, v2
	v_add_u32_e32 v4, 0x200, v2
	;; [unrolled: 1-line block ×12, first 2 shown]
	ds_write2st64_b32 v1, v2, v3 offset1:4
	ds_write2st64_b32 v1, v4, v5 offset0:8 offset1:12
	ds_write2st64_b32 v1, v6, v7 offset0:16 offset1:20
	;; [unrolled: 1-line block ×5, first 2 shown]
	ds_write_b32 v1, v14 offset:12288
	s_waitcnt lgkmcnt(0)
	s_barrier
	s_mov_b64 s[0:1], 0
.LBB1189_2:
	s_andn2_b64 vcc, exec, s[0:1]
	s_add_i32 s12, s12, s28
	s_cbranch_vccnz .LBB1189_4
; %bb.3:
	v_add_u32_e32 v3, 0x100, v2
	v_add_u32_e32 v4, 0x200, v2
	;; [unrolled: 1-line block ×12, first 2 shown]
	ds_write2st64_b32 v1, v2, v3 offset1:4
	ds_write2st64_b32 v1, v4, v5 offset0:8 offset1:12
	ds_write2st64_b32 v1, v6, v7 offset0:16 offset1:20
	;; [unrolled: 1-line block ×5, first 2 shown]
	ds_write_b32 v1, v14 offset:12288
	s_waitcnt lgkmcnt(0)
	s_barrier
.LBB1189_4:
	v_mul_u32_u24_e32 v33, 13, v0
	v_lshlrev_b32_e32 v2, 2, v33
	s_waitcnt lgkmcnt(0)
	ds_read2_b32 v[30:31], v2 offset1:1
	ds_read2_b32 v[28:29], v2 offset0:2 offset1:3
	ds_read2_b32 v[26:27], v2 offset0:4 offset1:5
	ds_read2_b32 v[24:25], v2 offset0:6 offset1:7
	ds_read2_b32 v[22:23], v2 offset0:8 offset1:9
	ds_read2_b32 v[20:21], v2 offset0:10 offset1:11
	ds_read_b32 v32, v2 offset:48
	v_cndmask_b32_e64 v2, 0, 1, s[2:3]
	s_sub_i32 s33, s26, s12
	v_cmp_ne_u32_e64 s[0:1], 1, v2
	s_andn2_b64 vcc, exec, s[2:3]
	s_waitcnt lgkmcnt(0)
	s_barrier
	s_cbranch_vccnz .LBB1189_6
; %bb.5:
	v_add_u32_e32 v2, s9, v30
	v_add_u32_e32 v3, s11, v30
	v_mul_lo_u32 v2, v2, s8
	v_mul_lo_u32 v3, v3, s10
	v_sub_u32_e32 v2, v2, v3
	v_add_u32_e32 v3, s9, v31
	v_add_u32_e32 v4, s11, v31
	v_mul_lo_u32 v3, v3, s8
	v_mul_lo_u32 v4, v4, s10
	v_sub_u32_e32 v3, v3, v4
	;; [unrolled: 5-line block ×6, first 2 shown]
	v_add_u32_e32 v8, s9, v24
	v_add_u32_e32 v9, s11, v24
	v_mul_lo_u32 v8, v8, s8
	v_mul_lo_u32 v9, v9, s10
	v_cmp_lt_u32_e32 vcc, s7, v2
	v_sub_u32_e32 v8, v8, v9
	v_add_u32_e32 v9, s9, v25
	v_add_u32_e32 v10, s11, v25
	v_cndmask_b32_e64 v2, 0, 1, vcc
	v_cmp_lt_u32_e32 vcc, s7, v3
	v_mul_lo_u32 v9, v9, s8
	v_mul_lo_u32 v10, v10, s10
	v_cndmask_b32_e64 v3, 0, 1, vcc
	v_cmp_lt_u32_e32 vcc, s7, v4
	v_sub_u32_e32 v9, v9, v10
	v_add_u32_e32 v10, s9, v22
	v_add_u32_e32 v11, s11, v22
	v_cndmask_b32_e64 v4, 0, 1, vcc
	v_cmp_lt_u32_e32 vcc, s7, v5
	v_mul_lo_u32 v10, v10, s8
	v_mul_lo_u32 v11, v11, s10
	v_cndmask_b32_e64 v5, 0, 1, vcc
	;; [unrolled: 9-line block ×4, first 2 shown]
	v_cmp_lt_u32_e32 vcc, s7, v10
	v_sub_u32_e32 v12, v12, v13
	v_add_u32_e32 v13, s9, v21
	v_add_u32_e32 v14, s11, v21
	v_lshlrev_b16_e32 v3, 8, v3
	v_cndmask_b32_e64 v10, 0, 1, vcc
	v_cmp_lt_u32_e32 vcc, s7, v11
	v_mul_lo_u32 v13, v13, s8
	v_mul_lo_u32 v14, v14, s10
	v_or_b32_e32 v2, v2, v3
	v_lshlrev_b16_e32 v3, 8, v5
	v_cndmask_b32_e64 v11, 0, 1, vcc
	v_cmp_lt_u32_e32 vcc, s7, v12
	v_sub_u32_e32 v13, v13, v14
	v_or_b32_sdwa v3, v4, v3 dst_sel:WORD_1 dst_unused:UNUSED_PAD src0_sel:DWORD src1_sel:DWORD
	v_cndmask_b32_e64 v12, 0, 1, vcc
	v_cmp_lt_u32_e32 vcc, s7, v13
	v_add_u32_e32 v14, s9, v32
	v_add_u32_e32 v15, s11, v32
	v_or_b32_sdwa v37, v2, v3 dst_sel:DWORD dst_unused:UNUSED_PAD src0_sel:WORD_0 src1_sel:DWORD
	v_lshlrev_b16_e32 v2, 8, v7
	v_lshlrev_b16_e32 v3, 8, v9
	v_cndmask_b32_e64 v13, 0, 1, vcc
	v_mul_lo_u32 v14, v14, s8
	v_mul_lo_u32 v15, v15, s10
	v_or_b32_e32 v2, v6, v2
	v_or_b32_sdwa v3, v8, v3 dst_sel:WORD_1 dst_unused:UNUSED_PAD src0_sel:DWORD src1_sel:DWORD
	v_sub_u32_e32 v14, v14, v15
	v_or_b32_sdwa v36, v2, v3 dst_sel:DWORD dst_unused:UNUSED_PAD src0_sel:WORD_0 src1_sel:DWORD
	v_lshlrev_b16_e32 v2, 8, v11
	v_lshlrev_b16_e32 v3, 8, v13
	v_cmp_lt_u32_e32 vcc, s7, v14
	v_or_b32_e32 v2, v10, v2
	v_or_b32_sdwa v3, v12, v3 dst_sel:WORD_1 dst_unused:UNUSED_PAD src0_sel:DWORD src1_sel:DWORD
	v_cndmask_b32_e64 v34, 0, 1, vcc
	v_or_b32_sdwa v35, v2, v3 dst_sel:DWORD dst_unused:UNUSED_PAD src0_sel:WORD_0 src1_sel:DWORD
	s_mov_b64 s[2:3], 0
	s_branch .LBB1189_7
.LBB1189_6:
	s_mov_b64 s[2:3], -1
                                        ; implicit-def: $vgpr34
                                        ; implicit-def: $vgpr35
                                        ; implicit-def: $vgpr36
                                        ; implicit-def: $vgpr37
.LBB1189_7:
	s_load_dwordx2 s[24:25], s[4:5], 0x28
	s_load_dwordx2 s[34:35], s[4:5], 0x68
	s_andn2_b64 vcc, exec, s[2:3]
	s_addk_i32 s33, 0xd00
	s_cbranch_vccnz .LBB1189_35
; %bb.8:
	v_cmp_gt_u32_e32 vcc, s33, v33
	v_mov_b32_e32 v3, 0
	v_mov_b32_e32 v2, 0
	s_and_saveexec_b64 s[2:3], vcc
; %bb.9:
	v_add_u32_e32 v2, s9, v30
	v_add_u32_e32 v4, s11, v30
	v_mul_lo_u32 v2, v2, s8
	v_mul_lo_u32 v4, v4, s10
	v_sub_u32_e32 v2, v2, v4
	v_cmp_lt_u32_e32 vcc, s7, v2
	v_cndmask_b32_e64 v2, 0, 1, vcc
; %bb.10:
	s_or_b64 exec, exec, s[2:3]
	v_add_u32_e32 v4, 1, v33
	v_cmp_gt_u32_e32 vcc, s33, v4
	s_and_saveexec_b64 s[2:3], vcc
; %bb.11:
	v_add_u32_e32 v3, s9, v31
	v_add_u32_e32 v4, s11, v31
	v_mul_lo_u32 v3, v3, s8
	v_mul_lo_u32 v4, v4, s10
	v_sub_u32_e32 v3, v3, v4
	v_cmp_lt_u32_e32 vcc, s7, v3
	v_cndmask_b32_e64 v3, 0, 1, vcc
; %bb.12:
	s_or_b64 exec, exec, s[2:3]
	v_add_u32_e32 v4, 2, v33
	v_cmp_gt_u32_e32 vcc, s33, v4
	v_mov_b32_e32 v5, 0
	v_mov_b32_e32 v4, 0
	s_and_saveexec_b64 s[2:3], vcc
; %bb.13:
	v_add_u32_e32 v4, s9, v28
	v_add_u32_e32 v6, s11, v28
	v_mul_lo_u32 v4, v4, s8
	v_mul_lo_u32 v6, v6, s10
	v_sub_u32_e32 v4, v4, v6
	v_cmp_lt_u32_e32 vcc, s7, v4
	v_cndmask_b32_e64 v4, 0, 1, vcc
; %bb.14:
	s_or_b64 exec, exec, s[2:3]
	v_add_u32_e32 v6, 3, v33
	v_cmp_gt_u32_e32 vcc, s33, v6
	s_and_saveexec_b64 s[2:3], vcc
; %bb.15:
	v_add_u32_e32 v5, s9, v29
	v_add_u32_e32 v6, s11, v29
	v_mul_lo_u32 v5, v5, s8
	v_mul_lo_u32 v6, v6, s10
	v_sub_u32_e32 v5, v5, v6
	v_cmp_lt_u32_e32 vcc, s7, v5
	v_cndmask_b32_e64 v5, 0, 1, vcc
; %bb.16:
	s_or_b64 exec, exec, s[2:3]
	v_add_u32_e32 v6, 4, v33
	;; [unrolled: 28-line block ×6, first 2 shown]
	v_cmp_gt_u32_e32 vcc, s33, v14
	v_mov_b32_e32 v34, 0
	s_and_saveexec_b64 s[2:3], vcc
; %bb.33:
	v_add_u32_e32 v14, s9, v32
	v_add_u32_e32 v15, s11, v32
	v_mul_lo_u32 v14, v14, s8
	v_mul_lo_u32 v15, v15, s10
	v_sub_u32_e32 v14, v14, v15
	v_cmp_lt_u32_e32 vcc, s7, v14
	v_cndmask_b32_e64 v34, 0, 1, vcc
; %bb.34:
	s_or_b64 exec, exec, s[2:3]
	v_lshlrev_b16_e32 v3, 8, v3
	v_or_b32_e32 v2, v2, v3
	v_lshlrev_b16_e32 v3, 8, v5
	v_or_b32_sdwa v3, v4, v3 dst_sel:WORD_1 dst_unused:UNUSED_PAD src0_sel:DWORD src1_sel:DWORD
	v_or_b32_sdwa v37, v2, v3 dst_sel:DWORD dst_unused:UNUSED_PAD src0_sel:WORD_0 src1_sel:DWORD
	v_lshlrev_b16_e32 v2, 8, v7
	v_lshlrev_b16_e32 v3, 8, v9
	v_or_b32_e32 v2, v6, v2
	v_or_b32_sdwa v3, v8, v3 dst_sel:WORD_1 dst_unused:UNUSED_PAD src0_sel:DWORD src1_sel:DWORD
	v_or_b32_sdwa v36, v2, v3 dst_sel:DWORD dst_unused:UNUSED_PAD src0_sel:WORD_0 src1_sel:DWORD
	v_lshlrev_b16_e32 v2, 8, v11
	v_lshlrev_b16_e32 v3, 8, v13
	v_or_b32_e32 v2, v10, v2
	v_or_b32_sdwa v3, v12, v3 dst_sel:WORD_1 dst_unused:UNUSED_PAD src0_sel:DWORD src1_sel:DWORD
	v_or_b32_sdwa v35, v2, v3 dst_sel:DWORD dst_unused:UNUSED_PAD src0_sel:WORD_0 src1_sel:DWORD
.LBB1189_35:
	v_and_b32_e32 v41, 0xff, v37
	v_bfe_u32 v42, v37, 8, 8
	v_bfe_u32 v43, v37, 16, 8
	v_lshrrev_b32_e32 v40, 24, v37
	v_and_b32_e32 v44, 0xff, v36
	v_add3_u32 v3, v42, v41, v43
	v_bfe_u32 v45, v36, 8, 8
	v_bfe_u32 v46, v36, 16, 8
	v_add3_u32 v3, v3, v40, v44
	v_lshrrev_b32_e32 v39, 24, v36
	v_and_b32_e32 v47, 0xff, v35
	v_add3_u32 v3, v3, v45, v46
	v_bfe_u32 v48, v35, 8, 8
	v_bfe_u32 v49, v35, 16, 8
	v_add3_u32 v3, v3, v39, v47
	v_lshrrev_b32_e32 v38, 24, v35
	v_and_b32_e32 v2, 0xff, v34
	v_add3_u32 v3, v3, v48, v49
	v_add3_u32 v52, v3, v38, v2
	v_mbcnt_lo_u32_b32 v2, -1, 0
	v_mbcnt_hi_u32_b32 v50, -1, v2
	v_and_b32_e32 v2, 15, v50
	v_cmp_eq_u32_e64 s[14:15], 0, v2
	v_cmp_lt_u32_e64 s[12:13], 1, v2
	v_cmp_lt_u32_e64 s[10:11], 3, v2
	;; [unrolled: 1-line block ×3, first 2 shown]
	v_and_b32_e32 v2, 16, v50
	v_cmp_eq_u32_e64 s[18:19], 0, v2
	v_or_b32_e32 v2, 63, v0
	s_cmp_lg_u32 s6, 0
	v_cmp_lt_u32_e64 s[2:3], 31, v50
	v_lshrrev_b32_e32 v51, 6, v0
	v_cmp_eq_u32_e64 s[4:5], v2, v0
	s_cbranch_scc0 .LBB1189_62
; %bb.36:
	v_mov_b32_dpp v2, v52 row_shr:1 row_mask:0xf bank_mask:0xf
	v_cndmask_b32_e64 v2, v2, 0, s[14:15]
	v_add_u32_e32 v2, v2, v52
	s_nop 1
	v_mov_b32_dpp v3, v2 row_shr:2 row_mask:0xf bank_mask:0xf
	v_cndmask_b32_e64 v3, 0, v3, s[12:13]
	v_add_u32_e32 v2, v2, v3
	s_nop 1
	;; [unrolled: 4-line block ×4, first 2 shown]
	v_mov_b32_dpp v3, v2 row_bcast:15 row_mask:0xf bank_mask:0xf
	v_cndmask_b32_e64 v3, v3, 0, s[18:19]
	v_add_u32_e32 v2, v2, v3
	s_nop 1
	v_mov_b32_dpp v3, v2 row_bcast:31 row_mask:0xf bank_mask:0xf
	v_cndmask_b32_e64 v3, 0, v3, s[2:3]
	v_add_u32_e32 v2, v2, v3
	s_and_saveexec_b64 s[16:17], s[4:5]
	s_cbranch_execz .LBB1189_38
; %bb.37:
	v_lshlrev_b32_e32 v3, 2, v51
	ds_write_b32 v3, v2
.LBB1189_38:
	s_or_b64 exec, exec, s[16:17]
	v_cmp_gt_u32_e32 vcc, 4, v0
	s_waitcnt lgkmcnt(0)
	s_barrier
	s_and_saveexec_b64 s[16:17], vcc
	s_cbranch_execz .LBB1189_40
; %bb.39:
	ds_read_b32 v3, v1
	v_and_b32_e32 v4, 3, v50
	v_cmp_ne_u32_e32 vcc, 0, v4
	s_waitcnt lgkmcnt(0)
	v_mov_b32_dpp v5, v3 row_shr:1 row_mask:0xf bank_mask:0xf
	v_cndmask_b32_e32 v5, 0, v5, vcc
	v_add_u32_e32 v3, v5, v3
	v_cmp_lt_u32_e32 vcc, 1, v4
	s_nop 0
	v_mov_b32_dpp v5, v3 row_shr:2 row_mask:0xf bank_mask:0xf
	v_cndmask_b32_e32 v4, 0, v5, vcc
	v_add_u32_e32 v3, v3, v4
	ds_write_b32 v1, v3
.LBB1189_40:
	s_or_b64 exec, exec, s[16:17]
	v_cmp_gt_u32_e32 vcc, 64, v0
	v_cmp_lt_u32_e64 s[16:17], 63, v0
	s_waitcnt lgkmcnt(0)
	s_barrier
	s_waitcnt lgkmcnt(0)
                                        ; implicit-def: $vgpr12
	s_and_saveexec_b64 s[36:37], s[16:17]
	s_cbranch_execz .LBB1189_42
; %bb.41:
	v_lshl_add_u32 v3, v51, 2, -4
	ds_read_b32 v12, v3
	s_waitcnt lgkmcnt(0)
	v_add_u32_e32 v2, v12, v2
.LBB1189_42:
	s_or_b64 exec, exec, s[36:37]
	v_add_u32_e32 v3, -1, v50
	v_and_b32_e32 v4, 64, v50
	v_cmp_lt_i32_e64 s[16:17], v3, v4
	v_cndmask_b32_e64 v3, v3, v50, s[16:17]
	v_lshlrev_b32_e32 v3, 2, v3
	ds_bpermute_b32 v13, v3, v2
	v_cmp_eq_u32_e64 s[16:17], 0, v50
	s_and_saveexec_b64 s[36:37], vcc
	s_cbranch_execz .LBB1189_61
; %bb.43:
	v_mov_b32_e32 v9, 0
	ds_read_b32 v2, v9 offset:12
	s_and_saveexec_b64 s[38:39], s[16:17]
	s_cbranch_execz .LBB1189_45
; %bb.44:
	s_add_i32 s40, s6, 64
	s_mov_b32 s41, 0
	s_lshl_b64 s[40:41], s[40:41], 3
	s_add_u32 s40, s34, s40
	v_mov_b32_e32 v3, 1
	s_addc_u32 s41, s35, s41
	s_waitcnt lgkmcnt(0)
	global_store_dwordx2 v9, v[2:3], s[40:41]
.LBB1189_45:
	s_or_b64 exec, exec, s[38:39]
	v_xad_u32 v4, v50, -1, s6
	v_add_u32_e32 v8, 64, v4
	v_lshlrev_b64 v[6:7], 3, v[8:9]
	v_mov_b32_e32 v3, s35
	v_add_co_u32_e32 v10, vcc, s34, v6
	v_addc_co_u32_e32 v11, vcc, v3, v7, vcc
	global_load_dwordx2 v[6:7], v[10:11], off glc
	s_waitcnt vmcnt(0)
	v_cmp_eq_u16_sdwa s[40:41], v7, v9 src0_sel:BYTE_0 src1_sel:DWORD
	s_and_saveexec_b64 s[38:39], s[40:41]
	s_cbranch_execz .LBB1189_49
; %bb.46:
	s_mov_b64 s[40:41], 0
	v_mov_b32_e32 v3, 0
.LBB1189_47:                            ; =>This Inner Loop Header: Depth=1
	global_load_dwordx2 v[6:7], v[10:11], off glc
	s_waitcnt vmcnt(0)
	v_cmp_ne_u16_sdwa s[44:45], v7, v3 src0_sel:BYTE_0 src1_sel:DWORD
	s_or_b64 s[40:41], s[44:45], s[40:41]
	s_andn2_b64 exec, exec, s[40:41]
	s_cbranch_execnz .LBB1189_47
; %bb.48:
	s_or_b64 exec, exec, s[40:41]
.LBB1189_49:
	s_or_b64 exec, exec, s[38:39]
	v_and_b32_e32 v14, 63, v50
	v_mov_b32_e32 v3, 2
	v_cmp_ne_u32_e32 vcc, 63, v14
	v_cmp_eq_u16_sdwa s[38:39], v7, v3 src0_sel:BYTE_0 src1_sel:DWORD
	v_lshlrev_b64 v[8:9], v50, -1
	v_addc_co_u32_e32 v11, vcc, 0, v50, vcc
	v_and_b32_e32 v5, s39, v9
	v_lshlrev_b32_e32 v15, 2, v11
	v_or_b32_e32 v5, 0x80000000, v5
	ds_bpermute_b32 v11, v15, v6
	v_and_b32_e32 v10, s38, v8
	v_ffbl_b32_e32 v5, v5
	v_add_u32_e32 v5, 32, v5
	v_ffbl_b32_e32 v10, v10
	v_min_u32_e32 v5, v10, v5
	v_cmp_lt_u32_e32 vcc, v14, v5
	s_waitcnt lgkmcnt(0)
	v_cndmask_b32_e32 v10, 0, v11, vcc
	v_cmp_gt_u32_e32 vcc, 62, v14
	v_add_u32_e32 v6, v10, v6
	v_cndmask_b32_e64 v10, 0, 1, vcc
	v_lshlrev_b32_e32 v10, 1, v10
	v_add_lshl_u32 v16, v10, v50, 2
	ds_bpermute_b32 v10, v16, v6
	v_add_u32_e32 v17, 2, v14
	v_cmp_le_u32_e32 vcc, v17, v5
	v_add_u32_e32 v19, 4, v14
	v_add_u32_e32 v54, 8, v14
	s_waitcnt lgkmcnt(0)
	v_cndmask_b32_e32 v10, 0, v10, vcc
	v_cmp_gt_u32_e32 vcc, 60, v14
	v_add_u32_e32 v6, v6, v10
	v_cndmask_b32_e64 v10, 0, 1, vcc
	v_lshlrev_b32_e32 v10, 2, v10
	v_add_lshl_u32 v18, v10, v50, 2
	ds_bpermute_b32 v10, v18, v6
	v_cmp_le_u32_e32 vcc, v19, v5
	v_add_u32_e32 v57, 16, v14
	v_add_u32_e32 v59, 32, v14
	s_waitcnt lgkmcnt(0)
	v_cndmask_b32_e32 v10, 0, v10, vcc
	v_cmp_gt_u32_e32 vcc, 56, v14
	v_add_u32_e32 v6, v6, v10
	v_cndmask_b32_e64 v10, 0, 1, vcc
	v_lshlrev_b32_e32 v10, 3, v10
	v_add_lshl_u32 v53, v10, v50, 2
	ds_bpermute_b32 v10, v53, v6
	v_cmp_le_u32_e32 vcc, v54, v5
	s_waitcnt lgkmcnt(0)
	v_cndmask_b32_e32 v10, 0, v10, vcc
	v_cmp_gt_u32_e32 vcc, 48, v14
	v_add_u32_e32 v6, v6, v10
	v_cndmask_b32_e64 v10, 0, 1, vcc
	v_lshlrev_b32_e32 v10, 4, v10
	v_add_lshl_u32 v56, v10, v50, 2
	ds_bpermute_b32 v10, v56, v6
	v_cmp_le_u32_e32 vcc, v57, v5
	;; [unrolled: 9-line block ×3, first 2 shown]
	s_waitcnt lgkmcnt(0)
	v_cndmask_b32_e32 v5, 0, v10, vcc
	v_add_u32_e32 v6, v6, v5
	v_mov_b32_e32 v5, 0
	s_branch .LBB1189_51
.LBB1189_50:                            ;   in Loop: Header=BB1189_51 Depth=1
	s_or_b64 exec, exec, s[38:39]
	v_cmp_eq_u16_sdwa s[38:39], v7, v3 src0_sel:BYTE_0 src1_sel:DWORD
	v_and_b32_e32 v10, s39, v9
	v_or_b32_e32 v10, 0x80000000, v10
	ds_bpermute_b32 v60, v15, v6
	v_and_b32_e32 v11, s38, v8
	v_ffbl_b32_e32 v10, v10
	v_add_u32_e32 v10, 32, v10
	v_ffbl_b32_e32 v11, v11
	v_min_u32_e32 v10, v11, v10
	v_cmp_lt_u32_e32 vcc, v14, v10
	s_waitcnt lgkmcnt(0)
	v_cndmask_b32_e32 v11, 0, v60, vcc
	v_add_u32_e32 v6, v11, v6
	ds_bpermute_b32 v11, v16, v6
	v_cmp_le_u32_e32 vcc, v17, v10
	v_subrev_u32_e32 v4, 64, v4
	s_waitcnt lgkmcnt(0)
	v_cndmask_b32_e32 v11, 0, v11, vcc
	v_add_u32_e32 v6, v6, v11
	ds_bpermute_b32 v11, v18, v6
	v_cmp_le_u32_e32 vcc, v19, v10
	s_waitcnt lgkmcnt(0)
	v_cndmask_b32_e32 v11, 0, v11, vcc
	v_add_u32_e32 v6, v6, v11
	ds_bpermute_b32 v11, v53, v6
	v_cmp_le_u32_e32 vcc, v54, v10
	;; [unrolled: 5-line block ×4, first 2 shown]
	s_waitcnt lgkmcnt(0)
	v_cndmask_b32_e32 v10, 0, v11, vcc
	v_add3_u32 v6, v10, v55, v6
.LBB1189_51:                            ; =>This Loop Header: Depth=1
                                        ;     Child Loop BB1189_54 Depth 2
	v_cmp_ne_u16_sdwa s[38:39], v7, v3 src0_sel:BYTE_0 src1_sel:DWORD
	v_cndmask_b32_e64 v7, 0, 1, s[38:39]
	;;#ASMSTART
	;;#ASMEND
	v_cmp_ne_u32_e32 vcc, 0, v7
	s_cmp_lg_u64 vcc, exec
	v_mov_b32_e32 v55, v6
	s_cbranch_scc1 .LBB1189_56
; %bb.52:                               ;   in Loop: Header=BB1189_51 Depth=1
	v_lshlrev_b64 v[6:7], 3, v[4:5]
	v_mov_b32_e32 v11, s35
	v_add_co_u32_e32 v10, vcc, s34, v6
	v_addc_co_u32_e32 v11, vcc, v11, v7, vcc
	global_load_dwordx2 v[6:7], v[10:11], off glc
	s_waitcnt vmcnt(0)
	v_cmp_eq_u16_sdwa s[40:41], v7, v5 src0_sel:BYTE_0 src1_sel:DWORD
	s_and_saveexec_b64 s[38:39], s[40:41]
	s_cbranch_execz .LBB1189_50
; %bb.53:                               ;   in Loop: Header=BB1189_51 Depth=1
	s_mov_b64 s[40:41], 0
.LBB1189_54:                            ;   Parent Loop BB1189_51 Depth=1
                                        ; =>  This Inner Loop Header: Depth=2
	global_load_dwordx2 v[6:7], v[10:11], off glc
	s_waitcnt vmcnt(0)
	v_cmp_ne_u16_sdwa s[44:45], v7, v5 src0_sel:BYTE_0 src1_sel:DWORD
	s_or_b64 s[40:41], s[44:45], s[40:41]
	s_andn2_b64 exec, exec, s[40:41]
	s_cbranch_execnz .LBB1189_54
; %bb.55:                               ;   in Loop: Header=BB1189_51 Depth=1
	s_or_b64 exec, exec, s[40:41]
	s_branch .LBB1189_50
.LBB1189_56:                            ;   in Loop: Header=BB1189_51 Depth=1
                                        ; implicit-def: $vgpr6
                                        ; implicit-def: $vgpr7
	s_cbranch_execz .LBB1189_51
; %bb.57:
	s_and_saveexec_b64 s[38:39], s[16:17]
	s_cbranch_execz .LBB1189_59
; %bb.58:
	s_add_i32 s6, s6, 64
	s_mov_b32 s7, 0
	s_lshl_b64 s[6:7], s[6:7], 3
	s_add_u32 s6, s34, s6
	v_add_u32_e32 v4, v55, v2
	v_mov_b32_e32 v5, 2
	s_addc_u32 s7, s35, s7
	v_mov_b32_e32 v3, 0
	global_store_dwordx2 v3, v[4:5], s[6:7]
	s_movk_i32 s6, 0x3400
	v_add_u32_e64 v3, s6, 0
	ds_write2_b32 v3, v2, v55 offset1:2
.LBB1189_59:
	s_or_b64 exec, exec, s[38:39]
	v_cmp_eq_u32_e32 vcc, 0, v0
	s_and_b64 exec, exec, vcc
	s_cbranch_execz .LBB1189_61
; %bb.60:
	v_mov_b32_e32 v2, 0
	ds_write_b32 v2, v55 offset:12
.LBB1189_61:
	s_or_b64 exec, exec, s[36:37]
	v_mov_b32_e32 v2, 0
	s_waitcnt lgkmcnt(0)
	s_barrier
	ds_read_b32 v2, v2 offset:12
	v_cndmask_b32_e64 v3, v13, v12, s[16:17]
	v_cmp_ne_u32_e32 vcc, 0, v0
	v_cndmask_b32_e32 v3, 0, v3, vcc
	s_movk_i32 s6, 0x3400
	s_waitcnt lgkmcnt(0)
	v_add_u32_e32 v2, v2, v3
	v_add_u32_e32 v3, v2, v41
	;; [unrolled: 1-line block ×8, first 2 shown]
	v_add_u32_e64 v12, s6, 0
	v_add_u32_e32 v10, v9, v39
	s_barrier
	ds_read2_b32 v[18:19], v12 offset1:2
	v_add_u32_e32 v11, v10, v47
	v_add_u32_e32 v12, v11, v48
	;; [unrolled: 1-line block ×4, first 2 shown]
	s_branch .LBB1189_72
.LBB1189_62:
                                        ; implicit-def: $vgpr19
                                        ; implicit-def: $vgpr2_vgpr3_vgpr4_vgpr5_vgpr6_vgpr7_vgpr8_vgpr9_vgpr10_vgpr11_vgpr12_vgpr13_vgpr14_vgpr15_vgpr16_vgpr17
	s_cbranch_execz .LBB1189_72
; %bb.63:
	s_nop 0
	v_mov_b32_dpp v2, v52 row_shr:1 row_mask:0xf bank_mask:0xf
	v_cndmask_b32_e64 v2, v2, 0, s[14:15]
	v_add_u32_e32 v2, v2, v52
	s_nop 1
	v_mov_b32_dpp v3, v2 row_shr:2 row_mask:0xf bank_mask:0xf
	v_cndmask_b32_e64 v3, 0, v3, s[12:13]
	v_add_u32_e32 v2, v2, v3
	;; [unrolled: 4-line block ×4, first 2 shown]
	s_nop 1
	v_mov_b32_dpp v3, v2 row_bcast:15 row_mask:0xf bank_mask:0xf
	v_cndmask_b32_e64 v3, v3, 0, s[18:19]
	v_add_u32_e32 v2, v2, v3
	s_nop 1
	v_mov_b32_dpp v3, v2 row_bcast:31 row_mask:0xf bank_mask:0xf
	v_cndmask_b32_e64 v3, 0, v3, s[2:3]
	v_add_u32_e32 v2, v2, v3
	s_and_saveexec_b64 s[2:3], s[4:5]
	s_cbranch_execz .LBB1189_65
; %bb.64:
	v_lshlrev_b32_e32 v3, 2, v51
	ds_write_b32 v3, v2
.LBB1189_65:
	s_or_b64 exec, exec, s[2:3]
	v_cmp_gt_u32_e32 vcc, 4, v0
	s_waitcnt lgkmcnt(0)
	s_barrier
	s_and_saveexec_b64 s[2:3], vcc
	s_cbranch_execz .LBB1189_67
; %bb.66:
	ds_read_b32 v3, v1
	v_and_b32_e32 v4, 3, v50
	v_cmp_ne_u32_e32 vcc, 0, v4
	s_waitcnt lgkmcnt(0)
	v_mov_b32_dpp v5, v3 row_shr:1 row_mask:0xf bank_mask:0xf
	v_cndmask_b32_e32 v5, 0, v5, vcc
	v_add_u32_e32 v3, v5, v3
	v_cmp_lt_u32_e32 vcc, 1, v4
	s_nop 0
	v_mov_b32_dpp v5, v3 row_shr:2 row_mask:0xf bank_mask:0xf
	v_cndmask_b32_e32 v4, 0, v5, vcc
	v_add_u32_e32 v3, v3, v4
	ds_write_b32 v1, v3
.LBB1189_67:
	s_or_b64 exec, exec, s[2:3]
	v_cmp_lt_u32_e32 vcc, 63, v0
	v_mov_b32_e32 v4, 0
	v_mov_b32_e32 v3, 0
	s_waitcnt lgkmcnt(0)
	s_barrier
	s_and_saveexec_b64 s[2:3], vcc
	s_cbranch_execz .LBB1189_69
; %bb.68:
	v_lshl_add_u32 v3, v51, 2, -4
	ds_read_b32 v3, v3
.LBB1189_69:
	s_or_b64 exec, exec, s[2:3]
	v_add_u32_e32 v5, -1, v50
	v_and_b32_e32 v6, 64, v50
	v_cmp_lt_i32_e32 vcc, v5, v6
	v_cndmask_b32_e32 v5, v5, v50, vcc
	s_waitcnt lgkmcnt(0)
	v_add_u32_e32 v2, v3, v2
	v_lshlrev_b32_e32 v5, 2, v5
	ds_bpermute_b32 v2, v5, v2
	ds_read_b32 v18, v4 offset:12
	v_cmp_eq_u32_e32 vcc, 0, v0
	s_and_saveexec_b64 s[2:3], vcc
	s_cbranch_execz .LBB1189_71
; %bb.70:
	v_mov_b32_e32 v4, 0
	v_mov_b32_e32 v19, 2
	s_waitcnt lgkmcnt(0)
	global_store_dwordx2 v4, v[18:19], s[34:35] offset:512
.LBB1189_71:
	s_or_b64 exec, exec, s[2:3]
	v_cmp_eq_u32_e64 s[2:3], 0, v50
	s_waitcnt lgkmcnt(1)
	v_cndmask_b32_e64 v2, v2, v3, s[2:3]
	v_cndmask_b32_e64 v2, v2, 0, vcc
	v_add_u32_e32 v3, v2, v41
	v_add_u32_e32 v4, v3, v42
	;; [unrolled: 1-line block ×11, first 2 shown]
	v_mov_b32_e32 v19, 0
	v_add_u32_e32 v14, v13, v38
	s_waitcnt lgkmcnt(0)
	s_barrier
.LBB1189_72:
	s_waitcnt lgkmcnt(0)
	v_add_u32_e32 v33, v18, v33
	v_sub_u32_e32 v2, v2, v19
	v_and_b32_e32 v42, 1, v37
	v_sub_u32_e32 v41, v33, v2
	v_cmp_eq_u32_e32 vcc, 1, v42
	v_cndmask_b32_e32 v2, v41, v2, vcc
	v_lshlrev_b32_e32 v2, 2, v2
	v_lshrrev_b32_e32 v17, 8, v37
	ds_write_b32 v2, v30
	v_sub_u32_e32 v2, v3, v19
	v_sub_u32_e32 v3, v33, v2
	v_and_b32_e32 v17, 1, v17
	v_add_u32_e32 v3, 1, v3
	v_cmp_eq_u32_e32 vcc, 1, v17
	v_cndmask_b32_e32 v2, v3, v2, vcc
	v_lshlrev_b32_e32 v2, 2, v2
	ds_write_b32 v2, v31
	v_sub_u32_e32 v2, v4, v19
	v_mov_b32_e32 v4, 1
	v_sub_u32_e32 v3, v33, v2
	v_and_b32_sdwa v17, v4, v37 dst_sel:DWORD dst_unused:UNUSED_PAD src0_sel:DWORD src1_sel:WORD_1
	v_add_u32_e32 v3, 2, v3
	v_cmp_eq_u32_e32 vcc, 1, v17
	v_cndmask_b32_e32 v2, v3, v2, vcc
	v_lshlrev_b32_e32 v2, 2, v2
	ds_write_b32 v2, v28
	v_sub_u32_e32 v2, v5, v19
	v_sub_u32_e32 v3, v33, v2
	v_and_b32_e32 v5, 1, v40
	v_add_u32_e32 v3, 3, v3
	v_cmp_eq_u32_e32 vcc, 1, v5
	v_cndmask_b32_e32 v2, v3, v2, vcc
	v_lshlrev_b32_e32 v2, 2, v2
	ds_write_b32 v2, v29
	v_sub_u32_e32 v2, v6, v19
	v_sub_u32_e32 v3, v33, v2
	v_and_b32_e32 v5, 1, v36
	v_add_u32_e32 v3, 4, v3
	v_cmp_eq_u32_e32 vcc, 1, v5
	v_cndmask_b32_e32 v2, v3, v2, vcc
	v_lshlrev_b32_e32 v2, 2, v2
	v_lshrrev_b32_e32 v16, 8, v36
	ds_write_b32 v2, v26
	v_sub_u32_e32 v2, v7, v19
	v_sub_u32_e32 v3, v33, v2
	v_and_b32_e32 v5, 1, v16
	v_add_u32_e32 v3, 5, v3
	v_cmp_eq_u32_e32 vcc, 1, v5
	v_cndmask_b32_e32 v2, v3, v2, vcc
	v_lshlrev_b32_e32 v2, 2, v2
	ds_write_b32 v2, v27
	v_sub_u32_e32 v2, v8, v19
	v_sub_u32_e32 v3, v33, v2
	v_and_b32_sdwa v5, v4, v36 dst_sel:DWORD dst_unused:UNUSED_PAD src0_sel:DWORD src1_sel:WORD_1
	v_add_u32_e32 v3, 6, v3
	v_cmp_eq_u32_e32 vcc, 1, v5
	v_cndmask_b32_e32 v2, v3, v2, vcc
	v_lshlrev_b32_e32 v2, 2, v2
	ds_write_b32 v2, v24
	v_sub_u32_e32 v2, v9, v19
	v_sub_u32_e32 v3, v33, v2
	v_and_b32_e32 v5, 1, v39
	v_add_u32_e32 v3, 7, v3
	v_cmp_eq_u32_e32 vcc, 1, v5
	v_cndmask_b32_e32 v2, v3, v2, vcc
	v_lshlrev_b32_e32 v2, 2, v2
	ds_write_b32 v2, v25
	v_sub_u32_e32 v2, v10, v19
	v_sub_u32_e32 v3, v33, v2
	v_and_b32_e32 v5, 1, v35
	v_add_u32_e32 v3, 8, v3
	v_cmp_eq_u32_e32 vcc, 1, v5
	v_cndmask_b32_e32 v2, v3, v2, vcc
	v_lshlrev_b32_e32 v2, 2, v2
	v_lshrrev_b32_e32 v15, 8, v35
	ds_write_b32 v2, v22
	v_sub_u32_e32 v2, v11, v19
	v_sub_u32_e32 v3, v33, v2
	v_and_b32_e32 v5, 1, v15
	v_add_u32_e32 v3, 9, v3
	v_cmp_eq_u32_e32 vcc, 1, v5
	v_cndmask_b32_e32 v2, v3, v2, vcc
	v_lshlrev_b32_e32 v2, 2, v2
	ds_write_b32 v2, v23
	v_sub_u32_e32 v2, v12, v19
	v_sub_u32_e32 v3, v33, v2
	v_and_b32_sdwa v4, v4, v35 dst_sel:DWORD dst_unused:UNUSED_PAD src0_sel:DWORD src1_sel:WORD_1
	v_add_u32_e32 v3, 10, v3
	v_cmp_eq_u32_e32 vcc, 1, v4
	v_cndmask_b32_e32 v2, v3, v2, vcc
	v_lshlrev_b32_e32 v2, 2, v2
	ds_write_b32 v2, v20
	v_sub_u32_e32 v2, v13, v19
	v_sub_u32_e32 v3, v33, v2
	v_and_b32_e32 v4, 1, v38
	v_add_u32_e32 v3, 11, v3
	v_cmp_eq_u32_e32 vcc, 1, v4
	v_cndmask_b32_e32 v2, v3, v2, vcc
	v_lshlrev_b32_e32 v2, 2, v2
	ds_write_b32 v2, v21
	v_sub_u32_e32 v2, v14, v19
	v_sub_u32_e32 v3, v33, v2
	v_and_b32_e32 v4, 1, v34
	v_add_u32_e32 v3, 12, v3
	v_cmp_eq_u32_e32 vcc, 1, v4
	v_cndmask_b32_e32 v2, v3, v2, vcc
	s_add_u32 s2, s28, s42
	v_lshlrev_b32_e32 v2, 2, v2
	s_addc_u32 s3, s29, 0
	ds_write_b32 v2, v32
	s_waitcnt lgkmcnt(0)
	s_barrier
	ds_read2st64_b32 v[12:13], v1 offset1:4
	ds_read2st64_b32 v[10:11], v1 offset0:8 offset1:12
	ds_read2st64_b32 v[8:9], v1 offset0:16 offset1:20
	;; [unrolled: 1-line block ×5, first 2 shown]
	ds_read_b32 v17, v1 offset:12288
	v_mov_b32_e32 v14, s31
	v_add_co_u32_e32 v1, vcc, s30, v19
	s_sub_u32 s2, s26, s2
	v_addc_co_u32_e32 v16, vcc, 0, v14, vcc
	s_subb_u32 s3, s27, s3
	v_mov_b32_e32 v14, s3
	v_add_co_u32_e32 v15, vcc, s2, v18
	v_addc_co_u32_e32 v14, vcc, 0, v14, vcc
	s_and_b64 vcc, exec, s[0:1]
	v_add_co_u32_e64 v19, s[0:1], v15, v1
	v_or_b32_e32 v32, 0x100, v0
	v_or_b32_e32 v31, 0x200, v0
	;; [unrolled: 1-line block ×12, first 2 shown]
	v_addc_co_u32_e64 v21, s[0:1], v14, v16, s[0:1]
	s_cbranch_vccnz .LBB1189_126
; %bb.73:
	v_cmp_ge_u32_e32 vcc, v0, v18
                                        ; implicit-def: $vgpr14_vgpr15
	s_and_saveexec_b64 s[0:1], vcc
	s_xor_b64 s[0:1], exec, s[0:1]
; %bb.74:
	v_not_b32_e32 v14, v0
	v_ashrrev_i32_e32 v15, 31, v14
	v_add_co_u32_e32 v14, vcc, v19, v14
	v_addc_co_u32_e32 v15, vcc, v21, v15, vcc
; %bb.75:
	s_andn2_saveexec_b64 s[0:1], s[0:1]
; %bb.76:
	v_add_co_u32_e32 v14, vcc, v1, v0
	v_addc_co_u32_e32 v15, vcc, 0, v16, vcc
; %bb.77:
	s_or_b64 exec, exec, s[0:1]
	v_lshlrev_b64 v[14:15], 2, v[14:15]
	v_mov_b32_e32 v33, s25
	v_add_co_u32_e32 v14, vcc, s24, v14
	v_addc_co_u32_e32 v15, vcc, v33, v15, vcc
	v_cmp_ge_u32_e32 vcc, v32, v18
	s_waitcnt lgkmcnt(6)
	global_store_dword v[14:15], v12, off
                                        ; implicit-def: $vgpr14_vgpr15
	s_and_saveexec_b64 s[0:1], vcc
	s_xor_b64 s[0:1], exec, s[0:1]
; %bb.78:
	v_xor_b32_e32 v14, 0xfffffeff, v0
	v_ashrrev_i32_e32 v15, 31, v14
	v_add_co_u32_e32 v14, vcc, v19, v14
	v_addc_co_u32_e32 v15, vcc, v21, v15, vcc
; %bb.79:
	s_andn2_saveexec_b64 s[0:1], s[0:1]
; %bb.80:
	v_add_co_u32_e32 v14, vcc, v1, v32
	v_addc_co_u32_e32 v15, vcc, 0, v16, vcc
; %bb.81:
	s_or_b64 exec, exec, s[0:1]
	v_lshlrev_b64 v[14:15], 2, v[14:15]
	v_mov_b32_e32 v33, s25
	v_add_co_u32_e32 v14, vcc, s24, v14
	v_addc_co_u32_e32 v15, vcc, v33, v15, vcc
	v_cmp_ge_u32_e32 vcc, v31, v18
	global_store_dword v[14:15], v13, off
                                        ; implicit-def: $vgpr14_vgpr15
	s_and_saveexec_b64 s[0:1], vcc
	s_xor_b64 s[0:1], exec, s[0:1]
; %bb.82:
	v_xor_b32_e32 v14, 0xfffffdff, v0
	v_ashrrev_i32_e32 v15, 31, v14
	v_add_co_u32_e32 v14, vcc, v19, v14
	v_addc_co_u32_e32 v15, vcc, v21, v15, vcc
; %bb.83:
	s_andn2_saveexec_b64 s[0:1], s[0:1]
; %bb.84:
	v_add_co_u32_e32 v14, vcc, v1, v31
	v_addc_co_u32_e32 v15, vcc, 0, v16, vcc
; %bb.85:
	s_or_b64 exec, exec, s[0:1]
	v_lshlrev_b64 v[14:15], 2, v[14:15]
	v_mov_b32_e32 v33, s25
	v_add_co_u32_e32 v14, vcc, s24, v14
	v_addc_co_u32_e32 v15, vcc, v33, v15, vcc
	v_cmp_ge_u32_e32 vcc, v30, v18
	s_waitcnt lgkmcnt(5)
	global_store_dword v[14:15], v10, off
                                        ; implicit-def: $vgpr14_vgpr15
	s_and_saveexec_b64 s[0:1], vcc
	s_xor_b64 s[0:1], exec, s[0:1]
; %bb.86:
	v_xor_b32_e32 v14, 0xfffffcff, v0
	v_ashrrev_i32_e32 v15, 31, v14
	v_add_co_u32_e32 v14, vcc, v19, v14
	v_addc_co_u32_e32 v15, vcc, v21, v15, vcc
; %bb.87:
	s_andn2_saveexec_b64 s[0:1], s[0:1]
; %bb.88:
	v_add_co_u32_e32 v14, vcc, v1, v30
	v_addc_co_u32_e32 v15, vcc, 0, v16, vcc
; %bb.89:
	s_or_b64 exec, exec, s[0:1]
	v_lshlrev_b64 v[14:15], 2, v[14:15]
	v_mov_b32_e32 v33, s25
	v_add_co_u32_e32 v14, vcc, s24, v14
	v_addc_co_u32_e32 v15, vcc, v33, v15, vcc
	v_cmp_ge_u32_e32 vcc, v29, v18
	global_store_dword v[14:15], v11, off
                                        ; implicit-def: $vgpr14_vgpr15
	s_and_saveexec_b64 s[0:1], vcc
	s_xor_b64 s[0:1], exec, s[0:1]
; %bb.90:
	v_xor_b32_e32 v14, 0xfffffbff, v0
	;; [unrolled: 43-line block ×6, first 2 shown]
	v_ashrrev_i32_e32 v15, 31, v14
	v_add_co_u32_e32 v14, vcc, v19, v14
	v_addc_co_u32_e32 v15, vcc, v21, v15, vcc
; %bb.123:
	s_andn2_saveexec_b64 s[0:1], s[0:1]
; %bb.124:
	v_add_co_u32_e32 v14, vcc, v1, v20
	v_addc_co_u32_e32 v15, vcc, 0, v16, vcc
; %bb.125:
	s_or_b64 exec, exec, s[0:1]
	s_mov_b64 s[0:1], -1
	s_branch .LBB1189_206
.LBB1189_126:
	s_mov_b64 s[0:1], 0
                                        ; implicit-def: $vgpr14_vgpr15
	s_cbranch_execz .LBB1189_206
; %bb.127:
	v_cmp_gt_u32_e32 vcc, s33, v0
	s_and_saveexec_b64 s[2:3], vcc
	s_cbranch_execz .LBB1189_163
; %bb.128:
	v_cmp_ge_u32_e32 vcc, v0, v18
                                        ; implicit-def: $vgpr14_vgpr15
	s_and_saveexec_b64 s[4:5], vcc
	s_xor_b64 s[4:5], exec, s[4:5]
; %bb.129:
	v_not_b32_e32 v14, v0
	v_ashrrev_i32_e32 v15, 31, v14
	v_add_co_u32_e32 v14, vcc, v19, v14
	v_addc_co_u32_e32 v15, vcc, v21, v15, vcc
; %bb.130:
	s_andn2_saveexec_b64 s[4:5], s[4:5]
; %bb.131:
	v_add_co_u32_e32 v14, vcc, v1, v0
	v_addc_co_u32_e32 v15, vcc, 0, v16, vcc
; %bb.132:
	s_or_b64 exec, exec, s[4:5]
	v_lshlrev_b64 v[14:15], 2, v[14:15]
	v_mov_b32_e32 v33, s25
	v_add_co_u32_e32 v14, vcc, s24, v14
	v_addc_co_u32_e32 v15, vcc, v33, v15, vcc
	s_waitcnt lgkmcnt(6)
	global_store_dword v[14:15], v12, off
	s_or_b64 exec, exec, s[2:3]
	v_cmp_gt_u32_e32 vcc, s33, v32
	s_and_saveexec_b64 s[2:3], vcc
	s_cbranch_execnz .LBB1189_164
.LBB1189_133:
	s_or_b64 exec, exec, s[2:3]
	v_cmp_gt_u32_e32 vcc, s33, v31
	s_and_saveexec_b64 s[2:3], vcc
	s_cbranch_execz .LBB1189_169
.LBB1189_134:
	v_cmp_ge_u32_e32 vcc, v31, v18
                                        ; implicit-def: $vgpr12_vgpr13
	s_and_saveexec_b64 s[4:5], vcc
	s_xor_b64 s[4:5], exec, s[4:5]
	s_cbranch_execz .LBB1189_136
; %bb.135:
	s_waitcnt lgkmcnt(6)
	v_xor_b32_e32 v12, 0xfffffdff, v0
	v_ashrrev_i32_e32 v13, 31, v12
	v_add_co_u32_e32 v12, vcc, v19, v12
	v_addc_co_u32_e32 v13, vcc, v21, v13, vcc
                                        ; implicit-def: $vgpr31
.LBB1189_136:
	s_andn2_saveexec_b64 s[4:5], s[4:5]
	s_cbranch_execz .LBB1189_138
; %bb.137:
	s_waitcnt lgkmcnt(6)
	v_add_co_u32_e32 v12, vcc, v1, v31
	v_addc_co_u32_e32 v13, vcc, 0, v16, vcc
.LBB1189_138:
	s_or_b64 exec, exec, s[4:5]
	s_waitcnt lgkmcnt(6)
	v_lshlrev_b64 v[12:13], 2, v[12:13]
	v_mov_b32_e32 v14, s25
	v_add_co_u32_e32 v12, vcc, s24, v12
	v_addc_co_u32_e32 v13, vcc, v14, v13, vcc
	s_waitcnt lgkmcnt(5)
	global_store_dword v[12:13], v10, off
	s_or_b64 exec, exec, s[2:3]
	v_cmp_gt_u32_e32 vcc, s33, v30
	s_and_saveexec_b64 s[2:3], vcc
	s_cbranch_execnz .LBB1189_170
.LBB1189_139:
	s_or_b64 exec, exec, s[2:3]
	v_cmp_gt_u32_e32 vcc, s33, v29
	s_and_saveexec_b64 s[2:3], vcc
	s_cbranch_execz .LBB1189_175
.LBB1189_140:
	v_cmp_ge_u32_e32 vcc, v29, v18
                                        ; implicit-def: $vgpr10_vgpr11
	s_and_saveexec_b64 s[4:5], vcc
	s_xor_b64 s[4:5], exec, s[4:5]
	s_cbranch_execz .LBB1189_142
; %bb.141:
	s_waitcnt lgkmcnt(5)
	v_xor_b32_e32 v10, 0xfffffbff, v0
	v_ashrrev_i32_e32 v11, 31, v10
	v_add_co_u32_e32 v10, vcc, v19, v10
	v_addc_co_u32_e32 v11, vcc, v21, v11, vcc
                                        ; implicit-def: $vgpr29
.LBB1189_142:
	s_andn2_saveexec_b64 s[4:5], s[4:5]
	s_cbranch_execz .LBB1189_144
; %bb.143:
	s_waitcnt lgkmcnt(5)
	v_add_co_u32_e32 v10, vcc, v1, v29
	v_addc_co_u32_e32 v11, vcc, 0, v16, vcc
.LBB1189_144:
	s_or_b64 exec, exec, s[4:5]
	s_waitcnt lgkmcnt(5)
	v_lshlrev_b64 v[10:11], 2, v[10:11]
	v_mov_b32_e32 v12, s25
	v_add_co_u32_e32 v10, vcc, s24, v10
	v_addc_co_u32_e32 v11, vcc, v12, v11, vcc
	s_waitcnt lgkmcnt(4)
	global_store_dword v[10:11], v8, off
	s_or_b64 exec, exec, s[2:3]
	v_cmp_gt_u32_e32 vcc, s33, v28
	s_and_saveexec_b64 s[2:3], vcc
	s_cbranch_execnz .LBB1189_176
.LBB1189_145:
	s_or_b64 exec, exec, s[2:3]
	v_cmp_gt_u32_e32 vcc, s33, v27
	s_and_saveexec_b64 s[2:3], vcc
	s_cbranch_execz .LBB1189_181
.LBB1189_146:
	v_cmp_ge_u32_e32 vcc, v27, v18
                                        ; implicit-def: $vgpr8_vgpr9
	s_and_saveexec_b64 s[4:5], vcc
	s_xor_b64 s[4:5], exec, s[4:5]
	s_cbranch_execz .LBB1189_148
; %bb.147:
	s_waitcnt lgkmcnt(4)
	v_xor_b32_e32 v8, 0xfffff9ff, v0
	v_ashrrev_i32_e32 v9, 31, v8
	v_add_co_u32_e32 v8, vcc, v19, v8
	v_addc_co_u32_e32 v9, vcc, v21, v9, vcc
                                        ; implicit-def: $vgpr27
.LBB1189_148:
	s_andn2_saveexec_b64 s[4:5], s[4:5]
	s_cbranch_execz .LBB1189_150
; %bb.149:
	s_waitcnt lgkmcnt(4)
	v_add_co_u32_e32 v8, vcc, v1, v27
	v_addc_co_u32_e32 v9, vcc, 0, v16, vcc
.LBB1189_150:
	s_or_b64 exec, exec, s[4:5]
	s_waitcnt lgkmcnt(4)
	v_lshlrev_b64 v[8:9], 2, v[8:9]
	v_mov_b32_e32 v10, s25
	v_add_co_u32_e32 v8, vcc, s24, v8
	v_addc_co_u32_e32 v9, vcc, v10, v9, vcc
	s_waitcnt lgkmcnt(3)
	global_store_dword v[8:9], v6, off
	s_or_b64 exec, exec, s[2:3]
	v_cmp_gt_u32_e32 vcc, s33, v26
	s_and_saveexec_b64 s[2:3], vcc
	s_cbranch_execnz .LBB1189_182
.LBB1189_151:
	s_or_b64 exec, exec, s[2:3]
	v_cmp_gt_u32_e32 vcc, s33, v25
	s_and_saveexec_b64 s[2:3], vcc
	s_cbranch_execz .LBB1189_187
.LBB1189_152:
	v_cmp_ge_u32_e32 vcc, v25, v18
                                        ; implicit-def: $vgpr6_vgpr7
	s_and_saveexec_b64 s[4:5], vcc
	s_xor_b64 s[4:5], exec, s[4:5]
	s_cbranch_execz .LBB1189_154
; %bb.153:
	s_waitcnt lgkmcnt(3)
	v_xor_b32_e32 v6, 0xfffff7ff, v0
	v_ashrrev_i32_e32 v7, 31, v6
	v_add_co_u32_e32 v6, vcc, v19, v6
	v_addc_co_u32_e32 v7, vcc, v21, v7, vcc
                                        ; implicit-def: $vgpr25
.LBB1189_154:
	s_andn2_saveexec_b64 s[4:5], s[4:5]
	s_cbranch_execz .LBB1189_156
; %bb.155:
	s_waitcnt lgkmcnt(3)
	v_add_co_u32_e32 v6, vcc, v1, v25
	v_addc_co_u32_e32 v7, vcc, 0, v16, vcc
.LBB1189_156:
	s_or_b64 exec, exec, s[4:5]
	s_waitcnt lgkmcnt(3)
	v_lshlrev_b64 v[6:7], 2, v[6:7]
	v_mov_b32_e32 v8, s25
	v_add_co_u32_e32 v6, vcc, s24, v6
	v_addc_co_u32_e32 v7, vcc, v8, v7, vcc
	s_waitcnt lgkmcnt(2)
	global_store_dword v[6:7], v4, off
	s_or_b64 exec, exec, s[2:3]
	v_cmp_gt_u32_e32 vcc, s33, v24
	s_and_saveexec_b64 s[2:3], vcc
	s_cbranch_execnz .LBB1189_188
.LBB1189_157:
	s_or_b64 exec, exec, s[2:3]
	v_cmp_gt_u32_e32 vcc, s33, v23
	s_and_saveexec_b64 s[2:3], vcc
	s_cbranch_execz .LBB1189_193
.LBB1189_158:
	v_cmp_ge_u32_e32 vcc, v23, v18
                                        ; implicit-def: $vgpr4_vgpr5
	s_and_saveexec_b64 s[4:5], vcc
	s_xor_b64 s[4:5], exec, s[4:5]
	s_cbranch_execz .LBB1189_160
; %bb.159:
	s_waitcnt lgkmcnt(2)
	v_xor_b32_e32 v4, 0xfffff5ff, v0
	v_ashrrev_i32_e32 v5, 31, v4
	v_add_co_u32_e32 v4, vcc, v19, v4
	v_addc_co_u32_e32 v5, vcc, v21, v5, vcc
                                        ; implicit-def: $vgpr23
.LBB1189_160:
	s_andn2_saveexec_b64 s[4:5], s[4:5]
	s_cbranch_execz .LBB1189_162
; %bb.161:
	s_waitcnt lgkmcnt(2)
	v_add_co_u32_e32 v4, vcc, v1, v23
	v_addc_co_u32_e32 v5, vcc, 0, v16, vcc
.LBB1189_162:
	s_or_b64 exec, exec, s[4:5]
	s_waitcnt lgkmcnt(2)
	v_lshlrev_b64 v[4:5], 2, v[4:5]
	v_mov_b32_e32 v6, s25
	v_add_co_u32_e32 v4, vcc, s24, v4
	v_addc_co_u32_e32 v5, vcc, v6, v5, vcc
	s_waitcnt lgkmcnt(1)
	global_store_dword v[4:5], v2, off
	s_or_b64 exec, exec, s[2:3]
	v_cmp_gt_u32_e32 vcc, s33, v22
	s_and_saveexec_b64 s[2:3], vcc
	s_cbranch_execz .LBB1189_199
	s_branch .LBB1189_194
.LBB1189_163:
	s_or_b64 exec, exec, s[2:3]
	v_cmp_gt_u32_e32 vcc, s33, v32
	s_and_saveexec_b64 s[2:3], vcc
	s_cbranch_execz .LBB1189_133
.LBB1189_164:
	v_cmp_ge_u32_e32 vcc, v32, v18
                                        ; implicit-def: $vgpr14_vgpr15
	s_and_saveexec_b64 s[4:5], vcc
	s_xor_b64 s[4:5], exec, s[4:5]
	s_cbranch_execz .LBB1189_166
; %bb.165:
	s_waitcnt lgkmcnt(6)
	v_xor_b32_e32 v12, 0xfffffeff, v0
	v_ashrrev_i32_e32 v15, 31, v12
	v_add_co_u32_e32 v14, vcc, v19, v12
	v_addc_co_u32_e32 v15, vcc, v21, v15, vcc
                                        ; implicit-def: $vgpr32
.LBB1189_166:
	s_andn2_saveexec_b64 s[4:5], s[4:5]
; %bb.167:
	v_add_co_u32_e32 v14, vcc, v1, v32
	v_addc_co_u32_e32 v15, vcc, 0, v16, vcc
; %bb.168:
	s_or_b64 exec, exec, s[4:5]
	v_lshlrev_b64 v[14:15], 2, v[14:15]
	s_waitcnt lgkmcnt(6)
	v_mov_b32_e32 v12, s25
	v_add_co_u32_e32 v14, vcc, s24, v14
	v_addc_co_u32_e32 v15, vcc, v12, v15, vcc
	global_store_dword v[14:15], v13, off
	s_or_b64 exec, exec, s[2:3]
	v_cmp_gt_u32_e32 vcc, s33, v31
	s_and_saveexec_b64 s[2:3], vcc
	s_cbranch_execnz .LBB1189_134
.LBB1189_169:
	s_or_b64 exec, exec, s[2:3]
	v_cmp_gt_u32_e32 vcc, s33, v30
	s_and_saveexec_b64 s[2:3], vcc
	s_cbranch_execz .LBB1189_139
.LBB1189_170:
	v_cmp_ge_u32_e32 vcc, v30, v18
                                        ; implicit-def: $vgpr12_vgpr13
	s_and_saveexec_b64 s[4:5], vcc
	s_xor_b64 s[4:5], exec, s[4:5]
	s_cbranch_execz .LBB1189_172
; %bb.171:
	s_waitcnt lgkmcnt(5)
	v_xor_b32_e32 v10, 0xfffffcff, v0
	v_ashrrev_i32_e32 v13, 31, v10
	v_add_co_u32_e32 v12, vcc, v19, v10
	v_addc_co_u32_e32 v13, vcc, v21, v13, vcc
                                        ; implicit-def: $vgpr30
.LBB1189_172:
	s_andn2_saveexec_b64 s[4:5], s[4:5]
	s_cbranch_execz .LBB1189_174
; %bb.173:
	s_waitcnt lgkmcnt(6)
	v_add_co_u32_e32 v12, vcc, v1, v30
	v_addc_co_u32_e32 v13, vcc, 0, v16, vcc
.LBB1189_174:
	s_or_b64 exec, exec, s[4:5]
	s_waitcnt lgkmcnt(6)
	v_lshlrev_b64 v[12:13], 2, v[12:13]
	s_waitcnt lgkmcnt(5)
	v_mov_b32_e32 v10, s25
	v_add_co_u32_e32 v12, vcc, s24, v12
	v_addc_co_u32_e32 v13, vcc, v10, v13, vcc
	global_store_dword v[12:13], v11, off
	s_or_b64 exec, exec, s[2:3]
	v_cmp_gt_u32_e32 vcc, s33, v29
	s_and_saveexec_b64 s[2:3], vcc
	s_cbranch_execnz .LBB1189_140
.LBB1189_175:
	s_or_b64 exec, exec, s[2:3]
	v_cmp_gt_u32_e32 vcc, s33, v28
	s_and_saveexec_b64 s[2:3], vcc
	s_cbranch_execz .LBB1189_145
.LBB1189_176:
	v_cmp_ge_u32_e32 vcc, v28, v18
                                        ; implicit-def: $vgpr10_vgpr11
	s_and_saveexec_b64 s[4:5], vcc
	s_xor_b64 s[4:5], exec, s[4:5]
	s_cbranch_execz .LBB1189_178
; %bb.177:
	s_waitcnt lgkmcnt(4)
	v_xor_b32_e32 v8, 0xfffffaff, v0
	v_ashrrev_i32_e32 v11, 31, v8
	v_add_co_u32_e32 v10, vcc, v19, v8
	v_addc_co_u32_e32 v11, vcc, v21, v11, vcc
                                        ; implicit-def: $vgpr28
.LBB1189_178:
	s_andn2_saveexec_b64 s[4:5], s[4:5]
	s_cbranch_execz .LBB1189_180
; %bb.179:
	s_waitcnt lgkmcnt(5)
	v_add_co_u32_e32 v10, vcc, v1, v28
	v_addc_co_u32_e32 v11, vcc, 0, v16, vcc
.LBB1189_180:
	s_or_b64 exec, exec, s[4:5]
	s_waitcnt lgkmcnt(5)
	v_lshlrev_b64 v[10:11], 2, v[10:11]
	s_waitcnt lgkmcnt(4)
	v_mov_b32_e32 v8, s25
	v_add_co_u32_e32 v10, vcc, s24, v10
	v_addc_co_u32_e32 v11, vcc, v8, v11, vcc
	global_store_dword v[10:11], v9, off
	s_or_b64 exec, exec, s[2:3]
	v_cmp_gt_u32_e32 vcc, s33, v27
	s_and_saveexec_b64 s[2:3], vcc
	s_cbranch_execnz .LBB1189_146
.LBB1189_181:
	s_or_b64 exec, exec, s[2:3]
	v_cmp_gt_u32_e32 vcc, s33, v26
	s_and_saveexec_b64 s[2:3], vcc
	s_cbranch_execz .LBB1189_151
.LBB1189_182:
	v_cmp_ge_u32_e32 vcc, v26, v18
                                        ; implicit-def: $vgpr8_vgpr9
	s_and_saveexec_b64 s[4:5], vcc
	s_xor_b64 s[4:5], exec, s[4:5]
	s_cbranch_execz .LBB1189_184
; %bb.183:
	s_waitcnt lgkmcnt(3)
	v_xor_b32_e32 v6, 0xfffff8ff, v0
	v_ashrrev_i32_e32 v9, 31, v6
	v_add_co_u32_e32 v8, vcc, v19, v6
	v_addc_co_u32_e32 v9, vcc, v21, v9, vcc
                                        ; implicit-def: $vgpr26
.LBB1189_184:
	s_andn2_saveexec_b64 s[4:5], s[4:5]
	s_cbranch_execz .LBB1189_186
; %bb.185:
	s_waitcnt lgkmcnt(4)
	v_add_co_u32_e32 v8, vcc, v1, v26
	v_addc_co_u32_e32 v9, vcc, 0, v16, vcc
.LBB1189_186:
	s_or_b64 exec, exec, s[4:5]
	s_waitcnt lgkmcnt(4)
	v_lshlrev_b64 v[8:9], 2, v[8:9]
	s_waitcnt lgkmcnt(3)
	v_mov_b32_e32 v6, s25
	v_add_co_u32_e32 v8, vcc, s24, v8
	v_addc_co_u32_e32 v9, vcc, v6, v9, vcc
	global_store_dword v[8:9], v7, off
	s_or_b64 exec, exec, s[2:3]
	v_cmp_gt_u32_e32 vcc, s33, v25
	s_and_saveexec_b64 s[2:3], vcc
	s_cbranch_execnz .LBB1189_152
.LBB1189_187:
	s_or_b64 exec, exec, s[2:3]
	v_cmp_gt_u32_e32 vcc, s33, v24
	s_and_saveexec_b64 s[2:3], vcc
	s_cbranch_execz .LBB1189_157
.LBB1189_188:
	v_cmp_ge_u32_e32 vcc, v24, v18
                                        ; implicit-def: $vgpr6_vgpr7
	s_and_saveexec_b64 s[4:5], vcc
	s_xor_b64 s[4:5], exec, s[4:5]
	s_cbranch_execz .LBB1189_190
; %bb.189:
	s_waitcnt lgkmcnt(2)
	v_xor_b32_e32 v4, 0xfffff6ff, v0
	v_ashrrev_i32_e32 v7, 31, v4
	v_add_co_u32_e32 v6, vcc, v19, v4
	v_addc_co_u32_e32 v7, vcc, v21, v7, vcc
                                        ; implicit-def: $vgpr24
.LBB1189_190:
	s_andn2_saveexec_b64 s[4:5], s[4:5]
	s_cbranch_execz .LBB1189_192
; %bb.191:
	s_waitcnt lgkmcnt(3)
	v_add_co_u32_e32 v6, vcc, v1, v24
	v_addc_co_u32_e32 v7, vcc, 0, v16, vcc
.LBB1189_192:
	s_or_b64 exec, exec, s[4:5]
	s_waitcnt lgkmcnt(3)
	v_lshlrev_b64 v[6:7], 2, v[6:7]
	s_waitcnt lgkmcnt(2)
	v_mov_b32_e32 v4, s25
	v_add_co_u32_e32 v6, vcc, s24, v6
	v_addc_co_u32_e32 v7, vcc, v4, v7, vcc
	global_store_dword v[6:7], v5, off
	s_or_b64 exec, exec, s[2:3]
	v_cmp_gt_u32_e32 vcc, s33, v23
	s_and_saveexec_b64 s[2:3], vcc
	s_cbranch_execnz .LBB1189_158
.LBB1189_193:
	s_or_b64 exec, exec, s[2:3]
	v_cmp_gt_u32_e32 vcc, s33, v22
	s_and_saveexec_b64 s[2:3], vcc
	s_cbranch_execz .LBB1189_199
.LBB1189_194:
	v_cmp_ge_u32_e32 vcc, v22, v18
                                        ; implicit-def: $vgpr4_vgpr5
	s_and_saveexec_b64 s[4:5], vcc
	s_xor_b64 s[4:5], exec, s[4:5]
	s_cbranch_execz .LBB1189_196
; %bb.195:
	s_waitcnt lgkmcnt(1)
	v_xor_b32_e32 v2, 0xfffff4ff, v0
	v_ashrrev_i32_e32 v5, 31, v2
	v_add_co_u32_e32 v4, vcc, v19, v2
	v_addc_co_u32_e32 v5, vcc, v21, v5, vcc
                                        ; implicit-def: $vgpr22
.LBB1189_196:
	s_andn2_saveexec_b64 s[4:5], s[4:5]
	s_cbranch_execz .LBB1189_198
; %bb.197:
	s_waitcnt lgkmcnt(2)
	v_add_co_u32_e32 v4, vcc, v1, v22
	v_addc_co_u32_e32 v5, vcc, 0, v16, vcc
.LBB1189_198:
	s_or_b64 exec, exec, s[4:5]
	s_waitcnt lgkmcnt(2)
	v_lshlrev_b64 v[4:5], 2, v[4:5]
	s_waitcnt lgkmcnt(1)
	v_mov_b32_e32 v2, s25
	v_add_co_u32_e32 v4, vcc, s24, v4
	v_addc_co_u32_e32 v5, vcc, v2, v5, vcc
	global_store_dword v[4:5], v3, off
.LBB1189_199:
	s_or_b64 exec, exec, s[2:3]
	v_cmp_gt_u32_e32 vcc, s33, v20
                                        ; implicit-def: $vgpr14_vgpr15
	s_and_saveexec_b64 s[2:3], vcc
	s_cbranch_execz .LBB1189_205
; %bb.200:
	v_cmp_ge_u32_e32 vcc, v20, v18
                                        ; implicit-def: $vgpr14_vgpr15
	s_and_saveexec_b64 s[4:5], vcc
	s_xor_b64 s[4:5], exec, s[4:5]
	s_cbranch_execz .LBB1189_202
; %bb.201:
	s_waitcnt lgkmcnt(1)
	v_xor_b32_e32 v2, 0xfffff3ff, v0
	v_ashrrev_i32_e32 v3, 31, v2
	v_add_co_u32_e32 v14, vcc, v19, v2
	v_addc_co_u32_e32 v15, vcc, v21, v3, vcc
                                        ; implicit-def: $vgpr20
.LBB1189_202:
	s_andn2_saveexec_b64 s[4:5], s[4:5]
; %bb.203:
	v_add_co_u32_e32 v14, vcc, v1, v20
	v_addc_co_u32_e32 v15, vcc, 0, v16, vcc
; %bb.204:
	s_or_b64 exec, exec, s[4:5]
	s_or_b64 s[0:1], s[0:1], exec
.LBB1189_205:
	s_or_b64 exec, exec, s[2:3]
.LBB1189_206:
	s_and_saveexec_b64 s[2:3], s[0:1]
	s_cbranch_execz .LBB1189_208
; %bb.207:
	s_waitcnt lgkmcnt(1)
	v_lshlrev_b64 v[2:3], 2, v[14:15]
	v_mov_b32_e32 v4, s25
	v_add_co_u32_e32 v2, vcc, s24, v2
	v_addc_co_u32_e32 v3, vcc, v4, v3, vcc
	s_waitcnt lgkmcnt(0)
	global_store_dword v[2:3], v17, off
.LBB1189_208:
	s_or_b64 exec, exec, s[2:3]
	v_cmp_eq_u32_e32 vcc, 0, v0
	s_and_b64 s[0:1], vcc, s[22:23]
	s_and_saveexec_b64 s[2:3], s[0:1]
	s_cbranch_execz .LBB1189_210
; %bb.209:
	v_add_co_u32_e32 v0, vcc, v1, v18
	s_waitcnt lgkmcnt(1)
	v_mov_b32_e32 v2, 0
	v_addc_co_u32_e32 v1, vcc, 0, v16, vcc
	global_store_dwordx2 v2, v[0:1], s[20:21]
.LBB1189_210:
	s_endpgm
	.section	.rodata,"a",@progbits
	.p2align	6, 0x0
	.amdhsa_kernel _ZN7rocprim17ROCPRIM_400000_NS6detail17trampoline_kernelINS0_13select_configILj256ELj13ELNS0_17block_load_methodE3ELS4_3ELS4_3ELNS0_20block_scan_algorithmE0ELj4294967295EEENS1_25partition_config_selectorILNS1_17partition_subalgoE3EjNS0_10empty_typeEbEEZZNS1_14partition_implILS8_3ELb0ES6_jNS0_17counting_iteratorIjlEEPS9_SE_NS0_5tupleIJPjSE_EEENSF_IJSE_SE_EEES9_SG_JZNS1_25segmented_radix_sort_implINS0_14default_configELb0EPKdPdPKlPlN2at6native12_GLOBAL__N_18offset_tEEE10hipError_tPvRmT1_PNSt15iterator_traitsISY_E10value_typeET2_T3_PNSZ_IS14_E10value_typeET4_jRbjT5_S1A_jjP12ihipStream_tbEUljE_EEESV_SW_SX_S14_S18_S1A_T6_T7_T9_mT8_S1C_bDpT10_ENKUlT_T0_E_clISt17integral_constantIbLb0EES1P_EEDaS1K_S1L_EUlS1K_E_NS1_11comp_targetILNS1_3genE4ELNS1_11target_archE910ELNS1_3gpuE8ELNS1_3repE0EEENS1_30default_config_static_selectorELNS0_4arch9wavefront6targetE1EEEvSY_
		.amdhsa_group_segment_fixed_size 13324
		.amdhsa_private_segment_fixed_size 0
		.amdhsa_kernarg_size 144
		.amdhsa_user_sgpr_count 6
		.amdhsa_user_sgpr_private_segment_buffer 1
		.amdhsa_user_sgpr_dispatch_ptr 0
		.amdhsa_user_sgpr_queue_ptr 0
		.amdhsa_user_sgpr_kernarg_segment_ptr 1
		.amdhsa_user_sgpr_dispatch_id 0
		.amdhsa_user_sgpr_flat_scratch_init 0
		.amdhsa_user_sgpr_kernarg_preload_length 0
		.amdhsa_user_sgpr_kernarg_preload_offset 0
		.amdhsa_user_sgpr_private_segment_size 0
		.amdhsa_uses_dynamic_stack 0
		.amdhsa_system_sgpr_private_segment_wavefront_offset 0
		.amdhsa_system_sgpr_workgroup_id_x 1
		.amdhsa_system_sgpr_workgroup_id_y 0
		.amdhsa_system_sgpr_workgroup_id_z 0
		.amdhsa_system_sgpr_workgroup_info 0
		.amdhsa_system_vgpr_workitem_id 0
		.amdhsa_next_free_vgpr 61
		.amdhsa_next_free_sgpr 46
		.amdhsa_accum_offset 64
		.amdhsa_reserve_vcc 1
		.amdhsa_reserve_flat_scratch 0
		.amdhsa_float_round_mode_32 0
		.amdhsa_float_round_mode_16_64 0
		.amdhsa_float_denorm_mode_32 3
		.amdhsa_float_denorm_mode_16_64 3
		.amdhsa_dx10_clamp 1
		.amdhsa_ieee_mode 1
		.amdhsa_fp16_overflow 0
		.amdhsa_tg_split 0
		.amdhsa_exception_fp_ieee_invalid_op 0
		.amdhsa_exception_fp_denorm_src 0
		.amdhsa_exception_fp_ieee_div_zero 0
		.amdhsa_exception_fp_ieee_overflow 0
		.amdhsa_exception_fp_ieee_underflow 0
		.amdhsa_exception_fp_ieee_inexact 0
		.amdhsa_exception_int_div_zero 0
	.end_amdhsa_kernel
	.section	.text._ZN7rocprim17ROCPRIM_400000_NS6detail17trampoline_kernelINS0_13select_configILj256ELj13ELNS0_17block_load_methodE3ELS4_3ELS4_3ELNS0_20block_scan_algorithmE0ELj4294967295EEENS1_25partition_config_selectorILNS1_17partition_subalgoE3EjNS0_10empty_typeEbEEZZNS1_14partition_implILS8_3ELb0ES6_jNS0_17counting_iteratorIjlEEPS9_SE_NS0_5tupleIJPjSE_EEENSF_IJSE_SE_EEES9_SG_JZNS1_25segmented_radix_sort_implINS0_14default_configELb0EPKdPdPKlPlN2at6native12_GLOBAL__N_18offset_tEEE10hipError_tPvRmT1_PNSt15iterator_traitsISY_E10value_typeET2_T3_PNSZ_IS14_E10value_typeET4_jRbjT5_S1A_jjP12ihipStream_tbEUljE_EEESV_SW_SX_S14_S18_S1A_T6_T7_T9_mT8_S1C_bDpT10_ENKUlT_T0_E_clISt17integral_constantIbLb0EES1P_EEDaS1K_S1L_EUlS1K_E_NS1_11comp_targetILNS1_3genE4ELNS1_11target_archE910ELNS1_3gpuE8ELNS1_3repE0EEENS1_30default_config_static_selectorELNS0_4arch9wavefront6targetE1EEEvSY_,"axG",@progbits,_ZN7rocprim17ROCPRIM_400000_NS6detail17trampoline_kernelINS0_13select_configILj256ELj13ELNS0_17block_load_methodE3ELS4_3ELS4_3ELNS0_20block_scan_algorithmE0ELj4294967295EEENS1_25partition_config_selectorILNS1_17partition_subalgoE3EjNS0_10empty_typeEbEEZZNS1_14partition_implILS8_3ELb0ES6_jNS0_17counting_iteratorIjlEEPS9_SE_NS0_5tupleIJPjSE_EEENSF_IJSE_SE_EEES9_SG_JZNS1_25segmented_radix_sort_implINS0_14default_configELb0EPKdPdPKlPlN2at6native12_GLOBAL__N_18offset_tEEE10hipError_tPvRmT1_PNSt15iterator_traitsISY_E10value_typeET2_T3_PNSZ_IS14_E10value_typeET4_jRbjT5_S1A_jjP12ihipStream_tbEUljE_EEESV_SW_SX_S14_S18_S1A_T6_T7_T9_mT8_S1C_bDpT10_ENKUlT_T0_E_clISt17integral_constantIbLb0EES1P_EEDaS1K_S1L_EUlS1K_E_NS1_11comp_targetILNS1_3genE4ELNS1_11target_archE910ELNS1_3gpuE8ELNS1_3repE0EEENS1_30default_config_static_selectorELNS0_4arch9wavefront6targetE1EEEvSY_,comdat
.Lfunc_end1189:
	.size	_ZN7rocprim17ROCPRIM_400000_NS6detail17trampoline_kernelINS0_13select_configILj256ELj13ELNS0_17block_load_methodE3ELS4_3ELS4_3ELNS0_20block_scan_algorithmE0ELj4294967295EEENS1_25partition_config_selectorILNS1_17partition_subalgoE3EjNS0_10empty_typeEbEEZZNS1_14partition_implILS8_3ELb0ES6_jNS0_17counting_iteratorIjlEEPS9_SE_NS0_5tupleIJPjSE_EEENSF_IJSE_SE_EEES9_SG_JZNS1_25segmented_radix_sort_implINS0_14default_configELb0EPKdPdPKlPlN2at6native12_GLOBAL__N_18offset_tEEE10hipError_tPvRmT1_PNSt15iterator_traitsISY_E10value_typeET2_T3_PNSZ_IS14_E10value_typeET4_jRbjT5_S1A_jjP12ihipStream_tbEUljE_EEESV_SW_SX_S14_S18_S1A_T6_T7_T9_mT8_S1C_bDpT10_ENKUlT_T0_E_clISt17integral_constantIbLb0EES1P_EEDaS1K_S1L_EUlS1K_E_NS1_11comp_targetILNS1_3genE4ELNS1_11target_archE910ELNS1_3gpuE8ELNS1_3repE0EEENS1_30default_config_static_selectorELNS0_4arch9wavefront6targetE1EEEvSY_, .Lfunc_end1189-_ZN7rocprim17ROCPRIM_400000_NS6detail17trampoline_kernelINS0_13select_configILj256ELj13ELNS0_17block_load_methodE3ELS4_3ELS4_3ELNS0_20block_scan_algorithmE0ELj4294967295EEENS1_25partition_config_selectorILNS1_17partition_subalgoE3EjNS0_10empty_typeEbEEZZNS1_14partition_implILS8_3ELb0ES6_jNS0_17counting_iteratorIjlEEPS9_SE_NS0_5tupleIJPjSE_EEENSF_IJSE_SE_EEES9_SG_JZNS1_25segmented_radix_sort_implINS0_14default_configELb0EPKdPdPKlPlN2at6native12_GLOBAL__N_18offset_tEEE10hipError_tPvRmT1_PNSt15iterator_traitsISY_E10value_typeET2_T3_PNSZ_IS14_E10value_typeET4_jRbjT5_S1A_jjP12ihipStream_tbEUljE_EEESV_SW_SX_S14_S18_S1A_T6_T7_T9_mT8_S1C_bDpT10_ENKUlT_T0_E_clISt17integral_constantIbLb0EES1P_EEDaS1K_S1L_EUlS1K_E_NS1_11comp_targetILNS1_3genE4ELNS1_11target_archE910ELNS1_3gpuE8ELNS1_3repE0EEENS1_30default_config_static_selectorELNS0_4arch9wavefront6targetE1EEEvSY_
                                        ; -- End function
	.section	.AMDGPU.csdata,"",@progbits
; Kernel info:
; codeLenInByte = 7676
; NumSgprs: 50
; NumVgprs: 61
; NumAgprs: 0
; TotalNumVgprs: 61
; ScratchSize: 0
; MemoryBound: 0
; FloatMode: 240
; IeeeMode: 1
; LDSByteSize: 13324 bytes/workgroup (compile time only)
; SGPRBlocks: 6
; VGPRBlocks: 7
; NumSGPRsForWavesPerEU: 50
; NumVGPRsForWavesPerEU: 61
; AccumOffset: 64
; Occupancy: 4
; WaveLimiterHint : 0
; COMPUTE_PGM_RSRC2:SCRATCH_EN: 0
; COMPUTE_PGM_RSRC2:USER_SGPR: 6
; COMPUTE_PGM_RSRC2:TRAP_HANDLER: 0
; COMPUTE_PGM_RSRC2:TGID_X_EN: 1
; COMPUTE_PGM_RSRC2:TGID_Y_EN: 0
; COMPUTE_PGM_RSRC2:TGID_Z_EN: 0
; COMPUTE_PGM_RSRC2:TIDIG_COMP_CNT: 0
; COMPUTE_PGM_RSRC3_GFX90A:ACCUM_OFFSET: 15
; COMPUTE_PGM_RSRC3_GFX90A:TG_SPLIT: 0
	.section	.text._ZN7rocprim17ROCPRIM_400000_NS6detail17trampoline_kernelINS0_13select_configILj256ELj13ELNS0_17block_load_methodE3ELS4_3ELS4_3ELNS0_20block_scan_algorithmE0ELj4294967295EEENS1_25partition_config_selectorILNS1_17partition_subalgoE3EjNS0_10empty_typeEbEEZZNS1_14partition_implILS8_3ELb0ES6_jNS0_17counting_iteratorIjlEEPS9_SE_NS0_5tupleIJPjSE_EEENSF_IJSE_SE_EEES9_SG_JZNS1_25segmented_radix_sort_implINS0_14default_configELb0EPKdPdPKlPlN2at6native12_GLOBAL__N_18offset_tEEE10hipError_tPvRmT1_PNSt15iterator_traitsISY_E10value_typeET2_T3_PNSZ_IS14_E10value_typeET4_jRbjT5_S1A_jjP12ihipStream_tbEUljE_EEESV_SW_SX_S14_S18_S1A_T6_T7_T9_mT8_S1C_bDpT10_ENKUlT_T0_E_clISt17integral_constantIbLb0EES1P_EEDaS1K_S1L_EUlS1K_E_NS1_11comp_targetILNS1_3genE3ELNS1_11target_archE908ELNS1_3gpuE7ELNS1_3repE0EEENS1_30default_config_static_selectorELNS0_4arch9wavefront6targetE1EEEvSY_,"axG",@progbits,_ZN7rocprim17ROCPRIM_400000_NS6detail17trampoline_kernelINS0_13select_configILj256ELj13ELNS0_17block_load_methodE3ELS4_3ELS4_3ELNS0_20block_scan_algorithmE0ELj4294967295EEENS1_25partition_config_selectorILNS1_17partition_subalgoE3EjNS0_10empty_typeEbEEZZNS1_14partition_implILS8_3ELb0ES6_jNS0_17counting_iteratorIjlEEPS9_SE_NS0_5tupleIJPjSE_EEENSF_IJSE_SE_EEES9_SG_JZNS1_25segmented_radix_sort_implINS0_14default_configELb0EPKdPdPKlPlN2at6native12_GLOBAL__N_18offset_tEEE10hipError_tPvRmT1_PNSt15iterator_traitsISY_E10value_typeET2_T3_PNSZ_IS14_E10value_typeET4_jRbjT5_S1A_jjP12ihipStream_tbEUljE_EEESV_SW_SX_S14_S18_S1A_T6_T7_T9_mT8_S1C_bDpT10_ENKUlT_T0_E_clISt17integral_constantIbLb0EES1P_EEDaS1K_S1L_EUlS1K_E_NS1_11comp_targetILNS1_3genE3ELNS1_11target_archE908ELNS1_3gpuE7ELNS1_3repE0EEENS1_30default_config_static_selectorELNS0_4arch9wavefront6targetE1EEEvSY_,comdat
	.globl	_ZN7rocprim17ROCPRIM_400000_NS6detail17trampoline_kernelINS0_13select_configILj256ELj13ELNS0_17block_load_methodE3ELS4_3ELS4_3ELNS0_20block_scan_algorithmE0ELj4294967295EEENS1_25partition_config_selectorILNS1_17partition_subalgoE3EjNS0_10empty_typeEbEEZZNS1_14partition_implILS8_3ELb0ES6_jNS0_17counting_iteratorIjlEEPS9_SE_NS0_5tupleIJPjSE_EEENSF_IJSE_SE_EEES9_SG_JZNS1_25segmented_radix_sort_implINS0_14default_configELb0EPKdPdPKlPlN2at6native12_GLOBAL__N_18offset_tEEE10hipError_tPvRmT1_PNSt15iterator_traitsISY_E10value_typeET2_T3_PNSZ_IS14_E10value_typeET4_jRbjT5_S1A_jjP12ihipStream_tbEUljE_EEESV_SW_SX_S14_S18_S1A_T6_T7_T9_mT8_S1C_bDpT10_ENKUlT_T0_E_clISt17integral_constantIbLb0EES1P_EEDaS1K_S1L_EUlS1K_E_NS1_11comp_targetILNS1_3genE3ELNS1_11target_archE908ELNS1_3gpuE7ELNS1_3repE0EEENS1_30default_config_static_selectorELNS0_4arch9wavefront6targetE1EEEvSY_ ; -- Begin function _ZN7rocprim17ROCPRIM_400000_NS6detail17trampoline_kernelINS0_13select_configILj256ELj13ELNS0_17block_load_methodE3ELS4_3ELS4_3ELNS0_20block_scan_algorithmE0ELj4294967295EEENS1_25partition_config_selectorILNS1_17partition_subalgoE3EjNS0_10empty_typeEbEEZZNS1_14partition_implILS8_3ELb0ES6_jNS0_17counting_iteratorIjlEEPS9_SE_NS0_5tupleIJPjSE_EEENSF_IJSE_SE_EEES9_SG_JZNS1_25segmented_radix_sort_implINS0_14default_configELb0EPKdPdPKlPlN2at6native12_GLOBAL__N_18offset_tEEE10hipError_tPvRmT1_PNSt15iterator_traitsISY_E10value_typeET2_T3_PNSZ_IS14_E10value_typeET4_jRbjT5_S1A_jjP12ihipStream_tbEUljE_EEESV_SW_SX_S14_S18_S1A_T6_T7_T9_mT8_S1C_bDpT10_ENKUlT_T0_E_clISt17integral_constantIbLb0EES1P_EEDaS1K_S1L_EUlS1K_E_NS1_11comp_targetILNS1_3genE3ELNS1_11target_archE908ELNS1_3gpuE7ELNS1_3repE0EEENS1_30default_config_static_selectorELNS0_4arch9wavefront6targetE1EEEvSY_
	.p2align	8
	.type	_ZN7rocprim17ROCPRIM_400000_NS6detail17trampoline_kernelINS0_13select_configILj256ELj13ELNS0_17block_load_methodE3ELS4_3ELS4_3ELNS0_20block_scan_algorithmE0ELj4294967295EEENS1_25partition_config_selectorILNS1_17partition_subalgoE3EjNS0_10empty_typeEbEEZZNS1_14partition_implILS8_3ELb0ES6_jNS0_17counting_iteratorIjlEEPS9_SE_NS0_5tupleIJPjSE_EEENSF_IJSE_SE_EEES9_SG_JZNS1_25segmented_radix_sort_implINS0_14default_configELb0EPKdPdPKlPlN2at6native12_GLOBAL__N_18offset_tEEE10hipError_tPvRmT1_PNSt15iterator_traitsISY_E10value_typeET2_T3_PNSZ_IS14_E10value_typeET4_jRbjT5_S1A_jjP12ihipStream_tbEUljE_EEESV_SW_SX_S14_S18_S1A_T6_T7_T9_mT8_S1C_bDpT10_ENKUlT_T0_E_clISt17integral_constantIbLb0EES1P_EEDaS1K_S1L_EUlS1K_E_NS1_11comp_targetILNS1_3genE3ELNS1_11target_archE908ELNS1_3gpuE7ELNS1_3repE0EEENS1_30default_config_static_selectorELNS0_4arch9wavefront6targetE1EEEvSY_,@function
_ZN7rocprim17ROCPRIM_400000_NS6detail17trampoline_kernelINS0_13select_configILj256ELj13ELNS0_17block_load_methodE3ELS4_3ELS4_3ELNS0_20block_scan_algorithmE0ELj4294967295EEENS1_25partition_config_selectorILNS1_17partition_subalgoE3EjNS0_10empty_typeEbEEZZNS1_14partition_implILS8_3ELb0ES6_jNS0_17counting_iteratorIjlEEPS9_SE_NS0_5tupleIJPjSE_EEENSF_IJSE_SE_EEES9_SG_JZNS1_25segmented_radix_sort_implINS0_14default_configELb0EPKdPdPKlPlN2at6native12_GLOBAL__N_18offset_tEEE10hipError_tPvRmT1_PNSt15iterator_traitsISY_E10value_typeET2_T3_PNSZ_IS14_E10value_typeET4_jRbjT5_S1A_jjP12ihipStream_tbEUljE_EEESV_SW_SX_S14_S18_S1A_T6_T7_T9_mT8_S1C_bDpT10_ENKUlT_T0_E_clISt17integral_constantIbLb0EES1P_EEDaS1K_S1L_EUlS1K_E_NS1_11comp_targetILNS1_3genE3ELNS1_11target_archE908ELNS1_3gpuE7ELNS1_3repE0EEENS1_30default_config_static_selectorELNS0_4arch9wavefront6targetE1EEEvSY_: ; @_ZN7rocprim17ROCPRIM_400000_NS6detail17trampoline_kernelINS0_13select_configILj256ELj13ELNS0_17block_load_methodE3ELS4_3ELS4_3ELNS0_20block_scan_algorithmE0ELj4294967295EEENS1_25partition_config_selectorILNS1_17partition_subalgoE3EjNS0_10empty_typeEbEEZZNS1_14partition_implILS8_3ELb0ES6_jNS0_17counting_iteratorIjlEEPS9_SE_NS0_5tupleIJPjSE_EEENSF_IJSE_SE_EEES9_SG_JZNS1_25segmented_radix_sort_implINS0_14default_configELb0EPKdPdPKlPlN2at6native12_GLOBAL__N_18offset_tEEE10hipError_tPvRmT1_PNSt15iterator_traitsISY_E10value_typeET2_T3_PNSZ_IS14_E10value_typeET4_jRbjT5_S1A_jjP12ihipStream_tbEUljE_EEESV_SW_SX_S14_S18_S1A_T6_T7_T9_mT8_S1C_bDpT10_ENKUlT_T0_E_clISt17integral_constantIbLb0EES1P_EEDaS1K_S1L_EUlS1K_E_NS1_11comp_targetILNS1_3genE3ELNS1_11target_archE908ELNS1_3gpuE7ELNS1_3repE0EEENS1_30default_config_static_selectorELNS0_4arch9wavefront6targetE1EEEvSY_
; %bb.0:
	.section	.rodata,"a",@progbits
	.p2align	6, 0x0
	.amdhsa_kernel _ZN7rocprim17ROCPRIM_400000_NS6detail17trampoline_kernelINS0_13select_configILj256ELj13ELNS0_17block_load_methodE3ELS4_3ELS4_3ELNS0_20block_scan_algorithmE0ELj4294967295EEENS1_25partition_config_selectorILNS1_17partition_subalgoE3EjNS0_10empty_typeEbEEZZNS1_14partition_implILS8_3ELb0ES6_jNS0_17counting_iteratorIjlEEPS9_SE_NS0_5tupleIJPjSE_EEENSF_IJSE_SE_EEES9_SG_JZNS1_25segmented_radix_sort_implINS0_14default_configELb0EPKdPdPKlPlN2at6native12_GLOBAL__N_18offset_tEEE10hipError_tPvRmT1_PNSt15iterator_traitsISY_E10value_typeET2_T3_PNSZ_IS14_E10value_typeET4_jRbjT5_S1A_jjP12ihipStream_tbEUljE_EEESV_SW_SX_S14_S18_S1A_T6_T7_T9_mT8_S1C_bDpT10_ENKUlT_T0_E_clISt17integral_constantIbLb0EES1P_EEDaS1K_S1L_EUlS1K_E_NS1_11comp_targetILNS1_3genE3ELNS1_11target_archE908ELNS1_3gpuE7ELNS1_3repE0EEENS1_30default_config_static_selectorELNS0_4arch9wavefront6targetE1EEEvSY_
		.amdhsa_group_segment_fixed_size 0
		.amdhsa_private_segment_fixed_size 0
		.amdhsa_kernarg_size 144
		.amdhsa_user_sgpr_count 6
		.amdhsa_user_sgpr_private_segment_buffer 1
		.amdhsa_user_sgpr_dispatch_ptr 0
		.amdhsa_user_sgpr_queue_ptr 0
		.amdhsa_user_sgpr_kernarg_segment_ptr 1
		.amdhsa_user_sgpr_dispatch_id 0
		.amdhsa_user_sgpr_flat_scratch_init 0
		.amdhsa_user_sgpr_kernarg_preload_length 0
		.amdhsa_user_sgpr_kernarg_preload_offset 0
		.amdhsa_user_sgpr_private_segment_size 0
		.amdhsa_uses_dynamic_stack 0
		.amdhsa_system_sgpr_private_segment_wavefront_offset 0
		.amdhsa_system_sgpr_workgroup_id_x 1
		.amdhsa_system_sgpr_workgroup_id_y 0
		.amdhsa_system_sgpr_workgroup_id_z 0
		.amdhsa_system_sgpr_workgroup_info 0
		.amdhsa_system_vgpr_workitem_id 0
		.amdhsa_next_free_vgpr 1
		.amdhsa_next_free_sgpr 0
		.amdhsa_accum_offset 4
		.amdhsa_reserve_vcc 0
		.amdhsa_reserve_flat_scratch 0
		.amdhsa_float_round_mode_32 0
		.amdhsa_float_round_mode_16_64 0
		.amdhsa_float_denorm_mode_32 3
		.amdhsa_float_denorm_mode_16_64 3
		.amdhsa_dx10_clamp 1
		.amdhsa_ieee_mode 1
		.amdhsa_fp16_overflow 0
		.amdhsa_tg_split 0
		.amdhsa_exception_fp_ieee_invalid_op 0
		.amdhsa_exception_fp_denorm_src 0
		.amdhsa_exception_fp_ieee_div_zero 0
		.amdhsa_exception_fp_ieee_overflow 0
		.amdhsa_exception_fp_ieee_underflow 0
		.amdhsa_exception_fp_ieee_inexact 0
		.amdhsa_exception_int_div_zero 0
	.end_amdhsa_kernel
	.section	.text._ZN7rocprim17ROCPRIM_400000_NS6detail17trampoline_kernelINS0_13select_configILj256ELj13ELNS0_17block_load_methodE3ELS4_3ELS4_3ELNS0_20block_scan_algorithmE0ELj4294967295EEENS1_25partition_config_selectorILNS1_17partition_subalgoE3EjNS0_10empty_typeEbEEZZNS1_14partition_implILS8_3ELb0ES6_jNS0_17counting_iteratorIjlEEPS9_SE_NS0_5tupleIJPjSE_EEENSF_IJSE_SE_EEES9_SG_JZNS1_25segmented_radix_sort_implINS0_14default_configELb0EPKdPdPKlPlN2at6native12_GLOBAL__N_18offset_tEEE10hipError_tPvRmT1_PNSt15iterator_traitsISY_E10value_typeET2_T3_PNSZ_IS14_E10value_typeET4_jRbjT5_S1A_jjP12ihipStream_tbEUljE_EEESV_SW_SX_S14_S18_S1A_T6_T7_T9_mT8_S1C_bDpT10_ENKUlT_T0_E_clISt17integral_constantIbLb0EES1P_EEDaS1K_S1L_EUlS1K_E_NS1_11comp_targetILNS1_3genE3ELNS1_11target_archE908ELNS1_3gpuE7ELNS1_3repE0EEENS1_30default_config_static_selectorELNS0_4arch9wavefront6targetE1EEEvSY_,"axG",@progbits,_ZN7rocprim17ROCPRIM_400000_NS6detail17trampoline_kernelINS0_13select_configILj256ELj13ELNS0_17block_load_methodE3ELS4_3ELS4_3ELNS0_20block_scan_algorithmE0ELj4294967295EEENS1_25partition_config_selectorILNS1_17partition_subalgoE3EjNS0_10empty_typeEbEEZZNS1_14partition_implILS8_3ELb0ES6_jNS0_17counting_iteratorIjlEEPS9_SE_NS0_5tupleIJPjSE_EEENSF_IJSE_SE_EEES9_SG_JZNS1_25segmented_radix_sort_implINS0_14default_configELb0EPKdPdPKlPlN2at6native12_GLOBAL__N_18offset_tEEE10hipError_tPvRmT1_PNSt15iterator_traitsISY_E10value_typeET2_T3_PNSZ_IS14_E10value_typeET4_jRbjT5_S1A_jjP12ihipStream_tbEUljE_EEESV_SW_SX_S14_S18_S1A_T6_T7_T9_mT8_S1C_bDpT10_ENKUlT_T0_E_clISt17integral_constantIbLb0EES1P_EEDaS1K_S1L_EUlS1K_E_NS1_11comp_targetILNS1_3genE3ELNS1_11target_archE908ELNS1_3gpuE7ELNS1_3repE0EEENS1_30default_config_static_selectorELNS0_4arch9wavefront6targetE1EEEvSY_,comdat
.Lfunc_end1190:
	.size	_ZN7rocprim17ROCPRIM_400000_NS6detail17trampoline_kernelINS0_13select_configILj256ELj13ELNS0_17block_load_methodE3ELS4_3ELS4_3ELNS0_20block_scan_algorithmE0ELj4294967295EEENS1_25partition_config_selectorILNS1_17partition_subalgoE3EjNS0_10empty_typeEbEEZZNS1_14partition_implILS8_3ELb0ES6_jNS0_17counting_iteratorIjlEEPS9_SE_NS0_5tupleIJPjSE_EEENSF_IJSE_SE_EEES9_SG_JZNS1_25segmented_radix_sort_implINS0_14default_configELb0EPKdPdPKlPlN2at6native12_GLOBAL__N_18offset_tEEE10hipError_tPvRmT1_PNSt15iterator_traitsISY_E10value_typeET2_T3_PNSZ_IS14_E10value_typeET4_jRbjT5_S1A_jjP12ihipStream_tbEUljE_EEESV_SW_SX_S14_S18_S1A_T6_T7_T9_mT8_S1C_bDpT10_ENKUlT_T0_E_clISt17integral_constantIbLb0EES1P_EEDaS1K_S1L_EUlS1K_E_NS1_11comp_targetILNS1_3genE3ELNS1_11target_archE908ELNS1_3gpuE7ELNS1_3repE0EEENS1_30default_config_static_selectorELNS0_4arch9wavefront6targetE1EEEvSY_, .Lfunc_end1190-_ZN7rocprim17ROCPRIM_400000_NS6detail17trampoline_kernelINS0_13select_configILj256ELj13ELNS0_17block_load_methodE3ELS4_3ELS4_3ELNS0_20block_scan_algorithmE0ELj4294967295EEENS1_25partition_config_selectorILNS1_17partition_subalgoE3EjNS0_10empty_typeEbEEZZNS1_14partition_implILS8_3ELb0ES6_jNS0_17counting_iteratorIjlEEPS9_SE_NS0_5tupleIJPjSE_EEENSF_IJSE_SE_EEES9_SG_JZNS1_25segmented_radix_sort_implINS0_14default_configELb0EPKdPdPKlPlN2at6native12_GLOBAL__N_18offset_tEEE10hipError_tPvRmT1_PNSt15iterator_traitsISY_E10value_typeET2_T3_PNSZ_IS14_E10value_typeET4_jRbjT5_S1A_jjP12ihipStream_tbEUljE_EEESV_SW_SX_S14_S18_S1A_T6_T7_T9_mT8_S1C_bDpT10_ENKUlT_T0_E_clISt17integral_constantIbLb0EES1P_EEDaS1K_S1L_EUlS1K_E_NS1_11comp_targetILNS1_3genE3ELNS1_11target_archE908ELNS1_3gpuE7ELNS1_3repE0EEENS1_30default_config_static_selectorELNS0_4arch9wavefront6targetE1EEEvSY_
                                        ; -- End function
	.section	.AMDGPU.csdata,"",@progbits
; Kernel info:
; codeLenInByte = 0
; NumSgprs: 4
; NumVgprs: 0
; NumAgprs: 0
; TotalNumVgprs: 0
; ScratchSize: 0
; MemoryBound: 0
; FloatMode: 240
; IeeeMode: 1
; LDSByteSize: 0 bytes/workgroup (compile time only)
; SGPRBlocks: 0
; VGPRBlocks: 0
; NumSGPRsForWavesPerEU: 4
; NumVGPRsForWavesPerEU: 1
; AccumOffset: 4
; Occupancy: 8
; WaveLimiterHint : 0
; COMPUTE_PGM_RSRC2:SCRATCH_EN: 0
; COMPUTE_PGM_RSRC2:USER_SGPR: 6
; COMPUTE_PGM_RSRC2:TRAP_HANDLER: 0
; COMPUTE_PGM_RSRC2:TGID_X_EN: 1
; COMPUTE_PGM_RSRC2:TGID_Y_EN: 0
; COMPUTE_PGM_RSRC2:TGID_Z_EN: 0
; COMPUTE_PGM_RSRC2:TIDIG_COMP_CNT: 0
; COMPUTE_PGM_RSRC3_GFX90A:ACCUM_OFFSET: 0
; COMPUTE_PGM_RSRC3_GFX90A:TG_SPLIT: 0
	.section	.text._ZN7rocprim17ROCPRIM_400000_NS6detail17trampoline_kernelINS0_13select_configILj256ELj13ELNS0_17block_load_methodE3ELS4_3ELS4_3ELNS0_20block_scan_algorithmE0ELj4294967295EEENS1_25partition_config_selectorILNS1_17partition_subalgoE3EjNS0_10empty_typeEbEEZZNS1_14partition_implILS8_3ELb0ES6_jNS0_17counting_iteratorIjlEEPS9_SE_NS0_5tupleIJPjSE_EEENSF_IJSE_SE_EEES9_SG_JZNS1_25segmented_radix_sort_implINS0_14default_configELb0EPKdPdPKlPlN2at6native12_GLOBAL__N_18offset_tEEE10hipError_tPvRmT1_PNSt15iterator_traitsISY_E10value_typeET2_T3_PNSZ_IS14_E10value_typeET4_jRbjT5_S1A_jjP12ihipStream_tbEUljE_EEESV_SW_SX_S14_S18_S1A_T6_T7_T9_mT8_S1C_bDpT10_ENKUlT_T0_E_clISt17integral_constantIbLb0EES1P_EEDaS1K_S1L_EUlS1K_E_NS1_11comp_targetILNS1_3genE2ELNS1_11target_archE906ELNS1_3gpuE6ELNS1_3repE0EEENS1_30default_config_static_selectorELNS0_4arch9wavefront6targetE1EEEvSY_,"axG",@progbits,_ZN7rocprim17ROCPRIM_400000_NS6detail17trampoline_kernelINS0_13select_configILj256ELj13ELNS0_17block_load_methodE3ELS4_3ELS4_3ELNS0_20block_scan_algorithmE0ELj4294967295EEENS1_25partition_config_selectorILNS1_17partition_subalgoE3EjNS0_10empty_typeEbEEZZNS1_14partition_implILS8_3ELb0ES6_jNS0_17counting_iteratorIjlEEPS9_SE_NS0_5tupleIJPjSE_EEENSF_IJSE_SE_EEES9_SG_JZNS1_25segmented_radix_sort_implINS0_14default_configELb0EPKdPdPKlPlN2at6native12_GLOBAL__N_18offset_tEEE10hipError_tPvRmT1_PNSt15iterator_traitsISY_E10value_typeET2_T3_PNSZ_IS14_E10value_typeET4_jRbjT5_S1A_jjP12ihipStream_tbEUljE_EEESV_SW_SX_S14_S18_S1A_T6_T7_T9_mT8_S1C_bDpT10_ENKUlT_T0_E_clISt17integral_constantIbLb0EES1P_EEDaS1K_S1L_EUlS1K_E_NS1_11comp_targetILNS1_3genE2ELNS1_11target_archE906ELNS1_3gpuE6ELNS1_3repE0EEENS1_30default_config_static_selectorELNS0_4arch9wavefront6targetE1EEEvSY_,comdat
	.globl	_ZN7rocprim17ROCPRIM_400000_NS6detail17trampoline_kernelINS0_13select_configILj256ELj13ELNS0_17block_load_methodE3ELS4_3ELS4_3ELNS0_20block_scan_algorithmE0ELj4294967295EEENS1_25partition_config_selectorILNS1_17partition_subalgoE3EjNS0_10empty_typeEbEEZZNS1_14partition_implILS8_3ELb0ES6_jNS0_17counting_iteratorIjlEEPS9_SE_NS0_5tupleIJPjSE_EEENSF_IJSE_SE_EEES9_SG_JZNS1_25segmented_radix_sort_implINS0_14default_configELb0EPKdPdPKlPlN2at6native12_GLOBAL__N_18offset_tEEE10hipError_tPvRmT1_PNSt15iterator_traitsISY_E10value_typeET2_T3_PNSZ_IS14_E10value_typeET4_jRbjT5_S1A_jjP12ihipStream_tbEUljE_EEESV_SW_SX_S14_S18_S1A_T6_T7_T9_mT8_S1C_bDpT10_ENKUlT_T0_E_clISt17integral_constantIbLb0EES1P_EEDaS1K_S1L_EUlS1K_E_NS1_11comp_targetILNS1_3genE2ELNS1_11target_archE906ELNS1_3gpuE6ELNS1_3repE0EEENS1_30default_config_static_selectorELNS0_4arch9wavefront6targetE1EEEvSY_ ; -- Begin function _ZN7rocprim17ROCPRIM_400000_NS6detail17trampoline_kernelINS0_13select_configILj256ELj13ELNS0_17block_load_methodE3ELS4_3ELS4_3ELNS0_20block_scan_algorithmE0ELj4294967295EEENS1_25partition_config_selectorILNS1_17partition_subalgoE3EjNS0_10empty_typeEbEEZZNS1_14partition_implILS8_3ELb0ES6_jNS0_17counting_iteratorIjlEEPS9_SE_NS0_5tupleIJPjSE_EEENSF_IJSE_SE_EEES9_SG_JZNS1_25segmented_radix_sort_implINS0_14default_configELb0EPKdPdPKlPlN2at6native12_GLOBAL__N_18offset_tEEE10hipError_tPvRmT1_PNSt15iterator_traitsISY_E10value_typeET2_T3_PNSZ_IS14_E10value_typeET4_jRbjT5_S1A_jjP12ihipStream_tbEUljE_EEESV_SW_SX_S14_S18_S1A_T6_T7_T9_mT8_S1C_bDpT10_ENKUlT_T0_E_clISt17integral_constantIbLb0EES1P_EEDaS1K_S1L_EUlS1K_E_NS1_11comp_targetILNS1_3genE2ELNS1_11target_archE906ELNS1_3gpuE6ELNS1_3repE0EEENS1_30default_config_static_selectorELNS0_4arch9wavefront6targetE1EEEvSY_
	.p2align	8
	.type	_ZN7rocprim17ROCPRIM_400000_NS6detail17trampoline_kernelINS0_13select_configILj256ELj13ELNS0_17block_load_methodE3ELS4_3ELS4_3ELNS0_20block_scan_algorithmE0ELj4294967295EEENS1_25partition_config_selectorILNS1_17partition_subalgoE3EjNS0_10empty_typeEbEEZZNS1_14partition_implILS8_3ELb0ES6_jNS0_17counting_iteratorIjlEEPS9_SE_NS0_5tupleIJPjSE_EEENSF_IJSE_SE_EEES9_SG_JZNS1_25segmented_radix_sort_implINS0_14default_configELb0EPKdPdPKlPlN2at6native12_GLOBAL__N_18offset_tEEE10hipError_tPvRmT1_PNSt15iterator_traitsISY_E10value_typeET2_T3_PNSZ_IS14_E10value_typeET4_jRbjT5_S1A_jjP12ihipStream_tbEUljE_EEESV_SW_SX_S14_S18_S1A_T6_T7_T9_mT8_S1C_bDpT10_ENKUlT_T0_E_clISt17integral_constantIbLb0EES1P_EEDaS1K_S1L_EUlS1K_E_NS1_11comp_targetILNS1_3genE2ELNS1_11target_archE906ELNS1_3gpuE6ELNS1_3repE0EEENS1_30default_config_static_selectorELNS0_4arch9wavefront6targetE1EEEvSY_,@function
_ZN7rocprim17ROCPRIM_400000_NS6detail17trampoline_kernelINS0_13select_configILj256ELj13ELNS0_17block_load_methodE3ELS4_3ELS4_3ELNS0_20block_scan_algorithmE0ELj4294967295EEENS1_25partition_config_selectorILNS1_17partition_subalgoE3EjNS0_10empty_typeEbEEZZNS1_14partition_implILS8_3ELb0ES6_jNS0_17counting_iteratorIjlEEPS9_SE_NS0_5tupleIJPjSE_EEENSF_IJSE_SE_EEES9_SG_JZNS1_25segmented_radix_sort_implINS0_14default_configELb0EPKdPdPKlPlN2at6native12_GLOBAL__N_18offset_tEEE10hipError_tPvRmT1_PNSt15iterator_traitsISY_E10value_typeET2_T3_PNSZ_IS14_E10value_typeET4_jRbjT5_S1A_jjP12ihipStream_tbEUljE_EEESV_SW_SX_S14_S18_S1A_T6_T7_T9_mT8_S1C_bDpT10_ENKUlT_T0_E_clISt17integral_constantIbLb0EES1P_EEDaS1K_S1L_EUlS1K_E_NS1_11comp_targetILNS1_3genE2ELNS1_11target_archE906ELNS1_3gpuE6ELNS1_3repE0EEENS1_30default_config_static_selectorELNS0_4arch9wavefront6targetE1EEEvSY_: ; @_ZN7rocprim17ROCPRIM_400000_NS6detail17trampoline_kernelINS0_13select_configILj256ELj13ELNS0_17block_load_methodE3ELS4_3ELS4_3ELNS0_20block_scan_algorithmE0ELj4294967295EEENS1_25partition_config_selectorILNS1_17partition_subalgoE3EjNS0_10empty_typeEbEEZZNS1_14partition_implILS8_3ELb0ES6_jNS0_17counting_iteratorIjlEEPS9_SE_NS0_5tupleIJPjSE_EEENSF_IJSE_SE_EEES9_SG_JZNS1_25segmented_radix_sort_implINS0_14default_configELb0EPKdPdPKlPlN2at6native12_GLOBAL__N_18offset_tEEE10hipError_tPvRmT1_PNSt15iterator_traitsISY_E10value_typeET2_T3_PNSZ_IS14_E10value_typeET4_jRbjT5_S1A_jjP12ihipStream_tbEUljE_EEESV_SW_SX_S14_S18_S1A_T6_T7_T9_mT8_S1C_bDpT10_ENKUlT_T0_E_clISt17integral_constantIbLb0EES1P_EEDaS1K_S1L_EUlS1K_E_NS1_11comp_targetILNS1_3genE2ELNS1_11target_archE906ELNS1_3gpuE6ELNS1_3repE0EEENS1_30default_config_static_selectorELNS0_4arch9wavefront6targetE1EEEvSY_
; %bb.0:
	.section	.rodata,"a",@progbits
	.p2align	6, 0x0
	.amdhsa_kernel _ZN7rocprim17ROCPRIM_400000_NS6detail17trampoline_kernelINS0_13select_configILj256ELj13ELNS0_17block_load_methodE3ELS4_3ELS4_3ELNS0_20block_scan_algorithmE0ELj4294967295EEENS1_25partition_config_selectorILNS1_17partition_subalgoE3EjNS0_10empty_typeEbEEZZNS1_14partition_implILS8_3ELb0ES6_jNS0_17counting_iteratorIjlEEPS9_SE_NS0_5tupleIJPjSE_EEENSF_IJSE_SE_EEES9_SG_JZNS1_25segmented_radix_sort_implINS0_14default_configELb0EPKdPdPKlPlN2at6native12_GLOBAL__N_18offset_tEEE10hipError_tPvRmT1_PNSt15iterator_traitsISY_E10value_typeET2_T3_PNSZ_IS14_E10value_typeET4_jRbjT5_S1A_jjP12ihipStream_tbEUljE_EEESV_SW_SX_S14_S18_S1A_T6_T7_T9_mT8_S1C_bDpT10_ENKUlT_T0_E_clISt17integral_constantIbLb0EES1P_EEDaS1K_S1L_EUlS1K_E_NS1_11comp_targetILNS1_3genE2ELNS1_11target_archE906ELNS1_3gpuE6ELNS1_3repE0EEENS1_30default_config_static_selectorELNS0_4arch9wavefront6targetE1EEEvSY_
		.amdhsa_group_segment_fixed_size 0
		.amdhsa_private_segment_fixed_size 0
		.amdhsa_kernarg_size 144
		.amdhsa_user_sgpr_count 6
		.amdhsa_user_sgpr_private_segment_buffer 1
		.amdhsa_user_sgpr_dispatch_ptr 0
		.amdhsa_user_sgpr_queue_ptr 0
		.amdhsa_user_sgpr_kernarg_segment_ptr 1
		.amdhsa_user_sgpr_dispatch_id 0
		.amdhsa_user_sgpr_flat_scratch_init 0
		.amdhsa_user_sgpr_kernarg_preload_length 0
		.amdhsa_user_sgpr_kernarg_preload_offset 0
		.amdhsa_user_sgpr_private_segment_size 0
		.amdhsa_uses_dynamic_stack 0
		.amdhsa_system_sgpr_private_segment_wavefront_offset 0
		.amdhsa_system_sgpr_workgroup_id_x 1
		.amdhsa_system_sgpr_workgroup_id_y 0
		.amdhsa_system_sgpr_workgroup_id_z 0
		.amdhsa_system_sgpr_workgroup_info 0
		.amdhsa_system_vgpr_workitem_id 0
		.amdhsa_next_free_vgpr 1
		.amdhsa_next_free_sgpr 0
		.amdhsa_accum_offset 4
		.amdhsa_reserve_vcc 0
		.amdhsa_reserve_flat_scratch 0
		.amdhsa_float_round_mode_32 0
		.amdhsa_float_round_mode_16_64 0
		.amdhsa_float_denorm_mode_32 3
		.amdhsa_float_denorm_mode_16_64 3
		.amdhsa_dx10_clamp 1
		.amdhsa_ieee_mode 1
		.amdhsa_fp16_overflow 0
		.amdhsa_tg_split 0
		.amdhsa_exception_fp_ieee_invalid_op 0
		.amdhsa_exception_fp_denorm_src 0
		.amdhsa_exception_fp_ieee_div_zero 0
		.amdhsa_exception_fp_ieee_overflow 0
		.amdhsa_exception_fp_ieee_underflow 0
		.amdhsa_exception_fp_ieee_inexact 0
		.amdhsa_exception_int_div_zero 0
	.end_amdhsa_kernel
	.section	.text._ZN7rocprim17ROCPRIM_400000_NS6detail17trampoline_kernelINS0_13select_configILj256ELj13ELNS0_17block_load_methodE3ELS4_3ELS4_3ELNS0_20block_scan_algorithmE0ELj4294967295EEENS1_25partition_config_selectorILNS1_17partition_subalgoE3EjNS0_10empty_typeEbEEZZNS1_14partition_implILS8_3ELb0ES6_jNS0_17counting_iteratorIjlEEPS9_SE_NS0_5tupleIJPjSE_EEENSF_IJSE_SE_EEES9_SG_JZNS1_25segmented_radix_sort_implINS0_14default_configELb0EPKdPdPKlPlN2at6native12_GLOBAL__N_18offset_tEEE10hipError_tPvRmT1_PNSt15iterator_traitsISY_E10value_typeET2_T3_PNSZ_IS14_E10value_typeET4_jRbjT5_S1A_jjP12ihipStream_tbEUljE_EEESV_SW_SX_S14_S18_S1A_T6_T7_T9_mT8_S1C_bDpT10_ENKUlT_T0_E_clISt17integral_constantIbLb0EES1P_EEDaS1K_S1L_EUlS1K_E_NS1_11comp_targetILNS1_3genE2ELNS1_11target_archE906ELNS1_3gpuE6ELNS1_3repE0EEENS1_30default_config_static_selectorELNS0_4arch9wavefront6targetE1EEEvSY_,"axG",@progbits,_ZN7rocprim17ROCPRIM_400000_NS6detail17trampoline_kernelINS0_13select_configILj256ELj13ELNS0_17block_load_methodE3ELS4_3ELS4_3ELNS0_20block_scan_algorithmE0ELj4294967295EEENS1_25partition_config_selectorILNS1_17partition_subalgoE3EjNS0_10empty_typeEbEEZZNS1_14partition_implILS8_3ELb0ES6_jNS0_17counting_iteratorIjlEEPS9_SE_NS0_5tupleIJPjSE_EEENSF_IJSE_SE_EEES9_SG_JZNS1_25segmented_radix_sort_implINS0_14default_configELb0EPKdPdPKlPlN2at6native12_GLOBAL__N_18offset_tEEE10hipError_tPvRmT1_PNSt15iterator_traitsISY_E10value_typeET2_T3_PNSZ_IS14_E10value_typeET4_jRbjT5_S1A_jjP12ihipStream_tbEUljE_EEESV_SW_SX_S14_S18_S1A_T6_T7_T9_mT8_S1C_bDpT10_ENKUlT_T0_E_clISt17integral_constantIbLb0EES1P_EEDaS1K_S1L_EUlS1K_E_NS1_11comp_targetILNS1_3genE2ELNS1_11target_archE906ELNS1_3gpuE6ELNS1_3repE0EEENS1_30default_config_static_selectorELNS0_4arch9wavefront6targetE1EEEvSY_,comdat
.Lfunc_end1191:
	.size	_ZN7rocprim17ROCPRIM_400000_NS6detail17trampoline_kernelINS0_13select_configILj256ELj13ELNS0_17block_load_methodE3ELS4_3ELS4_3ELNS0_20block_scan_algorithmE0ELj4294967295EEENS1_25partition_config_selectorILNS1_17partition_subalgoE3EjNS0_10empty_typeEbEEZZNS1_14partition_implILS8_3ELb0ES6_jNS0_17counting_iteratorIjlEEPS9_SE_NS0_5tupleIJPjSE_EEENSF_IJSE_SE_EEES9_SG_JZNS1_25segmented_radix_sort_implINS0_14default_configELb0EPKdPdPKlPlN2at6native12_GLOBAL__N_18offset_tEEE10hipError_tPvRmT1_PNSt15iterator_traitsISY_E10value_typeET2_T3_PNSZ_IS14_E10value_typeET4_jRbjT5_S1A_jjP12ihipStream_tbEUljE_EEESV_SW_SX_S14_S18_S1A_T6_T7_T9_mT8_S1C_bDpT10_ENKUlT_T0_E_clISt17integral_constantIbLb0EES1P_EEDaS1K_S1L_EUlS1K_E_NS1_11comp_targetILNS1_3genE2ELNS1_11target_archE906ELNS1_3gpuE6ELNS1_3repE0EEENS1_30default_config_static_selectorELNS0_4arch9wavefront6targetE1EEEvSY_, .Lfunc_end1191-_ZN7rocprim17ROCPRIM_400000_NS6detail17trampoline_kernelINS0_13select_configILj256ELj13ELNS0_17block_load_methodE3ELS4_3ELS4_3ELNS0_20block_scan_algorithmE0ELj4294967295EEENS1_25partition_config_selectorILNS1_17partition_subalgoE3EjNS0_10empty_typeEbEEZZNS1_14partition_implILS8_3ELb0ES6_jNS0_17counting_iteratorIjlEEPS9_SE_NS0_5tupleIJPjSE_EEENSF_IJSE_SE_EEES9_SG_JZNS1_25segmented_radix_sort_implINS0_14default_configELb0EPKdPdPKlPlN2at6native12_GLOBAL__N_18offset_tEEE10hipError_tPvRmT1_PNSt15iterator_traitsISY_E10value_typeET2_T3_PNSZ_IS14_E10value_typeET4_jRbjT5_S1A_jjP12ihipStream_tbEUljE_EEESV_SW_SX_S14_S18_S1A_T6_T7_T9_mT8_S1C_bDpT10_ENKUlT_T0_E_clISt17integral_constantIbLb0EES1P_EEDaS1K_S1L_EUlS1K_E_NS1_11comp_targetILNS1_3genE2ELNS1_11target_archE906ELNS1_3gpuE6ELNS1_3repE0EEENS1_30default_config_static_selectorELNS0_4arch9wavefront6targetE1EEEvSY_
                                        ; -- End function
	.section	.AMDGPU.csdata,"",@progbits
; Kernel info:
; codeLenInByte = 0
; NumSgprs: 4
; NumVgprs: 0
; NumAgprs: 0
; TotalNumVgprs: 0
; ScratchSize: 0
; MemoryBound: 0
; FloatMode: 240
; IeeeMode: 1
; LDSByteSize: 0 bytes/workgroup (compile time only)
; SGPRBlocks: 0
; VGPRBlocks: 0
; NumSGPRsForWavesPerEU: 4
; NumVGPRsForWavesPerEU: 1
; AccumOffset: 4
; Occupancy: 8
; WaveLimiterHint : 0
; COMPUTE_PGM_RSRC2:SCRATCH_EN: 0
; COMPUTE_PGM_RSRC2:USER_SGPR: 6
; COMPUTE_PGM_RSRC2:TRAP_HANDLER: 0
; COMPUTE_PGM_RSRC2:TGID_X_EN: 1
; COMPUTE_PGM_RSRC2:TGID_Y_EN: 0
; COMPUTE_PGM_RSRC2:TGID_Z_EN: 0
; COMPUTE_PGM_RSRC2:TIDIG_COMP_CNT: 0
; COMPUTE_PGM_RSRC3_GFX90A:ACCUM_OFFSET: 0
; COMPUTE_PGM_RSRC3_GFX90A:TG_SPLIT: 0
	.section	.text._ZN7rocprim17ROCPRIM_400000_NS6detail17trampoline_kernelINS0_13select_configILj256ELj13ELNS0_17block_load_methodE3ELS4_3ELS4_3ELNS0_20block_scan_algorithmE0ELj4294967295EEENS1_25partition_config_selectorILNS1_17partition_subalgoE3EjNS0_10empty_typeEbEEZZNS1_14partition_implILS8_3ELb0ES6_jNS0_17counting_iteratorIjlEEPS9_SE_NS0_5tupleIJPjSE_EEENSF_IJSE_SE_EEES9_SG_JZNS1_25segmented_radix_sort_implINS0_14default_configELb0EPKdPdPKlPlN2at6native12_GLOBAL__N_18offset_tEEE10hipError_tPvRmT1_PNSt15iterator_traitsISY_E10value_typeET2_T3_PNSZ_IS14_E10value_typeET4_jRbjT5_S1A_jjP12ihipStream_tbEUljE_EEESV_SW_SX_S14_S18_S1A_T6_T7_T9_mT8_S1C_bDpT10_ENKUlT_T0_E_clISt17integral_constantIbLb0EES1P_EEDaS1K_S1L_EUlS1K_E_NS1_11comp_targetILNS1_3genE10ELNS1_11target_archE1200ELNS1_3gpuE4ELNS1_3repE0EEENS1_30default_config_static_selectorELNS0_4arch9wavefront6targetE1EEEvSY_,"axG",@progbits,_ZN7rocprim17ROCPRIM_400000_NS6detail17trampoline_kernelINS0_13select_configILj256ELj13ELNS0_17block_load_methodE3ELS4_3ELS4_3ELNS0_20block_scan_algorithmE0ELj4294967295EEENS1_25partition_config_selectorILNS1_17partition_subalgoE3EjNS0_10empty_typeEbEEZZNS1_14partition_implILS8_3ELb0ES6_jNS0_17counting_iteratorIjlEEPS9_SE_NS0_5tupleIJPjSE_EEENSF_IJSE_SE_EEES9_SG_JZNS1_25segmented_radix_sort_implINS0_14default_configELb0EPKdPdPKlPlN2at6native12_GLOBAL__N_18offset_tEEE10hipError_tPvRmT1_PNSt15iterator_traitsISY_E10value_typeET2_T3_PNSZ_IS14_E10value_typeET4_jRbjT5_S1A_jjP12ihipStream_tbEUljE_EEESV_SW_SX_S14_S18_S1A_T6_T7_T9_mT8_S1C_bDpT10_ENKUlT_T0_E_clISt17integral_constantIbLb0EES1P_EEDaS1K_S1L_EUlS1K_E_NS1_11comp_targetILNS1_3genE10ELNS1_11target_archE1200ELNS1_3gpuE4ELNS1_3repE0EEENS1_30default_config_static_selectorELNS0_4arch9wavefront6targetE1EEEvSY_,comdat
	.globl	_ZN7rocprim17ROCPRIM_400000_NS6detail17trampoline_kernelINS0_13select_configILj256ELj13ELNS0_17block_load_methodE3ELS4_3ELS4_3ELNS0_20block_scan_algorithmE0ELj4294967295EEENS1_25partition_config_selectorILNS1_17partition_subalgoE3EjNS0_10empty_typeEbEEZZNS1_14partition_implILS8_3ELb0ES6_jNS0_17counting_iteratorIjlEEPS9_SE_NS0_5tupleIJPjSE_EEENSF_IJSE_SE_EEES9_SG_JZNS1_25segmented_radix_sort_implINS0_14default_configELb0EPKdPdPKlPlN2at6native12_GLOBAL__N_18offset_tEEE10hipError_tPvRmT1_PNSt15iterator_traitsISY_E10value_typeET2_T3_PNSZ_IS14_E10value_typeET4_jRbjT5_S1A_jjP12ihipStream_tbEUljE_EEESV_SW_SX_S14_S18_S1A_T6_T7_T9_mT8_S1C_bDpT10_ENKUlT_T0_E_clISt17integral_constantIbLb0EES1P_EEDaS1K_S1L_EUlS1K_E_NS1_11comp_targetILNS1_3genE10ELNS1_11target_archE1200ELNS1_3gpuE4ELNS1_3repE0EEENS1_30default_config_static_selectorELNS0_4arch9wavefront6targetE1EEEvSY_ ; -- Begin function _ZN7rocprim17ROCPRIM_400000_NS6detail17trampoline_kernelINS0_13select_configILj256ELj13ELNS0_17block_load_methodE3ELS4_3ELS4_3ELNS0_20block_scan_algorithmE0ELj4294967295EEENS1_25partition_config_selectorILNS1_17partition_subalgoE3EjNS0_10empty_typeEbEEZZNS1_14partition_implILS8_3ELb0ES6_jNS0_17counting_iteratorIjlEEPS9_SE_NS0_5tupleIJPjSE_EEENSF_IJSE_SE_EEES9_SG_JZNS1_25segmented_radix_sort_implINS0_14default_configELb0EPKdPdPKlPlN2at6native12_GLOBAL__N_18offset_tEEE10hipError_tPvRmT1_PNSt15iterator_traitsISY_E10value_typeET2_T3_PNSZ_IS14_E10value_typeET4_jRbjT5_S1A_jjP12ihipStream_tbEUljE_EEESV_SW_SX_S14_S18_S1A_T6_T7_T9_mT8_S1C_bDpT10_ENKUlT_T0_E_clISt17integral_constantIbLb0EES1P_EEDaS1K_S1L_EUlS1K_E_NS1_11comp_targetILNS1_3genE10ELNS1_11target_archE1200ELNS1_3gpuE4ELNS1_3repE0EEENS1_30default_config_static_selectorELNS0_4arch9wavefront6targetE1EEEvSY_
	.p2align	8
	.type	_ZN7rocprim17ROCPRIM_400000_NS6detail17trampoline_kernelINS0_13select_configILj256ELj13ELNS0_17block_load_methodE3ELS4_3ELS4_3ELNS0_20block_scan_algorithmE0ELj4294967295EEENS1_25partition_config_selectorILNS1_17partition_subalgoE3EjNS0_10empty_typeEbEEZZNS1_14partition_implILS8_3ELb0ES6_jNS0_17counting_iteratorIjlEEPS9_SE_NS0_5tupleIJPjSE_EEENSF_IJSE_SE_EEES9_SG_JZNS1_25segmented_radix_sort_implINS0_14default_configELb0EPKdPdPKlPlN2at6native12_GLOBAL__N_18offset_tEEE10hipError_tPvRmT1_PNSt15iterator_traitsISY_E10value_typeET2_T3_PNSZ_IS14_E10value_typeET4_jRbjT5_S1A_jjP12ihipStream_tbEUljE_EEESV_SW_SX_S14_S18_S1A_T6_T7_T9_mT8_S1C_bDpT10_ENKUlT_T0_E_clISt17integral_constantIbLb0EES1P_EEDaS1K_S1L_EUlS1K_E_NS1_11comp_targetILNS1_3genE10ELNS1_11target_archE1200ELNS1_3gpuE4ELNS1_3repE0EEENS1_30default_config_static_selectorELNS0_4arch9wavefront6targetE1EEEvSY_,@function
_ZN7rocprim17ROCPRIM_400000_NS6detail17trampoline_kernelINS0_13select_configILj256ELj13ELNS0_17block_load_methodE3ELS4_3ELS4_3ELNS0_20block_scan_algorithmE0ELj4294967295EEENS1_25partition_config_selectorILNS1_17partition_subalgoE3EjNS0_10empty_typeEbEEZZNS1_14partition_implILS8_3ELb0ES6_jNS0_17counting_iteratorIjlEEPS9_SE_NS0_5tupleIJPjSE_EEENSF_IJSE_SE_EEES9_SG_JZNS1_25segmented_radix_sort_implINS0_14default_configELb0EPKdPdPKlPlN2at6native12_GLOBAL__N_18offset_tEEE10hipError_tPvRmT1_PNSt15iterator_traitsISY_E10value_typeET2_T3_PNSZ_IS14_E10value_typeET4_jRbjT5_S1A_jjP12ihipStream_tbEUljE_EEESV_SW_SX_S14_S18_S1A_T6_T7_T9_mT8_S1C_bDpT10_ENKUlT_T0_E_clISt17integral_constantIbLb0EES1P_EEDaS1K_S1L_EUlS1K_E_NS1_11comp_targetILNS1_3genE10ELNS1_11target_archE1200ELNS1_3gpuE4ELNS1_3repE0EEENS1_30default_config_static_selectorELNS0_4arch9wavefront6targetE1EEEvSY_: ; @_ZN7rocprim17ROCPRIM_400000_NS6detail17trampoline_kernelINS0_13select_configILj256ELj13ELNS0_17block_load_methodE3ELS4_3ELS4_3ELNS0_20block_scan_algorithmE0ELj4294967295EEENS1_25partition_config_selectorILNS1_17partition_subalgoE3EjNS0_10empty_typeEbEEZZNS1_14partition_implILS8_3ELb0ES6_jNS0_17counting_iteratorIjlEEPS9_SE_NS0_5tupleIJPjSE_EEENSF_IJSE_SE_EEES9_SG_JZNS1_25segmented_radix_sort_implINS0_14default_configELb0EPKdPdPKlPlN2at6native12_GLOBAL__N_18offset_tEEE10hipError_tPvRmT1_PNSt15iterator_traitsISY_E10value_typeET2_T3_PNSZ_IS14_E10value_typeET4_jRbjT5_S1A_jjP12ihipStream_tbEUljE_EEESV_SW_SX_S14_S18_S1A_T6_T7_T9_mT8_S1C_bDpT10_ENKUlT_T0_E_clISt17integral_constantIbLb0EES1P_EEDaS1K_S1L_EUlS1K_E_NS1_11comp_targetILNS1_3genE10ELNS1_11target_archE1200ELNS1_3gpuE4ELNS1_3repE0EEENS1_30default_config_static_selectorELNS0_4arch9wavefront6targetE1EEEvSY_
; %bb.0:
	.section	.rodata,"a",@progbits
	.p2align	6, 0x0
	.amdhsa_kernel _ZN7rocprim17ROCPRIM_400000_NS6detail17trampoline_kernelINS0_13select_configILj256ELj13ELNS0_17block_load_methodE3ELS4_3ELS4_3ELNS0_20block_scan_algorithmE0ELj4294967295EEENS1_25partition_config_selectorILNS1_17partition_subalgoE3EjNS0_10empty_typeEbEEZZNS1_14partition_implILS8_3ELb0ES6_jNS0_17counting_iteratorIjlEEPS9_SE_NS0_5tupleIJPjSE_EEENSF_IJSE_SE_EEES9_SG_JZNS1_25segmented_radix_sort_implINS0_14default_configELb0EPKdPdPKlPlN2at6native12_GLOBAL__N_18offset_tEEE10hipError_tPvRmT1_PNSt15iterator_traitsISY_E10value_typeET2_T3_PNSZ_IS14_E10value_typeET4_jRbjT5_S1A_jjP12ihipStream_tbEUljE_EEESV_SW_SX_S14_S18_S1A_T6_T7_T9_mT8_S1C_bDpT10_ENKUlT_T0_E_clISt17integral_constantIbLb0EES1P_EEDaS1K_S1L_EUlS1K_E_NS1_11comp_targetILNS1_3genE10ELNS1_11target_archE1200ELNS1_3gpuE4ELNS1_3repE0EEENS1_30default_config_static_selectorELNS0_4arch9wavefront6targetE1EEEvSY_
		.amdhsa_group_segment_fixed_size 0
		.amdhsa_private_segment_fixed_size 0
		.amdhsa_kernarg_size 144
		.amdhsa_user_sgpr_count 6
		.amdhsa_user_sgpr_private_segment_buffer 1
		.amdhsa_user_sgpr_dispatch_ptr 0
		.amdhsa_user_sgpr_queue_ptr 0
		.amdhsa_user_sgpr_kernarg_segment_ptr 1
		.amdhsa_user_sgpr_dispatch_id 0
		.amdhsa_user_sgpr_flat_scratch_init 0
		.amdhsa_user_sgpr_kernarg_preload_length 0
		.amdhsa_user_sgpr_kernarg_preload_offset 0
		.amdhsa_user_sgpr_private_segment_size 0
		.amdhsa_uses_dynamic_stack 0
		.amdhsa_system_sgpr_private_segment_wavefront_offset 0
		.amdhsa_system_sgpr_workgroup_id_x 1
		.amdhsa_system_sgpr_workgroup_id_y 0
		.amdhsa_system_sgpr_workgroup_id_z 0
		.amdhsa_system_sgpr_workgroup_info 0
		.amdhsa_system_vgpr_workitem_id 0
		.amdhsa_next_free_vgpr 1
		.amdhsa_next_free_sgpr 0
		.amdhsa_accum_offset 4
		.amdhsa_reserve_vcc 0
		.amdhsa_reserve_flat_scratch 0
		.amdhsa_float_round_mode_32 0
		.amdhsa_float_round_mode_16_64 0
		.amdhsa_float_denorm_mode_32 3
		.amdhsa_float_denorm_mode_16_64 3
		.amdhsa_dx10_clamp 1
		.amdhsa_ieee_mode 1
		.amdhsa_fp16_overflow 0
		.amdhsa_tg_split 0
		.amdhsa_exception_fp_ieee_invalid_op 0
		.amdhsa_exception_fp_denorm_src 0
		.amdhsa_exception_fp_ieee_div_zero 0
		.amdhsa_exception_fp_ieee_overflow 0
		.amdhsa_exception_fp_ieee_underflow 0
		.amdhsa_exception_fp_ieee_inexact 0
		.amdhsa_exception_int_div_zero 0
	.end_amdhsa_kernel
	.section	.text._ZN7rocprim17ROCPRIM_400000_NS6detail17trampoline_kernelINS0_13select_configILj256ELj13ELNS0_17block_load_methodE3ELS4_3ELS4_3ELNS0_20block_scan_algorithmE0ELj4294967295EEENS1_25partition_config_selectorILNS1_17partition_subalgoE3EjNS0_10empty_typeEbEEZZNS1_14partition_implILS8_3ELb0ES6_jNS0_17counting_iteratorIjlEEPS9_SE_NS0_5tupleIJPjSE_EEENSF_IJSE_SE_EEES9_SG_JZNS1_25segmented_radix_sort_implINS0_14default_configELb0EPKdPdPKlPlN2at6native12_GLOBAL__N_18offset_tEEE10hipError_tPvRmT1_PNSt15iterator_traitsISY_E10value_typeET2_T3_PNSZ_IS14_E10value_typeET4_jRbjT5_S1A_jjP12ihipStream_tbEUljE_EEESV_SW_SX_S14_S18_S1A_T6_T7_T9_mT8_S1C_bDpT10_ENKUlT_T0_E_clISt17integral_constantIbLb0EES1P_EEDaS1K_S1L_EUlS1K_E_NS1_11comp_targetILNS1_3genE10ELNS1_11target_archE1200ELNS1_3gpuE4ELNS1_3repE0EEENS1_30default_config_static_selectorELNS0_4arch9wavefront6targetE1EEEvSY_,"axG",@progbits,_ZN7rocprim17ROCPRIM_400000_NS6detail17trampoline_kernelINS0_13select_configILj256ELj13ELNS0_17block_load_methodE3ELS4_3ELS4_3ELNS0_20block_scan_algorithmE0ELj4294967295EEENS1_25partition_config_selectorILNS1_17partition_subalgoE3EjNS0_10empty_typeEbEEZZNS1_14partition_implILS8_3ELb0ES6_jNS0_17counting_iteratorIjlEEPS9_SE_NS0_5tupleIJPjSE_EEENSF_IJSE_SE_EEES9_SG_JZNS1_25segmented_radix_sort_implINS0_14default_configELb0EPKdPdPKlPlN2at6native12_GLOBAL__N_18offset_tEEE10hipError_tPvRmT1_PNSt15iterator_traitsISY_E10value_typeET2_T3_PNSZ_IS14_E10value_typeET4_jRbjT5_S1A_jjP12ihipStream_tbEUljE_EEESV_SW_SX_S14_S18_S1A_T6_T7_T9_mT8_S1C_bDpT10_ENKUlT_T0_E_clISt17integral_constantIbLb0EES1P_EEDaS1K_S1L_EUlS1K_E_NS1_11comp_targetILNS1_3genE10ELNS1_11target_archE1200ELNS1_3gpuE4ELNS1_3repE0EEENS1_30default_config_static_selectorELNS0_4arch9wavefront6targetE1EEEvSY_,comdat
.Lfunc_end1192:
	.size	_ZN7rocprim17ROCPRIM_400000_NS6detail17trampoline_kernelINS0_13select_configILj256ELj13ELNS0_17block_load_methodE3ELS4_3ELS4_3ELNS0_20block_scan_algorithmE0ELj4294967295EEENS1_25partition_config_selectorILNS1_17partition_subalgoE3EjNS0_10empty_typeEbEEZZNS1_14partition_implILS8_3ELb0ES6_jNS0_17counting_iteratorIjlEEPS9_SE_NS0_5tupleIJPjSE_EEENSF_IJSE_SE_EEES9_SG_JZNS1_25segmented_radix_sort_implINS0_14default_configELb0EPKdPdPKlPlN2at6native12_GLOBAL__N_18offset_tEEE10hipError_tPvRmT1_PNSt15iterator_traitsISY_E10value_typeET2_T3_PNSZ_IS14_E10value_typeET4_jRbjT5_S1A_jjP12ihipStream_tbEUljE_EEESV_SW_SX_S14_S18_S1A_T6_T7_T9_mT8_S1C_bDpT10_ENKUlT_T0_E_clISt17integral_constantIbLb0EES1P_EEDaS1K_S1L_EUlS1K_E_NS1_11comp_targetILNS1_3genE10ELNS1_11target_archE1200ELNS1_3gpuE4ELNS1_3repE0EEENS1_30default_config_static_selectorELNS0_4arch9wavefront6targetE1EEEvSY_, .Lfunc_end1192-_ZN7rocprim17ROCPRIM_400000_NS6detail17trampoline_kernelINS0_13select_configILj256ELj13ELNS0_17block_load_methodE3ELS4_3ELS4_3ELNS0_20block_scan_algorithmE0ELj4294967295EEENS1_25partition_config_selectorILNS1_17partition_subalgoE3EjNS0_10empty_typeEbEEZZNS1_14partition_implILS8_3ELb0ES6_jNS0_17counting_iteratorIjlEEPS9_SE_NS0_5tupleIJPjSE_EEENSF_IJSE_SE_EEES9_SG_JZNS1_25segmented_radix_sort_implINS0_14default_configELb0EPKdPdPKlPlN2at6native12_GLOBAL__N_18offset_tEEE10hipError_tPvRmT1_PNSt15iterator_traitsISY_E10value_typeET2_T3_PNSZ_IS14_E10value_typeET4_jRbjT5_S1A_jjP12ihipStream_tbEUljE_EEESV_SW_SX_S14_S18_S1A_T6_T7_T9_mT8_S1C_bDpT10_ENKUlT_T0_E_clISt17integral_constantIbLb0EES1P_EEDaS1K_S1L_EUlS1K_E_NS1_11comp_targetILNS1_3genE10ELNS1_11target_archE1200ELNS1_3gpuE4ELNS1_3repE0EEENS1_30default_config_static_selectorELNS0_4arch9wavefront6targetE1EEEvSY_
                                        ; -- End function
	.section	.AMDGPU.csdata,"",@progbits
; Kernel info:
; codeLenInByte = 0
; NumSgprs: 4
; NumVgprs: 0
; NumAgprs: 0
; TotalNumVgprs: 0
; ScratchSize: 0
; MemoryBound: 0
; FloatMode: 240
; IeeeMode: 1
; LDSByteSize: 0 bytes/workgroup (compile time only)
; SGPRBlocks: 0
; VGPRBlocks: 0
; NumSGPRsForWavesPerEU: 4
; NumVGPRsForWavesPerEU: 1
; AccumOffset: 4
; Occupancy: 8
; WaveLimiterHint : 0
; COMPUTE_PGM_RSRC2:SCRATCH_EN: 0
; COMPUTE_PGM_RSRC2:USER_SGPR: 6
; COMPUTE_PGM_RSRC2:TRAP_HANDLER: 0
; COMPUTE_PGM_RSRC2:TGID_X_EN: 1
; COMPUTE_PGM_RSRC2:TGID_Y_EN: 0
; COMPUTE_PGM_RSRC2:TGID_Z_EN: 0
; COMPUTE_PGM_RSRC2:TIDIG_COMP_CNT: 0
; COMPUTE_PGM_RSRC3_GFX90A:ACCUM_OFFSET: 0
; COMPUTE_PGM_RSRC3_GFX90A:TG_SPLIT: 0
	.section	.text._ZN7rocprim17ROCPRIM_400000_NS6detail17trampoline_kernelINS0_13select_configILj256ELj13ELNS0_17block_load_methodE3ELS4_3ELS4_3ELNS0_20block_scan_algorithmE0ELj4294967295EEENS1_25partition_config_selectorILNS1_17partition_subalgoE3EjNS0_10empty_typeEbEEZZNS1_14partition_implILS8_3ELb0ES6_jNS0_17counting_iteratorIjlEEPS9_SE_NS0_5tupleIJPjSE_EEENSF_IJSE_SE_EEES9_SG_JZNS1_25segmented_radix_sort_implINS0_14default_configELb0EPKdPdPKlPlN2at6native12_GLOBAL__N_18offset_tEEE10hipError_tPvRmT1_PNSt15iterator_traitsISY_E10value_typeET2_T3_PNSZ_IS14_E10value_typeET4_jRbjT5_S1A_jjP12ihipStream_tbEUljE_EEESV_SW_SX_S14_S18_S1A_T6_T7_T9_mT8_S1C_bDpT10_ENKUlT_T0_E_clISt17integral_constantIbLb0EES1P_EEDaS1K_S1L_EUlS1K_E_NS1_11comp_targetILNS1_3genE9ELNS1_11target_archE1100ELNS1_3gpuE3ELNS1_3repE0EEENS1_30default_config_static_selectorELNS0_4arch9wavefront6targetE1EEEvSY_,"axG",@progbits,_ZN7rocprim17ROCPRIM_400000_NS6detail17trampoline_kernelINS0_13select_configILj256ELj13ELNS0_17block_load_methodE3ELS4_3ELS4_3ELNS0_20block_scan_algorithmE0ELj4294967295EEENS1_25partition_config_selectorILNS1_17partition_subalgoE3EjNS0_10empty_typeEbEEZZNS1_14partition_implILS8_3ELb0ES6_jNS0_17counting_iteratorIjlEEPS9_SE_NS0_5tupleIJPjSE_EEENSF_IJSE_SE_EEES9_SG_JZNS1_25segmented_radix_sort_implINS0_14default_configELb0EPKdPdPKlPlN2at6native12_GLOBAL__N_18offset_tEEE10hipError_tPvRmT1_PNSt15iterator_traitsISY_E10value_typeET2_T3_PNSZ_IS14_E10value_typeET4_jRbjT5_S1A_jjP12ihipStream_tbEUljE_EEESV_SW_SX_S14_S18_S1A_T6_T7_T9_mT8_S1C_bDpT10_ENKUlT_T0_E_clISt17integral_constantIbLb0EES1P_EEDaS1K_S1L_EUlS1K_E_NS1_11comp_targetILNS1_3genE9ELNS1_11target_archE1100ELNS1_3gpuE3ELNS1_3repE0EEENS1_30default_config_static_selectorELNS0_4arch9wavefront6targetE1EEEvSY_,comdat
	.globl	_ZN7rocprim17ROCPRIM_400000_NS6detail17trampoline_kernelINS0_13select_configILj256ELj13ELNS0_17block_load_methodE3ELS4_3ELS4_3ELNS0_20block_scan_algorithmE0ELj4294967295EEENS1_25partition_config_selectorILNS1_17partition_subalgoE3EjNS0_10empty_typeEbEEZZNS1_14partition_implILS8_3ELb0ES6_jNS0_17counting_iteratorIjlEEPS9_SE_NS0_5tupleIJPjSE_EEENSF_IJSE_SE_EEES9_SG_JZNS1_25segmented_radix_sort_implINS0_14default_configELb0EPKdPdPKlPlN2at6native12_GLOBAL__N_18offset_tEEE10hipError_tPvRmT1_PNSt15iterator_traitsISY_E10value_typeET2_T3_PNSZ_IS14_E10value_typeET4_jRbjT5_S1A_jjP12ihipStream_tbEUljE_EEESV_SW_SX_S14_S18_S1A_T6_T7_T9_mT8_S1C_bDpT10_ENKUlT_T0_E_clISt17integral_constantIbLb0EES1P_EEDaS1K_S1L_EUlS1K_E_NS1_11comp_targetILNS1_3genE9ELNS1_11target_archE1100ELNS1_3gpuE3ELNS1_3repE0EEENS1_30default_config_static_selectorELNS0_4arch9wavefront6targetE1EEEvSY_ ; -- Begin function _ZN7rocprim17ROCPRIM_400000_NS6detail17trampoline_kernelINS0_13select_configILj256ELj13ELNS0_17block_load_methodE3ELS4_3ELS4_3ELNS0_20block_scan_algorithmE0ELj4294967295EEENS1_25partition_config_selectorILNS1_17partition_subalgoE3EjNS0_10empty_typeEbEEZZNS1_14partition_implILS8_3ELb0ES6_jNS0_17counting_iteratorIjlEEPS9_SE_NS0_5tupleIJPjSE_EEENSF_IJSE_SE_EEES9_SG_JZNS1_25segmented_radix_sort_implINS0_14default_configELb0EPKdPdPKlPlN2at6native12_GLOBAL__N_18offset_tEEE10hipError_tPvRmT1_PNSt15iterator_traitsISY_E10value_typeET2_T3_PNSZ_IS14_E10value_typeET4_jRbjT5_S1A_jjP12ihipStream_tbEUljE_EEESV_SW_SX_S14_S18_S1A_T6_T7_T9_mT8_S1C_bDpT10_ENKUlT_T0_E_clISt17integral_constantIbLb0EES1P_EEDaS1K_S1L_EUlS1K_E_NS1_11comp_targetILNS1_3genE9ELNS1_11target_archE1100ELNS1_3gpuE3ELNS1_3repE0EEENS1_30default_config_static_selectorELNS0_4arch9wavefront6targetE1EEEvSY_
	.p2align	8
	.type	_ZN7rocprim17ROCPRIM_400000_NS6detail17trampoline_kernelINS0_13select_configILj256ELj13ELNS0_17block_load_methodE3ELS4_3ELS4_3ELNS0_20block_scan_algorithmE0ELj4294967295EEENS1_25partition_config_selectorILNS1_17partition_subalgoE3EjNS0_10empty_typeEbEEZZNS1_14partition_implILS8_3ELb0ES6_jNS0_17counting_iteratorIjlEEPS9_SE_NS0_5tupleIJPjSE_EEENSF_IJSE_SE_EEES9_SG_JZNS1_25segmented_radix_sort_implINS0_14default_configELb0EPKdPdPKlPlN2at6native12_GLOBAL__N_18offset_tEEE10hipError_tPvRmT1_PNSt15iterator_traitsISY_E10value_typeET2_T3_PNSZ_IS14_E10value_typeET4_jRbjT5_S1A_jjP12ihipStream_tbEUljE_EEESV_SW_SX_S14_S18_S1A_T6_T7_T9_mT8_S1C_bDpT10_ENKUlT_T0_E_clISt17integral_constantIbLb0EES1P_EEDaS1K_S1L_EUlS1K_E_NS1_11comp_targetILNS1_3genE9ELNS1_11target_archE1100ELNS1_3gpuE3ELNS1_3repE0EEENS1_30default_config_static_selectorELNS0_4arch9wavefront6targetE1EEEvSY_,@function
_ZN7rocprim17ROCPRIM_400000_NS6detail17trampoline_kernelINS0_13select_configILj256ELj13ELNS0_17block_load_methodE3ELS4_3ELS4_3ELNS0_20block_scan_algorithmE0ELj4294967295EEENS1_25partition_config_selectorILNS1_17partition_subalgoE3EjNS0_10empty_typeEbEEZZNS1_14partition_implILS8_3ELb0ES6_jNS0_17counting_iteratorIjlEEPS9_SE_NS0_5tupleIJPjSE_EEENSF_IJSE_SE_EEES9_SG_JZNS1_25segmented_radix_sort_implINS0_14default_configELb0EPKdPdPKlPlN2at6native12_GLOBAL__N_18offset_tEEE10hipError_tPvRmT1_PNSt15iterator_traitsISY_E10value_typeET2_T3_PNSZ_IS14_E10value_typeET4_jRbjT5_S1A_jjP12ihipStream_tbEUljE_EEESV_SW_SX_S14_S18_S1A_T6_T7_T9_mT8_S1C_bDpT10_ENKUlT_T0_E_clISt17integral_constantIbLb0EES1P_EEDaS1K_S1L_EUlS1K_E_NS1_11comp_targetILNS1_3genE9ELNS1_11target_archE1100ELNS1_3gpuE3ELNS1_3repE0EEENS1_30default_config_static_selectorELNS0_4arch9wavefront6targetE1EEEvSY_: ; @_ZN7rocprim17ROCPRIM_400000_NS6detail17trampoline_kernelINS0_13select_configILj256ELj13ELNS0_17block_load_methodE3ELS4_3ELS4_3ELNS0_20block_scan_algorithmE0ELj4294967295EEENS1_25partition_config_selectorILNS1_17partition_subalgoE3EjNS0_10empty_typeEbEEZZNS1_14partition_implILS8_3ELb0ES6_jNS0_17counting_iteratorIjlEEPS9_SE_NS0_5tupleIJPjSE_EEENSF_IJSE_SE_EEES9_SG_JZNS1_25segmented_radix_sort_implINS0_14default_configELb0EPKdPdPKlPlN2at6native12_GLOBAL__N_18offset_tEEE10hipError_tPvRmT1_PNSt15iterator_traitsISY_E10value_typeET2_T3_PNSZ_IS14_E10value_typeET4_jRbjT5_S1A_jjP12ihipStream_tbEUljE_EEESV_SW_SX_S14_S18_S1A_T6_T7_T9_mT8_S1C_bDpT10_ENKUlT_T0_E_clISt17integral_constantIbLb0EES1P_EEDaS1K_S1L_EUlS1K_E_NS1_11comp_targetILNS1_3genE9ELNS1_11target_archE1100ELNS1_3gpuE3ELNS1_3repE0EEENS1_30default_config_static_selectorELNS0_4arch9wavefront6targetE1EEEvSY_
; %bb.0:
	.section	.rodata,"a",@progbits
	.p2align	6, 0x0
	.amdhsa_kernel _ZN7rocprim17ROCPRIM_400000_NS6detail17trampoline_kernelINS0_13select_configILj256ELj13ELNS0_17block_load_methodE3ELS4_3ELS4_3ELNS0_20block_scan_algorithmE0ELj4294967295EEENS1_25partition_config_selectorILNS1_17partition_subalgoE3EjNS0_10empty_typeEbEEZZNS1_14partition_implILS8_3ELb0ES6_jNS0_17counting_iteratorIjlEEPS9_SE_NS0_5tupleIJPjSE_EEENSF_IJSE_SE_EEES9_SG_JZNS1_25segmented_radix_sort_implINS0_14default_configELb0EPKdPdPKlPlN2at6native12_GLOBAL__N_18offset_tEEE10hipError_tPvRmT1_PNSt15iterator_traitsISY_E10value_typeET2_T3_PNSZ_IS14_E10value_typeET4_jRbjT5_S1A_jjP12ihipStream_tbEUljE_EEESV_SW_SX_S14_S18_S1A_T6_T7_T9_mT8_S1C_bDpT10_ENKUlT_T0_E_clISt17integral_constantIbLb0EES1P_EEDaS1K_S1L_EUlS1K_E_NS1_11comp_targetILNS1_3genE9ELNS1_11target_archE1100ELNS1_3gpuE3ELNS1_3repE0EEENS1_30default_config_static_selectorELNS0_4arch9wavefront6targetE1EEEvSY_
		.amdhsa_group_segment_fixed_size 0
		.amdhsa_private_segment_fixed_size 0
		.amdhsa_kernarg_size 144
		.amdhsa_user_sgpr_count 6
		.amdhsa_user_sgpr_private_segment_buffer 1
		.amdhsa_user_sgpr_dispatch_ptr 0
		.amdhsa_user_sgpr_queue_ptr 0
		.amdhsa_user_sgpr_kernarg_segment_ptr 1
		.amdhsa_user_sgpr_dispatch_id 0
		.amdhsa_user_sgpr_flat_scratch_init 0
		.amdhsa_user_sgpr_kernarg_preload_length 0
		.amdhsa_user_sgpr_kernarg_preload_offset 0
		.amdhsa_user_sgpr_private_segment_size 0
		.amdhsa_uses_dynamic_stack 0
		.amdhsa_system_sgpr_private_segment_wavefront_offset 0
		.amdhsa_system_sgpr_workgroup_id_x 1
		.amdhsa_system_sgpr_workgroup_id_y 0
		.amdhsa_system_sgpr_workgroup_id_z 0
		.amdhsa_system_sgpr_workgroup_info 0
		.amdhsa_system_vgpr_workitem_id 0
		.amdhsa_next_free_vgpr 1
		.amdhsa_next_free_sgpr 0
		.amdhsa_accum_offset 4
		.amdhsa_reserve_vcc 0
		.amdhsa_reserve_flat_scratch 0
		.amdhsa_float_round_mode_32 0
		.amdhsa_float_round_mode_16_64 0
		.amdhsa_float_denorm_mode_32 3
		.amdhsa_float_denorm_mode_16_64 3
		.amdhsa_dx10_clamp 1
		.amdhsa_ieee_mode 1
		.amdhsa_fp16_overflow 0
		.amdhsa_tg_split 0
		.amdhsa_exception_fp_ieee_invalid_op 0
		.amdhsa_exception_fp_denorm_src 0
		.amdhsa_exception_fp_ieee_div_zero 0
		.amdhsa_exception_fp_ieee_overflow 0
		.amdhsa_exception_fp_ieee_underflow 0
		.amdhsa_exception_fp_ieee_inexact 0
		.amdhsa_exception_int_div_zero 0
	.end_amdhsa_kernel
	.section	.text._ZN7rocprim17ROCPRIM_400000_NS6detail17trampoline_kernelINS0_13select_configILj256ELj13ELNS0_17block_load_methodE3ELS4_3ELS4_3ELNS0_20block_scan_algorithmE0ELj4294967295EEENS1_25partition_config_selectorILNS1_17partition_subalgoE3EjNS0_10empty_typeEbEEZZNS1_14partition_implILS8_3ELb0ES6_jNS0_17counting_iteratorIjlEEPS9_SE_NS0_5tupleIJPjSE_EEENSF_IJSE_SE_EEES9_SG_JZNS1_25segmented_radix_sort_implINS0_14default_configELb0EPKdPdPKlPlN2at6native12_GLOBAL__N_18offset_tEEE10hipError_tPvRmT1_PNSt15iterator_traitsISY_E10value_typeET2_T3_PNSZ_IS14_E10value_typeET4_jRbjT5_S1A_jjP12ihipStream_tbEUljE_EEESV_SW_SX_S14_S18_S1A_T6_T7_T9_mT8_S1C_bDpT10_ENKUlT_T0_E_clISt17integral_constantIbLb0EES1P_EEDaS1K_S1L_EUlS1K_E_NS1_11comp_targetILNS1_3genE9ELNS1_11target_archE1100ELNS1_3gpuE3ELNS1_3repE0EEENS1_30default_config_static_selectorELNS0_4arch9wavefront6targetE1EEEvSY_,"axG",@progbits,_ZN7rocprim17ROCPRIM_400000_NS6detail17trampoline_kernelINS0_13select_configILj256ELj13ELNS0_17block_load_methodE3ELS4_3ELS4_3ELNS0_20block_scan_algorithmE0ELj4294967295EEENS1_25partition_config_selectorILNS1_17partition_subalgoE3EjNS0_10empty_typeEbEEZZNS1_14partition_implILS8_3ELb0ES6_jNS0_17counting_iteratorIjlEEPS9_SE_NS0_5tupleIJPjSE_EEENSF_IJSE_SE_EEES9_SG_JZNS1_25segmented_radix_sort_implINS0_14default_configELb0EPKdPdPKlPlN2at6native12_GLOBAL__N_18offset_tEEE10hipError_tPvRmT1_PNSt15iterator_traitsISY_E10value_typeET2_T3_PNSZ_IS14_E10value_typeET4_jRbjT5_S1A_jjP12ihipStream_tbEUljE_EEESV_SW_SX_S14_S18_S1A_T6_T7_T9_mT8_S1C_bDpT10_ENKUlT_T0_E_clISt17integral_constantIbLb0EES1P_EEDaS1K_S1L_EUlS1K_E_NS1_11comp_targetILNS1_3genE9ELNS1_11target_archE1100ELNS1_3gpuE3ELNS1_3repE0EEENS1_30default_config_static_selectorELNS0_4arch9wavefront6targetE1EEEvSY_,comdat
.Lfunc_end1193:
	.size	_ZN7rocprim17ROCPRIM_400000_NS6detail17trampoline_kernelINS0_13select_configILj256ELj13ELNS0_17block_load_methodE3ELS4_3ELS4_3ELNS0_20block_scan_algorithmE0ELj4294967295EEENS1_25partition_config_selectorILNS1_17partition_subalgoE3EjNS0_10empty_typeEbEEZZNS1_14partition_implILS8_3ELb0ES6_jNS0_17counting_iteratorIjlEEPS9_SE_NS0_5tupleIJPjSE_EEENSF_IJSE_SE_EEES9_SG_JZNS1_25segmented_radix_sort_implINS0_14default_configELb0EPKdPdPKlPlN2at6native12_GLOBAL__N_18offset_tEEE10hipError_tPvRmT1_PNSt15iterator_traitsISY_E10value_typeET2_T3_PNSZ_IS14_E10value_typeET4_jRbjT5_S1A_jjP12ihipStream_tbEUljE_EEESV_SW_SX_S14_S18_S1A_T6_T7_T9_mT8_S1C_bDpT10_ENKUlT_T0_E_clISt17integral_constantIbLb0EES1P_EEDaS1K_S1L_EUlS1K_E_NS1_11comp_targetILNS1_3genE9ELNS1_11target_archE1100ELNS1_3gpuE3ELNS1_3repE0EEENS1_30default_config_static_selectorELNS0_4arch9wavefront6targetE1EEEvSY_, .Lfunc_end1193-_ZN7rocprim17ROCPRIM_400000_NS6detail17trampoline_kernelINS0_13select_configILj256ELj13ELNS0_17block_load_methodE3ELS4_3ELS4_3ELNS0_20block_scan_algorithmE0ELj4294967295EEENS1_25partition_config_selectorILNS1_17partition_subalgoE3EjNS0_10empty_typeEbEEZZNS1_14partition_implILS8_3ELb0ES6_jNS0_17counting_iteratorIjlEEPS9_SE_NS0_5tupleIJPjSE_EEENSF_IJSE_SE_EEES9_SG_JZNS1_25segmented_radix_sort_implINS0_14default_configELb0EPKdPdPKlPlN2at6native12_GLOBAL__N_18offset_tEEE10hipError_tPvRmT1_PNSt15iterator_traitsISY_E10value_typeET2_T3_PNSZ_IS14_E10value_typeET4_jRbjT5_S1A_jjP12ihipStream_tbEUljE_EEESV_SW_SX_S14_S18_S1A_T6_T7_T9_mT8_S1C_bDpT10_ENKUlT_T0_E_clISt17integral_constantIbLb0EES1P_EEDaS1K_S1L_EUlS1K_E_NS1_11comp_targetILNS1_3genE9ELNS1_11target_archE1100ELNS1_3gpuE3ELNS1_3repE0EEENS1_30default_config_static_selectorELNS0_4arch9wavefront6targetE1EEEvSY_
                                        ; -- End function
	.section	.AMDGPU.csdata,"",@progbits
; Kernel info:
; codeLenInByte = 0
; NumSgprs: 4
; NumVgprs: 0
; NumAgprs: 0
; TotalNumVgprs: 0
; ScratchSize: 0
; MemoryBound: 0
; FloatMode: 240
; IeeeMode: 1
; LDSByteSize: 0 bytes/workgroup (compile time only)
; SGPRBlocks: 0
; VGPRBlocks: 0
; NumSGPRsForWavesPerEU: 4
; NumVGPRsForWavesPerEU: 1
; AccumOffset: 4
; Occupancy: 8
; WaveLimiterHint : 0
; COMPUTE_PGM_RSRC2:SCRATCH_EN: 0
; COMPUTE_PGM_RSRC2:USER_SGPR: 6
; COMPUTE_PGM_RSRC2:TRAP_HANDLER: 0
; COMPUTE_PGM_RSRC2:TGID_X_EN: 1
; COMPUTE_PGM_RSRC2:TGID_Y_EN: 0
; COMPUTE_PGM_RSRC2:TGID_Z_EN: 0
; COMPUTE_PGM_RSRC2:TIDIG_COMP_CNT: 0
; COMPUTE_PGM_RSRC3_GFX90A:ACCUM_OFFSET: 0
; COMPUTE_PGM_RSRC3_GFX90A:TG_SPLIT: 0
	.section	.text._ZN7rocprim17ROCPRIM_400000_NS6detail17trampoline_kernelINS0_13select_configILj256ELj13ELNS0_17block_load_methodE3ELS4_3ELS4_3ELNS0_20block_scan_algorithmE0ELj4294967295EEENS1_25partition_config_selectorILNS1_17partition_subalgoE3EjNS0_10empty_typeEbEEZZNS1_14partition_implILS8_3ELb0ES6_jNS0_17counting_iteratorIjlEEPS9_SE_NS0_5tupleIJPjSE_EEENSF_IJSE_SE_EEES9_SG_JZNS1_25segmented_radix_sort_implINS0_14default_configELb0EPKdPdPKlPlN2at6native12_GLOBAL__N_18offset_tEEE10hipError_tPvRmT1_PNSt15iterator_traitsISY_E10value_typeET2_T3_PNSZ_IS14_E10value_typeET4_jRbjT5_S1A_jjP12ihipStream_tbEUljE_EEESV_SW_SX_S14_S18_S1A_T6_T7_T9_mT8_S1C_bDpT10_ENKUlT_T0_E_clISt17integral_constantIbLb0EES1P_EEDaS1K_S1L_EUlS1K_E_NS1_11comp_targetILNS1_3genE8ELNS1_11target_archE1030ELNS1_3gpuE2ELNS1_3repE0EEENS1_30default_config_static_selectorELNS0_4arch9wavefront6targetE1EEEvSY_,"axG",@progbits,_ZN7rocprim17ROCPRIM_400000_NS6detail17trampoline_kernelINS0_13select_configILj256ELj13ELNS0_17block_load_methodE3ELS4_3ELS4_3ELNS0_20block_scan_algorithmE0ELj4294967295EEENS1_25partition_config_selectorILNS1_17partition_subalgoE3EjNS0_10empty_typeEbEEZZNS1_14partition_implILS8_3ELb0ES6_jNS0_17counting_iteratorIjlEEPS9_SE_NS0_5tupleIJPjSE_EEENSF_IJSE_SE_EEES9_SG_JZNS1_25segmented_radix_sort_implINS0_14default_configELb0EPKdPdPKlPlN2at6native12_GLOBAL__N_18offset_tEEE10hipError_tPvRmT1_PNSt15iterator_traitsISY_E10value_typeET2_T3_PNSZ_IS14_E10value_typeET4_jRbjT5_S1A_jjP12ihipStream_tbEUljE_EEESV_SW_SX_S14_S18_S1A_T6_T7_T9_mT8_S1C_bDpT10_ENKUlT_T0_E_clISt17integral_constantIbLb0EES1P_EEDaS1K_S1L_EUlS1K_E_NS1_11comp_targetILNS1_3genE8ELNS1_11target_archE1030ELNS1_3gpuE2ELNS1_3repE0EEENS1_30default_config_static_selectorELNS0_4arch9wavefront6targetE1EEEvSY_,comdat
	.globl	_ZN7rocprim17ROCPRIM_400000_NS6detail17trampoline_kernelINS0_13select_configILj256ELj13ELNS0_17block_load_methodE3ELS4_3ELS4_3ELNS0_20block_scan_algorithmE0ELj4294967295EEENS1_25partition_config_selectorILNS1_17partition_subalgoE3EjNS0_10empty_typeEbEEZZNS1_14partition_implILS8_3ELb0ES6_jNS0_17counting_iteratorIjlEEPS9_SE_NS0_5tupleIJPjSE_EEENSF_IJSE_SE_EEES9_SG_JZNS1_25segmented_radix_sort_implINS0_14default_configELb0EPKdPdPKlPlN2at6native12_GLOBAL__N_18offset_tEEE10hipError_tPvRmT1_PNSt15iterator_traitsISY_E10value_typeET2_T3_PNSZ_IS14_E10value_typeET4_jRbjT5_S1A_jjP12ihipStream_tbEUljE_EEESV_SW_SX_S14_S18_S1A_T6_T7_T9_mT8_S1C_bDpT10_ENKUlT_T0_E_clISt17integral_constantIbLb0EES1P_EEDaS1K_S1L_EUlS1K_E_NS1_11comp_targetILNS1_3genE8ELNS1_11target_archE1030ELNS1_3gpuE2ELNS1_3repE0EEENS1_30default_config_static_selectorELNS0_4arch9wavefront6targetE1EEEvSY_ ; -- Begin function _ZN7rocprim17ROCPRIM_400000_NS6detail17trampoline_kernelINS0_13select_configILj256ELj13ELNS0_17block_load_methodE3ELS4_3ELS4_3ELNS0_20block_scan_algorithmE0ELj4294967295EEENS1_25partition_config_selectorILNS1_17partition_subalgoE3EjNS0_10empty_typeEbEEZZNS1_14partition_implILS8_3ELb0ES6_jNS0_17counting_iteratorIjlEEPS9_SE_NS0_5tupleIJPjSE_EEENSF_IJSE_SE_EEES9_SG_JZNS1_25segmented_radix_sort_implINS0_14default_configELb0EPKdPdPKlPlN2at6native12_GLOBAL__N_18offset_tEEE10hipError_tPvRmT1_PNSt15iterator_traitsISY_E10value_typeET2_T3_PNSZ_IS14_E10value_typeET4_jRbjT5_S1A_jjP12ihipStream_tbEUljE_EEESV_SW_SX_S14_S18_S1A_T6_T7_T9_mT8_S1C_bDpT10_ENKUlT_T0_E_clISt17integral_constantIbLb0EES1P_EEDaS1K_S1L_EUlS1K_E_NS1_11comp_targetILNS1_3genE8ELNS1_11target_archE1030ELNS1_3gpuE2ELNS1_3repE0EEENS1_30default_config_static_selectorELNS0_4arch9wavefront6targetE1EEEvSY_
	.p2align	8
	.type	_ZN7rocprim17ROCPRIM_400000_NS6detail17trampoline_kernelINS0_13select_configILj256ELj13ELNS0_17block_load_methodE3ELS4_3ELS4_3ELNS0_20block_scan_algorithmE0ELj4294967295EEENS1_25partition_config_selectorILNS1_17partition_subalgoE3EjNS0_10empty_typeEbEEZZNS1_14partition_implILS8_3ELb0ES6_jNS0_17counting_iteratorIjlEEPS9_SE_NS0_5tupleIJPjSE_EEENSF_IJSE_SE_EEES9_SG_JZNS1_25segmented_radix_sort_implINS0_14default_configELb0EPKdPdPKlPlN2at6native12_GLOBAL__N_18offset_tEEE10hipError_tPvRmT1_PNSt15iterator_traitsISY_E10value_typeET2_T3_PNSZ_IS14_E10value_typeET4_jRbjT5_S1A_jjP12ihipStream_tbEUljE_EEESV_SW_SX_S14_S18_S1A_T6_T7_T9_mT8_S1C_bDpT10_ENKUlT_T0_E_clISt17integral_constantIbLb0EES1P_EEDaS1K_S1L_EUlS1K_E_NS1_11comp_targetILNS1_3genE8ELNS1_11target_archE1030ELNS1_3gpuE2ELNS1_3repE0EEENS1_30default_config_static_selectorELNS0_4arch9wavefront6targetE1EEEvSY_,@function
_ZN7rocprim17ROCPRIM_400000_NS6detail17trampoline_kernelINS0_13select_configILj256ELj13ELNS0_17block_load_methodE3ELS4_3ELS4_3ELNS0_20block_scan_algorithmE0ELj4294967295EEENS1_25partition_config_selectorILNS1_17partition_subalgoE3EjNS0_10empty_typeEbEEZZNS1_14partition_implILS8_3ELb0ES6_jNS0_17counting_iteratorIjlEEPS9_SE_NS0_5tupleIJPjSE_EEENSF_IJSE_SE_EEES9_SG_JZNS1_25segmented_radix_sort_implINS0_14default_configELb0EPKdPdPKlPlN2at6native12_GLOBAL__N_18offset_tEEE10hipError_tPvRmT1_PNSt15iterator_traitsISY_E10value_typeET2_T3_PNSZ_IS14_E10value_typeET4_jRbjT5_S1A_jjP12ihipStream_tbEUljE_EEESV_SW_SX_S14_S18_S1A_T6_T7_T9_mT8_S1C_bDpT10_ENKUlT_T0_E_clISt17integral_constantIbLb0EES1P_EEDaS1K_S1L_EUlS1K_E_NS1_11comp_targetILNS1_3genE8ELNS1_11target_archE1030ELNS1_3gpuE2ELNS1_3repE0EEENS1_30default_config_static_selectorELNS0_4arch9wavefront6targetE1EEEvSY_: ; @_ZN7rocprim17ROCPRIM_400000_NS6detail17trampoline_kernelINS0_13select_configILj256ELj13ELNS0_17block_load_methodE3ELS4_3ELS4_3ELNS0_20block_scan_algorithmE0ELj4294967295EEENS1_25partition_config_selectorILNS1_17partition_subalgoE3EjNS0_10empty_typeEbEEZZNS1_14partition_implILS8_3ELb0ES6_jNS0_17counting_iteratorIjlEEPS9_SE_NS0_5tupleIJPjSE_EEENSF_IJSE_SE_EEES9_SG_JZNS1_25segmented_radix_sort_implINS0_14default_configELb0EPKdPdPKlPlN2at6native12_GLOBAL__N_18offset_tEEE10hipError_tPvRmT1_PNSt15iterator_traitsISY_E10value_typeET2_T3_PNSZ_IS14_E10value_typeET4_jRbjT5_S1A_jjP12ihipStream_tbEUljE_EEESV_SW_SX_S14_S18_S1A_T6_T7_T9_mT8_S1C_bDpT10_ENKUlT_T0_E_clISt17integral_constantIbLb0EES1P_EEDaS1K_S1L_EUlS1K_E_NS1_11comp_targetILNS1_3genE8ELNS1_11target_archE1030ELNS1_3gpuE2ELNS1_3repE0EEENS1_30default_config_static_selectorELNS0_4arch9wavefront6targetE1EEEvSY_
; %bb.0:
	.section	.rodata,"a",@progbits
	.p2align	6, 0x0
	.amdhsa_kernel _ZN7rocprim17ROCPRIM_400000_NS6detail17trampoline_kernelINS0_13select_configILj256ELj13ELNS0_17block_load_methodE3ELS4_3ELS4_3ELNS0_20block_scan_algorithmE0ELj4294967295EEENS1_25partition_config_selectorILNS1_17partition_subalgoE3EjNS0_10empty_typeEbEEZZNS1_14partition_implILS8_3ELb0ES6_jNS0_17counting_iteratorIjlEEPS9_SE_NS0_5tupleIJPjSE_EEENSF_IJSE_SE_EEES9_SG_JZNS1_25segmented_radix_sort_implINS0_14default_configELb0EPKdPdPKlPlN2at6native12_GLOBAL__N_18offset_tEEE10hipError_tPvRmT1_PNSt15iterator_traitsISY_E10value_typeET2_T3_PNSZ_IS14_E10value_typeET4_jRbjT5_S1A_jjP12ihipStream_tbEUljE_EEESV_SW_SX_S14_S18_S1A_T6_T7_T9_mT8_S1C_bDpT10_ENKUlT_T0_E_clISt17integral_constantIbLb0EES1P_EEDaS1K_S1L_EUlS1K_E_NS1_11comp_targetILNS1_3genE8ELNS1_11target_archE1030ELNS1_3gpuE2ELNS1_3repE0EEENS1_30default_config_static_selectorELNS0_4arch9wavefront6targetE1EEEvSY_
		.amdhsa_group_segment_fixed_size 0
		.amdhsa_private_segment_fixed_size 0
		.amdhsa_kernarg_size 144
		.amdhsa_user_sgpr_count 6
		.amdhsa_user_sgpr_private_segment_buffer 1
		.amdhsa_user_sgpr_dispatch_ptr 0
		.amdhsa_user_sgpr_queue_ptr 0
		.amdhsa_user_sgpr_kernarg_segment_ptr 1
		.amdhsa_user_sgpr_dispatch_id 0
		.amdhsa_user_sgpr_flat_scratch_init 0
		.amdhsa_user_sgpr_kernarg_preload_length 0
		.amdhsa_user_sgpr_kernarg_preload_offset 0
		.amdhsa_user_sgpr_private_segment_size 0
		.amdhsa_uses_dynamic_stack 0
		.amdhsa_system_sgpr_private_segment_wavefront_offset 0
		.amdhsa_system_sgpr_workgroup_id_x 1
		.amdhsa_system_sgpr_workgroup_id_y 0
		.amdhsa_system_sgpr_workgroup_id_z 0
		.amdhsa_system_sgpr_workgroup_info 0
		.amdhsa_system_vgpr_workitem_id 0
		.amdhsa_next_free_vgpr 1
		.amdhsa_next_free_sgpr 0
		.amdhsa_accum_offset 4
		.amdhsa_reserve_vcc 0
		.amdhsa_reserve_flat_scratch 0
		.amdhsa_float_round_mode_32 0
		.amdhsa_float_round_mode_16_64 0
		.amdhsa_float_denorm_mode_32 3
		.amdhsa_float_denorm_mode_16_64 3
		.amdhsa_dx10_clamp 1
		.amdhsa_ieee_mode 1
		.amdhsa_fp16_overflow 0
		.amdhsa_tg_split 0
		.amdhsa_exception_fp_ieee_invalid_op 0
		.amdhsa_exception_fp_denorm_src 0
		.amdhsa_exception_fp_ieee_div_zero 0
		.amdhsa_exception_fp_ieee_overflow 0
		.amdhsa_exception_fp_ieee_underflow 0
		.amdhsa_exception_fp_ieee_inexact 0
		.amdhsa_exception_int_div_zero 0
	.end_amdhsa_kernel
	.section	.text._ZN7rocprim17ROCPRIM_400000_NS6detail17trampoline_kernelINS0_13select_configILj256ELj13ELNS0_17block_load_methodE3ELS4_3ELS4_3ELNS0_20block_scan_algorithmE0ELj4294967295EEENS1_25partition_config_selectorILNS1_17partition_subalgoE3EjNS0_10empty_typeEbEEZZNS1_14partition_implILS8_3ELb0ES6_jNS0_17counting_iteratorIjlEEPS9_SE_NS0_5tupleIJPjSE_EEENSF_IJSE_SE_EEES9_SG_JZNS1_25segmented_radix_sort_implINS0_14default_configELb0EPKdPdPKlPlN2at6native12_GLOBAL__N_18offset_tEEE10hipError_tPvRmT1_PNSt15iterator_traitsISY_E10value_typeET2_T3_PNSZ_IS14_E10value_typeET4_jRbjT5_S1A_jjP12ihipStream_tbEUljE_EEESV_SW_SX_S14_S18_S1A_T6_T7_T9_mT8_S1C_bDpT10_ENKUlT_T0_E_clISt17integral_constantIbLb0EES1P_EEDaS1K_S1L_EUlS1K_E_NS1_11comp_targetILNS1_3genE8ELNS1_11target_archE1030ELNS1_3gpuE2ELNS1_3repE0EEENS1_30default_config_static_selectorELNS0_4arch9wavefront6targetE1EEEvSY_,"axG",@progbits,_ZN7rocprim17ROCPRIM_400000_NS6detail17trampoline_kernelINS0_13select_configILj256ELj13ELNS0_17block_load_methodE3ELS4_3ELS4_3ELNS0_20block_scan_algorithmE0ELj4294967295EEENS1_25partition_config_selectorILNS1_17partition_subalgoE3EjNS0_10empty_typeEbEEZZNS1_14partition_implILS8_3ELb0ES6_jNS0_17counting_iteratorIjlEEPS9_SE_NS0_5tupleIJPjSE_EEENSF_IJSE_SE_EEES9_SG_JZNS1_25segmented_radix_sort_implINS0_14default_configELb0EPKdPdPKlPlN2at6native12_GLOBAL__N_18offset_tEEE10hipError_tPvRmT1_PNSt15iterator_traitsISY_E10value_typeET2_T3_PNSZ_IS14_E10value_typeET4_jRbjT5_S1A_jjP12ihipStream_tbEUljE_EEESV_SW_SX_S14_S18_S1A_T6_T7_T9_mT8_S1C_bDpT10_ENKUlT_T0_E_clISt17integral_constantIbLb0EES1P_EEDaS1K_S1L_EUlS1K_E_NS1_11comp_targetILNS1_3genE8ELNS1_11target_archE1030ELNS1_3gpuE2ELNS1_3repE0EEENS1_30default_config_static_selectorELNS0_4arch9wavefront6targetE1EEEvSY_,comdat
.Lfunc_end1194:
	.size	_ZN7rocprim17ROCPRIM_400000_NS6detail17trampoline_kernelINS0_13select_configILj256ELj13ELNS0_17block_load_methodE3ELS4_3ELS4_3ELNS0_20block_scan_algorithmE0ELj4294967295EEENS1_25partition_config_selectorILNS1_17partition_subalgoE3EjNS0_10empty_typeEbEEZZNS1_14partition_implILS8_3ELb0ES6_jNS0_17counting_iteratorIjlEEPS9_SE_NS0_5tupleIJPjSE_EEENSF_IJSE_SE_EEES9_SG_JZNS1_25segmented_radix_sort_implINS0_14default_configELb0EPKdPdPKlPlN2at6native12_GLOBAL__N_18offset_tEEE10hipError_tPvRmT1_PNSt15iterator_traitsISY_E10value_typeET2_T3_PNSZ_IS14_E10value_typeET4_jRbjT5_S1A_jjP12ihipStream_tbEUljE_EEESV_SW_SX_S14_S18_S1A_T6_T7_T9_mT8_S1C_bDpT10_ENKUlT_T0_E_clISt17integral_constantIbLb0EES1P_EEDaS1K_S1L_EUlS1K_E_NS1_11comp_targetILNS1_3genE8ELNS1_11target_archE1030ELNS1_3gpuE2ELNS1_3repE0EEENS1_30default_config_static_selectorELNS0_4arch9wavefront6targetE1EEEvSY_, .Lfunc_end1194-_ZN7rocprim17ROCPRIM_400000_NS6detail17trampoline_kernelINS0_13select_configILj256ELj13ELNS0_17block_load_methodE3ELS4_3ELS4_3ELNS0_20block_scan_algorithmE0ELj4294967295EEENS1_25partition_config_selectorILNS1_17partition_subalgoE3EjNS0_10empty_typeEbEEZZNS1_14partition_implILS8_3ELb0ES6_jNS0_17counting_iteratorIjlEEPS9_SE_NS0_5tupleIJPjSE_EEENSF_IJSE_SE_EEES9_SG_JZNS1_25segmented_radix_sort_implINS0_14default_configELb0EPKdPdPKlPlN2at6native12_GLOBAL__N_18offset_tEEE10hipError_tPvRmT1_PNSt15iterator_traitsISY_E10value_typeET2_T3_PNSZ_IS14_E10value_typeET4_jRbjT5_S1A_jjP12ihipStream_tbEUljE_EEESV_SW_SX_S14_S18_S1A_T6_T7_T9_mT8_S1C_bDpT10_ENKUlT_T0_E_clISt17integral_constantIbLb0EES1P_EEDaS1K_S1L_EUlS1K_E_NS1_11comp_targetILNS1_3genE8ELNS1_11target_archE1030ELNS1_3gpuE2ELNS1_3repE0EEENS1_30default_config_static_selectorELNS0_4arch9wavefront6targetE1EEEvSY_
                                        ; -- End function
	.section	.AMDGPU.csdata,"",@progbits
; Kernel info:
; codeLenInByte = 0
; NumSgprs: 4
; NumVgprs: 0
; NumAgprs: 0
; TotalNumVgprs: 0
; ScratchSize: 0
; MemoryBound: 0
; FloatMode: 240
; IeeeMode: 1
; LDSByteSize: 0 bytes/workgroup (compile time only)
; SGPRBlocks: 0
; VGPRBlocks: 0
; NumSGPRsForWavesPerEU: 4
; NumVGPRsForWavesPerEU: 1
; AccumOffset: 4
; Occupancy: 8
; WaveLimiterHint : 0
; COMPUTE_PGM_RSRC2:SCRATCH_EN: 0
; COMPUTE_PGM_RSRC2:USER_SGPR: 6
; COMPUTE_PGM_RSRC2:TRAP_HANDLER: 0
; COMPUTE_PGM_RSRC2:TGID_X_EN: 1
; COMPUTE_PGM_RSRC2:TGID_Y_EN: 0
; COMPUTE_PGM_RSRC2:TGID_Z_EN: 0
; COMPUTE_PGM_RSRC2:TIDIG_COMP_CNT: 0
; COMPUTE_PGM_RSRC3_GFX90A:ACCUM_OFFSET: 0
; COMPUTE_PGM_RSRC3_GFX90A:TG_SPLIT: 0
	.section	.text._ZN7rocprim17ROCPRIM_400000_NS6detail17trampoline_kernelINS0_13select_configILj256ELj13ELNS0_17block_load_methodE3ELS4_3ELS4_3ELNS0_20block_scan_algorithmE0ELj4294967295EEENS1_25partition_config_selectorILNS1_17partition_subalgoE3EjNS0_10empty_typeEbEEZZNS1_14partition_implILS8_3ELb0ES6_jNS0_17counting_iteratorIjlEEPS9_SE_NS0_5tupleIJPjSE_EEENSF_IJSE_SE_EEES9_SG_JZNS1_25segmented_radix_sort_implINS0_14default_configELb0EPKdPdPKlPlN2at6native12_GLOBAL__N_18offset_tEEE10hipError_tPvRmT1_PNSt15iterator_traitsISY_E10value_typeET2_T3_PNSZ_IS14_E10value_typeET4_jRbjT5_S1A_jjP12ihipStream_tbEUljE_EEESV_SW_SX_S14_S18_S1A_T6_T7_T9_mT8_S1C_bDpT10_ENKUlT_T0_E_clISt17integral_constantIbLb1EES1P_EEDaS1K_S1L_EUlS1K_E_NS1_11comp_targetILNS1_3genE0ELNS1_11target_archE4294967295ELNS1_3gpuE0ELNS1_3repE0EEENS1_30default_config_static_selectorELNS0_4arch9wavefront6targetE1EEEvSY_,"axG",@progbits,_ZN7rocprim17ROCPRIM_400000_NS6detail17trampoline_kernelINS0_13select_configILj256ELj13ELNS0_17block_load_methodE3ELS4_3ELS4_3ELNS0_20block_scan_algorithmE0ELj4294967295EEENS1_25partition_config_selectorILNS1_17partition_subalgoE3EjNS0_10empty_typeEbEEZZNS1_14partition_implILS8_3ELb0ES6_jNS0_17counting_iteratorIjlEEPS9_SE_NS0_5tupleIJPjSE_EEENSF_IJSE_SE_EEES9_SG_JZNS1_25segmented_radix_sort_implINS0_14default_configELb0EPKdPdPKlPlN2at6native12_GLOBAL__N_18offset_tEEE10hipError_tPvRmT1_PNSt15iterator_traitsISY_E10value_typeET2_T3_PNSZ_IS14_E10value_typeET4_jRbjT5_S1A_jjP12ihipStream_tbEUljE_EEESV_SW_SX_S14_S18_S1A_T6_T7_T9_mT8_S1C_bDpT10_ENKUlT_T0_E_clISt17integral_constantIbLb1EES1P_EEDaS1K_S1L_EUlS1K_E_NS1_11comp_targetILNS1_3genE0ELNS1_11target_archE4294967295ELNS1_3gpuE0ELNS1_3repE0EEENS1_30default_config_static_selectorELNS0_4arch9wavefront6targetE1EEEvSY_,comdat
	.globl	_ZN7rocprim17ROCPRIM_400000_NS6detail17trampoline_kernelINS0_13select_configILj256ELj13ELNS0_17block_load_methodE3ELS4_3ELS4_3ELNS0_20block_scan_algorithmE0ELj4294967295EEENS1_25partition_config_selectorILNS1_17partition_subalgoE3EjNS0_10empty_typeEbEEZZNS1_14partition_implILS8_3ELb0ES6_jNS0_17counting_iteratorIjlEEPS9_SE_NS0_5tupleIJPjSE_EEENSF_IJSE_SE_EEES9_SG_JZNS1_25segmented_radix_sort_implINS0_14default_configELb0EPKdPdPKlPlN2at6native12_GLOBAL__N_18offset_tEEE10hipError_tPvRmT1_PNSt15iterator_traitsISY_E10value_typeET2_T3_PNSZ_IS14_E10value_typeET4_jRbjT5_S1A_jjP12ihipStream_tbEUljE_EEESV_SW_SX_S14_S18_S1A_T6_T7_T9_mT8_S1C_bDpT10_ENKUlT_T0_E_clISt17integral_constantIbLb1EES1P_EEDaS1K_S1L_EUlS1K_E_NS1_11comp_targetILNS1_3genE0ELNS1_11target_archE4294967295ELNS1_3gpuE0ELNS1_3repE0EEENS1_30default_config_static_selectorELNS0_4arch9wavefront6targetE1EEEvSY_ ; -- Begin function _ZN7rocprim17ROCPRIM_400000_NS6detail17trampoline_kernelINS0_13select_configILj256ELj13ELNS0_17block_load_methodE3ELS4_3ELS4_3ELNS0_20block_scan_algorithmE0ELj4294967295EEENS1_25partition_config_selectorILNS1_17partition_subalgoE3EjNS0_10empty_typeEbEEZZNS1_14partition_implILS8_3ELb0ES6_jNS0_17counting_iteratorIjlEEPS9_SE_NS0_5tupleIJPjSE_EEENSF_IJSE_SE_EEES9_SG_JZNS1_25segmented_radix_sort_implINS0_14default_configELb0EPKdPdPKlPlN2at6native12_GLOBAL__N_18offset_tEEE10hipError_tPvRmT1_PNSt15iterator_traitsISY_E10value_typeET2_T3_PNSZ_IS14_E10value_typeET4_jRbjT5_S1A_jjP12ihipStream_tbEUljE_EEESV_SW_SX_S14_S18_S1A_T6_T7_T9_mT8_S1C_bDpT10_ENKUlT_T0_E_clISt17integral_constantIbLb1EES1P_EEDaS1K_S1L_EUlS1K_E_NS1_11comp_targetILNS1_3genE0ELNS1_11target_archE4294967295ELNS1_3gpuE0ELNS1_3repE0EEENS1_30default_config_static_selectorELNS0_4arch9wavefront6targetE1EEEvSY_
	.p2align	8
	.type	_ZN7rocprim17ROCPRIM_400000_NS6detail17trampoline_kernelINS0_13select_configILj256ELj13ELNS0_17block_load_methodE3ELS4_3ELS4_3ELNS0_20block_scan_algorithmE0ELj4294967295EEENS1_25partition_config_selectorILNS1_17partition_subalgoE3EjNS0_10empty_typeEbEEZZNS1_14partition_implILS8_3ELb0ES6_jNS0_17counting_iteratorIjlEEPS9_SE_NS0_5tupleIJPjSE_EEENSF_IJSE_SE_EEES9_SG_JZNS1_25segmented_radix_sort_implINS0_14default_configELb0EPKdPdPKlPlN2at6native12_GLOBAL__N_18offset_tEEE10hipError_tPvRmT1_PNSt15iterator_traitsISY_E10value_typeET2_T3_PNSZ_IS14_E10value_typeET4_jRbjT5_S1A_jjP12ihipStream_tbEUljE_EEESV_SW_SX_S14_S18_S1A_T6_T7_T9_mT8_S1C_bDpT10_ENKUlT_T0_E_clISt17integral_constantIbLb1EES1P_EEDaS1K_S1L_EUlS1K_E_NS1_11comp_targetILNS1_3genE0ELNS1_11target_archE4294967295ELNS1_3gpuE0ELNS1_3repE0EEENS1_30default_config_static_selectorELNS0_4arch9wavefront6targetE1EEEvSY_,@function
_ZN7rocprim17ROCPRIM_400000_NS6detail17trampoline_kernelINS0_13select_configILj256ELj13ELNS0_17block_load_methodE3ELS4_3ELS4_3ELNS0_20block_scan_algorithmE0ELj4294967295EEENS1_25partition_config_selectorILNS1_17partition_subalgoE3EjNS0_10empty_typeEbEEZZNS1_14partition_implILS8_3ELb0ES6_jNS0_17counting_iteratorIjlEEPS9_SE_NS0_5tupleIJPjSE_EEENSF_IJSE_SE_EEES9_SG_JZNS1_25segmented_radix_sort_implINS0_14default_configELb0EPKdPdPKlPlN2at6native12_GLOBAL__N_18offset_tEEE10hipError_tPvRmT1_PNSt15iterator_traitsISY_E10value_typeET2_T3_PNSZ_IS14_E10value_typeET4_jRbjT5_S1A_jjP12ihipStream_tbEUljE_EEESV_SW_SX_S14_S18_S1A_T6_T7_T9_mT8_S1C_bDpT10_ENKUlT_T0_E_clISt17integral_constantIbLb1EES1P_EEDaS1K_S1L_EUlS1K_E_NS1_11comp_targetILNS1_3genE0ELNS1_11target_archE4294967295ELNS1_3gpuE0ELNS1_3repE0EEENS1_30default_config_static_selectorELNS0_4arch9wavefront6targetE1EEEvSY_: ; @_ZN7rocprim17ROCPRIM_400000_NS6detail17trampoline_kernelINS0_13select_configILj256ELj13ELNS0_17block_load_methodE3ELS4_3ELS4_3ELNS0_20block_scan_algorithmE0ELj4294967295EEENS1_25partition_config_selectorILNS1_17partition_subalgoE3EjNS0_10empty_typeEbEEZZNS1_14partition_implILS8_3ELb0ES6_jNS0_17counting_iteratorIjlEEPS9_SE_NS0_5tupleIJPjSE_EEENSF_IJSE_SE_EEES9_SG_JZNS1_25segmented_radix_sort_implINS0_14default_configELb0EPKdPdPKlPlN2at6native12_GLOBAL__N_18offset_tEEE10hipError_tPvRmT1_PNSt15iterator_traitsISY_E10value_typeET2_T3_PNSZ_IS14_E10value_typeET4_jRbjT5_S1A_jjP12ihipStream_tbEUljE_EEESV_SW_SX_S14_S18_S1A_T6_T7_T9_mT8_S1C_bDpT10_ENKUlT_T0_E_clISt17integral_constantIbLb1EES1P_EEDaS1K_S1L_EUlS1K_E_NS1_11comp_targetILNS1_3genE0ELNS1_11target_archE4294967295ELNS1_3gpuE0ELNS1_3repE0EEENS1_30default_config_static_selectorELNS0_4arch9wavefront6targetE1EEEvSY_
; %bb.0:
	.section	.rodata,"a",@progbits
	.p2align	6, 0x0
	.amdhsa_kernel _ZN7rocprim17ROCPRIM_400000_NS6detail17trampoline_kernelINS0_13select_configILj256ELj13ELNS0_17block_load_methodE3ELS4_3ELS4_3ELNS0_20block_scan_algorithmE0ELj4294967295EEENS1_25partition_config_selectorILNS1_17partition_subalgoE3EjNS0_10empty_typeEbEEZZNS1_14partition_implILS8_3ELb0ES6_jNS0_17counting_iteratorIjlEEPS9_SE_NS0_5tupleIJPjSE_EEENSF_IJSE_SE_EEES9_SG_JZNS1_25segmented_radix_sort_implINS0_14default_configELb0EPKdPdPKlPlN2at6native12_GLOBAL__N_18offset_tEEE10hipError_tPvRmT1_PNSt15iterator_traitsISY_E10value_typeET2_T3_PNSZ_IS14_E10value_typeET4_jRbjT5_S1A_jjP12ihipStream_tbEUljE_EEESV_SW_SX_S14_S18_S1A_T6_T7_T9_mT8_S1C_bDpT10_ENKUlT_T0_E_clISt17integral_constantIbLb1EES1P_EEDaS1K_S1L_EUlS1K_E_NS1_11comp_targetILNS1_3genE0ELNS1_11target_archE4294967295ELNS1_3gpuE0ELNS1_3repE0EEENS1_30default_config_static_selectorELNS0_4arch9wavefront6targetE1EEEvSY_
		.amdhsa_group_segment_fixed_size 0
		.amdhsa_private_segment_fixed_size 0
		.amdhsa_kernarg_size 152
		.amdhsa_user_sgpr_count 6
		.amdhsa_user_sgpr_private_segment_buffer 1
		.amdhsa_user_sgpr_dispatch_ptr 0
		.amdhsa_user_sgpr_queue_ptr 0
		.amdhsa_user_sgpr_kernarg_segment_ptr 1
		.amdhsa_user_sgpr_dispatch_id 0
		.amdhsa_user_sgpr_flat_scratch_init 0
		.amdhsa_user_sgpr_kernarg_preload_length 0
		.amdhsa_user_sgpr_kernarg_preload_offset 0
		.amdhsa_user_sgpr_private_segment_size 0
		.amdhsa_uses_dynamic_stack 0
		.amdhsa_system_sgpr_private_segment_wavefront_offset 0
		.amdhsa_system_sgpr_workgroup_id_x 1
		.amdhsa_system_sgpr_workgroup_id_y 0
		.amdhsa_system_sgpr_workgroup_id_z 0
		.amdhsa_system_sgpr_workgroup_info 0
		.amdhsa_system_vgpr_workitem_id 0
		.amdhsa_next_free_vgpr 1
		.amdhsa_next_free_sgpr 0
		.amdhsa_accum_offset 4
		.amdhsa_reserve_vcc 0
		.amdhsa_reserve_flat_scratch 0
		.amdhsa_float_round_mode_32 0
		.amdhsa_float_round_mode_16_64 0
		.amdhsa_float_denorm_mode_32 3
		.amdhsa_float_denorm_mode_16_64 3
		.amdhsa_dx10_clamp 1
		.amdhsa_ieee_mode 1
		.amdhsa_fp16_overflow 0
		.amdhsa_tg_split 0
		.amdhsa_exception_fp_ieee_invalid_op 0
		.amdhsa_exception_fp_denorm_src 0
		.amdhsa_exception_fp_ieee_div_zero 0
		.amdhsa_exception_fp_ieee_overflow 0
		.amdhsa_exception_fp_ieee_underflow 0
		.amdhsa_exception_fp_ieee_inexact 0
		.amdhsa_exception_int_div_zero 0
	.end_amdhsa_kernel
	.section	.text._ZN7rocprim17ROCPRIM_400000_NS6detail17trampoline_kernelINS0_13select_configILj256ELj13ELNS0_17block_load_methodE3ELS4_3ELS4_3ELNS0_20block_scan_algorithmE0ELj4294967295EEENS1_25partition_config_selectorILNS1_17partition_subalgoE3EjNS0_10empty_typeEbEEZZNS1_14partition_implILS8_3ELb0ES6_jNS0_17counting_iteratorIjlEEPS9_SE_NS0_5tupleIJPjSE_EEENSF_IJSE_SE_EEES9_SG_JZNS1_25segmented_radix_sort_implINS0_14default_configELb0EPKdPdPKlPlN2at6native12_GLOBAL__N_18offset_tEEE10hipError_tPvRmT1_PNSt15iterator_traitsISY_E10value_typeET2_T3_PNSZ_IS14_E10value_typeET4_jRbjT5_S1A_jjP12ihipStream_tbEUljE_EEESV_SW_SX_S14_S18_S1A_T6_T7_T9_mT8_S1C_bDpT10_ENKUlT_T0_E_clISt17integral_constantIbLb1EES1P_EEDaS1K_S1L_EUlS1K_E_NS1_11comp_targetILNS1_3genE0ELNS1_11target_archE4294967295ELNS1_3gpuE0ELNS1_3repE0EEENS1_30default_config_static_selectorELNS0_4arch9wavefront6targetE1EEEvSY_,"axG",@progbits,_ZN7rocprim17ROCPRIM_400000_NS6detail17trampoline_kernelINS0_13select_configILj256ELj13ELNS0_17block_load_methodE3ELS4_3ELS4_3ELNS0_20block_scan_algorithmE0ELj4294967295EEENS1_25partition_config_selectorILNS1_17partition_subalgoE3EjNS0_10empty_typeEbEEZZNS1_14partition_implILS8_3ELb0ES6_jNS0_17counting_iteratorIjlEEPS9_SE_NS0_5tupleIJPjSE_EEENSF_IJSE_SE_EEES9_SG_JZNS1_25segmented_radix_sort_implINS0_14default_configELb0EPKdPdPKlPlN2at6native12_GLOBAL__N_18offset_tEEE10hipError_tPvRmT1_PNSt15iterator_traitsISY_E10value_typeET2_T3_PNSZ_IS14_E10value_typeET4_jRbjT5_S1A_jjP12ihipStream_tbEUljE_EEESV_SW_SX_S14_S18_S1A_T6_T7_T9_mT8_S1C_bDpT10_ENKUlT_T0_E_clISt17integral_constantIbLb1EES1P_EEDaS1K_S1L_EUlS1K_E_NS1_11comp_targetILNS1_3genE0ELNS1_11target_archE4294967295ELNS1_3gpuE0ELNS1_3repE0EEENS1_30default_config_static_selectorELNS0_4arch9wavefront6targetE1EEEvSY_,comdat
.Lfunc_end1195:
	.size	_ZN7rocprim17ROCPRIM_400000_NS6detail17trampoline_kernelINS0_13select_configILj256ELj13ELNS0_17block_load_methodE3ELS4_3ELS4_3ELNS0_20block_scan_algorithmE0ELj4294967295EEENS1_25partition_config_selectorILNS1_17partition_subalgoE3EjNS0_10empty_typeEbEEZZNS1_14partition_implILS8_3ELb0ES6_jNS0_17counting_iteratorIjlEEPS9_SE_NS0_5tupleIJPjSE_EEENSF_IJSE_SE_EEES9_SG_JZNS1_25segmented_radix_sort_implINS0_14default_configELb0EPKdPdPKlPlN2at6native12_GLOBAL__N_18offset_tEEE10hipError_tPvRmT1_PNSt15iterator_traitsISY_E10value_typeET2_T3_PNSZ_IS14_E10value_typeET4_jRbjT5_S1A_jjP12ihipStream_tbEUljE_EEESV_SW_SX_S14_S18_S1A_T6_T7_T9_mT8_S1C_bDpT10_ENKUlT_T0_E_clISt17integral_constantIbLb1EES1P_EEDaS1K_S1L_EUlS1K_E_NS1_11comp_targetILNS1_3genE0ELNS1_11target_archE4294967295ELNS1_3gpuE0ELNS1_3repE0EEENS1_30default_config_static_selectorELNS0_4arch9wavefront6targetE1EEEvSY_, .Lfunc_end1195-_ZN7rocprim17ROCPRIM_400000_NS6detail17trampoline_kernelINS0_13select_configILj256ELj13ELNS0_17block_load_methodE3ELS4_3ELS4_3ELNS0_20block_scan_algorithmE0ELj4294967295EEENS1_25partition_config_selectorILNS1_17partition_subalgoE3EjNS0_10empty_typeEbEEZZNS1_14partition_implILS8_3ELb0ES6_jNS0_17counting_iteratorIjlEEPS9_SE_NS0_5tupleIJPjSE_EEENSF_IJSE_SE_EEES9_SG_JZNS1_25segmented_radix_sort_implINS0_14default_configELb0EPKdPdPKlPlN2at6native12_GLOBAL__N_18offset_tEEE10hipError_tPvRmT1_PNSt15iterator_traitsISY_E10value_typeET2_T3_PNSZ_IS14_E10value_typeET4_jRbjT5_S1A_jjP12ihipStream_tbEUljE_EEESV_SW_SX_S14_S18_S1A_T6_T7_T9_mT8_S1C_bDpT10_ENKUlT_T0_E_clISt17integral_constantIbLb1EES1P_EEDaS1K_S1L_EUlS1K_E_NS1_11comp_targetILNS1_3genE0ELNS1_11target_archE4294967295ELNS1_3gpuE0ELNS1_3repE0EEENS1_30default_config_static_selectorELNS0_4arch9wavefront6targetE1EEEvSY_
                                        ; -- End function
	.section	.AMDGPU.csdata,"",@progbits
; Kernel info:
; codeLenInByte = 0
; NumSgprs: 4
; NumVgprs: 0
; NumAgprs: 0
; TotalNumVgprs: 0
; ScratchSize: 0
; MemoryBound: 0
; FloatMode: 240
; IeeeMode: 1
; LDSByteSize: 0 bytes/workgroup (compile time only)
; SGPRBlocks: 0
; VGPRBlocks: 0
; NumSGPRsForWavesPerEU: 4
; NumVGPRsForWavesPerEU: 1
; AccumOffset: 4
; Occupancy: 8
; WaveLimiterHint : 0
; COMPUTE_PGM_RSRC2:SCRATCH_EN: 0
; COMPUTE_PGM_RSRC2:USER_SGPR: 6
; COMPUTE_PGM_RSRC2:TRAP_HANDLER: 0
; COMPUTE_PGM_RSRC2:TGID_X_EN: 1
; COMPUTE_PGM_RSRC2:TGID_Y_EN: 0
; COMPUTE_PGM_RSRC2:TGID_Z_EN: 0
; COMPUTE_PGM_RSRC2:TIDIG_COMP_CNT: 0
; COMPUTE_PGM_RSRC3_GFX90A:ACCUM_OFFSET: 0
; COMPUTE_PGM_RSRC3_GFX90A:TG_SPLIT: 0
	.section	.text._ZN7rocprim17ROCPRIM_400000_NS6detail17trampoline_kernelINS0_13select_configILj256ELj13ELNS0_17block_load_methodE3ELS4_3ELS4_3ELNS0_20block_scan_algorithmE0ELj4294967295EEENS1_25partition_config_selectorILNS1_17partition_subalgoE3EjNS0_10empty_typeEbEEZZNS1_14partition_implILS8_3ELb0ES6_jNS0_17counting_iteratorIjlEEPS9_SE_NS0_5tupleIJPjSE_EEENSF_IJSE_SE_EEES9_SG_JZNS1_25segmented_radix_sort_implINS0_14default_configELb0EPKdPdPKlPlN2at6native12_GLOBAL__N_18offset_tEEE10hipError_tPvRmT1_PNSt15iterator_traitsISY_E10value_typeET2_T3_PNSZ_IS14_E10value_typeET4_jRbjT5_S1A_jjP12ihipStream_tbEUljE_EEESV_SW_SX_S14_S18_S1A_T6_T7_T9_mT8_S1C_bDpT10_ENKUlT_T0_E_clISt17integral_constantIbLb1EES1P_EEDaS1K_S1L_EUlS1K_E_NS1_11comp_targetILNS1_3genE5ELNS1_11target_archE942ELNS1_3gpuE9ELNS1_3repE0EEENS1_30default_config_static_selectorELNS0_4arch9wavefront6targetE1EEEvSY_,"axG",@progbits,_ZN7rocprim17ROCPRIM_400000_NS6detail17trampoline_kernelINS0_13select_configILj256ELj13ELNS0_17block_load_methodE3ELS4_3ELS4_3ELNS0_20block_scan_algorithmE0ELj4294967295EEENS1_25partition_config_selectorILNS1_17partition_subalgoE3EjNS0_10empty_typeEbEEZZNS1_14partition_implILS8_3ELb0ES6_jNS0_17counting_iteratorIjlEEPS9_SE_NS0_5tupleIJPjSE_EEENSF_IJSE_SE_EEES9_SG_JZNS1_25segmented_radix_sort_implINS0_14default_configELb0EPKdPdPKlPlN2at6native12_GLOBAL__N_18offset_tEEE10hipError_tPvRmT1_PNSt15iterator_traitsISY_E10value_typeET2_T3_PNSZ_IS14_E10value_typeET4_jRbjT5_S1A_jjP12ihipStream_tbEUljE_EEESV_SW_SX_S14_S18_S1A_T6_T7_T9_mT8_S1C_bDpT10_ENKUlT_T0_E_clISt17integral_constantIbLb1EES1P_EEDaS1K_S1L_EUlS1K_E_NS1_11comp_targetILNS1_3genE5ELNS1_11target_archE942ELNS1_3gpuE9ELNS1_3repE0EEENS1_30default_config_static_selectorELNS0_4arch9wavefront6targetE1EEEvSY_,comdat
	.globl	_ZN7rocprim17ROCPRIM_400000_NS6detail17trampoline_kernelINS0_13select_configILj256ELj13ELNS0_17block_load_methodE3ELS4_3ELS4_3ELNS0_20block_scan_algorithmE0ELj4294967295EEENS1_25partition_config_selectorILNS1_17partition_subalgoE3EjNS0_10empty_typeEbEEZZNS1_14partition_implILS8_3ELb0ES6_jNS0_17counting_iteratorIjlEEPS9_SE_NS0_5tupleIJPjSE_EEENSF_IJSE_SE_EEES9_SG_JZNS1_25segmented_radix_sort_implINS0_14default_configELb0EPKdPdPKlPlN2at6native12_GLOBAL__N_18offset_tEEE10hipError_tPvRmT1_PNSt15iterator_traitsISY_E10value_typeET2_T3_PNSZ_IS14_E10value_typeET4_jRbjT5_S1A_jjP12ihipStream_tbEUljE_EEESV_SW_SX_S14_S18_S1A_T6_T7_T9_mT8_S1C_bDpT10_ENKUlT_T0_E_clISt17integral_constantIbLb1EES1P_EEDaS1K_S1L_EUlS1K_E_NS1_11comp_targetILNS1_3genE5ELNS1_11target_archE942ELNS1_3gpuE9ELNS1_3repE0EEENS1_30default_config_static_selectorELNS0_4arch9wavefront6targetE1EEEvSY_ ; -- Begin function _ZN7rocprim17ROCPRIM_400000_NS6detail17trampoline_kernelINS0_13select_configILj256ELj13ELNS0_17block_load_methodE3ELS4_3ELS4_3ELNS0_20block_scan_algorithmE0ELj4294967295EEENS1_25partition_config_selectorILNS1_17partition_subalgoE3EjNS0_10empty_typeEbEEZZNS1_14partition_implILS8_3ELb0ES6_jNS0_17counting_iteratorIjlEEPS9_SE_NS0_5tupleIJPjSE_EEENSF_IJSE_SE_EEES9_SG_JZNS1_25segmented_radix_sort_implINS0_14default_configELb0EPKdPdPKlPlN2at6native12_GLOBAL__N_18offset_tEEE10hipError_tPvRmT1_PNSt15iterator_traitsISY_E10value_typeET2_T3_PNSZ_IS14_E10value_typeET4_jRbjT5_S1A_jjP12ihipStream_tbEUljE_EEESV_SW_SX_S14_S18_S1A_T6_T7_T9_mT8_S1C_bDpT10_ENKUlT_T0_E_clISt17integral_constantIbLb1EES1P_EEDaS1K_S1L_EUlS1K_E_NS1_11comp_targetILNS1_3genE5ELNS1_11target_archE942ELNS1_3gpuE9ELNS1_3repE0EEENS1_30default_config_static_selectorELNS0_4arch9wavefront6targetE1EEEvSY_
	.p2align	8
	.type	_ZN7rocprim17ROCPRIM_400000_NS6detail17trampoline_kernelINS0_13select_configILj256ELj13ELNS0_17block_load_methodE3ELS4_3ELS4_3ELNS0_20block_scan_algorithmE0ELj4294967295EEENS1_25partition_config_selectorILNS1_17partition_subalgoE3EjNS0_10empty_typeEbEEZZNS1_14partition_implILS8_3ELb0ES6_jNS0_17counting_iteratorIjlEEPS9_SE_NS0_5tupleIJPjSE_EEENSF_IJSE_SE_EEES9_SG_JZNS1_25segmented_radix_sort_implINS0_14default_configELb0EPKdPdPKlPlN2at6native12_GLOBAL__N_18offset_tEEE10hipError_tPvRmT1_PNSt15iterator_traitsISY_E10value_typeET2_T3_PNSZ_IS14_E10value_typeET4_jRbjT5_S1A_jjP12ihipStream_tbEUljE_EEESV_SW_SX_S14_S18_S1A_T6_T7_T9_mT8_S1C_bDpT10_ENKUlT_T0_E_clISt17integral_constantIbLb1EES1P_EEDaS1K_S1L_EUlS1K_E_NS1_11comp_targetILNS1_3genE5ELNS1_11target_archE942ELNS1_3gpuE9ELNS1_3repE0EEENS1_30default_config_static_selectorELNS0_4arch9wavefront6targetE1EEEvSY_,@function
_ZN7rocprim17ROCPRIM_400000_NS6detail17trampoline_kernelINS0_13select_configILj256ELj13ELNS0_17block_load_methodE3ELS4_3ELS4_3ELNS0_20block_scan_algorithmE0ELj4294967295EEENS1_25partition_config_selectorILNS1_17partition_subalgoE3EjNS0_10empty_typeEbEEZZNS1_14partition_implILS8_3ELb0ES6_jNS0_17counting_iteratorIjlEEPS9_SE_NS0_5tupleIJPjSE_EEENSF_IJSE_SE_EEES9_SG_JZNS1_25segmented_radix_sort_implINS0_14default_configELb0EPKdPdPKlPlN2at6native12_GLOBAL__N_18offset_tEEE10hipError_tPvRmT1_PNSt15iterator_traitsISY_E10value_typeET2_T3_PNSZ_IS14_E10value_typeET4_jRbjT5_S1A_jjP12ihipStream_tbEUljE_EEESV_SW_SX_S14_S18_S1A_T6_T7_T9_mT8_S1C_bDpT10_ENKUlT_T0_E_clISt17integral_constantIbLb1EES1P_EEDaS1K_S1L_EUlS1K_E_NS1_11comp_targetILNS1_3genE5ELNS1_11target_archE942ELNS1_3gpuE9ELNS1_3repE0EEENS1_30default_config_static_selectorELNS0_4arch9wavefront6targetE1EEEvSY_: ; @_ZN7rocprim17ROCPRIM_400000_NS6detail17trampoline_kernelINS0_13select_configILj256ELj13ELNS0_17block_load_methodE3ELS4_3ELS4_3ELNS0_20block_scan_algorithmE0ELj4294967295EEENS1_25partition_config_selectorILNS1_17partition_subalgoE3EjNS0_10empty_typeEbEEZZNS1_14partition_implILS8_3ELb0ES6_jNS0_17counting_iteratorIjlEEPS9_SE_NS0_5tupleIJPjSE_EEENSF_IJSE_SE_EEES9_SG_JZNS1_25segmented_radix_sort_implINS0_14default_configELb0EPKdPdPKlPlN2at6native12_GLOBAL__N_18offset_tEEE10hipError_tPvRmT1_PNSt15iterator_traitsISY_E10value_typeET2_T3_PNSZ_IS14_E10value_typeET4_jRbjT5_S1A_jjP12ihipStream_tbEUljE_EEESV_SW_SX_S14_S18_S1A_T6_T7_T9_mT8_S1C_bDpT10_ENKUlT_T0_E_clISt17integral_constantIbLb1EES1P_EEDaS1K_S1L_EUlS1K_E_NS1_11comp_targetILNS1_3genE5ELNS1_11target_archE942ELNS1_3gpuE9ELNS1_3repE0EEENS1_30default_config_static_selectorELNS0_4arch9wavefront6targetE1EEEvSY_
; %bb.0:
	.section	.rodata,"a",@progbits
	.p2align	6, 0x0
	.amdhsa_kernel _ZN7rocprim17ROCPRIM_400000_NS6detail17trampoline_kernelINS0_13select_configILj256ELj13ELNS0_17block_load_methodE3ELS4_3ELS4_3ELNS0_20block_scan_algorithmE0ELj4294967295EEENS1_25partition_config_selectorILNS1_17partition_subalgoE3EjNS0_10empty_typeEbEEZZNS1_14partition_implILS8_3ELb0ES6_jNS0_17counting_iteratorIjlEEPS9_SE_NS0_5tupleIJPjSE_EEENSF_IJSE_SE_EEES9_SG_JZNS1_25segmented_radix_sort_implINS0_14default_configELb0EPKdPdPKlPlN2at6native12_GLOBAL__N_18offset_tEEE10hipError_tPvRmT1_PNSt15iterator_traitsISY_E10value_typeET2_T3_PNSZ_IS14_E10value_typeET4_jRbjT5_S1A_jjP12ihipStream_tbEUljE_EEESV_SW_SX_S14_S18_S1A_T6_T7_T9_mT8_S1C_bDpT10_ENKUlT_T0_E_clISt17integral_constantIbLb1EES1P_EEDaS1K_S1L_EUlS1K_E_NS1_11comp_targetILNS1_3genE5ELNS1_11target_archE942ELNS1_3gpuE9ELNS1_3repE0EEENS1_30default_config_static_selectorELNS0_4arch9wavefront6targetE1EEEvSY_
		.amdhsa_group_segment_fixed_size 0
		.amdhsa_private_segment_fixed_size 0
		.amdhsa_kernarg_size 152
		.amdhsa_user_sgpr_count 6
		.amdhsa_user_sgpr_private_segment_buffer 1
		.amdhsa_user_sgpr_dispatch_ptr 0
		.amdhsa_user_sgpr_queue_ptr 0
		.amdhsa_user_sgpr_kernarg_segment_ptr 1
		.amdhsa_user_sgpr_dispatch_id 0
		.amdhsa_user_sgpr_flat_scratch_init 0
		.amdhsa_user_sgpr_kernarg_preload_length 0
		.amdhsa_user_sgpr_kernarg_preload_offset 0
		.amdhsa_user_sgpr_private_segment_size 0
		.amdhsa_uses_dynamic_stack 0
		.amdhsa_system_sgpr_private_segment_wavefront_offset 0
		.amdhsa_system_sgpr_workgroup_id_x 1
		.amdhsa_system_sgpr_workgroup_id_y 0
		.amdhsa_system_sgpr_workgroup_id_z 0
		.amdhsa_system_sgpr_workgroup_info 0
		.amdhsa_system_vgpr_workitem_id 0
		.amdhsa_next_free_vgpr 1
		.amdhsa_next_free_sgpr 0
		.amdhsa_accum_offset 4
		.amdhsa_reserve_vcc 0
		.amdhsa_reserve_flat_scratch 0
		.amdhsa_float_round_mode_32 0
		.amdhsa_float_round_mode_16_64 0
		.amdhsa_float_denorm_mode_32 3
		.amdhsa_float_denorm_mode_16_64 3
		.amdhsa_dx10_clamp 1
		.amdhsa_ieee_mode 1
		.amdhsa_fp16_overflow 0
		.amdhsa_tg_split 0
		.amdhsa_exception_fp_ieee_invalid_op 0
		.amdhsa_exception_fp_denorm_src 0
		.amdhsa_exception_fp_ieee_div_zero 0
		.amdhsa_exception_fp_ieee_overflow 0
		.amdhsa_exception_fp_ieee_underflow 0
		.amdhsa_exception_fp_ieee_inexact 0
		.amdhsa_exception_int_div_zero 0
	.end_amdhsa_kernel
	.section	.text._ZN7rocprim17ROCPRIM_400000_NS6detail17trampoline_kernelINS0_13select_configILj256ELj13ELNS0_17block_load_methodE3ELS4_3ELS4_3ELNS0_20block_scan_algorithmE0ELj4294967295EEENS1_25partition_config_selectorILNS1_17partition_subalgoE3EjNS0_10empty_typeEbEEZZNS1_14partition_implILS8_3ELb0ES6_jNS0_17counting_iteratorIjlEEPS9_SE_NS0_5tupleIJPjSE_EEENSF_IJSE_SE_EEES9_SG_JZNS1_25segmented_radix_sort_implINS0_14default_configELb0EPKdPdPKlPlN2at6native12_GLOBAL__N_18offset_tEEE10hipError_tPvRmT1_PNSt15iterator_traitsISY_E10value_typeET2_T3_PNSZ_IS14_E10value_typeET4_jRbjT5_S1A_jjP12ihipStream_tbEUljE_EEESV_SW_SX_S14_S18_S1A_T6_T7_T9_mT8_S1C_bDpT10_ENKUlT_T0_E_clISt17integral_constantIbLb1EES1P_EEDaS1K_S1L_EUlS1K_E_NS1_11comp_targetILNS1_3genE5ELNS1_11target_archE942ELNS1_3gpuE9ELNS1_3repE0EEENS1_30default_config_static_selectorELNS0_4arch9wavefront6targetE1EEEvSY_,"axG",@progbits,_ZN7rocprim17ROCPRIM_400000_NS6detail17trampoline_kernelINS0_13select_configILj256ELj13ELNS0_17block_load_methodE3ELS4_3ELS4_3ELNS0_20block_scan_algorithmE0ELj4294967295EEENS1_25partition_config_selectorILNS1_17partition_subalgoE3EjNS0_10empty_typeEbEEZZNS1_14partition_implILS8_3ELb0ES6_jNS0_17counting_iteratorIjlEEPS9_SE_NS0_5tupleIJPjSE_EEENSF_IJSE_SE_EEES9_SG_JZNS1_25segmented_radix_sort_implINS0_14default_configELb0EPKdPdPKlPlN2at6native12_GLOBAL__N_18offset_tEEE10hipError_tPvRmT1_PNSt15iterator_traitsISY_E10value_typeET2_T3_PNSZ_IS14_E10value_typeET4_jRbjT5_S1A_jjP12ihipStream_tbEUljE_EEESV_SW_SX_S14_S18_S1A_T6_T7_T9_mT8_S1C_bDpT10_ENKUlT_T0_E_clISt17integral_constantIbLb1EES1P_EEDaS1K_S1L_EUlS1K_E_NS1_11comp_targetILNS1_3genE5ELNS1_11target_archE942ELNS1_3gpuE9ELNS1_3repE0EEENS1_30default_config_static_selectorELNS0_4arch9wavefront6targetE1EEEvSY_,comdat
.Lfunc_end1196:
	.size	_ZN7rocprim17ROCPRIM_400000_NS6detail17trampoline_kernelINS0_13select_configILj256ELj13ELNS0_17block_load_methodE3ELS4_3ELS4_3ELNS0_20block_scan_algorithmE0ELj4294967295EEENS1_25partition_config_selectorILNS1_17partition_subalgoE3EjNS0_10empty_typeEbEEZZNS1_14partition_implILS8_3ELb0ES6_jNS0_17counting_iteratorIjlEEPS9_SE_NS0_5tupleIJPjSE_EEENSF_IJSE_SE_EEES9_SG_JZNS1_25segmented_radix_sort_implINS0_14default_configELb0EPKdPdPKlPlN2at6native12_GLOBAL__N_18offset_tEEE10hipError_tPvRmT1_PNSt15iterator_traitsISY_E10value_typeET2_T3_PNSZ_IS14_E10value_typeET4_jRbjT5_S1A_jjP12ihipStream_tbEUljE_EEESV_SW_SX_S14_S18_S1A_T6_T7_T9_mT8_S1C_bDpT10_ENKUlT_T0_E_clISt17integral_constantIbLb1EES1P_EEDaS1K_S1L_EUlS1K_E_NS1_11comp_targetILNS1_3genE5ELNS1_11target_archE942ELNS1_3gpuE9ELNS1_3repE0EEENS1_30default_config_static_selectorELNS0_4arch9wavefront6targetE1EEEvSY_, .Lfunc_end1196-_ZN7rocprim17ROCPRIM_400000_NS6detail17trampoline_kernelINS0_13select_configILj256ELj13ELNS0_17block_load_methodE3ELS4_3ELS4_3ELNS0_20block_scan_algorithmE0ELj4294967295EEENS1_25partition_config_selectorILNS1_17partition_subalgoE3EjNS0_10empty_typeEbEEZZNS1_14partition_implILS8_3ELb0ES6_jNS0_17counting_iteratorIjlEEPS9_SE_NS0_5tupleIJPjSE_EEENSF_IJSE_SE_EEES9_SG_JZNS1_25segmented_radix_sort_implINS0_14default_configELb0EPKdPdPKlPlN2at6native12_GLOBAL__N_18offset_tEEE10hipError_tPvRmT1_PNSt15iterator_traitsISY_E10value_typeET2_T3_PNSZ_IS14_E10value_typeET4_jRbjT5_S1A_jjP12ihipStream_tbEUljE_EEESV_SW_SX_S14_S18_S1A_T6_T7_T9_mT8_S1C_bDpT10_ENKUlT_T0_E_clISt17integral_constantIbLb1EES1P_EEDaS1K_S1L_EUlS1K_E_NS1_11comp_targetILNS1_3genE5ELNS1_11target_archE942ELNS1_3gpuE9ELNS1_3repE0EEENS1_30default_config_static_selectorELNS0_4arch9wavefront6targetE1EEEvSY_
                                        ; -- End function
	.section	.AMDGPU.csdata,"",@progbits
; Kernel info:
; codeLenInByte = 0
; NumSgprs: 4
; NumVgprs: 0
; NumAgprs: 0
; TotalNumVgprs: 0
; ScratchSize: 0
; MemoryBound: 0
; FloatMode: 240
; IeeeMode: 1
; LDSByteSize: 0 bytes/workgroup (compile time only)
; SGPRBlocks: 0
; VGPRBlocks: 0
; NumSGPRsForWavesPerEU: 4
; NumVGPRsForWavesPerEU: 1
; AccumOffset: 4
; Occupancy: 8
; WaveLimiterHint : 0
; COMPUTE_PGM_RSRC2:SCRATCH_EN: 0
; COMPUTE_PGM_RSRC2:USER_SGPR: 6
; COMPUTE_PGM_RSRC2:TRAP_HANDLER: 0
; COMPUTE_PGM_RSRC2:TGID_X_EN: 1
; COMPUTE_PGM_RSRC2:TGID_Y_EN: 0
; COMPUTE_PGM_RSRC2:TGID_Z_EN: 0
; COMPUTE_PGM_RSRC2:TIDIG_COMP_CNT: 0
; COMPUTE_PGM_RSRC3_GFX90A:ACCUM_OFFSET: 0
; COMPUTE_PGM_RSRC3_GFX90A:TG_SPLIT: 0
	.section	.text._ZN7rocprim17ROCPRIM_400000_NS6detail17trampoline_kernelINS0_13select_configILj256ELj13ELNS0_17block_load_methodE3ELS4_3ELS4_3ELNS0_20block_scan_algorithmE0ELj4294967295EEENS1_25partition_config_selectorILNS1_17partition_subalgoE3EjNS0_10empty_typeEbEEZZNS1_14partition_implILS8_3ELb0ES6_jNS0_17counting_iteratorIjlEEPS9_SE_NS0_5tupleIJPjSE_EEENSF_IJSE_SE_EEES9_SG_JZNS1_25segmented_radix_sort_implINS0_14default_configELb0EPKdPdPKlPlN2at6native12_GLOBAL__N_18offset_tEEE10hipError_tPvRmT1_PNSt15iterator_traitsISY_E10value_typeET2_T3_PNSZ_IS14_E10value_typeET4_jRbjT5_S1A_jjP12ihipStream_tbEUljE_EEESV_SW_SX_S14_S18_S1A_T6_T7_T9_mT8_S1C_bDpT10_ENKUlT_T0_E_clISt17integral_constantIbLb1EES1P_EEDaS1K_S1L_EUlS1K_E_NS1_11comp_targetILNS1_3genE4ELNS1_11target_archE910ELNS1_3gpuE8ELNS1_3repE0EEENS1_30default_config_static_selectorELNS0_4arch9wavefront6targetE1EEEvSY_,"axG",@progbits,_ZN7rocprim17ROCPRIM_400000_NS6detail17trampoline_kernelINS0_13select_configILj256ELj13ELNS0_17block_load_methodE3ELS4_3ELS4_3ELNS0_20block_scan_algorithmE0ELj4294967295EEENS1_25partition_config_selectorILNS1_17partition_subalgoE3EjNS0_10empty_typeEbEEZZNS1_14partition_implILS8_3ELb0ES6_jNS0_17counting_iteratorIjlEEPS9_SE_NS0_5tupleIJPjSE_EEENSF_IJSE_SE_EEES9_SG_JZNS1_25segmented_radix_sort_implINS0_14default_configELb0EPKdPdPKlPlN2at6native12_GLOBAL__N_18offset_tEEE10hipError_tPvRmT1_PNSt15iterator_traitsISY_E10value_typeET2_T3_PNSZ_IS14_E10value_typeET4_jRbjT5_S1A_jjP12ihipStream_tbEUljE_EEESV_SW_SX_S14_S18_S1A_T6_T7_T9_mT8_S1C_bDpT10_ENKUlT_T0_E_clISt17integral_constantIbLb1EES1P_EEDaS1K_S1L_EUlS1K_E_NS1_11comp_targetILNS1_3genE4ELNS1_11target_archE910ELNS1_3gpuE8ELNS1_3repE0EEENS1_30default_config_static_selectorELNS0_4arch9wavefront6targetE1EEEvSY_,comdat
	.globl	_ZN7rocprim17ROCPRIM_400000_NS6detail17trampoline_kernelINS0_13select_configILj256ELj13ELNS0_17block_load_methodE3ELS4_3ELS4_3ELNS0_20block_scan_algorithmE0ELj4294967295EEENS1_25partition_config_selectorILNS1_17partition_subalgoE3EjNS0_10empty_typeEbEEZZNS1_14partition_implILS8_3ELb0ES6_jNS0_17counting_iteratorIjlEEPS9_SE_NS0_5tupleIJPjSE_EEENSF_IJSE_SE_EEES9_SG_JZNS1_25segmented_radix_sort_implINS0_14default_configELb0EPKdPdPKlPlN2at6native12_GLOBAL__N_18offset_tEEE10hipError_tPvRmT1_PNSt15iterator_traitsISY_E10value_typeET2_T3_PNSZ_IS14_E10value_typeET4_jRbjT5_S1A_jjP12ihipStream_tbEUljE_EEESV_SW_SX_S14_S18_S1A_T6_T7_T9_mT8_S1C_bDpT10_ENKUlT_T0_E_clISt17integral_constantIbLb1EES1P_EEDaS1K_S1L_EUlS1K_E_NS1_11comp_targetILNS1_3genE4ELNS1_11target_archE910ELNS1_3gpuE8ELNS1_3repE0EEENS1_30default_config_static_selectorELNS0_4arch9wavefront6targetE1EEEvSY_ ; -- Begin function _ZN7rocprim17ROCPRIM_400000_NS6detail17trampoline_kernelINS0_13select_configILj256ELj13ELNS0_17block_load_methodE3ELS4_3ELS4_3ELNS0_20block_scan_algorithmE0ELj4294967295EEENS1_25partition_config_selectorILNS1_17partition_subalgoE3EjNS0_10empty_typeEbEEZZNS1_14partition_implILS8_3ELb0ES6_jNS0_17counting_iteratorIjlEEPS9_SE_NS0_5tupleIJPjSE_EEENSF_IJSE_SE_EEES9_SG_JZNS1_25segmented_radix_sort_implINS0_14default_configELb0EPKdPdPKlPlN2at6native12_GLOBAL__N_18offset_tEEE10hipError_tPvRmT1_PNSt15iterator_traitsISY_E10value_typeET2_T3_PNSZ_IS14_E10value_typeET4_jRbjT5_S1A_jjP12ihipStream_tbEUljE_EEESV_SW_SX_S14_S18_S1A_T6_T7_T9_mT8_S1C_bDpT10_ENKUlT_T0_E_clISt17integral_constantIbLb1EES1P_EEDaS1K_S1L_EUlS1K_E_NS1_11comp_targetILNS1_3genE4ELNS1_11target_archE910ELNS1_3gpuE8ELNS1_3repE0EEENS1_30default_config_static_selectorELNS0_4arch9wavefront6targetE1EEEvSY_
	.p2align	8
	.type	_ZN7rocprim17ROCPRIM_400000_NS6detail17trampoline_kernelINS0_13select_configILj256ELj13ELNS0_17block_load_methodE3ELS4_3ELS4_3ELNS0_20block_scan_algorithmE0ELj4294967295EEENS1_25partition_config_selectorILNS1_17partition_subalgoE3EjNS0_10empty_typeEbEEZZNS1_14partition_implILS8_3ELb0ES6_jNS0_17counting_iteratorIjlEEPS9_SE_NS0_5tupleIJPjSE_EEENSF_IJSE_SE_EEES9_SG_JZNS1_25segmented_radix_sort_implINS0_14default_configELb0EPKdPdPKlPlN2at6native12_GLOBAL__N_18offset_tEEE10hipError_tPvRmT1_PNSt15iterator_traitsISY_E10value_typeET2_T3_PNSZ_IS14_E10value_typeET4_jRbjT5_S1A_jjP12ihipStream_tbEUljE_EEESV_SW_SX_S14_S18_S1A_T6_T7_T9_mT8_S1C_bDpT10_ENKUlT_T0_E_clISt17integral_constantIbLb1EES1P_EEDaS1K_S1L_EUlS1K_E_NS1_11comp_targetILNS1_3genE4ELNS1_11target_archE910ELNS1_3gpuE8ELNS1_3repE0EEENS1_30default_config_static_selectorELNS0_4arch9wavefront6targetE1EEEvSY_,@function
_ZN7rocprim17ROCPRIM_400000_NS6detail17trampoline_kernelINS0_13select_configILj256ELj13ELNS0_17block_load_methodE3ELS4_3ELS4_3ELNS0_20block_scan_algorithmE0ELj4294967295EEENS1_25partition_config_selectorILNS1_17partition_subalgoE3EjNS0_10empty_typeEbEEZZNS1_14partition_implILS8_3ELb0ES6_jNS0_17counting_iteratorIjlEEPS9_SE_NS0_5tupleIJPjSE_EEENSF_IJSE_SE_EEES9_SG_JZNS1_25segmented_radix_sort_implINS0_14default_configELb0EPKdPdPKlPlN2at6native12_GLOBAL__N_18offset_tEEE10hipError_tPvRmT1_PNSt15iterator_traitsISY_E10value_typeET2_T3_PNSZ_IS14_E10value_typeET4_jRbjT5_S1A_jjP12ihipStream_tbEUljE_EEESV_SW_SX_S14_S18_S1A_T6_T7_T9_mT8_S1C_bDpT10_ENKUlT_T0_E_clISt17integral_constantIbLb1EES1P_EEDaS1K_S1L_EUlS1K_E_NS1_11comp_targetILNS1_3genE4ELNS1_11target_archE910ELNS1_3gpuE8ELNS1_3repE0EEENS1_30default_config_static_selectorELNS0_4arch9wavefront6targetE1EEEvSY_: ; @_ZN7rocprim17ROCPRIM_400000_NS6detail17trampoline_kernelINS0_13select_configILj256ELj13ELNS0_17block_load_methodE3ELS4_3ELS4_3ELNS0_20block_scan_algorithmE0ELj4294967295EEENS1_25partition_config_selectorILNS1_17partition_subalgoE3EjNS0_10empty_typeEbEEZZNS1_14partition_implILS8_3ELb0ES6_jNS0_17counting_iteratorIjlEEPS9_SE_NS0_5tupleIJPjSE_EEENSF_IJSE_SE_EEES9_SG_JZNS1_25segmented_radix_sort_implINS0_14default_configELb0EPKdPdPKlPlN2at6native12_GLOBAL__N_18offset_tEEE10hipError_tPvRmT1_PNSt15iterator_traitsISY_E10value_typeET2_T3_PNSZ_IS14_E10value_typeET4_jRbjT5_S1A_jjP12ihipStream_tbEUljE_EEESV_SW_SX_S14_S18_S1A_T6_T7_T9_mT8_S1C_bDpT10_ENKUlT_T0_E_clISt17integral_constantIbLb1EES1P_EEDaS1K_S1L_EUlS1K_E_NS1_11comp_targetILNS1_3genE4ELNS1_11target_archE910ELNS1_3gpuE8ELNS1_3repE0EEENS1_30default_config_static_selectorELNS0_4arch9wavefront6targetE1EEEvSY_
; %bb.0:
	s_load_dwordx2 s[28:29], s[4:5], 0x10
	s_load_dwordx2 s[24:25], s[4:5], 0x28
	;; [unrolled: 1-line block ×3, first 2 shown]
	s_load_dwordx4 s[20:23], s[4:5], 0x48
	s_load_dword s14, s[4:5], 0x90
	s_load_dwordx2 s[30:31], s[4:5], 0x68
	s_load_dwordx4 s[8:11], s[4:5], 0x80
	v_cmp_eq_u32_e64 s[0:1], 0, v0
	s_and_saveexec_b64 s[2:3], s[0:1]
	s_cbranch_execz .LBB1197_4
; %bb.1:
	s_mov_b64 s[12:13], exec
	v_mbcnt_lo_u32_b32 v1, s12, 0
	v_mbcnt_hi_u32_b32 v1, s13, v1
	v_cmp_eq_u32_e32 vcc, 0, v1
                                        ; implicit-def: $vgpr2
	s_and_saveexec_b64 s[6:7], vcc
	s_cbranch_execz .LBB1197_3
; %bb.2:
	s_load_dwordx2 s[16:17], s[4:5], 0x78
	s_bcnt1_i32_b64 s12, s[12:13]
	v_mov_b32_e32 v2, 0
	v_mov_b32_e32 v3, s12
	s_waitcnt lgkmcnt(0)
	global_atomic_add v2, v2, v3, s[16:17] glc
.LBB1197_3:
	s_or_b64 exec, exec, s[6:7]
	s_waitcnt vmcnt(0)
	v_readfirstlane_b32 s6, v2
	v_add_u32_e32 v1, s6, v1
	v_mov_b32_e32 v2, 0
	ds_write_b32 v2, v1
.LBB1197_4:
	s_or_b64 exec, exec, s[2:3]
	v_mov_b32_e32 v1, 0
	s_load_dword s2, s[4:5], 0x8
	s_load_dword s6, s[4:5], 0x70
	s_waitcnt lgkmcnt(0)
	s_barrier
	ds_read_b32 v2, v1
	s_waitcnt lgkmcnt(0)
	s_barrier
	global_load_dwordx2 v[20:21], v1, s[22:23]
	s_add_i32 s7, s2, s28
	s_movk_i32 s2, 0xd00
	s_add_i32 s4, s6, -1
	s_mulk_i32 s6, 0xd00
	v_mul_lo_u32 v1, v2, s2
	s_add_u32 s2, s28, s6
	v_readfirstlane_b32 s40, v2
	s_addc_u32 s3, s29, 0
	s_cmp_eq_u32 s40, s4
	v_pk_mov_b32 v[2:3], s[26:27], s[26:27] op_sel:[0,1]
	s_cselect_b64 s[22:23], -1, 0
	s_cmp_lg_u32 s40, s4
	v_cmp_lt_u64_e32 vcc, s[2:3], v[2:3]
	s_cselect_b64 s[2:3], -1, 0
	s_or_b64 s[4:5], vcc, s[2:3]
	v_add_u32_e32 v2, s7, v1
	s_mov_b64 s[2:3], -1
	s_and_b64 vcc, exec, s[4:5]
	v_add_u32_e32 v2, v2, v0
	v_lshlrev_b32_e32 v34, 2, v0
	s_cbranch_vccz .LBB1197_6
; %bb.5:
	v_add_u32_e32 v3, 0x100, v2
	v_add_u32_e32 v4, 0x200, v2
	;; [unrolled: 1-line block ×12, first 2 shown]
	ds_write2st64_b32 v34, v2, v3 offset1:4
	ds_write2st64_b32 v34, v4, v5 offset0:8 offset1:12
	ds_write2st64_b32 v34, v6, v7 offset0:16 offset1:20
	;; [unrolled: 1-line block ×5, first 2 shown]
	ds_write_b32 v34, v14 offset:12288
	s_waitcnt lgkmcnt(0)
	s_barrier
	s_mov_b64 s[2:3], 0
.LBB1197_6:
	s_andn2_b64 vcc, exec, s[2:3]
	s_add_i32 s6, s6, s28
	s_cbranch_vccnz .LBB1197_8
; %bb.7:
	v_add_u32_e32 v3, 0x100, v2
	v_add_u32_e32 v4, 0x200, v2
	;; [unrolled: 1-line block ×12, first 2 shown]
	ds_write2st64_b32 v34, v2, v3 offset1:4
	ds_write2st64_b32 v34, v4, v5 offset0:8 offset1:12
	ds_write2st64_b32 v34, v6, v7 offset0:16 offset1:20
	;; [unrolled: 1-line block ×5, first 2 shown]
	ds_write_b32 v34, v14 offset:12288
	s_waitcnt lgkmcnt(0)
	s_barrier
.LBB1197_8:
	v_mul_u32_u24_e32 v36, 13, v0
	v_lshlrev_b32_e32 v2, 2, v36
	ds_read2_b32 v[32:33], v2 offset1:1
	ds_read2_b32 v[30:31], v2 offset0:2 offset1:3
	ds_read2_b32 v[28:29], v2 offset0:4 offset1:5
	;; [unrolled: 1-line block ×5, first 2 shown]
	ds_read_b32 v35, v2 offset:48
	v_cndmask_b32_e64 v2, 0, 1, s[4:5]
	s_sub_i32 s33, s26, s6
	v_cmp_ne_u32_e64 s[2:3], 1, v2
	s_andn2_b64 vcc, exec, s[4:5]
	s_waitcnt lgkmcnt(0)
	s_barrier
	s_cbranch_vccnz .LBB1197_10
; %bb.9:
	v_add_u32_e32 v2, s9, v32
	v_add_u32_e32 v3, s11, v32
	v_mul_lo_u32 v2, v2, s8
	v_mul_lo_u32 v3, v3, s10
	v_sub_u32_e32 v2, v2, v3
	v_add_u32_e32 v3, s9, v33
	v_add_u32_e32 v4, s11, v33
	v_mul_lo_u32 v3, v3, s8
	v_mul_lo_u32 v4, v4, s10
	v_sub_u32_e32 v3, v3, v4
	;; [unrolled: 5-line block ×6, first 2 shown]
	v_add_u32_e32 v8, s9, v26
	v_add_u32_e32 v9, s11, v26
	v_mul_lo_u32 v8, v8, s8
	v_mul_lo_u32 v9, v9, s10
	v_cmp_lt_u32_e32 vcc, s14, v2
	v_sub_u32_e32 v8, v8, v9
	v_add_u32_e32 v9, s9, v27
	v_add_u32_e32 v10, s11, v27
	v_cndmask_b32_e64 v2, 0, 1, vcc
	v_cmp_lt_u32_e32 vcc, s14, v3
	v_mul_lo_u32 v9, v9, s8
	v_mul_lo_u32 v10, v10, s10
	v_cndmask_b32_e64 v3, 0, 1, vcc
	v_cmp_lt_u32_e32 vcc, s14, v4
	v_sub_u32_e32 v9, v9, v10
	v_add_u32_e32 v10, s9, v24
	v_add_u32_e32 v11, s11, v24
	v_cndmask_b32_e64 v4, 0, 1, vcc
	v_cmp_lt_u32_e32 vcc, s14, v5
	v_mul_lo_u32 v10, v10, s8
	v_mul_lo_u32 v11, v11, s10
	v_cndmask_b32_e64 v5, 0, 1, vcc
	;; [unrolled: 9-line block ×4, first 2 shown]
	v_cmp_lt_u32_e32 vcc, s14, v10
	v_sub_u32_e32 v12, v12, v13
	v_add_u32_e32 v13, s9, v23
	v_add_u32_e32 v14, s11, v23
	v_lshlrev_b16_e32 v3, 8, v3
	v_cndmask_b32_e64 v10, 0, 1, vcc
	v_cmp_lt_u32_e32 vcc, s14, v11
	v_mul_lo_u32 v13, v13, s8
	v_mul_lo_u32 v14, v14, s10
	v_or_b32_e32 v2, v2, v3
	v_lshlrev_b16_e32 v3, 8, v5
	v_cndmask_b32_e64 v11, 0, 1, vcc
	v_cmp_lt_u32_e32 vcc, s14, v12
	v_sub_u32_e32 v13, v13, v14
	v_or_b32_sdwa v3, v4, v3 dst_sel:WORD_1 dst_unused:UNUSED_PAD src0_sel:DWORD src1_sel:DWORD
	v_cndmask_b32_e64 v12, 0, 1, vcc
	v_cmp_lt_u32_e32 vcc, s14, v13
	v_add_u32_e32 v14, s9, v35
	v_add_u32_e32 v15, s11, v35
	v_or_b32_sdwa v40, v2, v3 dst_sel:DWORD dst_unused:UNUSED_PAD src0_sel:WORD_0 src1_sel:DWORD
	v_lshlrev_b16_e32 v2, 8, v7
	v_lshlrev_b16_e32 v3, 8, v9
	v_cndmask_b32_e64 v13, 0, 1, vcc
	v_mul_lo_u32 v14, v14, s8
	v_mul_lo_u32 v15, v15, s10
	v_or_b32_e32 v2, v6, v2
	v_or_b32_sdwa v3, v8, v3 dst_sel:WORD_1 dst_unused:UNUSED_PAD src0_sel:DWORD src1_sel:DWORD
	v_sub_u32_e32 v14, v14, v15
	v_or_b32_sdwa v39, v2, v3 dst_sel:DWORD dst_unused:UNUSED_PAD src0_sel:WORD_0 src1_sel:DWORD
	v_lshlrev_b16_e32 v2, 8, v11
	v_lshlrev_b16_e32 v3, 8, v13
	v_cmp_lt_u32_e32 vcc, s14, v14
	v_or_b32_e32 v2, v10, v2
	v_or_b32_sdwa v3, v12, v3 dst_sel:WORD_1 dst_unused:UNUSED_PAD src0_sel:DWORD src1_sel:DWORD
	v_cndmask_b32_e64 v37, 0, 1, vcc
	v_or_b32_sdwa v38, v2, v3 dst_sel:DWORD dst_unused:UNUSED_PAD src0_sel:WORD_0 src1_sel:DWORD
	s_addk_i32 s33, 0xd00
	s_cbranch_execz .LBB1197_11
	s_branch .LBB1197_38
.LBB1197_10:
                                        ; implicit-def: $vgpr37
                                        ; implicit-def: $vgpr38
                                        ; implicit-def: $vgpr39
                                        ; implicit-def: $vgpr40
	s_addk_i32 s33, 0xd00
.LBB1197_11:
	v_cmp_gt_u32_e32 vcc, s33, v36
	v_mov_b32_e32 v3, 0
	v_mov_b32_e32 v2, 0
	s_and_saveexec_b64 s[4:5], vcc
; %bb.12:
	v_add_u32_e32 v2, s9, v32
	v_add_u32_e32 v4, s11, v32
	v_mul_lo_u32 v2, v2, s8
	v_mul_lo_u32 v4, v4, s10
	v_sub_u32_e32 v2, v2, v4
	v_cmp_lt_u32_e32 vcc, s14, v2
	v_cndmask_b32_e64 v2, 0, 1, vcc
; %bb.13:
	s_or_b64 exec, exec, s[4:5]
	v_add_u32_e32 v4, 1, v36
	v_cmp_gt_u32_e32 vcc, s33, v4
	s_and_saveexec_b64 s[4:5], vcc
; %bb.14:
	v_add_u32_e32 v3, s9, v33
	v_add_u32_e32 v4, s11, v33
	v_mul_lo_u32 v3, v3, s8
	v_mul_lo_u32 v4, v4, s10
	v_sub_u32_e32 v3, v3, v4
	v_cmp_lt_u32_e32 vcc, s14, v3
	v_cndmask_b32_e64 v3, 0, 1, vcc
; %bb.15:
	s_or_b64 exec, exec, s[4:5]
	v_add_u32_e32 v4, 2, v36
	v_cmp_gt_u32_e32 vcc, s33, v4
	v_mov_b32_e32 v5, 0
	v_mov_b32_e32 v4, 0
	s_and_saveexec_b64 s[4:5], vcc
; %bb.16:
	v_add_u32_e32 v4, s9, v30
	v_add_u32_e32 v6, s11, v30
	v_mul_lo_u32 v4, v4, s8
	v_mul_lo_u32 v6, v6, s10
	v_sub_u32_e32 v4, v4, v6
	v_cmp_lt_u32_e32 vcc, s14, v4
	v_cndmask_b32_e64 v4, 0, 1, vcc
; %bb.17:
	s_or_b64 exec, exec, s[4:5]
	v_add_u32_e32 v6, 3, v36
	v_cmp_gt_u32_e32 vcc, s33, v6
	s_and_saveexec_b64 s[4:5], vcc
; %bb.18:
	v_add_u32_e32 v5, s9, v31
	v_add_u32_e32 v6, s11, v31
	v_mul_lo_u32 v5, v5, s8
	v_mul_lo_u32 v6, v6, s10
	v_sub_u32_e32 v5, v5, v6
	v_cmp_lt_u32_e32 vcc, s14, v5
	v_cndmask_b32_e64 v5, 0, 1, vcc
; %bb.19:
	s_or_b64 exec, exec, s[4:5]
	v_add_u32_e32 v6, 4, v36
	;; [unrolled: 28-line block ×6, first 2 shown]
	v_cmp_gt_u32_e32 vcc, s33, v14
	v_mov_b32_e32 v37, 0
	s_and_saveexec_b64 s[4:5], vcc
; %bb.36:
	v_add_u32_e32 v14, s9, v35
	v_add_u32_e32 v15, s11, v35
	v_mul_lo_u32 v14, v14, s8
	v_mul_lo_u32 v15, v15, s10
	v_sub_u32_e32 v14, v14, v15
	v_cmp_lt_u32_e32 vcc, s14, v14
	v_cndmask_b32_e64 v37, 0, 1, vcc
; %bb.37:
	s_or_b64 exec, exec, s[4:5]
	v_lshlrev_b16_e32 v3, 8, v3
	v_or_b32_e32 v2, v2, v3
	v_lshlrev_b16_e32 v3, 8, v5
	v_or_b32_sdwa v3, v4, v3 dst_sel:WORD_1 dst_unused:UNUSED_PAD src0_sel:DWORD src1_sel:DWORD
	v_or_b32_sdwa v40, v2, v3 dst_sel:DWORD dst_unused:UNUSED_PAD src0_sel:WORD_0 src1_sel:DWORD
	v_lshlrev_b16_e32 v2, 8, v7
	v_lshlrev_b16_e32 v3, 8, v9
	v_or_b32_e32 v2, v6, v2
	v_or_b32_sdwa v3, v8, v3 dst_sel:WORD_1 dst_unused:UNUSED_PAD src0_sel:DWORD src1_sel:DWORD
	v_or_b32_sdwa v39, v2, v3 dst_sel:DWORD dst_unused:UNUSED_PAD src0_sel:WORD_0 src1_sel:DWORD
	v_lshlrev_b16_e32 v2, 8, v11
	v_lshlrev_b16_e32 v3, 8, v13
	v_or_b32_e32 v2, v10, v2
	v_or_b32_sdwa v3, v12, v3 dst_sel:WORD_1 dst_unused:UNUSED_PAD src0_sel:DWORD src1_sel:DWORD
	v_or_b32_sdwa v38, v2, v3 dst_sel:DWORD dst_unused:UNUSED_PAD src0_sel:WORD_0 src1_sel:DWORD
.LBB1197_38:
	v_and_b32_e32 v44, 0xff, v40
	v_bfe_u32 v45, v40, 8, 8
	v_bfe_u32 v46, v40, 16, 8
	v_lshrrev_b32_e32 v43, 24, v40
	v_and_b32_e32 v47, 0xff, v39
	v_add3_u32 v3, v45, v44, v46
	v_bfe_u32 v48, v39, 8, 8
	v_bfe_u32 v49, v39, 16, 8
	v_add3_u32 v3, v3, v43, v47
	v_lshrrev_b32_e32 v42, 24, v39
	v_and_b32_e32 v50, 0xff, v38
	v_add3_u32 v3, v3, v48, v49
	v_bfe_u32 v51, v38, 8, 8
	v_bfe_u32 v52, v38, 16, 8
	v_add3_u32 v3, v3, v42, v50
	v_lshrrev_b32_e32 v41, 24, v38
	v_and_b32_e32 v2, 0xff, v37
	v_add3_u32 v3, v3, v51, v52
	v_add3_u32 v55, v3, v41, v2
	v_mbcnt_lo_u32_b32 v2, -1, 0
	v_mbcnt_hi_u32_b32 v53, -1, v2
	v_and_b32_e32 v2, 15, v53
	v_cmp_eq_u32_e64 s[16:17], 0, v2
	v_cmp_lt_u32_e64 s[14:15], 1, v2
	v_cmp_lt_u32_e64 s[12:13], 3, v2
	;; [unrolled: 1-line block ×3, first 2 shown]
	v_and_b32_e32 v2, 16, v53
	v_cmp_eq_u32_e64 s[8:9], 0, v2
	v_or_b32_e32 v2, 63, v0
	s_cmp_lg_u32 s40, 0
	v_cmp_lt_u32_e64 s[4:5], 31, v53
	v_lshrrev_b32_e32 v54, 6, v0
	v_cmp_eq_u32_e64 s[6:7], v2, v0
	s_cbranch_scc0 .LBB1197_69
; %bb.39:
	v_mov_b32_dpp v2, v55 row_shr:1 row_mask:0xf bank_mask:0xf
	v_cndmask_b32_e64 v2, v2, 0, s[16:17]
	v_add_u32_e32 v2, v2, v55
	s_nop 1
	v_mov_b32_dpp v3, v2 row_shr:2 row_mask:0xf bank_mask:0xf
	v_cndmask_b32_e64 v3, 0, v3, s[14:15]
	v_add_u32_e32 v2, v2, v3
	s_nop 1
	;; [unrolled: 4-line block ×4, first 2 shown]
	v_mov_b32_dpp v3, v2 row_bcast:15 row_mask:0xf bank_mask:0xf
	v_cndmask_b32_e64 v3, v3, 0, s[8:9]
	v_add_u32_e32 v2, v2, v3
	s_nop 1
	v_mov_b32_dpp v3, v2 row_bcast:31 row_mask:0xf bank_mask:0xf
	v_cndmask_b32_e64 v3, 0, v3, s[4:5]
	v_add_u32_e32 v2, v2, v3
	s_and_saveexec_b64 s[18:19], s[6:7]
	s_cbranch_execz .LBB1197_41
; %bb.40:
	v_lshlrev_b32_e32 v3, 2, v54
	ds_write_b32 v3, v2
.LBB1197_41:
	s_or_b64 exec, exec, s[18:19]
	v_cmp_gt_u32_e32 vcc, 4, v0
	s_waitcnt lgkmcnt(0)
	s_barrier
	s_and_saveexec_b64 s[18:19], vcc
	s_cbranch_execz .LBB1197_43
; %bb.42:
	ds_read_b32 v3, v34
	v_and_b32_e32 v4, 3, v53
	v_cmp_ne_u32_e32 vcc, 0, v4
	s_waitcnt lgkmcnt(0)
	v_mov_b32_dpp v5, v3 row_shr:1 row_mask:0xf bank_mask:0xf
	v_cndmask_b32_e32 v5, 0, v5, vcc
	v_add_u32_e32 v3, v5, v3
	v_cmp_lt_u32_e32 vcc, 1, v4
	s_nop 0
	v_mov_b32_dpp v5, v3 row_shr:2 row_mask:0xf bank_mask:0xf
	v_cndmask_b32_e32 v4, 0, v5, vcc
	v_add_u32_e32 v3, v3, v4
	ds_write_b32 v34, v3
.LBB1197_43:
	s_or_b64 exec, exec, s[18:19]
	v_cmp_gt_u32_e32 vcc, 64, v0
	v_cmp_lt_u32_e64 s[18:19], 63, v0
	s_waitcnt lgkmcnt(0)
	s_barrier
	s_waitcnt lgkmcnt(0)
                                        ; implicit-def: $vgpr12
	s_and_saveexec_b64 s[34:35], s[18:19]
	s_cbranch_execz .LBB1197_45
; %bb.44:
	v_lshl_add_u32 v3, v54, 2, -4
	ds_read_b32 v12, v3
	s_waitcnt lgkmcnt(0)
	v_add_u32_e32 v2, v12, v2
.LBB1197_45:
	s_or_b64 exec, exec, s[34:35]
	v_add_u32_e32 v3, -1, v53
	v_and_b32_e32 v4, 64, v53
	v_cmp_lt_i32_e64 s[18:19], v3, v4
	v_cndmask_b32_e64 v3, v3, v53, s[18:19]
	v_lshlrev_b32_e32 v3, 2, v3
	ds_bpermute_b32 v13, v3, v2
	v_cmp_eq_u32_e64 s[18:19], 0, v53
	s_and_saveexec_b64 s[34:35], vcc
	s_cbranch_execz .LBB1197_68
; %bb.46:
	v_mov_b32_e32 v11, 0
	ds_read_b32 v2, v11 offset:12
	s_and_saveexec_b64 s[36:37], s[18:19]
	s_cbranch_execz .LBB1197_48
; %bb.47:
	s_add_i32 s38, s40, 64
	s_mov_b32 s39, 0
	s_lshl_b64 s[38:39], s[38:39], 3
	s_add_u32 s38, s30, s38
	v_mov_b32_e32 v3, 1
	s_addc_u32 s39, s31, s39
	s_waitcnt lgkmcnt(0)
	global_store_dwordx2 v11, v[2:3], s[38:39]
.LBB1197_48:
	s_or_b64 exec, exec, s[36:37]
	v_xad_u32 v4, v53, -1, s40
	v_add_u32_e32 v10, 64, v4
	v_lshlrev_b64 v[6:7], 3, v[10:11]
	v_mov_b32_e32 v3, s31
	v_add_co_u32_e32 v6, vcc, s30, v6
	v_addc_co_u32_e32 v7, vcc, v3, v7, vcc
	global_load_dwordx2 v[8:9], v[6:7], off glc
	s_waitcnt vmcnt(0)
	v_cmp_eq_u16_sdwa s[38:39], v9, v11 src0_sel:BYTE_0 src1_sel:DWORD
	s_and_saveexec_b64 s[36:37], s[38:39]
	s_cbranch_execz .LBB1197_54
; %bb.49:
	s_mov_b32 s41, 1
	s_mov_b64 s[38:39], 0
	v_mov_b32_e32 v3, 0
.LBB1197_50:                            ; =>This Loop Header: Depth=1
                                        ;     Child Loop BB1197_51 Depth 2
	s_max_u32 s42, s41, 1
.LBB1197_51:                            ;   Parent Loop BB1197_50 Depth=1
                                        ; =>  This Inner Loop Header: Depth=2
	s_add_i32 s42, s42, -1
	s_cmp_eq_u32 s42, 0
	s_sleep 1
	s_cbranch_scc0 .LBB1197_51
; %bb.52:                               ;   in Loop: Header=BB1197_50 Depth=1
	global_load_dwordx2 v[8:9], v[6:7], off glc
	s_cmp_lt_u32 s41, 32
	s_cselect_b64 s[42:43], -1, 0
	s_cmp_lg_u64 s[42:43], 0
	s_addc_u32 s41, s41, 0
	s_waitcnt vmcnt(0)
	v_cmp_ne_u16_sdwa s[42:43], v9, v3 src0_sel:BYTE_0 src1_sel:DWORD
	s_or_b64 s[38:39], s[42:43], s[38:39]
	s_andn2_b64 exec, exec, s[38:39]
	s_cbranch_execnz .LBB1197_50
; %bb.53:
	s_or_b64 exec, exec, s[38:39]
.LBB1197_54:
	s_or_b64 exec, exec, s[36:37]
	v_and_b32_e32 v14, 63, v53
	v_mov_b32_e32 v3, 2
	v_cmp_ne_u32_e32 vcc, 63, v14
	v_cmp_eq_u16_sdwa s[36:37], v9, v3 src0_sel:BYTE_0 src1_sel:DWORD
	v_lshlrev_b64 v[6:7], v53, -1
	v_addc_co_u32_e32 v11, vcc, 0, v53, vcc
	v_and_b32_e32 v5, s37, v7
	v_lshlrev_b32_e32 v15, 2, v11
	v_or_b32_e32 v5, 0x80000000, v5
	ds_bpermute_b32 v11, v15, v8
	v_and_b32_e32 v10, s36, v6
	v_ffbl_b32_e32 v5, v5
	v_add_u32_e32 v5, 32, v5
	v_ffbl_b32_e32 v10, v10
	v_min_u32_e32 v5, v10, v5
	v_cmp_lt_u32_e32 vcc, v14, v5
	s_waitcnt lgkmcnt(0)
	v_cndmask_b32_e32 v10, 0, v11, vcc
	v_cmp_gt_u32_e32 vcc, 62, v14
	v_add_u32_e32 v8, v10, v8
	v_cndmask_b32_e64 v10, 0, 1, vcc
	v_lshlrev_b32_e32 v10, 1, v10
	v_add_lshl_u32 v16, v10, v53, 2
	ds_bpermute_b32 v10, v16, v8
	v_add_u32_e32 v17, 2, v14
	v_cmp_le_u32_e32 vcc, v17, v5
	v_add_u32_e32 v19, 4, v14
	v_add_u32_e32 v57, 8, v14
	s_waitcnt lgkmcnt(0)
	v_cndmask_b32_e32 v10, 0, v10, vcc
	v_cmp_gt_u32_e32 vcc, 60, v14
	v_add_u32_e32 v8, v8, v10
	v_cndmask_b32_e64 v10, 0, 1, vcc
	v_lshlrev_b32_e32 v10, 2, v10
	v_add_lshl_u32 v18, v10, v53, 2
	ds_bpermute_b32 v10, v18, v8
	v_cmp_le_u32_e32 vcc, v19, v5
	v_add_u32_e32 v60, 16, v14
	v_add_u32_e32 v62, 32, v14
	s_waitcnt lgkmcnt(0)
	v_cndmask_b32_e32 v10, 0, v10, vcc
	v_cmp_gt_u32_e32 vcc, 56, v14
	v_add_u32_e32 v8, v8, v10
	v_cndmask_b32_e64 v10, 0, 1, vcc
	v_lshlrev_b32_e32 v10, 3, v10
	v_add_lshl_u32 v56, v10, v53, 2
	ds_bpermute_b32 v10, v56, v8
	v_cmp_le_u32_e32 vcc, v57, v5
	s_waitcnt lgkmcnt(0)
	v_cndmask_b32_e32 v10, 0, v10, vcc
	v_cmp_gt_u32_e32 vcc, 48, v14
	v_add_u32_e32 v8, v8, v10
	v_cndmask_b32_e64 v10, 0, 1, vcc
	v_lshlrev_b32_e32 v10, 4, v10
	v_add_lshl_u32 v59, v10, v53, 2
	ds_bpermute_b32 v10, v59, v8
	v_cmp_le_u32_e32 vcc, v60, v5
	;; [unrolled: 9-line block ×3, first 2 shown]
	s_waitcnt lgkmcnt(0)
	v_cndmask_b32_e32 v5, 0, v10, vcc
	v_add_u32_e32 v8, v8, v5
	v_mov_b32_e32 v5, 0
	s_branch .LBB1197_56
.LBB1197_55:                            ;   in Loop: Header=BB1197_56 Depth=1
	s_or_b64 exec, exec, s[36:37]
	v_cmp_eq_u16_sdwa s[36:37], v9, v3 src0_sel:BYTE_0 src1_sel:DWORD
	v_and_b32_e32 v10, s37, v7
	v_or_b32_e32 v10, 0x80000000, v10
	ds_bpermute_b32 v63, v15, v8
	v_and_b32_e32 v11, s36, v6
	v_ffbl_b32_e32 v10, v10
	v_add_u32_e32 v10, 32, v10
	v_ffbl_b32_e32 v11, v11
	v_min_u32_e32 v10, v11, v10
	v_cmp_lt_u32_e32 vcc, v14, v10
	s_waitcnt lgkmcnt(0)
	v_cndmask_b32_e32 v11, 0, v63, vcc
	v_add_u32_e32 v8, v11, v8
	ds_bpermute_b32 v11, v16, v8
	v_cmp_le_u32_e32 vcc, v17, v10
	v_subrev_u32_e32 v4, 64, v4
	s_waitcnt lgkmcnt(0)
	v_cndmask_b32_e32 v11, 0, v11, vcc
	v_add_u32_e32 v8, v8, v11
	ds_bpermute_b32 v11, v18, v8
	v_cmp_le_u32_e32 vcc, v19, v10
	s_waitcnt lgkmcnt(0)
	v_cndmask_b32_e32 v11, 0, v11, vcc
	v_add_u32_e32 v8, v8, v11
	ds_bpermute_b32 v11, v56, v8
	v_cmp_le_u32_e32 vcc, v57, v10
	s_waitcnt lgkmcnt(0)
	v_cndmask_b32_e32 v11, 0, v11, vcc
	v_add_u32_e32 v8, v8, v11
	ds_bpermute_b32 v11, v59, v8
	v_cmp_le_u32_e32 vcc, v60, v10
	s_waitcnt lgkmcnt(0)
	v_cndmask_b32_e32 v11, 0, v11, vcc
	v_add_u32_e32 v8, v8, v11
	ds_bpermute_b32 v11, v61, v8
	v_cmp_le_u32_e32 vcc, v62, v10
	s_waitcnt lgkmcnt(0)
	v_cndmask_b32_e32 v10, 0, v11, vcc
	v_add3_u32 v8, v10, v58, v8
.LBB1197_56:                            ; =>This Loop Header: Depth=1
                                        ;     Child Loop BB1197_59 Depth 2
                                        ;       Child Loop BB1197_60 Depth 3
	v_cmp_ne_u16_sdwa s[36:37], v9, v3 src0_sel:BYTE_0 src1_sel:DWORD
	v_cndmask_b32_e64 v9, 0, 1, s[36:37]
	;;#ASMSTART
	;;#ASMEND
	v_cmp_ne_u32_e32 vcc, 0, v9
	s_cmp_lg_u64 vcc, exec
	v_mov_b32_e32 v58, v8
	s_cbranch_scc1 .LBB1197_63
; %bb.57:                               ;   in Loop: Header=BB1197_56 Depth=1
	v_lshlrev_b64 v[8:9], 3, v[4:5]
	v_mov_b32_e32 v11, s31
	v_add_co_u32_e32 v10, vcc, s30, v8
	v_addc_co_u32_e32 v11, vcc, v11, v9, vcc
	global_load_dwordx2 v[8:9], v[10:11], off glc
	s_waitcnt vmcnt(0)
	v_cmp_eq_u16_sdwa s[38:39], v9, v5 src0_sel:BYTE_0 src1_sel:DWORD
	s_and_saveexec_b64 s[36:37], s[38:39]
	s_cbranch_execz .LBB1197_55
; %bb.58:                               ;   in Loop: Header=BB1197_56 Depth=1
	s_mov_b32 s41, 1
	s_mov_b64 s[38:39], 0
.LBB1197_59:                            ;   Parent Loop BB1197_56 Depth=1
                                        ; =>  This Loop Header: Depth=2
                                        ;       Child Loop BB1197_60 Depth 3
	s_max_u32 s42, s41, 1
.LBB1197_60:                            ;   Parent Loop BB1197_56 Depth=1
                                        ;     Parent Loop BB1197_59 Depth=2
                                        ; =>    This Inner Loop Header: Depth=3
	s_add_i32 s42, s42, -1
	s_cmp_eq_u32 s42, 0
	s_sleep 1
	s_cbranch_scc0 .LBB1197_60
; %bb.61:                               ;   in Loop: Header=BB1197_59 Depth=2
	global_load_dwordx2 v[8:9], v[10:11], off glc
	s_cmp_lt_u32 s41, 32
	s_cselect_b64 s[42:43], -1, 0
	s_cmp_lg_u64 s[42:43], 0
	s_addc_u32 s41, s41, 0
	s_waitcnt vmcnt(0)
	v_cmp_ne_u16_sdwa s[42:43], v9, v5 src0_sel:BYTE_0 src1_sel:DWORD
	s_or_b64 s[38:39], s[42:43], s[38:39]
	s_andn2_b64 exec, exec, s[38:39]
	s_cbranch_execnz .LBB1197_59
; %bb.62:                               ;   in Loop: Header=BB1197_56 Depth=1
	s_or_b64 exec, exec, s[38:39]
	s_branch .LBB1197_55
.LBB1197_63:                            ;   in Loop: Header=BB1197_56 Depth=1
                                        ; implicit-def: $vgpr8
                                        ; implicit-def: $vgpr9
	s_cbranch_execz .LBB1197_56
; %bb.64:
	s_and_saveexec_b64 s[36:37], s[18:19]
	s_cbranch_execz .LBB1197_66
; %bb.65:
	s_add_i32 s38, s40, 64
	s_mov_b32 s39, 0
	s_lshl_b64 s[38:39], s[38:39], 3
	s_add_u32 s38, s30, s38
	v_add_u32_e32 v4, v58, v2
	v_mov_b32_e32 v5, 2
	s_addc_u32 s39, s31, s39
	v_mov_b32_e32 v3, 0
	global_store_dwordx2 v3, v[4:5], s[38:39]
	s_movk_i32 s38, 0x3400
	v_add_u32_e64 v3, s38, 0
	ds_write2_b32 v3, v2, v58 offset1:2
.LBB1197_66:
	s_or_b64 exec, exec, s[36:37]
	s_and_b64 exec, exec, s[0:1]
	s_cbranch_execz .LBB1197_68
; %bb.67:
	v_mov_b32_e32 v2, 0
	ds_write_b32 v2, v58 offset:12
.LBB1197_68:
	s_or_b64 exec, exec, s[34:35]
	v_mov_b32_e32 v2, 0
	s_waitcnt lgkmcnt(0)
	s_barrier
	ds_read_b32 v2, v2 offset:12
	v_cndmask_b32_e64 v3, v13, v12, s[18:19]
	v_cndmask_b32_e64 v3, v3, 0, s[0:1]
	s_movk_i32 s18, 0x3400
	v_add_u32_e64 v12, s18, 0
	s_waitcnt lgkmcnt(0)
	v_add_u32_e32 v2, v2, v3
	v_add_u32_e32 v3, v2, v44
	;; [unrolled: 1-line block ×9, first 2 shown]
	s_barrier
	ds_read2_b32 v[18:19], v12 offset1:2
	v_add_u32_e32 v11, v10, v50
	v_add_u32_e32 v12, v11, v51
	;; [unrolled: 1-line block ×4, first 2 shown]
	s_branch .LBB1197_79
.LBB1197_69:
                                        ; implicit-def: $vgpr19
                                        ; implicit-def: $vgpr2_vgpr3_vgpr4_vgpr5_vgpr6_vgpr7_vgpr8_vgpr9_vgpr10_vgpr11_vgpr12_vgpr13_vgpr14_vgpr15_vgpr16_vgpr17
	s_cbranch_execz .LBB1197_79
; %bb.70:
	s_nop 0
	v_mov_b32_dpp v2, v55 row_shr:1 row_mask:0xf bank_mask:0xf
	v_cndmask_b32_e64 v2, v2, 0, s[16:17]
	v_add_u32_e32 v2, v2, v55
	s_nop 1
	v_mov_b32_dpp v3, v2 row_shr:2 row_mask:0xf bank_mask:0xf
	v_cndmask_b32_e64 v3, 0, v3, s[14:15]
	v_add_u32_e32 v2, v2, v3
	;; [unrolled: 4-line block ×4, first 2 shown]
	s_nop 1
	v_mov_b32_dpp v3, v2 row_bcast:15 row_mask:0xf bank_mask:0xf
	v_cndmask_b32_e64 v3, v3, 0, s[8:9]
	v_add_u32_e32 v2, v2, v3
	s_nop 1
	v_mov_b32_dpp v3, v2 row_bcast:31 row_mask:0xf bank_mask:0xf
	v_cndmask_b32_e64 v3, 0, v3, s[4:5]
	v_add_u32_e32 v2, v2, v3
	s_and_saveexec_b64 s[4:5], s[6:7]
	s_cbranch_execz .LBB1197_72
; %bb.71:
	v_lshlrev_b32_e32 v3, 2, v54
	ds_write_b32 v3, v2
.LBB1197_72:
	s_or_b64 exec, exec, s[4:5]
	v_cmp_gt_u32_e32 vcc, 4, v0
	s_waitcnt lgkmcnt(0)
	s_barrier
	s_and_saveexec_b64 s[4:5], vcc
	s_cbranch_execz .LBB1197_74
; %bb.73:
	ds_read_b32 v3, v34
	v_and_b32_e32 v4, 3, v53
	v_cmp_ne_u32_e32 vcc, 0, v4
	s_waitcnt lgkmcnt(0)
	v_mov_b32_dpp v5, v3 row_shr:1 row_mask:0xf bank_mask:0xf
	v_cndmask_b32_e32 v5, 0, v5, vcc
	v_add_u32_e32 v3, v5, v3
	v_cmp_lt_u32_e32 vcc, 1, v4
	s_nop 0
	v_mov_b32_dpp v5, v3 row_shr:2 row_mask:0xf bank_mask:0xf
	v_cndmask_b32_e32 v4, 0, v5, vcc
	v_add_u32_e32 v3, v3, v4
	ds_write_b32 v34, v3
.LBB1197_74:
	s_or_b64 exec, exec, s[4:5]
	v_cmp_lt_u32_e32 vcc, 63, v0
	v_mov_b32_e32 v4, 0
	v_mov_b32_e32 v3, 0
	s_waitcnt lgkmcnt(0)
	s_barrier
	s_and_saveexec_b64 s[4:5], vcc
	s_cbranch_execz .LBB1197_76
; %bb.75:
	v_lshl_add_u32 v3, v54, 2, -4
	ds_read_b32 v3, v3
.LBB1197_76:
	s_or_b64 exec, exec, s[4:5]
	v_add_u32_e32 v5, -1, v53
	v_and_b32_e32 v6, 64, v53
	v_cmp_lt_i32_e32 vcc, v5, v6
	v_cndmask_b32_e32 v5, v5, v53, vcc
	s_waitcnt lgkmcnt(0)
	v_add_u32_e32 v2, v3, v2
	v_lshlrev_b32_e32 v5, 2, v5
	ds_bpermute_b32 v2, v5, v2
	ds_read_b32 v18, v4 offset:12
	s_and_saveexec_b64 s[4:5], s[0:1]
	s_cbranch_execz .LBB1197_78
; %bb.77:
	v_mov_b32_e32 v4, 0
	v_mov_b32_e32 v19, 2
	s_waitcnt lgkmcnt(0)
	global_store_dwordx2 v4, v[18:19], s[30:31] offset:512
.LBB1197_78:
	s_or_b64 exec, exec, s[4:5]
	v_cmp_eq_u32_e32 vcc, 0, v53
	s_waitcnt lgkmcnt(1)
	v_cndmask_b32_e32 v2, v2, v3, vcc
	v_cndmask_b32_e64 v2, v2, 0, s[0:1]
	v_add_u32_e32 v3, v2, v44
	v_add_u32_e32 v4, v3, v45
	;; [unrolled: 1-line block ×11, first 2 shown]
	v_mov_b32_e32 v19, 0
	v_add_u32_e32 v14, v13, v41
	s_waitcnt lgkmcnt(0)
	s_barrier
.LBB1197_79:
	s_waitcnt lgkmcnt(0)
	v_add_u32_e32 v36, v18, v36
	v_sub_u32_e32 v2, v2, v19
	v_and_b32_e32 v45, 1, v40
	v_sub_u32_e32 v44, v36, v2
	v_cmp_eq_u32_e32 vcc, 1, v45
	v_cndmask_b32_e32 v2, v44, v2, vcc
	v_lshlrev_b32_e32 v2, 2, v2
	v_lshrrev_b32_e32 v17, 8, v40
	ds_write_b32 v2, v32
	v_sub_u32_e32 v2, v3, v19
	v_sub_u32_e32 v3, v36, v2
	v_and_b32_e32 v17, 1, v17
	v_add_u32_e32 v3, 1, v3
	v_cmp_eq_u32_e32 vcc, 1, v17
	v_cndmask_b32_e32 v2, v3, v2, vcc
	v_lshlrev_b32_e32 v2, 2, v2
	ds_write_b32 v2, v33
	v_sub_u32_e32 v2, v4, v19
	v_mov_b32_e32 v4, 1
	v_sub_u32_e32 v3, v36, v2
	v_and_b32_sdwa v17, v4, v40 dst_sel:DWORD dst_unused:UNUSED_PAD src0_sel:DWORD src1_sel:WORD_1
	v_add_u32_e32 v3, 2, v3
	v_cmp_eq_u32_e32 vcc, 1, v17
	v_cndmask_b32_e32 v2, v3, v2, vcc
	v_lshlrev_b32_e32 v2, 2, v2
	ds_write_b32 v2, v30
	v_sub_u32_e32 v2, v5, v19
	v_sub_u32_e32 v3, v36, v2
	v_and_b32_e32 v5, 1, v43
	v_add_u32_e32 v3, 3, v3
	v_cmp_eq_u32_e32 vcc, 1, v5
	v_cndmask_b32_e32 v2, v3, v2, vcc
	v_lshlrev_b32_e32 v2, 2, v2
	ds_write_b32 v2, v31
	v_sub_u32_e32 v2, v6, v19
	v_sub_u32_e32 v3, v36, v2
	v_and_b32_e32 v5, 1, v39
	v_add_u32_e32 v3, 4, v3
	v_cmp_eq_u32_e32 vcc, 1, v5
	v_cndmask_b32_e32 v2, v3, v2, vcc
	v_lshlrev_b32_e32 v2, 2, v2
	v_lshrrev_b32_e32 v16, 8, v39
	ds_write_b32 v2, v28
	v_sub_u32_e32 v2, v7, v19
	v_sub_u32_e32 v3, v36, v2
	v_and_b32_e32 v5, 1, v16
	v_add_u32_e32 v3, 5, v3
	v_cmp_eq_u32_e32 vcc, 1, v5
	v_cndmask_b32_e32 v2, v3, v2, vcc
	v_lshlrev_b32_e32 v2, 2, v2
	ds_write_b32 v2, v29
	v_sub_u32_e32 v2, v8, v19
	v_sub_u32_e32 v3, v36, v2
	v_and_b32_sdwa v5, v4, v39 dst_sel:DWORD dst_unused:UNUSED_PAD src0_sel:DWORD src1_sel:WORD_1
	v_add_u32_e32 v3, 6, v3
	v_cmp_eq_u32_e32 vcc, 1, v5
	v_cndmask_b32_e32 v2, v3, v2, vcc
	v_lshlrev_b32_e32 v2, 2, v2
	ds_write_b32 v2, v26
	v_sub_u32_e32 v2, v9, v19
	v_sub_u32_e32 v3, v36, v2
	v_and_b32_e32 v5, 1, v42
	v_add_u32_e32 v3, 7, v3
	v_cmp_eq_u32_e32 vcc, 1, v5
	v_cndmask_b32_e32 v2, v3, v2, vcc
	v_lshlrev_b32_e32 v2, 2, v2
	ds_write_b32 v2, v27
	v_sub_u32_e32 v2, v10, v19
	v_sub_u32_e32 v3, v36, v2
	v_and_b32_e32 v5, 1, v38
	v_add_u32_e32 v3, 8, v3
	v_cmp_eq_u32_e32 vcc, 1, v5
	v_cndmask_b32_e32 v2, v3, v2, vcc
	v_lshlrev_b32_e32 v2, 2, v2
	v_lshrrev_b32_e32 v15, 8, v38
	ds_write_b32 v2, v24
	v_sub_u32_e32 v2, v11, v19
	v_sub_u32_e32 v3, v36, v2
	v_and_b32_e32 v5, 1, v15
	v_add_u32_e32 v3, 9, v3
	v_cmp_eq_u32_e32 vcc, 1, v5
	v_cndmask_b32_e32 v2, v3, v2, vcc
	v_lshlrev_b32_e32 v2, 2, v2
	ds_write_b32 v2, v25
	v_sub_u32_e32 v2, v12, v19
	v_sub_u32_e32 v3, v36, v2
	v_and_b32_sdwa v4, v4, v38 dst_sel:DWORD dst_unused:UNUSED_PAD src0_sel:DWORD src1_sel:WORD_1
	v_add_u32_e32 v3, 10, v3
	v_cmp_eq_u32_e32 vcc, 1, v4
	v_cndmask_b32_e32 v2, v3, v2, vcc
	v_lshlrev_b32_e32 v2, 2, v2
	ds_write_b32 v2, v22
	v_sub_u32_e32 v2, v13, v19
	v_sub_u32_e32 v3, v36, v2
	v_and_b32_e32 v4, 1, v41
	v_add_u32_e32 v3, 11, v3
	v_cmp_eq_u32_e32 vcc, 1, v4
	v_cndmask_b32_e32 v2, v3, v2, vcc
	v_lshlrev_b32_e32 v2, 2, v2
	ds_write_b32 v2, v23
	v_sub_u32_e32 v2, v14, v19
	v_sub_u32_e32 v3, v36, v2
	v_and_b32_e32 v4, 1, v37
	v_add_u32_e32 v3, 12, v3
	v_cmp_eq_u32_e32 vcc, 1, v4
	v_cndmask_b32_e32 v2, v3, v2, vcc
	s_waitcnt vmcnt(0)
	v_add_co_u32_e32 v16, vcc, v20, v19
	v_addc_co_u32_e32 v17, vcc, 0, v21, vcc
	v_mov_b32_e32 v14, s29
	v_add_co_u32_e32 v1, vcc, s28, v1
	v_addc_co_u32_e32 v14, vcc, 0, v14, vcc
	v_lshlrev_b32_e32 v2, 2, v2
	v_mov_b32_e32 v15, s27
	v_sub_co_u32_e32 v1, vcc, s26, v1
	ds_write_b32 v2, v35
	s_waitcnt lgkmcnt(0)
	s_barrier
	ds_read2st64_b32 v[12:13], v34 offset1:4
	ds_read2st64_b32 v[10:11], v34 offset0:8 offset1:12
	ds_read2st64_b32 v[8:9], v34 offset0:16 offset1:20
	;; [unrolled: 1-line block ×5, first 2 shown]
	ds_read_b32 v22, v34 offset:12288
	v_subb_co_u32_e32 v14, vcc, v15, v14, vcc
	v_add_co_u32_e32 v1, vcc, v1, v18
	v_addc_co_u32_e32 v14, vcc, 0, v14, vcc
	s_and_b64 vcc, exec, s[2:3]
	v_add_co_u32_e64 v1, s[2:3], v1, v16
	v_or_b32_e32 v35, 0x100, v0
	v_or_b32_e32 v33, 0x200, v0
	;; [unrolled: 1-line block ×12, first 2 shown]
	v_addc_co_u32_e64 v19, s[2:3], v14, v17, s[2:3]
	s_cbranch_vccnz .LBB1197_136
; %bb.80:
	v_cmp_ge_u32_e32 vcc, v0, v18
                                        ; implicit-def: $vgpr14_vgpr15
	s_and_saveexec_b64 s[2:3], vcc
	s_xor_b64 s[2:3], exec, s[2:3]
; %bb.81:
	v_not_b32_e32 v14, v0
	v_ashrrev_i32_e32 v15, 31, v14
	v_add_co_u32_e32 v14, vcc, v1, v14
	v_addc_co_u32_e32 v15, vcc, v19, v15, vcc
; %bb.82:
	s_andn2_saveexec_b64 s[2:3], s[2:3]
; %bb.83:
	v_add_co_u32_e32 v14, vcc, v16, v0
	v_addc_co_u32_e32 v15, vcc, 0, v17, vcc
; %bb.84:
	s_or_b64 exec, exec, s[2:3]
	v_lshlrev_b64 v[14:15], 2, v[14:15]
	v_mov_b32_e32 v20, s25
	v_add_co_u32_e32 v14, vcc, s24, v14
	v_addc_co_u32_e32 v15, vcc, v20, v15, vcc
	v_cmp_ge_u32_e32 vcc, v35, v18
	s_waitcnt lgkmcnt(6)
	global_store_dword v[14:15], v12, off
                                        ; implicit-def: $vgpr14_vgpr15
	s_and_saveexec_b64 s[2:3], vcc
	s_xor_b64 s[2:3], exec, s[2:3]
; %bb.85:
	v_xor_b32_e32 v14, 0xfffffeff, v0
	v_ashrrev_i32_e32 v15, 31, v14
	v_add_co_u32_e32 v14, vcc, v1, v14
	v_addc_co_u32_e32 v15, vcc, v19, v15, vcc
; %bb.86:
	s_andn2_saveexec_b64 s[2:3], s[2:3]
; %bb.87:
	v_add_co_u32_e32 v14, vcc, v16, v35
	v_addc_co_u32_e32 v15, vcc, 0, v17, vcc
; %bb.88:
	s_or_b64 exec, exec, s[2:3]
	v_lshlrev_b64 v[14:15], 2, v[14:15]
	v_mov_b32_e32 v20, s25
	v_add_co_u32_e32 v14, vcc, s24, v14
	v_addc_co_u32_e32 v15, vcc, v20, v15, vcc
	v_cmp_ge_u32_e32 vcc, v33, v18
	global_store_dword v[14:15], v13, off
                                        ; implicit-def: $vgpr14_vgpr15
	s_and_saveexec_b64 s[2:3], vcc
	s_xor_b64 s[2:3], exec, s[2:3]
; %bb.89:
	v_xor_b32_e32 v14, 0xfffffdff, v0
	v_ashrrev_i32_e32 v15, 31, v14
	v_add_co_u32_e32 v14, vcc, v1, v14
	v_addc_co_u32_e32 v15, vcc, v19, v15, vcc
; %bb.90:
	s_andn2_saveexec_b64 s[2:3], s[2:3]
; %bb.91:
	v_add_co_u32_e32 v14, vcc, v16, v33
	v_addc_co_u32_e32 v15, vcc, 0, v17, vcc
; %bb.92:
	s_or_b64 exec, exec, s[2:3]
	v_lshlrev_b64 v[14:15], 2, v[14:15]
	v_mov_b32_e32 v20, s25
	v_add_co_u32_e32 v14, vcc, s24, v14
	v_addc_co_u32_e32 v15, vcc, v20, v15, vcc
	v_cmp_ge_u32_e32 vcc, v32, v18
	s_waitcnt lgkmcnt(5)
	global_store_dword v[14:15], v10, off
                                        ; implicit-def: $vgpr14_vgpr15
	s_and_saveexec_b64 s[2:3], vcc
	s_xor_b64 s[2:3], exec, s[2:3]
; %bb.93:
	v_xor_b32_e32 v14, 0xfffffcff, v0
	v_ashrrev_i32_e32 v15, 31, v14
	v_add_co_u32_e32 v14, vcc, v1, v14
	v_addc_co_u32_e32 v15, vcc, v19, v15, vcc
; %bb.94:
	s_andn2_saveexec_b64 s[2:3], s[2:3]
; %bb.95:
	v_add_co_u32_e32 v14, vcc, v16, v32
	v_addc_co_u32_e32 v15, vcc, 0, v17, vcc
; %bb.96:
	s_or_b64 exec, exec, s[2:3]
	v_lshlrev_b64 v[14:15], 2, v[14:15]
	v_mov_b32_e32 v20, s25
	v_add_co_u32_e32 v14, vcc, s24, v14
	v_addc_co_u32_e32 v15, vcc, v20, v15, vcc
	v_cmp_ge_u32_e32 vcc, v31, v18
	global_store_dword v[14:15], v11, off
                                        ; implicit-def: $vgpr14_vgpr15
	s_and_saveexec_b64 s[2:3], vcc
	s_xor_b64 s[2:3], exec, s[2:3]
; %bb.97:
	v_xor_b32_e32 v14, 0xfffffbff, v0
	;; [unrolled: 43-line block ×6, first 2 shown]
	v_ashrrev_i32_e32 v15, 31, v14
	v_add_co_u32_e32 v14, vcc, v1, v14
	v_addc_co_u32_e32 v15, vcc, v19, v15, vcc
; %bb.130:
	s_andn2_saveexec_b64 s[2:3], s[2:3]
; %bb.131:
	v_add_co_u32_e32 v14, vcc, v16, v23
	v_addc_co_u32_e32 v15, vcc, 0, v17, vcc
; %bb.132:
	s_or_b64 exec, exec, s[2:3]
	s_mov_b64 s[2:3], -1
.LBB1197_133:
	s_and_saveexec_b64 s[4:5], s[2:3]
	s_cbranch_execz .LBB1197_216
.LBB1197_134:
	v_lshlrev_b64 v[0:1], 2, v[14:15]
	s_waitcnt lgkmcnt(1)
	v_mov_b32_e32 v2, s25
	v_add_co_u32_e32 v0, vcc, s24, v0
	v_addc_co_u32_e32 v1, vcc, v2, v1, vcc
	s_waitcnt lgkmcnt(0)
	global_store_dword v[0:1], v22, off
	s_or_b64 exec, exec, s[4:5]
	s_and_b64 s[0:1], s[0:1], s[22:23]
	s_and_saveexec_b64 s[2:3], s[0:1]
	s_cbranch_execnz .LBB1197_217
.LBB1197_135:
	s_endpgm
.LBB1197_136:
	s_mov_b64 s[2:3], 0
                                        ; implicit-def: $vgpr14_vgpr15
	s_cbranch_execz .LBB1197_133
; %bb.137:
	v_cmp_gt_u32_e32 vcc, s33, v0
	s_and_saveexec_b64 s[4:5], vcc
	s_cbranch_execz .LBB1197_173
; %bb.138:
	v_cmp_ge_u32_e32 vcc, v0, v18
                                        ; implicit-def: $vgpr14_vgpr15
	s_and_saveexec_b64 s[6:7], vcc
	s_xor_b64 s[6:7], exec, s[6:7]
; %bb.139:
	v_not_b32_e32 v14, v0
	v_ashrrev_i32_e32 v15, 31, v14
	v_add_co_u32_e32 v14, vcc, v1, v14
	v_addc_co_u32_e32 v15, vcc, v19, v15, vcc
; %bb.140:
	s_andn2_saveexec_b64 s[6:7], s[6:7]
; %bb.141:
	v_add_co_u32_e32 v14, vcc, v16, v0
	v_addc_co_u32_e32 v15, vcc, 0, v17, vcc
; %bb.142:
	s_or_b64 exec, exec, s[6:7]
	v_lshlrev_b64 v[14:15], 2, v[14:15]
	v_mov_b32_e32 v20, s25
	v_add_co_u32_e32 v14, vcc, s24, v14
	v_addc_co_u32_e32 v15, vcc, v20, v15, vcc
	s_waitcnt lgkmcnt(6)
	global_store_dword v[14:15], v12, off
	s_or_b64 exec, exec, s[4:5]
	v_cmp_gt_u32_e32 vcc, s33, v35
	s_and_saveexec_b64 s[4:5], vcc
	s_cbranch_execnz .LBB1197_174
.LBB1197_143:
	s_or_b64 exec, exec, s[4:5]
	v_cmp_gt_u32_e32 vcc, s33, v33
	s_and_saveexec_b64 s[4:5], vcc
	s_cbranch_execz .LBB1197_179
.LBB1197_144:
	v_cmp_ge_u32_e32 vcc, v33, v18
                                        ; implicit-def: $vgpr12_vgpr13
	s_and_saveexec_b64 s[6:7], vcc
	s_xor_b64 s[6:7], exec, s[6:7]
	s_cbranch_execz .LBB1197_146
; %bb.145:
	s_waitcnt lgkmcnt(6)
	v_xor_b32_e32 v12, 0xfffffdff, v0
	v_ashrrev_i32_e32 v13, 31, v12
	v_add_co_u32_e32 v12, vcc, v1, v12
	v_addc_co_u32_e32 v13, vcc, v19, v13, vcc
                                        ; implicit-def: $vgpr33
.LBB1197_146:
	s_andn2_saveexec_b64 s[6:7], s[6:7]
	s_cbranch_execz .LBB1197_148
; %bb.147:
	s_waitcnt lgkmcnt(6)
	v_add_co_u32_e32 v12, vcc, v16, v33
	v_addc_co_u32_e32 v13, vcc, 0, v17, vcc
.LBB1197_148:
	s_or_b64 exec, exec, s[6:7]
	s_waitcnt lgkmcnt(6)
	v_lshlrev_b64 v[12:13], 2, v[12:13]
	v_mov_b32_e32 v14, s25
	v_add_co_u32_e32 v12, vcc, s24, v12
	v_addc_co_u32_e32 v13, vcc, v14, v13, vcc
	s_waitcnt lgkmcnt(5)
	global_store_dword v[12:13], v10, off
	s_or_b64 exec, exec, s[4:5]
	v_cmp_gt_u32_e32 vcc, s33, v32
	s_and_saveexec_b64 s[4:5], vcc
	s_cbranch_execnz .LBB1197_180
.LBB1197_149:
	s_or_b64 exec, exec, s[4:5]
	v_cmp_gt_u32_e32 vcc, s33, v31
	s_and_saveexec_b64 s[4:5], vcc
	s_cbranch_execz .LBB1197_185
.LBB1197_150:
	v_cmp_ge_u32_e32 vcc, v31, v18
                                        ; implicit-def: $vgpr10_vgpr11
	s_and_saveexec_b64 s[6:7], vcc
	s_xor_b64 s[6:7], exec, s[6:7]
	s_cbranch_execz .LBB1197_152
; %bb.151:
	s_waitcnt lgkmcnt(5)
	v_xor_b32_e32 v10, 0xfffffbff, v0
	v_ashrrev_i32_e32 v11, 31, v10
	v_add_co_u32_e32 v10, vcc, v1, v10
	v_addc_co_u32_e32 v11, vcc, v19, v11, vcc
                                        ; implicit-def: $vgpr31
.LBB1197_152:
	s_andn2_saveexec_b64 s[6:7], s[6:7]
	s_cbranch_execz .LBB1197_154
; %bb.153:
	s_waitcnt lgkmcnt(5)
	v_add_co_u32_e32 v10, vcc, v16, v31
	v_addc_co_u32_e32 v11, vcc, 0, v17, vcc
.LBB1197_154:
	s_or_b64 exec, exec, s[6:7]
	s_waitcnt lgkmcnt(5)
	v_lshlrev_b64 v[10:11], 2, v[10:11]
	v_mov_b32_e32 v12, s25
	v_add_co_u32_e32 v10, vcc, s24, v10
	v_addc_co_u32_e32 v11, vcc, v12, v11, vcc
	s_waitcnt lgkmcnt(4)
	global_store_dword v[10:11], v8, off
	s_or_b64 exec, exec, s[4:5]
	v_cmp_gt_u32_e32 vcc, s33, v30
	s_and_saveexec_b64 s[4:5], vcc
	s_cbranch_execnz .LBB1197_186
.LBB1197_155:
	s_or_b64 exec, exec, s[4:5]
	v_cmp_gt_u32_e32 vcc, s33, v29
	s_and_saveexec_b64 s[4:5], vcc
	s_cbranch_execz .LBB1197_191
.LBB1197_156:
	v_cmp_ge_u32_e32 vcc, v29, v18
                                        ; implicit-def: $vgpr8_vgpr9
	s_and_saveexec_b64 s[6:7], vcc
	s_xor_b64 s[6:7], exec, s[6:7]
	s_cbranch_execz .LBB1197_158
; %bb.157:
	s_waitcnt lgkmcnt(4)
	v_xor_b32_e32 v8, 0xfffff9ff, v0
	v_ashrrev_i32_e32 v9, 31, v8
	v_add_co_u32_e32 v8, vcc, v1, v8
	v_addc_co_u32_e32 v9, vcc, v19, v9, vcc
                                        ; implicit-def: $vgpr29
.LBB1197_158:
	s_andn2_saveexec_b64 s[6:7], s[6:7]
	s_cbranch_execz .LBB1197_160
; %bb.159:
	s_waitcnt lgkmcnt(4)
	v_add_co_u32_e32 v8, vcc, v16, v29
	v_addc_co_u32_e32 v9, vcc, 0, v17, vcc
.LBB1197_160:
	s_or_b64 exec, exec, s[6:7]
	s_waitcnt lgkmcnt(4)
	v_lshlrev_b64 v[8:9], 2, v[8:9]
	v_mov_b32_e32 v10, s25
	v_add_co_u32_e32 v8, vcc, s24, v8
	v_addc_co_u32_e32 v9, vcc, v10, v9, vcc
	s_waitcnt lgkmcnt(3)
	global_store_dword v[8:9], v6, off
	s_or_b64 exec, exec, s[4:5]
	v_cmp_gt_u32_e32 vcc, s33, v28
	s_and_saveexec_b64 s[4:5], vcc
	s_cbranch_execnz .LBB1197_192
.LBB1197_161:
	s_or_b64 exec, exec, s[4:5]
	v_cmp_gt_u32_e32 vcc, s33, v27
	s_and_saveexec_b64 s[4:5], vcc
	s_cbranch_execz .LBB1197_197
.LBB1197_162:
	v_cmp_ge_u32_e32 vcc, v27, v18
                                        ; implicit-def: $vgpr6_vgpr7
	s_and_saveexec_b64 s[6:7], vcc
	s_xor_b64 s[6:7], exec, s[6:7]
	s_cbranch_execz .LBB1197_164
; %bb.163:
	s_waitcnt lgkmcnt(3)
	v_xor_b32_e32 v6, 0xfffff7ff, v0
	v_ashrrev_i32_e32 v7, 31, v6
	v_add_co_u32_e32 v6, vcc, v1, v6
	v_addc_co_u32_e32 v7, vcc, v19, v7, vcc
                                        ; implicit-def: $vgpr27
.LBB1197_164:
	s_andn2_saveexec_b64 s[6:7], s[6:7]
	s_cbranch_execz .LBB1197_166
; %bb.165:
	s_waitcnt lgkmcnt(3)
	v_add_co_u32_e32 v6, vcc, v16, v27
	v_addc_co_u32_e32 v7, vcc, 0, v17, vcc
.LBB1197_166:
	s_or_b64 exec, exec, s[6:7]
	s_waitcnt lgkmcnt(3)
	v_lshlrev_b64 v[6:7], 2, v[6:7]
	v_mov_b32_e32 v8, s25
	v_add_co_u32_e32 v6, vcc, s24, v6
	v_addc_co_u32_e32 v7, vcc, v8, v7, vcc
	s_waitcnt lgkmcnt(2)
	global_store_dword v[6:7], v4, off
	s_or_b64 exec, exec, s[4:5]
	v_cmp_gt_u32_e32 vcc, s33, v26
	s_and_saveexec_b64 s[4:5], vcc
	s_cbranch_execnz .LBB1197_198
.LBB1197_167:
	s_or_b64 exec, exec, s[4:5]
	v_cmp_gt_u32_e32 vcc, s33, v25
	s_and_saveexec_b64 s[4:5], vcc
	s_cbranch_execz .LBB1197_203
.LBB1197_168:
	v_cmp_ge_u32_e32 vcc, v25, v18
                                        ; implicit-def: $vgpr4_vgpr5
	s_and_saveexec_b64 s[6:7], vcc
	s_xor_b64 s[6:7], exec, s[6:7]
	s_cbranch_execz .LBB1197_170
; %bb.169:
	s_waitcnt lgkmcnt(2)
	v_xor_b32_e32 v4, 0xfffff5ff, v0
	v_ashrrev_i32_e32 v5, 31, v4
	v_add_co_u32_e32 v4, vcc, v1, v4
	v_addc_co_u32_e32 v5, vcc, v19, v5, vcc
                                        ; implicit-def: $vgpr25
.LBB1197_170:
	s_andn2_saveexec_b64 s[6:7], s[6:7]
	s_cbranch_execz .LBB1197_172
; %bb.171:
	s_waitcnt lgkmcnt(2)
	v_add_co_u32_e32 v4, vcc, v16, v25
	v_addc_co_u32_e32 v5, vcc, 0, v17, vcc
.LBB1197_172:
	s_or_b64 exec, exec, s[6:7]
	s_waitcnt lgkmcnt(2)
	v_lshlrev_b64 v[4:5], 2, v[4:5]
	v_mov_b32_e32 v6, s25
	v_add_co_u32_e32 v4, vcc, s24, v4
	v_addc_co_u32_e32 v5, vcc, v6, v5, vcc
	s_waitcnt lgkmcnt(1)
	global_store_dword v[4:5], v2, off
	s_or_b64 exec, exec, s[4:5]
	v_cmp_gt_u32_e32 vcc, s33, v24
	s_and_saveexec_b64 s[4:5], vcc
	s_cbranch_execz .LBB1197_209
	s_branch .LBB1197_204
.LBB1197_173:
	s_or_b64 exec, exec, s[4:5]
	v_cmp_gt_u32_e32 vcc, s33, v35
	s_and_saveexec_b64 s[4:5], vcc
	s_cbranch_execz .LBB1197_143
.LBB1197_174:
	v_cmp_ge_u32_e32 vcc, v35, v18
                                        ; implicit-def: $vgpr14_vgpr15
	s_and_saveexec_b64 s[6:7], vcc
	s_xor_b64 s[6:7], exec, s[6:7]
	s_cbranch_execz .LBB1197_176
; %bb.175:
	s_waitcnt lgkmcnt(6)
	v_xor_b32_e32 v12, 0xfffffeff, v0
	v_ashrrev_i32_e32 v15, 31, v12
	v_add_co_u32_e32 v14, vcc, v1, v12
	v_addc_co_u32_e32 v15, vcc, v19, v15, vcc
                                        ; implicit-def: $vgpr35
.LBB1197_176:
	s_andn2_saveexec_b64 s[6:7], s[6:7]
; %bb.177:
	v_add_co_u32_e32 v14, vcc, v16, v35
	v_addc_co_u32_e32 v15, vcc, 0, v17, vcc
; %bb.178:
	s_or_b64 exec, exec, s[6:7]
	v_lshlrev_b64 v[14:15], 2, v[14:15]
	s_waitcnt lgkmcnt(6)
	v_mov_b32_e32 v12, s25
	v_add_co_u32_e32 v14, vcc, s24, v14
	v_addc_co_u32_e32 v15, vcc, v12, v15, vcc
	global_store_dword v[14:15], v13, off
	s_or_b64 exec, exec, s[4:5]
	v_cmp_gt_u32_e32 vcc, s33, v33
	s_and_saveexec_b64 s[4:5], vcc
	s_cbranch_execnz .LBB1197_144
.LBB1197_179:
	s_or_b64 exec, exec, s[4:5]
	v_cmp_gt_u32_e32 vcc, s33, v32
	s_and_saveexec_b64 s[4:5], vcc
	s_cbranch_execz .LBB1197_149
.LBB1197_180:
	v_cmp_ge_u32_e32 vcc, v32, v18
                                        ; implicit-def: $vgpr12_vgpr13
	s_and_saveexec_b64 s[6:7], vcc
	s_xor_b64 s[6:7], exec, s[6:7]
	s_cbranch_execz .LBB1197_182
; %bb.181:
	s_waitcnt lgkmcnt(5)
	v_xor_b32_e32 v10, 0xfffffcff, v0
	v_ashrrev_i32_e32 v13, 31, v10
	v_add_co_u32_e32 v12, vcc, v1, v10
	v_addc_co_u32_e32 v13, vcc, v19, v13, vcc
                                        ; implicit-def: $vgpr32
.LBB1197_182:
	s_andn2_saveexec_b64 s[6:7], s[6:7]
	s_cbranch_execz .LBB1197_184
; %bb.183:
	s_waitcnt lgkmcnt(6)
	v_add_co_u32_e32 v12, vcc, v16, v32
	v_addc_co_u32_e32 v13, vcc, 0, v17, vcc
.LBB1197_184:
	s_or_b64 exec, exec, s[6:7]
	s_waitcnt lgkmcnt(6)
	v_lshlrev_b64 v[12:13], 2, v[12:13]
	s_waitcnt lgkmcnt(5)
	v_mov_b32_e32 v10, s25
	v_add_co_u32_e32 v12, vcc, s24, v12
	v_addc_co_u32_e32 v13, vcc, v10, v13, vcc
	global_store_dword v[12:13], v11, off
	s_or_b64 exec, exec, s[4:5]
	v_cmp_gt_u32_e32 vcc, s33, v31
	s_and_saveexec_b64 s[4:5], vcc
	s_cbranch_execnz .LBB1197_150
.LBB1197_185:
	s_or_b64 exec, exec, s[4:5]
	v_cmp_gt_u32_e32 vcc, s33, v30
	s_and_saveexec_b64 s[4:5], vcc
	s_cbranch_execz .LBB1197_155
.LBB1197_186:
	v_cmp_ge_u32_e32 vcc, v30, v18
                                        ; implicit-def: $vgpr10_vgpr11
	s_and_saveexec_b64 s[6:7], vcc
	s_xor_b64 s[6:7], exec, s[6:7]
	s_cbranch_execz .LBB1197_188
; %bb.187:
	s_waitcnt lgkmcnt(4)
	v_xor_b32_e32 v8, 0xfffffaff, v0
	v_ashrrev_i32_e32 v11, 31, v8
	v_add_co_u32_e32 v10, vcc, v1, v8
	v_addc_co_u32_e32 v11, vcc, v19, v11, vcc
                                        ; implicit-def: $vgpr30
.LBB1197_188:
	s_andn2_saveexec_b64 s[6:7], s[6:7]
	s_cbranch_execz .LBB1197_190
; %bb.189:
	s_waitcnt lgkmcnt(5)
	v_add_co_u32_e32 v10, vcc, v16, v30
	v_addc_co_u32_e32 v11, vcc, 0, v17, vcc
.LBB1197_190:
	s_or_b64 exec, exec, s[6:7]
	s_waitcnt lgkmcnt(5)
	v_lshlrev_b64 v[10:11], 2, v[10:11]
	s_waitcnt lgkmcnt(4)
	v_mov_b32_e32 v8, s25
	v_add_co_u32_e32 v10, vcc, s24, v10
	v_addc_co_u32_e32 v11, vcc, v8, v11, vcc
	global_store_dword v[10:11], v9, off
	s_or_b64 exec, exec, s[4:5]
	v_cmp_gt_u32_e32 vcc, s33, v29
	s_and_saveexec_b64 s[4:5], vcc
	s_cbranch_execnz .LBB1197_156
.LBB1197_191:
	s_or_b64 exec, exec, s[4:5]
	v_cmp_gt_u32_e32 vcc, s33, v28
	s_and_saveexec_b64 s[4:5], vcc
	s_cbranch_execz .LBB1197_161
.LBB1197_192:
	v_cmp_ge_u32_e32 vcc, v28, v18
                                        ; implicit-def: $vgpr8_vgpr9
	s_and_saveexec_b64 s[6:7], vcc
	s_xor_b64 s[6:7], exec, s[6:7]
	s_cbranch_execz .LBB1197_194
; %bb.193:
	s_waitcnt lgkmcnt(3)
	v_xor_b32_e32 v6, 0xfffff8ff, v0
	v_ashrrev_i32_e32 v9, 31, v6
	v_add_co_u32_e32 v8, vcc, v1, v6
	v_addc_co_u32_e32 v9, vcc, v19, v9, vcc
                                        ; implicit-def: $vgpr28
.LBB1197_194:
	s_andn2_saveexec_b64 s[6:7], s[6:7]
	s_cbranch_execz .LBB1197_196
; %bb.195:
	s_waitcnt lgkmcnt(4)
	v_add_co_u32_e32 v8, vcc, v16, v28
	v_addc_co_u32_e32 v9, vcc, 0, v17, vcc
.LBB1197_196:
	s_or_b64 exec, exec, s[6:7]
	s_waitcnt lgkmcnt(4)
	v_lshlrev_b64 v[8:9], 2, v[8:9]
	s_waitcnt lgkmcnt(3)
	v_mov_b32_e32 v6, s25
	v_add_co_u32_e32 v8, vcc, s24, v8
	v_addc_co_u32_e32 v9, vcc, v6, v9, vcc
	global_store_dword v[8:9], v7, off
	s_or_b64 exec, exec, s[4:5]
	v_cmp_gt_u32_e32 vcc, s33, v27
	s_and_saveexec_b64 s[4:5], vcc
	s_cbranch_execnz .LBB1197_162
.LBB1197_197:
	s_or_b64 exec, exec, s[4:5]
	v_cmp_gt_u32_e32 vcc, s33, v26
	s_and_saveexec_b64 s[4:5], vcc
	s_cbranch_execz .LBB1197_167
.LBB1197_198:
	v_cmp_ge_u32_e32 vcc, v26, v18
                                        ; implicit-def: $vgpr6_vgpr7
	s_and_saveexec_b64 s[6:7], vcc
	s_xor_b64 s[6:7], exec, s[6:7]
	s_cbranch_execz .LBB1197_200
; %bb.199:
	s_waitcnt lgkmcnt(2)
	v_xor_b32_e32 v4, 0xfffff6ff, v0
	v_ashrrev_i32_e32 v7, 31, v4
	v_add_co_u32_e32 v6, vcc, v1, v4
	v_addc_co_u32_e32 v7, vcc, v19, v7, vcc
                                        ; implicit-def: $vgpr26
.LBB1197_200:
	s_andn2_saveexec_b64 s[6:7], s[6:7]
	s_cbranch_execz .LBB1197_202
; %bb.201:
	s_waitcnt lgkmcnt(3)
	v_add_co_u32_e32 v6, vcc, v16, v26
	v_addc_co_u32_e32 v7, vcc, 0, v17, vcc
.LBB1197_202:
	s_or_b64 exec, exec, s[6:7]
	s_waitcnt lgkmcnt(3)
	v_lshlrev_b64 v[6:7], 2, v[6:7]
	s_waitcnt lgkmcnt(2)
	v_mov_b32_e32 v4, s25
	v_add_co_u32_e32 v6, vcc, s24, v6
	v_addc_co_u32_e32 v7, vcc, v4, v7, vcc
	global_store_dword v[6:7], v5, off
	s_or_b64 exec, exec, s[4:5]
	v_cmp_gt_u32_e32 vcc, s33, v25
	s_and_saveexec_b64 s[4:5], vcc
	s_cbranch_execnz .LBB1197_168
.LBB1197_203:
	s_or_b64 exec, exec, s[4:5]
	v_cmp_gt_u32_e32 vcc, s33, v24
	s_and_saveexec_b64 s[4:5], vcc
	s_cbranch_execz .LBB1197_209
.LBB1197_204:
	v_cmp_ge_u32_e32 vcc, v24, v18
                                        ; implicit-def: $vgpr4_vgpr5
	s_and_saveexec_b64 s[6:7], vcc
	s_xor_b64 s[6:7], exec, s[6:7]
	s_cbranch_execz .LBB1197_206
; %bb.205:
	s_waitcnt lgkmcnt(1)
	v_xor_b32_e32 v2, 0xfffff4ff, v0
	v_ashrrev_i32_e32 v5, 31, v2
	v_add_co_u32_e32 v4, vcc, v1, v2
	v_addc_co_u32_e32 v5, vcc, v19, v5, vcc
                                        ; implicit-def: $vgpr24
.LBB1197_206:
	s_andn2_saveexec_b64 s[6:7], s[6:7]
	s_cbranch_execz .LBB1197_208
; %bb.207:
	s_waitcnt lgkmcnt(2)
	v_add_co_u32_e32 v4, vcc, v16, v24
	v_addc_co_u32_e32 v5, vcc, 0, v17, vcc
.LBB1197_208:
	s_or_b64 exec, exec, s[6:7]
	s_waitcnt lgkmcnt(2)
	v_lshlrev_b64 v[4:5], 2, v[4:5]
	s_waitcnt lgkmcnt(1)
	v_mov_b32_e32 v2, s25
	v_add_co_u32_e32 v4, vcc, s24, v4
	v_addc_co_u32_e32 v5, vcc, v2, v5, vcc
	global_store_dword v[4:5], v3, off
.LBB1197_209:
	s_or_b64 exec, exec, s[4:5]
	v_cmp_gt_u32_e32 vcc, s33, v23
                                        ; implicit-def: $vgpr14_vgpr15
	s_and_saveexec_b64 s[4:5], vcc
	s_cbranch_execz .LBB1197_215
; %bb.210:
	v_cmp_ge_u32_e32 vcc, v23, v18
                                        ; implicit-def: $vgpr14_vgpr15
	s_and_saveexec_b64 s[6:7], vcc
	s_xor_b64 s[6:7], exec, s[6:7]
	s_cbranch_execz .LBB1197_212
; %bb.211:
	v_xor_b32_e32 v0, 0xfffff3ff, v0
	s_waitcnt lgkmcnt(1)
	v_ashrrev_i32_e32 v2, 31, v0
	v_add_co_u32_e32 v14, vcc, v1, v0
	v_addc_co_u32_e32 v15, vcc, v19, v2, vcc
                                        ; implicit-def: $vgpr23
.LBB1197_212:
	s_andn2_saveexec_b64 s[6:7], s[6:7]
; %bb.213:
	v_add_co_u32_e32 v14, vcc, v16, v23
	v_addc_co_u32_e32 v15, vcc, 0, v17, vcc
; %bb.214:
	s_or_b64 exec, exec, s[6:7]
	s_or_b64 s[2:3], s[2:3], exec
.LBB1197_215:
	s_or_b64 exec, exec, s[4:5]
	s_and_saveexec_b64 s[4:5], s[2:3]
	s_cbranch_execnz .LBB1197_134
.LBB1197_216:
	s_or_b64 exec, exec, s[4:5]
	s_and_b64 s[0:1], s[0:1], s[22:23]
	s_and_saveexec_b64 s[2:3], s[0:1]
	s_cbranch_execz .LBB1197_135
.LBB1197_217:
	v_add_co_u32_e32 v0, vcc, v16, v18
	s_waitcnt lgkmcnt(1)
	v_mov_b32_e32 v2, 0
	v_addc_co_u32_e32 v1, vcc, 0, v17, vcc
	global_store_dwordx2 v2, v[0:1], s[20:21]
	s_endpgm
	.section	.rodata,"a",@progbits
	.p2align	6, 0x0
	.amdhsa_kernel _ZN7rocprim17ROCPRIM_400000_NS6detail17trampoline_kernelINS0_13select_configILj256ELj13ELNS0_17block_load_methodE3ELS4_3ELS4_3ELNS0_20block_scan_algorithmE0ELj4294967295EEENS1_25partition_config_selectorILNS1_17partition_subalgoE3EjNS0_10empty_typeEbEEZZNS1_14partition_implILS8_3ELb0ES6_jNS0_17counting_iteratorIjlEEPS9_SE_NS0_5tupleIJPjSE_EEENSF_IJSE_SE_EEES9_SG_JZNS1_25segmented_radix_sort_implINS0_14default_configELb0EPKdPdPKlPlN2at6native12_GLOBAL__N_18offset_tEEE10hipError_tPvRmT1_PNSt15iterator_traitsISY_E10value_typeET2_T3_PNSZ_IS14_E10value_typeET4_jRbjT5_S1A_jjP12ihipStream_tbEUljE_EEESV_SW_SX_S14_S18_S1A_T6_T7_T9_mT8_S1C_bDpT10_ENKUlT_T0_E_clISt17integral_constantIbLb1EES1P_EEDaS1K_S1L_EUlS1K_E_NS1_11comp_targetILNS1_3genE4ELNS1_11target_archE910ELNS1_3gpuE8ELNS1_3repE0EEENS1_30default_config_static_selectorELNS0_4arch9wavefront6targetE1EEEvSY_
		.amdhsa_group_segment_fixed_size 13324
		.amdhsa_private_segment_fixed_size 0
		.amdhsa_kernarg_size 152
		.amdhsa_user_sgpr_count 6
		.amdhsa_user_sgpr_private_segment_buffer 1
		.amdhsa_user_sgpr_dispatch_ptr 0
		.amdhsa_user_sgpr_queue_ptr 0
		.amdhsa_user_sgpr_kernarg_segment_ptr 1
		.amdhsa_user_sgpr_dispatch_id 0
		.amdhsa_user_sgpr_flat_scratch_init 0
		.amdhsa_user_sgpr_kernarg_preload_length 0
		.amdhsa_user_sgpr_kernarg_preload_offset 0
		.amdhsa_user_sgpr_private_segment_size 0
		.amdhsa_uses_dynamic_stack 0
		.amdhsa_system_sgpr_private_segment_wavefront_offset 0
		.amdhsa_system_sgpr_workgroup_id_x 1
		.amdhsa_system_sgpr_workgroup_id_y 0
		.amdhsa_system_sgpr_workgroup_id_z 0
		.amdhsa_system_sgpr_workgroup_info 0
		.amdhsa_system_vgpr_workitem_id 0
		.amdhsa_next_free_vgpr 64
		.amdhsa_next_free_sgpr 44
		.amdhsa_accum_offset 64
		.amdhsa_reserve_vcc 1
		.amdhsa_reserve_flat_scratch 0
		.amdhsa_float_round_mode_32 0
		.amdhsa_float_round_mode_16_64 0
		.amdhsa_float_denorm_mode_32 3
		.amdhsa_float_denorm_mode_16_64 3
		.amdhsa_dx10_clamp 1
		.amdhsa_ieee_mode 1
		.amdhsa_fp16_overflow 0
		.amdhsa_tg_split 0
		.amdhsa_exception_fp_ieee_invalid_op 0
		.amdhsa_exception_fp_denorm_src 0
		.amdhsa_exception_fp_ieee_div_zero 0
		.amdhsa_exception_fp_ieee_overflow 0
		.amdhsa_exception_fp_ieee_underflow 0
		.amdhsa_exception_fp_ieee_inexact 0
		.amdhsa_exception_int_div_zero 0
	.end_amdhsa_kernel
	.section	.text._ZN7rocprim17ROCPRIM_400000_NS6detail17trampoline_kernelINS0_13select_configILj256ELj13ELNS0_17block_load_methodE3ELS4_3ELS4_3ELNS0_20block_scan_algorithmE0ELj4294967295EEENS1_25partition_config_selectorILNS1_17partition_subalgoE3EjNS0_10empty_typeEbEEZZNS1_14partition_implILS8_3ELb0ES6_jNS0_17counting_iteratorIjlEEPS9_SE_NS0_5tupleIJPjSE_EEENSF_IJSE_SE_EEES9_SG_JZNS1_25segmented_radix_sort_implINS0_14default_configELb0EPKdPdPKlPlN2at6native12_GLOBAL__N_18offset_tEEE10hipError_tPvRmT1_PNSt15iterator_traitsISY_E10value_typeET2_T3_PNSZ_IS14_E10value_typeET4_jRbjT5_S1A_jjP12ihipStream_tbEUljE_EEESV_SW_SX_S14_S18_S1A_T6_T7_T9_mT8_S1C_bDpT10_ENKUlT_T0_E_clISt17integral_constantIbLb1EES1P_EEDaS1K_S1L_EUlS1K_E_NS1_11comp_targetILNS1_3genE4ELNS1_11target_archE910ELNS1_3gpuE8ELNS1_3repE0EEENS1_30default_config_static_selectorELNS0_4arch9wavefront6targetE1EEEvSY_,"axG",@progbits,_ZN7rocprim17ROCPRIM_400000_NS6detail17trampoline_kernelINS0_13select_configILj256ELj13ELNS0_17block_load_methodE3ELS4_3ELS4_3ELNS0_20block_scan_algorithmE0ELj4294967295EEENS1_25partition_config_selectorILNS1_17partition_subalgoE3EjNS0_10empty_typeEbEEZZNS1_14partition_implILS8_3ELb0ES6_jNS0_17counting_iteratorIjlEEPS9_SE_NS0_5tupleIJPjSE_EEENSF_IJSE_SE_EEES9_SG_JZNS1_25segmented_radix_sort_implINS0_14default_configELb0EPKdPdPKlPlN2at6native12_GLOBAL__N_18offset_tEEE10hipError_tPvRmT1_PNSt15iterator_traitsISY_E10value_typeET2_T3_PNSZ_IS14_E10value_typeET4_jRbjT5_S1A_jjP12ihipStream_tbEUljE_EEESV_SW_SX_S14_S18_S1A_T6_T7_T9_mT8_S1C_bDpT10_ENKUlT_T0_E_clISt17integral_constantIbLb1EES1P_EEDaS1K_S1L_EUlS1K_E_NS1_11comp_targetILNS1_3genE4ELNS1_11target_archE910ELNS1_3gpuE8ELNS1_3repE0EEENS1_30default_config_static_selectorELNS0_4arch9wavefront6targetE1EEEvSY_,comdat
.Lfunc_end1197:
	.size	_ZN7rocprim17ROCPRIM_400000_NS6detail17trampoline_kernelINS0_13select_configILj256ELj13ELNS0_17block_load_methodE3ELS4_3ELS4_3ELNS0_20block_scan_algorithmE0ELj4294967295EEENS1_25partition_config_selectorILNS1_17partition_subalgoE3EjNS0_10empty_typeEbEEZZNS1_14partition_implILS8_3ELb0ES6_jNS0_17counting_iteratorIjlEEPS9_SE_NS0_5tupleIJPjSE_EEENSF_IJSE_SE_EEES9_SG_JZNS1_25segmented_radix_sort_implINS0_14default_configELb0EPKdPdPKlPlN2at6native12_GLOBAL__N_18offset_tEEE10hipError_tPvRmT1_PNSt15iterator_traitsISY_E10value_typeET2_T3_PNSZ_IS14_E10value_typeET4_jRbjT5_S1A_jjP12ihipStream_tbEUljE_EEESV_SW_SX_S14_S18_S1A_T6_T7_T9_mT8_S1C_bDpT10_ENKUlT_T0_E_clISt17integral_constantIbLb1EES1P_EEDaS1K_S1L_EUlS1K_E_NS1_11comp_targetILNS1_3genE4ELNS1_11target_archE910ELNS1_3gpuE8ELNS1_3repE0EEENS1_30default_config_static_selectorELNS0_4arch9wavefront6targetE1EEEvSY_, .Lfunc_end1197-_ZN7rocprim17ROCPRIM_400000_NS6detail17trampoline_kernelINS0_13select_configILj256ELj13ELNS0_17block_load_methodE3ELS4_3ELS4_3ELNS0_20block_scan_algorithmE0ELj4294967295EEENS1_25partition_config_selectorILNS1_17partition_subalgoE3EjNS0_10empty_typeEbEEZZNS1_14partition_implILS8_3ELb0ES6_jNS0_17counting_iteratorIjlEEPS9_SE_NS0_5tupleIJPjSE_EEENSF_IJSE_SE_EEES9_SG_JZNS1_25segmented_radix_sort_implINS0_14default_configELb0EPKdPdPKlPlN2at6native12_GLOBAL__N_18offset_tEEE10hipError_tPvRmT1_PNSt15iterator_traitsISY_E10value_typeET2_T3_PNSZ_IS14_E10value_typeET4_jRbjT5_S1A_jjP12ihipStream_tbEUljE_EEESV_SW_SX_S14_S18_S1A_T6_T7_T9_mT8_S1C_bDpT10_ENKUlT_T0_E_clISt17integral_constantIbLb1EES1P_EEDaS1K_S1L_EUlS1K_E_NS1_11comp_targetILNS1_3genE4ELNS1_11target_archE910ELNS1_3gpuE8ELNS1_3repE0EEENS1_30default_config_static_selectorELNS0_4arch9wavefront6targetE1EEEvSY_
                                        ; -- End function
	.section	.AMDGPU.csdata,"",@progbits
; Kernel info:
; codeLenInByte = 7896
; NumSgprs: 48
; NumVgprs: 64
; NumAgprs: 0
; TotalNumVgprs: 64
; ScratchSize: 0
; MemoryBound: 0
; FloatMode: 240
; IeeeMode: 1
; LDSByteSize: 13324 bytes/workgroup (compile time only)
; SGPRBlocks: 5
; VGPRBlocks: 7
; NumSGPRsForWavesPerEU: 48
; NumVGPRsForWavesPerEU: 64
; AccumOffset: 64
; Occupancy: 4
; WaveLimiterHint : 0
; COMPUTE_PGM_RSRC2:SCRATCH_EN: 0
; COMPUTE_PGM_RSRC2:USER_SGPR: 6
; COMPUTE_PGM_RSRC2:TRAP_HANDLER: 0
; COMPUTE_PGM_RSRC2:TGID_X_EN: 1
; COMPUTE_PGM_RSRC2:TGID_Y_EN: 0
; COMPUTE_PGM_RSRC2:TGID_Z_EN: 0
; COMPUTE_PGM_RSRC2:TIDIG_COMP_CNT: 0
; COMPUTE_PGM_RSRC3_GFX90A:ACCUM_OFFSET: 15
; COMPUTE_PGM_RSRC3_GFX90A:TG_SPLIT: 0
	.section	.text._ZN7rocprim17ROCPRIM_400000_NS6detail17trampoline_kernelINS0_13select_configILj256ELj13ELNS0_17block_load_methodE3ELS4_3ELS4_3ELNS0_20block_scan_algorithmE0ELj4294967295EEENS1_25partition_config_selectorILNS1_17partition_subalgoE3EjNS0_10empty_typeEbEEZZNS1_14partition_implILS8_3ELb0ES6_jNS0_17counting_iteratorIjlEEPS9_SE_NS0_5tupleIJPjSE_EEENSF_IJSE_SE_EEES9_SG_JZNS1_25segmented_radix_sort_implINS0_14default_configELb0EPKdPdPKlPlN2at6native12_GLOBAL__N_18offset_tEEE10hipError_tPvRmT1_PNSt15iterator_traitsISY_E10value_typeET2_T3_PNSZ_IS14_E10value_typeET4_jRbjT5_S1A_jjP12ihipStream_tbEUljE_EEESV_SW_SX_S14_S18_S1A_T6_T7_T9_mT8_S1C_bDpT10_ENKUlT_T0_E_clISt17integral_constantIbLb1EES1P_EEDaS1K_S1L_EUlS1K_E_NS1_11comp_targetILNS1_3genE3ELNS1_11target_archE908ELNS1_3gpuE7ELNS1_3repE0EEENS1_30default_config_static_selectorELNS0_4arch9wavefront6targetE1EEEvSY_,"axG",@progbits,_ZN7rocprim17ROCPRIM_400000_NS6detail17trampoline_kernelINS0_13select_configILj256ELj13ELNS0_17block_load_methodE3ELS4_3ELS4_3ELNS0_20block_scan_algorithmE0ELj4294967295EEENS1_25partition_config_selectorILNS1_17partition_subalgoE3EjNS0_10empty_typeEbEEZZNS1_14partition_implILS8_3ELb0ES6_jNS0_17counting_iteratorIjlEEPS9_SE_NS0_5tupleIJPjSE_EEENSF_IJSE_SE_EEES9_SG_JZNS1_25segmented_radix_sort_implINS0_14default_configELb0EPKdPdPKlPlN2at6native12_GLOBAL__N_18offset_tEEE10hipError_tPvRmT1_PNSt15iterator_traitsISY_E10value_typeET2_T3_PNSZ_IS14_E10value_typeET4_jRbjT5_S1A_jjP12ihipStream_tbEUljE_EEESV_SW_SX_S14_S18_S1A_T6_T7_T9_mT8_S1C_bDpT10_ENKUlT_T0_E_clISt17integral_constantIbLb1EES1P_EEDaS1K_S1L_EUlS1K_E_NS1_11comp_targetILNS1_3genE3ELNS1_11target_archE908ELNS1_3gpuE7ELNS1_3repE0EEENS1_30default_config_static_selectorELNS0_4arch9wavefront6targetE1EEEvSY_,comdat
	.globl	_ZN7rocprim17ROCPRIM_400000_NS6detail17trampoline_kernelINS0_13select_configILj256ELj13ELNS0_17block_load_methodE3ELS4_3ELS4_3ELNS0_20block_scan_algorithmE0ELj4294967295EEENS1_25partition_config_selectorILNS1_17partition_subalgoE3EjNS0_10empty_typeEbEEZZNS1_14partition_implILS8_3ELb0ES6_jNS0_17counting_iteratorIjlEEPS9_SE_NS0_5tupleIJPjSE_EEENSF_IJSE_SE_EEES9_SG_JZNS1_25segmented_radix_sort_implINS0_14default_configELb0EPKdPdPKlPlN2at6native12_GLOBAL__N_18offset_tEEE10hipError_tPvRmT1_PNSt15iterator_traitsISY_E10value_typeET2_T3_PNSZ_IS14_E10value_typeET4_jRbjT5_S1A_jjP12ihipStream_tbEUljE_EEESV_SW_SX_S14_S18_S1A_T6_T7_T9_mT8_S1C_bDpT10_ENKUlT_T0_E_clISt17integral_constantIbLb1EES1P_EEDaS1K_S1L_EUlS1K_E_NS1_11comp_targetILNS1_3genE3ELNS1_11target_archE908ELNS1_3gpuE7ELNS1_3repE0EEENS1_30default_config_static_selectorELNS0_4arch9wavefront6targetE1EEEvSY_ ; -- Begin function _ZN7rocprim17ROCPRIM_400000_NS6detail17trampoline_kernelINS0_13select_configILj256ELj13ELNS0_17block_load_methodE3ELS4_3ELS4_3ELNS0_20block_scan_algorithmE0ELj4294967295EEENS1_25partition_config_selectorILNS1_17partition_subalgoE3EjNS0_10empty_typeEbEEZZNS1_14partition_implILS8_3ELb0ES6_jNS0_17counting_iteratorIjlEEPS9_SE_NS0_5tupleIJPjSE_EEENSF_IJSE_SE_EEES9_SG_JZNS1_25segmented_radix_sort_implINS0_14default_configELb0EPKdPdPKlPlN2at6native12_GLOBAL__N_18offset_tEEE10hipError_tPvRmT1_PNSt15iterator_traitsISY_E10value_typeET2_T3_PNSZ_IS14_E10value_typeET4_jRbjT5_S1A_jjP12ihipStream_tbEUljE_EEESV_SW_SX_S14_S18_S1A_T6_T7_T9_mT8_S1C_bDpT10_ENKUlT_T0_E_clISt17integral_constantIbLb1EES1P_EEDaS1K_S1L_EUlS1K_E_NS1_11comp_targetILNS1_3genE3ELNS1_11target_archE908ELNS1_3gpuE7ELNS1_3repE0EEENS1_30default_config_static_selectorELNS0_4arch9wavefront6targetE1EEEvSY_
	.p2align	8
	.type	_ZN7rocprim17ROCPRIM_400000_NS6detail17trampoline_kernelINS0_13select_configILj256ELj13ELNS0_17block_load_methodE3ELS4_3ELS4_3ELNS0_20block_scan_algorithmE0ELj4294967295EEENS1_25partition_config_selectorILNS1_17partition_subalgoE3EjNS0_10empty_typeEbEEZZNS1_14partition_implILS8_3ELb0ES6_jNS0_17counting_iteratorIjlEEPS9_SE_NS0_5tupleIJPjSE_EEENSF_IJSE_SE_EEES9_SG_JZNS1_25segmented_radix_sort_implINS0_14default_configELb0EPKdPdPKlPlN2at6native12_GLOBAL__N_18offset_tEEE10hipError_tPvRmT1_PNSt15iterator_traitsISY_E10value_typeET2_T3_PNSZ_IS14_E10value_typeET4_jRbjT5_S1A_jjP12ihipStream_tbEUljE_EEESV_SW_SX_S14_S18_S1A_T6_T7_T9_mT8_S1C_bDpT10_ENKUlT_T0_E_clISt17integral_constantIbLb1EES1P_EEDaS1K_S1L_EUlS1K_E_NS1_11comp_targetILNS1_3genE3ELNS1_11target_archE908ELNS1_3gpuE7ELNS1_3repE0EEENS1_30default_config_static_selectorELNS0_4arch9wavefront6targetE1EEEvSY_,@function
_ZN7rocprim17ROCPRIM_400000_NS6detail17trampoline_kernelINS0_13select_configILj256ELj13ELNS0_17block_load_methodE3ELS4_3ELS4_3ELNS0_20block_scan_algorithmE0ELj4294967295EEENS1_25partition_config_selectorILNS1_17partition_subalgoE3EjNS0_10empty_typeEbEEZZNS1_14partition_implILS8_3ELb0ES6_jNS0_17counting_iteratorIjlEEPS9_SE_NS0_5tupleIJPjSE_EEENSF_IJSE_SE_EEES9_SG_JZNS1_25segmented_radix_sort_implINS0_14default_configELb0EPKdPdPKlPlN2at6native12_GLOBAL__N_18offset_tEEE10hipError_tPvRmT1_PNSt15iterator_traitsISY_E10value_typeET2_T3_PNSZ_IS14_E10value_typeET4_jRbjT5_S1A_jjP12ihipStream_tbEUljE_EEESV_SW_SX_S14_S18_S1A_T6_T7_T9_mT8_S1C_bDpT10_ENKUlT_T0_E_clISt17integral_constantIbLb1EES1P_EEDaS1K_S1L_EUlS1K_E_NS1_11comp_targetILNS1_3genE3ELNS1_11target_archE908ELNS1_3gpuE7ELNS1_3repE0EEENS1_30default_config_static_selectorELNS0_4arch9wavefront6targetE1EEEvSY_: ; @_ZN7rocprim17ROCPRIM_400000_NS6detail17trampoline_kernelINS0_13select_configILj256ELj13ELNS0_17block_load_methodE3ELS4_3ELS4_3ELNS0_20block_scan_algorithmE0ELj4294967295EEENS1_25partition_config_selectorILNS1_17partition_subalgoE3EjNS0_10empty_typeEbEEZZNS1_14partition_implILS8_3ELb0ES6_jNS0_17counting_iteratorIjlEEPS9_SE_NS0_5tupleIJPjSE_EEENSF_IJSE_SE_EEES9_SG_JZNS1_25segmented_radix_sort_implINS0_14default_configELb0EPKdPdPKlPlN2at6native12_GLOBAL__N_18offset_tEEE10hipError_tPvRmT1_PNSt15iterator_traitsISY_E10value_typeET2_T3_PNSZ_IS14_E10value_typeET4_jRbjT5_S1A_jjP12ihipStream_tbEUljE_EEESV_SW_SX_S14_S18_S1A_T6_T7_T9_mT8_S1C_bDpT10_ENKUlT_T0_E_clISt17integral_constantIbLb1EES1P_EEDaS1K_S1L_EUlS1K_E_NS1_11comp_targetILNS1_3genE3ELNS1_11target_archE908ELNS1_3gpuE7ELNS1_3repE0EEENS1_30default_config_static_selectorELNS0_4arch9wavefront6targetE1EEEvSY_
; %bb.0:
	.section	.rodata,"a",@progbits
	.p2align	6, 0x0
	.amdhsa_kernel _ZN7rocprim17ROCPRIM_400000_NS6detail17trampoline_kernelINS0_13select_configILj256ELj13ELNS0_17block_load_methodE3ELS4_3ELS4_3ELNS0_20block_scan_algorithmE0ELj4294967295EEENS1_25partition_config_selectorILNS1_17partition_subalgoE3EjNS0_10empty_typeEbEEZZNS1_14partition_implILS8_3ELb0ES6_jNS0_17counting_iteratorIjlEEPS9_SE_NS0_5tupleIJPjSE_EEENSF_IJSE_SE_EEES9_SG_JZNS1_25segmented_radix_sort_implINS0_14default_configELb0EPKdPdPKlPlN2at6native12_GLOBAL__N_18offset_tEEE10hipError_tPvRmT1_PNSt15iterator_traitsISY_E10value_typeET2_T3_PNSZ_IS14_E10value_typeET4_jRbjT5_S1A_jjP12ihipStream_tbEUljE_EEESV_SW_SX_S14_S18_S1A_T6_T7_T9_mT8_S1C_bDpT10_ENKUlT_T0_E_clISt17integral_constantIbLb1EES1P_EEDaS1K_S1L_EUlS1K_E_NS1_11comp_targetILNS1_3genE3ELNS1_11target_archE908ELNS1_3gpuE7ELNS1_3repE0EEENS1_30default_config_static_selectorELNS0_4arch9wavefront6targetE1EEEvSY_
		.amdhsa_group_segment_fixed_size 0
		.amdhsa_private_segment_fixed_size 0
		.amdhsa_kernarg_size 152
		.amdhsa_user_sgpr_count 6
		.amdhsa_user_sgpr_private_segment_buffer 1
		.amdhsa_user_sgpr_dispatch_ptr 0
		.amdhsa_user_sgpr_queue_ptr 0
		.amdhsa_user_sgpr_kernarg_segment_ptr 1
		.amdhsa_user_sgpr_dispatch_id 0
		.amdhsa_user_sgpr_flat_scratch_init 0
		.amdhsa_user_sgpr_kernarg_preload_length 0
		.amdhsa_user_sgpr_kernarg_preload_offset 0
		.amdhsa_user_sgpr_private_segment_size 0
		.amdhsa_uses_dynamic_stack 0
		.amdhsa_system_sgpr_private_segment_wavefront_offset 0
		.amdhsa_system_sgpr_workgroup_id_x 1
		.amdhsa_system_sgpr_workgroup_id_y 0
		.amdhsa_system_sgpr_workgroup_id_z 0
		.amdhsa_system_sgpr_workgroup_info 0
		.amdhsa_system_vgpr_workitem_id 0
		.amdhsa_next_free_vgpr 1
		.amdhsa_next_free_sgpr 0
		.amdhsa_accum_offset 4
		.amdhsa_reserve_vcc 0
		.amdhsa_reserve_flat_scratch 0
		.amdhsa_float_round_mode_32 0
		.amdhsa_float_round_mode_16_64 0
		.amdhsa_float_denorm_mode_32 3
		.amdhsa_float_denorm_mode_16_64 3
		.amdhsa_dx10_clamp 1
		.amdhsa_ieee_mode 1
		.amdhsa_fp16_overflow 0
		.amdhsa_tg_split 0
		.amdhsa_exception_fp_ieee_invalid_op 0
		.amdhsa_exception_fp_denorm_src 0
		.amdhsa_exception_fp_ieee_div_zero 0
		.amdhsa_exception_fp_ieee_overflow 0
		.amdhsa_exception_fp_ieee_underflow 0
		.amdhsa_exception_fp_ieee_inexact 0
		.amdhsa_exception_int_div_zero 0
	.end_amdhsa_kernel
	.section	.text._ZN7rocprim17ROCPRIM_400000_NS6detail17trampoline_kernelINS0_13select_configILj256ELj13ELNS0_17block_load_methodE3ELS4_3ELS4_3ELNS0_20block_scan_algorithmE0ELj4294967295EEENS1_25partition_config_selectorILNS1_17partition_subalgoE3EjNS0_10empty_typeEbEEZZNS1_14partition_implILS8_3ELb0ES6_jNS0_17counting_iteratorIjlEEPS9_SE_NS0_5tupleIJPjSE_EEENSF_IJSE_SE_EEES9_SG_JZNS1_25segmented_radix_sort_implINS0_14default_configELb0EPKdPdPKlPlN2at6native12_GLOBAL__N_18offset_tEEE10hipError_tPvRmT1_PNSt15iterator_traitsISY_E10value_typeET2_T3_PNSZ_IS14_E10value_typeET4_jRbjT5_S1A_jjP12ihipStream_tbEUljE_EEESV_SW_SX_S14_S18_S1A_T6_T7_T9_mT8_S1C_bDpT10_ENKUlT_T0_E_clISt17integral_constantIbLb1EES1P_EEDaS1K_S1L_EUlS1K_E_NS1_11comp_targetILNS1_3genE3ELNS1_11target_archE908ELNS1_3gpuE7ELNS1_3repE0EEENS1_30default_config_static_selectorELNS0_4arch9wavefront6targetE1EEEvSY_,"axG",@progbits,_ZN7rocprim17ROCPRIM_400000_NS6detail17trampoline_kernelINS0_13select_configILj256ELj13ELNS0_17block_load_methodE3ELS4_3ELS4_3ELNS0_20block_scan_algorithmE0ELj4294967295EEENS1_25partition_config_selectorILNS1_17partition_subalgoE3EjNS0_10empty_typeEbEEZZNS1_14partition_implILS8_3ELb0ES6_jNS0_17counting_iteratorIjlEEPS9_SE_NS0_5tupleIJPjSE_EEENSF_IJSE_SE_EEES9_SG_JZNS1_25segmented_radix_sort_implINS0_14default_configELb0EPKdPdPKlPlN2at6native12_GLOBAL__N_18offset_tEEE10hipError_tPvRmT1_PNSt15iterator_traitsISY_E10value_typeET2_T3_PNSZ_IS14_E10value_typeET4_jRbjT5_S1A_jjP12ihipStream_tbEUljE_EEESV_SW_SX_S14_S18_S1A_T6_T7_T9_mT8_S1C_bDpT10_ENKUlT_T0_E_clISt17integral_constantIbLb1EES1P_EEDaS1K_S1L_EUlS1K_E_NS1_11comp_targetILNS1_3genE3ELNS1_11target_archE908ELNS1_3gpuE7ELNS1_3repE0EEENS1_30default_config_static_selectorELNS0_4arch9wavefront6targetE1EEEvSY_,comdat
.Lfunc_end1198:
	.size	_ZN7rocprim17ROCPRIM_400000_NS6detail17trampoline_kernelINS0_13select_configILj256ELj13ELNS0_17block_load_methodE3ELS4_3ELS4_3ELNS0_20block_scan_algorithmE0ELj4294967295EEENS1_25partition_config_selectorILNS1_17partition_subalgoE3EjNS0_10empty_typeEbEEZZNS1_14partition_implILS8_3ELb0ES6_jNS0_17counting_iteratorIjlEEPS9_SE_NS0_5tupleIJPjSE_EEENSF_IJSE_SE_EEES9_SG_JZNS1_25segmented_radix_sort_implINS0_14default_configELb0EPKdPdPKlPlN2at6native12_GLOBAL__N_18offset_tEEE10hipError_tPvRmT1_PNSt15iterator_traitsISY_E10value_typeET2_T3_PNSZ_IS14_E10value_typeET4_jRbjT5_S1A_jjP12ihipStream_tbEUljE_EEESV_SW_SX_S14_S18_S1A_T6_T7_T9_mT8_S1C_bDpT10_ENKUlT_T0_E_clISt17integral_constantIbLb1EES1P_EEDaS1K_S1L_EUlS1K_E_NS1_11comp_targetILNS1_3genE3ELNS1_11target_archE908ELNS1_3gpuE7ELNS1_3repE0EEENS1_30default_config_static_selectorELNS0_4arch9wavefront6targetE1EEEvSY_, .Lfunc_end1198-_ZN7rocprim17ROCPRIM_400000_NS6detail17trampoline_kernelINS0_13select_configILj256ELj13ELNS0_17block_load_methodE3ELS4_3ELS4_3ELNS0_20block_scan_algorithmE0ELj4294967295EEENS1_25partition_config_selectorILNS1_17partition_subalgoE3EjNS0_10empty_typeEbEEZZNS1_14partition_implILS8_3ELb0ES6_jNS0_17counting_iteratorIjlEEPS9_SE_NS0_5tupleIJPjSE_EEENSF_IJSE_SE_EEES9_SG_JZNS1_25segmented_radix_sort_implINS0_14default_configELb0EPKdPdPKlPlN2at6native12_GLOBAL__N_18offset_tEEE10hipError_tPvRmT1_PNSt15iterator_traitsISY_E10value_typeET2_T3_PNSZ_IS14_E10value_typeET4_jRbjT5_S1A_jjP12ihipStream_tbEUljE_EEESV_SW_SX_S14_S18_S1A_T6_T7_T9_mT8_S1C_bDpT10_ENKUlT_T0_E_clISt17integral_constantIbLb1EES1P_EEDaS1K_S1L_EUlS1K_E_NS1_11comp_targetILNS1_3genE3ELNS1_11target_archE908ELNS1_3gpuE7ELNS1_3repE0EEENS1_30default_config_static_selectorELNS0_4arch9wavefront6targetE1EEEvSY_
                                        ; -- End function
	.section	.AMDGPU.csdata,"",@progbits
; Kernel info:
; codeLenInByte = 0
; NumSgprs: 4
; NumVgprs: 0
; NumAgprs: 0
; TotalNumVgprs: 0
; ScratchSize: 0
; MemoryBound: 0
; FloatMode: 240
; IeeeMode: 1
; LDSByteSize: 0 bytes/workgroup (compile time only)
; SGPRBlocks: 0
; VGPRBlocks: 0
; NumSGPRsForWavesPerEU: 4
; NumVGPRsForWavesPerEU: 1
; AccumOffset: 4
; Occupancy: 8
; WaveLimiterHint : 0
; COMPUTE_PGM_RSRC2:SCRATCH_EN: 0
; COMPUTE_PGM_RSRC2:USER_SGPR: 6
; COMPUTE_PGM_RSRC2:TRAP_HANDLER: 0
; COMPUTE_PGM_RSRC2:TGID_X_EN: 1
; COMPUTE_PGM_RSRC2:TGID_Y_EN: 0
; COMPUTE_PGM_RSRC2:TGID_Z_EN: 0
; COMPUTE_PGM_RSRC2:TIDIG_COMP_CNT: 0
; COMPUTE_PGM_RSRC3_GFX90A:ACCUM_OFFSET: 0
; COMPUTE_PGM_RSRC3_GFX90A:TG_SPLIT: 0
	.section	.text._ZN7rocprim17ROCPRIM_400000_NS6detail17trampoline_kernelINS0_13select_configILj256ELj13ELNS0_17block_load_methodE3ELS4_3ELS4_3ELNS0_20block_scan_algorithmE0ELj4294967295EEENS1_25partition_config_selectorILNS1_17partition_subalgoE3EjNS0_10empty_typeEbEEZZNS1_14partition_implILS8_3ELb0ES6_jNS0_17counting_iteratorIjlEEPS9_SE_NS0_5tupleIJPjSE_EEENSF_IJSE_SE_EEES9_SG_JZNS1_25segmented_radix_sort_implINS0_14default_configELb0EPKdPdPKlPlN2at6native12_GLOBAL__N_18offset_tEEE10hipError_tPvRmT1_PNSt15iterator_traitsISY_E10value_typeET2_T3_PNSZ_IS14_E10value_typeET4_jRbjT5_S1A_jjP12ihipStream_tbEUljE_EEESV_SW_SX_S14_S18_S1A_T6_T7_T9_mT8_S1C_bDpT10_ENKUlT_T0_E_clISt17integral_constantIbLb1EES1P_EEDaS1K_S1L_EUlS1K_E_NS1_11comp_targetILNS1_3genE2ELNS1_11target_archE906ELNS1_3gpuE6ELNS1_3repE0EEENS1_30default_config_static_selectorELNS0_4arch9wavefront6targetE1EEEvSY_,"axG",@progbits,_ZN7rocprim17ROCPRIM_400000_NS6detail17trampoline_kernelINS0_13select_configILj256ELj13ELNS0_17block_load_methodE3ELS4_3ELS4_3ELNS0_20block_scan_algorithmE0ELj4294967295EEENS1_25partition_config_selectorILNS1_17partition_subalgoE3EjNS0_10empty_typeEbEEZZNS1_14partition_implILS8_3ELb0ES6_jNS0_17counting_iteratorIjlEEPS9_SE_NS0_5tupleIJPjSE_EEENSF_IJSE_SE_EEES9_SG_JZNS1_25segmented_radix_sort_implINS0_14default_configELb0EPKdPdPKlPlN2at6native12_GLOBAL__N_18offset_tEEE10hipError_tPvRmT1_PNSt15iterator_traitsISY_E10value_typeET2_T3_PNSZ_IS14_E10value_typeET4_jRbjT5_S1A_jjP12ihipStream_tbEUljE_EEESV_SW_SX_S14_S18_S1A_T6_T7_T9_mT8_S1C_bDpT10_ENKUlT_T0_E_clISt17integral_constantIbLb1EES1P_EEDaS1K_S1L_EUlS1K_E_NS1_11comp_targetILNS1_3genE2ELNS1_11target_archE906ELNS1_3gpuE6ELNS1_3repE0EEENS1_30default_config_static_selectorELNS0_4arch9wavefront6targetE1EEEvSY_,comdat
	.globl	_ZN7rocprim17ROCPRIM_400000_NS6detail17trampoline_kernelINS0_13select_configILj256ELj13ELNS0_17block_load_methodE3ELS4_3ELS4_3ELNS0_20block_scan_algorithmE0ELj4294967295EEENS1_25partition_config_selectorILNS1_17partition_subalgoE3EjNS0_10empty_typeEbEEZZNS1_14partition_implILS8_3ELb0ES6_jNS0_17counting_iteratorIjlEEPS9_SE_NS0_5tupleIJPjSE_EEENSF_IJSE_SE_EEES9_SG_JZNS1_25segmented_radix_sort_implINS0_14default_configELb0EPKdPdPKlPlN2at6native12_GLOBAL__N_18offset_tEEE10hipError_tPvRmT1_PNSt15iterator_traitsISY_E10value_typeET2_T3_PNSZ_IS14_E10value_typeET4_jRbjT5_S1A_jjP12ihipStream_tbEUljE_EEESV_SW_SX_S14_S18_S1A_T6_T7_T9_mT8_S1C_bDpT10_ENKUlT_T0_E_clISt17integral_constantIbLb1EES1P_EEDaS1K_S1L_EUlS1K_E_NS1_11comp_targetILNS1_3genE2ELNS1_11target_archE906ELNS1_3gpuE6ELNS1_3repE0EEENS1_30default_config_static_selectorELNS0_4arch9wavefront6targetE1EEEvSY_ ; -- Begin function _ZN7rocprim17ROCPRIM_400000_NS6detail17trampoline_kernelINS0_13select_configILj256ELj13ELNS0_17block_load_methodE3ELS4_3ELS4_3ELNS0_20block_scan_algorithmE0ELj4294967295EEENS1_25partition_config_selectorILNS1_17partition_subalgoE3EjNS0_10empty_typeEbEEZZNS1_14partition_implILS8_3ELb0ES6_jNS0_17counting_iteratorIjlEEPS9_SE_NS0_5tupleIJPjSE_EEENSF_IJSE_SE_EEES9_SG_JZNS1_25segmented_radix_sort_implINS0_14default_configELb0EPKdPdPKlPlN2at6native12_GLOBAL__N_18offset_tEEE10hipError_tPvRmT1_PNSt15iterator_traitsISY_E10value_typeET2_T3_PNSZ_IS14_E10value_typeET4_jRbjT5_S1A_jjP12ihipStream_tbEUljE_EEESV_SW_SX_S14_S18_S1A_T6_T7_T9_mT8_S1C_bDpT10_ENKUlT_T0_E_clISt17integral_constantIbLb1EES1P_EEDaS1K_S1L_EUlS1K_E_NS1_11comp_targetILNS1_3genE2ELNS1_11target_archE906ELNS1_3gpuE6ELNS1_3repE0EEENS1_30default_config_static_selectorELNS0_4arch9wavefront6targetE1EEEvSY_
	.p2align	8
	.type	_ZN7rocprim17ROCPRIM_400000_NS6detail17trampoline_kernelINS0_13select_configILj256ELj13ELNS0_17block_load_methodE3ELS4_3ELS4_3ELNS0_20block_scan_algorithmE0ELj4294967295EEENS1_25partition_config_selectorILNS1_17partition_subalgoE3EjNS0_10empty_typeEbEEZZNS1_14partition_implILS8_3ELb0ES6_jNS0_17counting_iteratorIjlEEPS9_SE_NS0_5tupleIJPjSE_EEENSF_IJSE_SE_EEES9_SG_JZNS1_25segmented_radix_sort_implINS0_14default_configELb0EPKdPdPKlPlN2at6native12_GLOBAL__N_18offset_tEEE10hipError_tPvRmT1_PNSt15iterator_traitsISY_E10value_typeET2_T3_PNSZ_IS14_E10value_typeET4_jRbjT5_S1A_jjP12ihipStream_tbEUljE_EEESV_SW_SX_S14_S18_S1A_T6_T7_T9_mT8_S1C_bDpT10_ENKUlT_T0_E_clISt17integral_constantIbLb1EES1P_EEDaS1K_S1L_EUlS1K_E_NS1_11comp_targetILNS1_3genE2ELNS1_11target_archE906ELNS1_3gpuE6ELNS1_3repE0EEENS1_30default_config_static_selectorELNS0_4arch9wavefront6targetE1EEEvSY_,@function
_ZN7rocprim17ROCPRIM_400000_NS6detail17trampoline_kernelINS0_13select_configILj256ELj13ELNS0_17block_load_methodE3ELS4_3ELS4_3ELNS0_20block_scan_algorithmE0ELj4294967295EEENS1_25partition_config_selectorILNS1_17partition_subalgoE3EjNS0_10empty_typeEbEEZZNS1_14partition_implILS8_3ELb0ES6_jNS0_17counting_iteratorIjlEEPS9_SE_NS0_5tupleIJPjSE_EEENSF_IJSE_SE_EEES9_SG_JZNS1_25segmented_radix_sort_implINS0_14default_configELb0EPKdPdPKlPlN2at6native12_GLOBAL__N_18offset_tEEE10hipError_tPvRmT1_PNSt15iterator_traitsISY_E10value_typeET2_T3_PNSZ_IS14_E10value_typeET4_jRbjT5_S1A_jjP12ihipStream_tbEUljE_EEESV_SW_SX_S14_S18_S1A_T6_T7_T9_mT8_S1C_bDpT10_ENKUlT_T0_E_clISt17integral_constantIbLb1EES1P_EEDaS1K_S1L_EUlS1K_E_NS1_11comp_targetILNS1_3genE2ELNS1_11target_archE906ELNS1_3gpuE6ELNS1_3repE0EEENS1_30default_config_static_selectorELNS0_4arch9wavefront6targetE1EEEvSY_: ; @_ZN7rocprim17ROCPRIM_400000_NS6detail17trampoline_kernelINS0_13select_configILj256ELj13ELNS0_17block_load_methodE3ELS4_3ELS4_3ELNS0_20block_scan_algorithmE0ELj4294967295EEENS1_25partition_config_selectorILNS1_17partition_subalgoE3EjNS0_10empty_typeEbEEZZNS1_14partition_implILS8_3ELb0ES6_jNS0_17counting_iteratorIjlEEPS9_SE_NS0_5tupleIJPjSE_EEENSF_IJSE_SE_EEES9_SG_JZNS1_25segmented_radix_sort_implINS0_14default_configELb0EPKdPdPKlPlN2at6native12_GLOBAL__N_18offset_tEEE10hipError_tPvRmT1_PNSt15iterator_traitsISY_E10value_typeET2_T3_PNSZ_IS14_E10value_typeET4_jRbjT5_S1A_jjP12ihipStream_tbEUljE_EEESV_SW_SX_S14_S18_S1A_T6_T7_T9_mT8_S1C_bDpT10_ENKUlT_T0_E_clISt17integral_constantIbLb1EES1P_EEDaS1K_S1L_EUlS1K_E_NS1_11comp_targetILNS1_3genE2ELNS1_11target_archE906ELNS1_3gpuE6ELNS1_3repE0EEENS1_30default_config_static_selectorELNS0_4arch9wavefront6targetE1EEEvSY_
; %bb.0:
	.section	.rodata,"a",@progbits
	.p2align	6, 0x0
	.amdhsa_kernel _ZN7rocprim17ROCPRIM_400000_NS6detail17trampoline_kernelINS0_13select_configILj256ELj13ELNS0_17block_load_methodE3ELS4_3ELS4_3ELNS0_20block_scan_algorithmE0ELj4294967295EEENS1_25partition_config_selectorILNS1_17partition_subalgoE3EjNS0_10empty_typeEbEEZZNS1_14partition_implILS8_3ELb0ES6_jNS0_17counting_iteratorIjlEEPS9_SE_NS0_5tupleIJPjSE_EEENSF_IJSE_SE_EEES9_SG_JZNS1_25segmented_radix_sort_implINS0_14default_configELb0EPKdPdPKlPlN2at6native12_GLOBAL__N_18offset_tEEE10hipError_tPvRmT1_PNSt15iterator_traitsISY_E10value_typeET2_T3_PNSZ_IS14_E10value_typeET4_jRbjT5_S1A_jjP12ihipStream_tbEUljE_EEESV_SW_SX_S14_S18_S1A_T6_T7_T9_mT8_S1C_bDpT10_ENKUlT_T0_E_clISt17integral_constantIbLb1EES1P_EEDaS1K_S1L_EUlS1K_E_NS1_11comp_targetILNS1_3genE2ELNS1_11target_archE906ELNS1_3gpuE6ELNS1_3repE0EEENS1_30default_config_static_selectorELNS0_4arch9wavefront6targetE1EEEvSY_
		.amdhsa_group_segment_fixed_size 0
		.amdhsa_private_segment_fixed_size 0
		.amdhsa_kernarg_size 152
		.amdhsa_user_sgpr_count 6
		.amdhsa_user_sgpr_private_segment_buffer 1
		.amdhsa_user_sgpr_dispatch_ptr 0
		.amdhsa_user_sgpr_queue_ptr 0
		.amdhsa_user_sgpr_kernarg_segment_ptr 1
		.amdhsa_user_sgpr_dispatch_id 0
		.amdhsa_user_sgpr_flat_scratch_init 0
		.amdhsa_user_sgpr_kernarg_preload_length 0
		.amdhsa_user_sgpr_kernarg_preload_offset 0
		.amdhsa_user_sgpr_private_segment_size 0
		.amdhsa_uses_dynamic_stack 0
		.amdhsa_system_sgpr_private_segment_wavefront_offset 0
		.amdhsa_system_sgpr_workgroup_id_x 1
		.amdhsa_system_sgpr_workgroup_id_y 0
		.amdhsa_system_sgpr_workgroup_id_z 0
		.amdhsa_system_sgpr_workgroup_info 0
		.amdhsa_system_vgpr_workitem_id 0
		.amdhsa_next_free_vgpr 1
		.amdhsa_next_free_sgpr 0
		.amdhsa_accum_offset 4
		.amdhsa_reserve_vcc 0
		.amdhsa_reserve_flat_scratch 0
		.amdhsa_float_round_mode_32 0
		.amdhsa_float_round_mode_16_64 0
		.amdhsa_float_denorm_mode_32 3
		.amdhsa_float_denorm_mode_16_64 3
		.amdhsa_dx10_clamp 1
		.amdhsa_ieee_mode 1
		.amdhsa_fp16_overflow 0
		.amdhsa_tg_split 0
		.amdhsa_exception_fp_ieee_invalid_op 0
		.amdhsa_exception_fp_denorm_src 0
		.amdhsa_exception_fp_ieee_div_zero 0
		.amdhsa_exception_fp_ieee_overflow 0
		.amdhsa_exception_fp_ieee_underflow 0
		.amdhsa_exception_fp_ieee_inexact 0
		.amdhsa_exception_int_div_zero 0
	.end_amdhsa_kernel
	.section	.text._ZN7rocprim17ROCPRIM_400000_NS6detail17trampoline_kernelINS0_13select_configILj256ELj13ELNS0_17block_load_methodE3ELS4_3ELS4_3ELNS0_20block_scan_algorithmE0ELj4294967295EEENS1_25partition_config_selectorILNS1_17partition_subalgoE3EjNS0_10empty_typeEbEEZZNS1_14partition_implILS8_3ELb0ES6_jNS0_17counting_iteratorIjlEEPS9_SE_NS0_5tupleIJPjSE_EEENSF_IJSE_SE_EEES9_SG_JZNS1_25segmented_radix_sort_implINS0_14default_configELb0EPKdPdPKlPlN2at6native12_GLOBAL__N_18offset_tEEE10hipError_tPvRmT1_PNSt15iterator_traitsISY_E10value_typeET2_T3_PNSZ_IS14_E10value_typeET4_jRbjT5_S1A_jjP12ihipStream_tbEUljE_EEESV_SW_SX_S14_S18_S1A_T6_T7_T9_mT8_S1C_bDpT10_ENKUlT_T0_E_clISt17integral_constantIbLb1EES1P_EEDaS1K_S1L_EUlS1K_E_NS1_11comp_targetILNS1_3genE2ELNS1_11target_archE906ELNS1_3gpuE6ELNS1_3repE0EEENS1_30default_config_static_selectorELNS0_4arch9wavefront6targetE1EEEvSY_,"axG",@progbits,_ZN7rocprim17ROCPRIM_400000_NS6detail17trampoline_kernelINS0_13select_configILj256ELj13ELNS0_17block_load_methodE3ELS4_3ELS4_3ELNS0_20block_scan_algorithmE0ELj4294967295EEENS1_25partition_config_selectorILNS1_17partition_subalgoE3EjNS0_10empty_typeEbEEZZNS1_14partition_implILS8_3ELb0ES6_jNS0_17counting_iteratorIjlEEPS9_SE_NS0_5tupleIJPjSE_EEENSF_IJSE_SE_EEES9_SG_JZNS1_25segmented_radix_sort_implINS0_14default_configELb0EPKdPdPKlPlN2at6native12_GLOBAL__N_18offset_tEEE10hipError_tPvRmT1_PNSt15iterator_traitsISY_E10value_typeET2_T3_PNSZ_IS14_E10value_typeET4_jRbjT5_S1A_jjP12ihipStream_tbEUljE_EEESV_SW_SX_S14_S18_S1A_T6_T7_T9_mT8_S1C_bDpT10_ENKUlT_T0_E_clISt17integral_constantIbLb1EES1P_EEDaS1K_S1L_EUlS1K_E_NS1_11comp_targetILNS1_3genE2ELNS1_11target_archE906ELNS1_3gpuE6ELNS1_3repE0EEENS1_30default_config_static_selectorELNS0_4arch9wavefront6targetE1EEEvSY_,comdat
.Lfunc_end1199:
	.size	_ZN7rocprim17ROCPRIM_400000_NS6detail17trampoline_kernelINS0_13select_configILj256ELj13ELNS0_17block_load_methodE3ELS4_3ELS4_3ELNS0_20block_scan_algorithmE0ELj4294967295EEENS1_25partition_config_selectorILNS1_17partition_subalgoE3EjNS0_10empty_typeEbEEZZNS1_14partition_implILS8_3ELb0ES6_jNS0_17counting_iteratorIjlEEPS9_SE_NS0_5tupleIJPjSE_EEENSF_IJSE_SE_EEES9_SG_JZNS1_25segmented_radix_sort_implINS0_14default_configELb0EPKdPdPKlPlN2at6native12_GLOBAL__N_18offset_tEEE10hipError_tPvRmT1_PNSt15iterator_traitsISY_E10value_typeET2_T3_PNSZ_IS14_E10value_typeET4_jRbjT5_S1A_jjP12ihipStream_tbEUljE_EEESV_SW_SX_S14_S18_S1A_T6_T7_T9_mT8_S1C_bDpT10_ENKUlT_T0_E_clISt17integral_constantIbLb1EES1P_EEDaS1K_S1L_EUlS1K_E_NS1_11comp_targetILNS1_3genE2ELNS1_11target_archE906ELNS1_3gpuE6ELNS1_3repE0EEENS1_30default_config_static_selectorELNS0_4arch9wavefront6targetE1EEEvSY_, .Lfunc_end1199-_ZN7rocprim17ROCPRIM_400000_NS6detail17trampoline_kernelINS0_13select_configILj256ELj13ELNS0_17block_load_methodE3ELS4_3ELS4_3ELNS0_20block_scan_algorithmE0ELj4294967295EEENS1_25partition_config_selectorILNS1_17partition_subalgoE3EjNS0_10empty_typeEbEEZZNS1_14partition_implILS8_3ELb0ES6_jNS0_17counting_iteratorIjlEEPS9_SE_NS0_5tupleIJPjSE_EEENSF_IJSE_SE_EEES9_SG_JZNS1_25segmented_radix_sort_implINS0_14default_configELb0EPKdPdPKlPlN2at6native12_GLOBAL__N_18offset_tEEE10hipError_tPvRmT1_PNSt15iterator_traitsISY_E10value_typeET2_T3_PNSZ_IS14_E10value_typeET4_jRbjT5_S1A_jjP12ihipStream_tbEUljE_EEESV_SW_SX_S14_S18_S1A_T6_T7_T9_mT8_S1C_bDpT10_ENKUlT_T0_E_clISt17integral_constantIbLb1EES1P_EEDaS1K_S1L_EUlS1K_E_NS1_11comp_targetILNS1_3genE2ELNS1_11target_archE906ELNS1_3gpuE6ELNS1_3repE0EEENS1_30default_config_static_selectorELNS0_4arch9wavefront6targetE1EEEvSY_
                                        ; -- End function
	.section	.AMDGPU.csdata,"",@progbits
; Kernel info:
; codeLenInByte = 0
; NumSgprs: 4
; NumVgprs: 0
; NumAgprs: 0
; TotalNumVgprs: 0
; ScratchSize: 0
; MemoryBound: 0
; FloatMode: 240
; IeeeMode: 1
; LDSByteSize: 0 bytes/workgroup (compile time only)
; SGPRBlocks: 0
; VGPRBlocks: 0
; NumSGPRsForWavesPerEU: 4
; NumVGPRsForWavesPerEU: 1
; AccumOffset: 4
; Occupancy: 8
; WaveLimiterHint : 0
; COMPUTE_PGM_RSRC2:SCRATCH_EN: 0
; COMPUTE_PGM_RSRC2:USER_SGPR: 6
; COMPUTE_PGM_RSRC2:TRAP_HANDLER: 0
; COMPUTE_PGM_RSRC2:TGID_X_EN: 1
; COMPUTE_PGM_RSRC2:TGID_Y_EN: 0
; COMPUTE_PGM_RSRC2:TGID_Z_EN: 0
; COMPUTE_PGM_RSRC2:TIDIG_COMP_CNT: 0
; COMPUTE_PGM_RSRC3_GFX90A:ACCUM_OFFSET: 0
; COMPUTE_PGM_RSRC3_GFX90A:TG_SPLIT: 0
	.section	.text._ZN7rocprim17ROCPRIM_400000_NS6detail17trampoline_kernelINS0_13select_configILj256ELj13ELNS0_17block_load_methodE3ELS4_3ELS4_3ELNS0_20block_scan_algorithmE0ELj4294967295EEENS1_25partition_config_selectorILNS1_17partition_subalgoE3EjNS0_10empty_typeEbEEZZNS1_14partition_implILS8_3ELb0ES6_jNS0_17counting_iteratorIjlEEPS9_SE_NS0_5tupleIJPjSE_EEENSF_IJSE_SE_EEES9_SG_JZNS1_25segmented_radix_sort_implINS0_14default_configELb0EPKdPdPKlPlN2at6native12_GLOBAL__N_18offset_tEEE10hipError_tPvRmT1_PNSt15iterator_traitsISY_E10value_typeET2_T3_PNSZ_IS14_E10value_typeET4_jRbjT5_S1A_jjP12ihipStream_tbEUljE_EEESV_SW_SX_S14_S18_S1A_T6_T7_T9_mT8_S1C_bDpT10_ENKUlT_T0_E_clISt17integral_constantIbLb1EES1P_EEDaS1K_S1L_EUlS1K_E_NS1_11comp_targetILNS1_3genE10ELNS1_11target_archE1200ELNS1_3gpuE4ELNS1_3repE0EEENS1_30default_config_static_selectorELNS0_4arch9wavefront6targetE1EEEvSY_,"axG",@progbits,_ZN7rocprim17ROCPRIM_400000_NS6detail17trampoline_kernelINS0_13select_configILj256ELj13ELNS0_17block_load_methodE3ELS4_3ELS4_3ELNS0_20block_scan_algorithmE0ELj4294967295EEENS1_25partition_config_selectorILNS1_17partition_subalgoE3EjNS0_10empty_typeEbEEZZNS1_14partition_implILS8_3ELb0ES6_jNS0_17counting_iteratorIjlEEPS9_SE_NS0_5tupleIJPjSE_EEENSF_IJSE_SE_EEES9_SG_JZNS1_25segmented_radix_sort_implINS0_14default_configELb0EPKdPdPKlPlN2at6native12_GLOBAL__N_18offset_tEEE10hipError_tPvRmT1_PNSt15iterator_traitsISY_E10value_typeET2_T3_PNSZ_IS14_E10value_typeET4_jRbjT5_S1A_jjP12ihipStream_tbEUljE_EEESV_SW_SX_S14_S18_S1A_T6_T7_T9_mT8_S1C_bDpT10_ENKUlT_T0_E_clISt17integral_constantIbLb1EES1P_EEDaS1K_S1L_EUlS1K_E_NS1_11comp_targetILNS1_3genE10ELNS1_11target_archE1200ELNS1_3gpuE4ELNS1_3repE0EEENS1_30default_config_static_selectorELNS0_4arch9wavefront6targetE1EEEvSY_,comdat
	.globl	_ZN7rocprim17ROCPRIM_400000_NS6detail17trampoline_kernelINS0_13select_configILj256ELj13ELNS0_17block_load_methodE3ELS4_3ELS4_3ELNS0_20block_scan_algorithmE0ELj4294967295EEENS1_25partition_config_selectorILNS1_17partition_subalgoE3EjNS0_10empty_typeEbEEZZNS1_14partition_implILS8_3ELb0ES6_jNS0_17counting_iteratorIjlEEPS9_SE_NS0_5tupleIJPjSE_EEENSF_IJSE_SE_EEES9_SG_JZNS1_25segmented_radix_sort_implINS0_14default_configELb0EPKdPdPKlPlN2at6native12_GLOBAL__N_18offset_tEEE10hipError_tPvRmT1_PNSt15iterator_traitsISY_E10value_typeET2_T3_PNSZ_IS14_E10value_typeET4_jRbjT5_S1A_jjP12ihipStream_tbEUljE_EEESV_SW_SX_S14_S18_S1A_T6_T7_T9_mT8_S1C_bDpT10_ENKUlT_T0_E_clISt17integral_constantIbLb1EES1P_EEDaS1K_S1L_EUlS1K_E_NS1_11comp_targetILNS1_3genE10ELNS1_11target_archE1200ELNS1_3gpuE4ELNS1_3repE0EEENS1_30default_config_static_selectorELNS0_4arch9wavefront6targetE1EEEvSY_ ; -- Begin function _ZN7rocprim17ROCPRIM_400000_NS6detail17trampoline_kernelINS0_13select_configILj256ELj13ELNS0_17block_load_methodE3ELS4_3ELS4_3ELNS0_20block_scan_algorithmE0ELj4294967295EEENS1_25partition_config_selectorILNS1_17partition_subalgoE3EjNS0_10empty_typeEbEEZZNS1_14partition_implILS8_3ELb0ES6_jNS0_17counting_iteratorIjlEEPS9_SE_NS0_5tupleIJPjSE_EEENSF_IJSE_SE_EEES9_SG_JZNS1_25segmented_radix_sort_implINS0_14default_configELb0EPKdPdPKlPlN2at6native12_GLOBAL__N_18offset_tEEE10hipError_tPvRmT1_PNSt15iterator_traitsISY_E10value_typeET2_T3_PNSZ_IS14_E10value_typeET4_jRbjT5_S1A_jjP12ihipStream_tbEUljE_EEESV_SW_SX_S14_S18_S1A_T6_T7_T9_mT8_S1C_bDpT10_ENKUlT_T0_E_clISt17integral_constantIbLb1EES1P_EEDaS1K_S1L_EUlS1K_E_NS1_11comp_targetILNS1_3genE10ELNS1_11target_archE1200ELNS1_3gpuE4ELNS1_3repE0EEENS1_30default_config_static_selectorELNS0_4arch9wavefront6targetE1EEEvSY_
	.p2align	8
	.type	_ZN7rocprim17ROCPRIM_400000_NS6detail17trampoline_kernelINS0_13select_configILj256ELj13ELNS0_17block_load_methodE3ELS4_3ELS4_3ELNS0_20block_scan_algorithmE0ELj4294967295EEENS1_25partition_config_selectorILNS1_17partition_subalgoE3EjNS0_10empty_typeEbEEZZNS1_14partition_implILS8_3ELb0ES6_jNS0_17counting_iteratorIjlEEPS9_SE_NS0_5tupleIJPjSE_EEENSF_IJSE_SE_EEES9_SG_JZNS1_25segmented_radix_sort_implINS0_14default_configELb0EPKdPdPKlPlN2at6native12_GLOBAL__N_18offset_tEEE10hipError_tPvRmT1_PNSt15iterator_traitsISY_E10value_typeET2_T3_PNSZ_IS14_E10value_typeET4_jRbjT5_S1A_jjP12ihipStream_tbEUljE_EEESV_SW_SX_S14_S18_S1A_T6_T7_T9_mT8_S1C_bDpT10_ENKUlT_T0_E_clISt17integral_constantIbLb1EES1P_EEDaS1K_S1L_EUlS1K_E_NS1_11comp_targetILNS1_3genE10ELNS1_11target_archE1200ELNS1_3gpuE4ELNS1_3repE0EEENS1_30default_config_static_selectorELNS0_4arch9wavefront6targetE1EEEvSY_,@function
_ZN7rocprim17ROCPRIM_400000_NS6detail17trampoline_kernelINS0_13select_configILj256ELj13ELNS0_17block_load_methodE3ELS4_3ELS4_3ELNS0_20block_scan_algorithmE0ELj4294967295EEENS1_25partition_config_selectorILNS1_17partition_subalgoE3EjNS0_10empty_typeEbEEZZNS1_14partition_implILS8_3ELb0ES6_jNS0_17counting_iteratorIjlEEPS9_SE_NS0_5tupleIJPjSE_EEENSF_IJSE_SE_EEES9_SG_JZNS1_25segmented_radix_sort_implINS0_14default_configELb0EPKdPdPKlPlN2at6native12_GLOBAL__N_18offset_tEEE10hipError_tPvRmT1_PNSt15iterator_traitsISY_E10value_typeET2_T3_PNSZ_IS14_E10value_typeET4_jRbjT5_S1A_jjP12ihipStream_tbEUljE_EEESV_SW_SX_S14_S18_S1A_T6_T7_T9_mT8_S1C_bDpT10_ENKUlT_T0_E_clISt17integral_constantIbLb1EES1P_EEDaS1K_S1L_EUlS1K_E_NS1_11comp_targetILNS1_3genE10ELNS1_11target_archE1200ELNS1_3gpuE4ELNS1_3repE0EEENS1_30default_config_static_selectorELNS0_4arch9wavefront6targetE1EEEvSY_: ; @_ZN7rocprim17ROCPRIM_400000_NS6detail17trampoline_kernelINS0_13select_configILj256ELj13ELNS0_17block_load_methodE3ELS4_3ELS4_3ELNS0_20block_scan_algorithmE0ELj4294967295EEENS1_25partition_config_selectorILNS1_17partition_subalgoE3EjNS0_10empty_typeEbEEZZNS1_14partition_implILS8_3ELb0ES6_jNS0_17counting_iteratorIjlEEPS9_SE_NS0_5tupleIJPjSE_EEENSF_IJSE_SE_EEES9_SG_JZNS1_25segmented_radix_sort_implINS0_14default_configELb0EPKdPdPKlPlN2at6native12_GLOBAL__N_18offset_tEEE10hipError_tPvRmT1_PNSt15iterator_traitsISY_E10value_typeET2_T3_PNSZ_IS14_E10value_typeET4_jRbjT5_S1A_jjP12ihipStream_tbEUljE_EEESV_SW_SX_S14_S18_S1A_T6_T7_T9_mT8_S1C_bDpT10_ENKUlT_T0_E_clISt17integral_constantIbLb1EES1P_EEDaS1K_S1L_EUlS1K_E_NS1_11comp_targetILNS1_3genE10ELNS1_11target_archE1200ELNS1_3gpuE4ELNS1_3repE0EEENS1_30default_config_static_selectorELNS0_4arch9wavefront6targetE1EEEvSY_
; %bb.0:
	.section	.rodata,"a",@progbits
	.p2align	6, 0x0
	.amdhsa_kernel _ZN7rocprim17ROCPRIM_400000_NS6detail17trampoline_kernelINS0_13select_configILj256ELj13ELNS0_17block_load_methodE3ELS4_3ELS4_3ELNS0_20block_scan_algorithmE0ELj4294967295EEENS1_25partition_config_selectorILNS1_17partition_subalgoE3EjNS0_10empty_typeEbEEZZNS1_14partition_implILS8_3ELb0ES6_jNS0_17counting_iteratorIjlEEPS9_SE_NS0_5tupleIJPjSE_EEENSF_IJSE_SE_EEES9_SG_JZNS1_25segmented_radix_sort_implINS0_14default_configELb0EPKdPdPKlPlN2at6native12_GLOBAL__N_18offset_tEEE10hipError_tPvRmT1_PNSt15iterator_traitsISY_E10value_typeET2_T3_PNSZ_IS14_E10value_typeET4_jRbjT5_S1A_jjP12ihipStream_tbEUljE_EEESV_SW_SX_S14_S18_S1A_T6_T7_T9_mT8_S1C_bDpT10_ENKUlT_T0_E_clISt17integral_constantIbLb1EES1P_EEDaS1K_S1L_EUlS1K_E_NS1_11comp_targetILNS1_3genE10ELNS1_11target_archE1200ELNS1_3gpuE4ELNS1_3repE0EEENS1_30default_config_static_selectorELNS0_4arch9wavefront6targetE1EEEvSY_
		.amdhsa_group_segment_fixed_size 0
		.amdhsa_private_segment_fixed_size 0
		.amdhsa_kernarg_size 152
		.amdhsa_user_sgpr_count 6
		.amdhsa_user_sgpr_private_segment_buffer 1
		.amdhsa_user_sgpr_dispatch_ptr 0
		.amdhsa_user_sgpr_queue_ptr 0
		.amdhsa_user_sgpr_kernarg_segment_ptr 1
		.amdhsa_user_sgpr_dispatch_id 0
		.amdhsa_user_sgpr_flat_scratch_init 0
		.amdhsa_user_sgpr_kernarg_preload_length 0
		.amdhsa_user_sgpr_kernarg_preload_offset 0
		.amdhsa_user_sgpr_private_segment_size 0
		.amdhsa_uses_dynamic_stack 0
		.amdhsa_system_sgpr_private_segment_wavefront_offset 0
		.amdhsa_system_sgpr_workgroup_id_x 1
		.amdhsa_system_sgpr_workgroup_id_y 0
		.amdhsa_system_sgpr_workgroup_id_z 0
		.amdhsa_system_sgpr_workgroup_info 0
		.amdhsa_system_vgpr_workitem_id 0
		.amdhsa_next_free_vgpr 1
		.amdhsa_next_free_sgpr 0
		.amdhsa_accum_offset 4
		.amdhsa_reserve_vcc 0
		.amdhsa_reserve_flat_scratch 0
		.amdhsa_float_round_mode_32 0
		.amdhsa_float_round_mode_16_64 0
		.amdhsa_float_denorm_mode_32 3
		.amdhsa_float_denorm_mode_16_64 3
		.amdhsa_dx10_clamp 1
		.amdhsa_ieee_mode 1
		.amdhsa_fp16_overflow 0
		.amdhsa_tg_split 0
		.amdhsa_exception_fp_ieee_invalid_op 0
		.amdhsa_exception_fp_denorm_src 0
		.amdhsa_exception_fp_ieee_div_zero 0
		.amdhsa_exception_fp_ieee_overflow 0
		.amdhsa_exception_fp_ieee_underflow 0
		.amdhsa_exception_fp_ieee_inexact 0
		.amdhsa_exception_int_div_zero 0
	.end_amdhsa_kernel
	.section	.text._ZN7rocprim17ROCPRIM_400000_NS6detail17trampoline_kernelINS0_13select_configILj256ELj13ELNS0_17block_load_methodE3ELS4_3ELS4_3ELNS0_20block_scan_algorithmE0ELj4294967295EEENS1_25partition_config_selectorILNS1_17partition_subalgoE3EjNS0_10empty_typeEbEEZZNS1_14partition_implILS8_3ELb0ES6_jNS0_17counting_iteratorIjlEEPS9_SE_NS0_5tupleIJPjSE_EEENSF_IJSE_SE_EEES9_SG_JZNS1_25segmented_radix_sort_implINS0_14default_configELb0EPKdPdPKlPlN2at6native12_GLOBAL__N_18offset_tEEE10hipError_tPvRmT1_PNSt15iterator_traitsISY_E10value_typeET2_T3_PNSZ_IS14_E10value_typeET4_jRbjT5_S1A_jjP12ihipStream_tbEUljE_EEESV_SW_SX_S14_S18_S1A_T6_T7_T9_mT8_S1C_bDpT10_ENKUlT_T0_E_clISt17integral_constantIbLb1EES1P_EEDaS1K_S1L_EUlS1K_E_NS1_11comp_targetILNS1_3genE10ELNS1_11target_archE1200ELNS1_3gpuE4ELNS1_3repE0EEENS1_30default_config_static_selectorELNS0_4arch9wavefront6targetE1EEEvSY_,"axG",@progbits,_ZN7rocprim17ROCPRIM_400000_NS6detail17trampoline_kernelINS0_13select_configILj256ELj13ELNS0_17block_load_methodE3ELS4_3ELS4_3ELNS0_20block_scan_algorithmE0ELj4294967295EEENS1_25partition_config_selectorILNS1_17partition_subalgoE3EjNS0_10empty_typeEbEEZZNS1_14partition_implILS8_3ELb0ES6_jNS0_17counting_iteratorIjlEEPS9_SE_NS0_5tupleIJPjSE_EEENSF_IJSE_SE_EEES9_SG_JZNS1_25segmented_radix_sort_implINS0_14default_configELb0EPKdPdPKlPlN2at6native12_GLOBAL__N_18offset_tEEE10hipError_tPvRmT1_PNSt15iterator_traitsISY_E10value_typeET2_T3_PNSZ_IS14_E10value_typeET4_jRbjT5_S1A_jjP12ihipStream_tbEUljE_EEESV_SW_SX_S14_S18_S1A_T6_T7_T9_mT8_S1C_bDpT10_ENKUlT_T0_E_clISt17integral_constantIbLb1EES1P_EEDaS1K_S1L_EUlS1K_E_NS1_11comp_targetILNS1_3genE10ELNS1_11target_archE1200ELNS1_3gpuE4ELNS1_3repE0EEENS1_30default_config_static_selectorELNS0_4arch9wavefront6targetE1EEEvSY_,comdat
.Lfunc_end1200:
	.size	_ZN7rocprim17ROCPRIM_400000_NS6detail17trampoline_kernelINS0_13select_configILj256ELj13ELNS0_17block_load_methodE3ELS4_3ELS4_3ELNS0_20block_scan_algorithmE0ELj4294967295EEENS1_25partition_config_selectorILNS1_17partition_subalgoE3EjNS0_10empty_typeEbEEZZNS1_14partition_implILS8_3ELb0ES6_jNS0_17counting_iteratorIjlEEPS9_SE_NS0_5tupleIJPjSE_EEENSF_IJSE_SE_EEES9_SG_JZNS1_25segmented_radix_sort_implINS0_14default_configELb0EPKdPdPKlPlN2at6native12_GLOBAL__N_18offset_tEEE10hipError_tPvRmT1_PNSt15iterator_traitsISY_E10value_typeET2_T3_PNSZ_IS14_E10value_typeET4_jRbjT5_S1A_jjP12ihipStream_tbEUljE_EEESV_SW_SX_S14_S18_S1A_T6_T7_T9_mT8_S1C_bDpT10_ENKUlT_T0_E_clISt17integral_constantIbLb1EES1P_EEDaS1K_S1L_EUlS1K_E_NS1_11comp_targetILNS1_3genE10ELNS1_11target_archE1200ELNS1_3gpuE4ELNS1_3repE0EEENS1_30default_config_static_selectorELNS0_4arch9wavefront6targetE1EEEvSY_, .Lfunc_end1200-_ZN7rocprim17ROCPRIM_400000_NS6detail17trampoline_kernelINS0_13select_configILj256ELj13ELNS0_17block_load_methodE3ELS4_3ELS4_3ELNS0_20block_scan_algorithmE0ELj4294967295EEENS1_25partition_config_selectorILNS1_17partition_subalgoE3EjNS0_10empty_typeEbEEZZNS1_14partition_implILS8_3ELb0ES6_jNS0_17counting_iteratorIjlEEPS9_SE_NS0_5tupleIJPjSE_EEENSF_IJSE_SE_EEES9_SG_JZNS1_25segmented_radix_sort_implINS0_14default_configELb0EPKdPdPKlPlN2at6native12_GLOBAL__N_18offset_tEEE10hipError_tPvRmT1_PNSt15iterator_traitsISY_E10value_typeET2_T3_PNSZ_IS14_E10value_typeET4_jRbjT5_S1A_jjP12ihipStream_tbEUljE_EEESV_SW_SX_S14_S18_S1A_T6_T7_T9_mT8_S1C_bDpT10_ENKUlT_T0_E_clISt17integral_constantIbLb1EES1P_EEDaS1K_S1L_EUlS1K_E_NS1_11comp_targetILNS1_3genE10ELNS1_11target_archE1200ELNS1_3gpuE4ELNS1_3repE0EEENS1_30default_config_static_selectorELNS0_4arch9wavefront6targetE1EEEvSY_
                                        ; -- End function
	.section	.AMDGPU.csdata,"",@progbits
; Kernel info:
; codeLenInByte = 0
; NumSgprs: 4
; NumVgprs: 0
; NumAgprs: 0
; TotalNumVgprs: 0
; ScratchSize: 0
; MemoryBound: 0
; FloatMode: 240
; IeeeMode: 1
; LDSByteSize: 0 bytes/workgroup (compile time only)
; SGPRBlocks: 0
; VGPRBlocks: 0
; NumSGPRsForWavesPerEU: 4
; NumVGPRsForWavesPerEU: 1
; AccumOffset: 4
; Occupancy: 8
; WaveLimiterHint : 0
; COMPUTE_PGM_RSRC2:SCRATCH_EN: 0
; COMPUTE_PGM_RSRC2:USER_SGPR: 6
; COMPUTE_PGM_RSRC2:TRAP_HANDLER: 0
; COMPUTE_PGM_RSRC2:TGID_X_EN: 1
; COMPUTE_PGM_RSRC2:TGID_Y_EN: 0
; COMPUTE_PGM_RSRC2:TGID_Z_EN: 0
; COMPUTE_PGM_RSRC2:TIDIG_COMP_CNT: 0
; COMPUTE_PGM_RSRC3_GFX90A:ACCUM_OFFSET: 0
; COMPUTE_PGM_RSRC3_GFX90A:TG_SPLIT: 0
	.section	.text._ZN7rocprim17ROCPRIM_400000_NS6detail17trampoline_kernelINS0_13select_configILj256ELj13ELNS0_17block_load_methodE3ELS4_3ELS4_3ELNS0_20block_scan_algorithmE0ELj4294967295EEENS1_25partition_config_selectorILNS1_17partition_subalgoE3EjNS0_10empty_typeEbEEZZNS1_14partition_implILS8_3ELb0ES6_jNS0_17counting_iteratorIjlEEPS9_SE_NS0_5tupleIJPjSE_EEENSF_IJSE_SE_EEES9_SG_JZNS1_25segmented_radix_sort_implINS0_14default_configELb0EPKdPdPKlPlN2at6native12_GLOBAL__N_18offset_tEEE10hipError_tPvRmT1_PNSt15iterator_traitsISY_E10value_typeET2_T3_PNSZ_IS14_E10value_typeET4_jRbjT5_S1A_jjP12ihipStream_tbEUljE_EEESV_SW_SX_S14_S18_S1A_T6_T7_T9_mT8_S1C_bDpT10_ENKUlT_T0_E_clISt17integral_constantIbLb1EES1P_EEDaS1K_S1L_EUlS1K_E_NS1_11comp_targetILNS1_3genE9ELNS1_11target_archE1100ELNS1_3gpuE3ELNS1_3repE0EEENS1_30default_config_static_selectorELNS0_4arch9wavefront6targetE1EEEvSY_,"axG",@progbits,_ZN7rocprim17ROCPRIM_400000_NS6detail17trampoline_kernelINS0_13select_configILj256ELj13ELNS0_17block_load_methodE3ELS4_3ELS4_3ELNS0_20block_scan_algorithmE0ELj4294967295EEENS1_25partition_config_selectorILNS1_17partition_subalgoE3EjNS0_10empty_typeEbEEZZNS1_14partition_implILS8_3ELb0ES6_jNS0_17counting_iteratorIjlEEPS9_SE_NS0_5tupleIJPjSE_EEENSF_IJSE_SE_EEES9_SG_JZNS1_25segmented_radix_sort_implINS0_14default_configELb0EPKdPdPKlPlN2at6native12_GLOBAL__N_18offset_tEEE10hipError_tPvRmT1_PNSt15iterator_traitsISY_E10value_typeET2_T3_PNSZ_IS14_E10value_typeET4_jRbjT5_S1A_jjP12ihipStream_tbEUljE_EEESV_SW_SX_S14_S18_S1A_T6_T7_T9_mT8_S1C_bDpT10_ENKUlT_T0_E_clISt17integral_constantIbLb1EES1P_EEDaS1K_S1L_EUlS1K_E_NS1_11comp_targetILNS1_3genE9ELNS1_11target_archE1100ELNS1_3gpuE3ELNS1_3repE0EEENS1_30default_config_static_selectorELNS0_4arch9wavefront6targetE1EEEvSY_,comdat
	.globl	_ZN7rocprim17ROCPRIM_400000_NS6detail17trampoline_kernelINS0_13select_configILj256ELj13ELNS0_17block_load_methodE3ELS4_3ELS4_3ELNS0_20block_scan_algorithmE0ELj4294967295EEENS1_25partition_config_selectorILNS1_17partition_subalgoE3EjNS0_10empty_typeEbEEZZNS1_14partition_implILS8_3ELb0ES6_jNS0_17counting_iteratorIjlEEPS9_SE_NS0_5tupleIJPjSE_EEENSF_IJSE_SE_EEES9_SG_JZNS1_25segmented_radix_sort_implINS0_14default_configELb0EPKdPdPKlPlN2at6native12_GLOBAL__N_18offset_tEEE10hipError_tPvRmT1_PNSt15iterator_traitsISY_E10value_typeET2_T3_PNSZ_IS14_E10value_typeET4_jRbjT5_S1A_jjP12ihipStream_tbEUljE_EEESV_SW_SX_S14_S18_S1A_T6_T7_T9_mT8_S1C_bDpT10_ENKUlT_T0_E_clISt17integral_constantIbLb1EES1P_EEDaS1K_S1L_EUlS1K_E_NS1_11comp_targetILNS1_3genE9ELNS1_11target_archE1100ELNS1_3gpuE3ELNS1_3repE0EEENS1_30default_config_static_selectorELNS0_4arch9wavefront6targetE1EEEvSY_ ; -- Begin function _ZN7rocprim17ROCPRIM_400000_NS6detail17trampoline_kernelINS0_13select_configILj256ELj13ELNS0_17block_load_methodE3ELS4_3ELS4_3ELNS0_20block_scan_algorithmE0ELj4294967295EEENS1_25partition_config_selectorILNS1_17partition_subalgoE3EjNS0_10empty_typeEbEEZZNS1_14partition_implILS8_3ELb0ES6_jNS0_17counting_iteratorIjlEEPS9_SE_NS0_5tupleIJPjSE_EEENSF_IJSE_SE_EEES9_SG_JZNS1_25segmented_radix_sort_implINS0_14default_configELb0EPKdPdPKlPlN2at6native12_GLOBAL__N_18offset_tEEE10hipError_tPvRmT1_PNSt15iterator_traitsISY_E10value_typeET2_T3_PNSZ_IS14_E10value_typeET4_jRbjT5_S1A_jjP12ihipStream_tbEUljE_EEESV_SW_SX_S14_S18_S1A_T6_T7_T9_mT8_S1C_bDpT10_ENKUlT_T0_E_clISt17integral_constantIbLb1EES1P_EEDaS1K_S1L_EUlS1K_E_NS1_11comp_targetILNS1_3genE9ELNS1_11target_archE1100ELNS1_3gpuE3ELNS1_3repE0EEENS1_30default_config_static_selectorELNS0_4arch9wavefront6targetE1EEEvSY_
	.p2align	8
	.type	_ZN7rocprim17ROCPRIM_400000_NS6detail17trampoline_kernelINS0_13select_configILj256ELj13ELNS0_17block_load_methodE3ELS4_3ELS4_3ELNS0_20block_scan_algorithmE0ELj4294967295EEENS1_25partition_config_selectorILNS1_17partition_subalgoE3EjNS0_10empty_typeEbEEZZNS1_14partition_implILS8_3ELb0ES6_jNS0_17counting_iteratorIjlEEPS9_SE_NS0_5tupleIJPjSE_EEENSF_IJSE_SE_EEES9_SG_JZNS1_25segmented_radix_sort_implINS0_14default_configELb0EPKdPdPKlPlN2at6native12_GLOBAL__N_18offset_tEEE10hipError_tPvRmT1_PNSt15iterator_traitsISY_E10value_typeET2_T3_PNSZ_IS14_E10value_typeET4_jRbjT5_S1A_jjP12ihipStream_tbEUljE_EEESV_SW_SX_S14_S18_S1A_T6_T7_T9_mT8_S1C_bDpT10_ENKUlT_T0_E_clISt17integral_constantIbLb1EES1P_EEDaS1K_S1L_EUlS1K_E_NS1_11comp_targetILNS1_3genE9ELNS1_11target_archE1100ELNS1_3gpuE3ELNS1_3repE0EEENS1_30default_config_static_selectorELNS0_4arch9wavefront6targetE1EEEvSY_,@function
_ZN7rocprim17ROCPRIM_400000_NS6detail17trampoline_kernelINS0_13select_configILj256ELj13ELNS0_17block_load_methodE3ELS4_3ELS4_3ELNS0_20block_scan_algorithmE0ELj4294967295EEENS1_25partition_config_selectorILNS1_17partition_subalgoE3EjNS0_10empty_typeEbEEZZNS1_14partition_implILS8_3ELb0ES6_jNS0_17counting_iteratorIjlEEPS9_SE_NS0_5tupleIJPjSE_EEENSF_IJSE_SE_EEES9_SG_JZNS1_25segmented_radix_sort_implINS0_14default_configELb0EPKdPdPKlPlN2at6native12_GLOBAL__N_18offset_tEEE10hipError_tPvRmT1_PNSt15iterator_traitsISY_E10value_typeET2_T3_PNSZ_IS14_E10value_typeET4_jRbjT5_S1A_jjP12ihipStream_tbEUljE_EEESV_SW_SX_S14_S18_S1A_T6_T7_T9_mT8_S1C_bDpT10_ENKUlT_T0_E_clISt17integral_constantIbLb1EES1P_EEDaS1K_S1L_EUlS1K_E_NS1_11comp_targetILNS1_3genE9ELNS1_11target_archE1100ELNS1_3gpuE3ELNS1_3repE0EEENS1_30default_config_static_selectorELNS0_4arch9wavefront6targetE1EEEvSY_: ; @_ZN7rocprim17ROCPRIM_400000_NS6detail17trampoline_kernelINS0_13select_configILj256ELj13ELNS0_17block_load_methodE3ELS4_3ELS4_3ELNS0_20block_scan_algorithmE0ELj4294967295EEENS1_25partition_config_selectorILNS1_17partition_subalgoE3EjNS0_10empty_typeEbEEZZNS1_14partition_implILS8_3ELb0ES6_jNS0_17counting_iteratorIjlEEPS9_SE_NS0_5tupleIJPjSE_EEENSF_IJSE_SE_EEES9_SG_JZNS1_25segmented_radix_sort_implINS0_14default_configELb0EPKdPdPKlPlN2at6native12_GLOBAL__N_18offset_tEEE10hipError_tPvRmT1_PNSt15iterator_traitsISY_E10value_typeET2_T3_PNSZ_IS14_E10value_typeET4_jRbjT5_S1A_jjP12ihipStream_tbEUljE_EEESV_SW_SX_S14_S18_S1A_T6_T7_T9_mT8_S1C_bDpT10_ENKUlT_T0_E_clISt17integral_constantIbLb1EES1P_EEDaS1K_S1L_EUlS1K_E_NS1_11comp_targetILNS1_3genE9ELNS1_11target_archE1100ELNS1_3gpuE3ELNS1_3repE0EEENS1_30default_config_static_selectorELNS0_4arch9wavefront6targetE1EEEvSY_
; %bb.0:
	.section	.rodata,"a",@progbits
	.p2align	6, 0x0
	.amdhsa_kernel _ZN7rocprim17ROCPRIM_400000_NS6detail17trampoline_kernelINS0_13select_configILj256ELj13ELNS0_17block_load_methodE3ELS4_3ELS4_3ELNS0_20block_scan_algorithmE0ELj4294967295EEENS1_25partition_config_selectorILNS1_17partition_subalgoE3EjNS0_10empty_typeEbEEZZNS1_14partition_implILS8_3ELb0ES6_jNS0_17counting_iteratorIjlEEPS9_SE_NS0_5tupleIJPjSE_EEENSF_IJSE_SE_EEES9_SG_JZNS1_25segmented_radix_sort_implINS0_14default_configELb0EPKdPdPKlPlN2at6native12_GLOBAL__N_18offset_tEEE10hipError_tPvRmT1_PNSt15iterator_traitsISY_E10value_typeET2_T3_PNSZ_IS14_E10value_typeET4_jRbjT5_S1A_jjP12ihipStream_tbEUljE_EEESV_SW_SX_S14_S18_S1A_T6_T7_T9_mT8_S1C_bDpT10_ENKUlT_T0_E_clISt17integral_constantIbLb1EES1P_EEDaS1K_S1L_EUlS1K_E_NS1_11comp_targetILNS1_3genE9ELNS1_11target_archE1100ELNS1_3gpuE3ELNS1_3repE0EEENS1_30default_config_static_selectorELNS0_4arch9wavefront6targetE1EEEvSY_
		.amdhsa_group_segment_fixed_size 0
		.amdhsa_private_segment_fixed_size 0
		.amdhsa_kernarg_size 152
		.amdhsa_user_sgpr_count 6
		.amdhsa_user_sgpr_private_segment_buffer 1
		.amdhsa_user_sgpr_dispatch_ptr 0
		.amdhsa_user_sgpr_queue_ptr 0
		.amdhsa_user_sgpr_kernarg_segment_ptr 1
		.amdhsa_user_sgpr_dispatch_id 0
		.amdhsa_user_sgpr_flat_scratch_init 0
		.amdhsa_user_sgpr_kernarg_preload_length 0
		.amdhsa_user_sgpr_kernarg_preload_offset 0
		.amdhsa_user_sgpr_private_segment_size 0
		.amdhsa_uses_dynamic_stack 0
		.amdhsa_system_sgpr_private_segment_wavefront_offset 0
		.amdhsa_system_sgpr_workgroup_id_x 1
		.amdhsa_system_sgpr_workgroup_id_y 0
		.amdhsa_system_sgpr_workgroup_id_z 0
		.amdhsa_system_sgpr_workgroup_info 0
		.amdhsa_system_vgpr_workitem_id 0
		.amdhsa_next_free_vgpr 1
		.amdhsa_next_free_sgpr 0
		.amdhsa_accum_offset 4
		.amdhsa_reserve_vcc 0
		.amdhsa_reserve_flat_scratch 0
		.amdhsa_float_round_mode_32 0
		.amdhsa_float_round_mode_16_64 0
		.amdhsa_float_denorm_mode_32 3
		.amdhsa_float_denorm_mode_16_64 3
		.amdhsa_dx10_clamp 1
		.amdhsa_ieee_mode 1
		.amdhsa_fp16_overflow 0
		.amdhsa_tg_split 0
		.amdhsa_exception_fp_ieee_invalid_op 0
		.amdhsa_exception_fp_denorm_src 0
		.amdhsa_exception_fp_ieee_div_zero 0
		.amdhsa_exception_fp_ieee_overflow 0
		.amdhsa_exception_fp_ieee_underflow 0
		.amdhsa_exception_fp_ieee_inexact 0
		.amdhsa_exception_int_div_zero 0
	.end_amdhsa_kernel
	.section	.text._ZN7rocprim17ROCPRIM_400000_NS6detail17trampoline_kernelINS0_13select_configILj256ELj13ELNS0_17block_load_methodE3ELS4_3ELS4_3ELNS0_20block_scan_algorithmE0ELj4294967295EEENS1_25partition_config_selectorILNS1_17partition_subalgoE3EjNS0_10empty_typeEbEEZZNS1_14partition_implILS8_3ELb0ES6_jNS0_17counting_iteratorIjlEEPS9_SE_NS0_5tupleIJPjSE_EEENSF_IJSE_SE_EEES9_SG_JZNS1_25segmented_radix_sort_implINS0_14default_configELb0EPKdPdPKlPlN2at6native12_GLOBAL__N_18offset_tEEE10hipError_tPvRmT1_PNSt15iterator_traitsISY_E10value_typeET2_T3_PNSZ_IS14_E10value_typeET4_jRbjT5_S1A_jjP12ihipStream_tbEUljE_EEESV_SW_SX_S14_S18_S1A_T6_T7_T9_mT8_S1C_bDpT10_ENKUlT_T0_E_clISt17integral_constantIbLb1EES1P_EEDaS1K_S1L_EUlS1K_E_NS1_11comp_targetILNS1_3genE9ELNS1_11target_archE1100ELNS1_3gpuE3ELNS1_3repE0EEENS1_30default_config_static_selectorELNS0_4arch9wavefront6targetE1EEEvSY_,"axG",@progbits,_ZN7rocprim17ROCPRIM_400000_NS6detail17trampoline_kernelINS0_13select_configILj256ELj13ELNS0_17block_load_methodE3ELS4_3ELS4_3ELNS0_20block_scan_algorithmE0ELj4294967295EEENS1_25partition_config_selectorILNS1_17partition_subalgoE3EjNS0_10empty_typeEbEEZZNS1_14partition_implILS8_3ELb0ES6_jNS0_17counting_iteratorIjlEEPS9_SE_NS0_5tupleIJPjSE_EEENSF_IJSE_SE_EEES9_SG_JZNS1_25segmented_radix_sort_implINS0_14default_configELb0EPKdPdPKlPlN2at6native12_GLOBAL__N_18offset_tEEE10hipError_tPvRmT1_PNSt15iterator_traitsISY_E10value_typeET2_T3_PNSZ_IS14_E10value_typeET4_jRbjT5_S1A_jjP12ihipStream_tbEUljE_EEESV_SW_SX_S14_S18_S1A_T6_T7_T9_mT8_S1C_bDpT10_ENKUlT_T0_E_clISt17integral_constantIbLb1EES1P_EEDaS1K_S1L_EUlS1K_E_NS1_11comp_targetILNS1_3genE9ELNS1_11target_archE1100ELNS1_3gpuE3ELNS1_3repE0EEENS1_30default_config_static_selectorELNS0_4arch9wavefront6targetE1EEEvSY_,comdat
.Lfunc_end1201:
	.size	_ZN7rocprim17ROCPRIM_400000_NS6detail17trampoline_kernelINS0_13select_configILj256ELj13ELNS0_17block_load_methodE3ELS4_3ELS4_3ELNS0_20block_scan_algorithmE0ELj4294967295EEENS1_25partition_config_selectorILNS1_17partition_subalgoE3EjNS0_10empty_typeEbEEZZNS1_14partition_implILS8_3ELb0ES6_jNS0_17counting_iteratorIjlEEPS9_SE_NS0_5tupleIJPjSE_EEENSF_IJSE_SE_EEES9_SG_JZNS1_25segmented_radix_sort_implINS0_14default_configELb0EPKdPdPKlPlN2at6native12_GLOBAL__N_18offset_tEEE10hipError_tPvRmT1_PNSt15iterator_traitsISY_E10value_typeET2_T3_PNSZ_IS14_E10value_typeET4_jRbjT5_S1A_jjP12ihipStream_tbEUljE_EEESV_SW_SX_S14_S18_S1A_T6_T7_T9_mT8_S1C_bDpT10_ENKUlT_T0_E_clISt17integral_constantIbLb1EES1P_EEDaS1K_S1L_EUlS1K_E_NS1_11comp_targetILNS1_3genE9ELNS1_11target_archE1100ELNS1_3gpuE3ELNS1_3repE0EEENS1_30default_config_static_selectorELNS0_4arch9wavefront6targetE1EEEvSY_, .Lfunc_end1201-_ZN7rocprim17ROCPRIM_400000_NS6detail17trampoline_kernelINS0_13select_configILj256ELj13ELNS0_17block_load_methodE3ELS4_3ELS4_3ELNS0_20block_scan_algorithmE0ELj4294967295EEENS1_25partition_config_selectorILNS1_17partition_subalgoE3EjNS0_10empty_typeEbEEZZNS1_14partition_implILS8_3ELb0ES6_jNS0_17counting_iteratorIjlEEPS9_SE_NS0_5tupleIJPjSE_EEENSF_IJSE_SE_EEES9_SG_JZNS1_25segmented_radix_sort_implINS0_14default_configELb0EPKdPdPKlPlN2at6native12_GLOBAL__N_18offset_tEEE10hipError_tPvRmT1_PNSt15iterator_traitsISY_E10value_typeET2_T3_PNSZ_IS14_E10value_typeET4_jRbjT5_S1A_jjP12ihipStream_tbEUljE_EEESV_SW_SX_S14_S18_S1A_T6_T7_T9_mT8_S1C_bDpT10_ENKUlT_T0_E_clISt17integral_constantIbLb1EES1P_EEDaS1K_S1L_EUlS1K_E_NS1_11comp_targetILNS1_3genE9ELNS1_11target_archE1100ELNS1_3gpuE3ELNS1_3repE0EEENS1_30default_config_static_selectorELNS0_4arch9wavefront6targetE1EEEvSY_
                                        ; -- End function
	.section	.AMDGPU.csdata,"",@progbits
; Kernel info:
; codeLenInByte = 0
; NumSgprs: 4
; NumVgprs: 0
; NumAgprs: 0
; TotalNumVgprs: 0
; ScratchSize: 0
; MemoryBound: 0
; FloatMode: 240
; IeeeMode: 1
; LDSByteSize: 0 bytes/workgroup (compile time only)
; SGPRBlocks: 0
; VGPRBlocks: 0
; NumSGPRsForWavesPerEU: 4
; NumVGPRsForWavesPerEU: 1
; AccumOffset: 4
; Occupancy: 8
; WaveLimiterHint : 0
; COMPUTE_PGM_RSRC2:SCRATCH_EN: 0
; COMPUTE_PGM_RSRC2:USER_SGPR: 6
; COMPUTE_PGM_RSRC2:TRAP_HANDLER: 0
; COMPUTE_PGM_RSRC2:TGID_X_EN: 1
; COMPUTE_PGM_RSRC2:TGID_Y_EN: 0
; COMPUTE_PGM_RSRC2:TGID_Z_EN: 0
; COMPUTE_PGM_RSRC2:TIDIG_COMP_CNT: 0
; COMPUTE_PGM_RSRC3_GFX90A:ACCUM_OFFSET: 0
; COMPUTE_PGM_RSRC3_GFX90A:TG_SPLIT: 0
	.section	.text._ZN7rocprim17ROCPRIM_400000_NS6detail17trampoline_kernelINS0_13select_configILj256ELj13ELNS0_17block_load_methodE3ELS4_3ELS4_3ELNS0_20block_scan_algorithmE0ELj4294967295EEENS1_25partition_config_selectorILNS1_17partition_subalgoE3EjNS0_10empty_typeEbEEZZNS1_14partition_implILS8_3ELb0ES6_jNS0_17counting_iteratorIjlEEPS9_SE_NS0_5tupleIJPjSE_EEENSF_IJSE_SE_EEES9_SG_JZNS1_25segmented_radix_sort_implINS0_14default_configELb0EPKdPdPKlPlN2at6native12_GLOBAL__N_18offset_tEEE10hipError_tPvRmT1_PNSt15iterator_traitsISY_E10value_typeET2_T3_PNSZ_IS14_E10value_typeET4_jRbjT5_S1A_jjP12ihipStream_tbEUljE_EEESV_SW_SX_S14_S18_S1A_T6_T7_T9_mT8_S1C_bDpT10_ENKUlT_T0_E_clISt17integral_constantIbLb1EES1P_EEDaS1K_S1L_EUlS1K_E_NS1_11comp_targetILNS1_3genE8ELNS1_11target_archE1030ELNS1_3gpuE2ELNS1_3repE0EEENS1_30default_config_static_selectorELNS0_4arch9wavefront6targetE1EEEvSY_,"axG",@progbits,_ZN7rocprim17ROCPRIM_400000_NS6detail17trampoline_kernelINS0_13select_configILj256ELj13ELNS0_17block_load_methodE3ELS4_3ELS4_3ELNS0_20block_scan_algorithmE0ELj4294967295EEENS1_25partition_config_selectorILNS1_17partition_subalgoE3EjNS0_10empty_typeEbEEZZNS1_14partition_implILS8_3ELb0ES6_jNS0_17counting_iteratorIjlEEPS9_SE_NS0_5tupleIJPjSE_EEENSF_IJSE_SE_EEES9_SG_JZNS1_25segmented_radix_sort_implINS0_14default_configELb0EPKdPdPKlPlN2at6native12_GLOBAL__N_18offset_tEEE10hipError_tPvRmT1_PNSt15iterator_traitsISY_E10value_typeET2_T3_PNSZ_IS14_E10value_typeET4_jRbjT5_S1A_jjP12ihipStream_tbEUljE_EEESV_SW_SX_S14_S18_S1A_T6_T7_T9_mT8_S1C_bDpT10_ENKUlT_T0_E_clISt17integral_constantIbLb1EES1P_EEDaS1K_S1L_EUlS1K_E_NS1_11comp_targetILNS1_3genE8ELNS1_11target_archE1030ELNS1_3gpuE2ELNS1_3repE0EEENS1_30default_config_static_selectorELNS0_4arch9wavefront6targetE1EEEvSY_,comdat
	.globl	_ZN7rocprim17ROCPRIM_400000_NS6detail17trampoline_kernelINS0_13select_configILj256ELj13ELNS0_17block_load_methodE3ELS4_3ELS4_3ELNS0_20block_scan_algorithmE0ELj4294967295EEENS1_25partition_config_selectorILNS1_17partition_subalgoE3EjNS0_10empty_typeEbEEZZNS1_14partition_implILS8_3ELb0ES6_jNS0_17counting_iteratorIjlEEPS9_SE_NS0_5tupleIJPjSE_EEENSF_IJSE_SE_EEES9_SG_JZNS1_25segmented_radix_sort_implINS0_14default_configELb0EPKdPdPKlPlN2at6native12_GLOBAL__N_18offset_tEEE10hipError_tPvRmT1_PNSt15iterator_traitsISY_E10value_typeET2_T3_PNSZ_IS14_E10value_typeET4_jRbjT5_S1A_jjP12ihipStream_tbEUljE_EEESV_SW_SX_S14_S18_S1A_T6_T7_T9_mT8_S1C_bDpT10_ENKUlT_T0_E_clISt17integral_constantIbLb1EES1P_EEDaS1K_S1L_EUlS1K_E_NS1_11comp_targetILNS1_3genE8ELNS1_11target_archE1030ELNS1_3gpuE2ELNS1_3repE0EEENS1_30default_config_static_selectorELNS0_4arch9wavefront6targetE1EEEvSY_ ; -- Begin function _ZN7rocprim17ROCPRIM_400000_NS6detail17trampoline_kernelINS0_13select_configILj256ELj13ELNS0_17block_load_methodE3ELS4_3ELS4_3ELNS0_20block_scan_algorithmE0ELj4294967295EEENS1_25partition_config_selectorILNS1_17partition_subalgoE3EjNS0_10empty_typeEbEEZZNS1_14partition_implILS8_3ELb0ES6_jNS0_17counting_iteratorIjlEEPS9_SE_NS0_5tupleIJPjSE_EEENSF_IJSE_SE_EEES9_SG_JZNS1_25segmented_radix_sort_implINS0_14default_configELb0EPKdPdPKlPlN2at6native12_GLOBAL__N_18offset_tEEE10hipError_tPvRmT1_PNSt15iterator_traitsISY_E10value_typeET2_T3_PNSZ_IS14_E10value_typeET4_jRbjT5_S1A_jjP12ihipStream_tbEUljE_EEESV_SW_SX_S14_S18_S1A_T6_T7_T9_mT8_S1C_bDpT10_ENKUlT_T0_E_clISt17integral_constantIbLb1EES1P_EEDaS1K_S1L_EUlS1K_E_NS1_11comp_targetILNS1_3genE8ELNS1_11target_archE1030ELNS1_3gpuE2ELNS1_3repE0EEENS1_30default_config_static_selectorELNS0_4arch9wavefront6targetE1EEEvSY_
	.p2align	8
	.type	_ZN7rocprim17ROCPRIM_400000_NS6detail17trampoline_kernelINS0_13select_configILj256ELj13ELNS0_17block_load_methodE3ELS4_3ELS4_3ELNS0_20block_scan_algorithmE0ELj4294967295EEENS1_25partition_config_selectorILNS1_17partition_subalgoE3EjNS0_10empty_typeEbEEZZNS1_14partition_implILS8_3ELb0ES6_jNS0_17counting_iteratorIjlEEPS9_SE_NS0_5tupleIJPjSE_EEENSF_IJSE_SE_EEES9_SG_JZNS1_25segmented_radix_sort_implINS0_14default_configELb0EPKdPdPKlPlN2at6native12_GLOBAL__N_18offset_tEEE10hipError_tPvRmT1_PNSt15iterator_traitsISY_E10value_typeET2_T3_PNSZ_IS14_E10value_typeET4_jRbjT5_S1A_jjP12ihipStream_tbEUljE_EEESV_SW_SX_S14_S18_S1A_T6_T7_T9_mT8_S1C_bDpT10_ENKUlT_T0_E_clISt17integral_constantIbLb1EES1P_EEDaS1K_S1L_EUlS1K_E_NS1_11comp_targetILNS1_3genE8ELNS1_11target_archE1030ELNS1_3gpuE2ELNS1_3repE0EEENS1_30default_config_static_selectorELNS0_4arch9wavefront6targetE1EEEvSY_,@function
_ZN7rocprim17ROCPRIM_400000_NS6detail17trampoline_kernelINS0_13select_configILj256ELj13ELNS0_17block_load_methodE3ELS4_3ELS4_3ELNS0_20block_scan_algorithmE0ELj4294967295EEENS1_25partition_config_selectorILNS1_17partition_subalgoE3EjNS0_10empty_typeEbEEZZNS1_14partition_implILS8_3ELb0ES6_jNS0_17counting_iteratorIjlEEPS9_SE_NS0_5tupleIJPjSE_EEENSF_IJSE_SE_EEES9_SG_JZNS1_25segmented_radix_sort_implINS0_14default_configELb0EPKdPdPKlPlN2at6native12_GLOBAL__N_18offset_tEEE10hipError_tPvRmT1_PNSt15iterator_traitsISY_E10value_typeET2_T3_PNSZ_IS14_E10value_typeET4_jRbjT5_S1A_jjP12ihipStream_tbEUljE_EEESV_SW_SX_S14_S18_S1A_T6_T7_T9_mT8_S1C_bDpT10_ENKUlT_T0_E_clISt17integral_constantIbLb1EES1P_EEDaS1K_S1L_EUlS1K_E_NS1_11comp_targetILNS1_3genE8ELNS1_11target_archE1030ELNS1_3gpuE2ELNS1_3repE0EEENS1_30default_config_static_selectorELNS0_4arch9wavefront6targetE1EEEvSY_: ; @_ZN7rocprim17ROCPRIM_400000_NS6detail17trampoline_kernelINS0_13select_configILj256ELj13ELNS0_17block_load_methodE3ELS4_3ELS4_3ELNS0_20block_scan_algorithmE0ELj4294967295EEENS1_25partition_config_selectorILNS1_17partition_subalgoE3EjNS0_10empty_typeEbEEZZNS1_14partition_implILS8_3ELb0ES6_jNS0_17counting_iteratorIjlEEPS9_SE_NS0_5tupleIJPjSE_EEENSF_IJSE_SE_EEES9_SG_JZNS1_25segmented_radix_sort_implINS0_14default_configELb0EPKdPdPKlPlN2at6native12_GLOBAL__N_18offset_tEEE10hipError_tPvRmT1_PNSt15iterator_traitsISY_E10value_typeET2_T3_PNSZ_IS14_E10value_typeET4_jRbjT5_S1A_jjP12ihipStream_tbEUljE_EEESV_SW_SX_S14_S18_S1A_T6_T7_T9_mT8_S1C_bDpT10_ENKUlT_T0_E_clISt17integral_constantIbLb1EES1P_EEDaS1K_S1L_EUlS1K_E_NS1_11comp_targetILNS1_3genE8ELNS1_11target_archE1030ELNS1_3gpuE2ELNS1_3repE0EEENS1_30default_config_static_selectorELNS0_4arch9wavefront6targetE1EEEvSY_
; %bb.0:
	.section	.rodata,"a",@progbits
	.p2align	6, 0x0
	.amdhsa_kernel _ZN7rocprim17ROCPRIM_400000_NS6detail17trampoline_kernelINS0_13select_configILj256ELj13ELNS0_17block_load_methodE3ELS4_3ELS4_3ELNS0_20block_scan_algorithmE0ELj4294967295EEENS1_25partition_config_selectorILNS1_17partition_subalgoE3EjNS0_10empty_typeEbEEZZNS1_14partition_implILS8_3ELb0ES6_jNS0_17counting_iteratorIjlEEPS9_SE_NS0_5tupleIJPjSE_EEENSF_IJSE_SE_EEES9_SG_JZNS1_25segmented_radix_sort_implINS0_14default_configELb0EPKdPdPKlPlN2at6native12_GLOBAL__N_18offset_tEEE10hipError_tPvRmT1_PNSt15iterator_traitsISY_E10value_typeET2_T3_PNSZ_IS14_E10value_typeET4_jRbjT5_S1A_jjP12ihipStream_tbEUljE_EEESV_SW_SX_S14_S18_S1A_T6_T7_T9_mT8_S1C_bDpT10_ENKUlT_T0_E_clISt17integral_constantIbLb1EES1P_EEDaS1K_S1L_EUlS1K_E_NS1_11comp_targetILNS1_3genE8ELNS1_11target_archE1030ELNS1_3gpuE2ELNS1_3repE0EEENS1_30default_config_static_selectorELNS0_4arch9wavefront6targetE1EEEvSY_
		.amdhsa_group_segment_fixed_size 0
		.amdhsa_private_segment_fixed_size 0
		.amdhsa_kernarg_size 152
		.amdhsa_user_sgpr_count 6
		.amdhsa_user_sgpr_private_segment_buffer 1
		.amdhsa_user_sgpr_dispatch_ptr 0
		.amdhsa_user_sgpr_queue_ptr 0
		.amdhsa_user_sgpr_kernarg_segment_ptr 1
		.amdhsa_user_sgpr_dispatch_id 0
		.amdhsa_user_sgpr_flat_scratch_init 0
		.amdhsa_user_sgpr_kernarg_preload_length 0
		.amdhsa_user_sgpr_kernarg_preload_offset 0
		.amdhsa_user_sgpr_private_segment_size 0
		.amdhsa_uses_dynamic_stack 0
		.amdhsa_system_sgpr_private_segment_wavefront_offset 0
		.amdhsa_system_sgpr_workgroup_id_x 1
		.amdhsa_system_sgpr_workgroup_id_y 0
		.amdhsa_system_sgpr_workgroup_id_z 0
		.amdhsa_system_sgpr_workgroup_info 0
		.amdhsa_system_vgpr_workitem_id 0
		.amdhsa_next_free_vgpr 1
		.amdhsa_next_free_sgpr 0
		.amdhsa_accum_offset 4
		.amdhsa_reserve_vcc 0
		.amdhsa_reserve_flat_scratch 0
		.amdhsa_float_round_mode_32 0
		.amdhsa_float_round_mode_16_64 0
		.amdhsa_float_denorm_mode_32 3
		.amdhsa_float_denorm_mode_16_64 3
		.amdhsa_dx10_clamp 1
		.amdhsa_ieee_mode 1
		.amdhsa_fp16_overflow 0
		.amdhsa_tg_split 0
		.amdhsa_exception_fp_ieee_invalid_op 0
		.amdhsa_exception_fp_denorm_src 0
		.amdhsa_exception_fp_ieee_div_zero 0
		.amdhsa_exception_fp_ieee_overflow 0
		.amdhsa_exception_fp_ieee_underflow 0
		.amdhsa_exception_fp_ieee_inexact 0
		.amdhsa_exception_int_div_zero 0
	.end_amdhsa_kernel
	.section	.text._ZN7rocprim17ROCPRIM_400000_NS6detail17trampoline_kernelINS0_13select_configILj256ELj13ELNS0_17block_load_methodE3ELS4_3ELS4_3ELNS0_20block_scan_algorithmE0ELj4294967295EEENS1_25partition_config_selectorILNS1_17partition_subalgoE3EjNS0_10empty_typeEbEEZZNS1_14partition_implILS8_3ELb0ES6_jNS0_17counting_iteratorIjlEEPS9_SE_NS0_5tupleIJPjSE_EEENSF_IJSE_SE_EEES9_SG_JZNS1_25segmented_radix_sort_implINS0_14default_configELb0EPKdPdPKlPlN2at6native12_GLOBAL__N_18offset_tEEE10hipError_tPvRmT1_PNSt15iterator_traitsISY_E10value_typeET2_T3_PNSZ_IS14_E10value_typeET4_jRbjT5_S1A_jjP12ihipStream_tbEUljE_EEESV_SW_SX_S14_S18_S1A_T6_T7_T9_mT8_S1C_bDpT10_ENKUlT_T0_E_clISt17integral_constantIbLb1EES1P_EEDaS1K_S1L_EUlS1K_E_NS1_11comp_targetILNS1_3genE8ELNS1_11target_archE1030ELNS1_3gpuE2ELNS1_3repE0EEENS1_30default_config_static_selectorELNS0_4arch9wavefront6targetE1EEEvSY_,"axG",@progbits,_ZN7rocprim17ROCPRIM_400000_NS6detail17trampoline_kernelINS0_13select_configILj256ELj13ELNS0_17block_load_methodE3ELS4_3ELS4_3ELNS0_20block_scan_algorithmE0ELj4294967295EEENS1_25partition_config_selectorILNS1_17partition_subalgoE3EjNS0_10empty_typeEbEEZZNS1_14partition_implILS8_3ELb0ES6_jNS0_17counting_iteratorIjlEEPS9_SE_NS0_5tupleIJPjSE_EEENSF_IJSE_SE_EEES9_SG_JZNS1_25segmented_radix_sort_implINS0_14default_configELb0EPKdPdPKlPlN2at6native12_GLOBAL__N_18offset_tEEE10hipError_tPvRmT1_PNSt15iterator_traitsISY_E10value_typeET2_T3_PNSZ_IS14_E10value_typeET4_jRbjT5_S1A_jjP12ihipStream_tbEUljE_EEESV_SW_SX_S14_S18_S1A_T6_T7_T9_mT8_S1C_bDpT10_ENKUlT_T0_E_clISt17integral_constantIbLb1EES1P_EEDaS1K_S1L_EUlS1K_E_NS1_11comp_targetILNS1_3genE8ELNS1_11target_archE1030ELNS1_3gpuE2ELNS1_3repE0EEENS1_30default_config_static_selectorELNS0_4arch9wavefront6targetE1EEEvSY_,comdat
.Lfunc_end1202:
	.size	_ZN7rocprim17ROCPRIM_400000_NS6detail17trampoline_kernelINS0_13select_configILj256ELj13ELNS0_17block_load_methodE3ELS4_3ELS4_3ELNS0_20block_scan_algorithmE0ELj4294967295EEENS1_25partition_config_selectorILNS1_17partition_subalgoE3EjNS0_10empty_typeEbEEZZNS1_14partition_implILS8_3ELb0ES6_jNS0_17counting_iteratorIjlEEPS9_SE_NS0_5tupleIJPjSE_EEENSF_IJSE_SE_EEES9_SG_JZNS1_25segmented_radix_sort_implINS0_14default_configELb0EPKdPdPKlPlN2at6native12_GLOBAL__N_18offset_tEEE10hipError_tPvRmT1_PNSt15iterator_traitsISY_E10value_typeET2_T3_PNSZ_IS14_E10value_typeET4_jRbjT5_S1A_jjP12ihipStream_tbEUljE_EEESV_SW_SX_S14_S18_S1A_T6_T7_T9_mT8_S1C_bDpT10_ENKUlT_T0_E_clISt17integral_constantIbLb1EES1P_EEDaS1K_S1L_EUlS1K_E_NS1_11comp_targetILNS1_3genE8ELNS1_11target_archE1030ELNS1_3gpuE2ELNS1_3repE0EEENS1_30default_config_static_selectorELNS0_4arch9wavefront6targetE1EEEvSY_, .Lfunc_end1202-_ZN7rocprim17ROCPRIM_400000_NS6detail17trampoline_kernelINS0_13select_configILj256ELj13ELNS0_17block_load_methodE3ELS4_3ELS4_3ELNS0_20block_scan_algorithmE0ELj4294967295EEENS1_25partition_config_selectorILNS1_17partition_subalgoE3EjNS0_10empty_typeEbEEZZNS1_14partition_implILS8_3ELb0ES6_jNS0_17counting_iteratorIjlEEPS9_SE_NS0_5tupleIJPjSE_EEENSF_IJSE_SE_EEES9_SG_JZNS1_25segmented_radix_sort_implINS0_14default_configELb0EPKdPdPKlPlN2at6native12_GLOBAL__N_18offset_tEEE10hipError_tPvRmT1_PNSt15iterator_traitsISY_E10value_typeET2_T3_PNSZ_IS14_E10value_typeET4_jRbjT5_S1A_jjP12ihipStream_tbEUljE_EEESV_SW_SX_S14_S18_S1A_T6_T7_T9_mT8_S1C_bDpT10_ENKUlT_T0_E_clISt17integral_constantIbLb1EES1P_EEDaS1K_S1L_EUlS1K_E_NS1_11comp_targetILNS1_3genE8ELNS1_11target_archE1030ELNS1_3gpuE2ELNS1_3repE0EEENS1_30default_config_static_selectorELNS0_4arch9wavefront6targetE1EEEvSY_
                                        ; -- End function
	.section	.AMDGPU.csdata,"",@progbits
; Kernel info:
; codeLenInByte = 0
; NumSgprs: 4
; NumVgprs: 0
; NumAgprs: 0
; TotalNumVgprs: 0
; ScratchSize: 0
; MemoryBound: 0
; FloatMode: 240
; IeeeMode: 1
; LDSByteSize: 0 bytes/workgroup (compile time only)
; SGPRBlocks: 0
; VGPRBlocks: 0
; NumSGPRsForWavesPerEU: 4
; NumVGPRsForWavesPerEU: 1
; AccumOffset: 4
; Occupancy: 8
; WaveLimiterHint : 0
; COMPUTE_PGM_RSRC2:SCRATCH_EN: 0
; COMPUTE_PGM_RSRC2:USER_SGPR: 6
; COMPUTE_PGM_RSRC2:TRAP_HANDLER: 0
; COMPUTE_PGM_RSRC2:TGID_X_EN: 1
; COMPUTE_PGM_RSRC2:TGID_Y_EN: 0
; COMPUTE_PGM_RSRC2:TGID_Z_EN: 0
; COMPUTE_PGM_RSRC2:TIDIG_COMP_CNT: 0
; COMPUTE_PGM_RSRC3_GFX90A:ACCUM_OFFSET: 0
; COMPUTE_PGM_RSRC3_GFX90A:TG_SPLIT: 0
	.section	.text._ZN7rocprim17ROCPRIM_400000_NS6detail17trampoline_kernelINS0_13select_configILj256ELj13ELNS0_17block_load_methodE3ELS4_3ELS4_3ELNS0_20block_scan_algorithmE0ELj4294967295EEENS1_25partition_config_selectorILNS1_17partition_subalgoE3EjNS0_10empty_typeEbEEZZNS1_14partition_implILS8_3ELb0ES6_jNS0_17counting_iteratorIjlEEPS9_SE_NS0_5tupleIJPjSE_EEENSF_IJSE_SE_EEES9_SG_JZNS1_25segmented_radix_sort_implINS0_14default_configELb0EPKdPdPKlPlN2at6native12_GLOBAL__N_18offset_tEEE10hipError_tPvRmT1_PNSt15iterator_traitsISY_E10value_typeET2_T3_PNSZ_IS14_E10value_typeET4_jRbjT5_S1A_jjP12ihipStream_tbEUljE_EEESV_SW_SX_S14_S18_S1A_T6_T7_T9_mT8_S1C_bDpT10_ENKUlT_T0_E_clISt17integral_constantIbLb1EES1O_IbLb0EEEEDaS1K_S1L_EUlS1K_E_NS1_11comp_targetILNS1_3genE0ELNS1_11target_archE4294967295ELNS1_3gpuE0ELNS1_3repE0EEENS1_30default_config_static_selectorELNS0_4arch9wavefront6targetE1EEEvSY_,"axG",@progbits,_ZN7rocprim17ROCPRIM_400000_NS6detail17trampoline_kernelINS0_13select_configILj256ELj13ELNS0_17block_load_methodE3ELS4_3ELS4_3ELNS0_20block_scan_algorithmE0ELj4294967295EEENS1_25partition_config_selectorILNS1_17partition_subalgoE3EjNS0_10empty_typeEbEEZZNS1_14partition_implILS8_3ELb0ES6_jNS0_17counting_iteratorIjlEEPS9_SE_NS0_5tupleIJPjSE_EEENSF_IJSE_SE_EEES9_SG_JZNS1_25segmented_radix_sort_implINS0_14default_configELb0EPKdPdPKlPlN2at6native12_GLOBAL__N_18offset_tEEE10hipError_tPvRmT1_PNSt15iterator_traitsISY_E10value_typeET2_T3_PNSZ_IS14_E10value_typeET4_jRbjT5_S1A_jjP12ihipStream_tbEUljE_EEESV_SW_SX_S14_S18_S1A_T6_T7_T9_mT8_S1C_bDpT10_ENKUlT_T0_E_clISt17integral_constantIbLb1EES1O_IbLb0EEEEDaS1K_S1L_EUlS1K_E_NS1_11comp_targetILNS1_3genE0ELNS1_11target_archE4294967295ELNS1_3gpuE0ELNS1_3repE0EEENS1_30default_config_static_selectorELNS0_4arch9wavefront6targetE1EEEvSY_,comdat
	.globl	_ZN7rocprim17ROCPRIM_400000_NS6detail17trampoline_kernelINS0_13select_configILj256ELj13ELNS0_17block_load_methodE3ELS4_3ELS4_3ELNS0_20block_scan_algorithmE0ELj4294967295EEENS1_25partition_config_selectorILNS1_17partition_subalgoE3EjNS0_10empty_typeEbEEZZNS1_14partition_implILS8_3ELb0ES6_jNS0_17counting_iteratorIjlEEPS9_SE_NS0_5tupleIJPjSE_EEENSF_IJSE_SE_EEES9_SG_JZNS1_25segmented_radix_sort_implINS0_14default_configELb0EPKdPdPKlPlN2at6native12_GLOBAL__N_18offset_tEEE10hipError_tPvRmT1_PNSt15iterator_traitsISY_E10value_typeET2_T3_PNSZ_IS14_E10value_typeET4_jRbjT5_S1A_jjP12ihipStream_tbEUljE_EEESV_SW_SX_S14_S18_S1A_T6_T7_T9_mT8_S1C_bDpT10_ENKUlT_T0_E_clISt17integral_constantIbLb1EES1O_IbLb0EEEEDaS1K_S1L_EUlS1K_E_NS1_11comp_targetILNS1_3genE0ELNS1_11target_archE4294967295ELNS1_3gpuE0ELNS1_3repE0EEENS1_30default_config_static_selectorELNS0_4arch9wavefront6targetE1EEEvSY_ ; -- Begin function _ZN7rocprim17ROCPRIM_400000_NS6detail17trampoline_kernelINS0_13select_configILj256ELj13ELNS0_17block_load_methodE3ELS4_3ELS4_3ELNS0_20block_scan_algorithmE0ELj4294967295EEENS1_25partition_config_selectorILNS1_17partition_subalgoE3EjNS0_10empty_typeEbEEZZNS1_14partition_implILS8_3ELb0ES6_jNS0_17counting_iteratorIjlEEPS9_SE_NS0_5tupleIJPjSE_EEENSF_IJSE_SE_EEES9_SG_JZNS1_25segmented_radix_sort_implINS0_14default_configELb0EPKdPdPKlPlN2at6native12_GLOBAL__N_18offset_tEEE10hipError_tPvRmT1_PNSt15iterator_traitsISY_E10value_typeET2_T3_PNSZ_IS14_E10value_typeET4_jRbjT5_S1A_jjP12ihipStream_tbEUljE_EEESV_SW_SX_S14_S18_S1A_T6_T7_T9_mT8_S1C_bDpT10_ENKUlT_T0_E_clISt17integral_constantIbLb1EES1O_IbLb0EEEEDaS1K_S1L_EUlS1K_E_NS1_11comp_targetILNS1_3genE0ELNS1_11target_archE4294967295ELNS1_3gpuE0ELNS1_3repE0EEENS1_30default_config_static_selectorELNS0_4arch9wavefront6targetE1EEEvSY_
	.p2align	8
	.type	_ZN7rocprim17ROCPRIM_400000_NS6detail17trampoline_kernelINS0_13select_configILj256ELj13ELNS0_17block_load_methodE3ELS4_3ELS4_3ELNS0_20block_scan_algorithmE0ELj4294967295EEENS1_25partition_config_selectorILNS1_17partition_subalgoE3EjNS0_10empty_typeEbEEZZNS1_14partition_implILS8_3ELb0ES6_jNS0_17counting_iteratorIjlEEPS9_SE_NS0_5tupleIJPjSE_EEENSF_IJSE_SE_EEES9_SG_JZNS1_25segmented_radix_sort_implINS0_14default_configELb0EPKdPdPKlPlN2at6native12_GLOBAL__N_18offset_tEEE10hipError_tPvRmT1_PNSt15iterator_traitsISY_E10value_typeET2_T3_PNSZ_IS14_E10value_typeET4_jRbjT5_S1A_jjP12ihipStream_tbEUljE_EEESV_SW_SX_S14_S18_S1A_T6_T7_T9_mT8_S1C_bDpT10_ENKUlT_T0_E_clISt17integral_constantIbLb1EES1O_IbLb0EEEEDaS1K_S1L_EUlS1K_E_NS1_11comp_targetILNS1_3genE0ELNS1_11target_archE4294967295ELNS1_3gpuE0ELNS1_3repE0EEENS1_30default_config_static_selectorELNS0_4arch9wavefront6targetE1EEEvSY_,@function
_ZN7rocprim17ROCPRIM_400000_NS6detail17trampoline_kernelINS0_13select_configILj256ELj13ELNS0_17block_load_methodE3ELS4_3ELS4_3ELNS0_20block_scan_algorithmE0ELj4294967295EEENS1_25partition_config_selectorILNS1_17partition_subalgoE3EjNS0_10empty_typeEbEEZZNS1_14partition_implILS8_3ELb0ES6_jNS0_17counting_iteratorIjlEEPS9_SE_NS0_5tupleIJPjSE_EEENSF_IJSE_SE_EEES9_SG_JZNS1_25segmented_radix_sort_implINS0_14default_configELb0EPKdPdPKlPlN2at6native12_GLOBAL__N_18offset_tEEE10hipError_tPvRmT1_PNSt15iterator_traitsISY_E10value_typeET2_T3_PNSZ_IS14_E10value_typeET4_jRbjT5_S1A_jjP12ihipStream_tbEUljE_EEESV_SW_SX_S14_S18_S1A_T6_T7_T9_mT8_S1C_bDpT10_ENKUlT_T0_E_clISt17integral_constantIbLb1EES1O_IbLb0EEEEDaS1K_S1L_EUlS1K_E_NS1_11comp_targetILNS1_3genE0ELNS1_11target_archE4294967295ELNS1_3gpuE0ELNS1_3repE0EEENS1_30default_config_static_selectorELNS0_4arch9wavefront6targetE1EEEvSY_: ; @_ZN7rocprim17ROCPRIM_400000_NS6detail17trampoline_kernelINS0_13select_configILj256ELj13ELNS0_17block_load_methodE3ELS4_3ELS4_3ELNS0_20block_scan_algorithmE0ELj4294967295EEENS1_25partition_config_selectorILNS1_17partition_subalgoE3EjNS0_10empty_typeEbEEZZNS1_14partition_implILS8_3ELb0ES6_jNS0_17counting_iteratorIjlEEPS9_SE_NS0_5tupleIJPjSE_EEENSF_IJSE_SE_EEES9_SG_JZNS1_25segmented_radix_sort_implINS0_14default_configELb0EPKdPdPKlPlN2at6native12_GLOBAL__N_18offset_tEEE10hipError_tPvRmT1_PNSt15iterator_traitsISY_E10value_typeET2_T3_PNSZ_IS14_E10value_typeET4_jRbjT5_S1A_jjP12ihipStream_tbEUljE_EEESV_SW_SX_S14_S18_S1A_T6_T7_T9_mT8_S1C_bDpT10_ENKUlT_T0_E_clISt17integral_constantIbLb1EES1O_IbLb0EEEEDaS1K_S1L_EUlS1K_E_NS1_11comp_targetILNS1_3genE0ELNS1_11target_archE4294967295ELNS1_3gpuE0ELNS1_3repE0EEENS1_30default_config_static_selectorELNS0_4arch9wavefront6targetE1EEEvSY_
; %bb.0:
	.section	.rodata,"a",@progbits
	.p2align	6, 0x0
	.amdhsa_kernel _ZN7rocprim17ROCPRIM_400000_NS6detail17trampoline_kernelINS0_13select_configILj256ELj13ELNS0_17block_load_methodE3ELS4_3ELS4_3ELNS0_20block_scan_algorithmE0ELj4294967295EEENS1_25partition_config_selectorILNS1_17partition_subalgoE3EjNS0_10empty_typeEbEEZZNS1_14partition_implILS8_3ELb0ES6_jNS0_17counting_iteratorIjlEEPS9_SE_NS0_5tupleIJPjSE_EEENSF_IJSE_SE_EEES9_SG_JZNS1_25segmented_radix_sort_implINS0_14default_configELb0EPKdPdPKlPlN2at6native12_GLOBAL__N_18offset_tEEE10hipError_tPvRmT1_PNSt15iterator_traitsISY_E10value_typeET2_T3_PNSZ_IS14_E10value_typeET4_jRbjT5_S1A_jjP12ihipStream_tbEUljE_EEESV_SW_SX_S14_S18_S1A_T6_T7_T9_mT8_S1C_bDpT10_ENKUlT_T0_E_clISt17integral_constantIbLb1EES1O_IbLb0EEEEDaS1K_S1L_EUlS1K_E_NS1_11comp_targetILNS1_3genE0ELNS1_11target_archE4294967295ELNS1_3gpuE0ELNS1_3repE0EEENS1_30default_config_static_selectorELNS0_4arch9wavefront6targetE1EEEvSY_
		.amdhsa_group_segment_fixed_size 0
		.amdhsa_private_segment_fixed_size 0
		.amdhsa_kernarg_size 144
		.amdhsa_user_sgpr_count 6
		.amdhsa_user_sgpr_private_segment_buffer 1
		.amdhsa_user_sgpr_dispatch_ptr 0
		.amdhsa_user_sgpr_queue_ptr 0
		.amdhsa_user_sgpr_kernarg_segment_ptr 1
		.amdhsa_user_sgpr_dispatch_id 0
		.amdhsa_user_sgpr_flat_scratch_init 0
		.amdhsa_user_sgpr_kernarg_preload_length 0
		.amdhsa_user_sgpr_kernarg_preload_offset 0
		.amdhsa_user_sgpr_private_segment_size 0
		.amdhsa_uses_dynamic_stack 0
		.amdhsa_system_sgpr_private_segment_wavefront_offset 0
		.amdhsa_system_sgpr_workgroup_id_x 1
		.amdhsa_system_sgpr_workgroup_id_y 0
		.amdhsa_system_sgpr_workgroup_id_z 0
		.amdhsa_system_sgpr_workgroup_info 0
		.amdhsa_system_vgpr_workitem_id 0
		.amdhsa_next_free_vgpr 1
		.amdhsa_next_free_sgpr 0
		.amdhsa_accum_offset 4
		.amdhsa_reserve_vcc 0
		.amdhsa_reserve_flat_scratch 0
		.amdhsa_float_round_mode_32 0
		.amdhsa_float_round_mode_16_64 0
		.amdhsa_float_denorm_mode_32 3
		.amdhsa_float_denorm_mode_16_64 3
		.amdhsa_dx10_clamp 1
		.amdhsa_ieee_mode 1
		.amdhsa_fp16_overflow 0
		.amdhsa_tg_split 0
		.amdhsa_exception_fp_ieee_invalid_op 0
		.amdhsa_exception_fp_denorm_src 0
		.amdhsa_exception_fp_ieee_div_zero 0
		.amdhsa_exception_fp_ieee_overflow 0
		.amdhsa_exception_fp_ieee_underflow 0
		.amdhsa_exception_fp_ieee_inexact 0
		.amdhsa_exception_int_div_zero 0
	.end_amdhsa_kernel
	.section	.text._ZN7rocprim17ROCPRIM_400000_NS6detail17trampoline_kernelINS0_13select_configILj256ELj13ELNS0_17block_load_methodE3ELS4_3ELS4_3ELNS0_20block_scan_algorithmE0ELj4294967295EEENS1_25partition_config_selectorILNS1_17partition_subalgoE3EjNS0_10empty_typeEbEEZZNS1_14partition_implILS8_3ELb0ES6_jNS0_17counting_iteratorIjlEEPS9_SE_NS0_5tupleIJPjSE_EEENSF_IJSE_SE_EEES9_SG_JZNS1_25segmented_radix_sort_implINS0_14default_configELb0EPKdPdPKlPlN2at6native12_GLOBAL__N_18offset_tEEE10hipError_tPvRmT1_PNSt15iterator_traitsISY_E10value_typeET2_T3_PNSZ_IS14_E10value_typeET4_jRbjT5_S1A_jjP12ihipStream_tbEUljE_EEESV_SW_SX_S14_S18_S1A_T6_T7_T9_mT8_S1C_bDpT10_ENKUlT_T0_E_clISt17integral_constantIbLb1EES1O_IbLb0EEEEDaS1K_S1L_EUlS1K_E_NS1_11comp_targetILNS1_3genE0ELNS1_11target_archE4294967295ELNS1_3gpuE0ELNS1_3repE0EEENS1_30default_config_static_selectorELNS0_4arch9wavefront6targetE1EEEvSY_,"axG",@progbits,_ZN7rocprim17ROCPRIM_400000_NS6detail17trampoline_kernelINS0_13select_configILj256ELj13ELNS0_17block_load_methodE3ELS4_3ELS4_3ELNS0_20block_scan_algorithmE0ELj4294967295EEENS1_25partition_config_selectorILNS1_17partition_subalgoE3EjNS0_10empty_typeEbEEZZNS1_14partition_implILS8_3ELb0ES6_jNS0_17counting_iteratorIjlEEPS9_SE_NS0_5tupleIJPjSE_EEENSF_IJSE_SE_EEES9_SG_JZNS1_25segmented_radix_sort_implINS0_14default_configELb0EPKdPdPKlPlN2at6native12_GLOBAL__N_18offset_tEEE10hipError_tPvRmT1_PNSt15iterator_traitsISY_E10value_typeET2_T3_PNSZ_IS14_E10value_typeET4_jRbjT5_S1A_jjP12ihipStream_tbEUljE_EEESV_SW_SX_S14_S18_S1A_T6_T7_T9_mT8_S1C_bDpT10_ENKUlT_T0_E_clISt17integral_constantIbLb1EES1O_IbLb0EEEEDaS1K_S1L_EUlS1K_E_NS1_11comp_targetILNS1_3genE0ELNS1_11target_archE4294967295ELNS1_3gpuE0ELNS1_3repE0EEENS1_30default_config_static_selectorELNS0_4arch9wavefront6targetE1EEEvSY_,comdat
.Lfunc_end1203:
	.size	_ZN7rocprim17ROCPRIM_400000_NS6detail17trampoline_kernelINS0_13select_configILj256ELj13ELNS0_17block_load_methodE3ELS4_3ELS4_3ELNS0_20block_scan_algorithmE0ELj4294967295EEENS1_25partition_config_selectorILNS1_17partition_subalgoE3EjNS0_10empty_typeEbEEZZNS1_14partition_implILS8_3ELb0ES6_jNS0_17counting_iteratorIjlEEPS9_SE_NS0_5tupleIJPjSE_EEENSF_IJSE_SE_EEES9_SG_JZNS1_25segmented_radix_sort_implINS0_14default_configELb0EPKdPdPKlPlN2at6native12_GLOBAL__N_18offset_tEEE10hipError_tPvRmT1_PNSt15iterator_traitsISY_E10value_typeET2_T3_PNSZ_IS14_E10value_typeET4_jRbjT5_S1A_jjP12ihipStream_tbEUljE_EEESV_SW_SX_S14_S18_S1A_T6_T7_T9_mT8_S1C_bDpT10_ENKUlT_T0_E_clISt17integral_constantIbLb1EES1O_IbLb0EEEEDaS1K_S1L_EUlS1K_E_NS1_11comp_targetILNS1_3genE0ELNS1_11target_archE4294967295ELNS1_3gpuE0ELNS1_3repE0EEENS1_30default_config_static_selectorELNS0_4arch9wavefront6targetE1EEEvSY_, .Lfunc_end1203-_ZN7rocprim17ROCPRIM_400000_NS6detail17trampoline_kernelINS0_13select_configILj256ELj13ELNS0_17block_load_methodE3ELS4_3ELS4_3ELNS0_20block_scan_algorithmE0ELj4294967295EEENS1_25partition_config_selectorILNS1_17partition_subalgoE3EjNS0_10empty_typeEbEEZZNS1_14partition_implILS8_3ELb0ES6_jNS0_17counting_iteratorIjlEEPS9_SE_NS0_5tupleIJPjSE_EEENSF_IJSE_SE_EEES9_SG_JZNS1_25segmented_radix_sort_implINS0_14default_configELb0EPKdPdPKlPlN2at6native12_GLOBAL__N_18offset_tEEE10hipError_tPvRmT1_PNSt15iterator_traitsISY_E10value_typeET2_T3_PNSZ_IS14_E10value_typeET4_jRbjT5_S1A_jjP12ihipStream_tbEUljE_EEESV_SW_SX_S14_S18_S1A_T6_T7_T9_mT8_S1C_bDpT10_ENKUlT_T0_E_clISt17integral_constantIbLb1EES1O_IbLb0EEEEDaS1K_S1L_EUlS1K_E_NS1_11comp_targetILNS1_3genE0ELNS1_11target_archE4294967295ELNS1_3gpuE0ELNS1_3repE0EEENS1_30default_config_static_selectorELNS0_4arch9wavefront6targetE1EEEvSY_
                                        ; -- End function
	.section	.AMDGPU.csdata,"",@progbits
; Kernel info:
; codeLenInByte = 0
; NumSgprs: 4
; NumVgprs: 0
; NumAgprs: 0
; TotalNumVgprs: 0
; ScratchSize: 0
; MemoryBound: 0
; FloatMode: 240
; IeeeMode: 1
; LDSByteSize: 0 bytes/workgroup (compile time only)
; SGPRBlocks: 0
; VGPRBlocks: 0
; NumSGPRsForWavesPerEU: 4
; NumVGPRsForWavesPerEU: 1
; AccumOffset: 4
; Occupancy: 8
; WaveLimiterHint : 0
; COMPUTE_PGM_RSRC2:SCRATCH_EN: 0
; COMPUTE_PGM_RSRC2:USER_SGPR: 6
; COMPUTE_PGM_RSRC2:TRAP_HANDLER: 0
; COMPUTE_PGM_RSRC2:TGID_X_EN: 1
; COMPUTE_PGM_RSRC2:TGID_Y_EN: 0
; COMPUTE_PGM_RSRC2:TGID_Z_EN: 0
; COMPUTE_PGM_RSRC2:TIDIG_COMP_CNT: 0
; COMPUTE_PGM_RSRC3_GFX90A:ACCUM_OFFSET: 0
; COMPUTE_PGM_RSRC3_GFX90A:TG_SPLIT: 0
	.section	.text._ZN7rocprim17ROCPRIM_400000_NS6detail17trampoline_kernelINS0_13select_configILj256ELj13ELNS0_17block_load_methodE3ELS4_3ELS4_3ELNS0_20block_scan_algorithmE0ELj4294967295EEENS1_25partition_config_selectorILNS1_17partition_subalgoE3EjNS0_10empty_typeEbEEZZNS1_14partition_implILS8_3ELb0ES6_jNS0_17counting_iteratorIjlEEPS9_SE_NS0_5tupleIJPjSE_EEENSF_IJSE_SE_EEES9_SG_JZNS1_25segmented_radix_sort_implINS0_14default_configELb0EPKdPdPKlPlN2at6native12_GLOBAL__N_18offset_tEEE10hipError_tPvRmT1_PNSt15iterator_traitsISY_E10value_typeET2_T3_PNSZ_IS14_E10value_typeET4_jRbjT5_S1A_jjP12ihipStream_tbEUljE_EEESV_SW_SX_S14_S18_S1A_T6_T7_T9_mT8_S1C_bDpT10_ENKUlT_T0_E_clISt17integral_constantIbLb1EES1O_IbLb0EEEEDaS1K_S1L_EUlS1K_E_NS1_11comp_targetILNS1_3genE5ELNS1_11target_archE942ELNS1_3gpuE9ELNS1_3repE0EEENS1_30default_config_static_selectorELNS0_4arch9wavefront6targetE1EEEvSY_,"axG",@progbits,_ZN7rocprim17ROCPRIM_400000_NS6detail17trampoline_kernelINS0_13select_configILj256ELj13ELNS0_17block_load_methodE3ELS4_3ELS4_3ELNS0_20block_scan_algorithmE0ELj4294967295EEENS1_25partition_config_selectorILNS1_17partition_subalgoE3EjNS0_10empty_typeEbEEZZNS1_14partition_implILS8_3ELb0ES6_jNS0_17counting_iteratorIjlEEPS9_SE_NS0_5tupleIJPjSE_EEENSF_IJSE_SE_EEES9_SG_JZNS1_25segmented_radix_sort_implINS0_14default_configELb0EPKdPdPKlPlN2at6native12_GLOBAL__N_18offset_tEEE10hipError_tPvRmT1_PNSt15iterator_traitsISY_E10value_typeET2_T3_PNSZ_IS14_E10value_typeET4_jRbjT5_S1A_jjP12ihipStream_tbEUljE_EEESV_SW_SX_S14_S18_S1A_T6_T7_T9_mT8_S1C_bDpT10_ENKUlT_T0_E_clISt17integral_constantIbLb1EES1O_IbLb0EEEEDaS1K_S1L_EUlS1K_E_NS1_11comp_targetILNS1_3genE5ELNS1_11target_archE942ELNS1_3gpuE9ELNS1_3repE0EEENS1_30default_config_static_selectorELNS0_4arch9wavefront6targetE1EEEvSY_,comdat
	.globl	_ZN7rocprim17ROCPRIM_400000_NS6detail17trampoline_kernelINS0_13select_configILj256ELj13ELNS0_17block_load_methodE3ELS4_3ELS4_3ELNS0_20block_scan_algorithmE0ELj4294967295EEENS1_25partition_config_selectorILNS1_17partition_subalgoE3EjNS0_10empty_typeEbEEZZNS1_14partition_implILS8_3ELb0ES6_jNS0_17counting_iteratorIjlEEPS9_SE_NS0_5tupleIJPjSE_EEENSF_IJSE_SE_EEES9_SG_JZNS1_25segmented_radix_sort_implINS0_14default_configELb0EPKdPdPKlPlN2at6native12_GLOBAL__N_18offset_tEEE10hipError_tPvRmT1_PNSt15iterator_traitsISY_E10value_typeET2_T3_PNSZ_IS14_E10value_typeET4_jRbjT5_S1A_jjP12ihipStream_tbEUljE_EEESV_SW_SX_S14_S18_S1A_T6_T7_T9_mT8_S1C_bDpT10_ENKUlT_T0_E_clISt17integral_constantIbLb1EES1O_IbLb0EEEEDaS1K_S1L_EUlS1K_E_NS1_11comp_targetILNS1_3genE5ELNS1_11target_archE942ELNS1_3gpuE9ELNS1_3repE0EEENS1_30default_config_static_selectorELNS0_4arch9wavefront6targetE1EEEvSY_ ; -- Begin function _ZN7rocprim17ROCPRIM_400000_NS6detail17trampoline_kernelINS0_13select_configILj256ELj13ELNS0_17block_load_methodE3ELS4_3ELS4_3ELNS0_20block_scan_algorithmE0ELj4294967295EEENS1_25partition_config_selectorILNS1_17partition_subalgoE3EjNS0_10empty_typeEbEEZZNS1_14partition_implILS8_3ELb0ES6_jNS0_17counting_iteratorIjlEEPS9_SE_NS0_5tupleIJPjSE_EEENSF_IJSE_SE_EEES9_SG_JZNS1_25segmented_radix_sort_implINS0_14default_configELb0EPKdPdPKlPlN2at6native12_GLOBAL__N_18offset_tEEE10hipError_tPvRmT1_PNSt15iterator_traitsISY_E10value_typeET2_T3_PNSZ_IS14_E10value_typeET4_jRbjT5_S1A_jjP12ihipStream_tbEUljE_EEESV_SW_SX_S14_S18_S1A_T6_T7_T9_mT8_S1C_bDpT10_ENKUlT_T0_E_clISt17integral_constantIbLb1EES1O_IbLb0EEEEDaS1K_S1L_EUlS1K_E_NS1_11comp_targetILNS1_3genE5ELNS1_11target_archE942ELNS1_3gpuE9ELNS1_3repE0EEENS1_30default_config_static_selectorELNS0_4arch9wavefront6targetE1EEEvSY_
	.p2align	8
	.type	_ZN7rocprim17ROCPRIM_400000_NS6detail17trampoline_kernelINS0_13select_configILj256ELj13ELNS0_17block_load_methodE3ELS4_3ELS4_3ELNS0_20block_scan_algorithmE0ELj4294967295EEENS1_25partition_config_selectorILNS1_17partition_subalgoE3EjNS0_10empty_typeEbEEZZNS1_14partition_implILS8_3ELb0ES6_jNS0_17counting_iteratorIjlEEPS9_SE_NS0_5tupleIJPjSE_EEENSF_IJSE_SE_EEES9_SG_JZNS1_25segmented_radix_sort_implINS0_14default_configELb0EPKdPdPKlPlN2at6native12_GLOBAL__N_18offset_tEEE10hipError_tPvRmT1_PNSt15iterator_traitsISY_E10value_typeET2_T3_PNSZ_IS14_E10value_typeET4_jRbjT5_S1A_jjP12ihipStream_tbEUljE_EEESV_SW_SX_S14_S18_S1A_T6_T7_T9_mT8_S1C_bDpT10_ENKUlT_T0_E_clISt17integral_constantIbLb1EES1O_IbLb0EEEEDaS1K_S1L_EUlS1K_E_NS1_11comp_targetILNS1_3genE5ELNS1_11target_archE942ELNS1_3gpuE9ELNS1_3repE0EEENS1_30default_config_static_selectorELNS0_4arch9wavefront6targetE1EEEvSY_,@function
_ZN7rocprim17ROCPRIM_400000_NS6detail17trampoline_kernelINS0_13select_configILj256ELj13ELNS0_17block_load_methodE3ELS4_3ELS4_3ELNS0_20block_scan_algorithmE0ELj4294967295EEENS1_25partition_config_selectorILNS1_17partition_subalgoE3EjNS0_10empty_typeEbEEZZNS1_14partition_implILS8_3ELb0ES6_jNS0_17counting_iteratorIjlEEPS9_SE_NS0_5tupleIJPjSE_EEENSF_IJSE_SE_EEES9_SG_JZNS1_25segmented_radix_sort_implINS0_14default_configELb0EPKdPdPKlPlN2at6native12_GLOBAL__N_18offset_tEEE10hipError_tPvRmT1_PNSt15iterator_traitsISY_E10value_typeET2_T3_PNSZ_IS14_E10value_typeET4_jRbjT5_S1A_jjP12ihipStream_tbEUljE_EEESV_SW_SX_S14_S18_S1A_T6_T7_T9_mT8_S1C_bDpT10_ENKUlT_T0_E_clISt17integral_constantIbLb1EES1O_IbLb0EEEEDaS1K_S1L_EUlS1K_E_NS1_11comp_targetILNS1_3genE5ELNS1_11target_archE942ELNS1_3gpuE9ELNS1_3repE0EEENS1_30default_config_static_selectorELNS0_4arch9wavefront6targetE1EEEvSY_: ; @_ZN7rocprim17ROCPRIM_400000_NS6detail17trampoline_kernelINS0_13select_configILj256ELj13ELNS0_17block_load_methodE3ELS4_3ELS4_3ELNS0_20block_scan_algorithmE0ELj4294967295EEENS1_25partition_config_selectorILNS1_17partition_subalgoE3EjNS0_10empty_typeEbEEZZNS1_14partition_implILS8_3ELb0ES6_jNS0_17counting_iteratorIjlEEPS9_SE_NS0_5tupleIJPjSE_EEENSF_IJSE_SE_EEES9_SG_JZNS1_25segmented_radix_sort_implINS0_14default_configELb0EPKdPdPKlPlN2at6native12_GLOBAL__N_18offset_tEEE10hipError_tPvRmT1_PNSt15iterator_traitsISY_E10value_typeET2_T3_PNSZ_IS14_E10value_typeET4_jRbjT5_S1A_jjP12ihipStream_tbEUljE_EEESV_SW_SX_S14_S18_S1A_T6_T7_T9_mT8_S1C_bDpT10_ENKUlT_T0_E_clISt17integral_constantIbLb1EES1O_IbLb0EEEEDaS1K_S1L_EUlS1K_E_NS1_11comp_targetILNS1_3genE5ELNS1_11target_archE942ELNS1_3gpuE9ELNS1_3repE0EEENS1_30default_config_static_selectorELNS0_4arch9wavefront6targetE1EEEvSY_
; %bb.0:
	.section	.rodata,"a",@progbits
	.p2align	6, 0x0
	.amdhsa_kernel _ZN7rocprim17ROCPRIM_400000_NS6detail17trampoline_kernelINS0_13select_configILj256ELj13ELNS0_17block_load_methodE3ELS4_3ELS4_3ELNS0_20block_scan_algorithmE0ELj4294967295EEENS1_25partition_config_selectorILNS1_17partition_subalgoE3EjNS0_10empty_typeEbEEZZNS1_14partition_implILS8_3ELb0ES6_jNS0_17counting_iteratorIjlEEPS9_SE_NS0_5tupleIJPjSE_EEENSF_IJSE_SE_EEES9_SG_JZNS1_25segmented_radix_sort_implINS0_14default_configELb0EPKdPdPKlPlN2at6native12_GLOBAL__N_18offset_tEEE10hipError_tPvRmT1_PNSt15iterator_traitsISY_E10value_typeET2_T3_PNSZ_IS14_E10value_typeET4_jRbjT5_S1A_jjP12ihipStream_tbEUljE_EEESV_SW_SX_S14_S18_S1A_T6_T7_T9_mT8_S1C_bDpT10_ENKUlT_T0_E_clISt17integral_constantIbLb1EES1O_IbLb0EEEEDaS1K_S1L_EUlS1K_E_NS1_11comp_targetILNS1_3genE5ELNS1_11target_archE942ELNS1_3gpuE9ELNS1_3repE0EEENS1_30default_config_static_selectorELNS0_4arch9wavefront6targetE1EEEvSY_
		.amdhsa_group_segment_fixed_size 0
		.amdhsa_private_segment_fixed_size 0
		.amdhsa_kernarg_size 144
		.amdhsa_user_sgpr_count 6
		.amdhsa_user_sgpr_private_segment_buffer 1
		.amdhsa_user_sgpr_dispatch_ptr 0
		.amdhsa_user_sgpr_queue_ptr 0
		.amdhsa_user_sgpr_kernarg_segment_ptr 1
		.amdhsa_user_sgpr_dispatch_id 0
		.amdhsa_user_sgpr_flat_scratch_init 0
		.amdhsa_user_sgpr_kernarg_preload_length 0
		.amdhsa_user_sgpr_kernarg_preload_offset 0
		.amdhsa_user_sgpr_private_segment_size 0
		.amdhsa_uses_dynamic_stack 0
		.amdhsa_system_sgpr_private_segment_wavefront_offset 0
		.amdhsa_system_sgpr_workgroup_id_x 1
		.amdhsa_system_sgpr_workgroup_id_y 0
		.amdhsa_system_sgpr_workgroup_id_z 0
		.amdhsa_system_sgpr_workgroup_info 0
		.amdhsa_system_vgpr_workitem_id 0
		.amdhsa_next_free_vgpr 1
		.amdhsa_next_free_sgpr 0
		.amdhsa_accum_offset 4
		.amdhsa_reserve_vcc 0
		.amdhsa_reserve_flat_scratch 0
		.amdhsa_float_round_mode_32 0
		.amdhsa_float_round_mode_16_64 0
		.amdhsa_float_denorm_mode_32 3
		.amdhsa_float_denorm_mode_16_64 3
		.amdhsa_dx10_clamp 1
		.amdhsa_ieee_mode 1
		.amdhsa_fp16_overflow 0
		.amdhsa_tg_split 0
		.amdhsa_exception_fp_ieee_invalid_op 0
		.amdhsa_exception_fp_denorm_src 0
		.amdhsa_exception_fp_ieee_div_zero 0
		.amdhsa_exception_fp_ieee_overflow 0
		.amdhsa_exception_fp_ieee_underflow 0
		.amdhsa_exception_fp_ieee_inexact 0
		.amdhsa_exception_int_div_zero 0
	.end_amdhsa_kernel
	.section	.text._ZN7rocprim17ROCPRIM_400000_NS6detail17trampoline_kernelINS0_13select_configILj256ELj13ELNS0_17block_load_methodE3ELS4_3ELS4_3ELNS0_20block_scan_algorithmE0ELj4294967295EEENS1_25partition_config_selectorILNS1_17partition_subalgoE3EjNS0_10empty_typeEbEEZZNS1_14partition_implILS8_3ELb0ES6_jNS0_17counting_iteratorIjlEEPS9_SE_NS0_5tupleIJPjSE_EEENSF_IJSE_SE_EEES9_SG_JZNS1_25segmented_radix_sort_implINS0_14default_configELb0EPKdPdPKlPlN2at6native12_GLOBAL__N_18offset_tEEE10hipError_tPvRmT1_PNSt15iterator_traitsISY_E10value_typeET2_T3_PNSZ_IS14_E10value_typeET4_jRbjT5_S1A_jjP12ihipStream_tbEUljE_EEESV_SW_SX_S14_S18_S1A_T6_T7_T9_mT8_S1C_bDpT10_ENKUlT_T0_E_clISt17integral_constantIbLb1EES1O_IbLb0EEEEDaS1K_S1L_EUlS1K_E_NS1_11comp_targetILNS1_3genE5ELNS1_11target_archE942ELNS1_3gpuE9ELNS1_3repE0EEENS1_30default_config_static_selectorELNS0_4arch9wavefront6targetE1EEEvSY_,"axG",@progbits,_ZN7rocprim17ROCPRIM_400000_NS6detail17trampoline_kernelINS0_13select_configILj256ELj13ELNS0_17block_load_methodE3ELS4_3ELS4_3ELNS0_20block_scan_algorithmE0ELj4294967295EEENS1_25partition_config_selectorILNS1_17partition_subalgoE3EjNS0_10empty_typeEbEEZZNS1_14partition_implILS8_3ELb0ES6_jNS0_17counting_iteratorIjlEEPS9_SE_NS0_5tupleIJPjSE_EEENSF_IJSE_SE_EEES9_SG_JZNS1_25segmented_radix_sort_implINS0_14default_configELb0EPKdPdPKlPlN2at6native12_GLOBAL__N_18offset_tEEE10hipError_tPvRmT1_PNSt15iterator_traitsISY_E10value_typeET2_T3_PNSZ_IS14_E10value_typeET4_jRbjT5_S1A_jjP12ihipStream_tbEUljE_EEESV_SW_SX_S14_S18_S1A_T6_T7_T9_mT8_S1C_bDpT10_ENKUlT_T0_E_clISt17integral_constantIbLb1EES1O_IbLb0EEEEDaS1K_S1L_EUlS1K_E_NS1_11comp_targetILNS1_3genE5ELNS1_11target_archE942ELNS1_3gpuE9ELNS1_3repE0EEENS1_30default_config_static_selectorELNS0_4arch9wavefront6targetE1EEEvSY_,comdat
.Lfunc_end1204:
	.size	_ZN7rocprim17ROCPRIM_400000_NS6detail17trampoline_kernelINS0_13select_configILj256ELj13ELNS0_17block_load_methodE3ELS4_3ELS4_3ELNS0_20block_scan_algorithmE0ELj4294967295EEENS1_25partition_config_selectorILNS1_17partition_subalgoE3EjNS0_10empty_typeEbEEZZNS1_14partition_implILS8_3ELb0ES6_jNS0_17counting_iteratorIjlEEPS9_SE_NS0_5tupleIJPjSE_EEENSF_IJSE_SE_EEES9_SG_JZNS1_25segmented_radix_sort_implINS0_14default_configELb0EPKdPdPKlPlN2at6native12_GLOBAL__N_18offset_tEEE10hipError_tPvRmT1_PNSt15iterator_traitsISY_E10value_typeET2_T3_PNSZ_IS14_E10value_typeET4_jRbjT5_S1A_jjP12ihipStream_tbEUljE_EEESV_SW_SX_S14_S18_S1A_T6_T7_T9_mT8_S1C_bDpT10_ENKUlT_T0_E_clISt17integral_constantIbLb1EES1O_IbLb0EEEEDaS1K_S1L_EUlS1K_E_NS1_11comp_targetILNS1_3genE5ELNS1_11target_archE942ELNS1_3gpuE9ELNS1_3repE0EEENS1_30default_config_static_selectorELNS0_4arch9wavefront6targetE1EEEvSY_, .Lfunc_end1204-_ZN7rocprim17ROCPRIM_400000_NS6detail17trampoline_kernelINS0_13select_configILj256ELj13ELNS0_17block_load_methodE3ELS4_3ELS4_3ELNS0_20block_scan_algorithmE0ELj4294967295EEENS1_25partition_config_selectorILNS1_17partition_subalgoE3EjNS0_10empty_typeEbEEZZNS1_14partition_implILS8_3ELb0ES6_jNS0_17counting_iteratorIjlEEPS9_SE_NS0_5tupleIJPjSE_EEENSF_IJSE_SE_EEES9_SG_JZNS1_25segmented_radix_sort_implINS0_14default_configELb0EPKdPdPKlPlN2at6native12_GLOBAL__N_18offset_tEEE10hipError_tPvRmT1_PNSt15iterator_traitsISY_E10value_typeET2_T3_PNSZ_IS14_E10value_typeET4_jRbjT5_S1A_jjP12ihipStream_tbEUljE_EEESV_SW_SX_S14_S18_S1A_T6_T7_T9_mT8_S1C_bDpT10_ENKUlT_T0_E_clISt17integral_constantIbLb1EES1O_IbLb0EEEEDaS1K_S1L_EUlS1K_E_NS1_11comp_targetILNS1_3genE5ELNS1_11target_archE942ELNS1_3gpuE9ELNS1_3repE0EEENS1_30default_config_static_selectorELNS0_4arch9wavefront6targetE1EEEvSY_
                                        ; -- End function
	.section	.AMDGPU.csdata,"",@progbits
; Kernel info:
; codeLenInByte = 0
; NumSgprs: 4
; NumVgprs: 0
; NumAgprs: 0
; TotalNumVgprs: 0
; ScratchSize: 0
; MemoryBound: 0
; FloatMode: 240
; IeeeMode: 1
; LDSByteSize: 0 bytes/workgroup (compile time only)
; SGPRBlocks: 0
; VGPRBlocks: 0
; NumSGPRsForWavesPerEU: 4
; NumVGPRsForWavesPerEU: 1
; AccumOffset: 4
; Occupancy: 8
; WaveLimiterHint : 0
; COMPUTE_PGM_RSRC2:SCRATCH_EN: 0
; COMPUTE_PGM_RSRC2:USER_SGPR: 6
; COMPUTE_PGM_RSRC2:TRAP_HANDLER: 0
; COMPUTE_PGM_RSRC2:TGID_X_EN: 1
; COMPUTE_PGM_RSRC2:TGID_Y_EN: 0
; COMPUTE_PGM_RSRC2:TGID_Z_EN: 0
; COMPUTE_PGM_RSRC2:TIDIG_COMP_CNT: 0
; COMPUTE_PGM_RSRC3_GFX90A:ACCUM_OFFSET: 0
; COMPUTE_PGM_RSRC3_GFX90A:TG_SPLIT: 0
	.section	.text._ZN7rocprim17ROCPRIM_400000_NS6detail17trampoline_kernelINS0_13select_configILj256ELj13ELNS0_17block_load_methodE3ELS4_3ELS4_3ELNS0_20block_scan_algorithmE0ELj4294967295EEENS1_25partition_config_selectorILNS1_17partition_subalgoE3EjNS0_10empty_typeEbEEZZNS1_14partition_implILS8_3ELb0ES6_jNS0_17counting_iteratorIjlEEPS9_SE_NS0_5tupleIJPjSE_EEENSF_IJSE_SE_EEES9_SG_JZNS1_25segmented_radix_sort_implINS0_14default_configELb0EPKdPdPKlPlN2at6native12_GLOBAL__N_18offset_tEEE10hipError_tPvRmT1_PNSt15iterator_traitsISY_E10value_typeET2_T3_PNSZ_IS14_E10value_typeET4_jRbjT5_S1A_jjP12ihipStream_tbEUljE_EEESV_SW_SX_S14_S18_S1A_T6_T7_T9_mT8_S1C_bDpT10_ENKUlT_T0_E_clISt17integral_constantIbLb1EES1O_IbLb0EEEEDaS1K_S1L_EUlS1K_E_NS1_11comp_targetILNS1_3genE4ELNS1_11target_archE910ELNS1_3gpuE8ELNS1_3repE0EEENS1_30default_config_static_selectorELNS0_4arch9wavefront6targetE1EEEvSY_,"axG",@progbits,_ZN7rocprim17ROCPRIM_400000_NS6detail17trampoline_kernelINS0_13select_configILj256ELj13ELNS0_17block_load_methodE3ELS4_3ELS4_3ELNS0_20block_scan_algorithmE0ELj4294967295EEENS1_25partition_config_selectorILNS1_17partition_subalgoE3EjNS0_10empty_typeEbEEZZNS1_14partition_implILS8_3ELb0ES6_jNS0_17counting_iteratorIjlEEPS9_SE_NS0_5tupleIJPjSE_EEENSF_IJSE_SE_EEES9_SG_JZNS1_25segmented_radix_sort_implINS0_14default_configELb0EPKdPdPKlPlN2at6native12_GLOBAL__N_18offset_tEEE10hipError_tPvRmT1_PNSt15iterator_traitsISY_E10value_typeET2_T3_PNSZ_IS14_E10value_typeET4_jRbjT5_S1A_jjP12ihipStream_tbEUljE_EEESV_SW_SX_S14_S18_S1A_T6_T7_T9_mT8_S1C_bDpT10_ENKUlT_T0_E_clISt17integral_constantIbLb1EES1O_IbLb0EEEEDaS1K_S1L_EUlS1K_E_NS1_11comp_targetILNS1_3genE4ELNS1_11target_archE910ELNS1_3gpuE8ELNS1_3repE0EEENS1_30default_config_static_selectorELNS0_4arch9wavefront6targetE1EEEvSY_,comdat
	.globl	_ZN7rocprim17ROCPRIM_400000_NS6detail17trampoline_kernelINS0_13select_configILj256ELj13ELNS0_17block_load_methodE3ELS4_3ELS4_3ELNS0_20block_scan_algorithmE0ELj4294967295EEENS1_25partition_config_selectorILNS1_17partition_subalgoE3EjNS0_10empty_typeEbEEZZNS1_14partition_implILS8_3ELb0ES6_jNS0_17counting_iteratorIjlEEPS9_SE_NS0_5tupleIJPjSE_EEENSF_IJSE_SE_EEES9_SG_JZNS1_25segmented_radix_sort_implINS0_14default_configELb0EPKdPdPKlPlN2at6native12_GLOBAL__N_18offset_tEEE10hipError_tPvRmT1_PNSt15iterator_traitsISY_E10value_typeET2_T3_PNSZ_IS14_E10value_typeET4_jRbjT5_S1A_jjP12ihipStream_tbEUljE_EEESV_SW_SX_S14_S18_S1A_T6_T7_T9_mT8_S1C_bDpT10_ENKUlT_T0_E_clISt17integral_constantIbLb1EES1O_IbLb0EEEEDaS1K_S1L_EUlS1K_E_NS1_11comp_targetILNS1_3genE4ELNS1_11target_archE910ELNS1_3gpuE8ELNS1_3repE0EEENS1_30default_config_static_selectorELNS0_4arch9wavefront6targetE1EEEvSY_ ; -- Begin function _ZN7rocprim17ROCPRIM_400000_NS6detail17trampoline_kernelINS0_13select_configILj256ELj13ELNS0_17block_load_methodE3ELS4_3ELS4_3ELNS0_20block_scan_algorithmE0ELj4294967295EEENS1_25partition_config_selectorILNS1_17partition_subalgoE3EjNS0_10empty_typeEbEEZZNS1_14partition_implILS8_3ELb0ES6_jNS0_17counting_iteratorIjlEEPS9_SE_NS0_5tupleIJPjSE_EEENSF_IJSE_SE_EEES9_SG_JZNS1_25segmented_radix_sort_implINS0_14default_configELb0EPKdPdPKlPlN2at6native12_GLOBAL__N_18offset_tEEE10hipError_tPvRmT1_PNSt15iterator_traitsISY_E10value_typeET2_T3_PNSZ_IS14_E10value_typeET4_jRbjT5_S1A_jjP12ihipStream_tbEUljE_EEESV_SW_SX_S14_S18_S1A_T6_T7_T9_mT8_S1C_bDpT10_ENKUlT_T0_E_clISt17integral_constantIbLb1EES1O_IbLb0EEEEDaS1K_S1L_EUlS1K_E_NS1_11comp_targetILNS1_3genE4ELNS1_11target_archE910ELNS1_3gpuE8ELNS1_3repE0EEENS1_30default_config_static_selectorELNS0_4arch9wavefront6targetE1EEEvSY_
	.p2align	8
	.type	_ZN7rocprim17ROCPRIM_400000_NS6detail17trampoline_kernelINS0_13select_configILj256ELj13ELNS0_17block_load_methodE3ELS4_3ELS4_3ELNS0_20block_scan_algorithmE0ELj4294967295EEENS1_25partition_config_selectorILNS1_17partition_subalgoE3EjNS0_10empty_typeEbEEZZNS1_14partition_implILS8_3ELb0ES6_jNS0_17counting_iteratorIjlEEPS9_SE_NS0_5tupleIJPjSE_EEENSF_IJSE_SE_EEES9_SG_JZNS1_25segmented_radix_sort_implINS0_14default_configELb0EPKdPdPKlPlN2at6native12_GLOBAL__N_18offset_tEEE10hipError_tPvRmT1_PNSt15iterator_traitsISY_E10value_typeET2_T3_PNSZ_IS14_E10value_typeET4_jRbjT5_S1A_jjP12ihipStream_tbEUljE_EEESV_SW_SX_S14_S18_S1A_T6_T7_T9_mT8_S1C_bDpT10_ENKUlT_T0_E_clISt17integral_constantIbLb1EES1O_IbLb0EEEEDaS1K_S1L_EUlS1K_E_NS1_11comp_targetILNS1_3genE4ELNS1_11target_archE910ELNS1_3gpuE8ELNS1_3repE0EEENS1_30default_config_static_selectorELNS0_4arch9wavefront6targetE1EEEvSY_,@function
_ZN7rocprim17ROCPRIM_400000_NS6detail17trampoline_kernelINS0_13select_configILj256ELj13ELNS0_17block_load_methodE3ELS4_3ELS4_3ELNS0_20block_scan_algorithmE0ELj4294967295EEENS1_25partition_config_selectorILNS1_17partition_subalgoE3EjNS0_10empty_typeEbEEZZNS1_14partition_implILS8_3ELb0ES6_jNS0_17counting_iteratorIjlEEPS9_SE_NS0_5tupleIJPjSE_EEENSF_IJSE_SE_EEES9_SG_JZNS1_25segmented_radix_sort_implINS0_14default_configELb0EPKdPdPKlPlN2at6native12_GLOBAL__N_18offset_tEEE10hipError_tPvRmT1_PNSt15iterator_traitsISY_E10value_typeET2_T3_PNSZ_IS14_E10value_typeET4_jRbjT5_S1A_jjP12ihipStream_tbEUljE_EEESV_SW_SX_S14_S18_S1A_T6_T7_T9_mT8_S1C_bDpT10_ENKUlT_T0_E_clISt17integral_constantIbLb1EES1O_IbLb0EEEEDaS1K_S1L_EUlS1K_E_NS1_11comp_targetILNS1_3genE4ELNS1_11target_archE910ELNS1_3gpuE8ELNS1_3repE0EEENS1_30default_config_static_selectorELNS0_4arch9wavefront6targetE1EEEvSY_: ; @_ZN7rocprim17ROCPRIM_400000_NS6detail17trampoline_kernelINS0_13select_configILj256ELj13ELNS0_17block_load_methodE3ELS4_3ELS4_3ELNS0_20block_scan_algorithmE0ELj4294967295EEENS1_25partition_config_selectorILNS1_17partition_subalgoE3EjNS0_10empty_typeEbEEZZNS1_14partition_implILS8_3ELb0ES6_jNS0_17counting_iteratorIjlEEPS9_SE_NS0_5tupleIJPjSE_EEENSF_IJSE_SE_EEES9_SG_JZNS1_25segmented_radix_sort_implINS0_14default_configELb0EPKdPdPKlPlN2at6native12_GLOBAL__N_18offset_tEEE10hipError_tPvRmT1_PNSt15iterator_traitsISY_E10value_typeET2_T3_PNSZ_IS14_E10value_typeET4_jRbjT5_S1A_jjP12ihipStream_tbEUljE_EEESV_SW_SX_S14_S18_S1A_T6_T7_T9_mT8_S1C_bDpT10_ENKUlT_T0_E_clISt17integral_constantIbLb1EES1O_IbLb0EEEEDaS1K_S1L_EUlS1K_E_NS1_11comp_targetILNS1_3genE4ELNS1_11target_archE910ELNS1_3gpuE8ELNS1_3repE0EEENS1_30default_config_static_selectorELNS0_4arch9wavefront6targetE1EEEvSY_
; %bb.0:
	s_load_dwordx2 s[26:27], s[4:5], 0x58
	s_load_dwordx4 s[20:23], s[4:5], 0x48
	s_load_dword s13, s[4:5], 0x8
	s_load_dwordx2 s[28:29], s[4:5], 0x10
	s_load_dword s12, s[4:5], 0x70
	s_load_dword s7, s[4:5], 0x88
	s_load_dwordx4 s[8:11], s[4:5], 0x78
	s_waitcnt lgkmcnt(0)
	s_load_dwordx2 s[30:31], s[22:23], 0x0
	v_pk_mov_b32 v[2:3], s[26:27], s[26:27] op_sel:[0,1]
	s_add_i32 s2, s12, -1
	s_mulk_i32 s12, 0xd00
	s_add_u32 s0, s28, s12
	s_addc_u32 s1, s29, 0
	s_cmp_eq_u32 s6, s2
	s_cselect_b64 s[22:23], -1, 0
	s_cmp_lg_u32 s6, s2
	s_mul_i32 s42, s6, 0xd00
	v_cmp_lt_u64_e32 vcc, s[0:1], v[2:3]
	s_cselect_b64 s[0:1], -1, 0
	s_or_b64 s[2:3], s[0:1], vcc
	s_add_i32 s0, s13, s42
	s_add_i32 s0, s0, s28
	v_add_u32_e32 v2, s0, v0
	s_mov_b64 s[0:1], -1
	s_and_b64 vcc, exec, s[2:3]
	v_lshlrev_b32_e32 v1, 2, v0
	s_cbranch_vccz .LBB1205_2
; %bb.1:
	v_add_u32_e32 v3, 0x100, v2
	v_add_u32_e32 v4, 0x200, v2
	;; [unrolled: 1-line block ×12, first 2 shown]
	ds_write2st64_b32 v1, v2, v3 offset1:4
	ds_write2st64_b32 v1, v4, v5 offset0:8 offset1:12
	ds_write2st64_b32 v1, v6, v7 offset0:16 offset1:20
	;; [unrolled: 1-line block ×5, first 2 shown]
	ds_write_b32 v1, v14 offset:12288
	s_waitcnt lgkmcnt(0)
	s_barrier
	s_mov_b64 s[0:1], 0
.LBB1205_2:
	s_andn2_b64 vcc, exec, s[0:1]
	s_add_i32 s12, s12, s28
	s_cbranch_vccnz .LBB1205_4
; %bb.3:
	v_add_u32_e32 v3, 0x100, v2
	v_add_u32_e32 v4, 0x200, v2
	;; [unrolled: 1-line block ×12, first 2 shown]
	ds_write2st64_b32 v1, v2, v3 offset1:4
	ds_write2st64_b32 v1, v4, v5 offset0:8 offset1:12
	ds_write2st64_b32 v1, v6, v7 offset0:16 offset1:20
	;; [unrolled: 1-line block ×5, first 2 shown]
	ds_write_b32 v1, v14 offset:12288
	s_waitcnt lgkmcnt(0)
	s_barrier
.LBB1205_4:
	v_mul_u32_u24_e32 v33, 13, v0
	v_lshlrev_b32_e32 v2, 2, v33
	s_waitcnt lgkmcnt(0)
	ds_read2_b32 v[30:31], v2 offset1:1
	ds_read2_b32 v[28:29], v2 offset0:2 offset1:3
	ds_read2_b32 v[26:27], v2 offset0:4 offset1:5
	;; [unrolled: 1-line block ×5, first 2 shown]
	ds_read_b32 v32, v2 offset:48
	v_cndmask_b32_e64 v2, 0, 1, s[2:3]
	s_sub_i32 s33, s26, s12
	v_cmp_ne_u32_e64 s[0:1], 1, v2
	s_andn2_b64 vcc, exec, s[2:3]
	s_waitcnt lgkmcnt(0)
	s_barrier
	s_cbranch_vccnz .LBB1205_6
; %bb.5:
	v_add_u32_e32 v2, s9, v30
	v_add_u32_e32 v3, s11, v30
	v_mul_lo_u32 v2, v2, s8
	v_mul_lo_u32 v3, v3, s10
	v_sub_u32_e32 v2, v2, v3
	v_add_u32_e32 v3, s9, v31
	v_add_u32_e32 v4, s11, v31
	v_mul_lo_u32 v3, v3, s8
	v_mul_lo_u32 v4, v4, s10
	v_sub_u32_e32 v3, v3, v4
	;; [unrolled: 5-line block ×6, first 2 shown]
	v_add_u32_e32 v8, s9, v24
	v_add_u32_e32 v9, s11, v24
	v_mul_lo_u32 v8, v8, s8
	v_mul_lo_u32 v9, v9, s10
	v_cmp_lt_u32_e32 vcc, s7, v2
	v_sub_u32_e32 v8, v8, v9
	v_add_u32_e32 v9, s9, v25
	v_add_u32_e32 v10, s11, v25
	v_cndmask_b32_e64 v2, 0, 1, vcc
	v_cmp_lt_u32_e32 vcc, s7, v3
	v_mul_lo_u32 v9, v9, s8
	v_mul_lo_u32 v10, v10, s10
	v_cndmask_b32_e64 v3, 0, 1, vcc
	v_cmp_lt_u32_e32 vcc, s7, v4
	v_sub_u32_e32 v9, v9, v10
	v_add_u32_e32 v10, s9, v22
	v_add_u32_e32 v11, s11, v22
	v_cndmask_b32_e64 v4, 0, 1, vcc
	v_cmp_lt_u32_e32 vcc, s7, v5
	v_mul_lo_u32 v10, v10, s8
	v_mul_lo_u32 v11, v11, s10
	v_cndmask_b32_e64 v5, 0, 1, vcc
	;; [unrolled: 9-line block ×4, first 2 shown]
	v_cmp_lt_u32_e32 vcc, s7, v10
	v_sub_u32_e32 v12, v12, v13
	v_add_u32_e32 v13, s9, v21
	v_add_u32_e32 v14, s11, v21
	v_lshlrev_b16_e32 v3, 8, v3
	v_cndmask_b32_e64 v10, 0, 1, vcc
	v_cmp_lt_u32_e32 vcc, s7, v11
	v_mul_lo_u32 v13, v13, s8
	v_mul_lo_u32 v14, v14, s10
	v_or_b32_e32 v2, v2, v3
	v_lshlrev_b16_e32 v3, 8, v5
	v_cndmask_b32_e64 v11, 0, 1, vcc
	v_cmp_lt_u32_e32 vcc, s7, v12
	v_sub_u32_e32 v13, v13, v14
	v_or_b32_sdwa v3, v4, v3 dst_sel:WORD_1 dst_unused:UNUSED_PAD src0_sel:DWORD src1_sel:DWORD
	v_cndmask_b32_e64 v12, 0, 1, vcc
	v_cmp_lt_u32_e32 vcc, s7, v13
	v_add_u32_e32 v14, s9, v32
	v_add_u32_e32 v15, s11, v32
	v_or_b32_sdwa v37, v2, v3 dst_sel:DWORD dst_unused:UNUSED_PAD src0_sel:WORD_0 src1_sel:DWORD
	v_lshlrev_b16_e32 v2, 8, v7
	v_lshlrev_b16_e32 v3, 8, v9
	v_cndmask_b32_e64 v13, 0, 1, vcc
	v_mul_lo_u32 v14, v14, s8
	v_mul_lo_u32 v15, v15, s10
	v_or_b32_e32 v2, v6, v2
	v_or_b32_sdwa v3, v8, v3 dst_sel:WORD_1 dst_unused:UNUSED_PAD src0_sel:DWORD src1_sel:DWORD
	v_sub_u32_e32 v14, v14, v15
	v_or_b32_sdwa v36, v2, v3 dst_sel:DWORD dst_unused:UNUSED_PAD src0_sel:WORD_0 src1_sel:DWORD
	v_lshlrev_b16_e32 v2, 8, v11
	v_lshlrev_b16_e32 v3, 8, v13
	v_cmp_lt_u32_e32 vcc, s7, v14
	v_or_b32_e32 v2, v10, v2
	v_or_b32_sdwa v3, v12, v3 dst_sel:WORD_1 dst_unused:UNUSED_PAD src0_sel:DWORD src1_sel:DWORD
	v_cndmask_b32_e64 v34, 0, 1, vcc
	v_or_b32_sdwa v35, v2, v3 dst_sel:DWORD dst_unused:UNUSED_PAD src0_sel:WORD_0 src1_sel:DWORD
	s_mov_b64 s[2:3], 0
	s_branch .LBB1205_7
.LBB1205_6:
	s_mov_b64 s[2:3], -1
                                        ; implicit-def: $vgpr34
                                        ; implicit-def: $vgpr35
                                        ; implicit-def: $vgpr36
                                        ; implicit-def: $vgpr37
.LBB1205_7:
	s_load_dwordx2 s[24:25], s[4:5], 0x28
	s_load_dwordx2 s[34:35], s[4:5], 0x68
	s_andn2_b64 vcc, exec, s[2:3]
	s_addk_i32 s33, 0xd00
	s_cbranch_vccnz .LBB1205_35
; %bb.8:
	v_cmp_gt_u32_e32 vcc, s33, v33
	v_mov_b32_e32 v3, 0
	v_mov_b32_e32 v2, 0
	s_and_saveexec_b64 s[2:3], vcc
; %bb.9:
	v_add_u32_e32 v2, s9, v30
	v_add_u32_e32 v4, s11, v30
	v_mul_lo_u32 v2, v2, s8
	v_mul_lo_u32 v4, v4, s10
	v_sub_u32_e32 v2, v2, v4
	v_cmp_lt_u32_e32 vcc, s7, v2
	v_cndmask_b32_e64 v2, 0, 1, vcc
; %bb.10:
	s_or_b64 exec, exec, s[2:3]
	v_add_u32_e32 v4, 1, v33
	v_cmp_gt_u32_e32 vcc, s33, v4
	s_and_saveexec_b64 s[2:3], vcc
; %bb.11:
	v_add_u32_e32 v3, s9, v31
	v_add_u32_e32 v4, s11, v31
	v_mul_lo_u32 v3, v3, s8
	v_mul_lo_u32 v4, v4, s10
	v_sub_u32_e32 v3, v3, v4
	v_cmp_lt_u32_e32 vcc, s7, v3
	v_cndmask_b32_e64 v3, 0, 1, vcc
; %bb.12:
	s_or_b64 exec, exec, s[2:3]
	v_add_u32_e32 v4, 2, v33
	v_cmp_gt_u32_e32 vcc, s33, v4
	v_mov_b32_e32 v5, 0
	v_mov_b32_e32 v4, 0
	s_and_saveexec_b64 s[2:3], vcc
; %bb.13:
	v_add_u32_e32 v4, s9, v28
	v_add_u32_e32 v6, s11, v28
	v_mul_lo_u32 v4, v4, s8
	v_mul_lo_u32 v6, v6, s10
	v_sub_u32_e32 v4, v4, v6
	v_cmp_lt_u32_e32 vcc, s7, v4
	v_cndmask_b32_e64 v4, 0, 1, vcc
; %bb.14:
	s_or_b64 exec, exec, s[2:3]
	v_add_u32_e32 v6, 3, v33
	v_cmp_gt_u32_e32 vcc, s33, v6
	s_and_saveexec_b64 s[2:3], vcc
; %bb.15:
	v_add_u32_e32 v5, s9, v29
	v_add_u32_e32 v6, s11, v29
	v_mul_lo_u32 v5, v5, s8
	v_mul_lo_u32 v6, v6, s10
	v_sub_u32_e32 v5, v5, v6
	v_cmp_lt_u32_e32 vcc, s7, v5
	v_cndmask_b32_e64 v5, 0, 1, vcc
; %bb.16:
	s_or_b64 exec, exec, s[2:3]
	v_add_u32_e32 v6, 4, v33
	;; [unrolled: 28-line block ×6, first 2 shown]
	v_cmp_gt_u32_e32 vcc, s33, v14
	v_mov_b32_e32 v34, 0
	s_and_saveexec_b64 s[2:3], vcc
; %bb.33:
	v_add_u32_e32 v14, s9, v32
	v_add_u32_e32 v15, s11, v32
	v_mul_lo_u32 v14, v14, s8
	v_mul_lo_u32 v15, v15, s10
	v_sub_u32_e32 v14, v14, v15
	v_cmp_lt_u32_e32 vcc, s7, v14
	v_cndmask_b32_e64 v34, 0, 1, vcc
; %bb.34:
	s_or_b64 exec, exec, s[2:3]
	v_lshlrev_b16_e32 v3, 8, v3
	v_or_b32_e32 v2, v2, v3
	v_lshlrev_b16_e32 v3, 8, v5
	v_or_b32_sdwa v3, v4, v3 dst_sel:WORD_1 dst_unused:UNUSED_PAD src0_sel:DWORD src1_sel:DWORD
	v_or_b32_sdwa v37, v2, v3 dst_sel:DWORD dst_unused:UNUSED_PAD src0_sel:WORD_0 src1_sel:DWORD
	v_lshlrev_b16_e32 v2, 8, v7
	v_lshlrev_b16_e32 v3, 8, v9
	v_or_b32_e32 v2, v6, v2
	v_or_b32_sdwa v3, v8, v3 dst_sel:WORD_1 dst_unused:UNUSED_PAD src0_sel:DWORD src1_sel:DWORD
	v_or_b32_sdwa v36, v2, v3 dst_sel:DWORD dst_unused:UNUSED_PAD src0_sel:WORD_0 src1_sel:DWORD
	v_lshlrev_b16_e32 v2, 8, v11
	v_lshlrev_b16_e32 v3, 8, v13
	v_or_b32_e32 v2, v10, v2
	v_or_b32_sdwa v3, v12, v3 dst_sel:WORD_1 dst_unused:UNUSED_PAD src0_sel:DWORD src1_sel:DWORD
	v_or_b32_sdwa v35, v2, v3 dst_sel:DWORD dst_unused:UNUSED_PAD src0_sel:WORD_0 src1_sel:DWORD
.LBB1205_35:
	v_and_b32_e32 v41, 0xff, v37
	v_bfe_u32 v42, v37, 8, 8
	v_bfe_u32 v43, v37, 16, 8
	v_lshrrev_b32_e32 v40, 24, v37
	v_and_b32_e32 v44, 0xff, v36
	v_add3_u32 v3, v42, v41, v43
	v_bfe_u32 v45, v36, 8, 8
	v_bfe_u32 v46, v36, 16, 8
	v_add3_u32 v3, v3, v40, v44
	v_lshrrev_b32_e32 v39, 24, v36
	v_and_b32_e32 v47, 0xff, v35
	v_add3_u32 v3, v3, v45, v46
	v_bfe_u32 v48, v35, 8, 8
	v_bfe_u32 v49, v35, 16, 8
	v_add3_u32 v3, v3, v39, v47
	v_lshrrev_b32_e32 v38, 24, v35
	v_and_b32_e32 v2, 0xff, v34
	v_add3_u32 v3, v3, v48, v49
	v_add3_u32 v52, v3, v38, v2
	v_mbcnt_lo_u32_b32 v2, -1, 0
	v_mbcnt_hi_u32_b32 v50, -1, v2
	v_and_b32_e32 v2, 15, v50
	v_cmp_eq_u32_e64 s[14:15], 0, v2
	v_cmp_lt_u32_e64 s[12:13], 1, v2
	v_cmp_lt_u32_e64 s[10:11], 3, v2
	;; [unrolled: 1-line block ×3, first 2 shown]
	v_and_b32_e32 v2, 16, v50
	v_cmp_eq_u32_e64 s[18:19], 0, v2
	v_or_b32_e32 v2, 63, v0
	s_cmp_lg_u32 s6, 0
	v_cmp_lt_u32_e64 s[2:3], 31, v50
	v_lshrrev_b32_e32 v51, 6, v0
	v_cmp_eq_u32_e64 s[4:5], v2, v0
	s_cbranch_scc0 .LBB1205_66
; %bb.36:
	v_mov_b32_dpp v2, v52 row_shr:1 row_mask:0xf bank_mask:0xf
	v_cndmask_b32_e64 v2, v2, 0, s[14:15]
	v_add_u32_e32 v2, v2, v52
	s_nop 1
	v_mov_b32_dpp v3, v2 row_shr:2 row_mask:0xf bank_mask:0xf
	v_cndmask_b32_e64 v3, 0, v3, s[12:13]
	v_add_u32_e32 v2, v2, v3
	s_nop 1
	;; [unrolled: 4-line block ×4, first 2 shown]
	v_mov_b32_dpp v3, v2 row_bcast:15 row_mask:0xf bank_mask:0xf
	v_cndmask_b32_e64 v3, v3, 0, s[18:19]
	v_add_u32_e32 v2, v2, v3
	s_nop 1
	v_mov_b32_dpp v3, v2 row_bcast:31 row_mask:0xf bank_mask:0xf
	v_cndmask_b32_e64 v3, 0, v3, s[2:3]
	v_add_u32_e32 v2, v2, v3
	s_and_saveexec_b64 s[16:17], s[4:5]
	s_cbranch_execz .LBB1205_38
; %bb.37:
	v_lshlrev_b32_e32 v3, 2, v51
	ds_write_b32 v3, v2
.LBB1205_38:
	s_or_b64 exec, exec, s[16:17]
	v_cmp_gt_u32_e32 vcc, 4, v0
	s_waitcnt lgkmcnt(0)
	s_barrier
	s_and_saveexec_b64 s[16:17], vcc
	s_cbranch_execz .LBB1205_40
; %bb.39:
	ds_read_b32 v3, v1
	v_and_b32_e32 v4, 3, v50
	v_cmp_ne_u32_e32 vcc, 0, v4
	s_waitcnt lgkmcnt(0)
	v_mov_b32_dpp v5, v3 row_shr:1 row_mask:0xf bank_mask:0xf
	v_cndmask_b32_e32 v5, 0, v5, vcc
	v_add_u32_e32 v3, v5, v3
	v_cmp_lt_u32_e32 vcc, 1, v4
	s_nop 0
	v_mov_b32_dpp v5, v3 row_shr:2 row_mask:0xf bank_mask:0xf
	v_cndmask_b32_e32 v4, 0, v5, vcc
	v_add_u32_e32 v3, v3, v4
	ds_write_b32 v1, v3
.LBB1205_40:
	s_or_b64 exec, exec, s[16:17]
	v_cmp_gt_u32_e32 vcc, 64, v0
	v_cmp_lt_u32_e64 s[16:17], 63, v0
	s_waitcnt lgkmcnt(0)
	s_barrier
	s_waitcnt lgkmcnt(0)
                                        ; implicit-def: $vgpr12
	s_and_saveexec_b64 s[36:37], s[16:17]
	s_cbranch_execz .LBB1205_42
; %bb.41:
	v_lshl_add_u32 v3, v51, 2, -4
	ds_read_b32 v12, v3
	s_waitcnt lgkmcnt(0)
	v_add_u32_e32 v2, v12, v2
.LBB1205_42:
	s_or_b64 exec, exec, s[36:37]
	v_add_u32_e32 v3, -1, v50
	v_and_b32_e32 v4, 64, v50
	v_cmp_lt_i32_e64 s[16:17], v3, v4
	v_cndmask_b32_e64 v3, v3, v50, s[16:17]
	v_lshlrev_b32_e32 v3, 2, v3
	ds_bpermute_b32 v13, v3, v2
	v_cmp_eq_u32_e64 s[16:17], 0, v50
	s_and_saveexec_b64 s[36:37], vcc
	s_cbranch_execz .LBB1205_65
; %bb.43:
	v_mov_b32_e32 v11, 0
	ds_read_b32 v2, v11 offset:12
	s_and_saveexec_b64 s[38:39], s[16:17]
	s_cbranch_execz .LBB1205_45
; %bb.44:
	s_add_i32 s40, s6, 64
	s_mov_b32 s41, 0
	s_lshl_b64 s[40:41], s[40:41], 3
	s_add_u32 s40, s34, s40
	v_mov_b32_e32 v3, 1
	s_addc_u32 s41, s35, s41
	s_waitcnt lgkmcnt(0)
	global_store_dwordx2 v11, v[2:3], s[40:41]
.LBB1205_45:
	s_or_b64 exec, exec, s[38:39]
	v_xad_u32 v4, v50, -1, s6
	v_add_u32_e32 v10, 64, v4
	v_lshlrev_b64 v[6:7], 3, v[10:11]
	v_mov_b32_e32 v3, s35
	v_add_co_u32_e32 v6, vcc, s34, v6
	v_addc_co_u32_e32 v7, vcc, v3, v7, vcc
	global_load_dwordx2 v[8:9], v[6:7], off glc
	s_waitcnt vmcnt(0)
	v_cmp_eq_u16_sdwa s[40:41], v9, v11 src0_sel:BYTE_0 src1_sel:DWORD
	s_and_saveexec_b64 s[38:39], s[40:41]
	s_cbranch_execz .LBB1205_51
; %bb.46:
	s_mov_b32 s7, 1
	s_mov_b64 s[40:41], 0
	v_mov_b32_e32 v3, 0
.LBB1205_47:                            ; =>This Loop Header: Depth=1
                                        ;     Child Loop BB1205_48 Depth 2
	s_max_u32 s43, s7, 1
.LBB1205_48:                            ;   Parent Loop BB1205_47 Depth=1
                                        ; =>  This Inner Loop Header: Depth=2
	s_add_i32 s43, s43, -1
	s_cmp_eq_u32 s43, 0
	s_sleep 1
	s_cbranch_scc0 .LBB1205_48
; %bb.49:                               ;   in Loop: Header=BB1205_47 Depth=1
	global_load_dwordx2 v[8:9], v[6:7], off glc
	s_cmp_lt_u32 s7, 32
	s_cselect_b64 s[44:45], -1, 0
	s_cmp_lg_u64 s[44:45], 0
	s_addc_u32 s7, s7, 0
	s_waitcnt vmcnt(0)
	v_cmp_ne_u16_sdwa s[44:45], v9, v3 src0_sel:BYTE_0 src1_sel:DWORD
	s_or_b64 s[40:41], s[44:45], s[40:41]
	s_andn2_b64 exec, exec, s[40:41]
	s_cbranch_execnz .LBB1205_47
; %bb.50:
	s_or_b64 exec, exec, s[40:41]
.LBB1205_51:
	s_or_b64 exec, exec, s[38:39]
	v_and_b32_e32 v14, 63, v50
	v_mov_b32_e32 v3, 2
	v_cmp_ne_u32_e32 vcc, 63, v14
	v_cmp_eq_u16_sdwa s[38:39], v9, v3 src0_sel:BYTE_0 src1_sel:DWORD
	v_lshlrev_b64 v[6:7], v50, -1
	v_addc_co_u32_e32 v11, vcc, 0, v50, vcc
	v_and_b32_e32 v5, s39, v7
	v_lshlrev_b32_e32 v15, 2, v11
	v_or_b32_e32 v5, 0x80000000, v5
	ds_bpermute_b32 v11, v15, v8
	v_and_b32_e32 v10, s38, v6
	v_ffbl_b32_e32 v5, v5
	v_add_u32_e32 v5, 32, v5
	v_ffbl_b32_e32 v10, v10
	v_min_u32_e32 v5, v10, v5
	v_cmp_lt_u32_e32 vcc, v14, v5
	s_waitcnt lgkmcnt(0)
	v_cndmask_b32_e32 v10, 0, v11, vcc
	v_cmp_gt_u32_e32 vcc, 62, v14
	v_add_u32_e32 v8, v10, v8
	v_cndmask_b32_e64 v10, 0, 1, vcc
	v_lshlrev_b32_e32 v10, 1, v10
	v_add_lshl_u32 v16, v10, v50, 2
	ds_bpermute_b32 v10, v16, v8
	v_add_u32_e32 v17, 2, v14
	v_cmp_le_u32_e32 vcc, v17, v5
	v_add_u32_e32 v19, 4, v14
	v_add_u32_e32 v54, 8, v14
	s_waitcnt lgkmcnt(0)
	v_cndmask_b32_e32 v10, 0, v10, vcc
	v_cmp_gt_u32_e32 vcc, 60, v14
	v_add_u32_e32 v8, v8, v10
	v_cndmask_b32_e64 v10, 0, 1, vcc
	v_lshlrev_b32_e32 v10, 2, v10
	v_add_lshl_u32 v18, v10, v50, 2
	ds_bpermute_b32 v10, v18, v8
	v_cmp_le_u32_e32 vcc, v19, v5
	v_add_u32_e32 v57, 16, v14
	v_add_u32_e32 v59, 32, v14
	s_waitcnt lgkmcnt(0)
	v_cndmask_b32_e32 v10, 0, v10, vcc
	v_cmp_gt_u32_e32 vcc, 56, v14
	v_add_u32_e32 v8, v8, v10
	v_cndmask_b32_e64 v10, 0, 1, vcc
	v_lshlrev_b32_e32 v10, 3, v10
	v_add_lshl_u32 v53, v10, v50, 2
	ds_bpermute_b32 v10, v53, v8
	v_cmp_le_u32_e32 vcc, v54, v5
	s_waitcnt lgkmcnt(0)
	v_cndmask_b32_e32 v10, 0, v10, vcc
	v_cmp_gt_u32_e32 vcc, 48, v14
	v_add_u32_e32 v8, v8, v10
	v_cndmask_b32_e64 v10, 0, 1, vcc
	v_lshlrev_b32_e32 v10, 4, v10
	v_add_lshl_u32 v56, v10, v50, 2
	ds_bpermute_b32 v10, v56, v8
	v_cmp_le_u32_e32 vcc, v57, v5
	s_waitcnt lgkmcnt(0)
	v_cndmask_b32_e32 v10, 0, v10, vcc
	v_cmp_gt_u32_e32 vcc, 32, v14
	v_add_u32_e32 v8, v8, v10
	v_cndmask_b32_e64 v10, 0, 1, vcc
	v_lshlrev_b32_e32 v10, 5, v10
	v_add_lshl_u32 v58, v10, v50, 2
	ds_bpermute_b32 v10, v58, v8
	v_cmp_le_u32_e32 vcc, v59, v5
	s_waitcnt lgkmcnt(0)
	v_cndmask_b32_e32 v5, 0, v10, vcc
	v_add_u32_e32 v8, v8, v5
	v_mov_b32_e32 v5, 0
	s_branch .LBB1205_53
.LBB1205_52:                            ;   in Loop: Header=BB1205_53 Depth=1
	s_or_b64 exec, exec, s[38:39]
	v_cmp_eq_u16_sdwa s[38:39], v9, v3 src0_sel:BYTE_0 src1_sel:DWORD
	v_and_b32_e32 v10, s39, v7
	v_or_b32_e32 v10, 0x80000000, v10
	ds_bpermute_b32 v60, v15, v8
	v_and_b32_e32 v11, s38, v6
	v_ffbl_b32_e32 v10, v10
	v_add_u32_e32 v10, 32, v10
	v_ffbl_b32_e32 v11, v11
	v_min_u32_e32 v10, v11, v10
	v_cmp_lt_u32_e32 vcc, v14, v10
	s_waitcnt lgkmcnt(0)
	v_cndmask_b32_e32 v11, 0, v60, vcc
	v_add_u32_e32 v8, v11, v8
	ds_bpermute_b32 v11, v16, v8
	v_cmp_le_u32_e32 vcc, v17, v10
	v_subrev_u32_e32 v4, 64, v4
	s_waitcnt lgkmcnt(0)
	v_cndmask_b32_e32 v11, 0, v11, vcc
	v_add_u32_e32 v8, v8, v11
	ds_bpermute_b32 v11, v18, v8
	v_cmp_le_u32_e32 vcc, v19, v10
	s_waitcnt lgkmcnt(0)
	v_cndmask_b32_e32 v11, 0, v11, vcc
	v_add_u32_e32 v8, v8, v11
	ds_bpermute_b32 v11, v53, v8
	v_cmp_le_u32_e32 vcc, v54, v10
	;; [unrolled: 5-line block ×4, first 2 shown]
	s_waitcnt lgkmcnt(0)
	v_cndmask_b32_e32 v10, 0, v11, vcc
	v_add3_u32 v8, v10, v55, v8
.LBB1205_53:                            ; =>This Loop Header: Depth=1
                                        ;     Child Loop BB1205_56 Depth 2
                                        ;       Child Loop BB1205_57 Depth 3
	v_cmp_ne_u16_sdwa s[38:39], v9, v3 src0_sel:BYTE_0 src1_sel:DWORD
	v_cndmask_b32_e64 v9, 0, 1, s[38:39]
	;;#ASMSTART
	;;#ASMEND
	v_cmp_ne_u32_e32 vcc, 0, v9
	s_cmp_lg_u64 vcc, exec
	v_mov_b32_e32 v55, v8
	s_cbranch_scc1 .LBB1205_60
; %bb.54:                               ;   in Loop: Header=BB1205_53 Depth=1
	v_lshlrev_b64 v[8:9], 3, v[4:5]
	v_mov_b32_e32 v11, s35
	v_add_co_u32_e32 v10, vcc, s34, v8
	v_addc_co_u32_e32 v11, vcc, v11, v9, vcc
	global_load_dwordx2 v[8:9], v[10:11], off glc
	s_waitcnt vmcnt(0)
	v_cmp_eq_u16_sdwa s[40:41], v9, v5 src0_sel:BYTE_0 src1_sel:DWORD
	s_and_saveexec_b64 s[38:39], s[40:41]
	s_cbranch_execz .LBB1205_52
; %bb.55:                               ;   in Loop: Header=BB1205_53 Depth=1
	s_mov_b32 s7, 1
	s_mov_b64 s[40:41], 0
.LBB1205_56:                            ;   Parent Loop BB1205_53 Depth=1
                                        ; =>  This Loop Header: Depth=2
                                        ;       Child Loop BB1205_57 Depth 3
	s_max_u32 s43, s7, 1
.LBB1205_57:                            ;   Parent Loop BB1205_53 Depth=1
                                        ;     Parent Loop BB1205_56 Depth=2
                                        ; =>    This Inner Loop Header: Depth=3
	s_add_i32 s43, s43, -1
	s_cmp_eq_u32 s43, 0
	s_sleep 1
	s_cbranch_scc0 .LBB1205_57
; %bb.58:                               ;   in Loop: Header=BB1205_56 Depth=2
	global_load_dwordx2 v[8:9], v[10:11], off glc
	s_cmp_lt_u32 s7, 32
	s_cselect_b64 s[44:45], -1, 0
	s_cmp_lg_u64 s[44:45], 0
	s_addc_u32 s7, s7, 0
	s_waitcnt vmcnt(0)
	v_cmp_ne_u16_sdwa s[44:45], v9, v5 src0_sel:BYTE_0 src1_sel:DWORD
	s_or_b64 s[40:41], s[44:45], s[40:41]
	s_andn2_b64 exec, exec, s[40:41]
	s_cbranch_execnz .LBB1205_56
; %bb.59:                               ;   in Loop: Header=BB1205_53 Depth=1
	s_or_b64 exec, exec, s[40:41]
	s_branch .LBB1205_52
.LBB1205_60:                            ;   in Loop: Header=BB1205_53 Depth=1
                                        ; implicit-def: $vgpr8
                                        ; implicit-def: $vgpr9
	s_cbranch_execz .LBB1205_53
; %bb.61:
	s_and_saveexec_b64 s[38:39], s[16:17]
	s_cbranch_execz .LBB1205_63
; %bb.62:
	s_add_i32 s6, s6, 64
	s_mov_b32 s7, 0
	s_lshl_b64 s[6:7], s[6:7], 3
	s_add_u32 s6, s34, s6
	v_add_u32_e32 v4, v55, v2
	v_mov_b32_e32 v5, 2
	s_addc_u32 s7, s35, s7
	v_mov_b32_e32 v3, 0
	global_store_dwordx2 v3, v[4:5], s[6:7]
	s_movk_i32 s6, 0x3400
	v_add_u32_e64 v3, s6, 0
	ds_write2_b32 v3, v2, v55 offset1:2
.LBB1205_63:
	s_or_b64 exec, exec, s[38:39]
	v_cmp_eq_u32_e32 vcc, 0, v0
	s_and_b64 exec, exec, vcc
	s_cbranch_execz .LBB1205_65
; %bb.64:
	v_mov_b32_e32 v2, 0
	ds_write_b32 v2, v55 offset:12
.LBB1205_65:
	s_or_b64 exec, exec, s[36:37]
	v_mov_b32_e32 v2, 0
	s_waitcnt lgkmcnt(0)
	s_barrier
	ds_read_b32 v2, v2 offset:12
	v_cndmask_b32_e64 v3, v13, v12, s[16:17]
	v_cmp_ne_u32_e32 vcc, 0, v0
	v_cndmask_b32_e32 v3, 0, v3, vcc
	s_movk_i32 s6, 0x3400
	s_waitcnt lgkmcnt(0)
	v_add_u32_e32 v2, v2, v3
	v_add_u32_e32 v3, v2, v41
	;; [unrolled: 1-line block ×8, first 2 shown]
	v_add_u32_e64 v12, s6, 0
	v_add_u32_e32 v10, v9, v39
	s_barrier
	ds_read2_b32 v[18:19], v12 offset1:2
	v_add_u32_e32 v11, v10, v47
	v_add_u32_e32 v12, v11, v48
	v_add_u32_e32 v13, v12, v49
	v_add_u32_e32 v14, v13, v38
	s_branch .LBB1205_76
.LBB1205_66:
                                        ; implicit-def: $vgpr19
                                        ; implicit-def: $vgpr2_vgpr3_vgpr4_vgpr5_vgpr6_vgpr7_vgpr8_vgpr9_vgpr10_vgpr11_vgpr12_vgpr13_vgpr14_vgpr15_vgpr16_vgpr17
	s_cbranch_execz .LBB1205_76
; %bb.67:
	s_nop 0
	v_mov_b32_dpp v2, v52 row_shr:1 row_mask:0xf bank_mask:0xf
	v_cndmask_b32_e64 v2, v2, 0, s[14:15]
	v_add_u32_e32 v2, v2, v52
	s_nop 1
	v_mov_b32_dpp v3, v2 row_shr:2 row_mask:0xf bank_mask:0xf
	v_cndmask_b32_e64 v3, 0, v3, s[12:13]
	v_add_u32_e32 v2, v2, v3
	s_nop 1
	v_mov_b32_dpp v3, v2 row_shr:4 row_mask:0xf bank_mask:0xf
	v_cndmask_b32_e64 v3, 0, v3, s[10:11]
	v_add_u32_e32 v2, v2, v3
	s_nop 1
	v_mov_b32_dpp v3, v2 row_shr:8 row_mask:0xf bank_mask:0xf
	v_cndmask_b32_e64 v3, 0, v3, s[8:9]
	v_add_u32_e32 v2, v2, v3
	s_nop 1
	v_mov_b32_dpp v3, v2 row_bcast:15 row_mask:0xf bank_mask:0xf
	v_cndmask_b32_e64 v3, v3, 0, s[18:19]
	v_add_u32_e32 v2, v2, v3
	s_nop 1
	v_mov_b32_dpp v3, v2 row_bcast:31 row_mask:0xf bank_mask:0xf
	v_cndmask_b32_e64 v3, 0, v3, s[2:3]
	v_add_u32_e32 v2, v2, v3
	s_and_saveexec_b64 s[2:3], s[4:5]
	s_cbranch_execz .LBB1205_69
; %bb.68:
	v_lshlrev_b32_e32 v3, 2, v51
	ds_write_b32 v3, v2
.LBB1205_69:
	s_or_b64 exec, exec, s[2:3]
	v_cmp_gt_u32_e32 vcc, 4, v0
	s_waitcnt lgkmcnt(0)
	s_barrier
	s_and_saveexec_b64 s[2:3], vcc
	s_cbranch_execz .LBB1205_71
; %bb.70:
	ds_read_b32 v3, v1
	v_and_b32_e32 v4, 3, v50
	v_cmp_ne_u32_e32 vcc, 0, v4
	s_waitcnt lgkmcnt(0)
	v_mov_b32_dpp v5, v3 row_shr:1 row_mask:0xf bank_mask:0xf
	v_cndmask_b32_e32 v5, 0, v5, vcc
	v_add_u32_e32 v3, v5, v3
	v_cmp_lt_u32_e32 vcc, 1, v4
	s_nop 0
	v_mov_b32_dpp v5, v3 row_shr:2 row_mask:0xf bank_mask:0xf
	v_cndmask_b32_e32 v4, 0, v5, vcc
	v_add_u32_e32 v3, v3, v4
	ds_write_b32 v1, v3
.LBB1205_71:
	s_or_b64 exec, exec, s[2:3]
	v_cmp_lt_u32_e32 vcc, 63, v0
	v_mov_b32_e32 v4, 0
	v_mov_b32_e32 v3, 0
	s_waitcnt lgkmcnt(0)
	s_barrier
	s_and_saveexec_b64 s[2:3], vcc
	s_cbranch_execz .LBB1205_73
; %bb.72:
	v_lshl_add_u32 v3, v51, 2, -4
	ds_read_b32 v3, v3
.LBB1205_73:
	s_or_b64 exec, exec, s[2:3]
	v_add_u32_e32 v5, -1, v50
	v_and_b32_e32 v6, 64, v50
	v_cmp_lt_i32_e32 vcc, v5, v6
	v_cndmask_b32_e32 v5, v5, v50, vcc
	s_waitcnt lgkmcnt(0)
	v_add_u32_e32 v2, v3, v2
	v_lshlrev_b32_e32 v5, 2, v5
	ds_bpermute_b32 v2, v5, v2
	ds_read_b32 v18, v4 offset:12
	v_cmp_eq_u32_e32 vcc, 0, v0
	s_and_saveexec_b64 s[2:3], vcc
	s_cbranch_execz .LBB1205_75
; %bb.74:
	v_mov_b32_e32 v4, 0
	v_mov_b32_e32 v19, 2
	s_waitcnt lgkmcnt(0)
	global_store_dwordx2 v4, v[18:19], s[34:35] offset:512
.LBB1205_75:
	s_or_b64 exec, exec, s[2:3]
	v_cmp_eq_u32_e64 s[2:3], 0, v50
	s_waitcnt lgkmcnt(1)
	v_cndmask_b32_e64 v2, v2, v3, s[2:3]
	v_cndmask_b32_e64 v2, v2, 0, vcc
	v_add_u32_e32 v3, v2, v41
	v_add_u32_e32 v4, v3, v42
	;; [unrolled: 1-line block ×11, first 2 shown]
	v_mov_b32_e32 v19, 0
	v_add_u32_e32 v14, v13, v38
	s_waitcnt lgkmcnt(0)
	s_barrier
.LBB1205_76:
	s_waitcnt lgkmcnt(0)
	v_add_u32_e32 v33, v18, v33
	v_sub_u32_e32 v2, v2, v19
	v_and_b32_e32 v42, 1, v37
	v_sub_u32_e32 v41, v33, v2
	v_cmp_eq_u32_e32 vcc, 1, v42
	v_cndmask_b32_e32 v2, v41, v2, vcc
	v_lshlrev_b32_e32 v2, 2, v2
	v_lshrrev_b32_e32 v17, 8, v37
	ds_write_b32 v2, v30
	v_sub_u32_e32 v2, v3, v19
	v_sub_u32_e32 v3, v33, v2
	v_and_b32_e32 v17, 1, v17
	v_add_u32_e32 v3, 1, v3
	v_cmp_eq_u32_e32 vcc, 1, v17
	v_cndmask_b32_e32 v2, v3, v2, vcc
	v_lshlrev_b32_e32 v2, 2, v2
	ds_write_b32 v2, v31
	v_sub_u32_e32 v2, v4, v19
	v_mov_b32_e32 v4, 1
	v_sub_u32_e32 v3, v33, v2
	v_and_b32_sdwa v17, v4, v37 dst_sel:DWORD dst_unused:UNUSED_PAD src0_sel:DWORD src1_sel:WORD_1
	v_add_u32_e32 v3, 2, v3
	v_cmp_eq_u32_e32 vcc, 1, v17
	v_cndmask_b32_e32 v2, v3, v2, vcc
	v_lshlrev_b32_e32 v2, 2, v2
	ds_write_b32 v2, v28
	v_sub_u32_e32 v2, v5, v19
	v_sub_u32_e32 v3, v33, v2
	v_and_b32_e32 v5, 1, v40
	v_add_u32_e32 v3, 3, v3
	v_cmp_eq_u32_e32 vcc, 1, v5
	v_cndmask_b32_e32 v2, v3, v2, vcc
	v_lshlrev_b32_e32 v2, 2, v2
	ds_write_b32 v2, v29
	v_sub_u32_e32 v2, v6, v19
	v_sub_u32_e32 v3, v33, v2
	v_and_b32_e32 v5, 1, v36
	v_add_u32_e32 v3, 4, v3
	v_cmp_eq_u32_e32 vcc, 1, v5
	v_cndmask_b32_e32 v2, v3, v2, vcc
	v_lshlrev_b32_e32 v2, 2, v2
	v_lshrrev_b32_e32 v16, 8, v36
	ds_write_b32 v2, v26
	v_sub_u32_e32 v2, v7, v19
	v_sub_u32_e32 v3, v33, v2
	v_and_b32_e32 v5, 1, v16
	v_add_u32_e32 v3, 5, v3
	v_cmp_eq_u32_e32 vcc, 1, v5
	v_cndmask_b32_e32 v2, v3, v2, vcc
	v_lshlrev_b32_e32 v2, 2, v2
	ds_write_b32 v2, v27
	v_sub_u32_e32 v2, v8, v19
	v_sub_u32_e32 v3, v33, v2
	v_and_b32_sdwa v5, v4, v36 dst_sel:DWORD dst_unused:UNUSED_PAD src0_sel:DWORD src1_sel:WORD_1
	v_add_u32_e32 v3, 6, v3
	v_cmp_eq_u32_e32 vcc, 1, v5
	v_cndmask_b32_e32 v2, v3, v2, vcc
	v_lshlrev_b32_e32 v2, 2, v2
	ds_write_b32 v2, v24
	v_sub_u32_e32 v2, v9, v19
	v_sub_u32_e32 v3, v33, v2
	v_and_b32_e32 v5, 1, v39
	v_add_u32_e32 v3, 7, v3
	v_cmp_eq_u32_e32 vcc, 1, v5
	v_cndmask_b32_e32 v2, v3, v2, vcc
	v_lshlrev_b32_e32 v2, 2, v2
	ds_write_b32 v2, v25
	v_sub_u32_e32 v2, v10, v19
	v_sub_u32_e32 v3, v33, v2
	v_and_b32_e32 v5, 1, v35
	v_add_u32_e32 v3, 8, v3
	v_cmp_eq_u32_e32 vcc, 1, v5
	v_cndmask_b32_e32 v2, v3, v2, vcc
	v_lshlrev_b32_e32 v2, 2, v2
	v_lshrrev_b32_e32 v15, 8, v35
	ds_write_b32 v2, v22
	v_sub_u32_e32 v2, v11, v19
	v_sub_u32_e32 v3, v33, v2
	v_and_b32_e32 v5, 1, v15
	v_add_u32_e32 v3, 9, v3
	v_cmp_eq_u32_e32 vcc, 1, v5
	v_cndmask_b32_e32 v2, v3, v2, vcc
	v_lshlrev_b32_e32 v2, 2, v2
	ds_write_b32 v2, v23
	v_sub_u32_e32 v2, v12, v19
	v_sub_u32_e32 v3, v33, v2
	v_and_b32_sdwa v4, v4, v35 dst_sel:DWORD dst_unused:UNUSED_PAD src0_sel:DWORD src1_sel:WORD_1
	v_add_u32_e32 v3, 10, v3
	v_cmp_eq_u32_e32 vcc, 1, v4
	v_cndmask_b32_e32 v2, v3, v2, vcc
	v_lshlrev_b32_e32 v2, 2, v2
	ds_write_b32 v2, v20
	v_sub_u32_e32 v2, v13, v19
	v_sub_u32_e32 v3, v33, v2
	v_and_b32_e32 v4, 1, v38
	v_add_u32_e32 v3, 11, v3
	v_cmp_eq_u32_e32 vcc, 1, v4
	v_cndmask_b32_e32 v2, v3, v2, vcc
	v_lshlrev_b32_e32 v2, 2, v2
	ds_write_b32 v2, v21
	v_sub_u32_e32 v2, v14, v19
	v_sub_u32_e32 v3, v33, v2
	v_and_b32_e32 v4, 1, v34
	v_add_u32_e32 v3, 12, v3
	v_cmp_eq_u32_e32 vcc, 1, v4
	v_cndmask_b32_e32 v2, v3, v2, vcc
	s_add_u32 s2, s28, s42
	v_lshlrev_b32_e32 v2, 2, v2
	s_addc_u32 s3, s29, 0
	ds_write_b32 v2, v32
	s_waitcnt lgkmcnt(0)
	s_barrier
	ds_read2st64_b32 v[12:13], v1 offset1:4
	ds_read2st64_b32 v[10:11], v1 offset0:8 offset1:12
	ds_read2st64_b32 v[8:9], v1 offset0:16 offset1:20
	;; [unrolled: 1-line block ×5, first 2 shown]
	ds_read_b32 v17, v1 offset:12288
	v_mov_b32_e32 v14, s31
	v_add_co_u32_e32 v1, vcc, s30, v19
	s_sub_u32 s2, s26, s2
	v_addc_co_u32_e32 v16, vcc, 0, v14, vcc
	s_subb_u32 s3, s27, s3
	v_mov_b32_e32 v14, s3
	v_add_co_u32_e32 v15, vcc, s2, v18
	v_addc_co_u32_e32 v14, vcc, 0, v14, vcc
	s_and_b64 vcc, exec, s[0:1]
	v_add_co_u32_e64 v19, s[0:1], v15, v1
	v_or_b32_e32 v32, 0x100, v0
	v_or_b32_e32 v31, 0x200, v0
	;; [unrolled: 1-line block ×12, first 2 shown]
	v_addc_co_u32_e64 v21, s[0:1], v14, v16, s[0:1]
	s_cbranch_vccnz .LBB1205_130
; %bb.77:
	v_cmp_ge_u32_e32 vcc, v0, v18
                                        ; implicit-def: $vgpr14_vgpr15
	s_and_saveexec_b64 s[0:1], vcc
	s_xor_b64 s[0:1], exec, s[0:1]
; %bb.78:
	v_not_b32_e32 v14, v0
	v_ashrrev_i32_e32 v15, 31, v14
	v_add_co_u32_e32 v14, vcc, v19, v14
	v_addc_co_u32_e32 v15, vcc, v21, v15, vcc
; %bb.79:
	s_andn2_saveexec_b64 s[0:1], s[0:1]
; %bb.80:
	v_add_co_u32_e32 v14, vcc, v1, v0
	v_addc_co_u32_e32 v15, vcc, 0, v16, vcc
; %bb.81:
	s_or_b64 exec, exec, s[0:1]
	v_lshlrev_b64 v[14:15], 2, v[14:15]
	v_mov_b32_e32 v33, s25
	v_add_co_u32_e32 v14, vcc, s24, v14
	v_addc_co_u32_e32 v15, vcc, v33, v15, vcc
	v_cmp_ge_u32_e32 vcc, v32, v18
	s_waitcnt lgkmcnt(6)
	global_store_dword v[14:15], v12, off
                                        ; implicit-def: $vgpr14_vgpr15
	s_and_saveexec_b64 s[0:1], vcc
	s_xor_b64 s[0:1], exec, s[0:1]
; %bb.82:
	v_xor_b32_e32 v14, 0xfffffeff, v0
	v_ashrrev_i32_e32 v15, 31, v14
	v_add_co_u32_e32 v14, vcc, v19, v14
	v_addc_co_u32_e32 v15, vcc, v21, v15, vcc
; %bb.83:
	s_andn2_saveexec_b64 s[0:1], s[0:1]
; %bb.84:
	v_add_co_u32_e32 v14, vcc, v1, v32
	v_addc_co_u32_e32 v15, vcc, 0, v16, vcc
; %bb.85:
	s_or_b64 exec, exec, s[0:1]
	v_lshlrev_b64 v[14:15], 2, v[14:15]
	v_mov_b32_e32 v33, s25
	v_add_co_u32_e32 v14, vcc, s24, v14
	v_addc_co_u32_e32 v15, vcc, v33, v15, vcc
	v_cmp_ge_u32_e32 vcc, v31, v18
	global_store_dword v[14:15], v13, off
                                        ; implicit-def: $vgpr14_vgpr15
	s_and_saveexec_b64 s[0:1], vcc
	s_xor_b64 s[0:1], exec, s[0:1]
; %bb.86:
	v_xor_b32_e32 v14, 0xfffffdff, v0
	v_ashrrev_i32_e32 v15, 31, v14
	v_add_co_u32_e32 v14, vcc, v19, v14
	v_addc_co_u32_e32 v15, vcc, v21, v15, vcc
; %bb.87:
	s_andn2_saveexec_b64 s[0:1], s[0:1]
; %bb.88:
	v_add_co_u32_e32 v14, vcc, v1, v31
	v_addc_co_u32_e32 v15, vcc, 0, v16, vcc
; %bb.89:
	s_or_b64 exec, exec, s[0:1]
	v_lshlrev_b64 v[14:15], 2, v[14:15]
	v_mov_b32_e32 v33, s25
	v_add_co_u32_e32 v14, vcc, s24, v14
	v_addc_co_u32_e32 v15, vcc, v33, v15, vcc
	v_cmp_ge_u32_e32 vcc, v30, v18
	s_waitcnt lgkmcnt(5)
	global_store_dword v[14:15], v10, off
                                        ; implicit-def: $vgpr14_vgpr15
	s_and_saveexec_b64 s[0:1], vcc
	s_xor_b64 s[0:1], exec, s[0:1]
; %bb.90:
	v_xor_b32_e32 v14, 0xfffffcff, v0
	v_ashrrev_i32_e32 v15, 31, v14
	v_add_co_u32_e32 v14, vcc, v19, v14
	v_addc_co_u32_e32 v15, vcc, v21, v15, vcc
; %bb.91:
	s_andn2_saveexec_b64 s[0:1], s[0:1]
; %bb.92:
	v_add_co_u32_e32 v14, vcc, v1, v30
	v_addc_co_u32_e32 v15, vcc, 0, v16, vcc
; %bb.93:
	s_or_b64 exec, exec, s[0:1]
	v_lshlrev_b64 v[14:15], 2, v[14:15]
	v_mov_b32_e32 v33, s25
	v_add_co_u32_e32 v14, vcc, s24, v14
	v_addc_co_u32_e32 v15, vcc, v33, v15, vcc
	v_cmp_ge_u32_e32 vcc, v29, v18
	global_store_dword v[14:15], v11, off
                                        ; implicit-def: $vgpr14_vgpr15
	s_and_saveexec_b64 s[0:1], vcc
	s_xor_b64 s[0:1], exec, s[0:1]
; %bb.94:
	v_xor_b32_e32 v14, 0xfffffbff, v0
	v_ashrrev_i32_e32 v15, 31, v14
	v_add_co_u32_e32 v14, vcc, v19, v14
	v_addc_co_u32_e32 v15, vcc, v21, v15, vcc
; %bb.95:
	s_andn2_saveexec_b64 s[0:1], s[0:1]
; %bb.96:
	v_add_co_u32_e32 v14, vcc, v1, v29
	v_addc_co_u32_e32 v15, vcc, 0, v16, vcc
; %bb.97:
	s_or_b64 exec, exec, s[0:1]
	v_lshlrev_b64 v[14:15], 2, v[14:15]
	v_mov_b32_e32 v33, s25
	v_add_co_u32_e32 v14, vcc, s24, v14
	v_addc_co_u32_e32 v15, vcc, v33, v15, vcc
	v_cmp_ge_u32_e32 vcc, v28, v18
	s_waitcnt lgkmcnt(4)
	global_store_dword v[14:15], v8, off
                                        ; implicit-def: $vgpr14_vgpr15
	s_and_saveexec_b64 s[0:1], vcc
	s_xor_b64 s[0:1], exec, s[0:1]
; %bb.98:
	v_xor_b32_e32 v14, 0xfffffaff, v0
	v_ashrrev_i32_e32 v15, 31, v14
	v_add_co_u32_e32 v14, vcc, v19, v14
	v_addc_co_u32_e32 v15, vcc, v21, v15, vcc
; %bb.99:
	s_andn2_saveexec_b64 s[0:1], s[0:1]
; %bb.100:
	v_add_co_u32_e32 v14, vcc, v1, v28
	v_addc_co_u32_e32 v15, vcc, 0, v16, vcc
; %bb.101:
	s_or_b64 exec, exec, s[0:1]
	v_lshlrev_b64 v[14:15], 2, v[14:15]
	v_mov_b32_e32 v33, s25
	v_add_co_u32_e32 v14, vcc, s24, v14
	v_addc_co_u32_e32 v15, vcc, v33, v15, vcc
	v_cmp_ge_u32_e32 vcc, v27, v18
	global_store_dword v[14:15], v9, off
                                        ; implicit-def: $vgpr14_vgpr15
	s_and_saveexec_b64 s[0:1], vcc
	s_xor_b64 s[0:1], exec, s[0:1]
; %bb.102:
	v_xor_b32_e32 v14, 0xfffff9ff, v0
	v_ashrrev_i32_e32 v15, 31, v14
	v_add_co_u32_e32 v14, vcc, v19, v14
	v_addc_co_u32_e32 v15, vcc, v21, v15, vcc
; %bb.103:
	s_andn2_saveexec_b64 s[0:1], s[0:1]
; %bb.104:
	v_add_co_u32_e32 v14, vcc, v1, v27
	v_addc_co_u32_e32 v15, vcc, 0, v16, vcc
; %bb.105:
	s_or_b64 exec, exec, s[0:1]
	v_lshlrev_b64 v[14:15], 2, v[14:15]
	v_mov_b32_e32 v33, s25
	v_add_co_u32_e32 v14, vcc, s24, v14
	v_addc_co_u32_e32 v15, vcc, v33, v15, vcc
	v_cmp_ge_u32_e32 vcc, v26, v18
	s_waitcnt lgkmcnt(3)
	global_store_dword v[14:15], v6, off
                                        ; implicit-def: $vgpr14_vgpr15
	s_and_saveexec_b64 s[0:1], vcc
	s_xor_b64 s[0:1], exec, s[0:1]
; %bb.106:
	v_xor_b32_e32 v14, 0xfffff8ff, v0
	v_ashrrev_i32_e32 v15, 31, v14
	v_add_co_u32_e32 v14, vcc, v19, v14
	v_addc_co_u32_e32 v15, vcc, v21, v15, vcc
; %bb.107:
	s_andn2_saveexec_b64 s[0:1], s[0:1]
; %bb.108:
	v_add_co_u32_e32 v14, vcc, v1, v26
	v_addc_co_u32_e32 v15, vcc, 0, v16, vcc
; %bb.109:
	s_or_b64 exec, exec, s[0:1]
	v_lshlrev_b64 v[14:15], 2, v[14:15]
	v_mov_b32_e32 v33, s25
	v_add_co_u32_e32 v14, vcc, s24, v14
	v_addc_co_u32_e32 v15, vcc, v33, v15, vcc
	v_cmp_ge_u32_e32 vcc, v25, v18
	global_store_dword v[14:15], v7, off
                                        ; implicit-def: $vgpr14_vgpr15
	s_and_saveexec_b64 s[0:1], vcc
	s_xor_b64 s[0:1], exec, s[0:1]
; %bb.110:
	v_xor_b32_e32 v14, 0xfffff7ff, v0
	v_ashrrev_i32_e32 v15, 31, v14
	v_add_co_u32_e32 v14, vcc, v19, v14
	v_addc_co_u32_e32 v15, vcc, v21, v15, vcc
; %bb.111:
	s_andn2_saveexec_b64 s[0:1], s[0:1]
; %bb.112:
	v_add_co_u32_e32 v14, vcc, v1, v25
	v_addc_co_u32_e32 v15, vcc, 0, v16, vcc
; %bb.113:
	s_or_b64 exec, exec, s[0:1]
	v_lshlrev_b64 v[14:15], 2, v[14:15]
	v_mov_b32_e32 v33, s25
	v_add_co_u32_e32 v14, vcc, s24, v14
	v_addc_co_u32_e32 v15, vcc, v33, v15, vcc
	v_cmp_ge_u32_e32 vcc, v24, v18
	s_waitcnt lgkmcnt(2)
	global_store_dword v[14:15], v4, off
                                        ; implicit-def: $vgpr14_vgpr15
	s_and_saveexec_b64 s[0:1], vcc
	s_xor_b64 s[0:1], exec, s[0:1]
; %bb.114:
	v_xor_b32_e32 v14, 0xfffff6ff, v0
	v_ashrrev_i32_e32 v15, 31, v14
	v_add_co_u32_e32 v14, vcc, v19, v14
	v_addc_co_u32_e32 v15, vcc, v21, v15, vcc
; %bb.115:
	s_andn2_saveexec_b64 s[0:1], s[0:1]
; %bb.116:
	v_add_co_u32_e32 v14, vcc, v1, v24
	v_addc_co_u32_e32 v15, vcc, 0, v16, vcc
; %bb.117:
	s_or_b64 exec, exec, s[0:1]
	v_lshlrev_b64 v[14:15], 2, v[14:15]
	v_mov_b32_e32 v33, s25
	v_add_co_u32_e32 v14, vcc, s24, v14
	v_addc_co_u32_e32 v15, vcc, v33, v15, vcc
	v_cmp_ge_u32_e32 vcc, v23, v18
	global_store_dword v[14:15], v5, off
                                        ; implicit-def: $vgpr14_vgpr15
	s_and_saveexec_b64 s[0:1], vcc
	s_xor_b64 s[0:1], exec, s[0:1]
; %bb.118:
	v_xor_b32_e32 v14, 0xfffff5ff, v0
	v_ashrrev_i32_e32 v15, 31, v14
	v_add_co_u32_e32 v14, vcc, v19, v14
	v_addc_co_u32_e32 v15, vcc, v21, v15, vcc
; %bb.119:
	s_andn2_saveexec_b64 s[0:1], s[0:1]
; %bb.120:
	v_add_co_u32_e32 v14, vcc, v1, v23
	v_addc_co_u32_e32 v15, vcc, 0, v16, vcc
; %bb.121:
	s_or_b64 exec, exec, s[0:1]
	v_lshlrev_b64 v[14:15], 2, v[14:15]
	v_mov_b32_e32 v33, s25
	v_add_co_u32_e32 v14, vcc, s24, v14
	v_addc_co_u32_e32 v15, vcc, v33, v15, vcc
	v_cmp_ge_u32_e32 vcc, v22, v18
	s_waitcnt lgkmcnt(1)
	global_store_dword v[14:15], v2, off
                                        ; implicit-def: $vgpr14_vgpr15
	s_and_saveexec_b64 s[0:1], vcc
	s_xor_b64 s[0:1], exec, s[0:1]
; %bb.122:
	v_xor_b32_e32 v14, 0xfffff4ff, v0
	v_ashrrev_i32_e32 v15, 31, v14
	v_add_co_u32_e32 v14, vcc, v19, v14
	v_addc_co_u32_e32 v15, vcc, v21, v15, vcc
; %bb.123:
	s_andn2_saveexec_b64 s[0:1], s[0:1]
; %bb.124:
	v_add_co_u32_e32 v14, vcc, v1, v22
	v_addc_co_u32_e32 v15, vcc, 0, v16, vcc
; %bb.125:
	s_or_b64 exec, exec, s[0:1]
	v_lshlrev_b64 v[14:15], 2, v[14:15]
	v_mov_b32_e32 v33, s25
	v_add_co_u32_e32 v14, vcc, s24, v14
	v_addc_co_u32_e32 v15, vcc, v33, v15, vcc
	v_cmp_ge_u32_e32 vcc, v20, v18
	global_store_dword v[14:15], v3, off
                                        ; implicit-def: $vgpr14_vgpr15
	s_and_saveexec_b64 s[0:1], vcc
	s_xor_b64 s[0:1], exec, s[0:1]
; %bb.126:
	v_xor_b32_e32 v14, 0xfffff3ff, v0
	v_ashrrev_i32_e32 v15, 31, v14
	v_add_co_u32_e32 v14, vcc, v19, v14
	v_addc_co_u32_e32 v15, vcc, v21, v15, vcc
; %bb.127:
	s_andn2_saveexec_b64 s[0:1], s[0:1]
; %bb.128:
	v_add_co_u32_e32 v14, vcc, v1, v20
	v_addc_co_u32_e32 v15, vcc, 0, v16, vcc
; %bb.129:
	s_or_b64 exec, exec, s[0:1]
	s_mov_b64 s[0:1], -1
	s_branch .LBB1205_210
.LBB1205_130:
	s_mov_b64 s[0:1], 0
                                        ; implicit-def: $vgpr14_vgpr15
	s_cbranch_execz .LBB1205_210
; %bb.131:
	v_cmp_gt_u32_e32 vcc, s33, v0
	s_and_saveexec_b64 s[2:3], vcc
	s_cbranch_execz .LBB1205_167
; %bb.132:
	v_cmp_ge_u32_e32 vcc, v0, v18
                                        ; implicit-def: $vgpr14_vgpr15
	s_and_saveexec_b64 s[4:5], vcc
	s_xor_b64 s[4:5], exec, s[4:5]
; %bb.133:
	v_not_b32_e32 v14, v0
	v_ashrrev_i32_e32 v15, 31, v14
	v_add_co_u32_e32 v14, vcc, v19, v14
	v_addc_co_u32_e32 v15, vcc, v21, v15, vcc
; %bb.134:
	s_andn2_saveexec_b64 s[4:5], s[4:5]
; %bb.135:
	v_add_co_u32_e32 v14, vcc, v1, v0
	v_addc_co_u32_e32 v15, vcc, 0, v16, vcc
; %bb.136:
	s_or_b64 exec, exec, s[4:5]
	v_lshlrev_b64 v[14:15], 2, v[14:15]
	v_mov_b32_e32 v33, s25
	v_add_co_u32_e32 v14, vcc, s24, v14
	v_addc_co_u32_e32 v15, vcc, v33, v15, vcc
	s_waitcnt lgkmcnt(6)
	global_store_dword v[14:15], v12, off
	s_or_b64 exec, exec, s[2:3]
	v_cmp_gt_u32_e32 vcc, s33, v32
	s_and_saveexec_b64 s[2:3], vcc
	s_cbranch_execnz .LBB1205_168
.LBB1205_137:
	s_or_b64 exec, exec, s[2:3]
	v_cmp_gt_u32_e32 vcc, s33, v31
	s_and_saveexec_b64 s[2:3], vcc
	s_cbranch_execz .LBB1205_173
.LBB1205_138:
	v_cmp_ge_u32_e32 vcc, v31, v18
                                        ; implicit-def: $vgpr12_vgpr13
	s_and_saveexec_b64 s[4:5], vcc
	s_xor_b64 s[4:5], exec, s[4:5]
	s_cbranch_execz .LBB1205_140
; %bb.139:
	s_waitcnt lgkmcnt(6)
	v_xor_b32_e32 v12, 0xfffffdff, v0
	v_ashrrev_i32_e32 v13, 31, v12
	v_add_co_u32_e32 v12, vcc, v19, v12
	v_addc_co_u32_e32 v13, vcc, v21, v13, vcc
                                        ; implicit-def: $vgpr31
.LBB1205_140:
	s_andn2_saveexec_b64 s[4:5], s[4:5]
	s_cbranch_execz .LBB1205_142
; %bb.141:
	s_waitcnt lgkmcnt(6)
	v_add_co_u32_e32 v12, vcc, v1, v31
	v_addc_co_u32_e32 v13, vcc, 0, v16, vcc
.LBB1205_142:
	s_or_b64 exec, exec, s[4:5]
	s_waitcnt lgkmcnt(6)
	v_lshlrev_b64 v[12:13], 2, v[12:13]
	v_mov_b32_e32 v14, s25
	v_add_co_u32_e32 v12, vcc, s24, v12
	v_addc_co_u32_e32 v13, vcc, v14, v13, vcc
	s_waitcnt lgkmcnt(5)
	global_store_dword v[12:13], v10, off
	s_or_b64 exec, exec, s[2:3]
	v_cmp_gt_u32_e32 vcc, s33, v30
	s_and_saveexec_b64 s[2:3], vcc
	s_cbranch_execnz .LBB1205_174
.LBB1205_143:
	s_or_b64 exec, exec, s[2:3]
	v_cmp_gt_u32_e32 vcc, s33, v29
	s_and_saveexec_b64 s[2:3], vcc
	s_cbranch_execz .LBB1205_179
.LBB1205_144:
	v_cmp_ge_u32_e32 vcc, v29, v18
                                        ; implicit-def: $vgpr10_vgpr11
	s_and_saveexec_b64 s[4:5], vcc
	s_xor_b64 s[4:5], exec, s[4:5]
	s_cbranch_execz .LBB1205_146
; %bb.145:
	s_waitcnt lgkmcnt(5)
	v_xor_b32_e32 v10, 0xfffffbff, v0
	v_ashrrev_i32_e32 v11, 31, v10
	v_add_co_u32_e32 v10, vcc, v19, v10
	v_addc_co_u32_e32 v11, vcc, v21, v11, vcc
                                        ; implicit-def: $vgpr29
.LBB1205_146:
	s_andn2_saveexec_b64 s[4:5], s[4:5]
	s_cbranch_execz .LBB1205_148
; %bb.147:
	s_waitcnt lgkmcnt(5)
	v_add_co_u32_e32 v10, vcc, v1, v29
	v_addc_co_u32_e32 v11, vcc, 0, v16, vcc
.LBB1205_148:
	s_or_b64 exec, exec, s[4:5]
	s_waitcnt lgkmcnt(5)
	v_lshlrev_b64 v[10:11], 2, v[10:11]
	v_mov_b32_e32 v12, s25
	v_add_co_u32_e32 v10, vcc, s24, v10
	v_addc_co_u32_e32 v11, vcc, v12, v11, vcc
	s_waitcnt lgkmcnt(4)
	global_store_dword v[10:11], v8, off
	s_or_b64 exec, exec, s[2:3]
	v_cmp_gt_u32_e32 vcc, s33, v28
	s_and_saveexec_b64 s[2:3], vcc
	s_cbranch_execnz .LBB1205_180
.LBB1205_149:
	s_or_b64 exec, exec, s[2:3]
	v_cmp_gt_u32_e32 vcc, s33, v27
	s_and_saveexec_b64 s[2:3], vcc
	s_cbranch_execz .LBB1205_185
.LBB1205_150:
	v_cmp_ge_u32_e32 vcc, v27, v18
                                        ; implicit-def: $vgpr8_vgpr9
	s_and_saveexec_b64 s[4:5], vcc
	s_xor_b64 s[4:5], exec, s[4:5]
	s_cbranch_execz .LBB1205_152
; %bb.151:
	s_waitcnt lgkmcnt(4)
	v_xor_b32_e32 v8, 0xfffff9ff, v0
	v_ashrrev_i32_e32 v9, 31, v8
	v_add_co_u32_e32 v8, vcc, v19, v8
	v_addc_co_u32_e32 v9, vcc, v21, v9, vcc
                                        ; implicit-def: $vgpr27
.LBB1205_152:
	s_andn2_saveexec_b64 s[4:5], s[4:5]
	s_cbranch_execz .LBB1205_154
; %bb.153:
	s_waitcnt lgkmcnt(4)
	v_add_co_u32_e32 v8, vcc, v1, v27
	v_addc_co_u32_e32 v9, vcc, 0, v16, vcc
.LBB1205_154:
	s_or_b64 exec, exec, s[4:5]
	s_waitcnt lgkmcnt(4)
	v_lshlrev_b64 v[8:9], 2, v[8:9]
	v_mov_b32_e32 v10, s25
	v_add_co_u32_e32 v8, vcc, s24, v8
	v_addc_co_u32_e32 v9, vcc, v10, v9, vcc
	s_waitcnt lgkmcnt(3)
	global_store_dword v[8:9], v6, off
	s_or_b64 exec, exec, s[2:3]
	v_cmp_gt_u32_e32 vcc, s33, v26
	s_and_saveexec_b64 s[2:3], vcc
	s_cbranch_execnz .LBB1205_186
.LBB1205_155:
	s_or_b64 exec, exec, s[2:3]
	v_cmp_gt_u32_e32 vcc, s33, v25
	s_and_saveexec_b64 s[2:3], vcc
	s_cbranch_execz .LBB1205_191
.LBB1205_156:
	v_cmp_ge_u32_e32 vcc, v25, v18
                                        ; implicit-def: $vgpr6_vgpr7
	s_and_saveexec_b64 s[4:5], vcc
	s_xor_b64 s[4:5], exec, s[4:5]
	s_cbranch_execz .LBB1205_158
; %bb.157:
	s_waitcnt lgkmcnt(3)
	v_xor_b32_e32 v6, 0xfffff7ff, v0
	v_ashrrev_i32_e32 v7, 31, v6
	v_add_co_u32_e32 v6, vcc, v19, v6
	v_addc_co_u32_e32 v7, vcc, v21, v7, vcc
                                        ; implicit-def: $vgpr25
.LBB1205_158:
	s_andn2_saveexec_b64 s[4:5], s[4:5]
	s_cbranch_execz .LBB1205_160
; %bb.159:
	s_waitcnt lgkmcnt(3)
	v_add_co_u32_e32 v6, vcc, v1, v25
	v_addc_co_u32_e32 v7, vcc, 0, v16, vcc
.LBB1205_160:
	s_or_b64 exec, exec, s[4:5]
	s_waitcnt lgkmcnt(3)
	v_lshlrev_b64 v[6:7], 2, v[6:7]
	v_mov_b32_e32 v8, s25
	v_add_co_u32_e32 v6, vcc, s24, v6
	v_addc_co_u32_e32 v7, vcc, v8, v7, vcc
	s_waitcnt lgkmcnt(2)
	global_store_dword v[6:7], v4, off
	s_or_b64 exec, exec, s[2:3]
	v_cmp_gt_u32_e32 vcc, s33, v24
	s_and_saveexec_b64 s[2:3], vcc
	s_cbranch_execnz .LBB1205_192
.LBB1205_161:
	s_or_b64 exec, exec, s[2:3]
	v_cmp_gt_u32_e32 vcc, s33, v23
	s_and_saveexec_b64 s[2:3], vcc
	s_cbranch_execz .LBB1205_197
.LBB1205_162:
	v_cmp_ge_u32_e32 vcc, v23, v18
                                        ; implicit-def: $vgpr4_vgpr5
	s_and_saveexec_b64 s[4:5], vcc
	s_xor_b64 s[4:5], exec, s[4:5]
	s_cbranch_execz .LBB1205_164
; %bb.163:
	s_waitcnt lgkmcnt(2)
	v_xor_b32_e32 v4, 0xfffff5ff, v0
	v_ashrrev_i32_e32 v5, 31, v4
	v_add_co_u32_e32 v4, vcc, v19, v4
	v_addc_co_u32_e32 v5, vcc, v21, v5, vcc
                                        ; implicit-def: $vgpr23
.LBB1205_164:
	s_andn2_saveexec_b64 s[4:5], s[4:5]
	s_cbranch_execz .LBB1205_166
; %bb.165:
	s_waitcnt lgkmcnt(2)
	v_add_co_u32_e32 v4, vcc, v1, v23
	v_addc_co_u32_e32 v5, vcc, 0, v16, vcc
.LBB1205_166:
	s_or_b64 exec, exec, s[4:5]
	s_waitcnt lgkmcnt(2)
	v_lshlrev_b64 v[4:5], 2, v[4:5]
	v_mov_b32_e32 v6, s25
	v_add_co_u32_e32 v4, vcc, s24, v4
	v_addc_co_u32_e32 v5, vcc, v6, v5, vcc
	s_waitcnt lgkmcnt(1)
	global_store_dword v[4:5], v2, off
	s_or_b64 exec, exec, s[2:3]
	v_cmp_gt_u32_e32 vcc, s33, v22
	s_and_saveexec_b64 s[2:3], vcc
	s_cbranch_execz .LBB1205_203
	s_branch .LBB1205_198
.LBB1205_167:
	s_or_b64 exec, exec, s[2:3]
	v_cmp_gt_u32_e32 vcc, s33, v32
	s_and_saveexec_b64 s[2:3], vcc
	s_cbranch_execz .LBB1205_137
.LBB1205_168:
	v_cmp_ge_u32_e32 vcc, v32, v18
                                        ; implicit-def: $vgpr14_vgpr15
	s_and_saveexec_b64 s[4:5], vcc
	s_xor_b64 s[4:5], exec, s[4:5]
	s_cbranch_execz .LBB1205_170
; %bb.169:
	s_waitcnt lgkmcnt(6)
	v_xor_b32_e32 v12, 0xfffffeff, v0
	v_ashrrev_i32_e32 v15, 31, v12
	v_add_co_u32_e32 v14, vcc, v19, v12
	v_addc_co_u32_e32 v15, vcc, v21, v15, vcc
                                        ; implicit-def: $vgpr32
.LBB1205_170:
	s_andn2_saveexec_b64 s[4:5], s[4:5]
; %bb.171:
	v_add_co_u32_e32 v14, vcc, v1, v32
	v_addc_co_u32_e32 v15, vcc, 0, v16, vcc
; %bb.172:
	s_or_b64 exec, exec, s[4:5]
	v_lshlrev_b64 v[14:15], 2, v[14:15]
	s_waitcnt lgkmcnt(6)
	v_mov_b32_e32 v12, s25
	v_add_co_u32_e32 v14, vcc, s24, v14
	v_addc_co_u32_e32 v15, vcc, v12, v15, vcc
	global_store_dword v[14:15], v13, off
	s_or_b64 exec, exec, s[2:3]
	v_cmp_gt_u32_e32 vcc, s33, v31
	s_and_saveexec_b64 s[2:3], vcc
	s_cbranch_execnz .LBB1205_138
.LBB1205_173:
	s_or_b64 exec, exec, s[2:3]
	v_cmp_gt_u32_e32 vcc, s33, v30
	s_and_saveexec_b64 s[2:3], vcc
	s_cbranch_execz .LBB1205_143
.LBB1205_174:
	v_cmp_ge_u32_e32 vcc, v30, v18
                                        ; implicit-def: $vgpr12_vgpr13
	s_and_saveexec_b64 s[4:5], vcc
	s_xor_b64 s[4:5], exec, s[4:5]
	s_cbranch_execz .LBB1205_176
; %bb.175:
	s_waitcnt lgkmcnt(5)
	v_xor_b32_e32 v10, 0xfffffcff, v0
	v_ashrrev_i32_e32 v13, 31, v10
	v_add_co_u32_e32 v12, vcc, v19, v10
	v_addc_co_u32_e32 v13, vcc, v21, v13, vcc
                                        ; implicit-def: $vgpr30
.LBB1205_176:
	s_andn2_saveexec_b64 s[4:5], s[4:5]
	s_cbranch_execz .LBB1205_178
; %bb.177:
	s_waitcnt lgkmcnt(6)
	v_add_co_u32_e32 v12, vcc, v1, v30
	v_addc_co_u32_e32 v13, vcc, 0, v16, vcc
.LBB1205_178:
	s_or_b64 exec, exec, s[4:5]
	s_waitcnt lgkmcnt(6)
	v_lshlrev_b64 v[12:13], 2, v[12:13]
	s_waitcnt lgkmcnt(5)
	v_mov_b32_e32 v10, s25
	v_add_co_u32_e32 v12, vcc, s24, v12
	v_addc_co_u32_e32 v13, vcc, v10, v13, vcc
	global_store_dword v[12:13], v11, off
	s_or_b64 exec, exec, s[2:3]
	v_cmp_gt_u32_e32 vcc, s33, v29
	s_and_saveexec_b64 s[2:3], vcc
	s_cbranch_execnz .LBB1205_144
.LBB1205_179:
	s_or_b64 exec, exec, s[2:3]
	v_cmp_gt_u32_e32 vcc, s33, v28
	s_and_saveexec_b64 s[2:3], vcc
	s_cbranch_execz .LBB1205_149
.LBB1205_180:
	v_cmp_ge_u32_e32 vcc, v28, v18
                                        ; implicit-def: $vgpr10_vgpr11
	s_and_saveexec_b64 s[4:5], vcc
	s_xor_b64 s[4:5], exec, s[4:5]
	s_cbranch_execz .LBB1205_182
; %bb.181:
	s_waitcnt lgkmcnt(4)
	v_xor_b32_e32 v8, 0xfffffaff, v0
	v_ashrrev_i32_e32 v11, 31, v8
	v_add_co_u32_e32 v10, vcc, v19, v8
	v_addc_co_u32_e32 v11, vcc, v21, v11, vcc
                                        ; implicit-def: $vgpr28
.LBB1205_182:
	s_andn2_saveexec_b64 s[4:5], s[4:5]
	s_cbranch_execz .LBB1205_184
; %bb.183:
	s_waitcnt lgkmcnt(5)
	v_add_co_u32_e32 v10, vcc, v1, v28
	v_addc_co_u32_e32 v11, vcc, 0, v16, vcc
.LBB1205_184:
	s_or_b64 exec, exec, s[4:5]
	s_waitcnt lgkmcnt(5)
	v_lshlrev_b64 v[10:11], 2, v[10:11]
	s_waitcnt lgkmcnt(4)
	v_mov_b32_e32 v8, s25
	v_add_co_u32_e32 v10, vcc, s24, v10
	v_addc_co_u32_e32 v11, vcc, v8, v11, vcc
	global_store_dword v[10:11], v9, off
	s_or_b64 exec, exec, s[2:3]
	v_cmp_gt_u32_e32 vcc, s33, v27
	s_and_saveexec_b64 s[2:3], vcc
	s_cbranch_execnz .LBB1205_150
.LBB1205_185:
	s_or_b64 exec, exec, s[2:3]
	v_cmp_gt_u32_e32 vcc, s33, v26
	s_and_saveexec_b64 s[2:3], vcc
	s_cbranch_execz .LBB1205_155
.LBB1205_186:
	v_cmp_ge_u32_e32 vcc, v26, v18
                                        ; implicit-def: $vgpr8_vgpr9
	s_and_saveexec_b64 s[4:5], vcc
	s_xor_b64 s[4:5], exec, s[4:5]
	s_cbranch_execz .LBB1205_188
; %bb.187:
	s_waitcnt lgkmcnt(3)
	v_xor_b32_e32 v6, 0xfffff8ff, v0
	v_ashrrev_i32_e32 v9, 31, v6
	v_add_co_u32_e32 v8, vcc, v19, v6
	v_addc_co_u32_e32 v9, vcc, v21, v9, vcc
                                        ; implicit-def: $vgpr26
.LBB1205_188:
	s_andn2_saveexec_b64 s[4:5], s[4:5]
	s_cbranch_execz .LBB1205_190
; %bb.189:
	s_waitcnt lgkmcnt(4)
	v_add_co_u32_e32 v8, vcc, v1, v26
	v_addc_co_u32_e32 v9, vcc, 0, v16, vcc
.LBB1205_190:
	s_or_b64 exec, exec, s[4:5]
	s_waitcnt lgkmcnt(4)
	v_lshlrev_b64 v[8:9], 2, v[8:9]
	s_waitcnt lgkmcnt(3)
	v_mov_b32_e32 v6, s25
	v_add_co_u32_e32 v8, vcc, s24, v8
	v_addc_co_u32_e32 v9, vcc, v6, v9, vcc
	global_store_dword v[8:9], v7, off
	s_or_b64 exec, exec, s[2:3]
	v_cmp_gt_u32_e32 vcc, s33, v25
	s_and_saveexec_b64 s[2:3], vcc
	s_cbranch_execnz .LBB1205_156
.LBB1205_191:
	s_or_b64 exec, exec, s[2:3]
	v_cmp_gt_u32_e32 vcc, s33, v24
	s_and_saveexec_b64 s[2:3], vcc
	s_cbranch_execz .LBB1205_161
.LBB1205_192:
	v_cmp_ge_u32_e32 vcc, v24, v18
                                        ; implicit-def: $vgpr6_vgpr7
	s_and_saveexec_b64 s[4:5], vcc
	s_xor_b64 s[4:5], exec, s[4:5]
	s_cbranch_execz .LBB1205_194
; %bb.193:
	s_waitcnt lgkmcnt(2)
	v_xor_b32_e32 v4, 0xfffff6ff, v0
	v_ashrrev_i32_e32 v7, 31, v4
	v_add_co_u32_e32 v6, vcc, v19, v4
	v_addc_co_u32_e32 v7, vcc, v21, v7, vcc
                                        ; implicit-def: $vgpr24
.LBB1205_194:
	s_andn2_saveexec_b64 s[4:5], s[4:5]
	s_cbranch_execz .LBB1205_196
; %bb.195:
	s_waitcnt lgkmcnt(3)
	v_add_co_u32_e32 v6, vcc, v1, v24
	v_addc_co_u32_e32 v7, vcc, 0, v16, vcc
.LBB1205_196:
	s_or_b64 exec, exec, s[4:5]
	s_waitcnt lgkmcnt(3)
	v_lshlrev_b64 v[6:7], 2, v[6:7]
	s_waitcnt lgkmcnt(2)
	v_mov_b32_e32 v4, s25
	v_add_co_u32_e32 v6, vcc, s24, v6
	v_addc_co_u32_e32 v7, vcc, v4, v7, vcc
	global_store_dword v[6:7], v5, off
	s_or_b64 exec, exec, s[2:3]
	v_cmp_gt_u32_e32 vcc, s33, v23
	s_and_saveexec_b64 s[2:3], vcc
	s_cbranch_execnz .LBB1205_162
.LBB1205_197:
	s_or_b64 exec, exec, s[2:3]
	v_cmp_gt_u32_e32 vcc, s33, v22
	s_and_saveexec_b64 s[2:3], vcc
	s_cbranch_execz .LBB1205_203
.LBB1205_198:
	v_cmp_ge_u32_e32 vcc, v22, v18
                                        ; implicit-def: $vgpr4_vgpr5
	s_and_saveexec_b64 s[4:5], vcc
	s_xor_b64 s[4:5], exec, s[4:5]
	s_cbranch_execz .LBB1205_200
; %bb.199:
	s_waitcnt lgkmcnt(1)
	v_xor_b32_e32 v2, 0xfffff4ff, v0
	v_ashrrev_i32_e32 v5, 31, v2
	v_add_co_u32_e32 v4, vcc, v19, v2
	v_addc_co_u32_e32 v5, vcc, v21, v5, vcc
                                        ; implicit-def: $vgpr22
.LBB1205_200:
	s_andn2_saveexec_b64 s[4:5], s[4:5]
	s_cbranch_execz .LBB1205_202
; %bb.201:
	s_waitcnt lgkmcnt(2)
	v_add_co_u32_e32 v4, vcc, v1, v22
	v_addc_co_u32_e32 v5, vcc, 0, v16, vcc
.LBB1205_202:
	s_or_b64 exec, exec, s[4:5]
	s_waitcnt lgkmcnt(2)
	v_lshlrev_b64 v[4:5], 2, v[4:5]
	s_waitcnt lgkmcnt(1)
	v_mov_b32_e32 v2, s25
	v_add_co_u32_e32 v4, vcc, s24, v4
	v_addc_co_u32_e32 v5, vcc, v2, v5, vcc
	global_store_dword v[4:5], v3, off
.LBB1205_203:
	s_or_b64 exec, exec, s[2:3]
	v_cmp_gt_u32_e32 vcc, s33, v20
                                        ; implicit-def: $vgpr14_vgpr15
	s_and_saveexec_b64 s[2:3], vcc
	s_cbranch_execz .LBB1205_209
; %bb.204:
	v_cmp_ge_u32_e32 vcc, v20, v18
                                        ; implicit-def: $vgpr14_vgpr15
	s_and_saveexec_b64 s[4:5], vcc
	s_xor_b64 s[4:5], exec, s[4:5]
	s_cbranch_execz .LBB1205_206
; %bb.205:
	s_waitcnt lgkmcnt(1)
	v_xor_b32_e32 v2, 0xfffff3ff, v0
	v_ashrrev_i32_e32 v3, 31, v2
	v_add_co_u32_e32 v14, vcc, v19, v2
	v_addc_co_u32_e32 v15, vcc, v21, v3, vcc
                                        ; implicit-def: $vgpr20
.LBB1205_206:
	s_andn2_saveexec_b64 s[4:5], s[4:5]
; %bb.207:
	v_add_co_u32_e32 v14, vcc, v1, v20
	v_addc_co_u32_e32 v15, vcc, 0, v16, vcc
; %bb.208:
	s_or_b64 exec, exec, s[4:5]
	s_or_b64 s[0:1], s[0:1], exec
.LBB1205_209:
	s_or_b64 exec, exec, s[2:3]
.LBB1205_210:
	s_and_saveexec_b64 s[2:3], s[0:1]
	s_cbranch_execz .LBB1205_212
; %bb.211:
	s_waitcnt lgkmcnt(1)
	v_lshlrev_b64 v[2:3], 2, v[14:15]
	v_mov_b32_e32 v4, s25
	v_add_co_u32_e32 v2, vcc, s24, v2
	v_addc_co_u32_e32 v3, vcc, v4, v3, vcc
	s_waitcnt lgkmcnt(0)
	global_store_dword v[2:3], v17, off
.LBB1205_212:
	s_or_b64 exec, exec, s[2:3]
	v_cmp_eq_u32_e32 vcc, 0, v0
	s_and_b64 s[0:1], vcc, s[22:23]
	s_and_saveexec_b64 s[2:3], s[0:1]
	s_cbranch_execz .LBB1205_214
; %bb.213:
	v_add_co_u32_e32 v0, vcc, v1, v18
	s_waitcnt lgkmcnt(1)
	v_mov_b32_e32 v2, 0
	v_addc_co_u32_e32 v1, vcc, 0, v16, vcc
	global_store_dwordx2 v2, v[0:1], s[20:21]
.LBB1205_214:
	s_endpgm
	.section	.rodata,"a",@progbits
	.p2align	6, 0x0
	.amdhsa_kernel _ZN7rocprim17ROCPRIM_400000_NS6detail17trampoline_kernelINS0_13select_configILj256ELj13ELNS0_17block_load_methodE3ELS4_3ELS4_3ELNS0_20block_scan_algorithmE0ELj4294967295EEENS1_25partition_config_selectorILNS1_17partition_subalgoE3EjNS0_10empty_typeEbEEZZNS1_14partition_implILS8_3ELb0ES6_jNS0_17counting_iteratorIjlEEPS9_SE_NS0_5tupleIJPjSE_EEENSF_IJSE_SE_EEES9_SG_JZNS1_25segmented_radix_sort_implINS0_14default_configELb0EPKdPdPKlPlN2at6native12_GLOBAL__N_18offset_tEEE10hipError_tPvRmT1_PNSt15iterator_traitsISY_E10value_typeET2_T3_PNSZ_IS14_E10value_typeET4_jRbjT5_S1A_jjP12ihipStream_tbEUljE_EEESV_SW_SX_S14_S18_S1A_T6_T7_T9_mT8_S1C_bDpT10_ENKUlT_T0_E_clISt17integral_constantIbLb1EES1O_IbLb0EEEEDaS1K_S1L_EUlS1K_E_NS1_11comp_targetILNS1_3genE4ELNS1_11target_archE910ELNS1_3gpuE8ELNS1_3repE0EEENS1_30default_config_static_selectorELNS0_4arch9wavefront6targetE1EEEvSY_
		.amdhsa_group_segment_fixed_size 13324
		.amdhsa_private_segment_fixed_size 0
		.amdhsa_kernarg_size 144
		.amdhsa_user_sgpr_count 6
		.amdhsa_user_sgpr_private_segment_buffer 1
		.amdhsa_user_sgpr_dispatch_ptr 0
		.amdhsa_user_sgpr_queue_ptr 0
		.amdhsa_user_sgpr_kernarg_segment_ptr 1
		.amdhsa_user_sgpr_dispatch_id 0
		.amdhsa_user_sgpr_flat_scratch_init 0
		.amdhsa_user_sgpr_kernarg_preload_length 0
		.amdhsa_user_sgpr_kernarg_preload_offset 0
		.amdhsa_user_sgpr_private_segment_size 0
		.amdhsa_uses_dynamic_stack 0
		.amdhsa_system_sgpr_private_segment_wavefront_offset 0
		.amdhsa_system_sgpr_workgroup_id_x 1
		.amdhsa_system_sgpr_workgroup_id_y 0
		.amdhsa_system_sgpr_workgroup_id_z 0
		.amdhsa_system_sgpr_workgroup_info 0
		.amdhsa_system_vgpr_workitem_id 0
		.amdhsa_next_free_vgpr 61
		.amdhsa_next_free_sgpr 46
		.amdhsa_accum_offset 64
		.amdhsa_reserve_vcc 1
		.amdhsa_reserve_flat_scratch 0
		.amdhsa_float_round_mode_32 0
		.amdhsa_float_round_mode_16_64 0
		.amdhsa_float_denorm_mode_32 3
		.amdhsa_float_denorm_mode_16_64 3
		.amdhsa_dx10_clamp 1
		.amdhsa_ieee_mode 1
		.amdhsa_fp16_overflow 0
		.amdhsa_tg_split 0
		.amdhsa_exception_fp_ieee_invalid_op 0
		.amdhsa_exception_fp_denorm_src 0
		.amdhsa_exception_fp_ieee_div_zero 0
		.amdhsa_exception_fp_ieee_overflow 0
		.amdhsa_exception_fp_ieee_underflow 0
		.amdhsa_exception_fp_ieee_inexact 0
		.amdhsa_exception_int_div_zero 0
	.end_amdhsa_kernel
	.section	.text._ZN7rocprim17ROCPRIM_400000_NS6detail17trampoline_kernelINS0_13select_configILj256ELj13ELNS0_17block_load_methodE3ELS4_3ELS4_3ELNS0_20block_scan_algorithmE0ELj4294967295EEENS1_25partition_config_selectorILNS1_17partition_subalgoE3EjNS0_10empty_typeEbEEZZNS1_14partition_implILS8_3ELb0ES6_jNS0_17counting_iteratorIjlEEPS9_SE_NS0_5tupleIJPjSE_EEENSF_IJSE_SE_EEES9_SG_JZNS1_25segmented_radix_sort_implINS0_14default_configELb0EPKdPdPKlPlN2at6native12_GLOBAL__N_18offset_tEEE10hipError_tPvRmT1_PNSt15iterator_traitsISY_E10value_typeET2_T3_PNSZ_IS14_E10value_typeET4_jRbjT5_S1A_jjP12ihipStream_tbEUljE_EEESV_SW_SX_S14_S18_S1A_T6_T7_T9_mT8_S1C_bDpT10_ENKUlT_T0_E_clISt17integral_constantIbLb1EES1O_IbLb0EEEEDaS1K_S1L_EUlS1K_E_NS1_11comp_targetILNS1_3genE4ELNS1_11target_archE910ELNS1_3gpuE8ELNS1_3repE0EEENS1_30default_config_static_selectorELNS0_4arch9wavefront6targetE1EEEvSY_,"axG",@progbits,_ZN7rocprim17ROCPRIM_400000_NS6detail17trampoline_kernelINS0_13select_configILj256ELj13ELNS0_17block_load_methodE3ELS4_3ELS4_3ELNS0_20block_scan_algorithmE0ELj4294967295EEENS1_25partition_config_selectorILNS1_17partition_subalgoE3EjNS0_10empty_typeEbEEZZNS1_14partition_implILS8_3ELb0ES6_jNS0_17counting_iteratorIjlEEPS9_SE_NS0_5tupleIJPjSE_EEENSF_IJSE_SE_EEES9_SG_JZNS1_25segmented_radix_sort_implINS0_14default_configELb0EPKdPdPKlPlN2at6native12_GLOBAL__N_18offset_tEEE10hipError_tPvRmT1_PNSt15iterator_traitsISY_E10value_typeET2_T3_PNSZ_IS14_E10value_typeET4_jRbjT5_S1A_jjP12ihipStream_tbEUljE_EEESV_SW_SX_S14_S18_S1A_T6_T7_T9_mT8_S1C_bDpT10_ENKUlT_T0_E_clISt17integral_constantIbLb1EES1O_IbLb0EEEEDaS1K_S1L_EUlS1K_E_NS1_11comp_targetILNS1_3genE4ELNS1_11target_archE910ELNS1_3gpuE8ELNS1_3repE0EEENS1_30default_config_static_selectorELNS0_4arch9wavefront6targetE1EEEvSY_,comdat
.Lfunc_end1205:
	.size	_ZN7rocprim17ROCPRIM_400000_NS6detail17trampoline_kernelINS0_13select_configILj256ELj13ELNS0_17block_load_methodE3ELS4_3ELS4_3ELNS0_20block_scan_algorithmE0ELj4294967295EEENS1_25partition_config_selectorILNS1_17partition_subalgoE3EjNS0_10empty_typeEbEEZZNS1_14partition_implILS8_3ELb0ES6_jNS0_17counting_iteratorIjlEEPS9_SE_NS0_5tupleIJPjSE_EEENSF_IJSE_SE_EEES9_SG_JZNS1_25segmented_radix_sort_implINS0_14default_configELb0EPKdPdPKlPlN2at6native12_GLOBAL__N_18offset_tEEE10hipError_tPvRmT1_PNSt15iterator_traitsISY_E10value_typeET2_T3_PNSZ_IS14_E10value_typeET4_jRbjT5_S1A_jjP12ihipStream_tbEUljE_EEESV_SW_SX_S14_S18_S1A_T6_T7_T9_mT8_S1C_bDpT10_ENKUlT_T0_E_clISt17integral_constantIbLb1EES1O_IbLb0EEEEDaS1K_S1L_EUlS1K_E_NS1_11comp_targetILNS1_3genE4ELNS1_11target_archE910ELNS1_3gpuE8ELNS1_3repE0EEENS1_30default_config_static_selectorELNS0_4arch9wavefront6targetE1EEEvSY_, .Lfunc_end1205-_ZN7rocprim17ROCPRIM_400000_NS6detail17trampoline_kernelINS0_13select_configILj256ELj13ELNS0_17block_load_methodE3ELS4_3ELS4_3ELNS0_20block_scan_algorithmE0ELj4294967295EEENS1_25partition_config_selectorILNS1_17partition_subalgoE3EjNS0_10empty_typeEbEEZZNS1_14partition_implILS8_3ELb0ES6_jNS0_17counting_iteratorIjlEEPS9_SE_NS0_5tupleIJPjSE_EEENSF_IJSE_SE_EEES9_SG_JZNS1_25segmented_radix_sort_implINS0_14default_configELb0EPKdPdPKlPlN2at6native12_GLOBAL__N_18offset_tEEE10hipError_tPvRmT1_PNSt15iterator_traitsISY_E10value_typeET2_T3_PNSZ_IS14_E10value_typeET4_jRbjT5_S1A_jjP12ihipStream_tbEUljE_EEESV_SW_SX_S14_S18_S1A_T6_T7_T9_mT8_S1C_bDpT10_ENKUlT_T0_E_clISt17integral_constantIbLb1EES1O_IbLb0EEEEDaS1K_S1L_EUlS1K_E_NS1_11comp_targetILNS1_3genE4ELNS1_11target_archE910ELNS1_3gpuE8ELNS1_3repE0EEENS1_30default_config_static_selectorELNS0_4arch9wavefront6targetE1EEEvSY_
                                        ; -- End function
	.section	.AMDGPU.csdata,"",@progbits
; Kernel info:
; codeLenInByte = 7756
; NumSgprs: 50
; NumVgprs: 61
; NumAgprs: 0
; TotalNumVgprs: 61
; ScratchSize: 0
; MemoryBound: 0
; FloatMode: 240
; IeeeMode: 1
; LDSByteSize: 13324 bytes/workgroup (compile time only)
; SGPRBlocks: 6
; VGPRBlocks: 7
; NumSGPRsForWavesPerEU: 50
; NumVGPRsForWavesPerEU: 61
; AccumOffset: 64
; Occupancy: 4
; WaveLimiterHint : 0
; COMPUTE_PGM_RSRC2:SCRATCH_EN: 0
; COMPUTE_PGM_RSRC2:USER_SGPR: 6
; COMPUTE_PGM_RSRC2:TRAP_HANDLER: 0
; COMPUTE_PGM_RSRC2:TGID_X_EN: 1
; COMPUTE_PGM_RSRC2:TGID_Y_EN: 0
; COMPUTE_PGM_RSRC2:TGID_Z_EN: 0
; COMPUTE_PGM_RSRC2:TIDIG_COMP_CNT: 0
; COMPUTE_PGM_RSRC3_GFX90A:ACCUM_OFFSET: 15
; COMPUTE_PGM_RSRC3_GFX90A:TG_SPLIT: 0
	.section	.text._ZN7rocprim17ROCPRIM_400000_NS6detail17trampoline_kernelINS0_13select_configILj256ELj13ELNS0_17block_load_methodE3ELS4_3ELS4_3ELNS0_20block_scan_algorithmE0ELj4294967295EEENS1_25partition_config_selectorILNS1_17partition_subalgoE3EjNS0_10empty_typeEbEEZZNS1_14partition_implILS8_3ELb0ES6_jNS0_17counting_iteratorIjlEEPS9_SE_NS0_5tupleIJPjSE_EEENSF_IJSE_SE_EEES9_SG_JZNS1_25segmented_radix_sort_implINS0_14default_configELb0EPKdPdPKlPlN2at6native12_GLOBAL__N_18offset_tEEE10hipError_tPvRmT1_PNSt15iterator_traitsISY_E10value_typeET2_T3_PNSZ_IS14_E10value_typeET4_jRbjT5_S1A_jjP12ihipStream_tbEUljE_EEESV_SW_SX_S14_S18_S1A_T6_T7_T9_mT8_S1C_bDpT10_ENKUlT_T0_E_clISt17integral_constantIbLb1EES1O_IbLb0EEEEDaS1K_S1L_EUlS1K_E_NS1_11comp_targetILNS1_3genE3ELNS1_11target_archE908ELNS1_3gpuE7ELNS1_3repE0EEENS1_30default_config_static_selectorELNS0_4arch9wavefront6targetE1EEEvSY_,"axG",@progbits,_ZN7rocprim17ROCPRIM_400000_NS6detail17trampoline_kernelINS0_13select_configILj256ELj13ELNS0_17block_load_methodE3ELS4_3ELS4_3ELNS0_20block_scan_algorithmE0ELj4294967295EEENS1_25partition_config_selectorILNS1_17partition_subalgoE3EjNS0_10empty_typeEbEEZZNS1_14partition_implILS8_3ELb0ES6_jNS0_17counting_iteratorIjlEEPS9_SE_NS0_5tupleIJPjSE_EEENSF_IJSE_SE_EEES9_SG_JZNS1_25segmented_radix_sort_implINS0_14default_configELb0EPKdPdPKlPlN2at6native12_GLOBAL__N_18offset_tEEE10hipError_tPvRmT1_PNSt15iterator_traitsISY_E10value_typeET2_T3_PNSZ_IS14_E10value_typeET4_jRbjT5_S1A_jjP12ihipStream_tbEUljE_EEESV_SW_SX_S14_S18_S1A_T6_T7_T9_mT8_S1C_bDpT10_ENKUlT_T0_E_clISt17integral_constantIbLb1EES1O_IbLb0EEEEDaS1K_S1L_EUlS1K_E_NS1_11comp_targetILNS1_3genE3ELNS1_11target_archE908ELNS1_3gpuE7ELNS1_3repE0EEENS1_30default_config_static_selectorELNS0_4arch9wavefront6targetE1EEEvSY_,comdat
	.globl	_ZN7rocprim17ROCPRIM_400000_NS6detail17trampoline_kernelINS0_13select_configILj256ELj13ELNS0_17block_load_methodE3ELS4_3ELS4_3ELNS0_20block_scan_algorithmE0ELj4294967295EEENS1_25partition_config_selectorILNS1_17partition_subalgoE3EjNS0_10empty_typeEbEEZZNS1_14partition_implILS8_3ELb0ES6_jNS0_17counting_iteratorIjlEEPS9_SE_NS0_5tupleIJPjSE_EEENSF_IJSE_SE_EEES9_SG_JZNS1_25segmented_radix_sort_implINS0_14default_configELb0EPKdPdPKlPlN2at6native12_GLOBAL__N_18offset_tEEE10hipError_tPvRmT1_PNSt15iterator_traitsISY_E10value_typeET2_T3_PNSZ_IS14_E10value_typeET4_jRbjT5_S1A_jjP12ihipStream_tbEUljE_EEESV_SW_SX_S14_S18_S1A_T6_T7_T9_mT8_S1C_bDpT10_ENKUlT_T0_E_clISt17integral_constantIbLb1EES1O_IbLb0EEEEDaS1K_S1L_EUlS1K_E_NS1_11comp_targetILNS1_3genE3ELNS1_11target_archE908ELNS1_3gpuE7ELNS1_3repE0EEENS1_30default_config_static_selectorELNS0_4arch9wavefront6targetE1EEEvSY_ ; -- Begin function _ZN7rocprim17ROCPRIM_400000_NS6detail17trampoline_kernelINS0_13select_configILj256ELj13ELNS0_17block_load_methodE3ELS4_3ELS4_3ELNS0_20block_scan_algorithmE0ELj4294967295EEENS1_25partition_config_selectorILNS1_17partition_subalgoE3EjNS0_10empty_typeEbEEZZNS1_14partition_implILS8_3ELb0ES6_jNS0_17counting_iteratorIjlEEPS9_SE_NS0_5tupleIJPjSE_EEENSF_IJSE_SE_EEES9_SG_JZNS1_25segmented_radix_sort_implINS0_14default_configELb0EPKdPdPKlPlN2at6native12_GLOBAL__N_18offset_tEEE10hipError_tPvRmT1_PNSt15iterator_traitsISY_E10value_typeET2_T3_PNSZ_IS14_E10value_typeET4_jRbjT5_S1A_jjP12ihipStream_tbEUljE_EEESV_SW_SX_S14_S18_S1A_T6_T7_T9_mT8_S1C_bDpT10_ENKUlT_T0_E_clISt17integral_constantIbLb1EES1O_IbLb0EEEEDaS1K_S1L_EUlS1K_E_NS1_11comp_targetILNS1_3genE3ELNS1_11target_archE908ELNS1_3gpuE7ELNS1_3repE0EEENS1_30default_config_static_selectorELNS0_4arch9wavefront6targetE1EEEvSY_
	.p2align	8
	.type	_ZN7rocprim17ROCPRIM_400000_NS6detail17trampoline_kernelINS0_13select_configILj256ELj13ELNS0_17block_load_methodE3ELS4_3ELS4_3ELNS0_20block_scan_algorithmE0ELj4294967295EEENS1_25partition_config_selectorILNS1_17partition_subalgoE3EjNS0_10empty_typeEbEEZZNS1_14partition_implILS8_3ELb0ES6_jNS0_17counting_iteratorIjlEEPS9_SE_NS0_5tupleIJPjSE_EEENSF_IJSE_SE_EEES9_SG_JZNS1_25segmented_radix_sort_implINS0_14default_configELb0EPKdPdPKlPlN2at6native12_GLOBAL__N_18offset_tEEE10hipError_tPvRmT1_PNSt15iterator_traitsISY_E10value_typeET2_T3_PNSZ_IS14_E10value_typeET4_jRbjT5_S1A_jjP12ihipStream_tbEUljE_EEESV_SW_SX_S14_S18_S1A_T6_T7_T9_mT8_S1C_bDpT10_ENKUlT_T0_E_clISt17integral_constantIbLb1EES1O_IbLb0EEEEDaS1K_S1L_EUlS1K_E_NS1_11comp_targetILNS1_3genE3ELNS1_11target_archE908ELNS1_3gpuE7ELNS1_3repE0EEENS1_30default_config_static_selectorELNS0_4arch9wavefront6targetE1EEEvSY_,@function
_ZN7rocprim17ROCPRIM_400000_NS6detail17trampoline_kernelINS0_13select_configILj256ELj13ELNS0_17block_load_methodE3ELS4_3ELS4_3ELNS0_20block_scan_algorithmE0ELj4294967295EEENS1_25partition_config_selectorILNS1_17partition_subalgoE3EjNS0_10empty_typeEbEEZZNS1_14partition_implILS8_3ELb0ES6_jNS0_17counting_iteratorIjlEEPS9_SE_NS0_5tupleIJPjSE_EEENSF_IJSE_SE_EEES9_SG_JZNS1_25segmented_radix_sort_implINS0_14default_configELb0EPKdPdPKlPlN2at6native12_GLOBAL__N_18offset_tEEE10hipError_tPvRmT1_PNSt15iterator_traitsISY_E10value_typeET2_T3_PNSZ_IS14_E10value_typeET4_jRbjT5_S1A_jjP12ihipStream_tbEUljE_EEESV_SW_SX_S14_S18_S1A_T6_T7_T9_mT8_S1C_bDpT10_ENKUlT_T0_E_clISt17integral_constantIbLb1EES1O_IbLb0EEEEDaS1K_S1L_EUlS1K_E_NS1_11comp_targetILNS1_3genE3ELNS1_11target_archE908ELNS1_3gpuE7ELNS1_3repE0EEENS1_30default_config_static_selectorELNS0_4arch9wavefront6targetE1EEEvSY_: ; @_ZN7rocprim17ROCPRIM_400000_NS6detail17trampoline_kernelINS0_13select_configILj256ELj13ELNS0_17block_load_methodE3ELS4_3ELS4_3ELNS0_20block_scan_algorithmE0ELj4294967295EEENS1_25partition_config_selectorILNS1_17partition_subalgoE3EjNS0_10empty_typeEbEEZZNS1_14partition_implILS8_3ELb0ES6_jNS0_17counting_iteratorIjlEEPS9_SE_NS0_5tupleIJPjSE_EEENSF_IJSE_SE_EEES9_SG_JZNS1_25segmented_radix_sort_implINS0_14default_configELb0EPKdPdPKlPlN2at6native12_GLOBAL__N_18offset_tEEE10hipError_tPvRmT1_PNSt15iterator_traitsISY_E10value_typeET2_T3_PNSZ_IS14_E10value_typeET4_jRbjT5_S1A_jjP12ihipStream_tbEUljE_EEESV_SW_SX_S14_S18_S1A_T6_T7_T9_mT8_S1C_bDpT10_ENKUlT_T0_E_clISt17integral_constantIbLb1EES1O_IbLb0EEEEDaS1K_S1L_EUlS1K_E_NS1_11comp_targetILNS1_3genE3ELNS1_11target_archE908ELNS1_3gpuE7ELNS1_3repE0EEENS1_30default_config_static_selectorELNS0_4arch9wavefront6targetE1EEEvSY_
; %bb.0:
	.section	.rodata,"a",@progbits
	.p2align	6, 0x0
	.amdhsa_kernel _ZN7rocprim17ROCPRIM_400000_NS6detail17trampoline_kernelINS0_13select_configILj256ELj13ELNS0_17block_load_methodE3ELS4_3ELS4_3ELNS0_20block_scan_algorithmE0ELj4294967295EEENS1_25partition_config_selectorILNS1_17partition_subalgoE3EjNS0_10empty_typeEbEEZZNS1_14partition_implILS8_3ELb0ES6_jNS0_17counting_iteratorIjlEEPS9_SE_NS0_5tupleIJPjSE_EEENSF_IJSE_SE_EEES9_SG_JZNS1_25segmented_radix_sort_implINS0_14default_configELb0EPKdPdPKlPlN2at6native12_GLOBAL__N_18offset_tEEE10hipError_tPvRmT1_PNSt15iterator_traitsISY_E10value_typeET2_T3_PNSZ_IS14_E10value_typeET4_jRbjT5_S1A_jjP12ihipStream_tbEUljE_EEESV_SW_SX_S14_S18_S1A_T6_T7_T9_mT8_S1C_bDpT10_ENKUlT_T0_E_clISt17integral_constantIbLb1EES1O_IbLb0EEEEDaS1K_S1L_EUlS1K_E_NS1_11comp_targetILNS1_3genE3ELNS1_11target_archE908ELNS1_3gpuE7ELNS1_3repE0EEENS1_30default_config_static_selectorELNS0_4arch9wavefront6targetE1EEEvSY_
		.amdhsa_group_segment_fixed_size 0
		.amdhsa_private_segment_fixed_size 0
		.amdhsa_kernarg_size 144
		.amdhsa_user_sgpr_count 6
		.amdhsa_user_sgpr_private_segment_buffer 1
		.amdhsa_user_sgpr_dispatch_ptr 0
		.amdhsa_user_sgpr_queue_ptr 0
		.amdhsa_user_sgpr_kernarg_segment_ptr 1
		.amdhsa_user_sgpr_dispatch_id 0
		.amdhsa_user_sgpr_flat_scratch_init 0
		.amdhsa_user_sgpr_kernarg_preload_length 0
		.amdhsa_user_sgpr_kernarg_preload_offset 0
		.amdhsa_user_sgpr_private_segment_size 0
		.amdhsa_uses_dynamic_stack 0
		.amdhsa_system_sgpr_private_segment_wavefront_offset 0
		.amdhsa_system_sgpr_workgroup_id_x 1
		.amdhsa_system_sgpr_workgroup_id_y 0
		.amdhsa_system_sgpr_workgroup_id_z 0
		.amdhsa_system_sgpr_workgroup_info 0
		.amdhsa_system_vgpr_workitem_id 0
		.amdhsa_next_free_vgpr 1
		.amdhsa_next_free_sgpr 0
		.amdhsa_accum_offset 4
		.amdhsa_reserve_vcc 0
		.amdhsa_reserve_flat_scratch 0
		.amdhsa_float_round_mode_32 0
		.amdhsa_float_round_mode_16_64 0
		.amdhsa_float_denorm_mode_32 3
		.amdhsa_float_denorm_mode_16_64 3
		.amdhsa_dx10_clamp 1
		.amdhsa_ieee_mode 1
		.amdhsa_fp16_overflow 0
		.amdhsa_tg_split 0
		.amdhsa_exception_fp_ieee_invalid_op 0
		.amdhsa_exception_fp_denorm_src 0
		.amdhsa_exception_fp_ieee_div_zero 0
		.amdhsa_exception_fp_ieee_overflow 0
		.amdhsa_exception_fp_ieee_underflow 0
		.amdhsa_exception_fp_ieee_inexact 0
		.amdhsa_exception_int_div_zero 0
	.end_amdhsa_kernel
	.section	.text._ZN7rocprim17ROCPRIM_400000_NS6detail17trampoline_kernelINS0_13select_configILj256ELj13ELNS0_17block_load_methodE3ELS4_3ELS4_3ELNS0_20block_scan_algorithmE0ELj4294967295EEENS1_25partition_config_selectorILNS1_17partition_subalgoE3EjNS0_10empty_typeEbEEZZNS1_14partition_implILS8_3ELb0ES6_jNS0_17counting_iteratorIjlEEPS9_SE_NS0_5tupleIJPjSE_EEENSF_IJSE_SE_EEES9_SG_JZNS1_25segmented_radix_sort_implINS0_14default_configELb0EPKdPdPKlPlN2at6native12_GLOBAL__N_18offset_tEEE10hipError_tPvRmT1_PNSt15iterator_traitsISY_E10value_typeET2_T3_PNSZ_IS14_E10value_typeET4_jRbjT5_S1A_jjP12ihipStream_tbEUljE_EEESV_SW_SX_S14_S18_S1A_T6_T7_T9_mT8_S1C_bDpT10_ENKUlT_T0_E_clISt17integral_constantIbLb1EES1O_IbLb0EEEEDaS1K_S1L_EUlS1K_E_NS1_11comp_targetILNS1_3genE3ELNS1_11target_archE908ELNS1_3gpuE7ELNS1_3repE0EEENS1_30default_config_static_selectorELNS0_4arch9wavefront6targetE1EEEvSY_,"axG",@progbits,_ZN7rocprim17ROCPRIM_400000_NS6detail17trampoline_kernelINS0_13select_configILj256ELj13ELNS0_17block_load_methodE3ELS4_3ELS4_3ELNS0_20block_scan_algorithmE0ELj4294967295EEENS1_25partition_config_selectorILNS1_17partition_subalgoE3EjNS0_10empty_typeEbEEZZNS1_14partition_implILS8_3ELb0ES6_jNS0_17counting_iteratorIjlEEPS9_SE_NS0_5tupleIJPjSE_EEENSF_IJSE_SE_EEES9_SG_JZNS1_25segmented_radix_sort_implINS0_14default_configELb0EPKdPdPKlPlN2at6native12_GLOBAL__N_18offset_tEEE10hipError_tPvRmT1_PNSt15iterator_traitsISY_E10value_typeET2_T3_PNSZ_IS14_E10value_typeET4_jRbjT5_S1A_jjP12ihipStream_tbEUljE_EEESV_SW_SX_S14_S18_S1A_T6_T7_T9_mT8_S1C_bDpT10_ENKUlT_T0_E_clISt17integral_constantIbLb1EES1O_IbLb0EEEEDaS1K_S1L_EUlS1K_E_NS1_11comp_targetILNS1_3genE3ELNS1_11target_archE908ELNS1_3gpuE7ELNS1_3repE0EEENS1_30default_config_static_selectorELNS0_4arch9wavefront6targetE1EEEvSY_,comdat
.Lfunc_end1206:
	.size	_ZN7rocprim17ROCPRIM_400000_NS6detail17trampoline_kernelINS0_13select_configILj256ELj13ELNS0_17block_load_methodE3ELS4_3ELS4_3ELNS0_20block_scan_algorithmE0ELj4294967295EEENS1_25partition_config_selectorILNS1_17partition_subalgoE3EjNS0_10empty_typeEbEEZZNS1_14partition_implILS8_3ELb0ES6_jNS0_17counting_iteratorIjlEEPS9_SE_NS0_5tupleIJPjSE_EEENSF_IJSE_SE_EEES9_SG_JZNS1_25segmented_radix_sort_implINS0_14default_configELb0EPKdPdPKlPlN2at6native12_GLOBAL__N_18offset_tEEE10hipError_tPvRmT1_PNSt15iterator_traitsISY_E10value_typeET2_T3_PNSZ_IS14_E10value_typeET4_jRbjT5_S1A_jjP12ihipStream_tbEUljE_EEESV_SW_SX_S14_S18_S1A_T6_T7_T9_mT8_S1C_bDpT10_ENKUlT_T0_E_clISt17integral_constantIbLb1EES1O_IbLb0EEEEDaS1K_S1L_EUlS1K_E_NS1_11comp_targetILNS1_3genE3ELNS1_11target_archE908ELNS1_3gpuE7ELNS1_3repE0EEENS1_30default_config_static_selectorELNS0_4arch9wavefront6targetE1EEEvSY_, .Lfunc_end1206-_ZN7rocprim17ROCPRIM_400000_NS6detail17trampoline_kernelINS0_13select_configILj256ELj13ELNS0_17block_load_methodE3ELS4_3ELS4_3ELNS0_20block_scan_algorithmE0ELj4294967295EEENS1_25partition_config_selectorILNS1_17partition_subalgoE3EjNS0_10empty_typeEbEEZZNS1_14partition_implILS8_3ELb0ES6_jNS0_17counting_iteratorIjlEEPS9_SE_NS0_5tupleIJPjSE_EEENSF_IJSE_SE_EEES9_SG_JZNS1_25segmented_radix_sort_implINS0_14default_configELb0EPKdPdPKlPlN2at6native12_GLOBAL__N_18offset_tEEE10hipError_tPvRmT1_PNSt15iterator_traitsISY_E10value_typeET2_T3_PNSZ_IS14_E10value_typeET4_jRbjT5_S1A_jjP12ihipStream_tbEUljE_EEESV_SW_SX_S14_S18_S1A_T6_T7_T9_mT8_S1C_bDpT10_ENKUlT_T0_E_clISt17integral_constantIbLb1EES1O_IbLb0EEEEDaS1K_S1L_EUlS1K_E_NS1_11comp_targetILNS1_3genE3ELNS1_11target_archE908ELNS1_3gpuE7ELNS1_3repE0EEENS1_30default_config_static_selectorELNS0_4arch9wavefront6targetE1EEEvSY_
                                        ; -- End function
	.section	.AMDGPU.csdata,"",@progbits
; Kernel info:
; codeLenInByte = 0
; NumSgprs: 4
; NumVgprs: 0
; NumAgprs: 0
; TotalNumVgprs: 0
; ScratchSize: 0
; MemoryBound: 0
; FloatMode: 240
; IeeeMode: 1
; LDSByteSize: 0 bytes/workgroup (compile time only)
; SGPRBlocks: 0
; VGPRBlocks: 0
; NumSGPRsForWavesPerEU: 4
; NumVGPRsForWavesPerEU: 1
; AccumOffset: 4
; Occupancy: 8
; WaveLimiterHint : 0
; COMPUTE_PGM_RSRC2:SCRATCH_EN: 0
; COMPUTE_PGM_RSRC2:USER_SGPR: 6
; COMPUTE_PGM_RSRC2:TRAP_HANDLER: 0
; COMPUTE_PGM_RSRC2:TGID_X_EN: 1
; COMPUTE_PGM_RSRC2:TGID_Y_EN: 0
; COMPUTE_PGM_RSRC2:TGID_Z_EN: 0
; COMPUTE_PGM_RSRC2:TIDIG_COMP_CNT: 0
; COMPUTE_PGM_RSRC3_GFX90A:ACCUM_OFFSET: 0
; COMPUTE_PGM_RSRC3_GFX90A:TG_SPLIT: 0
	.section	.text._ZN7rocprim17ROCPRIM_400000_NS6detail17trampoline_kernelINS0_13select_configILj256ELj13ELNS0_17block_load_methodE3ELS4_3ELS4_3ELNS0_20block_scan_algorithmE0ELj4294967295EEENS1_25partition_config_selectorILNS1_17partition_subalgoE3EjNS0_10empty_typeEbEEZZNS1_14partition_implILS8_3ELb0ES6_jNS0_17counting_iteratorIjlEEPS9_SE_NS0_5tupleIJPjSE_EEENSF_IJSE_SE_EEES9_SG_JZNS1_25segmented_radix_sort_implINS0_14default_configELb0EPKdPdPKlPlN2at6native12_GLOBAL__N_18offset_tEEE10hipError_tPvRmT1_PNSt15iterator_traitsISY_E10value_typeET2_T3_PNSZ_IS14_E10value_typeET4_jRbjT5_S1A_jjP12ihipStream_tbEUljE_EEESV_SW_SX_S14_S18_S1A_T6_T7_T9_mT8_S1C_bDpT10_ENKUlT_T0_E_clISt17integral_constantIbLb1EES1O_IbLb0EEEEDaS1K_S1L_EUlS1K_E_NS1_11comp_targetILNS1_3genE2ELNS1_11target_archE906ELNS1_3gpuE6ELNS1_3repE0EEENS1_30default_config_static_selectorELNS0_4arch9wavefront6targetE1EEEvSY_,"axG",@progbits,_ZN7rocprim17ROCPRIM_400000_NS6detail17trampoline_kernelINS0_13select_configILj256ELj13ELNS0_17block_load_methodE3ELS4_3ELS4_3ELNS0_20block_scan_algorithmE0ELj4294967295EEENS1_25partition_config_selectorILNS1_17partition_subalgoE3EjNS0_10empty_typeEbEEZZNS1_14partition_implILS8_3ELb0ES6_jNS0_17counting_iteratorIjlEEPS9_SE_NS0_5tupleIJPjSE_EEENSF_IJSE_SE_EEES9_SG_JZNS1_25segmented_radix_sort_implINS0_14default_configELb0EPKdPdPKlPlN2at6native12_GLOBAL__N_18offset_tEEE10hipError_tPvRmT1_PNSt15iterator_traitsISY_E10value_typeET2_T3_PNSZ_IS14_E10value_typeET4_jRbjT5_S1A_jjP12ihipStream_tbEUljE_EEESV_SW_SX_S14_S18_S1A_T6_T7_T9_mT8_S1C_bDpT10_ENKUlT_T0_E_clISt17integral_constantIbLb1EES1O_IbLb0EEEEDaS1K_S1L_EUlS1K_E_NS1_11comp_targetILNS1_3genE2ELNS1_11target_archE906ELNS1_3gpuE6ELNS1_3repE0EEENS1_30default_config_static_selectorELNS0_4arch9wavefront6targetE1EEEvSY_,comdat
	.globl	_ZN7rocprim17ROCPRIM_400000_NS6detail17trampoline_kernelINS0_13select_configILj256ELj13ELNS0_17block_load_methodE3ELS4_3ELS4_3ELNS0_20block_scan_algorithmE0ELj4294967295EEENS1_25partition_config_selectorILNS1_17partition_subalgoE3EjNS0_10empty_typeEbEEZZNS1_14partition_implILS8_3ELb0ES6_jNS0_17counting_iteratorIjlEEPS9_SE_NS0_5tupleIJPjSE_EEENSF_IJSE_SE_EEES9_SG_JZNS1_25segmented_radix_sort_implINS0_14default_configELb0EPKdPdPKlPlN2at6native12_GLOBAL__N_18offset_tEEE10hipError_tPvRmT1_PNSt15iterator_traitsISY_E10value_typeET2_T3_PNSZ_IS14_E10value_typeET4_jRbjT5_S1A_jjP12ihipStream_tbEUljE_EEESV_SW_SX_S14_S18_S1A_T6_T7_T9_mT8_S1C_bDpT10_ENKUlT_T0_E_clISt17integral_constantIbLb1EES1O_IbLb0EEEEDaS1K_S1L_EUlS1K_E_NS1_11comp_targetILNS1_3genE2ELNS1_11target_archE906ELNS1_3gpuE6ELNS1_3repE0EEENS1_30default_config_static_selectorELNS0_4arch9wavefront6targetE1EEEvSY_ ; -- Begin function _ZN7rocprim17ROCPRIM_400000_NS6detail17trampoline_kernelINS0_13select_configILj256ELj13ELNS0_17block_load_methodE3ELS4_3ELS4_3ELNS0_20block_scan_algorithmE0ELj4294967295EEENS1_25partition_config_selectorILNS1_17partition_subalgoE3EjNS0_10empty_typeEbEEZZNS1_14partition_implILS8_3ELb0ES6_jNS0_17counting_iteratorIjlEEPS9_SE_NS0_5tupleIJPjSE_EEENSF_IJSE_SE_EEES9_SG_JZNS1_25segmented_radix_sort_implINS0_14default_configELb0EPKdPdPKlPlN2at6native12_GLOBAL__N_18offset_tEEE10hipError_tPvRmT1_PNSt15iterator_traitsISY_E10value_typeET2_T3_PNSZ_IS14_E10value_typeET4_jRbjT5_S1A_jjP12ihipStream_tbEUljE_EEESV_SW_SX_S14_S18_S1A_T6_T7_T9_mT8_S1C_bDpT10_ENKUlT_T0_E_clISt17integral_constantIbLb1EES1O_IbLb0EEEEDaS1K_S1L_EUlS1K_E_NS1_11comp_targetILNS1_3genE2ELNS1_11target_archE906ELNS1_3gpuE6ELNS1_3repE0EEENS1_30default_config_static_selectorELNS0_4arch9wavefront6targetE1EEEvSY_
	.p2align	8
	.type	_ZN7rocprim17ROCPRIM_400000_NS6detail17trampoline_kernelINS0_13select_configILj256ELj13ELNS0_17block_load_methodE3ELS4_3ELS4_3ELNS0_20block_scan_algorithmE0ELj4294967295EEENS1_25partition_config_selectorILNS1_17partition_subalgoE3EjNS0_10empty_typeEbEEZZNS1_14partition_implILS8_3ELb0ES6_jNS0_17counting_iteratorIjlEEPS9_SE_NS0_5tupleIJPjSE_EEENSF_IJSE_SE_EEES9_SG_JZNS1_25segmented_radix_sort_implINS0_14default_configELb0EPKdPdPKlPlN2at6native12_GLOBAL__N_18offset_tEEE10hipError_tPvRmT1_PNSt15iterator_traitsISY_E10value_typeET2_T3_PNSZ_IS14_E10value_typeET4_jRbjT5_S1A_jjP12ihipStream_tbEUljE_EEESV_SW_SX_S14_S18_S1A_T6_T7_T9_mT8_S1C_bDpT10_ENKUlT_T0_E_clISt17integral_constantIbLb1EES1O_IbLb0EEEEDaS1K_S1L_EUlS1K_E_NS1_11comp_targetILNS1_3genE2ELNS1_11target_archE906ELNS1_3gpuE6ELNS1_3repE0EEENS1_30default_config_static_selectorELNS0_4arch9wavefront6targetE1EEEvSY_,@function
_ZN7rocprim17ROCPRIM_400000_NS6detail17trampoline_kernelINS0_13select_configILj256ELj13ELNS0_17block_load_methodE3ELS4_3ELS4_3ELNS0_20block_scan_algorithmE0ELj4294967295EEENS1_25partition_config_selectorILNS1_17partition_subalgoE3EjNS0_10empty_typeEbEEZZNS1_14partition_implILS8_3ELb0ES6_jNS0_17counting_iteratorIjlEEPS9_SE_NS0_5tupleIJPjSE_EEENSF_IJSE_SE_EEES9_SG_JZNS1_25segmented_radix_sort_implINS0_14default_configELb0EPKdPdPKlPlN2at6native12_GLOBAL__N_18offset_tEEE10hipError_tPvRmT1_PNSt15iterator_traitsISY_E10value_typeET2_T3_PNSZ_IS14_E10value_typeET4_jRbjT5_S1A_jjP12ihipStream_tbEUljE_EEESV_SW_SX_S14_S18_S1A_T6_T7_T9_mT8_S1C_bDpT10_ENKUlT_T0_E_clISt17integral_constantIbLb1EES1O_IbLb0EEEEDaS1K_S1L_EUlS1K_E_NS1_11comp_targetILNS1_3genE2ELNS1_11target_archE906ELNS1_3gpuE6ELNS1_3repE0EEENS1_30default_config_static_selectorELNS0_4arch9wavefront6targetE1EEEvSY_: ; @_ZN7rocprim17ROCPRIM_400000_NS6detail17trampoline_kernelINS0_13select_configILj256ELj13ELNS0_17block_load_methodE3ELS4_3ELS4_3ELNS0_20block_scan_algorithmE0ELj4294967295EEENS1_25partition_config_selectorILNS1_17partition_subalgoE3EjNS0_10empty_typeEbEEZZNS1_14partition_implILS8_3ELb0ES6_jNS0_17counting_iteratorIjlEEPS9_SE_NS0_5tupleIJPjSE_EEENSF_IJSE_SE_EEES9_SG_JZNS1_25segmented_radix_sort_implINS0_14default_configELb0EPKdPdPKlPlN2at6native12_GLOBAL__N_18offset_tEEE10hipError_tPvRmT1_PNSt15iterator_traitsISY_E10value_typeET2_T3_PNSZ_IS14_E10value_typeET4_jRbjT5_S1A_jjP12ihipStream_tbEUljE_EEESV_SW_SX_S14_S18_S1A_T6_T7_T9_mT8_S1C_bDpT10_ENKUlT_T0_E_clISt17integral_constantIbLb1EES1O_IbLb0EEEEDaS1K_S1L_EUlS1K_E_NS1_11comp_targetILNS1_3genE2ELNS1_11target_archE906ELNS1_3gpuE6ELNS1_3repE0EEENS1_30default_config_static_selectorELNS0_4arch9wavefront6targetE1EEEvSY_
; %bb.0:
	.section	.rodata,"a",@progbits
	.p2align	6, 0x0
	.amdhsa_kernel _ZN7rocprim17ROCPRIM_400000_NS6detail17trampoline_kernelINS0_13select_configILj256ELj13ELNS0_17block_load_methodE3ELS4_3ELS4_3ELNS0_20block_scan_algorithmE0ELj4294967295EEENS1_25partition_config_selectorILNS1_17partition_subalgoE3EjNS0_10empty_typeEbEEZZNS1_14partition_implILS8_3ELb0ES6_jNS0_17counting_iteratorIjlEEPS9_SE_NS0_5tupleIJPjSE_EEENSF_IJSE_SE_EEES9_SG_JZNS1_25segmented_radix_sort_implINS0_14default_configELb0EPKdPdPKlPlN2at6native12_GLOBAL__N_18offset_tEEE10hipError_tPvRmT1_PNSt15iterator_traitsISY_E10value_typeET2_T3_PNSZ_IS14_E10value_typeET4_jRbjT5_S1A_jjP12ihipStream_tbEUljE_EEESV_SW_SX_S14_S18_S1A_T6_T7_T9_mT8_S1C_bDpT10_ENKUlT_T0_E_clISt17integral_constantIbLb1EES1O_IbLb0EEEEDaS1K_S1L_EUlS1K_E_NS1_11comp_targetILNS1_3genE2ELNS1_11target_archE906ELNS1_3gpuE6ELNS1_3repE0EEENS1_30default_config_static_selectorELNS0_4arch9wavefront6targetE1EEEvSY_
		.amdhsa_group_segment_fixed_size 0
		.amdhsa_private_segment_fixed_size 0
		.amdhsa_kernarg_size 144
		.amdhsa_user_sgpr_count 6
		.amdhsa_user_sgpr_private_segment_buffer 1
		.amdhsa_user_sgpr_dispatch_ptr 0
		.amdhsa_user_sgpr_queue_ptr 0
		.amdhsa_user_sgpr_kernarg_segment_ptr 1
		.amdhsa_user_sgpr_dispatch_id 0
		.amdhsa_user_sgpr_flat_scratch_init 0
		.amdhsa_user_sgpr_kernarg_preload_length 0
		.amdhsa_user_sgpr_kernarg_preload_offset 0
		.amdhsa_user_sgpr_private_segment_size 0
		.amdhsa_uses_dynamic_stack 0
		.amdhsa_system_sgpr_private_segment_wavefront_offset 0
		.amdhsa_system_sgpr_workgroup_id_x 1
		.amdhsa_system_sgpr_workgroup_id_y 0
		.amdhsa_system_sgpr_workgroup_id_z 0
		.amdhsa_system_sgpr_workgroup_info 0
		.amdhsa_system_vgpr_workitem_id 0
		.amdhsa_next_free_vgpr 1
		.amdhsa_next_free_sgpr 0
		.amdhsa_accum_offset 4
		.amdhsa_reserve_vcc 0
		.amdhsa_reserve_flat_scratch 0
		.amdhsa_float_round_mode_32 0
		.amdhsa_float_round_mode_16_64 0
		.amdhsa_float_denorm_mode_32 3
		.amdhsa_float_denorm_mode_16_64 3
		.amdhsa_dx10_clamp 1
		.amdhsa_ieee_mode 1
		.amdhsa_fp16_overflow 0
		.amdhsa_tg_split 0
		.amdhsa_exception_fp_ieee_invalid_op 0
		.amdhsa_exception_fp_denorm_src 0
		.amdhsa_exception_fp_ieee_div_zero 0
		.amdhsa_exception_fp_ieee_overflow 0
		.amdhsa_exception_fp_ieee_underflow 0
		.amdhsa_exception_fp_ieee_inexact 0
		.amdhsa_exception_int_div_zero 0
	.end_amdhsa_kernel
	.section	.text._ZN7rocprim17ROCPRIM_400000_NS6detail17trampoline_kernelINS0_13select_configILj256ELj13ELNS0_17block_load_methodE3ELS4_3ELS4_3ELNS0_20block_scan_algorithmE0ELj4294967295EEENS1_25partition_config_selectorILNS1_17partition_subalgoE3EjNS0_10empty_typeEbEEZZNS1_14partition_implILS8_3ELb0ES6_jNS0_17counting_iteratorIjlEEPS9_SE_NS0_5tupleIJPjSE_EEENSF_IJSE_SE_EEES9_SG_JZNS1_25segmented_radix_sort_implINS0_14default_configELb0EPKdPdPKlPlN2at6native12_GLOBAL__N_18offset_tEEE10hipError_tPvRmT1_PNSt15iterator_traitsISY_E10value_typeET2_T3_PNSZ_IS14_E10value_typeET4_jRbjT5_S1A_jjP12ihipStream_tbEUljE_EEESV_SW_SX_S14_S18_S1A_T6_T7_T9_mT8_S1C_bDpT10_ENKUlT_T0_E_clISt17integral_constantIbLb1EES1O_IbLb0EEEEDaS1K_S1L_EUlS1K_E_NS1_11comp_targetILNS1_3genE2ELNS1_11target_archE906ELNS1_3gpuE6ELNS1_3repE0EEENS1_30default_config_static_selectorELNS0_4arch9wavefront6targetE1EEEvSY_,"axG",@progbits,_ZN7rocprim17ROCPRIM_400000_NS6detail17trampoline_kernelINS0_13select_configILj256ELj13ELNS0_17block_load_methodE3ELS4_3ELS4_3ELNS0_20block_scan_algorithmE0ELj4294967295EEENS1_25partition_config_selectorILNS1_17partition_subalgoE3EjNS0_10empty_typeEbEEZZNS1_14partition_implILS8_3ELb0ES6_jNS0_17counting_iteratorIjlEEPS9_SE_NS0_5tupleIJPjSE_EEENSF_IJSE_SE_EEES9_SG_JZNS1_25segmented_radix_sort_implINS0_14default_configELb0EPKdPdPKlPlN2at6native12_GLOBAL__N_18offset_tEEE10hipError_tPvRmT1_PNSt15iterator_traitsISY_E10value_typeET2_T3_PNSZ_IS14_E10value_typeET4_jRbjT5_S1A_jjP12ihipStream_tbEUljE_EEESV_SW_SX_S14_S18_S1A_T6_T7_T9_mT8_S1C_bDpT10_ENKUlT_T0_E_clISt17integral_constantIbLb1EES1O_IbLb0EEEEDaS1K_S1L_EUlS1K_E_NS1_11comp_targetILNS1_3genE2ELNS1_11target_archE906ELNS1_3gpuE6ELNS1_3repE0EEENS1_30default_config_static_selectorELNS0_4arch9wavefront6targetE1EEEvSY_,comdat
.Lfunc_end1207:
	.size	_ZN7rocprim17ROCPRIM_400000_NS6detail17trampoline_kernelINS0_13select_configILj256ELj13ELNS0_17block_load_methodE3ELS4_3ELS4_3ELNS0_20block_scan_algorithmE0ELj4294967295EEENS1_25partition_config_selectorILNS1_17partition_subalgoE3EjNS0_10empty_typeEbEEZZNS1_14partition_implILS8_3ELb0ES6_jNS0_17counting_iteratorIjlEEPS9_SE_NS0_5tupleIJPjSE_EEENSF_IJSE_SE_EEES9_SG_JZNS1_25segmented_radix_sort_implINS0_14default_configELb0EPKdPdPKlPlN2at6native12_GLOBAL__N_18offset_tEEE10hipError_tPvRmT1_PNSt15iterator_traitsISY_E10value_typeET2_T3_PNSZ_IS14_E10value_typeET4_jRbjT5_S1A_jjP12ihipStream_tbEUljE_EEESV_SW_SX_S14_S18_S1A_T6_T7_T9_mT8_S1C_bDpT10_ENKUlT_T0_E_clISt17integral_constantIbLb1EES1O_IbLb0EEEEDaS1K_S1L_EUlS1K_E_NS1_11comp_targetILNS1_3genE2ELNS1_11target_archE906ELNS1_3gpuE6ELNS1_3repE0EEENS1_30default_config_static_selectorELNS0_4arch9wavefront6targetE1EEEvSY_, .Lfunc_end1207-_ZN7rocprim17ROCPRIM_400000_NS6detail17trampoline_kernelINS0_13select_configILj256ELj13ELNS0_17block_load_methodE3ELS4_3ELS4_3ELNS0_20block_scan_algorithmE0ELj4294967295EEENS1_25partition_config_selectorILNS1_17partition_subalgoE3EjNS0_10empty_typeEbEEZZNS1_14partition_implILS8_3ELb0ES6_jNS0_17counting_iteratorIjlEEPS9_SE_NS0_5tupleIJPjSE_EEENSF_IJSE_SE_EEES9_SG_JZNS1_25segmented_radix_sort_implINS0_14default_configELb0EPKdPdPKlPlN2at6native12_GLOBAL__N_18offset_tEEE10hipError_tPvRmT1_PNSt15iterator_traitsISY_E10value_typeET2_T3_PNSZ_IS14_E10value_typeET4_jRbjT5_S1A_jjP12ihipStream_tbEUljE_EEESV_SW_SX_S14_S18_S1A_T6_T7_T9_mT8_S1C_bDpT10_ENKUlT_T0_E_clISt17integral_constantIbLb1EES1O_IbLb0EEEEDaS1K_S1L_EUlS1K_E_NS1_11comp_targetILNS1_3genE2ELNS1_11target_archE906ELNS1_3gpuE6ELNS1_3repE0EEENS1_30default_config_static_selectorELNS0_4arch9wavefront6targetE1EEEvSY_
                                        ; -- End function
	.section	.AMDGPU.csdata,"",@progbits
; Kernel info:
; codeLenInByte = 0
; NumSgprs: 4
; NumVgprs: 0
; NumAgprs: 0
; TotalNumVgprs: 0
; ScratchSize: 0
; MemoryBound: 0
; FloatMode: 240
; IeeeMode: 1
; LDSByteSize: 0 bytes/workgroup (compile time only)
; SGPRBlocks: 0
; VGPRBlocks: 0
; NumSGPRsForWavesPerEU: 4
; NumVGPRsForWavesPerEU: 1
; AccumOffset: 4
; Occupancy: 8
; WaveLimiterHint : 0
; COMPUTE_PGM_RSRC2:SCRATCH_EN: 0
; COMPUTE_PGM_RSRC2:USER_SGPR: 6
; COMPUTE_PGM_RSRC2:TRAP_HANDLER: 0
; COMPUTE_PGM_RSRC2:TGID_X_EN: 1
; COMPUTE_PGM_RSRC2:TGID_Y_EN: 0
; COMPUTE_PGM_RSRC2:TGID_Z_EN: 0
; COMPUTE_PGM_RSRC2:TIDIG_COMP_CNT: 0
; COMPUTE_PGM_RSRC3_GFX90A:ACCUM_OFFSET: 0
; COMPUTE_PGM_RSRC3_GFX90A:TG_SPLIT: 0
	.section	.text._ZN7rocprim17ROCPRIM_400000_NS6detail17trampoline_kernelINS0_13select_configILj256ELj13ELNS0_17block_load_methodE3ELS4_3ELS4_3ELNS0_20block_scan_algorithmE0ELj4294967295EEENS1_25partition_config_selectorILNS1_17partition_subalgoE3EjNS0_10empty_typeEbEEZZNS1_14partition_implILS8_3ELb0ES6_jNS0_17counting_iteratorIjlEEPS9_SE_NS0_5tupleIJPjSE_EEENSF_IJSE_SE_EEES9_SG_JZNS1_25segmented_radix_sort_implINS0_14default_configELb0EPKdPdPKlPlN2at6native12_GLOBAL__N_18offset_tEEE10hipError_tPvRmT1_PNSt15iterator_traitsISY_E10value_typeET2_T3_PNSZ_IS14_E10value_typeET4_jRbjT5_S1A_jjP12ihipStream_tbEUljE_EEESV_SW_SX_S14_S18_S1A_T6_T7_T9_mT8_S1C_bDpT10_ENKUlT_T0_E_clISt17integral_constantIbLb1EES1O_IbLb0EEEEDaS1K_S1L_EUlS1K_E_NS1_11comp_targetILNS1_3genE10ELNS1_11target_archE1200ELNS1_3gpuE4ELNS1_3repE0EEENS1_30default_config_static_selectorELNS0_4arch9wavefront6targetE1EEEvSY_,"axG",@progbits,_ZN7rocprim17ROCPRIM_400000_NS6detail17trampoline_kernelINS0_13select_configILj256ELj13ELNS0_17block_load_methodE3ELS4_3ELS4_3ELNS0_20block_scan_algorithmE0ELj4294967295EEENS1_25partition_config_selectorILNS1_17partition_subalgoE3EjNS0_10empty_typeEbEEZZNS1_14partition_implILS8_3ELb0ES6_jNS0_17counting_iteratorIjlEEPS9_SE_NS0_5tupleIJPjSE_EEENSF_IJSE_SE_EEES9_SG_JZNS1_25segmented_radix_sort_implINS0_14default_configELb0EPKdPdPKlPlN2at6native12_GLOBAL__N_18offset_tEEE10hipError_tPvRmT1_PNSt15iterator_traitsISY_E10value_typeET2_T3_PNSZ_IS14_E10value_typeET4_jRbjT5_S1A_jjP12ihipStream_tbEUljE_EEESV_SW_SX_S14_S18_S1A_T6_T7_T9_mT8_S1C_bDpT10_ENKUlT_T0_E_clISt17integral_constantIbLb1EES1O_IbLb0EEEEDaS1K_S1L_EUlS1K_E_NS1_11comp_targetILNS1_3genE10ELNS1_11target_archE1200ELNS1_3gpuE4ELNS1_3repE0EEENS1_30default_config_static_selectorELNS0_4arch9wavefront6targetE1EEEvSY_,comdat
	.globl	_ZN7rocprim17ROCPRIM_400000_NS6detail17trampoline_kernelINS0_13select_configILj256ELj13ELNS0_17block_load_methodE3ELS4_3ELS4_3ELNS0_20block_scan_algorithmE0ELj4294967295EEENS1_25partition_config_selectorILNS1_17partition_subalgoE3EjNS0_10empty_typeEbEEZZNS1_14partition_implILS8_3ELb0ES6_jNS0_17counting_iteratorIjlEEPS9_SE_NS0_5tupleIJPjSE_EEENSF_IJSE_SE_EEES9_SG_JZNS1_25segmented_radix_sort_implINS0_14default_configELb0EPKdPdPKlPlN2at6native12_GLOBAL__N_18offset_tEEE10hipError_tPvRmT1_PNSt15iterator_traitsISY_E10value_typeET2_T3_PNSZ_IS14_E10value_typeET4_jRbjT5_S1A_jjP12ihipStream_tbEUljE_EEESV_SW_SX_S14_S18_S1A_T6_T7_T9_mT8_S1C_bDpT10_ENKUlT_T0_E_clISt17integral_constantIbLb1EES1O_IbLb0EEEEDaS1K_S1L_EUlS1K_E_NS1_11comp_targetILNS1_3genE10ELNS1_11target_archE1200ELNS1_3gpuE4ELNS1_3repE0EEENS1_30default_config_static_selectorELNS0_4arch9wavefront6targetE1EEEvSY_ ; -- Begin function _ZN7rocprim17ROCPRIM_400000_NS6detail17trampoline_kernelINS0_13select_configILj256ELj13ELNS0_17block_load_methodE3ELS4_3ELS4_3ELNS0_20block_scan_algorithmE0ELj4294967295EEENS1_25partition_config_selectorILNS1_17partition_subalgoE3EjNS0_10empty_typeEbEEZZNS1_14partition_implILS8_3ELb0ES6_jNS0_17counting_iteratorIjlEEPS9_SE_NS0_5tupleIJPjSE_EEENSF_IJSE_SE_EEES9_SG_JZNS1_25segmented_radix_sort_implINS0_14default_configELb0EPKdPdPKlPlN2at6native12_GLOBAL__N_18offset_tEEE10hipError_tPvRmT1_PNSt15iterator_traitsISY_E10value_typeET2_T3_PNSZ_IS14_E10value_typeET4_jRbjT5_S1A_jjP12ihipStream_tbEUljE_EEESV_SW_SX_S14_S18_S1A_T6_T7_T9_mT8_S1C_bDpT10_ENKUlT_T0_E_clISt17integral_constantIbLb1EES1O_IbLb0EEEEDaS1K_S1L_EUlS1K_E_NS1_11comp_targetILNS1_3genE10ELNS1_11target_archE1200ELNS1_3gpuE4ELNS1_3repE0EEENS1_30default_config_static_selectorELNS0_4arch9wavefront6targetE1EEEvSY_
	.p2align	8
	.type	_ZN7rocprim17ROCPRIM_400000_NS6detail17trampoline_kernelINS0_13select_configILj256ELj13ELNS0_17block_load_methodE3ELS4_3ELS4_3ELNS0_20block_scan_algorithmE0ELj4294967295EEENS1_25partition_config_selectorILNS1_17partition_subalgoE3EjNS0_10empty_typeEbEEZZNS1_14partition_implILS8_3ELb0ES6_jNS0_17counting_iteratorIjlEEPS9_SE_NS0_5tupleIJPjSE_EEENSF_IJSE_SE_EEES9_SG_JZNS1_25segmented_radix_sort_implINS0_14default_configELb0EPKdPdPKlPlN2at6native12_GLOBAL__N_18offset_tEEE10hipError_tPvRmT1_PNSt15iterator_traitsISY_E10value_typeET2_T3_PNSZ_IS14_E10value_typeET4_jRbjT5_S1A_jjP12ihipStream_tbEUljE_EEESV_SW_SX_S14_S18_S1A_T6_T7_T9_mT8_S1C_bDpT10_ENKUlT_T0_E_clISt17integral_constantIbLb1EES1O_IbLb0EEEEDaS1K_S1L_EUlS1K_E_NS1_11comp_targetILNS1_3genE10ELNS1_11target_archE1200ELNS1_3gpuE4ELNS1_3repE0EEENS1_30default_config_static_selectorELNS0_4arch9wavefront6targetE1EEEvSY_,@function
_ZN7rocprim17ROCPRIM_400000_NS6detail17trampoline_kernelINS0_13select_configILj256ELj13ELNS0_17block_load_methodE3ELS4_3ELS4_3ELNS0_20block_scan_algorithmE0ELj4294967295EEENS1_25partition_config_selectorILNS1_17partition_subalgoE3EjNS0_10empty_typeEbEEZZNS1_14partition_implILS8_3ELb0ES6_jNS0_17counting_iteratorIjlEEPS9_SE_NS0_5tupleIJPjSE_EEENSF_IJSE_SE_EEES9_SG_JZNS1_25segmented_radix_sort_implINS0_14default_configELb0EPKdPdPKlPlN2at6native12_GLOBAL__N_18offset_tEEE10hipError_tPvRmT1_PNSt15iterator_traitsISY_E10value_typeET2_T3_PNSZ_IS14_E10value_typeET4_jRbjT5_S1A_jjP12ihipStream_tbEUljE_EEESV_SW_SX_S14_S18_S1A_T6_T7_T9_mT8_S1C_bDpT10_ENKUlT_T0_E_clISt17integral_constantIbLb1EES1O_IbLb0EEEEDaS1K_S1L_EUlS1K_E_NS1_11comp_targetILNS1_3genE10ELNS1_11target_archE1200ELNS1_3gpuE4ELNS1_3repE0EEENS1_30default_config_static_selectorELNS0_4arch9wavefront6targetE1EEEvSY_: ; @_ZN7rocprim17ROCPRIM_400000_NS6detail17trampoline_kernelINS0_13select_configILj256ELj13ELNS0_17block_load_methodE3ELS4_3ELS4_3ELNS0_20block_scan_algorithmE0ELj4294967295EEENS1_25partition_config_selectorILNS1_17partition_subalgoE3EjNS0_10empty_typeEbEEZZNS1_14partition_implILS8_3ELb0ES6_jNS0_17counting_iteratorIjlEEPS9_SE_NS0_5tupleIJPjSE_EEENSF_IJSE_SE_EEES9_SG_JZNS1_25segmented_radix_sort_implINS0_14default_configELb0EPKdPdPKlPlN2at6native12_GLOBAL__N_18offset_tEEE10hipError_tPvRmT1_PNSt15iterator_traitsISY_E10value_typeET2_T3_PNSZ_IS14_E10value_typeET4_jRbjT5_S1A_jjP12ihipStream_tbEUljE_EEESV_SW_SX_S14_S18_S1A_T6_T7_T9_mT8_S1C_bDpT10_ENKUlT_T0_E_clISt17integral_constantIbLb1EES1O_IbLb0EEEEDaS1K_S1L_EUlS1K_E_NS1_11comp_targetILNS1_3genE10ELNS1_11target_archE1200ELNS1_3gpuE4ELNS1_3repE0EEENS1_30default_config_static_selectorELNS0_4arch9wavefront6targetE1EEEvSY_
; %bb.0:
	.section	.rodata,"a",@progbits
	.p2align	6, 0x0
	.amdhsa_kernel _ZN7rocprim17ROCPRIM_400000_NS6detail17trampoline_kernelINS0_13select_configILj256ELj13ELNS0_17block_load_methodE3ELS4_3ELS4_3ELNS0_20block_scan_algorithmE0ELj4294967295EEENS1_25partition_config_selectorILNS1_17partition_subalgoE3EjNS0_10empty_typeEbEEZZNS1_14partition_implILS8_3ELb0ES6_jNS0_17counting_iteratorIjlEEPS9_SE_NS0_5tupleIJPjSE_EEENSF_IJSE_SE_EEES9_SG_JZNS1_25segmented_radix_sort_implINS0_14default_configELb0EPKdPdPKlPlN2at6native12_GLOBAL__N_18offset_tEEE10hipError_tPvRmT1_PNSt15iterator_traitsISY_E10value_typeET2_T3_PNSZ_IS14_E10value_typeET4_jRbjT5_S1A_jjP12ihipStream_tbEUljE_EEESV_SW_SX_S14_S18_S1A_T6_T7_T9_mT8_S1C_bDpT10_ENKUlT_T0_E_clISt17integral_constantIbLb1EES1O_IbLb0EEEEDaS1K_S1L_EUlS1K_E_NS1_11comp_targetILNS1_3genE10ELNS1_11target_archE1200ELNS1_3gpuE4ELNS1_3repE0EEENS1_30default_config_static_selectorELNS0_4arch9wavefront6targetE1EEEvSY_
		.amdhsa_group_segment_fixed_size 0
		.amdhsa_private_segment_fixed_size 0
		.amdhsa_kernarg_size 144
		.amdhsa_user_sgpr_count 6
		.amdhsa_user_sgpr_private_segment_buffer 1
		.amdhsa_user_sgpr_dispatch_ptr 0
		.amdhsa_user_sgpr_queue_ptr 0
		.amdhsa_user_sgpr_kernarg_segment_ptr 1
		.amdhsa_user_sgpr_dispatch_id 0
		.amdhsa_user_sgpr_flat_scratch_init 0
		.amdhsa_user_sgpr_kernarg_preload_length 0
		.amdhsa_user_sgpr_kernarg_preload_offset 0
		.amdhsa_user_sgpr_private_segment_size 0
		.amdhsa_uses_dynamic_stack 0
		.amdhsa_system_sgpr_private_segment_wavefront_offset 0
		.amdhsa_system_sgpr_workgroup_id_x 1
		.amdhsa_system_sgpr_workgroup_id_y 0
		.amdhsa_system_sgpr_workgroup_id_z 0
		.amdhsa_system_sgpr_workgroup_info 0
		.amdhsa_system_vgpr_workitem_id 0
		.amdhsa_next_free_vgpr 1
		.amdhsa_next_free_sgpr 0
		.amdhsa_accum_offset 4
		.amdhsa_reserve_vcc 0
		.amdhsa_reserve_flat_scratch 0
		.amdhsa_float_round_mode_32 0
		.amdhsa_float_round_mode_16_64 0
		.amdhsa_float_denorm_mode_32 3
		.amdhsa_float_denorm_mode_16_64 3
		.amdhsa_dx10_clamp 1
		.amdhsa_ieee_mode 1
		.amdhsa_fp16_overflow 0
		.amdhsa_tg_split 0
		.amdhsa_exception_fp_ieee_invalid_op 0
		.amdhsa_exception_fp_denorm_src 0
		.amdhsa_exception_fp_ieee_div_zero 0
		.amdhsa_exception_fp_ieee_overflow 0
		.amdhsa_exception_fp_ieee_underflow 0
		.amdhsa_exception_fp_ieee_inexact 0
		.amdhsa_exception_int_div_zero 0
	.end_amdhsa_kernel
	.section	.text._ZN7rocprim17ROCPRIM_400000_NS6detail17trampoline_kernelINS0_13select_configILj256ELj13ELNS0_17block_load_methodE3ELS4_3ELS4_3ELNS0_20block_scan_algorithmE0ELj4294967295EEENS1_25partition_config_selectorILNS1_17partition_subalgoE3EjNS0_10empty_typeEbEEZZNS1_14partition_implILS8_3ELb0ES6_jNS0_17counting_iteratorIjlEEPS9_SE_NS0_5tupleIJPjSE_EEENSF_IJSE_SE_EEES9_SG_JZNS1_25segmented_radix_sort_implINS0_14default_configELb0EPKdPdPKlPlN2at6native12_GLOBAL__N_18offset_tEEE10hipError_tPvRmT1_PNSt15iterator_traitsISY_E10value_typeET2_T3_PNSZ_IS14_E10value_typeET4_jRbjT5_S1A_jjP12ihipStream_tbEUljE_EEESV_SW_SX_S14_S18_S1A_T6_T7_T9_mT8_S1C_bDpT10_ENKUlT_T0_E_clISt17integral_constantIbLb1EES1O_IbLb0EEEEDaS1K_S1L_EUlS1K_E_NS1_11comp_targetILNS1_3genE10ELNS1_11target_archE1200ELNS1_3gpuE4ELNS1_3repE0EEENS1_30default_config_static_selectorELNS0_4arch9wavefront6targetE1EEEvSY_,"axG",@progbits,_ZN7rocprim17ROCPRIM_400000_NS6detail17trampoline_kernelINS0_13select_configILj256ELj13ELNS0_17block_load_methodE3ELS4_3ELS4_3ELNS0_20block_scan_algorithmE0ELj4294967295EEENS1_25partition_config_selectorILNS1_17partition_subalgoE3EjNS0_10empty_typeEbEEZZNS1_14partition_implILS8_3ELb0ES6_jNS0_17counting_iteratorIjlEEPS9_SE_NS0_5tupleIJPjSE_EEENSF_IJSE_SE_EEES9_SG_JZNS1_25segmented_radix_sort_implINS0_14default_configELb0EPKdPdPKlPlN2at6native12_GLOBAL__N_18offset_tEEE10hipError_tPvRmT1_PNSt15iterator_traitsISY_E10value_typeET2_T3_PNSZ_IS14_E10value_typeET4_jRbjT5_S1A_jjP12ihipStream_tbEUljE_EEESV_SW_SX_S14_S18_S1A_T6_T7_T9_mT8_S1C_bDpT10_ENKUlT_T0_E_clISt17integral_constantIbLb1EES1O_IbLb0EEEEDaS1K_S1L_EUlS1K_E_NS1_11comp_targetILNS1_3genE10ELNS1_11target_archE1200ELNS1_3gpuE4ELNS1_3repE0EEENS1_30default_config_static_selectorELNS0_4arch9wavefront6targetE1EEEvSY_,comdat
.Lfunc_end1208:
	.size	_ZN7rocprim17ROCPRIM_400000_NS6detail17trampoline_kernelINS0_13select_configILj256ELj13ELNS0_17block_load_methodE3ELS4_3ELS4_3ELNS0_20block_scan_algorithmE0ELj4294967295EEENS1_25partition_config_selectorILNS1_17partition_subalgoE3EjNS0_10empty_typeEbEEZZNS1_14partition_implILS8_3ELb0ES6_jNS0_17counting_iteratorIjlEEPS9_SE_NS0_5tupleIJPjSE_EEENSF_IJSE_SE_EEES9_SG_JZNS1_25segmented_radix_sort_implINS0_14default_configELb0EPKdPdPKlPlN2at6native12_GLOBAL__N_18offset_tEEE10hipError_tPvRmT1_PNSt15iterator_traitsISY_E10value_typeET2_T3_PNSZ_IS14_E10value_typeET4_jRbjT5_S1A_jjP12ihipStream_tbEUljE_EEESV_SW_SX_S14_S18_S1A_T6_T7_T9_mT8_S1C_bDpT10_ENKUlT_T0_E_clISt17integral_constantIbLb1EES1O_IbLb0EEEEDaS1K_S1L_EUlS1K_E_NS1_11comp_targetILNS1_3genE10ELNS1_11target_archE1200ELNS1_3gpuE4ELNS1_3repE0EEENS1_30default_config_static_selectorELNS0_4arch9wavefront6targetE1EEEvSY_, .Lfunc_end1208-_ZN7rocprim17ROCPRIM_400000_NS6detail17trampoline_kernelINS0_13select_configILj256ELj13ELNS0_17block_load_methodE3ELS4_3ELS4_3ELNS0_20block_scan_algorithmE0ELj4294967295EEENS1_25partition_config_selectorILNS1_17partition_subalgoE3EjNS0_10empty_typeEbEEZZNS1_14partition_implILS8_3ELb0ES6_jNS0_17counting_iteratorIjlEEPS9_SE_NS0_5tupleIJPjSE_EEENSF_IJSE_SE_EEES9_SG_JZNS1_25segmented_radix_sort_implINS0_14default_configELb0EPKdPdPKlPlN2at6native12_GLOBAL__N_18offset_tEEE10hipError_tPvRmT1_PNSt15iterator_traitsISY_E10value_typeET2_T3_PNSZ_IS14_E10value_typeET4_jRbjT5_S1A_jjP12ihipStream_tbEUljE_EEESV_SW_SX_S14_S18_S1A_T6_T7_T9_mT8_S1C_bDpT10_ENKUlT_T0_E_clISt17integral_constantIbLb1EES1O_IbLb0EEEEDaS1K_S1L_EUlS1K_E_NS1_11comp_targetILNS1_3genE10ELNS1_11target_archE1200ELNS1_3gpuE4ELNS1_3repE0EEENS1_30default_config_static_selectorELNS0_4arch9wavefront6targetE1EEEvSY_
                                        ; -- End function
	.section	.AMDGPU.csdata,"",@progbits
; Kernel info:
; codeLenInByte = 0
; NumSgprs: 4
; NumVgprs: 0
; NumAgprs: 0
; TotalNumVgprs: 0
; ScratchSize: 0
; MemoryBound: 0
; FloatMode: 240
; IeeeMode: 1
; LDSByteSize: 0 bytes/workgroup (compile time only)
; SGPRBlocks: 0
; VGPRBlocks: 0
; NumSGPRsForWavesPerEU: 4
; NumVGPRsForWavesPerEU: 1
; AccumOffset: 4
; Occupancy: 8
; WaveLimiterHint : 0
; COMPUTE_PGM_RSRC2:SCRATCH_EN: 0
; COMPUTE_PGM_RSRC2:USER_SGPR: 6
; COMPUTE_PGM_RSRC2:TRAP_HANDLER: 0
; COMPUTE_PGM_RSRC2:TGID_X_EN: 1
; COMPUTE_PGM_RSRC2:TGID_Y_EN: 0
; COMPUTE_PGM_RSRC2:TGID_Z_EN: 0
; COMPUTE_PGM_RSRC2:TIDIG_COMP_CNT: 0
; COMPUTE_PGM_RSRC3_GFX90A:ACCUM_OFFSET: 0
; COMPUTE_PGM_RSRC3_GFX90A:TG_SPLIT: 0
	.section	.text._ZN7rocprim17ROCPRIM_400000_NS6detail17trampoline_kernelINS0_13select_configILj256ELj13ELNS0_17block_load_methodE3ELS4_3ELS4_3ELNS0_20block_scan_algorithmE0ELj4294967295EEENS1_25partition_config_selectorILNS1_17partition_subalgoE3EjNS0_10empty_typeEbEEZZNS1_14partition_implILS8_3ELb0ES6_jNS0_17counting_iteratorIjlEEPS9_SE_NS0_5tupleIJPjSE_EEENSF_IJSE_SE_EEES9_SG_JZNS1_25segmented_radix_sort_implINS0_14default_configELb0EPKdPdPKlPlN2at6native12_GLOBAL__N_18offset_tEEE10hipError_tPvRmT1_PNSt15iterator_traitsISY_E10value_typeET2_T3_PNSZ_IS14_E10value_typeET4_jRbjT5_S1A_jjP12ihipStream_tbEUljE_EEESV_SW_SX_S14_S18_S1A_T6_T7_T9_mT8_S1C_bDpT10_ENKUlT_T0_E_clISt17integral_constantIbLb1EES1O_IbLb0EEEEDaS1K_S1L_EUlS1K_E_NS1_11comp_targetILNS1_3genE9ELNS1_11target_archE1100ELNS1_3gpuE3ELNS1_3repE0EEENS1_30default_config_static_selectorELNS0_4arch9wavefront6targetE1EEEvSY_,"axG",@progbits,_ZN7rocprim17ROCPRIM_400000_NS6detail17trampoline_kernelINS0_13select_configILj256ELj13ELNS0_17block_load_methodE3ELS4_3ELS4_3ELNS0_20block_scan_algorithmE0ELj4294967295EEENS1_25partition_config_selectorILNS1_17partition_subalgoE3EjNS0_10empty_typeEbEEZZNS1_14partition_implILS8_3ELb0ES6_jNS0_17counting_iteratorIjlEEPS9_SE_NS0_5tupleIJPjSE_EEENSF_IJSE_SE_EEES9_SG_JZNS1_25segmented_radix_sort_implINS0_14default_configELb0EPKdPdPKlPlN2at6native12_GLOBAL__N_18offset_tEEE10hipError_tPvRmT1_PNSt15iterator_traitsISY_E10value_typeET2_T3_PNSZ_IS14_E10value_typeET4_jRbjT5_S1A_jjP12ihipStream_tbEUljE_EEESV_SW_SX_S14_S18_S1A_T6_T7_T9_mT8_S1C_bDpT10_ENKUlT_T0_E_clISt17integral_constantIbLb1EES1O_IbLb0EEEEDaS1K_S1L_EUlS1K_E_NS1_11comp_targetILNS1_3genE9ELNS1_11target_archE1100ELNS1_3gpuE3ELNS1_3repE0EEENS1_30default_config_static_selectorELNS0_4arch9wavefront6targetE1EEEvSY_,comdat
	.globl	_ZN7rocprim17ROCPRIM_400000_NS6detail17trampoline_kernelINS0_13select_configILj256ELj13ELNS0_17block_load_methodE3ELS4_3ELS4_3ELNS0_20block_scan_algorithmE0ELj4294967295EEENS1_25partition_config_selectorILNS1_17partition_subalgoE3EjNS0_10empty_typeEbEEZZNS1_14partition_implILS8_3ELb0ES6_jNS0_17counting_iteratorIjlEEPS9_SE_NS0_5tupleIJPjSE_EEENSF_IJSE_SE_EEES9_SG_JZNS1_25segmented_radix_sort_implINS0_14default_configELb0EPKdPdPKlPlN2at6native12_GLOBAL__N_18offset_tEEE10hipError_tPvRmT1_PNSt15iterator_traitsISY_E10value_typeET2_T3_PNSZ_IS14_E10value_typeET4_jRbjT5_S1A_jjP12ihipStream_tbEUljE_EEESV_SW_SX_S14_S18_S1A_T6_T7_T9_mT8_S1C_bDpT10_ENKUlT_T0_E_clISt17integral_constantIbLb1EES1O_IbLb0EEEEDaS1K_S1L_EUlS1K_E_NS1_11comp_targetILNS1_3genE9ELNS1_11target_archE1100ELNS1_3gpuE3ELNS1_3repE0EEENS1_30default_config_static_selectorELNS0_4arch9wavefront6targetE1EEEvSY_ ; -- Begin function _ZN7rocprim17ROCPRIM_400000_NS6detail17trampoline_kernelINS0_13select_configILj256ELj13ELNS0_17block_load_methodE3ELS4_3ELS4_3ELNS0_20block_scan_algorithmE0ELj4294967295EEENS1_25partition_config_selectorILNS1_17partition_subalgoE3EjNS0_10empty_typeEbEEZZNS1_14partition_implILS8_3ELb0ES6_jNS0_17counting_iteratorIjlEEPS9_SE_NS0_5tupleIJPjSE_EEENSF_IJSE_SE_EEES9_SG_JZNS1_25segmented_radix_sort_implINS0_14default_configELb0EPKdPdPKlPlN2at6native12_GLOBAL__N_18offset_tEEE10hipError_tPvRmT1_PNSt15iterator_traitsISY_E10value_typeET2_T3_PNSZ_IS14_E10value_typeET4_jRbjT5_S1A_jjP12ihipStream_tbEUljE_EEESV_SW_SX_S14_S18_S1A_T6_T7_T9_mT8_S1C_bDpT10_ENKUlT_T0_E_clISt17integral_constantIbLb1EES1O_IbLb0EEEEDaS1K_S1L_EUlS1K_E_NS1_11comp_targetILNS1_3genE9ELNS1_11target_archE1100ELNS1_3gpuE3ELNS1_3repE0EEENS1_30default_config_static_selectorELNS0_4arch9wavefront6targetE1EEEvSY_
	.p2align	8
	.type	_ZN7rocprim17ROCPRIM_400000_NS6detail17trampoline_kernelINS0_13select_configILj256ELj13ELNS0_17block_load_methodE3ELS4_3ELS4_3ELNS0_20block_scan_algorithmE0ELj4294967295EEENS1_25partition_config_selectorILNS1_17partition_subalgoE3EjNS0_10empty_typeEbEEZZNS1_14partition_implILS8_3ELb0ES6_jNS0_17counting_iteratorIjlEEPS9_SE_NS0_5tupleIJPjSE_EEENSF_IJSE_SE_EEES9_SG_JZNS1_25segmented_radix_sort_implINS0_14default_configELb0EPKdPdPKlPlN2at6native12_GLOBAL__N_18offset_tEEE10hipError_tPvRmT1_PNSt15iterator_traitsISY_E10value_typeET2_T3_PNSZ_IS14_E10value_typeET4_jRbjT5_S1A_jjP12ihipStream_tbEUljE_EEESV_SW_SX_S14_S18_S1A_T6_T7_T9_mT8_S1C_bDpT10_ENKUlT_T0_E_clISt17integral_constantIbLb1EES1O_IbLb0EEEEDaS1K_S1L_EUlS1K_E_NS1_11comp_targetILNS1_3genE9ELNS1_11target_archE1100ELNS1_3gpuE3ELNS1_3repE0EEENS1_30default_config_static_selectorELNS0_4arch9wavefront6targetE1EEEvSY_,@function
_ZN7rocprim17ROCPRIM_400000_NS6detail17trampoline_kernelINS0_13select_configILj256ELj13ELNS0_17block_load_methodE3ELS4_3ELS4_3ELNS0_20block_scan_algorithmE0ELj4294967295EEENS1_25partition_config_selectorILNS1_17partition_subalgoE3EjNS0_10empty_typeEbEEZZNS1_14partition_implILS8_3ELb0ES6_jNS0_17counting_iteratorIjlEEPS9_SE_NS0_5tupleIJPjSE_EEENSF_IJSE_SE_EEES9_SG_JZNS1_25segmented_radix_sort_implINS0_14default_configELb0EPKdPdPKlPlN2at6native12_GLOBAL__N_18offset_tEEE10hipError_tPvRmT1_PNSt15iterator_traitsISY_E10value_typeET2_T3_PNSZ_IS14_E10value_typeET4_jRbjT5_S1A_jjP12ihipStream_tbEUljE_EEESV_SW_SX_S14_S18_S1A_T6_T7_T9_mT8_S1C_bDpT10_ENKUlT_T0_E_clISt17integral_constantIbLb1EES1O_IbLb0EEEEDaS1K_S1L_EUlS1K_E_NS1_11comp_targetILNS1_3genE9ELNS1_11target_archE1100ELNS1_3gpuE3ELNS1_3repE0EEENS1_30default_config_static_selectorELNS0_4arch9wavefront6targetE1EEEvSY_: ; @_ZN7rocprim17ROCPRIM_400000_NS6detail17trampoline_kernelINS0_13select_configILj256ELj13ELNS0_17block_load_methodE3ELS4_3ELS4_3ELNS0_20block_scan_algorithmE0ELj4294967295EEENS1_25partition_config_selectorILNS1_17partition_subalgoE3EjNS0_10empty_typeEbEEZZNS1_14partition_implILS8_3ELb0ES6_jNS0_17counting_iteratorIjlEEPS9_SE_NS0_5tupleIJPjSE_EEENSF_IJSE_SE_EEES9_SG_JZNS1_25segmented_radix_sort_implINS0_14default_configELb0EPKdPdPKlPlN2at6native12_GLOBAL__N_18offset_tEEE10hipError_tPvRmT1_PNSt15iterator_traitsISY_E10value_typeET2_T3_PNSZ_IS14_E10value_typeET4_jRbjT5_S1A_jjP12ihipStream_tbEUljE_EEESV_SW_SX_S14_S18_S1A_T6_T7_T9_mT8_S1C_bDpT10_ENKUlT_T0_E_clISt17integral_constantIbLb1EES1O_IbLb0EEEEDaS1K_S1L_EUlS1K_E_NS1_11comp_targetILNS1_3genE9ELNS1_11target_archE1100ELNS1_3gpuE3ELNS1_3repE0EEENS1_30default_config_static_selectorELNS0_4arch9wavefront6targetE1EEEvSY_
; %bb.0:
	.section	.rodata,"a",@progbits
	.p2align	6, 0x0
	.amdhsa_kernel _ZN7rocprim17ROCPRIM_400000_NS6detail17trampoline_kernelINS0_13select_configILj256ELj13ELNS0_17block_load_methodE3ELS4_3ELS4_3ELNS0_20block_scan_algorithmE0ELj4294967295EEENS1_25partition_config_selectorILNS1_17partition_subalgoE3EjNS0_10empty_typeEbEEZZNS1_14partition_implILS8_3ELb0ES6_jNS0_17counting_iteratorIjlEEPS9_SE_NS0_5tupleIJPjSE_EEENSF_IJSE_SE_EEES9_SG_JZNS1_25segmented_radix_sort_implINS0_14default_configELb0EPKdPdPKlPlN2at6native12_GLOBAL__N_18offset_tEEE10hipError_tPvRmT1_PNSt15iterator_traitsISY_E10value_typeET2_T3_PNSZ_IS14_E10value_typeET4_jRbjT5_S1A_jjP12ihipStream_tbEUljE_EEESV_SW_SX_S14_S18_S1A_T6_T7_T9_mT8_S1C_bDpT10_ENKUlT_T0_E_clISt17integral_constantIbLb1EES1O_IbLb0EEEEDaS1K_S1L_EUlS1K_E_NS1_11comp_targetILNS1_3genE9ELNS1_11target_archE1100ELNS1_3gpuE3ELNS1_3repE0EEENS1_30default_config_static_selectorELNS0_4arch9wavefront6targetE1EEEvSY_
		.amdhsa_group_segment_fixed_size 0
		.amdhsa_private_segment_fixed_size 0
		.amdhsa_kernarg_size 144
		.amdhsa_user_sgpr_count 6
		.amdhsa_user_sgpr_private_segment_buffer 1
		.amdhsa_user_sgpr_dispatch_ptr 0
		.amdhsa_user_sgpr_queue_ptr 0
		.amdhsa_user_sgpr_kernarg_segment_ptr 1
		.amdhsa_user_sgpr_dispatch_id 0
		.amdhsa_user_sgpr_flat_scratch_init 0
		.amdhsa_user_sgpr_kernarg_preload_length 0
		.amdhsa_user_sgpr_kernarg_preload_offset 0
		.amdhsa_user_sgpr_private_segment_size 0
		.amdhsa_uses_dynamic_stack 0
		.amdhsa_system_sgpr_private_segment_wavefront_offset 0
		.amdhsa_system_sgpr_workgroup_id_x 1
		.amdhsa_system_sgpr_workgroup_id_y 0
		.amdhsa_system_sgpr_workgroup_id_z 0
		.amdhsa_system_sgpr_workgroup_info 0
		.amdhsa_system_vgpr_workitem_id 0
		.amdhsa_next_free_vgpr 1
		.amdhsa_next_free_sgpr 0
		.amdhsa_accum_offset 4
		.amdhsa_reserve_vcc 0
		.amdhsa_reserve_flat_scratch 0
		.amdhsa_float_round_mode_32 0
		.amdhsa_float_round_mode_16_64 0
		.amdhsa_float_denorm_mode_32 3
		.amdhsa_float_denorm_mode_16_64 3
		.amdhsa_dx10_clamp 1
		.amdhsa_ieee_mode 1
		.amdhsa_fp16_overflow 0
		.amdhsa_tg_split 0
		.amdhsa_exception_fp_ieee_invalid_op 0
		.amdhsa_exception_fp_denorm_src 0
		.amdhsa_exception_fp_ieee_div_zero 0
		.amdhsa_exception_fp_ieee_overflow 0
		.amdhsa_exception_fp_ieee_underflow 0
		.amdhsa_exception_fp_ieee_inexact 0
		.amdhsa_exception_int_div_zero 0
	.end_amdhsa_kernel
	.section	.text._ZN7rocprim17ROCPRIM_400000_NS6detail17trampoline_kernelINS0_13select_configILj256ELj13ELNS0_17block_load_methodE3ELS4_3ELS4_3ELNS0_20block_scan_algorithmE0ELj4294967295EEENS1_25partition_config_selectorILNS1_17partition_subalgoE3EjNS0_10empty_typeEbEEZZNS1_14partition_implILS8_3ELb0ES6_jNS0_17counting_iteratorIjlEEPS9_SE_NS0_5tupleIJPjSE_EEENSF_IJSE_SE_EEES9_SG_JZNS1_25segmented_radix_sort_implINS0_14default_configELb0EPKdPdPKlPlN2at6native12_GLOBAL__N_18offset_tEEE10hipError_tPvRmT1_PNSt15iterator_traitsISY_E10value_typeET2_T3_PNSZ_IS14_E10value_typeET4_jRbjT5_S1A_jjP12ihipStream_tbEUljE_EEESV_SW_SX_S14_S18_S1A_T6_T7_T9_mT8_S1C_bDpT10_ENKUlT_T0_E_clISt17integral_constantIbLb1EES1O_IbLb0EEEEDaS1K_S1L_EUlS1K_E_NS1_11comp_targetILNS1_3genE9ELNS1_11target_archE1100ELNS1_3gpuE3ELNS1_3repE0EEENS1_30default_config_static_selectorELNS0_4arch9wavefront6targetE1EEEvSY_,"axG",@progbits,_ZN7rocprim17ROCPRIM_400000_NS6detail17trampoline_kernelINS0_13select_configILj256ELj13ELNS0_17block_load_methodE3ELS4_3ELS4_3ELNS0_20block_scan_algorithmE0ELj4294967295EEENS1_25partition_config_selectorILNS1_17partition_subalgoE3EjNS0_10empty_typeEbEEZZNS1_14partition_implILS8_3ELb0ES6_jNS0_17counting_iteratorIjlEEPS9_SE_NS0_5tupleIJPjSE_EEENSF_IJSE_SE_EEES9_SG_JZNS1_25segmented_radix_sort_implINS0_14default_configELb0EPKdPdPKlPlN2at6native12_GLOBAL__N_18offset_tEEE10hipError_tPvRmT1_PNSt15iterator_traitsISY_E10value_typeET2_T3_PNSZ_IS14_E10value_typeET4_jRbjT5_S1A_jjP12ihipStream_tbEUljE_EEESV_SW_SX_S14_S18_S1A_T6_T7_T9_mT8_S1C_bDpT10_ENKUlT_T0_E_clISt17integral_constantIbLb1EES1O_IbLb0EEEEDaS1K_S1L_EUlS1K_E_NS1_11comp_targetILNS1_3genE9ELNS1_11target_archE1100ELNS1_3gpuE3ELNS1_3repE0EEENS1_30default_config_static_selectorELNS0_4arch9wavefront6targetE1EEEvSY_,comdat
.Lfunc_end1209:
	.size	_ZN7rocprim17ROCPRIM_400000_NS6detail17trampoline_kernelINS0_13select_configILj256ELj13ELNS0_17block_load_methodE3ELS4_3ELS4_3ELNS0_20block_scan_algorithmE0ELj4294967295EEENS1_25partition_config_selectorILNS1_17partition_subalgoE3EjNS0_10empty_typeEbEEZZNS1_14partition_implILS8_3ELb0ES6_jNS0_17counting_iteratorIjlEEPS9_SE_NS0_5tupleIJPjSE_EEENSF_IJSE_SE_EEES9_SG_JZNS1_25segmented_radix_sort_implINS0_14default_configELb0EPKdPdPKlPlN2at6native12_GLOBAL__N_18offset_tEEE10hipError_tPvRmT1_PNSt15iterator_traitsISY_E10value_typeET2_T3_PNSZ_IS14_E10value_typeET4_jRbjT5_S1A_jjP12ihipStream_tbEUljE_EEESV_SW_SX_S14_S18_S1A_T6_T7_T9_mT8_S1C_bDpT10_ENKUlT_T0_E_clISt17integral_constantIbLb1EES1O_IbLb0EEEEDaS1K_S1L_EUlS1K_E_NS1_11comp_targetILNS1_3genE9ELNS1_11target_archE1100ELNS1_3gpuE3ELNS1_3repE0EEENS1_30default_config_static_selectorELNS0_4arch9wavefront6targetE1EEEvSY_, .Lfunc_end1209-_ZN7rocprim17ROCPRIM_400000_NS6detail17trampoline_kernelINS0_13select_configILj256ELj13ELNS0_17block_load_methodE3ELS4_3ELS4_3ELNS0_20block_scan_algorithmE0ELj4294967295EEENS1_25partition_config_selectorILNS1_17partition_subalgoE3EjNS0_10empty_typeEbEEZZNS1_14partition_implILS8_3ELb0ES6_jNS0_17counting_iteratorIjlEEPS9_SE_NS0_5tupleIJPjSE_EEENSF_IJSE_SE_EEES9_SG_JZNS1_25segmented_radix_sort_implINS0_14default_configELb0EPKdPdPKlPlN2at6native12_GLOBAL__N_18offset_tEEE10hipError_tPvRmT1_PNSt15iterator_traitsISY_E10value_typeET2_T3_PNSZ_IS14_E10value_typeET4_jRbjT5_S1A_jjP12ihipStream_tbEUljE_EEESV_SW_SX_S14_S18_S1A_T6_T7_T9_mT8_S1C_bDpT10_ENKUlT_T0_E_clISt17integral_constantIbLb1EES1O_IbLb0EEEEDaS1K_S1L_EUlS1K_E_NS1_11comp_targetILNS1_3genE9ELNS1_11target_archE1100ELNS1_3gpuE3ELNS1_3repE0EEENS1_30default_config_static_selectorELNS0_4arch9wavefront6targetE1EEEvSY_
                                        ; -- End function
	.section	.AMDGPU.csdata,"",@progbits
; Kernel info:
; codeLenInByte = 0
; NumSgprs: 4
; NumVgprs: 0
; NumAgprs: 0
; TotalNumVgprs: 0
; ScratchSize: 0
; MemoryBound: 0
; FloatMode: 240
; IeeeMode: 1
; LDSByteSize: 0 bytes/workgroup (compile time only)
; SGPRBlocks: 0
; VGPRBlocks: 0
; NumSGPRsForWavesPerEU: 4
; NumVGPRsForWavesPerEU: 1
; AccumOffset: 4
; Occupancy: 8
; WaveLimiterHint : 0
; COMPUTE_PGM_RSRC2:SCRATCH_EN: 0
; COMPUTE_PGM_RSRC2:USER_SGPR: 6
; COMPUTE_PGM_RSRC2:TRAP_HANDLER: 0
; COMPUTE_PGM_RSRC2:TGID_X_EN: 1
; COMPUTE_PGM_RSRC2:TGID_Y_EN: 0
; COMPUTE_PGM_RSRC2:TGID_Z_EN: 0
; COMPUTE_PGM_RSRC2:TIDIG_COMP_CNT: 0
; COMPUTE_PGM_RSRC3_GFX90A:ACCUM_OFFSET: 0
; COMPUTE_PGM_RSRC3_GFX90A:TG_SPLIT: 0
	.section	.text._ZN7rocprim17ROCPRIM_400000_NS6detail17trampoline_kernelINS0_13select_configILj256ELj13ELNS0_17block_load_methodE3ELS4_3ELS4_3ELNS0_20block_scan_algorithmE0ELj4294967295EEENS1_25partition_config_selectorILNS1_17partition_subalgoE3EjNS0_10empty_typeEbEEZZNS1_14partition_implILS8_3ELb0ES6_jNS0_17counting_iteratorIjlEEPS9_SE_NS0_5tupleIJPjSE_EEENSF_IJSE_SE_EEES9_SG_JZNS1_25segmented_radix_sort_implINS0_14default_configELb0EPKdPdPKlPlN2at6native12_GLOBAL__N_18offset_tEEE10hipError_tPvRmT1_PNSt15iterator_traitsISY_E10value_typeET2_T3_PNSZ_IS14_E10value_typeET4_jRbjT5_S1A_jjP12ihipStream_tbEUljE_EEESV_SW_SX_S14_S18_S1A_T6_T7_T9_mT8_S1C_bDpT10_ENKUlT_T0_E_clISt17integral_constantIbLb1EES1O_IbLb0EEEEDaS1K_S1L_EUlS1K_E_NS1_11comp_targetILNS1_3genE8ELNS1_11target_archE1030ELNS1_3gpuE2ELNS1_3repE0EEENS1_30default_config_static_selectorELNS0_4arch9wavefront6targetE1EEEvSY_,"axG",@progbits,_ZN7rocprim17ROCPRIM_400000_NS6detail17trampoline_kernelINS0_13select_configILj256ELj13ELNS0_17block_load_methodE3ELS4_3ELS4_3ELNS0_20block_scan_algorithmE0ELj4294967295EEENS1_25partition_config_selectorILNS1_17partition_subalgoE3EjNS0_10empty_typeEbEEZZNS1_14partition_implILS8_3ELb0ES6_jNS0_17counting_iteratorIjlEEPS9_SE_NS0_5tupleIJPjSE_EEENSF_IJSE_SE_EEES9_SG_JZNS1_25segmented_radix_sort_implINS0_14default_configELb0EPKdPdPKlPlN2at6native12_GLOBAL__N_18offset_tEEE10hipError_tPvRmT1_PNSt15iterator_traitsISY_E10value_typeET2_T3_PNSZ_IS14_E10value_typeET4_jRbjT5_S1A_jjP12ihipStream_tbEUljE_EEESV_SW_SX_S14_S18_S1A_T6_T7_T9_mT8_S1C_bDpT10_ENKUlT_T0_E_clISt17integral_constantIbLb1EES1O_IbLb0EEEEDaS1K_S1L_EUlS1K_E_NS1_11comp_targetILNS1_3genE8ELNS1_11target_archE1030ELNS1_3gpuE2ELNS1_3repE0EEENS1_30default_config_static_selectorELNS0_4arch9wavefront6targetE1EEEvSY_,comdat
	.globl	_ZN7rocprim17ROCPRIM_400000_NS6detail17trampoline_kernelINS0_13select_configILj256ELj13ELNS0_17block_load_methodE3ELS4_3ELS4_3ELNS0_20block_scan_algorithmE0ELj4294967295EEENS1_25partition_config_selectorILNS1_17partition_subalgoE3EjNS0_10empty_typeEbEEZZNS1_14partition_implILS8_3ELb0ES6_jNS0_17counting_iteratorIjlEEPS9_SE_NS0_5tupleIJPjSE_EEENSF_IJSE_SE_EEES9_SG_JZNS1_25segmented_radix_sort_implINS0_14default_configELb0EPKdPdPKlPlN2at6native12_GLOBAL__N_18offset_tEEE10hipError_tPvRmT1_PNSt15iterator_traitsISY_E10value_typeET2_T3_PNSZ_IS14_E10value_typeET4_jRbjT5_S1A_jjP12ihipStream_tbEUljE_EEESV_SW_SX_S14_S18_S1A_T6_T7_T9_mT8_S1C_bDpT10_ENKUlT_T0_E_clISt17integral_constantIbLb1EES1O_IbLb0EEEEDaS1K_S1L_EUlS1K_E_NS1_11comp_targetILNS1_3genE8ELNS1_11target_archE1030ELNS1_3gpuE2ELNS1_3repE0EEENS1_30default_config_static_selectorELNS0_4arch9wavefront6targetE1EEEvSY_ ; -- Begin function _ZN7rocprim17ROCPRIM_400000_NS6detail17trampoline_kernelINS0_13select_configILj256ELj13ELNS0_17block_load_methodE3ELS4_3ELS4_3ELNS0_20block_scan_algorithmE0ELj4294967295EEENS1_25partition_config_selectorILNS1_17partition_subalgoE3EjNS0_10empty_typeEbEEZZNS1_14partition_implILS8_3ELb0ES6_jNS0_17counting_iteratorIjlEEPS9_SE_NS0_5tupleIJPjSE_EEENSF_IJSE_SE_EEES9_SG_JZNS1_25segmented_radix_sort_implINS0_14default_configELb0EPKdPdPKlPlN2at6native12_GLOBAL__N_18offset_tEEE10hipError_tPvRmT1_PNSt15iterator_traitsISY_E10value_typeET2_T3_PNSZ_IS14_E10value_typeET4_jRbjT5_S1A_jjP12ihipStream_tbEUljE_EEESV_SW_SX_S14_S18_S1A_T6_T7_T9_mT8_S1C_bDpT10_ENKUlT_T0_E_clISt17integral_constantIbLb1EES1O_IbLb0EEEEDaS1K_S1L_EUlS1K_E_NS1_11comp_targetILNS1_3genE8ELNS1_11target_archE1030ELNS1_3gpuE2ELNS1_3repE0EEENS1_30default_config_static_selectorELNS0_4arch9wavefront6targetE1EEEvSY_
	.p2align	8
	.type	_ZN7rocprim17ROCPRIM_400000_NS6detail17trampoline_kernelINS0_13select_configILj256ELj13ELNS0_17block_load_methodE3ELS4_3ELS4_3ELNS0_20block_scan_algorithmE0ELj4294967295EEENS1_25partition_config_selectorILNS1_17partition_subalgoE3EjNS0_10empty_typeEbEEZZNS1_14partition_implILS8_3ELb0ES6_jNS0_17counting_iteratorIjlEEPS9_SE_NS0_5tupleIJPjSE_EEENSF_IJSE_SE_EEES9_SG_JZNS1_25segmented_radix_sort_implINS0_14default_configELb0EPKdPdPKlPlN2at6native12_GLOBAL__N_18offset_tEEE10hipError_tPvRmT1_PNSt15iterator_traitsISY_E10value_typeET2_T3_PNSZ_IS14_E10value_typeET4_jRbjT5_S1A_jjP12ihipStream_tbEUljE_EEESV_SW_SX_S14_S18_S1A_T6_T7_T9_mT8_S1C_bDpT10_ENKUlT_T0_E_clISt17integral_constantIbLb1EES1O_IbLb0EEEEDaS1K_S1L_EUlS1K_E_NS1_11comp_targetILNS1_3genE8ELNS1_11target_archE1030ELNS1_3gpuE2ELNS1_3repE0EEENS1_30default_config_static_selectorELNS0_4arch9wavefront6targetE1EEEvSY_,@function
_ZN7rocprim17ROCPRIM_400000_NS6detail17trampoline_kernelINS0_13select_configILj256ELj13ELNS0_17block_load_methodE3ELS4_3ELS4_3ELNS0_20block_scan_algorithmE0ELj4294967295EEENS1_25partition_config_selectorILNS1_17partition_subalgoE3EjNS0_10empty_typeEbEEZZNS1_14partition_implILS8_3ELb0ES6_jNS0_17counting_iteratorIjlEEPS9_SE_NS0_5tupleIJPjSE_EEENSF_IJSE_SE_EEES9_SG_JZNS1_25segmented_radix_sort_implINS0_14default_configELb0EPKdPdPKlPlN2at6native12_GLOBAL__N_18offset_tEEE10hipError_tPvRmT1_PNSt15iterator_traitsISY_E10value_typeET2_T3_PNSZ_IS14_E10value_typeET4_jRbjT5_S1A_jjP12ihipStream_tbEUljE_EEESV_SW_SX_S14_S18_S1A_T6_T7_T9_mT8_S1C_bDpT10_ENKUlT_T0_E_clISt17integral_constantIbLb1EES1O_IbLb0EEEEDaS1K_S1L_EUlS1K_E_NS1_11comp_targetILNS1_3genE8ELNS1_11target_archE1030ELNS1_3gpuE2ELNS1_3repE0EEENS1_30default_config_static_selectorELNS0_4arch9wavefront6targetE1EEEvSY_: ; @_ZN7rocprim17ROCPRIM_400000_NS6detail17trampoline_kernelINS0_13select_configILj256ELj13ELNS0_17block_load_methodE3ELS4_3ELS4_3ELNS0_20block_scan_algorithmE0ELj4294967295EEENS1_25partition_config_selectorILNS1_17partition_subalgoE3EjNS0_10empty_typeEbEEZZNS1_14partition_implILS8_3ELb0ES6_jNS0_17counting_iteratorIjlEEPS9_SE_NS0_5tupleIJPjSE_EEENSF_IJSE_SE_EEES9_SG_JZNS1_25segmented_radix_sort_implINS0_14default_configELb0EPKdPdPKlPlN2at6native12_GLOBAL__N_18offset_tEEE10hipError_tPvRmT1_PNSt15iterator_traitsISY_E10value_typeET2_T3_PNSZ_IS14_E10value_typeET4_jRbjT5_S1A_jjP12ihipStream_tbEUljE_EEESV_SW_SX_S14_S18_S1A_T6_T7_T9_mT8_S1C_bDpT10_ENKUlT_T0_E_clISt17integral_constantIbLb1EES1O_IbLb0EEEEDaS1K_S1L_EUlS1K_E_NS1_11comp_targetILNS1_3genE8ELNS1_11target_archE1030ELNS1_3gpuE2ELNS1_3repE0EEENS1_30default_config_static_selectorELNS0_4arch9wavefront6targetE1EEEvSY_
; %bb.0:
	.section	.rodata,"a",@progbits
	.p2align	6, 0x0
	.amdhsa_kernel _ZN7rocprim17ROCPRIM_400000_NS6detail17trampoline_kernelINS0_13select_configILj256ELj13ELNS0_17block_load_methodE3ELS4_3ELS4_3ELNS0_20block_scan_algorithmE0ELj4294967295EEENS1_25partition_config_selectorILNS1_17partition_subalgoE3EjNS0_10empty_typeEbEEZZNS1_14partition_implILS8_3ELb0ES6_jNS0_17counting_iteratorIjlEEPS9_SE_NS0_5tupleIJPjSE_EEENSF_IJSE_SE_EEES9_SG_JZNS1_25segmented_radix_sort_implINS0_14default_configELb0EPKdPdPKlPlN2at6native12_GLOBAL__N_18offset_tEEE10hipError_tPvRmT1_PNSt15iterator_traitsISY_E10value_typeET2_T3_PNSZ_IS14_E10value_typeET4_jRbjT5_S1A_jjP12ihipStream_tbEUljE_EEESV_SW_SX_S14_S18_S1A_T6_T7_T9_mT8_S1C_bDpT10_ENKUlT_T0_E_clISt17integral_constantIbLb1EES1O_IbLb0EEEEDaS1K_S1L_EUlS1K_E_NS1_11comp_targetILNS1_3genE8ELNS1_11target_archE1030ELNS1_3gpuE2ELNS1_3repE0EEENS1_30default_config_static_selectorELNS0_4arch9wavefront6targetE1EEEvSY_
		.amdhsa_group_segment_fixed_size 0
		.amdhsa_private_segment_fixed_size 0
		.amdhsa_kernarg_size 144
		.amdhsa_user_sgpr_count 6
		.amdhsa_user_sgpr_private_segment_buffer 1
		.amdhsa_user_sgpr_dispatch_ptr 0
		.amdhsa_user_sgpr_queue_ptr 0
		.amdhsa_user_sgpr_kernarg_segment_ptr 1
		.amdhsa_user_sgpr_dispatch_id 0
		.amdhsa_user_sgpr_flat_scratch_init 0
		.amdhsa_user_sgpr_kernarg_preload_length 0
		.amdhsa_user_sgpr_kernarg_preload_offset 0
		.amdhsa_user_sgpr_private_segment_size 0
		.amdhsa_uses_dynamic_stack 0
		.amdhsa_system_sgpr_private_segment_wavefront_offset 0
		.amdhsa_system_sgpr_workgroup_id_x 1
		.amdhsa_system_sgpr_workgroup_id_y 0
		.amdhsa_system_sgpr_workgroup_id_z 0
		.amdhsa_system_sgpr_workgroup_info 0
		.amdhsa_system_vgpr_workitem_id 0
		.amdhsa_next_free_vgpr 1
		.amdhsa_next_free_sgpr 0
		.amdhsa_accum_offset 4
		.amdhsa_reserve_vcc 0
		.amdhsa_reserve_flat_scratch 0
		.amdhsa_float_round_mode_32 0
		.amdhsa_float_round_mode_16_64 0
		.amdhsa_float_denorm_mode_32 3
		.amdhsa_float_denorm_mode_16_64 3
		.amdhsa_dx10_clamp 1
		.amdhsa_ieee_mode 1
		.amdhsa_fp16_overflow 0
		.amdhsa_tg_split 0
		.amdhsa_exception_fp_ieee_invalid_op 0
		.amdhsa_exception_fp_denorm_src 0
		.amdhsa_exception_fp_ieee_div_zero 0
		.amdhsa_exception_fp_ieee_overflow 0
		.amdhsa_exception_fp_ieee_underflow 0
		.amdhsa_exception_fp_ieee_inexact 0
		.amdhsa_exception_int_div_zero 0
	.end_amdhsa_kernel
	.section	.text._ZN7rocprim17ROCPRIM_400000_NS6detail17trampoline_kernelINS0_13select_configILj256ELj13ELNS0_17block_load_methodE3ELS4_3ELS4_3ELNS0_20block_scan_algorithmE0ELj4294967295EEENS1_25partition_config_selectorILNS1_17partition_subalgoE3EjNS0_10empty_typeEbEEZZNS1_14partition_implILS8_3ELb0ES6_jNS0_17counting_iteratorIjlEEPS9_SE_NS0_5tupleIJPjSE_EEENSF_IJSE_SE_EEES9_SG_JZNS1_25segmented_radix_sort_implINS0_14default_configELb0EPKdPdPKlPlN2at6native12_GLOBAL__N_18offset_tEEE10hipError_tPvRmT1_PNSt15iterator_traitsISY_E10value_typeET2_T3_PNSZ_IS14_E10value_typeET4_jRbjT5_S1A_jjP12ihipStream_tbEUljE_EEESV_SW_SX_S14_S18_S1A_T6_T7_T9_mT8_S1C_bDpT10_ENKUlT_T0_E_clISt17integral_constantIbLb1EES1O_IbLb0EEEEDaS1K_S1L_EUlS1K_E_NS1_11comp_targetILNS1_3genE8ELNS1_11target_archE1030ELNS1_3gpuE2ELNS1_3repE0EEENS1_30default_config_static_selectorELNS0_4arch9wavefront6targetE1EEEvSY_,"axG",@progbits,_ZN7rocprim17ROCPRIM_400000_NS6detail17trampoline_kernelINS0_13select_configILj256ELj13ELNS0_17block_load_methodE3ELS4_3ELS4_3ELNS0_20block_scan_algorithmE0ELj4294967295EEENS1_25partition_config_selectorILNS1_17partition_subalgoE3EjNS0_10empty_typeEbEEZZNS1_14partition_implILS8_3ELb0ES6_jNS0_17counting_iteratorIjlEEPS9_SE_NS0_5tupleIJPjSE_EEENSF_IJSE_SE_EEES9_SG_JZNS1_25segmented_radix_sort_implINS0_14default_configELb0EPKdPdPKlPlN2at6native12_GLOBAL__N_18offset_tEEE10hipError_tPvRmT1_PNSt15iterator_traitsISY_E10value_typeET2_T3_PNSZ_IS14_E10value_typeET4_jRbjT5_S1A_jjP12ihipStream_tbEUljE_EEESV_SW_SX_S14_S18_S1A_T6_T7_T9_mT8_S1C_bDpT10_ENKUlT_T0_E_clISt17integral_constantIbLb1EES1O_IbLb0EEEEDaS1K_S1L_EUlS1K_E_NS1_11comp_targetILNS1_3genE8ELNS1_11target_archE1030ELNS1_3gpuE2ELNS1_3repE0EEENS1_30default_config_static_selectorELNS0_4arch9wavefront6targetE1EEEvSY_,comdat
.Lfunc_end1210:
	.size	_ZN7rocprim17ROCPRIM_400000_NS6detail17trampoline_kernelINS0_13select_configILj256ELj13ELNS0_17block_load_methodE3ELS4_3ELS4_3ELNS0_20block_scan_algorithmE0ELj4294967295EEENS1_25partition_config_selectorILNS1_17partition_subalgoE3EjNS0_10empty_typeEbEEZZNS1_14partition_implILS8_3ELb0ES6_jNS0_17counting_iteratorIjlEEPS9_SE_NS0_5tupleIJPjSE_EEENSF_IJSE_SE_EEES9_SG_JZNS1_25segmented_radix_sort_implINS0_14default_configELb0EPKdPdPKlPlN2at6native12_GLOBAL__N_18offset_tEEE10hipError_tPvRmT1_PNSt15iterator_traitsISY_E10value_typeET2_T3_PNSZ_IS14_E10value_typeET4_jRbjT5_S1A_jjP12ihipStream_tbEUljE_EEESV_SW_SX_S14_S18_S1A_T6_T7_T9_mT8_S1C_bDpT10_ENKUlT_T0_E_clISt17integral_constantIbLb1EES1O_IbLb0EEEEDaS1K_S1L_EUlS1K_E_NS1_11comp_targetILNS1_3genE8ELNS1_11target_archE1030ELNS1_3gpuE2ELNS1_3repE0EEENS1_30default_config_static_selectorELNS0_4arch9wavefront6targetE1EEEvSY_, .Lfunc_end1210-_ZN7rocprim17ROCPRIM_400000_NS6detail17trampoline_kernelINS0_13select_configILj256ELj13ELNS0_17block_load_methodE3ELS4_3ELS4_3ELNS0_20block_scan_algorithmE0ELj4294967295EEENS1_25partition_config_selectorILNS1_17partition_subalgoE3EjNS0_10empty_typeEbEEZZNS1_14partition_implILS8_3ELb0ES6_jNS0_17counting_iteratorIjlEEPS9_SE_NS0_5tupleIJPjSE_EEENSF_IJSE_SE_EEES9_SG_JZNS1_25segmented_radix_sort_implINS0_14default_configELb0EPKdPdPKlPlN2at6native12_GLOBAL__N_18offset_tEEE10hipError_tPvRmT1_PNSt15iterator_traitsISY_E10value_typeET2_T3_PNSZ_IS14_E10value_typeET4_jRbjT5_S1A_jjP12ihipStream_tbEUljE_EEESV_SW_SX_S14_S18_S1A_T6_T7_T9_mT8_S1C_bDpT10_ENKUlT_T0_E_clISt17integral_constantIbLb1EES1O_IbLb0EEEEDaS1K_S1L_EUlS1K_E_NS1_11comp_targetILNS1_3genE8ELNS1_11target_archE1030ELNS1_3gpuE2ELNS1_3repE0EEENS1_30default_config_static_selectorELNS0_4arch9wavefront6targetE1EEEvSY_
                                        ; -- End function
	.section	.AMDGPU.csdata,"",@progbits
; Kernel info:
; codeLenInByte = 0
; NumSgprs: 4
; NumVgprs: 0
; NumAgprs: 0
; TotalNumVgprs: 0
; ScratchSize: 0
; MemoryBound: 0
; FloatMode: 240
; IeeeMode: 1
; LDSByteSize: 0 bytes/workgroup (compile time only)
; SGPRBlocks: 0
; VGPRBlocks: 0
; NumSGPRsForWavesPerEU: 4
; NumVGPRsForWavesPerEU: 1
; AccumOffset: 4
; Occupancy: 8
; WaveLimiterHint : 0
; COMPUTE_PGM_RSRC2:SCRATCH_EN: 0
; COMPUTE_PGM_RSRC2:USER_SGPR: 6
; COMPUTE_PGM_RSRC2:TRAP_HANDLER: 0
; COMPUTE_PGM_RSRC2:TGID_X_EN: 1
; COMPUTE_PGM_RSRC2:TGID_Y_EN: 0
; COMPUTE_PGM_RSRC2:TGID_Z_EN: 0
; COMPUTE_PGM_RSRC2:TIDIG_COMP_CNT: 0
; COMPUTE_PGM_RSRC3_GFX90A:ACCUM_OFFSET: 0
; COMPUTE_PGM_RSRC3_GFX90A:TG_SPLIT: 0
	.section	.text._ZN7rocprim17ROCPRIM_400000_NS6detail17trampoline_kernelINS0_13select_configILj256ELj13ELNS0_17block_load_methodE3ELS4_3ELS4_3ELNS0_20block_scan_algorithmE0ELj4294967295EEENS1_25partition_config_selectorILNS1_17partition_subalgoE3EjNS0_10empty_typeEbEEZZNS1_14partition_implILS8_3ELb0ES6_jNS0_17counting_iteratorIjlEEPS9_SE_NS0_5tupleIJPjSE_EEENSF_IJSE_SE_EEES9_SG_JZNS1_25segmented_radix_sort_implINS0_14default_configELb0EPKdPdPKlPlN2at6native12_GLOBAL__N_18offset_tEEE10hipError_tPvRmT1_PNSt15iterator_traitsISY_E10value_typeET2_T3_PNSZ_IS14_E10value_typeET4_jRbjT5_S1A_jjP12ihipStream_tbEUljE_EEESV_SW_SX_S14_S18_S1A_T6_T7_T9_mT8_S1C_bDpT10_ENKUlT_T0_E_clISt17integral_constantIbLb0EES1O_IbLb1EEEEDaS1K_S1L_EUlS1K_E_NS1_11comp_targetILNS1_3genE0ELNS1_11target_archE4294967295ELNS1_3gpuE0ELNS1_3repE0EEENS1_30default_config_static_selectorELNS0_4arch9wavefront6targetE1EEEvSY_,"axG",@progbits,_ZN7rocprim17ROCPRIM_400000_NS6detail17trampoline_kernelINS0_13select_configILj256ELj13ELNS0_17block_load_methodE3ELS4_3ELS4_3ELNS0_20block_scan_algorithmE0ELj4294967295EEENS1_25partition_config_selectorILNS1_17partition_subalgoE3EjNS0_10empty_typeEbEEZZNS1_14partition_implILS8_3ELb0ES6_jNS0_17counting_iteratorIjlEEPS9_SE_NS0_5tupleIJPjSE_EEENSF_IJSE_SE_EEES9_SG_JZNS1_25segmented_radix_sort_implINS0_14default_configELb0EPKdPdPKlPlN2at6native12_GLOBAL__N_18offset_tEEE10hipError_tPvRmT1_PNSt15iterator_traitsISY_E10value_typeET2_T3_PNSZ_IS14_E10value_typeET4_jRbjT5_S1A_jjP12ihipStream_tbEUljE_EEESV_SW_SX_S14_S18_S1A_T6_T7_T9_mT8_S1C_bDpT10_ENKUlT_T0_E_clISt17integral_constantIbLb0EES1O_IbLb1EEEEDaS1K_S1L_EUlS1K_E_NS1_11comp_targetILNS1_3genE0ELNS1_11target_archE4294967295ELNS1_3gpuE0ELNS1_3repE0EEENS1_30default_config_static_selectorELNS0_4arch9wavefront6targetE1EEEvSY_,comdat
	.globl	_ZN7rocprim17ROCPRIM_400000_NS6detail17trampoline_kernelINS0_13select_configILj256ELj13ELNS0_17block_load_methodE3ELS4_3ELS4_3ELNS0_20block_scan_algorithmE0ELj4294967295EEENS1_25partition_config_selectorILNS1_17partition_subalgoE3EjNS0_10empty_typeEbEEZZNS1_14partition_implILS8_3ELb0ES6_jNS0_17counting_iteratorIjlEEPS9_SE_NS0_5tupleIJPjSE_EEENSF_IJSE_SE_EEES9_SG_JZNS1_25segmented_radix_sort_implINS0_14default_configELb0EPKdPdPKlPlN2at6native12_GLOBAL__N_18offset_tEEE10hipError_tPvRmT1_PNSt15iterator_traitsISY_E10value_typeET2_T3_PNSZ_IS14_E10value_typeET4_jRbjT5_S1A_jjP12ihipStream_tbEUljE_EEESV_SW_SX_S14_S18_S1A_T6_T7_T9_mT8_S1C_bDpT10_ENKUlT_T0_E_clISt17integral_constantIbLb0EES1O_IbLb1EEEEDaS1K_S1L_EUlS1K_E_NS1_11comp_targetILNS1_3genE0ELNS1_11target_archE4294967295ELNS1_3gpuE0ELNS1_3repE0EEENS1_30default_config_static_selectorELNS0_4arch9wavefront6targetE1EEEvSY_ ; -- Begin function _ZN7rocprim17ROCPRIM_400000_NS6detail17trampoline_kernelINS0_13select_configILj256ELj13ELNS0_17block_load_methodE3ELS4_3ELS4_3ELNS0_20block_scan_algorithmE0ELj4294967295EEENS1_25partition_config_selectorILNS1_17partition_subalgoE3EjNS0_10empty_typeEbEEZZNS1_14partition_implILS8_3ELb0ES6_jNS0_17counting_iteratorIjlEEPS9_SE_NS0_5tupleIJPjSE_EEENSF_IJSE_SE_EEES9_SG_JZNS1_25segmented_radix_sort_implINS0_14default_configELb0EPKdPdPKlPlN2at6native12_GLOBAL__N_18offset_tEEE10hipError_tPvRmT1_PNSt15iterator_traitsISY_E10value_typeET2_T3_PNSZ_IS14_E10value_typeET4_jRbjT5_S1A_jjP12ihipStream_tbEUljE_EEESV_SW_SX_S14_S18_S1A_T6_T7_T9_mT8_S1C_bDpT10_ENKUlT_T0_E_clISt17integral_constantIbLb0EES1O_IbLb1EEEEDaS1K_S1L_EUlS1K_E_NS1_11comp_targetILNS1_3genE0ELNS1_11target_archE4294967295ELNS1_3gpuE0ELNS1_3repE0EEENS1_30default_config_static_selectorELNS0_4arch9wavefront6targetE1EEEvSY_
	.p2align	8
	.type	_ZN7rocprim17ROCPRIM_400000_NS6detail17trampoline_kernelINS0_13select_configILj256ELj13ELNS0_17block_load_methodE3ELS4_3ELS4_3ELNS0_20block_scan_algorithmE0ELj4294967295EEENS1_25partition_config_selectorILNS1_17partition_subalgoE3EjNS0_10empty_typeEbEEZZNS1_14partition_implILS8_3ELb0ES6_jNS0_17counting_iteratorIjlEEPS9_SE_NS0_5tupleIJPjSE_EEENSF_IJSE_SE_EEES9_SG_JZNS1_25segmented_radix_sort_implINS0_14default_configELb0EPKdPdPKlPlN2at6native12_GLOBAL__N_18offset_tEEE10hipError_tPvRmT1_PNSt15iterator_traitsISY_E10value_typeET2_T3_PNSZ_IS14_E10value_typeET4_jRbjT5_S1A_jjP12ihipStream_tbEUljE_EEESV_SW_SX_S14_S18_S1A_T6_T7_T9_mT8_S1C_bDpT10_ENKUlT_T0_E_clISt17integral_constantIbLb0EES1O_IbLb1EEEEDaS1K_S1L_EUlS1K_E_NS1_11comp_targetILNS1_3genE0ELNS1_11target_archE4294967295ELNS1_3gpuE0ELNS1_3repE0EEENS1_30default_config_static_selectorELNS0_4arch9wavefront6targetE1EEEvSY_,@function
_ZN7rocprim17ROCPRIM_400000_NS6detail17trampoline_kernelINS0_13select_configILj256ELj13ELNS0_17block_load_methodE3ELS4_3ELS4_3ELNS0_20block_scan_algorithmE0ELj4294967295EEENS1_25partition_config_selectorILNS1_17partition_subalgoE3EjNS0_10empty_typeEbEEZZNS1_14partition_implILS8_3ELb0ES6_jNS0_17counting_iteratorIjlEEPS9_SE_NS0_5tupleIJPjSE_EEENSF_IJSE_SE_EEES9_SG_JZNS1_25segmented_radix_sort_implINS0_14default_configELb0EPKdPdPKlPlN2at6native12_GLOBAL__N_18offset_tEEE10hipError_tPvRmT1_PNSt15iterator_traitsISY_E10value_typeET2_T3_PNSZ_IS14_E10value_typeET4_jRbjT5_S1A_jjP12ihipStream_tbEUljE_EEESV_SW_SX_S14_S18_S1A_T6_T7_T9_mT8_S1C_bDpT10_ENKUlT_T0_E_clISt17integral_constantIbLb0EES1O_IbLb1EEEEDaS1K_S1L_EUlS1K_E_NS1_11comp_targetILNS1_3genE0ELNS1_11target_archE4294967295ELNS1_3gpuE0ELNS1_3repE0EEENS1_30default_config_static_selectorELNS0_4arch9wavefront6targetE1EEEvSY_: ; @_ZN7rocprim17ROCPRIM_400000_NS6detail17trampoline_kernelINS0_13select_configILj256ELj13ELNS0_17block_load_methodE3ELS4_3ELS4_3ELNS0_20block_scan_algorithmE0ELj4294967295EEENS1_25partition_config_selectorILNS1_17partition_subalgoE3EjNS0_10empty_typeEbEEZZNS1_14partition_implILS8_3ELb0ES6_jNS0_17counting_iteratorIjlEEPS9_SE_NS0_5tupleIJPjSE_EEENSF_IJSE_SE_EEES9_SG_JZNS1_25segmented_radix_sort_implINS0_14default_configELb0EPKdPdPKlPlN2at6native12_GLOBAL__N_18offset_tEEE10hipError_tPvRmT1_PNSt15iterator_traitsISY_E10value_typeET2_T3_PNSZ_IS14_E10value_typeET4_jRbjT5_S1A_jjP12ihipStream_tbEUljE_EEESV_SW_SX_S14_S18_S1A_T6_T7_T9_mT8_S1C_bDpT10_ENKUlT_T0_E_clISt17integral_constantIbLb0EES1O_IbLb1EEEEDaS1K_S1L_EUlS1K_E_NS1_11comp_targetILNS1_3genE0ELNS1_11target_archE4294967295ELNS1_3gpuE0ELNS1_3repE0EEENS1_30default_config_static_selectorELNS0_4arch9wavefront6targetE1EEEvSY_
; %bb.0:
	.section	.rodata,"a",@progbits
	.p2align	6, 0x0
	.amdhsa_kernel _ZN7rocprim17ROCPRIM_400000_NS6detail17trampoline_kernelINS0_13select_configILj256ELj13ELNS0_17block_load_methodE3ELS4_3ELS4_3ELNS0_20block_scan_algorithmE0ELj4294967295EEENS1_25partition_config_selectorILNS1_17partition_subalgoE3EjNS0_10empty_typeEbEEZZNS1_14partition_implILS8_3ELb0ES6_jNS0_17counting_iteratorIjlEEPS9_SE_NS0_5tupleIJPjSE_EEENSF_IJSE_SE_EEES9_SG_JZNS1_25segmented_radix_sort_implINS0_14default_configELb0EPKdPdPKlPlN2at6native12_GLOBAL__N_18offset_tEEE10hipError_tPvRmT1_PNSt15iterator_traitsISY_E10value_typeET2_T3_PNSZ_IS14_E10value_typeET4_jRbjT5_S1A_jjP12ihipStream_tbEUljE_EEESV_SW_SX_S14_S18_S1A_T6_T7_T9_mT8_S1C_bDpT10_ENKUlT_T0_E_clISt17integral_constantIbLb0EES1O_IbLb1EEEEDaS1K_S1L_EUlS1K_E_NS1_11comp_targetILNS1_3genE0ELNS1_11target_archE4294967295ELNS1_3gpuE0ELNS1_3repE0EEENS1_30default_config_static_selectorELNS0_4arch9wavefront6targetE1EEEvSY_
		.amdhsa_group_segment_fixed_size 0
		.amdhsa_private_segment_fixed_size 0
		.amdhsa_kernarg_size 152
		.amdhsa_user_sgpr_count 6
		.amdhsa_user_sgpr_private_segment_buffer 1
		.amdhsa_user_sgpr_dispatch_ptr 0
		.amdhsa_user_sgpr_queue_ptr 0
		.amdhsa_user_sgpr_kernarg_segment_ptr 1
		.amdhsa_user_sgpr_dispatch_id 0
		.amdhsa_user_sgpr_flat_scratch_init 0
		.amdhsa_user_sgpr_kernarg_preload_length 0
		.amdhsa_user_sgpr_kernarg_preload_offset 0
		.amdhsa_user_sgpr_private_segment_size 0
		.amdhsa_uses_dynamic_stack 0
		.amdhsa_system_sgpr_private_segment_wavefront_offset 0
		.amdhsa_system_sgpr_workgroup_id_x 1
		.amdhsa_system_sgpr_workgroup_id_y 0
		.amdhsa_system_sgpr_workgroup_id_z 0
		.amdhsa_system_sgpr_workgroup_info 0
		.amdhsa_system_vgpr_workitem_id 0
		.amdhsa_next_free_vgpr 1
		.amdhsa_next_free_sgpr 0
		.amdhsa_accum_offset 4
		.amdhsa_reserve_vcc 0
		.amdhsa_reserve_flat_scratch 0
		.amdhsa_float_round_mode_32 0
		.amdhsa_float_round_mode_16_64 0
		.amdhsa_float_denorm_mode_32 3
		.amdhsa_float_denorm_mode_16_64 3
		.amdhsa_dx10_clamp 1
		.amdhsa_ieee_mode 1
		.amdhsa_fp16_overflow 0
		.amdhsa_tg_split 0
		.amdhsa_exception_fp_ieee_invalid_op 0
		.amdhsa_exception_fp_denorm_src 0
		.amdhsa_exception_fp_ieee_div_zero 0
		.amdhsa_exception_fp_ieee_overflow 0
		.amdhsa_exception_fp_ieee_underflow 0
		.amdhsa_exception_fp_ieee_inexact 0
		.amdhsa_exception_int_div_zero 0
	.end_amdhsa_kernel
	.section	.text._ZN7rocprim17ROCPRIM_400000_NS6detail17trampoline_kernelINS0_13select_configILj256ELj13ELNS0_17block_load_methodE3ELS4_3ELS4_3ELNS0_20block_scan_algorithmE0ELj4294967295EEENS1_25partition_config_selectorILNS1_17partition_subalgoE3EjNS0_10empty_typeEbEEZZNS1_14partition_implILS8_3ELb0ES6_jNS0_17counting_iteratorIjlEEPS9_SE_NS0_5tupleIJPjSE_EEENSF_IJSE_SE_EEES9_SG_JZNS1_25segmented_radix_sort_implINS0_14default_configELb0EPKdPdPKlPlN2at6native12_GLOBAL__N_18offset_tEEE10hipError_tPvRmT1_PNSt15iterator_traitsISY_E10value_typeET2_T3_PNSZ_IS14_E10value_typeET4_jRbjT5_S1A_jjP12ihipStream_tbEUljE_EEESV_SW_SX_S14_S18_S1A_T6_T7_T9_mT8_S1C_bDpT10_ENKUlT_T0_E_clISt17integral_constantIbLb0EES1O_IbLb1EEEEDaS1K_S1L_EUlS1K_E_NS1_11comp_targetILNS1_3genE0ELNS1_11target_archE4294967295ELNS1_3gpuE0ELNS1_3repE0EEENS1_30default_config_static_selectorELNS0_4arch9wavefront6targetE1EEEvSY_,"axG",@progbits,_ZN7rocprim17ROCPRIM_400000_NS6detail17trampoline_kernelINS0_13select_configILj256ELj13ELNS0_17block_load_methodE3ELS4_3ELS4_3ELNS0_20block_scan_algorithmE0ELj4294967295EEENS1_25partition_config_selectorILNS1_17partition_subalgoE3EjNS0_10empty_typeEbEEZZNS1_14partition_implILS8_3ELb0ES6_jNS0_17counting_iteratorIjlEEPS9_SE_NS0_5tupleIJPjSE_EEENSF_IJSE_SE_EEES9_SG_JZNS1_25segmented_radix_sort_implINS0_14default_configELb0EPKdPdPKlPlN2at6native12_GLOBAL__N_18offset_tEEE10hipError_tPvRmT1_PNSt15iterator_traitsISY_E10value_typeET2_T3_PNSZ_IS14_E10value_typeET4_jRbjT5_S1A_jjP12ihipStream_tbEUljE_EEESV_SW_SX_S14_S18_S1A_T6_T7_T9_mT8_S1C_bDpT10_ENKUlT_T0_E_clISt17integral_constantIbLb0EES1O_IbLb1EEEEDaS1K_S1L_EUlS1K_E_NS1_11comp_targetILNS1_3genE0ELNS1_11target_archE4294967295ELNS1_3gpuE0ELNS1_3repE0EEENS1_30default_config_static_selectorELNS0_4arch9wavefront6targetE1EEEvSY_,comdat
.Lfunc_end1211:
	.size	_ZN7rocprim17ROCPRIM_400000_NS6detail17trampoline_kernelINS0_13select_configILj256ELj13ELNS0_17block_load_methodE3ELS4_3ELS4_3ELNS0_20block_scan_algorithmE0ELj4294967295EEENS1_25partition_config_selectorILNS1_17partition_subalgoE3EjNS0_10empty_typeEbEEZZNS1_14partition_implILS8_3ELb0ES6_jNS0_17counting_iteratorIjlEEPS9_SE_NS0_5tupleIJPjSE_EEENSF_IJSE_SE_EEES9_SG_JZNS1_25segmented_radix_sort_implINS0_14default_configELb0EPKdPdPKlPlN2at6native12_GLOBAL__N_18offset_tEEE10hipError_tPvRmT1_PNSt15iterator_traitsISY_E10value_typeET2_T3_PNSZ_IS14_E10value_typeET4_jRbjT5_S1A_jjP12ihipStream_tbEUljE_EEESV_SW_SX_S14_S18_S1A_T6_T7_T9_mT8_S1C_bDpT10_ENKUlT_T0_E_clISt17integral_constantIbLb0EES1O_IbLb1EEEEDaS1K_S1L_EUlS1K_E_NS1_11comp_targetILNS1_3genE0ELNS1_11target_archE4294967295ELNS1_3gpuE0ELNS1_3repE0EEENS1_30default_config_static_selectorELNS0_4arch9wavefront6targetE1EEEvSY_, .Lfunc_end1211-_ZN7rocprim17ROCPRIM_400000_NS6detail17trampoline_kernelINS0_13select_configILj256ELj13ELNS0_17block_load_methodE3ELS4_3ELS4_3ELNS0_20block_scan_algorithmE0ELj4294967295EEENS1_25partition_config_selectorILNS1_17partition_subalgoE3EjNS0_10empty_typeEbEEZZNS1_14partition_implILS8_3ELb0ES6_jNS0_17counting_iteratorIjlEEPS9_SE_NS0_5tupleIJPjSE_EEENSF_IJSE_SE_EEES9_SG_JZNS1_25segmented_radix_sort_implINS0_14default_configELb0EPKdPdPKlPlN2at6native12_GLOBAL__N_18offset_tEEE10hipError_tPvRmT1_PNSt15iterator_traitsISY_E10value_typeET2_T3_PNSZ_IS14_E10value_typeET4_jRbjT5_S1A_jjP12ihipStream_tbEUljE_EEESV_SW_SX_S14_S18_S1A_T6_T7_T9_mT8_S1C_bDpT10_ENKUlT_T0_E_clISt17integral_constantIbLb0EES1O_IbLb1EEEEDaS1K_S1L_EUlS1K_E_NS1_11comp_targetILNS1_3genE0ELNS1_11target_archE4294967295ELNS1_3gpuE0ELNS1_3repE0EEENS1_30default_config_static_selectorELNS0_4arch9wavefront6targetE1EEEvSY_
                                        ; -- End function
	.section	.AMDGPU.csdata,"",@progbits
; Kernel info:
; codeLenInByte = 0
; NumSgprs: 4
; NumVgprs: 0
; NumAgprs: 0
; TotalNumVgprs: 0
; ScratchSize: 0
; MemoryBound: 0
; FloatMode: 240
; IeeeMode: 1
; LDSByteSize: 0 bytes/workgroup (compile time only)
; SGPRBlocks: 0
; VGPRBlocks: 0
; NumSGPRsForWavesPerEU: 4
; NumVGPRsForWavesPerEU: 1
; AccumOffset: 4
; Occupancy: 8
; WaveLimiterHint : 0
; COMPUTE_PGM_RSRC2:SCRATCH_EN: 0
; COMPUTE_PGM_RSRC2:USER_SGPR: 6
; COMPUTE_PGM_RSRC2:TRAP_HANDLER: 0
; COMPUTE_PGM_RSRC2:TGID_X_EN: 1
; COMPUTE_PGM_RSRC2:TGID_Y_EN: 0
; COMPUTE_PGM_RSRC2:TGID_Z_EN: 0
; COMPUTE_PGM_RSRC2:TIDIG_COMP_CNT: 0
; COMPUTE_PGM_RSRC3_GFX90A:ACCUM_OFFSET: 0
; COMPUTE_PGM_RSRC3_GFX90A:TG_SPLIT: 0
	.section	.text._ZN7rocprim17ROCPRIM_400000_NS6detail17trampoline_kernelINS0_13select_configILj256ELj13ELNS0_17block_load_methodE3ELS4_3ELS4_3ELNS0_20block_scan_algorithmE0ELj4294967295EEENS1_25partition_config_selectorILNS1_17partition_subalgoE3EjNS0_10empty_typeEbEEZZNS1_14partition_implILS8_3ELb0ES6_jNS0_17counting_iteratorIjlEEPS9_SE_NS0_5tupleIJPjSE_EEENSF_IJSE_SE_EEES9_SG_JZNS1_25segmented_radix_sort_implINS0_14default_configELb0EPKdPdPKlPlN2at6native12_GLOBAL__N_18offset_tEEE10hipError_tPvRmT1_PNSt15iterator_traitsISY_E10value_typeET2_T3_PNSZ_IS14_E10value_typeET4_jRbjT5_S1A_jjP12ihipStream_tbEUljE_EEESV_SW_SX_S14_S18_S1A_T6_T7_T9_mT8_S1C_bDpT10_ENKUlT_T0_E_clISt17integral_constantIbLb0EES1O_IbLb1EEEEDaS1K_S1L_EUlS1K_E_NS1_11comp_targetILNS1_3genE5ELNS1_11target_archE942ELNS1_3gpuE9ELNS1_3repE0EEENS1_30default_config_static_selectorELNS0_4arch9wavefront6targetE1EEEvSY_,"axG",@progbits,_ZN7rocprim17ROCPRIM_400000_NS6detail17trampoline_kernelINS0_13select_configILj256ELj13ELNS0_17block_load_methodE3ELS4_3ELS4_3ELNS0_20block_scan_algorithmE0ELj4294967295EEENS1_25partition_config_selectorILNS1_17partition_subalgoE3EjNS0_10empty_typeEbEEZZNS1_14partition_implILS8_3ELb0ES6_jNS0_17counting_iteratorIjlEEPS9_SE_NS0_5tupleIJPjSE_EEENSF_IJSE_SE_EEES9_SG_JZNS1_25segmented_radix_sort_implINS0_14default_configELb0EPKdPdPKlPlN2at6native12_GLOBAL__N_18offset_tEEE10hipError_tPvRmT1_PNSt15iterator_traitsISY_E10value_typeET2_T3_PNSZ_IS14_E10value_typeET4_jRbjT5_S1A_jjP12ihipStream_tbEUljE_EEESV_SW_SX_S14_S18_S1A_T6_T7_T9_mT8_S1C_bDpT10_ENKUlT_T0_E_clISt17integral_constantIbLb0EES1O_IbLb1EEEEDaS1K_S1L_EUlS1K_E_NS1_11comp_targetILNS1_3genE5ELNS1_11target_archE942ELNS1_3gpuE9ELNS1_3repE0EEENS1_30default_config_static_selectorELNS0_4arch9wavefront6targetE1EEEvSY_,comdat
	.globl	_ZN7rocprim17ROCPRIM_400000_NS6detail17trampoline_kernelINS0_13select_configILj256ELj13ELNS0_17block_load_methodE3ELS4_3ELS4_3ELNS0_20block_scan_algorithmE0ELj4294967295EEENS1_25partition_config_selectorILNS1_17partition_subalgoE3EjNS0_10empty_typeEbEEZZNS1_14partition_implILS8_3ELb0ES6_jNS0_17counting_iteratorIjlEEPS9_SE_NS0_5tupleIJPjSE_EEENSF_IJSE_SE_EEES9_SG_JZNS1_25segmented_radix_sort_implINS0_14default_configELb0EPKdPdPKlPlN2at6native12_GLOBAL__N_18offset_tEEE10hipError_tPvRmT1_PNSt15iterator_traitsISY_E10value_typeET2_T3_PNSZ_IS14_E10value_typeET4_jRbjT5_S1A_jjP12ihipStream_tbEUljE_EEESV_SW_SX_S14_S18_S1A_T6_T7_T9_mT8_S1C_bDpT10_ENKUlT_T0_E_clISt17integral_constantIbLb0EES1O_IbLb1EEEEDaS1K_S1L_EUlS1K_E_NS1_11comp_targetILNS1_3genE5ELNS1_11target_archE942ELNS1_3gpuE9ELNS1_3repE0EEENS1_30default_config_static_selectorELNS0_4arch9wavefront6targetE1EEEvSY_ ; -- Begin function _ZN7rocprim17ROCPRIM_400000_NS6detail17trampoline_kernelINS0_13select_configILj256ELj13ELNS0_17block_load_methodE3ELS4_3ELS4_3ELNS0_20block_scan_algorithmE0ELj4294967295EEENS1_25partition_config_selectorILNS1_17partition_subalgoE3EjNS0_10empty_typeEbEEZZNS1_14partition_implILS8_3ELb0ES6_jNS0_17counting_iteratorIjlEEPS9_SE_NS0_5tupleIJPjSE_EEENSF_IJSE_SE_EEES9_SG_JZNS1_25segmented_radix_sort_implINS0_14default_configELb0EPKdPdPKlPlN2at6native12_GLOBAL__N_18offset_tEEE10hipError_tPvRmT1_PNSt15iterator_traitsISY_E10value_typeET2_T3_PNSZ_IS14_E10value_typeET4_jRbjT5_S1A_jjP12ihipStream_tbEUljE_EEESV_SW_SX_S14_S18_S1A_T6_T7_T9_mT8_S1C_bDpT10_ENKUlT_T0_E_clISt17integral_constantIbLb0EES1O_IbLb1EEEEDaS1K_S1L_EUlS1K_E_NS1_11comp_targetILNS1_3genE5ELNS1_11target_archE942ELNS1_3gpuE9ELNS1_3repE0EEENS1_30default_config_static_selectorELNS0_4arch9wavefront6targetE1EEEvSY_
	.p2align	8
	.type	_ZN7rocprim17ROCPRIM_400000_NS6detail17trampoline_kernelINS0_13select_configILj256ELj13ELNS0_17block_load_methodE3ELS4_3ELS4_3ELNS0_20block_scan_algorithmE0ELj4294967295EEENS1_25partition_config_selectorILNS1_17partition_subalgoE3EjNS0_10empty_typeEbEEZZNS1_14partition_implILS8_3ELb0ES6_jNS0_17counting_iteratorIjlEEPS9_SE_NS0_5tupleIJPjSE_EEENSF_IJSE_SE_EEES9_SG_JZNS1_25segmented_radix_sort_implINS0_14default_configELb0EPKdPdPKlPlN2at6native12_GLOBAL__N_18offset_tEEE10hipError_tPvRmT1_PNSt15iterator_traitsISY_E10value_typeET2_T3_PNSZ_IS14_E10value_typeET4_jRbjT5_S1A_jjP12ihipStream_tbEUljE_EEESV_SW_SX_S14_S18_S1A_T6_T7_T9_mT8_S1C_bDpT10_ENKUlT_T0_E_clISt17integral_constantIbLb0EES1O_IbLb1EEEEDaS1K_S1L_EUlS1K_E_NS1_11comp_targetILNS1_3genE5ELNS1_11target_archE942ELNS1_3gpuE9ELNS1_3repE0EEENS1_30default_config_static_selectorELNS0_4arch9wavefront6targetE1EEEvSY_,@function
_ZN7rocprim17ROCPRIM_400000_NS6detail17trampoline_kernelINS0_13select_configILj256ELj13ELNS0_17block_load_methodE3ELS4_3ELS4_3ELNS0_20block_scan_algorithmE0ELj4294967295EEENS1_25partition_config_selectorILNS1_17partition_subalgoE3EjNS0_10empty_typeEbEEZZNS1_14partition_implILS8_3ELb0ES6_jNS0_17counting_iteratorIjlEEPS9_SE_NS0_5tupleIJPjSE_EEENSF_IJSE_SE_EEES9_SG_JZNS1_25segmented_radix_sort_implINS0_14default_configELb0EPKdPdPKlPlN2at6native12_GLOBAL__N_18offset_tEEE10hipError_tPvRmT1_PNSt15iterator_traitsISY_E10value_typeET2_T3_PNSZ_IS14_E10value_typeET4_jRbjT5_S1A_jjP12ihipStream_tbEUljE_EEESV_SW_SX_S14_S18_S1A_T6_T7_T9_mT8_S1C_bDpT10_ENKUlT_T0_E_clISt17integral_constantIbLb0EES1O_IbLb1EEEEDaS1K_S1L_EUlS1K_E_NS1_11comp_targetILNS1_3genE5ELNS1_11target_archE942ELNS1_3gpuE9ELNS1_3repE0EEENS1_30default_config_static_selectorELNS0_4arch9wavefront6targetE1EEEvSY_: ; @_ZN7rocprim17ROCPRIM_400000_NS6detail17trampoline_kernelINS0_13select_configILj256ELj13ELNS0_17block_load_methodE3ELS4_3ELS4_3ELNS0_20block_scan_algorithmE0ELj4294967295EEENS1_25partition_config_selectorILNS1_17partition_subalgoE3EjNS0_10empty_typeEbEEZZNS1_14partition_implILS8_3ELb0ES6_jNS0_17counting_iteratorIjlEEPS9_SE_NS0_5tupleIJPjSE_EEENSF_IJSE_SE_EEES9_SG_JZNS1_25segmented_radix_sort_implINS0_14default_configELb0EPKdPdPKlPlN2at6native12_GLOBAL__N_18offset_tEEE10hipError_tPvRmT1_PNSt15iterator_traitsISY_E10value_typeET2_T3_PNSZ_IS14_E10value_typeET4_jRbjT5_S1A_jjP12ihipStream_tbEUljE_EEESV_SW_SX_S14_S18_S1A_T6_T7_T9_mT8_S1C_bDpT10_ENKUlT_T0_E_clISt17integral_constantIbLb0EES1O_IbLb1EEEEDaS1K_S1L_EUlS1K_E_NS1_11comp_targetILNS1_3genE5ELNS1_11target_archE942ELNS1_3gpuE9ELNS1_3repE0EEENS1_30default_config_static_selectorELNS0_4arch9wavefront6targetE1EEEvSY_
; %bb.0:
	.section	.rodata,"a",@progbits
	.p2align	6, 0x0
	.amdhsa_kernel _ZN7rocprim17ROCPRIM_400000_NS6detail17trampoline_kernelINS0_13select_configILj256ELj13ELNS0_17block_load_methodE3ELS4_3ELS4_3ELNS0_20block_scan_algorithmE0ELj4294967295EEENS1_25partition_config_selectorILNS1_17partition_subalgoE3EjNS0_10empty_typeEbEEZZNS1_14partition_implILS8_3ELb0ES6_jNS0_17counting_iteratorIjlEEPS9_SE_NS0_5tupleIJPjSE_EEENSF_IJSE_SE_EEES9_SG_JZNS1_25segmented_radix_sort_implINS0_14default_configELb0EPKdPdPKlPlN2at6native12_GLOBAL__N_18offset_tEEE10hipError_tPvRmT1_PNSt15iterator_traitsISY_E10value_typeET2_T3_PNSZ_IS14_E10value_typeET4_jRbjT5_S1A_jjP12ihipStream_tbEUljE_EEESV_SW_SX_S14_S18_S1A_T6_T7_T9_mT8_S1C_bDpT10_ENKUlT_T0_E_clISt17integral_constantIbLb0EES1O_IbLb1EEEEDaS1K_S1L_EUlS1K_E_NS1_11comp_targetILNS1_3genE5ELNS1_11target_archE942ELNS1_3gpuE9ELNS1_3repE0EEENS1_30default_config_static_selectorELNS0_4arch9wavefront6targetE1EEEvSY_
		.amdhsa_group_segment_fixed_size 0
		.amdhsa_private_segment_fixed_size 0
		.amdhsa_kernarg_size 152
		.amdhsa_user_sgpr_count 6
		.amdhsa_user_sgpr_private_segment_buffer 1
		.amdhsa_user_sgpr_dispatch_ptr 0
		.amdhsa_user_sgpr_queue_ptr 0
		.amdhsa_user_sgpr_kernarg_segment_ptr 1
		.amdhsa_user_sgpr_dispatch_id 0
		.amdhsa_user_sgpr_flat_scratch_init 0
		.amdhsa_user_sgpr_kernarg_preload_length 0
		.amdhsa_user_sgpr_kernarg_preload_offset 0
		.amdhsa_user_sgpr_private_segment_size 0
		.amdhsa_uses_dynamic_stack 0
		.amdhsa_system_sgpr_private_segment_wavefront_offset 0
		.amdhsa_system_sgpr_workgroup_id_x 1
		.amdhsa_system_sgpr_workgroup_id_y 0
		.amdhsa_system_sgpr_workgroup_id_z 0
		.amdhsa_system_sgpr_workgroup_info 0
		.amdhsa_system_vgpr_workitem_id 0
		.amdhsa_next_free_vgpr 1
		.amdhsa_next_free_sgpr 0
		.amdhsa_accum_offset 4
		.amdhsa_reserve_vcc 0
		.amdhsa_reserve_flat_scratch 0
		.amdhsa_float_round_mode_32 0
		.amdhsa_float_round_mode_16_64 0
		.amdhsa_float_denorm_mode_32 3
		.amdhsa_float_denorm_mode_16_64 3
		.amdhsa_dx10_clamp 1
		.amdhsa_ieee_mode 1
		.amdhsa_fp16_overflow 0
		.amdhsa_tg_split 0
		.amdhsa_exception_fp_ieee_invalid_op 0
		.amdhsa_exception_fp_denorm_src 0
		.amdhsa_exception_fp_ieee_div_zero 0
		.amdhsa_exception_fp_ieee_overflow 0
		.amdhsa_exception_fp_ieee_underflow 0
		.amdhsa_exception_fp_ieee_inexact 0
		.amdhsa_exception_int_div_zero 0
	.end_amdhsa_kernel
	.section	.text._ZN7rocprim17ROCPRIM_400000_NS6detail17trampoline_kernelINS0_13select_configILj256ELj13ELNS0_17block_load_methodE3ELS4_3ELS4_3ELNS0_20block_scan_algorithmE0ELj4294967295EEENS1_25partition_config_selectorILNS1_17partition_subalgoE3EjNS0_10empty_typeEbEEZZNS1_14partition_implILS8_3ELb0ES6_jNS0_17counting_iteratorIjlEEPS9_SE_NS0_5tupleIJPjSE_EEENSF_IJSE_SE_EEES9_SG_JZNS1_25segmented_radix_sort_implINS0_14default_configELb0EPKdPdPKlPlN2at6native12_GLOBAL__N_18offset_tEEE10hipError_tPvRmT1_PNSt15iterator_traitsISY_E10value_typeET2_T3_PNSZ_IS14_E10value_typeET4_jRbjT5_S1A_jjP12ihipStream_tbEUljE_EEESV_SW_SX_S14_S18_S1A_T6_T7_T9_mT8_S1C_bDpT10_ENKUlT_T0_E_clISt17integral_constantIbLb0EES1O_IbLb1EEEEDaS1K_S1L_EUlS1K_E_NS1_11comp_targetILNS1_3genE5ELNS1_11target_archE942ELNS1_3gpuE9ELNS1_3repE0EEENS1_30default_config_static_selectorELNS0_4arch9wavefront6targetE1EEEvSY_,"axG",@progbits,_ZN7rocprim17ROCPRIM_400000_NS6detail17trampoline_kernelINS0_13select_configILj256ELj13ELNS0_17block_load_methodE3ELS4_3ELS4_3ELNS0_20block_scan_algorithmE0ELj4294967295EEENS1_25partition_config_selectorILNS1_17partition_subalgoE3EjNS0_10empty_typeEbEEZZNS1_14partition_implILS8_3ELb0ES6_jNS0_17counting_iteratorIjlEEPS9_SE_NS0_5tupleIJPjSE_EEENSF_IJSE_SE_EEES9_SG_JZNS1_25segmented_radix_sort_implINS0_14default_configELb0EPKdPdPKlPlN2at6native12_GLOBAL__N_18offset_tEEE10hipError_tPvRmT1_PNSt15iterator_traitsISY_E10value_typeET2_T3_PNSZ_IS14_E10value_typeET4_jRbjT5_S1A_jjP12ihipStream_tbEUljE_EEESV_SW_SX_S14_S18_S1A_T6_T7_T9_mT8_S1C_bDpT10_ENKUlT_T0_E_clISt17integral_constantIbLb0EES1O_IbLb1EEEEDaS1K_S1L_EUlS1K_E_NS1_11comp_targetILNS1_3genE5ELNS1_11target_archE942ELNS1_3gpuE9ELNS1_3repE0EEENS1_30default_config_static_selectorELNS0_4arch9wavefront6targetE1EEEvSY_,comdat
.Lfunc_end1212:
	.size	_ZN7rocprim17ROCPRIM_400000_NS6detail17trampoline_kernelINS0_13select_configILj256ELj13ELNS0_17block_load_methodE3ELS4_3ELS4_3ELNS0_20block_scan_algorithmE0ELj4294967295EEENS1_25partition_config_selectorILNS1_17partition_subalgoE3EjNS0_10empty_typeEbEEZZNS1_14partition_implILS8_3ELb0ES6_jNS0_17counting_iteratorIjlEEPS9_SE_NS0_5tupleIJPjSE_EEENSF_IJSE_SE_EEES9_SG_JZNS1_25segmented_radix_sort_implINS0_14default_configELb0EPKdPdPKlPlN2at6native12_GLOBAL__N_18offset_tEEE10hipError_tPvRmT1_PNSt15iterator_traitsISY_E10value_typeET2_T3_PNSZ_IS14_E10value_typeET4_jRbjT5_S1A_jjP12ihipStream_tbEUljE_EEESV_SW_SX_S14_S18_S1A_T6_T7_T9_mT8_S1C_bDpT10_ENKUlT_T0_E_clISt17integral_constantIbLb0EES1O_IbLb1EEEEDaS1K_S1L_EUlS1K_E_NS1_11comp_targetILNS1_3genE5ELNS1_11target_archE942ELNS1_3gpuE9ELNS1_3repE0EEENS1_30default_config_static_selectorELNS0_4arch9wavefront6targetE1EEEvSY_, .Lfunc_end1212-_ZN7rocprim17ROCPRIM_400000_NS6detail17trampoline_kernelINS0_13select_configILj256ELj13ELNS0_17block_load_methodE3ELS4_3ELS4_3ELNS0_20block_scan_algorithmE0ELj4294967295EEENS1_25partition_config_selectorILNS1_17partition_subalgoE3EjNS0_10empty_typeEbEEZZNS1_14partition_implILS8_3ELb0ES6_jNS0_17counting_iteratorIjlEEPS9_SE_NS0_5tupleIJPjSE_EEENSF_IJSE_SE_EEES9_SG_JZNS1_25segmented_radix_sort_implINS0_14default_configELb0EPKdPdPKlPlN2at6native12_GLOBAL__N_18offset_tEEE10hipError_tPvRmT1_PNSt15iterator_traitsISY_E10value_typeET2_T3_PNSZ_IS14_E10value_typeET4_jRbjT5_S1A_jjP12ihipStream_tbEUljE_EEESV_SW_SX_S14_S18_S1A_T6_T7_T9_mT8_S1C_bDpT10_ENKUlT_T0_E_clISt17integral_constantIbLb0EES1O_IbLb1EEEEDaS1K_S1L_EUlS1K_E_NS1_11comp_targetILNS1_3genE5ELNS1_11target_archE942ELNS1_3gpuE9ELNS1_3repE0EEENS1_30default_config_static_selectorELNS0_4arch9wavefront6targetE1EEEvSY_
                                        ; -- End function
	.section	.AMDGPU.csdata,"",@progbits
; Kernel info:
; codeLenInByte = 0
; NumSgprs: 4
; NumVgprs: 0
; NumAgprs: 0
; TotalNumVgprs: 0
; ScratchSize: 0
; MemoryBound: 0
; FloatMode: 240
; IeeeMode: 1
; LDSByteSize: 0 bytes/workgroup (compile time only)
; SGPRBlocks: 0
; VGPRBlocks: 0
; NumSGPRsForWavesPerEU: 4
; NumVGPRsForWavesPerEU: 1
; AccumOffset: 4
; Occupancy: 8
; WaveLimiterHint : 0
; COMPUTE_PGM_RSRC2:SCRATCH_EN: 0
; COMPUTE_PGM_RSRC2:USER_SGPR: 6
; COMPUTE_PGM_RSRC2:TRAP_HANDLER: 0
; COMPUTE_PGM_RSRC2:TGID_X_EN: 1
; COMPUTE_PGM_RSRC2:TGID_Y_EN: 0
; COMPUTE_PGM_RSRC2:TGID_Z_EN: 0
; COMPUTE_PGM_RSRC2:TIDIG_COMP_CNT: 0
; COMPUTE_PGM_RSRC3_GFX90A:ACCUM_OFFSET: 0
; COMPUTE_PGM_RSRC3_GFX90A:TG_SPLIT: 0
	.section	.text._ZN7rocprim17ROCPRIM_400000_NS6detail17trampoline_kernelINS0_13select_configILj256ELj13ELNS0_17block_load_methodE3ELS4_3ELS4_3ELNS0_20block_scan_algorithmE0ELj4294967295EEENS1_25partition_config_selectorILNS1_17partition_subalgoE3EjNS0_10empty_typeEbEEZZNS1_14partition_implILS8_3ELb0ES6_jNS0_17counting_iteratorIjlEEPS9_SE_NS0_5tupleIJPjSE_EEENSF_IJSE_SE_EEES9_SG_JZNS1_25segmented_radix_sort_implINS0_14default_configELb0EPKdPdPKlPlN2at6native12_GLOBAL__N_18offset_tEEE10hipError_tPvRmT1_PNSt15iterator_traitsISY_E10value_typeET2_T3_PNSZ_IS14_E10value_typeET4_jRbjT5_S1A_jjP12ihipStream_tbEUljE_EEESV_SW_SX_S14_S18_S1A_T6_T7_T9_mT8_S1C_bDpT10_ENKUlT_T0_E_clISt17integral_constantIbLb0EES1O_IbLb1EEEEDaS1K_S1L_EUlS1K_E_NS1_11comp_targetILNS1_3genE4ELNS1_11target_archE910ELNS1_3gpuE8ELNS1_3repE0EEENS1_30default_config_static_selectorELNS0_4arch9wavefront6targetE1EEEvSY_,"axG",@progbits,_ZN7rocprim17ROCPRIM_400000_NS6detail17trampoline_kernelINS0_13select_configILj256ELj13ELNS0_17block_load_methodE3ELS4_3ELS4_3ELNS0_20block_scan_algorithmE0ELj4294967295EEENS1_25partition_config_selectorILNS1_17partition_subalgoE3EjNS0_10empty_typeEbEEZZNS1_14partition_implILS8_3ELb0ES6_jNS0_17counting_iteratorIjlEEPS9_SE_NS0_5tupleIJPjSE_EEENSF_IJSE_SE_EEES9_SG_JZNS1_25segmented_radix_sort_implINS0_14default_configELb0EPKdPdPKlPlN2at6native12_GLOBAL__N_18offset_tEEE10hipError_tPvRmT1_PNSt15iterator_traitsISY_E10value_typeET2_T3_PNSZ_IS14_E10value_typeET4_jRbjT5_S1A_jjP12ihipStream_tbEUljE_EEESV_SW_SX_S14_S18_S1A_T6_T7_T9_mT8_S1C_bDpT10_ENKUlT_T0_E_clISt17integral_constantIbLb0EES1O_IbLb1EEEEDaS1K_S1L_EUlS1K_E_NS1_11comp_targetILNS1_3genE4ELNS1_11target_archE910ELNS1_3gpuE8ELNS1_3repE0EEENS1_30default_config_static_selectorELNS0_4arch9wavefront6targetE1EEEvSY_,comdat
	.globl	_ZN7rocprim17ROCPRIM_400000_NS6detail17trampoline_kernelINS0_13select_configILj256ELj13ELNS0_17block_load_methodE3ELS4_3ELS4_3ELNS0_20block_scan_algorithmE0ELj4294967295EEENS1_25partition_config_selectorILNS1_17partition_subalgoE3EjNS0_10empty_typeEbEEZZNS1_14partition_implILS8_3ELb0ES6_jNS0_17counting_iteratorIjlEEPS9_SE_NS0_5tupleIJPjSE_EEENSF_IJSE_SE_EEES9_SG_JZNS1_25segmented_radix_sort_implINS0_14default_configELb0EPKdPdPKlPlN2at6native12_GLOBAL__N_18offset_tEEE10hipError_tPvRmT1_PNSt15iterator_traitsISY_E10value_typeET2_T3_PNSZ_IS14_E10value_typeET4_jRbjT5_S1A_jjP12ihipStream_tbEUljE_EEESV_SW_SX_S14_S18_S1A_T6_T7_T9_mT8_S1C_bDpT10_ENKUlT_T0_E_clISt17integral_constantIbLb0EES1O_IbLb1EEEEDaS1K_S1L_EUlS1K_E_NS1_11comp_targetILNS1_3genE4ELNS1_11target_archE910ELNS1_3gpuE8ELNS1_3repE0EEENS1_30default_config_static_selectorELNS0_4arch9wavefront6targetE1EEEvSY_ ; -- Begin function _ZN7rocprim17ROCPRIM_400000_NS6detail17trampoline_kernelINS0_13select_configILj256ELj13ELNS0_17block_load_methodE3ELS4_3ELS4_3ELNS0_20block_scan_algorithmE0ELj4294967295EEENS1_25partition_config_selectorILNS1_17partition_subalgoE3EjNS0_10empty_typeEbEEZZNS1_14partition_implILS8_3ELb0ES6_jNS0_17counting_iteratorIjlEEPS9_SE_NS0_5tupleIJPjSE_EEENSF_IJSE_SE_EEES9_SG_JZNS1_25segmented_radix_sort_implINS0_14default_configELb0EPKdPdPKlPlN2at6native12_GLOBAL__N_18offset_tEEE10hipError_tPvRmT1_PNSt15iterator_traitsISY_E10value_typeET2_T3_PNSZ_IS14_E10value_typeET4_jRbjT5_S1A_jjP12ihipStream_tbEUljE_EEESV_SW_SX_S14_S18_S1A_T6_T7_T9_mT8_S1C_bDpT10_ENKUlT_T0_E_clISt17integral_constantIbLb0EES1O_IbLb1EEEEDaS1K_S1L_EUlS1K_E_NS1_11comp_targetILNS1_3genE4ELNS1_11target_archE910ELNS1_3gpuE8ELNS1_3repE0EEENS1_30default_config_static_selectorELNS0_4arch9wavefront6targetE1EEEvSY_
	.p2align	8
	.type	_ZN7rocprim17ROCPRIM_400000_NS6detail17trampoline_kernelINS0_13select_configILj256ELj13ELNS0_17block_load_methodE3ELS4_3ELS4_3ELNS0_20block_scan_algorithmE0ELj4294967295EEENS1_25partition_config_selectorILNS1_17partition_subalgoE3EjNS0_10empty_typeEbEEZZNS1_14partition_implILS8_3ELb0ES6_jNS0_17counting_iteratorIjlEEPS9_SE_NS0_5tupleIJPjSE_EEENSF_IJSE_SE_EEES9_SG_JZNS1_25segmented_radix_sort_implINS0_14default_configELb0EPKdPdPKlPlN2at6native12_GLOBAL__N_18offset_tEEE10hipError_tPvRmT1_PNSt15iterator_traitsISY_E10value_typeET2_T3_PNSZ_IS14_E10value_typeET4_jRbjT5_S1A_jjP12ihipStream_tbEUljE_EEESV_SW_SX_S14_S18_S1A_T6_T7_T9_mT8_S1C_bDpT10_ENKUlT_T0_E_clISt17integral_constantIbLb0EES1O_IbLb1EEEEDaS1K_S1L_EUlS1K_E_NS1_11comp_targetILNS1_3genE4ELNS1_11target_archE910ELNS1_3gpuE8ELNS1_3repE0EEENS1_30default_config_static_selectorELNS0_4arch9wavefront6targetE1EEEvSY_,@function
_ZN7rocprim17ROCPRIM_400000_NS6detail17trampoline_kernelINS0_13select_configILj256ELj13ELNS0_17block_load_methodE3ELS4_3ELS4_3ELNS0_20block_scan_algorithmE0ELj4294967295EEENS1_25partition_config_selectorILNS1_17partition_subalgoE3EjNS0_10empty_typeEbEEZZNS1_14partition_implILS8_3ELb0ES6_jNS0_17counting_iteratorIjlEEPS9_SE_NS0_5tupleIJPjSE_EEENSF_IJSE_SE_EEES9_SG_JZNS1_25segmented_radix_sort_implINS0_14default_configELb0EPKdPdPKlPlN2at6native12_GLOBAL__N_18offset_tEEE10hipError_tPvRmT1_PNSt15iterator_traitsISY_E10value_typeET2_T3_PNSZ_IS14_E10value_typeET4_jRbjT5_S1A_jjP12ihipStream_tbEUljE_EEESV_SW_SX_S14_S18_S1A_T6_T7_T9_mT8_S1C_bDpT10_ENKUlT_T0_E_clISt17integral_constantIbLb0EES1O_IbLb1EEEEDaS1K_S1L_EUlS1K_E_NS1_11comp_targetILNS1_3genE4ELNS1_11target_archE910ELNS1_3gpuE8ELNS1_3repE0EEENS1_30default_config_static_selectorELNS0_4arch9wavefront6targetE1EEEvSY_: ; @_ZN7rocprim17ROCPRIM_400000_NS6detail17trampoline_kernelINS0_13select_configILj256ELj13ELNS0_17block_load_methodE3ELS4_3ELS4_3ELNS0_20block_scan_algorithmE0ELj4294967295EEENS1_25partition_config_selectorILNS1_17partition_subalgoE3EjNS0_10empty_typeEbEEZZNS1_14partition_implILS8_3ELb0ES6_jNS0_17counting_iteratorIjlEEPS9_SE_NS0_5tupleIJPjSE_EEENSF_IJSE_SE_EEES9_SG_JZNS1_25segmented_radix_sort_implINS0_14default_configELb0EPKdPdPKlPlN2at6native12_GLOBAL__N_18offset_tEEE10hipError_tPvRmT1_PNSt15iterator_traitsISY_E10value_typeET2_T3_PNSZ_IS14_E10value_typeET4_jRbjT5_S1A_jjP12ihipStream_tbEUljE_EEESV_SW_SX_S14_S18_S1A_T6_T7_T9_mT8_S1C_bDpT10_ENKUlT_T0_E_clISt17integral_constantIbLb0EES1O_IbLb1EEEEDaS1K_S1L_EUlS1K_E_NS1_11comp_targetILNS1_3genE4ELNS1_11target_archE910ELNS1_3gpuE8ELNS1_3repE0EEENS1_30default_config_static_selectorELNS0_4arch9wavefront6targetE1EEEvSY_
; %bb.0:
	s_load_dwordx2 s[28:29], s[4:5], 0x10
	s_load_dwordx2 s[24:25], s[4:5], 0x28
	;; [unrolled: 1-line block ×3, first 2 shown]
	s_load_dwordx4 s[20:23], s[4:5], 0x48
	s_load_dword s14, s[4:5], 0x90
	s_load_dwordx2 s[30:31], s[4:5], 0x68
	s_load_dwordx4 s[8:11], s[4:5], 0x80
	v_cmp_eq_u32_e64 s[0:1], 0, v0
	s_and_saveexec_b64 s[2:3], s[0:1]
	s_cbranch_execz .LBB1213_4
; %bb.1:
	s_mov_b64 s[12:13], exec
	v_mbcnt_lo_u32_b32 v1, s12, 0
	v_mbcnt_hi_u32_b32 v1, s13, v1
	v_cmp_eq_u32_e32 vcc, 0, v1
                                        ; implicit-def: $vgpr2
	s_and_saveexec_b64 s[6:7], vcc
	s_cbranch_execz .LBB1213_3
; %bb.2:
	s_load_dwordx2 s[16:17], s[4:5], 0x78
	s_bcnt1_i32_b64 s12, s[12:13]
	v_mov_b32_e32 v2, 0
	v_mov_b32_e32 v3, s12
	s_waitcnt lgkmcnt(0)
	global_atomic_add v2, v2, v3, s[16:17] glc
.LBB1213_3:
	s_or_b64 exec, exec, s[6:7]
	s_waitcnt vmcnt(0)
	v_readfirstlane_b32 s6, v2
	v_add_u32_e32 v1, s6, v1
	v_mov_b32_e32 v2, 0
	ds_write_b32 v2, v1
.LBB1213_4:
	s_or_b64 exec, exec, s[2:3]
	v_mov_b32_e32 v1, 0
	s_load_dword s2, s[4:5], 0x8
	s_load_dword s6, s[4:5], 0x70
	s_waitcnt lgkmcnt(0)
	s_barrier
	ds_read_b32 v2, v1
	s_waitcnt lgkmcnt(0)
	s_barrier
	global_load_dwordx2 v[20:21], v1, s[22:23]
	s_add_i32 s7, s2, s28
	s_movk_i32 s2, 0xd00
	s_add_i32 s4, s6, -1
	s_mulk_i32 s6, 0xd00
	v_mul_lo_u32 v34, v2, s2
	s_add_u32 s2, s28, s6
	v_readfirstlane_b32 s40, v2
	s_addc_u32 s3, s29, 0
	s_cmp_eq_u32 s40, s4
	v_pk_mov_b32 v[2:3], s[26:27], s[26:27] op_sel:[0,1]
	s_cselect_b64 s[22:23], -1, 0
	s_cmp_lg_u32 s40, s4
	v_cmp_lt_u64_e32 vcc, s[2:3], v[2:3]
	s_cselect_b64 s[2:3], -1, 0
	s_or_b64 s[4:5], vcc, s[2:3]
	v_add_u32_e32 v1, s7, v34
	s_mov_b64 s[2:3], -1
	s_and_b64 vcc, exec, s[4:5]
	v_add_u32_e32 v2, v1, v0
	v_lshlrev_b32_e32 v1, 2, v0
	s_cbranch_vccz .LBB1213_6
; %bb.5:
	v_add_u32_e32 v3, 0x100, v2
	v_add_u32_e32 v4, 0x200, v2
	;; [unrolled: 1-line block ×12, first 2 shown]
	ds_write2st64_b32 v1, v2, v3 offset1:4
	ds_write2st64_b32 v1, v4, v5 offset0:8 offset1:12
	ds_write2st64_b32 v1, v6, v7 offset0:16 offset1:20
	;; [unrolled: 1-line block ×5, first 2 shown]
	ds_write_b32 v1, v14 offset:12288
	s_waitcnt lgkmcnt(0)
	s_barrier
	s_mov_b64 s[2:3], 0
.LBB1213_6:
	s_andn2_b64 vcc, exec, s[2:3]
	s_add_i32 s6, s6, s28
	s_cbranch_vccnz .LBB1213_8
; %bb.7:
	v_add_u32_e32 v3, 0x100, v2
	v_add_u32_e32 v4, 0x200, v2
	;; [unrolled: 1-line block ×12, first 2 shown]
	ds_write2st64_b32 v1, v2, v3 offset1:4
	ds_write2st64_b32 v1, v4, v5 offset0:8 offset1:12
	ds_write2st64_b32 v1, v6, v7 offset0:16 offset1:20
	;; [unrolled: 1-line block ×5, first 2 shown]
	ds_write_b32 v1, v14 offset:12288
	s_waitcnt lgkmcnt(0)
	s_barrier
.LBB1213_8:
	v_mul_u32_u24_e32 v36, 13, v0
	v_lshlrev_b32_e32 v2, 2, v36
	ds_read2_b32 v[32:33], v2 offset1:1
	ds_read2_b32 v[30:31], v2 offset0:2 offset1:3
	ds_read2_b32 v[28:29], v2 offset0:4 offset1:5
	;; [unrolled: 1-line block ×5, first 2 shown]
	ds_read_b32 v35, v2 offset:48
	v_cndmask_b32_e64 v2, 0, 1, s[4:5]
	s_sub_i32 s33, s26, s6
	v_cmp_ne_u32_e64 s[2:3], 1, v2
	s_andn2_b64 vcc, exec, s[4:5]
	s_waitcnt lgkmcnt(0)
	s_barrier
	s_cbranch_vccnz .LBB1213_10
; %bb.9:
	v_add_u32_e32 v2, s9, v32
	v_add_u32_e32 v3, s11, v32
	v_mul_lo_u32 v2, v2, s8
	v_mul_lo_u32 v3, v3, s10
	v_sub_u32_e32 v2, v2, v3
	v_add_u32_e32 v3, s9, v33
	v_add_u32_e32 v4, s11, v33
	v_mul_lo_u32 v3, v3, s8
	v_mul_lo_u32 v4, v4, s10
	v_sub_u32_e32 v3, v3, v4
	;; [unrolled: 5-line block ×6, first 2 shown]
	v_add_u32_e32 v8, s9, v26
	v_add_u32_e32 v9, s11, v26
	v_mul_lo_u32 v8, v8, s8
	v_mul_lo_u32 v9, v9, s10
	v_cmp_lt_u32_e32 vcc, s14, v2
	v_sub_u32_e32 v8, v8, v9
	v_add_u32_e32 v9, s9, v27
	v_add_u32_e32 v10, s11, v27
	v_cndmask_b32_e64 v2, 0, 1, vcc
	v_cmp_lt_u32_e32 vcc, s14, v3
	v_mul_lo_u32 v9, v9, s8
	v_mul_lo_u32 v10, v10, s10
	v_cndmask_b32_e64 v3, 0, 1, vcc
	v_cmp_lt_u32_e32 vcc, s14, v4
	v_sub_u32_e32 v9, v9, v10
	v_add_u32_e32 v10, s9, v24
	v_add_u32_e32 v11, s11, v24
	v_cndmask_b32_e64 v4, 0, 1, vcc
	v_cmp_lt_u32_e32 vcc, s14, v5
	v_mul_lo_u32 v10, v10, s8
	v_mul_lo_u32 v11, v11, s10
	v_cndmask_b32_e64 v5, 0, 1, vcc
	;; [unrolled: 9-line block ×4, first 2 shown]
	v_cmp_lt_u32_e32 vcc, s14, v10
	v_sub_u32_e32 v12, v12, v13
	v_add_u32_e32 v13, s9, v23
	v_add_u32_e32 v14, s11, v23
	v_lshlrev_b16_e32 v3, 8, v3
	v_cndmask_b32_e64 v10, 0, 1, vcc
	v_cmp_lt_u32_e32 vcc, s14, v11
	v_mul_lo_u32 v13, v13, s8
	v_mul_lo_u32 v14, v14, s10
	v_or_b32_e32 v2, v2, v3
	v_lshlrev_b16_e32 v3, 8, v5
	v_cndmask_b32_e64 v11, 0, 1, vcc
	v_cmp_lt_u32_e32 vcc, s14, v12
	v_sub_u32_e32 v13, v13, v14
	v_or_b32_sdwa v3, v4, v3 dst_sel:WORD_1 dst_unused:UNUSED_PAD src0_sel:DWORD src1_sel:DWORD
	v_cndmask_b32_e64 v12, 0, 1, vcc
	v_cmp_lt_u32_e32 vcc, s14, v13
	v_add_u32_e32 v14, s9, v35
	v_add_u32_e32 v15, s11, v35
	v_or_b32_sdwa v40, v2, v3 dst_sel:DWORD dst_unused:UNUSED_PAD src0_sel:WORD_0 src1_sel:DWORD
	v_lshlrev_b16_e32 v2, 8, v7
	v_lshlrev_b16_e32 v3, 8, v9
	v_cndmask_b32_e64 v13, 0, 1, vcc
	v_mul_lo_u32 v14, v14, s8
	v_mul_lo_u32 v15, v15, s10
	v_or_b32_e32 v2, v6, v2
	v_or_b32_sdwa v3, v8, v3 dst_sel:WORD_1 dst_unused:UNUSED_PAD src0_sel:DWORD src1_sel:DWORD
	v_sub_u32_e32 v14, v14, v15
	v_or_b32_sdwa v39, v2, v3 dst_sel:DWORD dst_unused:UNUSED_PAD src0_sel:WORD_0 src1_sel:DWORD
	v_lshlrev_b16_e32 v2, 8, v11
	v_lshlrev_b16_e32 v3, 8, v13
	v_cmp_lt_u32_e32 vcc, s14, v14
	v_or_b32_e32 v2, v10, v2
	v_or_b32_sdwa v3, v12, v3 dst_sel:WORD_1 dst_unused:UNUSED_PAD src0_sel:DWORD src1_sel:DWORD
	v_cndmask_b32_e64 v37, 0, 1, vcc
	v_or_b32_sdwa v38, v2, v3 dst_sel:DWORD dst_unused:UNUSED_PAD src0_sel:WORD_0 src1_sel:DWORD
	s_addk_i32 s33, 0xd00
	s_cbranch_execz .LBB1213_11
	s_branch .LBB1213_38
.LBB1213_10:
                                        ; implicit-def: $vgpr37
                                        ; implicit-def: $vgpr38
                                        ; implicit-def: $vgpr39
                                        ; implicit-def: $vgpr40
	s_addk_i32 s33, 0xd00
.LBB1213_11:
	v_cmp_gt_u32_e32 vcc, s33, v36
	v_mov_b32_e32 v3, 0
	v_mov_b32_e32 v2, 0
	s_and_saveexec_b64 s[4:5], vcc
; %bb.12:
	v_add_u32_e32 v2, s9, v32
	v_add_u32_e32 v4, s11, v32
	v_mul_lo_u32 v2, v2, s8
	v_mul_lo_u32 v4, v4, s10
	v_sub_u32_e32 v2, v2, v4
	v_cmp_lt_u32_e32 vcc, s14, v2
	v_cndmask_b32_e64 v2, 0, 1, vcc
; %bb.13:
	s_or_b64 exec, exec, s[4:5]
	v_add_u32_e32 v4, 1, v36
	v_cmp_gt_u32_e32 vcc, s33, v4
	s_and_saveexec_b64 s[4:5], vcc
; %bb.14:
	v_add_u32_e32 v3, s9, v33
	v_add_u32_e32 v4, s11, v33
	v_mul_lo_u32 v3, v3, s8
	v_mul_lo_u32 v4, v4, s10
	v_sub_u32_e32 v3, v3, v4
	v_cmp_lt_u32_e32 vcc, s14, v3
	v_cndmask_b32_e64 v3, 0, 1, vcc
; %bb.15:
	s_or_b64 exec, exec, s[4:5]
	v_add_u32_e32 v4, 2, v36
	v_cmp_gt_u32_e32 vcc, s33, v4
	v_mov_b32_e32 v5, 0
	v_mov_b32_e32 v4, 0
	s_and_saveexec_b64 s[4:5], vcc
; %bb.16:
	v_add_u32_e32 v4, s9, v30
	v_add_u32_e32 v6, s11, v30
	v_mul_lo_u32 v4, v4, s8
	v_mul_lo_u32 v6, v6, s10
	v_sub_u32_e32 v4, v4, v6
	v_cmp_lt_u32_e32 vcc, s14, v4
	v_cndmask_b32_e64 v4, 0, 1, vcc
; %bb.17:
	s_or_b64 exec, exec, s[4:5]
	v_add_u32_e32 v6, 3, v36
	v_cmp_gt_u32_e32 vcc, s33, v6
	s_and_saveexec_b64 s[4:5], vcc
; %bb.18:
	v_add_u32_e32 v5, s9, v31
	v_add_u32_e32 v6, s11, v31
	v_mul_lo_u32 v5, v5, s8
	v_mul_lo_u32 v6, v6, s10
	v_sub_u32_e32 v5, v5, v6
	v_cmp_lt_u32_e32 vcc, s14, v5
	v_cndmask_b32_e64 v5, 0, 1, vcc
; %bb.19:
	s_or_b64 exec, exec, s[4:5]
	v_add_u32_e32 v6, 4, v36
	;; [unrolled: 28-line block ×6, first 2 shown]
	v_cmp_gt_u32_e32 vcc, s33, v14
	v_mov_b32_e32 v37, 0
	s_and_saveexec_b64 s[4:5], vcc
; %bb.36:
	v_add_u32_e32 v14, s9, v35
	v_add_u32_e32 v15, s11, v35
	v_mul_lo_u32 v14, v14, s8
	v_mul_lo_u32 v15, v15, s10
	v_sub_u32_e32 v14, v14, v15
	v_cmp_lt_u32_e32 vcc, s14, v14
	v_cndmask_b32_e64 v37, 0, 1, vcc
; %bb.37:
	s_or_b64 exec, exec, s[4:5]
	v_lshlrev_b16_e32 v3, 8, v3
	v_or_b32_e32 v2, v2, v3
	v_lshlrev_b16_e32 v3, 8, v5
	v_or_b32_sdwa v3, v4, v3 dst_sel:WORD_1 dst_unused:UNUSED_PAD src0_sel:DWORD src1_sel:DWORD
	v_or_b32_sdwa v40, v2, v3 dst_sel:DWORD dst_unused:UNUSED_PAD src0_sel:WORD_0 src1_sel:DWORD
	v_lshlrev_b16_e32 v2, 8, v7
	v_lshlrev_b16_e32 v3, 8, v9
	v_or_b32_e32 v2, v6, v2
	v_or_b32_sdwa v3, v8, v3 dst_sel:WORD_1 dst_unused:UNUSED_PAD src0_sel:DWORD src1_sel:DWORD
	v_or_b32_sdwa v39, v2, v3 dst_sel:DWORD dst_unused:UNUSED_PAD src0_sel:WORD_0 src1_sel:DWORD
	v_lshlrev_b16_e32 v2, 8, v11
	v_lshlrev_b16_e32 v3, 8, v13
	v_or_b32_e32 v2, v10, v2
	v_or_b32_sdwa v3, v12, v3 dst_sel:WORD_1 dst_unused:UNUSED_PAD src0_sel:DWORD src1_sel:DWORD
	v_or_b32_sdwa v38, v2, v3 dst_sel:DWORD dst_unused:UNUSED_PAD src0_sel:WORD_0 src1_sel:DWORD
.LBB1213_38:
	v_and_b32_e32 v44, 0xff, v40
	v_bfe_u32 v45, v40, 8, 8
	v_bfe_u32 v46, v40, 16, 8
	v_lshrrev_b32_e32 v43, 24, v40
	v_and_b32_e32 v47, 0xff, v39
	v_add3_u32 v3, v45, v44, v46
	v_bfe_u32 v48, v39, 8, 8
	v_bfe_u32 v49, v39, 16, 8
	v_add3_u32 v3, v3, v43, v47
	v_lshrrev_b32_e32 v42, 24, v39
	v_and_b32_e32 v50, 0xff, v38
	v_add3_u32 v3, v3, v48, v49
	v_bfe_u32 v51, v38, 8, 8
	v_bfe_u32 v52, v38, 16, 8
	v_add3_u32 v3, v3, v42, v50
	v_lshrrev_b32_e32 v41, 24, v38
	v_and_b32_e32 v2, 0xff, v37
	v_add3_u32 v3, v3, v51, v52
	v_add3_u32 v55, v3, v41, v2
	v_mbcnt_lo_u32_b32 v2, -1, 0
	v_mbcnt_hi_u32_b32 v53, -1, v2
	v_and_b32_e32 v2, 15, v53
	v_cmp_eq_u32_e64 s[16:17], 0, v2
	v_cmp_lt_u32_e64 s[14:15], 1, v2
	v_cmp_lt_u32_e64 s[12:13], 3, v2
	;; [unrolled: 1-line block ×3, first 2 shown]
	v_and_b32_e32 v2, 16, v53
	v_cmp_eq_u32_e64 s[8:9], 0, v2
	v_or_b32_e32 v2, 63, v0
	s_cmp_lg_u32 s40, 0
	v_cmp_lt_u32_e64 s[4:5], 31, v53
	v_lshrrev_b32_e32 v54, 6, v0
	v_cmp_eq_u32_e64 s[6:7], v2, v0
	s_cbranch_scc0 .LBB1213_65
; %bb.39:
	v_mov_b32_dpp v2, v55 row_shr:1 row_mask:0xf bank_mask:0xf
	v_cndmask_b32_e64 v2, v2, 0, s[16:17]
	v_add_u32_e32 v2, v2, v55
	s_nop 1
	v_mov_b32_dpp v3, v2 row_shr:2 row_mask:0xf bank_mask:0xf
	v_cndmask_b32_e64 v3, 0, v3, s[14:15]
	v_add_u32_e32 v2, v2, v3
	s_nop 1
	;; [unrolled: 4-line block ×4, first 2 shown]
	v_mov_b32_dpp v3, v2 row_bcast:15 row_mask:0xf bank_mask:0xf
	v_cndmask_b32_e64 v3, v3, 0, s[8:9]
	v_add_u32_e32 v2, v2, v3
	s_nop 1
	v_mov_b32_dpp v3, v2 row_bcast:31 row_mask:0xf bank_mask:0xf
	v_cndmask_b32_e64 v3, 0, v3, s[4:5]
	v_add_u32_e32 v2, v2, v3
	s_and_saveexec_b64 s[18:19], s[6:7]
	s_cbranch_execz .LBB1213_41
; %bb.40:
	v_lshlrev_b32_e32 v3, 2, v54
	ds_write_b32 v3, v2
.LBB1213_41:
	s_or_b64 exec, exec, s[18:19]
	v_cmp_gt_u32_e32 vcc, 4, v0
	s_waitcnt lgkmcnt(0)
	s_barrier
	s_and_saveexec_b64 s[18:19], vcc
	s_cbranch_execz .LBB1213_43
; %bb.42:
	ds_read_b32 v3, v1
	v_and_b32_e32 v4, 3, v53
	v_cmp_ne_u32_e32 vcc, 0, v4
	s_waitcnt lgkmcnt(0)
	v_mov_b32_dpp v5, v3 row_shr:1 row_mask:0xf bank_mask:0xf
	v_cndmask_b32_e32 v5, 0, v5, vcc
	v_add_u32_e32 v3, v5, v3
	v_cmp_lt_u32_e32 vcc, 1, v4
	s_nop 0
	v_mov_b32_dpp v5, v3 row_shr:2 row_mask:0xf bank_mask:0xf
	v_cndmask_b32_e32 v4, 0, v5, vcc
	v_add_u32_e32 v3, v3, v4
	ds_write_b32 v1, v3
.LBB1213_43:
	s_or_b64 exec, exec, s[18:19]
	v_cmp_gt_u32_e32 vcc, 64, v0
	v_cmp_lt_u32_e64 s[18:19], 63, v0
	s_waitcnt lgkmcnt(0)
	s_barrier
	s_waitcnt lgkmcnt(0)
                                        ; implicit-def: $vgpr12
	s_and_saveexec_b64 s[34:35], s[18:19]
	s_cbranch_execz .LBB1213_45
; %bb.44:
	v_lshl_add_u32 v3, v54, 2, -4
	ds_read_b32 v12, v3
	s_waitcnt lgkmcnt(0)
	v_add_u32_e32 v2, v12, v2
.LBB1213_45:
	s_or_b64 exec, exec, s[34:35]
	v_add_u32_e32 v3, -1, v53
	v_and_b32_e32 v4, 64, v53
	v_cmp_lt_i32_e64 s[18:19], v3, v4
	v_cndmask_b32_e64 v3, v3, v53, s[18:19]
	v_lshlrev_b32_e32 v3, 2, v3
	ds_bpermute_b32 v13, v3, v2
	v_cmp_eq_u32_e64 s[18:19], 0, v53
	s_and_saveexec_b64 s[34:35], vcc
	s_cbranch_execz .LBB1213_64
; %bb.46:
	v_mov_b32_e32 v9, 0
	ds_read_b32 v2, v9 offset:12
	s_and_saveexec_b64 s[36:37], s[18:19]
	s_cbranch_execz .LBB1213_48
; %bb.47:
	s_add_i32 s38, s40, 64
	s_mov_b32 s39, 0
	s_lshl_b64 s[38:39], s[38:39], 3
	s_add_u32 s38, s30, s38
	v_mov_b32_e32 v3, 1
	s_addc_u32 s39, s31, s39
	s_waitcnt lgkmcnt(0)
	global_store_dwordx2 v9, v[2:3], s[38:39]
.LBB1213_48:
	s_or_b64 exec, exec, s[36:37]
	v_xad_u32 v4, v53, -1, s40
	v_add_u32_e32 v8, 64, v4
	v_lshlrev_b64 v[6:7], 3, v[8:9]
	v_mov_b32_e32 v3, s31
	v_add_co_u32_e32 v10, vcc, s30, v6
	v_addc_co_u32_e32 v11, vcc, v3, v7, vcc
	global_load_dwordx2 v[6:7], v[10:11], off glc
	s_waitcnt vmcnt(0)
	v_cmp_eq_u16_sdwa s[38:39], v7, v9 src0_sel:BYTE_0 src1_sel:DWORD
	s_and_saveexec_b64 s[36:37], s[38:39]
	s_cbranch_execz .LBB1213_52
; %bb.49:
	s_mov_b64 s[38:39], 0
	v_mov_b32_e32 v3, 0
.LBB1213_50:                            ; =>This Inner Loop Header: Depth=1
	global_load_dwordx2 v[6:7], v[10:11], off glc
	s_waitcnt vmcnt(0)
	v_cmp_ne_u16_sdwa s[42:43], v7, v3 src0_sel:BYTE_0 src1_sel:DWORD
	s_or_b64 s[38:39], s[42:43], s[38:39]
	s_andn2_b64 exec, exec, s[38:39]
	s_cbranch_execnz .LBB1213_50
; %bb.51:
	s_or_b64 exec, exec, s[38:39]
.LBB1213_52:
	s_or_b64 exec, exec, s[36:37]
	v_and_b32_e32 v14, 63, v53
	v_mov_b32_e32 v3, 2
	v_cmp_ne_u32_e32 vcc, 63, v14
	v_cmp_eq_u16_sdwa s[36:37], v7, v3 src0_sel:BYTE_0 src1_sel:DWORD
	v_lshlrev_b64 v[8:9], v53, -1
	v_addc_co_u32_e32 v11, vcc, 0, v53, vcc
	v_and_b32_e32 v5, s37, v9
	v_lshlrev_b32_e32 v15, 2, v11
	v_or_b32_e32 v5, 0x80000000, v5
	ds_bpermute_b32 v11, v15, v6
	v_and_b32_e32 v10, s36, v8
	v_ffbl_b32_e32 v5, v5
	v_add_u32_e32 v5, 32, v5
	v_ffbl_b32_e32 v10, v10
	v_min_u32_e32 v5, v10, v5
	v_cmp_lt_u32_e32 vcc, v14, v5
	s_waitcnt lgkmcnt(0)
	v_cndmask_b32_e32 v10, 0, v11, vcc
	v_cmp_gt_u32_e32 vcc, 62, v14
	v_add_u32_e32 v6, v10, v6
	v_cndmask_b32_e64 v10, 0, 1, vcc
	v_lshlrev_b32_e32 v10, 1, v10
	v_add_lshl_u32 v16, v10, v53, 2
	ds_bpermute_b32 v10, v16, v6
	v_add_u32_e32 v17, 2, v14
	v_cmp_le_u32_e32 vcc, v17, v5
	v_add_u32_e32 v19, 4, v14
	v_add_u32_e32 v57, 8, v14
	s_waitcnt lgkmcnt(0)
	v_cndmask_b32_e32 v10, 0, v10, vcc
	v_cmp_gt_u32_e32 vcc, 60, v14
	v_add_u32_e32 v6, v6, v10
	v_cndmask_b32_e64 v10, 0, 1, vcc
	v_lshlrev_b32_e32 v10, 2, v10
	v_add_lshl_u32 v18, v10, v53, 2
	ds_bpermute_b32 v10, v18, v6
	v_cmp_le_u32_e32 vcc, v19, v5
	v_add_u32_e32 v60, 16, v14
	v_add_u32_e32 v62, 32, v14
	s_waitcnt lgkmcnt(0)
	v_cndmask_b32_e32 v10, 0, v10, vcc
	v_cmp_gt_u32_e32 vcc, 56, v14
	v_add_u32_e32 v6, v6, v10
	v_cndmask_b32_e64 v10, 0, 1, vcc
	v_lshlrev_b32_e32 v10, 3, v10
	v_add_lshl_u32 v56, v10, v53, 2
	ds_bpermute_b32 v10, v56, v6
	v_cmp_le_u32_e32 vcc, v57, v5
	s_waitcnt lgkmcnt(0)
	v_cndmask_b32_e32 v10, 0, v10, vcc
	v_cmp_gt_u32_e32 vcc, 48, v14
	v_add_u32_e32 v6, v6, v10
	v_cndmask_b32_e64 v10, 0, 1, vcc
	v_lshlrev_b32_e32 v10, 4, v10
	v_add_lshl_u32 v59, v10, v53, 2
	ds_bpermute_b32 v10, v59, v6
	v_cmp_le_u32_e32 vcc, v60, v5
	;; [unrolled: 9-line block ×3, first 2 shown]
	s_waitcnt lgkmcnt(0)
	v_cndmask_b32_e32 v5, 0, v10, vcc
	v_add_u32_e32 v6, v6, v5
	v_mov_b32_e32 v5, 0
	s_branch .LBB1213_54
.LBB1213_53:                            ;   in Loop: Header=BB1213_54 Depth=1
	s_or_b64 exec, exec, s[36:37]
	v_cmp_eq_u16_sdwa s[36:37], v7, v3 src0_sel:BYTE_0 src1_sel:DWORD
	v_and_b32_e32 v10, s37, v9
	v_or_b32_e32 v10, 0x80000000, v10
	ds_bpermute_b32 v63, v15, v6
	v_and_b32_e32 v11, s36, v8
	v_ffbl_b32_e32 v10, v10
	v_add_u32_e32 v10, 32, v10
	v_ffbl_b32_e32 v11, v11
	v_min_u32_e32 v10, v11, v10
	v_cmp_lt_u32_e32 vcc, v14, v10
	s_waitcnt lgkmcnt(0)
	v_cndmask_b32_e32 v11, 0, v63, vcc
	v_add_u32_e32 v6, v11, v6
	ds_bpermute_b32 v11, v16, v6
	v_cmp_le_u32_e32 vcc, v17, v10
	v_subrev_u32_e32 v4, 64, v4
	s_waitcnt lgkmcnt(0)
	v_cndmask_b32_e32 v11, 0, v11, vcc
	v_add_u32_e32 v6, v6, v11
	ds_bpermute_b32 v11, v18, v6
	v_cmp_le_u32_e32 vcc, v19, v10
	s_waitcnt lgkmcnt(0)
	v_cndmask_b32_e32 v11, 0, v11, vcc
	v_add_u32_e32 v6, v6, v11
	ds_bpermute_b32 v11, v56, v6
	v_cmp_le_u32_e32 vcc, v57, v10
	;; [unrolled: 5-line block ×4, first 2 shown]
	s_waitcnt lgkmcnt(0)
	v_cndmask_b32_e32 v10, 0, v11, vcc
	v_add3_u32 v6, v10, v58, v6
.LBB1213_54:                            ; =>This Loop Header: Depth=1
                                        ;     Child Loop BB1213_57 Depth 2
	v_cmp_ne_u16_sdwa s[36:37], v7, v3 src0_sel:BYTE_0 src1_sel:DWORD
	v_cndmask_b32_e64 v7, 0, 1, s[36:37]
	;;#ASMSTART
	;;#ASMEND
	v_cmp_ne_u32_e32 vcc, 0, v7
	s_cmp_lg_u64 vcc, exec
	v_mov_b32_e32 v58, v6
	s_cbranch_scc1 .LBB1213_59
; %bb.55:                               ;   in Loop: Header=BB1213_54 Depth=1
	v_lshlrev_b64 v[6:7], 3, v[4:5]
	v_mov_b32_e32 v11, s31
	v_add_co_u32_e32 v10, vcc, s30, v6
	v_addc_co_u32_e32 v11, vcc, v11, v7, vcc
	global_load_dwordx2 v[6:7], v[10:11], off glc
	s_waitcnt vmcnt(0)
	v_cmp_eq_u16_sdwa s[38:39], v7, v5 src0_sel:BYTE_0 src1_sel:DWORD
	s_and_saveexec_b64 s[36:37], s[38:39]
	s_cbranch_execz .LBB1213_53
; %bb.56:                               ;   in Loop: Header=BB1213_54 Depth=1
	s_mov_b64 s[38:39], 0
.LBB1213_57:                            ;   Parent Loop BB1213_54 Depth=1
                                        ; =>  This Inner Loop Header: Depth=2
	global_load_dwordx2 v[6:7], v[10:11], off glc
	s_waitcnt vmcnt(0)
	v_cmp_ne_u16_sdwa s[42:43], v7, v5 src0_sel:BYTE_0 src1_sel:DWORD
	s_or_b64 s[38:39], s[42:43], s[38:39]
	s_andn2_b64 exec, exec, s[38:39]
	s_cbranch_execnz .LBB1213_57
; %bb.58:                               ;   in Loop: Header=BB1213_54 Depth=1
	s_or_b64 exec, exec, s[38:39]
	s_branch .LBB1213_53
.LBB1213_59:                            ;   in Loop: Header=BB1213_54 Depth=1
                                        ; implicit-def: $vgpr6
                                        ; implicit-def: $vgpr7
	s_cbranch_execz .LBB1213_54
; %bb.60:
	s_and_saveexec_b64 s[36:37], s[18:19]
	s_cbranch_execz .LBB1213_62
; %bb.61:
	s_add_i32 s38, s40, 64
	s_mov_b32 s39, 0
	s_lshl_b64 s[38:39], s[38:39], 3
	s_add_u32 s38, s30, s38
	v_add_u32_e32 v4, v58, v2
	v_mov_b32_e32 v5, 2
	s_addc_u32 s39, s31, s39
	v_mov_b32_e32 v3, 0
	global_store_dwordx2 v3, v[4:5], s[38:39]
	s_movk_i32 s38, 0x3400
	v_add_u32_e64 v3, s38, 0
	ds_write2_b32 v3, v2, v58 offset1:2
.LBB1213_62:
	s_or_b64 exec, exec, s[36:37]
	s_and_b64 exec, exec, s[0:1]
	s_cbranch_execz .LBB1213_64
; %bb.63:
	v_mov_b32_e32 v2, 0
	ds_write_b32 v2, v58 offset:12
.LBB1213_64:
	s_or_b64 exec, exec, s[34:35]
	v_mov_b32_e32 v2, 0
	s_waitcnt lgkmcnt(0)
	s_barrier
	ds_read_b32 v2, v2 offset:12
	v_cndmask_b32_e64 v3, v13, v12, s[18:19]
	v_cndmask_b32_e64 v3, v3, 0, s[0:1]
	s_movk_i32 s18, 0x3400
	v_add_u32_e64 v12, s18, 0
	s_waitcnt lgkmcnt(0)
	v_add_u32_e32 v2, v2, v3
	v_add_u32_e32 v3, v2, v44
	;; [unrolled: 1-line block ×9, first 2 shown]
	s_barrier
	ds_read2_b32 v[18:19], v12 offset1:2
	v_add_u32_e32 v11, v10, v50
	v_add_u32_e32 v12, v11, v51
	;; [unrolled: 1-line block ×4, first 2 shown]
	s_branch .LBB1213_75
.LBB1213_65:
                                        ; implicit-def: $vgpr19
                                        ; implicit-def: $vgpr2_vgpr3_vgpr4_vgpr5_vgpr6_vgpr7_vgpr8_vgpr9_vgpr10_vgpr11_vgpr12_vgpr13_vgpr14_vgpr15_vgpr16_vgpr17
	s_cbranch_execz .LBB1213_75
; %bb.66:
	s_nop 0
	v_mov_b32_dpp v2, v55 row_shr:1 row_mask:0xf bank_mask:0xf
	v_cndmask_b32_e64 v2, v2, 0, s[16:17]
	v_add_u32_e32 v2, v2, v55
	s_nop 1
	v_mov_b32_dpp v3, v2 row_shr:2 row_mask:0xf bank_mask:0xf
	v_cndmask_b32_e64 v3, 0, v3, s[14:15]
	v_add_u32_e32 v2, v2, v3
	;; [unrolled: 4-line block ×4, first 2 shown]
	s_nop 1
	v_mov_b32_dpp v3, v2 row_bcast:15 row_mask:0xf bank_mask:0xf
	v_cndmask_b32_e64 v3, v3, 0, s[8:9]
	v_add_u32_e32 v2, v2, v3
	s_nop 1
	v_mov_b32_dpp v3, v2 row_bcast:31 row_mask:0xf bank_mask:0xf
	v_cndmask_b32_e64 v3, 0, v3, s[4:5]
	v_add_u32_e32 v2, v2, v3
	s_and_saveexec_b64 s[4:5], s[6:7]
	s_cbranch_execz .LBB1213_68
; %bb.67:
	v_lshlrev_b32_e32 v3, 2, v54
	ds_write_b32 v3, v2
.LBB1213_68:
	s_or_b64 exec, exec, s[4:5]
	v_cmp_gt_u32_e32 vcc, 4, v0
	s_waitcnt lgkmcnt(0)
	s_barrier
	s_and_saveexec_b64 s[4:5], vcc
	s_cbranch_execz .LBB1213_70
; %bb.69:
	ds_read_b32 v3, v1
	v_and_b32_e32 v4, 3, v53
	v_cmp_ne_u32_e32 vcc, 0, v4
	s_waitcnt lgkmcnt(0)
	v_mov_b32_dpp v5, v3 row_shr:1 row_mask:0xf bank_mask:0xf
	v_cndmask_b32_e32 v5, 0, v5, vcc
	v_add_u32_e32 v3, v5, v3
	v_cmp_lt_u32_e32 vcc, 1, v4
	s_nop 0
	v_mov_b32_dpp v5, v3 row_shr:2 row_mask:0xf bank_mask:0xf
	v_cndmask_b32_e32 v4, 0, v5, vcc
	v_add_u32_e32 v3, v3, v4
	ds_write_b32 v1, v3
.LBB1213_70:
	s_or_b64 exec, exec, s[4:5]
	v_cmp_lt_u32_e32 vcc, 63, v0
	v_mov_b32_e32 v4, 0
	v_mov_b32_e32 v3, 0
	s_waitcnt lgkmcnt(0)
	s_barrier
	s_and_saveexec_b64 s[4:5], vcc
	s_cbranch_execz .LBB1213_72
; %bb.71:
	v_lshl_add_u32 v3, v54, 2, -4
	ds_read_b32 v3, v3
.LBB1213_72:
	s_or_b64 exec, exec, s[4:5]
	v_add_u32_e32 v5, -1, v53
	v_and_b32_e32 v6, 64, v53
	v_cmp_lt_i32_e32 vcc, v5, v6
	v_cndmask_b32_e32 v5, v5, v53, vcc
	s_waitcnt lgkmcnt(0)
	v_add_u32_e32 v2, v3, v2
	v_lshlrev_b32_e32 v5, 2, v5
	ds_bpermute_b32 v2, v5, v2
	ds_read_b32 v18, v4 offset:12
	s_and_saveexec_b64 s[4:5], s[0:1]
	s_cbranch_execz .LBB1213_74
; %bb.73:
	v_mov_b32_e32 v4, 0
	v_mov_b32_e32 v19, 2
	s_waitcnt lgkmcnt(0)
	global_store_dwordx2 v4, v[18:19], s[30:31] offset:512
.LBB1213_74:
	s_or_b64 exec, exec, s[4:5]
	v_cmp_eq_u32_e32 vcc, 0, v53
	s_waitcnt lgkmcnt(1)
	v_cndmask_b32_e32 v2, v2, v3, vcc
	v_cndmask_b32_e64 v2, v2, 0, s[0:1]
	v_add_u32_e32 v3, v2, v44
	v_add_u32_e32 v4, v3, v45
	;; [unrolled: 1-line block ×11, first 2 shown]
	v_mov_b32_e32 v19, 0
	v_add_u32_e32 v14, v13, v41
	s_waitcnt lgkmcnt(0)
	s_barrier
.LBB1213_75:
	s_waitcnt lgkmcnt(0)
	v_add_u32_e32 v36, v18, v36
	v_sub_u32_e32 v2, v2, v19
	v_and_b32_e32 v45, 1, v40
	v_sub_u32_e32 v44, v36, v2
	v_cmp_eq_u32_e32 vcc, 1, v45
	v_cndmask_b32_e32 v2, v44, v2, vcc
	v_lshlrev_b32_e32 v2, 2, v2
	v_lshrrev_b32_e32 v17, 8, v40
	ds_write_b32 v2, v32
	v_sub_u32_e32 v2, v3, v19
	v_sub_u32_e32 v3, v36, v2
	v_and_b32_e32 v17, 1, v17
	v_add_u32_e32 v3, 1, v3
	v_cmp_eq_u32_e32 vcc, 1, v17
	v_cndmask_b32_e32 v2, v3, v2, vcc
	v_lshlrev_b32_e32 v2, 2, v2
	ds_write_b32 v2, v33
	v_sub_u32_e32 v2, v4, v19
	v_mov_b32_e32 v4, 1
	v_sub_u32_e32 v3, v36, v2
	v_and_b32_sdwa v17, v4, v40 dst_sel:DWORD dst_unused:UNUSED_PAD src0_sel:DWORD src1_sel:WORD_1
	v_add_u32_e32 v3, 2, v3
	v_cmp_eq_u32_e32 vcc, 1, v17
	v_cndmask_b32_e32 v2, v3, v2, vcc
	v_lshlrev_b32_e32 v2, 2, v2
	ds_write_b32 v2, v30
	v_sub_u32_e32 v2, v5, v19
	v_sub_u32_e32 v3, v36, v2
	v_and_b32_e32 v5, 1, v43
	v_add_u32_e32 v3, 3, v3
	v_cmp_eq_u32_e32 vcc, 1, v5
	v_cndmask_b32_e32 v2, v3, v2, vcc
	v_lshlrev_b32_e32 v2, 2, v2
	ds_write_b32 v2, v31
	v_sub_u32_e32 v2, v6, v19
	v_sub_u32_e32 v3, v36, v2
	v_and_b32_e32 v5, 1, v39
	v_add_u32_e32 v3, 4, v3
	v_cmp_eq_u32_e32 vcc, 1, v5
	v_cndmask_b32_e32 v2, v3, v2, vcc
	v_lshlrev_b32_e32 v2, 2, v2
	v_lshrrev_b32_e32 v16, 8, v39
	ds_write_b32 v2, v28
	v_sub_u32_e32 v2, v7, v19
	v_sub_u32_e32 v3, v36, v2
	v_and_b32_e32 v5, 1, v16
	v_add_u32_e32 v3, 5, v3
	v_cmp_eq_u32_e32 vcc, 1, v5
	v_cndmask_b32_e32 v2, v3, v2, vcc
	v_lshlrev_b32_e32 v2, 2, v2
	ds_write_b32 v2, v29
	v_sub_u32_e32 v2, v8, v19
	v_sub_u32_e32 v3, v36, v2
	v_and_b32_sdwa v5, v4, v39 dst_sel:DWORD dst_unused:UNUSED_PAD src0_sel:DWORD src1_sel:WORD_1
	v_add_u32_e32 v3, 6, v3
	v_cmp_eq_u32_e32 vcc, 1, v5
	v_cndmask_b32_e32 v2, v3, v2, vcc
	v_lshlrev_b32_e32 v2, 2, v2
	ds_write_b32 v2, v26
	v_sub_u32_e32 v2, v9, v19
	v_sub_u32_e32 v3, v36, v2
	v_and_b32_e32 v5, 1, v42
	v_add_u32_e32 v3, 7, v3
	v_cmp_eq_u32_e32 vcc, 1, v5
	v_cndmask_b32_e32 v2, v3, v2, vcc
	v_lshlrev_b32_e32 v2, 2, v2
	ds_write_b32 v2, v27
	v_sub_u32_e32 v2, v10, v19
	v_sub_u32_e32 v3, v36, v2
	v_and_b32_e32 v5, 1, v38
	v_add_u32_e32 v3, 8, v3
	v_cmp_eq_u32_e32 vcc, 1, v5
	v_cndmask_b32_e32 v2, v3, v2, vcc
	v_lshlrev_b32_e32 v2, 2, v2
	v_lshrrev_b32_e32 v15, 8, v38
	ds_write_b32 v2, v24
	v_sub_u32_e32 v2, v11, v19
	v_sub_u32_e32 v3, v36, v2
	v_and_b32_e32 v5, 1, v15
	v_add_u32_e32 v3, 9, v3
	v_cmp_eq_u32_e32 vcc, 1, v5
	v_cndmask_b32_e32 v2, v3, v2, vcc
	v_lshlrev_b32_e32 v2, 2, v2
	ds_write_b32 v2, v25
	v_sub_u32_e32 v2, v12, v19
	v_sub_u32_e32 v3, v36, v2
	v_and_b32_sdwa v4, v4, v38 dst_sel:DWORD dst_unused:UNUSED_PAD src0_sel:DWORD src1_sel:WORD_1
	v_add_u32_e32 v3, 10, v3
	v_cmp_eq_u32_e32 vcc, 1, v4
	v_cndmask_b32_e32 v2, v3, v2, vcc
	v_lshlrev_b32_e32 v2, 2, v2
	ds_write_b32 v2, v22
	v_sub_u32_e32 v2, v13, v19
	v_sub_u32_e32 v3, v36, v2
	v_and_b32_e32 v4, 1, v41
	v_add_u32_e32 v3, 11, v3
	v_cmp_eq_u32_e32 vcc, 1, v4
	v_cndmask_b32_e32 v2, v3, v2, vcc
	v_lshlrev_b32_e32 v2, 2, v2
	ds_write_b32 v2, v23
	v_sub_u32_e32 v2, v14, v19
	v_sub_u32_e32 v3, v36, v2
	v_and_b32_e32 v4, 1, v37
	v_add_u32_e32 v3, 12, v3
	v_cmp_eq_u32_e32 vcc, 1, v4
	v_cndmask_b32_e32 v2, v3, v2, vcc
	v_lshlrev_b32_e32 v2, 2, v2
	ds_write_b32 v2, v35
	s_waitcnt lgkmcnt(0)
	s_barrier
	ds_read2st64_b32 v[12:13], v1 offset1:4
	ds_read2st64_b32 v[10:11], v1 offset0:8 offset1:12
	ds_read2st64_b32 v[8:9], v1 offset0:16 offset1:20
	;; [unrolled: 1-line block ×5, first 2 shown]
	ds_read_b32 v17, v1 offset:12288
	s_waitcnt vmcnt(0)
	v_add_co_u32_e32 v1, vcc, v20, v19
	v_addc_co_u32_e32 v16, vcc, 0, v21, vcc
	v_mov_b32_e32 v14, s29
	v_add_co_u32_e32 v15, vcc, s28, v34
	v_addc_co_u32_e32 v14, vcc, 0, v14, vcc
	v_mov_b32_e32 v19, s27
	v_sub_co_u32_e32 v15, vcc, s26, v15
	v_subb_co_u32_e32 v14, vcc, v19, v14, vcc
	v_add_co_u32_e32 v15, vcc, v15, v18
	v_addc_co_u32_e32 v14, vcc, 0, v14, vcc
	s_and_b64 vcc, exec, s[2:3]
	v_add_co_u32_e64 v19, s[2:3], v15, v1
	v_or_b32_e32 v33, 0x100, v0
	v_or_b32_e32 v32, 0x200, v0
	v_or_b32_e32 v31, 0x300, v0
	v_or_b32_e32 v30, 0x400, v0
	v_or_b32_e32 v29, 0x500, v0
	v_or_b32_e32 v28, 0x600, v0
	v_or_b32_e32 v27, 0x700, v0
	v_or_b32_e32 v26, 0x800, v0
	v_or_b32_e32 v25, 0x900, v0
	v_or_b32_e32 v24, 0xa00, v0
	v_or_b32_e32 v23, 0xb00, v0
	v_or_b32_e32 v22, 0xc00, v0
	v_addc_co_u32_e64 v20, s[2:3], v14, v16, s[2:3]
	s_cbranch_vccnz .LBB1213_132
; %bb.76:
	v_cmp_ge_u32_e32 vcc, v0, v18
                                        ; implicit-def: $vgpr14_vgpr15
	s_and_saveexec_b64 s[2:3], vcc
	s_xor_b64 s[2:3], exec, s[2:3]
; %bb.77:
	v_not_b32_e32 v14, v0
	v_ashrrev_i32_e32 v15, 31, v14
	v_add_co_u32_e32 v14, vcc, v19, v14
	v_addc_co_u32_e32 v15, vcc, v20, v15, vcc
; %bb.78:
	s_andn2_saveexec_b64 s[2:3], s[2:3]
; %bb.79:
	v_add_co_u32_e32 v14, vcc, v1, v0
	v_addc_co_u32_e32 v15, vcc, 0, v16, vcc
; %bb.80:
	s_or_b64 exec, exec, s[2:3]
	v_lshlrev_b64 v[14:15], 2, v[14:15]
	v_mov_b32_e32 v21, s25
	v_add_co_u32_e32 v14, vcc, s24, v14
	v_addc_co_u32_e32 v15, vcc, v21, v15, vcc
	v_cmp_ge_u32_e32 vcc, v33, v18
	s_waitcnt lgkmcnt(6)
	global_store_dword v[14:15], v12, off
                                        ; implicit-def: $vgpr14_vgpr15
	s_and_saveexec_b64 s[2:3], vcc
	s_xor_b64 s[2:3], exec, s[2:3]
; %bb.81:
	v_xor_b32_e32 v14, 0xfffffeff, v0
	v_ashrrev_i32_e32 v15, 31, v14
	v_add_co_u32_e32 v14, vcc, v19, v14
	v_addc_co_u32_e32 v15, vcc, v20, v15, vcc
; %bb.82:
	s_andn2_saveexec_b64 s[2:3], s[2:3]
; %bb.83:
	v_add_co_u32_e32 v14, vcc, v1, v33
	v_addc_co_u32_e32 v15, vcc, 0, v16, vcc
; %bb.84:
	s_or_b64 exec, exec, s[2:3]
	v_lshlrev_b64 v[14:15], 2, v[14:15]
	v_mov_b32_e32 v21, s25
	v_add_co_u32_e32 v14, vcc, s24, v14
	v_addc_co_u32_e32 v15, vcc, v21, v15, vcc
	v_cmp_ge_u32_e32 vcc, v32, v18
	global_store_dword v[14:15], v13, off
                                        ; implicit-def: $vgpr14_vgpr15
	s_and_saveexec_b64 s[2:3], vcc
	s_xor_b64 s[2:3], exec, s[2:3]
; %bb.85:
	v_xor_b32_e32 v14, 0xfffffdff, v0
	v_ashrrev_i32_e32 v15, 31, v14
	v_add_co_u32_e32 v14, vcc, v19, v14
	v_addc_co_u32_e32 v15, vcc, v20, v15, vcc
; %bb.86:
	s_andn2_saveexec_b64 s[2:3], s[2:3]
; %bb.87:
	v_add_co_u32_e32 v14, vcc, v1, v32
	v_addc_co_u32_e32 v15, vcc, 0, v16, vcc
; %bb.88:
	s_or_b64 exec, exec, s[2:3]
	v_lshlrev_b64 v[14:15], 2, v[14:15]
	v_mov_b32_e32 v21, s25
	v_add_co_u32_e32 v14, vcc, s24, v14
	v_addc_co_u32_e32 v15, vcc, v21, v15, vcc
	v_cmp_ge_u32_e32 vcc, v31, v18
	s_waitcnt lgkmcnt(5)
	global_store_dword v[14:15], v10, off
                                        ; implicit-def: $vgpr14_vgpr15
	s_and_saveexec_b64 s[2:3], vcc
	s_xor_b64 s[2:3], exec, s[2:3]
; %bb.89:
	v_xor_b32_e32 v14, 0xfffffcff, v0
	v_ashrrev_i32_e32 v15, 31, v14
	v_add_co_u32_e32 v14, vcc, v19, v14
	v_addc_co_u32_e32 v15, vcc, v20, v15, vcc
; %bb.90:
	s_andn2_saveexec_b64 s[2:3], s[2:3]
; %bb.91:
	v_add_co_u32_e32 v14, vcc, v1, v31
	v_addc_co_u32_e32 v15, vcc, 0, v16, vcc
; %bb.92:
	s_or_b64 exec, exec, s[2:3]
	v_lshlrev_b64 v[14:15], 2, v[14:15]
	v_mov_b32_e32 v21, s25
	v_add_co_u32_e32 v14, vcc, s24, v14
	v_addc_co_u32_e32 v15, vcc, v21, v15, vcc
	v_cmp_ge_u32_e32 vcc, v30, v18
	global_store_dword v[14:15], v11, off
                                        ; implicit-def: $vgpr14_vgpr15
	s_and_saveexec_b64 s[2:3], vcc
	s_xor_b64 s[2:3], exec, s[2:3]
; %bb.93:
	v_xor_b32_e32 v14, 0xfffffbff, v0
	;; [unrolled: 43-line block ×6, first 2 shown]
	v_ashrrev_i32_e32 v15, 31, v14
	v_add_co_u32_e32 v14, vcc, v19, v14
	v_addc_co_u32_e32 v15, vcc, v20, v15, vcc
; %bb.126:
	s_andn2_saveexec_b64 s[2:3], s[2:3]
; %bb.127:
	v_add_co_u32_e32 v14, vcc, v1, v22
	v_addc_co_u32_e32 v15, vcc, 0, v16, vcc
; %bb.128:
	s_or_b64 exec, exec, s[2:3]
	s_mov_b64 s[2:3], -1
.LBB1213_129:
	s_and_saveexec_b64 s[4:5], s[2:3]
	s_cbranch_execz .LBB1213_212
.LBB1213_130:
	s_waitcnt lgkmcnt(1)
	v_lshlrev_b64 v[2:3], 2, v[14:15]
	v_mov_b32_e32 v0, s25
	v_add_co_u32_e32 v2, vcc, s24, v2
	v_addc_co_u32_e32 v3, vcc, v0, v3, vcc
	s_waitcnt lgkmcnt(0)
	global_store_dword v[2:3], v17, off
	s_or_b64 exec, exec, s[4:5]
	s_and_b64 s[0:1], s[0:1], s[22:23]
	s_and_saveexec_b64 s[2:3], s[0:1]
	s_cbranch_execnz .LBB1213_213
.LBB1213_131:
	s_endpgm
.LBB1213_132:
	s_mov_b64 s[2:3], 0
                                        ; implicit-def: $vgpr14_vgpr15
	s_cbranch_execz .LBB1213_129
; %bb.133:
	v_cmp_gt_u32_e32 vcc, s33, v0
	s_and_saveexec_b64 s[4:5], vcc
	s_cbranch_execz .LBB1213_169
; %bb.134:
	v_cmp_ge_u32_e32 vcc, v0, v18
                                        ; implicit-def: $vgpr14_vgpr15
	s_and_saveexec_b64 s[6:7], vcc
	s_xor_b64 s[6:7], exec, s[6:7]
; %bb.135:
	v_not_b32_e32 v14, v0
	v_ashrrev_i32_e32 v15, 31, v14
	v_add_co_u32_e32 v14, vcc, v19, v14
	v_addc_co_u32_e32 v15, vcc, v20, v15, vcc
; %bb.136:
	s_andn2_saveexec_b64 s[6:7], s[6:7]
; %bb.137:
	v_add_co_u32_e32 v14, vcc, v1, v0
	v_addc_co_u32_e32 v15, vcc, 0, v16, vcc
; %bb.138:
	s_or_b64 exec, exec, s[6:7]
	v_lshlrev_b64 v[14:15], 2, v[14:15]
	v_mov_b32_e32 v21, s25
	v_add_co_u32_e32 v14, vcc, s24, v14
	v_addc_co_u32_e32 v15, vcc, v21, v15, vcc
	s_waitcnt lgkmcnt(6)
	global_store_dword v[14:15], v12, off
	s_or_b64 exec, exec, s[4:5]
	v_cmp_gt_u32_e32 vcc, s33, v33
	s_and_saveexec_b64 s[4:5], vcc
	s_cbranch_execnz .LBB1213_170
.LBB1213_139:
	s_or_b64 exec, exec, s[4:5]
	v_cmp_gt_u32_e32 vcc, s33, v32
	s_and_saveexec_b64 s[4:5], vcc
	s_cbranch_execz .LBB1213_175
.LBB1213_140:
	v_cmp_ge_u32_e32 vcc, v32, v18
                                        ; implicit-def: $vgpr12_vgpr13
	s_and_saveexec_b64 s[6:7], vcc
	s_xor_b64 s[6:7], exec, s[6:7]
	s_cbranch_execz .LBB1213_142
; %bb.141:
	s_waitcnt lgkmcnt(6)
	v_xor_b32_e32 v12, 0xfffffdff, v0
	v_ashrrev_i32_e32 v13, 31, v12
	v_add_co_u32_e32 v12, vcc, v19, v12
	v_addc_co_u32_e32 v13, vcc, v20, v13, vcc
                                        ; implicit-def: $vgpr32
.LBB1213_142:
	s_andn2_saveexec_b64 s[6:7], s[6:7]
	s_cbranch_execz .LBB1213_144
; %bb.143:
	s_waitcnt lgkmcnt(6)
	v_add_co_u32_e32 v12, vcc, v1, v32
	v_addc_co_u32_e32 v13, vcc, 0, v16, vcc
.LBB1213_144:
	s_or_b64 exec, exec, s[6:7]
	s_waitcnt lgkmcnt(6)
	v_lshlrev_b64 v[12:13], 2, v[12:13]
	v_mov_b32_e32 v14, s25
	v_add_co_u32_e32 v12, vcc, s24, v12
	v_addc_co_u32_e32 v13, vcc, v14, v13, vcc
	s_waitcnt lgkmcnt(5)
	global_store_dword v[12:13], v10, off
	s_or_b64 exec, exec, s[4:5]
	v_cmp_gt_u32_e32 vcc, s33, v31
	s_and_saveexec_b64 s[4:5], vcc
	s_cbranch_execnz .LBB1213_176
.LBB1213_145:
	s_or_b64 exec, exec, s[4:5]
	v_cmp_gt_u32_e32 vcc, s33, v30
	s_and_saveexec_b64 s[4:5], vcc
	s_cbranch_execz .LBB1213_181
.LBB1213_146:
	v_cmp_ge_u32_e32 vcc, v30, v18
                                        ; implicit-def: $vgpr10_vgpr11
	s_and_saveexec_b64 s[6:7], vcc
	s_xor_b64 s[6:7], exec, s[6:7]
	s_cbranch_execz .LBB1213_148
; %bb.147:
	s_waitcnt lgkmcnt(5)
	v_xor_b32_e32 v10, 0xfffffbff, v0
	v_ashrrev_i32_e32 v11, 31, v10
	v_add_co_u32_e32 v10, vcc, v19, v10
	v_addc_co_u32_e32 v11, vcc, v20, v11, vcc
                                        ; implicit-def: $vgpr30
.LBB1213_148:
	s_andn2_saveexec_b64 s[6:7], s[6:7]
	s_cbranch_execz .LBB1213_150
; %bb.149:
	s_waitcnt lgkmcnt(5)
	v_add_co_u32_e32 v10, vcc, v1, v30
	v_addc_co_u32_e32 v11, vcc, 0, v16, vcc
.LBB1213_150:
	s_or_b64 exec, exec, s[6:7]
	s_waitcnt lgkmcnt(5)
	v_lshlrev_b64 v[10:11], 2, v[10:11]
	v_mov_b32_e32 v12, s25
	v_add_co_u32_e32 v10, vcc, s24, v10
	v_addc_co_u32_e32 v11, vcc, v12, v11, vcc
	s_waitcnt lgkmcnt(4)
	global_store_dword v[10:11], v8, off
	s_or_b64 exec, exec, s[4:5]
	v_cmp_gt_u32_e32 vcc, s33, v29
	s_and_saveexec_b64 s[4:5], vcc
	s_cbranch_execnz .LBB1213_182
.LBB1213_151:
	s_or_b64 exec, exec, s[4:5]
	v_cmp_gt_u32_e32 vcc, s33, v28
	s_and_saveexec_b64 s[4:5], vcc
	s_cbranch_execz .LBB1213_187
.LBB1213_152:
	v_cmp_ge_u32_e32 vcc, v28, v18
                                        ; implicit-def: $vgpr8_vgpr9
	s_and_saveexec_b64 s[6:7], vcc
	s_xor_b64 s[6:7], exec, s[6:7]
	s_cbranch_execz .LBB1213_154
; %bb.153:
	s_waitcnt lgkmcnt(4)
	v_xor_b32_e32 v8, 0xfffff9ff, v0
	v_ashrrev_i32_e32 v9, 31, v8
	v_add_co_u32_e32 v8, vcc, v19, v8
	v_addc_co_u32_e32 v9, vcc, v20, v9, vcc
                                        ; implicit-def: $vgpr28
.LBB1213_154:
	s_andn2_saveexec_b64 s[6:7], s[6:7]
	s_cbranch_execz .LBB1213_156
; %bb.155:
	s_waitcnt lgkmcnt(4)
	v_add_co_u32_e32 v8, vcc, v1, v28
	v_addc_co_u32_e32 v9, vcc, 0, v16, vcc
.LBB1213_156:
	s_or_b64 exec, exec, s[6:7]
	s_waitcnt lgkmcnt(4)
	v_lshlrev_b64 v[8:9], 2, v[8:9]
	v_mov_b32_e32 v10, s25
	v_add_co_u32_e32 v8, vcc, s24, v8
	v_addc_co_u32_e32 v9, vcc, v10, v9, vcc
	s_waitcnt lgkmcnt(3)
	global_store_dword v[8:9], v6, off
	s_or_b64 exec, exec, s[4:5]
	v_cmp_gt_u32_e32 vcc, s33, v27
	s_and_saveexec_b64 s[4:5], vcc
	s_cbranch_execnz .LBB1213_188
.LBB1213_157:
	s_or_b64 exec, exec, s[4:5]
	v_cmp_gt_u32_e32 vcc, s33, v26
	s_and_saveexec_b64 s[4:5], vcc
	s_cbranch_execz .LBB1213_193
.LBB1213_158:
	v_cmp_ge_u32_e32 vcc, v26, v18
                                        ; implicit-def: $vgpr6_vgpr7
	s_and_saveexec_b64 s[6:7], vcc
	s_xor_b64 s[6:7], exec, s[6:7]
	s_cbranch_execz .LBB1213_160
; %bb.159:
	s_waitcnt lgkmcnt(3)
	v_xor_b32_e32 v6, 0xfffff7ff, v0
	v_ashrrev_i32_e32 v7, 31, v6
	v_add_co_u32_e32 v6, vcc, v19, v6
	v_addc_co_u32_e32 v7, vcc, v20, v7, vcc
                                        ; implicit-def: $vgpr26
.LBB1213_160:
	s_andn2_saveexec_b64 s[6:7], s[6:7]
	s_cbranch_execz .LBB1213_162
; %bb.161:
	s_waitcnt lgkmcnt(3)
	v_add_co_u32_e32 v6, vcc, v1, v26
	v_addc_co_u32_e32 v7, vcc, 0, v16, vcc
.LBB1213_162:
	s_or_b64 exec, exec, s[6:7]
	s_waitcnt lgkmcnt(3)
	v_lshlrev_b64 v[6:7], 2, v[6:7]
	v_mov_b32_e32 v8, s25
	v_add_co_u32_e32 v6, vcc, s24, v6
	v_addc_co_u32_e32 v7, vcc, v8, v7, vcc
	s_waitcnt lgkmcnt(2)
	global_store_dword v[6:7], v4, off
	s_or_b64 exec, exec, s[4:5]
	v_cmp_gt_u32_e32 vcc, s33, v25
	s_and_saveexec_b64 s[4:5], vcc
	s_cbranch_execnz .LBB1213_194
.LBB1213_163:
	s_or_b64 exec, exec, s[4:5]
	v_cmp_gt_u32_e32 vcc, s33, v24
	s_and_saveexec_b64 s[4:5], vcc
	s_cbranch_execz .LBB1213_199
.LBB1213_164:
	v_cmp_ge_u32_e32 vcc, v24, v18
                                        ; implicit-def: $vgpr4_vgpr5
	s_and_saveexec_b64 s[6:7], vcc
	s_xor_b64 s[6:7], exec, s[6:7]
	s_cbranch_execz .LBB1213_166
; %bb.165:
	s_waitcnt lgkmcnt(2)
	v_xor_b32_e32 v4, 0xfffff5ff, v0
	v_ashrrev_i32_e32 v5, 31, v4
	v_add_co_u32_e32 v4, vcc, v19, v4
	v_addc_co_u32_e32 v5, vcc, v20, v5, vcc
                                        ; implicit-def: $vgpr24
.LBB1213_166:
	s_andn2_saveexec_b64 s[6:7], s[6:7]
	s_cbranch_execz .LBB1213_168
; %bb.167:
	s_waitcnt lgkmcnt(2)
	v_add_co_u32_e32 v4, vcc, v1, v24
	v_addc_co_u32_e32 v5, vcc, 0, v16, vcc
.LBB1213_168:
	s_or_b64 exec, exec, s[6:7]
	s_waitcnt lgkmcnt(2)
	v_lshlrev_b64 v[4:5], 2, v[4:5]
	v_mov_b32_e32 v6, s25
	v_add_co_u32_e32 v4, vcc, s24, v4
	v_addc_co_u32_e32 v5, vcc, v6, v5, vcc
	s_waitcnt lgkmcnt(1)
	global_store_dword v[4:5], v2, off
	s_or_b64 exec, exec, s[4:5]
	v_cmp_gt_u32_e32 vcc, s33, v23
	s_and_saveexec_b64 s[4:5], vcc
	s_cbranch_execz .LBB1213_205
	s_branch .LBB1213_200
.LBB1213_169:
	s_or_b64 exec, exec, s[4:5]
	v_cmp_gt_u32_e32 vcc, s33, v33
	s_and_saveexec_b64 s[4:5], vcc
	s_cbranch_execz .LBB1213_139
.LBB1213_170:
	v_cmp_ge_u32_e32 vcc, v33, v18
                                        ; implicit-def: $vgpr14_vgpr15
	s_and_saveexec_b64 s[6:7], vcc
	s_xor_b64 s[6:7], exec, s[6:7]
	s_cbranch_execz .LBB1213_172
; %bb.171:
	s_waitcnt lgkmcnt(6)
	v_xor_b32_e32 v12, 0xfffffeff, v0
	v_ashrrev_i32_e32 v15, 31, v12
	v_add_co_u32_e32 v14, vcc, v19, v12
	v_addc_co_u32_e32 v15, vcc, v20, v15, vcc
                                        ; implicit-def: $vgpr33
.LBB1213_172:
	s_andn2_saveexec_b64 s[6:7], s[6:7]
; %bb.173:
	v_add_co_u32_e32 v14, vcc, v1, v33
	v_addc_co_u32_e32 v15, vcc, 0, v16, vcc
; %bb.174:
	s_or_b64 exec, exec, s[6:7]
	v_lshlrev_b64 v[14:15], 2, v[14:15]
	s_waitcnt lgkmcnt(6)
	v_mov_b32_e32 v12, s25
	v_add_co_u32_e32 v14, vcc, s24, v14
	v_addc_co_u32_e32 v15, vcc, v12, v15, vcc
	global_store_dword v[14:15], v13, off
	s_or_b64 exec, exec, s[4:5]
	v_cmp_gt_u32_e32 vcc, s33, v32
	s_and_saveexec_b64 s[4:5], vcc
	s_cbranch_execnz .LBB1213_140
.LBB1213_175:
	s_or_b64 exec, exec, s[4:5]
	v_cmp_gt_u32_e32 vcc, s33, v31
	s_and_saveexec_b64 s[4:5], vcc
	s_cbranch_execz .LBB1213_145
.LBB1213_176:
	v_cmp_ge_u32_e32 vcc, v31, v18
                                        ; implicit-def: $vgpr12_vgpr13
	s_and_saveexec_b64 s[6:7], vcc
	s_xor_b64 s[6:7], exec, s[6:7]
	s_cbranch_execz .LBB1213_178
; %bb.177:
	s_waitcnt lgkmcnt(5)
	v_xor_b32_e32 v10, 0xfffffcff, v0
	v_ashrrev_i32_e32 v13, 31, v10
	v_add_co_u32_e32 v12, vcc, v19, v10
	v_addc_co_u32_e32 v13, vcc, v20, v13, vcc
                                        ; implicit-def: $vgpr31
.LBB1213_178:
	s_andn2_saveexec_b64 s[6:7], s[6:7]
	s_cbranch_execz .LBB1213_180
; %bb.179:
	s_waitcnt lgkmcnt(6)
	v_add_co_u32_e32 v12, vcc, v1, v31
	v_addc_co_u32_e32 v13, vcc, 0, v16, vcc
.LBB1213_180:
	s_or_b64 exec, exec, s[6:7]
	s_waitcnt lgkmcnt(6)
	v_lshlrev_b64 v[12:13], 2, v[12:13]
	s_waitcnt lgkmcnt(5)
	v_mov_b32_e32 v10, s25
	v_add_co_u32_e32 v12, vcc, s24, v12
	v_addc_co_u32_e32 v13, vcc, v10, v13, vcc
	global_store_dword v[12:13], v11, off
	s_or_b64 exec, exec, s[4:5]
	v_cmp_gt_u32_e32 vcc, s33, v30
	s_and_saveexec_b64 s[4:5], vcc
	s_cbranch_execnz .LBB1213_146
.LBB1213_181:
	s_or_b64 exec, exec, s[4:5]
	v_cmp_gt_u32_e32 vcc, s33, v29
	s_and_saveexec_b64 s[4:5], vcc
	s_cbranch_execz .LBB1213_151
.LBB1213_182:
	v_cmp_ge_u32_e32 vcc, v29, v18
                                        ; implicit-def: $vgpr10_vgpr11
	s_and_saveexec_b64 s[6:7], vcc
	s_xor_b64 s[6:7], exec, s[6:7]
	s_cbranch_execz .LBB1213_184
; %bb.183:
	s_waitcnt lgkmcnt(4)
	v_xor_b32_e32 v8, 0xfffffaff, v0
	v_ashrrev_i32_e32 v11, 31, v8
	v_add_co_u32_e32 v10, vcc, v19, v8
	v_addc_co_u32_e32 v11, vcc, v20, v11, vcc
                                        ; implicit-def: $vgpr29
.LBB1213_184:
	s_andn2_saveexec_b64 s[6:7], s[6:7]
	s_cbranch_execz .LBB1213_186
; %bb.185:
	s_waitcnt lgkmcnt(5)
	v_add_co_u32_e32 v10, vcc, v1, v29
	v_addc_co_u32_e32 v11, vcc, 0, v16, vcc
.LBB1213_186:
	s_or_b64 exec, exec, s[6:7]
	s_waitcnt lgkmcnt(5)
	v_lshlrev_b64 v[10:11], 2, v[10:11]
	s_waitcnt lgkmcnt(4)
	v_mov_b32_e32 v8, s25
	v_add_co_u32_e32 v10, vcc, s24, v10
	v_addc_co_u32_e32 v11, vcc, v8, v11, vcc
	global_store_dword v[10:11], v9, off
	s_or_b64 exec, exec, s[4:5]
	v_cmp_gt_u32_e32 vcc, s33, v28
	s_and_saveexec_b64 s[4:5], vcc
	s_cbranch_execnz .LBB1213_152
.LBB1213_187:
	s_or_b64 exec, exec, s[4:5]
	v_cmp_gt_u32_e32 vcc, s33, v27
	s_and_saveexec_b64 s[4:5], vcc
	s_cbranch_execz .LBB1213_157
.LBB1213_188:
	v_cmp_ge_u32_e32 vcc, v27, v18
                                        ; implicit-def: $vgpr8_vgpr9
	s_and_saveexec_b64 s[6:7], vcc
	s_xor_b64 s[6:7], exec, s[6:7]
	s_cbranch_execz .LBB1213_190
; %bb.189:
	s_waitcnt lgkmcnt(3)
	v_xor_b32_e32 v6, 0xfffff8ff, v0
	v_ashrrev_i32_e32 v9, 31, v6
	v_add_co_u32_e32 v8, vcc, v19, v6
	v_addc_co_u32_e32 v9, vcc, v20, v9, vcc
                                        ; implicit-def: $vgpr27
.LBB1213_190:
	s_andn2_saveexec_b64 s[6:7], s[6:7]
	s_cbranch_execz .LBB1213_192
; %bb.191:
	s_waitcnt lgkmcnt(4)
	v_add_co_u32_e32 v8, vcc, v1, v27
	v_addc_co_u32_e32 v9, vcc, 0, v16, vcc
.LBB1213_192:
	s_or_b64 exec, exec, s[6:7]
	s_waitcnt lgkmcnt(4)
	v_lshlrev_b64 v[8:9], 2, v[8:9]
	s_waitcnt lgkmcnt(3)
	v_mov_b32_e32 v6, s25
	v_add_co_u32_e32 v8, vcc, s24, v8
	v_addc_co_u32_e32 v9, vcc, v6, v9, vcc
	global_store_dword v[8:9], v7, off
	s_or_b64 exec, exec, s[4:5]
	v_cmp_gt_u32_e32 vcc, s33, v26
	s_and_saveexec_b64 s[4:5], vcc
	s_cbranch_execnz .LBB1213_158
.LBB1213_193:
	s_or_b64 exec, exec, s[4:5]
	v_cmp_gt_u32_e32 vcc, s33, v25
	s_and_saveexec_b64 s[4:5], vcc
	s_cbranch_execz .LBB1213_163
.LBB1213_194:
	v_cmp_ge_u32_e32 vcc, v25, v18
                                        ; implicit-def: $vgpr6_vgpr7
	s_and_saveexec_b64 s[6:7], vcc
	s_xor_b64 s[6:7], exec, s[6:7]
	s_cbranch_execz .LBB1213_196
; %bb.195:
	s_waitcnt lgkmcnt(2)
	v_xor_b32_e32 v4, 0xfffff6ff, v0
	v_ashrrev_i32_e32 v7, 31, v4
	v_add_co_u32_e32 v6, vcc, v19, v4
	v_addc_co_u32_e32 v7, vcc, v20, v7, vcc
                                        ; implicit-def: $vgpr25
.LBB1213_196:
	s_andn2_saveexec_b64 s[6:7], s[6:7]
	s_cbranch_execz .LBB1213_198
; %bb.197:
	s_waitcnt lgkmcnt(3)
	v_add_co_u32_e32 v6, vcc, v1, v25
	v_addc_co_u32_e32 v7, vcc, 0, v16, vcc
.LBB1213_198:
	s_or_b64 exec, exec, s[6:7]
	s_waitcnt lgkmcnt(3)
	v_lshlrev_b64 v[6:7], 2, v[6:7]
	s_waitcnt lgkmcnt(2)
	v_mov_b32_e32 v4, s25
	v_add_co_u32_e32 v6, vcc, s24, v6
	v_addc_co_u32_e32 v7, vcc, v4, v7, vcc
	global_store_dword v[6:7], v5, off
	s_or_b64 exec, exec, s[4:5]
	v_cmp_gt_u32_e32 vcc, s33, v24
	s_and_saveexec_b64 s[4:5], vcc
	s_cbranch_execnz .LBB1213_164
.LBB1213_199:
	s_or_b64 exec, exec, s[4:5]
	v_cmp_gt_u32_e32 vcc, s33, v23
	s_and_saveexec_b64 s[4:5], vcc
	s_cbranch_execz .LBB1213_205
.LBB1213_200:
	v_cmp_ge_u32_e32 vcc, v23, v18
                                        ; implicit-def: $vgpr4_vgpr5
	s_and_saveexec_b64 s[6:7], vcc
	s_xor_b64 s[6:7], exec, s[6:7]
	s_cbranch_execz .LBB1213_202
; %bb.201:
	s_waitcnt lgkmcnt(1)
	v_xor_b32_e32 v2, 0xfffff4ff, v0
	v_ashrrev_i32_e32 v5, 31, v2
	v_add_co_u32_e32 v4, vcc, v19, v2
	v_addc_co_u32_e32 v5, vcc, v20, v5, vcc
                                        ; implicit-def: $vgpr23
.LBB1213_202:
	s_andn2_saveexec_b64 s[6:7], s[6:7]
	s_cbranch_execz .LBB1213_204
; %bb.203:
	s_waitcnt lgkmcnt(2)
	v_add_co_u32_e32 v4, vcc, v1, v23
	v_addc_co_u32_e32 v5, vcc, 0, v16, vcc
.LBB1213_204:
	s_or_b64 exec, exec, s[6:7]
	s_waitcnt lgkmcnt(2)
	v_lshlrev_b64 v[4:5], 2, v[4:5]
	s_waitcnt lgkmcnt(1)
	v_mov_b32_e32 v2, s25
	v_add_co_u32_e32 v4, vcc, s24, v4
	v_addc_co_u32_e32 v5, vcc, v2, v5, vcc
	global_store_dword v[4:5], v3, off
.LBB1213_205:
	s_or_b64 exec, exec, s[4:5]
	v_cmp_gt_u32_e32 vcc, s33, v22
                                        ; implicit-def: $vgpr14_vgpr15
	s_and_saveexec_b64 s[4:5], vcc
	s_cbranch_execz .LBB1213_211
; %bb.206:
	v_cmp_ge_u32_e32 vcc, v22, v18
                                        ; implicit-def: $vgpr14_vgpr15
	s_and_saveexec_b64 s[6:7], vcc
	s_xor_b64 s[6:7], exec, s[6:7]
	s_cbranch_execz .LBB1213_208
; %bb.207:
	v_xor_b32_e32 v0, 0xfffff3ff, v0
	s_waitcnt lgkmcnt(1)
	v_ashrrev_i32_e32 v2, 31, v0
	v_add_co_u32_e32 v14, vcc, v19, v0
	v_addc_co_u32_e32 v15, vcc, v20, v2, vcc
                                        ; implicit-def: $vgpr22
.LBB1213_208:
	s_andn2_saveexec_b64 s[6:7], s[6:7]
; %bb.209:
	v_add_co_u32_e32 v14, vcc, v1, v22
	v_addc_co_u32_e32 v15, vcc, 0, v16, vcc
; %bb.210:
	s_or_b64 exec, exec, s[6:7]
	s_or_b64 s[2:3], s[2:3], exec
.LBB1213_211:
	s_or_b64 exec, exec, s[4:5]
	s_and_saveexec_b64 s[4:5], s[2:3]
	s_cbranch_execnz .LBB1213_130
.LBB1213_212:
	s_or_b64 exec, exec, s[4:5]
	s_and_b64 s[0:1], s[0:1], s[22:23]
	s_and_saveexec_b64 s[2:3], s[0:1]
	s_cbranch_execz .LBB1213_131
.LBB1213_213:
	v_add_co_u32_e32 v0, vcc, v1, v18
	s_waitcnt lgkmcnt(1)
	v_mov_b32_e32 v2, 0
	v_addc_co_u32_e32 v1, vcc, 0, v16, vcc
	global_store_dwordx2 v2, v[0:1], s[20:21]
	s_endpgm
	.section	.rodata,"a",@progbits
	.p2align	6, 0x0
	.amdhsa_kernel _ZN7rocprim17ROCPRIM_400000_NS6detail17trampoline_kernelINS0_13select_configILj256ELj13ELNS0_17block_load_methodE3ELS4_3ELS4_3ELNS0_20block_scan_algorithmE0ELj4294967295EEENS1_25partition_config_selectorILNS1_17partition_subalgoE3EjNS0_10empty_typeEbEEZZNS1_14partition_implILS8_3ELb0ES6_jNS0_17counting_iteratorIjlEEPS9_SE_NS0_5tupleIJPjSE_EEENSF_IJSE_SE_EEES9_SG_JZNS1_25segmented_radix_sort_implINS0_14default_configELb0EPKdPdPKlPlN2at6native12_GLOBAL__N_18offset_tEEE10hipError_tPvRmT1_PNSt15iterator_traitsISY_E10value_typeET2_T3_PNSZ_IS14_E10value_typeET4_jRbjT5_S1A_jjP12ihipStream_tbEUljE_EEESV_SW_SX_S14_S18_S1A_T6_T7_T9_mT8_S1C_bDpT10_ENKUlT_T0_E_clISt17integral_constantIbLb0EES1O_IbLb1EEEEDaS1K_S1L_EUlS1K_E_NS1_11comp_targetILNS1_3genE4ELNS1_11target_archE910ELNS1_3gpuE8ELNS1_3repE0EEENS1_30default_config_static_selectorELNS0_4arch9wavefront6targetE1EEEvSY_
		.amdhsa_group_segment_fixed_size 13324
		.amdhsa_private_segment_fixed_size 0
		.amdhsa_kernarg_size 152
		.amdhsa_user_sgpr_count 6
		.amdhsa_user_sgpr_private_segment_buffer 1
		.amdhsa_user_sgpr_dispatch_ptr 0
		.amdhsa_user_sgpr_queue_ptr 0
		.amdhsa_user_sgpr_kernarg_segment_ptr 1
		.amdhsa_user_sgpr_dispatch_id 0
		.amdhsa_user_sgpr_flat_scratch_init 0
		.amdhsa_user_sgpr_kernarg_preload_length 0
		.amdhsa_user_sgpr_kernarg_preload_offset 0
		.amdhsa_user_sgpr_private_segment_size 0
		.amdhsa_uses_dynamic_stack 0
		.amdhsa_system_sgpr_private_segment_wavefront_offset 0
		.amdhsa_system_sgpr_workgroup_id_x 1
		.amdhsa_system_sgpr_workgroup_id_y 0
		.amdhsa_system_sgpr_workgroup_id_z 0
		.amdhsa_system_sgpr_workgroup_info 0
		.amdhsa_system_vgpr_workitem_id 0
		.amdhsa_next_free_vgpr 64
		.amdhsa_next_free_sgpr 44
		.amdhsa_accum_offset 64
		.amdhsa_reserve_vcc 1
		.amdhsa_reserve_flat_scratch 0
		.amdhsa_float_round_mode_32 0
		.amdhsa_float_round_mode_16_64 0
		.amdhsa_float_denorm_mode_32 3
		.amdhsa_float_denorm_mode_16_64 3
		.amdhsa_dx10_clamp 1
		.amdhsa_ieee_mode 1
		.amdhsa_fp16_overflow 0
		.amdhsa_tg_split 0
		.amdhsa_exception_fp_ieee_invalid_op 0
		.amdhsa_exception_fp_denorm_src 0
		.amdhsa_exception_fp_ieee_div_zero 0
		.amdhsa_exception_fp_ieee_overflow 0
		.amdhsa_exception_fp_ieee_underflow 0
		.amdhsa_exception_fp_ieee_inexact 0
		.amdhsa_exception_int_div_zero 0
	.end_amdhsa_kernel
	.section	.text._ZN7rocprim17ROCPRIM_400000_NS6detail17trampoline_kernelINS0_13select_configILj256ELj13ELNS0_17block_load_methodE3ELS4_3ELS4_3ELNS0_20block_scan_algorithmE0ELj4294967295EEENS1_25partition_config_selectorILNS1_17partition_subalgoE3EjNS0_10empty_typeEbEEZZNS1_14partition_implILS8_3ELb0ES6_jNS0_17counting_iteratorIjlEEPS9_SE_NS0_5tupleIJPjSE_EEENSF_IJSE_SE_EEES9_SG_JZNS1_25segmented_radix_sort_implINS0_14default_configELb0EPKdPdPKlPlN2at6native12_GLOBAL__N_18offset_tEEE10hipError_tPvRmT1_PNSt15iterator_traitsISY_E10value_typeET2_T3_PNSZ_IS14_E10value_typeET4_jRbjT5_S1A_jjP12ihipStream_tbEUljE_EEESV_SW_SX_S14_S18_S1A_T6_T7_T9_mT8_S1C_bDpT10_ENKUlT_T0_E_clISt17integral_constantIbLb0EES1O_IbLb1EEEEDaS1K_S1L_EUlS1K_E_NS1_11comp_targetILNS1_3genE4ELNS1_11target_archE910ELNS1_3gpuE8ELNS1_3repE0EEENS1_30default_config_static_selectorELNS0_4arch9wavefront6targetE1EEEvSY_,"axG",@progbits,_ZN7rocprim17ROCPRIM_400000_NS6detail17trampoline_kernelINS0_13select_configILj256ELj13ELNS0_17block_load_methodE3ELS4_3ELS4_3ELNS0_20block_scan_algorithmE0ELj4294967295EEENS1_25partition_config_selectorILNS1_17partition_subalgoE3EjNS0_10empty_typeEbEEZZNS1_14partition_implILS8_3ELb0ES6_jNS0_17counting_iteratorIjlEEPS9_SE_NS0_5tupleIJPjSE_EEENSF_IJSE_SE_EEES9_SG_JZNS1_25segmented_radix_sort_implINS0_14default_configELb0EPKdPdPKlPlN2at6native12_GLOBAL__N_18offset_tEEE10hipError_tPvRmT1_PNSt15iterator_traitsISY_E10value_typeET2_T3_PNSZ_IS14_E10value_typeET4_jRbjT5_S1A_jjP12ihipStream_tbEUljE_EEESV_SW_SX_S14_S18_S1A_T6_T7_T9_mT8_S1C_bDpT10_ENKUlT_T0_E_clISt17integral_constantIbLb0EES1O_IbLb1EEEEDaS1K_S1L_EUlS1K_E_NS1_11comp_targetILNS1_3genE4ELNS1_11target_archE910ELNS1_3gpuE8ELNS1_3repE0EEENS1_30default_config_static_selectorELNS0_4arch9wavefront6targetE1EEEvSY_,comdat
.Lfunc_end1213:
	.size	_ZN7rocprim17ROCPRIM_400000_NS6detail17trampoline_kernelINS0_13select_configILj256ELj13ELNS0_17block_load_methodE3ELS4_3ELS4_3ELNS0_20block_scan_algorithmE0ELj4294967295EEENS1_25partition_config_selectorILNS1_17partition_subalgoE3EjNS0_10empty_typeEbEEZZNS1_14partition_implILS8_3ELb0ES6_jNS0_17counting_iteratorIjlEEPS9_SE_NS0_5tupleIJPjSE_EEENSF_IJSE_SE_EEES9_SG_JZNS1_25segmented_radix_sort_implINS0_14default_configELb0EPKdPdPKlPlN2at6native12_GLOBAL__N_18offset_tEEE10hipError_tPvRmT1_PNSt15iterator_traitsISY_E10value_typeET2_T3_PNSZ_IS14_E10value_typeET4_jRbjT5_S1A_jjP12ihipStream_tbEUljE_EEESV_SW_SX_S14_S18_S1A_T6_T7_T9_mT8_S1C_bDpT10_ENKUlT_T0_E_clISt17integral_constantIbLb0EES1O_IbLb1EEEEDaS1K_S1L_EUlS1K_E_NS1_11comp_targetILNS1_3genE4ELNS1_11target_archE910ELNS1_3gpuE8ELNS1_3repE0EEENS1_30default_config_static_selectorELNS0_4arch9wavefront6targetE1EEEvSY_, .Lfunc_end1213-_ZN7rocprim17ROCPRIM_400000_NS6detail17trampoline_kernelINS0_13select_configILj256ELj13ELNS0_17block_load_methodE3ELS4_3ELS4_3ELNS0_20block_scan_algorithmE0ELj4294967295EEENS1_25partition_config_selectorILNS1_17partition_subalgoE3EjNS0_10empty_typeEbEEZZNS1_14partition_implILS8_3ELb0ES6_jNS0_17counting_iteratorIjlEEPS9_SE_NS0_5tupleIJPjSE_EEENSF_IJSE_SE_EEES9_SG_JZNS1_25segmented_radix_sort_implINS0_14default_configELb0EPKdPdPKlPlN2at6native12_GLOBAL__N_18offset_tEEE10hipError_tPvRmT1_PNSt15iterator_traitsISY_E10value_typeET2_T3_PNSZ_IS14_E10value_typeET4_jRbjT5_S1A_jjP12ihipStream_tbEUljE_EEESV_SW_SX_S14_S18_S1A_T6_T7_T9_mT8_S1C_bDpT10_ENKUlT_T0_E_clISt17integral_constantIbLb0EES1O_IbLb1EEEEDaS1K_S1L_EUlS1K_E_NS1_11comp_targetILNS1_3genE4ELNS1_11target_archE910ELNS1_3gpuE8ELNS1_3repE0EEENS1_30default_config_static_selectorELNS0_4arch9wavefront6targetE1EEEvSY_
                                        ; -- End function
	.section	.AMDGPU.csdata,"",@progbits
; Kernel info:
; codeLenInByte = 7816
; NumSgprs: 48
; NumVgprs: 64
; NumAgprs: 0
; TotalNumVgprs: 64
; ScratchSize: 0
; MemoryBound: 0
; FloatMode: 240
; IeeeMode: 1
; LDSByteSize: 13324 bytes/workgroup (compile time only)
; SGPRBlocks: 5
; VGPRBlocks: 7
; NumSGPRsForWavesPerEU: 48
; NumVGPRsForWavesPerEU: 64
; AccumOffset: 64
; Occupancy: 4
; WaveLimiterHint : 0
; COMPUTE_PGM_RSRC2:SCRATCH_EN: 0
; COMPUTE_PGM_RSRC2:USER_SGPR: 6
; COMPUTE_PGM_RSRC2:TRAP_HANDLER: 0
; COMPUTE_PGM_RSRC2:TGID_X_EN: 1
; COMPUTE_PGM_RSRC2:TGID_Y_EN: 0
; COMPUTE_PGM_RSRC2:TGID_Z_EN: 0
; COMPUTE_PGM_RSRC2:TIDIG_COMP_CNT: 0
; COMPUTE_PGM_RSRC3_GFX90A:ACCUM_OFFSET: 15
; COMPUTE_PGM_RSRC3_GFX90A:TG_SPLIT: 0
	.section	.text._ZN7rocprim17ROCPRIM_400000_NS6detail17trampoline_kernelINS0_13select_configILj256ELj13ELNS0_17block_load_methodE3ELS4_3ELS4_3ELNS0_20block_scan_algorithmE0ELj4294967295EEENS1_25partition_config_selectorILNS1_17partition_subalgoE3EjNS0_10empty_typeEbEEZZNS1_14partition_implILS8_3ELb0ES6_jNS0_17counting_iteratorIjlEEPS9_SE_NS0_5tupleIJPjSE_EEENSF_IJSE_SE_EEES9_SG_JZNS1_25segmented_radix_sort_implINS0_14default_configELb0EPKdPdPKlPlN2at6native12_GLOBAL__N_18offset_tEEE10hipError_tPvRmT1_PNSt15iterator_traitsISY_E10value_typeET2_T3_PNSZ_IS14_E10value_typeET4_jRbjT5_S1A_jjP12ihipStream_tbEUljE_EEESV_SW_SX_S14_S18_S1A_T6_T7_T9_mT8_S1C_bDpT10_ENKUlT_T0_E_clISt17integral_constantIbLb0EES1O_IbLb1EEEEDaS1K_S1L_EUlS1K_E_NS1_11comp_targetILNS1_3genE3ELNS1_11target_archE908ELNS1_3gpuE7ELNS1_3repE0EEENS1_30default_config_static_selectorELNS0_4arch9wavefront6targetE1EEEvSY_,"axG",@progbits,_ZN7rocprim17ROCPRIM_400000_NS6detail17trampoline_kernelINS0_13select_configILj256ELj13ELNS0_17block_load_methodE3ELS4_3ELS4_3ELNS0_20block_scan_algorithmE0ELj4294967295EEENS1_25partition_config_selectorILNS1_17partition_subalgoE3EjNS0_10empty_typeEbEEZZNS1_14partition_implILS8_3ELb0ES6_jNS0_17counting_iteratorIjlEEPS9_SE_NS0_5tupleIJPjSE_EEENSF_IJSE_SE_EEES9_SG_JZNS1_25segmented_radix_sort_implINS0_14default_configELb0EPKdPdPKlPlN2at6native12_GLOBAL__N_18offset_tEEE10hipError_tPvRmT1_PNSt15iterator_traitsISY_E10value_typeET2_T3_PNSZ_IS14_E10value_typeET4_jRbjT5_S1A_jjP12ihipStream_tbEUljE_EEESV_SW_SX_S14_S18_S1A_T6_T7_T9_mT8_S1C_bDpT10_ENKUlT_T0_E_clISt17integral_constantIbLb0EES1O_IbLb1EEEEDaS1K_S1L_EUlS1K_E_NS1_11comp_targetILNS1_3genE3ELNS1_11target_archE908ELNS1_3gpuE7ELNS1_3repE0EEENS1_30default_config_static_selectorELNS0_4arch9wavefront6targetE1EEEvSY_,comdat
	.globl	_ZN7rocprim17ROCPRIM_400000_NS6detail17trampoline_kernelINS0_13select_configILj256ELj13ELNS0_17block_load_methodE3ELS4_3ELS4_3ELNS0_20block_scan_algorithmE0ELj4294967295EEENS1_25partition_config_selectorILNS1_17partition_subalgoE3EjNS0_10empty_typeEbEEZZNS1_14partition_implILS8_3ELb0ES6_jNS0_17counting_iteratorIjlEEPS9_SE_NS0_5tupleIJPjSE_EEENSF_IJSE_SE_EEES9_SG_JZNS1_25segmented_radix_sort_implINS0_14default_configELb0EPKdPdPKlPlN2at6native12_GLOBAL__N_18offset_tEEE10hipError_tPvRmT1_PNSt15iterator_traitsISY_E10value_typeET2_T3_PNSZ_IS14_E10value_typeET4_jRbjT5_S1A_jjP12ihipStream_tbEUljE_EEESV_SW_SX_S14_S18_S1A_T6_T7_T9_mT8_S1C_bDpT10_ENKUlT_T0_E_clISt17integral_constantIbLb0EES1O_IbLb1EEEEDaS1K_S1L_EUlS1K_E_NS1_11comp_targetILNS1_3genE3ELNS1_11target_archE908ELNS1_3gpuE7ELNS1_3repE0EEENS1_30default_config_static_selectorELNS0_4arch9wavefront6targetE1EEEvSY_ ; -- Begin function _ZN7rocprim17ROCPRIM_400000_NS6detail17trampoline_kernelINS0_13select_configILj256ELj13ELNS0_17block_load_methodE3ELS4_3ELS4_3ELNS0_20block_scan_algorithmE0ELj4294967295EEENS1_25partition_config_selectorILNS1_17partition_subalgoE3EjNS0_10empty_typeEbEEZZNS1_14partition_implILS8_3ELb0ES6_jNS0_17counting_iteratorIjlEEPS9_SE_NS0_5tupleIJPjSE_EEENSF_IJSE_SE_EEES9_SG_JZNS1_25segmented_radix_sort_implINS0_14default_configELb0EPKdPdPKlPlN2at6native12_GLOBAL__N_18offset_tEEE10hipError_tPvRmT1_PNSt15iterator_traitsISY_E10value_typeET2_T3_PNSZ_IS14_E10value_typeET4_jRbjT5_S1A_jjP12ihipStream_tbEUljE_EEESV_SW_SX_S14_S18_S1A_T6_T7_T9_mT8_S1C_bDpT10_ENKUlT_T0_E_clISt17integral_constantIbLb0EES1O_IbLb1EEEEDaS1K_S1L_EUlS1K_E_NS1_11comp_targetILNS1_3genE3ELNS1_11target_archE908ELNS1_3gpuE7ELNS1_3repE0EEENS1_30default_config_static_selectorELNS0_4arch9wavefront6targetE1EEEvSY_
	.p2align	8
	.type	_ZN7rocprim17ROCPRIM_400000_NS6detail17trampoline_kernelINS0_13select_configILj256ELj13ELNS0_17block_load_methodE3ELS4_3ELS4_3ELNS0_20block_scan_algorithmE0ELj4294967295EEENS1_25partition_config_selectorILNS1_17partition_subalgoE3EjNS0_10empty_typeEbEEZZNS1_14partition_implILS8_3ELb0ES6_jNS0_17counting_iteratorIjlEEPS9_SE_NS0_5tupleIJPjSE_EEENSF_IJSE_SE_EEES9_SG_JZNS1_25segmented_radix_sort_implINS0_14default_configELb0EPKdPdPKlPlN2at6native12_GLOBAL__N_18offset_tEEE10hipError_tPvRmT1_PNSt15iterator_traitsISY_E10value_typeET2_T3_PNSZ_IS14_E10value_typeET4_jRbjT5_S1A_jjP12ihipStream_tbEUljE_EEESV_SW_SX_S14_S18_S1A_T6_T7_T9_mT8_S1C_bDpT10_ENKUlT_T0_E_clISt17integral_constantIbLb0EES1O_IbLb1EEEEDaS1K_S1L_EUlS1K_E_NS1_11comp_targetILNS1_3genE3ELNS1_11target_archE908ELNS1_3gpuE7ELNS1_3repE0EEENS1_30default_config_static_selectorELNS0_4arch9wavefront6targetE1EEEvSY_,@function
_ZN7rocprim17ROCPRIM_400000_NS6detail17trampoline_kernelINS0_13select_configILj256ELj13ELNS0_17block_load_methodE3ELS4_3ELS4_3ELNS0_20block_scan_algorithmE0ELj4294967295EEENS1_25partition_config_selectorILNS1_17partition_subalgoE3EjNS0_10empty_typeEbEEZZNS1_14partition_implILS8_3ELb0ES6_jNS0_17counting_iteratorIjlEEPS9_SE_NS0_5tupleIJPjSE_EEENSF_IJSE_SE_EEES9_SG_JZNS1_25segmented_radix_sort_implINS0_14default_configELb0EPKdPdPKlPlN2at6native12_GLOBAL__N_18offset_tEEE10hipError_tPvRmT1_PNSt15iterator_traitsISY_E10value_typeET2_T3_PNSZ_IS14_E10value_typeET4_jRbjT5_S1A_jjP12ihipStream_tbEUljE_EEESV_SW_SX_S14_S18_S1A_T6_T7_T9_mT8_S1C_bDpT10_ENKUlT_T0_E_clISt17integral_constantIbLb0EES1O_IbLb1EEEEDaS1K_S1L_EUlS1K_E_NS1_11comp_targetILNS1_3genE3ELNS1_11target_archE908ELNS1_3gpuE7ELNS1_3repE0EEENS1_30default_config_static_selectorELNS0_4arch9wavefront6targetE1EEEvSY_: ; @_ZN7rocprim17ROCPRIM_400000_NS6detail17trampoline_kernelINS0_13select_configILj256ELj13ELNS0_17block_load_methodE3ELS4_3ELS4_3ELNS0_20block_scan_algorithmE0ELj4294967295EEENS1_25partition_config_selectorILNS1_17partition_subalgoE3EjNS0_10empty_typeEbEEZZNS1_14partition_implILS8_3ELb0ES6_jNS0_17counting_iteratorIjlEEPS9_SE_NS0_5tupleIJPjSE_EEENSF_IJSE_SE_EEES9_SG_JZNS1_25segmented_radix_sort_implINS0_14default_configELb0EPKdPdPKlPlN2at6native12_GLOBAL__N_18offset_tEEE10hipError_tPvRmT1_PNSt15iterator_traitsISY_E10value_typeET2_T3_PNSZ_IS14_E10value_typeET4_jRbjT5_S1A_jjP12ihipStream_tbEUljE_EEESV_SW_SX_S14_S18_S1A_T6_T7_T9_mT8_S1C_bDpT10_ENKUlT_T0_E_clISt17integral_constantIbLb0EES1O_IbLb1EEEEDaS1K_S1L_EUlS1K_E_NS1_11comp_targetILNS1_3genE3ELNS1_11target_archE908ELNS1_3gpuE7ELNS1_3repE0EEENS1_30default_config_static_selectorELNS0_4arch9wavefront6targetE1EEEvSY_
; %bb.0:
	.section	.rodata,"a",@progbits
	.p2align	6, 0x0
	.amdhsa_kernel _ZN7rocprim17ROCPRIM_400000_NS6detail17trampoline_kernelINS0_13select_configILj256ELj13ELNS0_17block_load_methodE3ELS4_3ELS4_3ELNS0_20block_scan_algorithmE0ELj4294967295EEENS1_25partition_config_selectorILNS1_17partition_subalgoE3EjNS0_10empty_typeEbEEZZNS1_14partition_implILS8_3ELb0ES6_jNS0_17counting_iteratorIjlEEPS9_SE_NS0_5tupleIJPjSE_EEENSF_IJSE_SE_EEES9_SG_JZNS1_25segmented_radix_sort_implINS0_14default_configELb0EPKdPdPKlPlN2at6native12_GLOBAL__N_18offset_tEEE10hipError_tPvRmT1_PNSt15iterator_traitsISY_E10value_typeET2_T3_PNSZ_IS14_E10value_typeET4_jRbjT5_S1A_jjP12ihipStream_tbEUljE_EEESV_SW_SX_S14_S18_S1A_T6_T7_T9_mT8_S1C_bDpT10_ENKUlT_T0_E_clISt17integral_constantIbLb0EES1O_IbLb1EEEEDaS1K_S1L_EUlS1K_E_NS1_11comp_targetILNS1_3genE3ELNS1_11target_archE908ELNS1_3gpuE7ELNS1_3repE0EEENS1_30default_config_static_selectorELNS0_4arch9wavefront6targetE1EEEvSY_
		.amdhsa_group_segment_fixed_size 0
		.amdhsa_private_segment_fixed_size 0
		.amdhsa_kernarg_size 152
		.amdhsa_user_sgpr_count 6
		.amdhsa_user_sgpr_private_segment_buffer 1
		.amdhsa_user_sgpr_dispatch_ptr 0
		.amdhsa_user_sgpr_queue_ptr 0
		.amdhsa_user_sgpr_kernarg_segment_ptr 1
		.amdhsa_user_sgpr_dispatch_id 0
		.amdhsa_user_sgpr_flat_scratch_init 0
		.amdhsa_user_sgpr_kernarg_preload_length 0
		.amdhsa_user_sgpr_kernarg_preload_offset 0
		.amdhsa_user_sgpr_private_segment_size 0
		.amdhsa_uses_dynamic_stack 0
		.amdhsa_system_sgpr_private_segment_wavefront_offset 0
		.amdhsa_system_sgpr_workgroup_id_x 1
		.amdhsa_system_sgpr_workgroup_id_y 0
		.amdhsa_system_sgpr_workgroup_id_z 0
		.amdhsa_system_sgpr_workgroup_info 0
		.amdhsa_system_vgpr_workitem_id 0
		.amdhsa_next_free_vgpr 1
		.amdhsa_next_free_sgpr 0
		.amdhsa_accum_offset 4
		.amdhsa_reserve_vcc 0
		.amdhsa_reserve_flat_scratch 0
		.amdhsa_float_round_mode_32 0
		.amdhsa_float_round_mode_16_64 0
		.amdhsa_float_denorm_mode_32 3
		.amdhsa_float_denorm_mode_16_64 3
		.amdhsa_dx10_clamp 1
		.amdhsa_ieee_mode 1
		.amdhsa_fp16_overflow 0
		.amdhsa_tg_split 0
		.amdhsa_exception_fp_ieee_invalid_op 0
		.amdhsa_exception_fp_denorm_src 0
		.amdhsa_exception_fp_ieee_div_zero 0
		.amdhsa_exception_fp_ieee_overflow 0
		.amdhsa_exception_fp_ieee_underflow 0
		.amdhsa_exception_fp_ieee_inexact 0
		.amdhsa_exception_int_div_zero 0
	.end_amdhsa_kernel
	.section	.text._ZN7rocprim17ROCPRIM_400000_NS6detail17trampoline_kernelINS0_13select_configILj256ELj13ELNS0_17block_load_methodE3ELS4_3ELS4_3ELNS0_20block_scan_algorithmE0ELj4294967295EEENS1_25partition_config_selectorILNS1_17partition_subalgoE3EjNS0_10empty_typeEbEEZZNS1_14partition_implILS8_3ELb0ES6_jNS0_17counting_iteratorIjlEEPS9_SE_NS0_5tupleIJPjSE_EEENSF_IJSE_SE_EEES9_SG_JZNS1_25segmented_radix_sort_implINS0_14default_configELb0EPKdPdPKlPlN2at6native12_GLOBAL__N_18offset_tEEE10hipError_tPvRmT1_PNSt15iterator_traitsISY_E10value_typeET2_T3_PNSZ_IS14_E10value_typeET4_jRbjT5_S1A_jjP12ihipStream_tbEUljE_EEESV_SW_SX_S14_S18_S1A_T6_T7_T9_mT8_S1C_bDpT10_ENKUlT_T0_E_clISt17integral_constantIbLb0EES1O_IbLb1EEEEDaS1K_S1L_EUlS1K_E_NS1_11comp_targetILNS1_3genE3ELNS1_11target_archE908ELNS1_3gpuE7ELNS1_3repE0EEENS1_30default_config_static_selectorELNS0_4arch9wavefront6targetE1EEEvSY_,"axG",@progbits,_ZN7rocprim17ROCPRIM_400000_NS6detail17trampoline_kernelINS0_13select_configILj256ELj13ELNS0_17block_load_methodE3ELS4_3ELS4_3ELNS0_20block_scan_algorithmE0ELj4294967295EEENS1_25partition_config_selectorILNS1_17partition_subalgoE3EjNS0_10empty_typeEbEEZZNS1_14partition_implILS8_3ELb0ES6_jNS0_17counting_iteratorIjlEEPS9_SE_NS0_5tupleIJPjSE_EEENSF_IJSE_SE_EEES9_SG_JZNS1_25segmented_radix_sort_implINS0_14default_configELb0EPKdPdPKlPlN2at6native12_GLOBAL__N_18offset_tEEE10hipError_tPvRmT1_PNSt15iterator_traitsISY_E10value_typeET2_T3_PNSZ_IS14_E10value_typeET4_jRbjT5_S1A_jjP12ihipStream_tbEUljE_EEESV_SW_SX_S14_S18_S1A_T6_T7_T9_mT8_S1C_bDpT10_ENKUlT_T0_E_clISt17integral_constantIbLb0EES1O_IbLb1EEEEDaS1K_S1L_EUlS1K_E_NS1_11comp_targetILNS1_3genE3ELNS1_11target_archE908ELNS1_3gpuE7ELNS1_3repE0EEENS1_30default_config_static_selectorELNS0_4arch9wavefront6targetE1EEEvSY_,comdat
.Lfunc_end1214:
	.size	_ZN7rocprim17ROCPRIM_400000_NS6detail17trampoline_kernelINS0_13select_configILj256ELj13ELNS0_17block_load_methodE3ELS4_3ELS4_3ELNS0_20block_scan_algorithmE0ELj4294967295EEENS1_25partition_config_selectorILNS1_17partition_subalgoE3EjNS0_10empty_typeEbEEZZNS1_14partition_implILS8_3ELb0ES6_jNS0_17counting_iteratorIjlEEPS9_SE_NS0_5tupleIJPjSE_EEENSF_IJSE_SE_EEES9_SG_JZNS1_25segmented_radix_sort_implINS0_14default_configELb0EPKdPdPKlPlN2at6native12_GLOBAL__N_18offset_tEEE10hipError_tPvRmT1_PNSt15iterator_traitsISY_E10value_typeET2_T3_PNSZ_IS14_E10value_typeET4_jRbjT5_S1A_jjP12ihipStream_tbEUljE_EEESV_SW_SX_S14_S18_S1A_T6_T7_T9_mT8_S1C_bDpT10_ENKUlT_T0_E_clISt17integral_constantIbLb0EES1O_IbLb1EEEEDaS1K_S1L_EUlS1K_E_NS1_11comp_targetILNS1_3genE3ELNS1_11target_archE908ELNS1_3gpuE7ELNS1_3repE0EEENS1_30default_config_static_selectorELNS0_4arch9wavefront6targetE1EEEvSY_, .Lfunc_end1214-_ZN7rocprim17ROCPRIM_400000_NS6detail17trampoline_kernelINS0_13select_configILj256ELj13ELNS0_17block_load_methodE3ELS4_3ELS4_3ELNS0_20block_scan_algorithmE0ELj4294967295EEENS1_25partition_config_selectorILNS1_17partition_subalgoE3EjNS0_10empty_typeEbEEZZNS1_14partition_implILS8_3ELb0ES6_jNS0_17counting_iteratorIjlEEPS9_SE_NS0_5tupleIJPjSE_EEENSF_IJSE_SE_EEES9_SG_JZNS1_25segmented_radix_sort_implINS0_14default_configELb0EPKdPdPKlPlN2at6native12_GLOBAL__N_18offset_tEEE10hipError_tPvRmT1_PNSt15iterator_traitsISY_E10value_typeET2_T3_PNSZ_IS14_E10value_typeET4_jRbjT5_S1A_jjP12ihipStream_tbEUljE_EEESV_SW_SX_S14_S18_S1A_T6_T7_T9_mT8_S1C_bDpT10_ENKUlT_T0_E_clISt17integral_constantIbLb0EES1O_IbLb1EEEEDaS1K_S1L_EUlS1K_E_NS1_11comp_targetILNS1_3genE3ELNS1_11target_archE908ELNS1_3gpuE7ELNS1_3repE0EEENS1_30default_config_static_selectorELNS0_4arch9wavefront6targetE1EEEvSY_
                                        ; -- End function
	.section	.AMDGPU.csdata,"",@progbits
; Kernel info:
; codeLenInByte = 0
; NumSgprs: 4
; NumVgprs: 0
; NumAgprs: 0
; TotalNumVgprs: 0
; ScratchSize: 0
; MemoryBound: 0
; FloatMode: 240
; IeeeMode: 1
; LDSByteSize: 0 bytes/workgroup (compile time only)
; SGPRBlocks: 0
; VGPRBlocks: 0
; NumSGPRsForWavesPerEU: 4
; NumVGPRsForWavesPerEU: 1
; AccumOffset: 4
; Occupancy: 8
; WaveLimiterHint : 0
; COMPUTE_PGM_RSRC2:SCRATCH_EN: 0
; COMPUTE_PGM_RSRC2:USER_SGPR: 6
; COMPUTE_PGM_RSRC2:TRAP_HANDLER: 0
; COMPUTE_PGM_RSRC2:TGID_X_EN: 1
; COMPUTE_PGM_RSRC2:TGID_Y_EN: 0
; COMPUTE_PGM_RSRC2:TGID_Z_EN: 0
; COMPUTE_PGM_RSRC2:TIDIG_COMP_CNT: 0
; COMPUTE_PGM_RSRC3_GFX90A:ACCUM_OFFSET: 0
; COMPUTE_PGM_RSRC3_GFX90A:TG_SPLIT: 0
	.section	.text._ZN7rocprim17ROCPRIM_400000_NS6detail17trampoline_kernelINS0_13select_configILj256ELj13ELNS0_17block_load_methodE3ELS4_3ELS4_3ELNS0_20block_scan_algorithmE0ELj4294967295EEENS1_25partition_config_selectorILNS1_17partition_subalgoE3EjNS0_10empty_typeEbEEZZNS1_14partition_implILS8_3ELb0ES6_jNS0_17counting_iteratorIjlEEPS9_SE_NS0_5tupleIJPjSE_EEENSF_IJSE_SE_EEES9_SG_JZNS1_25segmented_radix_sort_implINS0_14default_configELb0EPKdPdPKlPlN2at6native12_GLOBAL__N_18offset_tEEE10hipError_tPvRmT1_PNSt15iterator_traitsISY_E10value_typeET2_T3_PNSZ_IS14_E10value_typeET4_jRbjT5_S1A_jjP12ihipStream_tbEUljE_EEESV_SW_SX_S14_S18_S1A_T6_T7_T9_mT8_S1C_bDpT10_ENKUlT_T0_E_clISt17integral_constantIbLb0EES1O_IbLb1EEEEDaS1K_S1L_EUlS1K_E_NS1_11comp_targetILNS1_3genE2ELNS1_11target_archE906ELNS1_3gpuE6ELNS1_3repE0EEENS1_30default_config_static_selectorELNS0_4arch9wavefront6targetE1EEEvSY_,"axG",@progbits,_ZN7rocprim17ROCPRIM_400000_NS6detail17trampoline_kernelINS0_13select_configILj256ELj13ELNS0_17block_load_methodE3ELS4_3ELS4_3ELNS0_20block_scan_algorithmE0ELj4294967295EEENS1_25partition_config_selectorILNS1_17partition_subalgoE3EjNS0_10empty_typeEbEEZZNS1_14partition_implILS8_3ELb0ES6_jNS0_17counting_iteratorIjlEEPS9_SE_NS0_5tupleIJPjSE_EEENSF_IJSE_SE_EEES9_SG_JZNS1_25segmented_radix_sort_implINS0_14default_configELb0EPKdPdPKlPlN2at6native12_GLOBAL__N_18offset_tEEE10hipError_tPvRmT1_PNSt15iterator_traitsISY_E10value_typeET2_T3_PNSZ_IS14_E10value_typeET4_jRbjT5_S1A_jjP12ihipStream_tbEUljE_EEESV_SW_SX_S14_S18_S1A_T6_T7_T9_mT8_S1C_bDpT10_ENKUlT_T0_E_clISt17integral_constantIbLb0EES1O_IbLb1EEEEDaS1K_S1L_EUlS1K_E_NS1_11comp_targetILNS1_3genE2ELNS1_11target_archE906ELNS1_3gpuE6ELNS1_3repE0EEENS1_30default_config_static_selectorELNS0_4arch9wavefront6targetE1EEEvSY_,comdat
	.globl	_ZN7rocprim17ROCPRIM_400000_NS6detail17trampoline_kernelINS0_13select_configILj256ELj13ELNS0_17block_load_methodE3ELS4_3ELS4_3ELNS0_20block_scan_algorithmE0ELj4294967295EEENS1_25partition_config_selectorILNS1_17partition_subalgoE3EjNS0_10empty_typeEbEEZZNS1_14partition_implILS8_3ELb0ES6_jNS0_17counting_iteratorIjlEEPS9_SE_NS0_5tupleIJPjSE_EEENSF_IJSE_SE_EEES9_SG_JZNS1_25segmented_radix_sort_implINS0_14default_configELb0EPKdPdPKlPlN2at6native12_GLOBAL__N_18offset_tEEE10hipError_tPvRmT1_PNSt15iterator_traitsISY_E10value_typeET2_T3_PNSZ_IS14_E10value_typeET4_jRbjT5_S1A_jjP12ihipStream_tbEUljE_EEESV_SW_SX_S14_S18_S1A_T6_T7_T9_mT8_S1C_bDpT10_ENKUlT_T0_E_clISt17integral_constantIbLb0EES1O_IbLb1EEEEDaS1K_S1L_EUlS1K_E_NS1_11comp_targetILNS1_3genE2ELNS1_11target_archE906ELNS1_3gpuE6ELNS1_3repE0EEENS1_30default_config_static_selectorELNS0_4arch9wavefront6targetE1EEEvSY_ ; -- Begin function _ZN7rocprim17ROCPRIM_400000_NS6detail17trampoline_kernelINS0_13select_configILj256ELj13ELNS0_17block_load_methodE3ELS4_3ELS4_3ELNS0_20block_scan_algorithmE0ELj4294967295EEENS1_25partition_config_selectorILNS1_17partition_subalgoE3EjNS0_10empty_typeEbEEZZNS1_14partition_implILS8_3ELb0ES6_jNS0_17counting_iteratorIjlEEPS9_SE_NS0_5tupleIJPjSE_EEENSF_IJSE_SE_EEES9_SG_JZNS1_25segmented_radix_sort_implINS0_14default_configELb0EPKdPdPKlPlN2at6native12_GLOBAL__N_18offset_tEEE10hipError_tPvRmT1_PNSt15iterator_traitsISY_E10value_typeET2_T3_PNSZ_IS14_E10value_typeET4_jRbjT5_S1A_jjP12ihipStream_tbEUljE_EEESV_SW_SX_S14_S18_S1A_T6_T7_T9_mT8_S1C_bDpT10_ENKUlT_T0_E_clISt17integral_constantIbLb0EES1O_IbLb1EEEEDaS1K_S1L_EUlS1K_E_NS1_11comp_targetILNS1_3genE2ELNS1_11target_archE906ELNS1_3gpuE6ELNS1_3repE0EEENS1_30default_config_static_selectorELNS0_4arch9wavefront6targetE1EEEvSY_
	.p2align	8
	.type	_ZN7rocprim17ROCPRIM_400000_NS6detail17trampoline_kernelINS0_13select_configILj256ELj13ELNS0_17block_load_methodE3ELS4_3ELS4_3ELNS0_20block_scan_algorithmE0ELj4294967295EEENS1_25partition_config_selectorILNS1_17partition_subalgoE3EjNS0_10empty_typeEbEEZZNS1_14partition_implILS8_3ELb0ES6_jNS0_17counting_iteratorIjlEEPS9_SE_NS0_5tupleIJPjSE_EEENSF_IJSE_SE_EEES9_SG_JZNS1_25segmented_radix_sort_implINS0_14default_configELb0EPKdPdPKlPlN2at6native12_GLOBAL__N_18offset_tEEE10hipError_tPvRmT1_PNSt15iterator_traitsISY_E10value_typeET2_T3_PNSZ_IS14_E10value_typeET4_jRbjT5_S1A_jjP12ihipStream_tbEUljE_EEESV_SW_SX_S14_S18_S1A_T6_T7_T9_mT8_S1C_bDpT10_ENKUlT_T0_E_clISt17integral_constantIbLb0EES1O_IbLb1EEEEDaS1K_S1L_EUlS1K_E_NS1_11comp_targetILNS1_3genE2ELNS1_11target_archE906ELNS1_3gpuE6ELNS1_3repE0EEENS1_30default_config_static_selectorELNS0_4arch9wavefront6targetE1EEEvSY_,@function
_ZN7rocprim17ROCPRIM_400000_NS6detail17trampoline_kernelINS0_13select_configILj256ELj13ELNS0_17block_load_methodE3ELS4_3ELS4_3ELNS0_20block_scan_algorithmE0ELj4294967295EEENS1_25partition_config_selectorILNS1_17partition_subalgoE3EjNS0_10empty_typeEbEEZZNS1_14partition_implILS8_3ELb0ES6_jNS0_17counting_iteratorIjlEEPS9_SE_NS0_5tupleIJPjSE_EEENSF_IJSE_SE_EEES9_SG_JZNS1_25segmented_radix_sort_implINS0_14default_configELb0EPKdPdPKlPlN2at6native12_GLOBAL__N_18offset_tEEE10hipError_tPvRmT1_PNSt15iterator_traitsISY_E10value_typeET2_T3_PNSZ_IS14_E10value_typeET4_jRbjT5_S1A_jjP12ihipStream_tbEUljE_EEESV_SW_SX_S14_S18_S1A_T6_T7_T9_mT8_S1C_bDpT10_ENKUlT_T0_E_clISt17integral_constantIbLb0EES1O_IbLb1EEEEDaS1K_S1L_EUlS1K_E_NS1_11comp_targetILNS1_3genE2ELNS1_11target_archE906ELNS1_3gpuE6ELNS1_3repE0EEENS1_30default_config_static_selectorELNS0_4arch9wavefront6targetE1EEEvSY_: ; @_ZN7rocprim17ROCPRIM_400000_NS6detail17trampoline_kernelINS0_13select_configILj256ELj13ELNS0_17block_load_methodE3ELS4_3ELS4_3ELNS0_20block_scan_algorithmE0ELj4294967295EEENS1_25partition_config_selectorILNS1_17partition_subalgoE3EjNS0_10empty_typeEbEEZZNS1_14partition_implILS8_3ELb0ES6_jNS0_17counting_iteratorIjlEEPS9_SE_NS0_5tupleIJPjSE_EEENSF_IJSE_SE_EEES9_SG_JZNS1_25segmented_radix_sort_implINS0_14default_configELb0EPKdPdPKlPlN2at6native12_GLOBAL__N_18offset_tEEE10hipError_tPvRmT1_PNSt15iterator_traitsISY_E10value_typeET2_T3_PNSZ_IS14_E10value_typeET4_jRbjT5_S1A_jjP12ihipStream_tbEUljE_EEESV_SW_SX_S14_S18_S1A_T6_T7_T9_mT8_S1C_bDpT10_ENKUlT_T0_E_clISt17integral_constantIbLb0EES1O_IbLb1EEEEDaS1K_S1L_EUlS1K_E_NS1_11comp_targetILNS1_3genE2ELNS1_11target_archE906ELNS1_3gpuE6ELNS1_3repE0EEENS1_30default_config_static_selectorELNS0_4arch9wavefront6targetE1EEEvSY_
; %bb.0:
	.section	.rodata,"a",@progbits
	.p2align	6, 0x0
	.amdhsa_kernel _ZN7rocprim17ROCPRIM_400000_NS6detail17trampoline_kernelINS0_13select_configILj256ELj13ELNS0_17block_load_methodE3ELS4_3ELS4_3ELNS0_20block_scan_algorithmE0ELj4294967295EEENS1_25partition_config_selectorILNS1_17partition_subalgoE3EjNS0_10empty_typeEbEEZZNS1_14partition_implILS8_3ELb0ES6_jNS0_17counting_iteratorIjlEEPS9_SE_NS0_5tupleIJPjSE_EEENSF_IJSE_SE_EEES9_SG_JZNS1_25segmented_radix_sort_implINS0_14default_configELb0EPKdPdPKlPlN2at6native12_GLOBAL__N_18offset_tEEE10hipError_tPvRmT1_PNSt15iterator_traitsISY_E10value_typeET2_T3_PNSZ_IS14_E10value_typeET4_jRbjT5_S1A_jjP12ihipStream_tbEUljE_EEESV_SW_SX_S14_S18_S1A_T6_T7_T9_mT8_S1C_bDpT10_ENKUlT_T0_E_clISt17integral_constantIbLb0EES1O_IbLb1EEEEDaS1K_S1L_EUlS1K_E_NS1_11comp_targetILNS1_3genE2ELNS1_11target_archE906ELNS1_3gpuE6ELNS1_3repE0EEENS1_30default_config_static_selectorELNS0_4arch9wavefront6targetE1EEEvSY_
		.amdhsa_group_segment_fixed_size 0
		.amdhsa_private_segment_fixed_size 0
		.amdhsa_kernarg_size 152
		.amdhsa_user_sgpr_count 6
		.amdhsa_user_sgpr_private_segment_buffer 1
		.amdhsa_user_sgpr_dispatch_ptr 0
		.amdhsa_user_sgpr_queue_ptr 0
		.amdhsa_user_sgpr_kernarg_segment_ptr 1
		.amdhsa_user_sgpr_dispatch_id 0
		.amdhsa_user_sgpr_flat_scratch_init 0
		.amdhsa_user_sgpr_kernarg_preload_length 0
		.amdhsa_user_sgpr_kernarg_preload_offset 0
		.amdhsa_user_sgpr_private_segment_size 0
		.amdhsa_uses_dynamic_stack 0
		.amdhsa_system_sgpr_private_segment_wavefront_offset 0
		.amdhsa_system_sgpr_workgroup_id_x 1
		.amdhsa_system_sgpr_workgroup_id_y 0
		.amdhsa_system_sgpr_workgroup_id_z 0
		.amdhsa_system_sgpr_workgroup_info 0
		.amdhsa_system_vgpr_workitem_id 0
		.amdhsa_next_free_vgpr 1
		.amdhsa_next_free_sgpr 0
		.amdhsa_accum_offset 4
		.amdhsa_reserve_vcc 0
		.amdhsa_reserve_flat_scratch 0
		.amdhsa_float_round_mode_32 0
		.amdhsa_float_round_mode_16_64 0
		.amdhsa_float_denorm_mode_32 3
		.amdhsa_float_denorm_mode_16_64 3
		.amdhsa_dx10_clamp 1
		.amdhsa_ieee_mode 1
		.amdhsa_fp16_overflow 0
		.amdhsa_tg_split 0
		.amdhsa_exception_fp_ieee_invalid_op 0
		.amdhsa_exception_fp_denorm_src 0
		.amdhsa_exception_fp_ieee_div_zero 0
		.amdhsa_exception_fp_ieee_overflow 0
		.amdhsa_exception_fp_ieee_underflow 0
		.amdhsa_exception_fp_ieee_inexact 0
		.amdhsa_exception_int_div_zero 0
	.end_amdhsa_kernel
	.section	.text._ZN7rocprim17ROCPRIM_400000_NS6detail17trampoline_kernelINS0_13select_configILj256ELj13ELNS0_17block_load_methodE3ELS4_3ELS4_3ELNS0_20block_scan_algorithmE0ELj4294967295EEENS1_25partition_config_selectorILNS1_17partition_subalgoE3EjNS0_10empty_typeEbEEZZNS1_14partition_implILS8_3ELb0ES6_jNS0_17counting_iteratorIjlEEPS9_SE_NS0_5tupleIJPjSE_EEENSF_IJSE_SE_EEES9_SG_JZNS1_25segmented_radix_sort_implINS0_14default_configELb0EPKdPdPKlPlN2at6native12_GLOBAL__N_18offset_tEEE10hipError_tPvRmT1_PNSt15iterator_traitsISY_E10value_typeET2_T3_PNSZ_IS14_E10value_typeET4_jRbjT5_S1A_jjP12ihipStream_tbEUljE_EEESV_SW_SX_S14_S18_S1A_T6_T7_T9_mT8_S1C_bDpT10_ENKUlT_T0_E_clISt17integral_constantIbLb0EES1O_IbLb1EEEEDaS1K_S1L_EUlS1K_E_NS1_11comp_targetILNS1_3genE2ELNS1_11target_archE906ELNS1_3gpuE6ELNS1_3repE0EEENS1_30default_config_static_selectorELNS0_4arch9wavefront6targetE1EEEvSY_,"axG",@progbits,_ZN7rocprim17ROCPRIM_400000_NS6detail17trampoline_kernelINS0_13select_configILj256ELj13ELNS0_17block_load_methodE3ELS4_3ELS4_3ELNS0_20block_scan_algorithmE0ELj4294967295EEENS1_25partition_config_selectorILNS1_17partition_subalgoE3EjNS0_10empty_typeEbEEZZNS1_14partition_implILS8_3ELb0ES6_jNS0_17counting_iteratorIjlEEPS9_SE_NS0_5tupleIJPjSE_EEENSF_IJSE_SE_EEES9_SG_JZNS1_25segmented_radix_sort_implINS0_14default_configELb0EPKdPdPKlPlN2at6native12_GLOBAL__N_18offset_tEEE10hipError_tPvRmT1_PNSt15iterator_traitsISY_E10value_typeET2_T3_PNSZ_IS14_E10value_typeET4_jRbjT5_S1A_jjP12ihipStream_tbEUljE_EEESV_SW_SX_S14_S18_S1A_T6_T7_T9_mT8_S1C_bDpT10_ENKUlT_T0_E_clISt17integral_constantIbLb0EES1O_IbLb1EEEEDaS1K_S1L_EUlS1K_E_NS1_11comp_targetILNS1_3genE2ELNS1_11target_archE906ELNS1_3gpuE6ELNS1_3repE0EEENS1_30default_config_static_selectorELNS0_4arch9wavefront6targetE1EEEvSY_,comdat
.Lfunc_end1215:
	.size	_ZN7rocprim17ROCPRIM_400000_NS6detail17trampoline_kernelINS0_13select_configILj256ELj13ELNS0_17block_load_methodE3ELS4_3ELS4_3ELNS0_20block_scan_algorithmE0ELj4294967295EEENS1_25partition_config_selectorILNS1_17partition_subalgoE3EjNS0_10empty_typeEbEEZZNS1_14partition_implILS8_3ELb0ES6_jNS0_17counting_iteratorIjlEEPS9_SE_NS0_5tupleIJPjSE_EEENSF_IJSE_SE_EEES9_SG_JZNS1_25segmented_radix_sort_implINS0_14default_configELb0EPKdPdPKlPlN2at6native12_GLOBAL__N_18offset_tEEE10hipError_tPvRmT1_PNSt15iterator_traitsISY_E10value_typeET2_T3_PNSZ_IS14_E10value_typeET4_jRbjT5_S1A_jjP12ihipStream_tbEUljE_EEESV_SW_SX_S14_S18_S1A_T6_T7_T9_mT8_S1C_bDpT10_ENKUlT_T0_E_clISt17integral_constantIbLb0EES1O_IbLb1EEEEDaS1K_S1L_EUlS1K_E_NS1_11comp_targetILNS1_3genE2ELNS1_11target_archE906ELNS1_3gpuE6ELNS1_3repE0EEENS1_30default_config_static_selectorELNS0_4arch9wavefront6targetE1EEEvSY_, .Lfunc_end1215-_ZN7rocprim17ROCPRIM_400000_NS6detail17trampoline_kernelINS0_13select_configILj256ELj13ELNS0_17block_load_methodE3ELS4_3ELS4_3ELNS0_20block_scan_algorithmE0ELj4294967295EEENS1_25partition_config_selectorILNS1_17partition_subalgoE3EjNS0_10empty_typeEbEEZZNS1_14partition_implILS8_3ELb0ES6_jNS0_17counting_iteratorIjlEEPS9_SE_NS0_5tupleIJPjSE_EEENSF_IJSE_SE_EEES9_SG_JZNS1_25segmented_radix_sort_implINS0_14default_configELb0EPKdPdPKlPlN2at6native12_GLOBAL__N_18offset_tEEE10hipError_tPvRmT1_PNSt15iterator_traitsISY_E10value_typeET2_T3_PNSZ_IS14_E10value_typeET4_jRbjT5_S1A_jjP12ihipStream_tbEUljE_EEESV_SW_SX_S14_S18_S1A_T6_T7_T9_mT8_S1C_bDpT10_ENKUlT_T0_E_clISt17integral_constantIbLb0EES1O_IbLb1EEEEDaS1K_S1L_EUlS1K_E_NS1_11comp_targetILNS1_3genE2ELNS1_11target_archE906ELNS1_3gpuE6ELNS1_3repE0EEENS1_30default_config_static_selectorELNS0_4arch9wavefront6targetE1EEEvSY_
                                        ; -- End function
	.section	.AMDGPU.csdata,"",@progbits
; Kernel info:
; codeLenInByte = 0
; NumSgprs: 4
; NumVgprs: 0
; NumAgprs: 0
; TotalNumVgprs: 0
; ScratchSize: 0
; MemoryBound: 0
; FloatMode: 240
; IeeeMode: 1
; LDSByteSize: 0 bytes/workgroup (compile time only)
; SGPRBlocks: 0
; VGPRBlocks: 0
; NumSGPRsForWavesPerEU: 4
; NumVGPRsForWavesPerEU: 1
; AccumOffset: 4
; Occupancy: 8
; WaveLimiterHint : 0
; COMPUTE_PGM_RSRC2:SCRATCH_EN: 0
; COMPUTE_PGM_RSRC2:USER_SGPR: 6
; COMPUTE_PGM_RSRC2:TRAP_HANDLER: 0
; COMPUTE_PGM_RSRC2:TGID_X_EN: 1
; COMPUTE_PGM_RSRC2:TGID_Y_EN: 0
; COMPUTE_PGM_RSRC2:TGID_Z_EN: 0
; COMPUTE_PGM_RSRC2:TIDIG_COMP_CNT: 0
; COMPUTE_PGM_RSRC3_GFX90A:ACCUM_OFFSET: 0
; COMPUTE_PGM_RSRC3_GFX90A:TG_SPLIT: 0
	.section	.text._ZN7rocprim17ROCPRIM_400000_NS6detail17trampoline_kernelINS0_13select_configILj256ELj13ELNS0_17block_load_methodE3ELS4_3ELS4_3ELNS0_20block_scan_algorithmE0ELj4294967295EEENS1_25partition_config_selectorILNS1_17partition_subalgoE3EjNS0_10empty_typeEbEEZZNS1_14partition_implILS8_3ELb0ES6_jNS0_17counting_iteratorIjlEEPS9_SE_NS0_5tupleIJPjSE_EEENSF_IJSE_SE_EEES9_SG_JZNS1_25segmented_radix_sort_implINS0_14default_configELb0EPKdPdPKlPlN2at6native12_GLOBAL__N_18offset_tEEE10hipError_tPvRmT1_PNSt15iterator_traitsISY_E10value_typeET2_T3_PNSZ_IS14_E10value_typeET4_jRbjT5_S1A_jjP12ihipStream_tbEUljE_EEESV_SW_SX_S14_S18_S1A_T6_T7_T9_mT8_S1C_bDpT10_ENKUlT_T0_E_clISt17integral_constantIbLb0EES1O_IbLb1EEEEDaS1K_S1L_EUlS1K_E_NS1_11comp_targetILNS1_3genE10ELNS1_11target_archE1200ELNS1_3gpuE4ELNS1_3repE0EEENS1_30default_config_static_selectorELNS0_4arch9wavefront6targetE1EEEvSY_,"axG",@progbits,_ZN7rocprim17ROCPRIM_400000_NS6detail17trampoline_kernelINS0_13select_configILj256ELj13ELNS0_17block_load_methodE3ELS4_3ELS4_3ELNS0_20block_scan_algorithmE0ELj4294967295EEENS1_25partition_config_selectorILNS1_17partition_subalgoE3EjNS0_10empty_typeEbEEZZNS1_14partition_implILS8_3ELb0ES6_jNS0_17counting_iteratorIjlEEPS9_SE_NS0_5tupleIJPjSE_EEENSF_IJSE_SE_EEES9_SG_JZNS1_25segmented_radix_sort_implINS0_14default_configELb0EPKdPdPKlPlN2at6native12_GLOBAL__N_18offset_tEEE10hipError_tPvRmT1_PNSt15iterator_traitsISY_E10value_typeET2_T3_PNSZ_IS14_E10value_typeET4_jRbjT5_S1A_jjP12ihipStream_tbEUljE_EEESV_SW_SX_S14_S18_S1A_T6_T7_T9_mT8_S1C_bDpT10_ENKUlT_T0_E_clISt17integral_constantIbLb0EES1O_IbLb1EEEEDaS1K_S1L_EUlS1K_E_NS1_11comp_targetILNS1_3genE10ELNS1_11target_archE1200ELNS1_3gpuE4ELNS1_3repE0EEENS1_30default_config_static_selectorELNS0_4arch9wavefront6targetE1EEEvSY_,comdat
	.globl	_ZN7rocprim17ROCPRIM_400000_NS6detail17trampoline_kernelINS0_13select_configILj256ELj13ELNS0_17block_load_methodE3ELS4_3ELS4_3ELNS0_20block_scan_algorithmE0ELj4294967295EEENS1_25partition_config_selectorILNS1_17partition_subalgoE3EjNS0_10empty_typeEbEEZZNS1_14partition_implILS8_3ELb0ES6_jNS0_17counting_iteratorIjlEEPS9_SE_NS0_5tupleIJPjSE_EEENSF_IJSE_SE_EEES9_SG_JZNS1_25segmented_radix_sort_implINS0_14default_configELb0EPKdPdPKlPlN2at6native12_GLOBAL__N_18offset_tEEE10hipError_tPvRmT1_PNSt15iterator_traitsISY_E10value_typeET2_T3_PNSZ_IS14_E10value_typeET4_jRbjT5_S1A_jjP12ihipStream_tbEUljE_EEESV_SW_SX_S14_S18_S1A_T6_T7_T9_mT8_S1C_bDpT10_ENKUlT_T0_E_clISt17integral_constantIbLb0EES1O_IbLb1EEEEDaS1K_S1L_EUlS1K_E_NS1_11comp_targetILNS1_3genE10ELNS1_11target_archE1200ELNS1_3gpuE4ELNS1_3repE0EEENS1_30default_config_static_selectorELNS0_4arch9wavefront6targetE1EEEvSY_ ; -- Begin function _ZN7rocprim17ROCPRIM_400000_NS6detail17trampoline_kernelINS0_13select_configILj256ELj13ELNS0_17block_load_methodE3ELS4_3ELS4_3ELNS0_20block_scan_algorithmE0ELj4294967295EEENS1_25partition_config_selectorILNS1_17partition_subalgoE3EjNS0_10empty_typeEbEEZZNS1_14partition_implILS8_3ELb0ES6_jNS0_17counting_iteratorIjlEEPS9_SE_NS0_5tupleIJPjSE_EEENSF_IJSE_SE_EEES9_SG_JZNS1_25segmented_radix_sort_implINS0_14default_configELb0EPKdPdPKlPlN2at6native12_GLOBAL__N_18offset_tEEE10hipError_tPvRmT1_PNSt15iterator_traitsISY_E10value_typeET2_T3_PNSZ_IS14_E10value_typeET4_jRbjT5_S1A_jjP12ihipStream_tbEUljE_EEESV_SW_SX_S14_S18_S1A_T6_T7_T9_mT8_S1C_bDpT10_ENKUlT_T0_E_clISt17integral_constantIbLb0EES1O_IbLb1EEEEDaS1K_S1L_EUlS1K_E_NS1_11comp_targetILNS1_3genE10ELNS1_11target_archE1200ELNS1_3gpuE4ELNS1_3repE0EEENS1_30default_config_static_selectorELNS0_4arch9wavefront6targetE1EEEvSY_
	.p2align	8
	.type	_ZN7rocprim17ROCPRIM_400000_NS6detail17trampoline_kernelINS0_13select_configILj256ELj13ELNS0_17block_load_methodE3ELS4_3ELS4_3ELNS0_20block_scan_algorithmE0ELj4294967295EEENS1_25partition_config_selectorILNS1_17partition_subalgoE3EjNS0_10empty_typeEbEEZZNS1_14partition_implILS8_3ELb0ES6_jNS0_17counting_iteratorIjlEEPS9_SE_NS0_5tupleIJPjSE_EEENSF_IJSE_SE_EEES9_SG_JZNS1_25segmented_radix_sort_implINS0_14default_configELb0EPKdPdPKlPlN2at6native12_GLOBAL__N_18offset_tEEE10hipError_tPvRmT1_PNSt15iterator_traitsISY_E10value_typeET2_T3_PNSZ_IS14_E10value_typeET4_jRbjT5_S1A_jjP12ihipStream_tbEUljE_EEESV_SW_SX_S14_S18_S1A_T6_T7_T9_mT8_S1C_bDpT10_ENKUlT_T0_E_clISt17integral_constantIbLb0EES1O_IbLb1EEEEDaS1K_S1L_EUlS1K_E_NS1_11comp_targetILNS1_3genE10ELNS1_11target_archE1200ELNS1_3gpuE4ELNS1_3repE0EEENS1_30default_config_static_selectorELNS0_4arch9wavefront6targetE1EEEvSY_,@function
_ZN7rocprim17ROCPRIM_400000_NS6detail17trampoline_kernelINS0_13select_configILj256ELj13ELNS0_17block_load_methodE3ELS4_3ELS4_3ELNS0_20block_scan_algorithmE0ELj4294967295EEENS1_25partition_config_selectorILNS1_17partition_subalgoE3EjNS0_10empty_typeEbEEZZNS1_14partition_implILS8_3ELb0ES6_jNS0_17counting_iteratorIjlEEPS9_SE_NS0_5tupleIJPjSE_EEENSF_IJSE_SE_EEES9_SG_JZNS1_25segmented_radix_sort_implINS0_14default_configELb0EPKdPdPKlPlN2at6native12_GLOBAL__N_18offset_tEEE10hipError_tPvRmT1_PNSt15iterator_traitsISY_E10value_typeET2_T3_PNSZ_IS14_E10value_typeET4_jRbjT5_S1A_jjP12ihipStream_tbEUljE_EEESV_SW_SX_S14_S18_S1A_T6_T7_T9_mT8_S1C_bDpT10_ENKUlT_T0_E_clISt17integral_constantIbLb0EES1O_IbLb1EEEEDaS1K_S1L_EUlS1K_E_NS1_11comp_targetILNS1_3genE10ELNS1_11target_archE1200ELNS1_3gpuE4ELNS1_3repE0EEENS1_30default_config_static_selectorELNS0_4arch9wavefront6targetE1EEEvSY_: ; @_ZN7rocprim17ROCPRIM_400000_NS6detail17trampoline_kernelINS0_13select_configILj256ELj13ELNS0_17block_load_methodE3ELS4_3ELS4_3ELNS0_20block_scan_algorithmE0ELj4294967295EEENS1_25partition_config_selectorILNS1_17partition_subalgoE3EjNS0_10empty_typeEbEEZZNS1_14partition_implILS8_3ELb0ES6_jNS0_17counting_iteratorIjlEEPS9_SE_NS0_5tupleIJPjSE_EEENSF_IJSE_SE_EEES9_SG_JZNS1_25segmented_radix_sort_implINS0_14default_configELb0EPKdPdPKlPlN2at6native12_GLOBAL__N_18offset_tEEE10hipError_tPvRmT1_PNSt15iterator_traitsISY_E10value_typeET2_T3_PNSZ_IS14_E10value_typeET4_jRbjT5_S1A_jjP12ihipStream_tbEUljE_EEESV_SW_SX_S14_S18_S1A_T6_T7_T9_mT8_S1C_bDpT10_ENKUlT_T0_E_clISt17integral_constantIbLb0EES1O_IbLb1EEEEDaS1K_S1L_EUlS1K_E_NS1_11comp_targetILNS1_3genE10ELNS1_11target_archE1200ELNS1_3gpuE4ELNS1_3repE0EEENS1_30default_config_static_selectorELNS0_4arch9wavefront6targetE1EEEvSY_
; %bb.0:
	.section	.rodata,"a",@progbits
	.p2align	6, 0x0
	.amdhsa_kernel _ZN7rocprim17ROCPRIM_400000_NS6detail17trampoline_kernelINS0_13select_configILj256ELj13ELNS0_17block_load_methodE3ELS4_3ELS4_3ELNS0_20block_scan_algorithmE0ELj4294967295EEENS1_25partition_config_selectorILNS1_17partition_subalgoE3EjNS0_10empty_typeEbEEZZNS1_14partition_implILS8_3ELb0ES6_jNS0_17counting_iteratorIjlEEPS9_SE_NS0_5tupleIJPjSE_EEENSF_IJSE_SE_EEES9_SG_JZNS1_25segmented_radix_sort_implINS0_14default_configELb0EPKdPdPKlPlN2at6native12_GLOBAL__N_18offset_tEEE10hipError_tPvRmT1_PNSt15iterator_traitsISY_E10value_typeET2_T3_PNSZ_IS14_E10value_typeET4_jRbjT5_S1A_jjP12ihipStream_tbEUljE_EEESV_SW_SX_S14_S18_S1A_T6_T7_T9_mT8_S1C_bDpT10_ENKUlT_T0_E_clISt17integral_constantIbLb0EES1O_IbLb1EEEEDaS1K_S1L_EUlS1K_E_NS1_11comp_targetILNS1_3genE10ELNS1_11target_archE1200ELNS1_3gpuE4ELNS1_3repE0EEENS1_30default_config_static_selectorELNS0_4arch9wavefront6targetE1EEEvSY_
		.amdhsa_group_segment_fixed_size 0
		.amdhsa_private_segment_fixed_size 0
		.amdhsa_kernarg_size 152
		.amdhsa_user_sgpr_count 6
		.amdhsa_user_sgpr_private_segment_buffer 1
		.amdhsa_user_sgpr_dispatch_ptr 0
		.amdhsa_user_sgpr_queue_ptr 0
		.amdhsa_user_sgpr_kernarg_segment_ptr 1
		.amdhsa_user_sgpr_dispatch_id 0
		.amdhsa_user_sgpr_flat_scratch_init 0
		.amdhsa_user_sgpr_kernarg_preload_length 0
		.amdhsa_user_sgpr_kernarg_preload_offset 0
		.amdhsa_user_sgpr_private_segment_size 0
		.amdhsa_uses_dynamic_stack 0
		.amdhsa_system_sgpr_private_segment_wavefront_offset 0
		.amdhsa_system_sgpr_workgroup_id_x 1
		.amdhsa_system_sgpr_workgroup_id_y 0
		.amdhsa_system_sgpr_workgroup_id_z 0
		.amdhsa_system_sgpr_workgroup_info 0
		.amdhsa_system_vgpr_workitem_id 0
		.amdhsa_next_free_vgpr 1
		.amdhsa_next_free_sgpr 0
		.amdhsa_accum_offset 4
		.amdhsa_reserve_vcc 0
		.amdhsa_reserve_flat_scratch 0
		.amdhsa_float_round_mode_32 0
		.amdhsa_float_round_mode_16_64 0
		.amdhsa_float_denorm_mode_32 3
		.amdhsa_float_denorm_mode_16_64 3
		.amdhsa_dx10_clamp 1
		.amdhsa_ieee_mode 1
		.amdhsa_fp16_overflow 0
		.amdhsa_tg_split 0
		.amdhsa_exception_fp_ieee_invalid_op 0
		.amdhsa_exception_fp_denorm_src 0
		.amdhsa_exception_fp_ieee_div_zero 0
		.amdhsa_exception_fp_ieee_overflow 0
		.amdhsa_exception_fp_ieee_underflow 0
		.amdhsa_exception_fp_ieee_inexact 0
		.amdhsa_exception_int_div_zero 0
	.end_amdhsa_kernel
	.section	.text._ZN7rocprim17ROCPRIM_400000_NS6detail17trampoline_kernelINS0_13select_configILj256ELj13ELNS0_17block_load_methodE3ELS4_3ELS4_3ELNS0_20block_scan_algorithmE0ELj4294967295EEENS1_25partition_config_selectorILNS1_17partition_subalgoE3EjNS0_10empty_typeEbEEZZNS1_14partition_implILS8_3ELb0ES6_jNS0_17counting_iteratorIjlEEPS9_SE_NS0_5tupleIJPjSE_EEENSF_IJSE_SE_EEES9_SG_JZNS1_25segmented_radix_sort_implINS0_14default_configELb0EPKdPdPKlPlN2at6native12_GLOBAL__N_18offset_tEEE10hipError_tPvRmT1_PNSt15iterator_traitsISY_E10value_typeET2_T3_PNSZ_IS14_E10value_typeET4_jRbjT5_S1A_jjP12ihipStream_tbEUljE_EEESV_SW_SX_S14_S18_S1A_T6_T7_T9_mT8_S1C_bDpT10_ENKUlT_T0_E_clISt17integral_constantIbLb0EES1O_IbLb1EEEEDaS1K_S1L_EUlS1K_E_NS1_11comp_targetILNS1_3genE10ELNS1_11target_archE1200ELNS1_3gpuE4ELNS1_3repE0EEENS1_30default_config_static_selectorELNS0_4arch9wavefront6targetE1EEEvSY_,"axG",@progbits,_ZN7rocprim17ROCPRIM_400000_NS6detail17trampoline_kernelINS0_13select_configILj256ELj13ELNS0_17block_load_methodE3ELS4_3ELS4_3ELNS0_20block_scan_algorithmE0ELj4294967295EEENS1_25partition_config_selectorILNS1_17partition_subalgoE3EjNS0_10empty_typeEbEEZZNS1_14partition_implILS8_3ELb0ES6_jNS0_17counting_iteratorIjlEEPS9_SE_NS0_5tupleIJPjSE_EEENSF_IJSE_SE_EEES9_SG_JZNS1_25segmented_radix_sort_implINS0_14default_configELb0EPKdPdPKlPlN2at6native12_GLOBAL__N_18offset_tEEE10hipError_tPvRmT1_PNSt15iterator_traitsISY_E10value_typeET2_T3_PNSZ_IS14_E10value_typeET4_jRbjT5_S1A_jjP12ihipStream_tbEUljE_EEESV_SW_SX_S14_S18_S1A_T6_T7_T9_mT8_S1C_bDpT10_ENKUlT_T0_E_clISt17integral_constantIbLb0EES1O_IbLb1EEEEDaS1K_S1L_EUlS1K_E_NS1_11comp_targetILNS1_3genE10ELNS1_11target_archE1200ELNS1_3gpuE4ELNS1_3repE0EEENS1_30default_config_static_selectorELNS0_4arch9wavefront6targetE1EEEvSY_,comdat
.Lfunc_end1216:
	.size	_ZN7rocprim17ROCPRIM_400000_NS6detail17trampoline_kernelINS0_13select_configILj256ELj13ELNS0_17block_load_methodE3ELS4_3ELS4_3ELNS0_20block_scan_algorithmE0ELj4294967295EEENS1_25partition_config_selectorILNS1_17partition_subalgoE3EjNS0_10empty_typeEbEEZZNS1_14partition_implILS8_3ELb0ES6_jNS0_17counting_iteratorIjlEEPS9_SE_NS0_5tupleIJPjSE_EEENSF_IJSE_SE_EEES9_SG_JZNS1_25segmented_radix_sort_implINS0_14default_configELb0EPKdPdPKlPlN2at6native12_GLOBAL__N_18offset_tEEE10hipError_tPvRmT1_PNSt15iterator_traitsISY_E10value_typeET2_T3_PNSZ_IS14_E10value_typeET4_jRbjT5_S1A_jjP12ihipStream_tbEUljE_EEESV_SW_SX_S14_S18_S1A_T6_T7_T9_mT8_S1C_bDpT10_ENKUlT_T0_E_clISt17integral_constantIbLb0EES1O_IbLb1EEEEDaS1K_S1L_EUlS1K_E_NS1_11comp_targetILNS1_3genE10ELNS1_11target_archE1200ELNS1_3gpuE4ELNS1_3repE0EEENS1_30default_config_static_selectorELNS0_4arch9wavefront6targetE1EEEvSY_, .Lfunc_end1216-_ZN7rocprim17ROCPRIM_400000_NS6detail17trampoline_kernelINS0_13select_configILj256ELj13ELNS0_17block_load_methodE3ELS4_3ELS4_3ELNS0_20block_scan_algorithmE0ELj4294967295EEENS1_25partition_config_selectorILNS1_17partition_subalgoE3EjNS0_10empty_typeEbEEZZNS1_14partition_implILS8_3ELb0ES6_jNS0_17counting_iteratorIjlEEPS9_SE_NS0_5tupleIJPjSE_EEENSF_IJSE_SE_EEES9_SG_JZNS1_25segmented_radix_sort_implINS0_14default_configELb0EPKdPdPKlPlN2at6native12_GLOBAL__N_18offset_tEEE10hipError_tPvRmT1_PNSt15iterator_traitsISY_E10value_typeET2_T3_PNSZ_IS14_E10value_typeET4_jRbjT5_S1A_jjP12ihipStream_tbEUljE_EEESV_SW_SX_S14_S18_S1A_T6_T7_T9_mT8_S1C_bDpT10_ENKUlT_T0_E_clISt17integral_constantIbLb0EES1O_IbLb1EEEEDaS1K_S1L_EUlS1K_E_NS1_11comp_targetILNS1_3genE10ELNS1_11target_archE1200ELNS1_3gpuE4ELNS1_3repE0EEENS1_30default_config_static_selectorELNS0_4arch9wavefront6targetE1EEEvSY_
                                        ; -- End function
	.section	.AMDGPU.csdata,"",@progbits
; Kernel info:
; codeLenInByte = 0
; NumSgprs: 4
; NumVgprs: 0
; NumAgprs: 0
; TotalNumVgprs: 0
; ScratchSize: 0
; MemoryBound: 0
; FloatMode: 240
; IeeeMode: 1
; LDSByteSize: 0 bytes/workgroup (compile time only)
; SGPRBlocks: 0
; VGPRBlocks: 0
; NumSGPRsForWavesPerEU: 4
; NumVGPRsForWavesPerEU: 1
; AccumOffset: 4
; Occupancy: 8
; WaveLimiterHint : 0
; COMPUTE_PGM_RSRC2:SCRATCH_EN: 0
; COMPUTE_PGM_RSRC2:USER_SGPR: 6
; COMPUTE_PGM_RSRC2:TRAP_HANDLER: 0
; COMPUTE_PGM_RSRC2:TGID_X_EN: 1
; COMPUTE_PGM_RSRC2:TGID_Y_EN: 0
; COMPUTE_PGM_RSRC2:TGID_Z_EN: 0
; COMPUTE_PGM_RSRC2:TIDIG_COMP_CNT: 0
; COMPUTE_PGM_RSRC3_GFX90A:ACCUM_OFFSET: 0
; COMPUTE_PGM_RSRC3_GFX90A:TG_SPLIT: 0
	.section	.text._ZN7rocprim17ROCPRIM_400000_NS6detail17trampoline_kernelINS0_13select_configILj256ELj13ELNS0_17block_load_methodE3ELS4_3ELS4_3ELNS0_20block_scan_algorithmE0ELj4294967295EEENS1_25partition_config_selectorILNS1_17partition_subalgoE3EjNS0_10empty_typeEbEEZZNS1_14partition_implILS8_3ELb0ES6_jNS0_17counting_iteratorIjlEEPS9_SE_NS0_5tupleIJPjSE_EEENSF_IJSE_SE_EEES9_SG_JZNS1_25segmented_radix_sort_implINS0_14default_configELb0EPKdPdPKlPlN2at6native12_GLOBAL__N_18offset_tEEE10hipError_tPvRmT1_PNSt15iterator_traitsISY_E10value_typeET2_T3_PNSZ_IS14_E10value_typeET4_jRbjT5_S1A_jjP12ihipStream_tbEUljE_EEESV_SW_SX_S14_S18_S1A_T6_T7_T9_mT8_S1C_bDpT10_ENKUlT_T0_E_clISt17integral_constantIbLb0EES1O_IbLb1EEEEDaS1K_S1L_EUlS1K_E_NS1_11comp_targetILNS1_3genE9ELNS1_11target_archE1100ELNS1_3gpuE3ELNS1_3repE0EEENS1_30default_config_static_selectorELNS0_4arch9wavefront6targetE1EEEvSY_,"axG",@progbits,_ZN7rocprim17ROCPRIM_400000_NS6detail17trampoline_kernelINS0_13select_configILj256ELj13ELNS0_17block_load_methodE3ELS4_3ELS4_3ELNS0_20block_scan_algorithmE0ELj4294967295EEENS1_25partition_config_selectorILNS1_17partition_subalgoE3EjNS0_10empty_typeEbEEZZNS1_14partition_implILS8_3ELb0ES6_jNS0_17counting_iteratorIjlEEPS9_SE_NS0_5tupleIJPjSE_EEENSF_IJSE_SE_EEES9_SG_JZNS1_25segmented_radix_sort_implINS0_14default_configELb0EPKdPdPKlPlN2at6native12_GLOBAL__N_18offset_tEEE10hipError_tPvRmT1_PNSt15iterator_traitsISY_E10value_typeET2_T3_PNSZ_IS14_E10value_typeET4_jRbjT5_S1A_jjP12ihipStream_tbEUljE_EEESV_SW_SX_S14_S18_S1A_T6_T7_T9_mT8_S1C_bDpT10_ENKUlT_T0_E_clISt17integral_constantIbLb0EES1O_IbLb1EEEEDaS1K_S1L_EUlS1K_E_NS1_11comp_targetILNS1_3genE9ELNS1_11target_archE1100ELNS1_3gpuE3ELNS1_3repE0EEENS1_30default_config_static_selectorELNS0_4arch9wavefront6targetE1EEEvSY_,comdat
	.globl	_ZN7rocprim17ROCPRIM_400000_NS6detail17trampoline_kernelINS0_13select_configILj256ELj13ELNS0_17block_load_methodE3ELS4_3ELS4_3ELNS0_20block_scan_algorithmE0ELj4294967295EEENS1_25partition_config_selectorILNS1_17partition_subalgoE3EjNS0_10empty_typeEbEEZZNS1_14partition_implILS8_3ELb0ES6_jNS0_17counting_iteratorIjlEEPS9_SE_NS0_5tupleIJPjSE_EEENSF_IJSE_SE_EEES9_SG_JZNS1_25segmented_radix_sort_implINS0_14default_configELb0EPKdPdPKlPlN2at6native12_GLOBAL__N_18offset_tEEE10hipError_tPvRmT1_PNSt15iterator_traitsISY_E10value_typeET2_T3_PNSZ_IS14_E10value_typeET4_jRbjT5_S1A_jjP12ihipStream_tbEUljE_EEESV_SW_SX_S14_S18_S1A_T6_T7_T9_mT8_S1C_bDpT10_ENKUlT_T0_E_clISt17integral_constantIbLb0EES1O_IbLb1EEEEDaS1K_S1L_EUlS1K_E_NS1_11comp_targetILNS1_3genE9ELNS1_11target_archE1100ELNS1_3gpuE3ELNS1_3repE0EEENS1_30default_config_static_selectorELNS0_4arch9wavefront6targetE1EEEvSY_ ; -- Begin function _ZN7rocprim17ROCPRIM_400000_NS6detail17trampoline_kernelINS0_13select_configILj256ELj13ELNS0_17block_load_methodE3ELS4_3ELS4_3ELNS0_20block_scan_algorithmE0ELj4294967295EEENS1_25partition_config_selectorILNS1_17partition_subalgoE3EjNS0_10empty_typeEbEEZZNS1_14partition_implILS8_3ELb0ES6_jNS0_17counting_iteratorIjlEEPS9_SE_NS0_5tupleIJPjSE_EEENSF_IJSE_SE_EEES9_SG_JZNS1_25segmented_radix_sort_implINS0_14default_configELb0EPKdPdPKlPlN2at6native12_GLOBAL__N_18offset_tEEE10hipError_tPvRmT1_PNSt15iterator_traitsISY_E10value_typeET2_T3_PNSZ_IS14_E10value_typeET4_jRbjT5_S1A_jjP12ihipStream_tbEUljE_EEESV_SW_SX_S14_S18_S1A_T6_T7_T9_mT8_S1C_bDpT10_ENKUlT_T0_E_clISt17integral_constantIbLb0EES1O_IbLb1EEEEDaS1K_S1L_EUlS1K_E_NS1_11comp_targetILNS1_3genE9ELNS1_11target_archE1100ELNS1_3gpuE3ELNS1_3repE0EEENS1_30default_config_static_selectorELNS0_4arch9wavefront6targetE1EEEvSY_
	.p2align	8
	.type	_ZN7rocprim17ROCPRIM_400000_NS6detail17trampoline_kernelINS0_13select_configILj256ELj13ELNS0_17block_load_methodE3ELS4_3ELS4_3ELNS0_20block_scan_algorithmE0ELj4294967295EEENS1_25partition_config_selectorILNS1_17partition_subalgoE3EjNS0_10empty_typeEbEEZZNS1_14partition_implILS8_3ELb0ES6_jNS0_17counting_iteratorIjlEEPS9_SE_NS0_5tupleIJPjSE_EEENSF_IJSE_SE_EEES9_SG_JZNS1_25segmented_radix_sort_implINS0_14default_configELb0EPKdPdPKlPlN2at6native12_GLOBAL__N_18offset_tEEE10hipError_tPvRmT1_PNSt15iterator_traitsISY_E10value_typeET2_T3_PNSZ_IS14_E10value_typeET4_jRbjT5_S1A_jjP12ihipStream_tbEUljE_EEESV_SW_SX_S14_S18_S1A_T6_T7_T9_mT8_S1C_bDpT10_ENKUlT_T0_E_clISt17integral_constantIbLb0EES1O_IbLb1EEEEDaS1K_S1L_EUlS1K_E_NS1_11comp_targetILNS1_3genE9ELNS1_11target_archE1100ELNS1_3gpuE3ELNS1_3repE0EEENS1_30default_config_static_selectorELNS0_4arch9wavefront6targetE1EEEvSY_,@function
_ZN7rocprim17ROCPRIM_400000_NS6detail17trampoline_kernelINS0_13select_configILj256ELj13ELNS0_17block_load_methodE3ELS4_3ELS4_3ELNS0_20block_scan_algorithmE0ELj4294967295EEENS1_25partition_config_selectorILNS1_17partition_subalgoE3EjNS0_10empty_typeEbEEZZNS1_14partition_implILS8_3ELb0ES6_jNS0_17counting_iteratorIjlEEPS9_SE_NS0_5tupleIJPjSE_EEENSF_IJSE_SE_EEES9_SG_JZNS1_25segmented_radix_sort_implINS0_14default_configELb0EPKdPdPKlPlN2at6native12_GLOBAL__N_18offset_tEEE10hipError_tPvRmT1_PNSt15iterator_traitsISY_E10value_typeET2_T3_PNSZ_IS14_E10value_typeET4_jRbjT5_S1A_jjP12ihipStream_tbEUljE_EEESV_SW_SX_S14_S18_S1A_T6_T7_T9_mT8_S1C_bDpT10_ENKUlT_T0_E_clISt17integral_constantIbLb0EES1O_IbLb1EEEEDaS1K_S1L_EUlS1K_E_NS1_11comp_targetILNS1_3genE9ELNS1_11target_archE1100ELNS1_3gpuE3ELNS1_3repE0EEENS1_30default_config_static_selectorELNS0_4arch9wavefront6targetE1EEEvSY_: ; @_ZN7rocprim17ROCPRIM_400000_NS6detail17trampoline_kernelINS0_13select_configILj256ELj13ELNS0_17block_load_methodE3ELS4_3ELS4_3ELNS0_20block_scan_algorithmE0ELj4294967295EEENS1_25partition_config_selectorILNS1_17partition_subalgoE3EjNS0_10empty_typeEbEEZZNS1_14partition_implILS8_3ELb0ES6_jNS0_17counting_iteratorIjlEEPS9_SE_NS0_5tupleIJPjSE_EEENSF_IJSE_SE_EEES9_SG_JZNS1_25segmented_radix_sort_implINS0_14default_configELb0EPKdPdPKlPlN2at6native12_GLOBAL__N_18offset_tEEE10hipError_tPvRmT1_PNSt15iterator_traitsISY_E10value_typeET2_T3_PNSZ_IS14_E10value_typeET4_jRbjT5_S1A_jjP12ihipStream_tbEUljE_EEESV_SW_SX_S14_S18_S1A_T6_T7_T9_mT8_S1C_bDpT10_ENKUlT_T0_E_clISt17integral_constantIbLb0EES1O_IbLb1EEEEDaS1K_S1L_EUlS1K_E_NS1_11comp_targetILNS1_3genE9ELNS1_11target_archE1100ELNS1_3gpuE3ELNS1_3repE0EEENS1_30default_config_static_selectorELNS0_4arch9wavefront6targetE1EEEvSY_
; %bb.0:
	.section	.rodata,"a",@progbits
	.p2align	6, 0x0
	.amdhsa_kernel _ZN7rocprim17ROCPRIM_400000_NS6detail17trampoline_kernelINS0_13select_configILj256ELj13ELNS0_17block_load_methodE3ELS4_3ELS4_3ELNS0_20block_scan_algorithmE0ELj4294967295EEENS1_25partition_config_selectorILNS1_17partition_subalgoE3EjNS0_10empty_typeEbEEZZNS1_14partition_implILS8_3ELb0ES6_jNS0_17counting_iteratorIjlEEPS9_SE_NS0_5tupleIJPjSE_EEENSF_IJSE_SE_EEES9_SG_JZNS1_25segmented_radix_sort_implINS0_14default_configELb0EPKdPdPKlPlN2at6native12_GLOBAL__N_18offset_tEEE10hipError_tPvRmT1_PNSt15iterator_traitsISY_E10value_typeET2_T3_PNSZ_IS14_E10value_typeET4_jRbjT5_S1A_jjP12ihipStream_tbEUljE_EEESV_SW_SX_S14_S18_S1A_T6_T7_T9_mT8_S1C_bDpT10_ENKUlT_T0_E_clISt17integral_constantIbLb0EES1O_IbLb1EEEEDaS1K_S1L_EUlS1K_E_NS1_11comp_targetILNS1_3genE9ELNS1_11target_archE1100ELNS1_3gpuE3ELNS1_3repE0EEENS1_30default_config_static_selectorELNS0_4arch9wavefront6targetE1EEEvSY_
		.amdhsa_group_segment_fixed_size 0
		.amdhsa_private_segment_fixed_size 0
		.amdhsa_kernarg_size 152
		.amdhsa_user_sgpr_count 6
		.amdhsa_user_sgpr_private_segment_buffer 1
		.amdhsa_user_sgpr_dispatch_ptr 0
		.amdhsa_user_sgpr_queue_ptr 0
		.amdhsa_user_sgpr_kernarg_segment_ptr 1
		.amdhsa_user_sgpr_dispatch_id 0
		.amdhsa_user_sgpr_flat_scratch_init 0
		.amdhsa_user_sgpr_kernarg_preload_length 0
		.amdhsa_user_sgpr_kernarg_preload_offset 0
		.amdhsa_user_sgpr_private_segment_size 0
		.amdhsa_uses_dynamic_stack 0
		.amdhsa_system_sgpr_private_segment_wavefront_offset 0
		.amdhsa_system_sgpr_workgroup_id_x 1
		.amdhsa_system_sgpr_workgroup_id_y 0
		.amdhsa_system_sgpr_workgroup_id_z 0
		.amdhsa_system_sgpr_workgroup_info 0
		.amdhsa_system_vgpr_workitem_id 0
		.amdhsa_next_free_vgpr 1
		.amdhsa_next_free_sgpr 0
		.amdhsa_accum_offset 4
		.amdhsa_reserve_vcc 0
		.amdhsa_reserve_flat_scratch 0
		.amdhsa_float_round_mode_32 0
		.amdhsa_float_round_mode_16_64 0
		.amdhsa_float_denorm_mode_32 3
		.amdhsa_float_denorm_mode_16_64 3
		.amdhsa_dx10_clamp 1
		.amdhsa_ieee_mode 1
		.amdhsa_fp16_overflow 0
		.amdhsa_tg_split 0
		.amdhsa_exception_fp_ieee_invalid_op 0
		.amdhsa_exception_fp_denorm_src 0
		.amdhsa_exception_fp_ieee_div_zero 0
		.amdhsa_exception_fp_ieee_overflow 0
		.amdhsa_exception_fp_ieee_underflow 0
		.amdhsa_exception_fp_ieee_inexact 0
		.amdhsa_exception_int_div_zero 0
	.end_amdhsa_kernel
	.section	.text._ZN7rocprim17ROCPRIM_400000_NS6detail17trampoline_kernelINS0_13select_configILj256ELj13ELNS0_17block_load_methodE3ELS4_3ELS4_3ELNS0_20block_scan_algorithmE0ELj4294967295EEENS1_25partition_config_selectorILNS1_17partition_subalgoE3EjNS0_10empty_typeEbEEZZNS1_14partition_implILS8_3ELb0ES6_jNS0_17counting_iteratorIjlEEPS9_SE_NS0_5tupleIJPjSE_EEENSF_IJSE_SE_EEES9_SG_JZNS1_25segmented_radix_sort_implINS0_14default_configELb0EPKdPdPKlPlN2at6native12_GLOBAL__N_18offset_tEEE10hipError_tPvRmT1_PNSt15iterator_traitsISY_E10value_typeET2_T3_PNSZ_IS14_E10value_typeET4_jRbjT5_S1A_jjP12ihipStream_tbEUljE_EEESV_SW_SX_S14_S18_S1A_T6_T7_T9_mT8_S1C_bDpT10_ENKUlT_T0_E_clISt17integral_constantIbLb0EES1O_IbLb1EEEEDaS1K_S1L_EUlS1K_E_NS1_11comp_targetILNS1_3genE9ELNS1_11target_archE1100ELNS1_3gpuE3ELNS1_3repE0EEENS1_30default_config_static_selectorELNS0_4arch9wavefront6targetE1EEEvSY_,"axG",@progbits,_ZN7rocprim17ROCPRIM_400000_NS6detail17trampoline_kernelINS0_13select_configILj256ELj13ELNS0_17block_load_methodE3ELS4_3ELS4_3ELNS0_20block_scan_algorithmE0ELj4294967295EEENS1_25partition_config_selectorILNS1_17partition_subalgoE3EjNS0_10empty_typeEbEEZZNS1_14partition_implILS8_3ELb0ES6_jNS0_17counting_iteratorIjlEEPS9_SE_NS0_5tupleIJPjSE_EEENSF_IJSE_SE_EEES9_SG_JZNS1_25segmented_radix_sort_implINS0_14default_configELb0EPKdPdPKlPlN2at6native12_GLOBAL__N_18offset_tEEE10hipError_tPvRmT1_PNSt15iterator_traitsISY_E10value_typeET2_T3_PNSZ_IS14_E10value_typeET4_jRbjT5_S1A_jjP12ihipStream_tbEUljE_EEESV_SW_SX_S14_S18_S1A_T6_T7_T9_mT8_S1C_bDpT10_ENKUlT_T0_E_clISt17integral_constantIbLb0EES1O_IbLb1EEEEDaS1K_S1L_EUlS1K_E_NS1_11comp_targetILNS1_3genE9ELNS1_11target_archE1100ELNS1_3gpuE3ELNS1_3repE0EEENS1_30default_config_static_selectorELNS0_4arch9wavefront6targetE1EEEvSY_,comdat
.Lfunc_end1217:
	.size	_ZN7rocprim17ROCPRIM_400000_NS6detail17trampoline_kernelINS0_13select_configILj256ELj13ELNS0_17block_load_methodE3ELS4_3ELS4_3ELNS0_20block_scan_algorithmE0ELj4294967295EEENS1_25partition_config_selectorILNS1_17partition_subalgoE3EjNS0_10empty_typeEbEEZZNS1_14partition_implILS8_3ELb0ES6_jNS0_17counting_iteratorIjlEEPS9_SE_NS0_5tupleIJPjSE_EEENSF_IJSE_SE_EEES9_SG_JZNS1_25segmented_radix_sort_implINS0_14default_configELb0EPKdPdPKlPlN2at6native12_GLOBAL__N_18offset_tEEE10hipError_tPvRmT1_PNSt15iterator_traitsISY_E10value_typeET2_T3_PNSZ_IS14_E10value_typeET4_jRbjT5_S1A_jjP12ihipStream_tbEUljE_EEESV_SW_SX_S14_S18_S1A_T6_T7_T9_mT8_S1C_bDpT10_ENKUlT_T0_E_clISt17integral_constantIbLb0EES1O_IbLb1EEEEDaS1K_S1L_EUlS1K_E_NS1_11comp_targetILNS1_3genE9ELNS1_11target_archE1100ELNS1_3gpuE3ELNS1_3repE0EEENS1_30default_config_static_selectorELNS0_4arch9wavefront6targetE1EEEvSY_, .Lfunc_end1217-_ZN7rocprim17ROCPRIM_400000_NS6detail17trampoline_kernelINS0_13select_configILj256ELj13ELNS0_17block_load_methodE3ELS4_3ELS4_3ELNS0_20block_scan_algorithmE0ELj4294967295EEENS1_25partition_config_selectorILNS1_17partition_subalgoE3EjNS0_10empty_typeEbEEZZNS1_14partition_implILS8_3ELb0ES6_jNS0_17counting_iteratorIjlEEPS9_SE_NS0_5tupleIJPjSE_EEENSF_IJSE_SE_EEES9_SG_JZNS1_25segmented_radix_sort_implINS0_14default_configELb0EPKdPdPKlPlN2at6native12_GLOBAL__N_18offset_tEEE10hipError_tPvRmT1_PNSt15iterator_traitsISY_E10value_typeET2_T3_PNSZ_IS14_E10value_typeET4_jRbjT5_S1A_jjP12ihipStream_tbEUljE_EEESV_SW_SX_S14_S18_S1A_T6_T7_T9_mT8_S1C_bDpT10_ENKUlT_T0_E_clISt17integral_constantIbLb0EES1O_IbLb1EEEEDaS1K_S1L_EUlS1K_E_NS1_11comp_targetILNS1_3genE9ELNS1_11target_archE1100ELNS1_3gpuE3ELNS1_3repE0EEENS1_30default_config_static_selectorELNS0_4arch9wavefront6targetE1EEEvSY_
                                        ; -- End function
	.section	.AMDGPU.csdata,"",@progbits
; Kernel info:
; codeLenInByte = 0
; NumSgprs: 4
; NumVgprs: 0
; NumAgprs: 0
; TotalNumVgprs: 0
; ScratchSize: 0
; MemoryBound: 0
; FloatMode: 240
; IeeeMode: 1
; LDSByteSize: 0 bytes/workgroup (compile time only)
; SGPRBlocks: 0
; VGPRBlocks: 0
; NumSGPRsForWavesPerEU: 4
; NumVGPRsForWavesPerEU: 1
; AccumOffset: 4
; Occupancy: 8
; WaveLimiterHint : 0
; COMPUTE_PGM_RSRC2:SCRATCH_EN: 0
; COMPUTE_PGM_RSRC2:USER_SGPR: 6
; COMPUTE_PGM_RSRC2:TRAP_HANDLER: 0
; COMPUTE_PGM_RSRC2:TGID_X_EN: 1
; COMPUTE_PGM_RSRC2:TGID_Y_EN: 0
; COMPUTE_PGM_RSRC2:TGID_Z_EN: 0
; COMPUTE_PGM_RSRC2:TIDIG_COMP_CNT: 0
; COMPUTE_PGM_RSRC3_GFX90A:ACCUM_OFFSET: 0
; COMPUTE_PGM_RSRC3_GFX90A:TG_SPLIT: 0
	.section	.text._ZN7rocprim17ROCPRIM_400000_NS6detail17trampoline_kernelINS0_13select_configILj256ELj13ELNS0_17block_load_methodE3ELS4_3ELS4_3ELNS0_20block_scan_algorithmE0ELj4294967295EEENS1_25partition_config_selectorILNS1_17partition_subalgoE3EjNS0_10empty_typeEbEEZZNS1_14partition_implILS8_3ELb0ES6_jNS0_17counting_iteratorIjlEEPS9_SE_NS0_5tupleIJPjSE_EEENSF_IJSE_SE_EEES9_SG_JZNS1_25segmented_radix_sort_implINS0_14default_configELb0EPKdPdPKlPlN2at6native12_GLOBAL__N_18offset_tEEE10hipError_tPvRmT1_PNSt15iterator_traitsISY_E10value_typeET2_T3_PNSZ_IS14_E10value_typeET4_jRbjT5_S1A_jjP12ihipStream_tbEUljE_EEESV_SW_SX_S14_S18_S1A_T6_T7_T9_mT8_S1C_bDpT10_ENKUlT_T0_E_clISt17integral_constantIbLb0EES1O_IbLb1EEEEDaS1K_S1L_EUlS1K_E_NS1_11comp_targetILNS1_3genE8ELNS1_11target_archE1030ELNS1_3gpuE2ELNS1_3repE0EEENS1_30default_config_static_selectorELNS0_4arch9wavefront6targetE1EEEvSY_,"axG",@progbits,_ZN7rocprim17ROCPRIM_400000_NS6detail17trampoline_kernelINS0_13select_configILj256ELj13ELNS0_17block_load_methodE3ELS4_3ELS4_3ELNS0_20block_scan_algorithmE0ELj4294967295EEENS1_25partition_config_selectorILNS1_17partition_subalgoE3EjNS0_10empty_typeEbEEZZNS1_14partition_implILS8_3ELb0ES6_jNS0_17counting_iteratorIjlEEPS9_SE_NS0_5tupleIJPjSE_EEENSF_IJSE_SE_EEES9_SG_JZNS1_25segmented_radix_sort_implINS0_14default_configELb0EPKdPdPKlPlN2at6native12_GLOBAL__N_18offset_tEEE10hipError_tPvRmT1_PNSt15iterator_traitsISY_E10value_typeET2_T3_PNSZ_IS14_E10value_typeET4_jRbjT5_S1A_jjP12ihipStream_tbEUljE_EEESV_SW_SX_S14_S18_S1A_T6_T7_T9_mT8_S1C_bDpT10_ENKUlT_T0_E_clISt17integral_constantIbLb0EES1O_IbLb1EEEEDaS1K_S1L_EUlS1K_E_NS1_11comp_targetILNS1_3genE8ELNS1_11target_archE1030ELNS1_3gpuE2ELNS1_3repE0EEENS1_30default_config_static_selectorELNS0_4arch9wavefront6targetE1EEEvSY_,comdat
	.globl	_ZN7rocprim17ROCPRIM_400000_NS6detail17trampoline_kernelINS0_13select_configILj256ELj13ELNS0_17block_load_methodE3ELS4_3ELS4_3ELNS0_20block_scan_algorithmE0ELj4294967295EEENS1_25partition_config_selectorILNS1_17partition_subalgoE3EjNS0_10empty_typeEbEEZZNS1_14partition_implILS8_3ELb0ES6_jNS0_17counting_iteratorIjlEEPS9_SE_NS0_5tupleIJPjSE_EEENSF_IJSE_SE_EEES9_SG_JZNS1_25segmented_radix_sort_implINS0_14default_configELb0EPKdPdPKlPlN2at6native12_GLOBAL__N_18offset_tEEE10hipError_tPvRmT1_PNSt15iterator_traitsISY_E10value_typeET2_T3_PNSZ_IS14_E10value_typeET4_jRbjT5_S1A_jjP12ihipStream_tbEUljE_EEESV_SW_SX_S14_S18_S1A_T6_T7_T9_mT8_S1C_bDpT10_ENKUlT_T0_E_clISt17integral_constantIbLb0EES1O_IbLb1EEEEDaS1K_S1L_EUlS1K_E_NS1_11comp_targetILNS1_3genE8ELNS1_11target_archE1030ELNS1_3gpuE2ELNS1_3repE0EEENS1_30default_config_static_selectorELNS0_4arch9wavefront6targetE1EEEvSY_ ; -- Begin function _ZN7rocprim17ROCPRIM_400000_NS6detail17trampoline_kernelINS0_13select_configILj256ELj13ELNS0_17block_load_methodE3ELS4_3ELS4_3ELNS0_20block_scan_algorithmE0ELj4294967295EEENS1_25partition_config_selectorILNS1_17partition_subalgoE3EjNS0_10empty_typeEbEEZZNS1_14partition_implILS8_3ELb0ES6_jNS0_17counting_iteratorIjlEEPS9_SE_NS0_5tupleIJPjSE_EEENSF_IJSE_SE_EEES9_SG_JZNS1_25segmented_radix_sort_implINS0_14default_configELb0EPKdPdPKlPlN2at6native12_GLOBAL__N_18offset_tEEE10hipError_tPvRmT1_PNSt15iterator_traitsISY_E10value_typeET2_T3_PNSZ_IS14_E10value_typeET4_jRbjT5_S1A_jjP12ihipStream_tbEUljE_EEESV_SW_SX_S14_S18_S1A_T6_T7_T9_mT8_S1C_bDpT10_ENKUlT_T0_E_clISt17integral_constantIbLb0EES1O_IbLb1EEEEDaS1K_S1L_EUlS1K_E_NS1_11comp_targetILNS1_3genE8ELNS1_11target_archE1030ELNS1_3gpuE2ELNS1_3repE0EEENS1_30default_config_static_selectorELNS0_4arch9wavefront6targetE1EEEvSY_
	.p2align	8
	.type	_ZN7rocprim17ROCPRIM_400000_NS6detail17trampoline_kernelINS0_13select_configILj256ELj13ELNS0_17block_load_methodE3ELS4_3ELS4_3ELNS0_20block_scan_algorithmE0ELj4294967295EEENS1_25partition_config_selectorILNS1_17partition_subalgoE3EjNS0_10empty_typeEbEEZZNS1_14partition_implILS8_3ELb0ES6_jNS0_17counting_iteratorIjlEEPS9_SE_NS0_5tupleIJPjSE_EEENSF_IJSE_SE_EEES9_SG_JZNS1_25segmented_radix_sort_implINS0_14default_configELb0EPKdPdPKlPlN2at6native12_GLOBAL__N_18offset_tEEE10hipError_tPvRmT1_PNSt15iterator_traitsISY_E10value_typeET2_T3_PNSZ_IS14_E10value_typeET4_jRbjT5_S1A_jjP12ihipStream_tbEUljE_EEESV_SW_SX_S14_S18_S1A_T6_T7_T9_mT8_S1C_bDpT10_ENKUlT_T0_E_clISt17integral_constantIbLb0EES1O_IbLb1EEEEDaS1K_S1L_EUlS1K_E_NS1_11comp_targetILNS1_3genE8ELNS1_11target_archE1030ELNS1_3gpuE2ELNS1_3repE0EEENS1_30default_config_static_selectorELNS0_4arch9wavefront6targetE1EEEvSY_,@function
_ZN7rocprim17ROCPRIM_400000_NS6detail17trampoline_kernelINS0_13select_configILj256ELj13ELNS0_17block_load_methodE3ELS4_3ELS4_3ELNS0_20block_scan_algorithmE0ELj4294967295EEENS1_25partition_config_selectorILNS1_17partition_subalgoE3EjNS0_10empty_typeEbEEZZNS1_14partition_implILS8_3ELb0ES6_jNS0_17counting_iteratorIjlEEPS9_SE_NS0_5tupleIJPjSE_EEENSF_IJSE_SE_EEES9_SG_JZNS1_25segmented_radix_sort_implINS0_14default_configELb0EPKdPdPKlPlN2at6native12_GLOBAL__N_18offset_tEEE10hipError_tPvRmT1_PNSt15iterator_traitsISY_E10value_typeET2_T3_PNSZ_IS14_E10value_typeET4_jRbjT5_S1A_jjP12ihipStream_tbEUljE_EEESV_SW_SX_S14_S18_S1A_T6_T7_T9_mT8_S1C_bDpT10_ENKUlT_T0_E_clISt17integral_constantIbLb0EES1O_IbLb1EEEEDaS1K_S1L_EUlS1K_E_NS1_11comp_targetILNS1_3genE8ELNS1_11target_archE1030ELNS1_3gpuE2ELNS1_3repE0EEENS1_30default_config_static_selectorELNS0_4arch9wavefront6targetE1EEEvSY_: ; @_ZN7rocprim17ROCPRIM_400000_NS6detail17trampoline_kernelINS0_13select_configILj256ELj13ELNS0_17block_load_methodE3ELS4_3ELS4_3ELNS0_20block_scan_algorithmE0ELj4294967295EEENS1_25partition_config_selectorILNS1_17partition_subalgoE3EjNS0_10empty_typeEbEEZZNS1_14partition_implILS8_3ELb0ES6_jNS0_17counting_iteratorIjlEEPS9_SE_NS0_5tupleIJPjSE_EEENSF_IJSE_SE_EEES9_SG_JZNS1_25segmented_radix_sort_implINS0_14default_configELb0EPKdPdPKlPlN2at6native12_GLOBAL__N_18offset_tEEE10hipError_tPvRmT1_PNSt15iterator_traitsISY_E10value_typeET2_T3_PNSZ_IS14_E10value_typeET4_jRbjT5_S1A_jjP12ihipStream_tbEUljE_EEESV_SW_SX_S14_S18_S1A_T6_T7_T9_mT8_S1C_bDpT10_ENKUlT_T0_E_clISt17integral_constantIbLb0EES1O_IbLb1EEEEDaS1K_S1L_EUlS1K_E_NS1_11comp_targetILNS1_3genE8ELNS1_11target_archE1030ELNS1_3gpuE2ELNS1_3repE0EEENS1_30default_config_static_selectorELNS0_4arch9wavefront6targetE1EEEvSY_
; %bb.0:
	.section	.rodata,"a",@progbits
	.p2align	6, 0x0
	.amdhsa_kernel _ZN7rocprim17ROCPRIM_400000_NS6detail17trampoline_kernelINS0_13select_configILj256ELj13ELNS0_17block_load_methodE3ELS4_3ELS4_3ELNS0_20block_scan_algorithmE0ELj4294967295EEENS1_25partition_config_selectorILNS1_17partition_subalgoE3EjNS0_10empty_typeEbEEZZNS1_14partition_implILS8_3ELb0ES6_jNS0_17counting_iteratorIjlEEPS9_SE_NS0_5tupleIJPjSE_EEENSF_IJSE_SE_EEES9_SG_JZNS1_25segmented_radix_sort_implINS0_14default_configELb0EPKdPdPKlPlN2at6native12_GLOBAL__N_18offset_tEEE10hipError_tPvRmT1_PNSt15iterator_traitsISY_E10value_typeET2_T3_PNSZ_IS14_E10value_typeET4_jRbjT5_S1A_jjP12ihipStream_tbEUljE_EEESV_SW_SX_S14_S18_S1A_T6_T7_T9_mT8_S1C_bDpT10_ENKUlT_T0_E_clISt17integral_constantIbLb0EES1O_IbLb1EEEEDaS1K_S1L_EUlS1K_E_NS1_11comp_targetILNS1_3genE8ELNS1_11target_archE1030ELNS1_3gpuE2ELNS1_3repE0EEENS1_30default_config_static_selectorELNS0_4arch9wavefront6targetE1EEEvSY_
		.amdhsa_group_segment_fixed_size 0
		.amdhsa_private_segment_fixed_size 0
		.amdhsa_kernarg_size 152
		.amdhsa_user_sgpr_count 6
		.amdhsa_user_sgpr_private_segment_buffer 1
		.amdhsa_user_sgpr_dispatch_ptr 0
		.amdhsa_user_sgpr_queue_ptr 0
		.amdhsa_user_sgpr_kernarg_segment_ptr 1
		.amdhsa_user_sgpr_dispatch_id 0
		.amdhsa_user_sgpr_flat_scratch_init 0
		.amdhsa_user_sgpr_kernarg_preload_length 0
		.amdhsa_user_sgpr_kernarg_preload_offset 0
		.amdhsa_user_sgpr_private_segment_size 0
		.amdhsa_uses_dynamic_stack 0
		.amdhsa_system_sgpr_private_segment_wavefront_offset 0
		.amdhsa_system_sgpr_workgroup_id_x 1
		.amdhsa_system_sgpr_workgroup_id_y 0
		.amdhsa_system_sgpr_workgroup_id_z 0
		.amdhsa_system_sgpr_workgroup_info 0
		.amdhsa_system_vgpr_workitem_id 0
		.amdhsa_next_free_vgpr 1
		.amdhsa_next_free_sgpr 0
		.amdhsa_accum_offset 4
		.amdhsa_reserve_vcc 0
		.amdhsa_reserve_flat_scratch 0
		.amdhsa_float_round_mode_32 0
		.amdhsa_float_round_mode_16_64 0
		.amdhsa_float_denorm_mode_32 3
		.amdhsa_float_denorm_mode_16_64 3
		.amdhsa_dx10_clamp 1
		.amdhsa_ieee_mode 1
		.amdhsa_fp16_overflow 0
		.amdhsa_tg_split 0
		.amdhsa_exception_fp_ieee_invalid_op 0
		.amdhsa_exception_fp_denorm_src 0
		.amdhsa_exception_fp_ieee_div_zero 0
		.amdhsa_exception_fp_ieee_overflow 0
		.amdhsa_exception_fp_ieee_underflow 0
		.amdhsa_exception_fp_ieee_inexact 0
		.amdhsa_exception_int_div_zero 0
	.end_amdhsa_kernel
	.section	.text._ZN7rocprim17ROCPRIM_400000_NS6detail17trampoline_kernelINS0_13select_configILj256ELj13ELNS0_17block_load_methodE3ELS4_3ELS4_3ELNS0_20block_scan_algorithmE0ELj4294967295EEENS1_25partition_config_selectorILNS1_17partition_subalgoE3EjNS0_10empty_typeEbEEZZNS1_14partition_implILS8_3ELb0ES6_jNS0_17counting_iteratorIjlEEPS9_SE_NS0_5tupleIJPjSE_EEENSF_IJSE_SE_EEES9_SG_JZNS1_25segmented_radix_sort_implINS0_14default_configELb0EPKdPdPKlPlN2at6native12_GLOBAL__N_18offset_tEEE10hipError_tPvRmT1_PNSt15iterator_traitsISY_E10value_typeET2_T3_PNSZ_IS14_E10value_typeET4_jRbjT5_S1A_jjP12ihipStream_tbEUljE_EEESV_SW_SX_S14_S18_S1A_T6_T7_T9_mT8_S1C_bDpT10_ENKUlT_T0_E_clISt17integral_constantIbLb0EES1O_IbLb1EEEEDaS1K_S1L_EUlS1K_E_NS1_11comp_targetILNS1_3genE8ELNS1_11target_archE1030ELNS1_3gpuE2ELNS1_3repE0EEENS1_30default_config_static_selectorELNS0_4arch9wavefront6targetE1EEEvSY_,"axG",@progbits,_ZN7rocprim17ROCPRIM_400000_NS6detail17trampoline_kernelINS0_13select_configILj256ELj13ELNS0_17block_load_methodE3ELS4_3ELS4_3ELNS0_20block_scan_algorithmE0ELj4294967295EEENS1_25partition_config_selectorILNS1_17partition_subalgoE3EjNS0_10empty_typeEbEEZZNS1_14partition_implILS8_3ELb0ES6_jNS0_17counting_iteratorIjlEEPS9_SE_NS0_5tupleIJPjSE_EEENSF_IJSE_SE_EEES9_SG_JZNS1_25segmented_radix_sort_implINS0_14default_configELb0EPKdPdPKlPlN2at6native12_GLOBAL__N_18offset_tEEE10hipError_tPvRmT1_PNSt15iterator_traitsISY_E10value_typeET2_T3_PNSZ_IS14_E10value_typeET4_jRbjT5_S1A_jjP12ihipStream_tbEUljE_EEESV_SW_SX_S14_S18_S1A_T6_T7_T9_mT8_S1C_bDpT10_ENKUlT_T0_E_clISt17integral_constantIbLb0EES1O_IbLb1EEEEDaS1K_S1L_EUlS1K_E_NS1_11comp_targetILNS1_3genE8ELNS1_11target_archE1030ELNS1_3gpuE2ELNS1_3repE0EEENS1_30default_config_static_selectorELNS0_4arch9wavefront6targetE1EEEvSY_,comdat
.Lfunc_end1218:
	.size	_ZN7rocprim17ROCPRIM_400000_NS6detail17trampoline_kernelINS0_13select_configILj256ELj13ELNS0_17block_load_methodE3ELS4_3ELS4_3ELNS0_20block_scan_algorithmE0ELj4294967295EEENS1_25partition_config_selectorILNS1_17partition_subalgoE3EjNS0_10empty_typeEbEEZZNS1_14partition_implILS8_3ELb0ES6_jNS0_17counting_iteratorIjlEEPS9_SE_NS0_5tupleIJPjSE_EEENSF_IJSE_SE_EEES9_SG_JZNS1_25segmented_radix_sort_implINS0_14default_configELb0EPKdPdPKlPlN2at6native12_GLOBAL__N_18offset_tEEE10hipError_tPvRmT1_PNSt15iterator_traitsISY_E10value_typeET2_T3_PNSZ_IS14_E10value_typeET4_jRbjT5_S1A_jjP12ihipStream_tbEUljE_EEESV_SW_SX_S14_S18_S1A_T6_T7_T9_mT8_S1C_bDpT10_ENKUlT_T0_E_clISt17integral_constantIbLb0EES1O_IbLb1EEEEDaS1K_S1L_EUlS1K_E_NS1_11comp_targetILNS1_3genE8ELNS1_11target_archE1030ELNS1_3gpuE2ELNS1_3repE0EEENS1_30default_config_static_selectorELNS0_4arch9wavefront6targetE1EEEvSY_, .Lfunc_end1218-_ZN7rocprim17ROCPRIM_400000_NS6detail17trampoline_kernelINS0_13select_configILj256ELj13ELNS0_17block_load_methodE3ELS4_3ELS4_3ELNS0_20block_scan_algorithmE0ELj4294967295EEENS1_25partition_config_selectorILNS1_17partition_subalgoE3EjNS0_10empty_typeEbEEZZNS1_14partition_implILS8_3ELb0ES6_jNS0_17counting_iteratorIjlEEPS9_SE_NS0_5tupleIJPjSE_EEENSF_IJSE_SE_EEES9_SG_JZNS1_25segmented_radix_sort_implINS0_14default_configELb0EPKdPdPKlPlN2at6native12_GLOBAL__N_18offset_tEEE10hipError_tPvRmT1_PNSt15iterator_traitsISY_E10value_typeET2_T3_PNSZ_IS14_E10value_typeET4_jRbjT5_S1A_jjP12ihipStream_tbEUljE_EEESV_SW_SX_S14_S18_S1A_T6_T7_T9_mT8_S1C_bDpT10_ENKUlT_T0_E_clISt17integral_constantIbLb0EES1O_IbLb1EEEEDaS1K_S1L_EUlS1K_E_NS1_11comp_targetILNS1_3genE8ELNS1_11target_archE1030ELNS1_3gpuE2ELNS1_3repE0EEENS1_30default_config_static_selectorELNS0_4arch9wavefront6targetE1EEEvSY_
                                        ; -- End function
	.section	.AMDGPU.csdata,"",@progbits
; Kernel info:
; codeLenInByte = 0
; NumSgprs: 4
; NumVgprs: 0
; NumAgprs: 0
; TotalNumVgprs: 0
; ScratchSize: 0
; MemoryBound: 0
; FloatMode: 240
; IeeeMode: 1
; LDSByteSize: 0 bytes/workgroup (compile time only)
; SGPRBlocks: 0
; VGPRBlocks: 0
; NumSGPRsForWavesPerEU: 4
; NumVGPRsForWavesPerEU: 1
; AccumOffset: 4
; Occupancy: 8
; WaveLimiterHint : 0
; COMPUTE_PGM_RSRC2:SCRATCH_EN: 0
; COMPUTE_PGM_RSRC2:USER_SGPR: 6
; COMPUTE_PGM_RSRC2:TRAP_HANDLER: 0
; COMPUTE_PGM_RSRC2:TGID_X_EN: 1
; COMPUTE_PGM_RSRC2:TGID_Y_EN: 0
; COMPUTE_PGM_RSRC2:TGID_Z_EN: 0
; COMPUTE_PGM_RSRC2:TIDIG_COMP_CNT: 0
; COMPUTE_PGM_RSRC3_GFX90A:ACCUM_OFFSET: 0
; COMPUTE_PGM_RSRC3_GFX90A:TG_SPLIT: 0
	.section	.text._ZN7rocprim17ROCPRIM_400000_NS6detail17trampoline_kernelINS0_14default_configENS1_36segmented_radix_sort_config_selectorIdlEEZNS1_25segmented_radix_sort_implIS3_Lb0EPKdPdPKlPlN2at6native12_GLOBAL__N_18offset_tEEE10hipError_tPvRmT1_PNSt15iterator_traitsISK_E10value_typeET2_T3_PNSL_ISQ_E10value_typeET4_jRbjT5_SW_jjP12ihipStream_tbEUlT_E_NS1_11comp_targetILNS1_3genE0ELNS1_11target_archE4294967295ELNS1_3gpuE0ELNS1_3repE0EEENS1_30default_config_static_selectorELNS0_4arch9wavefront6targetE1EEEvSK_,"axG",@progbits,_ZN7rocprim17ROCPRIM_400000_NS6detail17trampoline_kernelINS0_14default_configENS1_36segmented_radix_sort_config_selectorIdlEEZNS1_25segmented_radix_sort_implIS3_Lb0EPKdPdPKlPlN2at6native12_GLOBAL__N_18offset_tEEE10hipError_tPvRmT1_PNSt15iterator_traitsISK_E10value_typeET2_T3_PNSL_ISQ_E10value_typeET4_jRbjT5_SW_jjP12ihipStream_tbEUlT_E_NS1_11comp_targetILNS1_3genE0ELNS1_11target_archE4294967295ELNS1_3gpuE0ELNS1_3repE0EEENS1_30default_config_static_selectorELNS0_4arch9wavefront6targetE1EEEvSK_,comdat
	.globl	_ZN7rocprim17ROCPRIM_400000_NS6detail17trampoline_kernelINS0_14default_configENS1_36segmented_radix_sort_config_selectorIdlEEZNS1_25segmented_radix_sort_implIS3_Lb0EPKdPdPKlPlN2at6native12_GLOBAL__N_18offset_tEEE10hipError_tPvRmT1_PNSt15iterator_traitsISK_E10value_typeET2_T3_PNSL_ISQ_E10value_typeET4_jRbjT5_SW_jjP12ihipStream_tbEUlT_E_NS1_11comp_targetILNS1_3genE0ELNS1_11target_archE4294967295ELNS1_3gpuE0ELNS1_3repE0EEENS1_30default_config_static_selectorELNS0_4arch9wavefront6targetE1EEEvSK_ ; -- Begin function _ZN7rocprim17ROCPRIM_400000_NS6detail17trampoline_kernelINS0_14default_configENS1_36segmented_radix_sort_config_selectorIdlEEZNS1_25segmented_radix_sort_implIS3_Lb0EPKdPdPKlPlN2at6native12_GLOBAL__N_18offset_tEEE10hipError_tPvRmT1_PNSt15iterator_traitsISK_E10value_typeET2_T3_PNSL_ISQ_E10value_typeET4_jRbjT5_SW_jjP12ihipStream_tbEUlT_E_NS1_11comp_targetILNS1_3genE0ELNS1_11target_archE4294967295ELNS1_3gpuE0ELNS1_3repE0EEENS1_30default_config_static_selectorELNS0_4arch9wavefront6targetE1EEEvSK_
	.p2align	8
	.type	_ZN7rocprim17ROCPRIM_400000_NS6detail17trampoline_kernelINS0_14default_configENS1_36segmented_radix_sort_config_selectorIdlEEZNS1_25segmented_radix_sort_implIS3_Lb0EPKdPdPKlPlN2at6native12_GLOBAL__N_18offset_tEEE10hipError_tPvRmT1_PNSt15iterator_traitsISK_E10value_typeET2_T3_PNSL_ISQ_E10value_typeET4_jRbjT5_SW_jjP12ihipStream_tbEUlT_E_NS1_11comp_targetILNS1_3genE0ELNS1_11target_archE4294967295ELNS1_3gpuE0ELNS1_3repE0EEENS1_30default_config_static_selectorELNS0_4arch9wavefront6targetE1EEEvSK_,@function
_ZN7rocprim17ROCPRIM_400000_NS6detail17trampoline_kernelINS0_14default_configENS1_36segmented_radix_sort_config_selectorIdlEEZNS1_25segmented_radix_sort_implIS3_Lb0EPKdPdPKlPlN2at6native12_GLOBAL__N_18offset_tEEE10hipError_tPvRmT1_PNSt15iterator_traitsISK_E10value_typeET2_T3_PNSL_ISQ_E10value_typeET4_jRbjT5_SW_jjP12ihipStream_tbEUlT_E_NS1_11comp_targetILNS1_3genE0ELNS1_11target_archE4294967295ELNS1_3gpuE0ELNS1_3repE0EEENS1_30default_config_static_selectorELNS0_4arch9wavefront6targetE1EEEvSK_: ; @_ZN7rocprim17ROCPRIM_400000_NS6detail17trampoline_kernelINS0_14default_configENS1_36segmented_radix_sort_config_selectorIdlEEZNS1_25segmented_radix_sort_implIS3_Lb0EPKdPdPKlPlN2at6native12_GLOBAL__N_18offset_tEEE10hipError_tPvRmT1_PNSt15iterator_traitsISK_E10value_typeET2_T3_PNSL_ISQ_E10value_typeET4_jRbjT5_SW_jjP12ihipStream_tbEUlT_E_NS1_11comp_targetILNS1_3genE0ELNS1_11target_archE4294967295ELNS1_3gpuE0ELNS1_3repE0EEENS1_30default_config_static_selectorELNS0_4arch9wavefront6targetE1EEEvSK_
; %bb.0:
	.section	.rodata,"a",@progbits
	.p2align	6, 0x0
	.amdhsa_kernel _ZN7rocprim17ROCPRIM_400000_NS6detail17trampoline_kernelINS0_14default_configENS1_36segmented_radix_sort_config_selectorIdlEEZNS1_25segmented_radix_sort_implIS3_Lb0EPKdPdPKlPlN2at6native12_GLOBAL__N_18offset_tEEE10hipError_tPvRmT1_PNSt15iterator_traitsISK_E10value_typeET2_T3_PNSL_ISQ_E10value_typeET4_jRbjT5_SW_jjP12ihipStream_tbEUlT_E_NS1_11comp_targetILNS1_3genE0ELNS1_11target_archE4294967295ELNS1_3gpuE0ELNS1_3repE0EEENS1_30default_config_static_selectorELNS0_4arch9wavefront6targetE1EEEvSK_
		.amdhsa_group_segment_fixed_size 0
		.amdhsa_private_segment_fixed_size 0
		.amdhsa_kernarg_size 96
		.amdhsa_user_sgpr_count 6
		.amdhsa_user_sgpr_private_segment_buffer 1
		.amdhsa_user_sgpr_dispatch_ptr 0
		.amdhsa_user_sgpr_queue_ptr 0
		.amdhsa_user_sgpr_kernarg_segment_ptr 1
		.amdhsa_user_sgpr_dispatch_id 0
		.amdhsa_user_sgpr_flat_scratch_init 0
		.amdhsa_user_sgpr_kernarg_preload_length 0
		.amdhsa_user_sgpr_kernarg_preload_offset 0
		.amdhsa_user_sgpr_private_segment_size 0
		.amdhsa_uses_dynamic_stack 0
		.amdhsa_system_sgpr_private_segment_wavefront_offset 0
		.amdhsa_system_sgpr_workgroup_id_x 1
		.amdhsa_system_sgpr_workgroup_id_y 0
		.amdhsa_system_sgpr_workgroup_id_z 0
		.amdhsa_system_sgpr_workgroup_info 0
		.amdhsa_system_vgpr_workitem_id 0
		.amdhsa_next_free_vgpr 1
		.amdhsa_next_free_sgpr 0
		.amdhsa_accum_offset 4
		.amdhsa_reserve_vcc 0
		.amdhsa_reserve_flat_scratch 0
		.amdhsa_float_round_mode_32 0
		.amdhsa_float_round_mode_16_64 0
		.amdhsa_float_denorm_mode_32 3
		.amdhsa_float_denorm_mode_16_64 3
		.amdhsa_dx10_clamp 1
		.amdhsa_ieee_mode 1
		.amdhsa_fp16_overflow 0
		.amdhsa_tg_split 0
		.amdhsa_exception_fp_ieee_invalid_op 0
		.amdhsa_exception_fp_denorm_src 0
		.amdhsa_exception_fp_ieee_div_zero 0
		.amdhsa_exception_fp_ieee_overflow 0
		.amdhsa_exception_fp_ieee_underflow 0
		.amdhsa_exception_fp_ieee_inexact 0
		.amdhsa_exception_int_div_zero 0
	.end_amdhsa_kernel
	.section	.text._ZN7rocprim17ROCPRIM_400000_NS6detail17trampoline_kernelINS0_14default_configENS1_36segmented_radix_sort_config_selectorIdlEEZNS1_25segmented_radix_sort_implIS3_Lb0EPKdPdPKlPlN2at6native12_GLOBAL__N_18offset_tEEE10hipError_tPvRmT1_PNSt15iterator_traitsISK_E10value_typeET2_T3_PNSL_ISQ_E10value_typeET4_jRbjT5_SW_jjP12ihipStream_tbEUlT_E_NS1_11comp_targetILNS1_3genE0ELNS1_11target_archE4294967295ELNS1_3gpuE0ELNS1_3repE0EEENS1_30default_config_static_selectorELNS0_4arch9wavefront6targetE1EEEvSK_,"axG",@progbits,_ZN7rocprim17ROCPRIM_400000_NS6detail17trampoline_kernelINS0_14default_configENS1_36segmented_radix_sort_config_selectorIdlEEZNS1_25segmented_radix_sort_implIS3_Lb0EPKdPdPKlPlN2at6native12_GLOBAL__N_18offset_tEEE10hipError_tPvRmT1_PNSt15iterator_traitsISK_E10value_typeET2_T3_PNSL_ISQ_E10value_typeET4_jRbjT5_SW_jjP12ihipStream_tbEUlT_E_NS1_11comp_targetILNS1_3genE0ELNS1_11target_archE4294967295ELNS1_3gpuE0ELNS1_3repE0EEENS1_30default_config_static_selectorELNS0_4arch9wavefront6targetE1EEEvSK_,comdat
.Lfunc_end1219:
	.size	_ZN7rocprim17ROCPRIM_400000_NS6detail17trampoline_kernelINS0_14default_configENS1_36segmented_radix_sort_config_selectorIdlEEZNS1_25segmented_radix_sort_implIS3_Lb0EPKdPdPKlPlN2at6native12_GLOBAL__N_18offset_tEEE10hipError_tPvRmT1_PNSt15iterator_traitsISK_E10value_typeET2_T3_PNSL_ISQ_E10value_typeET4_jRbjT5_SW_jjP12ihipStream_tbEUlT_E_NS1_11comp_targetILNS1_3genE0ELNS1_11target_archE4294967295ELNS1_3gpuE0ELNS1_3repE0EEENS1_30default_config_static_selectorELNS0_4arch9wavefront6targetE1EEEvSK_, .Lfunc_end1219-_ZN7rocprim17ROCPRIM_400000_NS6detail17trampoline_kernelINS0_14default_configENS1_36segmented_radix_sort_config_selectorIdlEEZNS1_25segmented_radix_sort_implIS3_Lb0EPKdPdPKlPlN2at6native12_GLOBAL__N_18offset_tEEE10hipError_tPvRmT1_PNSt15iterator_traitsISK_E10value_typeET2_T3_PNSL_ISQ_E10value_typeET4_jRbjT5_SW_jjP12ihipStream_tbEUlT_E_NS1_11comp_targetILNS1_3genE0ELNS1_11target_archE4294967295ELNS1_3gpuE0ELNS1_3repE0EEENS1_30default_config_static_selectorELNS0_4arch9wavefront6targetE1EEEvSK_
                                        ; -- End function
	.section	.AMDGPU.csdata,"",@progbits
; Kernel info:
; codeLenInByte = 0
; NumSgprs: 4
; NumVgprs: 0
; NumAgprs: 0
; TotalNumVgprs: 0
; ScratchSize: 0
; MemoryBound: 0
; FloatMode: 240
; IeeeMode: 1
; LDSByteSize: 0 bytes/workgroup (compile time only)
; SGPRBlocks: 0
; VGPRBlocks: 0
; NumSGPRsForWavesPerEU: 4
; NumVGPRsForWavesPerEU: 1
; AccumOffset: 4
; Occupancy: 8
; WaveLimiterHint : 0
; COMPUTE_PGM_RSRC2:SCRATCH_EN: 0
; COMPUTE_PGM_RSRC2:USER_SGPR: 6
; COMPUTE_PGM_RSRC2:TRAP_HANDLER: 0
; COMPUTE_PGM_RSRC2:TGID_X_EN: 1
; COMPUTE_PGM_RSRC2:TGID_Y_EN: 0
; COMPUTE_PGM_RSRC2:TGID_Z_EN: 0
; COMPUTE_PGM_RSRC2:TIDIG_COMP_CNT: 0
; COMPUTE_PGM_RSRC3_GFX90A:ACCUM_OFFSET: 0
; COMPUTE_PGM_RSRC3_GFX90A:TG_SPLIT: 0
	.section	.text._ZN7rocprim17ROCPRIM_400000_NS6detail17trampoline_kernelINS0_14default_configENS1_36segmented_radix_sort_config_selectorIdlEEZNS1_25segmented_radix_sort_implIS3_Lb0EPKdPdPKlPlN2at6native12_GLOBAL__N_18offset_tEEE10hipError_tPvRmT1_PNSt15iterator_traitsISK_E10value_typeET2_T3_PNSL_ISQ_E10value_typeET4_jRbjT5_SW_jjP12ihipStream_tbEUlT_E_NS1_11comp_targetILNS1_3genE5ELNS1_11target_archE942ELNS1_3gpuE9ELNS1_3repE0EEENS1_30default_config_static_selectorELNS0_4arch9wavefront6targetE1EEEvSK_,"axG",@progbits,_ZN7rocprim17ROCPRIM_400000_NS6detail17trampoline_kernelINS0_14default_configENS1_36segmented_radix_sort_config_selectorIdlEEZNS1_25segmented_radix_sort_implIS3_Lb0EPKdPdPKlPlN2at6native12_GLOBAL__N_18offset_tEEE10hipError_tPvRmT1_PNSt15iterator_traitsISK_E10value_typeET2_T3_PNSL_ISQ_E10value_typeET4_jRbjT5_SW_jjP12ihipStream_tbEUlT_E_NS1_11comp_targetILNS1_3genE5ELNS1_11target_archE942ELNS1_3gpuE9ELNS1_3repE0EEENS1_30default_config_static_selectorELNS0_4arch9wavefront6targetE1EEEvSK_,comdat
	.globl	_ZN7rocprim17ROCPRIM_400000_NS6detail17trampoline_kernelINS0_14default_configENS1_36segmented_radix_sort_config_selectorIdlEEZNS1_25segmented_radix_sort_implIS3_Lb0EPKdPdPKlPlN2at6native12_GLOBAL__N_18offset_tEEE10hipError_tPvRmT1_PNSt15iterator_traitsISK_E10value_typeET2_T3_PNSL_ISQ_E10value_typeET4_jRbjT5_SW_jjP12ihipStream_tbEUlT_E_NS1_11comp_targetILNS1_3genE5ELNS1_11target_archE942ELNS1_3gpuE9ELNS1_3repE0EEENS1_30default_config_static_selectorELNS0_4arch9wavefront6targetE1EEEvSK_ ; -- Begin function _ZN7rocprim17ROCPRIM_400000_NS6detail17trampoline_kernelINS0_14default_configENS1_36segmented_radix_sort_config_selectorIdlEEZNS1_25segmented_radix_sort_implIS3_Lb0EPKdPdPKlPlN2at6native12_GLOBAL__N_18offset_tEEE10hipError_tPvRmT1_PNSt15iterator_traitsISK_E10value_typeET2_T3_PNSL_ISQ_E10value_typeET4_jRbjT5_SW_jjP12ihipStream_tbEUlT_E_NS1_11comp_targetILNS1_3genE5ELNS1_11target_archE942ELNS1_3gpuE9ELNS1_3repE0EEENS1_30default_config_static_selectorELNS0_4arch9wavefront6targetE1EEEvSK_
	.p2align	8
	.type	_ZN7rocprim17ROCPRIM_400000_NS6detail17trampoline_kernelINS0_14default_configENS1_36segmented_radix_sort_config_selectorIdlEEZNS1_25segmented_radix_sort_implIS3_Lb0EPKdPdPKlPlN2at6native12_GLOBAL__N_18offset_tEEE10hipError_tPvRmT1_PNSt15iterator_traitsISK_E10value_typeET2_T3_PNSL_ISQ_E10value_typeET4_jRbjT5_SW_jjP12ihipStream_tbEUlT_E_NS1_11comp_targetILNS1_3genE5ELNS1_11target_archE942ELNS1_3gpuE9ELNS1_3repE0EEENS1_30default_config_static_selectorELNS0_4arch9wavefront6targetE1EEEvSK_,@function
_ZN7rocprim17ROCPRIM_400000_NS6detail17trampoline_kernelINS0_14default_configENS1_36segmented_radix_sort_config_selectorIdlEEZNS1_25segmented_radix_sort_implIS3_Lb0EPKdPdPKlPlN2at6native12_GLOBAL__N_18offset_tEEE10hipError_tPvRmT1_PNSt15iterator_traitsISK_E10value_typeET2_T3_PNSL_ISQ_E10value_typeET4_jRbjT5_SW_jjP12ihipStream_tbEUlT_E_NS1_11comp_targetILNS1_3genE5ELNS1_11target_archE942ELNS1_3gpuE9ELNS1_3repE0EEENS1_30default_config_static_selectorELNS0_4arch9wavefront6targetE1EEEvSK_: ; @_ZN7rocprim17ROCPRIM_400000_NS6detail17trampoline_kernelINS0_14default_configENS1_36segmented_radix_sort_config_selectorIdlEEZNS1_25segmented_radix_sort_implIS3_Lb0EPKdPdPKlPlN2at6native12_GLOBAL__N_18offset_tEEE10hipError_tPvRmT1_PNSt15iterator_traitsISK_E10value_typeET2_T3_PNSL_ISQ_E10value_typeET4_jRbjT5_SW_jjP12ihipStream_tbEUlT_E_NS1_11comp_targetILNS1_3genE5ELNS1_11target_archE942ELNS1_3gpuE9ELNS1_3repE0EEENS1_30default_config_static_selectorELNS0_4arch9wavefront6targetE1EEEvSK_
; %bb.0:
	.section	.rodata,"a",@progbits
	.p2align	6, 0x0
	.amdhsa_kernel _ZN7rocprim17ROCPRIM_400000_NS6detail17trampoline_kernelINS0_14default_configENS1_36segmented_radix_sort_config_selectorIdlEEZNS1_25segmented_radix_sort_implIS3_Lb0EPKdPdPKlPlN2at6native12_GLOBAL__N_18offset_tEEE10hipError_tPvRmT1_PNSt15iterator_traitsISK_E10value_typeET2_T3_PNSL_ISQ_E10value_typeET4_jRbjT5_SW_jjP12ihipStream_tbEUlT_E_NS1_11comp_targetILNS1_3genE5ELNS1_11target_archE942ELNS1_3gpuE9ELNS1_3repE0EEENS1_30default_config_static_selectorELNS0_4arch9wavefront6targetE1EEEvSK_
		.amdhsa_group_segment_fixed_size 0
		.amdhsa_private_segment_fixed_size 0
		.amdhsa_kernarg_size 96
		.amdhsa_user_sgpr_count 6
		.amdhsa_user_sgpr_private_segment_buffer 1
		.amdhsa_user_sgpr_dispatch_ptr 0
		.amdhsa_user_sgpr_queue_ptr 0
		.amdhsa_user_sgpr_kernarg_segment_ptr 1
		.amdhsa_user_sgpr_dispatch_id 0
		.amdhsa_user_sgpr_flat_scratch_init 0
		.amdhsa_user_sgpr_kernarg_preload_length 0
		.amdhsa_user_sgpr_kernarg_preload_offset 0
		.amdhsa_user_sgpr_private_segment_size 0
		.amdhsa_uses_dynamic_stack 0
		.amdhsa_system_sgpr_private_segment_wavefront_offset 0
		.amdhsa_system_sgpr_workgroup_id_x 1
		.amdhsa_system_sgpr_workgroup_id_y 0
		.amdhsa_system_sgpr_workgroup_id_z 0
		.amdhsa_system_sgpr_workgroup_info 0
		.amdhsa_system_vgpr_workitem_id 0
		.amdhsa_next_free_vgpr 1
		.amdhsa_next_free_sgpr 0
		.amdhsa_accum_offset 4
		.amdhsa_reserve_vcc 0
		.amdhsa_reserve_flat_scratch 0
		.amdhsa_float_round_mode_32 0
		.amdhsa_float_round_mode_16_64 0
		.amdhsa_float_denorm_mode_32 3
		.amdhsa_float_denorm_mode_16_64 3
		.amdhsa_dx10_clamp 1
		.amdhsa_ieee_mode 1
		.amdhsa_fp16_overflow 0
		.amdhsa_tg_split 0
		.amdhsa_exception_fp_ieee_invalid_op 0
		.amdhsa_exception_fp_denorm_src 0
		.amdhsa_exception_fp_ieee_div_zero 0
		.amdhsa_exception_fp_ieee_overflow 0
		.amdhsa_exception_fp_ieee_underflow 0
		.amdhsa_exception_fp_ieee_inexact 0
		.amdhsa_exception_int_div_zero 0
	.end_amdhsa_kernel
	.section	.text._ZN7rocprim17ROCPRIM_400000_NS6detail17trampoline_kernelINS0_14default_configENS1_36segmented_radix_sort_config_selectorIdlEEZNS1_25segmented_radix_sort_implIS3_Lb0EPKdPdPKlPlN2at6native12_GLOBAL__N_18offset_tEEE10hipError_tPvRmT1_PNSt15iterator_traitsISK_E10value_typeET2_T3_PNSL_ISQ_E10value_typeET4_jRbjT5_SW_jjP12ihipStream_tbEUlT_E_NS1_11comp_targetILNS1_3genE5ELNS1_11target_archE942ELNS1_3gpuE9ELNS1_3repE0EEENS1_30default_config_static_selectorELNS0_4arch9wavefront6targetE1EEEvSK_,"axG",@progbits,_ZN7rocprim17ROCPRIM_400000_NS6detail17trampoline_kernelINS0_14default_configENS1_36segmented_radix_sort_config_selectorIdlEEZNS1_25segmented_radix_sort_implIS3_Lb0EPKdPdPKlPlN2at6native12_GLOBAL__N_18offset_tEEE10hipError_tPvRmT1_PNSt15iterator_traitsISK_E10value_typeET2_T3_PNSL_ISQ_E10value_typeET4_jRbjT5_SW_jjP12ihipStream_tbEUlT_E_NS1_11comp_targetILNS1_3genE5ELNS1_11target_archE942ELNS1_3gpuE9ELNS1_3repE0EEENS1_30default_config_static_selectorELNS0_4arch9wavefront6targetE1EEEvSK_,comdat
.Lfunc_end1220:
	.size	_ZN7rocprim17ROCPRIM_400000_NS6detail17trampoline_kernelINS0_14default_configENS1_36segmented_radix_sort_config_selectorIdlEEZNS1_25segmented_radix_sort_implIS3_Lb0EPKdPdPKlPlN2at6native12_GLOBAL__N_18offset_tEEE10hipError_tPvRmT1_PNSt15iterator_traitsISK_E10value_typeET2_T3_PNSL_ISQ_E10value_typeET4_jRbjT5_SW_jjP12ihipStream_tbEUlT_E_NS1_11comp_targetILNS1_3genE5ELNS1_11target_archE942ELNS1_3gpuE9ELNS1_3repE0EEENS1_30default_config_static_selectorELNS0_4arch9wavefront6targetE1EEEvSK_, .Lfunc_end1220-_ZN7rocprim17ROCPRIM_400000_NS6detail17trampoline_kernelINS0_14default_configENS1_36segmented_radix_sort_config_selectorIdlEEZNS1_25segmented_radix_sort_implIS3_Lb0EPKdPdPKlPlN2at6native12_GLOBAL__N_18offset_tEEE10hipError_tPvRmT1_PNSt15iterator_traitsISK_E10value_typeET2_T3_PNSL_ISQ_E10value_typeET4_jRbjT5_SW_jjP12ihipStream_tbEUlT_E_NS1_11comp_targetILNS1_3genE5ELNS1_11target_archE942ELNS1_3gpuE9ELNS1_3repE0EEENS1_30default_config_static_selectorELNS0_4arch9wavefront6targetE1EEEvSK_
                                        ; -- End function
	.section	.AMDGPU.csdata,"",@progbits
; Kernel info:
; codeLenInByte = 0
; NumSgprs: 4
; NumVgprs: 0
; NumAgprs: 0
; TotalNumVgprs: 0
; ScratchSize: 0
; MemoryBound: 0
; FloatMode: 240
; IeeeMode: 1
; LDSByteSize: 0 bytes/workgroup (compile time only)
; SGPRBlocks: 0
; VGPRBlocks: 0
; NumSGPRsForWavesPerEU: 4
; NumVGPRsForWavesPerEU: 1
; AccumOffset: 4
; Occupancy: 8
; WaveLimiterHint : 0
; COMPUTE_PGM_RSRC2:SCRATCH_EN: 0
; COMPUTE_PGM_RSRC2:USER_SGPR: 6
; COMPUTE_PGM_RSRC2:TRAP_HANDLER: 0
; COMPUTE_PGM_RSRC2:TGID_X_EN: 1
; COMPUTE_PGM_RSRC2:TGID_Y_EN: 0
; COMPUTE_PGM_RSRC2:TGID_Z_EN: 0
; COMPUTE_PGM_RSRC2:TIDIG_COMP_CNT: 0
; COMPUTE_PGM_RSRC3_GFX90A:ACCUM_OFFSET: 0
; COMPUTE_PGM_RSRC3_GFX90A:TG_SPLIT: 0
	.text
	.p2align	2                               ; -- Begin function _ZN7rocprim17ROCPRIM_400000_NS6detail40segmented_radix_sort_single_block_helperIdlLj256ELj16ELb0EE4sortIPKdPdPKlPlEEbT_T0_T1_T2_jjjjRNS3_12storage_typeE
	.type	_ZN7rocprim17ROCPRIM_400000_NS6detail40segmented_radix_sort_single_block_helperIdlLj256ELj16ELb0EE4sortIPKdPdPKlPlEEbT_T0_T1_T2_jjjjRNS3_12storage_typeE,@function
_ZN7rocprim17ROCPRIM_400000_NS6detail40segmented_radix_sort_single_block_helperIdlLj256ELj16ELb0EE4sortIPKdPdPKlPlEEbT_T0_T1_T2_jjjjRNS3_12storage_typeE: ; @_ZN7rocprim17ROCPRIM_400000_NS6detail40segmented_radix_sort_single_block_helperIdlLj256ELj16ELb0EE4sortIPKdPdPKlPlEEbT_T0_T1_T2_jjjjRNS3_12storage_typeE
; %bb.0:
	s_waitcnt vmcnt(0) expcnt(0) lgkmcnt(0)
	s_or_saveexec_b64 s[4:5], -1
	buffer_store_dword v157, off, s[0:3], s32 offset:124 ; 4-byte Folded Spill
	s_mov_b64 exec, s[4:5]
	v_accvgpr_write_b32 a2, v40             ;  Reload Reuse
	v_accvgpr_write_b32 a3, v41             ;  Reload Reuse
	;; [unrolled: 1-line block ×8, first 2 shown]
	v_accvgpr_write_b32 a10, v56            ;  Reload Reuse
	v_accvgpr_write_b32 a11, v57            ;  Reload Reuse
	;; [unrolled: 1-line block ×22, first 2 shown]
	buffer_store_dword v94, off, s[0:3], s32 offset:120 ; 4-byte Folded Spill
	buffer_store_dword v95, off, s[0:3], s32 offset:116 ; 4-byte Folded Spill
	;; [unrolled: 1-line block ×30, first 2 shown]
	buffer_store_dword v156, off, s[0:3], s32 ; 4-byte Folded Spill
	v_writelane_b32 v157, s34, 0
	v_writelane_b32 v157, s35, 1
	;; [unrolled: 1-line block ×17, first 2 shown]
	v_sub_u32_e32 v152, v9, v8
	s_movk_i32 s4, 0x1001
	v_cmp_gt_u32_e32 vcc, s4, v152
	s_and_saveexec_b64 s[42:43], vcc
	s_cbranch_execz .LBB1221_372
; %bb.1:
	s_movk_i32 s4, 0x800
	v_cmp_lt_u32_e32 vcc, s4, v152
	v_bfe_u32 v15, v31, 10, 10
	v_bfe_u32 v16, v31, 20, 10
	v_mbcnt_lo_u32_b32 v14, -1, 0
	s_and_saveexec_b64 s[4:5], vcc
	s_xor_b64 s[44:45], exec, s[4:5]
	s_cbranch_execz .LBB1221_143
; %bb.2:
	s_load_dwordx2 s[4:5], s[8:9], 0x0
	v_mov_b32_e32 v9, 0
	v_mbcnt_hi_u32_b32 v69, -1, v14
	v_lshlrev_b64 v[20:21], 3, v[8:9]
	v_and_b32_e32 v68, 63, v69
	s_waitcnt lgkmcnt(0)
	s_cmp_lt_u32 s12, s4
	s_cselect_b32 s6, 12, 18
	s_cmp_lt_u32 s13, s5
	s_cselect_b32 s4, 14, 20
	s_add_u32 s4, s8, s4
	s_addc_u32 s5, s9, 0
	s_add_u32 s6, s8, s6
	global_load_ushort v17, v9, s[4:5]
	s_addc_u32 s7, s9, 0
	global_load_ushort v18, v9, s[6:7]
	v_add_co_u32_e32 v0, vcc, v0, v20
	v_addc_co_u32_e32 v1, vcc, v1, v21, vcc
	v_lshlrev_b32_e32 v23, 3, v68
	v_and_b32_e32 v22, 0x3ff, v31
	v_add_co_u32_e32 v14, vcc, v0, v23
	v_addc_co_u32_e32 v19, vcc, 0, v1, vcc
	s_mov_b32 s10, -1
	s_brev_b32 s11, -2
	s_waitcnt vmcnt(1)
	v_mad_u32_u24 v0, v16, v17, v15
	s_waitcnt vmcnt(0)
	v_mad_u64_u32 v[0:1], s[4:5], v0, v18, v[22:23]
	v_lshlrev_b32_e32 v1, 4, v0
	v_and_b32_e32 v8, 0xfffffc00, v1
	v_lshlrev_b64 v[16:17], 3, v[8:9]
	v_or_b32_e32 v1, v8, v68
	v_add_co_u32_e32 v18, vcc, v14, v16
	v_addc_co_u32_e32 v19, vcc, v19, v17, vcc
	v_cmp_lt_u32_e64 s[4:5], v1, v152
	v_pk_mov_b32 v[8:9], s[10:11], s[10:11] op_sel:[0,1]
	s_and_saveexec_b64 s[6:7], s[4:5]
	s_cbranch_execz .LBB1221_4
; %bb.3:
	flat_load_dwordx2 v[8:9], v[18:19]
.LBB1221_4:
	s_or_b64 exec, exec, s[6:7]
	v_or_b32_e32 v14, 64, v1
	v_cmp_lt_u32_e64 s[6:7], v14, v152
	v_pk_mov_b32 v[14:15], s[10:11], s[10:11] op_sel:[0,1]
	s_and_saveexec_b64 s[10:11], s[6:7]
	s_cbranch_execz .LBB1221_6
; %bb.5:
	flat_load_dwordx2 v[14:15], v[18:19] offset:512
.LBB1221_6:
	s_or_b64 exec, exec, s[10:11]
	s_mov_b32 s14, -1
	v_or_b32_e32 v24, 0x80, v1
	s_brev_b32 s15, -2
	v_cmp_lt_u32_e64 s[10:11], v24, v152
	v_pk_mov_b32 v[24:25], s[14:15], s[14:15] op_sel:[0,1]
	s_and_saveexec_b64 s[16:17], s[10:11]
	s_cbranch_execz .LBB1221_8
; %bb.7:
	flat_load_dwordx2 v[24:25], v[18:19] offset:1024
.LBB1221_8:
	s_or_b64 exec, exec, s[16:17]
	v_or_b32_e32 v26, 0xc0, v1
	v_cmp_lt_u32_e64 s[40:41], v26, v152
	v_pk_mov_b32 v[26:27], s[14:15], s[14:15] op_sel:[0,1]
	s_and_saveexec_b64 s[14:15], s[40:41]
	s_cbranch_execz .LBB1221_10
; %bb.9:
	flat_load_dwordx2 v[26:27], v[18:19] offset:1536
.LBB1221_10:
	s_or_b64 exec, exec, s[14:15]
	s_mov_b32 s18, -1
	v_or_b32_e32 v28, 0x100, v1
	s_brev_b32 s19, -2
	v_cmp_lt_u32_e64 s[14:15], v28, v152
	v_pk_mov_b32 v[28:29], s[18:19], s[18:19] op_sel:[0,1]
	s_and_saveexec_b64 s[16:17], s[14:15]
	s_cbranch_execz .LBB1221_12
; %bb.11:
	flat_load_dwordx2 v[28:29], v[18:19] offset:2048
.LBB1221_12:
	;; [unrolled: 20-line block ×3, first 2 shown]
	s_or_b64 exec, exec, s[20:21]
	v_or_b32_e32 v34, 0x1c0, v1
	v_cmp_lt_u32_e64 s[20:21], v34, v152
	v_pk_mov_b32 v[34:35], s[22:23], s[22:23] op_sel:[0,1]
	s_and_saveexec_b64 s[22:23], s[20:21]
	s_cbranch_execz .LBB1221_18
; %bb.17:
	flat_load_dwordx2 v[34:35], v[18:19] offset:3584
.LBB1221_18:
	s_or_b64 exec, exec, s[22:23]
	s_mov_b32 s26, -1
	v_or_b32_e32 v36, 0x200, v1
	s_brev_b32 s27, -2
	v_cmp_lt_u32_e64 s[22:23], v36, v152
	v_pk_mov_b32 v[36:37], s[26:27], s[26:27] op_sel:[0,1]
	s_and_saveexec_b64 s[24:25], s[22:23]
	s_cbranch_execz .LBB1221_20
; %bb.19:
	v_add_co_u32_e32 v36, vcc, 0x1000, v18
	v_addc_co_u32_e32 v37, vcc, 0, v19, vcc
	flat_load_dwordx2 v[36:37], v[36:37]
.LBB1221_20:
	s_or_b64 exec, exec, s[24:25]
	v_or_b32_e32 v38, 0x240, v1
	v_cmp_lt_u32_e64 s[24:25], v38, v152
	v_pk_mov_b32 v[38:39], s[26:27], s[26:27] op_sel:[0,1]
	s_and_saveexec_b64 s[26:27], s[24:25]
	s_cbranch_execz .LBB1221_22
; %bb.21:
	v_add_co_u32_e32 v38, vcc, 0x1000, v18
	v_addc_co_u32_e32 v39, vcc, 0, v19, vcc
	flat_load_dwordx2 v[38:39], v[38:39] offset:512
.LBB1221_22:
	s_or_b64 exec, exec, s[26:27]
	s_mov_b32 s30, -1
	v_or_b32_e32 v48, 0x280, v1
	s_brev_b32 s31, -2
	v_cmp_lt_u32_e64 s[26:27], v48, v152
	v_pk_mov_b32 v[48:49], s[30:31], s[30:31] op_sel:[0,1]
	s_and_saveexec_b64 s[28:29], s[26:27]
	s_cbranch_execz .LBB1221_24
; %bb.23:
	v_add_co_u32_e32 v48, vcc, 0x1000, v18
	v_addc_co_u32_e32 v49, vcc, 0, v19, vcc
	flat_load_dwordx2 v[48:49], v[48:49] offset:1024
.LBB1221_24:
	s_or_b64 exec, exec, s[28:29]
	v_or_b32_e32 v50, 0x2c0, v1
	v_cmp_lt_u32_e64 s[28:29], v50, v152
	v_pk_mov_b32 v[50:51], s[30:31], s[30:31] op_sel:[0,1]
	s_and_saveexec_b64 s[30:31], s[28:29]
	s_cbranch_execz .LBB1221_26
; %bb.25:
	v_add_co_u32_e32 v50, vcc, 0x1000, v18
	v_addc_co_u32_e32 v51, vcc, 0, v19, vcc
	flat_load_dwordx2 v[50:51], v[50:51] offset:1536
.LBB1221_26:
	s_or_b64 exec, exec, s[30:31]
	s_mov_b32 s36, -1
	v_or_b32_e32 v52, 0x300, v1
	s_brev_b32 s37, -2
	v_cmp_lt_u32_e64 s[30:31], v52, v152
	v_pk_mov_b32 v[52:53], s[36:37], s[36:37] op_sel:[0,1]
	s_and_saveexec_b64 s[34:35], s[30:31]
	s_cbranch_execz .LBB1221_28
; %bb.27:
	v_add_co_u32_e32 v52, vcc, 0x1000, v18
	v_addc_co_u32_e32 v53, vcc, 0, v19, vcc
	flat_load_dwordx2 v[52:53], v[52:53] offset:2048
.LBB1221_28:
	;; [unrolled: 24-line block ×3, first 2 shown]
	s_or_b64 exec, exec, s[38:39]
	v_or_b32_e32 v1, 0x3c0, v1
	v_cmp_lt_u32_e64 s[38:39], v1, v152
	v_pk_mov_b32 v[66:67], s[46:47], s[46:47] op_sel:[0,1]
	s_and_saveexec_b64 s[46:47], s[38:39]
	s_cbranch_execz .LBB1221_34
; %bb.33:
	v_add_co_u32_e32 v18, vcc, 0x1000, v18
	v_addc_co_u32_e32 v19, vcc, 0, v19, vcc
	flat_load_dwordx2 v[66:67], v[18:19] offset:3584
.LBB1221_34:
	s_or_b64 exec, exec, s[46:47]
	v_add_co_u32_e32 v1, vcc, v4, v20
	v_addc_co_u32_e32 v4, vcc, v5, v21, vcc
	v_add_co_u32_e32 v1, vcc, v1, v23
	v_addc_co_u32_e32 v5, vcc, 0, v4, vcc
	v_add_co_u32_e32 v4, vcc, v1, v16
	v_addc_co_u32_e32 v5, vcc, v5, v17, vcc
                                        ; implicit-def: $vgpr16_vgpr17
	s_and_saveexec_b64 vcc, s[4:5]
	s_cbranch_execnz .LBB1221_196
; %bb.35:
	s_or_b64 exec, exec, vcc
                                        ; implicit-def: $vgpr18_vgpr19
	s_and_saveexec_b64 s[4:5], s[6:7]
	s_cbranch_execnz .LBB1221_197
.LBB1221_36:
	s_or_b64 exec, exec, s[4:5]
                                        ; implicit-def: $vgpr182_vgpr183
	s_and_saveexec_b64 s[4:5], s[10:11]
	s_cbranch_execnz .LBB1221_198
.LBB1221_37:
	s_or_b64 exec, exec, s[4:5]
                                        ; implicit-def: $vgpr192_vgpr193
	s_and_saveexec_b64 s[4:5], s[40:41]
	s_cbranch_execnz .LBB1221_199
.LBB1221_38:
	s_or_b64 exec, exec, s[4:5]
                                        ; implicit-def: $vgpr194_vgpr195
	s_and_saveexec_b64 s[4:5], s[14:15]
	s_cbranch_execnz .LBB1221_200
.LBB1221_39:
	s_or_b64 exec, exec, s[4:5]
                                        ; implicit-def: $vgpr196_vgpr197
	s_and_saveexec_b64 s[4:5], s[16:17]
	s_cbranch_execnz .LBB1221_201
.LBB1221_40:
	s_or_b64 exec, exec, s[4:5]
                                        ; implicit-def: $vgpr198_vgpr199
	s_and_saveexec_b64 s[4:5], s[18:19]
	s_cbranch_execnz .LBB1221_202
.LBB1221_41:
	s_or_b64 exec, exec, s[4:5]
                                        ; implicit-def: $vgpr208_vgpr209
	s_and_saveexec_b64 s[4:5], s[20:21]
	s_cbranch_execnz .LBB1221_203
.LBB1221_42:
	s_or_b64 exec, exec, s[4:5]
                                        ; implicit-def: $vgpr210_vgpr211
	s_and_saveexec_b64 s[4:5], s[22:23]
	s_cbranch_execnz .LBB1221_204
.LBB1221_43:
	s_or_b64 exec, exec, s[4:5]
                                        ; implicit-def: $vgpr212_vgpr213
	s_and_saveexec_b64 s[4:5], s[24:25]
	s_cbranch_execnz .LBB1221_205
.LBB1221_44:
	s_or_b64 exec, exec, s[4:5]
                                        ; implicit-def: $vgpr214_vgpr215
	s_and_saveexec_b64 s[4:5], s[26:27]
	s_cbranch_execnz .LBB1221_206
.LBB1221_45:
	s_or_b64 exec, exec, s[4:5]
                                        ; implicit-def: $vgpr224_vgpr225
	s_and_saveexec_b64 s[4:5], s[28:29]
	s_cbranch_execnz .LBB1221_207
.LBB1221_46:
	s_or_b64 exec, exec, s[4:5]
                                        ; implicit-def: $vgpr226_vgpr227
	s_and_saveexec_b64 s[4:5], s[30:31]
	s_cbranch_execnz .LBB1221_208
.LBB1221_47:
	s_or_b64 exec, exec, s[4:5]
                                        ; implicit-def: $vgpr228_vgpr229
	s_and_saveexec_b64 s[4:5], s[34:35]
	s_cbranch_execnz .LBB1221_209
.LBB1221_48:
	s_or_b64 exec, exec, s[4:5]
                                        ; implicit-def: $vgpr242_vgpr243
	s_and_saveexec_b64 s[4:5], s[36:37]
	s_cbranch_execnz .LBB1221_210
.LBB1221_49:
	s_or_b64 exec, exec, s[4:5]
                                        ; implicit-def: $agpr0_agpr1
	s_and_saveexec_b64 s[4:5], s[38:39]
	s_cbranch_execz .LBB1221_51
.LBB1221_50:
	v_add_co_u32_e32 v4, vcc, 0x1000, v4
	v_addc_co_u32_e32 v5, vcc, 0, v5, vcc
	flat_load_dwordx2 a[0:1], v[4:5] offset:3584
.LBB1221_51:
	s_or_b64 exec, exec, s[4:5]
	v_bfrev_b32_e32 v1, 1
	s_waitcnt vmcnt(0) lgkmcnt(0)
	v_cmp_lt_i64_e32 vcc, -1, v[8:9]
	v_cndmask_b32_e32 v4, -1, v1, vcc
	v_cmp_lt_i64_e32 vcc, -1, v[14:15]
	v_xor_b32_e32 v231, v4, v9
	v_cndmask_b32_e32 v4, -1, v1, vcc
	v_cmp_lt_i64_e32 vcc, -1, v[24:25]
	v_ashrrev_i32_e32 v5, 31, v9
	v_xor_b32_e32 v241, v4, v15
	v_cndmask_b32_e32 v4, -1, v1, vcc
	v_cmp_lt_i64_e32 vcc, -1, v[26:27]
	v_xor_b32_e32 v230, v5, v8
	v_ashrrev_i32_e32 v5, 31, v15
	v_xor_b32_e32 v245, v4, v25
	v_cndmask_b32_e32 v4, -1, v1, vcc
	v_cmp_lt_i64_e32 vcc, -1, v[28:29]
	v_xor_b32_e32 v240, v5, v14
	;; [unrolled: 5-line block ×13, first 2 shown]
	v_ashrrev_i32_e32 v5, 31, v55
	v_xor_b32_e32 v141, v4, v65
	v_cndmask_b32_e32 v4, -1, v1, vcc
	v_add_co_u32_e32 v23, vcc, 16, v12
	v_xor_b32_e32 v138, v5, v54
	v_ashrrev_i32_e32 v5, 31, v65
	v_addc_co_u32_e32 v153, vcc, 0, v13, vcc
	v_lshlrev_b32_e32 v26, 4, v22
	v_xor_b32_e32 v140, v5, v64
	v_ashrrev_i32_e32 v5, 31, v67
	v_xor_b32_e32 v143, v4, v67
	v_add_co_u32_e32 v4, vcc, v12, v26
	v_xor_b32_e32 v142, v5, v66
	s_getpc_b64 s[4:5]
	s_add_u32 s4, s4, _ZN7rocprim17ROCPRIM_400000_NS16block_radix_sortIdLj256ELj16ElLj1ELj1ELj8ELNS0_26block_radix_rank_algorithmE2ELNS0_18block_padding_hintE2ELNS0_4arch9wavefront6targetE1EE19radix_bits_per_passE@rel32@lo+4
	s_addc_u32 s5, s5, _ZN7rocprim17ROCPRIM_400000_NS16block_radix_sortIdLj256ELj16ElLj1ELj1ELj8ELNS0_26block_radix_rank_algorithmE2ELNS0_18block_padding_hintE2ELNS0_4arch9wavefront6targetE1EE19radix_bits_per_passE@rel32@hi+12
	v_addc_co_u32_e32 v5, vcc, 0, v13, vcc
	v_and_b32_e32 v8, 15, v69
	s_load_dword s48, s[4:5], 0x0
	v_cmp_eq_u32_e32 vcc, 0, v8
	v_cmp_lt_u32_e64 s[4:5], 1, v8
	v_cmp_lt_u32_e64 s[6:7], 3, v8
	;; [unrolled: 1-line block ×3, first 2 shown]
	v_and_b32_e32 v8, 16, v69
	v_cmp_eq_u32_e64 s[34:35], 0, v8
	v_and_b32_e32 v8, 0x3c0, v22
	v_min_u32_e32 v8, 0xc0, v8
	v_or_b32_e32 v8, 63, v8
	v_cmp_eq_u32_e64 s[16:17], v8, v22
	v_add_u32_e32 v8, -1, v69
	v_and_b32_e32 v9, 64, v69
	v_cmp_lt_i32_e64 s[22:23], v8, v9
	v_mov_b32_e32 v14, 0
	v_lshrrev_b32_e32 v24, 6, v22
	v_cndmask_b32_e64 v8, v8, v69, s[22:23]
	v_lshlrev_b32_e32 v155, 2, v8
	v_lshlrev_b32_e32 v8, 2, v24
	v_add_u32_e32 v24, -1, v24
	v_mov_b32_e32 v25, v14
	v_add_co_u32_e64 v8, s[26:27], v12, v8
	v_lshlrev_b64 v[24:25], 2, v[24:25]
	v_lshlrev_b32_e32 v15, 2, v22
	v_addc_co_u32_e64 v9, s[26:27], 0, v13, s[26:27]
	v_add_co_u32_e64 v82, s[30:31], v12, v24
	v_add_co_u32_e64 v80, s[26:27], v12, v15
	v_addc_co_u32_e64 v83, s[30:31], v13, v25, s[30:31]
	v_addc_co_u32_e64 v81, s[26:27], 0, v13, s[26:27]
	v_and_b32_e32 v15, 3, v69
	s_movk_i32 s30, 0x3c00
	v_cmp_eq_u32_e64 s[26:27], 0, v15
	v_cmp_lt_u32_e64 s[28:29], 1, v15
	v_and_or_b32 v15, v26, s30, v68
	v_lshlrev_b32_e32 v15, 3, v15
	v_add_co_u32_e64 v84, s[30:31], v12, v15
	v_addc_co_u32_e64 v85, s[30:31], 0, v13, s[30:31]
	v_or_b32_e32 v24, 0x1000, v15
	v_add_co_u32_e64 v86, s[30:31], v12, v24
	v_addc_co_u32_e64 v87, s[30:31], 0, v13, s[30:31]
	v_or_b32_e32 v24, 0x1200, v15
	;; [unrolled: 3-line block ×8, first 2 shown]
	s_mov_b32 s38, -1
	v_add_co_u32_e64 v116, s[30:31], v12, v15
	s_brev_b32 s39, -2
	v_lshrrev_b32_e32 v154, 6, v0
	v_cmp_lt_u32_e64 s[14:15], 31, v69
	v_cmp_gt_u32_e64 s[18:19], 4, v22
	v_cmp_lt_u32_e64 s[20:21], 63, v22
	v_cmp_eq_u32_e64 s[22:23], 0, v69
	v_cmp_eq_u32_e64 s[24:25], 0, v22
	v_addc_co_u32_e64 v117, s[30:31], 0, v13, s[30:31]
	v_sub_u32_e32 v156, v11, v10
	s_mov_b64 s[40:41], 0
	s_waitcnt lgkmcnt(0)
	s_barrier
	s_branch .LBB1221_53
.LBB1221_52:                            ;   in Loop: Header=BB1221_53 Depth=1
	s_or_b64 exec, exec, s[36:37]
	s_and_b64 s[30:31], exec, s[46:47]
	s_or_b64 s[40:41], s[30:31], s[40:41]
	s_andn2_b64 exec, exec, s[40:41]
	s_cbranch_execz .LBB1221_93
.LBB1221_53:                            ; =>This Inner Loop Header: Depth=1
	s_waitcnt vmcnt(0)
	v_pk_mov_b32 v[180:181], v[230:231], v[230:231] op_sel:[0,1]
	v_pk_mov_b32 v[70:71], v[16:17], v[16:17] op_sel:[0,1]
	;; [unrolled: 1-line block ×3, first 2 shown]
	v_min_u32_e32 v18, s48, v156
	v_mov_b32_e32 v15, v14
	v_mov_b32_e32 v16, v14
	;; [unrolled: 1-line block ×3, first 2 shown]
	v_cmp_ne_u64_e64 s[30:31], s[38:39], v[180:181]
	flat_store_dwordx4 v[4:5], v[14:17] offset:16
	v_pk_mov_b32 v[66:67], v[182:183], v[182:183] op_sel:[0,1]
	v_lshlrev_b32_e64 v15, v18, -1
	v_cndmask_b32_e64 v17, v1, v181, s[30:31]
	v_cndmask_b32_e64 v16, 0, v180, s[30:31]
	v_not_b32_e32 v18, v15
	v_lshrrev_b64 v[16:17], v10, v[16:17]
	v_and_b32_e32 v19, v16, v18
	v_lshl_add_u32 v16, v19, 2, v154
	v_mov_b32_e32 v17, v14
	v_lshlrev_b64 v[16:17], 2, v[16:17]
	v_add_co_u32_e64 v182, s[30:31], v23, v16
	v_addc_co_u32_e64 v183, s[30:31], v153, v17, s[30:31]
	v_and_b32_e32 v15, 1, v19
	v_add_co_u32_e64 v16, s[30:31], -1, v15
	v_addc_co_u32_e64 v17, s[30:31], 0, -1, s[30:31]
	v_cmp_ne_u32_e64 s[30:31], 0, v15
	v_xor_b32_e32 v15, s31, v17
	v_and_b32_e32 v17, exec_hi, v15
	v_lshlrev_b32_e32 v15, 30, v19
	v_xor_b32_e32 v16, s30, v16
	v_cmp_gt_i64_e64 s[30:31], 0, v[14:15]
	v_not_b32_e32 v15, v15
	v_ashrrev_i32_e32 v15, 31, v15
	v_pk_mov_b32 v[64:65], v[192:193], v[192:193] op_sel:[0,1]
	v_and_b32_e32 v16, exec_lo, v16
	v_xor_b32_e32 v192, s31, v15
	v_xor_b32_e32 v15, s30, v15
	v_and_b32_e32 v16, v16, v15
	v_lshlrev_b32_e32 v15, 29, v19
	v_cmp_gt_i64_e64 s[30:31], 0, v[14:15]
	v_not_b32_e32 v15, v15
	v_ashrrev_i32_e32 v15, 31, v15
	v_and_b32_e32 v17, v17, v192
	v_xor_b32_e32 v192, s31, v15
	v_xor_b32_e32 v15, s30, v15
	v_and_b32_e32 v16, v16, v15
	v_lshlrev_b32_e32 v15, 28, v19
	v_cmp_gt_i64_e64 s[30:31], 0, v[14:15]
	v_not_b32_e32 v15, v15
	v_ashrrev_i32_e32 v15, 31, v15
	v_and_b32_e32 v17, v17, v192
	;; [unrolled: 8-line block ×5, first 2 shown]
	v_xor_b32_e32 v192, s31, v15
	v_xor_b32_e32 v15, s30, v15
	v_and_b32_e32 v16, v16, v15
	v_lshlrev_b32_e32 v15, 24, v19
	v_cmp_gt_i64_e64 s[30:31], 0, v[14:15]
	v_not_b32_e32 v15, v15
	v_ashrrev_i32_e32 v15, 31, v15
	v_xor_b32_e32 v19, s31, v15
	v_xor_b32_e32 v15, s30, v15
	v_and_b32_e32 v17, v17, v192
	v_and_b32_e32 v16, v16, v15
	;; [unrolled: 1-line block ×3, first 2 shown]
	v_mbcnt_lo_u32_b32 v15, v16, 0
	v_pk_mov_b32 v[166:167], v[246:247], v[246:247] op_sel:[0,1]
	v_mbcnt_hi_u32_b32 v246, v17, v15
	v_accvgpr_read_b32 v25, a1
	v_cmp_eq_u32_e64 s[30:31], 0, v246
	v_cmp_ne_u64_e64 s[36:37], 0, v[16:17]
	v_pk_mov_b32 v[54:55], v[194:195], v[194:195] op_sel:[0,1]
	v_pk_mov_b32 v[52:53], v[196:197], v[196:197] op_sel:[0,1]
	;; [unrolled: 1-line block ×11, first 2 shown]
	v_accvgpr_read_b32 v24, a0
	v_pk_mov_b32 v[178:179], v[240:241], v[240:241] op_sel:[0,1]
	v_pk_mov_b32 v[176:177], v[244:245], v[244:245] op_sel:[0,1]
	;; [unrolled: 1-line block ×14, first 2 shown]
	s_and_b64 s[36:37], s[36:37], s[30:31]
	s_waitcnt lgkmcnt(0)
	s_barrier
	s_waitcnt lgkmcnt(0)
	; wave barrier
	s_and_saveexec_b64 s[30:31], s[36:37]
	s_cbranch_execz .LBB1221_55
; %bb.54:                               ;   in Loop: Header=BB1221_53 Depth=1
	v_bcnt_u32_b32 v15, v16, 0
	v_bcnt_u32_b32 v15, v17, v15
	flat_store_dword v[182:183], v15
.LBB1221_55:                            ;   in Loop: Header=BB1221_53 Depth=1
	s_or_b64 exec, exec, s[30:31]
	v_cmp_ne_u64_e64 s[30:31], s[38:39], v[178:179]
	v_cndmask_b32_e64 v17, v1, v179, s[30:31]
	v_cndmask_b32_e64 v16, 0, v178, s[30:31]
	v_lshrrev_b64 v[16:17], v10, v[16:17]
	v_and_b32_e32 v19, v16, v18
	v_lshl_add_u32 v16, v19, 2, v154
	v_mov_b32_e32 v17, v14
	v_lshlrev_b64 v[16:17], 2, v[16:17]
	v_add_co_u32_e64 v192, s[30:31], v23, v16
	v_addc_co_u32_e64 v193, s[30:31], v153, v17, s[30:31]
	; wave barrier
	flat_load_dword v247, v[192:193]
	v_and_b32_e32 v15, 1, v19
	v_add_co_u32_e64 v16, s[30:31], -1, v15
	v_addc_co_u32_e64 v17, s[30:31], 0, -1, s[30:31]
	v_cmp_ne_u32_e64 s[30:31], 0, v15
	v_xor_b32_e32 v15, s31, v17
	v_and_b32_e32 v17, exec_hi, v15
	v_lshlrev_b32_e32 v15, 30, v19
	v_xor_b32_e32 v16, s30, v16
	v_cmp_gt_i64_e64 s[30:31], 0, v[14:15]
	v_not_b32_e32 v15, v15
	v_ashrrev_i32_e32 v15, 31, v15
	v_and_b32_e32 v16, exec_lo, v16
	v_xor_b32_e32 v194, s31, v15
	v_xor_b32_e32 v15, s30, v15
	v_and_b32_e32 v16, v16, v15
	v_lshlrev_b32_e32 v15, 29, v19
	v_cmp_gt_i64_e64 s[30:31], 0, v[14:15]
	v_not_b32_e32 v15, v15
	v_ashrrev_i32_e32 v15, 31, v15
	v_and_b32_e32 v17, v17, v194
	v_xor_b32_e32 v194, s31, v15
	v_xor_b32_e32 v15, s30, v15
	v_and_b32_e32 v16, v16, v15
	v_lshlrev_b32_e32 v15, 28, v19
	v_cmp_gt_i64_e64 s[30:31], 0, v[14:15]
	v_not_b32_e32 v15, v15
	v_ashrrev_i32_e32 v15, 31, v15
	v_and_b32_e32 v17, v17, v194
	;; [unrolled: 8-line block ×5, first 2 shown]
	v_xor_b32_e32 v194, s31, v15
	v_xor_b32_e32 v15, s30, v15
	v_and_b32_e32 v16, v16, v15
	v_lshlrev_b32_e32 v15, 24, v19
	v_cmp_gt_i64_e64 s[30:31], 0, v[14:15]
	v_not_b32_e32 v15, v15
	v_ashrrev_i32_e32 v15, 31, v15
	v_xor_b32_e32 v19, s31, v15
	v_xor_b32_e32 v15, s30, v15
	v_and_b32_e32 v17, v17, v194
	v_and_b32_e32 v16, v16, v15
	;; [unrolled: 1-line block ×3, first 2 shown]
	v_mbcnt_lo_u32_b32 v15, v16, 0
	v_mbcnt_hi_u32_b32 v40, v17, v15
	v_cmp_eq_u32_e64 s[30:31], 0, v40
	v_cmp_ne_u64_e64 s[36:37], 0, v[16:17]
	s_and_b64 s[36:37], s[36:37], s[30:31]
	; wave barrier
	s_and_saveexec_b64 s[30:31], s[36:37]
	s_cbranch_execz .LBB1221_57
; %bb.56:                               ;   in Loop: Header=BB1221_53 Depth=1
	v_bcnt_u32_b32 v15, v16, 0
	v_bcnt_u32_b32 v15, v17, v15
	s_waitcnt vmcnt(0) lgkmcnt(0)
	v_add_u32_e32 v15, v247, v15
	flat_store_dword v[192:193], v15
.LBB1221_57:                            ;   in Loop: Header=BB1221_53 Depth=1
	s_or_b64 exec, exec, s[30:31]
	v_cmp_ne_u64_e64 s[30:31], s[38:39], v[176:177]
	v_cndmask_b32_e64 v17, v1, v177, s[30:31]
	v_cndmask_b32_e64 v16, 0, v176, s[30:31]
	v_lshrrev_b64 v[16:17], v10, v[16:17]
	v_and_b32_e32 v19, v16, v18
	v_lshl_add_u32 v16, v19, 2, v154
	v_mov_b32_e32 v17, v14
	v_lshlrev_b64 v[16:17], 2, v[16:17]
	v_add_co_u32_e64 v194, s[30:31], v23, v16
	v_addc_co_u32_e64 v195, s[30:31], v153, v17, s[30:31]
	; wave barrier
	flat_load_dword v41, v[194:195]
	v_and_b32_e32 v15, 1, v19
	v_add_co_u32_e64 v16, s[30:31], -1, v15
	v_addc_co_u32_e64 v17, s[30:31], 0, -1, s[30:31]
	v_cmp_ne_u32_e64 s[30:31], 0, v15
	v_xor_b32_e32 v15, s31, v17
	v_and_b32_e32 v17, exec_hi, v15
	v_lshlrev_b32_e32 v15, 30, v19
	v_xor_b32_e32 v16, s30, v16
	v_cmp_gt_i64_e64 s[30:31], 0, v[14:15]
	v_not_b32_e32 v15, v15
	v_ashrrev_i32_e32 v15, 31, v15
	v_and_b32_e32 v16, exec_lo, v16
	v_xor_b32_e32 v196, s31, v15
	v_xor_b32_e32 v15, s30, v15
	v_and_b32_e32 v16, v16, v15
	v_lshlrev_b32_e32 v15, 29, v19
	v_cmp_gt_i64_e64 s[30:31], 0, v[14:15]
	v_not_b32_e32 v15, v15
	v_ashrrev_i32_e32 v15, 31, v15
	v_and_b32_e32 v17, v17, v196
	v_xor_b32_e32 v196, s31, v15
	v_xor_b32_e32 v15, s30, v15
	v_and_b32_e32 v16, v16, v15
	v_lshlrev_b32_e32 v15, 28, v19
	v_cmp_gt_i64_e64 s[30:31], 0, v[14:15]
	v_not_b32_e32 v15, v15
	v_ashrrev_i32_e32 v15, 31, v15
	v_and_b32_e32 v17, v17, v196
	;; [unrolled: 8-line block ×5, first 2 shown]
	v_xor_b32_e32 v196, s31, v15
	v_xor_b32_e32 v15, s30, v15
	v_and_b32_e32 v16, v16, v15
	v_lshlrev_b32_e32 v15, 24, v19
	v_cmp_gt_i64_e64 s[30:31], 0, v[14:15]
	v_not_b32_e32 v15, v15
	v_ashrrev_i32_e32 v15, 31, v15
	v_xor_b32_e32 v19, s31, v15
	v_xor_b32_e32 v15, s30, v15
	v_and_b32_e32 v17, v17, v196
	v_and_b32_e32 v16, v16, v15
	;; [unrolled: 1-line block ×3, first 2 shown]
	v_mbcnt_lo_u32_b32 v15, v16, 0
	v_mbcnt_hi_u32_b32 v42, v17, v15
	v_cmp_eq_u32_e64 s[30:31], 0, v42
	v_cmp_ne_u64_e64 s[36:37], 0, v[16:17]
	s_and_b64 s[36:37], s[36:37], s[30:31]
	; wave barrier
	s_and_saveexec_b64 s[30:31], s[36:37]
	s_cbranch_execz .LBB1221_59
; %bb.58:                               ;   in Loop: Header=BB1221_53 Depth=1
	v_bcnt_u32_b32 v15, v16, 0
	v_bcnt_u32_b32 v15, v17, v15
	s_waitcnt vmcnt(0) lgkmcnt(0)
	v_add_u32_e32 v15, v41, v15
	flat_store_dword v[194:195], v15
.LBB1221_59:                            ;   in Loop: Header=BB1221_53 Depth=1
	s_or_b64 exec, exec, s[30:31]
	v_cmp_ne_u64_e64 s[30:31], s[38:39], v[166:167]
	v_cndmask_b32_e64 v17, v1, v167, s[30:31]
	v_cndmask_b32_e64 v16, 0, v166, s[30:31]
	v_lshrrev_b64 v[16:17], v10, v[16:17]
	v_and_b32_e32 v19, v16, v18
	v_lshl_add_u32 v16, v19, 2, v154
	v_mov_b32_e32 v17, v14
	v_lshlrev_b64 v[16:17], 2, v[16:17]
	v_add_co_u32_e64 v196, s[30:31], v23, v16
	v_addc_co_u32_e64 v197, s[30:31], v153, v17, s[30:31]
	; wave barrier
	flat_load_dword v43, v[196:197]
	v_and_b32_e32 v15, 1, v19
	v_add_co_u32_e64 v16, s[30:31], -1, v15
	v_addc_co_u32_e64 v17, s[30:31], 0, -1, s[30:31]
	v_cmp_ne_u32_e64 s[30:31], 0, v15
	v_xor_b32_e32 v15, s31, v17
	v_and_b32_e32 v17, exec_hi, v15
	v_lshlrev_b32_e32 v15, 30, v19
	v_xor_b32_e32 v16, s30, v16
	v_cmp_gt_i64_e64 s[30:31], 0, v[14:15]
	v_not_b32_e32 v15, v15
	v_ashrrev_i32_e32 v15, 31, v15
	v_and_b32_e32 v16, exec_lo, v16
	v_xor_b32_e32 v198, s31, v15
	v_xor_b32_e32 v15, s30, v15
	v_and_b32_e32 v16, v16, v15
	v_lshlrev_b32_e32 v15, 29, v19
	v_cmp_gt_i64_e64 s[30:31], 0, v[14:15]
	v_not_b32_e32 v15, v15
	v_ashrrev_i32_e32 v15, 31, v15
	v_and_b32_e32 v17, v17, v198
	v_xor_b32_e32 v198, s31, v15
	v_xor_b32_e32 v15, s30, v15
	v_and_b32_e32 v16, v16, v15
	v_lshlrev_b32_e32 v15, 28, v19
	v_cmp_gt_i64_e64 s[30:31], 0, v[14:15]
	v_not_b32_e32 v15, v15
	v_ashrrev_i32_e32 v15, 31, v15
	v_and_b32_e32 v17, v17, v198
	;; [unrolled: 8-line block ×5, first 2 shown]
	v_xor_b32_e32 v198, s31, v15
	v_xor_b32_e32 v15, s30, v15
	v_and_b32_e32 v16, v16, v15
	v_lshlrev_b32_e32 v15, 24, v19
	v_cmp_gt_i64_e64 s[30:31], 0, v[14:15]
	v_not_b32_e32 v15, v15
	v_ashrrev_i32_e32 v15, 31, v15
	v_xor_b32_e32 v19, s31, v15
	v_xor_b32_e32 v15, s30, v15
	v_and_b32_e32 v17, v17, v198
	v_and_b32_e32 v16, v16, v15
	;; [unrolled: 1-line block ×3, first 2 shown]
	v_mbcnt_lo_u32_b32 v15, v16, 0
	v_mbcnt_hi_u32_b32 v44, v17, v15
	v_cmp_eq_u32_e64 s[30:31], 0, v44
	v_cmp_ne_u64_e64 s[36:37], 0, v[16:17]
	s_and_b64 s[36:37], s[36:37], s[30:31]
	; wave barrier
	s_and_saveexec_b64 s[30:31], s[36:37]
	s_cbranch_execz .LBB1221_61
; %bb.60:                               ;   in Loop: Header=BB1221_53 Depth=1
	v_bcnt_u32_b32 v15, v16, 0
	v_bcnt_u32_b32 v15, v17, v15
	s_waitcnt vmcnt(0) lgkmcnt(0)
	v_add_u32_e32 v15, v43, v15
	flat_store_dword v[196:197], v15
.LBB1221_61:                            ;   in Loop: Header=BB1221_53 Depth=1
	s_or_b64 exec, exec, s[30:31]
	v_cmp_ne_u64_e64 s[30:31], s[38:39], v[164:165]
	v_cndmask_b32_e64 v17, v1, v165, s[30:31]
	v_cndmask_b32_e64 v16, 0, v164, s[30:31]
	v_lshrrev_b64 v[16:17], v10, v[16:17]
	v_and_b32_e32 v19, v16, v18
	v_lshl_add_u32 v16, v19, 2, v154
	v_mov_b32_e32 v17, v14
	v_lshlrev_b64 v[16:17], 2, v[16:17]
	v_add_co_u32_e64 v198, s[30:31], v23, v16
	v_addc_co_u32_e64 v199, s[30:31], v153, v17, s[30:31]
	; wave barrier
	flat_load_dword v45, v[198:199]
	v_and_b32_e32 v15, 1, v19
	v_add_co_u32_e64 v16, s[30:31], -1, v15
	v_addc_co_u32_e64 v17, s[30:31], 0, -1, s[30:31]
	v_cmp_ne_u32_e64 s[30:31], 0, v15
	v_xor_b32_e32 v15, s31, v17
	v_and_b32_e32 v17, exec_hi, v15
	v_lshlrev_b32_e32 v15, 30, v19
	v_xor_b32_e32 v16, s30, v16
	v_cmp_gt_i64_e64 s[30:31], 0, v[14:15]
	v_not_b32_e32 v15, v15
	v_ashrrev_i32_e32 v15, 31, v15
	v_and_b32_e32 v16, exec_lo, v16
	v_xor_b32_e32 v208, s31, v15
	v_xor_b32_e32 v15, s30, v15
	v_and_b32_e32 v16, v16, v15
	v_lshlrev_b32_e32 v15, 29, v19
	v_cmp_gt_i64_e64 s[30:31], 0, v[14:15]
	v_not_b32_e32 v15, v15
	v_ashrrev_i32_e32 v15, 31, v15
	v_and_b32_e32 v17, v17, v208
	v_xor_b32_e32 v208, s31, v15
	v_xor_b32_e32 v15, s30, v15
	v_and_b32_e32 v16, v16, v15
	v_lshlrev_b32_e32 v15, 28, v19
	v_cmp_gt_i64_e64 s[30:31], 0, v[14:15]
	v_not_b32_e32 v15, v15
	v_ashrrev_i32_e32 v15, 31, v15
	v_and_b32_e32 v17, v17, v208
	;; [unrolled: 8-line block ×5, first 2 shown]
	v_xor_b32_e32 v208, s31, v15
	v_xor_b32_e32 v15, s30, v15
	v_and_b32_e32 v16, v16, v15
	v_lshlrev_b32_e32 v15, 24, v19
	v_cmp_gt_i64_e64 s[30:31], 0, v[14:15]
	v_not_b32_e32 v15, v15
	v_ashrrev_i32_e32 v15, 31, v15
	v_xor_b32_e32 v19, s31, v15
	v_xor_b32_e32 v15, s30, v15
	v_and_b32_e32 v17, v17, v208
	v_and_b32_e32 v16, v16, v15
	;; [unrolled: 1-line block ×3, first 2 shown]
	v_mbcnt_lo_u32_b32 v15, v16, 0
	v_mbcnt_hi_u32_b32 v46, v17, v15
	v_cmp_eq_u32_e64 s[30:31], 0, v46
	v_cmp_ne_u64_e64 s[36:37], 0, v[16:17]
	s_and_b64 s[36:37], s[36:37], s[30:31]
	; wave barrier
	s_and_saveexec_b64 s[30:31], s[36:37]
	s_cbranch_execz .LBB1221_63
; %bb.62:                               ;   in Loop: Header=BB1221_53 Depth=1
	v_bcnt_u32_b32 v15, v16, 0
	v_bcnt_u32_b32 v15, v17, v15
	s_waitcnt vmcnt(0) lgkmcnt(0)
	v_add_u32_e32 v15, v45, v15
	flat_store_dword v[198:199], v15
.LBB1221_63:                            ;   in Loop: Header=BB1221_53 Depth=1
	s_or_b64 exec, exec, s[30:31]
	v_cmp_ne_u64_e64 s[30:31], s[38:39], v[162:163]
	v_cndmask_b32_e64 v17, v1, v163, s[30:31]
	v_cndmask_b32_e64 v16, 0, v162, s[30:31]
	v_lshrrev_b64 v[16:17], v10, v[16:17]
	v_and_b32_e32 v19, v16, v18
	v_lshl_add_u32 v16, v19, 2, v154
	v_mov_b32_e32 v17, v14
	v_lshlrev_b64 v[16:17], 2, v[16:17]
	v_add_co_u32_e64 v208, s[30:31], v23, v16
	v_addc_co_u32_e64 v209, s[30:31], v153, v17, s[30:31]
	; wave barrier
	flat_load_dword v47, v[208:209]
	v_and_b32_e32 v15, 1, v19
	v_add_co_u32_e64 v16, s[30:31], -1, v15
	v_addc_co_u32_e64 v17, s[30:31], 0, -1, s[30:31]
	v_cmp_ne_u32_e64 s[30:31], 0, v15
	v_xor_b32_e32 v15, s31, v17
	v_and_b32_e32 v17, exec_hi, v15
	v_lshlrev_b32_e32 v15, 30, v19
	v_xor_b32_e32 v16, s30, v16
	v_cmp_gt_i64_e64 s[30:31], 0, v[14:15]
	v_not_b32_e32 v15, v15
	v_ashrrev_i32_e32 v15, 31, v15
	v_and_b32_e32 v16, exec_lo, v16
	v_xor_b32_e32 v210, s31, v15
	v_xor_b32_e32 v15, s30, v15
	v_and_b32_e32 v16, v16, v15
	v_lshlrev_b32_e32 v15, 29, v19
	v_cmp_gt_i64_e64 s[30:31], 0, v[14:15]
	v_not_b32_e32 v15, v15
	v_ashrrev_i32_e32 v15, 31, v15
	v_and_b32_e32 v17, v17, v210
	v_xor_b32_e32 v210, s31, v15
	v_xor_b32_e32 v15, s30, v15
	v_and_b32_e32 v16, v16, v15
	v_lshlrev_b32_e32 v15, 28, v19
	v_cmp_gt_i64_e64 s[30:31], 0, v[14:15]
	v_not_b32_e32 v15, v15
	v_ashrrev_i32_e32 v15, 31, v15
	v_and_b32_e32 v17, v17, v210
	;; [unrolled: 8-line block ×5, first 2 shown]
	v_xor_b32_e32 v210, s31, v15
	v_xor_b32_e32 v15, s30, v15
	v_and_b32_e32 v16, v16, v15
	v_lshlrev_b32_e32 v15, 24, v19
	v_cmp_gt_i64_e64 s[30:31], 0, v[14:15]
	v_not_b32_e32 v15, v15
	v_ashrrev_i32_e32 v15, 31, v15
	v_xor_b32_e32 v19, s31, v15
	v_xor_b32_e32 v15, s30, v15
	v_and_b32_e32 v17, v17, v210
	v_and_b32_e32 v16, v16, v15
	;; [unrolled: 1-line block ×3, first 2 shown]
	v_mbcnt_lo_u32_b32 v15, v16, 0
	v_mbcnt_hi_u32_b32 v56, v17, v15
	v_cmp_eq_u32_e64 s[30:31], 0, v56
	v_cmp_ne_u64_e64 s[36:37], 0, v[16:17]
	s_and_b64 s[36:37], s[36:37], s[30:31]
	; wave barrier
	s_and_saveexec_b64 s[30:31], s[36:37]
	s_cbranch_execz .LBB1221_65
; %bb.64:                               ;   in Loop: Header=BB1221_53 Depth=1
	v_bcnt_u32_b32 v15, v16, 0
	v_bcnt_u32_b32 v15, v17, v15
	s_waitcnt vmcnt(0) lgkmcnt(0)
	v_add_u32_e32 v15, v47, v15
	flat_store_dword v[208:209], v15
.LBB1221_65:                            ;   in Loop: Header=BB1221_53 Depth=1
	s_or_b64 exec, exec, s[30:31]
	v_cmp_ne_u64_e64 s[30:31], s[38:39], v[160:161]
	v_cndmask_b32_e64 v17, v1, v161, s[30:31]
	v_cndmask_b32_e64 v16, 0, v160, s[30:31]
	v_lshrrev_b64 v[16:17], v10, v[16:17]
	v_and_b32_e32 v19, v16, v18
	v_lshl_add_u32 v16, v19, 2, v154
	v_mov_b32_e32 v17, v14
	v_lshlrev_b64 v[16:17], 2, v[16:17]
	v_add_co_u32_e64 v210, s[30:31], v23, v16
	v_addc_co_u32_e64 v211, s[30:31], v153, v17, s[30:31]
	; wave barrier
	flat_load_dword v57, v[210:211]
	v_and_b32_e32 v15, 1, v19
	v_add_co_u32_e64 v16, s[30:31], -1, v15
	v_addc_co_u32_e64 v17, s[30:31], 0, -1, s[30:31]
	v_cmp_ne_u32_e64 s[30:31], 0, v15
	v_xor_b32_e32 v15, s31, v17
	v_and_b32_e32 v17, exec_hi, v15
	v_lshlrev_b32_e32 v15, 30, v19
	v_xor_b32_e32 v16, s30, v16
	v_cmp_gt_i64_e64 s[30:31], 0, v[14:15]
	v_not_b32_e32 v15, v15
	v_ashrrev_i32_e32 v15, 31, v15
	v_and_b32_e32 v16, exec_lo, v16
	v_xor_b32_e32 v212, s31, v15
	v_xor_b32_e32 v15, s30, v15
	v_and_b32_e32 v16, v16, v15
	v_lshlrev_b32_e32 v15, 29, v19
	v_cmp_gt_i64_e64 s[30:31], 0, v[14:15]
	v_not_b32_e32 v15, v15
	v_ashrrev_i32_e32 v15, 31, v15
	v_and_b32_e32 v17, v17, v212
	v_xor_b32_e32 v212, s31, v15
	v_xor_b32_e32 v15, s30, v15
	v_and_b32_e32 v16, v16, v15
	v_lshlrev_b32_e32 v15, 28, v19
	v_cmp_gt_i64_e64 s[30:31], 0, v[14:15]
	v_not_b32_e32 v15, v15
	v_ashrrev_i32_e32 v15, 31, v15
	v_and_b32_e32 v17, v17, v212
	;; [unrolled: 8-line block ×5, first 2 shown]
	v_xor_b32_e32 v212, s31, v15
	v_xor_b32_e32 v15, s30, v15
	v_and_b32_e32 v16, v16, v15
	v_lshlrev_b32_e32 v15, 24, v19
	v_cmp_gt_i64_e64 s[30:31], 0, v[14:15]
	v_not_b32_e32 v15, v15
	v_ashrrev_i32_e32 v15, 31, v15
	v_xor_b32_e32 v19, s31, v15
	v_xor_b32_e32 v15, s30, v15
	v_and_b32_e32 v17, v17, v212
	v_and_b32_e32 v16, v16, v15
	;; [unrolled: 1-line block ×3, first 2 shown]
	v_mbcnt_lo_u32_b32 v15, v16, 0
	v_mbcnt_hi_u32_b32 v58, v17, v15
	v_cmp_eq_u32_e64 s[30:31], 0, v58
	v_cmp_ne_u64_e64 s[36:37], 0, v[16:17]
	s_and_b64 s[36:37], s[36:37], s[30:31]
	; wave barrier
	s_and_saveexec_b64 s[30:31], s[36:37]
	s_cbranch_execz .LBB1221_67
; %bb.66:                               ;   in Loop: Header=BB1221_53 Depth=1
	v_bcnt_u32_b32 v15, v16, 0
	v_bcnt_u32_b32 v15, v17, v15
	s_waitcnt vmcnt(0) lgkmcnt(0)
	v_add_u32_e32 v15, v57, v15
	flat_store_dword v[210:211], v15
.LBB1221_67:                            ;   in Loop: Header=BB1221_53 Depth=1
	s_or_b64 exec, exec, s[30:31]
	v_cmp_ne_u64_e64 s[30:31], s[38:39], v[150:151]
	v_cndmask_b32_e64 v17, v1, v151, s[30:31]
	v_cndmask_b32_e64 v16, 0, v150, s[30:31]
	v_lshrrev_b64 v[16:17], v10, v[16:17]
	v_and_b32_e32 v19, v16, v18
	v_lshl_add_u32 v16, v19, 2, v154
	v_mov_b32_e32 v17, v14
	v_lshlrev_b64 v[16:17], 2, v[16:17]
	v_add_co_u32_e64 v212, s[30:31], v23, v16
	v_addc_co_u32_e64 v213, s[30:31], v153, v17, s[30:31]
	; wave barrier
	flat_load_dword v59, v[212:213]
	v_and_b32_e32 v15, 1, v19
	v_add_co_u32_e64 v16, s[30:31], -1, v15
	v_addc_co_u32_e64 v17, s[30:31], 0, -1, s[30:31]
	v_cmp_ne_u32_e64 s[30:31], 0, v15
	v_xor_b32_e32 v15, s31, v17
	v_and_b32_e32 v17, exec_hi, v15
	v_lshlrev_b32_e32 v15, 30, v19
	v_xor_b32_e32 v16, s30, v16
	v_cmp_gt_i64_e64 s[30:31], 0, v[14:15]
	v_not_b32_e32 v15, v15
	v_ashrrev_i32_e32 v15, 31, v15
	v_and_b32_e32 v16, exec_lo, v16
	v_xor_b32_e32 v214, s31, v15
	v_xor_b32_e32 v15, s30, v15
	v_and_b32_e32 v16, v16, v15
	v_lshlrev_b32_e32 v15, 29, v19
	v_cmp_gt_i64_e64 s[30:31], 0, v[14:15]
	v_not_b32_e32 v15, v15
	v_ashrrev_i32_e32 v15, 31, v15
	v_and_b32_e32 v17, v17, v214
	v_xor_b32_e32 v214, s31, v15
	v_xor_b32_e32 v15, s30, v15
	v_and_b32_e32 v16, v16, v15
	v_lshlrev_b32_e32 v15, 28, v19
	v_cmp_gt_i64_e64 s[30:31], 0, v[14:15]
	v_not_b32_e32 v15, v15
	v_ashrrev_i32_e32 v15, 31, v15
	v_and_b32_e32 v17, v17, v214
	;; [unrolled: 8-line block ×5, first 2 shown]
	v_xor_b32_e32 v214, s31, v15
	v_xor_b32_e32 v15, s30, v15
	v_and_b32_e32 v16, v16, v15
	v_lshlrev_b32_e32 v15, 24, v19
	v_cmp_gt_i64_e64 s[30:31], 0, v[14:15]
	v_not_b32_e32 v15, v15
	v_ashrrev_i32_e32 v15, 31, v15
	v_xor_b32_e32 v19, s31, v15
	v_xor_b32_e32 v15, s30, v15
	v_and_b32_e32 v17, v17, v214
	v_and_b32_e32 v16, v16, v15
	;; [unrolled: 1-line block ×3, first 2 shown]
	v_mbcnt_lo_u32_b32 v15, v16, 0
	v_mbcnt_hi_u32_b32 v60, v17, v15
	v_cmp_eq_u32_e64 s[30:31], 0, v60
	v_cmp_ne_u64_e64 s[36:37], 0, v[16:17]
	s_and_b64 s[36:37], s[36:37], s[30:31]
	; wave barrier
	s_and_saveexec_b64 s[30:31], s[36:37]
	s_cbranch_execz .LBB1221_69
; %bb.68:                               ;   in Loop: Header=BB1221_53 Depth=1
	v_bcnt_u32_b32 v15, v16, 0
	v_bcnt_u32_b32 v15, v17, v15
	s_waitcnt vmcnt(0) lgkmcnt(0)
	v_add_u32_e32 v15, v59, v15
	flat_store_dword v[212:213], v15
.LBB1221_69:                            ;   in Loop: Header=BB1221_53 Depth=1
	s_or_b64 exec, exec, s[30:31]
	v_cmp_ne_u64_e64 s[30:31], s[38:39], v[148:149]
	v_cndmask_b32_e64 v17, v1, v149, s[30:31]
	v_cndmask_b32_e64 v16, 0, v148, s[30:31]
	v_lshrrev_b64 v[16:17], v10, v[16:17]
	v_and_b32_e32 v19, v16, v18
	v_lshl_add_u32 v16, v19, 2, v154
	v_mov_b32_e32 v17, v14
	v_lshlrev_b64 v[16:17], 2, v[16:17]
	v_add_co_u32_e64 v214, s[30:31], v23, v16
	v_addc_co_u32_e64 v215, s[30:31], v153, v17, s[30:31]
	; wave barrier
	flat_load_dword v61, v[214:215]
	v_and_b32_e32 v15, 1, v19
	v_add_co_u32_e64 v16, s[30:31], -1, v15
	v_addc_co_u32_e64 v17, s[30:31], 0, -1, s[30:31]
	v_cmp_ne_u32_e64 s[30:31], 0, v15
	v_xor_b32_e32 v15, s31, v17
	v_and_b32_e32 v17, exec_hi, v15
	v_lshlrev_b32_e32 v15, 30, v19
	v_xor_b32_e32 v16, s30, v16
	v_cmp_gt_i64_e64 s[30:31], 0, v[14:15]
	v_not_b32_e32 v15, v15
	v_ashrrev_i32_e32 v15, 31, v15
	v_and_b32_e32 v16, exec_lo, v16
	v_xor_b32_e32 v224, s31, v15
	v_xor_b32_e32 v15, s30, v15
	v_and_b32_e32 v16, v16, v15
	v_lshlrev_b32_e32 v15, 29, v19
	v_cmp_gt_i64_e64 s[30:31], 0, v[14:15]
	v_not_b32_e32 v15, v15
	v_ashrrev_i32_e32 v15, 31, v15
	v_and_b32_e32 v17, v17, v224
	v_xor_b32_e32 v224, s31, v15
	v_xor_b32_e32 v15, s30, v15
	v_and_b32_e32 v16, v16, v15
	v_lshlrev_b32_e32 v15, 28, v19
	v_cmp_gt_i64_e64 s[30:31], 0, v[14:15]
	v_not_b32_e32 v15, v15
	v_ashrrev_i32_e32 v15, 31, v15
	v_and_b32_e32 v17, v17, v224
	;; [unrolled: 8-line block ×5, first 2 shown]
	v_xor_b32_e32 v224, s31, v15
	v_xor_b32_e32 v15, s30, v15
	v_and_b32_e32 v16, v16, v15
	v_lshlrev_b32_e32 v15, 24, v19
	v_cmp_gt_i64_e64 s[30:31], 0, v[14:15]
	v_not_b32_e32 v15, v15
	v_ashrrev_i32_e32 v15, 31, v15
	v_xor_b32_e32 v19, s31, v15
	v_xor_b32_e32 v15, s30, v15
	v_and_b32_e32 v17, v17, v224
	v_and_b32_e32 v16, v16, v15
	;; [unrolled: 1-line block ×3, first 2 shown]
	v_mbcnt_lo_u32_b32 v15, v16, 0
	v_mbcnt_hi_u32_b32 v62, v17, v15
	v_cmp_eq_u32_e64 s[30:31], 0, v62
	v_cmp_ne_u64_e64 s[36:37], 0, v[16:17]
	s_and_b64 s[36:37], s[36:37], s[30:31]
	; wave barrier
	s_and_saveexec_b64 s[30:31], s[36:37]
	s_cbranch_execz .LBB1221_71
; %bb.70:                               ;   in Loop: Header=BB1221_53 Depth=1
	v_bcnt_u32_b32 v15, v16, 0
	v_bcnt_u32_b32 v15, v17, v15
	s_waitcnt vmcnt(0) lgkmcnt(0)
	v_add_u32_e32 v15, v61, v15
	flat_store_dword v[214:215], v15
.LBB1221_71:                            ;   in Loop: Header=BB1221_53 Depth=1
	s_or_b64 exec, exec, s[30:31]
	v_cmp_ne_u64_e64 s[30:31], s[38:39], v[146:147]
	v_cndmask_b32_e64 v17, v1, v147, s[30:31]
	v_cndmask_b32_e64 v16, 0, v146, s[30:31]
	v_lshrrev_b64 v[16:17], v10, v[16:17]
	v_and_b32_e32 v19, v16, v18
	v_lshl_add_u32 v16, v19, 2, v154
	v_mov_b32_e32 v17, v14
	v_lshlrev_b64 v[16:17], 2, v[16:17]
	v_add_co_u32_e64 v224, s[30:31], v23, v16
	v_addc_co_u32_e64 v225, s[30:31], v153, v17, s[30:31]
	; wave barrier
	flat_load_dword v63, v[224:225]
	v_and_b32_e32 v15, 1, v19
	v_add_co_u32_e64 v16, s[30:31], -1, v15
	v_addc_co_u32_e64 v17, s[30:31], 0, -1, s[30:31]
	v_cmp_ne_u32_e64 s[30:31], 0, v15
	v_xor_b32_e32 v15, s31, v17
	v_and_b32_e32 v17, exec_hi, v15
	v_lshlrev_b32_e32 v15, 30, v19
	v_xor_b32_e32 v16, s30, v16
	v_cmp_gt_i64_e64 s[30:31], 0, v[14:15]
	v_not_b32_e32 v15, v15
	v_ashrrev_i32_e32 v15, 31, v15
	v_and_b32_e32 v16, exec_lo, v16
	v_xor_b32_e32 v226, s31, v15
	v_xor_b32_e32 v15, s30, v15
	v_and_b32_e32 v16, v16, v15
	v_lshlrev_b32_e32 v15, 29, v19
	v_cmp_gt_i64_e64 s[30:31], 0, v[14:15]
	v_not_b32_e32 v15, v15
	v_ashrrev_i32_e32 v15, 31, v15
	v_and_b32_e32 v17, v17, v226
	v_xor_b32_e32 v226, s31, v15
	v_xor_b32_e32 v15, s30, v15
	v_and_b32_e32 v16, v16, v15
	v_lshlrev_b32_e32 v15, 28, v19
	v_cmp_gt_i64_e64 s[30:31], 0, v[14:15]
	v_not_b32_e32 v15, v15
	v_ashrrev_i32_e32 v15, 31, v15
	v_and_b32_e32 v17, v17, v226
	;; [unrolled: 8-line block ×5, first 2 shown]
	v_xor_b32_e32 v226, s31, v15
	v_xor_b32_e32 v15, s30, v15
	v_and_b32_e32 v16, v16, v15
	v_lshlrev_b32_e32 v15, 24, v19
	v_cmp_gt_i64_e64 s[30:31], 0, v[14:15]
	v_not_b32_e32 v15, v15
	v_ashrrev_i32_e32 v15, 31, v15
	v_xor_b32_e32 v19, s31, v15
	v_xor_b32_e32 v15, s30, v15
	v_and_b32_e32 v17, v17, v226
	v_and_b32_e32 v16, v16, v15
	;; [unrolled: 1-line block ×3, first 2 shown]
	v_mbcnt_lo_u32_b32 v15, v16, 0
	v_mbcnt_hi_u32_b32 v72, v17, v15
	v_cmp_eq_u32_e64 s[30:31], 0, v72
	v_cmp_ne_u64_e64 s[36:37], 0, v[16:17]
	s_and_b64 s[36:37], s[36:37], s[30:31]
	; wave barrier
	s_and_saveexec_b64 s[30:31], s[36:37]
	s_cbranch_execz .LBB1221_73
; %bb.72:                               ;   in Loop: Header=BB1221_53 Depth=1
	v_bcnt_u32_b32 v15, v16, 0
	v_bcnt_u32_b32 v15, v17, v15
	s_waitcnt vmcnt(0) lgkmcnt(0)
	v_add_u32_e32 v15, v63, v15
	flat_store_dword v[224:225], v15
.LBB1221_73:                            ;   in Loop: Header=BB1221_53 Depth=1
	s_or_b64 exec, exec, s[30:31]
	v_cmp_ne_u64_e64 s[30:31], s[38:39], v[144:145]
	v_cndmask_b32_e64 v17, v1, v145, s[30:31]
	v_cndmask_b32_e64 v16, 0, v144, s[30:31]
	v_lshrrev_b64 v[16:17], v10, v[16:17]
	v_and_b32_e32 v19, v16, v18
	v_lshl_add_u32 v16, v19, 2, v154
	v_mov_b32_e32 v17, v14
	v_lshlrev_b64 v[16:17], 2, v[16:17]
	v_add_co_u32_e64 v226, s[30:31], v23, v16
	v_addc_co_u32_e64 v227, s[30:31], v153, v17, s[30:31]
	; wave barrier
	flat_load_dword v73, v[226:227]
	v_and_b32_e32 v15, 1, v19
	v_add_co_u32_e64 v16, s[30:31], -1, v15
	v_addc_co_u32_e64 v17, s[30:31], 0, -1, s[30:31]
	v_cmp_ne_u32_e64 s[30:31], 0, v15
	v_xor_b32_e32 v15, s31, v17
	v_and_b32_e32 v17, exec_hi, v15
	v_lshlrev_b32_e32 v15, 30, v19
	v_xor_b32_e32 v16, s30, v16
	v_cmp_gt_i64_e64 s[30:31], 0, v[14:15]
	v_not_b32_e32 v15, v15
	v_ashrrev_i32_e32 v15, 31, v15
	v_and_b32_e32 v16, exec_lo, v16
	v_xor_b32_e32 v228, s31, v15
	v_xor_b32_e32 v15, s30, v15
	v_and_b32_e32 v16, v16, v15
	v_lshlrev_b32_e32 v15, 29, v19
	v_cmp_gt_i64_e64 s[30:31], 0, v[14:15]
	v_not_b32_e32 v15, v15
	v_ashrrev_i32_e32 v15, 31, v15
	v_and_b32_e32 v17, v17, v228
	v_xor_b32_e32 v228, s31, v15
	v_xor_b32_e32 v15, s30, v15
	v_and_b32_e32 v16, v16, v15
	v_lshlrev_b32_e32 v15, 28, v19
	v_cmp_gt_i64_e64 s[30:31], 0, v[14:15]
	v_not_b32_e32 v15, v15
	v_ashrrev_i32_e32 v15, 31, v15
	v_and_b32_e32 v17, v17, v228
	;; [unrolled: 8-line block ×5, first 2 shown]
	v_xor_b32_e32 v228, s31, v15
	v_xor_b32_e32 v15, s30, v15
	v_and_b32_e32 v16, v16, v15
	v_lshlrev_b32_e32 v15, 24, v19
	v_cmp_gt_i64_e64 s[30:31], 0, v[14:15]
	v_not_b32_e32 v15, v15
	v_ashrrev_i32_e32 v15, 31, v15
	v_xor_b32_e32 v19, s31, v15
	v_xor_b32_e32 v15, s30, v15
	v_and_b32_e32 v17, v17, v228
	v_and_b32_e32 v16, v16, v15
	;; [unrolled: 1-line block ×3, first 2 shown]
	v_mbcnt_lo_u32_b32 v15, v16, 0
	v_mbcnt_hi_u32_b32 v74, v17, v15
	v_cmp_eq_u32_e64 s[30:31], 0, v74
	v_cmp_ne_u64_e64 s[36:37], 0, v[16:17]
	s_and_b64 s[36:37], s[36:37], s[30:31]
	; wave barrier
	s_and_saveexec_b64 s[30:31], s[36:37]
	s_cbranch_execz .LBB1221_75
; %bb.74:                               ;   in Loop: Header=BB1221_53 Depth=1
	v_bcnt_u32_b32 v15, v16, 0
	v_bcnt_u32_b32 v15, v17, v15
	s_waitcnt vmcnt(0) lgkmcnt(0)
	v_add_u32_e32 v15, v73, v15
	flat_store_dword v[226:227], v15
.LBB1221_75:                            ;   in Loop: Header=BB1221_53 Depth=1
	s_or_b64 exec, exec, s[30:31]
	v_cmp_ne_u64_e64 s[30:31], s[38:39], v[134:135]
	v_cndmask_b32_e64 v17, v1, v135, s[30:31]
	v_cndmask_b32_e64 v16, 0, v134, s[30:31]
	v_lshrrev_b64 v[16:17], v10, v[16:17]
	v_and_b32_e32 v19, v16, v18
	v_lshl_add_u32 v16, v19, 2, v154
	v_mov_b32_e32 v17, v14
	v_lshlrev_b64 v[16:17], 2, v[16:17]
	v_add_co_u32_e64 v228, s[30:31], v23, v16
	v_addc_co_u32_e64 v229, s[30:31], v153, v17, s[30:31]
	; wave barrier
	flat_load_dword v75, v[228:229]
	v_and_b32_e32 v15, 1, v19
	v_add_co_u32_e64 v16, s[30:31], -1, v15
	v_addc_co_u32_e64 v17, s[30:31], 0, -1, s[30:31]
	v_cmp_ne_u32_e64 s[30:31], 0, v15
	v_xor_b32_e32 v15, s31, v17
	v_and_b32_e32 v17, exec_hi, v15
	v_lshlrev_b32_e32 v15, 30, v19
	v_xor_b32_e32 v16, s30, v16
	v_cmp_gt_i64_e64 s[30:31], 0, v[14:15]
	v_not_b32_e32 v15, v15
	v_ashrrev_i32_e32 v15, 31, v15
	v_and_b32_e32 v16, exec_lo, v16
	v_xor_b32_e32 v230, s31, v15
	v_xor_b32_e32 v15, s30, v15
	v_and_b32_e32 v16, v16, v15
	v_lshlrev_b32_e32 v15, 29, v19
	v_cmp_gt_i64_e64 s[30:31], 0, v[14:15]
	v_not_b32_e32 v15, v15
	v_ashrrev_i32_e32 v15, 31, v15
	v_and_b32_e32 v17, v17, v230
	v_xor_b32_e32 v230, s31, v15
	v_xor_b32_e32 v15, s30, v15
	v_and_b32_e32 v16, v16, v15
	v_lshlrev_b32_e32 v15, 28, v19
	v_cmp_gt_i64_e64 s[30:31], 0, v[14:15]
	v_not_b32_e32 v15, v15
	v_ashrrev_i32_e32 v15, 31, v15
	v_and_b32_e32 v17, v17, v230
	;; [unrolled: 8-line block ×5, first 2 shown]
	v_xor_b32_e32 v230, s31, v15
	v_xor_b32_e32 v15, s30, v15
	v_and_b32_e32 v16, v16, v15
	v_lshlrev_b32_e32 v15, 24, v19
	v_cmp_gt_i64_e64 s[30:31], 0, v[14:15]
	v_not_b32_e32 v15, v15
	v_ashrrev_i32_e32 v15, 31, v15
	v_xor_b32_e32 v19, s31, v15
	v_xor_b32_e32 v15, s30, v15
	v_and_b32_e32 v17, v17, v230
	v_and_b32_e32 v16, v16, v15
	;; [unrolled: 1-line block ×3, first 2 shown]
	v_mbcnt_lo_u32_b32 v15, v16, 0
	v_mbcnt_hi_u32_b32 v76, v17, v15
	v_cmp_eq_u32_e64 s[30:31], 0, v76
	v_cmp_ne_u64_e64 s[36:37], 0, v[16:17]
	s_and_b64 s[36:37], s[36:37], s[30:31]
	; wave barrier
	s_and_saveexec_b64 s[30:31], s[36:37]
	s_cbranch_execz .LBB1221_77
; %bb.76:                               ;   in Loop: Header=BB1221_53 Depth=1
	v_bcnt_u32_b32 v15, v16, 0
	v_bcnt_u32_b32 v15, v17, v15
	s_waitcnt vmcnt(0) lgkmcnt(0)
	v_add_u32_e32 v15, v75, v15
	flat_store_dword v[228:229], v15
.LBB1221_77:                            ;   in Loop: Header=BB1221_53 Depth=1
	s_or_b64 exec, exec, s[30:31]
	v_cmp_ne_u64_e64 s[30:31], s[38:39], v[132:133]
	v_cndmask_b32_e64 v17, v1, v133, s[30:31]
	v_cndmask_b32_e64 v16, 0, v132, s[30:31]
	v_lshrrev_b64 v[16:17], v10, v[16:17]
	v_and_b32_e32 v19, v16, v18
	v_lshl_add_u32 v16, v19, 2, v154
	v_mov_b32_e32 v17, v14
	v_lshlrev_b64 v[16:17], 2, v[16:17]
	v_add_co_u32_e64 v230, s[30:31], v23, v16
	v_addc_co_u32_e64 v231, s[30:31], v153, v17, s[30:31]
	; wave barrier
	flat_load_dword v77, v[230:231]
	v_and_b32_e32 v15, 1, v19
	v_add_co_u32_e64 v16, s[30:31], -1, v15
	v_addc_co_u32_e64 v17, s[30:31], 0, -1, s[30:31]
	v_cmp_ne_u32_e64 s[30:31], 0, v15
	v_xor_b32_e32 v15, s31, v17
	v_and_b32_e32 v17, exec_hi, v15
	v_lshlrev_b32_e32 v15, 30, v19
	v_xor_b32_e32 v16, s30, v16
	v_cmp_gt_i64_e64 s[30:31], 0, v[14:15]
	v_not_b32_e32 v15, v15
	v_ashrrev_i32_e32 v15, 31, v15
	v_and_b32_e32 v16, exec_lo, v16
	v_xor_b32_e32 v240, s31, v15
	v_xor_b32_e32 v15, s30, v15
	v_and_b32_e32 v16, v16, v15
	v_lshlrev_b32_e32 v15, 29, v19
	v_cmp_gt_i64_e64 s[30:31], 0, v[14:15]
	v_not_b32_e32 v15, v15
	v_ashrrev_i32_e32 v15, 31, v15
	v_and_b32_e32 v17, v17, v240
	v_xor_b32_e32 v240, s31, v15
	v_xor_b32_e32 v15, s30, v15
	v_and_b32_e32 v16, v16, v15
	v_lshlrev_b32_e32 v15, 28, v19
	v_cmp_gt_i64_e64 s[30:31], 0, v[14:15]
	v_not_b32_e32 v15, v15
	v_ashrrev_i32_e32 v15, 31, v15
	v_and_b32_e32 v17, v17, v240
	;; [unrolled: 8-line block ×5, first 2 shown]
	v_xor_b32_e32 v240, s31, v15
	v_xor_b32_e32 v15, s30, v15
	v_and_b32_e32 v16, v16, v15
	v_lshlrev_b32_e32 v15, 24, v19
	v_cmp_gt_i64_e64 s[30:31], 0, v[14:15]
	v_not_b32_e32 v15, v15
	v_ashrrev_i32_e32 v15, 31, v15
	v_xor_b32_e32 v19, s31, v15
	v_xor_b32_e32 v15, s30, v15
	v_and_b32_e32 v17, v17, v240
	v_and_b32_e32 v16, v16, v15
	;; [unrolled: 1-line block ×3, first 2 shown]
	v_mbcnt_lo_u32_b32 v15, v16, 0
	v_mbcnt_hi_u32_b32 v78, v17, v15
	v_cmp_eq_u32_e64 s[30:31], 0, v78
	v_cmp_ne_u64_e64 s[36:37], 0, v[16:17]
	s_and_b64 s[36:37], s[36:37], s[30:31]
	; wave barrier
	s_and_saveexec_b64 s[30:31], s[36:37]
	s_cbranch_execz .LBB1221_79
; %bb.78:                               ;   in Loop: Header=BB1221_53 Depth=1
	v_bcnt_u32_b32 v15, v16, 0
	v_bcnt_u32_b32 v15, v17, v15
	s_waitcnt vmcnt(0) lgkmcnt(0)
	v_add_u32_e32 v15, v77, v15
	flat_store_dword v[230:231], v15
.LBB1221_79:                            ;   in Loop: Header=BB1221_53 Depth=1
	s_or_b64 exec, exec, s[30:31]
	v_cmp_ne_u64_e64 s[30:31], s[38:39], v[130:131]
	v_cndmask_b32_e64 v17, v1, v131, s[30:31]
	v_cndmask_b32_e64 v16, 0, v130, s[30:31]
	v_lshrrev_b64 v[16:17], v10, v[16:17]
	v_and_b32_e32 v19, v16, v18
	v_lshl_add_u32 v16, v19, 2, v154
	v_mov_b32_e32 v17, v14
	v_lshlrev_b64 v[16:17], 2, v[16:17]
	v_add_co_u32_e64 v240, s[30:31], v23, v16
	v_addc_co_u32_e64 v241, s[30:31], v153, v17, s[30:31]
	; wave barrier
	flat_load_dword v79, v[240:241]
	v_and_b32_e32 v15, 1, v19
	v_add_co_u32_e64 v16, s[30:31], -1, v15
	v_addc_co_u32_e64 v17, s[30:31], 0, -1, s[30:31]
	v_cmp_ne_u32_e64 s[30:31], 0, v15
	v_xor_b32_e32 v15, s31, v17
	v_and_b32_e32 v17, exec_hi, v15
	v_lshlrev_b32_e32 v15, 30, v19
	v_xor_b32_e32 v16, s30, v16
	v_cmp_gt_i64_e64 s[30:31], 0, v[14:15]
	v_not_b32_e32 v15, v15
	v_ashrrev_i32_e32 v15, 31, v15
	v_and_b32_e32 v16, exec_lo, v16
	v_xor_b32_e32 v242, s31, v15
	v_xor_b32_e32 v15, s30, v15
	v_and_b32_e32 v16, v16, v15
	v_lshlrev_b32_e32 v15, 29, v19
	v_cmp_gt_i64_e64 s[30:31], 0, v[14:15]
	v_not_b32_e32 v15, v15
	v_ashrrev_i32_e32 v15, 31, v15
	v_and_b32_e32 v17, v17, v242
	v_xor_b32_e32 v242, s31, v15
	v_xor_b32_e32 v15, s30, v15
	v_and_b32_e32 v16, v16, v15
	v_lshlrev_b32_e32 v15, 28, v19
	v_cmp_gt_i64_e64 s[30:31], 0, v[14:15]
	v_not_b32_e32 v15, v15
	v_ashrrev_i32_e32 v15, 31, v15
	v_and_b32_e32 v17, v17, v242
	;; [unrolled: 8-line block ×5, first 2 shown]
	v_xor_b32_e32 v242, s31, v15
	v_xor_b32_e32 v15, s30, v15
	v_and_b32_e32 v16, v16, v15
	v_lshlrev_b32_e32 v15, 24, v19
	v_cmp_gt_i64_e64 s[30:31], 0, v[14:15]
	v_not_b32_e32 v15, v15
	v_ashrrev_i32_e32 v15, 31, v15
	v_xor_b32_e32 v19, s31, v15
	v_xor_b32_e32 v15, s30, v15
	v_and_b32_e32 v17, v17, v242
	v_and_b32_e32 v16, v16, v15
	;; [unrolled: 1-line block ×3, first 2 shown]
	v_mbcnt_lo_u32_b32 v15, v16, 0
	v_mbcnt_hi_u32_b32 v88, v17, v15
	v_cmp_eq_u32_e64 s[30:31], 0, v88
	v_cmp_ne_u64_e64 s[36:37], 0, v[16:17]
	s_and_b64 s[36:37], s[36:37], s[30:31]
	; wave barrier
	s_and_saveexec_b64 s[30:31], s[36:37]
	s_cbranch_execz .LBB1221_81
; %bb.80:                               ;   in Loop: Header=BB1221_53 Depth=1
	v_bcnt_u32_b32 v15, v16, 0
	v_bcnt_u32_b32 v15, v17, v15
	s_waitcnt vmcnt(0) lgkmcnt(0)
	v_add_u32_e32 v15, v79, v15
	flat_store_dword v[240:241], v15
.LBB1221_81:                            ;   in Loop: Header=BB1221_53 Depth=1
	s_or_b64 exec, exec, s[30:31]
	v_cmp_ne_u64_e64 s[30:31], s[38:39], v[128:129]
	v_cndmask_b32_e64 v17, v1, v129, s[30:31]
	v_cndmask_b32_e64 v16, 0, v128, s[30:31]
	v_lshrrev_b64 v[16:17], v10, v[16:17]
	v_and_b32_e32 v19, v16, v18
	v_lshl_add_u32 v16, v19, 2, v154
	v_mov_b32_e32 v17, v14
	v_lshlrev_b64 v[16:17], 2, v[16:17]
	v_add_co_u32_e64 v242, s[30:31], v23, v16
	v_addc_co_u32_e64 v243, s[30:31], v153, v17, s[30:31]
	; wave barrier
	flat_load_dword v89, v[242:243]
	v_and_b32_e32 v15, 1, v19
	v_add_co_u32_e64 v16, s[30:31], -1, v15
	v_addc_co_u32_e64 v17, s[30:31], 0, -1, s[30:31]
	v_cmp_ne_u32_e64 s[30:31], 0, v15
	v_xor_b32_e32 v15, s31, v17
	v_and_b32_e32 v17, exec_hi, v15
	v_lshlrev_b32_e32 v15, 30, v19
	v_xor_b32_e32 v16, s30, v16
	v_cmp_gt_i64_e64 s[30:31], 0, v[14:15]
	v_not_b32_e32 v15, v15
	v_ashrrev_i32_e32 v15, 31, v15
	v_and_b32_e32 v16, exec_lo, v16
	v_xor_b32_e32 v244, s31, v15
	v_xor_b32_e32 v15, s30, v15
	v_and_b32_e32 v16, v16, v15
	v_lshlrev_b32_e32 v15, 29, v19
	v_cmp_gt_i64_e64 s[30:31], 0, v[14:15]
	v_not_b32_e32 v15, v15
	v_ashrrev_i32_e32 v15, 31, v15
	v_and_b32_e32 v17, v17, v244
	v_xor_b32_e32 v244, s31, v15
	v_xor_b32_e32 v15, s30, v15
	v_and_b32_e32 v16, v16, v15
	v_lshlrev_b32_e32 v15, 28, v19
	v_cmp_gt_i64_e64 s[30:31], 0, v[14:15]
	v_not_b32_e32 v15, v15
	v_ashrrev_i32_e32 v15, 31, v15
	v_and_b32_e32 v17, v17, v244
	;; [unrolled: 8-line block ×5, first 2 shown]
	v_xor_b32_e32 v244, s31, v15
	v_xor_b32_e32 v15, s30, v15
	v_and_b32_e32 v16, v16, v15
	v_lshlrev_b32_e32 v15, 24, v19
	v_cmp_gt_i64_e64 s[30:31], 0, v[14:15]
	v_not_b32_e32 v15, v15
	v_ashrrev_i32_e32 v15, 31, v15
	v_xor_b32_e32 v19, s31, v15
	v_xor_b32_e32 v15, s30, v15
	v_and_b32_e32 v17, v17, v244
	v_and_b32_e32 v16, v16, v15
	;; [unrolled: 1-line block ×3, first 2 shown]
	v_mbcnt_lo_u32_b32 v15, v16, 0
	v_mbcnt_hi_u32_b32 v90, v17, v15
	v_cmp_eq_u32_e64 s[30:31], 0, v90
	v_cmp_ne_u64_e64 s[36:37], 0, v[16:17]
	s_and_b64 s[36:37], s[36:37], s[30:31]
	; wave barrier
	s_and_saveexec_b64 s[30:31], s[36:37]
	s_cbranch_execz .LBB1221_83
; %bb.82:                               ;   in Loop: Header=BB1221_53 Depth=1
	v_bcnt_u32_b32 v15, v16, 0
	v_bcnt_u32_b32 v15, v17, v15
	s_waitcnt vmcnt(0) lgkmcnt(0)
	v_add_u32_e32 v15, v89, v15
	flat_store_dword v[242:243], v15
.LBB1221_83:                            ;   in Loop: Header=BB1221_53 Depth=1
	s_or_b64 exec, exec, s[30:31]
	v_cmp_ne_u64_e64 s[30:31], s[38:39], v[118:119]
	v_cndmask_b32_e64 v17, v1, v119, s[30:31]
	v_cndmask_b32_e64 v16, 0, v118, s[30:31]
	v_lshrrev_b64 v[16:17], v10, v[16:17]
	v_and_b32_e32 v18, v16, v18
	v_lshl_add_u32 v16, v18, 2, v154
	v_mov_b32_e32 v17, v14
	v_lshlrev_b64 v[16:17], 2, v[16:17]
	v_add_co_u32_e64 v244, s[30:31], v23, v16
	v_addc_co_u32_e64 v245, s[30:31], v153, v17, s[30:31]
	; wave barrier
	flat_load_dword v91, v[244:245]
	v_and_b32_e32 v15, 1, v18
	v_add_co_u32_e64 v16, s[30:31], -1, v15
	v_addc_co_u32_e64 v17, s[30:31], 0, -1, s[30:31]
	v_cmp_ne_u32_e64 s[30:31], 0, v15
	v_xor_b32_e32 v15, s31, v17
	v_and_b32_e32 v17, exec_hi, v15
	v_lshlrev_b32_e32 v15, 30, v18
	v_xor_b32_e32 v16, s30, v16
	v_cmp_gt_i64_e64 s[30:31], 0, v[14:15]
	v_not_b32_e32 v15, v15
	v_ashrrev_i32_e32 v15, 31, v15
	v_and_b32_e32 v16, exec_lo, v16
	v_xor_b32_e32 v19, s31, v15
	v_xor_b32_e32 v15, s30, v15
	v_and_b32_e32 v16, v16, v15
	v_lshlrev_b32_e32 v15, 29, v18
	v_cmp_gt_i64_e64 s[30:31], 0, v[14:15]
	v_not_b32_e32 v15, v15
	v_ashrrev_i32_e32 v15, 31, v15
	v_and_b32_e32 v17, v17, v19
	v_xor_b32_e32 v19, s31, v15
	v_xor_b32_e32 v15, s30, v15
	v_and_b32_e32 v16, v16, v15
	v_lshlrev_b32_e32 v15, 28, v18
	v_cmp_gt_i64_e64 s[30:31], 0, v[14:15]
	v_not_b32_e32 v15, v15
	v_ashrrev_i32_e32 v15, 31, v15
	v_and_b32_e32 v17, v17, v19
	;; [unrolled: 8-line block ×5, first 2 shown]
	v_xor_b32_e32 v19, s31, v15
	v_xor_b32_e32 v15, s30, v15
	v_and_b32_e32 v16, v16, v15
	v_lshlrev_b32_e32 v15, 24, v18
	v_cmp_gt_i64_e64 s[30:31], 0, v[14:15]
	v_not_b32_e32 v15, v15
	v_ashrrev_i32_e32 v15, 31, v15
	v_xor_b32_e32 v18, s31, v15
	v_xor_b32_e32 v15, s30, v15
	v_and_b32_e32 v17, v17, v19
	v_and_b32_e32 v16, v16, v15
	;; [unrolled: 1-line block ×3, first 2 shown]
	v_mbcnt_lo_u32_b32 v15, v16, 0
	v_mbcnt_hi_u32_b32 v15, v17, v15
	v_cmp_eq_u32_e64 s[30:31], 0, v15
	v_cmp_ne_u64_e64 s[36:37], 0, v[16:17]
	s_and_b64 s[36:37], s[36:37], s[30:31]
	; wave barrier
	s_and_saveexec_b64 s[30:31], s[36:37]
	s_cbranch_execz .LBB1221_85
; %bb.84:                               ;   in Loop: Header=BB1221_53 Depth=1
	v_bcnt_u32_b32 v16, v16, 0
	v_bcnt_u32_b32 v16, v17, v16
	s_waitcnt vmcnt(0) lgkmcnt(0)
	v_add_u32_e32 v16, v91, v16
	flat_store_dword v[244:245], v16
.LBB1221_85:                            ;   in Loop: Header=BB1221_53 Depth=1
	s_or_b64 exec, exec, s[30:31]
	; wave barrier
	s_waitcnt lgkmcnt(0)
	s_barrier
	flat_load_dwordx4 v[16:19], v[4:5] offset:16
	s_waitcnt vmcnt(0) lgkmcnt(0)
	v_add_u32_e32 v92, v17, v16
	v_add3_u32 v19, v92, v18, v19
	s_nop 1
	v_mov_b32_dpp v92, v19 row_shr:1 row_mask:0xf bank_mask:0xf
	v_cndmask_b32_e64 v92, v92, 0, vcc
	v_add_u32_e32 v19, v92, v19
	s_nop 1
	v_mov_b32_dpp v92, v19 row_shr:2 row_mask:0xf bank_mask:0xf
	v_cndmask_b32_e64 v92, 0, v92, s[4:5]
	v_add_u32_e32 v19, v19, v92
	s_nop 1
	v_mov_b32_dpp v92, v19 row_shr:4 row_mask:0xf bank_mask:0xf
	v_cndmask_b32_e64 v92, 0, v92, s[6:7]
	;; [unrolled: 4-line block ×3, first 2 shown]
	v_add_u32_e32 v19, v19, v92
	s_nop 1
	v_mov_b32_dpp v92, v19 row_bcast:15 row_mask:0xf bank_mask:0xf
	v_cndmask_b32_e64 v92, v92, 0, s[34:35]
	v_add_u32_e32 v19, v19, v92
	s_nop 1
	v_mov_b32_dpp v92, v19 row_bcast:31 row_mask:0xf bank_mask:0xf
	v_cndmask_b32_e64 v92, 0, v92, s[14:15]
	v_add_u32_e32 v19, v19, v92
	s_and_saveexec_b64 s[30:31], s[16:17]
	s_cbranch_execz .LBB1221_87
; %bb.86:                               ;   in Loop: Header=BB1221_53 Depth=1
	flat_store_dword v[8:9], v19
.LBB1221_87:                            ;   in Loop: Header=BB1221_53 Depth=1
	s_or_b64 exec, exec, s[30:31]
	s_waitcnt lgkmcnt(0)
	s_barrier
	s_and_saveexec_b64 s[30:31], s[18:19]
	s_cbranch_execz .LBB1221_89
; %bb.88:                               ;   in Loop: Header=BB1221_53 Depth=1
	flat_load_dword v92, v[80:81]
	s_waitcnt vmcnt(0) lgkmcnt(0)
	s_nop 0
	v_mov_b32_dpp v93, v92 row_shr:1 row_mask:0xf bank_mask:0xf
	v_cndmask_b32_e64 v93, v93, 0, s[26:27]
	v_add_u32_e32 v92, v93, v92
	s_nop 1
	v_mov_b32_dpp v93, v92 row_shr:2 row_mask:0xf bank_mask:0xf
	v_cndmask_b32_e64 v93, 0, v93, s[28:29]
	v_add_u32_e32 v92, v92, v93
	flat_store_dword v[80:81], v92
.LBB1221_89:                            ;   in Loop: Header=BB1221_53 Depth=1
	s_or_b64 exec, exec, s[30:31]
	v_mov_b32_e32 v92, 0
	s_waitcnt lgkmcnt(0)
	s_barrier
	s_and_saveexec_b64 s[30:31], s[20:21]
	s_cbranch_execz .LBB1221_91
; %bb.90:                               ;   in Loop: Header=BB1221_53 Depth=1
	flat_load_dword v92, v[82:83]
.LBB1221_91:                            ;   in Loop: Header=BB1221_53 Depth=1
	s_or_b64 exec, exec, s[30:31]
	s_waitcnt vmcnt(0) lgkmcnt(0)
	v_add_u32_e32 v19, v92, v19
	ds_bpermute_b32 v19, v155, v19
	v_add_u32_e32 v10, 8, v10
	v_cmp_lt_u32_e64 s[30:31], v10, v11
	s_mov_b64 s[46:47], -1
                                        ; implicit-def: $agpr0_agpr1
                                        ; implicit-def: $vgpr106_vgpr107
                                        ; implicit-def: $vgpr120_vgpr121
                                        ; implicit-def: $vgpr124_vgpr125
                                        ; implicit-def: $vgpr138_vgpr139
                                        ; implicit-def: $vgpr140_vgpr141
                                        ; implicit-def: $vgpr142_vgpr143
	s_waitcnt lgkmcnt(0)
	v_cndmask_b32_e64 v19, v19, v92, s[22:23]
	v_cndmask_b32_e64 v92, v19, 0, s[24:25]
	v_add_u32_e32 v93, v92, v16
	v_add_u32_e32 v94, v93, v17
	;; [unrolled: 1-line block ×3, first 2 shown]
	flat_store_dwordx4 v[4:5], v[92:95] offset:16
	s_waitcnt lgkmcnt(0)
	s_barrier
	flat_load_dword v16, v[182:183]
	flat_load_dword v18, v[192:193]
	s_nop 0
	flat_load_dword v182, v[194:195]
	flat_load_dword v192, v[196:197]
	s_nop 0
	flat_load_dword v194, v[198:199]
	flat_load_dword v196, v[208:209]
	s_nop 0
	flat_load_dword v198, v[210:211]
	flat_load_dword v208, v[212:213]
	s_nop 0
	flat_load_dword v210, v[214:215]
	flat_load_dword v211, v[224:225]
	;; [unrolled: 1-line block ×3, first 2 shown]
	s_nop 0
	flat_load_dword v215, v[228:229]
	flat_load_dword v225, v[230:231]
	;; [unrolled: 1-line block ×3, first 2 shown]
	s_nop 0
	flat_load_dword v229, v[242:243]
	flat_load_dword v231, v[244:245]
	v_mov_b32_e32 v17, v14
	v_mov_b32_e32 v19, v14
	;; [unrolled: 1-line block ×9, first 2 shown]
	s_waitcnt lgkmcnt(0)
                                        ; implicit-def: $vgpr242_vgpr243
                                        ; implicit-def: $vgpr244_vgpr245
                                        ; implicit-def: $vgpr94_vgpr95
	s_waitcnt vmcnt(0) lgkmcnt(0)
	v_add_u32_e32 v16, v16, v246
	v_lshlrev_b64 v[16:17], 3, v[16:17]
	v_add3_u32 v18, v40, v247, v18
	v_lshlrev_b64 v[18:19], 3, v[18:19]
	v_add3_u32 v194, v46, v45, v194
	v_add_co_u32_e64 v46, s[36:37], v12, v16
	v_add3_u32 v196, v56, v47, v196
	v_addc_co_u32_e64 v47, s[36:37], v13, v17, s[36:37]
	v_add3_u32 v182, v42, v41, v182
	v_add_co_u32_e64 v56, s[36:37], v12, v18
	v_add3_u32 v198, v58, v57, v198
	v_lshlrev_b64 v[182:183], 3, v[182:183]
	v_addc_co_u32_e64 v57, s[36:37], v13, v19, s[36:37]
	v_add3_u32 v192, v44, v43, v192
	v_add3_u32 v208, v60, v59, v208
	v_add_co_u32_e64 v60, s[36:37], v12, v182
	v_add3_u32 v210, v62, v61, v210
	v_lshlrev_b64 v[192:193], 3, v[192:193]
	v_addc_co_u32_e64 v61, s[36:37], v13, v183, s[36:37]
	v_add_co_u32_e64 v62, s[36:37], v12, v192
	v_add3_u32 v212, v72, v63, v211
	v_lshlrev_b64 v[194:195], 3, v[194:195]
	v_addc_co_u32_e64 v63, s[36:37], v13, v193, s[36:37]
	;; [unrolled: 4-line block ×5, first 2 shown]
	v_add_co_u32_e64 v78, s[36:37], v12, v208
	v_mov_b32_e32 v211, v14
	v_add3_u32 v228, v88, v79, v227
	v_addc_co_u32_e64 v79, s[36:37], v13, v209, s[36:37]
	v_lshlrev_b64 v[16:17], 3, v[210:211]
	v_add3_u32 v230, v90, v89, v229
	v_add_co_u32_e64 v90, s[36:37], v12, v16
	v_mov_b32_e32 v213, v14
	v_add3_u32 v240, v15, v91, v231
	v_addc_co_u32_e64 v91, s[36:37], v13, v17, s[36:37]
	v_lshlrev_b64 v[16:17], 3, v[212:213]
	v_add_co_u32_e64 v92, s[36:37], v12, v16
	v_mov_b32_e32 v215, v14
	v_addc_co_u32_e64 v93, s[36:37], v13, v17, s[36:37]
	v_lshlrev_b64 v[16:17], 3, v[214:215]
	v_add_co_u32_e64 v104, s[36:37], v12, v16
	v_mov_b32_e32 v225, v14
	;; [unrolled: 4-line block ×5, first 2 shown]
	v_addc_co_u32_e64 v123, s[36:37], v13, v17, s[36:37]
	v_lshlrev_b64 v[16:17], 3, v[230:231]
	v_add_co_u32_e64 v126, s[36:37], v12, v16
	v_addc_co_u32_e64 v127, s[36:37], v13, v17, s[36:37]
	v_lshlrev_b64 v[16:17], 3, v[240:241]
	v_add_co_u32_e64 v136, s[36:37], v12, v16
	v_addc_co_u32_e64 v137, s[36:37], v13, v17, s[36:37]
                                        ; implicit-def: $vgpr16_vgpr17
                                        ; implicit-def: $vgpr18_vgpr19
                                        ; implicit-def: $vgpr182_vgpr183
                                        ; implicit-def: $vgpr192_vgpr193
                                        ; implicit-def: $vgpr194_vgpr195
                                        ; implicit-def: $vgpr196_vgpr197
                                        ; implicit-def: $vgpr198_vgpr199
                                        ; implicit-def: $vgpr208_vgpr209
                                        ; implicit-def: $vgpr210_vgpr211
                                        ; implicit-def: $vgpr212_vgpr213
                                        ; implicit-def: $vgpr214_vgpr215
                                        ; implicit-def: $vgpr224_vgpr225
                                        ; implicit-def: $vgpr226_vgpr227
                                        ; implicit-def: $vgpr228_vgpr229
                                        ; implicit-def: $vgpr230_vgpr231
                                        ; implicit-def: $vgpr240_vgpr241
                                        ; implicit-def: $vgpr246_vgpr247
                                        ; implicit-def: $vgpr40_vgpr41
                                        ; implicit-def: $vgpr42_vgpr43
                                        ; implicit-def: $vgpr44_vgpr45
                                        ; implicit-def: $vgpr58_vgpr59
                                        ; implicit-def: $vgpr88_vgpr89
	s_and_saveexec_b64 s[36:37], s[30:31]
	s_cbranch_execz .LBB1221_52
; %bb.92:                               ;   in Loop: Header=BB1221_53 Depth=1
	s_barrier
	flat_store_dwordx2 v[46:47], v[180:181]
	flat_store_dwordx2 v[56:57], v[178:179]
	;; [unrolled: 1-line block ×16, first 2 shown]
	s_waitcnt lgkmcnt(0)
	s_barrier
	flat_load_dwordx2 v[230:231], v[84:85]
	flat_load_dwordx2 v[240:241], v[84:85] offset:512
	flat_load_dwordx2 v[244:245], v[84:85] offset:1024
	;; [unrolled: 1-line block ×7, first 2 shown]
	flat_load_dwordx2 v[88:89], v[86:87]
	flat_load_dwordx2 v[94:95], v[96:97]
	;; [unrolled: 1-line block ×8, first 2 shown]
	s_waitcnt lgkmcnt(0)
	s_barrier
	flat_store_dwordx2 v[46:47], v[70:71]
	flat_store_dwordx2 v[56:57], v[68:69]
	;; [unrolled: 1-line block ×16, first 2 shown]
	s_waitcnt lgkmcnt(0)
	s_barrier
	flat_load_dwordx2 v[16:17], v[84:85]
	flat_load_dwordx2 v[18:19], v[84:85] offset:512
	flat_load_dwordx2 v[182:183], v[84:85] offset:1024
	flat_load_dwordx2 v[192:193], v[84:85] offset:1536
	flat_load_dwordx2 v[194:195], v[84:85] offset:2048
	flat_load_dwordx2 v[196:197], v[84:85] offset:2560
	flat_load_dwordx2 v[198:199], v[84:85] offset:3072
	flat_load_dwordx2 v[208:209], v[84:85] offset:3584
	flat_load_dwordx2 v[210:211], v[86:87]
	flat_load_dwordx2 v[212:213], v[96:97]
	;; [unrolled: 1-line block ×8, first 2 shown]
	v_add_u32_e32 v156, -8, v156
	s_xor_b64 s[46:47], exec, -1
	s_waitcnt lgkmcnt(0)
	s_barrier
	s_branch .LBB1221_52
.LBB1221_93:
	s_or_b64 exec, exec, s[40:41]
	v_lshlrev_b32_e32 v1, 3, v22
	v_add_co_u32_e32 v4, vcc, v12, v1
	v_addc_co_u32_e32 v5, vcc, 0, v13, vcc
	s_movk_i32 s4, 0x1000
	s_barrier
	flat_store_dwordx2 v[46:47], v[180:181]
	flat_store_dwordx2 v[56:57], v[178:179]
	;; [unrolled: 1-line block ×16, first 2 shown]
	v_add_co_u32_e32 v144, vcc, s4, v4
	v_lshlrev_b32_e32 v1, 3, v22
	v_addc_co_u32_e32 v145, vcc, 0, v5, vcc
	v_or_b32_e32 v8, 0x2000, v1
	v_add_co_u32_e32 v146, vcc, v12, v8
	s_movk_i32 s4, 0x2000
	v_addc_co_u32_e32 v147, vcc, 0, v13, vcc
	v_add_co_u32_e32 v148, vcc, s4, v4
	v_addc_co_u32_e32 v149, vcc, 0, v5, vcc
	s_movk_i32 s4, 0x3000
	v_add_co_u32_e32 v150, vcc, s4, v4
	v_addc_co_u32_e32 v151, vcc, 0, v5, vcc
	v_or_b32_e32 v8, 0x4000, v1
	v_add_co_u32_e32 v160, vcc, v12, v8
	s_movk_i32 s4, 0x4000
	v_addc_co_u32_e32 v161, vcc, 0, v13, vcc
	v_add_co_u32_e32 v162, vcc, s4, v4
	v_addc_co_u32_e32 v163, vcc, 0, v5, vcc
	s_movk_i32 s4, 0x5000
	v_add_co_u32_e32 v164, vcc, s4, v4
	;; [unrolled: 9-line block ×3, first 2 shown]
	s_waitcnt lgkmcnt(0)
	s_barrier
	flat_load_dwordx2 v[134:135], v[4:5]
	flat_load_dwordx2 v[132:133], v[4:5] offset:2048
	flat_load_dwordx2 v[130:131], v[144:145]
	flat_load_dwordx2 v[128:129], v[144:145] offset:2048
	;; [unrolled: 2-line block ×6, first 2 shown]
	v_addc_co_u32_e32 v179, vcc, 0, v5, vcc
	flat_load_dwordx2 v[86:87], v[166:167]
	flat_load_dwordx2 v[84:85], v[176:177] offset:2048
	flat_load_dwordx2 v[82:83], v[178:179]
	flat_load_dwordx2 v[80:81], v[178:179] offset:2048
	s_waitcnt lgkmcnt(0)
	s_barrier
	flat_store_dwordx2 v[46:47], v[70:71]
	flat_store_dwordx2 v[56:57], v[68:69]
	;; [unrolled: 1-line block ×16, first 2 shown]
	s_waitcnt lgkmcnt(0)
	s_barrier
	flat_load_dwordx2 v[38:39], v[4:5]
	flat_load_dwordx2 v[36:37], v[4:5] offset:2048
	flat_load_dwordx2 v[34:35], v[144:145]
	flat_load_dwordx2 v[32:33], v[144:145] offset:2048
	;; [unrolled: 2-line block ×4, first 2 shown]
	flat_load_dwordx2 v[22:23], v[160:161]
	s_waitcnt vmcnt(0)
	flat_load_dwordx2 v[18:19], v[162:163] offset:2048
	flat_load_dwordx2 v[16:17], v[164:165]
	flat_load_dwordx2 v[14:15], v[164:165] offset:2048
	flat_load_dwordx2 v[12:13], v[166:167]
	;; [unrolled: 2-line block ×3, first 2 shown]
                                        ; kill: killed $vgpr176 killed $vgpr177
                                        ; kill: killed $vgpr144 killed $vgpr145
                                        ; kill: killed $vgpr146 killed $vgpr147
                                        ; kill: killed $vgpr160 killed $vgpr161
                                        ; kill: killed $vgpr166 killed $vgpr167
                                        ; kill: killed $vgpr150 killed $vgpr151
                                        ; kill: killed $vgpr148 killed $vgpr149
                                        ; kill: killed $vgpr164 killed $vgpr165
                                        ; kill: killed $vgpr4 killed $vgpr5
                                        ; kill: killed $vgpr162 killed $vgpr163
	flat_load_dwordx2 v[4:5], v[178:179] offset:2048
	v_mov_b32_e32 v1, 0
	v_add_co_u32_e32 v48, vcc, v2, v20
	v_addc_co_u32_e32 v49, vcc, v3, v21, vcc
	v_lshlrev_b64 v[2:3], 3, v[0:1]
	v_add_co_u32_e32 v48, vcc, v48, v2
	v_addc_co_u32_e32 v49, vcc, v49, v3, vcc
	v_cmp_lt_u32_e64 s[4:5], v0, v152
	s_waitcnt lgkmcnt(0)
	s_barrier
	s_and_saveexec_b64 s[6:7], s[4:5]
	s_cbranch_execz .LBB1221_95
; %bb.94:
	v_bfrev_b32_e32 v1, 1
	v_cmp_lt_i64_e32 vcc, -1, v[134:135]
	v_ashrrev_i32_e32 v50, 31, v135
	v_cndmask_b32_e64 v1, v1, -1, vcc
	v_not_b32_e32 v50, v50
	v_xor_b32_e32 v51, v1, v135
	v_xor_b32_e32 v50, v50, v134
	flat_store_dwordx2 v[48:49], v[50:51]
.LBB1221_95:
	s_or_b64 exec, exec, s[6:7]
	v_add_u32_e32 v1, 0x100, v0
	v_cmp_lt_u32_e64 s[6:7], v1, v152
	s_and_saveexec_b64 s[10:11], s[6:7]
	s_cbranch_execz .LBB1221_97
; %bb.96:
	v_bfrev_b32_e32 v1, 1
	v_cmp_lt_i64_e32 vcc, -1, v[132:133]
	v_ashrrev_i32_e32 v50, 31, v133
	v_cndmask_b32_e64 v1, v1, -1, vcc
	v_not_b32_e32 v50, v50
	v_xor_b32_e32 v51, v1, v133
	v_xor_b32_e32 v50, v50, v132
	flat_store_dwordx2 v[48:49], v[50:51] offset:2048
.LBB1221_97:
	s_or_b64 exec, exec, s[10:11]
	v_add_u32_e32 v1, 0x200, v0
	v_cmp_lt_u32_e64 s[10:11], v1, v152
	s_and_saveexec_b64 s[14:15], s[10:11]
	s_cbranch_execz .LBB1221_99
; %bb.98:
	v_bfrev_b32_e32 v1, 1
	v_cmp_lt_i64_e32 vcc, -1, v[130:131]
	v_ashrrev_i32_e32 v50, 31, v131
	v_cndmask_b32_e64 v1, v1, -1, vcc
	v_not_b32_e32 v50, v50
	v_add_co_u32_e32 v52, vcc, 0x1000, v48
	v_xor_b32_e32 v51, v1, v131
	v_xor_b32_e32 v50, v50, v130
	v_addc_co_u32_e32 v53, vcc, 0, v49, vcc
	flat_store_dwordx2 v[52:53], v[50:51]
.LBB1221_99:
	s_or_b64 exec, exec, s[14:15]
	v_add_u32_e32 v1, 0x300, v0
	v_cmp_lt_u32_e64 s[40:41], v1, v152
	s_and_saveexec_b64 s[14:15], s[40:41]
	s_cbranch_execz .LBB1221_101
; %bb.100:
	v_bfrev_b32_e32 v1, 1
	v_cmp_lt_i64_e32 vcc, -1, v[128:129]
	v_ashrrev_i32_e32 v50, 31, v129
	v_cndmask_b32_e64 v1, v1, -1, vcc
	v_not_b32_e32 v50, v50
	v_add_co_u32_e32 v52, vcc, 0x1000, v48
	v_xor_b32_e32 v51, v1, v129
	v_xor_b32_e32 v50, v50, v128
	v_addc_co_u32_e32 v53, vcc, 0, v49, vcc
	flat_store_dwordx2 v[52:53], v[50:51] offset:2048
.LBB1221_101:
	s_or_b64 exec, exec, s[14:15]
	v_add_u32_e32 v1, 0x400, v0
	v_cmp_lt_u32_e64 s[14:15], v1, v152
	s_and_saveexec_b64 s[16:17], s[14:15]
	s_cbranch_execz .LBB1221_103
; %bb.102:
	v_bfrev_b32_e32 v1, 1
	v_cmp_lt_i64_e32 vcc, -1, v[118:119]
	v_ashrrev_i32_e32 v50, 31, v119
	v_cndmask_b32_e64 v1, v1, -1, vcc
	v_not_b32_e32 v50, v50
	v_add_co_u32_e32 v52, vcc, 0x2000, v48
	v_xor_b32_e32 v51, v1, v119
	v_xor_b32_e32 v50, v50, v118
	v_addc_co_u32_e32 v53, vcc, 0, v49, vcc
	flat_store_dwordx2 v[52:53], v[50:51]
.LBB1221_103:
	s_or_b64 exec, exec, s[16:17]
	v_add_u32_e32 v1, 0x500, v0
	v_cmp_lt_u32_e64 s[16:17], v1, v152
	s_and_saveexec_b64 s[18:19], s[16:17]
	s_cbranch_execz .LBB1221_105
; %bb.104:
	v_bfrev_b32_e32 v1, 1
	v_cmp_lt_i64_e32 vcc, -1, v[116:117]
	v_ashrrev_i32_e32 v50, 31, v117
	v_cndmask_b32_e64 v1, v1, -1, vcc
	v_not_b32_e32 v50, v50
	v_add_co_u32_e32 v52, vcc, 0x2000, v48
	v_xor_b32_e32 v51, v1, v117
	v_xor_b32_e32 v50, v50, v116
	v_addc_co_u32_e32 v53, vcc, 0, v49, vcc
	flat_store_dwordx2 v[52:53], v[50:51] offset:2048
.LBB1221_105:
	;; [unrolled: 34-line block ×7, first 2 shown]
	s_or_b64 exec, exec, s[46:47]
	v_add_co_u32_e32 v0, vcc, v6, v20
	v_addc_co_u32_e32 v1, vcc, v7, v21, vcc
	v_add_co_u32_e32 v0, vcc, v0, v2
	v_addc_co_u32_e32 v1, vcc, v1, v3, vcc
	s_and_saveexec_b64 vcc, s[4:5]
	s_cbranch_execnz .LBB1221_211
; %bb.126:
	s_or_b64 exec, exec, vcc
	s_and_saveexec_b64 s[4:5], s[6:7]
	s_cbranch_execnz .LBB1221_212
.LBB1221_127:
	s_or_b64 exec, exec, s[4:5]
	s_and_saveexec_b64 s[4:5], s[10:11]
	s_cbranch_execnz .LBB1221_213
.LBB1221_128:
	s_or_b64 exec, exec, s[4:5]
	s_and_saveexec_b64 s[4:5], s[40:41]
	s_cbranch_execnz .LBB1221_214
.LBB1221_129:
	s_or_b64 exec, exec, s[4:5]
	s_and_saveexec_b64 s[4:5], s[14:15]
	s_cbranch_execnz .LBB1221_215
.LBB1221_130:
	s_or_b64 exec, exec, s[4:5]
	s_and_saveexec_b64 s[4:5], s[16:17]
	s_cbranch_execnz .LBB1221_216
.LBB1221_131:
	s_or_b64 exec, exec, s[4:5]
	s_and_saveexec_b64 s[4:5], s[18:19]
	s_cbranch_execnz .LBB1221_217
.LBB1221_132:
	s_or_b64 exec, exec, s[4:5]
	s_and_saveexec_b64 s[4:5], s[20:21]
	s_cbranch_execnz .LBB1221_218
.LBB1221_133:
	s_or_b64 exec, exec, s[4:5]
	s_and_saveexec_b64 s[4:5], s[22:23]
	s_cbranch_execnz .LBB1221_219
.LBB1221_134:
	s_or_b64 exec, exec, s[4:5]
	s_and_saveexec_b64 s[4:5], s[24:25]
	s_cbranch_execnz .LBB1221_220
.LBB1221_135:
	s_or_b64 exec, exec, s[4:5]
	s_and_saveexec_b64 s[4:5], s[26:27]
	s_cbranch_execnz .LBB1221_221
.LBB1221_136:
	s_or_b64 exec, exec, s[4:5]
	s_and_saveexec_b64 s[4:5], s[28:29]
	s_cbranch_execnz .LBB1221_222
.LBB1221_137:
	s_or_b64 exec, exec, s[4:5]
	s_and_saveexec_b64 s[4:5], s[30:31]
	s_cbranch_execnz .LBB1221_223
.LBB1221_138:
	s_or_b64 exec, exec, s[4:5]
	s_and_saveexec_b64 s[4:5], s[34:35]
	s_cbranch_execnz .LBB1221_224
.LBB1221_139:
	s_or_b64 exec, exec, s[4:5]
	s_and_saveexec_b64 s[4:5], s[36:37]
	s_cbranch_execnz .LBB1221_225
.LBB1221_140:
	s_or_b64 exec, exec, s[4:5]
	s_and_saveexec_b64 s[4:5], s[38:39]
	s_cbranch_execz .LBB1221_142
.LBB1221_141:
	v_add_co_u32_e32 v0, vcc, 0x7000, v0
	v_addc_co_u32_e32 v1, vcc, 0, v1, vcc
	s_waitcnt vmcnt(0)
	flat_store_dwordx2 v[0:1], v[4:5] offset:2048
.LBB1221_142:
	s_or_b64 exec, exec, s[4:5]
                                        ; implicit-def: $vgpr152
                                        ; implicit-def: $vgpr0
                                        ; implicit-def: $vgpr1
                                        ; implicit-def: $vgpr2
                                        ; implicit-def: $vgpr3
                                        ; implicit-def: $vgpr4
                                        ; implicit-def: $vgpr5
                                        ; implicit-def: $vgpr6
                                        ; implicit-def: $vgpr7
                                        ; implicit-def: $vgpr8
                                        ; implicit-def: $vgpr10
                                        ; implicit-def: $vgpr11
                                        ; implicit-def: $vgpr12
                                        ; implicit-def: $vgpr13
                                        ; implicit-def: $vgpr31
                                        ; implicit-def: $vgpr15
                                        ; implicit-def: $vgpr16
                                        ; implicit-def: $vgpr14
.LBB1221_143:
	s_andn2_saveexec_b64 s[4:5], s[44:45]
	s_cbranch_execz .LBB1221_372
; %bb.144:
	s_movk_i32 s4, 0x400
	v_cmp_lt_u32_e32 vcc, s4, v152
	s_and_saveexec_b64 s[4:5], vcc
	s_xor_b64 s[38:39], exec, s[4:5]
	s_cbranch_execz .LBB1221_252
; %bb.145:
	s_load_dwordx2 s[4:5], s[8:9], 0x0
	s_waitcnt vmcnt(0)
	v_mov_b32_e32 v9, 0
	v_mbcnt_hi_u32_b32 v37, -1, v14
	v_lshlrev_b64 v[20:21], 3, v[8:9]
	v_and_b32_e32 v36, 63, v37
	s_waitcnt lgkmcnt(0)
	s_cmp_lt_u32 s12, s4
	s_cselect_b32 s6, 12, 18
	s_cmp_lt_u32 s13, s5
	s_cselect_b32 s4, 14, 20
	s_add_u32 s4, s8, s4
	s_addc_u32 s5, s9, 0
	s_add_u32 s6, s8, s6
	global_load_ushort v17, v9, s[4:5]
	s_addc_u32 s7, s9, 0
	global_load_ushort v18, v9, s[6:7]
	v_add_co_u32_e32 v0, vcc, v0, v20
	v_addc_co_u32_e32 v1, vcc, v1, v21, vcc
	v_lshlrev_b32_e32 v23, 3, v36
	v_and_b32_e32 v22, 0x3ff, v31
	v_add_co_u32_e32 v14, vcc, v0, v23
	v_addc_co_u32_e32 v19, vcc, 0, v1, vcc
	s_mov_b32 s6, -1
	s_brev_b32 s7, -2
	s_waitcnt vmcnt(1)
	v_mad_u32_u24 v0, v16, v17, v15
	s_waitcnt vmcnt(0)
	v_mad_u64_u32 v[0:1], s[4:5], v0, v18, v[22:23]
	v_lshlrev_b32_e32 v1, 3, v0
	v_and_b32_e32 v8, 0xfffffe00, v1
	v_lshlrev_b64 v[16:17], 3, v[8:9]
	v_add_co_u32_e32 v18, vcc, v14, v16
	v_or_b32_e32 v1, v8, v36
	v_addc_co_u32_e32 v19, vcc, v19, v17, vcc
	v_cmp_lt_u32_e32 vcc, v1, v152
	v_pk_mov_b32 v[8:9], s[6:7], s[6:7] op_sel:[0,1]
	s_and_saveexec_b64 s[4:5], vcc
	s_cbranch_execz .LBB1221_147
; %bb.146:
	flat_load_dwordx2 v[8:9], v[18:19]
.LBB1221_147:
	s_or_b64 exec, exec, s[4:5]
	v_or_b32_e32 v14, 64, v1
	v_cmp_lt_u32_e64 s[4:5], v14, v152
	v_pk_mov_b32 v[14:15], s[6:7], s[6:7] op_sel:[0,1]
	s_and_saveexec_b64 s[6:7], s[4:5]
	s_cbranch_execz .LBB1221_149
; %bb.148:
	flat_load_dwordx2 v[14:15], v[18:19] offset:512
.LBB1221_149:
	s_or_b64 exec, exec, s[6:7]
	s_mov_b32 s14, -1
	v_or_b32_e32 v24, 0x80, v1
	s_brev_b32 s15, -2
	v_cmp_lt_u32_e64 s[6:7], v24, v152
	v_pk_mov_b32 v[24:25], s[14:15], s[14:15] op_sel:[0,1]
	s_and_saveexec_b64 s[10:11], s[6:7]
	s_cbranch_execz .LBB1221_151
; %bb.150:
	flat_load_dwordx2 v[24:25], v[18:19] offset:1024
.LBB1221_151:
	s_or_b64 exec, exec, s[10:11]
	v_or_b32_e32 v26, 0xc0, v1
	v_cmp_lt_u32_e64 s[10:11], v26, v152
	v_pk_mov_b32 v[26:27], s[14:15], s[14:15] op_sel:[0,1]
	s_and_saveexec_b64 s[14:15], s[10:11]
	s_cbranch_execz .LBB1221_153
; %bb.152:
	flat_load_dwordx2 v[26:27], v[18:19] offset:1536
.LBB1221_153:
	s_or_b64 exec, exec, s[14:15]
	s_mov_b32 s16, -1
	v_or_b32_e32 v28, 0x100, v1
	s_brev_b32 s17, -2
	v_cmp_lt_u32_e64 s[20:21], v28, v152
	v_pk_mov_b32 v[28:29], s[16:17], s[16:17] op_sel:[0,1]
	s_and_saveexec_b64 s[14:15], s[20:21]
	s_cbranch_execz .LBB1221_155
; %bb.154:
	flat_load_dwordx2 v[28:29], v[18:19] offset:2048
.LBB1221_155:
	;; [unrolled: 20-line block ×3, first 2 shown]
	s_or_b64 exec, exec, s[18:19]
	v_or_b32_e32 v1, 0x1c0, v1
	v_cmp_lt_u32_e64 s[18:19], v1, v152
	v_pk_mov_b32 v[34:35], s[22:23], s[22:23] op_sel:[0,1]
	s_and_saveexec_b64 s[22:23], s[18:19]
	s_cbranch_execz .LBB1221_161
; %bb.160:
	flat_load_dwordx2 v[34:35], v[18:19] offset:3584
.LBB1221_161:
	s_or_b64 exec, exec, s[22:23]
	v_add_co_u32_e64 v1, s[22:23], v4, v20
	v_addc_co_u32_e64 v4, s[22:23], v5, v21, s[22:23]
	v_add_co_u32_e64 v1, s[22:23], v1, v23
	v_addc_co_u32_e64 v5, s[22:23], 0, v4, s[22:23]
	;; [unrolled: 2-line block ×3, first 2 shown]
                                        ; implicit-def: $vgpr16_vgpr17
	s_and_saveexec_b64 s[22:23], vcc
	s_cbranch_execnz .LBB1221_285
; %bb.162:
	s_or_b64 exec, exec, s[22:23]
                                        ; implicit-def: $vgpr18_vgpr19
	s_and_saveexec_b64 s[22:23], s[4:5]
	s_cbranch_execnz .LBB1221_286
.LBB1221_163:
	s_or_b64 exec, exec, s[22:23]
                                        ; implicit-def: $vgpr86_vgpr87
	s_and_saveexec_b64 s[4:5], s[6:7]
	s_cbranch_execnz .LBB1221_287
.LBB1221_164:
	s_or_b64 exec, exec, s[4:5]
                                        ; implicit-def: $vgpr96_vgpr97
	s_and_saveexec_b64 s[4:5], s[10:11]
	s_cbranch_execnz .LBB1221_288
.LBB1221_165:
	s_or_b64 exec, exec, s[4:5]
                                        ; implicit-def: $vgpr98_vgpr99
	s_and_saveexec_b64 s[4:5], s[20:21]
	s_cbranch_execnz .LBB1221_289
.LBB1221_166:
	s_or_b64 exec, exec, s[4:5]
                                        ; implicit-def: $vgpr100_vgpr101
	s_and_saveexec_b64 s[4:5], s[14:15]
	s_cbranch_execnz .LBB1221_290
.LBB1221_167:
	s_or_b64 exec, exec, s[4:5]
                                        ; implicit-def: $vgpr102_vgpr103
	s_and_saveexec_b64 s[4:5], s[16:17]
	s_cbranch_execnz .LBB1221_291
.LBB1221_168:
	s_or_b64 exec, exec, s[4:5]
                                        ; implicit-def: $vgpr114_vgpr115
	s_and_saveexec_b64 s[4:5], s[18:19]
	s_cbranch_execz .LBB1221_170
.LBB1221_169:
	flat_load_dwordx2 v[114:115], v[4:5] offset:3584
.LBB1221_170:
	s_or_b64 exec, exec, s[4:5]
	v_bfrev_b32_e32 v1, 1
	s_waitcnt vmcnt(0) lgkmcnt(0)
	v_cmp_lt_i64_e32 vcc, -1, v[8:9]
	v_cndmask_b32_e32 v4, -1, v1, vcc
	v_cmp_lt_i64_e32 vcc, -1, v[14:15]
	v_xor_b32_e32 v113, v4, v9
	v_cndmask_b32_e32 v4, -1, v1, vcc
	v_cmp_lt_i64_e32 vcc, -1, v[24:25]
	v_ashrrev_i32_e32 v5, 31, v9
	v_xor_b32_e32 v117, v4, v15
	v_cndmask_b32_e32 v4, -1, v1, vcc
	v_cmp_lt_i64_e32 vcc, -1, v[26:27]
	v_xor_b32_e32 v112, v5, v8
	v_ashrrev_i32_e32 v5, 31, v15
	v_xor_b32_e32 v119, v4, v25
	v_cndmask_b32_e32 v4, -1, v1, vcc
	v_cmp_lt_i64_e32 vcc, -1, v[28:29]
	v_xor_b32_e32 v116, v5, v14
	;; [unrolled: 5-line block ×5, first 2 shown]
	v_ashrrev_i32_e32 v5, 31, v31
	v_xor_b32_e32 v135, v4, v33
	v_cndmask_b32_e32 v4, -1, v1, vcc
	v_add_co_u32_e32 v23, vcc, 16, v12
	v_and_b32_e32 v15, 0x3c0, v22
	v_xor_b32_e32 v132, v5, v30
	v_ashrrev_i32_e32 v5, 31, v33
	v_xor_b32_e32 v167, v4, v35
	v_addc_co_u32_e32 v178, vcc, 0, v13, vcc
	v_lshlrev_b32_e32 v4, 4, v22
	v_min_u32_e32 v15, 0xc0, v15
	v_xor_b32_e32 v134, v5, v32
	v_ashrrev_i32_e32 v5, 31, v35
	v_add_co_u32_e32 v4, vcc, v12, v4
	v_or_b32_e32 v15, 63, v15
	v_xor_b32_e32 v166, v5, v34
	s_getpc_b64 s[4:5]
	s_add_u32 s4, s4, _ZN7rocprim17ROCPRIM_400000_NS16block_radix_sortIdLj256ELj8ElLj1ELj1ELj8ELNS0_26block_radix_rank_algorithmE2ELNS0_18block_padding_hintE2ELNS0_4arch9wavefront6targetE1EE19radix_bits_per_passE@rel32@lo+4
	s_addc_u32 s5, s5, _ZN7rocprim17ROCPRIM_400000_NS16block_radix_sortIdLj256ELj8ElLj1ELj1ELj8ELNS0_26block_radix_rank_algorithmE2ELNS0_18block_padding_hintE2ELNS0_4arch9wavefront6targetE1EE19radix_bits_per_passE@rel32@hi+12
	v_addc_co_u32_e32 v5, vcc, 0, v13, vcc
	v_and_b32_e32 v9, 15, v37
	v_cmp_eq_u32_e64 s[16:17], v15, v22
	v_add_u32_e32 v15, -1, v37
	v_and_b32_e32 v24, 64, v37
	s_load_dword s48, s[4:5], 0x0
	v_cmp_eq_u32_e32 vcc, 0, v9
	v_cmp_lt_u32_e64 s[4:5], 1, v9
	v_cmp_lt_u32_e64 s[6:7], 3, v9
	;; [unrolled: 1-line block ×3, first 2 shown]
	v_and_b32_e32 v9, 16, v37
	v_cmp_lt_i32_e64 s[22:23], v15, v24
	v_cmp_eq_u32_e64 s[30:31], 0, v9
	v_lshrrev_b32_e32 v9, 6, v22
	v_cndmask_b32_e64 v15, v15, v37, s[22:23]
	v_lshlrev_b32_e32 v180, 2, v15
	v_lshlrev_b32_e32 v15, 2, v9
	v_add_co_u32_e64 v38, s[26:27], v12, v15
	v_lshlrev_b32_e32 v8, 2, v22
	v_addc_co_u32_e64 v39, s[26:27], 0, v13, s[26:27]
	v_add_co_u32_e64 v48, s[26:27], v12, v8
	v_mov_b32_e32 v14, 0
	v_addc_co_u32_e64 v49, s[26:27], 0, v13, s[26:27]
	v_and_b32_e32 v8, 3, v37
	v_cmp_eq_u32_e64 s[26:27], 0, v8
	v_cmp_lt_u32_e64 s[28:29], 1, v8
	v_add_u32_e32 v8, -1, v9
	v_mov_b32_e32 v9, v14
	v_lshlrev_b64 v[8:9], 2, v[8:9]
	v_add_co_u32_e64 v50, s[34:35], v12, v8
	v_addc_co_u32_e64 v51, s[34:35], v13, v9, s[34:35]
	v_lshlrev_b32_e32 v8, 3, v22
	s_movk_i32 s34, 0x1e00
	v_and_or_b32 v8, v8, s34, v36
	v_lshlrev_b32_e32 v8, 3, v8
	s_mov_b32 s40, -1
	v_add_co_u32_e64 v52, s[34:35], v12, v8
	s_brev_b32 s41, -2
	v_lshrrev_b32_e32 v179, 6, v0
	v_cmp_lt_u32_e64 s[14:15], 31, v37
	v_cmp_gt_u32_e64 s[18:19], 4, v22
	v_cmp_lt_u32_e64 s[20:21], 63, v22
	v_cmp_eq_u32_e64 s[22:23], 0, v37
	v_cmp_eq_u32_e64 s[24:25], 0, v22
	v_addc_co_u32_e64 v53, s[34:35], 0, v13, s[34:35]
	v_sub_u32_e32 v181, v11, v10
	s_mov_b64 s[44:45], 0
	s_waitcnt lgkmcnt(0)
	s_barrier
	s_branch .LBB1221_172
.LBB1221_171:                           ;   in Loop: Header=BB1221_172 Depth=1
	s_or_b64 exec, exec, s[36:37]
	s_and_b64 s[34:35], exec, s[46:47]
	s_or_b64 s[44:45], s[34:35], s[44:45]
	s_andn2_b64 exec, exec, s[44:45]
	s_cbranch_execz .LBB1221_226
.LBB1221_172:                           ; =>This Inner Loop Header: Depth=1
	s_waitcnt vmcnt(0)
	v_pk_mov_b32 v[84:85], v[112:113], v[112:113] op_sel:[0,1]
	v_pk_mov_b32 v[36:37], v[16:17], v[16:17] op_sel:[0,1]
	;; [unrolled: 1-line block ×3, first 2 shown]
	v_min_u32_e32 v18, s48, v181
	v_mov_b32_e32 v15, v14
	v_mov_b32_e32 v16, v14
	v_mov_b32_e32 v17, v14
	v_cmp_ne_u64_e64 s[34:35], s[40:41], v[84:85]
	flat_store_dwordx4 v[4:5], v[14:17] offset:16
	v_pk_mov_b32 v[32:33], v[86:87], v[86:87] op_sel:[0,1]
	v_lshlrev_b32_e64 v15, v18, -1
	v_cndmask_b32_e64 v17, v1, v85, s[34:35]
	v_cndmask_b32_e64 v16, 0, v84, s[34:35]
	v_not_b32_e32 v18, v15
	v_lshrrev_b64 v[16:17], v10, v[16:17]
	v_and_b32_e32 v19, v16, v18
	v_lshl_add_u32 v16, v19, 2, v179
	v_mov_b32_e32 v17, v14
	v_lshlrev_b64 v[16:17], 2, v[16:17]
	v_add_co_u32_e64 v86, s[34:35], v23, v16
	v_addc_co_u32_e64 v87, s[34:35], v178, v17, s[34:35]
	v_and_b32_e32 v15, 1, v19
	v_add_co_u32_e64 v16, s[34:35], -1, v15
	v_addc_co_u32_e64 v17, s[34:35], 0, -1, s[34:35]
	v_cmp_ne_u32_e64 s[34:35], 0, v15
	v_xor_b32_e32 v15, s35, v17
	v_and_b32_e32 v17, exec_hi, v15
	v_lshlrev_b32_e32 v15, 30, v19
	v_xor_b32_e32 v16, s34, v16
	v_cmp_gt_i64_e64 s[34:35], 0, v[14:15]
	v_not_b32_e32 v15, v15
	v_ashrrev_i32_e32 v15, 31, v15
	v_pk_mov_b32 v[30:31], v[96:97], v[96:97] op_sel:[0,1]
	v_and_b32_e32 v16, exec_lo, v16
	v_xor_b32_e32 v96, s35, v15
	v_xor_b32_e32 v15, s34, v15
	v_and_b32_e32 v16, v16, v15
	v_lshlrev_b32_e32 v15, 29, v19
	v_cmp_gt_i64_e64 s[34:35], 0, v[14:15]
	v_not_b32_e32 v15, v15
	v_ashrrev_i32_e32 v15, 31, v15
	v_and_b32_e32 v17, v17, v96
	v_xor_b32_e32 v96, s35, v15
	v_xor_b32_e32 v15, s34, v15
	v_and_b32_e32 v16, v16, v15
	v_lshlrev_b32_e32 v15, 28, v19
	v_cmp_gt_i64_e64 s[34:35], 0, v[14:15]
	v_not_b32_e32 v15, v15
	v_ashrrev_i32_e32 v15, 31, v15
	v_and_b32_e32 v17, v17, v96
	;; [unrolled: 8-line block ×5, first 2 shown]
	v_xor_b32_e32 v96, s35, v15
	v_xor_b32_e32 v15, s34, v15
	v_and_b32_e32 v16, v16, v15
	v_lshlrev_b32_e32 v15, 24, v19
	v_cmp_gt_i64_e64 s[34:35], 0, v[14:15]
	v_not_b32_e32 v15, v15
	v_ashrrev_i32_e32 v15, 31, v15
	v_xor_b32_e32 v19, s35, v15
	v_xor_b32_e32 v15, s34, v15
	v_and_b32_e32 v17, v17, v96
	v_and_b32_e32 v16, v16, v15
	;; [unrolled: 1-line block ×3, first 2 shown]
	v_mbcnt_lo_u32_b32 v15, v16, 0
	v_pk_mov_b32 v[80:81], v[118:119], v[118:119] op_sel:[0,1]
	v_mbcnt_hi_u32_b32 v118, v17, v15
	v_cmp_eq_u32_e64 s[34:35], 0, v118
	v_cmp_ne_u64_e64 s[36:37], 0, v[16:17]
	v_pk_mov_b32 v[28:29], v[98:99], v[98:99] op_sel:[0,1]
	v_pk_mov_b32 v[26:27], v[100:101], v[100:101] op_sel:[0,1]
	;; [unrolled: 1-line block ×10, first 2 shown]
	s_and_b64 s[36:37], s[36:37], s[34:35]
	s_waitcnt lgkmcnt(0)
	s_barrier
	s_waitcnt lgkmcnt(0)
	; wave barrier
	s_and_saveexec_b64 s[34:35], s[36:37]
	s_cbranch_execz .LBB1221_174
; %bb.173:                              ;   in Loop: Header=BB1221_172 Depth=1
	v_bcnt_u32_b32 v15, v16, 0
	v_bcnt_u32_b32 v15, v17, v15
	flat_store_dword v[86:87], v15
.LBB1221_174:                           ;   in Loop: Header=BB1221_172 Depth=1
	s_or_b64 exec, exec, s[34:35]
	v_cmp_ne_u64_e64 s[34:35], s[40:41], v[82:83]
	v_cndmask_b32_e64 v17, v1, v83, s[34:35]
	v_cndmask_b32_e64 v16, 0, v82, s[34:35]
	v_lshrrev_b64 v[16:17], v10, v[16:17]
	v_and_b32_e32 v19, v16, v18
	v_lshl_add_u32 v16, v19, 2, v179
	v_mov_b32_e32 v17, v14
	v_lshlrev_b64 v[16:17], 2, v[16:17]
	v_add_co_u32_e64 v96, s[34:35], v23, v16
	v_addc_co_u32_e64 v97, s[34:35], v178, v17, s[34:35]
	; wave barrier
	flat_load_dword v119, v[96:97]
	v_and_b32_e32 v15, 1, v19
	v_add_co_u32_e64 v16, s[34:35], -1, v15
	v_addc_co_u32_e64 v17, s[34:35], 0, -1, s[34:35]
	v_cmp_ne_u32_e64 s[34:35], 0, v15
	v_xor_b32_e32 v15, s35, v17
	v_and_b32_e32 v17, exec_hi, v15
	v_lshlrev_b32_e32 v15, 30, v19
	v_xor_b32_e32 v16, s34, v16
	v_cmp_gt_i64_e64 s[34:35], 0, v[14:15]
	v_not_b32_e32 v15, v15
	v_ashrrev_i32_e32 v15, 31, v15
	v_and_b32_e32 v16, exec_lo, v16
	v_xor_b32_e32 v98, s35, v15
	v_xor_b32_e32 v15, s34, v15
	v_and_b32_e32 v16, v16, v15
	v_lshlrev_b32_e32 v15, 29, v19
	v_cmp_gt_i64_e64 s[34:35], 0, v[14:15]
	v_not_b32_e32 v15, v15
	v_ashrrev_i32_e32 v15, 31, v15
	v_and_b32_e32 v17, v17, v98
	v_xor_b32_e32 v98, s35, v15
	v_xor_b32_e32 v15, s34, v15
	v_and_b32_e32 v16, v16, v15
	v_lshlrev_b32_e32 v15, 28, v19
	v_cmp_gt_i64_e64 s[34:35], 0, v[14:15]
	v_not_b32_e32 v15, v15
	v_ashrrev_i32_e32 v15, 31, v15
	v_and_b32_e32 v17, v17, v98
	;; [unrolled: 8-line block ×5, first 2 shown]
	v_xor_b32_e32 v98, s35, v15
	v_xor_b32_e32 v15, s34, v15
	v_and_b32_e32 v16, v16, v15
	v_lshlrev_b32_e32 v15, 24, v19
	v_cmp_gt_i64_e64 s[34:35], 0, v[14:15]
	v_not_b32_e32 v15, v15
	v_ashrrev_i32_e32 v15, 31, v15
	v_xor_b32_e32 v19, s35, v15
	v_xor_b32_e32 v15, s34, v15
	v_and_b32_e32 v17, v17, v98
	v_and_b32_e32 v16, v16, v15
	;; [unrolled: 1-line block ×3, first 2 shown]
	v_mbcnt_lo_u32_b32 v15, v16, 0
	v_mbcnt_hi_u32_b32 v128, v17, v15
	v_cmp_eq_u32_e64 s[34:35], 0, v128
	v_cmp_ne_u64_e64 s[36:37], 0, v[16:17]
	s_and_b64 s[36:37], s[36:37], s[34:35]
	; wave barrier
	s_and_saveexec_b64 s[34:35], s[36:37]
	s_cbranch_execz .LBB1221_176
; %bb.175:                              ;   in Loop: Header=BB1221_172 Depth=1
	v_bcnt_u32_b32 v15, v16, 0
	v_bcnt_u32_b32 v15, v17, v15
	s_waitcnt vmcnt(0) lgkmcnt(0)
	v_add_u32_e32 v15, v119, v15
	flat_store_dword v[96:97], v15
.LBB1221_176:                           ;   in Loop: Header=BB1221_172 Depth=1
	s_or_b64 exec, exec, s[34:35]
	v_cmp_ne_u64_e64 s[34:35], s[40:41], v[80:81]
	v_cndmask_b32_e64 v17, v1, v81, s[34:35]
	v_cndmask_b32_e64 v16, 0, v80, s[34:35]
	v_lshrrev_b64 v[16:17], v10, v[16:17]
	v_and_b32_e32 v19, v16, v18
	v_lshl_add_u32 v16, v19, 2, v179
	v_mov_b32_e32 v17, v14
	v_lshlrev_b64 v[16:17], 2, v[16:17]
	v_add_co_u32_e64 v98, s[34:35], v23, v16
	v_addc_co_u32_e64 v99, s[34:35], v178, v17, s[34:35]
	; wave barrier
	flat_load_dword v129, v[98:99]
	v_and_b32_e32 v15, 1, v19
	v_add_co_u32_e64 v16, s[34:35], -1, v15
	v_addc_co_u32_e64 v17, s[34:35], 0, -1, s[34:35]
	v_cmp_ne_u32_e64 s[34:35], 0, v15
	v_xor_b32_e32 v15, s35, v17
	v_and_b32_e32 v17, exec_hi, v15
	v_lshlrev_b32_e32 v15, 30, v19
	v_xor_b32_e32 v16, s34, v16
	v_cmp_gt_i64_e64 s[34:35], 0, v[14:15]
	v_not_b32_e32 v15, v15
	v_ashrrev_i32_e32 v15, 31, v15
	v_and_b32_e32 v16, exec_lo, v16
	v_xor_b32_e32 v100, s35, v15
	v_xor_b32_e32 v15, s34, v15
	v_and_b32_e32 v16, v16, v15
	v_lshlrev_b32_e32 v15, 29, v19
	v_cmp_gt_i64_e64 s[34:35], 0, v[14:15]
	v_not_b32_e32 v15, v15
	v_ashrrev_i32_e32 v15, 31, v15
	v_and_b32_e32 v17, v17, v100
	v_xor_b32_e32 v100, s35, v15
	v_xor_b32_e32 v15, s34, v15
	v_and_b32_e32 v16, v16, v15
	v_lshlrev_b32_e32 v15, 28, v19
	v_cmp_gt_i64_e64 s[34:35], 0, v[14:15]
	v_not_b32_e32 v15, v15
	v_ashrrev_i32_e32 v15, 31, v15
	v_and_b32_e32 v17, v17, v100
	;; [unrolled: 8-line block ×5, first 2 shown]
	v_xor_b32_e32 v100, s35, v15
	v_xor_b32_e32 v15, s34, v15
	v_and_b32_e32 v16, v16, v15
	v_lshlrev_b32_e32 v15, 24, v19
	v_cmp_gt_i64_e64 s[34:35], 0, v[14:15]
	v_not_b32_e32 v15, v15
	v_ashrrev_i32_e32 v15, 31, v15
	v_xor_b32_e32 v19, s35, v15
	v_xor_b32_e32 v15, s34, v15
	v_and_b32_e32 v17, v17, v100
	v_and_b32_e32 v16, v16, v15
	;; [unrolled: 1-line block ×3, first 2 shown]
	v_mbcnt_lo_u32_b32 v15, v16, 0
	v_mbcnt_hi_u32_b32 v130, v17, v15
	v_cmp_eq_u32_e64 s[34:35], 0, v130
	v_cmp_ne_u64_e64 s[36:37], 0, v[16:17]
	s_and_b64 s[36:37], s[36:37], s[34:35]
	; wave barrier
	s_and_saveexec_b64 s[34:35], s[36:37]
	s_cbranch_execz .LBB1221_178
; %bb.177:                              ;   in Loop: Header=BB1221_172 Depth=1
	v_bcnt_u32_b32 v15, v16, 0
	v_bcnt_u32_b32 v15, v17, v15
	s_waitcnt vmcnt(0) lgkmcnt(0)
	v_add_u32_e32 v15, v129, v15
	flat_store_dword v[98:99], v15
.LBB1221_178:                           ;   in Loop: Header=BB1221_172 Depth=1
	s_or_b64 exec, exec, s[34:35]
	v_cmp_ne_u64_e64 s[34:35], s[40:41], v[70:71]
	v_cndmask_b32_e64 v17, v1, v71, s[34:35]
	v_cndmask_b32_e64 v16, 0, v70, s[34:35]
	v_lshrrev_b64 v[16:17], v10, v[16:17]
	v_and_b32_e32 v19, v16, v18
	v_lshl_add_u32 v16, v19, 2, v179
	v_mov_b32_e32 v17, v14
	v_lshlrev_b64 v[16:17], 2, v[16:17]
	v_add_co_u32_e64 v100, s[34:35], v23, v16
	v_addc_co_u32_e64 v101, s[34:35], v178, v17, s[34:35]
	; wave barrier
	flat_load_dword v131, v[100:101]
	v_and_b32_e32 v15, 1, v19
	v_add_co_u32_e64 v16, s[34:35], -1, v15
	v_addc_co_u32_e64 v17, s[34:35], 0, -1, s[34:35]
	v_cmp_ne_u32_e64 s[34:35], 0, v15
	v_xor_b32_e32 v15, s35, v17
	v_and_b32_e32 v17, exec_hi, v15
	v_lshlrev_b32_e32 v15, 30, v19
	v_xor_b32_e32 v16, s34, v16
	v_cmp_gt_i64_e64 s[34:35], 0, v[14:15]
	v_not_b32_e32 v15, v15
	v_ashrrev_i32_e32 v15, 31, v15
	v_and_b32_e32 v16, exec_lo, v16
	v_xor_b32_e32 v102, s35, v15
	v_xor_b32_e32 v15, s34, v15
	v_and_b32_e32 v16, v16, v15
	v_lshlrev_b32_e32 v15, 29, v19
	v_cmp_gt_i64_e64 s[34:35], 0, v[14:15]
	v_not_b32_e32 v15, v15
	v_ashrrev_i32_e32 v15, 31, v15
	v_and_b32_e32 v17, v17, v102
	v_xor_b32_e32 v102, s35, v15
	v_xor_b32_e32 v15, s34, v15
	v_and_b32_e32 v16, v16, v15
	v_lshlrev_b32_e32 v15, 28, v19
	v_cmp_gt_i64_e64 s[34:35], 0, v[14:15]
	v_not_b32_e32 v15, v15
	v_ashrrev_i32_e32 v15, 31, v15
	v_and_b32_e32 v17, v17, v102
	;; [unrolled: 8-line block ×5, first 2 shown]
	v_xor_b32_e32 v102, s35, v15
	v_xor_b32_e32 v15, s34, v15
	v_and_b32_e32 v16, v16, v15
	v_lshlrev_b32_e32 v15, 24, v19
	v_cmp_gt_i64_e64 s[34:35], 0, v[14:15]
	v_not_b32_e32 v15, v15
	v_ashrrev_i32_e32 v15, 31, v15
	v_xor_b32_e32 v19, s35, v15
	v_xor_b32_e32 v15, s34, v15
	v_and_b32_e32 v17, v17, v102
	v_and_b32_e32 v16, v16, v15
	;; [unrolled: 1-line block ×3, first 2 shown]
	v_mbcnt_lo_u32_b32 v15, v16, 0
	v_mbcnt_hi_u32_b32 v132, v17, v15
	v_cmp_eq_u32_e64 s[34:35], 0, v132
	v_cmp_ne_u64_e64 s[36:37], 0, v[16:17]
	s_and_b64 s[36:37], s[36:37], s[34:35]
	; wave barrier
	s_and_saveexec_b64 s[34:35], s[36:37]
	s_cbranch_execz .LBB1221_180
; %bb.179:                              ;   in Loop: Header=BB1221_172 Depth=1
	v_bcnt_u32_b32 v15, v16, 0
	v_bcnt_u32_b32 v15, v17, v15
	s_waitcnt vmcnt(0) lgkmcnt(0)
	v_add_u32_e32 v15, v131, v15
	flat_store_dword v[100:101], v15
.LBB1221_180:                           ;   in Loop: Header=BB1221_172 Depth=1
	s_or_b64 exec, exec, s[34:35]
	v_cmp_ne_u64_e64 s[34:35], s[40:41], v[68:69]
	v_cndmask_b32_e64 v17, v1, v69, s[34:35]
	v_cndmask_b32_e64 v16, 0, v68, s[34:35]
	v_lshrrev_b64 v[16:17], v10, v[16:17]
	v_and_b32_e32 v19, v16, v18
	v_lshl_add_u32 v16, v19, 2, v179
	v_mov_b32_e32 v17, v14
	v_lshlrev_b64 v[16:17], 2, v[16:17]
	v_add_co_u32_e64 v102, s[34:35], v23, v16
	v_addc_co_u32_e64 v103, s[34:35], v178, v17, s[34:35]
	; wave barrier
	flat_load_dword v133, v[102:103]
	v_and_b32_e32 v15, 1, v19
	v_add_co_u32_e64 v16, s[34:35], -1, v15
	v_addc_co_u32_e64 v17, s[34:35], 0, -1, s[34:35]
	v_cmp_ne_u32_e64 s[34:35], 0, v15
	v_xor_b32_e32 v15, s35, v17
	v_and_b32_e32 v17, exec_hi, v15
	v_lshlrev_b32_e32 v15, 30, v19
	v_xor_b32_e32 v16, s34, v16
	v_cmp_gt_i64_e64 s[34:35], 0, v[14:15]
	v_not_b32_e32 v15, v15
	v_ashrrev_i32_e32 v15, 31, v15
	v_and_b32_e32 v16, exec_lo, v16
	v_xor_b32_e32 v112, s35, v15
	v_xor_b32_e32 v15, s34, v15
	v_and_b32_e32 v16, v16, v15
	v_lshlrev_b32_e32 v15, 29, v19
	v_cmp_gt_i64_e64 s[34:35], 0, v[14:15]
	v_not_b32_e32 v15, v15
	v_ashrrev_i32_e32 v15, 31, v15
	v_and_b32_e32 v17, v17, v112
	v_xor_b32_e32 v112, s35, v15
	v_xor_b32_e32 v15, s34, v15
	v_and_b32_e32 v16, v16, v15
	v_lshlrev_b32_e32 v15, 28, v19
	v_cmp_gt_i64_e64 s[34:35], 0, v[14:15]
	v_not_b32_e32 v15, v15
	v_ashrrev_i32_e32 v15, 31, v15
	v_and_b32_e32 v17, v17, v112
	;; [unrolled: 8-line block ×5, first 2 shown]
	v_xor_b32_e32 v112, s35, v15
	v_xor_b32_e32 v15, s34, v15
	v_and_b32_e32 v16, v16, v15
	v_lshlrev_b32_e32 v15, 24, v19
	v_cmp_gt_i64_e64 s[34:35], 0, v[14:15]
	v_not_b32_e32 v15, v15
	v_ashrrev_i32_e32 v15, 31, v15
	v_xor_b32_e32 v19, s35, v15
	v_xor_b32_e32 v15, s34, v15
	v_and_b32_e32 v17, v17, v112
	v_and_b32_e32 v16, v16, v15
	;; [unrolled: 1-line block ×3, first 2 shown]
	v_mbcnt_lo_u32_b32 v15, v16, 0
	v_mbcnt_hi_u32_b32 v134, v17, v15
	v_cmp_eq_u32_e64 s[34:35], 0, v134
	v_cmp_ne_u64_e64 s[36:37], 0, v[16:17]
	s_and_b64 s[36:37], s[36:37], s[34:35]
	; wave barrier
	s_and_saveexec_b64 s[34:35], s[36:37]
	s_cbranch_execz .LBB1221_182
; %bb.181:                              ;   in Loop: Header=BB1221_172 Depth=1
	v_bcnt_u32_b32 v15, v16, 0
	v_bcnt_u32_b32 v15, v17, v15
	s_waitcnt vmcnt(0) lgkmcnt(0)
	v_add_u32_e32 v15, v133, v15
	flat_store_dword v[102:103], v15
.LBB1221_182:                           ;   in Loop: Header=BB1221_172 Depth=1
	s_or_b64 exec, exec, s[34:35]
	v_cmp_ne_u64_e64 s[34:35], s[40:41], v[66:67]
	v_cndmask_b32_e64 v17, v1, v67, s[34:35]
	v_cndmask_b32_e64 v16, 0, v66, s[34:35]
	v_lshrrev_b64 v[16:17], v10, v[16:17]
	v_and_b32_e32 v19, v16, v18
	v_lshl_add_u32 v16, v19, 2, v179
	v_mov_b32_e32 v17, v14
	v_lshlrev_b64 v[16:17], 2, v[16:17]
	v_add_co_u32_e64 v112, s[34:35], v23, v16
	v_addc_co_u32_e64 v113, s[34:35], v178, v17, s[34:35]
	; wave barrier
	flat_load_dword v135, v[112:113]
	v_and_b32_e32 v15, 1, v19
	v_add_co_u32_e64 v16, s[34:35], -1, v15
	v_addc_co_u32_e64 v17, s[34:35], 0, -1, s[34:35]
	v_cmp_ne_u32_e64 s[34:35], 0, v15
	v_xor_b32_e32 v15, s35, v17
	v_and_b32_e32 v17, exec_hi, v15
	v_lshlrev_b32_e32 v15, 30, v19
	v_xor_b32_e32 v16, s34, v16
	v_cmp_gt_i64_e64 s[34:35], 0, v[14:15]
	v_not_b32_e32 v15, v15
	v_ashrrev_i32_e32 v15, 31, v15
	v_and_b32_e32 v16, exec_lo, v16
	v_xor_b32_e32 v114, s35, v15
	v_xor_b32_e32 v15, s34, v15
	v_and_b32_e32 v16, v16, v15
	v_lshlrev_b32_e32 v15, 29, v19
	v_cmp_gt_i64_e64 s[34:35], 0, v[14:15]
	v_not_b32_e32 v15, v15
	v_ashrrev_i32_e32 v15, 31, v15
	v_and_b32_e32 v17, v17, v114
	v_xor_b32_e32 v114, s35, v15
	v_xor_b32_e32 v15, s34, v15
	v_and_b32_e32 v16, v16, v15
	v_lshlrev_b32_e32 v15, 28, v19
	v_cmp_gt_i64_e64 s[34:35], 0, v[14:15]
	v_not_b32_e32 v15, v15
	v_ashrrev_i32_e32 v15, 31, v15
	v_and_b32_e32 v17, v17, v114
	;; [unrolled: 8-line block ×5, first 2 shown]
	v_xor_b32_e32 v114, s35, v15
	v_xor_b32_e32 v15, s34, v15
	v_and_b32_e32 v16, v16, v15
	v_lshlrev_b32_e32 v15, 24, v19
	v_cmp_gt_i64_e64 s[34:35], 0, v[14:15]
	v_not_b32_e32 v15, v15
	v_ashrrev_i32_e32 v15, 31, v15
	v_xor_b32_e32 v19, s35, v15
	v_xor_b32_e32 v15, s34, v15
	v_and_b32_e32 v17, v17, v114
	v_and_b32_e32 v16, v16, v15
	;; [unrolled: 1-line block ×3, first 2 shown]
	v_mbcnt_lo_u32_b32 v15, v16, 0
	v_mbcnt_hi_u32_b32 v144, v17, v15
	v_cmp_eq_u32_e64 s[34:35], 0, v144
	v_cmp_ne_u64_e64 s[36:37], 0, v[16:17]
	s_and_b64 s[36:37], s[36:37], s[34:35]
	; wave barrier
	s_and_saveexec_b64 s[34:35], s[36:37]
	s_cbranch_execz .LBB1221_184
; %bb.183:                              ;   in Loop: Header=BB1221_172 Depth=1
	v_bcnt_u32_b32 v15, v16, 0
	v_bcnt_u32_b32 v15, v17, v15
	s_waitcnt vmcnt(0) lgkmcnt(0)
	v_add_u32_e32 v15, v135, v15
	flat_store_dword v[112:113], v15
.LBB1221_184:                           ;   in Loop: Header=BB1221_172 Depth=1
	s_or_b64 exec, exec, s[34:35]
	v_cmp_ne_u64_e64 s[34:35], s[40:41], v[64:65]
	v_cndmask_b32_e64 v17, v1, v65, s[34:35]
	v_cndmask_b32_e64 v16, 0, v64, s[34:35]
	v_lshrrev_b64 v[16:17], v10, v[16:17]
	v_and_b32_e32 v19, v16, v18
	v_lshl_add_u32 v16, v19, 2, v179
	v_mov_b32_e32 v17, v14
	v_lshlrev_b64 v[16:17], 2, v[16:17]
	v_add_co_u32_e64 v114, s[34:35], v23, v16
	v_addc_co_u32_e64 v115, s[34:35], v178, v17, s[34:35]
	; wave barrier
	flat_load_dword v145, v[114:115]
	v_and_b32_e32 v15, 1, v19
	v_add_co_u32_e64 v16, s[34:35], -1, v15
	v_addc_co_u32_e64 v17, s[34:35], 0, -1, s[34:35]
	v_cmp_ne_u32_e64 s[34:35], 0, v15
	v_xor_b32_e32 v15, s35, v17
	v_and_b32_e32 v17, exec_hi, v15
	v_lshlrev_b32_e32 v15, 30, v19
	v_xor_b32_e32 v16, s34, v16
	v_cmp_gt_i64_e64 s[34:35], 0, v[14:15]
	v_not_b32_e32 v15, v15
	v_ashrrev_i32_e32 v15, 31, v15
	v_and_b32_e32 v16, exec_lo, v16
	v_xor_b32_e32 v116, s35, v15
	v_xor_b32_e32 v15, s34, v15
	v_and_b32_e32 v16, v16, v15
	v_lshlrev_b32_e32 v15, 29, v19
	v_cmp_gt_i64_e64 s[34:35], 0, v[14:15]
	v_not_b32_e32 v15, v15
	v_ashrrev_i32_e32 v15, 31, v15
	v_and_b32_e32 v17, v17, v116
	v_xor_b32_e32 v116, s35, v15
	v_xor_b32_e32 v15, s34, v15
	v_and_b32_e32 v16, v16, v15
	v_lshlrev_b32_e32 v15, 28, v19
	v_cmp_gt_i64_e64 s[34:35], 0, v[14:15]
	v_not_b32_e32 v15, v15
	v_ashrrev_i32_e32 v15, 31, v15
	v_and_b32_e32 v17, v17, v116
	;; [unrolled: 8-line block ×5, first 2 shown]
	v_xor_b32_e32 v116, s35, v15
	v_xor_b32_e32 v15, s34, v15
	v_and_b32_e32 v16, v16, v15
	v_lshlrev_b32_e32 v15, 24, v19
	v_cmp_gt_i64_e64 s[34:35], 0, v[14:15]
	v_not_b32_e32 v15, v15
	v_ashrrev_i32_e32 v15, 31, v15
	v_xor_b32_e32 v19, s35, v15
	v_xor_b32_e32 v15, s34, v15
	v_and_b32_e32 v17, v17, v116
	v_and_b32_e32 v16, v16, v15
	;; [unrolled: 1-line block ×3, first 2 shown]
	v_mbcnt_lo_u32_b32 v15, v16, 0
	v_mbcnt_hi_u32_b32 v146, v17, v15
	v_cmp_eq_u32_e64 s[34:35], 0, v146
	v_cmp_ne_u64_e64 s[36:37], 0, v[16:17]
	s_and_b64 s[36:37], s[36:37], s[34:35]
	; wave barrier
	s_and_saveexec_b64 s[34:35], s[36:37]
	s_cbranch_execz .LBB1221_186
; %bb.185:                              ;   in Loop: Header=BB1221_172 Depth=1
	v_bcnt_u32_b32 v15, v16, 0
	v_bcnt_u32_b32 v15, v17, v15
	s_waitcnt vmcnt(0) lgkmcnt(0)
	v_add_u32_e32 v15, v145, v15
	flat_store_dword v[114:115], v15
.LBB1221_186:                           ;   in Loop: Header=BB1221_172 Depth=1
	s_or_b64 exec, exec, s[34:35]
	v_cmp_ne_u64_e64 s[34:35], s[40:41], v[54:55]
	v_cndmask_b32_e64 v17, v1, v55, s[34:35]
	v_cndmask_b32_e64 v16, 0, v54, s[34:35]
	v_lshrrev_b64 v[16:17], v10, v[16:17]
	v_and_b32_e32 v18, v16, v18
	v_lshl_add_u32 v16, v18, 2, v179
	v_mov_b32_e32 v17, v14
	v_lshlrev_b64 v[16:17], 2, v[16:17]
	v_add_co_u32_e64 v116, s[34:35], v23, v16
	v_addc_co_u32_e64 v117, s[34:35], v178, v17, s[34:35]
	; wave barrier
	flat_load_dword v147, v[116:117]
	v_and_b32_e32 v15, 1, v18
	v_add_co_u32_e64 v16, s[34:35], -1, v15
	v_addc_co_u32_e64 v17, s[34:35], 0, -1, s[34:35]
	v_cmp_ne_u32_e64 s[34:35], 0, v15
	v_xor_b32_e32 v15, s35, v17
	v_and_b32_e32 v17, exec_hi, v15
	v_lshlrev_b32_e32 v15, 30, v18
	v_xor_b32_e32 v16, s34, v16
	v_cmp_gt_i64_e64 s[34:35], 0, v[14:15]
	v_not_b32_e32 v15, v15
	v_ashrrev_i32_e32 v15, 31, v15
	v_and_b32_e32 v16, exec_lo, v16
	v_xor_b32_e32 v19, s35, v15
	v_xor_b32_e32 v15, s34, v15
	v_and_b32_e32 v16, v16, v15
	v_lshlrev_b32_e32 v15, 29, v18
	v_cmp_gt_i64_e64 s[34:35], 0, v[14:15]
	v_not_b32_e32 v15, v15
	v_ashrrev_i32_e32 v15, 31, v15
	v_and_b32_e32 v17, v17, v19
	v_xor_b32_e32 v19, s35, v15
	v_xor_b32_e32 v15, s34, v15
	v_and_b32_e32 v16, v16, v15
	v_lshlrev_b32_e32 v15, 28, v18
	v_cmp_gt_i64_e64 s[34:35], 0, v[14:15]
	v_not_b32_e32 v15, v15
	v_ashrrev_i32_e32 v15, 31, v15
	v_and_b32_e32 v17, v17, v19
	;; [unrolled: 8-line block ×5, first 2 shown]
	v_xor_b32_e32 v19, s35, v15
	v_xor_b32_e32 v15, s34, v15
	v_and_b32_e32 v16, v16, v15
	v_lshlrev_b32_e32 v15, 24, v18
	v_cmp_gt_i64_e64 s[34:35], 0, v[14:15]
	v_not_b32_e32 v15, v15
	v_ashrrev_i32_e32 v15, 31, v15
	v_xor_b32_e32 v18, s35, v15
	v_xor_b32_e32 v15, s34, v15
	v_and_b32_e32 v17, v17, v19
	v_and_b32_e32 v16, v16, v15
	;; [unrolled: 1-line block ×3, first 2 shown]
	v_mbcnt_lo_u32_b32 v15, v16, 0
	v_mbcnt_hi_u32_b32 v15, v17, v15
	v_cmp_eq_u32_e64 s[34:35], 0, v15
	v_cmp_ne_u64_e64 s[36:37], 0, v[16:17]
	s_and_b64 s[36:37], s[36:37], s[34:35]
	; wave barrier
	s_and_saveexec_b64 s[34:35], s[36:37]
	s_cbranch_execz .LBB1221_188
; %bb.187:                              ;   in Loop: Header=BB1221_172 Depth=1
	v_bcnt_u32_b32 v16, v16, 0
	v_bcnt_u32_b32 v16, v17, v16
	s_waitcnt vmcnt(0) lgkmcnt(0)
	v_add_u32_e32 v16, v147, v16
	flat_store_dword v[116:117], v16
.LBB1221_188:                           ;   in Loop: Header=BB1221_172 Depth=1
	s_or_b64 exec, exec, s[34:35]
	; wave barrier
	s_waitcnt lgkmcnt(0)
	s_barrier
	flat_load_dwordx4 v[16:19], v[4:5] offset:16
	s_waitcnt vmcnt(0) lgkmcnt(0)
	v_add_u32_e32 v148, v17, v16
	v_add3_u32 v19, v148, v18, v19
	s_nop 1
	v_mov_b32_dpp v148, v19 row_shr:1 row_mask:0xf bank_mask:0xf
	v_cndmask_b32_e64 v148, v148, 0, vcc
	v_add_u32_e32 v19, v148, v19
	s_nop 1
	v_mov_b32_dpp v148, v19 row_shr:2 row_mask:0xf bank_mask:0xf
	v_cndmask_b32_e64 v148, 0, v148, s[4:5]
	v_add_u32_e32 v19, v19, v148
	s_nop 1
	v_mov_b32_dpp v148, v19 row_shr:4 row_mask:0xf bank_mask:0xf
	v_cndmask_b32_e64 v148, 0, v148, s[6:7]
	;; [unrolled: 4-line block ×3, first 2 shown]
	v_add_u32_e32 v19, v19, v148
	s_nop 1
	v_mov_b32_dpp v148, v19 row_bcast:15 row_mask:0xf bank_mask:0xf
	v_cndmask_b32_e64 v148, v148, 0, s[30:31]
	v_add_u32_e32 v19, v19, v148
	s_nop 1
	v_mov_b32_dpp v148, v19 row_bcast:31 row_mask:0xf bank_mask:0xf
	v_cndmask_b32_e64 v148, 0, v148, s[14:15]
	v_add_u32_e32 v19, v19, v148
	s_and_saveexec_b64 s[34:35], s[16:17]
	s_cbranch_execz .LBB1221_190
; %bb.189:                              ;   in Loop: Header=BB1221_172 Depth=1
	flat_store_dword v[38:39], v19
.LBB1221_190:                           ;   in Loop: Header=BB1221_172 Depth=1
	s_or_b64 exec, exec, s[34:35]
	s_waitcnt lgkmcnt(0)
	s_barrier
	s_and_saveexec_b64 s[34:35], s[18:19]
	s_cbranch_execz .LBB1221_192
; %bb.191:                              ;   in Loop: Header=BB1221_172 Depth=1
	flat_load_dword v148, v[48:49]
	s_waitcnt vmcnt(0) lgkmcnt(0)
	s_nop 0
	v_mov_b32_dpp v149, v148 row_shr:1 row_mask:0xf bank_mask:0xf
	v_cndmask_b32_e64 v149, v149, 0, s[26:27]
	v_add_u32_e32 v148, v149, v148
	s_nop 1
	v_mov_b32_dpp v149, v148 row_shr:2 row_mask:0xf bank_mask:0xf
	v_cndmask_b32_e64 v149, 0, v149, s[28:29]
	v_add_u32_e32 v148, v148, v149
	flat_store_dword v[48:49], v148
.LBB1221_192:                           ;   in Loop: Header=BB1221_172 Depth=1
	s_or_b64 exec, exec, s[34:35]
	v_mov_b32_e32 v148, 0
	s_waitcnt lgkmcnt(0)
	s_barrier
	s_and_saveexec_b64 s[34:35], s[20:21]
	s_cbranch_execz .LBB1221_194
; %bb.193:                              ;   in Loop: Header=BB1221_172 Depth=1
	flat_load_dword v148, v[50:51]
.LBB1221_194:                           ;   in Loop: Header=BB1221_172 Depth=1
	s_or_b64 exec, exec, s[34:35]
	s_waitcnt vmcnt(0) lgkmcnt(0)
	v_add_u32_e32 v19, v148, v19
	ds_bpermute_b32 v19, v180, v19
	v_add_u32_e32 v10, 8, v10
	v_cmp_lt_u32_e64 s[34:35], v10, v11
	s_mov_b64 s[46:47], -1
                                        ; implicit-def: $vgpr166_vgpr167
	s_waitcnt lgkmcnt(0)
	v_cndmask_b32_e64 v19, v19, v148, s[22:23]
	v_cndmask_b32_e64 v148, v19, 0, s[24:25]
	v_add_u32_e32 v149, v148, v16
	v_add_u32_e32 v150, v149, v17
	;; [unrolled: 1-line block ×3, first 2 shown]
	flat_store_dwordx4 v[4:5], v[148:151] offset:16
	s_waitcnt lgkmcnt(0)
	s_barrier
	flat_load_dword v16, v[86:87]
	flat_load_dword v18, v[96:97]
	;; [unrolled: 1-line block ×8, first 2 shown]
	v_mov_b32_e32 v17, v14
	v_mov_b32_e32 v19, v14
	;; [unrolled: 1-line block ×8, first 2 shown]
	s_waitcnt lgkmcnt(0)
                                        ; implicit-def: $vgpr114_vgpr115
                                        ; implicit-def: $vgpr116_vgpr117
	s_waitcnt vmcnt(0) lgkmcnt(0)
	v_add_u32_e32 v16, v16, v118
	v_lshlrev_b64 v[16:17], 3, v[16:17]
	v_add3_u32 v18, v128, v119, v18
	v_lshlrev_b64 v[18:19], 3, v[18:19]
	v_add3_u32 v86, v130, v129, v148
	v_add3_u32 v100, v144, v135, v151
	v_add_co_u32_e64 v144, s[36:37], v12, v16
	v_add3_u32 v102, v146, v145, v160
	v_addc_co_u32_e64 v145, s[36:37], v13, v17, s[36:37]
	v_add_co_u32_e64 v146, s[36:37], v12, v18
	v_add3_u32 v112, v15, v147, v161
	v_lshlrev_b64 v[86:87], 3, v[86:87]
	v_addc_co_u32_e64 v147, s[36:37], v13, v19, s[36:37]
	v_add3_u32 v96, v132, v131, v149
	v_add_co_u32_e64 v148, s[36:37], v12, v86
	v_lshlrev_b64 v[96:97], 3, v[96:97]
	v_addc_co_u32_e64 v149, s[36:37], v13, v87, s[36:37]
	v_add3_u32 v98, v134, v133, v150
	v_add_co_u32_e64 v150, s[36:37], v12, v96
	v_lshlrev_b64 v[98:99], 3, v[98:99]
	v_addc_co_u32_e64 v151, s[36:37], v13, v97, s[36:37]
	v_add_co_u32_e64 v160, s[36:37], v12, v98
	v_lshlrev_b64 v[100:101], 3, v[100:101]
	v_addc_co_u32_e64 v161, s[36:37], v13, v99, s[36:37]
	;; [unrolled: 3-line block ×4, first 2 shown]
	v_add_co_u32_e64 v176, s[36:37], v12, v112
	v_addc_co_u32_e64 v177, s[36:37], v13, v113, s[36:37]
                                        ; implicit-def: $vgpr16_vgpr17
                                        ; implicit-def: $vgpr18_vgpr19
                                        ; implicit-def: $vgpr86_vgpr87
                                        ; implicit-def: $vgpr96_vgpr97
                                        ; implicit-def: $vgpr98_vgpr99
                                        ; implicit-def: $vgpr100_vgpr101
                                        ; implicit-def: $vgpr102_vgpr103
                                        ; implicit-def: $vgpr112_vgpr113
                                        ; implicit-def: $vgpr118_vgpr119
                                        ; implicit-def: $vgpr128_vgpr129
                                        ; implicit-def: $vgpr130_vgpr131
                                        ; implicit-def: $vgpr132_vgpr133
                                        ; implicit-def: $vgpr134_vgpr135
	s_and_saveexec_b64 s[36:37], s[34:35]
	s_cbranch_execz .LBB1221_171
; %bb.195:                              ;   in Loop: Header=BB1221_172 Depth=1
	s_barrier
	flat_store_dwordx2 v[144:145], v[84:85]
	flat_store_dwordx2 v[146:147], v[82:83]
	;; [unrolled: 1-line block ×8, first 2 shown]
	s_waitcnt lgkmcnt(0)
	s_barrier
	flat_load_dwordx2 v[112:113], v[52:53]
	flat_load_dwordx2 v[116:117], v[52:53] offset:512
	flat_load_dwordx2 v[118:119], v[52:53] offset:1024
	;; [unrolled: 1-line block ×7, first 2 shown]
	s_waitcnt lgkmcnt(0)
	s_barrier
	flat_store_dwordx2 v[144:145], v[36:37]
	flat_store_dwordx2 v[146:147], v[34:35]
	;; [unrolled: 1-line block ×8, first 2 shown]
	s_waitcnt lgkmcnt(0)
	s_barrier
	flat_load_dwordx2 v[16:17], v[52:53]
	flat_load_dwordx2 v[18:19], v[52:53] offset:512
	flat_load_dwordx2 v[86:87], v[52:53] offset:1024
	;; [unrolled: 1-line block ×7, first 2 shown]
	v_add_u32_e32 v181, -8, v181
	s_xor_b64 s[46:47], exec, -1
	s_waitcnt lgkmcnt(0)
	s_barrier
	s_branch .LBB1221_171
.LBB1221_196:
	flat_load_dwordx2 v[16:17], v[4:5]
	s_or_b64 exec, exec, vcc
                                        ; implicit-def: $vgpr18_vgpr19
	s_and_saveexec_b64 s[4:5], s[6:7]
	s_cbranch_execz .LBB1221_36
.LBB1221_197:
	flat_load_dwordx2 v[18:19], v[4:5] offset:512
	s_or_b64 exec, exec, s[4:5]
                                        ; implicit-def: $vgpr182_vgpr183
	s_and_saveexec_b64 s[4:5], s[10:11]
	s_cbranch_execz .LBB1221_37
.LBB1221_198:
	flat_load_dwordx2 v[182:183], v[4:5] offset:1024
	s_or_b64 exec, exec, s[4:5]
                                        ; implicit-def: $vgpr192_vgpr193
	s_and_saveexec_b64 s[4:5], s[40:41]
	s_cbranch_execz .LBB1221_38
.LBB1221_199:
	flat_load_dwordx2 v[192:193], v[4:5] offset:1536
	s_or_b64 exec, exec, s[4:5]
                                        ; implicit-def: $vgpr194_vgpr195
	s_and_saveexec_b64 s[4:5], s[14:15]
	s_cbranch_execz .LBB1221_39
.LBB1221_200:
	flat_load_dwordx2 v[194:195], v[4:5] offset:2048
	s_or_b64 exec, exec, s[4:5]
                                        ; implicit-def: $vgpr196_vgpr197
	s_and_saveexec_b64 s[4:5], s[16:17]
	s_cbranch_execz .LBB1221_40
.LBB1221_201:
	flat_load_dwordx2 v[196:197], v[4:5] offset:2560
	s_or_b64 exec, exec, s[4:5]
                                        ; implicit-def: $vgpr198_vgpr199
	s_and_saveexec_b64 s[4:5], s[18:19]
	s_cbranch_execz .LBB1221_41
.LBB1221_202:
	flat_load_dwordx2 v[198:199], v[4:5] offset:3072
	s_or_b64 exec, exec, s[4:5]
                                        ; implicit-def: $vgpr208_vgpr209
	s_and_saveexec_b64 s[4:5], s[20:21]
	s_cbranch_execz .LBB1221_42
.LBB1221_203:
	flat_load_dwordx2 v[208:209], v[4:5] offset:3584
	s_or_b64 exec, exec, s[4:5]
                                        ; implicit-def: $vgpr210_vgpr211
	s_and_saveexec_b64 s[4:5], s[22:23]
	s_cbranch_execz .LBB1221_43
.LBB1221_204:
	v_add_co_u32_e32 v70, vcc, 0x1000, v4
	v_addc_co_u32_e32 v71, vcc, 0, v5, vcc
	flat_load_dwordx2 v[210:211], v[70:71]
	s_or_b64 exec, exec, s[4:5]
                                        ; implicit-def: $vgpr212_vgpr213
	s_and_saveexec_b64 s[4:5], s[24:25]
	s_cbranch_execz .LBB1221_44
.LBB1221_205:
	v_add_co_u32_e32 v70, vcc, 0x1000, v4
	v_addc_co_u32_e32 v71, vcc, 0, v5, vcc
	flat_load_dwordx2 v[212:213], v[70:71] offset:512
	s_or_b64 exec, exec, s[4:5]
                                        ; implicit-def: $vgpr214_vgpr215
	s_and_saveexec_b64 s[4:5], s[26:27]
	s_cbranch_execz .LBB1221_45
.LBB1221_206:
	v_add_co_u32_e32 v70, vcc, 0x1000, v4
	v_addc_co_u32_e32 v71, vcc, 0, v5, vcc
	flat_load_dwordx2 v[214:215], v[70:71] offset:1024
	s_or_b64 exec, exec, s[4:5]
                                        ; implicit-def: $vgpr224_vgpr225
	s_and_saveexec_b64 s[4:5], s[28:29]
	s_cbranch_execz .LBB1221_46
.LBB1221_207:
	v_add_co_u32_e32 v70, vcc, 0x1000, v4
	v_addc_co_u32_e32 v71, vcc, 0, v5, vcc
	flat_load_dwordx2 v[224:225], v[70:71] offset:1536
	s_or_b64 exec, exec, s[4:5]
                                        ; implicit-def: $vgpr226_vgpr227
	s_and_saveexec_b64 s[4:5], s[30:31]
	s_cbranch_execz .LBB1221_47
.LBB1221_208:
	v_add_co_u32_e32 v70, vcc, 0x1000, v4
	v_addc_co_u32_e32 v71, vcc, 0, v5, vcc
	flat_load_dwordx2 v[226:227], v[70:71] offset:2048
	s_or_b64 exec, exec, s[4:5]
                                        ; implicit-def: $vgpr228_vgpr229
	s_and_saveexec_b64 s[4:5], s[34:35]
	s_cbranch_execz .LBB1221_48
.LBB1221_209:
	v_add_co_u32_e32 v70, vcc, 0x1000, v4
	v_addc_co_u32_e32 v71, vcc, 0, v5, vcc
	flat_load_dwordx2 v[228:229], v[70:71] offset:2560
	s_or_b64 exec, exec, s[4:5]
                                        ; implicit-def: $vgpr242_vgpr243
	s_and_saveexec_b64 s[4:5], s[36:37]
	s_cbranch_execz .LBB1221_49
.LBB1221_210:
	v_add_co_u32_e32 v70, vcc, 0x1000, v4
	v_addc_co_u32_e32 v71, vcc, 0, v5, vcc
	flat_load_dwordx2 v[242:243], v[70:71] offset:3072
	s_or_b64 exec, exec, s[4:5]
                                        ; implicit-def: $agpr0_agpr1
	s_and_saveexec_b64 s[4:5], s[38:39]
	s_cbranch_execnz .LBB1221_50
	s_branch .LBB1221_51
.LBB1221_211:
	flat_store_dwordx2 v[0:1], v[38:39]
	s_or_b64 exec, exec, vcc
	s_and_saveexec_b64 s[4:5], s[6:7]
	s_cbranch_execz .LBB1221_127
.LBB1221_212:
	flat_store_dwordx2 v[0:1], v[36:37] offset:2048
	s_or_b64 exec, exec, s[4:5]
	s_and_saveexec_b64 s[4:5], s[10:11]
	s_cbranch_execz .LBB1221_128
.LBB1221_213:
	v_add_co_u32_e32 v2, vcc, 0x1000, v0
	v_addc_co_u32_e32 v3, vcc, 0, v1, vcc
	flat_store_dwordx2 v[2:3], v[34:35]
	s_or_b64 exec, exec, s[4:5]
	s_and_saveexec_b64 s[4:5], s[40:41]
	s_cbranch_execz .LBB1221_129
.LBB1221_214:
	v_add_co_u32_e32 v2, vcc, 0x1000, v0
	v_addc_co_u32_e32 v3, vcc, 0, v1, vcc
	flat_store_dwordx2 v[2:3], v[32:33] offset:2048
	s_or_b64 exec, exec, s[4:5]
	s_and_saveexec_b64 s[4:5], s[14:15]
	s_cbranch_execz .LBB1221_130
.LBB1221_215:
	v_add_co_u32_e32 v2, vcc, 0x2000, v0
	v_addc_co_u32_e32 v3, vcc, 0, v1, vcc
	flat_store_dwordx2 v[2:3], v[30:31]
	s_or_b64 exec, exec, s[4:5]
	s_and_saveexec_b64 s[4:5], s[16:17]
	s_cbranch_execz .LBB1221_131
.LBB1221_216:
	v_add_co_u32_e32 v2, vcc, 0x2000, v0
	v_addc_co_u32_e32 v3, vcc, 0, v1, vcc
	flat_store_dwordx2 v[2:3], v[28:29] offset:2048
	s_or_b64 exec, exec, s[4:5]
	s_and_saveexec_b64 s[4:5], s[18:19]
	s_cbranch_execz .LBB1221_132
.LBB1221_217:
	v_add_co_u32_e32 v2, vcc, 0x3000, v0
	v_addc_co_u32_e32 v3, vcc, 0, v1, vcc
	flat_store_dwordx2 v[2:3], v[26:27]
	s_or_b64 exec, exec, s[4:5]
	s_and_saveexec_b64 s[4:5], s[20:21]
	s_cbranch_execz .LBB1221_133
.LBB1221_218:
	v_add_co_u32_e32 v2, vcc, 0x3000, v0
	v_addc_co_u32_e32 v3, vcc, 0, v1, vcc
	flat_store_dwordx2 v[2:3], v[24:25] offset:2048
	s_or_b64 exec, exec, s[4:5]
	s_and_saveexec_b64 s[4:5], s[22:23]
	s_cbranch_execz .LBB1221_134
.LBB1221_219:
	v_add_co_u32_e32 v2, vcc, 0x4000, v0
	v_addc_co_u32_e32 v3, vcc, 0, v1, vcc
	flat_store_dwordx2 v[2:3], v[22:23]
	s_or_b64 exec, exec, s[4:5]
	s_and_saveexec_b64 s[4:5], s[24:25]
	s_cbranch_execz .LBB1221_135
.LBB1221_220:
	v_add_co_u32_e32 v2, vcc, 0x4000, v0
	v_addc_co_u32_e32 v3, vcc, 0, v1, vcc
	s_waitcnt vmcnt(0)
	flat_store_dwordx2 v[2:3], v[18:19] offset:2048
	s_or_b64 exec, exec, s[4:5]
	s_and_saveexec_b64 s[4:5], s[26:27]
	s_cbranch_execz .LBB1221_136
.LBB1221_221:
	v_add_co_u32_e32 v2, vcc, 0x5000, v0
	v_addc_co_u32_e32 v3, vcc, 0, v1, vcc
	s_waitcnt vmcnt(0)
	flat_store_dwordx2 v[2:3], v[16:17]
	s_or_b64 exec, exec, s[4:5]
	s_and_saveexec_b64 s[4:5], s[28:29]
	s_cbranch_execz .LBB1221_137
.LBB1221_222:
	v_add_co_u32_e32 v2, vcc, 0x5000, v0
	v_addc_co_u32_e32 v3, vcc, 0, v1, vcc
	s_waitcnt vmcnt(0)
	flat_store_dwordx2 v[2:3], v[14:15] offset:2048
	s_or_b64 exec, exec, s[4:5]
	s_and_saveexec_b64 s[4:5], s[30:31]
	s_cbranch_execz .LBB1221_138
.LBB1221_223:
	v_add_co_u32_e32 v2, vcc, 0x6000, v0
	v_addc_co_u32_e32 v3, vcc, 0, v1, vcc
	s_waitcnt vmcnt(0)
	flat_store_dwordx2 v[2:3], v[12:13]
	s_or_b64 exec, exec, s[4:5]
	s_and_saveexec_b64 s[4:5], s[34:35]
	s_cbranch_execz .LBB1221_139
.LBB1221_224:
	v_add_co_u32_e32 v2, vcc, 0x6000, v0
	v_addc_co_u32_e32 v3, vcc, 0, v1, vcc
	s_waitcnt vmcnt(0)
	flat_store_dwordx2 v[2:3], v[10:11] offset:2048
	s_or_b64 exec, exec, s[4:5]
	s_and_saveexec_b64 s[4:5], s[36:37]
	s_cbranch_execz .LBB1221_140
.LBB1221_225:
	v_add_co_u32_e32 v2, vcc, 0x7000, v0
	v_addc_co_u32_e32 v3, vcc, 0, v1, vcc
	s_waitcnt vmcnt(0)
	flat_store_dwordx2 v[2:3], v[8:9]
	s_or_b64 exec, exec, s[4:5]
	s_and_saveexec_b64 s[4:5], s[38:39]
	s_cbranch_execnz .LBB1221_141
	s_branch .LBB1221_142
.LBB1221_226:
	s_or_b64 exec, exec, s[44:45]
	v_lshlrev_b32_e32 v1, 3, v22
	s_barrier
	flat_store_dwordx2 v[144:145], v[84:85]
	flat_store_dwordx2 v[146:147], v[82:83]
	;; [unrolled: 1-line block ×8, first 2 shown]
	v_add_co_u32_e32 v70, vcc, v12, v1
	v_addc_co_u32_e32 v71, vcc, 0, v13, vcc
	s_movk_i32 s4, 0x1000
	v_add_co_u32_e32 v80, vcc, s4, v70
	v_mov_b32_e32 v1, 0x2000
	v_addc_co_u32_e32 v81, vcc, 0, v71, vcc
	v_lshl_or_b32 v1, v22, 3, v1
	v_add_co_u32_e32 v82, vcc, v12, v1
	s_movk_i32 s4, 0x2000
	v_addc_co_u32_e32 v83, vcc, 0, v13, vcc
	v_add_co_u32_e32 v84, vcc, s4, v70
	v_addc_co_u32_e32 v85, vcc, 0, v71, vcc
	s_movk_i32 s4, 0x3000
	s_waitcnt vmcnt(0)
	v_add_co_u32_e32 v86, vcc, s4, v70
	s_waitcnt lgkmcnt(0)
	s_barrier
	flat_load_dwordx2 v[68:69], v[70:71]
	flat_load_dwordx2 v[66:67], v[70:71] offset:2048
	flat_load_dwordx2 v[64:65], v[80:81]
	flat_load_dwordx2 v[54:55], v[80:81] offset:2048
	v_addc_co_u32_e32 v87, vcc, 0, v71, vcc
	flat_load_dwordx2 v[52:53], v[82:83]
	flat_load_dwordx2 v[50:51], v[84:85] offset:2048
	flat_load_dwordx2 v[48:49], v[86:87]
	flat_load_dwordx2 v[38:39], v[86:87] offset:2048
	s_waitcnt lgkmcnt(0)
	s_barrier
	flat_store_dwordx2 v[144:145], v[36:37]
	flat_store_dwordx2 v[146:147], v[34:35]
	;; [unrolled: 1-line block ×8, first 2 shown]
	s_waitcnt lgkmcnt(0)
	s_barrier
	flat_load_dwordx2 v[22:23], v[70:71]
	flat_load_dwordx2 v[18:19], v[70:71] offset:2048
	flat_load_dwordx2 v[16:17], v[80:81]
	flat_load_dwordx2 v[14:15], v[80:81] offset:2048
	;; [unrolled: 2-line block ×4, first 2 shown]
	v_mov_b32_e32 v1, 0
	v_add_co_u32_e32 v24, vcc, v2, v20
	v_addc_co_u32_e32 v25, vcc, v3, v21, vcc
	v_lshlrev_b64 v[2:3], 3, v[0:1]
	v_add_co_u32_e32 v24, vcc, v24, v2
	v_addc_co_u32_e32 v25, vcc, v25, v3, vcc
	v_cmp_lt_u32_e64 s[4:5], v0, v152
	s_waitcnt lgkmcnt(0)
	s_barrier
	s_and_saveexec_b64 s[6:7], s[4:5]
	s_cbranch_execz .LBB1221_228
; %bb.227:
	v_bfrev_b32_e32 v1, 1
	s_waitcnt vmcnt(0)
	v_cmp_lt_i64_e32 vcc, -1, v[68:69]
	v_ashrrev_i32_e32 v26, 31, v69
	v_cndmask_b32_e64 v1, v1, -1, vcc
	v_not_b32_e32 v26, v26
	v_xor_b32_e32 v27, v1, v69
	v_xor_b32_e32 v26, v26, v68
	flat_store_dwordx2 v[24:25], v[26:27]
.LBB1221_228:
	s_or_b64 exec, exec, s[6:7]
	v_add_u32_e32 v1, 0x100, v0
	v_cmp_lt_u32_e64 s[6:7], v1, v152
	s_and_saveexec_b64 s[10:11], s[6:7]
	s_cbranch_execz .LBB1221_230
; %bb.229:
	v_bfrev_b32_e32 v1, 1
	s_waitcnt vmcnt(0)
	v_cmp_lt_i64_e32 vcc, -1, v[66:67]
	v_ashrrev_i32_e32 v26, 31, v67
	v_cndmask_b32_e64 v1, v1, -1, vcc
	v_not_b32_e32 v26, v26
	v_xor_b32_e32 v27, v1, v67
	v_xor_b32_e32 v26, v26, v66
	flat_store_dwordx2 v[24:25], v[26:27] offset:2048
.LBB1221_230:
	s_or_b64 exec, exec, s[10:11]
	v_add_u32_e32 v1, 0x200, v0
	v_cmp_lt_u32_e64 s[10:11], v1, v152
	s_and_saveexec_b64 s[14:15], s[10:11]
	s_cbranch_execz .LBB1221_232
; %bb.231:
	v_bfrev_b32_e32 v1, 1
	s_waitcnt vmcnt(0)
	v_cmp_lt_i64_e32 vcc, -1, v[64:65]
	v_ashrrev_i32_e32 v26, 31, v65
	v_cndmask_b32_e64 v1, v1, -1, vcc
	v_not_b32_e32 v26, v26
	v_add_co_u32_e32 v28, vcc, 0x1000, v24
	v_xor_b32_e32 v27, v1, v65
	v_xor_b32_e32 v26, v26, v64
	v_addc_co_u32_e32 v29, vcc, 0, v25, vcc
	flat_store_dwordx2 v[28:29], v[26:27]
.LBB1221_232:
	s_or_b64 exec, exec, s[14:15]
	v_add_u32_e32 v1, 0x300, v0
	v_cmp_lt_u32_e64 s[22:23], v1, v152
	s_and_saveexec_b64 s[14:15], s[22:23]
	s_cbranch_execz .LBB1221_234
; %bb.233:
	v_bfrev_b32_e32 v1, 1
	s_waitcnt vmcnt(0)
	v_cmp_lt_i64_e32 vcc, -1, v[54:55]
	v_ashrrev_i32_e32 v26, 31, v55
	v_cndmask_b32_e64 v1, v1, -1, vcc
	v_not_b32_e32 v26, v26
	v_add_co_u32_e32 v28, vcc, 0x1000, v24
	v_xor_b32_e32 v27, v1, v55
	v_xor_b32_e32 v26, v26, v54
	v_addc_co_u32_e32 v29, vcc, 0, v25, vcc
	flat_store_dwordx2 v[28:29], v[26:27] offset:2048
.LBB1221_234:
	s_or_b64 exec, exec, s[14:15]
	v_add_u32_e32 v1, 0x400, v0
	v_cmp_lt_u32_e64 s[14:15], v1, v152
	s_and_saveexec_b64 s[16:17], s[14:15]
	s_cbranch_execz .LBB1221_236
; %bb.235:
	v_bfrev_b32_e32 v1, 1
	s_waitcnt vmcnt(0)
	v_cmp_lt_i64_e32 vcc, -1, v[52:53]
	v_ashrrev_i32_e32 v26, 31, v53
	v_cndmask_b32_e64 v1, v1, -1, vcc
	v_not_b32_e32 v26, v26
	v_add_co_u32_e32 v28, vcc, 0x2000, v24
	v_xor_b32_e32 v27, v1, v53
	v_xor_b32_e32 v26, v26, v52
	v_addc_co_u32_e32 v29, vcc, 0, v25, vcc
	flat_store_dwordx2 v[28:29], v[26:27]
.LBB1221_236:
	s_or_b64 exec, exec, s[16:17]
	v_add_u32_e32 v1, 0x500, v0
	v_cmp_lt_u32_e64 s[16:17], v1, v152
	s_and_saveexec_b64 s[18:19], s[16:17]
	s_cbranch_execz .LBB1221_238
; %bb.237:
	v_bfrev_b32_e32 v1, 1
	s_waitcnt vmcnt(0)
	v_cmp_lt_i64_e32 vcc, -1, v[50:51]
	v_ashrrev_i32_e32 v26, 31, v51
	v_cndmask_b32_e64 v1, v1, -1, vcc
	v_not_b32_e32 v26, v26
	v_add_co_u32_e32 v28, vcc, 0x2000, v24
	v_xor_b32_e32 v27, v1, v51
	v_xor_b32_e32 v26, v26, v50
	v_addc_co_u32_e32 v29, vcc, 0, v25, vcc
	flat_store_dwordx2 v[28:29], v[26:27] offset:2048
.LBB1221_238:
	;; [unrolled: 36-line block ×3, first 2 shown]
	s_or_b64 exec, exec, s[24:25]
	v_add_co_u32_e32 v0, vcc, v6, v20
	v_addc_co_u32_e32 v1, vcc, v7, v21, vcc
	v_add_co_u32_e32 v0, vcc, v0, v2
	v_addc_co_u32_e32 v1, vcc, v1, v3, vcc
	s_and_saveexec_b64 s[24:25], s[4:5]
	s_cbranch_execnz .LBB1221_292
; %bb.243:
	s_or_b64 exec, exec, s[24:25]
	s_and_saveexec_b64 s[4:5], s[6:7]
	s_cbranch_execnz .LBB1221_293
.LBB1221_244:
	s_or_b64 exec, exec, s[4:5]
	s_and_saveexec_b64 s[4:5], s[10:11]
	s_cbranch_execnz .LBB1221_294
.LBB1221_245:
	s_or_b64 exec, exec, s[4:5]
	s_and_saveexec_b64 s[4:5], s[22:23]
	s_cbranch_execnz .LBB1221_295
.LBB1221_246:
	s_or_b64 exec, exec, s[4:5]
	s_and_saveexec_b64 s[4:5], s[14:15]
	s_cbranch_execnz .LBB1221_296
.LBB1221_247:
	s_or_b64 exec, exec, s[4:5]
	s_and_saveexec_b64 s[4:5], s[16:17]
	s_cbranch_execnz .LBB1221_297
.LBB1221_248:
	s_or_b64 exec, exec, s[4:5]
	s_and_saveexec_b64 s[4:5], s[18:19]
	s_cbranch_execnz .LBB1221_298
.LBB1221_249:
	s_or_b64 exec, exec, s[4:5]
	s_and_saveexec_b64 s[4:5], s[20:21]
	s_cbranch_execz .LBB1221_251
.LBB1221_250:
	v_add_co_u32_e32 v0, vcc, 0x3000, v0
	v_addc_co_u32_e32 v1, vcc, 0, v1, vcc
	s_waitcnt vmcnt(0)
	flat_store_dwordx2 v[0:1], v[4:5] offset:2048
.LBB1221_251:
	s_or_b64 exec, exec, s[4:5]
                                        ; implicit-def: $vgpr152
                                        ; implicit-def: $vgpr0
                                        ; implicit-def: $vgpr1
                                        ; implicit-def: $vgpr2
                                        ; implicit-def: $vgpr3
                                        ; implicit-def: $vgpr4
                                        ; implicit-def: $vgpr5
                                        ; implicit-def: $vgpr6
                                        ; implicit-def: $vgpr7
                                        ; implicit-def: $vgpr8
                                        ; implicit-def: $vgpr10
                                        ; implicit-def: $vgpr11
                                        ; implicit-def: $vgpr12
                                        ; implicit-def: $vgpr13
                                        ; implicit-def: $vgpr31
                                        ; implicit-def: $vgpr15
                                        ; implicit-def: $vgpr16
                                        ; implicit-def: $vgpr14
.LBB1221_252:
	s_andn2_saveexec_b64 s[4:5], s[38:39]
	s_cbranch_execz .LBB1221_372
; %bb.253:
	s_movk_i32 s4, 0x200
	v_cmp_lt_u32_e32 vcc, s4, v152
	s_and_saveexec_b64 s[4:5], vcc
	s_xor_b64 s[38:39], exec, s[4:5]
	s_cbranch_execz .LBB1221_313
; %bb.254:
	s_load_dwordx2 s[4:5], s[8:9], 0x0
	s_waitcnt vmcnt(0)
	v_mov_b32_e32 v9, 0
	v_mbcnt_hi_u32_b32 v28, -1, v14
	v_lshlrev_b64 v[22:23], 3, v[8:9]
	v_and_b32_e32 v29, 63, v28
	s_waitcnt lgkmcnt(0)
	s_cmp_lt_u32 s12, s4
	s_cselect_b32 s6, 12, 18
	s_cmp_lt_u32 s13, s5
	s_cselect_b32 s4, 14, 20
	s_add_u32 s4, s8, s4
	s_addc_u32 s5, s9, 0
	s_add_u32 s6, s8, s6
	global_load_ushort v17, v9, s[4:5]
	s_addc_u32 s7, s9, 0
	global_load_ushort v18, v9, s[6:7]
	v_add_co_u32_e32 v0, vcc, v0, v22
	v_addc_co_u32_e32 v1, vcc, v1, v23, vcc
	v_lshlrev_b32_e32 v25, 3, v29
	v_and_b32_e32 v24, 0x3ff, v31
	v_add_co_u32_e32 v14, vcc, v0, v25
	v_addc_co_u32_e32 v19, vcc, 0, v1, vcc
	s_mov_b32 s16, -1
	s_brev_b32 s17, -2
	s_mov_b32 s18, s16
	s_mov_b32 s19, s17
	;; [unrolled: 1-line block ×6, first 2 shown]
	s_waitcnt vmcnt(1)
	v_mad_u32_u24 v0, v16, v17, v15
	s_waitcnt vmcnt(0)
	v_mad_u64_u32 v[0:1], s[4:5], v0, v18, v[24:25]
	v_lshlrev_b32_e32 v1, 2, v0
	v_and_b32_e32 v8, 0xffffff00, v1
	v_lshlrev_b64 v[26:27], 3, v[8:9]
	v_or_b32_e32 v1, v8, v29
	v_add_co_u32_e32 v8, vcc, v14, v26
	v_addc_co_u32_e32 v9, vcc, v19, v27, vcc
	v_pk_mov_b32 v[14:15], s[16:17], s[16:17] op_sel:[0,1]
	v_cmp_lt_u32_e32 vcc, v1, v152
	v_pk_mov_b32 v[16:17], s[18:19], s[18:19] op_sel:[0,1]
	v_pk_mov_b32 v[18:19], s[20:21], s[20:21] op_sel:[0,1]
	;; [unrolled: 1-line block ×3, first 2 shown]
	s_and_saveexec_b64 s[4:5], vcc
	s_cbranch_execz .LBB1221_256
; %bb.255:
	flat_load_dwordx2 v[14:15], v[8:9]
	v_mov_b32_e32 v16, -1
	v_bfrev_b32_e32 v17, -2
	v_mov_b32_e32 v18, v16
	v_mov_b32_e32 v19, v17
	;; [unrolled: 1-line block ×4, first 2 shown]
.LBB1221_256:
	s_or_b64 exec, exec, s[4:5]
	v_or_b32_e32 v30, 64, v1
	v_cmp_lt_u32_e64 s[4:5], v30, v152
	s_and_saveexec_b64 s[6:7], s[4:5]
	s_cbranch_execz .LBB1221_258
; %bb.257:
	flat_load_dwordx2 v[16:17], v[8:9] offset:512
.LBB1221_258:
	s_or_b64 exec, exec, s[6:7]
	v_or_b32_e32 v30, 0x80, v1
	v_cmp_lt_u32_e64 s[6:7], v30, v152
	s_and_saveexec_b64 s[10:11], s[6:7]
	s_cbranch_execz .LBB1221_260
; %bb.259:
	flat_load_dwordx2 v[18:19], v[8:9] offset:1024
.LBB1221_260:
	;; [unrolled: 8-line block ×3, first 2 shown]
	s_or_b64 exec, exec, s[14:15]
	v_add_co_u32_e64 v1, s[14:15], v4, v22
	v_addc_co_u32_e64 v4, s[14:15], v5, v23, s[14:15]
	v_add_co_u32_e64 v1, s[14:15], v1, v25
	v_addc_co_u32_e64 v5, s[14:15], 0, v4, s[14:15]
	;; [unrolled: 2-line block ×3, first 2 shown]
                                        ; implicit-def: $vgpr54_vgpr55
	s_and_saveexec_b64 s[14:15], vcc
	s_cbranch_execnz .LBB1221_337
; %bb.263:
	s_or_b64 exec, exec, s[14:15]
                                        ; implicit-def: $vgpr64_vgpr65
	s_and_saveexec_b64 s[14:15], s[4:5]
	s_cbranch_execnz .LBB1221_338
.LBB1221_264:
	s_or_b64 exec, exec, s[14:15]
                                        ; implicit-def: $vgpr66_vgpr67
	s_and_saveexec_b64 s[4:5], s[6:7]
	s_cbranch_execnz .LBB1221_339
.LBB1221_265:
	s_or_b64 exec, exec, s[4:5]
                                        ; implicit-def: $vgpr68_vgpr69
	s_and_saveexec_b64 s[4:5], s[10:11]
	s_cbranch_execz .LBB1221_267
.LBB1221_266:
	flat_load_dwordx2 v[68:69], v[4:5] offset:1536
.LBB1221_267:
	s_or_b64 exec, exec, s[4:5]
	v_bfrev_b32_e32 v1, 1
	s_waitcnt vmcnt(0) lgkmcnt(0)
	v_cmp_lt_i64_e32 vcc, -1, v[14:15]
	v_cndmask_b32_e32 v4, -1, v1, vcc
	v_cmp_lt_i64_e32 vcc, -1, v[16:17]
	v_ashrrev_i32_e32 v5, 31, v15
	v_xor_b32_e32 v71, v4, v15
	v_cndmask_b32_e32 v4, -1, v1, vcc
	v_cmp_lt_i64_e32 vcc, -1, v[18:19]
	v_xor_b32_e32 v70, v5, v14
	v_ashrrev_i32_e32 v5, 31, v17
	v_xor_b32_e32 v17, v4, v17
	v_cndmask_b32_e32 v4, -1, v1, vcc
	v_cmp_lt_i64_e32 vcc, -1, v[20:21]
	v_xor_b32_e32 v16, v5, v16
	v_ashrrev_i32_e32 v5, 31, v19
	v_xor_b32_e32 v19, v4, v19
	v_cndmask_b32_e32 v4, -1, v1, vcc
	v_add_co_u32_e32 v25, vcc, 16, v12
	v_xor_b32_e32 v81, v4, v21
	v_addc_co_u32_e32 v98, vcc, 0, v13, vcc
	v_lshlrev_b32_e32 v4, 4, v24
	v_xor_b32_e32 v18, v5, v18
	v_ashrrev_i32_e32 v5, 31, v21
	v_add_co_u32_e32 v4, vcc, v12, v4
	v_xor_b32_e32 v80, v5, v20
	s_getpc_b64 s[4:5]
	s_add_u32 s4, s4, _ZN7rocprim17ROCPRIM_400000_NS16block_radix_sortIdLj256ELj4ElLj1ELj1ELj8ELNS0_26block_radix_rank_algorithmE2ELNS0_18block_padding_hintE2ELNS0_4arch9wavefront6targetE1EE19radix_bits_per_passE@rel32@lo+4
	s_addc_u32 s5, s5, _ZN7rocprim17ROCPRIM_400000_NS16block_radix_sortIdLj256ELj4ElLj1ELj1ELj8ELNS0_26block_radix_rank_algorithmE2ELNS0_18block_padding_hintE2ELNS0_4arch9wavefront6targetE1EE19radix_bits_per_passE@rel32@hi+12
	v_addc_co_u32_e32 v5, vcc, 0, v13, vcc
	v_and_b32_e32 v8, 15, v28
	s_load_dword s48, s[4:5], 0x0
	v_cmp_eq_u32_e32 vcc, 0, v8
	v_cmp_lt_u32_e64 s[4:5], 1, v8
	v_cmp_lt_u32_e64 s[6:7], 3, v8
	;; [unrolled: 1-line block ×3, first 2 shown]
	v_and_b32_e32 v8, 16, v28
	v_cmp_eq_u32_e64 s[30:31], 0, v8
	v_and_b32_e32 v8, 0x3c0, v24
	v_min_u32_e32 v8, 0xc0, v8
	v_or_b32_e32 v8, 63, v8
	v_cmp_eq_u32_e64 s[16:17], v8, v24
	v_add_u32_e32 v8, -1, v28
	v_and_b32_e32 v9, 64, v28
	v_cmp_lt_i32_e64 s[22:23], v8, v9
	v_lshrrev_b32_e32 v26, 6, v24
	v_cndmask_b32_e64 v8, v8, v28, s[22:23]
	v_lshlrev_b32_e32 v100, 2, v8
	v_lshlrev_b32_e32 v8, 2, v26
	v_add_co_u32_e64 v8, s[26:27], v12, v8
	v_lshlrev_b32_e32 v15, 2, v24
	v_addc_co_u32_e64 v9, s[26:27], 0, v13, s[26:27]
	v_add_co_u32_e64 v20, s[26:27], v12, v15
	v_mov_b32_e32 v14, 0
	v_addc_co_u32_e64 v21, s[26:27], 0, v13, s[26:27]
	v_and_b32_e32 v27, 3, v28
	v_cmp_eq_u32_e64 s[26:27], 0, v27
	v_cmp_lt_u32_e64 s[28:29], 1, v27
	v_add_u32_e32 v26, -1, v26
	v_mov_b32_e32 v27, v14
	v_lshlrev_b64 v[26:27], 2, v[26:27]
	v_add_co_u32_e64 v26, s[34:35], v12, v26
	v_addc_co_u32_e64 v27, s[34:35], v13, v27, s[34:35]
	s_movk_i32 s34, 0xf00
	v_and_or_b32 v15, v15, s34, v29
	v_lshlrev_b32_e32 v15, 3, v15
	s_mov_b32 s40, -1
	v_add_co_u32_e64 v36, s[34:35], v12, v15
	s_brev_b32 s41, -2
	v_lshrrev_b32_e32 v99, 6, v0
	v_cmp_lt_u32_e64 s[14:15], 31, v28
	v_cmp_gt_u32_e64 s[18:19], 4, v24
	v_cmp_lt_u32_e64 s[20:21], 63, v24
	v_cmp_eq_u32_e64 s[22:23], 0, v28
	v_cmp_eq_u32_e64 s[24:25], 0, v24
	v_addc_co_u32_e64 v37, s[34:35], 0, v13, s[34:35]
	v_sub_u32_e32 v101, v11, v10
	s_mov_b64 s[44:45], 0
	s_waitcnt lgkmcnt(0)
	s_barrier
	s_branch .LBB1221_269
.LBB1221_268:                           ;   in Loop: Header=BB1221_269 Depth=1
	s_or_b64 exec, exec, s[36:37]
	s_and_b64 s[34:35], exec, s[46:47]
	s_or_b64 s[44:45], s[34:35], s[44:45]
	s_andn2_b64 exec, exec, s[44:45]
	s_cbranch_execz .LBB1221_299
.LBB1221_269:                           ; =>This Inner Loop Header: Depth=1
	s_waitcnt vmcnt(0)
	v_pk_mov_b32 v[52:53], v[70:71], v[70:71] op_sel:[0,1]
	v_pk_mov_b32 v[48:49], v[18:19], v[18:19] op_sel:[0,1]
	;; [unrolled: 1-line block ×3, first 2 shown]
	v_min_u32_e32 v18, s48, v101
	v_mov_b32_e32 v15, v14
	v_mov_b32_e32 v16, v14
	;; [unrolled: 1-line block ×3, first 2 shown]
	v_cmp_ne_u64_e64 s[34:35], s[40:41], v[52:53]
	flat_store_dwordx4 v[4:5], v[14:17] offset:16
	v_pk_mov_b32 v[34:35], v[54:55], v[54:55] op_sel:[0,1]
	v_lshlrev_b32_e64 v15, v18, -1
	v_cndmask_b32_e64 v17, v1, v53, s[34:35]
	v_cndmask_b32_e64 v16, 0, v52, s[34:35]
	v_not_b32_e32 v18, v15
	v_lshrrev_b64 v[16:17], v10, v[16:17]
	v_and_b32_e32 v19, v16, v18
	v_lshl_add_u32 v16, v19, 2, v99
	v_mov_b32_e32 v17, v14
	v_lshlrev_b64 v[16:17], 2, v[16:17]
	v_add_co_u32_e64 v54, s[34:35], v25, v16
	v_addc_co_u32_e64 v55, s[34:35], v98, v17, s[34:35]
	v_and_b32_e32 v15, 1, v19
	v_add_co_u32_e64 v16, s[34:35], -1, v15
	v_addc_co_u32_e64 v17, s[34:35], 0, -1, s[34:35]
	v_cmp_ne_u32_e64 s[34:35], 0, v15
	v_xor_b32_e32 v15, s35, v17
	v_and_b32_e32 v17, exec_hi, v15
	v_lshlrev_b32_e32 v15, 30, v19
	v_xor_b32_e32 v16, s34, v16
	v_cmp_gt_i64_e64 s[34:35], 0, v[14:15]
	v_not_b32_e32 v15, v15
	v_ashrrev_i32_e32 v15, 31, v15
	v_pk_mov_b32 v[32:33], v[64:65], v[64:65] op_sel:[0,1]
	v_and_b32_e32 v16, exec_lo, v16
	v_xor_b32_e32 v64, s35, v15
	v_xor_b32_e32 v15, s34, v15
	v_and_b32_e32 v16, v16, v15
	v_lshlrev_b32_e32 v15, 29, v19
	v_cmp_gt_i64_e64 s[34:35], 0, v[14:15]
	v_not_b32_e32 v15, v15
	v_ashrrev_i32_e32 v15, 31, v15
	v_and_b32_e32 v17, v17, v64
	v_xor_b32_e32 v64, s35, v15
	v_xor_b32_e32 v15, s34, v15
	v_and_b32_e32 v16, v16, v15
	v_lshlrev_b32_e32 v15, 28, v19
	v_cmp_gt_i64_e64 s[34:35], 0, v[14:15]
	v_not_b32_e32 v15, v15
	v_ashrrev_i32_e32 v15, 31, v15
	v_and_b32_e32 v17, v17, v64
	;; [unrolled: 8-line block ×5, first 2 shown]
	v_xor_b32_e32 v64, s35, v15
	v_xor_b32_e32 v15, s34, v15
	v_and_b32_e32 v16, v16, v15
	v_lshlrev_b32_e32 v15, 24, v19
	v_cmp_gt_i64_e64 s[34:35], 0, v[14:15]
	v_not_b32_e32 v15, v15
	v_ashrrev_i32_e32 v15, 31, v15
	v_xor_b32_e32 v19, s35, v15
	v_xor_b32_e32 v15, s34, v15
	v_and_b32_e32 v17, v17, v64
	v_and_b32_e32 v16, v16, v15
	;; [unrolled: 1-line block ×3, first 2 shown]
	v_mbcnt_lo_u32_b32 v15, v16, 0
	v_mbcnt_hi_u32_b32 v70, v17, v15
	v_cmp_eq_u32_e64 s[34:35], 0, v70
	v_cmp_ne_u64_e64 s[36:37], 0, v[16:17]
	v_pk_mov_b32 v[38:39], v[80:81], v[80:81] op_sel:[0,1]
	v_pk_mov_b32 v[30:31], v[66:67], v[66:67] op_sel:[0,1]
	;; [unrolled: 1-line block ×3, first 2 shown]
	s_and_b64 s[36:37], s[36:37], s[34:35]
	s_waitcnt lgkmcnt(0)
	s_barrier
	s_waitcnt lgkmcnt(0)
	; wave barrier
	s_and_saveexec_b64 s[34:35], s[36:37]
	s_cbranch_execz .LBB1221_271
; %bb.270:                              ;   in Loop: Header=BB1221_269 Depth=1
	v_bcnt_u32_b32 v15, v16, 0
	v_bcnt_u32_b32 v15, v17, v15
	flat_store_dword v[54:55], v15
.LBB1221_271:                           ;   in Loop: Header=BB1221_269 Depth=1
	s_or_b64 exec, exec, s[34:35]
	v_cmp_ne_u64_e64 s[34:35], s[40:41], v[50:51]
	v_cndmask_b32_e64 v17, v1, v51, s[34:35]
	v_cndmask_b32_e64 v16, 0, v50, s[34:35]
	v_lshrrev_b64 v[16:17], v10, v[16:17]
	v_and_b32_e32 v19, v16, v18
	v_lshl_add_u32 v16, v19, 2, v99
	v_mov_b32_e32 v17, v14
	v_lshlrev_b64 v[16:17], 2, v[16:17]
	v_add_co_u32_e64 v64, s[34:35], v25, v16
	v_addc_co_u32_e64 v65, s[34:35], v98, v17, s[34:35]
	; wave barrier
	flat_load_dword v71, v[64:65]
	v_and_b32_e32 v15, 1, v19
	v_add_co_u32_e64 v16, s[34:35], -1, v15
	v_addc_co_u32_e64 v17, s[34:35], 0, -1, s[34:35]
	v_cmp_ne_u32_e64 s[34:35], 0, v15
	v_xor_b32_e32 v15, s35, v17
	v_and_b32_e32 v17, exec_hi, v15
	v_lshlrev_b32_e32 v15, 30, v19
	v_xor_b32_e32 v16, s34, v16
	v_cmp_gt_i64_e64 s[34:35], 0, v[14:15]
	v_not_b32_e32 v15, v15
	v_ashrrev_i32_e32 v15, 31, v15
	v_and_b32_e32 v16, exec_lo, v16
	v_xor_b32_e32 v66, s35, v15
	v_xor_b32_e32 v15, s34, v15
	v_and_b32_e32 v16, v16, v15
	v_lshlrev_b32_e32 v15, 29, v19
	v_cmp_gt_i64_e64 s[34:35], 0, v[14:15]
	v_not_b32_e32 v15, v15
	v_ashrrev_i32_e32 v15, 31, v15
	v_and_b32_e32 v17, v17, v66
	v_xor_b32_e32 v66, s35, v15
	v_xor_b32_e32 v15, s34, v15
	v_and_b32_e32 v16, v16, v15
	v_lshlrev_b32_e32 v15, 28, v19
	v_cmp_gt_i64_e64 s[34:35], 0, v[14:15]
	v_not_b32_e32 v15, v15
	v_ashrrev_i32_e32 v15, 31, v15
	v_and_b32_e32 v17, v17, v66
	;; [unrolled: 8-line block ×5, first 2 shown]
	v_xor_b32_e32 v66, s35, v15
	v_xor_b32_e32 v15, s34, v15
	v_and_b32_e32 v16, v16, v15
	v_lshlrev_b32_e32 v15, 24, v19
	v_cmp_gt_i64_e64 s[34:35], 0, v[14:15]
	v_not_b32_e32 v15, v15
	v_ashrrev_i32_e32 v15, 31, v15
	v_xor_b32_e32 v19, s35, v15
	v_xor_b32_e32 v15, s34, v15
	v_and_b32_e32 v17, v17, v66
	v_and_b32_e32 v16, v16, v15
	;; [unrolled: 1-line block ×3, first 2 shown]
	v_mbcnt_lo_u32_b32 v15, v16, 0
	v_mbcnt_hi_u32_b32 v80, v17, v15
	v_cmp_eq_u32_e64 s[34:35], 0, v80
	v_cmp_ne_u64_e64 s[36:37], 0, v[16:17]
	s_and_b64 s[36:37], s[36:37], s[34:35]
	; wave barrier
	s_and_saveexec_b64 s[34:35], s[36:37]
	s_cbranch_execz .LBB1221_273
; %bb.272:                              ;   in Loop: Header=BB1221_269 Depth=1
	v_bcnt_u32_b32 v15, v16, 0
	v_bcnt_u32_b32 v15, v17, v15
	s_waitcnt vmcnt(0) lgkmcnt(0)
	v_add_u32_e32 v15, v71, v15
	flat_store_dword v[64:65], v15
.LBB1221_273:                           ;   in Loop: Header=BB1221_269 Depth=1
	s_or_b64 exec, exec, s[34:35]
	v_cmp_ne_u64_e64 s[34:35], s[40:41], v[48:49]
	v_cndmask_b32_e64 v17, v1, v49, s[34:35]
	v_cndmask_b32_e64 v16, 0, v48, s[34:35]
	v_lshrrev_b64 v[16:17], v10, v[16:17]
	v_and_b32_e32 v19, v16, v18
	v_lshl_add_u32 v16, v19, 2, v99
	v_mov_b32_e32 v17, v14
	v_lshlrev_b64 v[16:17], 2, v[16:17]
	v_add_co_u32_e64 v66, s[34:35], v25, v16
	v_addc_co_u32_e64 v67, s[34:35], v98, v17, s[34:35]
	; wave barrier
	flat_load_dword v81, v[66:67]
	v_and_b32_e32 v15, 1, v19
	v_add_co_u32_e64 v16, s[34:35], -1, v15
	v_addc_co_u32_e64 v17, s[34:35], 0, -1, s[34:35]
	v_cmp_ne_u32_e64 s[34:35], 0, v15
	v_xor_b32_e32 v15, s35, v17
	v_and_b32_e32 v17, exec_hi, v15
	v_lshlrev_b32_e32 v15, 30, v19
	v_xor_b32_e32 v16, s34, v16
	v_cmp_gt_i64_e64 s[34:35], 0, v[14:15]
	v_not_b32_e32 v15, v15
	v_ashrrev_i32_e32 v15, 31, v15
	v_and_b32_e32 v16, exec_lo, v16
	v_xor_b32_e32 v68, s35, v15
	v_xor_b32_e32 v15, s34, v15
	v_and_b32_e32 v16, v16, v15
	v_lshlrev_b32_e32 v15, 29, v19
	v_cmp_gt_i64_e64 s[34:35], 0, v[14:15]
	v_not_b32_e32 v15, v15
	v_ashrrev_i32_e32 v15, 31, v15
	v_and_b32_e32 v17, v17, v68
	v_xor_b32_e32 v68, s35, v15
	v_xor_b32_e32 v15, s34, v15
	v_and_b32_e32 v16, v16, v15
	v_lshlrev_b32_e32 v15, 28, v19
	v_cmp_gt_i64_e64 s[34:35], 0, v[14:15]
	v_not_b32_e32 v15, v15
	v_ashrrev_i32_e32 v15, 31, v15
	v_and_b32_e32 v17, v17, v68
	;; [unrolled: 8-line block ×5, first 2 shown]
	v_xor_b32_e32 v68, s35, v15
	v_xor_b32_e32 v15, s34, v15
	v_and_b32_e32 v16, v16, v15
	v_lshlrev_b32_e32 v15, 24, v19
	v_cmp_gt_i64_e64 s[34:35], 0, v[14:15]
	v_not_b32_e32 v15, v15
	v_ashrrev_i32_e32 v15, 31, v15
	v_xor_b32_e32 v19, s35, v15
	v_xor_b32_e32 v15, s34, v15
	v_and_b32_e32 v17, v17, v68
	v_and_b32_e32 v16, v16, v15
	;; [unrolled: 1-line block ×3, first 2 shown]
	v_mbcnt_lo_u32_b32 v15, v16, 0
	v_mbcnt_hi_u32_b32 v82, v17, v15
	v_cmp_eq_u32_e64 s[34:35], 0, v82
	v_cmp_ne_u64_e64 s[36:37], 0, v[16:17]
	s_and_b64 s[36:37], s[36:37], s[34:35]
	; wave barrier
	s_and_saveexec_b64 s[34:35], s[36:37]
	s_cbranch_execz .LBB1221_275
; %bb.274:                              ;   in Loop: Header=BB1221_269 Depth=1
	v_bcnt_u32_b32 v15, v16, 0
	v_bcnt_u32_b32 v15, v17, v15
	s_waitcnt vmcnt(0) lgkmcnt(0)
	v_add_u32_e32 v15, v81, v15
	flat_store_dword v[66:67], v15
.LBB1221_275:                           ;   in Loop: Header=BB1221_269 Depth=1
	s_or_b64 exec, exec, s[34:35]
	v_cmp_ne_u64_e64 s[34:35], s[40:41], v[38:39]
	v_cndmask_b32_e64 v17, v1, v39, s[34:35]
	v_cndmask_b32_e64 v16, 0, v38, s[34:35]
	v_lshrrev_b64 v[16:17], v10, v[16:17]
	v_and_b32_e32 v18, v16, v18
	v_lshl_add_u32 v16, v18, 2, v99
	v_mov_b32_e32 v17, v14
	v_lshlrev_b64 v[16:17], 2, v[16:17]
	v_add_co_u32_e64 v68, s[34:35], v25, v16
	v_addc_co_u32_e64 v69, s[34:35], v98, v17, s[34:35]
	; wave barrier
	flat_load_dword v83, v[68:69]
	v_and_b32_e32 v15, 1, v18
	v_add_co_u32_e64 v16, s[34:35], -1, v15
	v_addc_co_u32_e64 v17, s[34:35], 0, -1, s[34:35]
	v_cmp_ne_u32_e64 s[34:35], 0, v15
	v_xor_b32_e32 v15, s35, v17
	v_and_b32_e32 v17, exec_hi, v15
	v_lshlrev_b32_e32 v15, 30, v18
	v_xor_b32_e32 v16, s34, v16
	v_cmp_gt_i64_e64 s[34:35], 0, v[14:15]
	v_not_b32_e32 v15, v15
	v_ashrrev_i32_e32 v15, 31, v15
	v_and_b32_e32 v16, exec_lo, v16
	v_xor_b32_e32 v19, s35, v15
	v_xor_b32_e32 v15, s34, v15
	v_and_b32_e32 v16, v16, v15
	v_lshlrev_b32_e32 v15, 29, v18
	v_cmp_gt_i64_e64 s[34:35], 0, v[14:15]
	v_not_b32_e32 v15, v15
	v_ashrrev_i32_e32 v15, 31, v15
	v_and_b32_e32 v17, v17, v19
	v_xor_b32_e32 v19, s35, v15
	v_xor_b32_e32 v15, s34, v15
	v_and_b32_e32 v16, v16, v15
	v_lshlrev_b32_e32 v15, 28, v18
	v_cmp_gt_i64_e64 s[34:35], 0, v[14:15]
	v_not_b32_e32 v15, v15
	v_ashrrev_i32_e32 v15, 31, v15
	v_and_b32_e32 v17, v17, v19
	;; [unrolled: 8-line block ×5, first 2 shown]
	v_xor_b32_e32 v19, s35, v15
	v_xor_b32_e32 v15, s34, v15
	v_and_b32_e32 v16, v16, v15
	v_lshlrev_b32_e32 v15, 24, v18
	v_cmp_gt_i64_e64 s[34:35], 0, v[14:15]
	v_not_b32_e32 v15, v15
	v_ashrrev_i32_e32 v15, 31, v15
	v_xor_b32_e32 v18, s35, v15
	v_xor_b32_e32 v15, s34, v15
	v_and_b32_e32 v17, v17, v19
	v_and_b32_e32 v16, v16, v15
	;; [unrolled: 1-line block ×3, first 2 shown]
	v_mbcnt_lo_u32_b32 v15, v16, 0
	v_mbcnt_hi_u32_b32 v15, v17, v15
	v_cmp_eq_u32_e64 s[34:35], 0, v15
	v_cmp_ne_u64_e64 s[36:37], 0, v[16:17]
	s_and_b64 s[36:37], s[36:37], s[34:35]
	; wave barrier
	s_and_saveexec_b64 s[34:35], s[36:37]
	s_cbranch_execz .LBB1221_277
; %bb.276:                              ;   in Loop: Header=BB1221_269 Depth=1
	v_bcnt_u32_b32 v16, v16, 0
	v_bcnt_u32_b32 v16, v17, v16
	s_waitcnt vmcnt(0) lgkmcnt(0)
	v_add_u32_e32 v16, v83, v16
	flat_store_dword v[68:69], v16
.LBB1221_277:                           ;   in Loop: Header=BB1221_269 Depth=1
	s_or_b64 exec, exec, s[34:35]
	; wave barrier
	s_waitcnt lgkmcnt(0)
	s_barrier
	flat_load_dwordx4 v[16:19], v[4:5] offset:16
	s_waitcnt vmcnt(0) lgkmcnt(0)
	v_add_u32_e32 v84, v17, v16
	v_add3_u32 v19, v84, v18, v19
	s_nop 1
	v_mov_b32_dpp v84, v19 row_shr:1 row_mask:0xf bank_mask:0xf
	v_cndmask_b32_e64 v84, v84, 0, vcc
	v_add_u32_e32 v19, v84, v19
	s_nop 1
	v_mov_b32_dpp v84, v19 row_shr:2 row_mask:0xf bank_mask:0xf
	v_cndmask_b32_e64 v84, 0, v84, s[4:5]
	v_add_u32_e32 v19, v19, v84
	s_nop 1
	v_mov_b32_dpp v84, v19 row_shr:4 row_mask:0xf bank_mask:0xf
	v_cndmask_b32_e64 v84, 0, v84, s[6:7]
	;; [unrolled: 4-line block ×3, first 2 shown]
	v_add_u32_e32 v19, v19, v84
	s_nop 1
	v_mov_b32_dpp v84, v19 row_bcast:15 row_mask:0xf bank_mask:0xf
	v_cndmask_b32_e64 v84, v84, 0, s[30:31]
	v_add_u32_e32 v19, v19, v84
	s_nop 1
	v_mov_b32_dpp v84, v19 row_bcast:31 row_mask:0xf bank_mask:0xf
	v_cndmask_b32_e64 v84, 0, v84, s[14:15]
	v_add_u32_e32 v19, v19, v84
	s_and_saveexec_b64 s[34:35], s[16:17]
	s_cbranch_execz .LBB1221_279
; %bb.278:                              ;   in Loop: Header=BB1221_269 Depth=1
	flat_store_dword v[8:9], v19
.LBB1221_279:                           ;   in Loop: Header=BB1221_269 Depth=1
	s_or_b64 exec, exec, s[34:35]
	s_waitcnt lgkmcnt(0)
	s_barrier
	s_and_saveexec_b64 s[34:35], s[18:19]
	s_cbranch_execz .LBB1221_281
; %bb.280:                              ;   in Loop: Header=BB1221_269 Depth=1
	flat_load_dword v84, v[20:21]
	s_waitcnt vmcnt(0) lgkmcnt(0)
	s_nop 0
	v_mov_b32_dpp v85, v84 row_shr:1 row_mask:0xf bank_mask:0xf
	v_cndmask_b32_e64 v85, v85, 0, s[26:27]
	v_add_u32_e32 v84, v85, v84
	s_nop 1
	v_mov_b32_dpp v85, v84 row_shr:2 row_mask:0xf bank_mask:0xf
	v_cndmask_b32_e64 v85, 0, v85, s[28:29]
	v_add_u32_e32 v84, v84, v85
	flat_store_dword v[20:21], v84
.LBB1221_281:                           ;   in Loop: Header=BB1221_269 Depth=1
	s_or_b64 exec, exec, s[34:35]
	v_mov_b32_e32 v84, 0
	s_waitcnt lgkmcnt(0)
	s_barrier
	s_and_saveexec_b64 s[34:35], s[20:21]
	s_cbranch_execz .LBB1221_283
; %bb.282:                              ;   in Loop: Header=BB1221_269 Depth=1
	flat_load_dword v84, v[26:27]
.LBB1221_283:                           ;   in Loop: Header=BB1221_269 Depth=1
	s_or_b64 exec, exec, s[34:35]
	s_waitcnt vmcnt(0) lgkmcnt(0)
	v_add_u32_e32 v19, v84, v19
	ds_bpermute_b32 v19, v100, v19
	v_add_u32_e32 v10, 8, v10
	v_cmp_lt_u32_e64 s[34:35], v10, v11
	s_mov_b64 s[46:47], -1
	s_waitcnt lgkmcnt(0)
	v_cndmask_b32_e64 v19, v19, v84, s[22:23]
	v_cndmask_b32_e64 v84, v19, 0, s[24:25]
	v_add_u32_e32 v85, v84, v16
	v_add_u32_e32 v86, v85, v17
	;; [unrolled: 1-line block ×3, first 2 shown]
	flat_store_dwordx4 v[4:5], v[84:87] offset:16
	s_waitcnt lgkmcnt(0)
	s_barrier
	flat_load_dword v16, v[54:55]
	flat_load_dword v18, v[64:65]
	;; [unrolled: 1-line block ×4, first 2 shown]
	v_mov_b32_e32 v17, v14
	v_mov_b32_e32 v19, v14
	;; [unrolled: 1-line block ×4, first 2 shown]
	s_waitcnt lgkmcnt(0)
                                        ; implicit-def: $vgpr66_vgpr67
                                        ; implicit-def: $vgpr68_vgpr69
	s_waitcnt vmcnt(0) lgkmcnt(0)
	v_add_u32_e32 v16, v16, v70
	v_lshlrev_b64 v[16:17], 3, v[16:17]
	v_add3_u32 v18, v80, v71, v18
	v_add3_u32 v54, v82, v81, v84
	v_add_co_u32_e64 v82, s[36:37], v12, v16
	v_add3_u32 v64, v15, v83, v85
	v_lshlrev_b64 v[18:19], 3, v[18:19]
	v_addc_co_u32_e64 v83, s[36:37], v13, v17, s[36:37]
	v_add_co_u32_e64 v84, s[36:37], v12, v18
	v_lshlrev_b64 v[54:55], 3, v[54:55]
	v_addc_co_u32_e64 v85, s[36:37], v13, v19, s[36:37]
	v_add_co_u32_e64 v86, s[36:37], v12, v54
	;; [unrolled: 3-line block ×3, first 2 shown]
	v_addc_co_u32_e64 v97, s[36:37], v13, v65, s[36:37]
                                        ; implicit-def: $vgpr80_vgpr81
                                        ; implicit-def: $vgpr18_vgpr19
                                        ; implicit-def: $vgpr16_vgpr17
                                        ; implicit-def: $vgpr70_vgpr71
                                        ; implicit-def: $vgpr54_vgpr55
                                        ; implicit-def: $vgpr64_vgpr65
	s_and_saveexec_b64 s[36:37], s[34:35]
	s_cbranch_execz .LBB1221_268
; %bb.284:                              ;   in Loop: Header=BB1221_269 Depth=1
	s_barrier
	flat_store_dwordx2 v[82:83], v[52:53]
	flat_store_dwordx2 v[84:85], v[50:51]
	;; [unrolled: 1-line block ×4, first 2 shown]
	s_waitcnt lgkmcnt(0)
	s_barrier
	flat_load_dwordx2 v[70:71], v[36:37]
	flat_load_dwordx2 v[16:17], v[36:37] offset:512
	flat_load_dwordx2 v[18:19], v[36:37] offset:1024
	;; [unrolled: 1-line block ×3, first 2 shown]
	s_waitcnt lgkmcnt(0)
	s_barrier
	flat_store_dwordx2 v[82:83], v[34:35]
	flat_store_dwordx2 v[84:85], v[32:33]
	;; [unrolled: 1-line block ×4, first 2 shown]
	s_waitcnt lgkmcnt(0)
	s_barrier
	flat_load_dwordx2 v[54:55], v[36:37]
	flat_load_dwordx2 v[64:65], v[36:37] offset:512
	flat_load_dwordx2 v[66:67], v[36:37] offset:1024
	;; [unrolled: 1-line block ×3, first 2 shown]
	v_add_u32_e32 v101, -8, v101
	s_xor_b64 s[46:47], exec, -1
	s_waitcnt lgkmcnt(0)
	s_barrier
	s_branch .LBB1221_268
.LBB1221_285:
	flat_load_dwordx2 v[16:17], v[4:5]
	s_or_b64 exec, exec, s[22:23]
                                        ; implicit-def: $vgpr18_vgpr19
	s_and_saveexec_b64 s[22:23], s[4:5]
	s_cbranch_execz .LBB1221_163
.LBB1221_286:
	flat_load_dwordx2 v[18:19], v[4:5] offset:512
	s_or_b64 exec, exec, s[22:23]
                                        ; implicit-def: $vgpr86_vgpr87
	s_and_saveexec_b64 s[4:5], s[6:7]
	s_cbranch_execz .LBB1221_164
.LBB1221_287:
	flat_load_dwordx2 v[86:87], v[4:5] offset:1024
	s_or_b64 exec, exec, s[4:5]
                                        ; implicit-def: $vgpr96_vgpr97
	s_and_saveexec_b64 s[4:5], s[10:11]
	s_cbranch_execz .LBB1221_165
.LBB1221_288:
	flat_load_dwordx2 v[96:97], v[4:5] offset:1536
	s_or_b64 exec, exec, s[4:5]
                                        ; implicit-def: $vgpr98_vgpr99
	s_and_saveexec_b64 s[4:5], s[20:21]
	s_cbranch_execz .LBB1221_166
.LBB1221_289:
	flat_load_dwordx2 v[98:99], v[4:5] offset:2048
	s_or_b64 exec, exec, s[4:5]
                                        ; implicit-def: $vgpr100_vgpr101
	s_and_saveexec_b64 s[4:5], s[14:15]
	s_cbranch_execz .LBB1221_167
.LBB1221_290:
	flat_load_dwordx2 v[100:101], v[4:5] offset:2560
	s_or_b64 exec, exec, s[4:5]
                                        ; implicit-def: $vgpr102_vgpr103
	s_and_saveexec_b64 s[4:5], s[16:17]
	s_cbranch_execz .LBB1221_168
.LBB1221_291:
	flat_load_dwordx2 v[102:103], v[4:5] offset:3072
	s_or_b64 exec, exec, s[4:5]
                                        ; implicit-def: $vgpr114_vgpr115
	s_and_saveexec_b64 s[4:5], s[18:19]
	s_cbranch_execnz .LBB1221_169
	s_branch .LBB1221_170
.LBB1221_292:
	s_waitcnt vmcnt(0)
	flat_store_dwordx2 v[0:1], v[22:23]
	s_or_b64 exec, exec, s[24:25]
	s_and_saveexec_b64 s[4:5], s[6:7]
	s_cbranch_execz .LBB1221_244
.LBB1221_293:
	s_waitcnt vmcnt(0)
	flat_store_dwordx2 v[0:1], v[18:19] offset:2048
	s_or_b64 exec, exec, s[4:5]
	s_and_saveexec_b64 s[4:5], s[10:11]
	s_cbranch_execz .LBB1221_245
.LBB1221_294:
	v_add_co_u32_e32 v2, vcc, 0x1000, v0
	v_addc_co_u32_e32 v3, vcc, 0, v1, vcc
	s_waitcnt vmcnt(0)
	flat_store_dwordx2 v[2:3], v[16:17]
	s_or_b64 exec, exec, s[4:5]
	s_and_saveexec_b64 s[4:5], s[22:23]
	s_cbranch_execz .LBB1221_246
.LBB1221_295:
	v_add_co_u32_e32 v2, vcc, 0x1000, v0
	v_addc_co_u32_e32 v3, vcc, 0, v1, vcc
	s_waitcnt vmcnt(0)
	flat_store_dwordx2 v[2:3], v[14:15] offset:2048
	s_or_b64 exec, exec, s[4:5]
	s_and_saveexec_b64 s[4:5], s[14:15]
	s_cbranch_execz .LBB1221_247
.LBB1221_296:
	v_add_co_u32_e32 v2, vcc, 0x2000, v0
	v_addc_co_u32_e32 v3, vcc, 0, v1, vcc
	s_waitcnt vmcnt(0)
	flat_store_dwordx2 v[2:3], v[12:13]
	s_or_b64 exec, exec, s[4:5]
	s_and_saveexec_b64 s[4:5], s[16:17]
	s_cbranch_execz .LBB1221_248
.LBB1221_297:
	v_add_co_u32_e32 v2, vcc, 0x2000, v0
	v_addc_co_u32_e32 v3, vcc, 0, v1, vcc
	s_waitcnt vmcnt(0)
	flat_store_dwordx2 v[2:3], v[10:11] offset:2048
	s_or_b64 exec, exec, s[4:5]
	s_and_saveexec_b64 s[4:5], s[18:19]
	s_cbranch_execz .LBB1221_249
.LBB1221_298:
	v_add_co_u32_e32 v2, vcc, 0x3000, v0
	v_addc_co_u32_e32 v3, vcc, 0, v1, vcc
	s_waitcnt vmcnt(0)
	flat_store_dwordx2 v[2:3], v[8:9]
	s_or_b64 exec, exec, s[4:5]
	s_and_saveexec_b64 s[4:5], s[20:21]
	s_cbranch_execnz .LBB1221_250
	s_branch .LBB1221_251
.LBB1221_299:
	s_or_b64 exec, exec, s[44:45]
	v_lshlrev_b32_e32 v1, 3, v24
	s_waitcnt vmcnt(0)
	v_add_co_u32_e32 v16, vcc, v12, v1
	v_addc_co_u32_e32 v17, vcc, 0, v13, vcc
	s_movk_i32 s4, 0x1000
	v_add_co_u32_e32 v26, vcc, s4, v16
	s_barrier
	flat_store_dwordx2 v[82:83], v[52:53]
	flat_store_dwordx2 v[84:85], v[50:51]
	;; [unrolled: 1-line block ×4, first 2 shown]
	s_waitcnt lgkmcnt(0)
	s_barrier
	v_addc_co_u32_e32 v27, vcc, 0, v17, vcc
	flat_load_dwordx2 v[24:25], v[16:17]
	flat_load_dwordx2 v[20:21], v[16:17] offset:2048
	flat_load_dwordx2 v[18:19], v[26:27]
	flat_load_dwordx2 v[14:15], v[26:27] offset:2048
	s_waitcnt lgkmcnt(0)
	s_barrier
	flat_store_dwordx2 v[82:83], v[34:35]
	flat_store_dwordx2 v[84:85], v[32:33]
	;; [unrolled: 1-line block ×4, first 2 shown]
	s_waitcnt lgkmcnt(0)
	s_barrier
	flat_load_dwordx2 v[12:13], v[16:17]
	flat_load_dwordx2 v[10:11], v[16:17] offset:2048
	flat_load_dwordx2 v[8:9], v[26:27]
	flat_load_dwordx2 v[4:5], v[26:27] offset:2048
	v_mov_b32_e32 v1, 0
	v_add_co_u32_e32 v16, vcc, v2, v22
	v_addc_co_u32_e32 v17, vcc, v3, v23, vcc
	v_lshlrev_b64 v[2:3], 3, v[0:1]
	v_add_co_u32_e32 v16, vcc, v16, v2
	v_addc_co_u32_e32 v17, vcc, v17, v3, vcc
	v_cmp_lt_u32_e64 s[4:5], v0, v152
	s_waitcnt lgkmcnt(0)
	s_barrier
	s_and_saveexec_b64 s[6:7], s[4:5]
	s_cbranch_execz .LBB1221_301
; %bb.300:
	v_bfrev_b32_e32 v1, 1
	s_waitcnt vmcnt(0)
	v_cmp_lt_i64_e32 vcc, -1, v[24:25]
	v_ashrrev_i32_e32 v26, 31, v25
	v_cndmask_b32_e64 v1, v1, -1, vcc
	v_not_b32_e32 v26, v26
	v_xor_b32_e32 v25, v1, v25
	v_xor_b32_e32 v24, v26, v24
	flat_store_dwordx2 v[16:17], v[24:25]
.LBB1221_301:
	s_or_b64 exec, exec, s[6:7]
	v_add_u32_e32 v1, 0x100, v0
	v_cmp_lt_u32_e64 s[6:7], v1, v152
	s_and_saveexec_b64 s[10:11], s[6:7]
	s_cbranch_execz .LBB1221_303
; %bb.302:
	v_bfrev_b32_e32 v1, 1
	s_waitcnt vmcnt(0)
	v_cmp_lt_i64_e32 vcc, -1, v[20:21]
	v_ashrrev_i32_e32 v24, 31, v21
	v_cndmask_b32_e64 v1, v1, -1, vcc
	v_not_b32_e32 v24, v24
	v_xor_b32_e32 v21, v1, v21
	v_xor_b32_e32 v20, v24, v20
	flat_store_dwordx2 v[16:17], v[20:21] offset:2048
.LBB1221_303:
	s_or_b64 exec, exec, s[10:11]
	v_add_u32_e32 v1, 0x200, v0
	v_cmp_lt_u32_e64 s[10:11], v1, v152
	s_and_saveexec_b64 s[14:15], s[10:11]
	s_cbranch_execz .LBB1221_305
; %bb.304:
	s_waitcnt vmcnt(0)
	v_ashrrev_i32_e32 v20, 31, v19
	v_bfrev_b32_e32 v1, 1
	v_cmp_lt_i64_e32 vcc, -1, v[18:19]
	v_not_b32_e32 v20, v20
	v_cndmask_b32_e64 v1, v1, -1, vcc
	v_xor_b32_e32 v18, v20, v18
	v_add_co_u32_e32 v20, vcc, 0x1000, v16
	v_xor_b32_e32 v19, v1, v19
	v_addc_co_u32_e32 v21, vcc, 0, v17, vcc
	flat_store_dwordx2 v[20:21], v[18:19]
.LBB1221_305:
	s_or_b64 exec, exec, s[14:15]
	v_add_u32_e32 v0, 0x300, v0
	v_cmp_lt_u32_e64 s[14:15], v0, v152
	s_and_saveexec_b64 s[16:17], s[14:15]
	s_cbranch_execz .LBB1221_307
; %bb.306:
	v_bfrev_b32_e32 v0, 1
	s_waitcnt vmcnt(0)
	v_cmp_lt_i64_e32 vcc, -1, v[14:15]
	v_ashrrev_i32_e32 v1, 31, v15
	v_cndmask_b32_e64 v0, v0, -1, vcc
	v_not_b32_e32 v18, v1
	v_xor_b32_e32 v1, v0, v15
	v_xor_b32_e32 v0, v18, v14
	v_add_co_u32_e32 v14, vcc, 0x1000, v16
	v_addc_co_u32_e32 v15, vcc, 0, v17, vcc
	flat_store_dwordx2 v[14:15], v[0:1] offset:2048
.LBB1221_307:
	s_or_b64 exec, exec, s[16:17]
	v_add_co_u32_e32 v0, vcc, v6, v22
	v_addc_co_u32_e32 v1, vcc, v7, v23, vcc
	v_add_co_u32_e32 v0, vcc, v0, v2
	v_addc_co_u32_e32 v1, vcc, v1, v3, vcc
	s_and_saveexec_b64 s[16:17], s[4:5]
	s_cbranch_execnz .LBB1221_340
; %bb.308:
	s_or_b64 exec, exec, s[16:17]
	s_and_saveexec_b64 s[4:5], s[6:7]
	s_cbranch_execnz .LBB1221_341
.LBB1221_309:
	s_or_b64 exec, exec, s[4:5]
	s_and_saveexec_b64 s[4:5], s[10:11]
	s_cbranch_execnz .LBB1221_342
.LBB1221_310:
	s_or_b64 exec, exec, s[4:5]
	s_and_saveexec_b64 s[4:5], s[14:15]
	s_cbranch_execz .LBB1221_312
.LBB1221_311:
	v_add_co_u32_e32 v0, vcc, 0x1000, v0
	v_addc_co_u32_e32 v1, vcc, 0, v1, vcc
	s_waitcnt vmcnt(0)
	flat_store_dwordx2 v[0:1], v[4:5] offset:2048
.LBB1221_312:
	s_or_b64 exec, exec, s[4:5]
                                        ; implicit-def: $vgpr152
                                        ; implicit-def: $vgpr0
                                        ; implicit-def: $vgpr1
                                        ; implicit-def: $vgpr2
                                        ; implicit-def: $vgpr3
                                        ; implicit-def: $vgpr4
                                        ; implicit-def: $vgpr5
                                        ; implicit-def: $vgpr6
                                        ; implicit-def: $vgpr7
                                        ; implicit-def: $vgpr8
                                        ; implicit-def: $vgpr10
                                        ; implicit-def: $vgpr11
                                        ; implicit-def: $vgpr12
                                        ; implicit-def: $vgpr13
                                        ; implicit-def: $vgpr31
                                        ; implicit-def: $vgpr15
                                        ; implicit-def: $vgpr16
                                        ; implicit-def: $vgpr14
.LBB1221_313:
	s_andn2_saveexec_b64 s[4:5], s[38:39]
	s_cbranch_execz .LBB1221_372
; %bb.314:
	s_load_dwordx2 s[4:5], s[8:9], 0x0
	s_waitcnt vmcnt(0)
	v_mov_b32_e32 v9, 0
	v_and_b32_e32 v26, 0x3ff, v31
	v_lshlrev_b64 v[22:23], 3, v[8:9]
	s_waitcnt lgkmcnt(0)
	s_cmp_lt_u32 s12, s4
	s_cselect_b32 s6, 12, 18
	s_cmp_lt_u32 s13, s5
	s_cselect_b32 s4, 14, 20
	s_add_u32 s4, s8, s4
	s_addc_u32 s5, s9, 0
	s_add_u32 s6, s8, s6
	global_load_ushort v17, v9, s[4:5]
	s_addc_u32 s7, s9, 0
	global_load_ushort v18, v9, s[6:7]
	s_movk_i32 s4, 0x100
	v_cmp_lt_u32_e32 vcc, s4, v152
	s_waitcnt vmcnt(1)
	v_mad_u32_u24 v15, v16, v17, v15
	s_waitcnt vmcnt(0)
	v_mad_u64_u32 v[24:25], s[4:5], v15, v18, v[26:27]
	s_and_saveexec_b64 s[4:5], vcc
	s_xor_b64 s[34:35], exec, s[4:5]
	s_cbranch_execz .LBB1221_352
; %bb.315:
	v_mbcnt_hi_u32_b32 v30, -1, v14
	v_add_co_u32_e32 v0, vcc, v0, v22
	v_and_b32_e32 v32, 63, v30
	v_addc_co_u32_e32 v1, vcc, v1, v23, vcc
	v_lshlrev_b32_e32 v8, 1, v24
	v_lshlrev_b32_e32 v20, 3, v32
	v_and_b32_e32 v8, 0xffffff80, v8
	v_add_co_u32_e32 v14, vcc, v0, v20
	s_mov_b32 s4, -1
	v_addc_co_u32_e32 v15, vcc, 0, v1, vcc
	v_lshlrev_b64 v[0:1], 3, v[8:9]
	s_brev_b32 s5, -2
	v_add_co_u32_e32 v18, vcc, v14, v0
	s_mov_b32 s6, s4
	s_mov_b32 s7, s5
	v_addc_co_u32_e32 v19, vcc, v15, v1, vcc
	v_or_b32_e32 v8, v32, v8
	v_pk_mov_b32 v[16:17], s[6:7], s[6:7] op_sel:[0,1]
	v_cmp_lt_u32_e32 vcc, v8, v152
	v_pk_mov_b32 v[14:15], s[4:5], s[4:5] op_sel:[0,1]
	s_and_saveexec_b64 s[4:5], vcc
	s_cbranch_execz .LBB1221_317
; %bb.316:
	flat_load_dwordx2 v[14:15], v[18:19]
	v_mov_b32_e32 v16, -1
	v_bfrev_b32_e32 v17, -2
.LBB1221_317:
	s_or_b64 exec, exec, s[4:5]
	v_or_b32_e32 v8, 64, v8
	v_cmp_lt_u32_e64 s[4:5], v8, v152
	s_and_saveexec_b64 s[6:7], s[4:5]
	s_cbranch_execz .LBB1221_319
; %bb.318:
	flat_load_dwordx2 v[16:17], v[18:19] offset:512
.LBB1221_319:
	s_or_b64 exec, exec, s[6:7]
	v_add_co_u32_e64 v4, s[6:7], v4, v22
	v_addc_co_u32_e64 v5, s[6:7], v5, v23, s[6:7]
	v_add_co_u32_e64 v4, s[6:7], v4, v20
	v_addc_co_u32_e64 v5, s[6:7], 0, v5, s[6:7]
	;; [unrolled: 2-line block ×3, first 2 shown]
                                        ; implicit-def: $vgpr18_vgpr19
	s_and_saveexec_b64 s[6:7], vcc
	s_cbranch_execz .LBB1221_321
; %bb.320:
	flat_load_dwordx2 v[18:19], v[0:1]
.LBB1221_321:
	s_or_b64 exec, exec, s[6:7]
                                        ; implicit-def: $vgpr20_vgpr21
	s_and_saveexec_b64 s[6:7], s[4:5]
	s_cbranch_execz .LBB1221_323
; %bb.322:
	flat_load_dwordx2 v[20:21], v[0:1] offset:512
.LBB1221_323:
	s_or_b64 exec, exec, s[6:7]
	v_bfrev_b32_e32 v25, 1
	s_waitcnt vmcnt(0) lgkmcnt(0)
	v_cmp_lt_i64_e32 vcc, -1, v[14:15]
	v_cndmask_b32_e32 v0, -1, v25, vcc
	v_cmp_lt_i64_e32 vcc, -1, v[16:17]
	v_xor_b32_e32 v51, v0, v15
	v_cndmask_b32_e32 v0, -1, v25, vcc
	v_add_co_u32_e32 v27, vcc, 16, v12
	v_addc_co_u32_e32 v66, vcc, 0, v13, vcc
	v_lshlrev_b32_e32 v4, 4, v26
	v_add_co_u32_e32 v4, vcc, v12, v4
	s_getpc_b64 s[4:5]
	s_add_u32 s4, s4, _ZN7rocprim17ROCPRIM_400000_NS16block_radix_sortIdLj256ELj2ElLj1ELj1ELj8ELNS0_26block_radix_rank_algorithmE2ELNS0_18block_padding_hintE2ELNS0_4arch9wavefront6targetE1EE19radix_bits_per_passE@rel32@lo+4
	s_addc_u32 s5, s5, _ZN7rocprim17ROCPRIM_400000_NS16block_radix_sortIdLj256ELj2ElLj1ELj1ELj8ELNS0_26block_radix_rank_algorithmE2ELNS0_18block_padding_hintE2ELNS0_4arch9wavefront6targetE1EE19radix_bits_per_passE@rel32@hi+12
	v_addc_co_u32_e32 v5, vcc, 0, v13, vcc
	v_and_b32_e32 v8, 15, v30
	s_load_dword s44, s[4:5], 0x0
	v_cmp_eq_u32_e32 vcc, 0, v8
	v_cmp_lt_u32_e64 s[4:5], 1, v8
	v_cmp_lt_u32_e64 s[6:7], 3, v8
	;; [unrolled: 1-line block ×3, first 2 shown]
	v_and_b32_e32 v8, 16, v30
	v_cmp_eq_u32_e64 s[10:11], 0, v8
	v_and_b32_e32 v8, 0x3c0, v26
	v_min_u32_e32 v8, 0xc0, v8
	v_or_b32_e32 v8, 63, v8
	v_cmp_eq_u32_e64 s[14:15], v8, v26
	v_add_u32_e32 v8, -1, v30
	v_and_b32_e32 v9, 64, v30
	v_ashrrev_i32_e32 v1, 31, v15
	v_cmp_lt_i32_e64 s[20:21], v8, v9
	v_xor_b32_e32 v50, v1, v14
	v_lshrrev_b32_e32 v14, 6, v26
	v_cndmask_b32_e64 v8, v8, v30, s[20:21]
	v_lshlrev_b32_e32 v68, 2, v8
	v_lshlrev_b32_e32 v8, 2, v14
	v_add_co_u32_e64 v8, s[24:25], v12, v8
	v_xor_b32_e32 v53, v0, v17
	v_lshlrev_b32_e32 v0, 2, v26
	v_addc_co_u32_e64 v9, s[24:25], 0, v13, s[24:25]
	v_add_co_u32_e64 v28, s[24:25], v12, v0
	v_ashrrev_i32_e32 v1, 31, v17
	v_addc_co_u32_e64 v29, s[24:25], 0, v13, s[24:25]
	v_and_b32_e32 v0, 3, v30
	v_xor_b32_e32 v52, v1, v16
	v_mov_b32_e32 v1, 0
	v_cmp_eq_u32_e64 s[24:25], 0, v0
	v_cmp_lt_u32_e64 s[26:27], 1, v0
	v_add_u32_e32 v0, -1, v14
	v_lshlrev_b64 v[14:15], 2, v[0:1]
	v_cmp_lt_u32_e64 s[12:13], 31, v30
	v_cmp_eq_u32_e64 s[20:21], 0, v30
	v_add_co_u32_e64 v30, s[28:29], v12, v14
	v_addc_co_u32_e64 v31, s[28:29], v13, v15, s[28:29]
	v_lshlrev_b32_e32 v0, 1, v26
	s_movk_i32 s28, 0x780
	v_and_or_b32 v0, v0, s28, v32
	v_lshlrev_b32_e32 v0, 3, v0
	s_mov_b32 s36, -1
	v_add_co_u32_e64 v32, s[28:29], v12, v0
	s_brev_b32 s37, -2
	v_lshrrev_b32_e32 v67, 6, v24
	v_cmp_gt_u32_e64 s[16:17], 4, v26
	v_cmp_lt_u32_e64 s[18:19], 63, v26
	v_cmp_eq_u32_e64 s[22:23], 0, v26
	v_addc_co_u32_e64 v33, s[28:29], 0, v13, s[28:29]
	v_sub_u32_e32 v69, v11, v10
	s_mov_b64 s[38:39], 0
	v_mov_b32_e32 v14, v1
	v_mov_b32_e32 v15, v1
	;; [unrolled: 1-line block ×4, first 2 shown]
	s_waitcnt lgkmcnt(0)
	s_barrier
	s_branch .LBB1221_325
.LBB1221_324:                           ;   in Loop: Header=BB1221_325 Depth=1
	s_or_b64 exec, exec, s[30:31]
	s_and_b64 s[28:29], exec, s[40:41]
	s_or_b64 s[38:39], s[28:29], s[38:39]
	s_andn2_b64 exec, exec, s[38:39]
	s_cbranch_execz .LBB1221_343
.LBB1221_325:                           ; =>This Inner Loop Header: Depth=1
	s_waitcnt vmcnt(0)
	v_pk_mov_b32 v[48:49], v[50:51], v[50:51] op_sel:[0,1]
	v_min_u32_e32 v0, s44, v69
	v_cmp_ne_u64_e64 s[28:29], s[36:37], v[48:49]
	v_pk_mov_b32 v[36:37], v[18:19], v[18:19] op_sel:[0,1]
	v_lshlrev_b32_e64 v0, v0, -1
	v_cndmask_b32_e64 v19, v25, v49, s[28:29]
	v_cndmask_b32_e64 v18, 0, v48, s[28:29]
	v_pk_mov_b32 v[34:35], v[20:21], v[20:21] op_sel:[0,1]
	v_not_b32_e32 v20, v0
	v_lshrrev_b64 v[18:19], v10, v[18:19]
	v_and_b32_e32 v21, v18, v20
	v_lshl_add_u32 v0, v21, 2, v67
	v_lshlrev_b64 v[18:19], 2, v[0:1]
	v_add_co_u32_e64 v50, s[28:29], v27, v18
	v_addc_co_u32_e64 v51, s[28:29], v66, v19, s[28:29]
	v_and_b32_e32 v0, 1, v21
	v_add_co_u32_e64 v18, s[28:29], -1, v0
	v_addc_co_u32_e64 v19, s[28:29], 0, -1, s[28:29]
	v_cmp_ne_u32_e64 s[28:29], 0, v0
	v_xor_b32_e32 v18, s28, v18
	v_pk_mov_b32 v[38:39], v[52:53], v[52:53] op_sel:[0,1]
	v_xor_b32_e32 v0, s29, v19
	v_and_b32_e32 v52, exec_lo, v18
	v_lshlrev_b32_e32 v19, 30, v21
	v_mov_b32_e32 v18, v1
	v_cmp_gt_i64_e64 s[28:29], 0, v[18:19]
	v_not_b32_e32 v18, v19
	v_ashrrev_i32_e32 v18, 31, v18
	v_and_b32_e32 v0, exec_hi, v0
	v_xor_b32_e32 v19, s29, v18
	v_xor_b32_e32 v18, s28, v18
	v_and_b32_e32 v0, v0, v19
	v_and_b32_e32 v52, v52, v18
	v_lshlrev_b32_e32 v19, 29, v21
	v_mov_b32_e32 v18, v1
	v_cmp_gt_i64_e64 s[28:29], 0, v[18:19]
	v_not_b32_e32 v18, v19
	v_ashrrev_i32_e32 v18, 31, v18
	v_xor_b32_e32 v19, s29, v18
	v_xor_b32_e32 v18, s28, v18
	v_and_b32_e32 v0, v0, v19
	v_and_b32_e32 v52, v52, v18
	v_lshlrev_b32_e32 v19, 28, v21
	v_mov_b32_e32 v18, v1
	v_cmp_gt_i64_e64 s[28:29], 0, v[18:19]
	v_not_b32_e32 v18, v19
	v_ashrrev_i32_e32 v18, 31, v18
	;; [unrolled: 9-line block ×6, first 2 shown]
	v_xor_b32_e32 v19, s29, v18
	v_xor_b32_e32 v18, s28, v18
	v_and_b32_e32 v18, v52, v18
	v_and_b32_e32 v19, v0, v19
	v_mbcnt_lo_u32_b32 v0, v18, 0
	v_mbcnt_hi_u32_b32 v54, v19, v0
	v_cmp_eq_u32_e64 s[28:29], 0, v54
	v_cmp_ne_u64_e64 s[30:31], 0, v[18:19]
	s_and_b64 s[30:31], s[30:31], s[28:29]
	flat_store_dwordx4 v[4:5], v[14:17] offset:16
	s_waitcnt lgkmcnt(0)
	s_barrier
	s_waitcnt lgkmcnt(0)
	; wave barrier
	s_and_saveexec_b64 s[28:29], s[30:31]
	s_cbranch_execz .LBB1221_327
; %bb.326:                              ;   in Loop: Header=BB1221_325 Depth=1
	v_bcnt_u32_b32 v0, v18, 0
	v_bcnt_u32_b32 v0, v19, v0
	flat_store_dword v[50:51], v0
.LBB1221_327:                           ;   in Loop: Header=BB1221_325 Depth=1
	s_or_b64 exec, exec, s[28:29]
	v_cmp_ne_u64_e64 s[28:29], s[36:37], v[38:39]
	v_cndmask_b32_e64 v19, v25, v39, s[28:29]
	v_cndmask_b32_e64 v18, 0, v38, s[28:29]
	v_lshrrev_b64 v[18:19], v10, v[18:19]
	v_and_b32_e32 v20, v18, v20
	v_lshl_add_u32 v0, v20, 2, v67
	v_lshlrev_b64 v[18:19], 2, v[0:1]
	v_add_co_u32_e64 v52, s[28:29], v27, v18
	v_addc_co_u32_e64 v53, s[28:29], v66, v19, s[28:29]
	; wave barrier
	flat_load_dword v55, v[52:53]
	v_and_b32_e32 v0, 1, v20
	v_add_co_u32_e64 v18, s[28:29], -1, v0
	v_addc_co_u32_e64 v19, s[28:29], 0, -1, s[28:29]
	v_cmp_ne_u32_e64 s[28:29], 0, v0
	v_xor_b32_e32 v18, s28, v18
	v_xor_b32_e32 v0, s29, v19
	v_and_b32_e32 v21, exec_lo, v18
	v_lshlrev_b32_e32 v19, 30, v20
	v_mov_b32_e32 v18, v1
	v_cmp_gt_i64_e64 s[28:29], 0, v[18:19]
	v_not_b32_e32 v18, v19
	v_ashrrev_i32_e32 v18, 31, v18
	v_and_b32_e32 v0, exec_hi, v0
	v_xor_b32_e32 v19, s29, v18
	v_xor_b32_e32 v18, s28, v18
	v_and_b32_e32 v0, v0, v19
	v_and_b32_e32 v21, v21, v18
	v_lshlrev_b32_e32 v19, 29, v20
	v_mov_b32_e32 v18, v1
	v_cmp_gt_i64_e64 s[28:29], 0, v[18:19]
	v_not_b32_e32 v18, v19
	v_ashrrev_i32_e32 v18, 31, v18
	v_xor_b32_e32 v19, s29, v18
	v_xor_b32_e32 v18, s28, v18
	v_and_b32_e32 v0, v0, v19
	v_and_b32_e32 v21, v21, v18
	v_lshlrev_b32_e32 v19, 28, v20
	v_mov_b32_e32 v18, v1
	v_cmp_gt_i64_e64 s[28:29], 0, v[18:19]
	v_not_b32_e32 v18, v19
	v_ashrrev_i32_e32 v18, 31, v18
	;; [unrolled: 9-line block ×6, first 2 shown]
	v_xor_b32_e32 v19, s29, v18
	v_xor_b32_e32 v18, s28, v18
	v_and_b32_e32 v18, v21, v18
	v_and_b32_e32 v19, v0, v19
	v_mbcnt_lo_u32_b32 v0, v18, 0
	v_mbcnt_hi_u32_b32 v64, v19, v0
	v_cmp_eq_u32_e64 s[28:29], 0, v64
	v_cmp_ne_u64_e64 s[30:31], 0, v[18:19]
	s_and_b64 s[30:31], s[30:31], s[28:29]
	; wave barrier
	s_and_saveexec_b64 s[28:29], s[30:31]
	s_cbranch_execz .LBB1221_329
; %bb.328:                              ;   in Loop: Header=BB1221_325 Depth=1
	v_bcnt_u32_b32 v0, v18, 0
	v_bcnt_u32_b32 v0, v19, v0
	s_waitcnt vmcnt(0) lgkmcnt(0)
	v_add_u32_e32 v0, v55, v0
	flat_store_dword v[52:53], v0
.LBB1221_329:                           ;   in Loop: Header=BB1221_325 Depth=1
	s_or_b64 exec, exec, s[28:29]
	; wave barrier
	s_waitcnt lgkmcnt(0)
	s_barrier
	flat_load_dwordx4 v[18:21], v[4:5] offset:16
	s_waitcnt vmcnt(0) lgkmcnt(0)
	v_add_u32_e32 v0, v19, v18
	v_add3_u32 v0, v0, v20, v21
	s_nop 1
	v_mov_b32_dpp v21, v0 row_shr:1 row_mask:0xf bank_mask:0xf
	v_cndmask_b32_e64 v21, v21, 0, vcc
	v_add_u32_e32 v0, v21, v0
	s_nop 1
	v_mov_b32_dpp v21, v0 row_shr:2 row_mask:0xf bank_mask:0xf
	v_cndmask_b32_e64 v21, 0, v21, s[4:5]
	v_add_u32_e32 v0, v0, v21
	s_nop 1
	v_mov_b32_dpp v21, v0 row_shr:4 row_mask:0xf bank_mask:0xf
	v_cndmask_b32_e64 v21, 0, v21, s[6:7]
	;; [unrolled: 4-line block ×3, first 2 shown]
	v_add_u32_e32 v0, v0, v21
	s_nop 1
	v_mov_b32_dpp v21, v0 row_bcast:15 row_mask:0xf bank_mask:0xf
	v_cndmask_b32_e64 v21, v21, 0, s[10:11]
	v_add_u32_e32 v0, v0, v21
	s_nop 1
	v_mov_b32_dpp v21, v0 row_bcast:31 row_mask:0xf bank_mask:0xf
	v_cndmask_b32_e64 v21, 0, v21, s[12:13]
	v_add_u32_e32 v0, v0, v21
	s_and_saveexec_b64 s[28:29], s[14:15]
	s_cbranch_execz .LBB1221_331
; %bb.330:                              ;   in Loop: Header=BB1221_325 Depth=1
	flat_store_dword v[8:9], v0
.LBB1221_331:                           ;   in Loop: Header=BB1221_325 Depth=1
	s_or_b64 exec, exec, s[28:29]
	s_waitcnt lgkmcnt(0)
	s_barrier
	s_and_saveexec_b64 s[28:29], s[16:17]
	s_cbranch_execz .LBB1221_333
; %bb.332:                              ;   in Loop: Header=BB1221_325 Depth=1
	flat_load_dword v21, v[28:29]
	s_waitcnt vmcnt(0) lgkmcnt(0)
	s_nop 0
	v_mov_b32_dpp v65, v21 row_shr:1 row_mask:0xf bank_mask:0xf
	v_cndmask_b32_e64 v65, v65, 0, s[24:25]
	v_add_u32_e32 v21, v65, v21
	s_nop 1
	v_mov_b32_dpp v65, v21 row_shr:2 row_mask:0xf bank_mask:0xf
	v_cndmask_b32_e64 v65, 0, v65, s[26:27]
	v_add_u32_e32 v21, v21, v65
	flat_store_dword v[28:29], v21
.LBB1221_333:                           ;   in Loop: Header=BB1221_325 Depth=1
	s_or_b64 exec, exec, s[28:29]
	v_mov_b32_e32 v21, 0
	s_waitcnt lgkmcnt(0)
	s_barrier
	s_and_saveexec_b64 s[28:29], s[18:19]
	s_cbranch_execz .LBB1221_335
; %bb.334:                              ;   in Loop: Header=BB1221_325 Depth=1
	flat_load_dword v21, v[30:31]
.LBB1221_335:                           ;   in Loop: Header=BB1221_325 Depth=1
	s_or_b64 exec, exec, s[28:29]
	s_waitcnt vmcnt(0) lgkmcnt(0)
	v_add_u32_e32 v0, v21, v0
	ds_bpermute_b32 v0, v68, v0
	v_add_u32_e32 v10, 8, v10
	v_cmp_lt_u32_e64 s[28:29], v10, v11
	s_mov_b64 s[40:41], -1
	s_waitcnt lgkmcnt(0)
	v_cndmask_b32_e64 v0, v0, v21, s[20:21]
	v_cndmask_b32_e64 v80, v0, 0, s[22:23]
	v_add_u32_e32 v81, v80, v18
	v_add_u32_e32 v82, v81, v19
	;; [unrolled: 1-line block ×3, first 2 shown]
	flat_store_dwordx4 v[4:5], v[80:83] offset:16
	s_waitcnt lgkmcnt(0)
	s_barrier
	flat_load_dword v0, v[50:51]
	flat_load_dword v18, v[52:53]
	v_mov_b32_e32 v19, v1
	s_waitcnt lgkmcnt(0)
                                        ; implicit-def: $vgpr52_vgpr53
                                        ; implicit-def: $vgpr50_vgpr51
	s_waitcnt vmcnt(0) lgkmcnt(0)
	v_add_u32_e32 v0, v0, v54
	v_lshlrev_b64 v[20:21], 3, v[0:1]
	v_add3_u32 v18, v64, v55, v18
	v_add_co_u32_e64 v54, s[30:31], v12, v20
	v_lshlrev_b64 v[18:19], 3, v[18:19]
	v_addc_co_u32_e64 v55, s[30:31], v13, v21, s[30:31]
	v_add_co_u32_e64 v64, s[30:31], v12, v18
	v_addc_co_u32_e64 v65, s[30:31], v13, v19, s[30:31]
                                        ; implicit-def: $vgpr20_vgpr21
                                        ; implicit-def: $vgpr18_vgpr19
	s_and_saveexec_b64 s[30:31], s[28:29]
	s_cbranch_execz .LBB1221_324
; %bb.336:                              ;   in Loop: Header=BB1221_325 Depth=1
	s_barrier
	flat_store_dwordx2 v[54:55], v[48:49]
	flat_store_dwordx2 v[64:65], v[38:39]
	s_waitcnt lgkmcnt(0)
	s_barrier
	flat_load_dwordx2 v[50:51], v[32:33]
	flat_load_dwordx2 v[52:53], v[32:33] offset:512
	s_waitcnt lgkmcnt(0)
	s_barrier
	flat_store_dwordx2 v[54:55], v[36:37]
	flat_store_dwordx2 v[64:65], v[34:35]
	s_waitcnt lgkmcnt(0)
	s_barrier
	flat_load_dwordx2 v[18:19], v[32:33]
	flat_load_dwordx2 v[20:21], v[32:33] offset:512
	v_add_u32_e32 v69, -8, v69
	s_xor_b64 s[40:41], exec, -1
	s_waitcnt lgkmcnt(0)
	s_barrier
	s_branch .LBB1221_324
.LBB1221_337:
	flat_load_dwordx2 v[54:55], v[4:5]
	s_or_b64 exec, exec, s[14:15]
                                        ; implicit-def: $vgpr64_vgpr65
	s_and_saveexec_b64 s[14:15], s[4:5]
	s_cbranch_execz .LBB1221_264
.LBB1221_338:
	flat_load_dwordx2 v[64:65], v[4:5] offset:512
	s_or_b64 exec, exec, s[14:15]
                                        ; implicit-def: $vgpr66_vgpr67
	s_and_saveexec_b64 s[4:5], s[6:7]
	s_cbranch_execz .LBB1221_265
.LBB1221_339:
	flat_load_dwordx2 v[66:67], v[4:5] offset:1024
	s_or_b64 exec, exec, s[4:5]
                                        ; implicit-def: $vgpr68_vgpr69
	s_and_saveexec_b64 s[4:5], s[10:11]
	s_cbranch_execnz .LBB1221_266
	s_branch .LBB1221_267
.LBB1221_340:
	s_waitcnt vmcnt(0)
	flat_store_dwordx2 v[0:1], v[12:13]
	s_or_b64 exec, exec, s[16:17]
	s_and_saveexec_b64 s[4:5], s[6:7]
	s_cbranch_execz .LBB1221_309
.LBB1221_341:
	s_waitcnt vmcnt(0)
	flat_store_dwordx2 v[0:1], v[10:11] offset:2048
	s_or_b64 exec, exec, s[4:5]
	s_and_saveexec_b64 s[4:5], s[10:11]
	s_cbranch_execz .LBB1221_310
.LBB1221_342:
	v_add_co_u32_e32 v2, vcc, 0x1000, v0
	v_addc_co_u32_e32 v3, vcc, 0, v1, vcc
	s_waitcnt vmcnt(0)
	flat_store_dwordx2 v[2:3], v[8:9]
	s_or_b64 exec, exec, s[4:5]
	s_and_saveexec_b64 s[4:5], s[14:15]
	s_cbranch_execnz .LBB1221_311
	s_branch .LBB1221_312
.LBB1221_343:
	s_or_b64 exec, exec, s[38:39]
	v_lshlrev_b32_e32 v0, 3, v26
	v_add_co_u32_e32 v10, vcc, v12, v0
	v_addc_co_u32_e32 v11, vcc, 0, v13, vcc
	s_barrier
	flat_store_dwordx2 v[54:55], v[48:49]
	flat_store_dwordx2 v[64:65], v[38:39]
	s_waitcnt lgkmcnt(0)
	s_barrier
	flat_load_dwordx2 v[12:13], v[10:11]
	flat_load_dwordx2 v[8:9], v[10:11] offset:2048
	s_waitcnt lgkmcnt(0)
	s_barrier
	flat_store_dwordx2 v[54:55], v[36:37]
	flat_store_dwordx2 v[64:65], v[34:35]
	s_waitcnt lgkmcnt(0)
	s_barrier
	flat_load_dwordx2 v[4:5], v[10:11]
	flat_load_dwordx2 v[0:1], v[10:11] offset:2048
	v_mov_b32_e32 v25, 0
	v_add_co_u32_e32 v10, vcc, v2, v22
	v_addc_co_u32_e32 v11, vcc, v3, v23, vcc
	v_lshlrev_b64 v[2:3], 3, v[24:25]
	v_add_co_u32_e32 v10, vcc, v10, v2
	v_addc_co_u32_e32 v11, vcc, v11, v3, vcc
	v_cmp_lt_u32_e32 vcc, v24, v152
	s_waitcnt lgkmcnt(0)
	s_barrier
	s_and_saveexec_b64 s[6:7], vcc
	s_cbranch_execz .LBB1221_345
; %bb.344:
	v_bfrev_b32_e32 v14, 1
	s_waitcnt vmcnt(0)
	v_cmp_lt_i64_e64 s[4:5], -1, v[12:13]
	v_ashrrev_i32_e32 v15, 31, v13
	v_cndmask_b32_e64 v14, v14, -1, s[4:5]
	v_not_b32_e32 v15, v15
	v_xor_b32_e32 v13, v14, v13
	v_xor_b32_e32 v12, v15, v12
	flat_store_dwordx2 v[10:11], v[12:13]
.LBB1221_345:
	s_or_b64 exec, exec, s[6:7]
	s_waitcnt vmcnt(0)
	v_add_u32_e32 v12, 0x100, v24
	v_cmp_lt_u32_e64 s[4:5], v12, v152
	s_and_saveexec_b64 s[8:9], s[4:5]
	s_cbranch_execz .LBB1221_347
; %bb.346:
	v_bfrev_b32_e32 v12, 1
	v_cmp_lt_i64_e64 s[6:7], -1, v[8:9]
	v_ashrrev_i32_e32 v13, 31, v9
	v_cndmask_b32_e64 v12, v12, -1, s[6:7]
	v_not_b32_e32 v13, v13
	v_xor_b32_e32 v9, v12, v9
	v_xor_b32_e32 v8, v13, v8
	flat_store_dwordx2 v[10:11], v[8:9] offset:2048
.LBB1221_347:
	s_or_b64 exec, exec, s[8:9]
	v_add_co_u32_e64 v6, s[6:7], v6, v22
	v_addc_co_u32_e64 v7, s[6:7], v7, v23, s[6:7]
	v_add_co_u32_e64 v2, s[6:7], v6, v2
	v_addc_co_u32_e64 v3, s[6:7], v7, v3, s[6:7]
	s_and_saveexec_b64 s[6:7], vcc
	s_cbranch_execz .LBB1221_349
; %bb.348:
	flat_store_dwordx2 v[2:3], v[4:5]
.LBB1221_349:
	s_or_b64 exec, exec, s[6:7]
	s_and_saveexec_b64 s[6:7], s[4:5]
	s_cbranch_execz .LBB1221_351
; %bb.350:
	flat_store_dwordx2 v[2:3], v[0:1] offset:2048
.LBB1221_351:
	s_or_b64 exec, exec, s[6:7]
                                        ; implicit-def: $vgpr26
                                        ; implicit-def: $vgpr24_vgpr25
                                        ; implicit-def: $vgpr22_vgpr23
                                        ; implicit-def: $vgpr152
                                        ; implicit-def: $vgpr0
                                        ; implicit-def: $vgpr1
                                        ; implicit-def: $vgpr2
                                        ; implicit-def: $vgpr3
                                        ; implicit-def: $vgpr4
                                        ; implicit-def: $vgpr5
                                        ; implicit-def: $vgpr6
                                        ; implicit-def: $vgpr7
                                        ; implicit-def: $vgpr10
                                        ; implicit-def: $vgpr11
                                        ; implicit-def: $vgpr12
                                        ; implicit-def: $vgpr13
                                        ; implicit-def: $vgpr14
.LBB1221_352:
	s_andn2_saveexec_b64 s[4:5], s[34:35]
	s_cbranch_execz .LBB1221_372
; %bb.353:
	s_mov_b32 s4, -1
	v_mbcnt_hi_u32_b32 v17, -1, v14
	s_brev_b32 s5, -2
	v_and_b32_e32 v16, 63, v17
	v_bfi_b32 v8, 63, v17, v24
	v_and_b32_e32 v14, 0xffffffc0, v24
	v_cmp_lt_u32_e32 vcc, v8, v152
	v_pk_mov_b32 v[8:9], s[4:5], s[4:5] op_sel:[0,1]
	v_lshlrev_b32_e32 v20, 3, v16
	s_and_saveexec_b64 s[6:7], vcc
	s_cbranch_execz .LBB1221_355
; %bb.354:
	v_add_co_u32_e64 v0, s[4:5], v0, v22
	v_addc_co_u32_e64 v1, s[4:5], v1, v23, s[4:5]
	v_mov_b32_e32 v15, 0
	v_add_co_u32_e64 v8, s[4:5], v0, v20
	v_addc_co_u32_e64 v9, s[4:5], 0, v1, s[4:5]
	v_lshlrev_b64 v[0:1], 3, v[14:15]
	v_add_co_u32_e64 v0, s[4:5], v8, v0
	v_addc_co_u32_e64 v1, s[4:5], v9, v1, s[4:5]
	flat_load_dwordx2 v[8:9], v[0:1]
.LBB1221_355:
	s_or_b64 exec, exec, s[6:7]
                                        ; implicit-def: $vgpr18_vgpr19
	s_and_saveexec_b64 s[4:5], vcc
	s_cbranch_execz .LBB1221_357
; %bb.356:
	v_add_co_u32_e32 v0, vcc, v4, v22
	v_addc_co_u32_e32 v1, vcc, v5, v23, vcc
	v_mov_b32_e32 v15, 0
	v_add_co_u32_e32 v4, vcc, v0, v20
	v_addc_co_u32_e32 v5, vcc, 0, v1, vcc
	v_lshlrev_b64 v[0:1], 3, v[14:15]
	v_add_co_u32_e32 v0, vcc, v4, v0
	v_addc_co_u32_e32 v1, vcc, v5, v1, vcc
	flat_load_dwordx2 v[18:19], v[0:1]
.LBB1221_357:
	s_or_b64 exec, exec, s[4:5]
	v_bfrev_b32_e32 v25, 1
	s_waitcnt vmcnt(0) lgkmcnt(0)
	v_cmp_lt_i64_e32 vcc, -1, v[8:9]
	v_cndmask_b32_e32 v0, -1, v25, vcc
	v_add_co_u32_e32 v27, vcc, 16, v12
	v_addc_co_u32_e32 v48, vcc, 0, v13, vcc
	v_lshlrev_b32_e32 v4, 4, v26
	v_ashrrev_i32_e32 v1, 31, v9
	v_add_co_u32_e32 v4, vcc, v12, v4
	v_xor_b32_e32 v20, v1, v8
	s_getpc_b64 s[4:5]
	s_add_u32 s4, s4, _ZN7rocprim17ROCPRIM_400000_NS16block_radix_sortIdLj256ELj1ElLj1ELj1ELj8ELNS0_26block_radix_rank_algorithmE2ELNS0_18block_padding_hintE2ELNS0_4arch9wavefront6targetE1EE19radix_bits_per_passE@rel32@lo+4
	s_addc_u32 s5, s5, _ZN7rocprim17ROCPRIM_400000_NS16block_radix_sortIdLj256ELj1ElLj1ELj1ELj8ELNS0_26block_radix_rank_algorithmE2ELNS0_18block_padding_hintE2ELNS0_4arch9wavefront6targetE1EE19radix_bits_per_passE@rel32@hi+12
	v_addc_co_u32_e32 v5, vcc, 0, v13, vcc
	v_and_b32_e32 v8, 15, v17
	s_load_dword s40, s[4:5], 0x0
	v_cmp_eq_u32_e32 vcc, 0, v8
	v_cmp_lt_u32_e64 s[4:5], 1, v8
	v_cmp_lt_u32_e64 s[6:7], 3, v8
	v_cmp_lt_u32_e64 s[8:9], 7, v8
	v_and_b32_e32 v8, 16, v17
	v_and_b32_e32 v32, 0x3c0, v26
	v_cmp_eq_u32_e64 s[10:11], 0, v8
	v_min_u32_e32 v8, 0xc0, v32
	v_or_b32_e32 v8, 63, v8
	v_xor_b32_e32 v21, v0, v9
	v_cmp_eq_u32_e64 s[14:15], v8, v26
	v_add_u32_e32 v8, -1, v17
	v_and_b32_e32 v9, 64, v17
	v_cmp_lt_i32_e64 s[20:21], v8, v9
	v_lshrrev_b32_e32 v14, 6, v26
	v_cndmask_b32_e64 v8, v8, v17, s[20:21]
	v_lshlrev_b32_e32 v50, 2, v8
	v_lshlrev_b32_e32 v8, 2, v14
	v_add_co_u32_e64 v28, s[24:25], v12, v8
	v_lshlrev_b32_e32 v0, 2, v26
	v_addc_co_u32_e64 v29, s[24:25], 0, v13, s[24:25]
	v_add_co_u32_e64 v8, s[24:25], v12, v0
	v_addc_co_u32_e64 v9, s[24:25], 0, v13, s[24:25]
	v_and_b32_e32 v0, 3, v17
	v_mov_b32_e32 v1, 0
	v_cmp_eq_u32_e64 s[24:25], 0, v0
	v_cmp_lt_u32_e64 s[26:27], 1, v0
	v_add_u32_e32 v0, -1, v14
	v_lshlrev_b64 v[14:15], 2, v[0:1]
	v_add_co_u32_e64 v30, s[28:29], v12, v14
	v_or_b32_e32 v0, v16, v32
	v_addc_co_u32_e64 v31, s[28:29], v13, v15, s[28:29]
	v_lshlrev_b32_e32 v0, 3, v0
	s_mov_b32 s34, -1
	v_add_co_u32_e64 v32, s[28:29], v12, v0
	s_brev_b32 s35, -2
	v_lshrrev_b32_e32 v49, 6, v24
	v_cmp_lt_u32_e64 s[12:13], 31, v17
	v_cmp_gt_u32_e64 s[16:17], 4, v26
	v_cmp_lt_u32_e64 s[18:19], 63, v26
	v_cmp_eq_u32_e64 s[20:21], 0, v17
	v_cmp_eq_u32_e64 s[22:23], 0, v26
	v_addc_co_u32_e64 v33, s[28:29], 0, v13, s[28:29]
	v_sub_u32_e32 v51, v11, v10
	s_mov_b64 s[36:37], 0
	v_mov_b32_e32 v14, v1
	v_mov_b32_e32 v15, v1
	v_mov_b32_e32 v16, v1
	v_mov_b32_e32 v17, v1
	s_waitcnt lgkmcnt(0)
	s_barrier
	s_branch .LBB1221_359
.LBB1221_358:                           ;   in Loop: Header=BB1221_359 Depth=1
	s_or_b64 exec, exec, s[30:31]
	s_and_b64 s[28:29], exec, s[38:39]
	s_or_b64 s[36:37], s[28:29], s[36:37]
	s_andn2_b64 exec, exec, s[36:37]
	s_cbranch_execz .LBB1221_369
.LBB1221_359:                           ; =>This Inner Loop Header: Depth=1
	s_waitcnt vmcnt(0)
	v_pk_mov_b32 v[36:37], v[20:21], v[20:21] op_sel:[0,1]
	v_cmp_ne_u64_e64 s[28:29], s[34:35], v[36:37]
	v_pk_mov_b32 v[34:35], v[18:19], v[18:19] op_sel:[0,1]
	v_cndmask_b32_e64 v19, v25, v37, s[28:29]
	v_cndmask_b32_e64 v18, 0, v36, s[28:29]
	v_min_u32_e32 v0, s40, v51
	v_lshrrev_b64 v[18:19], v10, v[18:19]
	v_bfe_u32 v20, v18, 0, v0
	v_lshl_add_u32 v0, v20, 2, v49
	v_lshlrev_b64 v[18:19], 2, v[0:1]
	v_add_co_u32_e64 v38, s[28:29], v27, v18
	v_addc_co_u32_e64 v39, s[28:29], v48, v19, s[28:29]
	v_and_b32_e32 v0, 1, v20
	v_add_co_u32_e64 v18, s[28:29], -1, v0
	v_addc_co_u32_e64 v19, s[28:29], 0, -1, s[28:29]
	v_cmp_ne_u32_e64 s[28:29], 0, v0
	v_xor_b32_e32 v18, s28, v18
	v_xor_b32_e32 v0, s29, v19
	v_and_b32_e32 v21, exec_lo, v18
	v_lshlrev_b32_e32 v19, 30, v20
	v_mov_b32_e32 v18, v1
	v_cmp_gt_i64_e64 s[28:29], 0, v[18:19]
	v_not_b32_e32 v18, v19
	v_ashrrev_i32_e32 v18, 31, v18
	v_and_b32_e32 v0, exec_hi, v0
	v_xor_b32_e32 v19, s29, v18
	v_xor_b32_e32 v18, s28, v18
	v_and_b32_e32 v0, v0, v19
	v_and_b32_e32 v21, v21, v18
	v_lshlrev_b32_e32 v19, 29, v20
	v_mov_b32_e32 v18, v1
	v_cmp_gt_i64_e64 s[28:29], 0, v[18:19]
	v_not_b32_e32 v18, v19
	v_ashrrev_i32_e32 v18, 31, v18
	v_xor_b32_e32 v19, s29, v18
	v_xor_b32_e32 v18, s28, v18
	v_and_b32_e32 v0, v0, v19
	v_and_b32_e32 v21, v21, v18
	v_lshlrev_b32_e32 v19, 28, v20
	v_mov_b32_e32 v18, v1
	v_cmp_gt_i64_e64 s[28:29], 0, v[18:19]
	v_not_b32_e32 v18, v19
	v_ashrrev_i32_e32 v18, 31, v18
	;; [unrolled: 9-line block ×6, first 2 shown]
	v_xor_b32_e32 v19, s29, v18
	v_xor_b32_e32 v18, s28, v18
	v_and_b32_e32 v18, v21, v18
	v_and_b32_e32 v19, v0, v19
	v_mbcnt_lo_u32_b32 v0, v18, 0
	v_mbcnt_hi_u32_b32 v0, v19, v0
	v_cmp_eq_u32_e64 s[28:29], 0, v0
	v_cmp_ne_u64_e64 s[30:31], 0, v[18:19]
	s_and_b64 s[30:31], s[30:31], s[28:29]
	flat_store_dwordx4 v[4:5], v[14:17] offset:16
	s_waitcnt lgkmcnt(0)
	s_barrier
	s_waitcnt lgkmcnt(0)
	; wave barrier
	s_and_saveexec_b64 s[28:29], s[30:31]
	s_cbranch_execz .LBB1221_361
; %bb.360:                              ;   in Loop: Header=BB1221_359 Depth=1
	v_bcnt_u32_b32 v18, v18, 0
	v_bcnt_u32_b32 v18, v19, v18
	flat_store_dword v[38:39], v18
.LBB1221_361:                           ;   in Loop: Header=BB1221_359 Depth=1
	s_or_b64 exec, exec, s[28:29]
	; wave barrier
	s_waitcnt lgkmcnt(0)
	s_barrier
	flat_load_dwordx4 v[18:21], v[4:5] offset:16
	s_waitcnt vmcnt(0) lgkmcnt(0)
	v_add_u32_e32 v52, v19, v18
	v_add3_u32 v21, v52, v20, v21
	s_nop 1
	v_mov_b32_dpp v52, v21 row_shr:1 row_mask:0xf bank_mask:0xf
	v_cndmask_b32_e64 v52, v52, 0, vcc
	v_add_u32_e32 v21, v52, v21
	s_nop 1
	v_mov_b32_dpp v52, v21 row_shr:2 row_mask:0xf bank_mask:0xf
	v_cndmask_b32_e64 v52, 0, v52, s[4:5]
	v_add_u32_e32 v21, v21, v52
	s_nop 1
	v_mov_b32_dpp v52, v21 row_shr:4 row_mask:0xf bank_mask:0xf
	v_cndmask_b32_e64 v52, 0, v52, s[6:7]
	v_add_u32_e32 v21, v21, v52
	s_nop 1
	v_mov_b32_dpp v52, v21 row_shr:8 row_mask:0xf bank_mask:0xf
	v_cndmask_b32_e64 v52, 0, v52, s[8:9]
	v_add_u32_e32 v21, v21, v52
	s_nop 1
	v_mov_b32_dpp v52, v21 row_bcast:15 row_mask:0xf bank_mask:0xf
	v_cndmask_b32_e64 v52, v52, 0, s[10:11]
	v_add_u32_e32 v21, v21, v52
	s_nop 1
	v_mov_b32_dpp v52, v21 row_bcast:31 row_mask:0xf bank_mask:0xf
	v_cndmask_b32_e64 v52, 0, v52, s[12:13]
	v_add_u32_e32 v21, v21, v52
	s_and_saveexec_b64 s[28:29], s[14:15]
	s_cbranch_execz .LBB1221_363
; %bb.362:                              ;   in Loop: Header=BB1221_359 Depth=1
	flat_store_dword v[28:29], v21
.LBB1221_363:                           ;   in Loop: Header=BB1221_359 Depth=1
	s_or_b64 exec, exec, s[28:29]
	s_waitcnt lgkmcnt(0)
	s_barrier
	s_and_saveexec_b64 s[28:29], s[16:17]
	s_cbranch_execz .LBB1221_365
; %bb.364:                              ;   in Loop: Header=BB1221_359 Depth=1
	flat_load_dword v52, v[8:9]
	s_waitcnt vmcnt(0) lgkmcnt(0)
	s_nop 0
	v_mov_b32_dpp v53, v52 row_shr:1 row_mask:0xf bank_mask:0xf
	v_cndmask_b32_e64 v53, v53, 0, s[24:25]
	v_add_u32_e32 v52, v53, v52
	s_nop 1
	v_mov_b32_dpp v53, v52 row_shr:2 row_mask:0xf bank_mask:0xf
	v_cndmask_b32_e64 v53, 0, v53, s[26:27]
	v_add_u32_e32 v52, v52, v53
	flat_store_dword v[8:9], v52
.LBB1221_365:                           ;   in Loop: Header=BB1221_359 Depth=1
	s_or_b64 exec, exec, s[28:29]
	v_mov_b32_e32 v52, 0
	s_waitcnt lgkmcnt(0)
	s_barrier
	s_and_saveexec_b64 s[28:29], s[18:19]
	s_cbranch_execz .LBB1221_367
; %bb.366:                              ;   in Loop: Header=BB1221_359 Depth=1
	flat_load_dword v52, v[30:31]
.LBB1221_367:                           ;   in Loop: Header=BB1221_359 Depth=1
	s_or_b64 exec, exec, s[28:29]
	s_waitcnt vmcnt(0) lgkmcnt(0)
	v_add_u32_e32 v21, v52, v21
	ds_bpermute_b32 v21, v50, v21
	v_add_u32_e32 v10, 8, v10
	v_cmp_lt_u32_e64 s[28:29], v10, v11
	s_mov_b64 s[38:39], -1
	s_waitcnt lgkmcnt(0)
	v_cndmask_b32_e64 v21, v21, v52, s[20:21]
	v_cndmask_b32_e64 v52, v21, 0, s[22:23]
	v_add_u32_e32 v53, v52, v18
	v_add_u32_e32 v54, v53, v19
	;; [unrolled: 1-line block ×3, first 2 shown]
	flat_store_dwordx4 v[4:5], v[52:55] offset:16
	s_waitcnt lgkmcnt(0)
	s_barrier
	flat_load_dword v18, v[38:39]
	s_waitcnt lgkmcnt(0)
                                        ; implicit-def: $vgpr20_vgpr21
	s_waitcnt vmcnt(0) lgkmcnt(0)
	v_add_u32_e32 v0, v18, v0
	v_lshlrev_b64 v[18:19], 3, v[0:1]
	v_add_co_u32_e64 v38, s[30:31], v12, v18
	v_addc_co_u32_e64 v39, s[30:31], v13, v19, s[30:31]
                                        ; implicit-def: $vgpr18_vgpr19
	s_and_saveexec_b64 s[30:31], s[28:29]
	s_cbranch_execz .LBB1221_358
; %bb.368:                              ;   in Loop: Header=BB1221_359 Depth=1
	s_barrier
	flat_store_dwordx2 v[38:39], v[36:37]
	s_waitcnt lgkmcnt(0)
	s_barrier
	flat_load_dwordx2 v[20:21], v[32:33]
	s_waitcnt lgkmcnt(0)
	s_barrier
	flat_store_dwordx2 v[38:39], v[34:35]
	s_waitcnt lgkmcnt(0)
	s_barrier
	flat_load_dwordx2 v[18:19], v[32:33]
	v_add_u32_e32 v51, -8, v51
	s_xor_b64 s[38:39], exec, -1
	s_waitcnt lgkmcnt(0)
	s_barrier
	s_branch .LBB1221_358
.LBB1221_369:
	s_or_b64 exec, exec, s[36:37]
	v_lshlrev_b32_e32 v0, 2, v26
	v_add_co_u32_e32 v0, vcc, v8, v0
	v_addc_co_u32_e32 v1, vcc, 0, v9, vcc
	s_barrier
	flat_store_dwordx2 v[38:39], v[36:37]
	s_waitcnt lgkmcnt(0)
	s_barrier
	flat_load_dwordx2 v[4:5], v[0:1]
	s_waitcnt lgkmcnt(0)
	s_barrier
	flat_store_dwordx2 v[38:39], v[34:35]
	s_waitcnt lgkmcnt(0)
	s_barrier
	flat_load_dwordx2 v[0:1], v[0:1]
	v_mov_b32_e32 v25, 0
	v_cmp_lt_u32_e32 vcc, v24, v152
	s_waitcnt lgkmcnt(0)
	s_barrier
	s_and_saveexec_b64 s[4:5], vcc
	s_cbranch_execz .LBB1221_371
; %bb.370:
	v_add_co_u32_e32 v8, vcc, v2, v22
	v_addc_co_u32_e32 v9, vcc, v3, v23, vcc
	v_lshlrev_b64 v[2:3], 3, v[24:25]
	v_add_co_u32_e32 v8, vcc, v8, v2
	v_addc_co_u32_e32 v9, vcc, v9, v3, vcc
	v_bfrev_b32_e32 v10, 1
	s_waitcnt vmcnt(0)
	v_cmp_lt_i64_e32 vcc, -1, v[4:5]
	v_ashrrev_i32_e32 v11, 31, v5
	v_cndmask_b32_e64 v10, v10, -1, vcc
	v_not_b32_e32 v11, v11
	v_xor_b32_e32 v5, v10, v5
	v_xor_b32_e32 v4, v11, v4
	flat_store_dwordx2 v[8:9], v[4:5]
	v_add_co_u32_e32 v4, vcc, v6, v22
	v_addc_co_u32_e32 v5, vcc, v7, v23, vcc
	v_add_co_u32_e32 v2, vcc, v4, v2
	v_addc_co_u32_e32 v3, vcc, v5, v3, vcc
	flat_store_dwordx2 v[2:3], v[0:1]
.LBB1221_371:
	s_or_b64 exec, exec, s[4:5]
.LBB1221_372:
	s_or_b64 exec, exec, s[42:43]
	buffer_load_dword v156, off, s[0:3], s32 ; 4-byte Folded Reload
	buffer_load_dword v155, off, s[0:3], s32 offset:4 ; 4-byte Folded Reload
	buffer_load_dword v154, off, s[0:3], s32 offset:8 ; 4-byte Folded Reload
	;; [unrolled: 1-line block ×30, first 2 shown]
	v_readlane_b32 s30, v157, 15
	v_readlane_b32 s31, v157, 16
	;; [unrolled: 1-line block ×17, first 2 shown]
	v_accvgpr_read_b32 v93, a31             ;  Reload Reuse
	v_accvgpr_read_b32 v92, a30             ;  Reload Reuse
	v_accvgpr_read_b32 v91, a29             ;  Reload Reuse
	v_accvgpr_read_b32 v90, a28             ;  Reload Reuse
	v_accvgpr_read_b32 v89, a27             ;  Reload Reuse
	v_accvgpr_read_b32 v88, a26             ;  Reload Reuse
	v_accvgpr_read_b32 v79, a25             ;  Reload Reuse
	v_accvgpr_read_b32 v78, a24             ;  Reload Reuse
	v_accvgpr_read_b32 v77, a23             ;  Reload Reuse
	v_accvgpr_read_b32 v76, a22             ;  Reload Reuse
	v_accvgpr_read_b32 v75, a21             ;  Reload Reuse
	v_accvgpr_read_b32 v74, a20             ;  Reload Reuse
	v_accvgpr_read_b32 v73, a19             ;  Reload Reuse
	v_accvgpr_read_b32 v72, a18             ;  Reload Reuse
	v_accvgpr_read_b32 v63, a17             ;  Reload Reuse
	v_accvgpr_read_b32 v62, a16             ;  Reload Reuse
	v_accvgpr_read_b32 v61, a15             ;  Reload Reuse
	v_accvgpr_read_b32 v60, a14             ;  Reload Reuse
	v_accvgpr_read_b32 v59, a13             ;  Reload Reuse
	v_accvgpr_read_b32 v58, a12             ;  Reload Reuse
	v_accvgpr_read_b32 v57, a11             ;  Reload Reuse
	v_accvgpr_read_b32 v56, a10             ;  Reload Reuse
	v_accvgpr_read_b32 v47, a9              ;  Reload Reuse
	v_accvgpr_read_b32 v46, a8              ;  Reload Reuse
	;; [unrolled: 1-line block ×8, first 2 shown]
	s_or_saveexec_b64 s[4:5], -1
	buffer_load_dword v157, off, s[0:3], s32 offset:124 ; 4-byte Folded Reload
	s_mov_b64 exec, s[4:5]
	s_waitcnt vmcnt(0) lgkmcnt(0)
	s_setpc_b64 s[30:31]
.Lfunc_end1221:
	.size	_ZN7rocprim17ROCPRIM_400000_NS6detail40segmented_radix_sort_single_block_helperIdlLj256ELj16ELb0EE4sortIPKdPdPKlPlEEbT_T0_T1_T2_jjjjRNS3_12storage_typeE, .Lfunc_end1221-_ZN7rocprim17ROCPRIM_400000_NS6detail40segmented_radix_sort_single_block_helperIdlLj256ELj16ELb0EE4sortIPKdPdPKlPlEEbT_T0_T1_T2_jjjjRNS3_12storage_typeE
                                        ; -- End function
	.section	.AMDGPU.csdata,"",@progbits
; Function info:
; codeLenInByte = 32640
; NumSgprs: 53
; NumVgprs: 248
; NumAgprs: 32
; TotalNumVgprs: 280
; ScratchSize: 132
; MemoryBound: 1
	.section	.text._ZN7rocprim17ROCPRIM_400000_NS6detail17trampoline_kernelINS0_14default_configENS1_36segmented_radix_sort_config_selectorIdlEEZNS1_25segmented_radix_sort_implIS3_Lb0EPKdPdPKlPlN2at6native12_GLOBAL__N_18offset_tEEE10hipError_tPvRmT1_PNSt15iterator_traitsISK_E10value_typeET2_T3_PNSL_ISQ_E10value_typeET4_jRbjT5_SW_jjP12ihipStream_tbEUlT_E_NS1_11comp_targetILNS1_3genE4ELNS1_11target_archE910ELNS1_3gpuE8ELNS1_3repE0EEENS1_30default_config_static_selectorELNS0_4arch9wavefront6targetE1EEEvSK_,"axG",@progbits,_ZN7rocprim17ROCPRIM_400000_NS6detail17trampoline_kernelINS0_14default_configENS1_36segmented_radix_sort_config_selectorIdlEEZNS1_25segmented_radix_sort_implIS3_Lb0EPKdPdPKlPlN2at6native12_GLOBAL__N_18offset_tEEE10hipError_tPvRmT1_PNSt15iterator_traitsISK_E10value_typeET2_T3_PNSL_ISQ_E10value_typeET4_jRbjT5_SW_jjP12ihipStream_tbEUlT_E_NS1_11comp_targetILNS1_3genE4ELNS1_11target_archE910ELNS1_3gpuE8ELNS1_3repE0EEENS1_30default_config_static_selectorELNS0_4arch9wavefront6targetE1EEEvSK_,comdat
	.globl	_ZN7rocprim17ROCPRIM_400000_NS6detail17trampoline_kernelINS0_14default_configENS1_36segmented_radix_sort_config_selectorIdlEEZNS1_25segmented_radix_sort_implIS3_Lb0EPKdPdPKlPlN2at6native12_GLOBAL__N_18offset_tEEE10hipError_tPvRmT1_PNSt15iterator_traitsISK_E10value_typeET2_T3_PNSL_ISQ_E10value_typeET4_jRbjT5_SW_jjP12ihipStream_tbEUlT_E_NS1_11comp_targetILNS1_3genE4ELNS1_11target_archE910ELNS1_3gpuE8ELNS1_3repE0EEENS1_30default_config_static_selectorELNS0_4arch9wavefront6targetE1EEEvSK_ ; -- Begin function _ZN7rocprim17ROCPRIM_400000_NS6detail17trampoline_kernelINS0_14default_configENS1_36segmented_radix_sort_config_selectorIdlEEZNS1_25segmented_radix_sort_implIS3_Lb0EPKdPdPKlPlN2at6native12_GLOBAL__N_18offset_tEEE10hipError_tPvRmT1_PNSt15iterator_traitsISK_E10value_typeET2_T3_PNSL_ISQ_E10value_typeET4_jRbjT5_SW_jjP12ihipStream_tbEUlT_E_NS1_11comp_targetILNS1_3genE4ELNS1_11target_archE910ELNS1_3gpuE8ELNS1_3repE0EEENS1_30default_config_static_selectorELNS0_4arch9wavefront6targetE1EEEvSK_
	.p2align	8
	.type	_ZN7rocprim17ROCPRIM_400000_NS6detail17trampoline_kernelINS0_14default_configENS1_36segmented_radix_sort_config_selectorIdlEEZNS1_25segmented_radix_sort_implIS3_Lb0EPKdPdPKlPlN2at6native12_GLOBAL__N_18offset_tEEE10hipError_tPvRmT1_PNSt15iterator_traitsISK_E10value_typeET2_T3_PNSL_ISQ_E10value_typeET4_jRbjT5_SW_jjP12ihipStream_tbEUlT_E_NS1_11comp_targetILNS1_3genE4ELNS1_11target_archE910ELNS1_3gpuE8ELNS1_3repE0EEENS1_30default_config_static_selectorELNS0_4arch9wavefront6targetE1EEEvSK_,@function
_ZN7rocprim17ROCPRIM_400000_NS6detail17trampoline_kernelINS0_14default_configENS1_36segmented_radix_sort_config_selectorIdlEEZNS1_25segmented_radix_sort_implIS3_Lb0EPKdPdPKlPlN2at6native12_GLOBAL__N_18offset_tEEE10hipError_tPvRmT1_PNSt15iterator_traitsISK_E10value_typeET2_T3_PNSL_ISQ_E10value_typeET4_jRbjT5_SW_jjP12ihipStream_tbEUlT_E_NS1_11comp_targetILNS1_3genE4ELNS1_11target_archE910ELNS1_3gpuE8ELNS1_3repE0EEENS1_30default_config_static_selectorELNS0_4arch9wavefront6targetE1EEEvSK_: ; @_ZN7rocprim17ROCPRIM_400000_NS6detail17trampoline_kernelINS0_14default_configENS1_36segmented_radix_sort_config_selectorIdlEEZNS1_25segmented_radix_sort_implIS3_Lb0EPKdPdPKlPlN2at6native12_GLOBAL__N_18offset_tEEE10hipError_tPvRmT1_PNSt15iterator_traitsISK_E10value_typeET2_T3_PNSL_ISQ_E10value_typeET4_jRbjT5_SW_jjP12ihipStream_tbEUlT_E_NS1_11comp_targetILNS1_3genE4ELNS1_11target_archE910ELNS1_3gpuE8ELNS1_3repE0EEENS1_30default_config_static_selectorELNS0_4arch9wavefront6targetE1EEEvSK_
; %bb.0:
	s_add_u32 flat_scratch_lo, s6, s10
	s_addc_u32 flat_scratch_hi, s7, 0
	s_mov_b64 s[50:51], s[4:5]
	s_load_dwordx2 s[12:13], s[4:5], 0x38
	s_nop 0
	s_load_dwordx4 s[4:7], s[4:5], 0x40
	s_add_u32 s0, s0, s10
                                        ; implicit-def: $vgpr236 : SGPR spill to VGPR lane
	s_mov_b32 s11, 0
	s_mov_b32 s10, s8
	s_addc_u32 s1, s1, 0
	v_writelane_b32 v236, s9, 0
	s_lshl_b64 s[10:11], s[10:11], 2
	v_writelane_b32 v236, s8, 1
	s_waitcnt lgkmcnt(0)
	s_add_u32 s8, s12, s10
	s_addc_u32 s9, s13, s11
	s_load_dword s8, s[8:9], 0x0
	s_mov_b32 s32, 0
	s_waitcnt lgkmcnt(0)
	s_add_i32 s5, s8, s5
	s_add_i32 s94, s8, s7
	s_mul_i32 s49, s5, s4
	s_mul_i32 s94, s94, s6
	s_cmp_le_u32 s94, s49
	s_cbranch_scc1 .LBB1222_1190
; %bb.1:
	s_load_dword s4, s[50:51], 0x30
	s_load_dwordx4 s[80:83], s[50:51], 0x20
	s_load_dwordx4 s[52:55], s[50:51], 0x50
	s_load_dwordx8 s[72:79], s[50:51], 0x0
	s_waitcnt lgkmcnt(0)
	s_bitcmp1_b32 s4, 0
	s_cselect_b64 s[70:71], -1, 0
	s_sub_i32 s85, s94, s49
	s_cmpk_lt_u32 s85, 0x1001
	s_mov_b64 s[4:5], -1
	s_cbranch_scc0 .LBB1222_7
; %bb.2:
	s_and_b32 s4, s52, 1
	v_cndmask_b32_e64 v1, 0, 1, s[70:71]
	v_cmp_ne_u32_e32 vcc, s4, v1
	s_mov_b64 s[4:5], -1
	s_cbranch_vccnz .LBB1222_4
; %bb.3:
	s_add_u32 s8, s50, 0x60
	s_mov_b64 s[4:5], src_shared_base
	s_addc_u32 s9, s51, 0
	v_readlane_b32 s12, v236, 1
	v_readlane_b32 s13, v236, 0
	v_mov_b32_e32 v31, v0
	v_mov_b32_e32 v40, v0
	;; [unrolled: 1-line block ×16, first 2 shown]
	s_getpc_b64 s[6:7]
	s_add_u32 s6, s6, _ZN7rocprim17ROCPRIM_400000_NS6detail40segmented_radix_sort_single_block_helperIdlLj256ELj16ELb0EE4sortIPKdPdPKlPlEEbT_T0_T1_T2_jjjjRNS3_12storage_typeE@rel32@lo+4
	s_addc_u32 s7, s7, _ZN7rocprim17ROCPRIM_400000_NS6detail40segmented_radix_sort_single_block_helperIdlLj256ELj16ELb0EE4sortIPKdPdPKlPlEEbT_T0_T1_T2_jjjjRNS3_12storage_typeE@rel32@hi+12
	s_swappc_b64 s[30:31], s[6:7]
	v_mov_b32_e32 v0, v40
	s_mov_b64 s[4:5], 0
.LBB1222_4:
	s_andn2_b64 vcc, exec, s[4:5]
	s_cbranch_vccnz .LBB1222_6
; %bb.5:
	s_add_u32 s8, s50, 0x60
	s_mov_b64 s[4:5], src_shared_base
	s_addc_u32 s9, s51, 0
	v_readlane_b32 s12, v236, 1
	v_readlane_b32 s13, v236, 0
	v_mov_b32_e32 v31, v0
	v_mov_b32_e32 v40, v0
	;; [unrolled: 1-line block ×16, first 2 shown]
	s_getpc_b64 s[6:7]
	s_add_u32 s6, s6, _ZN7rocprim17ROCPRIM_400000_NS6detail40segmented_radix_sort_single_block_helperIdlLj256ELj16ELb0EE4sortIPKdPdPKlPlEEbT_T0_T1_T2_jjjjRNS3_12storage_typeE@rel32@lo+4
	s_addc_u32 s7, s7, _ZN7rocprim17ROCPRIM_400000_NS6detail40segmented_radix_sort_single_block_helperIdlLj256ELj16ELb0EE4sortIPKdPdPKlPlEEbT_T0_T1_T2_jjjjRNS3_12storage_typeE@rel32@hi+12
	s_swappc_b64 s[30:31], s[6:7]
	v_mov_b32_e32 v0, v40
.LBB1222_6:
	s_mov_b64 s[4:5], 0
.LBB1222_7:
	s_andn2_b64 vcc, exec, s[4:5]
	s_cbranch_vccnz .LBB1222_1190
; %bb.8:
	s_cmp_ge_u32 s53, s54
	s_cbranch_scc1 .LBB1222_1190
; %bb.9:
	v_and_b32_e32 v2, 0x3ff, v0
	v_lshlrev_b32_e32 v5, 3, v2
	v_lshlrev_b32_e32 v33, 4, v2
	v_mov_b32_e32 v10, s77
	v_add_co_u32_e32 v9, vcc, s76, v5
	v_and_b32_e32 v34, 0xc00, v33
	v_bfe_u32 v23, v0, 20, 10
	v_bfe_u32 v25, v0, 10, 10
	v_mul_u32_u24_e32 v0, 5, v2
	v_mov_b32_e32 v29, 0x410
	v_addc_co_u32_e32 v11, vcc, 0, v10, vcc
	v_lshl_add_u32 v31, v0, 2, v29
	v_lshlrev_b32_e32 v0, 3, v34
	v_mov_b32_e32 v35, s83
	v_add_co_u32_e32 v100, vcc, s82, v0
	v_addc_co_u32_e32 v101, vcc, 0, v35, vcc
	v_mov_b32_e32 v35, s77
	v_add_co_u32_e32 v102, vcc, s76, v0
	v_addc_co_u32_e32 v103, vcc, 0, v35, vcc
	;; [unrolled: 3-line block ×6, first 2 shown]
	v_add_u32_e32 v104, 0x400, v5
	v_mov_b32_e32 v5, s79
	v_add_co_u32_e32 v113, vcc, s78, v0
	v_addc_co_u32_e32 v114, vcc, 0, v5, vcc
	v_add_co_u32_e32 v115, vcc, s72, v0
	v_mbcnt_lo_u32_b32 v0, -1, 0
	v_lshlrev_b32_e32 v3, 2, v2
	v_or_b32_e32 v15, 63, v2
	v_mbcnt_hi_u32_b32 v135, -1, v0
	v_writelane_b32 v236, s49, 2
	v_mad_u32_u24 v13, v2, 12, v3
	v_cmp_eq_u32_e64 s[6:7], v15, v2
	v_lshrrev_b32_e32 v15, 4, v2
	s_mov_b32 s84, s53
	v_and_b32_e32 v0, 63, v135
	s_mov_b32 s33, s53
	v_writelane_b32 v236, s52, 3
	s_movk_i32 s4, 0x100
	v_or_b32_e32 v6, 0x200, v2
	v_or_b32_e32 v8, 0x300, v2
	v_and_b32_e32 v1, 3, v2
	v_or_b32_e32 v10, 0x400, v2
	v_or_b32_e32 v12, 0x500, v2
	;; [unrolled: 1-line block ×12, first 2 shown]
	v_and_b32_e32 v15, 12, v15
	s_add_u32 s90, s50, 0x60
	v_add_u32_e32 v27, v13, v3
	s_movk_i32 s14, 0xff
	v_mov_b32_e32 v5, s73
	s_mov_b32 s78, -1
	v_or_b32_e32 v143, v0, v34
	v_writelane_b32 v236, s53, 4
	s_mov_b32 s89, 0
	v_mov_b32_e32 v4, 0
	v_or_b32_e32 v7, 0x100, v2
	v_cmp_gt_u32_e64 s[4:5], s4, v2
	v_or_b32_e32 v17, 0x8400, v15
	v_cmp_gt_u32_e64 s[8:9], 4, v2
	v_add_u32_e32 v19, 0x8400, v3
	v_cmp_lt_u32_e64 s[10:11], 63, v2
	v_add_u32_e32 v21, 0x83fc, v15
	s_addc_u32 s91, s51, 0
	v_sub_u32_e32 v33, v27, v33
	v_cmp_eq_u32_e64 s[12:13], 0, v2
	v_cmp_ne_u32_e64 s[14:15], s14, v2
	v_addc_co_u32_e32 v116, vcc, 0, v5, vcc
	s_brev_b32 s79, -2
	s_movk_i32 s95, 0x2000
	s_movk_i32 s96, 0x3000
	;; [unrolled: 1-line block ×5, first 2 shown]
	v_mov_b32_e32 v117, 1
	v_lshlrev_b32_e32 v118, 3, v2
	v_lshlrev_b32_e32 v119, 3, v6
	;; [unrolled: 1-line block ×15, first 2 shown]
	v_bfrev_b32_e32 v133, 1
	v_lshlrev_b32_e32 v134, 2, v1
	v_and_b32_e32 v136, 15, v135
	v_bfe_i32 v137, v135, 4, 1
	v_and_b32_e32 v138, 16, v135
	v_and_b32_e32 v139, 3, v135
	v_add_u32_e32 v140, -1, v135
	v_and_b32_e32 v141, 64, v135
	v_lshlrev_b32_e32 v142, 3, v0
	v_or_b32_e32 v144, 64, v143
	v_or_b32_e32 v145, 0x80, v143
	;; [unrolled: 1-line block ×15, first 2 shown]
	v_writelane_b32 v236, s54, 5
	v_writelane_b32 v236, s55, 6
	s_branch .LBB1222_12
.LBB1222_10:                            ;   in Loop: Header=BB1222_12 Depth=1
	v_readlane_b32 s49, v236, 2
	s_waitcnt lgkmcnt(0)
	s_barrier
.LBB1222_11:                            ;   in Loop: Header=BB1222_12 Depth=1
	v_readlane_b32 s52, v236, 3
	s_add_i32 s33, s33, 8
	v_readlane_b32 s54, v236, 5
	v_readlane_b32 s53, v236, 4
	s_cmp_ge_u32 s33, s54
	v_readlane_b32 s55, v236, 6
	s_cbranch_scc1 .LBB1222_1190
.LBB1222_12:                            ; =>This Loop Header: Depth=1
                                        ;     Child Loop BB1222_16 Depth 2
                                        ;     Child Loop BB1222_98 Depth 2
                                        ;     Child Loop BB1222_310 Depth 2
                                        ;     Child Loop BB1222_392 Depth 2
                                        ;     Child Loop BB1222_606 Depth 2
                                        ;     Child Loop BB1222_688 Depth 2
                                        ;     Child Loop BB1222_900 Depth 2
                                        ;     Child Loop BB1222_982 Depth 2
	s_sub_i32 s16, s54, s33
	s_xor_b64 s[70:71], s[70:71], -1
	s_min_u32 s68, s16, 8
	s_cmp_lg_u32 s33, s53
	s_mov_b64 s[16:17], -1
	ds_write2st64_b32 v3, v4, v4 offset1:4
	ds_write2st64_b32 v3, v4, v4 offset0:8 offset1:12
	s_waitcnt lgkmcnt(0)
	s_cbranch_scc0 .LBB1222_602
; %bb.13:                               ;   in Loop: Header=BB1222_12 Depth=1
	s_lshl_b32 s16, -1, s68
	s_not_b32 s69, s16
	s_mov_b64 s[16:17], -1
	s_and_b64 vcc, exec, s[70:71]
	s_cbranch_vccz .LBB1222_307
; %bb.14:                               ;   in Loop: Header=BB1222_12 Depth=1
	s_mov_b32 s22, s85
	s_mov_b32 s88, s49
	s_barrier
	s_waitcnt lgkmcnt(0)
                                        ; implicit-def: $vgpr62_vgpr63
                                        ; implicit-def: $vgpr0_vgpr1
                                        ; implicit-def: $vgpr34_vgpr35
                                        ; implicit-def: $vgpr36_vgpr37
                                        ; implicit-def: $vgpr38_vgpr39
                                        ; implicit-def: $vgpr40_vgpr41
                                        ; implicit-def: $vgpr42_vgpr43
                                        ; implicit-def: $vgpr44_vgpr45
                                        ; implicit-def: $vgpr46_vgpr47
                                        ; implicit-def: $vgpr48_vgpr49
                                        ; implicit-def: $vgpr50_vgpr51
                                        ; implicit-def: $vgpr52_vgpr53
                                        ; implicit-def: $vgpr54_vgpr55
                                        ; implicit-def: $vgpr56_vgpr57
                                        ; implicit-def: $vgpr58_vgpr59
                                        ; implicit-def: $vgpr60_vgpr61
	s_branch .LBB1222_16
.LBB1222_15:                            ;   in Loop: Header=BB1222_16 Depth=2
	s_or_b64 exec, exec, s[16:17]
	s_addk_i32 s22, 0xf000
	s_cmp_ge_u32 s23, s94
	s_mov_b32 s88, s23
	s_cbranch_scc1 .LBB1222_86
.LBB1222_16:                            ;   Parent Loop BB1222_12 Depth=1
                                        ; =>  This Inner Loop Header: Depth=2
	s_add_i32 s23, s88, 0x1000
	s_cmp_gt_u32 s23, s94
	s_cbranch_scc1 .LBB1222_19
; %bb.17:                               ;   in Loop: Header=BB1222_16 Depth=2
	s_lshl_b64 s[16:17], s[88:89], 3
	v_mov_b32_e32 v5, s17
	v_add_co_u32_e32 v64, vcc, s16, v9
	v_addc_co_u32_e32 v65, vcc, v11, v5, vcc
	s_waitcnt vmcnt(11)
	v_add_co_u32_e32 v72, vcc, 0x1000, v64
	v_addc_co_u32_e32 v73, vcc, 0, v65, vcc
	s_waitcnt vmcnt(5)
	;; [unrolled: 3-line block ×3, first 2 shown]
	v_add_co_u32_e32 v82, vcc, s96, v64
	v_addc_co_u32_e32 v83, vcc, 0, v65, vcc
	v_add_co_u32_e32 v86, vcc, s97, v64
	v_addc_co_u32_e32 v87, vcc, 0, v65, vcc
	;; [unrolled: 2-line block ×4, first 2 shown]
	global_load_dwordx2 v[66:67], v[64:65], off
	global_load_dwordx2 v[68:69], v[64:65], off offset:2048
	global_load_dwordx2 v[70:71], v[72:73], off
	s_nop 0
	global_load_dwordx2 v[72:73], v[72:73], off offset:2048
	s_nop 0
	global_load_dwordx2 v[74:75], v[82:83], off
	global_load_dwordx2 v[76:77], v[82:83], off offset:2048
	global_load_dwordx2 v[80:81], v[88:89], off offset:-4096
	global_load_dwordx2 v[84:85], v[88:89], off
	s_nop 0
	global_load_dwordx2 v[88:89], v[88:89], off offset:2048
	s_nop 0
	global_load_dwordx2 v[78:79], v[78:79], off offset:2048
	;; [unrolled: 2-line block ×3, first 2 shown]
	s_nop 0
	global_load_dwordx2 v[90:91], v[92:93], off
	s_nop 0
	global_load_dwordx2 v[92:93], v[92:93], off offset:2048
	s_waitcnt vmcnt(13)
	v_add_co_u32_e32 v94, vcc, 0x7000, v64
	v_addc_co_u32_e32 v95, vcc, 0, v65, vcc
	global_load_dwordx2 v[82:83], v[82:83], off offset:-4096
	s_nop 0
	global_load_dwordx2 v[94:95], v[94:95], off
	v_add_co_u32_e32 v64, vcc, 0x7800, v64
	s_movk_i32 s24, 0x1000
	v_addc_co_u32_e32 v65, vcc, 0, v65, vcc
	s_mov_b64 s[16:17], -1
	s_cbranch_execz .LBB1222_20
; %bb.18:                               ;   in Loop: Header=BB1222_16 Depth=2
                                        ; implicit-def: $vgpr60_vgpr61
                                        ; implicit-def: $vgpr58_vgpr59
                                        ; implicit-def: $vgpr56_vgpr57
                                        ; implicit-def: $vgpr54_vgpr55
                                        ; implicit-def: $vgpr52_vgpr53
                                        ; implicit-def: $vgpr50_vgpr51
                                        ; implicit-def: $vgpr48_vgpr49
                                        ; implicit-def: $vgpr46_vgpr47
                                        ; implicit-def: $vgpr44_vgpr45
                                        ; implicit-def: $vgpr42_vgpr43
                                        ; implicit-def: $vgpr40_vgpr41
                                        ; implicit-def: $vgpr38_vgpr39
                                        ; implicit-def: $vgpr36_vgpr37
                                        ; implicit-def: $vgpr34_vgpr35
                                        ; implicit-def: $vgpr0_vgpr1
                                        ; implicit-def: $vgpr62_vgpr63
	v_mov_b32_e32 v5, s22
	s_and_saveexec_b64 s[18:19], s[16:17]
	s_cbranch_execnz .LBB1222_39
	s_branch .LBB1222_40
.LBB1222_19:                            ;   in Loop: Header=BB1222_16 Depth=2
	s_mov_b64 s[16:17], 0
                                        ; implicit-def: $sgpr24
                                        ; implicit-def: $vgpr66_vgpr67
                                        ; implicit-def: $vgpr68_vgpr69
                                        ; implicit-def: $vgpr70_vgpr71
                                        ; implicit-def: $vgpr72_vgpr73
                                        ; implicit-def: $vgpr82_vgpr83
                                        ; implicit-def: $vgpr78_vgpr79
                                        ; implicit-def: $vgpr74_vgpr75
                                        ; implicit-def: $vgpr76_vgpr77
                                        ; implicit-def: $vgpr80_vgpr81
                                        ; implicit-def: $vgpr86_vgpr87
                                        ; implicit-def: $vgpr84_vgpr85
                                        ; implicit-def: $vgpr88_vgpr89
                                        ; implicit-def: $vgpr90_vgpr91
                                        ; implicit-def: $vgpr92_vgpr93
                                        ; implicit-def: $vgpr94_vgpr95
                                        ; implicit-def: $vgpr64_vgpr65
.LBB1222_20:                            ;   in Loop: Header=BB1222_16 Depth=2
	s_lshl_b64 s[18:19], s[88:89], 3
	s_add_u32 s18, s76, s18
	s_addc_u32 s19, s77, s19
	v_cmp_gt_u32_e32 vcc, s22, v2
	s_and_saveexec_b64 s[20:21], vcc
	s_cbranch_execz .LBB1222_72
; %bb.21:                               ;   in Loop: Header=BB1222_16 Depth=2
	global_load_dwordx2 v[60:61], v118, s[18:19]
	s_or_b64 exec, exec, s[20:21]
	v_cmp_gt_u32_e32 vcc, s22, v7
	s_and_saveexec_b64 s[20:21], vcc
	s_cbranch_execnz .LBB1222_73
.LBB1222_22:                            ;   in Loop: Header=BB1222_16 Depth=2
	s_or_b64 exec, exec, s[20:21]
	v_cmp_gt_u32_e32 vcc, s22, v6
	s_and_saveexec_b64 s[20:21], vcc
	s_cbranch_execz .LBB1222_74
.LBB1222_23:                            ;   in Loop: Header=BB1222_16 Depth=2
	global_load_dwordx2 v[56:57], v119, s[18:19]
	s_or_b64 exec, exec, s[20:21]
	v_cmp_gt_u32_e32 vcc, s22, v8
	s_and_saveexec_b64 s[20:21], vcc
	s_cbranch_execnz .LBB1222_75
.LBB1222_24:                            ;   in Loop: Header=BB1222_16 Depth=2
	s_or_b64 exec, exec, s[20:21]
	v_cmp_gt_u32_e32 vcc, s22, v10
	s_and_saveexec_b64 s[20:21], vcc
	s_cbranch_execz .LBB1222_76
.LBB1222_25:                            ;   in Loop: Header=BB1222_16 Depth=2
	global_load_dwordx2 v[52:53], v121, s[18:19]
	s_or_b64 exec, exec, s[20:21]
	v_cmp_gt_u32_e32 vcc, s22, v12
	s_and_saveexec_b64 s[20:21], vcc
	s_cbranch_execnz .LBB1222_77
.LBB1222_26:                            ;   in Loop: Header=BB1222_16 Depth=2
	s_or_b64 exec, exec, s[20:21]
	v_cmp_gt_u32_e32 vcc, s22, v14
	s_and_saveexec_b64 s[20:21], vcc
	s_cbranch_execz .LBB1222_78
.LBB1222_27:                            ;   in Loop: Header=BB1222_16 Depth=2
	global_load_dwordx2 v[48:49], v123, s[18:19]
	s_or_b64 exec, exec, s[20:21]
	v_cmp_gt_u32_e32 vcc, s22, v16
	s_and_saveexec_b64 s[20:21], vcc
	s_cbranch_execnz .LBB1222_79
.LBB1222_28:                            ;   in Loop: Header=BB1222_16 Depth=2
	s_or_b64 exec, exec, s[20:21]
	v_cmp_gt_u32_e32 vcc, s22, v18
	s_and_saveexec_b64 s[20:21], vcc
	s_cbranch_execz .LBB1222_80
.LBB1222_29:                            ;   in Loop: Header=BB1222_16 Depth=2
	global_load_dwordx2 v[44:45], v125, s[18:19]
	s_or_b64 exec, exec, s[20:21]
	v_cmp_gt_u32_e32 vcc, s22, v20
	s_and_saveexec_b64 s[20:21], vcc
	s_cbranch_execnz .LBB1222_81
.LBB1222_30:                            ;   in Loop: Header=BB1222_16 Depth=2
	s_or_b64 exec, exec, s[20:21]
	v_cmp_gt_u32_e32 vcc, s22, v22
	s_and_saveexec_b64 s[20:21], vcc
	s_cbranch_execz .LBB1222_82
.LBB1222_31:                            ;   in Loop: Header=BB1222_16 Depth=2
	global_load_dwordx2 v[40:41], v127, s[18:19]
	s_or_b64 exec, exec, s[20:21]
	v_cmp_gt_u32_e32 vcc, s22, v24
	s_and_saveexec_b64 s[20:21], vcc
	s_cbranch_execnz .LBB1222_83
.LBB1222_32:                            ;   in Loop: Header=BB1222_16 Depth=2
	s_or_b64 exec, exec, s[20:21]
	v_cmp_gt_u32_e32 vcc, s22, v26
	s_and_saveexec_b64 s[20:21], vcc
	s_cbranch_execz .LBB1222_84
.LBB1222_33:                            ;   in Loop: Header=BB1222_16 Depth=2
	global_load_dwordx2 v[36:37], v129, s[18:19]
	s_or_b64 exec, exec, s[20:21]
	v_cmp_gt_u32_e32 vcc, s22, v28
	s_and_saveexec_b64 s[20:21], vcc
	s_cbranch_execnz .LBB1222_85
.LBB1222_34:                            ;   in Loop: Header=BB1222_16 Depth=2
	s_or_b64 exec, exec, s[20:21]
	v_cmp_gt_u32_e32 vcc, s22, v30
	s_and_saveexec_b64 s[20:21], vcc
	s_cbranch_execz .LBB1222_36
.LBB1222_35:                            ;   in Loop: Header=BB1222_16 Depth=2
	global_load_dwordx2 v[0:1], v131, s[18:19]
.LBB1222_36:                            ;   in Loop: Header=BB1222_16 Depth=2
	s_or_b64 exec, exec, s[20:21]
	v_cmp_gt_u32_e32 vcc, s22, v32
                                        ; implicit-def: $sgpr24
                                        ; implicit-def: $vgpr64_vgpr65
	s_and_saveexec_b64 s[20:21], vcc
; %bb.37:                               ;   in Loop: Header=BB1222_16 Depth=2
	v_mov_b32_e32 v5, s19
	v_add_co_u32_e32 v64, vcc, s18, v132
	s_sub_i32 s24, s94, s88
	v_addc_co_u32_e32 v65, vcc, 0, v5, vcc
	s_or_b64 s[16:17], s[16:17], exec
                                        ; implicit-def: $vgpr62_vgpr63
; %bb.38:                               ;   in Loop: Header=BB1222_16 Depth=2
	s_or_b64 exec, exec, s[20:21]
	s_waitcnt vmcnt(0)
	v_pk_mov_b32 v[66:67], v[60:61], v[60:61] op_sel:[0,1]
	v_pk_mov_b32 v[68:69], v[58:59], v[58:59] op_sel:[0,1]
	v_pk_mov_b32 v[70:71], v[56:57], v[56:57] op_sel:[0,1]
	v_pk_mov_b32 v[72:73], v[54:55], v[54:55] op_sel:[0,1]
	v_pk_mov_b32 v[82:83], v[52:53], v[52:53] op_sel:[0,1]
	v_pk_mov_b32 v[78:79], v[50:51], v[50:51] op_sel:[0,1]
	v_pk_mov_b32 v[74:75], v[48:49], v[48:49] op_sel:[0,1]
	v_pk_mov_b32 v[76:77], v[46:47], v[46:47] op_sel:[0,1]
	v_pk_mov_b32 v[80:81], v[44:45], v[44:45] op_sel:[0,1]
	v_pk_mov_b32 v[86:87], v[42:43], v[42:43] op_sel:[0,1]
	v_pk_mov_b32 v[84:85], v[40:41], v[40:41] op_sel:[0,1]
	v_pk_mov_b32 v[88:89], v[38:39], v[38:39] op_sel:[0,1]
	v_pk_mov_b32 v[90:91], v[36:37], v[36:37] op_sel:[0,1]
	v_pk_mov_b32 v[92:93], v[34:35], v[34:35] op_sel:[0,1]
	v_pk_mov_b32 v[94:95], v[0:1], v[0:1] op_sel:[0,1]
	v_mov_b32_e32 v5, s22
	s_and_saveexec_b64 s[18:19], s[16:17]
	s_cbranch_execz .LBB1222_40
.LBB1222_39:                            ;   in Loop: Header=BB1222_16 Depth=2
	global_load_dwordx2 v[62:63], v[64:65], off
	v_mov_b32_e32 v5, s24
	s_waitcnt vmcnt(1)
	v_pk_mov_b32 v[0:1], v[94:95], v[94:95] op_sel:[0,1]
	v_pk_mov_b32 v[34:35], v[92:93], v[92:93] op_sel:[0,1]
	;; [unrolled: 1-line block ×15, first 2 shown]
.LBB1222_40:                            ;   in Loop: Header=BB1222_16 Depth=2
	s_or_b64 exec, exec, s[18:19]
	v_cmp_lt_u32_e32 vcc, v2, v5
	s_and_saveexec_b64 s[16:17], vcc
	s_cbranch_execz .LBB1222_56
; %bb.41:                               ;   in Loop: Header=BB1222_16 Depth=2
	v_cmp_lt_i64_e32 vcc, -1, v[60:61]
	v_cndmask_b32_e32 v64, -1, v133, vcc
	s_waitcnt vmcnt(14)
	v_ashrrev_i32_e32 v66, 31, v61
	v_xor_b32_e32 v65, v64, v61
	v_xor_b32_e32 v64, v66, v60
	v_cmp_ne_u64_e32 vcc, s[78:79], v[64:65]
	v_cndmask_b32_e32 v65, v133, v65, vcc
	v_cndmask_b32_e32 v64, 0, v64, vcc
	v_lshrrev_b64 v[64:65], s33, v[64:65]
	v_and_b32_e32 v64, s69, v64
	v_lshl_or_b32 v64, v64, 4, v134
	ds_add_u32 v64, v117
	s_or_b64 exec, exec, s[16:17]
	v_cmp_lt_u32_e32 vcc, v7, v5
	s_and_saveexec_b64 s[16:17], vcc
	s_cbranch_execnz .LBB1222_57
.LBB1222_42:                            ;   in Loop: Header=BB1222_16 Depth=2
	s_or_b64 exec, exec, s[16:17]
	v_cmp_lt_u32_e32 vcc, v6, v5
	s_and_saveexec_b64 s[16:17], vcc
	s_cbranch_execz .LBB1222_58
.LBB1222_43:                            ;   in Loop: Header=BB1222_16 Depth=2
	v_cmp_lt_i64_e32 vcc, -1, v[56:57]
	v_cndmask_b32_e32 v64, -1, v133, vcc
	s_waitcnt vmcnt(14)
	v_ashrrev_i32_e32 v66, 31, v57
	v_xor_b32_e32 v65, v64, v57
	v_xor_b32_e32 v64, v66, v56
	v_cmp_ne_u64_e32 vcc, s[78:79], v[64:65]
	v_cndmask_b32_e32 v65, v133, v65, vcc
	v_cndmask_b32_e32 v64, 0, v64, vcc
	v_lshrrev_b64 v[64:65], s33, v[64:65]
	v_and_b32_e32 v64, s69, v64
	v_lshl_or_b32 v64, v64, 4, v134
	ds_add_u32 v64, v117
	s_or_b64 exec, exec, s[16:17]
	v_cmp_lt_u32_e32 vcc, v8, v5
	s_and_saveexec_b64 s[16:17], vcc
	s_cbranch_execnz .LBB1222_59
.LBB1222_44:                            ;   in Loop: Header=BB1222_16 Depth=2
	s_or_b64 exec, exec, s[16:17]
	v_cmp_lt_u32_e32 vcc, v10, v5
	s_and_saveexec_b64 s[16:17], vcc
	s_cbranch_execz .LBB1222_60
.LBB1222_45:                            ;   in Loop: Header=BB1222_16 Depth=2
	v_cmp_lt_i64_e32 vcc, -1, v[52:53]
	v_cndmask_b32_e32 v64, -1, v133, vcc
	s_waitcnt vmcnt(14)
	v_ashrrev_i32_e32 v66, 31, v53
	v_xor_b32_e32 v65, v64, v53
	v_xor_b32_e32 v64, v66, v52
	v_cmp_ne_u64_e32 vcc, s[78:79], v[64:65]
	v_cndmask_b32_e32 v65, v133, v65, vcc
	v_cndmask_b32_e32 v64, 0, v64, vcc
	v_lshrrev_b64 v[64:65], s33, v[64:65]
	v_and_b32_e32 v64, s69, v64
	v_lshl_or_b32 v64, v64, 4, v134
	ds_add_u32 v64, v117
	s_or_b64 exec, exec, s[16:17]
	v_cmp_lt_u32_e32 vcc, v12, v5
	s_and_saveexec_b64 s[16:17], vcc
	s_cbranch_execnz .LBB1222_61
.LBB1222_46:                            ;   in Loop: Header=BB1222_16 Depth=2
	s_or_b64 exec, exec, s[16:17]
	v_cmp_lt_u32_e32 vcc, v14, v5
	s_and_saveexec_b64 s[16:17], vcc
	s_cbranch_execz .LBB1222_62
.LBB1222_47:                            ;   in Loop: Header=BB1222_16 Depth=2
	v_cmp_lt_i64_e32 vcc, -1, v[48:49]
	v_cndmask_b32_e32 v64, -1, v133, vcc
	s_waitcnt vmcnt(14)
	v_ashrrev_i32_e32 v66, 31, v49
	v_xor_b32_e32 v65, v64, v49
	v_xor_b32_e32 v64, v66, v48
	v_cmp_ne_u64_e32 vcc, s[78:79], v[64:65]
	v_cndmask_b32_e32 v65, v133, v65, vcc
	v_cndmask_b32_e32 v64, 0, v64, vcc
	v_lshrrev_b64 v[64:65], s33, v[64:65]
	v_and_b32_e32 v64, s69, v64
	v_lshl_or_b32 v64, v64, 4, v134
	ds_add_u32 v64, v117
	s_or_b64 exec, exec, s[16:17]
	v_cmp_lt_u32_e32 vcc, v16, v5
	s_and_saveexec_b64 s[16:17], vcc
	s_cbranch_execnz .LBB1222_63
.LBB1222_48:                            ;   in Loop: Header=BB1222_16 Depth=2
	s_or_b64 exec, exec, s[16:17]
	v_cmp_lt_u32_e32 vcc, v18, v5
	s_and_saveexec_b64 s[16:17], vcc
	s_cbranch_execz .LBB1222_64
.LBB1222_49:                            ;   in Loop: Header=BB1222_16 Depth=2
	v_cmp_lt_i64_e32 vcc, -1, v[44:45]
	v_cndmask_b32_e32 v64, -1, v133, vcc
	s_waitcnt vmcnt(14)
	v_ashrrev_i32_e32 v66, 31, v45
	v_xor_b32_e32 v65, v64, v45
	v_xor_b32_e32 v64, v66, v44
	v_cmp_ne_u64_e32 vcc, s[78:79], v[64:65]
	v_cndmask_b32_e32 v65, v133, v65, vcc
	v_cndmask_b32_e32 v64, 0, v64, vcc
	v_lshrrev_b64 v[64:65], s33, v[64:65]
	v_and_b32_e32 v64, s69, v64
	v_lshl_or_b32 v64, v64, 4, v134
	ds_add_u32 v64, v117
	s_or_b64 exec, exec, s[16:17]
	v_cmp_lt_u32_e32 vcc, v20, v5
	s_and_saveexec_b64 s[16:17], vcc
	s_cbranch_execnz .LBB1222_65
.LBB1222_50:                            ;   in Loop: Header=BB1222_16 Depth=2
	s_or_b64 exec, exec, s[16:17]
	v_cmp_lt_u32_e32 vcc, v22, v5
	s_and_saveexec_b64 s[16:17], vcc
	s_cbranch_execz .LBB1222_66
.LBB1222_51:                            ;   in Loop: Header=BB1222_16 Depth=2
	v_cmp_lt_i64_e32 vcc, -1, v[40:41]
	v_cndmask_b32_e32 v64, -1, v133, vcc
	s_waitcnt vmcnt(14)
	v_ashrrev_i32_e32 v66, 31, v41
	v_xor_b32_e32 v65, v64, v41
	v_xor_b32_e32 v64, v66, v40
	v_cmp_ne_u64_e32 vcc, s[78:79], v[64:65]
	v_cndmask_b32_e32 v65, v133, v65, vcc
	v_cndmask_b32_e32 v64, 0, v64, vcc
	v_lshrrev_b64 v[64:65], s33, v[64:65]
	v_and_b32_e32 v64, s69, v64
	v_lshl_or_b32 v64, v64, 4, v134
	ds_add_u32 v64, v117
	s_or_b64 exec, exec, s[16:17]
	v_cmp_lt_u32_e32 vcc, v24, v5
	s_and_saveexec_b64 s[16:17], vcc
	s_cbranch_execnz .LBB1222_67
.LBB1222_52:                            ;   in Loop: Header=BB1222_16 Depth=2
	s_or_b64 exec, exec, s[16:17]
	v_cmp_lt_u32_e32 vcc, v26, v5
	s_and_saveexec_b64 s[16:17], vcc
	s_cbranch_execz .LBB1222_68
.LBB1222_53:                            ;   in Loop: Header=BB1222_16 Depth=2
	v_cmp_lt_i64_e32 vcc, -1, v[36:37]
	v_cndmask_b32_e32 v64, -1, v133, vcc
	s_waitcnt vmcnt(14)
	v_ashrrev_i32_e32 v66, 31, v37
	v_xor_b32_e32 v65, v64, v37
	v_xor_b32_e32 v64, v66, v36
	v_cmp_ne_u64_e32 vcc, s[78:79], v[64:65]
	v_cndmask_b32_e32 v65, v133, v65, vcc
	v_cndmask_b32_e32 v64, 0, v64, vcc
	v_lshrrev_b64 v[64:65], s33, v[64:65]
	v_and_b32_e32 v64, s69, v64
	v_lshl_or_b32 v64, v64, 4, v134
	ds_add_u32 v64, v117
	s_or_b64 exec, exec, s[16:17]
	v_cmp_lt_u32_e32 vcc, v28, v5
	s_and_saveexec_b64 s[16:17], vcc
	s_cbranch_execnz .LBB1222_69
.LBB1222_54:                            ;   in Loop: Header=BB1222_16 Depth=2
	s_or_b64 exec, exec, s[16:17]
	v_cmp_lt_u32_e32 vcc, v30, v5
	s_and_saveexec_b64 s[16:17], vcc
	s_cbranch_execz .LBB1222_70
.LBB1222_55:                            ;   in Loop: Header=BB1222_16 Depth=2
	v_cmp_lt_i64_e32 vcc, -1, v[0:1]
	v_cndmask_b32_e32 v64, -1, v133, vcc
	s_waitcnt vmcnt(14)
	v_ashrrev_i32_e32 v66, 31, v1
	v_xor_b32_e32 v65, v64, v1
	v_xor_b32_e32 v64, v66, v0
	v_cmp_ne_u64_e32 vcc, s[78:79], v[64:65]
	v_cndmask_b32_e32 v65, v133, v65, vcc
	v_cndmask_b32_e32 v64, 0, v64, vcc
	v_lshrrev_b64 v[64:65], s33, v[64:65]
	v_and_b32_e32 v64, s69, v64
	v_lshl_or_b32 v64, v64, 4, v134
	ds_add_u32 v64, v117
	s_or_b64 exec, exec, s[16:17]
	v_cmp_lt_u32_e32 vcc, v32, v5
	s_and_saveexec_b64 s[16:17], vcc
	s_cbranch_execz .LBB1222_15
	s_branch .LBB1222_71
.LBB1222_56:                            ;   in Loop: Header=BB1222_16 Depth=2
	s_or_b64 exec, exec, s[16:17]
	v_cmp_lt_u32_e32 vcc, v7, v5
	s_and_saveexec_b64 s[16:17], vcc
	s_cbranch_execz .LBB1222_42
.LBB1222_57:                            ;   in Loop: Header=BB1222_16 Depth=2
	v_cmp_lt_i64_e32 vcc, -1, v[58:59]
	v_cndmask_b32_e32 v64, -1, v133, vcc
	s_waitcnt vmcnt(14)
	v_ashrrev_i32_e32 v66, 31, v59
	v_xor_b32_e32 v65, v64, v59
	v_xor_b32_e32 v64, v66, v58
	v_cmp_ne_u64_e32 vcc, s[78:79], v[64:65]
	v_cndmask_b32_e32 v65, v133, v65, vcc
	v_cndmask_b32_e32 v64, 0, v64, vcc
	v_lshrrev_b64 v[64:65], s33, v[64:65]
	v_and_b32_e32 v64, s69, v64
	v_lshl_or_b32 v64, v64, 4, v134
	ds_add_u32 v64, v117
	s_or_b64 exec, exec, s[16:17]
	v_cmp_lt_u32_e32 vcc, v6, v5
	s_and_saveexec_b64 s[16:17], vcc
	s_cbranch_execnz .LBB1222_43
.LBB1222_58:                            ;   in Loop: Header=BB1222_16 Depth=2
	s_or_b64 exec, exec, s[16:17]
	v_cmp_lt_u32_e32 vcc, v8, v5
	s_and_saveexec_b64 s[16:17], vcc
	s_cbranch_execz .LBB1222_44
.LBB1222_59:                            ;   in Loop: Header=BB1222_16 Depth=2
	v_cmp_lt_i64_e32 vcc, -1, v[54:55]
	v_cndmask_b32_e32 v64, -1, v133, vcc
	s_waitcnt vmcnt(14)
	v_ashrrev_i32_e32 v66, 31, v55
	v_xor_b32_e32 v65, v64, v55
	v_xor_b32_e32 v64, v66, v54
	v_cmp_ne_u64_e32 vcc, s[78:79], v[64:65]
	v_cndmask_b32_e32 v65, v133, v65, vcc
	v_cndmask_b32_e32 v64, 0, v64, vcc
	v_lshrrev_b64 v[64:65], s33, v[64:65]
	v_and_b32_e32 v64, s69, v64
	v_lshl_or_b32 v64, v64, 4, v134
	ds_add_u32 v64, v117
	s_or_b64 exec, exec, s[16:17]
	v_cmp_lt_u32_e32 vcc, v10, v5
	s_and_saveexec_b64 s[16:17], vcc
	s_cbranch_execnz .LBB1222_45
.LBB1222_60:                            ;   in Loop: Header=BB1222_16 Depth=2
	s_or_b64 exec, exec, s[16:17]
	v_cmp_lt_u32_e32 vcc, v12, v5
	s_and_saveexec_b64 s[16:17], vcc
	s_cbranch_execz .LBB1222_46
.LBB1222_61:                            ;   in Loop: Header=BB1222_16 Depth=2
	v_cmp_lt_i64_e32 vcc, -1, v[50:51]
	v_cndmask_b32_e32 v64, -1, v133, vcc
	s_waitcnt vmcnt(14)
	v_ashrrev_i32_e32 v66, 31, v51
	v_xor_b32_e32 v65, v64, v51
	v_xor_b32_e32 v64, v66, v50
	v_cmp_ne_u64_e32 vcc, s[78:79], v[64:65]
	v_cndmask_b32_e32 v65, v133, v65, vcc
	v_cndmask_b32_e32 v64, 0, v64, vcc
	v_lshrrev_b64 v[64:65], s33, v[64:65]
	v_and_b32_e32 v64, s69, v64
	v_lshl_or_b32 v64, v64, 4, v134
	ds_add_u32 v64, v117
	s_or_b64 exec, exec, s[16:17]
	v_cmp_lt_u32_e32 vcc, v14, v5
	s_and_saveexec_b64 s[16:17], vcc
	s_cbranch_execnz .LBB1222_47
.LBB1222_62:                            ;   in Loop: Header=BB1222_16 Depth=2
	s_or_b64 exec, exec, s[16:17]
	v_cmp_lt_u32_e32 vcc, v16, v5
	s_and_saveexec_b64 s[16:17], vcc
	s_cbranch_execz .LBB1222_48
.LBB1222_63:                            ;   in Loop: Header=BB1222_16 Depth=2
	v_cmp_lt_i64_e32 vcc, -1, v[46:47]
	v_cndmask_b32_e32 v64, -1, v133, vcc
	s_waitcnt vmcnt(14)
	v_ashrrev_i32_e32 v66, 31, v47
	v_xor_b32_e32 v65, v64, v47
	v_xor_b32_e32 v64, v66, v46
	v_cmp_ne_u64_e32 vcc, s[78:79], v[64:65]
	v_cndmask_b32_e32 v65, v133, v65, vcc
	v_cndmask_b32_e32 v64, 0, v64, vcc
	v_lshrrev_b64 v[64:65], s33, v[64:65]
	v_and_b32_e32 v64, s69, v64
	v_lshl_or_b32 v64, v64, 4, v134
	ds_add_u32 v64, v117
	s_or_b64 exec, exec, s[16:17]
	v_cmp_lt_u32_e32 vcc, v18, v5
	s_and_saveexec_b64 s[16:17], vcc
	s_cbranch_execnz .LBB1222_49
.LBB1222_64:                            ;   in Loop: Header=BB1222_16 Depth=2
	s_or_b64 exec, exec, s[16:17]
	v_cmp_lt_u32_e32 vcc, v20, v5
	s_and_saveexec_b64 s[16:17], vcc
	s_cbranch_execz .LBB1222_50
.LBB1222_65:                            ;   in Loop: Header=BB1222_16 Depth=2
	v_cmp_lt_i64_e32 vcc, -1, v[42:43]
	v_cndmask_b32_e32 v64, -1, v133, vcc
	s_waitcnt vmcnt(14)
	v_ashrrev_i32_e32 v66, 31, v43
	v_xor_b32_e32 v65, v64, v43
	v_xor_b32_e32 v64, v66, v42
	v_cmp_ne_u64_e32 vcc, s[78:79], v[64:65]
	v_cndmask_b32_e32 v65, v133, v65, vcc
	v_cndmask_b32_e32 v64, 0, v64, vcc
	v_lshrrev_b64 v[64:65], s33, v[64:65]
	v_and_b32_e32 v64, s69, v64
	v_lshl_or_b32 v64, v64, 4, v134
	ds_add_u32 v64, v117
	s_or_b64 exec, exec, s[16:17]
	v_cmp_lt_u32_e32 vcc, v22, v5
	s_and_saveexec_b64 s[16:17], vcc
	s_cbranch_execnz .LBB1222_51
.LBB1222_66:                            ;   in Loop: Header=BB1222_16 Depth=2
	s_or_b64 exec, exec, s[16:17]
	v_cmp_lt_u32_e32 vcc, v24, v5
	s_and_saveexec_b64 s[16:17], vcc
	s_cbranch_execz .LBB1222_52
.LBB1222_67:                            ;   in Loop: Header=BB1222_16 Depth=2
	v_cmp_lt_i64_e32 vcc, -1, v[38:39]
	v_cndmask_b32_e32 v64, -1, v133, vcc
	s_waitcnt vmcnt(14)
	v_ashrrev_i32_e32 v66, 31, v39
	v_xor_b32_e32 v65, v64, v39
	v_xor_b32_e32 v64, v66, v38
	v_cmp_ne_u64_e32 vcc, s[78:79], v[64:65]
	v_cndmask_b32_e32 v65, v133, v65, vcc
	v_cndmask_b32_e32 v64, 0, v64, vcc
	v_lshrrev_b64 v[64:65], s33, v[64:65]
	v_and_b32_e32 v64, s69, v64
	v_lshl_or_b32 v64, v64, 4, v134
	ds_add_u32 v64, v117
	s_or_b64 exec, exec, s[16:17]
	v_cmp_lt_u32_e32 vcc, v26, v5
	s_and_saveexec_b64 s[16:17], vcc
	s_cbranch_execnz .LBB1222_53
.LBB1222_68:                            ;   in Loop: Header=BB1222_16 Depth=2
	s_or_b64 exec, exec, s[16:17]
	v_cmp_lt_u32_e32 vcc, v28, v5
	s_and_saveexec_b64 s[16:17], vcc
	s_cbranch_execz .LBB1222_54
.LBB1222_69:                            ;   in Loop: Header=BB1222_16 Depth=2
	v_cmp_lt_i64_e32 vcc, -1, v[34:35]
	v_cndmask_b32_e32 v64, -1, v133, vcc
	s_waitcnt vmcnt(14)
	v_ashrrev_i32_e32 v66, 31, v35
	v_xor_b32_e32 v65, v64, v35
	v_xor_b32_e32 v64, v66, v34
	v_cmp_ne_u64_e32 vcc, s[78:79], v[64:65]
	v_cndmask_b32_e32 v65, v133, v65, vcc
	v_cndmask_b32_e32 v64, 0, v64, vcc
	v_lshrrev_b64 v[64:65], s33, v[64:65]
	v_and_b32_e32 v64, s69, v64
	v_lshl_or_b32 v64, v64, 4, v134
	ds_add_u32 v64, v117
	s_or_b64 exec, exec, s[16:17]
	v_cmp_lt_u32_e32 vcc, v30, v5
	s_and_saveexec_b64 s[16:17], vcc
	s_cbranch_execnz .LBB1222_55
.LBB1222_70:                            ;   in Loop: Header=BB1222_16 Depth=2
	s_or_b64 exec, exec, s[16:17]
	v_cmp_lt_u32_e32 vcc, v32, v5
	s_and_saveexec_b64 s[16:17], vcc
	s_cbranch_execz .LBB1222_15
.LBB1222_71:                            ;   in Loop: Header=BB1222_16 Depth=2
	s_waitcnt vmcnt(0)
	v_cmp_lt_i64_e32 vcc, -1, v[62:63]
	v_cndmask_b32_e32 v5, -1, v133, vcc
	v_ashrrev_i32_e32 v64, 31, v63
	v_xor_b32_e32 v65, v5, v63
	v_xor_b32_e32 v64, v64, v62
	v_cmp_ne_u64_e32 vcc, s[78:79], v[64:65]
	v_cndmask_b32_e32 v65, v133, v65, vcc
	v_cndmask_b32_e32 v64, 0, v64, vcc
	v_lshrrev_b64 v[64:65], s33, v[64:65]
	v_and_b32_e32 v5, s69, v64
	v_lshl_or_b32 v5, v5, 4, v134
	ds_add_u32 v5, v117
	s_branch .LBB1222_15
.LBB1222_72:                            ;   in Loop: Header=BB1222_16 Depth=2
	s_or_b64 exec, exec, s[20:21]
	v_cmp_gt_u32_e32 vcc, s22, v7
	s_and_saveexec_b64 s[20:21], vcc
	s_cbranch_execz .LBB1222_22
.LBB1222_73:                            ;   in Loop: Header=BB1222_16 Depth=2
	global_load_dwordx2 v[58:59], v118, s[18:19] offset:2048
	s_or_b64 exec, exec, s[20:21]
	v_cmp_gt_u32_e32 vcc, s22, v6
	s_and_saveexec_b64 s[20:21], vcc
	s_cbranch_execnz .LBB1222_23
.LBB1222_74:                            ;   in Loop: Header=BB1222_16 Depth=2
	s_or_b64 exec, exec, s[20:21]
	v_cmp_gt_u32_e32 vcc, s22, v8
	s_and_saveexec_b64 s[20:21], vcc
	s_cbranch_execz .LBB1222_24
.LBB1222_75:                            ;   in Loop: Header=BB1222_16 Depth=2
	global_load_dwordx2 v[54:55], v120, s[18:19]
	s_or_b64 exec, exec, s[20:21]
	v_cmp_gt_u32_e32 vcc, s22, v10
	s_and_saveexec_b64 s[20:21], vcc
	s_cbranch_execnz .LBB1222_25
.LBB1222_76:                            ;   in Loop: Header=BB1222_16 Depth=2
	s_or_b64 exec, exec, s[20:21]
	v_cmp_gt_u32_e32 vcc, s22, v12
	s_and_saveexec_b64 s[20:21], vcc
	s_cbranch_execz .LBB1222_26
.LBB1222_77:                            ;   in Loop: Header=BB1222_16 Depth=2
	global_load_dwordx2 v[50:51], v122, s[18:19]
	s_or_b64 exec, exec, s[20:21]
	v_cmp_gt_u32_e32 vcc, s22, v14
	s_and_saveexec_b64 s[20:21], vcc
	s_cbranch_execnz .LBB1222_27
.LBB1222_78:                            ;   in Loop: Header=BB1222_16 Depth=2
	s_or_b64 exec, exec, s[20:21]
	v_cmp_gt_u32_e32 vcc, s22, v16
	s_and_saveexec_b64 s[20:21], vcc
	s_cbranch_execz .LBB1222_28
.LBB1222_79:                            ;   in Loop: Header=BB1222_16 Depth=2
	global_load_dwordx2 v[46:47], v124, s[18:19]
	s_or_b64 exec, exec, s[20:21]
	v_cmp_gt_u32_e32 vcc, s22, v18
	s_and_saveexec_b64 s[20:21], vcc
	s_cbranch_execnz .LBB1222_29
.LBB1222_80:                            ;   in Loop: Header=BB1222_16 Depth=2
	s_or_b64 exec, exec, s[20:21]
	v_cmp_gt_u32_e32 vcc, s22, v20
	s_and_saveexec_b64 s[20:21], vcc
	s_cbranch_execz .LBB1222_30
.LBB1222_81:                            ;   in Loop: Header=BB1222_16 Depth=2
	global_load_dwordx2 v[42:43], v126, s[18:19]
	s_or_b64 exec, exec, s[20:21]
	v_cmp_gt_u32_e32 vcc, s22, v22
	s_and_saveexec_b64 s[20:21], vcc
	s_cbranch_execnz .LBB1222_31
.LBB1222_82:                            ;   in Loop: Header=BB1222_16 Depth=2
	s_or_b64 exec, exec, s[20:21]
	v_cmp_gt_u32_e32 vcc, s22, v24
	s_and_saveexec_b64 s[20:21], vcc
	s_cbranch_execz .LBB1222_32
.LBB1222_83:                            ;   in Loop: Header=BB1222_16 Depth=2
	global_load_dwordx2 v[38:39], v128, s[18:19]
	s_or_b64 exec, exec, s[20:21]
	v_cmp_gt_u32_e32 vcc, s22, v26
	s_and_saveexec_b64 s[20:21], vcc
	s_cbranch_execnz .LBB1222_33
.LBB1222_84:                            ;   in Loop: Header=BB1222_16 Depth=2
	s_or_b64 exec, exec, s[20:21]
	v_cmp_gt_u32_e32 vcc, s22, v28
	s_and_saveexec_b64 s[20:21], vcc
	s_cbranch_execz .LBB1222_34
.LBB1222_85:                            ;   in Loop: Header=BB1222_16 Depth=2
	global_load_dwordx2 v[34:35], v130, s[18:19]
	s_or_b64 exec, exec, s[20:21]
	v_cmp_gt_u32_e32 vcc, s22, v30
	s_and_saveexec_b64 s[20:21], vcc
	s_cbranch_execz .LBB1222_36
	s_branch .LBB1222_35
.LBB1222_86:                            ;   in Loop: Header=BB1222_12 Depth=1
	v_mov_b32_e32 v0, 0
	s_waitcnt lgkmcnt(0)
	s_barrier
	s_and_saveexec_b64 s[16:17], s[4:5]
	s_cbranch_execz .LBB1222_88
; %bb.87:                               ;   in Loop: Header=BB1222_12 Depth=1
	ds_read2_b64 v[34:37], v13 offset1:1
	s_waitcnt lgkmcnt(0)
	v_add_u32_e32 v0, v35, v34
	v_add3_u32 v0, v0, v36, v37
.LBB1222_88:                            ;   in Loop: Header=BB1222_12 Depth=1
	s_or_b64 exec, exec, s[16:17]
	s_nop 0
	v_mov_b32_dpp v1, v0 row_shr:1 row_mask:0xf bank_mask:0xf
	v_cmp_eq_u32_e64 s[16:17], 0, v136
	v_cndmask_b32_e64 v1, v1, 0, s[16:17]
	v_add_u32_e32 v0, v1, v0
	v_cmp_lt_u32_e64 s[18:19], 1, v136
	v_cmp_lt_u32_e64 s[20:21], 3, v136
	v_mov_b32_dpp v1, v0 row_shr:2 row_mask:0xf bank_mask:0xf
	v_cndmask_b32_e64 v1, 0, v1, s[18:19]
	v_add_u32_e32 v0, v0, v1
	v_cmp_lt_u32_e64 s[22:23], 7, v136
	v_cmp_lt_u32_e64 s[26:27], 31, v135
	v_mov_b32_dpp v1, v0 row_shr:4 row_mask:0xf bank_mask:0xf
	v_cndmask_b32_e64 v1, 0, v1, s[20:21]
	v_add_u32_e32 v0, v0, v1
	v_cmp_eq_u32_e64 s[24:25], 0, v138
	s_nop 0
	v_mov_b32_dpp v1, v0 row_shr:8 row_mask:0xf bank_mask:0xf
	v_cndmask_b32_e64 v1, 0, v1, s[22:23]
	v_add_u32_e32 v0, v0, v1
	s_nop 1
	v_mov_b32_dpp v1, v0 row_bcast:15 row_mask:0xf bank_mask:0xf
	v_and_b32_e32 v1, v137, v1
	v_add_u32_e32 v0, v0, v1
	s_nop 1
	v_mov_b32_dpp v1, v0 row_bcast:31 row_mask:0xf bank_mask:0xf
	v_cndmask_b32_e64 v1, 0, v1, s[26:27]
	v_add_u32_e32 v0, v0, v1
	s_and_saveexec_b64 s[28:29], s[6:7]
	v_readlane_b32 s38, v236, 2
	s_cbranch_execz .LBB1222_90
; %bb.89:                               ;   in Loop: Header=BB1222_12 Depth=1
	ds_write_b32 v17, v0
.LBB1222_90:                            ;   in Loop: Header=BB1222_12 Depth=1
	s_or_b64 exec, exec, s[28:29]
	s_waitcnt lgkmcnt(0)
	s_barrier
	s_and_saveexec_b64 s[28:29], s[8:9]
	s_cbranch_execz .LBB1222_92
; %bb.91:                               ;   in Loop: Header=BB1222_12 Depth=1
	ds_read_b32 v1, v19
	v_cmp_ne_u32_e32 vcc, 0, v139
	s_waitcnt lgkmcnt(0)
	v_mov_b32_dpp v5, v1 row_shr:1 row_mask:0xf bank_mask:0xf
	v_cndmask_b32_e32 v5, 0, v5, vcc
	v_add_u32_e32 v1, v5, v1
	v_cmp_lt_u32_e32 vcc, 1, v139
	s_nop 0
	v_mov_b32_dpp v5, v1 row_shr:2 row_mask:0xf bank_mask:0xf
	v_cndmask_b32_e32 v5, 0, v5, vcc
	v_add_u32_e32 v1, v1, v5
	ds_write_b32 v19, v1
.LBB1222_92:                            ;   in Loop: Header=BB1222_12 Depth=1
	s_or_b64 exec, exec, s[28:29]
	v_mov_b32_e32 v1, 0
	s_waitcnt lgkmcnt(0)
	s_barrier
	s_and_saveexec_b64 s[28:29], s[10:11]
	s_cbranch_execz .LBB1222_94
; %bb.93:                               ;   in Loop: Header=BB1222_12 Depth=1
	ds_read_b32 v1, v21
.LBB1222_94:                            ;   in Loop: Header=BB1222_12 Depth=1
	s_or_b64 exec, exec, s[28:29]
	v_cmp_lt_i32_e32 vcc, v140, v141
	v_cndmask_b32_e32 v5, v140, v135, vcc
	s_waitcnt lgkmcnt(0)
	v_add_u32_e32 v0, v1, v0
	v_lshlrev_b32_e32 v159, 2, v5
	ds_bpermute_b32 v0, v159, v0
	v_cmp_eq_u32_e64 s[28:29], 0, v135
	s_waitcnt lgkmcnt(0)
	s_barrier
	s_and_saveexec_b64 s[30:31], s[4:5]
	s_cbranch_execz .LBB1222_96
; %bb.95:                               ;   in Loop: Header=BB1222_12 Depth=1
	v_cndmask_b32_e64 v0, v0, v1, s[28:29]
	v_add_u32_e32 v0, s38, v0
	ds_write_b32 v3, v0
.LBB1222_96:                            ;   in Loop: Header=BB1222_12 Depth=1
	s_or_b64 exec, exec, s[30:31]
	s_load_dword s30, s[90:91], 0x4
	s_load_dword s36, s[90:91], 0xc
	v_readlane_b32 s31, v236, 0
	v_add_co_u32_e32 v160, vcc, v100, v142
	s_waitcnt lgkmcnt(0)
	s_cmp_lt_u32 s31, s30
	s_cselect_b32 s30, 14, 20
	s_add_u32 s30, s90, s30
	s_addc_u32 s31, s91, 0
	global_load_ushort v5, v4, s[30:31]
	v_addc_co_u32_e32 v161, vcc, 0, v101, vcc
	v_add_co_u32_e32 v162, vcc, v102, v142
	v_addc_co_u32_e32 v163, vcc, 0, v103, vcc
	s_and_b32 s36, s36, 0xffff
	v_add_co_u32_e32 v170, vcc, 0x1e00, v162
	v_cmp_eq_u32_e64 s[30:31], 0, v139
	v_cmp_lt_u32_e64 s[34:35], 1, v139
	s_mov_b32 s87, s85
	v_addc_co_u32_e32 v173, vcc, 0, v163, vcc
	s_mov_b32 s88, s38
                                        ; implicit-def: $vgpr0_vgpr1
                                        ; implicit-def: $vgpr34_vgpr35
                                        ; implicit-def: $vgpr38_vgpr39
                                        ; implicit-def: $vgpr42_vgpr43
                                        ; implicit-def: $vgpr46_vgpr47
                                        ; implicit-def: $vgpr50_vgpr51
                                        ; implicit-def: $vgpr54_vgpr55
                                        ; implicit-def: $vgpr58_vgpr59
                                        ; implicit-def: $vgpr36_vgpr37
                                        ; implicit-def: $vgpr40_vgpr41
                                        ; implicit-def: $vgpr44_vgpr45
                                        ; implicit-def: $vgpr48_vgpr49
                                        ; implicit-def: $vgpr52_vgpr53
                                        ; implicit-def: $vgpr56_vgpr57
                                        ; implicit-def: $vgpr60_vgpr61
                                        ; implicit-def: $vgpr62_vgpr63
                                        ; implicit-def: $vgpr164
                                        ; implicit-def: $vgpr165
                                        ; implicit-def: $vgpr166
                                        ; implicit-def: $vgpr167
                                        ; implicit-def: $vgpr168
                                        ; implicit-def: $vgpr169
                                        ; implicit-def: $vgpr171
                                        ; implicit-def: $vgpr172
                                        ; implicit-def: $vgpr174
                                        ; implicit-def: $vgpr175
                                        ; implicit-def: $vgpr176
                                        ; implicit-def: $vgpr177
                                        ; implicit-def: $vgpr179
                                        ; implicit-def: $vgpr180
                                        ; implicit-def: $vgpr181
                                        ; implicit-def: $vgpr182
	s_waitcnt vmcnt(0)
	v_mad_u32_u24 v5, v23, v5, v25
	v_mad_u64_u32 v[64:65], s[36:37], v5, s36, v[2:3]
	v_lshrrev_b32_e32 v178, 6, v64
	s_branch .LBB1222_98
.LBB1222_97:                            ;   in Loop: Header=BB1222_98 Depth=2
	s_or_b64 exec, exec, s[36:37]
	s_addk_i32 s87, 0xf000
	s_cmp_lt_u32 s86, s94
	s_mov_b32 s88, s86
	s_cbranch_scc0 .LBB1222_306
.LBB1222_98:                            ;   Parent Loop BB1222_12 Depth=1
                                        ; =>  This Inner Loop Header: Depth=2
	s_add_i32 s86, s88, 0x1000
	s_cmp_gt_u32 s86, s94
	s_cbranch_scc1 .LBB1222_100
; %bb.99:                               ;   in Loop: Header=BB1222_98 Depth=2
	s_lshl_b64 s[36:37], s[88:89], 3
	v_mov_b32_e32 v5, s37
	v_add_co_u32_e32 v68, vcc, s36, v162
	v_addc_co_u32_e32 v69, vcc, v163, v5, vcc
	global_load_dwordx2 v[64:65], v[68:69], off
	global_load_dwordx2 v[66:67], v[68:69], off offset:512
	global_load_dwordx2 v[74:75], v[68:69], off offset:1024
	;; [unrolled: 1-line block ×7, first 2 shown]
	v_add_co_u32_e32 v68, vcc, 0x1000, v68
	v_addc_co_u32_e32 v69, vcc, 0, v69, vcc
	global_load_dwordx2 v[92:93], v[68:69], off
	global_load_dwordx2 v[88:89], v[68:69], off offset:512
	global_load_dwordx2 v[84:85], v[68:69], off offset:1024
	;; [unrolled: 1-line block ×5, first 2 shown]
	s_nop 0
	global_load_dwordx2 v[68:69], v[68:69], off offset:3072
	s_movk_i32 s40, 0x1000
	s_mov_b64 s[36:37], -1
	s_cbranch_execz .LBB1222_101
	s_branch .LBB1222_132
.LBB1222_100:                           ;   in Loop: Header=BB1222_98 Depth=2
	s_mov_b64 s[36:37], 0
                                        ; implicit-def: $sgpr40
                                        ; implicit-def: $vgpr64_vgpr65
                                        ; implicit-def: $vgpr66_vgpr67
                                        ; implicit-def: $vgpr74_vgpr75
                                        ; implicit-def: $vgpr78_vgpr79
                                        ; implicit-def: $vgpr82_vgpr83
                                        ; implicit-def: $vgpr86_vgpr87
                                        ; implicit-def: $vgpr90_vgpr91
                                        ; implicit-def: $vgpr94_vgpr95
                                        ; implicit-def: $vgpr92_vgpr93
                                        ; implicit-def: $vgpr88_vgpr89
                                        ; implicit-def: $vgpr84_vgpr85
                                        ; implicit-def: $vgpr80_vgpr81
                                        ; implicit-def: $vgpr76_vgpr77
                                        ; implicit-def: $vgpr72_vgpr73
                                        ; implicit-def: $vgpr68_vgpr69
.LBB1222_101:                           ;   in Loop: Header=BB1222_98 Depth=2
	s_lshl_b64 s[36:37], s[88:89], 3
	v_mov_b32_e32 v5, s37
	v_add_co_u32_e32 v70, vcc, s36, v162
	v_addc_co_u32_e32 v71, vcc, v163, v5, vcc
	v_cmp_gt_u32_e32 vcc, s87, v143
	s_waitcnt vmcnt(14)
	v_pk_mov_b32 v[64:65], s[78:79], s[78:79] op_sel:[0,1]
	s_and_saveexec_b64 s[36:37], vcc
	s_cbranch_execz .LBB1222_103
; %bb.102:                              ;   in Loop: Header=BB1222_98 Depth=2
	global_load_dwordx2 v[64:65], v[70:71], off
.LBB1222_103:                           ;   in Loop: Header=BB1222_98 Depth=2
	s_or_b64 exec, exec, s[36:37]
	v_cmp_gt_u32_e32 vcc, s87, v144
	s_waitcnt vmcnt(13)
	v_pk_mov_b32 v[66:67], s[78:79], s[78:79] op_sel:[0,1]
	s_and_saveexec_b64 s[36:37], vcc
	s_cbranch_execz .LBB1222_105
; %bb.104:                              ;   in Loop: Header=BB1222_98 Depth=2
	global_load_dwordx2 v[66:67], v[70:71], off offset:512
.LBB1222_105:                           ;   in Loop: Header=BB1222_98 Depth=2
	s_or_b64 exec, exec, s[36:37]
	v_cmp_gt_u32_e32 vcc, s87, v145
	s_waitcnt vmcnt(12)
	v_pk_mov_b32 v[74:75], s[78:79], s[78:79] op_sel:[0,1]
	s_and_saveexec_b64 s[36:37], vcc
	s_cbranch_execz .LBB1222_107
; %bb.106:                              ;   in Loop: Header=BB1222_98 Depth=2
	global_load_dwordx2 v[74:75], v[70:71], off offset:1024
.LBB1222_107:                           ;   in Loop: Header=BB1222_98 Depth=2
	;; [unrolled: 9-line block ×7, first 2 shown]
	s_or_b64 exec, exec, s[36:37]
	v_cmp_gt_u32_e32 vcc, s87, v151
	s_waitcnt vmcnt(6)
	v_pk_mov_b32 v[92:93], s[78:79], s[78:79] op_sel:[0,1]
	s_and_saveexec_b64 s[36:37], vcc
	s_cbranch_execz .LBB1222_119
; %bb.118:                              ;   in Loop: Header=BB1222_98 Depth=2
	s_waitcnt vmcnt(0)
	v_add_co_u32_e32 v68, vcc, 0x1000, v70
	v_addc_co_u32_e32 v69, vcc, 0, v71, vcc
	global_load_dwordx2 v[92:93], v[68:69], off
.LBB1222_119:                           ;   in Loop: Header=BB1222_98 Depth=2
	s_or_b64 exec, exec, s[36:37]
	v_cmp_gt_u32_e32 vcc, s87, v152
	s_waitcnt vmcnt(5)
	v_pk_mov_b32 v[88:89], s[78:79], s[78:79] op_sel:[0,1]
	s_and_saveexec_b64 s[36:37], vcc
	s_cbranch_execz .LBB1222_121
; %bb.120:                              ;   in Loop: Header=BB1222_98 Depth=2
	s_waitcnt vmcnt(0)
	v_add_co_u32_e32 v68, vcc, 0x1000, v70
	v_addc_co_u32_e32 v69, vcc, 0, v71, vcc
	global_load_dwordx2 v[88:89], v[68:69], off offset:512
.LBB1222_121:                           ;   in Loop: Header=BB1222_98 Depth=2
	s_or_b64 exec, exec, s[36:37]
	v_cmp_gt_u32_e32 vcc, s87, v153
	s_waitcnt vmcnt(4)
	v_pk_mov_b32 v[84:85], s[78:79], s[78:79] op_sel:[0,1]
	s_and_saveexec_b64 s[36:37], vcc
	s_cbranch_execz .LBB1222_123
; %bb.122:                              ;   in Loop: Header=BB1222_98 Depth=2
	s_waitcnt vmcnt(0)
	v_add_co_u32_e32 v68, vcc, 0x1000, v70
	v_addc_co_u32_e32 v69, vcc, 0, v71, vcc
	global_load_dwordx2 v[84:85], v[68:69], off offset:1024
.LBB1222_123:                           ;   in Loop: Header=BB1222_98 Depth=2
	;; [unrolled: 12-line block ×5, first 2 shown]
	s_or_b64 exec, exec, s[36:37]
	v_cmp_gt_u32_e32 vcc, s87, v157
	s_waitcnt vmcnt(0)
	v_pk_mov_b32 v[68:69], s[78:79], s[78:79] op_sel:[0,1]
	s_and_saveexec_b64 s[36:37], vcc
	s_cbranch_execz .LBB1222_131
; %bb.130:                              ;   in Loop: Header=BB1222_98 Depth=2
	v_add_co_u32_e32 v68, vcc, 0x1000, v70
	v_addc_co_u32_e32 v69, vcc, 0, v71, vcc
	global_load_dwordx2 v[68:69], v[68:69], off offset:3072
.LBB1222_131:                           ;   in Loop: Header=BB1222_98 Depth=2
	s_or_b64 exec, exec, s[36:37]
	s_sub_i32 s40, s94, s88
	v_cmp_gt_u32_e64 s[36:37], s87, v158
.LBB1222_132:                           ;   in Loop: Header=BB1222_98 Depth=2
	v_pk_mov_b32 v[70:71], s[78:79], s[78:79] op_sel:[0,1]
	v_mov_b32_e32 v183, s87
	s_and_saveexec_b64 s[38:39], s[36:37]
	s_cbranch_execz .LBB1222_134
; %bb.133:                              ;   in Loop: Header=BB1222_98 Depth=2
	s_lshl_b64 s[36:37], s[88:89], 3
	v_mov_b32_e32 v5, s37
	v_add_co_u32_e32 v70, vcc, s36, v170
	v_addc_co_u32_e32 v71, vcc, v173, v5, vcc
	global_load_dwordx2 v[70:71], v[70:71], off
	v_mov_b32_e32 v183, s40
.LBB1222_134:                           ;   in Loop: Header=BB1222_98 Depth=2
	s_or_b64 exec, exec, s[38:39]
	s_waitcnt vmcnt(14)
	v_cmp_lt_i64_e32 vcc, -1, v[64:65]
	v_cndmask_b32_e32 v5, -1, v133, vcc
	v_ashrrev_i32_e32 v96, 31, v65
	v_xor_b32_e32 v65, v5, v65
	v_xor_b32_e32 v64, v96, v64
	v_cmp_ne_u64_e32 vcc, s[78:79], v[64:65]
	v_cndmask_b32_e32 v97, v133, v65, vcc
	v_cndmask_b32_e32 v96, 0, v64, vcc
	v_lshrrev_b64 v[96:97], s33, v[96:97]
	v_add_u32_e32 v5, 0x410, v27
	v_and_b32_e32 v96, s69, v96
	ds_write2_b32 v5, v4, v4 offset1:1
	ds_write2_b32 v31, v4, v4 offset0:2 offset1:3
	ds_write_b32 v31, v4 offset:16
	v_mad_u32_u24 v5, v96, 5, v178
	v_lshl_add_u32 v184, v5, 2, v29
	v_and_b32_e32 v5, 1, v96
	v_add_co_u32_e32 v97, vcc, -1, v5
	v_addc_co_u32_e64 v98, s[36:37], 0, -1, vcc
	v_cmp_ne_u32_e32 vcc, 0, v5
	v_xor_b32_e32 v5, vcc_hi, v98
	v_and_b32_e32 v98, exec_hi, v5
	v_lshlrev_b32_e32 v5, 30, v96
	v_xor_b32_e32 v97, vcc_lo, v97
	v_cmp_gt_i64_e32 vcc, 0, v[4:5]
	v_not_b32_e32 v5, v5
	v_ashrrev_i32_e32 v5, 31, v5
	v_and_b32_e32 v97, exec_lo, v97
	v_xor_b32_e32 v99, vcc_hi, v5
	v_xor_b32_e32 v5, vcc_lo, v5
	v_and_b32_e32 v97, v97, v5
	v_lshlrev_b32_e32 v5, 29, v96
	v_cmp_gt_i64_e32 vcc, 0, v[4:5]
	v_not_b32_e32 v5, v5
	v_ashrrev_i32_e32 v5, 31, v5
	v_and_b32_e32 v98, v98, v99
	v_xor_b32_e32 v99, vcc_hi, v5
	v_xor_b32_e32 v5, vcc_lo, v5
	v_and_b32_e32 v97, v97, v5
	v_lshlrev_b32_e32 v5, 28, v96
	v_cmp_gt_i64_e32 vcc, 0, v[4:5]
	v_not_b32_e32 v5, v5
	v_ashrrev_i32_e32 v5, 31, v5
	v_and_b32_e32 v98, v98, v99
	;; [unrolled: 8-line block ×5, first 2 shown]
	v_xor_b32_e32 v99, vcc_hi, v5
	v_xor_b32_e32 v5, vcc_lo, v5
	v_and_b32_e32 v98, v98, v99
	v_and_b32_e32 v99, v97, v5
	v_lshlrev_b32_e32 v5, 24, v96
	v_cmp_gt_i64_e32 vcc, 0, v[4:5]
	v_not_b32_e32 v5, v5
	v_ashrrev_i32_e32 v5, 31, v5
	v_xor_b32_e32 v96, vcc_hi, v5
	v_xor_b32_e32 v5, vcc_lo, v5
	v_and_b32_e32 v97, v98, v96
	v_and_b32_e32 v96, v99, v5
	v_mbcnt_lo_u32_b32 v5, v96, 0
	v_mbcnt_hi_u32_b32 v185, v97, v5
	v_cmp_eq_u32_e32 vcc, 0, v185
	v_cmp_ne_u64_e64 s[36:37], 0, v[96:97]
	s_and_b64 s[38:39], s[36:37], vcc
	s_waitcnt lgkmcnt(0)
	s_barrier
	s_waitcnt lgkmcnt(0)
	; wave barrier
	s_and_saveexec_b64 s[36:37], s[38:39]
	s_cbranch_execz .LBB1222_136
; %bb.135:                              ;   in Loop: Header=BB1222_98 Depth=2
	v_bcnt_u32_b32 v5, v96, 0
	v_bcnt_u32_b32 v5, v97, v5
	ds_write_b32 v184, v5
.LBB1222_136:                           ;   in Loop: Header=BB1222_98 Depth=2
	s_or_b64 exec, exec, s[36:37]
	s_waitcnt vmcnt(13)
	v_cmp_lt_i64_e32 vcc, -1, v[66:67]
	v_cndmask_b32_e32 v5, -1, v133, vcc
	v_ashrrev_i32_e32 v96, 31, v67
	v_xor_b32_e32 v67, v5, v67
	v_xor_b32_e32 v66, v96, v66
	v_cmp_ne_u64_e32 vcc, s[78:79], v[66:67]
	v_cndmask_b32_e32 v97, v133, v67, vcc
	v_cndmask_b32_e32 v96, 0, v66, vcc
	v_lshrrev_b64 v[96:97], s33, v[96:97]
	v_and_b32_e32 v96, s69, v96
	v_mul_u32_u24_e32 v5, 5, v96
	v_add_lshl_u32 v5, v5, v178, 2
	; wave barrier
	v_add_u32_e32 v187, 0x410, v5
	ds_read_b32 v186, v5 offset:1040
	v_and_b32_e32 v5, 1, v96
	v_add_co_u32_e32 v97, vcc, -1, v5
	v_addc_co_u32_e64 v98, s[36:37], 0, -1, vcc
	v_cmp_ne_u32_e32 vcc, 0, v5
	v_xor_b32_e32 v5, vcc_hi, v98
	v_and_b32_e32 v98, exec_hi, v5
	v_lshlrev_b32_e32 v5, 30, v96
	v_xor_b32_e32 v97, vcc_lo, v97
	v_cmp_gt_i64_e32 vcc, 0, v[4:5]
	v_not_b32_e32 v5, v5
	v_ashrrev_i32_e32 v5, 31, v5
	v_and_b32_e32 v97, exec_lo, v97
	v_xor_b32_e32 v99, vcc_hi, v5
	v_xor_b32_e32 v5, vcc_lo, v5
	v_and_b32_e32 v97, v97, v5
	v_lshlrev_b32_e32 v5, 29, v96
	v_cmp_gt_i64_e32 vcc, 0, v[4:5]
	v_not_b32_e32 v5, v5
	v_ashrrev_i32_e32 v5, 31, v5
	v_and_b32_e32 v98, v98, v99
	v_xor_b32_e32 v99, vcc_hi, v5
	v_xor_b32_e32 v5, vcc_lo, v5
	v_and_b32_e32 v97, v97, v5
	v_lshlrev_b32_e32 v5, 28, v96
	v_cmp_gt_i64_e32 vcc, 0, v[4:5]
	v_not_b32_e32 v5, v5
	v_ashrrev_i32_e32 v5, 31, v5
	v_and_b32_e32 v98, v98, v99
	;; [unrolled: 8-line block ×5, first 2 shown]
	v_xor_b32_e32 v99, vcc_hi, v5
	v_xor_b32_e32 v5, vcc_lo, v5
	v_and_b32_e32 v98, v98, v99
	v_and_b32_e32 v99, v97, v5
	v_lshlrev_b32_e32 v5, 24, v96
	v_cmp_gt_i64_e32 vcc, 0, v[4:5]
	v_not_b32_e32 v5, v5
	v_ashrrev_i32_e32 v5, 31, v5
	v_xor_b32_e32 v96, vcc_hi, v5
	v_xor_b32_e32 v5, vcc_lo, v5
	v_and_b32_e32 v97, v98, v96
	v_and_b32_e32 v96, v99, v5
	v_mbcnt_lo_u32_b32 v5, v96, 0
	v_mbcnt_hi_u32_b32 v188, v97, v5
	v_cmp_eq_u32_e32 vcc, 0, v188
	v_cmp_ne_u64_e64 s[36:37], 0, v[96:97]
	s_and_b64 s[38:39], s[36:37], vcc
	; wave barrier
	s_and_saveexec_b64 s[36:37], s[38:39]
	s_cbranch_execz .LBB1222_138
; %bb.137:                              ;   in Loop: Header=BB1222_98 Depth=2
	v_bcnt_u32_b32 v5, v96, 0
	v_bcnt_u32_b32 v5, v97, v5
	s_waitcnt lgkmcnt(0)
	v_add_u32_e32 v5, v186, v5
	ds_write_b32 v187, v5
.LBB1222_138:                           ;   in Loop: Header=BB1222_98 Depth=2
	s_or_b64 exec, exec, s[36:37]
	s_waitcnt vmcnt(12)
	v_cmp_lt_i64_e32 vcc, -1, v[74:75]
	v_cndmask_b32_e32 v5, -1, v133, vcc
	v_ashrrev_i32_e32 v96, 31, v75
	v_xor_b32_e32 v75, v5, v75
	v_xor_b32_e32 v74, v96, v74
	v_cmp_ne_u64_e32 vcc, s[78:79], v[74:75]
	v_cndmask_b32_e32 v97, v133, v75, vcc
	v_cndmask_b32_e32 v96, 0, v74, vcc
	v_lshrrev_b64 v[96:97], s33, v[96:97]
	v_and_b32_e32 v96, s69, v96
	v_mul_u32_u24_e32 v5, 5, v96
	v_add_lshl_u32 v5, v5, v178, 2
	; wave barrier
	v_add_u32_e32 v190, 0x410, v5
	ds_read_b32 v189, v5 offset:1040
	v_and_b32_e32 v5, 1, v96
	v_add_co_u32_e32 v97, vcc, -1, v5
	v_addc_co_u32_e64 v98, s[36:37], 0, -1, vcc
	v_cmp_ne_u32_e32 vcc, 0, v5
	v_xor_b32_e32 v5, vcc_hi, v98
	v_and_b32_e32 v98, exec_hi, v5
	v_lshlrev_b32_e32 v5, 30, v96
	v_xor_b32_e32 v97, vcc_lo, v97
	v_cmp_gt_i64_e32 vcc, 0, v[4:5]
	v_not_b32_e32 v5, v5
	v_ashrrev_i32_e32 v5, 31, v5
	v_and_b32_e32 v97, exec_lo, v97
	v_xor_b32_e32 v99, vcc_hi, v5
	v_xor_b32_e32 v5, vcc_lo, v5
	v_and_b32_e32 v97, v97, v5
	v_lshlrev_b32_e32 v5, 29, v96
	v_cmp_gt_i64_e32 vcc, 0, v[4:5]
	v_not_b32_e32 v5, v5
	v_ashrrev_i32_e32 v5, 31, v5
	v_and_b32_e32 v98, v98, v99
	v_xor_b32_e32 v99, vcc_hi, v5
	v_xor_b32_e32 v5, vcc_lo, v5
	v_and_b32_e32 v97, v97, v5
	v_lshlrev_b32_e32 v5, 28, v96
	v_cmp_gt_i64_e32 vcc, 0, v[4:5]
	v_not_b32_e32 v5, v5
	v_ashrrev_i32_e32 v5, 31, v5
	v_and_b32_e32 v98, v98, v99
	;; [unrolled: 8-line block ×5, first 2 shown]
	v_xor_b32_e32 v99, vcc_hi, v5
	v_xor_b32_e32 v5, vcc_lo, v5
	v_and_b32_e32 v98, v98, v99
	v_and_b32_e32 v99, v97, v5
	v_lshlrev_b32_e32 v5, 24, v96
	v_cmp_gt_i64_e32 vcc, 0, v[4:5]
	v_not_b32_e32 v5, v5
	v_ashrrev_i32_e32 v5, 31, v5
	v_xor_b32_e32 v96, vcc_hi, v5
	v_xor_b32_e32 v5, vcc_lo, v5
	v_and_b32_e32 v97, v98, v96
	v_and_b32_e32 v96, v99, v5
	v_mbcnt_lo_u32_b32 v5, v96, 0
	v_mbcnt_hi_u32_b32 v191, v97, v5
	v_cmp_eq_u32_e32 vcc, 0, v191
	v_cmp_ne_u64_e64 s[36:37], 0, v[96:97]
	s_and_b64 s[38:39], s[36:37], vcc
	; wave barrier
	s_and_saveexec_b64 s[36:37], s[38:39]
	s_cbranch_execz .LBB1222_140
; %bb.139:                              ;   in Loop: Header=BB1222_98 Depth=2
	v_bcnt_u32_b32 v5, v96, 0
	v_bcnt_u32_b32 v5, v97, v5
	s_waitcnt lgkmcnt(0)
	v_add_u32_e32 v5, v189, v5
	ds_write_b32 v190, v5
.LBB1222_140:                           ;   in Loop: Header=BB1222_98 Depth=2
	s_or_b64 exec, exec, s[36:37]
	s_waitcnt vmcnt(11)
	v_cmp_lt_i64_e32 vcc, -1, v[78:79]
	v_cndmask_b32_e32 v5, -1, v133, vcc
	v_ashrrev_i32_e32 v96, 31, v79
	v_xor_b32_e32 v79, v5, v79
	v_xor_b32_e32 v78, v96, v78
	v_cmp_ne_u64_e32 vcc, s[78:79], v[78:79]
	v_cndmask_b32_e32 v97, v133, v79, vcc
	v_cndmask_b32_e32 v96, 0, v78, vcc
	v_lshrrev_b64 v[96:97], s33, v[96:97]
	v_and_b32_e32 v96, s69, v96
	v_mul_u32_u24_e32 v5, 5, v96
	v_add_lshl_u32 v5, v5, v178, 2
	; wave barrier
	v_add_u32_e32 v193, 0x410, v5
	ds_read_b32 v192, v5 offset:1040
	v_and_b32_e32 v5, 1, v96
	v_add_co_u32_e32 v97, vcc, -1, v5
	v_addc_co_u32_e64 v98, s[36:37], 0, -1, vcc
	v_cmp_ne_u32_e32 vcc, 0, v5
	v_xor_b32_e32 v5, vcc_hi, v98
	v_and_b32_e32 v98, exec_hi, v5
	v_lshlrev_b32_e32 v5, 30, v96
	v_xor_b32_e32 v97, vcc_lo, v97
	v_cmp_gt_i64_e32 vcc, 0, v[4:5]
	v_not_b32_e32 v5, v5
	v_ashrrev_i32_e32 v5, 31, v5
	v_and_b32_e32 v97, exec_lo, v97
	v_xor_b32_e32 v99, vcc_hi, v5
	v_xor_b32_e32 v5, vcc_lo, v5
	v_and_b32_e32 v97, v97, v5
	v_lshlrev_b32_e32 v5, 29, v96
	v_cmp_gt_i64_e32 vcc, 0, v[4:5]
	v_not_b32_e32 v5, v5
	v_ashrrev_i32_e32 v5, 31, v5
	v_and_b32_e32 v98, v98, v99
	v_xor_b32_e32 v99, vcc_hi, v5
	v_xor_b32_e32 v5, vcc_lo, v5
	v_and_b32_e32 v97, v97, v5
	v_lshlrev_b32_e32 v5, 28, v96
	v_cmp_gt_i64_e32 vcc, 0, v[4:5]
	v_not_b32_e32 v5, v5
	v_ashrrev_i32_e32 v5, 31, v5
	v_and_b32_e32 v98, v98, v99
	;; [unrolled: 8-line block ×5, first 2 shown]
	v_xor_b32_e32 v99, vcc_hi, v5
	v_xor_b32_e32 v5, vcc_lo, v5
	v_and_b32_e32 v98, v98, v99
	v_and_b32_e32 v99, v97, v5
	v_lshlrev_b32_e32 v5, 24, v96
	v_cmp_gt_i64_e32 vcc, 0, v[4:5]
	v_not_b32_e32 v5, v5
	v_ashrrev_i32_e32 v5, 31, v5
	v_xor_b32_e32 v96, vcc_hi, v5
	v_xor_b32_e32 v5, vcc_lo, v5
	v_and_b32_e32 v97, v98, v96
	v_and_b32_e32 v96, v99, v5
	v_mbcnt_lo_u32_b32 v5, v96, 0
	v_mbcnt_hi_u32_b32 v194, v97, v5
	v_cmp_eq_u32_e32 vcc, 0, v194
	v_cmp_ne_u64_e64 s[36:37], 0, v[96:97]
	s_and_b64 s[38:39], s[36:37], vcc
	; wave barrier
	s_and_saveexec_b64 s[36:37], s[38:39]
	s_cbranch_execz .LBB1222_142
; %bb.141:                              ;   in Loop: Header=BB1222_98 Depth=2
	v_bcnt_u32_b32 v5, v96, 0
	v_bcnt_u32_b32 v5, v97, v5
	s_waitcnt lgkmcnt(0)
	v_add_u32_e32 v5, v192, v5
	ds_write_b32 v193, v5
.LBB1222_142:                           ;   in Loop: Header=BB1222_98 Depth=2
	s_or_b64 exec, exec, s[36:37]
	s_waitcnt vmcnt(10)
	v_cmp_lt_i64_e32 vcc, -1, v[82:83]
	v_cndmask_b32_e32 v5, -1, v133, vcc
	v_ashrrev_i32_e32 v96, 31, v83
	v_xor_b32_e32 v83, v5, v83
	v_xor_b32_e32 v82, v96, v82
	v_cmp_ne_u64_e32 vcc, s[78:79], v[82:83]
	v_cndmask_b32_e32 v97, v133, v83, vcc
	v_cndmask_b32_e32 v96, 0, v82, vcc
	v_lshrrev_b64 v[96:97], s33, v[96:97]
	v_and_b32_e32 v96, s69, v96
	v_mul_u32_u24_e32 v5, 5, v96
	v_add_lshl_u32 v5, v5, v178, 2
	; wave barrier
	v_add_u32_e32 v196, 0x410, v5
	ds_read_b32 v195, v5 offset:1040
	v_and_b32_e32 v5, 1, v96
	v_add_co_u32_e32 v97, vcc, -1, v5
	v_addc_co_u32_e64 v98, s[36:37], 0, -1, vcc
	v_cmp_ne_u32_e32 vcc, 0, v5
	v_xor_b32_e32 v5, vcc_hi, v98
	v_and_b32_e32 v98, exec_hi, v5
	v_lshlrev_b32_e32 v5, 30, v96
	v_xor_b32_e32 v97, vcc_lo, v97
	v_cmp_gt_i64_e32 vcc, 0, v[4:5]
	v_not_b32_e32 v5, v5
	v_ashrrev_i32_e32 v5, 31, v5
	v_and_b32_e32 v97, exec_lo, v97
	v_xor_b32_e32 v99, vcc_hi, v5
	v_xor_b32_e32 v5, vcc_lo, v5
	v_and_b32_e32 v97, v97, v5
	v_lshlrev_b32_e32 v5, 29, v96
	v_cmp_gt_i64_e32 vcc, 0, v[4:5]
	v_not_b32_e32 v5, v5
	v_ashrrev_i32_e32 v5, 31, v5
	v_and_b32_e32 v98, v98, v99
	v_xor_b32_e32 v99, vcc_hi, v5
	v_xor_b32_e32 v5, vcc_lo, v5
	v_and_b32_e32 v97, v97, v5
	v_lshlrev_b32_e32 v5, 28, v96
	v_cmp_gt_i64_e32 vcc, 0, v[4:5]
	v_not_b32_e32 v5, v5
	v_ashrrev_i32_e32 v5, 31, v5
	v_and_b32_e32 v98, v98, v99
	;; [unrolled: 8-line block ×5, first 2 shown]
	v_xor_b32_e32 v99, vcc_hi, v5
	v_xor_b32_e32 v5, vcc_lo, v5
	v_and_b32_e32 v98, v98, v99
	v_and_b32_e32 v99, v97, v5
	v_lshlrev_b32_e32 v5, 24, v96
	v_cmp_gt_i64_e32 vcc, 0, v[4:5]
	v_not_b32_e32 v5, v5
	v_ashrrev_i32_e32 v5, 31, v5
	v_xor_b32_e32 v96, vcc_hi, v5
	v_xor_b32_e32 v5, vcc_lo, v5
	v_and_b32_e32 v97, v98, v96
	v_and_b32_e32 v96, v99, v5
	v_mbcnt_lo_u32_b32 v5, v96, 0
	v_mbcnt_hi_u32_b32 v197, v97, v5
	v_cmp_eq_u32_e32 vcc, 0, v197
	v_cmp_ne_u64_e64 s[36:37], 0, v[96:97]
	s_and_b64 s[38:39], s[36:37], vcc
	; wave barrier
	s_and_saveexec_b64 s[36:37], s[38:39]
	s_cbranch_execz .LBB1222_144
; %bb.143:                              ;   in Loop: Header=BB1222_98 Depth=2
	v_bcnt_u32_b32 v5, v96, 0
	v_bcnt_u32_b32 v5, v97, v5
	s_waitcnt lgkmcnt(0)
	v_add_u32_e32 v5, v195, v5
	ds_write_b32 v196, v5
.LBB1222_144:                           ;   in Loop: Header=BB1222_98 Depth=2
	s_or_b64 exec, exec, s[36:37]
	s_waitcnt vmcnt(9)
	v_cmp_lt_i64_e32 vcc, -1, v[86:87]
	v_cndmask_b32_e32 v5, -1, v133, vcc
	v_ashrrev_i32_e32 v96, 31, v87
	v_xor_b32_e32 v87, v5, v87
	v_xor_b32_e32 v86, v96, v86
	v_cmp_ne_u64_e32 vcc, s[78:79], v[86:87]
	v_cndmask_b32_e32 v97, v133, v87, vcc
	v_cndmask_b32_e32 v96, 0, v86, vcc
	v_lshrrev_b64 v[96:97], s33, v[96:97]
	v_and_b32_e32 v96, s69, v96
	v_mul_u32_u24_e32 v5, 5, v96
	v_add_lshl_u32 v5, v5, v178, 2
	; wave barrier
	v_add_u32_e32 v199, 0x410, v5
	ds_read_b32 v198, v5 offset:1040
	v_and_b32_e32 v5, 1, v96
	v_add_co_u32_e32 v97, vcc, -1, v5
	v_addc_co_u32_e64 v98, s[36:37], 0, -1, vcc
	v_cmp_ne_u32_e32 vcc, 0, v5
	v_xor_b32_e32 v5, vcc_hi, v98
	v_and_b32_e32 v98, exec_hi, v5
	v_lshlrev_b32_e32 v5, 30, v96
	v_xor_b32_e32 v97, vcc_lo, v97
	v_cmp_gt_i64_e32 vcc, 0, v[4:5]
	v_not_b32_e32 v5, v5
	v_ashrrev_i32_e32 v5, 31, v5
	v_and_b32_e32 v97, exec_lo, v97
	v_xor_b32_e32 v99, vcc_hi, v5
	v_xor_b32_e32 v5, vcc_lo, v5
	v_and_b32_e32 v97, v97, v5
	v_lshlrev_b32_e32 v5, 29, v96
	v_cmp_gt_i64_e32 vcc, 0, v[4:5]
	v_not_b32_e32 v5, v5
	v_ashrrev_i32_e32 v5, 31, v5
	v_and_b32_e32 v98, v98, v99
	v_xor_b32_e32 v99, vcc_hi, v5
	v_xor_b32_e32 v5, vcc_lo, v5
	v_and_b32_e32 v97, v97, v5
	v_lshlrev_b32_e32 v5, 28, v96
	v_cmp_gt_i64_e32 vcc, 0, v[4:5]
	v_not_b32_e32 v5, v5
	v_ashrrev_i32_e32 v5, 31, v5
	v_and_b32_e32 v98, v98, v99
	;; [unrolled: 8-line block ×5, first 2 shown]
	v_xor_b32_e32 v99, vcc_hi, v5
	v_xor_b32_e32 v5, vcc_lo, v5
	v_and_b32_e32 v98, v98, v99
	v_and_b32_e32 v99, v97, v5
	v_lshlrev_b32_e32 v5, 24, v96
	v_cmp_gt_i64_e32 vcc, 0, v[4:5]
	v_not_b32_e32 v5, v5
	v_ashrrev_i32_e32 v5, 31, v5
	v_xor_b32_e32 v96, vcc_hi, v5
	v_xor_b32_e32 v5, vcc_lo, v5
	v_and_b32_e32 v97, v98, v96
	v_and_b32_e32 v96, v99, v5
	v_mbcnt_lo_u32_b32 v5, v96, 0
	v_mbcnt_hi_u32_b32 v200, v97, v5
	v_cmp_eq_u32_e32 vcc, 0, v200
	v_cmp_ne_u64_e64 s[36:37], 0, v[96:97]
	s_and_b64 s[38:39], s[36:37], vcc
	; wave barrier
	s_and_saveexec_b64 s[36:37], s[38:39]
	s_cbranch_execz .LBB1222_146
; %bb.145:                              ;   in Loop: Header=BB1222_98 Depth=2
	v_bcnt_u32_b32 v5, v96, 0
	v_bcnt_u32_b32 v5, v97, v5
	s_waitcnt lgkmcnt(0)
	v_add_u32_e32 v5, v198, v5
	ds_write_b32 v199, v5
.LBB1222_146:                           ;   in Loop: Header=BB1222_98 Depth=2
	s_or_b64 exec, exec, s[36:37]
	s_waitcnt vmcnt(8)
	v_cmp_lt_i64_e32 vcc, -1, v[90:91]
	v_cndmask_b32_e32 v5, -1, v133, vcc
	v_ashrrev_i32_e32 v96, 31, v91
	v_xor_b32_e32 v91, v5, v91
	v_xor_b32_e32 v90, v96, v90
	v_cmp_ne_u64_e32 vcc, s[78:79], v[90:91]
	v_cndmask_b32_e32 v97, v133, v91, vcc
	v_cndmask_b32_e32 v96, 0, v90, vcc
	v_lshrrev_b64 v[96:97], s33, v[96:97]
	v_and_b32_e32 v96, s69, v96
	v_mul_u32_u24_e32 v5, 5, v96
	v_add_lshl_u32 v5, v5, v178, 2
	; wave barrier
	v_add_u32_e32 v202, 0x410, v5
	ds_read_b32 v201, v5 offset:1040
	v_and_b32_e32 v5, 1, v96
	v_add_co_u32_e32 v97, vcc, -1, v5
	v_addc_co_u32_e64 v98, s[36:37], 0, -1, vcc
	v_cmp_ne_u32_e32 vcc, 0, v5
	v_xor_b32_e32 v5, vcc_hi, v98
	v_and_b32_e32 v98, exec_hi, v5
	v_lshlrev_b32_e32 v5, 30, v96
	v_xor_b32_e32 v97, vcc_lo, v97
	v_cmp_gt_i64_e32 vcc, 0, v[4:5]
	v_not_b32_e32 v5, v5
	v_ashrrev_i32_e32 v5, 31, v5
	v_and_b32_e32 v97, exec_lo, v97
	v_xor_b32_e32 v99, vcc_hi, v5
	v_xor_b32_e32 v5, vcc_lo, v5
	v_and_b32_e32 v97, v97, v5
	v_lshlrev_b32_e32 v5, 29, v96
	v_cmp_gt_i64_e32 vcc, 0, v[4:5]
	v_not_b32_e32 v5, v5
	v_ashrrev_i32_e32 v5, 31, v5
	v_and_b32_e32 v98, v98, v99
	v_xor_b32_e32 v99, vcc_hi, v5
	v_xor_b32_e32 v5, vcc_lo, v5
	v_and_b32_e32 v97, v97, v5
	v_lshlrev_b32_e32 v5, 28, v96
	v_cmp_gt_i64_e32 vcc, 0, v[4:5]
	v_not_b32_e32 v5, v5
	v_ashrrev_i32_e32 v5, 31, v5
	v_and_b32_e32 v98, v98, v99
	;; [unrolled: 8-line block ×5, first 2 shown]
	v_xor_b32_e32 v99, vcc_hi, v5
	v_xor_b32_e32 v5, vcc_lo, v5
	v_and_b32_e32 v98, v98, v99
	v_and_b32_e32 v99, v97, v5
	v_lshlrev_b32_e32 v5, 24, v96
	v_cmp_gt_i64_e32 vcc, 0, v[4:5]
	v_not_b32_e32 v5, v5
	v_ashrrev_i32_e32 v5, 31, v5
	v_xor_b32_e32 v96, vcc_hi, v5
	v_xor_b32_e32 v5, vcc_lo, v5
	v_and_b32_e32 v97, v98, v96
	v_and_b32_e32 v96, v99, v5
	v_mbcnt_lo_u32_b32 v5, v96, 0
	v_mbcnt_hi_u32_b32 v203, v97, v5
	v_cmp_eq_u32_e32 vcc, 0, v203
	v_cmp_ne_u64_e64 s[36:37], 0, v[96:97]
	s_and_b64 s[38:39], s[36:37], vcc
	; wave barrier
	s_and_saveexec_b64 s[36:37], s[38:39]
	s_cbranch_execz .LBB1222_148
; %bb.147:                              ;   in Loop: Header=BB1222_98 Depth=2
	v_bcnt_u32_b32 v5, v96, 0
	v_bcnt_u32_b32 v5, v97, v5
	s_waitcnt lgkmcnt(0)
	v_add_u32_e32 v5, v201, v5
	ds_write_b32 v202, v5
.LBB1222_148:                           ;   in Loop: Header=BB1222_98 Depth=2
	s_or_b64 exec, exec, s[36:37]
	s_waitcnt vmcnt(7)
	v_cmp_lt_i64_e32 vcc, -1, v[94:95]
	v_cndmask_b32_e32 v5, -1, v133, vcc
	v_ashrrev_i32_e32 v96, 31, v95
	v_xor_b32_e32 v95, v5, v95
	v_xor_b32_e32 v94, v96, v94
	v_cmp_ne_u64_e32 vcc, s[78:79], v[94:95]
	v_cndmask_b32_e32 v97, v133, v95, vcc
	v_cndmask_b32_e32 v96, 0, v94, vcc
	v_lshrrev_b64 v[96:97], s33, v[96:97]
	v_and_b32_e32 v96, s69, v96
	v_mul_u32_u24_e32 v5, 5, v96
	v_add_lshl_u32 v5, v5, v178, 2
	; wave barrier
	v_add_u32_e32 v205, 0x410, v5
	ds_read_b32 v204, v5 offset:1040
	v_and_b32_e32 v5, 1, v96
	v_add_co_u32_e32 v97, vcc, -1, v5
	v_addc_co_u32_e64 v98, s[36:37], 0, -1, vcc
	v_cmp_ne_u32_e32 vcc, 0, v5
	v_xor_b32_e32 v5, vcc_hi, v98
	v_and_b32_e32 v98, exec_hi, v5
	v_lshlrev_b32_e32 v5, 30, v96
	v_xor_b32_e32 v97, vcc_lo, v97
	v_cmp_gt_i64_e32 vcc, 0, v[4:5]
	v_not_b32_e32 v5, v5
	v_ashrrev_i32_e32 v5, 31, v5
	v_and_b32_e32 v97, exec_lo, v97
	v_xor_b32_e32 v99, vcc_hi, v5
	v_xor_b32_e32 v5, vcc_lo, v5
	v_and_b32_e32 v97, v97, v5
	v_lshlrev_b32_e32 v5, 29, v96
	v_cmp_gt_i64_e32 vcc, 0, v[4:5]
	v_not_b32_e32 v5, v5
	v_ashrrev_i32_e32 v5, 31, v5
	v_and_b32_e32 v98, v98, v99
	v_xor_b32_e32 v99, vcc_hi, v5
	v_xor_b32_e32 v5, vcc_lo, v5
	v_and_b32_e32 v97, v97, v5
	v_lshlrev_b32_e32 v5, 28, v96
	v_cmp_gt_i64_e32 vcc, 0, v[4:5]
	v_not_b32_e32 v5, v5
	v_ashrrev_i32_e32 v5, 31, v5
	v_and_b32_e32 v98, v98, v99
	;; [unrolled: 8-line block ×5, first 2 shown]
	v_xor_b32_e32 v99, vcc_hi, v5
	v_xor_b32_e32 v5, vcc_lo, v5
	v_and_b32_e32 v98, v98, v99
	v_and_b32_e32 v99, v97, v5
	v_lshlrev_b32_e32 v5, 24, v96
	v_cmp_gt_i64_e32 vcc, 0, v[4:5]
	v_not_b32_e32 v5, v5
	v_ashrrev_i32_e32 v5, 31, v5
	v_xor_b32_e32 v96, vcc_hi, v5
	v_xor_b32_e32 v5, vcc_lo, v5
	v_and_b32_e32 v97, v98, v96
	v_and_b32_e32 v96, v99, v5
	v_mbcnt_lo_u32_b32 v5, v96, 0
	v_mbcnt_hi_u32_b32 v206, v97, v5
	v_cmp_eq_u32_e32 vcc, 0, v206
	v_cmp_ne_u64_e64 s[36:37], 0, v[96:97]
	s_and_b64 s[38:39], s[36:37], vcc
	; wave barrier
	s_and_saveexec_b64 s[36:37], s[38:39]
	s_cbranch_execz .LBB1222_150
; %bb.149:                              ;   in Loop: Header=BB1222_98 Depth=2
	v_bcnt_u32_b32 v5, v96, 0
	v_bcnt_u32_b32 v5, v97, v5
	s_waitcnt lgkmcnt(0)
	v_add_u32_e32 v5, v204, v5
	ds_write_b32 v205, v5
.LBB1222_150:                           ;   in Loop: Header=BB1222_98 Depth=2
	s_or_b64 exec, exec, s[36:37]
	s_waitcnt vmcnt(6)
	v_cmp_lt_i64_e32 vcc, -1, v[92:93]
	v_cndmask_b32_e32 v5, -1, v133, vcc
	v_ashrrev_i32_e32 v96, 31, v93
	v_xor_b32_e32 v93, v5, v93
	v_xor_b32_e32 v92, v96, v92
	v_cmp_ne_u64_e32 vcc, s[78:79], v[92:93]
	v_cndmask_b32_e32 v97, v133, v93, vcc
	v_cndmask_b32_e32 v96, 0, v92, vcc
	v_lshrrev_b64 v[96:97], s33, v[96:97]
	v_and_b32_e32 v96, s69, v96
	v_mul_u32_u24_e32 v5, 5, v96
	v_add_lshl_u32 v5, v5, v178, 2
	; wave barrier
	v_add_u32_e32 v208, 0x410, v5
	ds_read_b32 v207, v5 offset:1040
	v_and_b32_e32 v5, 1, v96
	v_add_co_u32_e32 v97, vcc, -1, v5
	v_addc_co_u32_e64 v98, s[36:37], 0, -1, vcc
	v_cmp_ne_u32_e32 vcc, 0, v5
	v_xor_b32_e32 v5, vcc_hi, v98
	v_and_b32_e32 v98, exec_hi, v5
	v_lshlrev_b32_e32 v5, 30, v96
	v_xor_b32_e32 v97, vcc_lo, v97
	v_cmp_gt_i64_e32 vcc, 0, v[4:5]
	v_not_b32_e32 v5, v5
	v_ashrrev_i32_e32 v5, 31, v5
	v_and_b32_e32 v97, exec_lo, v97
	v_xor_b32_e32 v99, vcc_hi, v5
	v_xor_b32_e32 v5, vcc_lo, v5
	v_and_b32_e32 v97, v97, v5
	v_lshlrev_b32_e32 v5, 29, v96
	v_cmp_gt_i64_e32 vcc, 0, v[4:5]
	v_not_b32_e32 v5, v5
	v_ashrrev_i32_e32 v5, 31, v5
	v_and_b32_e32 v98, v98, v99
	v_xor_b32_e32 v99, vcc_hi, v5
	v_xor_b32_e32 v5, vcc_lo, v5
	v_and_b32_e32 v97, v97, v5
	v_lshlrev_b32_e32 v5, 28, v96
	v_cmp_gt_i64_e32 vcc, 0, v[4:5]
	v_not_b32_e32 v5, v5
	v_ashrrev_i32_e32 v5, 31, v5
	v_and_b32_e32 v98, v98, v99
	v_xor_b32_e32 v99, vcc_hi, v5
	v_xor_b32_e32 v5, vcc_lo, v5
	v_and_b32_e32 v97, v97, v5
	v_lshlrev_b32_e32 v5, 27, v96
	v_cmp_gt_i64_e32 vcc, 0, v[4:5]
	v_not_b32_e32 v5, v5
	v_ashrrev_i32_e32 v5, 31, v5
	v_and_b32_e32 v98, v98, v99
	v_xor_b32_e32 v99, vcc_hi, v5
	v_xor_b32_e32 v5, vcc_lo, v5
	v_and_b32_e32 v97, v97, v5
	v_lshlrev_b32_e32 v5, 26, v96
	v_cmp_gt_i64_e32 vcc, 0, v[4:5]
	v_not_b32_e32 v5, v5
	v_ashrrev_i32_e32 v5, 31, v5
	v_and_b32_e32 v98, v98, v99
	v_xor_b32_e32 v99, vcc_hi, v5
	v_xor_b32_e32 v5, vcc_lo, v5
	v_and_b32_e32 v97, v97, v5
	v_lshlrev_b32_e32 v5, 25, v96
	v_cmp_gt_i64_e32 vcc, 0, v[4:5]
	v_not_b32_e32 v5, v5
	v_ashrrev_i32_e32 v5, 31, v5
	v_and_b32_e32 v98, v98, v99
	v_xor_b32_e32 v99, vcc_hi, v5
	v_xor_b32_e32 v5, vcc_lo, v5
	v_and_b32_e32 v98, v98, v99
	v_and_b32_e32 v99, v97, v5
	v_lshlrev_b32_e32 v5, 24, v96
	v_cmp_gt_i64_e32 vcc, 0, v[4:5]
	v_not_b32_e32 v5, v5
	v_ashrrev_i32_e32 v5, 31, v5
	v_xor_b32_e32 v96, vcc_hi, v5
	v_xor_b32_e32 v5, vcc_lo, v5
	v_and_b32_e32 v97, v98, v96
	v_and_b32_e32 v96, v99, v5
	v_mbcnt_lo_u32_b32 v5, v96, 0
	v_mbcnt_hi_u32_b32 v209, v97, v5
	v_cmp_eq_u32_e32 vcc, 0, v209
	v_cmp_ne_u64_e64 s[36:37], 0, v[96:97]
	s_and_b64 s[38:39], s[36:37], vcc
	; wave barrier
	s_and_saveexec_b64 s[36:37], s[38:39]
	s_cbranch_execz .LBB1222_152
; %bb.151:                              ;   in Loop: Header=BB1222_98 Depth=2
	v_bcnt_u32_b32 v5, v96, 0
	v_bcnt_u32_b32 v5, v97, v5
	s_waitcnt lgkmcnt(0)
	v_add_u32_e32 v5, v207, v5
	ds_write_b32 v208, v5
.LBB1222_152:                           ;   in Loop: Header=BB1222_98 Depth=2
	s_or_b64 exec, exec, s[36:37]
	s_waitcnt vmcnt(5)
	v_cmp_lt_i64_e32 vcc, -1, v[88:89]
	v_cndmask_b32_e32 v5, -1, v133, vcc
	v_ashrrev_i32_e32 v96, 31, v89
	v_xor_b32_e32 v89, v5, v89
	v_xor_b32_e32 v88, v96, v88
	v_cmp_ne_u64_e32 vcc, s[78:79], v[88:89]
	v_cndmask_b32_e32 v97, v133, v89, vcc
	v_cndmask_b32_e32 v96, 0, v88, vcc
	v_lshrrev_b64 v[96:97], s33, v[96:97]
	v_and_b32_e32 v96, s69, v96
	v_mul_u32_u24_e32 v5, 5, v96
	v_add_lshl_u32 v5, v5, v178, 2
	; wave barrier
	v_add_u32_e32 v211, 0x410, v5
	ds_read_b32 v210, v5 offset:1040
	v_and_b32_e32 v5, 1, v96
	v_add_co_u32_e32 v97, vcc, -1, v5
	v_addc_co_u32_e64 v98, s[36:37], 0, -1, vcc
	v_cmp_ne_u32_e32 vcc, 0, v5
	v_xor_b32_e32 v5, vcc_hi, v98
	v_and_b32_e32 v98, exec_hi, v5
	v_lshlrev_b32_e32 v5, 30, v96
	v_xor_b32_e32 v97, vcc_lo, v97
	v_cmp_gt_i64_e32 vcc, 0, v[4:5]
	v_not_b32_e32 v5, v5
	v_ashrrev_i32_e32 v5, 31, v5
	v_and_b32_e32 v97, exec_lo, v97
	v_xor_b32_e32 v99, vcc_hi, v5
	v_xor_b32_e32 v5, vcc_lo, v5
	v_and_b32_e32 v97, v97, v5
	v_lshlrev_b32_e32 v5, 29, v96
	v_cmp_gt_i64_e32 vcc, 0, v[4:5]
	v_not_b32_e32 v5, v5
	v_ashrrev_i32_e32 v5, 31, v5
	v_and_b32_e32 v98, v98, v99
	v_xor_b32_e32 v99, vcc_hi, v5
	v_xor_b32_e32 v5, vcc_lo, v5
	v_and_b32_e32 v97, v97, v5
	v_lshlrev_b32_e32 v5, 28, v96
	v_cmp_gt_i64_e32 vcc, 0, v[4:5]
	v_not_b32_e32 v5, v5
	v_ashrrev_i32_e32 v5, 31, v5
	v_and_b32_e32 v98, v98, v99
	;; [unrolled: 8-line block ×5, first 2 shown]
	v_xor_b32_e32 v99, vcc_hi, v5
	v_xor_b32_e32 v5, vcc_lo, v5
	v_and_b32_e32 v98, v98, v99
	v_and_b32_e32 v99, v97, v5
	v_lshlrev_b32_e32 v5, 24, v96
	v_cmp_gt_i64_e32 vcc, 0, v[4:5]
	v_not_b32_e32 v5, v5
	v_ashrrev_i32_e32 v5, 31, v5
	v_xor_b32_e32 v96, vcc_hi, v5
	v_xor_b32_e32 v5, vcc_lo, v5
	v_and_b32_e32 v97, v98, v96
	v_and_b32_e32 v96, v99, v5
	v_mbcnt_lo_u32_b32 v5, v96, 0
	v_mbcnt_hi_u32_b32 v212, v97, v5
	v_cmp_eq_u32_e32 vcc, 0, v212
	v_cmp_ne_u64_e64 s[36:37], 0, v[96:97]
	s_and_b64 s[38:39], s[36:37], vcc
	; wave barrier
	s_and_saveexec_b64 s[36:37], s[38:39]
	s_cbranch_execz .LBB1222_154
; %bb.153:                              ;   in Loop: Header=BB1222_98 Depth=2
	v_bcnt_u32_b32 v5, v96, 0
	v_bcnt_u32_b32 v5, v97, v5
	s_waitcnt lgkmcnt(0)
	v_add_u32_e32 v5, v210, v5
	ds_write_b32 v211, v5
.LBB1222_154:                           ;   in Loop: Header=BB1222_98 Depth=2
	s_or_b64 exec, exec, s[36:37]
	s_waitcnt vmcnt(4)
	v_cmp_lt_i64_e32 vcc, -1, v[84:85]
	v_cndmask_b32_e32 v5, -1, v133, vcc
	v_ashrrev_i32_e32 v96, 31, v85
	v_xor_b32_e32 v85, v5, v85
	v_xor_b32_e32 v84, v96, v84
	v_cmp_ne_u64_e32 vcc, s[78:79], v[84:85]
	v_cndmask_b32_e32 v97, v133, v85, vcc
	v_cndmask_b32_e32 v96, 0, v84, vcc
	v_lshrrev_b64 v[96:97], s33, v[96:97]
	v_and_b32_e32 v96, s69, v96
	v_mul_u32_u24_e32 v5, 5, v96
	v_add_lshl_u32 v5, v5, v178, 2
	; wave barrier
	v_add_u32_e32 v214, 0x410, v5
	ds_read_b32 v213, v5 offset:1040
	v_and_b32_e32 v5, 1, v96
	v_add_co_u32_e32 v97, vcc, -1, v5
	v_addc_co_u32_e64 v98, s[36:37], 0, -1, vcc
	v_cmp_ne_u32_e32 vcc, 0, v5
	v_xor_b32_e32 v5, vcc_hi, v98
	v_and_b32_e32 v98, exec_hi, v5
	v_lshlrev_b32_e32 v5, 30, v96
	v_xor_b32_e32 v97, vcc_lo, v97
	v_cmp_gt_i64_e32 vcc, 0, v[4:5]
	v_not_b32_e32 v5, v5
	v_ashrrev_i32_e32 v5, 31, v5
	v_and_b32_e32 v97, exec_lo, v97
	v_xor_b32_e32 v99, vcc_hi, v5
	v_xor_b32_e32 v5, vcc_lo, v5
	v_and_b32_e32 v97, v97, v5
	v_lshlrev_b32_e32 v5, 29, v96
	v_cmp_gt_i64_e32 vcc, 0, v[4:5]
	v_not_b32_e32 v5, v5
	v_ashrrev_i32_e32 v5, 31, v5
	v_and_b32_e32 v98, v98, v99
	v_xor_b32_e32 v99, vcc_hi, v5
	v_xor_b32_e32 v5, vcc_lo, v5
	v_and_b32_e32 v97, v97, v5
	v_lshlrev_b32_e32 v5, 28, v96
	v_cmp_gt_i64_e32 vcc, 0, v[4:5]
	v_not_b32_e32 v5, v5
	v_ashrrev_i32_e32 v5, 31, v5
	v_and_b32_e32 v98, v98, v99
	;; [unrolled: 8-line block ×5, first 2 shown]
	v_xor_b32_e32 v99, vcc_hi, v5
	v_xor_b32_e32 v5, vcc_lo, v5
	v_and_b32_e32 v98, v98, v99
	v_and_b32_e32 v99, v97, v5
	v_lshlrev_b32_e32 v5, 24, v96
	v_cmp_gt_i64_e32 vcc, 0, v[4:5]
	v_not_b32_e32 v5, v5
	v_ashrrev_i32_e32 v5, 31, v5
	v_xor_b32_e32 v96, vcc_hi, v5
	v_xor_b32_e32 v5, vcc_lo, v5
	v_and_b32_e32 v97, v98, v96
	v_and_b32_e32 v96, v99, v5
	v_mbcnt_lo_u32_b32 v5, v96, 0
	v_mbcnt_hi_u32_b32 v215, v97, v5
	v_cmp_eq_u32_e32 vcc, 0, v215
	v_cmp_ne_u64_e64 s[36:37], 0, v[96:97]
	s_and_b64 s[38:39], s[36:37], vcc
	; wave barrier
	s_and_saveexec_b64 s[36:37], s[38:39]
	s_cbranch_execz .LBB1222_156
; %bb.155:                              ;   in Loop: Header=BB1222_98 Depth=2
	v_bcnt_u32_b32 v5, v96, 0
	v_bcnt_u32_b32 v5, v97, v5
	s_waitcnt lgkmcnt(0)
	v_add_u32_e32 v5, v213, v5
	ds_write_b32 v214, v5
.LBB1222_156:                           ;   in Loop: Header=BB1222_98 Depth=2
	s_or_b64 exec, exec, s[36:37]
	s_waitcnt vmcnt(3)
	v_cmp_lt_i64_e32 vcc, -1, v[80:81]
	v_cndmask_b32_e32 v5, -1, v133, vcc
	v_ashrrev_i32_e32 v96, 31, v81
	v_xor_b32_e32 v81, v5, v81
	v_xor_b32_e32 v80, v96, v80
	v_cmp_ne_u64_e32 vcc, s[78:79], v[80:81]
	v_cndmask_b32_e32 v97, v133, v81, vcc
	v_cndmask_b32_e32 v96, 0, v80, vcc
	v_lshrrev_b64 v[96:97], s33, v[96:97]
	v_and_b32_e32 v96, s69, v96
	v_mul_u32_u24_e32 v5, 5, v96
	v_add_lshl_u32 v5, v5, v178, 2
	; wave barrier
	v_add_u32_e32 v217, 0x410, v5
	ds_read_b32 v216, v5 offset:1040
	v_and_b32_e32 v5, 1, v96
	v_add_co_u32_e32 v97, vcc, -1, v5
	v_addc_co_u32_e64 v98, s[36:37], 0, -1, vcc
	v_cmp_ne_u32_e32 vcc, 0, v5
	v_xor_b32_e32 v5, vcc_hi, v98
	v_and_b32_e32 v98, exec_hi, v5
	v_lshlrev_b32_e32 v5, 30, v96
	v_xor_b32_e32 v97, vcc_lo, v97
	v_cmp_gt_i64_e32 vcc, 0, v[4:5]
	v_not_b32_e32 v5, v5
	v_ashrrev_i32_e32 v5, 31, v5
	v_and_b32_e32 v97, exec_lo, v97
	v_xor_b32_e32 v99, vcc_hi, v5
	v_xor_b32_e32 v5, vcc_lo, v5
	v_and_b32_e32 v97, v97, v5
	v_lshlrev_b32_e32 v5, 29, v96
	v_cmp_gt_i64_e32 vcc, 0, v[4:5]
	v_not_b32_e32 v5, v5
	v_ashrrev_i32_e32 v5, 31, v5
	v_and_b32_e32 v98, v98, v99
	v_xor_b32_e32 v99, vcc_hi, v5
	v_xor_b32_e32 v5, vcc_lo, v5
	v_and_b32_e32 v97, v97, v5
	v_lshlrev_b32_e32 v5, 28, v96
	v_cmp_gt_i64_e32 vcc, 0, v[4:5]
	v_not_b32_e32 v5, v5
	v_ashrrev_i32_e32 v5, 31, v5
	v_and_b32_e32 v98, v98, v99
	v_xor_b32_e32 v99, vcc_hi, v5
	v_xor_b32_e32 v5, vcc_lo, v5
	v_and_b32_e32 v97, v97, v5
	v_lshlrev_b32_e32 v5, 27, v96
	v_cmp_gt_i64_e32 vcc, 0, v[4:5]
	v_not_b32_e32 v5, v5
	v_ashrrev_i32_e32 v5, 31, v5
	v_and_b32_e32 v98, v98, v99
	v_xor_b32_e32 v99, vcc_hi, v5
	v_xor_b32_e32 v5, vcc_lo, v5
	v_and_b32_e32 v97, v97, v5
	v_lshlrev_b32_e32 v5, 26, v96
	v_cmp_gt_i64_e32 vcc, 0, v[4:5]
	v_not_b32_e32 v5, v5
	v_ashrrev_i32_e32 v5, 31, v5
	v_and_b32_e32 v98, v98, v99
	v_xor_b32_e32 v99, vcc_hi, v5
	v_xor_b32_e32 v5, vcc_lo, v5
	v_and_b32_e32 v97, v97, v5
	v_lshlrev_b32_e32 v5, 25, v96
	v_cmp_gt_i64_e32 vcc, 0, v[4:5]
	v_not_b32_e32 v5, v5
	v_ashrrev_i32_e32 v5, 31, v5
	v_and_b32_e32 v98, v98, v99
	v_xor_b32_e32 v99, vcc_hi, v5
	v_xor_b32_e32 v5, vcc_lo, v5
	v_and_b32_e32 v98, v98, v99
	v_and_b32_e32 v99, v97, v5
	v_lshlrev_b32_e32 v5, 24, v96
	v_cmp_gt_i64_e32 vcc, 0, v[4:5]
	v_not_b32_e32 v5, v5
	v_ashrrev_i32_e32 v5, 31, v5
	v_xor_b32_e32 v96, vcc_hi, v5
	v_xor_b32_e32 v5, vcc_lo, v5
	v_and_b32_e32 v97, v98, v96
	v_and_b32_e32 v96, v99, v5
	v_mbcnt_lo_u32_b32 v5, v96, 0
	v_mbcnt_hi_u32_b32 v218, v97, v5
	v_cmp_eq_u32_e32 vcc, 0, v218
	v_cmp_ne_u64_e64 s[36:37], 0, v[96:97]
	s_and_b64 s[38:39], s[36:37], vcc
	; wave barrier
	s_and_saveexec_b64 s[36:37], s[38:39]
	s_cbranch_execz .LBB1222_158
; %bb.157:                              ;   in Loop: Header=BB1222_98 Depth=2
	v_bcnt_u32_b32 v5, v96, 0
	v_bcnt_u32_b32 v5, v97, v5
	s_waitcnt lgkmcnt(0)
	v_add_u32_e32 v5, v216, v5
	ds_write_b32 v217, v5
.LBB1222_158:                           ;   in Loop: Header=BB1222_98 Depth=2
	s_or_b64 exec, exec, s[36:37]
	s_waitcnt vmcnt(2)
	v_cmp_lt_i64_e32 vcc, -1, v[76:77]
	v_cndmask_b32_e32 v5, -1, v133, vcc
	v_ashrrev_i32_e32 v96, 31, v77
	v_xor_b32_e32 v77, v5, v77
	v_xor_b32_e32 v76, v96, v76
	v_cmp_ne_u64_e32 vcc, s[78:79], v[76:77]
	v_cndmask_b32_e32 v97, v133, v77, vcc
	v_cndmask_b32_e32 v96, 0, v76, vcc
	v_lshrrev_b64 v[96:97], s33, v[96:97]
	v_and_b32_e32 v96, s69, v96
	v_mul_u32_u24_e32 v5, 5, v96
	v_add_lshl_u32 v5, v5, v178, 2
	; wave barrier
	v_add_u32_e32 v220, 0x410, v5
	ds_read_b32 v219, v5 offset:1040
	v_and_b32_e32 v5, 1, v96
	v_add_co_u32_e32 v97, vcc, -1, v5
	v_addc_co_u32_e64 v98, s[36:37], 0, -1, vcc
	v_cmp_ne_u32_e32 vcc, 0, v5
	v_xor_b32_e32 v5, vcc_hi, v98
	v_and_b32_e32 v98, exec_hi, v5
	v_lshlrev_b32_e32 v5, 30, v96
	v_xor_b32_e32 v97, vcc_lo, v97
	v_cmp_gt_i64_e32 vcc, 0, v[4:5]
	v_not_b32_e32 v5, v5
	v_ashrrev_i32_e32 v5, 31, v5
	v_and_b32_e32 v97, exec_lo, v97
	v_xor_b32_e32 v99, vcc_hi, v5
	v_xor_b32_e32 v5, vcc_lo, v5
	v_and_b32_e32 v97, v97, v5
	v_lshlrev_b32_e32 v5, 29, v96
	v_cmp_gt_i64_e32 vcc, 0, v[4:5]
	v_not_b32_e32 v5, v5
	v_ashrrev_i32_e32 v5, 31, v5
	v_and_b32_e32 v98, v98, v99
	v_xor_b32_e32 v99, vcc_hi, v5
	v_xor_b32_e32 v5, vcc_lo, v5
	v_and_b32_e32 v97, v97, v5
	v_lshlrev_b32_e32 v5, 28, v96
	v_cmp_gt_i64_e32 vcc, 0, v[4:5]
	v_not_b32_e32 v5, v5
	v_ashrrev_i32_e32 v5, 31, v5
	v_and_b32_e32 v98, v98, v99
	;; [unrolled: 8-line block ×5, first 2 shown]
	v_xor_b32_e32 v99, vcc_hi, v5
	v_xor_b32_e32 v5, vcc_lo, v5
	v_and_b32_e32 v98, v98, v99
	v_and_b32_e32 v99, v97, v5
	v_lshlrev_b32_e32 v5, 24, v96
	v_cmp_gt_i64_e32 vcc, 0, v[4:5]
	v_not_b32_e32 v5, v5
	v_ashrrev_i32_e32 v5, 31, v5
	v_xor_b32_e32 v96, vcc_hi, v5
	v_xor_b32_e32 v5, vcc_lo, v5
	v_and_b32_e32 v97, v98, v96
	v_and_b32_e32 v96, v99, v5
	v_mbcnt_lo_u32_b32 v5, v96, 0
	v_mbcnt_hi_u32_b32 v221, v97, v5
	v_cmp_eq_u32_e32 vcc, 0, v221
	v_cmp_ne_u64_e64 s[36:37], 0, v[96:97]
	s_and_b64 s[38:39], s[36:37], vcc
	; wave barrier
	s_and_saveexec_b64 s[36:37], s[38:39]
	s_cbranch_execz .LBB1222_160
; %bb.159:                              ;   in Loop: Header=BB1222_98 Depth=2
	v_bcnt_u32_b32 v5, v96, 0
	v_bcnt_u32_b32 v5, v97, v5
	s_waitcnt lgkmcnt(0)
	v_add_u32_e32 v5, v219, v5
	ds_write_b32 v220, v5
.LBB1222_160:                           ;   in Loop: Header=BB1222_98 Depth=2
	s_or_b64 exec, exec, s[36:37]
	s_waitcnt vmcnt(1)
	v_cmp_lt_i64_e32 vcc, -1, v[72:73]
	v_cndmask_b32_e32 v5, -1, v133, vcc
	v_ashrrev_i32_e32 v96, 31, v73
	v_xor_b32_e32 v73, v5, v73
	v_xor_b32_e32 v72, v96, v72
	v_cmp_ne_u64_e32 vcc, s[78:79], v[72:73]
	v_cndmask_b32_e32 v97, v133, v73, vcc
	v_cndmask_b32_e32 v96, 0, v72, vcc
	v_lshrrev_b64 v[96:97], s33, v[96:97]
	v_and_b32_e32 v96, s69, v96
	v_mul_u32_u24_e32 v5, 5, v96
	v_add_lshl_u32 v5, v5, v178, 2
	; wave barrier
	v_add_u32_e32 v223, 0x410, v5
	ds_read_b32 v222, v5 offset:1040
	v_and_b32_e32 v5, 1, v96
	v_add_co_u32_e32 v97, vcc, -1, v5
	v_addc_co_u32_e64 v98, s[36:37], 0, -1, vcc
	v_cmp_ne_u32_e32 vcc, 0, v5
	v_xor_b32_e32 v5, vcc_hi, v98
	v_and_b32_e32 v98, exec_hi, v5
	v_lshlrev_b32_e32 v5, 30, v96
	v_xor_b32_e32 v97, vcc_lo, v97
	v_cmp_gt_i64_e32 vcc, 0, v[4:5]
	v_not_b32_e32 v5, v5
	v_ashrrev_i32_e32 v5, 31, v5
	v_and_b32_e32 v97, exec_lo, v97
	v_xor_b32_e32 v99, vcc_hi, v5
	v_xor_b32_e32 v5, vcc_lo, v5
	v_and_b32_e32 v97, v97, v5
	v_lshlrev_b32_e32 v5, 29, v96
	v_cmp_gt_i64_e32 vcc, 0, v[4:5]
	v_not_b32_e32 v5, v5
	v_ashrrev_i32_e32 v5, 31, v5
	v_and_b32_e32 v98, v98, v99
	v_xor_b32_e32 v99, vcc_hi, v5
	v_xor_b32_e32 v5, vcc_lo, v5
	v_and_b32_e32 v97, v97, v5
	v_lshlrev_b32_e32 v5, 28, v96
	v_cmp_gt_i64_e32 vcc, 0, v[4:5]
	v_not_b32_e32 v5, v5
	v_ashrrev_i32_e32 v5, 31, v5
	v_and_b32_e32 v98, v98, v99
	;; [unrolled: 8-line block ×5, first 2 shown]
	v_xor_b32_e32 v99, vcc_hi, v5
	v_xor_b32_e32 v5, vcc_lo, v5
	v_and_b32_e32 v98, v98, v99
	v_and_b32_e32 v99, v97, v5
	v_lshlrev_b32_e32 v5, 24, v96
	v_cmp_gt_i64_e32 vcc, 0, v[4:5]
	v_not_b32_e32 v5, v5
	v_ashrrev_i32_e32 v5, 31, v5
	v_xor_b32_e32 v96, vcc_hi, v5
	v_xor_b32_e32 v5, vcc_lo, v5
	v_and_b32_e32 v97, v98, v96
	v_and_b32_e32 v96, v99, v5
	v_mbcnt_lo_u32_b32 v5, v96, 0
	v_mbcnt_hi_u32_b32 v224, v97, v5
	v_cmp_eq_u32_e32 vcc, 0, v224
	v_cmp_ne_u64_e64 s[36:37], 0, v[96:97]
	s_and_b64 s[38:39], s[36:37], vcc
	; wave barrier
	s_and_saveexec_b64 s[36:37], s[38:39]
	s_cbranch_execz .LBB1222_162
; %bb.161:                              ;   in Loop: Header=BB1222_98 Depth=2
	v_bcnt_u32_b32 v5, v96, 0
	v_bcnt_u32_b32 v5, v97, v5
	s_waitcnt lgkmcnt(0)
	v_add_u32_e32 v5, v222, v5
	ds_write_b32 v223, v5
.LBB1222_162:                           ;   in Loop: Header=BB1222_98 Depth=2
	s_or_b64 exec, exec, s[36:37]
	s_waitcnt vmcnt(0)
	v_cmp_lt_i64_e32 vcc, -1, v[68:69]
	v_cndmask_b32_e32 v5, -1, v133, vcc
	v_ashrrev_i32_e32 v96, 31, v69
	v_xor_b32_e32 v69, v5, v69
	v_xor_b32_e32 v68, v96, v68
	v_cmp_ne_u64_e32 vcc, s[78:79], v[68:69]
	v_cndmask_b32_e32 v97, v133, v69, vcc
	v_cndmask_b32_e32 v96, 0, v68, vcc
	v_lshrrev_b64 v[96:97], s33, v[96:97]
	v_and_b32_e32 v96, s69, v96
	v_mul_u32_u24_e32 v5, 5, v96
	v_add_lshl_u32 v5, v5, v178, 2
	; wave barrier
	v_add_u32_e32 v226, 0x410, v5
	ds_read_b32 v225, v5 offset:1040
	v_and_b32_e32 v5, 1, v96
	v_add_co_u32_e32 v97, vcc, -1, v5
	v_addc_co_u32_e64 v98, s[36:37], 0, -1, vcc
	v_cmp_ne_u32_e32 vcc, 0, v5
	v_xor_b32_e32 v5, vcc_hi, v98
	v_and_b32_e32 v98, exec_hi, v5
	v_lshlrev_b32_e32 v5, 30, v96
	v_xor_b32_e32 v97, vcc_lo, v97
	v_cmp_gt_i64_e32 vcc, 0, v[4:5]
	v_not_b32_e32 v5, v5
	v_ashrrev_i32_e32 v5, 31, v5
	v_and_b32_e32 v97, exec_lo, v97
	v_xor_b32_e32 v99, vcc_hi, v5
	v_xor_b32_e32 v5, vcc_lo, v5
	v_and_b32_e32 v97, v97, v5
	v_lshlrev_b32_e32 v5, 29, v96
	v_cmp_gt_i64_e32 vcc, 0, v[4:5]
	v_not_b32_e32 v5, v5
	v_ashrrev_i32_e32 v5, 31, v5
	v_and_b32_e32 v98, v98, v99
	v_xor_b32_e32 v99, vcc_hi, v5
	v_xor_b32_e32 v5, vcc_lo, v5
	v_and_b32_e32 v97, v97, v5
	v_lshlrev_b32_e32 v5, 28, v96
	v_cmp_gt_i64_e32 vcc, 0, v[4:5]
	v_not_b32_e32 v5, v5
	v_ashrrev_i32_e32 v5, 31, v5
	v_and_b32_e32 v98, v98, v99
	;; [unrolled: 8-line block ×5, first 2 shown]
	v_xor_b32_e32 v99, vcc_hi, v5
	v_xor_b32_e32 v5, vcc_lo, v5
	v_and_b32_e32 v98, v98, v99
	v_and_b32_e32 v99, v97, v5
	v_lshlrev_b32_e32 v5, 24, v96
	v_cmp_gt_i64_e32 vcc, 0, v[4:5]
	v_not_b32_e32 v5, v5
	v_ashrrev_i32_e32 v5, 31, v5
	v_xor_b32_e32 v96, vcc_hi, v5
	v_xor_b32_e32 v5, vcc_lo, v5
	v_and_b32_e32 v97, v98, v96
	v_and_b32_e32 v96, v99, v5
	v_mbcnt_lo_u32_b32 v5, v96, 0
	v_mbcnt_hi_u32_b32 v227, v97, v5
	v_cmp_eq_u32_e32 vcc, 0, v227
	v_cmp_ne_u64_e64 s[36:37], 0, v[96:97]
	s_and_b64 s[38:39], s[36:37], vcc
	; wave barrier
	s_and_saveexec_b64 s[36:37], s[38:39]
	s_cbranch_execz .LBB1222_164
; %bb.163:                              ;   in Loop: Header=BB1222_98 Depth=2
	v_bcnt_u32_b32 v5, v96, 0
	v_bcnt_u32_b32 v5, v97, v5
	s_waitcnt lgkmcnt(0)
	v_add_u32_e32 v5, v225, v5
	ds_write_b32 v226, v5
.LBB1222_164:                           ;   in Loop: Header=BB1222_98 Depth=2
	s_or_b64 exec, exec, s[36:37]
	v_cmp_lt_i64_e32 vcc, -1, v[70:71]
	v_cndmask_b32_e32 v5, -1, v133, vcc
	v_ashrrev_i32_e32 v96, 31, v71
	v_xor_b32_e32 v71, v5, v71
	v_xor_b32_e32 v70, v96, v70
	v_cmp_ne_u64_e32 vcc, s[78:79], v[70:71]
	v_cndmask_b32_e32 v97, v133, v71, vcc
	v_cndmask_b32_e32 v96, 0, v70, vcc
	v_lshrrev_b64 v[96:97], s33, v[96:97]
	v_and_b32_e32 v96, s69, v96
	v_mul_u32_u24_e32 v5, 5, v96
	v_add_lshl_u32 v5, v5, v178, 2
	; wave barrier
	v_add_u32_e32 v229, 0x410, v5
	ds_read_b32 v228, v5 offset:1040
	v_and_b32_e32 v5, 1, v96
	v_add_co_u32_e32 v97, vcc, -1, v5
	v_addc_co_u32_e64 v98, s[36:37], 0, -1, vcc
	v_cmp_ne_u32_e32 vcc, 0, v5
	v_xor_b32_e32 v5, vcc_hi, v98
	v_and_b32_e32 v98, exec_hi, v5
	v_lshlrev_b32_e32 v5, 30, v96
	v_xor_b32_e32 v97, vcc_lo, v97
	v_cmp_gt_i64_e32 vcc, 0, v[4:5]
	v_not_b32_e32 v5, v5
	v_ashrrev_i32_e32 v5, 31, v5
	v_and_b32_e32 v97, exec_lo, v97
	v_xor_b32_e32 v99, vcc_hi, v5
	v_xor_b32_e32 v5, vcc_lo, v5
	v_and_b32_e32 v97, v97, v5
	v_lshlrev_b32_e32 v5, 29, v96
	v_cmp_gt_i64_e32 vcc, 0, v[4:5]
	v_not_b32_e32 v5, v5
	v_ashrrev_i32_e32 v5, 31, v5
	v_and_b32_e32 v98, v98, v99
	v_xor_b32_e32 v99, vcc_hi, v5
	v_xor_b32_e32 v5, vcc_lo, v5
	v_and_b32_e32 v97, v97, v5
	v_lshlrev_b32_e32 v5, 28, v96
	v_cmp_gt_i64_e32 vcc, 0, v[4:5]
	v_not_b32_e32 v5, v5
	v_ashrrev_i32_e32 v5, 31, v5
	v_and_b32_e32 v98, v98, v99
	;; [unrolled: 8-line block ×5, first 2 shown]
	v_xor_b32_e32 v99, vcc_hi, v5
	v_xor_b32_e32 v5, vcc_lo, v5
	v_and_b32_e32 v98, v98, v99
	v_and_b32_e32 v99, v97, v5
	v_lshlrev_b32_e32 v5, 24, v96
	v_cmp_gt_i64_e32 vcc, 0, v[4:5]
	v_not_b32_e32 v5, v5
	v_ashrrev_i32_e32 v5, 31, v5
	v_xor_b32_e32 v96, vcc_hi, v5
	v_xor_b32_e32 v5, vcc_lo, v5
	v_and_b32_e32 v97, v98, v96
	v_and_b32_e32 v96, v99, v5
	v_mbcnt_lo_u32_b32 v5, v96, 0
	v_mbcnt_hi_u32_b32 v230, v97, v5
	v_cmp_eq_u32_e32 vcc, 0, v230
	v_cmp_ne_u64_e64 s[36:37], 0, v[96:97]
	s_and_b64 s[38:39], s[36:37], vcc
	; wave barrier
	s_and_saveexec_b64 s[36:37], s[38:39]
	s_cbranch_execz .LBB1222_166
; %bb.165:                              ;   in Loop: Header=BB1222_98 Depth=2
	v_bcnt_u32_b32 v5, v96, 0
	v_bcnt_u32_b32 v5, v97, v5
	s_waitcnt lgkmcnt(0)
	v_add_u32_e32 v5, v228, v5
	ds_write_b32 v229, v5
.LBB1222_166:                           ;   in Loop: Header=BB1222_98 Depth=2
	s_or_b64 exec, exec, s[36:37]
	; wave barrier
	s_waitcnt lgkmcnt(0)
	s_barrier
	ds_read_b32 v5, v27 offset:1040
	ds_read2_b32 v[98:99], v31 offset0:1 offset1:2
	ds_read2_b32 v[96:97], v31 offset0:3 offset1:4
	s_waitcnt lgkmcnt(1)
	v_add3_u32 v231, v98, v5, v99
	s_waitcnt lgkmcnt(0)
	v_add3_u32 v97, v231, v96, v97
	s_nop 1
	v_mov_b32_dpp v231, v97 row_shr:1 row_mask:0xf bank_mask:0xf
	v_cndmask_b32_e64 v231, v231, 0, s[16:17]
	v_add_u32_e32 v97, v231, v97
	s_nop 1
	v_mov_b32_dpp v231, v97 row_shr:2 row_mask:0xf bank_mask:0xf
	v_cndmask_b32_e64 v231, 0, v231, s[18:19]
	v_add_u32_e32 v97, v97, v231
	;; [unrolled: 4-line block ×4, first 2 shown]
	s_nop 1
	v_mov_b32_dpp v231, v97 row_bcast:15 row_mask:0xf bank_mask:0xf
	v_cndmask_b32_e64 v231, v231, 0, s[24:25]
	v_add_u32_e32 v97, v97, v231
	s_nop 1
	v_mov_b32_dpp v231, v97 row_bcast:31 row_mask:0xf bank_mask:0xf
	v_cndmask_b32_e64 v231, 0, v231, s[26:27]
	v_add_u32_e32 v97, v97, v231
	s_and_saveexec_b64 s[36:37], s[6:7]
	s_cbranch_execz .LBB1222_168
; %bb.167:                              ;   in Loop: Header=BB1222_98 Depth=2
	ds_write_b32 v15, v97 offset:1024
.LBB1222_168:                           ;   in Loop: Header=BB1222_98 Depth=2
	s_or_b64 exec, exec, s[36:37]
	s_waitcnt lgkmcnt(0)
	s_barrier
	s_and_saveexec_b64 s[36:37], s[8:9]
	s_cbranch_execz .LBB1222_170
; %bb.169:                              ;   in Loop: Header=BB1222_98 Depth=2
	ds_read_b32 v231, v33 offset:1024
	s_waitcnt lgkmcnt(0)
	s_nop 0
	v_mov_b32_dpp v232, v231 row_shr:1 row_mask:0xf bank_mask:0xf
	v_cndmask_b32_e64 v232, v232, 0, s[30:31]
	v_add_u32_e32 v231, v232, v231
	s_nop 1
	v_mov_b32_dpp v232, v231 row_shr:2 row_mask:0xf bank_mask:0xf
	v_cndmask_b32_e64 v232, 0, v232, s[34:35]
	v_add_u32_e32 v231, v231, v232
	ds_write_b32 v33, v231 offset:1024
.LBB1222_170:                           ;   in Loop: Header=BB1222_98 Depth=2
	s_or_b64 exec, exec, s[36:37]
	v_mov_b32_e32 v231, 0
	s_waitcnt lgkmcnt(0)
	s_barrier
	s_and_saveexec_b64 s[36:37], s[10:11]
	s_cbranch_execz .LBB1222_172
; %bb.171:                              ;   in Loop: Header=BB1222_98 Depth=2
	ds_read_b32 v231, v15 offset:1020
.LBB1222_172:                           ;   in Loop: Header=BB1222_98 Depth=2
	s_or_b64 exec, exec, s[36:37]
	s_waitcnt lgkmcnt(0)
	v_add_u32_e32 v97, v231, v97
	ds_bpermute_b32 v97, v159, v97
	s_waitcnt lgkmcnt(0)
	v_cndmask_b32_e64 v97, v97, v231, s[28:29]
	v_cndmask_b32_e64 v97, v97, 0, s[12:13]
	v_add_u32_e32 v5, v97, v5
	ds_write_b32 v27, v97 offset:1040
	v_add_u32_e32 v97, v5, v98
	v_add_u32_e32 v98, v97, v99
	ds_write2_b32 v31, v5, v97 offset0:1 offset1:2
	v_add_u32_e32 v5, v98, v96
	ds_write2_b32 v31, v98, v5 offset0:3 offset1:4
	s_waitcnt lgkmcnt(0)
	s_barrier
	ds_read_b32 v97, v187
	ds_read_b32 v235, v190
	;; [unrolled: 1-line block ×16, first 2 shown]
	ds_read_b32 v184, v27 offset:1040
	v_mov_b32_e32 v5, 0x1000
	s_and_saveexec_b64 s[36:37], s[14:15]
	s_cbranch_execz .LBB1222_174
; %bb.173:                              ;   in Loop: Header=BB1222_98 Depth=2
	ds_read_b32 v5, v27 offset:1060
.LBB1222_174:                           ;   in Loop: Header=BB1222_98 Depth=2
	s_or_b64 exec, exec, s[36:37]
	s_waitcnt lgkmcnt(0)
	s_barrier
	s_and_saveexec_b64 s[36:37], s[4:5]
	s_cbranch_execz .LBB1222_176
; %bb.175:                              ;   in Loop: Header=BB1222_98 Depth=2
	ds_read_b32 v208, v3
	s_waitcnt lgkmcnt(0)
	v_sub_u32_e32 v184, v208, v184
	ds_write_b32 v3, v184
.LBB1222_176:                           ;   in Loop: Header=BB1222_98 Depth=2
	s_or_b64 exec, exec, s[36:37]
	v_add_u32_e32 v186, v188, v186
	v_add_u32_e32 v189, v191, v189
	v_add_lshl_u32 v96, v96, v185, 3
	v_add_lshl_u32 v97, v186, v97, 3
	v_add_u32_e32 v198, v200, v198
	v_add_u32_e32 v195, v197, v195
	;; [unrolled: 1-line block ×3, first 2 shown]
	ds_write_b64 v96, v[64:65] offset:1024
	ds_write_b64 v97, v[66:67] offset:1024
	v_add_lshl_u32 v66, v189, v235, 3
	v_add_u32_e32 v213, v215, v213
	v_add_u32_e32 v210, v212, v210
	;; [unrolled: 1-line block ×5, first 2 shown]
	ds_write_b64 v66, v[74:75] offset:1024
	v_add_lshl_u32 v67, v192, v234, 3
	v_add_lshl_u32 v74, v195, v233, 3
	;; [unrolled: 1-line block ×3, first 2 shown]
	v_add_u32_e32 v216, v218, v216
	ds_write_b64 v67, v[78:79] offset:1024
	ds_write_b64 v74, v[82:83] offset:1024
	ds_write_b64 v75, v[86:87] offset:1024
	v_add_lshl_u32 v78, v201, v231, 3
	v_add_lshl_u32 v79, v204, v205, 3
	;; [unrolled: 1-line block ×5, first 2 shown]
	v_add_u32_e32 v214, v221, v219
	ds_write_b64 v78, v[90:91] offset:1024
	ds_write_b64 v79, v[94:95] offset:1024
	;; [unrolled: 1-line block ×5, first 2 shown]
	v_add_lshl_u32 v84, v216, v193, 3
	v_add_u32_e32 v211, v224, v222
	ds_write_b64 v84, v[80:81] offset:1024
	v_add_lshl_u32 v80, v214, v190, 3
	v_add_u32_e32 v208, v227, v225
	ds_write_b64 v80, v[76:77] offset:1024
	;; [unrolled: 3-line block ×3, first 2 shown]
	v_add_lshl_u32 v72, v208, v99, 3
	ds_write_b64 v72, v[68:69] offset:1024
	v_add_lshl_u32 v68, v184, v98, 3
	v_cmp_lt_u32_e64 s[36:37], v2, v183
	ds_write_b64 v68, v[70:71] offset:1024
	s_waitcnt lgkmcnt(0)
	s_barrier
	s_and_saveexec_b64 s[40:41], s[36:37]
	s_cbranch_execz .LBB1222_192
; %bb.177:                              ;   in Loop: Header=BB1222_98 Depth=2
	v_add_u32_e32 v64, v33, v3
	ds_read_b64 v[64:65], v64 offset:1024
	v_mov_b32_e32 v71, v4
	s_waitcnt lgkmcnt(0)
	v_cmp_ne_u64_e32 vcc, s[78:79], v[64:65]
	v_cndmask_b32_e32 v89, v133, v65, vcc
	v_cndmask_b32_e32 v88, 0, v64, vcc
	v_lshrrev_b64 v[88:89], s33, v[88:89]
	v_and_b32_e32 v70, s69, v88
	v_lshlrev_b32_e32 v70, 2, v70
	ds_read_b32 v70, v70
	v_cmp_lt_i64_e64 s[38:39], -1, v[64:65]
	v_cndmask_b32_e64 v69, v133, -1, s[38:39]
	v_ashrrev_i32_e32 v73, 31, v65
	v_not_b32_e32 v73, v73
	s_waitcnt lgkmcnt(0)
	v_add_u32_e32 v70, v70, v2
	v_lshlrev_b64 v[70:71], 3, v[70:71]
	v_xor_b32_e32 v65, v69, v65
	v_mov_b32_e32 v69, s75
	v_add_co_u32_e32 v70, vcc, s74, v70
	v_xor_b32_e32 v64, v73, v64
	v_addc_co_u32_e32 v71, vcc, v69, v71, vcc
	global_store_dwordx2 v[70:71], v[64:65], off
	s_or_b64 exec, exec, s[40:41]
	v_cmp_lt_u32_e64 s[38:39], v7, v183
	s_and_saveexec_b64 s[42:43], s[38:39]
	s_cbranch_execnz .LBB1222_193
.LBB1222_178:                           ;   in Loop: Header=BB1222_98 Depth=2
	s_or_b64 exec, exec, s[42:43]
	v_cmp_lt_u32_e64 s[40:41], v6, v183
	s_and_saveexec_b64 s[44:45], s[40:41]
	s_cbranch_execz .LBB1222_194
.LBB1222_179:                           ;   in Loop: Header=BB1222_98 Depth=2
	ds_read_b64 v[64:65], v104 offset:4096
	v_mov_b32_e32 v71, v4
	s_waitcnt lgkmcnt(0)
	v_cmp_ne_u64_e32 vcc, s[78:79], v[64:65]
	v_cndmask_b32_e32 v89, v133, v65, vcc
	v_cndmask_b32_e32 v88, 0, v64, vcc
	v_lshrrev_b64 v[88:89], s33, v[88:89]
	v_and_b32_e32 v70, s69, v88
	v_lshlrev_b32_e32 v70, 2, v70
	ds_read_b32 v70, v70
	v_cmp_lt_i64_e64 s[42:43], -1, v[64:65]
	v_cndmask_b32_e64 v69, v133, -1, s[42:43]
	v_ashrrev_i32_e32 v73, 31, v65
	v_not_b32_e32 v73, v73
	s_waitcnt lgkmcnt(0)
	v_add_u32_e32 v70, v70, v6
	v_lshlrev_b64 v[70:71], 3, v[70:71]
	v_xor_b32_e32 v65, v69, v65
	v_mov_b32_e32 v69, s75
	v_add_co_u32_e32 v70, vcc, s74, v70
	v_xor_b32_e32 v64, v73, v64
	v_addc_co_u32_e32 v71, vcc, v69, v71, vcc
	global_store_dwordx2 v[70:71], v[64:65], off
	s_or_b64 exec, exec, s[44:45]
	v_cmp_lt_u32_e64 s[42:43], v8, v183
	s_and_saveexec_b64 s[46:47], s[42:43]
	s_cbranch_execnz .LBB1222_195
.LBB1222_180:                           ;   in Loop: Header=BB1222_98 Depth=2
	s_or_b64 exec, exec, s[46:47]
	v_cmp_lt_u32_e64 s[44:45], v10, v183
	s_and_saveexec_b64 s[48:49], s[44:45]
	s_cbranch_execz .LBB1222_196
.LBB1222_181:                           ;   in Loop: Header=BB1222_98 Depth=2
	ds_read_b64 v[64:65], v104 offset:8192
	v_mov_b32_e32 v71, v4
	s_waitcnt lgkmcnt(0)
	v_cmp_ne_u64_e32 vcc, s[78:79], v[64:65]
	v_cndmask_b32_e32 v89, v133, v65, vcc
	v_cndmask_b32_e32 v88, 0, v64, vcc
	v_lshrrev_b64 v[88:89], s33, v[88:89]
	v_and_b32_e32 v70, s69, v88
	v_lshlrev_b32_e32 v70, 2, v70
	ds_read_b32 v70, v70
	v_cmp_lt_i64_e64 s[46:47], -1, v[64:65]
	v_cndmask_b32_e64 v69, v133, -1, s[46:47]
	v_ashrrev_i32_e32 v73, 31, v65
	v_not_b32_e32 v73, v73
	s_waitcnt lgkmcnt(0)
	v_add_u32_e32 v70, v70, v10
	v_lshlrev_b64 v[70:71], 3, v[70:71]
	v_xor_b32_e32 v65, v69, v65
	v_mov_b32_e32 v69, s75
	v_add_co_u32_e32 v70, vcc, s74, v70
	v_xor_b32_e32 v64, v73, v64
	v_addc_co_u32_e32 v71, vcc, v69, v71, vcc
	global_store_dwordx2 v[70:71], v[64:65], off
	s_or_b64 exec, exec, s[48:49]
	v_cmp_lt_u32_e64 s[46:47], v12, v183
	s_and_saveexec_b64 s[50:51], s[46:47]
	s_cbranch_execnz .LBB1222_197
.LBB1222_182:                           ;   in Loop: Header=BB1222_98 Depth=2
	s_or_b64 exec, exec, s[50:51]
	v_cmp_lt_u32_e64 s[48:49], v14, v183
	s_and_saveexec_b64 s[52:53], s[48:49]
	s_cbranch_execz .LBB1222_198
.LBB1222_183:                           ;   in Loop: Header=BB1222_98 Depth=2
	ds_read_b64 v[64:65], v104 offset:12288
	v_mov_b32_e32 v71, v4
	s_waitcnt lgkmcnt(0)
	v_cmp_ne_u64_e32 vcc, s[78:79], v[64:65]
	v_cndmask_b32_e32 v89, v133, v65, vcc
	v_cndmask_b32_e32 v88, 0, v64, vcc
	v_lshrrev_b64 v[88:89], s33, v[88:89]
	v_and_b32_e32 v70, s69, v88
	v_lshlrev_b32_e32 v70, 2, v70
	ds_read_b32 v70, v70
	v_cmp_lt_i64_e64 s[50:51], -1, v[64:65]
	v_cndmask_b32_e64 v69, v133, -1, s[50:51]
	v_ashrrev_i32_e32 v73, 31, v65
	v_not_b32_e32 v73, v73
	s_waitcnt lgkmcnt(0)
	v_add_u32_e32 v70, v70, v14
	v_lshlrev_b64 v[70:71], 3, v[70:71]
	v_xor_b32_e32 v65, v69, v65
	v_mov_b32_e32 v69, s75
	v_add_co_u32_e32 v70, vcc, s74, v70
	v_xor_b32_e32 v64, v73, v64
	v_addc_co_u32_e32 v71, vcc, v69, v71, vcc
	global_store_dwordx2 v[70:71], v[64:65], off
	s_or_b64 exec, exec, s[52:53]
	v_cmp_lt_u32_e64 s[50:51], v16, v183
	s_and_saveexec_b64 s[54:55], s[50:51]
	s_cbranch_execnz .LBB1222_199
.LBB1222_184:                           ;   in Loop: Header=BB1222_98 Depth=2
	s_or_b64 exec, exec, s[54:55]
	v_cmp_lt_u32_e64 s[52:53], v18, v183
	s_and_saveexec_b64 s[56:57], s[52:53]
	s_cbranch_execz .LBB1222_200
.LBB1222_185:                           ;   in Loop: Header=BB1222_98 Depth=2
	ds_read_b64 v[64:65], v104 offset:16384
	v_mov_b32_e32 v71, v4
	s_waitcnt lgkmcnt(0)
	v_cmp_ne_u64_e32 vcc, s[78:79], v[64:65]
	v_cndmask_b32_e32 v89, v133, v65, vcc
	v_cndmask_b32_e32 v88, 0, v64, vcc
	v_lshrrev_b64 v[88:89], s33, v[88:89]
	v_and_b32_e32 v70, s69, v88
	v_lshlrev_b32_e32 v70, 2, v70
	ds_read_b32 v70, v70
	v_cmp_lt_i64_e64 s[54:55], -1, v[64:65]
	v_cndmask_b32_e64 v69, v133, -1, s[54:55]
	v_ashrrev_i32_e32 v73, 31, v65
	v_not_b32_e32 v73, v73
	s_waitcnt lgkmcnt(0)
	v_add_u32_e32 v70, v70, v18
	v_lshlrev_b64 v[70:71], 3, v[70:71]
	v_xor_b32_e32 v65, v69, v65
	v_mov_b32_e32 v69, s75
	v_add_co_u32_e32 v70, vcc, s74, v70
	v_xor_b32_e32 v64, v73, v64
	v_addc_co_u32_e32 v71, vcc, v69, v71, vcc
	global_store_dwordx2 v[70:71], v[64:65], off
	s_or_b64 exec, exec, s[56:57]
	v_cmp_lt_u32_e64 s[54:55], v20, v183
	s_and_saveexec_b64 s[58:59], s[54:55]
	s_cbranch_execnz .LBB1222_201
.LBB1222_186:                           ;   in Loop: Header=BB1222_98 Depth=2
	s_or_b64 exec, exec, s[58:59]
	v_cmp_lt_u32_e64 s[56:57], v22, v183
	s_and_saveexec_b64 s[60:61], s[56:57]
	s_cbranch_execz .LBB1222_202
.LBB1222_187:                           ;   in Loop: Header=BB1222_98 Depth=2
	ds_read_b64 v[64:65], v104 offset:20480
	v_mov_b32_e32 v71, v4
	s_waitcnt lgkmcnt(0)
	v_cmp_ne_u64_e32 vcc, s[78:79], v[64:65]
	v_cndmask_b32_e32 v89, v133, v65, vcc
	v_cndmask_b32_e32 v88, 0, v64, vcc
	v_lshrrev_b64 v[88:89], s33, v[88:89]
	v_and_b32_e32 v70, s69, v88
	v_lshlrev_b32_e32 v70, 2, v70
	ds_read_b32 v70, v70
	v_cmp_lt_i64_e64 s[58:59], -1, v[64:65]
	v_cndmask_b32_e64 v69, v133, -1, s[58:59]
	v_ashrrev_i32_e32 v73, 31, v65
	v_not_b32_e32 v73, v73
	s_waitcnt lgkmcnt(0)
	v_add_u32_e32 v70, v70, v22
	v_lshlrev_b64 v[70:71], 3, v[70:71]
	v_xor_b32_e32 v65, v69, v65
	v_mov_b32_e32 v69, s75
	v_add_co_u32_e32 v70, vcc, s74, v70
	v_xor_b32_e32 v64, v73, v64
	v_addc_co_u32_e32 v71, vcc, v69, v71, vcc
	global_store_dwordx2 v[70:71], v[64:65], off
	s_or_b64 exec, exec, s[60:61]
	v_cmp_lt_u32_e64 s[58:59], v24, v183
	s_and_saveexec_b64 s[62:63], s[58:59]
	s_cbranch_execnz .LBB1222_203
.LBB1222_188:                           ;   in Loop: Header=BB1222_98 Depth=2
	s_or_b64 exec, exec, s[62:63]
	v_cmp_lt_u32_e64 s[60:61], v26, v183
	s_and_saveexec_b64 s[64:65], s[60:61]
	s_cbranch_execz .LBB1222_204
.LBB1222_189:                           ;   in Loop: Header=BB1222_98 Depth=2
	ds_read_b64 v[64:65], v104 offset:24576
	v_mov_b32_e32 v71, v4
	s_waitcnt lgkmcnt(0)
	v_cmp_ne_u64_e32 vcc, s[78:79], v[64:65]
	v_cndmask_b32_e32 v89, v133, v65, vcc
	v_cndmask_b32_e32 v88, 0, v64, vcc
	v_lshrrev_b64 v[88:89], s33, v[88:89]
	v_and_b32_e32 v70, s69, v88
	v_lshlrev_b32_e32 v70, 2, v70
	ds_read_b32 v70, v70
	v_cmp_lt_i64_e64 s[62:63], -1, v[64:65]
	v_cndmask_b32_e64 v69, v133, -1, s[62:63]
	v_ashrrev_i32_e32 v73, 31, v65
	v_not_b32_e32 v73, v73
	s_waitcnt lgkmcnt(0)
	v_add_u32_e32 v70, v70, v26
	v_lshlrev_b64 v[70:71], 3, v[70:71]
	v_xor_b32_e32 v65, v69, v65
	v_mov_b32_e32 v69, s75
	v_add_co_u32_e32 v70, vcc, s74, v70
	v_xor_b32_e32 v64, v73, v64
	v_addc_co_u32_e32 v71, vcc, v69, v71, vcc
	global_store_dwordx2 v[70:71], v[64:65], off
	s_or_b64 exec, exec, s[64:65]
	v_cmp_lt_u32_e64 s[62:63], v28, v183
	s_and_saveexec_b64 s[66:67], s[62:63]
	s_cbranch_execnz .LBB1222_205
.LBB1222_190:                           ;   in Loop: Header=BB1222_98 Depth=2
	s_or_b64 exec, exec, s[66:67]
	v_cmp_lt_u32_e64 s[64:65], v30, v183
	s_and_saveexec_b64 s[92:93], s[64:65]
	s_cbranch_execz .LBB1222_206
.LBB1222_191:                           ;   in Loop: Header=BB1222_98 Depth=2
	ds_read_b64 v[64:65], v104 offset:28672
	v_mov_b32_e32 v71, v4
	s_waitcnt lgkmcnt(0)
	v_cmp_ne_u64_e32 vcc, s[78:79], v[64:65]
	v_cndmask_b32_e32 v89, v133, v65, vcc
	v_cndmask_b32_e32 v88, 0, v64, vcc
	v_lshrrev_b64 v[88:89], s33, v[88:89]
	v_and_b32_e32 v70, s69, v88
	v_lshlrev_b32_e32 v70, 2, v70
	ds_read_b32 v70, v70
	v_cmp_lt_i64_e64 s[66:67], -1, v[64:65]
	v_cndmask_b32_e64 v69, v133, -1, s[66:67]
	v_ashrrev_i32_e32 v73, 31, v65
	v_not_b32_e32 v73, v73
	s_waitcnt lgkmcnt(0)
	v_add_u32_e32 v70, v70, v30
	v_lshlrev_b64 v[70:71], 3, v[70:71]
	v_xor_b32_e32 v65, v69, v65
	v_mov_b32_e32 v69, s75
	v_add_co_u32_e32 v70, vcc, s74, v70
	v_xor_b32_e32 v64, v73, v64
	v_addc_co_u32_e32 v71, vcc, v69, v71, vcc
	global_store_dwordx2 v[70:71], v[64:65], off
	s_or_b64 exec, exec, s[92:93]
	v_cmp_lt_u32_e64 s[66:67], v32, v183
	s_and_saveexec_b64 s[92:93], s[66:67]
	s_cbranch_execnz .LBB1222_207
	s_branch .LBB1222_208
.LBB1222_192:                           ;   in Loop: Header=BB1222_98 Depth=2
	s_or_b64 exec, exec, s[40:41]
	v_cmp_lt_u32_e64 s[38:39], v7, v183
	s_and_saveexec_b64 s[42:43], s[38:39]
	s_cbranch_execz .LBB1222_178
.LBB1222_193:                           ;   in Loop: Header=BB1222_98 Depth=2
	ds_read_b64 v[64:65], v104 offset:2048
	v_mov_b32_e32 v71, v4
	s_waitcnt lgkmcnt(0)
	v_cmp_ne_u64_e32 vcc, s[78:79], v[64:65]
	v_cndmask_b32_e32 v89, v133, v65, vcc
	v_cndmask_b32_e32 v88, 0, v64, vcc
	v_lshrrev_b64 v[88:89], s33, v[88:89]
	v_and_b32_e32 v70, s69, v88
	v_lshlrev_b32_e32 v70, 2, v70
	ds_read_b32 v70, v70
	v_cmp_lt_i64_e64 s[40:41], -1, v[64:65]
	v_cndmask_b32_e64 v69, v133, -1, s[40:41]
	v_ashrrev_i32_e32 v73, 31, v65
	v_not_b32_e32 v73, v73
	s_waitcnt lgkmcnt(0)
	v_add_u32_e32 v70, v70, v7
	v_lshlrev_b64 v[70:71], 3, v[70:71]
	v_xor_b32_e32 v65, v69, v65
	v_mov_b32_e32 v69, s75
	v_add_co_u32_e32 v70, vcc, s74, v70
	v_xor_b32_e32 v64, v73, v64
	v_addc_co_u32_e32 v71, vcc, v69, v71, vcc
	global_store_dwordx2 v[70:71], v[64:65], off
	s_or_b64 exec, exec, s[42:43]
	v_cmp_lt_u32_e64 s[40:41], v6, v183
	s_and_saveexec_b64 s[44:45], s[40:41]
	s_cbranch_execnz .LBB1222_179
.LBB1222_194:                           ;   in Loop: Header=BB1222_98 Depth=2
	s_or_b64 exec, exec, s[44:45]
	v_cmp_lt_u32_e64 s[42:43], v8, v183
	s_and_saveexec_b64 s[46:47], s[42:43]
	s_cbranch_execz .LBB1222_180
.LBB1222_195:                           ;   in Loop: Header=BB1222_98 Depth=2
	ds_read_b64 v[64:65], v104 offset:6144
	v_mov_b32_e32 v71, v4
	s_waitcnt lgkmcnt(0)
	v_cmp_ne_u64_e32 vcc, s[78:79], v[64:65]
	v_cndmask_b32_e32 v89, v133, v65, vcc
	v_cndmask_b32_e32 v88, 0, v64, vcc
	v_lshrrev_b64 v[88:89], s33, v[88:89]
	v_and_b32_e32 v70, s69, v88
	v_lshlrev_b32_e32 v70, 2, v70
	ds_read_b32 v70, v70
	v_cmp_lt_i64_e64 s[44:45], -1, v[64:65]
	v_cndmask_b32_e64 v69, v133, -1, s[44:45]
	v_ashrrev_i32_e32 v73, 31, v65
	v_not_b32_e32 v73, v73
	s_waitcnt lgkmcnt(0)
	v_add_u32_e32 v70, v70, v8
	v_lshlrev_b64 v[70:71], 3, v[70:71]
	v_xor_b32_e32 v65, v69, v65
	v_mov_b32_e32 v69, s75
	v_add_co_u32_e32 v70, vcc, s74, v70
	v_xor_b32_e32 v64, v73, v64
	v_addc_co_u32_e32 v71, vcc, v69, v71, vcc
	global_store_dwordx2 v[70:71], v[64:65], off
	s_or_b64 exec, exec, s[46:47]
	v_cmp_lt_u32_e64 s[44:45], v10, v183
	s_and_saveexec_b64 s[48:49], s[44:45]
	s_cbranch_execnz .LBB1222_181
.LBB1222_196:                           ;   in Loop: Header=BB1222_98 Depth=2
	s_or_b64 exec, exec, s[48:49]
	v_cmp_lt_u32_e64 s[46:47], v12, v183
	s_and_saveexec_b64 s[50:51], s[46:47]
	s_cbranch_execz .LBB1222_182
.LBB1222_197:                           ;   in Loop: Header=BB1222_98 Depth=2
	ds_read_b64 v[64:65], v104 offset:10240
	v_mov_b32_e32 v71, v4
	s_waitcnt lgkmcnt(0)
	v_cmp_ne_u64_e32 vcc, s[78:79], v[64:65]
	v_cndmask_b32_e32 v89, v133, v65, vcc
	v_cndmask_b32_e32 v88, 0, v64, vcc
	v_lshrrev_b64 v[88:89], s33, v[88:89]
	v_and_b32_e32 v70, s69, v88
	v_lshlrev_b32_e32 v70, 2, v70
	ds_read_b32 v70, v70
	v_cmp_lt_i64_e64 s[48:49], -1, v[64:65]
	v_cndmask_b32_e64 v69, v133, -1, s[48:49]
	v_ashrrev_i32_e32 v73, 31, v65
	v_not_b32_e32 v73, v73
	s_waitcnt lgkmcnt(0)
	v_add_u32_e32 v70, v70, v12
	v_lshlrev_b64 v[70:71], 3, v[70:71]
	v_xor_b32_e32 v65, v69, v65
	v_mov_b32_e32 v69, s75
	v_add_co_u32_e32 v70, vcc, s74, v70
	v_xor_b32_e32 v64, v73, v64
	v_addc_co_u32_e32 v71, vcc, v69, v71, vcc
	global_store_dwordx2 v[70:71], v[64:65], off
	s_or_b64 exec, exec, s[50:51]
	v_cmp_lt_u32_e64 s[48:49], v14, v183
	s_and_saveexec_b64 s[52:53], s[48:49]
	s_cbranch_execnz .LBB1222_183
.LBB1222_198:                           ;   in Loop: Header=BB1222_98 Depth=2
	s_or_b64 exec, exec, s[52:53]
	v_cmp_lt_u32_e64 s[50:51], v16, v183
	s_and_saveexec_b64 s[54:55], s[50:51]
	s_cbranch_execz .LBB1222_184
.LBB1222_199:                           ;   in Loop: Header=BB1222_98 Depth=2
	ds_read_b64 v[64:65], v104 offset:14336
	v_mov_b32_e32 v71, v4
	s_waitcnt lgkmcnt(0)
	v_cmp_ne_u64_e32 vcc, s[78:79], v[64:65]
	v_cndmask_b32_e32 v89, v133, v65, vcc
	v_cndmask_b32_e32 v88, 0, v64, vcc
	v_lshrrev_b64 v[88:89], s33, v[88:89]
	v_and_b32_e32 v70, s69, v88
	v_lshlrev_b32_e32 v70, 2, v70
	ds_read_b32 v70, v70
	v_cmp_lt_i64_e64 s[52:53], -1, v[64:65]
	v_cndmask_b32_e64 v69, v133, -1, s[52:53]
	v_ashrrev_i32_e32 v73, 31, v65
	v_not_b32_e32 v73, v73
	s_waitcnt lgkmcnt(0)
	v_add_u32_e32 v70, v70, v16
	v_lshlrev_b64 v[70:71], 3, v[70:71]
	v_xor_b32_e32 v65, v69, v65
	v_mov_b32_e32 v69, s75
	v_add_co_u32_e32 v70, vcc, s74, v70
	v_xor_b32_e32 v64, v73, v64
	v_addc_co_u32_e32 v71, vcc, v69, v71, vcc
	global_store_dwordx2 v[70:71], v[64:65], off
	s_or_b64 exec, exec, s[54:55]
	v_cmp_lt_u32_e64 s[52:53], v18, v183
	s_and_saveexec_b64 s[56:57], s[52:53]
	s_cbranch_execnz .LBB1222_185
.LBB1222_200:                           ;   in Loop: Header=BB1222_98 Depth=2
	s_or_b64 exec, exec, s[56:57]
	v_cmp_lt_u32_e64 s[54:55], v20, v183
	s_and_saveexec_b64 s[58:59], s[54:55]
	s_cbranch_execz .LBB1222_186
.LBB1222_201:                           ;   in Loop: Header=BB1222_98 Depth=2
	ds_read_b64 v[64:65], v104 offset:18432
	v_mov_b32_e32 v71, v4
	s_waitcnt lgkmcnt(0)
	v_cmp_ne_u64_e32 vcc, s[78:79], v[64:65]
	v_cndmask_b32_e32 v89, v133, v65, vcc
	v_cndmask_b32_e32 v88, 0, v64, vcc
	v_lshrrev_b64 v[88:89], s33, v[88:89]
	v_and_b32_e32 v70, s69, v88
	v_lshlrev_b32_e32 v70, 2, v70
	ds_read_b32 v70, v70
	v_cmp_lt_i64_e64 s[56:57], -1, v[64:65]
	v_cndmask_b32_e64 v69, v133, -1, s[56:57]
	v_ashrrev_i32_e32 v73, 31, v65
	v_not_b32_e32 v73, v73
	s_waitcnt lgkmcnt(0)
	v_add_u32_e32 v70, v70, v20
	v_lshlrev_b64 v[70:71], 3, v[70:71]
	v_xor_b32_e32 v65, v69, v65
	v_mov_b32_e32 v69, s75
	v_add_co_u32_e32 v70, vcc, s74, v70
	v_xor_b32_e32 v64, v73, v64
	v_addc_co_u32_e32 v71, vcc, v69, v71, vcc
	global_store_dwordx2 v[70:71], v[64:65], off
	s_or_b64 exec, exec, s[58:59]
	v_cmp_lt_u32_e64 s[56:57], v22, v183
	s_and_saveexec_b64 s[60:61], s[56:57]
	s_cbranch_execnz .LBB1222_187
.LBB1222_202:                           ;   in Loop: Header=BB1222_98 Depth=2
	s_or_b64 exec, exec, s[60:61]
	v_cmp_lt_u32_e64 s[58:59], v24, v183
	s_and_saveexec_b64 s[62:63], s[58:59]
	s_cbranch_execz .LBB1222_188
.LBB1222_203:                           ;   in Loop: Header=BB1222_98 Depth=2
	ds_read_b64 v[64:65], v104 offset:22528
	v_mov_b32_e32 v71, v4
	s_waitcnt lgkmcnt(0)
	v_cmp_ne_u64_e32 vcc, s[78:79], v[64:65]
	v_cndmask_b32_e32 v89, v133, v65, vcc
	v_cndmask_b32_e32 v88, 0, v64, vcc
	v_lshrrev_b64 v[88:89], s33, v[88:89]
	v_and_b32_e32 v70, s69, v88
	v_lshlrev_b32_e32 v70, 2, v70
	ds_read_b32 v70, v70
	v_cmp_lt_i64_e64 s[60:61], -1, v[64:65]
	v_cndmask_b32_e64 v69, v133, -1, s[60:61]
	v_ashrrev_i32_e32 v73, 31, v65
	v_not_b32_e32 v73, v73
	s_waitcnt lgkmcnt(0)
	v_add_u32_e32 v70, v70, v24
	v_lshlrev_b64 v[70:71], 3, v[70:71]
	v_xor_b32_e32 v65, v69, v65
	v_mov_b32_e32 v69, s75
	v_add_co_u32_e32 v70, vcc, s74, v70
	v_xor_b32_e32 v64, v73, v64
	v_addc_co_u32_e32 v71, vcc, v69, v71, vcc
	global_store_dwordx2 v[70:71], v[64:65], off
	s_or_b64 exec, exec, s[62:63]
	v_cmp_lt_u32_e64 s[60:61], v26, v183
	s_and_saveexec_b64 s[64:65], s[60:61]
	s_cbranch_execnz .LBB1222_189
.LBB1222_204:                           ;   in Loop: Header=BB1222_98 Depth=2
	s_or_b64 exec, exec, s[64:65]
	v_cmp_lt_u32_e64 s[62:63], v28, v183
	s_and_saveexec_b64 s[66:67], s[62:63]
	s_cbranch_execz .LBB1222_190
.LBB1222_205:                           ;   in Loop: Header=BB1222_98 Depth=2
	ds_read_b64 v[64:65], v104 offset:26624
	v_mov_b32_e32 v71, v4
	s_waitcnt lgkmcnt(0)
	v_cmp_ne_u64_e32 vcc, s[78:79], v[64:65]
	v_cndmask_b32_e32 v89, v133, v65, vcc
	v_cndmask_b32_e32 v88, 0, v64, vcc
	v_lshrrev_b64 v[88:89], s33, v[88:89]
	v_and_b32_e32 v70, s69, v88
	v_lshlrev_b32_e32 v70, 2, v70
	ds_read_b32 v70, v70
	v_cmp_lt_i64_e64 s[64:65], -1, v[64:65]
	v_cndmask_b32_e64 v69, v133, -1, s[64:65]
	v_ashrrev_i32_e32 v73, 31, v65
	v_not_b32_e32 v73, v73
	s_waitcnt lgkmcnt(0)
	v_add_u32_e32 v70, v70, v28
	v_lshlrev_b64 v[70:71], 3, v[70:71]
	v_xor_b32_e32 v65, v69, v65
	v_mov_b32_e32 v69, s75
	v_add_co_u32_e32 v70, vcc, s74, v70
	v_xor_b32_e32 v64, v73, v64
	v_addc_co_u32_e32 v71, vcc, v69, v71, vcc
	global_store_dwordx2 v[70:71], v[64:65], off
	s_or_b64 exec, exec, s[66:67]
	v_cmp_lt_u32_e64 s[64:65], v30, v183
	s_and_saveexec_b64 s[92:93], s[64:65]
	s_cbranch_execnz .LBB1222_191
.LBB1222_206:                           ;   in Loop: Header=BB1222_98 Depth=2
	s_or_b64 exec, exec, s[92:93]
	v_cmp_lt_u32_e64 s[66:67], v32, v183
	s_and_saveexec_b64 s[92:93], s[66:67]
	s_cbranch_execz .LBB1222_208
.LBB1222_207:                           ;   in Loop: Header=BB1222_98 Depth=2
	ds_read_b64 v[64:65], v104 offset:30720
	s_waitcnt lgkmcnt(0)
	v_cmp_ne_u64_e32 vcc, s[78:79], v[64:65]
	v_cndmask_b32_e32 v71, v133, v65, vcc
	v_cndmask_b32_e32 v70, 0, v64, vcc
	v_lshrrev_b64 v[70:71], s33, v[70:71]
	v_and_b32_e32 v69, s69, v70
	v_lshlrev_b32_e32 v69, 2, v69
	ds_read_b32 v69, v69
	v_cmp_lt_i64_e32 vcc, -1, v[64:65]
	v_ashrrev_i32_e32 v71, 31, v65
	v_cndmask_b32_e64 v70, v133, -1, vcc
	v_not_b32_e32 v71, v71
	v_xor_b32_e32 v65, v70, v65
	v_xor_b32_e32 v64, v71, v64
	s_waitcnt lgkmcnt(0)
	v_add_u32_e32 v70, v69, v32
	v_mov_b32_e32 v71, v4
	v_lshlrev_b64 v[70:71], 3, v[70:71]
	v_add_co_u32_e32 v70, vcc, s74, v70
	v_mov_b32_e32 v69, s75
	v_addc_co_u32_e32 v71, vcc, v69, v71, vcc
	global_store_dwordx2 v[70:71], v[64:65], off
.LBB1222_208:                           ;   in Loop: Header=BB1222_98 Depth=2
	s_or_b64 exec, exec, s[92:93]
	s_lshl_b64 s[92:93], s[88:89], 3
	v_mov_b32_e32 v65, s93
	v_add_co_u32_e32 v64, vcc, s92, v160
	v_addc_co_u32_e32 v65, vcc, v161, v65, vcc
	v_cmp_lt_u32_e32 vcc, v143, v183
	s_and_saveexec_b64 s[92:93], vcc
	s_xor_b64 s[92:93], exec, s[92:93]
	s_cbranch_execz .LBB1222_240
; %bb.209:                              ;   in Loop: Header=BB1222_98 Depth=2
	global_load_dwordx2 v[62:63], v[64:65], off
	s_or_b64 exec, exec, s[92:93]
	v_cmp_lt_u32_e32 vcc, v144, v183
	s_and_saveexec_b64 s[92:93], vcc
	s_cbranch_execnz .LBB1222_241
.LBB1222_210:                           ;   in Loop: Header=BB1222_98 Depth=2
	s_or_b64 exec, exec, s[92:93]
	v_cmp_lt_u32_e32 vcc, v145, v183
	s_and_saveexec_b64 s[92:93], vcc
	s_cbranch_execz .LBB1222_242
.LBB1222_211:                           ;   in Loop: Header=BB1222_98 Depth=2
	global_load_dwordx2 v[56:57], v[64:65], off offset:1024
	s_or_b64 exec, exec, s[92:93]
	v_cmp_lt_u32_e32 vcc, v146, v183
	s_and_saveexec_b64 s[92:93], vcc
	s_cbranch_execnz .LBB1222_243
.LBB1222_212:                           ;   in Loop: Header=BB1222_98 Depth=2
	s_or_b64 exec, exec, s[92:93]
	v_cmp_lt_u32_e32 vcc, v147, v183
	s_and_saveexec_b64 s[92:93], vcc
	s_cbranch_execz .LBB1222_244
.LBB1222_213:                           ;   in Loop: Header=BB1222_98 Depth=2
	global_load_dwordx2 v[48:49], v[64:65], off offset:2048
	s_or_b64 exec, exec, s[92:93]
	v_cmp_lt_u32_e32 vcc, v148, v183
	s_and_saveexec_b64 s[92:93], vcc
	s_cbranch_execnz .LBB1222_245
.LBB1222_214:                           ;   in Loop: Header=BB1222_98 Depth=2
	s_or_b64 exec, exec, s[92:93]
	v_cmp_lt_u32_e32 vcc, v149, v183
	s_and_saveexec_b64 s[92:93], vcc
	s_cbranch_execz .LBB1222_246
.LBB1222_215:                           ;   in Loop: Header=BB1222_98 Depth=2
	global_load_dwordx2 v[40:41], v[64:65], off offset:3072
	s_or_b64 exec, exec, s[92:93]
	v_cmp_lt_u32_e32 vcc, v150, v183
	s_and_saveexec_b64 s[92:93], vcc
	s_cbranch_execnz .LBB1222_247
.LBB1222_216:                           ;   in Loop: Header=BB1222_98 Depth=2
	s_or_b64 exec, exec, s[92:93]
	v_cmp_lt_u32_e32 vcc, v151, v183
	s_and_saveexec_b64 s[92:93], vcc
	s_cbranch_execz .LBB1222_248
.LBB1222_217:                           ;   in Loop: Header=BB1222_98 Depth=2
	v_add_co_u32_e32 v58, vcc, 0x1000, v64
	v_addc_co_u32_e32 v59, vcc, 0, v65, vcc
	global_load_dwordx2 v[58:59], v[58:59], off
	s_or_b64 exec, exec, s[92:93]
	v_cmp_lt_u32_e32 vcc, v152, v183
	s_and_saveexec_b64 s[92:93], vcc
	s_cbranch_execnz .LBB1222_249
.LBB1222_218:                           ;   in Loop: Header=BB1222_98 Depth=2
	s_or_b64 exec, exec, s[92:93]
	v_cmp_lt_u32_e32 vcc, v153, v183
	s_and_saveexec_b64 s[92:93], vcc
	s_cbranch_execz .LBB1222_250
.LBB1222_219:                           ;   in Loop: Header=BB1222_98 Depth=2
	v_add_co_u32_e32 v50, vcc, 0x1000, v64
	v_addc_co_u32_e32 v51, vcc, 0, v65, vcc
	global_load_dwordx2 v[50:51], v[50:51], off offset:1024
	s_or_b64 exec, exec, s[92:93]
	v_cmp_lt_u32_e32 vcc, v154, v183
	s_and_saveexec_b64 s[92:93], vcc
	s_cbranch_execnz .LBB1222_251
.LBB1222_220:                           ;   in Loop: Header=BB1222_98 Depth=2
	s_or_b64 exec, exec, s[92:93]
	v_cmp_lt_u32_e32 vcc, v155, v183
	s_and_saveexec_b64 s[92:93], vcc
	s_cbranch_execz .LBB1222_252
.LBB1222_221:                           ;   in Loop: Header=BB1222_98 Depth=2
	v_add_co_u32_e32 v42, vcc, 0x1000, v64
	v_addc_co_u32_e32 v43, vcc, 0, v65, vcc
	global_load_dwordx2 v[42:43], v[42:43], off offset:2048
	s_or_b64 exec, exec, s[92:93]
	v_cmp_lt_u32_e32 vcc, v156, v183
	s_and_saveexec_b64 s[92:93], vcc
	s_cbranch_execnz .LBB1222_253
.LBB1222_222:                           ;   in Loop: Header=BB1222_98 Depth=2
	s_or_b64 exec, exec, s[92:93]
	v_cmp_lt_u32_e32 vcc, v157, v183
	s_and_saveexec_b64 s[92:93], vcc
	s_cbranch_execz .LBB1222_254
.LBB1222_223:                           ;   in Loop: Header=BB1222_98 Depth=2
	v_add_co_u32_e32 v34, vcc, 0x1000, v64
	v_addc_co_u32_e32 v35, vcc, 0, v65, vcc
	global_load_dwordx2 v[34:35], v[34:35], off offset:3072
	s_or_b64 exec, exec, s[92:93]
	v_cmp_lt_u32_e32 vcc, v158, v183
	s_and_saveexec_b64 s[92:93], vcc
	s_cbranch_execnz .LBB1222_255
.LBB1222_224:                           ;   in Loop: Header=BB1222_98 Depth=2
	s_or_b64 exec, exec, s[92:93]
	s_and_saveexec_b64 s[92:93], s[36:37]
	s_cbranch_execz .LBB1222_256
.LBB1222_225:                           ;   in Loop: Header=BB1222_98 Depth=2
	v_add_u32_e32 v64, v33, v3
	ds_read_b64 v[64:65], v64 offset:1024
	s_waitcnt lgkmcnt(0)
	v_cmp_ne_u64_e32 vcc, s[78:79], v[64:65]
	v_cndmask_b32_e32 v65, v133, v65, vcc
	v_cndmask_b32_e32 v64, 0, v64, vcc
	v_lshrrev_b64 v[64:65], s33, v[64:65]
	v_and_b32_e32 v182, s69, v64
	s_or_b64 exec, exec, s[92:93]
	s_and_saveexec_b64 s[92:93], s[38:39]
	s_cbranch_execnz .LBB1222_257
.LBB1222_226:                           ;   in Loop: Header=BB1222_98 Depth=2
	s_or_b64 exec, exec, s[92:93]
	s_and_saveexec_b64 s[92:93], s[40:41]
	s_cbranch_execz .LBB1222_258
.LBB1222_227:                           ;   in Loop: Header=BB1222_98 Depth=2
	ds_read_b64 v[64:65], v104 offset:4096
	s_waitcnt lgkmcnt(0)
	v_cmp_ne_u64_e32 vcc, s[78:79], v[64:65]
	v_cndmask_b32_e32 v65, v133, v65, vcc
	v_cndmask_b32_e32 v64, 0, v64, vcc
	v_lshrrev_b64 v[64:65], s33, v[64:65]
	v_and_b32_e32 v180, s69, v64
	s_or_b64 exec, exec, s[92:93]
	s_and_saveexec_b64 s[92:93], s[42:43]
	s_cbranch_execnz .LBB1222_259
.LBB1222_228:                           ;   in Loop: Header=BB1222_98 Depth=2
	s_or_b64 exec, exec, s[92:93]
	s_and_saveexec_b64 s[92:93], s[44:45]
	s_cbranch_execz .LBB1222_260
.LBB1222_229:                           ;   in Loop: Header=BB1222_98 Depth=2
	ds_read_b64 v[64:65], v104 offset:8192
	s_waitcnt lgkmcnt(0)
	v_cmp_ne_u64_e32 vcc, s[78:79], v[64:65]
	v_cndmask_b32_e32 v65, v133, v65, vcc
	v_cndmask_b32_e32 v64, 0, v64, vcc
	v_lshrrev_b64 v[64:65], s33, v[64:65]
	v_and_b32_e32 v177, s69, v64
	s_or_b64 exec, exec, s[92:93]
	s_and_saveexec_b64 s[92:93], s[46:47]
	s_cbranch_execnz .LBB1222_261
.LBB1222_230:                           ;   in Loop: Header=BB1222_98 Depth=2
	s_or_b64 exec, exec, s[92:93]
	s_and_saveexec_b64 s[92:93], s[48:49]
	s_cbranch_execz .LBB1222_262
.LBB1222_231:                           ;   in Loop: Header=BB1222_98 Depth=2
	ds_read_b64 v[64:65], v104 offset:12288
	s_waitcnt lgkmcnt(0)
	v_cmp_ne_u64_e32 vcc, s[78:79], v[64:65]
	v_cndmask_b32_e32 v65, v133, v65, vcc
	v_cndmask_b32_e32 v64, 0, v64, vcc
	v_lshrrev_b64 v[64:65], s33, v[64:65]
	v_and_b32_e32 v175, s69, v64
	s_or_b64 exec, exec, s[92:93]
	s_and_saveexec_b64 s[92:93], s[50:51]
	s_cbranch_execnz .LBB1222_263
.LBB1222_232:                           ;   in Loop: Header=BB1222_98 Depth=2
	s_or_b64 exec, exec, s[92:93]
	s_and_saveexec_b64 s[92:93], s[52:53]
	s_cbranch_execz .LBB1222_264
.LBB1222_233:                           ;   in Loop: Header=BB1222_98 Depth=2
	ds_read_b64 v[64:65], v104 offset:16384
	s_waitcnt lgkmcnt(0)
	v_cmp_ne_u64_e32 vcc, s[78:79], v[64:65]
	v_cndmask_b32_e32 v65, v133, v65, vcc
	v_cndmask_b32_e32 v64, 0, v64, vcc
	v_lshrrev_b64 v[64:65], s33, v[64:65]
	v_and_b32_e32 v172, s69, v64
	s_or_b64 exec, exec, s[92:93]
	s_and_saveexec_b64 s[92:93], s[54:55]
	s_cbranch_execnz .LBB1222_265
.LBB1222_234:                           ;   in Loop: Header=BB1222_98 Depth=2
	s_or_b64 exec, exec, s[92:93]
	s_and_saveexec_b64 s[92:93], s[56:57]
	s_cbranch_execz .LBB1222_266
.LBB1222_235:                           ;   in Loop: Header=BB1222_98 Depth=2
	ds_read_b64 v[64:65], v104 offset:20480
	s_waitcnt lgkmcnt(0)
	v_cmp_ne_u64_e32 vcc, s[78:79], v[64:65]
	v_cndmask_b32_e32 v65, v133, v65, vcc
	v_cndmask_b32_e32 v64, 0, v64, vcc
	v_lshrrev_b64 v[64:65], s33, v[64:65]
	v_and_b32_e32 v169, s69, v64
	s_or_b64 exec, exec, s[92:93]
	s_and_saveexec_b64 s[92:93], s[58:59]
	s_cbranch_execnz .LBB1222_267
.LBB1222_236:                           ;   in Loop: Header=BB1222_98 Depth=2
	s_or_b64 exec, exec, s[92:93]
	s_and_saveexec_b64 s[92:93], s[60:61]
	s_cbranch_execz .LBB1222_268
.LBB1222_237:                           ;   in Loop: Header=BB1222_98 Depth=2
	ds_read_b64 v[64:65], v104 offset:24576
	s_waitcnt lgkmcnt(0)
	v_cmp_ne_u64_e32 vcc, s[78:79], v[64:65]
	v_cndmask_b32_e32 v65, v133, v65, vcc
	v_cndmask_b32_e32 v64, 0, v64, vcc
	v_lshrrev_b64 v[64:65], s33, v[64:65]
	v_and_b32_e32 v167, s69, v64
	s_or_b64 exec, exec, s[92:93]
	s_and_saveexec_b64 s[92:93], s[62:63]
	s_cbranch_execnz .LBB1222_269
.LBB1222_238:                           ;   in Loop: Header=BB1222_98 Depth=2
	s_or_b64 exec, exec, s[92:93]
	s_and_saveexec_b64 s[92:93], s[64:65]
	s_cbranch_execz .LBB1222_270
.LBB1222_239:                           ;   in Loop: Header=BB1222_98 Depth=2
	ds_read_b64 v[64:65], v104 offset:28672
	s_waitcnt lgkmcnt(0)
	v_cmp_ne_u64_e32 vcc, s[78:79], v[64:65]
	v_cndmask_b32_e32 v65, v133, v65, vcc
	v_cndmask_b32_e32 v64, 0, v64, vcc
	v_lshrrev_b64 v[64:65], s33, v[64:65]
	v_and_b32_e32 v165, s69, v64
	s_or_b64 exec, exec, s[92:93]
	s_and_saveexec_b64 s[92:93], s[66:67]
	s_cbranch_execnz .LBB1222_271
	s_branch .LBB1222_272
.LBB1222_240:                           ;   in Loop: Header=BB1222_98 Depth=2
	s_or_b64 exec, exec, s[92:93]
	v_cmp_lt_u32_e32 vcc, v144, v183
	s_and_saveexec_b64 s[92:93], vcc
	s_cbranch_execz .LBB1222_210
.LBB1222_241:                           ;   in Loop: Header=BB1222_98 Depth=2
	global_load_dwordx2 v[60:61], v[64:65], off offset:512
	s_or_b64 exec, exec, s[92:93]
	v_cmp_lt_u32_e32 vcc, v145, v183
	s_and_saveexec_b64 s[92:93], vcc
	s_cbranch_execnz .LBB1222_211
.LBB1222_242:                           ;   in Loop: Header=BB1222_98 Depth=2
	s_or_b64 exec, exec, s[92:93]
	v_cmp_lt_u32_e32 vcc, v146, v183
	s_and_saveexec_b64 s[92:93], vcc
	s_cbranch_execz .LBB1222_212
.LBB1222_243:                           ;   in Loop: Header=BB1222_98 Depth=2
	global_load_dwordx2 v[52:53], v[64:65], off offset:1536
	s_or_b64 exec, exec, s[92:93]
	v_cmp_lt_u32_e32 vcc, v147, v183
	s_and_saveexec_b64 s[92:93], vcc
	s_cbranch_execnz .LBB1222_213
.LBB1222_244:                           ;   in Loop: Header=BB1222_98 Depth=2
	s_or_b64 exec, exec, s[92:93]
	v_cmp_lt_u32_e32 vcc, v148, v183
	s_and_saveexec_b64 s[92:93], vcc
	s_cbranch_execz .LBB1222_214
.LBB1222_245:                           ;   in Loop: Header=BB1222_98 Depth=2
	global_load_dwordx2 v[44:45], v[64:65], off offset:2560
	s_or_b64 exec, exec, s[92:93]
	v_cmp_lt_u32_e32 vcc, v149, v183
	s_and_saveexec_b64 s[92:93], vcc
	s_cbranch_execnz .LBB1222_215
.LBB1222_246:                           ;   in Loop: Header=BB1222_98 Depth=2
	s_or_b64 exec, exec, s[92:93]
	v_cmp_lt_u32_e32 vcc, v150, v183
	s_and_saveexec_b64 s[92:93], vcc
	s_cbranch_execz .LBB1222_216
.LBB1222_247:                           ;   in Loop: Header=BB1222_98 Depth=2
	global_load_dwordx2 v[36:37], v[64:65], off offset:3584
	s_or_b64 exec, exec, s[92:93]
	v_cmp_lt_u32_e32 vcc, v151, v183
	s_and_saveexec_b64 s[92:93], vcc
	s_cbranch_execnz .LBB1222_217
.LBB1222_248:                           ;   in Loop: Header=BB1222_98 Depth=2
	s_or_b64 exec, exec, s[92:93]
	v_cmp_lt_u32_e32 vcc, v152, v183
	s_and_saveexec_b64 s[92:93], vcc
	s_cbranch_execz .LBB1222_218
.LBB1222_249:                           ;   in Loop: Header=BB1222_98 Depth=2
	v_add_co_u32_e32 v54, vcc, 0x1000, v64
	v_addc_co_u32_e32 v55, vcc, 0, v65, vcc
	global_load_dwordx2 v[54:55], v[54:55], off offset:512
	s_or_b64 exec, exec, s[92:93]
	v_cmp_lt_u32_e32 vcc, v153, v183
	s_and_saveexec_b64 s[92:93], vcc
	s_cbranch_execnz .LBB1222_219
.LBB1222_250:                           ;   in Loop: Header=BB1222_98 Depth=2
	s_or_b64 exec, exec, s[92:93]
	v_cmp_lt_u32_e32 vcc, v154, v183
	s_and_saveexec_b64 s[92:93], vcc
	s_cbranch_execz .LBB1222_220
.LBB1222_251:                           ;   in Loop: Header=BB1222_98 Depth=2
	v_add_co_u32_e32 v46, vcc, 0x1000, v64
	v_addc_co_u32_e32 v47, vcc, 0, v65, vcc
	global_load_dwordx2 v[46:47], v[46:47], off offset:1536
	s_or_b64 exec, exec, s[92:93]
	v_cmp_lt_u32_e32 vcc, v155, v183
	s_and_saveexec_b64 s[92:93], vcc
	s_cbranch_execnz .LBB1222_221
.LBB1222_252:                           ;   in Loop: Header=BB1222_98 Depth=2
	s_or_b64 exec, exec, s[92:93]
	v_cmp_lt_u32_e32 vcc, v156, v183
	s_and_saveexec_b64 s[92:93], vcc
	s_cbranch_execz .LBB1222_222
.LBB1222_253:                           ;   in Loop: Header=BB1222_98 Depth=2
	v_add_co_u32_e32 v38, vcc, 0x1000, v64
	v_addc_co_u32_e32 v39, vcc, 0, v65, vcc
	global_load_dwordx2 v[38:39], v[38:39], off offset:2560
	s_or_b64 exec, exec, s[92:93]
	v_cmp_lt_u32_e32 vcc, v157, v183
	s_and_saveexec_b64 s[92:93], vcc
	s_cbranch_execnz .LBB1222_223
.LBB1222_254:                           ;   in Loop: Header=BB1222_98 Depth=2
	s_or_b64 exec, exec, s[92:93]
	v_cmp_lt_u32_e32 vcc, v158, v183
	s_and_saveexec_b64 s[92:93], vcc
	s_cbranch_execz .LBB1222_224
.LBB1222_255:                           ;   in Loop: Header=BB1222_98 Depth=2
	v_add_co_u32_e32 v0, vcc, 0x1000, v64
	v_addc_co_u32_e32 v1, vcc, 0, v65, vcc
	global_load_dwordx2 v[0:1], v[0:1], off offset:3584
	s_or_b64 exec, exec, s[92:93]
	s_and_saveexec_b64 s[92:93], s[36:37]
	s_cbranch_execnz .LBB1222_225
.LBB1222_256:                           ;   in Loop: Header=BB1222_98 Depth=2
	s_or_b64 exec, exec, s[92:93]
	s_and_saveexec_b64 s[92:93], s[38:39]
	s_cbranch_execz .LBB1222_226
.LBB1222_257:                           ;   in Loop: Header=BB1222_98 Depth=2
	ds_read_b64 v[64:65], v104 offset:2048
	s_waitcnt lgkmcnt(0)
	v_cmp_ne_u64_e32 vcc, s[78:79], v[64:65]
	v_cndmask_b32_e32 v65, v133, v65, vcc
	v_cndmask_b32_e32 v64, 0, v64, vcc
	v_lshrrev_b64 v[64:65], s33, v[64:65]
	v_and_b32_e32 v181, s69, v64
	s_or_b64 exec, exec, s[92:93]
	s_and_saveexec_b64 s[92:93], s[40:41]
	s_cbranch_execnz .LBB1222_227
.LBB1222_258:                           ;   in Loop: Header=BB1222_98 Depth=2
	s_or_b64 exec, exec, s[92:93]
	s_and_saveexec_b64 s[92:93], s[42:43]
	s_cbranch_execz .LBB1222_228
.LBB1222_259:                           ;   in Loop: Header=BB1222_98 Depth=2
	ds_read_b64 v[64:65], v104 offset:6144
	s_waitcnt lgkmcnt(0)
	v_cmp_ne_u64_e32 vcc, s[78:79], v[64:65]
	v_cndmask_b32_e32 v65, v133, v65, vcc
	v_cndmask_b32_e32 v64, 0, v64, vcc
	v_lshrrev_b64 v[64:65], s33, v[64:65]
	v_and_b32_e32 v179, s69, v64
	s_or_b64 exec, exec, s[92:93]
	s_and_saveexec_b64 s[92:93], s[44:45]
	s_cbranch_execnz .LBB1222_229
.LBB1222_260:                           ;   in Loop: Header=BB1222_98 Depth=2
	s_or_b64 exec, exec, s[92:93]
	s_and_saveexec_b64 s[92:93], s[46:47]
	s_cbranch_execz .LBB1222_230
.LBB1222_261:                           ;   in Loop: Header=BB1222_98 Depth=2
	ds_read_b64 v[64:65], v104 offset:10240
	s_waitcnt lgkmcnt(0)
	v_cmp_ne_u64_e32 vcc, s[78:79], v[64:65]
	v_cndmask_b32_e32 v65, v133, v65, vcc
	v_cndmask_b32_e32 v64, 0, v64, vcc
	v_lshrrev_b64 v[64:65], s33, v[64:65]
	v_and_b32_e32 v176, s69, v64
	s_or_b64 exec, exec, s[92:93]
	s_and_saveexec_b64 s[92:93], s[48:49]
	s_cbranch_execnz .LBB1222_231
.LBB1222_262:                           ;   in Loop: Header=BB1222_98 Depth=2
	s_or_b64 exec, exec, s[92:93]
	s_and_saveexec_b64 s[92:93], s[50:51]
	s_cbranch_execz .LBB1222_232
.LBB1222_263:                           ;   in Loop: Header=BB1222_98 Depth=2
	ds_read_b64 v[64:65], v104 offset:14336
	s_waitcnt lgkmcnt(0)
	v_cmp_ne_u64_e32 vcc, s[78:79], v[64:65]
	v_cndmask_b32_e32 v65, v133, v65, vcc
	v_cndmask_b32_e32 v64, 0, v64, vcc
	v_lshrrev_b64 v[64:65], s33, v[64:65]
	v_and_b32_e32 v174, s69, v64
	s_or_b64 exec, exec, s[92:93]
	s_and_saveexec_b64 s[92:93], s[52:53]
	s_cbranch_execnz .LBB1222_233
.LBB1222_264:                           ;   in Loop: Header=BB1222_98 Depth=2
	s_or_b64 exec, exec, s[92:93]
	s_and_saveexec_b64 s[92:93], s[54:55]
	s_cbranch_execz .LBB1222_234
.LBB1222_265:                           ;   in Loop: Header=BB1222_98 Depth=2
	ds_read_b64 v[64:65], v104 offset:18432
	s_waitcnt lgkmcnt(0)
	v_cmp_ne_u64_e32 vcc, s[78:79], v[64:65]
	v_cndmask_b32_e32 v65, v133, v65, vcc
	v_cndmask_b32_e32 v64, 0, v64, vcc
	v_lshrrev_b64 v[64:65], s33, v[64:65]
	v_and_b32_e32 v171, s69, v64
	s_or_b64 exec, exec, s[92:93]
	s_and_saveexec_b64 s[92:93], s[56:57]
	s_cbranch_execnz .LBB1222_235
.LBB1222_266:                           ;   in Loop: Header=BB1222_98 Depth=2
	s_or_b64 exec, exec, s[92:93]
	s_and_saveexec_b64 s[92:93], s[58:59]
	s_cbranch_execz .LBB1222_236
.LBB1222_267:                           ;   in Loop: Header=BB1222_98 Depth=2
	ds_read_b64 v[64:65], v104 offset:22528
	s_waitcnt lgkmcnt(0)
	v_cmp_ne_u64_e32 vcc, s[78:79], v[64:65]
	v_cndmask_b32_e32 v65, v133, v65, vcc
	v_cndmask_b32_e32 v64, 0, v64, vcc
	v_lshrrev_b64 v[64:65], s33, v[64:65]
	v_and_b32_e32 v168, s69, v64
	s_or_b64 exec, exec, s[92:93]
	s_and_saveexec_b64 s[92:93], s[60:61]
	s_cbranch_execnz .LBB1222_237
.LBB1222_268:                           ;   in Loop: Header=BB1222_98 Depth=2
	s_or_b64 exec, exec, s[92:93]
	s_and_saveexec_b64 s[92:93], s[62:63]
	s_cbranch_execz .LBB1222_238
.LBB1222_269:                           ;   in Loop: Header=BB1222_98 Depth=2
	ds_read_b64 v[64:65], v104 offset:26624
	s_waitcnt lgkmcnt(0)
	v_cmp_ne_u64_e32 vcc, s[78:79], v[64:65]
	v_cndmask_b32_e32 v65, v133, v65, vcc
	v_cndmask_b32_e32 v64, 0, v64, vcc
	v_lshrrev_b64 v[64:65], s33, v[64:65]
	v_and_b32_e32 v166, s69, v64
	s_or_b64 exec, exec, s[92:93]
	s_and_saveexec_b64 s[92:93], s[64:65]
	s_cbranch_execnz .LBB1222_239
.LBB1222_270:                           ;   in Loop: Header=BB1222_98 Depth=2
	s_or_b64 exec, exec, s[92:93]
	s_and_saveexec_b64 s[92:93], s[66:67]
	s_cbranch_execz .LBB1222_272
.LBB1222_271:                           ;   in Loop: Header=BB1222_98 Depth=2
	ds_read_b64 v[64:65], v104 offset:30720
	s_waitcnt lgkmcnt(0)
	v_cmp_ne_u64_e32 vcc, s[78:79], v[64:65]
	v_cndmask_b32_e32 v65, v133, v65, vcc
	v_cndmask_b32_e32 v64, 0, v64, vcc
	v_lshrrev_b64 v[64:65], s33, v[64:65]
	v_and_b32_e32 v164, s69, v64
.LBB1222_272:                           ;   in Loop: Header=BB1222_98 Depth=2
	s_or_b64 exec, exec, s[92:93]
	v_add_u32_e32 v64, 0x400, v96
	v_add_u32_e32 v65, 0x400, v97
	;; [unrolled: 1-line block ×16, first 2 shown]
	s_barrier
	s_waitcnt vmcnt(0)
	ds_write_b64 v64, v[62:63]
	ds_write_b64 v65, v[60:61]
	;; [unrolled: 1-line block ×16, first 2 shown]
	s_waitcnt lgkmcnt(0)
	s_barrier
	s_and_saveexec_b64 s[92:93], s[36:37]
	s_cbranch_execz .LBB1222_288
; %bb.273:                              ;   in Loop: Header=BB1222_98 Depth=2
	v_lshlrev_b32_e32 v64, 2, v182
	ds_read_b32 v66, v64
	v_add_u32_e32 v64, v33, v3
	ds_read_b64 v[64:65], v64 offset:1024
	v_mov_b32_e32 v67, v4
	v_mov_b32_e32 v68, s81
	s_waitcnt lgkmcnt(1)
	v_add_u32_e32 v66, v66, v2
	v_lshlrev_b64 v[66:67], 3, v[66:67]
	v_add_co_u32_e32 v66, vcc, s80, v66
	v_addc_co_u32_e32 v67, vcc, v68, v67, vcc
	s_waitcnt lgkmcnt(0)
	global_store_dwordx2 v[66:67], v[64:65], off
	s_or_b64 exec, exec, s[92:93]
	s_and_saveexec_b64 s[36:37], s[38:39]
	s_cbranch_execnz .LBB1222_289
.LBB1222_274:                           ;   in Loop: Header=BB1222_98 Depth=2
	s_or_b64 exec, exec, s[36:37]
	s_and_saveexec_b64 s[36:37], s[40:41]
	s_cbranch_execz .LBB1222_290
.LBB1222_275:                           ;   in Loop: Header=BB1222_98 Depth=2
	v_lshlrev_b32_e32 v64, 2, v180
	ds_read_b32 v66, v64
	ds_read_b64 v[64:65], v104 offset:4096
	v_mov_b32_e32 v67, v4
	v_mov_b32_e32 v68, s81
	s_waitcnt lgkmcnt(1)
	v_add_u32_e32 v66, v66, v6
	v_lshlrev_b64 v[66:67], 3, v[66:67]
	v_add_co_u32_e32 v66, vcc, s80, v66
	v_addc_co_u32_e32 v67, vcc, v68, v67, vcc
	s_waitcnt lgkmcnt(0)
	global_store_dwordx2 v[66:67], v[64:65], off
	s_or_b64 exec, exec, s[36:37]
	s_and_saveexec_b64 s[36:37], s[42:43]
	s_cbranch_execnz .LBB1222_291
.LBB1222_276:                           ;   in Loop: Header=BB1222_98 Depth=2
	s_or_b64 exec, exec, s[36:37]
	s_and_saveexec_b64 s[36:37], s[44:45]
	s_cbranch_execz .LBB1222_292
.LBB1222_277:                           ;   in Loop: Header=BB1222_98 Depth=2
	v_lshlrev_b32_e32 v64, 2, v177
	ds_read_b32 v66, v64
	ds_read_b64 v[64:65], v104 offset:8192
	v_mov_b32_e32 v67, v4
	v_mov_b32_e32 v68, s81
	s_waitcnt lgkmcnt(1)
	v_add_u32_e32 v66, v66, v10
	v_lshlrev_b64 v[66:67], 3, v[66:67]
	v_add_co_u32_e32 v66, vcc, s80, v66
	v_addc_co_u32_e32 v67, vcc, v68, v67, vcc
	s_waitcnt lgkmcnt(0)
	global_store_dwordx2 v[66:67], v[64:65], off
	s_or_b64 exec, exec, s[36:37]
	s_and_saveexec_b64 s[36:37], s[46:47]
	s_cbranch_execnz .LBB1222_293
.LBB1222_278:                           ;   in Loop: Header=BB1222_98 Depth=2
	s_or_b64 exec, exec, s[36:37]
	s_and_saveexec_b64 s[36:37], s[48:49]
	s_cbranch_execz .LBB1222_294
.LBB1222_279:                           ;   in Loop: Header=BB1222_98 Depth=2
	v_lshlrev_b32_e32 v64, 2, v175
	ds_read_b32 v66, v64
	ds_read_b64 v[64:65], v104 offset:12288
	v_mov_b32_e32 v67, v4
	v_mov_b32_e32 v68, s81
	s_waitcnt lgkmcnt(1)
	v_add_u32_e32 v66, v66, v14
	v_lshlrev_b64 v[66:67], 3, v[66:67]
	v_add_co_u32_e32 v66, vcc, s80, v66
	v_addc_co_u32_e32 v67, vcc, v68, v67, vcc
	s_waitcnt lgkmcnt(0)
	global_store_dwordx2 v[66:67], v[64:65], off
	s_or_b64 exec, exec, s[36:37]
	s_and_saveexec_b64 s[36:37], s[50:51]
	s_cbranch_execnz .LBB1222_295
.LBB1222_280:                           ;   in Loop: Header=BB1222_98 Depth=2
	s_or_b64 exec, exec, s[36:37]
	s_and_saveexec_b64 s[36:37], s[52:53]
	s_cbranch_execz .LBB1222_296
.LBB1222_281:                           ;   in Loop: Header=BB1222_98 Depth=2
	v_lshlrev_b32_e32 v64, 2, v172
	ds_read_b32 v66, v64
	ds_read_b64 v[64:65], v104 offset:16384
	v_mov_b32_e32 v67, v4
	v_mov_b32_e32 v68, s81
	s_waitcnt lgkmcnt(1)
	v_add_u32_e32 v66, v66, v18
	v_lshlrev_b64 v[66:67], 3, v[66:67]
	v_add_co_u32_e32 v66, vcc, s80, v66
	v_addc_co_u32_e32 v67, vcc, v68, v67, vcc
	s_waitcnt lgkmcnt(0)
	global_store_dwordx2 v[66:67], v[64:65], off
	s_or_b64 exec, exec, s[36:37]
	s_and_saveexec_b64 s[36:37], s[54:55]
	s_cbranch_execnz .LBB1222_297
.LBB1222_282:                           ;   in Loop: Header=BB1222_98 Depth=2
	s_or_b64 exec, exec, s[36:37]
	s_and_saveexec_b64 s[36:37], s[56:57]
	s_cbranch_execz .LBB1222_298
.LBB1222_283:                           ;   in Loop: Header=BB1222_98 Depth=2
	v_lshlrev_b32_e32 v64, 2, v169
	ds_read_b32 v66, v64
	ds_read_b64 v[64:65], v104 offset:20480
	v_mov_b32_e32 v67, v4
	v_mov_b32_e32 v68, s81
	s_waitcnt lgkmcnt(1)
	v_add_u32_e32 v66, v66, v22
	v_lshlrev_b64 v[66:67], 3, v[66:67]
	v_add_co_u32_e32 v66, vcc, s80, v66
	v_addc_co_u32_e32 v67, vcc, v68, v67, vcc
	s_waitcnt lgkmcnt(0)
	global_store_dwordx2 v[66:67], v[64:65], off
	s_or_b64 exec, exec, s[36:37]
	s_and_saveexec_b64 s[36:37], s[58:59]
	s_cbranch_execnz .LBB1222_299
.LBB1222_284:                           ;   in Loop: Header=BB1222_98 Depth=2
	s_or_b64 exec, exec, s[36:37]
	s_and_saveexec_b64 s[36:37], s[60:61]
	s_cbranch_execz .LBB1222_300
.LBB1222_285:                           ;   in Loop: Header=BB1222_98 Depth=2
	v_lshlrev_b32_e32 v64, 2, v167
	ds_read_b32 v66, v64
	ds_read_b64 v[64:65], v104 offset:24576
	v_mov_b32_e32 v67, v4
	v_mov_b32_e32 v68, s81
	s_waitcnt lgkmcnt(1)
	v_add_u32_e32 v66, v66, v26
	v_lshlrev_b64 v[66:67], 3, v[66:67]
	v_add_co_u32_e32 v66, vcc, s80, v66
	v_addc_co_u32_e32 v67, vcc, v68, v67, vcc
	s_waitcnt lgkmcnt(0)
	global_store_dwordx2 v[66:67], v[64:65], off
	s_or_b64 exec, exec, s[36:37]
	s_and_saveexec_b64 s[36:37], s[62:63]
	s_cbranch_execnz .LBB1222_301
.LBB1222_286:                           ;   in Loop: Header=BB1222_98 Depth=2
	s_or_b64 exec, exec, s[36:37]
	s_and_saveexec_b64 s[36:37], s[64:65]
	s_cbranch_execz .LBB1222_302
.LBB1222_287:                           ;   in Loop: Header=BB1222_98 Depth=2
	v_lshlrev_b32_e32 v64, 2, v165
	ds_read_b32 v66, v64
	ds_read_b64 v[64:65], v104 offset:28672
	v_mov_b32_e32 v67, v4
	v_mov_b32_e32 v68, s81
	s_waitcnt lgkmcnt(1)
	v_add_u32_e32 v66, v66, v30
	v_lshlrev_b64 v[66:67], 3, v[66:67]
	v_add_co_u32_e32 v66, vcc, s80, v66
	v_addc_co_u32_e32 v67, vcc, v68, v67, vcc
	s_waitcnt lgkmcnt(0)
	global_store_dwordx2 v[66:67], v[64:65], off
	s_or_b64 exec, exec, s[36:37]
	s_and_saveexec_b64 s[36:37], s[66:67]
	s_cbranch_execnz .LBB1222_303
	s_branch .LBB1222_304
.LBB1222_288:                           ;   in Loop: Header=BB1222_98 Depth=2
	s_or_b64 exec, exec, s[92:93]
	s_and_saveexec_b64 s[36:37], s[38:39]
	s_cbranch_execz .LBB1222_274
.LBB1222_289:                           ;   in Loop: Header=BB1222_98 Depth=2
	v_lshlrev_b32_e32 v64, 2, v181
	ds_read_b32 v66, v64
	ds_read_b64 v[64:65], v104 offset:2048
	v_mov_b32_e32 v67, v4
	v_mov_b32_e32 v68, s81
	s_waitcnt lgkmcnt(1)
	v_add_u32_e32 v66, v66, v7
	v_lshlrev_b64 v[66:67], 3, v[66:67]
	v_add_co_u32_e32 v66, vcc, s80, v66
	v_addc_co_u32_e32 v67, vcc, v68, v67, vcc
	s_waitcnt lgkmcnt(0)
	global_store_dwordx2 v[66:67], v[64:65], off
	s_or_b64 exec, exec, s[36:37]
	s_and_saveexec_b64 s[36:37], s[40:41]
	s_cbranch_execnz .LBB1222_275
.LBB1222_290:                           ;   in Loop: Header=BB1222_98 Depth=2
	s_or_b64 exec, exec, s[36:37]
	s_and_saveexec_b64 s[36:37], s[42:43]
	s_cbranch_execz .LBB1222_276
.LBB1222_291:                           ;   in Loop: Header=BB1222_98 Depth=2
	v_lshlrev_b32_e32 v64, 2, v179
	ds_read_b32 v66, v64
	ds_read_b64 v[64:65], v104 offset:6144
	v_mov_b32_e32 v67, v4
	v_mov_b32_e32 v68, s81
	s_waitcnt lgkmcnt(1)
	v_add_u32_e32 v66, v66, v8
	v_lshlrev_b64 v[66:67], 3, v[66:67]
	v_add_co_u32_e32 v66, vcc, s80, v66
	v_addc_co_u32_e32 v67, vcc, v68, v67, vcc
	s_waitcnt lgkmcnt(0)
	global_store_dwordx2 v[66:67], v[64:65], off
	s_or_b64 exec, exec, s[36:37]
	s_and_saveexec_b64 s[36:37], s[44:45]
	s_cbranch_execnz .LBB1222_277
.LBB1222_292:                           ;   in Loop: Header=BB1222_98 Depth=2
	s_or_b64 exec, exec, s[36:37]
	s_and_saveexec_b64 s[36:37], s[46:47]
	s_cbranch_execz .LBB1222_278
.LBB1222_293:                           ;   in Loop: Header=BB1222_98 Depth=2
	v_lshlrev_b32_e32 v64, 2, v176
	ds_read_b32 v66, v64
	ds_read_b64 v[64:65], v104 offset:10240
	v_mov_b32_e32 v67, v4
	v_mov_b32_e32 v68, s81
	s_waitcnt lgkmcnt(1)
	v_add_u32_e32 v66, v66, v12
	v_lshlrev_b64 v[66:67], 3, v[66:67]
	v_add_co_u32_e32 v66, vcc, s80, v66
	v_addc_co_u32_e32 v67, vcc, v68, v67, vcc
	s_waitcnt lgkmcnt(0)
	global_store_dwordx2 v[66:67], v[64:65], off
	s_or_b64 exec, exec, s[36:37]
	s_and_saveexec_b64 s[36:37], s[48:49]
	s_cbranch_execnz .LBB1222_279
.LBB1222_294:                           ;   in Loop: Header=BB1222_98 Depth=2
	s_or_b64 exec, exec, s[36:37]
	s_and_saveexec_b64 s[36:37], s[50:51]
	s_cbranch_execz .LBB1222_280
.LBB1222_295:                           ;   in Loop: Header=BB1222_98 Depth=2
	v_lshlrev_b32_e32 v64, 2, v174
	ds_read_b32 v66, v64
	ds_read_b64 v[64:65], v104 offset:14336
	v_mov_b32_e32 v67, v4
	v_mov_b32_e32 v68, s81
	s_waitcnt lgkmcnt(1)
	v_add_u32_e32 v66, v66, v16
	v_lshlrev_b64 v[66:67], 3, v[66:67]
	v_add_co_u32_e32 v66, vcc, s80, v66
	v_addc_co_u32_e32 v67, vcc, v68, v67, vcc
	s_waitcnt lgkmcnt(0)
	global_store_dwordx2 v[66:67], v[64:65], off
	s_or_b64 exec, exec, s[36:37]
	s_and_saveexec_b64 s[36:37], s[52:53]
	s_cbranch_execnz .LBB1222_281
.LBB1222_296:                           ;   in Loop: Header=BB1222_98 Depth=2
	s_or_b64 exec, exec, s[36:37]
	s_and_saveexec_b64 s[36:37], s[54:55]
	s_cbranch_execz .LBB1222_282
.LBB1222_297:                           ;   in Loop: Header=BB1222_98 Depth=2
	v_lshlrev_b32_e32 v64, 2, v171
	ds_read_b32 v66, v64
	ds_read_b64 v[64:65], v104 offset:18432
	v_mov_b32_e32 v67, v4
	v_mov_b32_e32 v68, s81
	s_waitcnt lgkmcnt(1)
	v_add_u32_e32 v66, v66, v20
	v_lshlrev_b64 v[66:67], 3, v[66:67]
	v_add_co_u32_e32 v66, vcc, s80, v66
	v_addc_co_u32_e32 v67, vcc, v68, v67, vcc
	s_waitcnt lgkmcnt(0)
	global_store_dwordx2 v[66:67], v[64:65], off
	s_or_b64 exec, exec, s[36:37]
	s_and_saveexec_b64 s[36:37], s[56:57]
	s_cbranch_execnz .LBB1222_283
.LBB1222_298:                           ;   in Loop: Header=BB1222_98 Depth=2
	s_or_b64 exec, exec, s[36:37]
	s_and_saveexec_b64 s[36:37], s[58:59]
	s_cbranch_execz .LBB1222_284
.LBB1222_299:                           ;   in Loop: Header=BB1222_98 Depth=2
	v_lshlrev_b32_e32 v64, 2, v168
	ds_read_b32 v66, v64
	ds_read_b64 v[64:65], v104 offset:22528
	v_mov_b32_e32 v67, v4
	v_mov_b32_e32 v68, s81
	s_waitcnt lgkmcnt(1)
	v_add_u32_e32 v66, v66, v24
	v_lshlrev_b64 v[66:67], 3, v[66:67]
	v_add_co_u32_e32 v66, vcc, s80, v66
	v_addc_co_u32_e32 v67, vcc, v68, v67, vcc
	s_waitcnt lgkmcnt(0)
	global_store_dwordx2 v[66:67], v[64:65], off
	s_or_b64 exec, exec, s[36:37]
	s_and_saveexec_b64 s[36:37], s[60:61]
	s_cbranch_execnz .LBB1222_285
.LBB1222_300:                           ;   in Loop: Header=BB1222_98 Depth=2
	s_or_b64 exec, exec, s[36:37]
	s_and_saveexec_b64 s[36:37], s[62:63]
	s_cbranch_execz .LBB1222_286
.LBB1222_301:                           ;   in Loop: Header=BB1222_98 Depth=2
	v_lshlrev_b32_e32 v64, 2, v166
	ds_read_b32 v66, v64
	ds_read_b64 v[64:65], v104 offset:26624
	v_mov_b32_e32 v67, v4
	v_mov_b32_e32 v68, s81
	s_waitcnt lgkmcnt(1)
	v_add_u32_e32 v66, v66, v28
	v_lshlrev_b64 v[66:67], 3, v[66:67]
	v_add_co_u32_e32 v66, vcc, s80, v66
	v_addc_co_u32_e32 v67, vcc, v68, v67, vcc
	s_waitcnt lgkmcnt(0)
	global_store_dwordx2 v[66:67], v[64:65], off
	s_or_b64 exec, exec, s[36:37]
	s_and_saveexec_b64 s[36:37], s[64:65]
	s_cbranch_execnz .LBB1222_287
.LBB1222_302:                           ;   in Loop: Header=BB1222_98 Depth=2
	s_or_b64 exec, exec, s[36:37]
	s_and_saveexec_b64 s[36:37], s[66:67]
	s_cbranch_execz .LBB1222_304
.LBB1222_303:                           ;   in Loop: Header=BB1222_98 Depth=2
	v_lshlrev_b32_e32 v64, 2, v164
	ds_read_b32 v66, v64
	ds_read_b64 v[64:65], v104 offset:30720
	v_mov_b32_e32 v67, v4
	v_mov_b32_e32 v68, s81
	s_waitcnt lgkmcnt(1)
	v_add_u32_e32 v66, v66, v32
	v_lshlrev_b64 v[66:67], 3, v[66:67]
	v_add_co_u32_e32 v66, vcc, s80, v66
	v_addc_co_u32_e32 v67, vcc, v68, v67, vcc
	s_waitcnt lgkmcnt(0)
	global_store_dwordx2 v[66:67], v[64:65], off
.LBB1222_304:                           ;   in Loop: Header=BB1222_98 Depth=2
	s_or_b64 exec, exec, s[36:37]
	s_barrier
	s_and_saveexec_b64 s[36:37], s[4:5]
	s_cbranch_execz .LBB1222_97
; %bb.305:                              ;   in Loop: Header=BB1222_98 Depth=2
	ds_read_b32 v64, v3
	s_waitcnt lgkmcnt(0)
	v_add_u32_e32 v5, v64, v5
	ds_write_b32 v3, v5
	s_branch .LBB1222_97
.LBB1222_306:                           ;   in Loop: Header=BB1222_12 Depth=1
	s_waitcnt lgkmcnt(0)
	s_barrier
	s_mov_b64 s[16:17], 0
	v_readlane_b32 s49, v236, 2
.LBB1222_307:                           ;   in Loop: Header=BB1222_12 Depth=1
	s_and_b64 vcc, exec, s[16:17]
	s_cbranch_vccz .LBB1222_601
; %bb.308:                              ;   in Loop: Header=BB1222_12 Depth=1
	s_mov_b32 s22, s85
	s_mov_b32 s88, s49
	s_barrier
	s_waitcnt lgkmcnt(0)
                                        ; implicit-def: $vgpr62_vgpr63
                                        ; implicit-def: $vgpr0_vgpr1
                                        ; implicit-def: $vgpr34_vgpr35
                                        ; implicit-def: $vgpr36_vgpr37
                                        ; implicit-def: $vgpr38_vgpr39
                                        ; implicit-def: $vgpr40_vgpr41
                                        ; implicit-def: $vgpr42_vgpr43
                                        ; implicit-def: $vgpr44_vgpr45
                                        ; implicit-def: $vgpr46_vgpr47
                                        ; implicit-def: $vgpr48_vgpr49
                                        ; implicit-def: $vgpr50_vgpr51
                                        ; implicit-def: $vgpr52_vgpr53
                                        ; implicit-def: $vgpr54_vgpr55
                                        ; implicit-def: $vgpr56_vgpr57
                                        ; implicit-def: $vgpr58_vgpr59
                                        ; implicit-def: $vgpr60_vgpr61
	s_branch .LBB1222_310
.LBB1222_309:                           ;   in Loop: Header=BB1222_310 Depth=2
	s_or_b64 exec, exec, s[16:17]
	s_addk_i32 s22, 0xf000
	s_cmp_ge_u32 s23, s94
	s_mov_b32 s88, s23
	s_cbranch_scc1 .LBB1222_380
.LBB1222_310:                           ;   Parent Loop BB1222_12 Depth=1
                                        ; =>  This Inner Loop Header: Depth=2
	s_add_i32 s23, s88, 0x1000
	s_cmp_gt_u32 s23, s94
	s_cbranch_scc1 .LBB1222_313
; %bb.311:                              ;   in Loop: Header=BB1222_310 Depth=2
	s_lshl_b64 s[16:17], s[88:89], 3
	v_mov_b32_e32 v5, s17
	v_add_co_u32_e32 v64, vcc, s16, v105
	v_addc_co_u32_e32 v65, vcc, v106, v5, vcc
	s_waitcnt vmcnt(11)
	v_add_co_u32_e32 v72, vcc, 0x1000, v64
	v_addc_co_u32_e32 v73, vcc, 0, v65, vcc
	s_waitcnt vmcnt(5)
	;; [unrolled: 3-line block ×3, first 2 shown]
	v_add_co_u32_e32 v82, vcc, s96, v64
	v_addc_co_u32_e32 v83, vcc, 0, v65, vcc
	v_add_co_u32_e32 v86, vcc, s97, v64
	v_addc_co_u32_e32 v87, vcc, 0, v65, vcc
	;; [unrolled: 2-line block ×4, first 2 shown]
	global_load_dwordx2 v[66:67], v[64:65], off
	global_load_dwordx2 v[68:69], v[64:65], off offset:2048
	global_load_dwordx2 v[70:71], v[72:73], off
	s_nop 0
	global_load_dwordx2 v[72:73], v[72:73], off offset:2048
	s_nop 0
	global_load_dwordx2 v[74:75], v[82:83], off
	global_load_dwordx2 v[76:77], v[82:83], off offset:2048
	global_load_dwordx2 v[80:81], v[88:89], off offset:-4096
	global_load_dwordx2 v[84:85], v[88:89], off
	s_nop 0
	global_load_dwordx2 v[88:89], v[88:89], off offset:2048
	s_nop 0
	global_load_dwordx2 v[78:79], v[78:79], off offset:2048
	;; [unrolled: 2-line block ×3, first 2 shown]
	s_nop 0
	global_load_dwordx2 v[90:91], v[92:93], off
	s_nop 0
	global_load_dwordx2 v[92:93], v[92:93], off offset:2048
	s_waitcnt vmcnt(13)
	v_add_co_u32_e32 v94, vcc, 0x7000, v64
	v_addc_co_u32_e32 v95, vcc, 0, v65, vcc
	global_load_dwordx2 v[82:83], v[82:83], off offset:-4096
	s_nop 0
	global_load_dwordx2 v[94:95], v[94:95], off
	v_add_co_u32_e32 v64, vcc, 0x7800, v64
	s_movk_i32 s24, 0x1000
	v_addc_co_u32_e32 v65, vcc, 0, v65, vcc
	s_mov_b64 s[16:17], -1
	s_cbranch_execz .LBB1222_314
; %bb.312:                              ;   in Loop: Header=BB1222_310 Depth=2
                                        ; implicit-def: $vgpr60_vgpr61
                                        ; implicit-def: $vgpr58_vgpr59
                                        ; implicit-def: $vgpr56_vgpr57
                                        ; implicit-def: $vgpr54_vgpr55
                                        ; implicit-def: $vgpr52_vgpr53
                                        ; implicit-def: $vgpr50_vgpr51
                                        ; implicit-def: $vgpr48_vgpr49
                                        ; implicit-def: $vgpr46_vgpr47
                                        ; implicit-def: $vgpr44_vgpr45
                                        ; implicit-def: $vgpr42_vgpr43
                                        ; implicit-def: $vgpr40_vgpr41
                                        ; implicit-def: $vgpr38_vgpr39
                                        ; implicit-def: $vgpr36_vgpr37
                                        ; implicit-def: $vgpr34_vgpr35
                                        ; implicit-def: $vgpr0_vgpr1
                                        ; implicit-def: $vgpr62_vgpr63
	v_mov_b32_e32 v5, s22
	s_and_saveexec_b64 s[18:19], s[16:17]
	s_cbranch_execnz .LBB1222_333
	s_branch .LBB1222_334
.LBB1222_313:                           ;   in Loop: Header=BB1222_310 Depth=2
	s_mov_b64 s[16:17], 0
                                        ; implicit-def: $sgpr24
                                        ; implicit-def: $vgpr66_vgpr67
                                        ; implicit-def: $vgpr68_vgpr69
                                        ; implicit-def: $vgpr70_vgpr71
                                        ; implicit-def: $vgpr72_vgpr73
                                        ; implicit-def: $vgpr82_vgpr83
                                        ; implicit-def: $vgpr78_vgpr79
                                        ; implicit-def: $vgpr74_vgpr75
                                        ; implicit-def: $vgpr76_vgpr77
                                        ; implicit-def: $vgpr80_vgpr81
                                        ; implicit-def: $vgpr86_vgpr87
                                        ; implicit-def: $vgpr84_vgpr85
                                        ; implicit-def: $vgpr88_vgpr89
                                        ; implicit-def: $vgpr90_vgpr91
                                        ; implicit-def: $vgpr92_vgpr93
                                        ; implicit-def: $vgpr94_vgpr95
                                        ; implicit-def: $vgpr64_vgpr65
.LBB1222_314:                           ;   in Loop: Header=BB1222_310 Depth=2
	s_lshl_b64 s[18:19], s[88:89], 3
	s_add_u32 s18, s74, s18
	s_addc_u32 s19, s75, s19
	v_cmp_gt_u32_e32 vcc, s22, v2
	s_and_saveexec_b64 s[20:21], vcc
	s_cbranch_execz .LBB1222_366
; %bb.315:                              ;   in Loop: Header=BB1222_310 Depth=2
	global_load_dwordx2 v[60:61], v118, s[18:19]
	s_or_b64 exec, exec, s[20:21]
	v_cmp_gt_u32_e32 vcc, s22, v7
	s_and_saveexec_b64 s[20:21], vcc
	s_cbranch_execnz .LBB1222_367
.LBB1222_316:                           ;   in Loop: Header=BB1222_310 Depth=2
	s_or_b64 exec, exec, s[20:21]
	v_cmp_gt_u32_e32 vcc, s22, v6
	s_and_saveexec_b64 s[20:21], vcc
	s_cbranch_execz .LBB1222_368
.LBB1222_317:                           ;   in Loop: Header=BB1222_310 Depth=2
	global_load_dwordx2 v[56:57], v119, s[18:19]
	s_or_b64 exec, exec, s[20:21]
	v_cmp_gt_u32_e32 vcc, s22, v8
	s_and_saveexec_b64 s[20:21], vcc
	s_cbranch_execnz .LBB1222_369
.LBB1222_318:                           ;   in Loop: Header=BB1222_310 Depth=2
	s_or_b64 exec, exec, s[20:21]
	v_cmp_gt_u32_e32 vcc, s22, v10
	s_and_saveexec_b64 s[20:21], vcc
	s_cbranch_execz .LBB1222_370
.LBB1222_319:                           ;   in Loop: Header=BB1222_310 Depth=2
	global_load_dwordx2 v[52:53], v121, s[18:19]
	s_or_b64 exec, exec, s[20:21]
	v_cmp_gt_u32_e32 vcc, s22, v12
	s_and_saveexec_b64 s[20:21], vcc
	s_cbranch_execnz .LBB1222_371
.LBB1222_320:                           ;   in Loop: Header=BB1222_310 Depth=2
	s_or_b64 exec, exec, s[20:21]
	v_cmp_gt_u32_e32 vcc, s22, v14
	s_and_saveexec_b64 s[20:21], vcc
	s_cbranch_execz .LBB1222_372
.LBB1222_321:                           ;   in Loop: Header=BB1222_310 Depth=2
	global_load_dwordx2 v[48:49], v123, s[18:19]
	s_or_b64 exec, exec, s[20:21]
	v_cmp_gt_u32_e32 vcc, s22, v16
	s_and_saveexec_b64 s[20:21], vcc
	s_cbranch_execnz .LBB1222_373
.LBB1222_322:                           ;   in Loop: Header=BB1222_310 Depth=2
	s_or_b64 exec, exec, s[20:21]
	v_cmp_gt_u32_e32 vcc, s22, v18
	s_and_saveexec_b64 s[20:21], vcc
	s_cbranch_execz .LBB1222_374
.LBB1222_323:                           ;   in Loop: Header=BB1222_310 Depth=2
	global_load_dwordx2 v[44:45], v125, s[18:19]
	s_or_b64 exec, exec, s[20:21]
	v_cmp_gt_u32_e32 vcc, s22, v20
	s_and_saveexec_b64 s[20:21], vcc
	s_cbranch_execnz .LBB1222_375
.LBB1222_324:                           ;   in Loop: Header=BB1222_310 Depth=2
	s_or_b64 exec, exec, s[20:21]
	v_cmp_gt_u32_e32 vcc, s22, v22
	s_and_saveexec_b64 s[20:21], vcc
	s_cbranch_execz .LBB1222_376
.LBB1222_325:                           ;   in Loop: Header=BB1222_310 Depth=2
	global_load_dwordx2 v[40:41], v127, s[18:19]
	s_or_b64 exec, exec, s[20:21]
	v_cmp_gt_u32_e32 vcc, s22, v24
	s_and_saveexec_b64 s[20:21], vcc
	s_cbranch_execnz .LBB1222_377
.LBB1222_326:                           ;   in Loop: Header=BB1222_310 Depth=2
	s_or_b64 exec, exec, s[20:21]
	v_cmp_gt_u32_e32 vcc, s22, v26
	s_and_saveexec_b64 s[20:21], vcc
	s_cbranch_execz .LBB1222_378
.LBB1222_327:                           ;   in Loop: Header=BB1222_310 Depth=2
	global_load_dwordx2 v[36:37], v129, s[18:19]
	s_or_b64 exec, exec, s[20:21]
	v_cmp_gt_u32_e32 vcc, s22, v28
	s_and_saveexec_b64 s[20:21], vcc
	s_cbranch_execnz .LBB1222_379
.LBB1222_328:                           ;   in Loop: Header=BB1222_310 Depth=2
	s_or_b64 exec, exec, s[20:21]
	v_cmp_gt_u32_e32 vcc, s22, v30
	s_and_saveexec_b64 s[20:21], vcc
	s_cbranch_execz .LBB1222_330
.LBB1222_329:                           ;   in Loop: Header=BB1222_310 Depth=2
	global_load_dwordx2 v[0:1], v131, s[18:19]
.LBB1222_330:                           ;   in Loop: Header=BB1222_310 Depth=2
	s_or_b64 exec, exec, s[20:21]
	v_cmp_gt_u32_e32 vcc, s22, v32
                                        ; implicit-def: $sgpr24
                                        ; implicit-def: $vgpr64_vgpr65
	s_and_saveexec_b64 s[20:21], vcc
; %bb.331:                              ;   in Loop: Header=BB1222_310 Depth=2
	v_mov_b32_e32 v5, s19
	v_add_co_u32_e32 v64, vcc, s18, v132
	s_sub_i32 s24, s94, s88
	v_addc_co_u32_e32 v65, vcc, 0, v5, vcc
	s_or_b64 s[16:17], s[16:17], exec
                                        ; implicit-def: $vgpr62_vgpr63
; %bb.332:                              ;   in Loop: Header=BB1222_310 Depth=2
	s_or_b64 exec, exec, s[20:21]
	s_waitcnt vmcnt(0)
	v_pk_mov_b32 v[66:67], v[60:61], v[60:61] op_sel:[0,1]
	v_pk_mov_b32 v[68:69], v[58:59], v[58:59] op_sel:[0,1]
	;; [unrolled: 1-line block ×15, first 2 shown]
	v_mov_b32_e32 v5, s22
	s_and_saveexec_b64 s[18:19], s[16:17]
	s_cbranch_execz .LBB1222_334
.LBB1222_333:                           ;   in Loop: Header=BB1222_310 Depth=2
	global_load_dwordx2 v[62:63], v[64:65], off
	v_mov_b32_e32 v5, s24
	s_waitcnt vmcnt(1)
	v_pk_mov_b32 v[0:1], v[94:95], v[94:95] op_sel:[0,1]
	v_pk_mov_b32 v[34:35], v[92:93], v[92:93] op_sel:[0,1]
	;; [unrolled: 1-line block ×15, first 2 shown]
.LBB1222_334:                           ;   in Loop: Header=BB1222_310 Depth=2
	s_or_b64 exec, exec, s[18:19]
	v_cmp_lt_u32_e32 vcc, v2, v5
	s_and_saveexec_b64 s[16:17], vcc
	s_cbranch_execz .LBB1222_350
; %bb.335:                              ;   in Loop: Header=BB1222_310 Depth=2
	v_cmp_lt_i64_e32 vcc, -1, v[60:61]
	v_cndmask_b32_e32 v64, -1, v133, vcc
	s_waitcnt vmcnt(14)
	v_ashrrev_i32_e32 v66, 31, v61
	v_xor_b32_e32 v65, v64, v61
	v_xor_b32_e32 v64, v66, v60
	v_cmp_ne_u64_e32 vcc, s[78:79], v[64:65]
	v_cndmask_b32_e32 v65, v133, v65, vcc
	v_cndmask_b32_e32 v64, 0, v64, vcc
	v_lshrrev_b64 v[64:65], s33, v[64:65]
	v_and_b32_e32 v64, s69, v64
	v_lshl_or_b32 v64, v64, 4, v134
	ds_add_u32 v64, v117
	s_or_b64 exec, exec, s[16:17]
	v_cmp_lt_u32_e32 vcc, v7, v5
	s_and_saveexec_b64 s[16:17], vcc
	s_cbranch_execnz .LBB1222_351
.LBB1222_336:                           ;   in Loop: Header=BB1222_310 Depth=2
	s_or_b64 exec, exec, s[16:17]
	v_cmp_lt_u32_e32 vcc, v6, v5
	s_and_saveexec_b64 s[16:17], vcc
	s_cbranch_execz .LBB1222_352
.LBB1222_337:                           ;   in Loop: Header=BB1222_310 Depth=2
	v_cmp_lt_i64_e32 vcc, -1, v[56:57]
	v_cndmask_b32_e32 v64, -1, v133, vcc
	s_waitcnt vmcnt(14)
	v_ashrrev_i32_e32 v66, 31, v57
	v_xor_b32_e32 v65, v64, v57
	v_xor_b32_e32 v64, v66, v56
	v_cmp_ne_u64_e32 vcc, s[78:79], v[64:65]
	v_cndmask_b32_e32 v65, v133, v65, vcc
	v_cndmask_b32_e32 v64, 0, v64, vcc
	v_lshrrev_b64 v[64:65], s33, v[64:65]
	v_and_b32_e32 v64, s69, v64
	v_lshl_or_b32 v64, v64, 4, v134
	ds_add_u32 v64, v117
	s_or_b64 exec, exec, s[16:17]
	v_cmp_lt_u32_e32 vcc, v8, v5
	s_and_saveexec_b64 s[16:17], vcc
	s_cbranch_execnz .LBB1222_353
.LBB1222_338:                           ;   in Loop: Header=BB1222_310 Depth=2
	s_or_b64 exec, exec, s[16:17]
	v_cmp_lt_u32_e32 vcc, v10, v5
	s_and_saveexec_b64 s[16:17], vcc
	s_cbranch_execz .LBB1222_354
.LBB1222_339:                           ;   in Loop: Header=BB1222_310 Depth=2
	v_cmp_lt_i64_e32 vcc, -1, v[52:53]
	v_cndmask_b32_e32 v64, -1, v133, vcc
	s_waitcnt vmcnt(14)
	v_ashrrev_i32_e32 v66, 31, v53
	v_xor_b32_e32 v65, v64, v53
	v_xor_b32_e32 v64, v66, v52
	v_cmp_ne_u64_e32 vcc, s[78:79], v[64:65]
	v_cndmask_b32_e32 v65, v133, v65, vcc
	v_cndmask_b32_e32 v64, 0, v64, vcc
	v_lshrrev_b64 v[64:65], s33, v[64:65]
	v_and_b32_e32 v64, s69, v64
	v_lshl_or_b32 v64, v64, 4, v134
	ds_add_u32 v64, v117
	s_or_b64 exec, exec, s[16:17]
	v_cmp_lt_u32_e32 vcc, v12, v5
	s_and_saveexec_b64 s[16:17], vcc
	s_cbranch_execnz .LBB1222_355
.LBB1222_340:                           ;   in Loop: Header=BB1222_310 Depth=2
	s_or_b64 exec, exec, s[16:17]
	v_cmp_lt_u32_e32 vcc, v14, v5
	s_and_saveexec_b64 s[16:17], vcc
	s_cbranch_execz .LBB1222_356
.LBB1222_341:                           ;   in Loop: Header=BB1222_310 Depth=2
	v_cmp_lt_i64_e32 vcc, -1, v[48:49]
	v_cndmask_b32_e32 v64, -1, v133, vcc
	s_waitcnt vmcnt(14)
	v_ashrrev_i32_e32 v66, 31, v49
	v_xor_b32_e32 v65, v64, v49
	v_xor_b32_e32 v64, v66, v48
	v_cmp_ne_u64_e32 vcc, s[78:79], v[64:65]
	v_cndmask_b32_e32 v65, v133, v65, vcc
	v_cndmask_b32_e32 v64, 0, v64, vcc
	v_lshrrev_b64 v[64:65], s33, v[64:65]
	v_and_b32_e32 v64, s69, v64
	v_lshl_or_b32 v64, v64, 4, v134
	ds_add_u32 v64, v117
	s_or_b64 exec, exec, s[16:17]
	v_cmp_lt_u32_e32 vcc, v16, v5
	s_and_saveexec_b64 s[16:17], vcc
	s_cbranch_execnz .LBB1222_357
.LBB1222_342:                           ;   in Loop: Header=BB1222_310 Depth=2
	s_or_b64 exec, exec, s[16:17]
	v_cmp_lt_u32_e32 vcc, v18, v5
	s_and_saveexec_b64 s[16:17], vcc
	s_cbranch_execz .LBB1222_358
.LBB1222_343:                           ;   in Loop: Header=BB1222_310 Depth=2
	v_cmp_lt_i64_e32 vcc, -1, v[44:45]
	v_cndmask_b32_e32 v64, -1, v133, vcc
	s_waitcnt vmcnt(14)
	v_ashrrev_i32_e32 v66, 31, v45
	v_xor_b32_e32 v65, v64, v45
	v_xor_b32_e32 v64, v66, v44
	v_cmp_ne_u64_e32 vcc, s[78:79], v[64:65]
	v_cndmask_b32_e32 v65, v133, v65, vcc
	v_cndmask_b32_e32 v64, 0, v64, vcc
	v_lshrrev_b64 v[64:65], s33, v[64:65]
	v_and_b32_e32 v64, s69, v64
	v_lshl_or_b32 v64, v64, 4, v134
	ds_add_u32 v64, v117
	s_or_b64 exec, exec, s[16:17]
	v_cmp_lt_u32_e32 vcc, v20, v5
	s_and_saveexec_b64 s[16:17], vcc
	s_cbranch_execnz .LBB1222_359
.LBB1222_344:                           ;   in Loop: Header=BB1222_310 Depth=2
	s_or_b64 exec, exec, s[16:17]
	v_cmp_lt_u32_e32 vcc, v22, v5
	s_and_saveexec_b64 s[16:17], vcc
	s_cbranch_execz .LBB1222_360
.LBB1222_345:                           ;   in Loop: Header=BB1222_310 Depth=2
	v_cmp_lt_i64_e32 vcc, -1, v[40:41]
	v_cndmask_b32_e32 v64, -1, v133, vcc
	s_waitcnt vmcnt(14)
	v_ashrrev_i32_e32 v66, 31, v41
	v_xor_b32_e32 v65, v64, v41
	v_xor_b32_e32 v64, v66, v40
	v_cmp_ne_u64_e32 vcc, s[78:79], v[64:65]
	v_cndmask_b32_e32 v65, v133, v65, vcc
	v_cndmask_b32_e32 v64, 0, v64, vcc
	v_lshrrev_b64 v[64:65], s33, v[64:65]
	v_and_b32_e32 v64, s69, v64
	v_lshl_or_b32 v64, v64, 4, v134
	ds_add_u32 v64, v117
	s_or_b64 exec, exec, s[16:17]
	v_cmp_lt_u32_e32 vcc, v24, v5
	s_and_saveexec_b64 s[16:17], vcc
	s_cbranch_execnz .LBB1222_361
.LBB1222_346:                           ;   in Loop: Header=BB1222_310 Depth=2
	s_or_b64 exec, exec, s[16:17]
	v_cmp_lt_u32_e32 vcc, v26, v5
	s_and_saveexec_b64 s[16:17], vcc
	s_cbranch_execz .LBB1222_362
.LBB1222_347:                           ;   in Loop: Header=BB1222_310 Depth=2
	v_cmp_lt_i64_e32 vcc, -1, v[36:37]
	v_cndmask_b32_e32 v64, -1, v133, vcc
	s_waitcnt vmcnt(14)
	v_ashrrev_i32_e32 v66, 31, v37
	v_xor_b32_e32 v65, v64, v37
	v_xor_b32_e32 v64, v66, v36
	v_cmp_ne_u64_e32 vcc, s[78:79], v[64:65]
	v_cndmask_b32_e32 v65, v133, v65, vcc
	v_cndmask_b32_e32 v64, 0, v64, vcc
	v_lshrrev_b64 v[64:65], s33, v[64:65]
	v_and_b32_e32 v64, s69, v64
	v_lshl_or_b32 v64, v64, 4, v134
	ds_add_u32 v64, v117
	s_or_b64 exec, exec, s[16:17]
	v_cmp_lt_u32_e32 vcc, v28, v5
	s_and_saveexec_b64 s[16:17], vcc
	s_cbranch_execnz .LBB1222_363
.LBB1222_348:                           ;   in Loop: Header=BB1222_310 Depth=2
	s_or_b64 exec, exec, s[16:17]
	v_cmp_lt_u32_e32 vcc, v30, v5
	s_and_saveexec_b64 s[16:17], vcc
	s_cbranch_execz .LBB1222_364
.LBB1222_349:                           ;   in Loop: Header=BB1222_310 Depth=2
	v_cmp_lt_i64_e32 vcc, -1, v[0:1]
	v_cndmask_b32_e32 v64, -1, v133, vcc
	s_waitcnt vmcnt(14)
	v_ashrrev_i32_e32 v66, 31, v1
	v_xor_b32_e32 v65, v64, v1
	v_xor_b32_e32 v64, v66, v0
	v_cmp_ne_u64_e32 vcc, s[78:79], v[64:65]
	v_cndmask_b32_e32 v65, v133, v65, vcc
	v_cndmask_b32_e32 v64, 0, v64, vcc
	v_lshrrev_b64 v[64:65], s33, v[64:65]
	v_and_b32_e32 v64, s69, v64
	v_lshl_or_b32 v64, v64, 4, v134
	ds_add_u32 v64, v117
	s_or_b64 exec, exec, s[16:17]
	v_cmp_lt_u32_e32 vcc, v32, v5
	s_and_saveexec_b64 s[16:17], vcc
	s_cbranch_execz .LBB1222_309
	s_branch .LBB1222_365
.LBB1222_350:                           ;   in Loop: Header=BB1222_310 Depth=2
	s_or_b64 exec, exec, s[16:17]
	v_cmp_lt_u32_e32 vcc, v7, v5
	s_and_saveexec_b64 s[16:17], vcc
	s_cbranch_execz .LBB1222_336
.LBB1222_351:                           ;   in Loop: Header=BB1222_310 Depth=2
	v_cmp_lt_i64_e32 vcc, -1, v[58:59]
	v_cndmask_b32_e32 v64, -1, v133, vcc
	s_waitcnt vmcnt(14)
	v_ashrrev_i32_e32 v66, 31, v59
	v_xor_b32_e32 v65, v64, v59
	v_xor_b32_e32 v64, v66, v58
	v_cmp_ne_u64_e32 vcc, s[78:79], v[64:65]
	v_cndmask_b32_e32 v65, v133, v65, vcc
	v_cndmask_b32_e32 v64, 0, v64, vcc
	v_lshrrev_b64 v[64:65], s33, v[64:65]
	v_and_b32_e32 v64, s69, v64
	v_lshl_or_b32 v64, v64, 4, v134
	ds_add_u32 v64, v117
	s_or_b64 exec, exec, s[16:17]
	v_cmp_lt_u32_e32 vcc, v6, v5
	s_and_saveexec_b64 s[16:17], vcc
	s_cbranch_execnz .LBB1222_337
.LBB1222_352:                           ;   in Loop: Header=BB1222_310 Depth=2
	s_or_b64 exec, exec, s[16:17]
	v_cmp_lt_u32_e32 vcc, v8, v5
	s_and_saveexec_b64 s[16:17], vcc
	s_cbranch_execz .LBB1222_338
.LBB1222_353:                           ;   in Loop: Header=BB1222_310 Depth=2
	v_cmp_lt_i64_e32 vcc, -1, v[54:55]
	v_cndmask_b32_e32 v64, -1, v133, vcc
	s_waitcnt vmcnt(14)
	v_ashrrev_i32_e32 v66, 31, v55
	v_xor_b32_e32 v65, v64, v55
	v_xor_b32_e32 v64, v66, v54
	v_cmp_ne_u64_e32 vcc, s[78:79], v[64:65]
	v_cndmask_b32_e32 v65, v133, v65, vcc
	v_cndmask_b32_e32 v64, 0, v64, vcc
	v_lshrrev_b64 v[64:65], s33, v[64:65]
	v_and_b32_e32 v64, s69, v64
	v_lshl_or_b32 v64, v64, 4, v134
	ds_add_u32 v64, v117
	s_or_b64 exec, exec, s[16:17]
	v_cmp_lt_u32_e32 vcc, v10, v5
	s_and_saveexec_b64 s[16:17], vcc
	s_cbranch_execnz .LBB1222_339
.LBB1222_354:                           ;   in Loop: Header=BB1222_310 Depth=2
	s_or_b64 exec, exec, s[16:17]
	v_cmp_lt_u32_e32 vcc, v12, v5
	s_and_saveexec_b64 s[16:17], vcc
	s_cbranch_execz .LBB1222_340
.LBB1222_355:                           ;   in Loop: Header=BB1222_310 Depth=2
	v_cmp_lt_i64_e32 vcc, -1, v[50:51]
	v_cndmask_b32_e32 v64, -1, v133, vcc
	s_waitcnt vmcnt(14)
	v_ashrrev_i32_e32 v66, 31, v51
	v_xor_b32_e32 v65, v64, v51
	v_xor_b32_e32 v64, v66, v50
	v_cmp_ne_u64_e32 vcc, s[78:79], v[64:65]
	v_cndmask_b32_e32 v65, v133, v65, vcc
	v_cndmask_b32_e32 v64, 0, v64, vcc
	v_lshrrev_b64 v[64:65], s33, v[64:65]
	v_and_b32_e32 v64, s69, v64
	v_lshl_or_b32 v64, v64, 4, v134
	ds_add_u32 v64, v117
	s_or_b64 exec, exec, s[16:17]
	v_cmp_lt_u32_e32 vcc, v14, v5
	s_and_saveexec_b64 s[16:17], vcc
	s_cbranch_execnz .LBB1222_341
.LBB1222_356:                           ;   in Loop: Header=BB1222_310 Depth=2
	s_or_b64 exec, exec, s[16:17]
	v_cmp_lt_u32_e32 vcc, v16, v5
	s_and_saveexec_b64 s[16:17], vcc
	s_cbranch_execz .LBB1222_342
.LBB1222_357:                           ;   in Loop: Header=BB1222_310 Depth=2
	v_cmp_lt_i64_e32 vcc, -1, v[46:47]
	v_cndmask_b32_e32 v64, -1, v133, vcc
	s_waitcnt vmcnt(14)
	v_ashrrev_i32_e32 v66, 31, v47
	v_xor_b32_e32 v65, v64, v47
	v_xor_b32_e32 v64, v66, v46
	v_cmp_ne_u64_e32 vcc, s[78:79], v[64:65]
	v_cndmask_b32_e32 v65, v133, v65, vcc
	v_cndmask_b32_e32 v64, 0, v64, vcc
	v_lshrrev_b64 v[64:65], s33, v[64:65]
	v_and_b32_e32 v64, s69, v64
	v_lshl_or_b32 v64, v64, 4, v134
	ds_add_u32 v64, v117
	s_or_b64 exec, exec, s[16:17]
	v_cmp_lt_u32_e32 vcc, v18, v5
	s_and_saveexec_b64 s[16:17], vcc
	s_cbranch_execnz .LBB1222_343
.LBB1222_358:                           ;   in Loop: Header=BB1222_310 Depth=2
	s_or_b64 exec, exec, s[16:17]
	v_cmp_lt_u32_e32 vcc, v20, v5
	s_and_saveexec_b64 s[16:17], vcc
	s_cbranch_execz .LBB1222_344
.LBB1222_359:                           ;   in Loop: Header=BB1222_310 Depth=2
	v_cmp_lt_i64_e32 vcc, -1, v[42:43]
	v_cndmask_b32_e32 v64, -1, v133, vcc
	s_waitcnt vmcnt(14)
	v_ashrrev_i32_e32 v66, 31, v43
	v_xor_b32_e32 v65, v64, v43
	v_xor_b32_e32 v64, v66, v42
	v_cmp_ne_u64_e32 vcc, s[78:79], v[64:65]
	v_cndmask_b32_e32 v65, v133, v65, vcc
	v_cndmask_b32_e32 v64, 0, v64, vcc
	v_lshrrev_b64 v[64:65], s33, v[64:65]
	v_and_b32_e32 v64, s69, v64
	v_lshl_or_b32 v64, v64, 4, v134
	ds_add_u32 v64, v117
	s_or_b64 exec, exec, s[16:17]
	v_cmp_lt_u32_e32 vcc, v22, v5
	s_and_saveexec_b64 s[16:17], vcc
	s_cbranch_execnz .LBB1222_345
.LBB1222_360:                           ;   in Loop: Header=BB1222_310 Depth=2
	s_or_b64 exec, exec, s[16:17]
	v_cmp_lt_u32_e32 vcc, v24, v5
	s_and_saveexec_b64 s[16:17], vcc
	s_cbranch_execz .LBB1222_346
.LBB1222_361:                           ;   in Loop: Header=BB1222_310 Depth=2
	v_cmp_lt_i64_e32 vcc, -1, v[38:39]
	v_cndmask_b32_e32 v64, -1, v133, vcc
	s_waitcnt vmcnt(14)
	v_ashrrev_i32_e32 v66, 31, v39
	v_xor_b32_e32 v65, v64, v39
	v_xor_b32_e32 v64, v66, v38
	v_cmp_ne_u64_e32 vcc, s[78:79], v[64:65]
	v_cndmask_b32_e32 v65, v133, v65, vcc
	v_cndmask_b32_e32 v64, 0, v64, vcc
	v_lshrrev_b64 v[64:65], s33, v[64:65]
	v_and_b32_e32 v64, s69, v64
	v_lshl_or_b32 v64, v64, 4, v134
	ds_add_u32 v64, v117
	s_or_b64 exec, exec, s[16:17]
	v_cmp_lt_u32_e32 vcc, v26, v5
	s_and_saveexec_b64 s[16:17], vcc
	s_cbranch_execnz .LBB1222_347
.LBB1222_362:                           ;   in Loop: Header=BB1222_310 Depth=2
	s_or_b64 exec, exec, s[16:17]
	v_cmp_lt_u32_e32 vcc, v28, v5
	s_and_saveexec_b64 s[16:17], vcc
	s_cbranch_execz .LBB1222_348
.LBB1222_363:                           ;   in Loop: Header=BB1222_310 Depth=2
	v_cmp_lt_i64_e32 vcc, -1, v[34:35]
	v_cndmask_b32_e32 v64, -1, v133, vcc
	s_waitcnt vmcnt(14)
	v_ashrrev_i32_e32 v66, 31, v35
	v_xor_b32_e32 v65, v64, v35
	v_xor_b32_e32 v64, v66, v34
	v_cmp_ne_u64_e32 vcc, s[78:79], v[64:65]
	v_cndmask_b32_e32 v65, v133, v65, vcc
	v_cndmask_b32_e32 v64, 0, v64, vcc
	v_lshrrev_b64 v[64:65], s33, v[64:65]
	v_and_b32_e32 v64, s69, v64
	v_lshl_or_b32 v64, v64, 4, v134
	ds_add_u32 v64, v117
	s_or_b64 exec, exec, s[16:17]
	v_cmp_lt_u32_e32 vcc, v30, v5
	s_and_saveexec_b64 s[16:17], vcc
	s_cbranch_execnz .LBB1222_349
.LBB1222_364:                           ;   in Loop: Header=BB1222_310 Depth=2
	s_or_b64 exec, exec, s[16:17]
	v_cmp_lt_u32_e32 vcc, v32, v5
	s_and_saveexec_b64 s[16:17], vcc
	s_cbranch_execz .LBB1222_309
.LBB1222_365:                           ;   in Loop: Header=BB1222_310 Depth=2
	s_waitcnt vmcnt(0)
	v_cmp_lt_i64_e32 vcc, -1, v[62:63]
	v_cndmask_b32_e32 v5, -1, v133, vcc
	v_ashrrev_i32_e32 v64, 31, v63
	v_xor_b32_e32 v65, v5, v63
	v_xor_b32_e32 v64, v64, v62
	v_cmp_ne_u64_e32 vcc, s[78:79], v[64:65]
	v_cndmask_b32_e32 v65, v133, v65, vcc
	v_cndmask_b32_e32 v64, 0, v64, vcc
	v_lshrrev_b64 v[64:65], s33, v[64:65]
	v_and_b32_e32 v5, s69, v64
	v_lshl_or_b32 v5, v5, 4, v134
	ds_add_u32 v5, v117
	s_branch .LBB1222_309
.LBB1222_366:                           ;   in Loop: Header=BB1222_310 Depth=2
	s_or_b64 exec, exec, s[20:21]
	v_cmp_gt_u32_e32 vcc, s22, v7
	s_and_saveexec_b64 s[20:21], vcc
	s_cbranch_execz .LBB1222_316
.LBB1222_367:                           ;   in Loop: Header=BB1222_310 Depth=2
	global_load_dwordx2 v[58:59], v118, s[18:19] offset:2048
	s_or_b64 exec, exec, s[20:21]
	v_cmp_gt_u32_e32 vcc, s22, v6
	s_and_saveexec_b64 s[20:21], vcc
	s_cbranch_execnz .LBB1222_317
.LBB1222_368:                           ;   in Loop: Header=BB1222_310 Depth=2
	s_or_b64 exec, exec, s[20:21]
	v_cmp_gt_u32_e32 vcc, s22, v8
	s_and_saveexec_b64 s[20:21], vcc
	s_cbranch_execz .LBB1222_318
.LBB1222_369:                           ;   in Loop: Header=BB1222_310 Depth=2
	global_load_dwordx2 v[54:55], v120, s[18:19]
	s_or_b64 exec, exec, s[20:21]
	v_cmp_gt_u32_e32 vcc, s22, v10
	s_and_saveexec_b64 s[20:21], vcc
	s_cbranch_execnz .LBB1222_319
.LBB1222_370:                           ;   in Loop: Header=BB1222_310 Depth=2
	s_or_b64 exec, exec, s[20:21]
	v_cmp_gt_u32_e32 vcc, s22, v12
	s_and_saveexec_b64 s[20:21], vcc
	s_cbranch_execz .LBB1222_320
.LBB1222_371:                           ;   in Loop: Header=BB1222_310 Depth=2
	global_load_dwordx2 v[50:51], v122, s[18:19]
	s_or_b64 exec, exec, s[20:21]
	v_cmp_gt_u32_e32 vcc, s22, v14
	s_and_saveexec_b64 s[20:21], vcc
	s_cbranch_execnz .LBB1222_321
.LBB1222_372:                           ;   in Loop: Header=BB1222_310 Depth=2
	s_or_b64 exec, exec, s[20:21]
	v_cmp_gt_u32_e32 vcc, s22, v16
	s_and_saveexec_b64 s[20:21], vcc
	s_cbranch_execz .LBB1222_322
.LBB1222_373:                           ;   in Loop: Header=BB1222_310 Depth=2
	global_load_dwordx2 v[46:47], v124, s[18:19]
	s_or_b64 exec, exec, s[20:21]
	v_cmp_gt_u32_e32 vcc, s22, v18
	s_and_saveexec_b64 s[20:21], vcc
	s_cbranch_execnz .LBB1222_323
.LBB1222_374:                           ;   in Loop: Header=BB1222_310 Depth=2
	s_or_b64 exec, exec, s[20:21]
	v_cmp_gt_u32_e32 vcc, s22, v20
	s_and_saveexec_b64 s[20:21], vcc
	s_cbranch_execz .LBB1222_324
.LBB1222_375:                           ;   in Loop: Header=BB1222_310 Depth=2
	global_load_dwordx2 v[42:43], v126, s[18:19]
	s_or_b64 exec, exec, s[20:21]
	v_cmp_gt_u32_e32 vcc, s22, v22
	s_and_saveexec_b64 s[20:21], vcc
	s_cbranch_execnz .LBB1222_325
.LBB1222_376:                           ;   in Loop: Header=BB1222_310 Depth=2
	s_or_b64 exec, exec, s[20:21]
	v_cmp_gt_u32_e32 vcc, s22, v24
	s_and_saveexec_b64 s[20:21], vcc
	s_cbranch_execz .LBB1222_326
.LBB1222_377:                           ;   in Loop: Header=BB1222_310 Depth=2
	global_load_dwordx2 v[38:39], v128, s[18:19]
	s_or_b64 exec, exec, s[20:21]
	v_cmp_gt_u32_e32 vcc, s22, v26
	s_and_saveexec_b64 s[20:21], vcc
	s_cbranch_execnz .LBB1222_327
.LBB1222_378:                           ;   in Loop: Header=BB1222_310 Depth=2
	s_or_b64 exec, exec, s[20:21]
	v_cmp_gt_u32_e32 vcc, s22, v28
	s_and_saveexec_b64 s[20:21], vcc
	s_cbranch_execz .LBB1222_328
.LBB1222_379:                           ;   in Loop: Header=BB1222_310 Depth=2
	global_load_dwordx2 v[34:35], v130, s[18:19]
	s_or_b64 exec, exec, s[20:21]
	v_cmp_gt_u32_e32 vcc, s22, v30
	s_and_saveexec_b64 s[20:21], vcc
	s_cbranch_execz .LBB1222_330
	s_branch .LBB1222_329
.LBB1222_380:                           ;   in Loop: Header=BB1222_12 Depth=1
	v_mov_b32_e32 v0, 0
	s_waitcnt lgkmcnt(0)
	s_barrier
	s_and_saveexec_b64 s[16:17], s[4:5]
	s_cbranch_execz .LBB1222_382
; %bb.381:                              ;   in Loop: Header=BB1222_12 Depth=1
	ds_read2_b64 v[34:37], v13 offset1:1
	s_waitcnt lgkmcnt(0)
	v_add_u32_e32 v0, v35, v34
	v_add3_u32 v0, v0, v36, v37
.LBB1222_382:                           ;   in Loop: Header=BB1222_12 Depth=1
	s_or_b64 exec, exec, s[16:17]
	s_nop 0
	v_mov_b32_dpp v1, v0 row_shr:1 row_mask:0xf bank_mask:0xf
	v_cmp_eq_u32_e64 s[16:17], 0, v136
	v_cndmask_b32_e64 v1, v1, 0, s[16:17]
	v_add_u32_e32 v0, v1, v0
	v_cmp_lt_u32_e64 s[18:19], 1, v136
	v_cmp_lt_u32_e64 s[20:21], 3, v136
	v_mov_b32_dpp v1, v0 row_shr:2 row_mask:0xf bank_mask:0xf
	v_cndmask_b32_e64 v1, 0, v1, s[18:19]
	v_add_u32_e32 v0, v0, v1
	v_cmp_lt_u32_e64 s[22:23], 7, v136
	v_cmp_lt_u32_e64 s[26:27], 31, v135
	v_mov_b32_dpp v1, v0 row_shr:4 row_mask:0xf bank_mask:0xf
	v_cndmask_b32_e64 v1, 0, v1, s[20:21]
	v_add_u32_e32 v0, v0, v1
	v_cmp_eq_u32_e64 s[24:25], 0, v138
	s_nop 0
	v_mov_b32_dpp v1, v0 row_shr:8 row_mask:0xf bank_mask:0xf
	v_cndmask_b32_e64 v1, 0, v1, s[22:23]
	v_add_u32_e32 v0, v0, v1
	s_nop 1
	v_mov_b32_dpp v1, v0 row_bcast:15 row_mask:0xf bank_mask:0xf
	v_and_b32_e32 v1, v137, v1
	v_add_u32_e32 v0, v0, v1
	s_nop 1
	v_mov_b32_dpp v1, v0 row_bcast:31 row_mask:0xf bank_mask:0xf
	v_cndmask_b32_e64 v1, 0, v1, s[26:27]
	v_add_u32_e32 v0, v0, v1
	s_and_saveexec_b64 s[28:29], s[6:7]
	v_readlane_b32 s38, v236, 2
	s_cbranch_execz .LBB1222_384
; %bb.383:                              ;   in Loop: Header=BB1222_12 Depth=1
	ds_write_b32 v17, v0
.LBB1222_384:                           ;   in Loop: Header=BB1222_12 Depth=1
	s_or_b64 exec, exec, s[28:29]
	s_waitcnt lgkmcnt(0)
	s_barrier
	s_and_saveexec_b64 s[28:29], s[8:9]
	s_cbranch_execz .LBB1222_386
; %bb.385:                              ;   in Loop: Header=BB1222_12 Depth=1
	ds_read_b32 v1, v19
	v_cmp_ne_u32_e32 vcc, 0, v139
	s_waitcnt lgkmcnt(0)
	v_mov_b32_dpp v5, v1 row_shr:1 row_mask:0xf bank_mask:0xf
	v_cndmask_b32_e32 v5, 0, v5, vcc
	v_add_u32_e32 v1, v5, v1
	v_cmp_lt_u32_e32 vcc, 1, v139
	s_nop 0
	v_mov_b32_dpp v5, v1 row_shr:2 row_mask:0xf bank_mask:0xf
	v_cndmask_b32_e32 v5, 0, v5, vcc
	v_add_u32_e32 v1, v1, v5
	ds_write_b32 v19, v1
.LBB1222_386:                           ;   in Loop: Header=BB1222_12 Depth=1
	s_or_b64 exec, exec, s[28:29]
	v_mov_b32_e32 v1, 0
	s_waitcnt lgkmcnt(0)
	s_barrier
	s_and_saveexec_b64 s[28:29], s[10:11]
	s_cbranch_execz .LBB1222_388
; %bb.387:                              ;   in Loop: Header=BB1222_12 Depth=1
	ds_read_b32 v1, v21
.LBB1222_388:                           ;   in Loop: Header=BB1222_12 Depth=1
	s_or_b64 exec, exec, s[28:29]
	v_cmp_lt_i32_e32 vcc, v140, v141
	v_cndmask_b32_e32 v5, v140, v135, vcc
	s_waitcnt lgkmcnt(0)
	v_add_u32_e32 v0, v1, v0
	v_lshlrev_b32_e32 v159, 2, v5
	ds_bpermute_b32 v0, v159, v0
	v_cmp_eq_u32_e64 s[28:29], 0, v135
	s_waitcnt lgkmcnt(0)
	s_barrier
	s_and_saveexec_b64 s[30:31], s[4:5]
	s_cbranch_execz .LBB1222_390
; %bb.389:                              ;   in Loop: Header=BB1222_12 Depth=1
	v_cndmask_b32_e64 v0, v0, v1, s[28:29]
	v_add_u32_e32 v0, s38, v0
	ds_write_b32 v3, v0
.LBB1222_390:                           ;   in Loop: Header=BB1222_12 Depth=1
	s_or_b64 exec, exec, s[30:31]
	s_load_dwordx2 s[30:31], s[90:91], 0x0
	v_readlane_b32 s34, v236, 1
	v_add_co_u32_e32 v160, vcc, v107, v142
	v_addc_co_u32_e32 v161, vcc, 0, v108, vcc
	s_waitcnt lgkmcnt(0)
	s_cmp_lt_u32 s34, s30
	v_readlane_b32 s30, v236, 0
	s_cselect_b32 s34, 12, 18
	s_cmp_lt_u32 s30, s31
	s_cselect_b32 s30, 14, 20
	s_add_u32 s30, s90, s30
	s_addc_u32 s31, s91, 0
	s_add_u32 s34, s90, s34
	global_load_ushort v5, v4, s[30:31]
	s_addc_u32 s35, s91, 0
	global_load_ushort v64, v4, s[34:35]
	v_add_co_u32_e32 v162, vcc, v109, v142
	v_addc_co_u32_e32 v163, vcc, 0, v110, vcc
	v_add_co_u32_e32 v170, vcc, 0x1e00, v162
	v_cmp_eq_u32_e64 s[30:31], 0, v139
	v_cmp_lt_u32_e64 s[34:35], 1, v139
	s_mov_b32 s86, s85
	v_addc_co_u32_e32 v173, vcc, 0, v163, vcc
	s_mov_b32 s88, s38
                                        ; implicit-def: $vgpr0_vgpr1
                                        ; implicit-def: $vgpr34_vgpr35
                                        ; implicit-def: $vgpr38_vgpr39
                                        ; implicit-def: $vgpr42_vgpr43
                                        ; implicit-def: $vgpr46_vgpr47
                                        ; implicit-def: $vgpr50_vgpr51
                                        ; implicit-def: $vgpr54_vgpr55
                                        ; implicit-def: $vgpr58_vgpr59
                                        ; implicit-def: $vgpr36_vgpr37
                                        ; implicit-def: $vgpr40_vgpr41
                                        ; implicit-def: $vgpr44_vgpr45
                                        ; implicit-def: $vgpr48_vgpr49
                                        ; implicit-def: $vgpr52_vgpr53
                                        ; implicit-def: $vgpr56_vgpr57
                                        ; implicit-def: $vgpr60_vgpr61
                                        ; implicit-def: $vgpr62_vgpr63
                                        ; implicit-def: $vgpr164
                                        ; implicit-def: $vgpr165
                                        ; implicit-def: $vgpr166
                                        ; implicit-def: $vgpr167
                                        ; implicit-def: $vgpr168
                                        ; implicit-def: $vgpr169
                                        ; implicit-def: $vgpr171
                                        ; implicit-def: $vgpr172
                                        ; implicit-def: $vgpr174
                                        ; implicit-def: $vgpr175
                                        ; implicit-def: $vgpr176
                                        ; implicit-def: $vgpr178
                                        ; implicit-def: $vgpr179
                                        ; implicit-def: $vgpr180
                                        ; implicit-def: $vgpr181
                                        ; implicit-def: $vgpr182
	s_waitcnt vmcnt(1)
	v_mad_u32_u24 v5, v23, v5, v25
	s_waitcnt vmcnt(0)
	v_mad_u64_u32 v[64:65], s[36:37], v5, v64, v[2:3]
	v_lshrrev_b32_e32 v177, 6, v64
	s_branch .LBB1222_392
.LBB1222_391:                           ;   in Loop: Header=BB1222_392 Depth=2
	s_or_b64 exec, exec, s[36:37]
	s_addk_i32 s86, 0xf000
	s_cmp_lt_u32 s87, s94
	s_mov_b32 s88, s87
	s_cbranch_scc0 .LBB1222_600
.LBB1222_392:                           ;   Parent Loop BB1222_12 Depth=1
                                        ; =>  This Inner Loop Header: Depth=2
	s_add_i32 s87, s88, 0x1000
	s_cmp_gt_u32 s87, s94
	s_cbranch_scc1 .LBB1222_394
; %bb.393:                              ;   in Loop: Header=BB1222_392 Depth=2
	s_lshl_b64 s[36:37], s[88:89], 3
	v_mov_b32_e32 v5, s37
	v_add_co_u32_e32 v68, vcc, s36, v162
	v_addc_co_u32_e32 v69, vcc, v163, v5, vcc
	global_load_dwordx2 v[64:65], v[68:69], off
	global_load_dwordx2 v[66:67], v[68:69], off offset:512
	global_load_dwordx2 v[74:75], v[68:69], off offset:1024
	;; [unrolled: 1-line block ×7, first 2 shown]
	v_add_co_u32_e32 v68, vcc, 0x1000, v68
	v_addc_co_u32_e32 v69, vcc, 0, v69, vcc
	global_load_dwordx2 v[92:93], v[68:69], off
	global_load_dwordx2 v[88:89], v[68:69], off offset:512
	global_load_dwordx2 v[84:85], v[68:69], off offset:1024
	;; [unrolled: 1-line block ×5, first 2 shown]
	s_nop 0
	global_load_dwordx2 v[68:69], v[68:69], off offset:3072
	s_movk_i32 s40, 0x1000
	s_mov_b64 s[36:37], -1
	s_cbranch_execz .LBB1222_395
	s_branch .LBB1222_426
.LBB1222_394:                           ;   in Loop: Header=BB1222_392 Depth=2
	s_mov_b64 s[36:37], 0
                                        ; implicit-def: $sgpr40
                                        ; implicit-def: $vgpr64_vgpr65
                                        ; implicit-def: $vgpr66_vgpr67
                                        ; implicit-def: $vgpr74_vgpr75
                                        ; implicit-def: $vgpr78_vgpr79
                                        ; implicit-def: $vgpr82_vgpr83
                                        ; implicit-def: $vgpr86_vgpr87
                                        ; implicit-def: $vgpr90_vgpr91
                                        ; implicit-def: $vgpr94_vgpr95
                                        ; implicit-def: $vgpr92_vgpr93
                                        ; implicit-def: $vgpr88_vgpr89
                                        ; implicit-def: $vgpr84_vgpr85
                                        ; implicit-def: $vgpr80_vgpr81
                                        ; implicit-def: $vgpr76_vgpr77
                                        ; implicit-def: $vgpr72_vgpr73
                                        ; implicit-def: $vgpr68_vgpr69
.LBB1222_395:                           ;   in Loop: Header=BB1222_392 Depth=2
	s_lshl_b64 s[36:37], s[88:89], 3
	v_mov_b32_e32 v5, s37
	v_add_co_u32_e32 v70, vcc, s36, v162
	v_addc_co_u32_e32 v71, vcc, v163, v5, vcc
	v_cmp_gt_u32_e32 vcc, s86, v143
	s_waitcnt vmcnt(14)
	v_pk_mov_b32 v[64:65], s[78:79], s[78:79] op_sel:[0,1]
	s_and_saveexec_b64 s[36:37], vcc
	s_cbranch_execz .LBB1222_397
; %bb.396:                              ;   in Loop: Header=BB1222_392 Depth=2
	global_load_dwordx2 v[64:65], v[70:71], off
.LBB1222_397:                           ;   in Loop: Header=BB1222_392 Depth=2
	s_or_b64 exec, exec, s[36:37]
	v_cmp_gt_u32_e32 vcc, s86, v144
	s_waitcnt vmcnt(13)
	v_pk_mov_b32 v[66:67], s[78:79], s[78:79] op_sel:[0,1]
	s_and_saveexec_b64 s[36:37], vcc
	s_cbranch_execz .LBB1222_399
; %bb.398:                              ;   in Loop: Header=BB1222_392 Depth=2
	global_load_dwordx2 v[66:67], v[70:71], off offset:512
.LBB1222_399:                           ;   in Loop: Header=BB1222_392 Depth=2
	s_or_b64 exec, exec, s[36:37]
	v_cmp_gt_u32_e32 vcc, s86, v145
	s_waitcnt vmcnt(12)
	v_pk_mov_b32 v[74:75], s[78:79], s[78:79] op_sel:[0,1]
	s_and_saveexec_b64 s[36:37], vcc
	s_cbranch_execz .LBB1222_401
; %bb.400:                              ;   in Loop: Header=BB1222_392 Depth=2
	global_load_dwordx2 v[74:75], v[70:71], off offset:1024
.LBB1222_401:                           ;   in Loop: Header=BB1222_392 Depth=2
	;; [unrolled: 9-line block ×7, first 2 shown]
	s_or_b64 exec, exec, s[36:37]
	v_cmp_gt_u32_e32 vcc, s86, v151
	s_waitcnt vmcnt(6)
	v_pk_mov_b32 v[92:93], s[78:79], s[78:79] op_sel:[0,1]
	s_and_saveexec_b64 s[36:37], vcc
	s_cbranch_execz .LBB1222_413
; %bb.412:                              ;   in Loop: Header=BB1222_392 Depth=2
	s_waitcnt vmcnt(0)
	v_add_co_u32_e32 v68, vcc, 0x1000, v70
	v_addc_co_u32_e32 v69, vcc, 0, v71, vcc
	global_load_dwordx2 v[92:93], v[68:69], off
.LBB1222_413:                           ;   in Loop: Header=BB1222_392 Depth=2
	s_or_b64 exec, exec, s[36:37]
	v_cmp_gt_u32_e32 vcc, s86, v152
	s_waitcnt vmcnt(5)
	v_pk_mov_b32 v[88:89], s[78:79], s[78:79] op_sel:[0,1]
	s_and_saveexec_b64 s[36:37], vcc
	s_cbranch_execz .LBB1222_415
; %bb.414:                              ;   in Loop: Header=BB1222_392 Depth=2
	s_waitcnt vmcnt(0)
	v_add_co_u32_e32 v68, vcc, 0x1000, v70
	v_addc_co_u32_e32 v69, vcc, 0, v71, vcc
	global_load_dwordx2 v[88:89], v[68:69], off offset:512
.LBB1222_415:                           ;   in Loop: Header=BB1222_392 Depth=2
	s_or_b64 exec, exec, s[36:37]
	v_cmp_gt_u32_e32 vcc, s86, v153
	s_waitcnt vmcnt(4)
	v_pk_mov_b32 v[84:85], s[78:79], s[78:79] op_sel:[0,1]
	s_and_saveexec_b64 s[36:37], vcc
	s_cbranch_execz .LBB1222_417
; %bb.416:                              ;   in Loop: Header=BB1222_392 Depth=2
	s_waitcnt vmcnt(0)
	v_add_co_u32_e32 v68, vcc, 0x1000, v70
	v_addc_co_u32_e32 v69, vcc, 0, v71, vcc
	global_load_dwordx2 v[84:85], v[68:69], off offset:1024
.LBB1222_417:                           ;   in Loop: Header=BB1222_392 Depth=2
	;; [unrolled: 12-line block ×5, first 2 shown]
	s_or_b64 exec, exec, s[36:37]
	v_cmp_gt_u32_e32 vcc, s86, v157
	s_waitcnt vmcnt(0)
	v_pk_mov_b32 v[68:69], s[78:79], s[78:79] op_sel:[0,1]
	s_and_saveexec_b64 s[36:37], vcc
	s_cbranch_execz .LBB1222_425
; %bb.424:                              ;   in Loop: Header=BB1222_392 Depth=2
	v_add_co_u32_e32 v68, vcc, 0x1000, v70
	v_addc_co_u32_e32 v69, vcc, 0, v71, vcc
	global_load_dwordx2 v[68:69], v[68:69], off offset:3072
.LBB1222_425:                           ;   in Loop: Header=BB1222_392 Depth=2
	s_or_b64 exec, exec, s[36:37]
	s_sub_i32 s40, s94, s88
	v_cmp_gt_u32_e64 s[36:37], s86, v158
.LBB1222_426:                           ;   in Loop: Header=BB1222_392 Depth=2
	v_pk_mov_b32 v[70:71], s[78:79], s[78:79] op_sel:[0,1]
	v_mov_b32_e32 v183, s86
	s_and_saveexec_b64 s[38:39], s[36:37]
	s_cbranch_execz .LBB1222_428
; %bb.427:                              ;   in Loop: Header=BB1222_392 Depth=2
	s_lshl_b64 s[36:37], s[88:89], 3
	v_mov_b32_e32 v5, s37
	v_add_co_u32_e32 v70, vcc, s36, v170
	v_addc_co_u32_e32 v71, vcc, v173, v5, vcc
	global_load_dwordx2 v[70:71], v[70:71], off
	v_mov_b32_e32 v183, s40
.LBB1222_428:                           ;   in Loop: Header=BB1222_392 Depth=2
	s_or_b64 exec, exec, s[38:39]
	s_waitcnt vmcnt(14)
	v_cmp_lt_i64_e32 vcc, -1, v[64:65]
	v_cndmask_b32_e32 v5, -1, v133, vcc
	v_ashrrev_i32_e32 v96, 31, v65
	v_xor_b32_e32 v65, v5, v65
	v_xor_b32_e32 v64, v96, v64
	v_cmp_ne_u64_e32 vcc, s[78:79], v[64:65]
	v_cndmask_b32_e32 v97, v133, v65, vcc
	v_cndmask_b32_e32 v96, 0, v64, vcc
	v_lshrrev_b64 v[96:97], s33, v[96:97]
	v_add_u32_e32 v5, 0x410, v27
	v_and_b32_e32 v96, s69, v96
	ds_write2_b32 v5, v4, v4 offset1:1
	ds_write2_b32 v31, v4, v4 offset0:2 offset1:3
	ds_write_b32 v31, v4 offset:16
	v_mad_u32_u24 v5, v96, 5, v177
	v_lshl_add_u32 v184, v5, 2, v29
	v_and_b32_e32 v5, 1, v96
	v_add_co_u32_e32 v97, vcc, -1, v5
	v_addc_co_u32_e64 v98, s[36:37], 0, -1, vcc
	v_cmp_ne_u32_e32 vcc, 0, v5
	v_xor_b32_e32 v5, vcc_hi, v98
	v_and_b32_e32 v98, exec_hi, v5
	v_lshlrev_b32_e32 v5, 30, v96
	v_xor_b32_e32 v97, vcc_lo, v97
	v_cmp_gt_i64_e32 vcc, 0, v[4:5]
	v_not_b32_e32 v5, v5
	v_ashrrev_i32_e32 v5, 31, v5
	v_and_b32_e32 v97, exec_lo, v97
	v_xor_b32_e32 v99, vcc_hi, v5
	v_xor_b32_e32 v5, vcc_lo, v5
	v_and_b32_e32 v97, v97, v5
	v_lshlrev_b32_e32 v5, 29, v96
	v_cmp_gt_i64_e32 vcc, 0, v[4:5]
	v_not_b32_e32 v5, v5
	v_ashrrev_i32_e32 v5, 31, v5
	v_and_b32_e32 v98, v98, v99
	v_xor_b32_e32 v99, vcc_hi, v5
	v_xor_b32_e32 v5, vcc_lo, v5
	v_and_b32_e32 v97, v97, v5
	v_lshlrev_b32_e32 v5, 28, v96
	v_cmp_gt_i64_e32 vcc, 0, v[4:5]
	v_not_b32_e32 v5, v5
	v_ashrrev_i32_e32 v5, 31, v5
	v_and_b32_e32 v98, v98, v99
	;; [unrolled: 8-line block ×5, first 2 shown]
	v_xor_b32_e32 v99, vcc_hi, v5
	v_xor_b32_e32 v5, vcc_lo, v5
	v_and_b32_e32 v98, v98, v99
	v_and_b32_e32 v99, v97, v5
	v_lshlrev_b32_e32 v5, 24, v96
	v_cmp_gt_i64_e32 vcc, 0, v[4:5]
	v_not_b32_e32 v5, v5
	v_ashrrev_i32_e32 v5, 31, v5
	v_xor_b32_e32 v96, vcc_hi, v5
	v_xor_b32_e32 v5, vcc_lo, v5
	v_and_b32_e32 v97, v98, v96
	v_and_b32_e32 v96, v99, v5
	v_mbcnt_lo_u32_b32 v5, v96, 0
	v_mbcnt_hi_u32_b32 v185, v97, v5
	v_cmp_eq_u32_e32 vcc, 0, v185
	v_cmp_ne_u64_e64 s[36:37], 0, v[96:97]
	s_and_b64 s[38:39], s[36:37], vcc
	s_waitcnt lgkmcnt(0)
	s_barrier
	s_waitcnt lgkmcnt(0)
	; wave barrier
	s_and_saveexec_b64 s[36:37], s[38:39]
	s_cbranch_execz .LBB1222_430
; %bb.429:                              ;   in Loop: Header=BB1222_392 Depth=2
	v_bcnt_u32_b32 v5, v96, 0
	v_bcnt_u32_b32 v5, v97, v5
	ds_write_b32 v184, v5
.LBB1222_430:                           ;   in Loop: Header=BB1222_392 Depth=2
	s_or_b64 exec, exec, s[36:37]
	s_waitcnt vmcnt(13)
	v_cmp_lt_i64_e32 vcc, -1, v[66:67]
	v_cndmask_b32_e32 v5, -1, v133, vcc
	v_ashrrev_i32_e32 v96, 31, v67
	v_xor_b32_e32 v67, v5, v67
	v_xor_b32_e32 v66, v96, v66
	v_cmp_ne_u64_e32 vcc, s[78:79], v[66:67]
	v_cndmask_b32_e32 v97, v133, v67, vcc
	v_cndmask_b32_e32 v96, 0, v66, vcc
	v_lshrrev_b64 v[96:97], s33, v[96:97]
	v_and_b32_e32 v96, s69, v96
	v_mul_u32_u24_e32 v5, 5, v96
	v_add_lshl_u32 v5, v5, v177, 2
	; wave barrier
	v_add_u32_e32 v187, 0x410, v5
	ds_read_b32 v186, v5 offset:1040
	v_and_b32_e32 v5, 1, v96
	v_add_co_u32_e32 v97, vcc, -1, v5
	v_addc_co_u32_e64 v98, s[36:37], 0, -1, vcc
	v_cmp_ne_u32_e32 vcc, 0, v5
	v_xor_b32_e32 v5, vcc_hi, v98
	v_and_b32_e32 v98, exec_hi, v5
	v_lshlrev_b32_e32 v5, 30, v96
	v_xor_b32_e32 v97, vcc_lo, v97
	v_cmp_gt_i64_e32 vcc, 0, v[4:5]
	v_not_b32_e32 v5, v5
	v_ashrrev_i32_e32 v5, 31, v5
	v_and_b32_e32 v97, exec_lo, v97
	v_xor_b32_e32 v99, vcc_hi, v5
	v_xor_b32_e32 v5, vcc_lo, v5
	v_and_b32_e32 v97, v97, v5
	v_lshlrev_b32_e32 v5, 29, v96
	v_cmp_gt_i64_e32 vcc, 0, v[4:5]
	v_not_b32_e32 v5, v5
	v_ashrrev_i32_e32 v5, 31, v5
	v_and_b32_e32 v98, v98, v99
	v_xor_b32_e32 v99, vcc_hi, v5
	v_xor_b32_e32 v5, vcc_lo, v5
	v_and_b32_e32 v97, v97, v5
	v_lshlrev_b32_e32 v5, 28, v96
	v_cmp_gt_i64_e32 vcc, 0, v[4:5]
	v_not_b32_e32 v5, v5
	v_ashrrev_i32_e32 v5, 31, v5
	v_and_b32_e32 v98, v98, v99
	;; [unrolled: 8-line block ×5, first 2 shown]
	v_xor_b32_e32 v99, vcc_hi, v5
	v_xor_b32_e32 v5, vcc_lo, v5
	v_and_b32_e32 v98, v98, v99
	v_and_b32_e32 v99, v97, v5
	v_lshlrev_b32_e32 v5, 24, v96
	v_cmp_gt_i64_e32 vcc, 0, v[4:5]
	v_not_b32_e32 v5, v5
	v_ashrrev_i32_e32 v5, 31, v5
	v_xor_b32_e32 v96, vcc_hi, v5
	v_xor_b32_e32 v5, vcc_lo, v5
	v_and_b32_e32 v97, v98, v96
	v_and_b32_e32 v96, v99, v5
	v_mbcnt_lo_u32_b32 v5, v96, 0
	v_mbcnt_hi_u32_b32 v188, v97, v5
	v_cmp_eq_u32_e32 vcc, 0, v188
	v_cmp_ne_u64_e64 s[36:37], 0, v[96:97]
	s_and_b64 s[38:39], s[36:37], vcc
	; wave barrier
	s_and_saveexec_b64 s[36:37], s[38:39]
	s_cbranch_execz .LBB1222_432
; %bb.431:                              ;   in Loop: Header=BB1222_392 Depth=2
	v_bcnt_u32_b32 v5, v96, 0
	v_bcnt_u32_b32 v5, v97, v5
	s_waitcnt lgkmcnt(0)
	v_add_u32_e32 v5, v186, v5
	ds_write_b32 v187, v5
.LBB1222_432:                           ;   in Loop: Header=BB1222_392 Depth=2
	s_or_b64 exec, exec, s[36:37]
	s_waitcnt vmcnt(12)
	v_cmp_lt_i64_e32 vcc, -1, v[74:75]
	v_cndmask_b32_e32 v5, -1, v133, vcc
	v_ashrrev_i32_e32 v96, 31, v75
	v_xor_b32_e32 v75, v5, v75
	v_xor_b32_e32 v74, v96, v74
	v_cmp_ne_u64_e32 vcc, s[78:79], v[74:75]
	v_cndmask_b32_e32 v97, v133, v75, vcc
	v_cndmask_b32_e32 v96, 0, v74, vcc
	v_lshrrev_b64 v[96:97], s33, v[96:97]
	v_and_b32_e32 v96, s69, v96
	v_mul_u32_u24_e32 v5, 5, v96
	v_add_lshl_u32 v5, v5, v177, 2
	; wave barrier
	v_add_u32_e32 v190, 0x410, v5
	ds_read_b32 v189, v5 offset:1040
	v_and_b32_e32 v5, 1, v96
	v_add_co_u32_e32 v97, vcc, -1, v5
	v_addc_co_u32_e64 v98, s[36:37], 0, -1, vcc
	v_cmp_ne_u32_e32 vcc, 0, v5
	v_xor_b32_e32 v5, vcc_hi, v98
	v_and_b32_e32 v98, exec_hi, v5
	v_lshlrev_b32_e32 v5, 30, v96
	v_xor_b32_e32 v97, vcc_lo, v97
	v_cmp_gt_i64_e32 vcc, 0, v[4:5]
	v_not_b32_e32 v5, v5
	v_ashrrev_i32_e32 v5, 31, v5
	v_and_b32_e32 v97, exec_lo, v97
	v_xor_b32_e32 v99, vcc_hi, v5
	v_xor_b32_e32 v5, vcc_lo, v5
	v_and_b32_e32 v97, v97, v5
	v_lshlrev_b32_e32 v5, 29, v96
	v_cmp_gt_i64_e32 vcc, 0, v[4:5]
	v_not_b32_e32 v5, v5
	v_ashrrev_i32_e32 v5, 31, v5
	v_and_b32_e32 v98, v98, v99
	v_xor_b32_e32 v99, vcc_hi, v5
	v_xor_b32_e32 v5, vcc_lo, v5
	v_and_b32_e32 v97, v97, v5
	v_lshlrev_b32_e32 v5, 28, v96
	v_cmp_gt_i64_e32 vcc, 0, v[4:5]
	v_not_b32_e32 v5, v5
	v_ashrrev_i32_e32 v5, 31, v5
	v_and_b32_e32 v98, v98, v99
	;; [unrolled: 8-line block ×5, first 2 shown]
	v_xor_b32_e32 v99, vcc_hi, v5
	v_xor_b32_e32 v5, vcc_lo, v5
	v_and_b32_e32 v98, v98, v99
	v_and_b32_e32 v99, v97, v5
	v_lshlrev_b32_e32 v5, 24, v96
	v_cmp_gt_i64_e32 vcc, 0, v[4:5]
	v_not_b32_e32 v5, v5
	v_ashrrev_i32_e32 v5, 31, v5
	v_xor_b32_e32 v96, vcc_hi, v5
	v_xor_b32_e32 v5, vcc_lo, v5
	v_and_b32_e32 v97, v98, v96
	v_and_b32_e32 v96, v99, v5
	v_mbcnt_lo_u32_b32 v5, v96, 0
	v_mbcnt_hi_u32_b32 v191, v97, v5
	v_cmp_eq_u32_e32 vcc, 0, v191
	v_cmp_ne_u64_e64 s[36:37], 0, v[96:97]
	s_and_b64 s[38:39], s[36:37], vcc
	; wave barrier
	s_and_saveexec_b64 s[36:37], s[38:39]
	s_cbranch_execz .LBB1222_434
; %bb.433:                              ;   in Loop: Header=BB1222_392 Depth=2
	v_bcnt_u32_b32 v5, v96, 0
	v_bcnt_u32_b32 v5, v97, v5
	s_waitcnt lgkmcnt(0)
	v_add_u32_e32 v5, v189, v5
	ds_write_b32 v190, v5
.LBB1222_434:                           ;   in Loop: Header=BB1222_392 Depth=2
	s_or_b64 exec, exec, s[36:37]
	s_waitcnt vmcnt(11)
	v_cmp_lt_i64_e32 vcc, -1, v[78:79]
	v_cndmask_b32_e32 v5, -1, v133, vcc
	v_ashrrev_i32_e32 v96, 31, v79
	v_xor_b32_e32 v79, v5, v79
	v_xor_b32_e32 v78, v96, v78
	v_cmp_ne_u64_e32 vcc, s[78:79], v[78:79]
	v_cndmask_b32_e32 v97, v133, v79, vcc
	v_cndmask_b32_e32 v96, 0, v78, vcc
	v_lshrrev_b64 v[96:97], s33, v[96:97]
	v_and_b32_e32 v96, s69, v96
	v_mul_u32_u24_e32 v5, 5, v96
	v_add_lshl_u32 v5, v5, v177, 2
	; wave barrier
	v_add_u32_e32 v193, 0x410, v5
	ds_read_b32 v192, v5 offset:1040
	v_and_b32_e32 v5, 1, v96
	v_add_co_u32_e32 v97, vcc, -1, v5
	v_addc_co_u32_e64 v98, s[36:37], 0, -1, vcc
	v_cmp_ne_u32_e32 vcc, 0, v5
	v_xor_b32_e32 v5, vcc_hi, v98
	v_and_b32_e32 v98, exec_hi, v5
	v_lshlrev_b32_e32 v5, 30, v96
	v_xor_b32_e32 v97, vcc_lo, v97
	v_cmp_gt_i64_e32 vcc, 0, v[4:5]
	v_not_b32_e32 v5, v5
	v_ashrrev_i32_e32 v5, 31, v5
	v_and_b32_e32 v97, exec_lo, v97
	v_xor_b32_e32 v99, vcc_hi, v5
	v_xor_b32_e32 v5, vcc_lo, v5
	v_and_b32_e32 v97, v97, v5
	v_lshlrev_b32_e32 v5, 29, v96
	v_cmp_gt_i64_e32 vcc, 0, v[4:5]
	v_not_b32_e32 v5, v5
	v_ashrrev_i32_e32 v5, 31, v5
	v_and_b32_e32 v98, v98, v99
	v_xor_b32_e32 v99, vcc_hi, v5
	v_xor_b32_e32 v5, vcc_lo, v5
	v_and_b32_e32 v97, v97, v5
	v_lshlrev_b32_e32 v5, 28, v96
	v_cmp_gt_i64_e32 vcc, 0, v[4:5]
	v_not_b32_e32 v5, v5
	v_ashrrev_i32_e32 v5, 31, v5
	v_and_b32_e32 v98, v98, v99
	;; [unrolled: 8-line block ×5, first 2 shown]
	v_xor_b32_e32 v99, vcc_hi, v5
	v_xor_b32_e32 v5, vcc_lo, v5
	v_and_b32_e32 v98, v98, v99
	v_and_b32_e32 v99, v97, v5
	v_lshlrev_b32_e32 v5, 24, v96
	v_cmp_gt_i64_e32 vcc, 0, v[4:5]
	v_not_b32_e32 v5, v5
	v_ashrrev_i32_e32 v5, 31, v5
	v_xor_b32_e32 v96, vcc_hi, v5
	v_xor_b32_e32 v5, vcc_lo, v5
	v_and_b32_e32 v97, v98, v96
	v_and_b32_e32 v96, v99, v5
	v_mbcnt_lo_u32_b32 v5, v96, 0
	v_mbcnt_hi_u32_b32 v194, v97, v5
	v_cmp_eq_u32_e32 vcc, 0, v194
	v_cmp_ne_u64_e64 s[36:37], 0, v[96:97]
	s_and_b64 s[38:39], s[36:37], vcc
	; wave barrier
	s_and_saveexec_b64 s[36:37], s[38:39]
	s_cbranch_execz .LBB1222_436
; %bb.435:                              ;   in Loop: Header=BB1222_392 Depth=2
	v_bcnt_u32_b32 v5, v96, 0
	v_bcnt_u32_b32 v5, v97, v5
	s_waitcnt lgkmcnt(0)
	v_add_u32_e32 v5, v192, v5
	ds_write_b32 v193, v5
.LBB1222_436:                           ;   in Loop: Header=BB1222_392 Depth=2
	s_or_b64 exec, exec, s[36:37]
	s_waitcnt vmcnt(10)
	v_cmp_lt_i64_e32 vcc, -1, v[82:83]
	v_cndmask_b32_e32 v5, -1, v133, vcc
	v_ashrrev_i32_e32 v96, 31, v83
	v_xor_b32_e32 v83, v5, v83
	v_xor_b32_e32 v82, v96, v82
	v_cmp_ne_u64_e32 vcc, s[78:79], v[82:83]
	v_cndmask_b32_e32 v97, v133, v83, vcc
	v_cndmask_b32_e32 v96, 0, v82, vcc
	v_lshrrev_b64 v[96:97], s33, v[96:97]
	v_and_b32_e32 v96, s69, v96
	v_mul_u32_u24_e32 v5, 5, v96
	v_add_lshl_u32 v5, v5, v177, 2
	; wave barrier
	v_add_u32_e32 v196, 0x410, v5
	ds_read_b32 v195, v5 offset:1040
	v_and_b32_e32 v5, 1, v96
	v_add_co_u32_e32 v97, vcc, -1, v5
	v_addc_co_u32_e64 v98, s[36:37], 0, -1, vcc
	v_cmp_ne_u32_e32 vcc, 0, v5
	v_xor_b32_e32 v5, vcc_hi, v98
	v_and_b32_e32 v98, exec_hi, v5
	v_lshlrev_b32_e32 v5, 30, v96
	v_xor_b32_e32 v97, vcc_lo, v97
	v_cmp_gt_i64_e32 vcc, 0, v[4:5]
	v_not_b32_e32 v5, v5
	v_ashrrev_i32_e32 v5, 31, v5
	v_and_b32_e32 v97, exec_lo, v97
	v_xor_b32_e32 v99, vcc_hi, v5
	v_xor_b32_e32 v5, vcc_lo, v5
	v_and_b32_e32 v97, v97, v5
	v_lshlrev_b32_e32 v5, 29, v96
	v_cmp_gt_i64_e32 vcc, 0, v[4:5]
	v_not_b32_e32 v5, v5
	v_ashrrev_i32_e32 v5, 31, v5
	v_and_b32_e32 v98, v98, v99
	v_xor_b32_e32 v99, vcc_hi, v5
	v_xor_b32_e32 v5, vcc_lo, v5
	v_and_b32_e32 v97, v97, v5
	v_lshlrev_b32_e32 v5, 28, v96
	v_cmp_gt_i64_e32 vcc, 0, v[4:5]
	v_not_b32_e32 v5, v5
	v_ashrrev_i32_e32 v5, 31, v5
	v_and_b32_e32 v98, v98, v99
	;; [unrolled: 8-line block ×5, first 2 shown]
	v_xor_b32_e32 v99, vcc_hi, v5
	v_xor_b32_e32 v5, vcc_lo, v5
	v_and_b32_e32 v98, v98, v99
	v_and_b32_e32 v99, v97, v5
	v_lshlrev_b32_e32 v5, 24, v96
	v_cmp_gt_i64_e32 vcc, 0, v[4:5]
	v_not_b32_e32 v5, v5
	v_ashrrev_i32_e32 v5, 31, v5
	v_xor_b32_e32 v96, vcc_hi, v5
	v_xor_b32_e32 v5, vcc_lo, v5
	v_and_b32_e32 v97, v98, v96
	v_and_b32_e32 v96, v99, v5
	v_mbcnt_lo_u32_b32 v5, v96, 0
	v_mbcnt_hi_u32_b32 v197, v97, v5
	v_cmp_eq_u32_e32 vcc, 0, v197
	v_cmp_ne_u64_e64 s[36:37], 0, v[96:97]
	s_and_b64 s[38:39], s[36:37], vcc
	; wave barrier
	s_and_saveexec_b64 s[36:37], s[38:39]
	s_cbranch_execz .LBB1222_438
; %bb.437:                              ;   in Loop: Header=BB1222_392 Depth=2
	v_bcnt_u32_b32 v5, v96, 0
	v_bcnt_u32_b32 v5, v97, v5
	s_waitcnt lgkmcnt(0)
	v_add_u32_e32 v5, v195, v5
	ds_write_b32 v196, v5
.LBB1222_438:                           ;   in Loop: Header=BB1222_392 Depth=2
	s_or_b64 exec, exec, s[36:37]
	s_waitcnt vmcnt(9)
	v_cmp_lt_i64_e32 vcc, -1, v[86:87]
	v_cndmask_b32_e32 v5, -1, v133, vcc
	v_ashrrev_i32_e32 v96, 31, v87
	v_xor_b32_e32 v87, v5, v87
	v_xor_b32_e32 v86, v96, v86
	v_cmp_ne_u64_e32 vcc, s[78:79], v[86:87]
	v_cndmask_b32_e32 v97, v133, v87, vcc
	v_cndmask_b32_e32 v96, 0, v86, vcc
	v_lshrrev_b64 v[96:97], s33, v[96:97]
	v_and_b32_e32 v96, s69, v96
	v_mul_u32_u24_e32 v5, 5, v96
	v_add_lshl_u32 v5, v5, v177, 2
	; wave barrier
	v_add_u32_e32 v199, 0x410, v5
	ds_read_b32 v198, v5 offset:1040
	v_and_b32_e32 v5, 1, v96
	v_add_co_u32_e32 v97, vcc, -1, v5
	v_addc_co_u32_e64 v98, s[36:37], 0, -1, vcc
	v_cmp_ne_u32_e32 vcc, 0, v5
	v_xor_b32_e32 v5, vcc_hi, v98
	v_and_b32_e32 v98, exec_hi, v5
	v_lshlrev_b32_e32 v5, 30, v96
	v_xor_b32_e32 v97, vcc_lo, v97
	v_cmp_gt_i64_e32 vcc, 0, v[4:5]
	v_not_b32_e32 v5, v5
	v_ashrrev_i32_e32 v5, 31, v5
	v_and_b32_e32 v97, exec_lo, v97
	v_xor_b32_e32 v99, vcc_hi, v5
	v_xor_b32_e32 v5, vcc_lo, v5
	v_and_b32_e32 v97, v97, v5
	v_lshlrev_b32_e32 v5, 29, v96
	v_cmp_gt_i64_e32 vcc, 0, v[4:5]
	v_not_b32_e32 v5, v5
	v_ashrrev_i32_e32 v5, 31, v5
	v_and_b32_e32 v98, v98, v99
	v_xor_b32_e32 v99, vcc_hi, v5
	v_xor_b32_e32 v5, vcc_lo, v5
	v_and_b32_e32 v97, v97, v5
	v_lshlrev_b32_e32 v5, 28, v96
	v_cmp_gt_i64_e32 vcc, 0, v[4:5]
	v_not_b32_e32 v5, v5
	v_ashrrev_i32_e32 v5, 31, v5
	v_and_b32_e32 v98, v98, v99
	;; [unrolled: 8-line block ×5, first 2 shown]
	v_xor_b32_e32 v99, vcc_hi, v5
	v_xor_b32_e32 v5, vcc_lo, v5
	v_and_b32_e32 v98, v98, v99
	v_and_b32_e32 v99, v97, v5
	v_lshlrev_b32_e32 v5, 24, v96
	v_cmp_gt_i64_e32 vcc, 0, v[4:5]
	v_not_b32_e32 v5, v5
	v_ashrrev_i32_e32 v5, 31, v5
	v_xor_b32_e32 v96, vcc_hi, v5
	v_xor_b32_e32 v5, vcc_lo, v5
	v_and_b32_e32 v97, v98, v96
	v_and_b32_e32 v96, v99, v5
	v_mbcnt_lo_u32_b32 v5, v96, 0
	v_mbcnt_hi_u32_b32 v200, v97, v5
	v_cmp_eq_u32_e32 vcc, 0, v200
	v_cmp_ne_u64_e64 s[36:37], 0, v[96:97]
	s_and_b64 s[38:39], s[36:37], vcc
	; wave barrier
	s_and_saveexec_b64 s[36:37], s[38:39]
	s_cbranch_execz .LBB1222_440
; %bb.439:                              ;   in Loop: Header=BB1222_392 Depth=2
	v_bcnt_u32_b32 v5, v96, 0
	v_bcnt_u32_b32 v5, v97, v5
	s_waitcnt lgkmcnt(0)
	v_add_u32_e32 v5, v198, v5
	ds_write_b32 v199, v5
.LBB1222_440:                           ;   in Loop: Header=BB1222_392 Depth=2
	s_or_b64 exec, exec, s[36:37]
	s_waitcnt vmcnt(8)
	v_cmp_lt_i64_e32 vcc, -1, v[90:91]
	v_cndmask_b32_e32 v5, -1, v133, vcc
	v_ashrrev_i32_e32 v96, 31, v91
	v_xor_b32_e32 v91, v5, v91
	v_xor_b32_e32 v90, v96, v90
	v_cmp_ne_u64_e32 vcc, s[78:79], v[90:91]
	v_cndmask_b32_e32 v97, v133, v91, vcc
	v_cndmask_b32_e32 v96, 0, v90, vcc
	v_lshrrev_b64 v[96:97], s33, v[96:97]
	v_and_b32_e32 v96, s69, v96
	v_mul_u32_u24_e32 v5, 5, v96
	v_add_lshl_u32 v5, v5, v177, 2
	; wave barrier
	v_add_u32_e32 v202, 0x410, v5
	ds_read_b32 v201, v5 offset:1040
	v_and_b32_e32 v5, 1, v96
	v_add_co_u32_e32 v97, vcc, -1, v5
	v_addc_co_u32_e64 v98, s[36:37], 0, -1, vcc
	v_cmp_ne_u32_e32 vcc, 0, v5
	v_xor_b32_e32 v5, vcc_hi, v98
	v_and_b32_e32 v98, exec_hi, v5
	v_lshlrev_b32_e32 v5, 30, v96
	v_xor_b32_e32 v97, vcc_lo, v97
	v_cmp_gt_i64_e32 vcc, 0, v[4:5]
	v_not_b32_e32 v5, v5
	v_ashrrev_i32_e32 v5, 31, v5
	v_and_b32_e32 v97, exec_lo, v97
	v_xor_b32_e32 v99, vcc_hi, v5
	v_xor_b32_e32 v5, vcc_lo, v5
	v_and_b32_e32 v97, v97, v5
	v_lshlrev_b32_e32 v5, 29, v96
	v_cmp_gt_i64_e32 vcc, 0, v[4:5]
	v_not_b32_e32 v5, v5
	v_ashrrev_i32_e32 v5, 31, v5
	v_and_b32_e32 v98, v98, v99
	v_xor_b32_e32 v99, vcc_hi, v5
	v_xor_b32_e32 v5, vcc_lo, v5
	v_and_b32_e32 v97, v97, v5
	v_lshlrev_b32_e32 v5, 28, v96
	v_cmp_gt_i64_e32 vcc, 0, v[4:5]
	v_not_b32_e32 v5, v5
	v_ashrrev_i32_e32 v5, 31, v5
	v_and_b32_e32 v98, v98, v99
	;; [unrolled: 8-line block ×5, first 2 shown]
	v_xor_b32_e32 v99, vcc_hi, v5
	v_xor_b32_e32 v5, vcc_lo, v5
	v_and_b32_e32 v98, v98, v99
	v_and_b32_e32 v99, v97, v5
	v_lshlrev_b32_e32 v5, 24, v96
	v_cmp_gt_i64_e32 vcc, 0, v[4:5]
	v_not_b32_e32 v5, v5
	v_ashrrev_i32_e32 v5, 31, v5
	v_xor_b32_e32 v96, vcc_hi, v5
	v_xor_b32_e32 v5, vcc_lo, v5
	v_and_b32_e32 v97, v98, v96
	v_and_b32_e32 v96, v99, v5
	v_mbcnt_lo_u32_b32 v5, v96, 0
	v_mbcnt_hi_u32_b32 v203, v97, v5
	v_cmp_eq_u32_e32 vcc, 0, v203
	v_cmp_ne_u64_e64 s[36:37], 0, v[96:97]
	s_and_b64 s[38:39], s[36:37], vcc
	; wave barrier
	s_and_saveexec_b64 s[36:37], s[38:39]
	s_cbranch_execz .LBB1222_442
; %bb.441:                              ;   in Loop: Header=BB1222_392 Depth=2
	v_bcnt_u32_b32 v5, v96, 0
	v_bcnt_u32_b32 v5, v97, v5
	s_waitcnt lgkmcnt(0)
	v_add_u32_e32 v5, v201, v5
	ds_write_b32 v202, v5
.LBB1222_442:                           ;   in Loop: Header=BB1222_392 Depth=2
	s_or_b64 exec, exec, s[36:37]
	s_waitcnt vmcnt(7)
	v_cmp_lt_i64_e32 vcc, -1, v[94:95]
	v_cndmask_b32_e32 v5, -1, v133, vcc
	v_ashrrev_i32_e32 v96, 31, v95
	v_xor_b32_e32 v95, v5, v95
	v_xor_b32_e32 v94, v96, v94
	v_cmp_ne_u64_e32 vcc, s[78:79], v[94:95]
	v_cndmask_b32_e32 v97, v133, v95, vcc
	v_cndmask_b32_e32 v96, 0, v94, vcc
	v_lshrrev_b64 v[96:97], s33, v[96:97]
	v_and_b32_e32 v96, s69, v96
	v_mul_u32_u24_e32 v5, 5, v96
	v_add_lshl_u32 v5, v5, v177, 2
	; wave barrier
	v_add_u32_e32 v205, 0x410, v5
	ds_read_b32 v204, v5 offset:1040
	v_and_b32_e32 v5, 1, v96
	v_add_co_u32_e32 v97, vcc, -1, v5
	v_addc_co_u32_e64 v98, s[36:37], 0, -1, vcc
	v_cmp_ne_u32_e32 vcc, 0, v5
	v_xor_b32_e32 v5, vcc_hi, v98
	v_and_b32_e32 v98, exec_hi, v5
	v_lshlrev_b32_e32 v5, 30, v96
	v_xor_b32_e32 v97, vcc_lo, v97
	v_cmp_gt_i64_e32 vcc, 0, v[4:5]
	v_not_b32_e32 v5, v5
	v_ashrrev_i32_e32 v5, 31, v5
	v_and_b32_e32 v97, exec_lo, v97
	v_xor_b32_e32 v99, vcc_hi, v5
	v_xor_b32_e32 v5, vcc_lo, v5
	v_and_b32_e32 v97, v97, v5
	v_lshlrev_b32_e32 v5, 29, v96
	v_cmp_gt_i64_e32 vcc, 0, v[4:5]
	v_not_b32_e32 v5, v5
	v_ashrrev_i32_e32 v5, 31, v5
	v_and_b32_e32 v98, v98, v99
	v_xor_b32_e32 v99, vcc_hi, v5
	v_xor_b32_e32 v5, vcc_lo, v5
	v_and_b32_e32 v97, v97, v5
	v_lshlrev_b32_e32 v5, 28, v96
	v_cmp_gt_i64_e32 vcc, 0, v[4:5]
	v_not_b32_e32 v5, v5
	v_ashrrev_i32_e32 v5, 31, v5
	v_and_b32_e32 v98, v98, v99
	;; [unrolled: 8-line block ×5, first 2 shown]
	v_xor_b32_e32 v99, vcc_hi, v5
	v_xor_b32_e32 v5, vcc_lo, v5
	v_and_b32_e32 v98, v98, v99
	v_and_b32_e32 v99, v97, v5
	v_lshlrev_b32_e32 v5, 24, v96
	v_cmp_gt_i64_e32 vcc, 0, v[4:5]
	v_not_b32_e32 v5, v5
	v_ashrrev_i32_e32 v5, 31, v5
	v_xor_b32_e32 v96, vcc_hi, v5
	v_xor_b32_e32 v5, vcc_lo, v5
	v_and_b32_e32 v97, v98, v96
	v_and_b32_e32 v96, v99, v5
	v_mbcnt_lo_u32_b32 v5, v96, 0
	v_mbcnt_hi_u32_b32 v206, v97, v5
	v_cmp_eq_u32_e32 vcc, 0, v206
	v_cmp_ne_u64_e64 s[36:37], 0, v[96:97]
	s_and_b64 s[38:39], s[36:37], vcc
	; wave barrier
	s_and_saveexec_b64 s[36:37], s[38:39]
	s_cbranch_execz .LBB1222_444
; %bb.443:                              ;   in Loop: Header=BB1222_392 Depth=2
	v_bcnt_u32_b32 v5, v96, 0
	v_bcnt_u32_b32 v5, v97, v5
	s_waitcnt lgkmcnt(0)
	v_add_u32_e32 v5, v204, v5
	ds_write_b32 v205, v5
.LBB1222_444:                           ;   in Loop: Header=BB1222_392 Depth=2
	s_or_b64 exec, exec, s[36:37]
	s_waitcnt vmcnt(6)
	v_cmp_lt_i64_e32 vcc, -1, v[92:93]
	v_cndmask_b32_e32 v5, -1, v133, vcc
	v_ashrrev_i32_e32 v96, 31, v93
	v_xor_b32_e32 v93, v5, v93
	v_xor_b32_e32 v92, v96, v92
	v_cmp_ne_u64_e32 vcc, s[78:79], v[92:93]
	v_cndmask_b32_e32 v97, v133, v93, vcc
	v_cndmask_b32_e32 v96, 0, v92, vcc
	v_lshrrev_b64 v[96:97], s33, v[96:97]
	v_and_b32_e32 v96, s69, v96
	v_mul_u32_u24_e32 v5, 5, v96
	v_add_lshl_u32 v5, v5, v177, 2
	; wave barrier
	v_add_u32_e32 v208, 0x410, v5
	ds_read_b32 v207, v5 offset:1040
	v_and_b32_e32 v5, 1, v96
	v_add_co_u32_e32 v97, vcc, -1, v5
	v_addc_co_u32_e64 v98, s[36:37], 0, -1, vcc
	v_cmp_ne_u32_e32 vcc, 0, v5
	v_xor_b32_e32 v5, vcc_hi, v98
	v_and_b32_e32 v98, exec_hi, v5
	v_lshlrev_b32_e32 v5, 30, v96
	v_xor_b32_e32 v97, vcc_lo, v97
	v_cmp_gt_i64_e32 vcc, 0, v[4:5]
	v_not_b32_e32 v5, v5
	v_ashrrev_i32_e32 v5, 31, v5
	v_and_b32_e32 v97, exec_lo, v97
	v_xor_b32_e32 v99, vcc_hi, v5
	v_xor_b32_e32 v5, vcc_lo, v5
	v_and_b32_e32 v97, v97, v5
	v_lshlrev_b32_e32 v5, 29, v96
	v_cmp_gt_i64_e32 vcc, 0, v[4:5]
	v_not_b32_e32 v5, v5
	v_ashrrev_i32_e32 v5, 31, v5
	v_and_b32_e32 v98, v98, v99
	v_xor_b32_e32 v99, vcc_hi, v5
	v_xor_b32_e32 v5, vcc_lo, v5
	v_and_b32_e32 v97, v97, v5
	v_lshlrev_b32_e32 v5, 28, v96
	v_cmp_gt_i64_e32 vcc, 0, v[4:5]
	v_not_b32_e32 v5, v5
	v_ashrrev_i32_e32 v5, 31, v5
	v_and_b32_e32 v98, v98, v99
	;; [unrolled: 8-line block ×5, first 2 shown]
	v_xor_b32_e32 v99, vcc_hi, v5
	v_xor_b32_e32 v5, vcc_lo, v5
	v_and_b32_e32 v98, v98, v99
	v_and_b32_e32 v99, v97, v5
	v_lshlrev_b32_e32 v5, 24, v96
	v_cmp_gt_i64_e32 vcc, 0, v[4:5]
	v_not_b32_e32 v5, v5
	v_ashrrev_i32_e32 v5, 31, v5
	v_xor_b32_e32 v96, vcc_hi, v5
	v_xor_b32_e32 v5, vcc_lo, v5
	v_and_b32_e32 v97, v98, v96
	v_and_b32_e32 v96, v99, v5
	v_mbcnt_lo_u32_b32 v5, v96, 0
	v_mbcnt_hi_u32_b32 v209, v97, v5
	v_cmp_eq_u32_e32 vcc, 0, v209
	v_cmp_ne_u64_e64 s[36:37], 0, v[96:97]
	s_and_b64 s[38:39], s[36:37], vcc
	; wave barrier
	s_and_saveexec_b64 s[36:37], s[38:39]
	s_cbranch_execz .LBB1222_446
; %bb.445:                              ;   in Loop: Header=BB1222_392 Depth=2
	v_bcnt_u32_b32 v5, v96, 0
	v_bcnt_u32_b32 v5, v97, v5
	s_waitcnt lgkmcnt(0)
	v_add_u32_e32 v5, v207, v5
	ds_write_b32 v208, v5
.LBB1222_446:                           ;   in Loop: Header=BB1222_392 Depth=2
	s_or_b64 exec, exec, s[36:37]
	s_waitcnt vmcnt(5)
	v_cmp_lt_i64_e32 vcc, -1, v[88:89]
	v_cndmask_b32_e32 v5, -1, v133, vcc
	v_ashrrev_i32_e32 v96, 31, v89
	v_xor_b32_e32 v89, v5, v89
	v_xor_b32_e32 v88, v96, v88
	v_cmp_ne_u64_e32 vcc, s[78:79], v[88:89]
	v_cndmask_b32_e32 v97, v133, v89, vcc
	v_cndmask_b32_e32 v96, 0, v88, vcc
	v_lshrrev_b64 v[96:97], s33, v[96:97]
	v_and_b32_e32 v96, s69, v96
	v_mul_u32_u24_e32 v5, 5, v96
	v_add_lshl_u32 v5, v5, v177, 2
	; wave barrier
	v_add_u32_e32 v211, 0x410, v5
	ds_read_b32 v210, v5 offset:1040
	v_and_b32_e32 v5, 1, v96
	v_add_co_u32_e32 v97, vcc, -1, v5
	v_addc_co_u32_e64 v98, s[36:37], 0, -1, vcc
	v_cmp_ne_u32_e32 vcc, 0, v5
	v_xor_b32_e32 v5, vcc_hi, v98
	v_and_b32_e32 v98, exec_hi, v5
	v_lshlrev_b32_e32 v5, 30, v96
	v_xor_b32_e32 v97, vcc_lo, v97
	v_cmp_gt_i64_e32 vcc, 0, v[4:5]
	v_not_b32_e32 v5, v5
	v_ashrrev_i32_e32 v5, 31, v5
	v_and_b32_e32 v97, exec_lo, v97
	v_xor_b32_e32 v99, vcc_hi, v5
	v_xor_b32_e32 v5, vcc_lo, v5
	v_and_b32_e32 v97, v97, v5
	v_lshlrev_b32_e32 v5, 29, v96
	v_cmp_gt_i64_e32 vcc, 0, v[4:5]
	v_not_b32_e32 v5, v5
	v_ashrrev_i32_e32 v5, 31, v5
	v_and_b32_e32 v98, v98, v99
	v_xor_b32_e32 v99, vcc_hi, v5
	v_xor_b32_e32 v5, vcc_lo, v5
	v_and_b32_e32 v97, v97, v5
	v_lshlrev_b32_e32 v5, 28, v96
	v_cmp_gt_i64_e32 vcc, 0, v[4:5]
	v_not_b32_e32 v5, v5
	v_ashrrev_i32_e32 v5, 31, v5
	v_and_b32_e32 v98, v98, v99
	;; [unrolled: 8-line block ×5, first 2 shown]
	v_xor_b32_e32 v99, vcc_hi, v5
	v_xor_b32_e32 v5, vcc_lo, v5
	v_and_b32_e32 v98, v98, v99
	v_and_b32_e32 v99, v97, v5
	v_lshlrev_b32_e32 v5, 24, v96
	v_cmp_gt_i64_e32 vcc, 0, v[4:5]
	v_not_b32_e32 v5, v5
	v_ashrrev_i32_e32 v5, 31, v5
	v_xor_b32_e32 v96, vcc_hi, v5
	v_xor_b32_e32 v5, vcc_lo, v5
	v_and_b32_e32 v97, v98, v96
	v_and_b32_e32 v96, v99, v5
	v_mbcnt_lo_u32_b32 v5, v96, 0
	v_mbcnt_hi_u32_b32 v212, v97, v5
	v_cmp_eq_u32_e32 vcc, 0, v212
	v_cmp_ne_u64_e64 s[36:37], 0, v[96:97]
	s_and_b64 s[38:39], s[36:37], vcc
	; wave barrier
	s_and_saveexec_b64 s[36:37], s[38:39]
	s_cbranch_execz .LBB1222_448
; %bb.447:                              ;   in Loop: Header=BB1222_392 Depth=2
	v_bcnt_u32_b32 v5, v96, 0
	v_bcnt_u32_b32 v5, v97, v5
	s_waitcnt lgkmcnt(0)
	v_add_u32_e32 v5, v210, v5
	ds_write_b32 v211, v5
.LBB1222_448:                           ;   in Loop: Header=BB1222_392 Depth=2
	s_or_b64 exec, exec, s[36:37]
	s_waitcnt vmcnt(4)
	v_cmp_lt_i64_e32 vcc, -1, v[84:85]
	v_cndmask_b32_e32 v5, -1, v133, vcc
	v_ashrrev_i32_e32 v96, 31, v85
	v_xor_b32_e32 v85, v5, v85
	v_xor_b32_e32 v84, v96, v84
	v_cmp_ne_u64_e32 vcc, s[78:79], v[84:85]
	v_cndmask_b32_e32 v97, v133, v85, vcc
	v_cndmask_b32_e32 v96, 0, v84, vcc
	v_lshrrev_b64 v[96:97], s33, v[96:97]
	v_and_b32_e32 v96, s69, v96
	v_mul_u32_u24_e32 v5, 5, v96
	v_add_lshl_u32 v5, v5, v177, 2
	; wave barrier
	v_add_u32_e32 v214, 0x410, v5
	ds_read_b32 v213, v5 offset:1040
	v_and_b32_e32 v5, 1, v96
	v_add_co_u32_e32 v97, vcc, -1, v5
	v_addc_co_u32_e64 v98, s[36:37], 0, -1, vcc
	v_cmp_ne_u32_e32 vcc, 0, v5
	v_xor_b32_e32 v5, vcc_hi, v98
	v_and_b32_e32 v98, exec_hi, v5
	v_lshlrev_b32_e32 v5, 30, v96
	v_xor_b32_e32 v97, vcc_lo, v97
	v_cmp_gt_i64_e32 vcc, 0, v[4:5]
	v_not_b32_e32 v5, v5
	v_ashrrev_i32_e32 v5, 31, v5
	v_and_b32_e32 v97, exec_lo, v97
	v_xor_b32_e32 v99, vcc_hi, v5
	v_xor_b32_e32 v5, vcc_lo, v5
	v_and_b32_e32 v97, v97, v5
	v_lshlrev_b32_e32 v5, 29, v96
	v_cmp_gt_i64_e32 vcc, 0, v[4:5]
	v_not_b32_e32 v5, v5
	v_ashrrev_i32_e32 v5, 31, v5
	v_and_b32_e32 v98, v98, v99
	v_xor_b32_e32 v99, vcc_hi, v5
	v_xor_b32_e32 v5, vcc_lo, v5
	v_and_b32_e32 v97, v97, v5
	v_lshlrev_b32_e32 v5, 28, v96
	v_cmp_gt_i64_e32 vcc, 0, v[4:5]
	v_not_b32_e32 v5, v5
	v_ashrrev_i32_e32 v5, 31, v5
	v_and_b32_e32 v98, v98, v99
	;; [unrolled: 8-line block ×5, first 2 shown]
	v_xor_b32_e32 v99, vcc_hi, v5
	v_xor_b32_e32 v5, vcc_lo, v5
	v_and_b32_e32 v98, v98, v99
	v_and_b32_e32 v99, v97, v5
	v_lshlrev_b32_e32 v5, 24, v96
	v_cmp_gt_i64_e32 vcc, 0, v[4:5]
	v_not_b32_e32 v5, v5
	v_ashrrev_i32_e32 v5, 31, v5
	v_xor_b32_e32 v96, vcc_hi, v5
	v_xor_b32_e32 v5, vcc_lo, v5
	v_and_b32_e32 v97, v98, v96
	v_and_b32_e32 v96, v99, v5
	v_mbcnt_lo_u32_b32 v5, v96, 0
	v_mbcnt_hi_u32_b32 v215, v97, v5
	v_cmp_eq_u32_e32 vcc, 0, v215
	v_cmp_ne_u64_e64 s[36:37], 0, v[96:97]
	s_and_b64 s[38:39], s[36:37], vcc
	; wave barrier
	s_and_saveexec_b64 s[36:37], s[38:39]
	s_cbranch_execz .LBB1222_450
; %bb.449:                              ;   in Loop: Header=BB1222_392 Depth=2
	v_bcnt_u32_b32 v5, v96, 0
	v_bcnt_u32_b32 v5, v97, v5
	s_waitcnt lgkmcnt(0)
	v_add_u32_e32 v5, v213, v5
	ds_write_b32 v214, v5
.LBB1222_450:                           ;   in Loop: Header=BB1222_392 Depth=2
	s_or_b64 exec, exec, s[36:37]
	s_waitcnt vmcnt(3)
	v_cmp_lt_i64_e32 vcc, -1, v[80:81]
	v_cndmask_b32_e32 v5, -1, v133, vcc
	v_ashrrev_i32_e32 v96, 31, v81
	v_xor_b32_e32 v81, v5, v81
	v_xor_b32_e32 v80, v96, v80
	v_cmp_ne_u64_e32 vcc, s[78:79], v[80:81]
	v_cndmask_b32_e32 v97, v133, v81, vcc
	v_cndmask_b32_e32 v96, 0, v80, vcc
	v_lshrrev_b64 v[96:97], s33, v[96:97]
	v_and_b32_e32 v96, s69, v96
	v_mul_u32_u24_e32 v5, 5, v96
	v_add_lshl_u32 v5, v5, v177, 2
	; wave barrier
	v_add_u32_e32 v217, 0x410, v5
	ds_read_b32 v216, v5 offset:1040
	v_and_b32_e32 v5, 1, v96
	v_add_co_u32_e32 v97, vcc, -1, v5
	v_addc_co_u32_e64 v98, s[36:37], 0, -1, vcc
	v_cmp_ne_u32_e32 vcc, 0, v5
	v_xor_b32_e32 v5, vcc_hi, v98
	v_and_b32_e32 v98, exec_hi, v5
	v_lshlrev_b32_e32 v5, 30, v96
	v_xor_b32_e32 v97, vcc_lo, v97
	v_cmp_gt_i64_e32 vcc, 0, v[4:5]
	v_not_b32_e32 v5, v5
	v_ashrrev_i32_e32 v5, 31, v5
	v_and_b32_e32 v97, exec_lo, v97
	v_xor_b32_e32 v99, vcc_hi, v5
	v_xor_b32_e32 v5, vcc_lo, v5
	v_and_b32_e32 v97, v97, v5
	v_lshlrev_b32_e32 v5, 29, v96
	v_cmp_gt_i64_e32 vcc, 0, v[4:5]
	v_not_b32_e32 v5, v5
	v_ashrrev_i32_e32 v5, 31, v5
	v_and_b32_e32 v98, v98, v99
	v_xor_b32_e32 v99, vcc_hi, v5
	v_xor_b32_e32 v5, vcc_lo, v5
	v_and_b32_e32 v97, v97, v5
	v_lshlrev_b32_e32 v5, 28, v96
	v_cmp_gt_i64_e32 vcc, 0, v[4:5]
	v_not_b32_e32 v5, v5
	v_ashrrev_i32_e32 v5, 31, v5
	v_and_b32_e32 v98, v98, v99
	;; [unrolled: 8-line block ×5, first 2 shown]
	v_xor_b32_e32 v99, vcc_hi, v5
	v_xor_b32_e32 v5, vcc_lo, v5
	v_and_b32_e32 v98, v98, v99
	v_and_b32_e32 v99, v97, v5
	v_lshlrev_b32_e32 v5, 24, v96
	v_cmp_gt_i64_e32 vcc, 0, v[4:5]
	v_not_b32_e32 v5, v5
	v_ashrrev_i32_e32 v5, 31, v5
	v_xor_b32_e32 v96, vcc_hi, v5
	v_xor_b32_e32 v5, vcc_lo, v5
	v_and_b32_e32 v97, v98, v96
	v_and_b32_e32 v96, v99, v5
	v_mbcnt_lo_u32_b32 v5, v96, 0
	v_mbcnt_hi_u32_b32 v218, v97, v5
	v_cmp_eq_u32_e32 vcc, 0, v218
	v_cmp_ne_u64_e64 s[36:37], 0, v[96:97]
	s_and_b64 s[38:39], s[36:37], vcc
	; wave barrier
	s_and_saveexec_b64 s[36:37], s[38:39]
	s_cbranch_execz .LBB1222_452
; %bb.451:                              ;   in Loop: Header=BB1222_392 Depth=2
	v_bcnt_u32_b32 v5, v96, 0
	v_bcnt_u32_b32 v5, v97, v5
	s_waitcnt lgkmcnt(0)
	v_add_u32_e32 v5, v216, v5
	ds_write_b32 v217, v5
.LBB1222_452:                           ;   in Loop: Header=BB1222_392 Depth=2
	s_or_b64 exec, exec, s[36:37]
	s_waitcnt vmcnt(2)
	v_cmp_lt_i64_e32 vcc, -1, v[76:77]
	v_cndmask_b32_e32 v5, -1, v133, vcc
	v_ashrrev_i32_e32 v96, 31, v77
	v_xor_b32_e32 v77, v5, v77
	v_xor_b32_e32 v76, v96, v76
	v_cmp_ne_u64_e32 vcc, s[78:79], v[76:77]
	v_cndmask_b32_e32 v97, v133, v77, vcc
	v_cndmask_b32_e32 v96, 0, v76, vcc
	v_lshrrev_b64 v[96:97], s33, v[96:97]
	v_and_b32_e32 v96, s69, v96
	v_mul_u32_u24_e32 v5, 5, v96
	v_add_lshl_u32 v5, v5, v177, 2
	; wave barrier
	v_add_u32_e32 v220, 0x410, v5
	ds_read_b32 v219, v5 offset:1040
	v_and_b32_e32 v5, 1, v96
	v_add_co_u32_e32 v97, vcc, -1, v5
	v_addc_co_u32_e64 v98, s[36:37], 0, -1, vcc
	v_cmp_ne_u32_e32 vcc, 0, v5
	v_xor_b32_e32 v5, vcc_hi, v98
	v_and_b32_e32 v98, exec_hi, v5
	v_lshlrev_b32_e32 v5, 30, v96
	v_xor_b32_e32 v97, vcc_lo, v97
	v_cmp_gt_i64_e32 vcc, 0, v[4:5]
	v_not_b32_e32 v5, v5
	v_ashrrev_i32_e32 v5, 31, v5
	v_and_b32_e32 v97, exec_lo, v97
	v_xor_b32_e32 v99, vcc_hi, v5
	v_xor_b32_e32 v5, vcc_lo, v5
	v_and_b32_e32 v97, v97, v5
	v_lshlrev_b32_e32 v5, 29, v96
	v_cmp_gt_i64_e32 vcc, 0, v[4:5]
	v_not_b32_e32 v5, v5
	v_ashrrev_i32_e32 v5, 31, v5
	v_and_b32_e32 v98, v98, v99
	v_xor_b32_e32 v99, vcc_hi, v5
	v_xor_b32_e32 v5, vcc_lo, v5
	v_and_b32_e32 v97, v97, v5
	v_lshlrev_b32_e32 v5, 28, v96
	v_cmp_gt_i64_e32 vcc, 0, v[4:5]
	v_not_b32_e32 v5, v5
	v_ashrrev_i32_e32 v5, 31, v5
	v_and_b32_e32 v98, v98, v99
	;; [unrolled: 8-line block ×5, first 2 shown]
	v_xor_b32_e32 v99, vcc_hi, v5
	v_xor_b32_e32 v5, vcc_lo, v5
	v_and_b32_e32 v98, v98, v99
	v_and_b32_e32 v99, v97, v5
	v_lshlrev_b32_e32 v5, 24, v96
	v_cmp_gt_i64_e32 vcc, 0, v[4:5]
	v_not_b32_e32 v5, v5
	v_ashrrev_i32_e32 v5, 31, v5
	v_xor_b32_e32 v96, vcc_hi, v5
	v_xor_b32_e32 v5, vcc_lo, v5
	v_and_b32_e32 v97, v98, v96
	v_and_b32_e32 v96, v99, v5
	v_mbcnt_lo_u32_b32 v5, v96, 0
	v_mbcnt_hi_u32_b32 v221, v97, v5
	v_cmp_eq_u32_e32 vcc, 0, v221
	v_cmp_ne_u64_e64 s[36:37], 0, v[96:97]
	s_and_b64 s[38:39], s[36:37], vcc
	; wave barrier
	s_and_saveexec_b64 s[36:37], s[38:39]
	s_cbranch_execz .LBB1222_454
; %bb.453:                              ;   in Loop: Header=BB1222_392 Depth=2
	v_bcnt_u32_b32 v5, v96, 0
	v_bcnt_u32_b32 v5, v97, v5
	s_waitcnt lgkmcnt(0)
	v_add_u32_e32 v5, v219, v5
	ds_write_b32 v220, v5
.LBB1222_454:                           ;   in Loop: Header=BB1222_392 Depth=2
	s_or_b64 exec, exec, s[36:37]
	s_waitcnt vmcnt(1)
	v_cmp_lt_i64_e32 vcc, -1, v[72:73]
	v_cndmask_b32_e32 v5, -1, v133, vcc
	v_ashrrev_i32_e32 v96, 31, v73
	v_xor_b32_e32 v73, v5, v73
	v_xor_b32_e32 v72, v96, v72
	v_cmp_ne_u64_e32 vcc, s[78:79], v[72:73]
	v_cndmask_b32_e32 v97, v133, v73, vcc
	v_cndmask_b32_e32 v96, 0, v72, vcc
	v_lshrrev_b64 v[96:97], s33, v[96:97]
	v_and_b32_e32 v96, s69, v96
	v_mul_u32_u24_e32 v5, 5, v96
	v_add_lshl_u32 v5, v5, v177, 2
	; wave barrier
	v_add_u32_e32 v223, 0x410, v5
	ds_read_b32 v222, v5 offset:1040
	v_and_b32_e32 v5, 1, v96
	v_add_co_u32_e32 v97, vcc, -1, v5
	v_addc_co_u32_e64 v98, s[36:37], 0, -1, vcc
	v_cmp_ne_u32_e32 vcc, 0, v5
	v_xor_b32_e32 v5, vcc_hi, v98
	v_and_b32_e32 v98, exec_hi, v5
	v_lshlrev_b32_e32 v5, 30, v96
	v_xor_b32_e32 v97, vcc_lo, v97
	v_cmp_gt_i64_e32 vcc, 0, v[4:5]
	v_not_b32_e32 v5, v5
	v_ashrrev_i32_e32 v5, 31, v5
	v_and_b32_e32 v97, exec_lo, v97
	v_xor_b32_e32 v99, vcc_hi, v5
	v_xor_b32_e32 v5, vcc_lo, v5
	v_and_b32_e32 v97, v97, v5
	v_lshlrev_b32_e32 v5, 29, v96
	v_cmp_gt_i64_e32 vcc, 0, v[4:5]
	v_not_b32_e32 v5, v5
	v_ashrrev_i32_e32 v5, 31, v5
	v_and_b32_e32 v98, v98, v99
	v_xor_b32_e32 v99, vcc_hi, v5
	v_xor_b32_e32 v5, vcc_lo, v5
	v_and_b32_e32 v97, v97, v5
	v_lshlrev_b32_e32 v5, 28, v96
	v_cmp_gt_i64_e32 vcc, 0, v[4:5]
	v_not_b32_e32 v5, v5
	v_ashrrev_i32_e32 v5, 31, v5
	v_and_b32_e32 v98, v98, v99
	;; [unrolled: 8-line block ×5, first 2 shown]
	v_xor_b32_e32 v99, vcc_hi, v5
	v_xor_b32_e32 v5, vcc_lo, v5
	v_and_b32_e32 v98, v98, v99
	v_and_b32_e32 v99, v97, v5
	v_lshlrev_b32_e32 v5, 24, v96
	v_cmp_gt_i64_e32 vcc, 0, v[4:5]
	v_not_b32_e32 v5, v5
	v_ashrrev_i32_e32 v5, 31, v5
	v_xor_b32_e32 v96, vcc_hi, v5
	v_xor_b32_e32 v5, vcc_lo, v5
	v_and_b32_e32 v97, v98, v96
	v_and_b32_e32 v96, v99, v5
	v_mbcnt_lo_u32_b32 v5, v96, 0
	v_mbcnt_hi_u32_b32 v224, v97, v5
	v_cmp_eq_u32_e32 vcc, 0, v224
	v_cmp_ne_u64_e64 s[36:37], 0, v[96:97]
	s_and_b64 s[38:39], s[36:37], vcc
	; wave barrier
	s_and_saveexec_b64 s[36:37], s[38:39]
	s_cbranch_execz .LBB1222_456
; %bb.455:                              ;   in Loop: Header=BB1222_392 Depth=2
	v_bcnt_u32_b32 v5, v96, 0
	v_bcnt_u32_b32 v5, v97, v5
	s_waitcnt lgkmcnt(0)
	v_add_u32_e32 v5, v222, v5
	ds_write_b32 v223, v5
.LBB1222_456:                           ;   in Loop: Header=BB1222_392 Depth=2
	s_or_b64 exec, exec, s[36:37]
	s_waitcnt vmcnt(0)
	v_cmp_lt_i64_e32 vcc, -1, v[68:69]
	v_cndmask_b32_e32 v5, -1, v133, vcc
	v_ashrrev_i32_e32 v96, 31, v69
	v_xor_b32_e32 v69, v5, v69
	v_xor_b32_e32 v68, v96, v68
	v_cmp_ne_u64_e32 vcc, s[78:79], v[68:69]
	v_cndmask_b32_e32 v97, v133, v69, vcc
	v_cndmask_b32_e32 v96, 0, v68, vcc
	v_lshrrev_b64 v[96:97], s33, v[96:97]
	v_and_b32_e32 v96, s69, v96
	v_mul_u32_u24_e32 v5, 5, v96
	v_add_lshl_u32 v5, v5, v177, 2
	; wave barrier
	v_add_u32_e32 v226, 0x410, v5
	ds_read_b32 v225, v5 offset:1040
	v_and_b32_e32 v5, 1, v96
	v_add_co_u32_e32 v97, vcc, -1, v5
	v_addc_co_u32_e64 v98, s[36:37], 0, -1, vcc
	v_cmp_ne_u32_e32 vcc, 0, v5
	v_xor_b32_e32 v5, vcc_hi, v98
	v_and_b32_e32 v98, exec_hi, v5
	v_lshlrev_b32_e32 v5, 30, v96
	v_xor_b32_e32 v97, vcc_lo, v97
	v_cmp_gt_i64_e32 vcc, 0, v[4:5]
	v_not_b32_e32 v5, v5
	v_ashrrev_i32_e32 v5, 31, v5
	v_and_b32_e32 v97, exec_lo, v97
	v_xor_b32_e32 v99, vcc_hi, v5
	v_xor_b32_e32 v5, vcc_lo, v5
	v_and_b32_e32 v97, v97, v5
	v_lshlrev_b32_e32 v5, 29, v96
	v_cmp_gt_i64_e32 vcc, 0, v[4:5]
	v_not_b32_e32 v5, v5
	v_ashrrev_i32_e32 v5, 31, v5
	v_and_b32_e32 v98, v98, v99
	v_xor_b32_e32 v99, vcc_hi, v5
	v_xor_b32_e32 v5, vcc_lo, v5
	v_and_b32_e32 v97, v97, v5
	v_lshlrev_b32_e32 v5, 28, v96
	v_cmp_gt_i64_e32 vcc, 0, v[4:5]
	v_not_b32_e32 v5, v5
	v_ashrrev_i32_e32 v5, 31, v5
	v_and_b32_e32 v98, v98, v99
	;; [unrolled: 8-line block ×5, first 2 shown]
	v_xor_b32_e32 v99, vcc_hi, v5
	v_xor_b32_e32 v5, vcc_lo, v5
	v_and_b32_e32 v98, v98, v99
	v_and_b32_e32 v99, v97, v5
	v_lshlrev_b32_e32 v5, 24, v96
	v_cmp_gt_i64_e32 vcc, 0, v[4:5]
	v_not_b32_e32 v5, v5
	v_ashrrev_i32_e32 v5, 31, v5
	v_xor_b32_e32 v96, vcc_hi, v5
	v_xor_b32_e32 v5, vcc_lo, v5
	v_and_b32_e32 v97, v98, v96
	v_and_b32_e32 v96, v99, v5
	v_mbcnt_lo_u32_b32 v5, v96, 0
	v_mbcnt_hi_u32_b32 v227, v97, v5
	v_cmp_eq_u32_e32 vcc, 0, v227
	v_cmp_ne_u64_e64 s[36:37], 0, v[96:97]
	s_and_b64 s[38:39], s[36:37], vcc
	; wave barrier
	s_and_saveexec_b64 s[36:37], s[38:39]
	s_cbranch_execz .LBB1222_458
; %bb.457:                              ;   in Loop: Header=BB1222_392 Depth=2
	v_bcnt_u32_b32 v5, v96, 0
	v_bcnt_u32_b32 v5, v97, v5
	s_waitcnt lgkmcnt(0)
	v_add_u32_e32 v5, v225, v5
	ds_write_b32 v226, v5
.LBB1222_458:                           ;   in Loop: Header=BB1222_392 Depth=2
	s_or_b64 exec, exec, s[36:37]
	v_cmp_lt_i64_e32 vcc, -1, v[70:71]
	v_cndmask_b32_e32 v5, -1, v133, vcc
	v_ashrrev_i32_e32 v96, 31, v71
	v_xor_b32_e32 v71, v5, v71
	v_xor_b32_e32 v70, v96, v70
	v_cmp_ne_u64_e32 vcc, s[78:79], v[70:71]
	v_cndmask_b32_e32 v97, v133, v71, vcc
	v_cndmask_b32_e32 v96, 0, v70, vcc
	v_lshrrev_b64 v[96:97], s33, v[96:97]
	v_and_b32_e32 v96, s69, v96
	v_mul_u32_u24_e32 v5, 5, v96
	v_add_lshl_u32 v5, v5, v177, 2
	; wave barrier
	v_add_u32_e32 v229, 0x410, v5
	ds_read_b32 v228, v5 offset:1040
	v_and_b32_e32 v5, 1, v96
	v_add_co_u32_e32 v97, vcc, -1, v5
	v_addc_co_u32_e64 v98, s[36:37], 0, -1, vcc
	v_cmp_ne_u32_e32 vcc, 0, v5
	v_xor_b32_e32 v5, vcc_hi, v98
	v_and_b32_e32 v98, exec_hi, v5
	v_lshlrev_b32_e32 v5, 30, v96
	v_xor_b32_e32 v97, vcc_lo, v97
	v_cmp_gt_i64_e32 vcc, 0, v[4:5]
	v_not_b32_e32 v5, v5
	v_ashrrev_i32_e32 v5, 31, v5
	v_and_b32_e32 v97, exec_lo, v97
	v_xor_b32_e32 v99, vcc_hi, v5
	v_xor_b32_e32 v5, vcc_lo, v5
	v_and_b32_e32 v97, v97, v5
	v_lshlrev_b32_e32 v5, 29, v96
	v_cmp_gt_i64_e32 vcc, 0, v[4:5]
	v_not_b32_e32 v5, v5
	v_ashrrev_i32_e32 v5, 31, v5
	v_and_b32_e32 v98, v98, v99
	v_xor_b32_e32 v99, vcc_hi, v5
	v_xor_b32_e32 v5, vcc_lo, v5
	v_and_b32_e32 v97, v97, v5
	v_lshlrev_b32_e32 v5, 28, v96
	v_cmp_gt_i64_e32 vcc, 0, v[4:5]
	v_not_b32_e32 v5, v5
	v_ashrrev_i32_e32 v5, 31, v5
	v_and_b32_e32 v98, v98, v99
	;; [unrolled: 8-line block ×5, first 2 shown]
	v_xor_b32_e32 v99, vcc_hi, v5
	v_xor_b32_e32 v5, vcc_lo, v5
	v_and_b32_e32 v98, v98, v99
	v_and_b32_e32 v99, v97, v5
	v_lshlrev_b32_e32 v5, 24, v96
	v_cmp_gt_i64_e32 vcc, 0, v[4:5]
	v_not_b32_e32 v5, v5
	v_ashrrev_i32_e32 v5, 31, v5
	v_xor_b32_e32 v96, vcc_hi, v5
	v_xor_b32_e32 v5, vcc_lo, v5
	v_and_b32_e32 v97, v98, v96
	v_and_b32_e32 v96, v99, v5
	v_mbcnt_lo_u32_b32 v5, v96, 0
	v_mbcnt_hi_u32_b32 v230, v97, v5
	v_cmp_eq_u32_e32 vcc, 0, v230
	v_cmp_ne_u64_e64 s[36:37], 0, v[96:97]
	s_and_b64 s[38:39], s[36:37], vcc
	; wave barrier
	s_and_saveexec_b64 s[36:37], s[38:39]
	s_cbranch_execz .LBB1222_460
; %bb.459:                              ;   in Loop: Header=BB1222_392 Depth=2
	v_bcnt_u32_b32 v5, v96, 0
	v_bcnt_u32_b32 v5, v97, v5
	s_waitcnt lgkmcnt(0)
	v_add_u32_e32 v5, v228, v5
	ds_write_b32 v229, v5
.LBB1222_460:                           ;   in Loop: Header=BB1222_392 Depth=2
	s_or_b64 exec, exec, s[36:37]
	; wave barrier
	s_waitcnt lgkmcnt(0)
	s_barrier
	ds_read_b32 v5, v27 offset:1040
	ds_read2_b32 v[98:99], v31 offset0:1 offset1:2
	ds_read2_b32 v[96:97], v31 offset0:3 offset1:4
	s_waitcnt lgkmcnt(1)
	v_add3_u32 v231, v98, v5, v99
	s_waitcnt lgkmcnt(0)
	v_add3_u32 v97, v231, v96, v97
	s_nop 1
	v_mov_b32_dpp v231, v97 row_shr:1 row_mask:0xf bank_mask:0xf
	v_cndmask_b32_e64 v231, v231, 0, s[16:17]
	v_add_u32_e32 v97, v231, v97
	s_nop 1
	v_mov_b32_dpp v231, v97 row_shr:2 row_mask:0xf bank_mask:0xf
	v_cndmask_b32_e64 v231, 0, v231, s[18:19]
	v_add_u32_e32 v97, v97, v231
	;; [unrolled: 4-line block ×4, first 2 shown]
	s_nop 1
	v_mov_b32_dpp v231, v97 row_bcast:15 row_mask:0xf bank_mask:0xf
	v_cndmask_b32_e64 v231, v231, 0, s[24:25]
	v_add_u32_e32 v97, v97, v231
	s_nop 1
	v_mov_b32_dpp v231, v97 row_bcast:31 row_mask:0xf bank_mask:0xf
	v_cndmask_b32_e64 v231, 0, v231, s[26:27]
	v_add_u32_e32 v97, v97, v231
	s_and_saveexec_b64 s[36:37], s[6:7]
	s_cbranch_execz .LBB1222_462
; %bb.461:                              ;   in Loop: Header=BB1222_392 Depth=2
	ds_write_b32 v15, v97 offset:1024
.LBB1222_462:                           ;   in Loop: Header=BB1222_392 Depth=2
	s_or_b64 exec, exec, s[36:37]
	s_waitcnt lgkmcnt(0)
	s_barrier
	s_and_saveexec_b64 s[36:37], s[8:9]
	s_cbranch_execz .LBB1222_464
; %bb.463:                              ;   in Loop: Header=BB1222_392 Depth=2
	ds_read_b32 v231, v33 offset:1024
	s_waitcnt lgkmcnt(0)
	s_nop 0
	v_mov_b32_dpp v232, v231 row_shr:1 row_mask:0xf bank_mask:0xf
	v_cndmask_b32_e64 v232, v232, 0, s[30:31]
	v_add_u32_e32 v231, v232, v231
	s_nop 1
	v_mov_b32_dpp v232, v231 row_shr:2 row_mask:0xf bank_mask:0xf
	v_cndmask_b32_e64 v232, 0, v232, s[34:35]
	v_add_u32_e32 v231, v231, v232
	ds_write_b32 v33, v231 offset:1024
.LBB1222_464:                           ;   in Loop: Header=BB1222_392 Depth=2
	s_or_b64 exec, exec, s[36:37]
	v_mov_b32_e32 v231, 0
	s_waitcnt lgkmcnt(0)
	s_barrier
	s_and_saveexec_b64 s[36:37], s[10:11]
	s_cbranch_execz .LBB1222_466
; %bb.465:                              ;   in Loop: Header=BB1222_392 Depth=2
	ds_read_b32 v231, v15 offset:1020
.LBB1222_466:                           ;   in Loop: Header=BB1222_392 Depth=2
	s_or_b64 exec, exec, s[36:37]
	s_waitcnt lgkmcnt(0)
	v_add_u32_e32 v97, v231, v97
	ds_bpermute_b32 v97, v159, v97
	s_waitcnt lgkmcnt(0)
	v_cndmask_b32_e64 v97, v97, v231, s[28:29]
	v_cndmask_b32_e64 v97, v97, 0, s[12:13]
	v_add_u32_e32 v5, v97, v5
	ds_write_b32 v27, v97 offset:1040
	v_add_u32_e32 v97, v5, v98
	v_add_u32_e32 v98, v97, v99
	ds_write2_b32 v31, v5, v97 offset0:1 offset1:2
	v_add_u32_e32 v5, v98, v96
	ds_write2_b32 v31, v98, v5 offset0:3 offset1:4
	s_waitcnt lgkmcnt(0)
	s_barrier
	ds_read_b32 v97, v187
	ds_read_b32 v235, v190
	;; [unrolled: 1-line block ×16, first 2 shown]
	ds_read_b32 v184, v27 offset:1040
	v_mov_b32_e32 v5, 0x1000
	s_and_saveexec_b64 s[36:37], s[14:15]
	s_cbranch_execz .LBB1222_468
; %bb.467:                              ;   in Loop: Header=BB1222_392 Depth=2
	ds_read_b32 v5, v27 offset:1060
.LBB1222_468:                           ;   in Loop: Header=BB1222_392 Depth=2
	s_or_b64 exec, exec, s[36:37]
	s_waitcnt lgkmcnt(0)
	s_barrier
	s_and_saveexec_b64 s[36:37], s[4:5]
	s_cbranch_execz .LBB1222_470
; %bb.469:                              ;   in Loop: Header=BB1222_392 Depth=2
	ds_read_b32 v208, v3
	s_waitcnt lgkmcnt(0)
	v_sub_u32_e32 v184, v208, v184
	ds_write_b32 v3, v184
.LBB1222_470:                           ;   in Loop: Header=BB1222_392 Depth=2
	s_or_b64 exec, exec, s[36:37]
	v_add_u32_e32 v186, v188, v186
	v_add_u32_e32 v189, v191, v189
	v_add_lshl_u32 v96, v96, v185, 3
	v_add_lshl_u32 v97, v186, v97, 3
	v_add_u32_e32 v198, v200, v198
	v_add_u32_e32 v195, v197, v195
	;; [unrolled: 1-line block ×3, first 2 shown]
	ds_write_b64 v96, v[64:65] offset:1024
	ds_write_b64 v97, v[66:67] offset:1024
	v_add_lshl_u32 v66, v189, v235, 3
	v_add_u32_e32 v213, v215, v213
	v_add_u32_e32 v210, v212, v210
	;; [unrolled: 1-line block ×5, first 2 shown]
	ds_write_b64 v66, v[74:75] offset:1024
	v_add_lshl_u32 v67, v192, v234, 3
	v_add_lshl_u32 v74, v195, v233, 3
	;; [unrolled: 1-line block ×3, first 2 shown]
	v_add_u32_e32 v216, v218, v216
	ds_write_b64 v67, v[78:79] offset:1024
	ds_write_b64 v74, v[82:83] offset:1024
	;; [unrolled: 1-line block ×3, first 2 shown]
	v_add_lshl_u32 v78, v201, v231, 3
	v_add_lshl_u32 v79, v204, v205, 3
	;; [unrolled: 1-line block ×5, first 2 shown]
	v_add_u32_e32 v214, v221, v219
	ds_write_b64 v78, v[90:91] offset:1024
	ds_write_b64 v79, v[94:95] offset:1024
	ds_write_b64 v82, v[92:93] offset:1024
	ds_write_b64 v83, v[88:89] offset:1024
	ds_write_b64 v86, v[84:85] offset:1024
	v_add_lshl_u32 v84, v216, v193, 3
	v_add_u32_e32 v211, v224, v222
	ds_write_b64 v84, v[80:81] offset:1024
	v_add_lshl_u32 v80, v214, v190, 3
	v_add_u32_e32 v208, v227, v225
	ds_write_b64 v80, v[76:77] offset:1024
	;; [unrolled: 3-line block ×3, first 2 shown]
	v_add_lshl_u32 v72, v208, v99, 3
	ds_write_b64 v72, v[68:69] offset:1024
	v_add_lshl_u32 v68, v184, v98, 3
	v_cmp_lt_u32_e64 s[36:37], v2, v183
	ds_write_b64 v68, v[70:71] offset:1024
	s_waitcnt lgkmcnt(0)
	s_barrier
	s_and_saveexec_b64 s[40:41], s[36:37]
	s_cbranch_execz .LBB1222_486
; %bb.471:                              ;   in Loop: Header=BB1222_392 Depth=2
	v_add_u32_e32 v64, v33, v3
	ds_read_b64 v[64:65], v64 offset:1024
	v_mov_b32_e32 v71, v4
	s_waitcnt lgkmcnt(0)
	v_cmp_ne_u64_e32 vcc, s[78:79], v[64:65]
	v_cndmask_b32_e32 v89, v133, v65, vcc
	v_cndmask_b32_e32 v88, 0, v64, vcc
	v_lshrrev_b64 v[88:89], s33, v[88:89]
	v_and_b32_e32 v70, s69, v88
	v_lshlrev_b32_e32 v70, 2, v70
	ds_read_b32 v70, v70
	v_cmp_lt_i64_e64 s[38:39], -1, v[64:65]
	v_cndmask_b32_e64 v69, v133, -1, s[38:39]
	v_ashrrev_i32_e32 v73, 31, v65
	v_not_b32_e32 v73, v73
	s_waitcnt lgkmcnt(0)
	v_add_u32_e32 v70, v70, v2
	v_lshlrev_b64 v[70:71], 3, v[70:71]
	v_xor_b32_e32 v65, v69, v65
	v_mov_b32_e32 v69, s77
	v_add_co_u32_e32 v70, vcc, s76, v70
	v_xor_b32_e32 v64, v73, v64
	v_addc_co_u32_e32 v71, vcc, v69, v71, vcc
	global_store_dwordx2 v[70:71], v[64:65], off
	s_or_b64 exec, exec, s[40:41]
	v_cmp_lt_u32_e64 s[38:39], v7, v183
	s_and_saveexec_b64 s[42:43], s[38:39]
	s_cbranch_execnz .LBB1222_487
.LBB1222_472:                           ;   in Loop: Header=BB1222_392 Depth=2
	s_or_b64 exec, exec, s[42:43]
	v_cmp_lt_u32_e64 s[40:41], v6, v183
	s_and_saveexec_b64 s[44:45], s[40:41]
	s_cbranch_execz .LBB1222_488
.LBB1222_473:                           ;   in Loop: Header=BB1222_392 Depth=2
	ds_read_b64 v[64:65], v104 offset:4096
	v_mov_b32_e32 v71, v4
	s_waitcnt lgkmcnt(0)
	v_cmp_ne_u64_e32 vcc, s[78:79], v[64:65]
	v_cndmask_b32_e32 v89, v133, v65, vcc
	v_cndmask_b32_e32 v88, 0, v64, vcc
	v_lshrrev_b64 v[88:89], s33, v[88:89]
	v_and_b32_e32 v70, s69, v88
	v_lshlrev_b32_e32 v70, 2, v70
	ds_read_b32 v70, v70
	v_cmp_lt_i64_e64 s[42:43], -1, v[64:65]
	v_cndmask_b32_e64 v69, v133, -1, s[42:43]
	v_ashrrev_i32_e32 v73, 31, v65
	v_not_b32_e32 v73, v73
	s_waitcnt lgkmcnt(0)
	v_add_u32_e32 v70, v70, v6
	v_lshlrev_b64 v[70:71], 3, v[70:71]
	v_xor_b32_e32 v65, v69, v65
	v_mov_b32_e32 v69, s77
	v_add_co_u32_e32 v70, vcc, s76, v70
	v_xor_b32_e32 v64, v73, v64
	v_addc_co_u32_e32 v71, vcc, v69, v71, vcc
	global_store_dwordx2 v[70:71], v[64:65], off
	s_or_b64 exec, exec, s[44:45]
	v_cmp_lt_u32_e64 s[42:43], v8, v183
	s_and_saveexec_b64 s[46:47], s[42:43]
	s_cbranch_execnz .LBB1222_489
.LBB1222_474:                           ;   in Loop: Header=BB1222_392 Depth=2
	s_or_b64 exec, exec, s[46:47]
	v_cmp_lt_u32_e64 s[44:45], v10, v183
	s_and_saveexec_b64 s[48:49], s[44:45]
	s_cbranch_execz .LBB1222_490
.LBB1222_475:                           ;   in Loop: Header=BB1222_392 Depth=2
	ds_read_b64 v[64:65], v104 offset:8192
	v_mov_b32_e32 v71, v4
	s_waitcnt lgkmcnt(0)
	v_cmp_ne_u64_e32 vcc, s[78:79], v[64:65]
	v_cndmask_b32_e32 v89, v133, v65, vcc
	v_cndmask_b32_e32 v88, 0, v64, vcc
	v_lshrrev_b64 v[88:89], s33, v[88:89]
	v_and_b32_e32 v70, s69, v88
	v_lshlrev_b32_e32 v70, 2, v70
	ds_read_b32 v70, v70
	v_cmp_lt_i64_e64 s[46:47], -1, v[64:65]
	v_cndmask_b32_e64 v69, v133, -1, s[46:47]
	v_ashrrev_i32_e32 v73, 31, v65
	v_not_b32_e32 v73, v73
	s_waitcnt lgkmcnt(0)
	v_add_u32_e32 v70, v70, v10
	v_lshlrev_b64 v[70:71], 3, v[70:71]
	v_xor_b32_e32 v65, v69, v65
	v_mov_b32_e32 v69, s77
	v_add_co_u32_e32 v70, vcc, s76, v70
	v_xor_b32_e32 v64, v73, v64
	v_addc_co_u32_e32 v71, vcc, v69, v71, vcc
	global_store_dwordx2 v[70:71], v[64:65], off
	s_or_b64 exec, exec, s[48:49]
	v_cmp_lt_u32_e64 s[46:47], v12, v183
	s_and_saveexec_b64 s[50:51], s[46:47]
	s_cbranch_execnz .LBB1222_491
.LBB1222_476:                           ;   in Loop: Header=BB1222_392 Depth=2
	s_or_b64 exec, exec, s[50:51]
	v_cmp_lt_u32_e64 s[48:49], v14, v183
	s_and_saveexec_b64 s[52:53], s[48:49]
	s_cbranch_execz .LBB1222_492
.LBB1222_477:                           ;   in Loop: Header=BB1222_392 Depth=2
	ds_read_b64 v[64:65], v104 offset:12288
	v_mov_b32_e32 v71, v4
	s_waitcnt lgkmcnt(0)
	v_cmp_ne_u64_e32 vcc, s[78:79], v[64:65]
	v_cndmask_b32_e32 v89, v133, v65, vcc
	v_cndmask_b32_e32 v88, 0, v64, vcc
	v_lshrrev_b64 v[88:89], s33, v[88:89]
	v_and_b32_e32 v70, s69, v88
	v_lshlrev_b32_e32 v70, 2, v70
	ds_read_b32 v70, v70
	v_cmp_lt_i64_e64 s[50:51], -1, v[64:65]
	v_cndmask_b32_e64 v69, v133, -1, s[50:51]
	v_ashrrev_i32_e32 v73, 31, v65
	v_not_b32_e32 v73, v73
	s_waitcnt lgkmcnt(0)
	v_add_u32_e32 v70, v70, v14
	v_lshlrev_b64 v[70:71], 3, v[70:71]
	v_xor_b32_e32 v65, v69, v65
	v_mov_b32_e32 v69, s77
	v_add_co_u32_e32 v70, vcc, s76, v70
	v_xor_b32_e32 v64, v73, v64
	v_addc_co_u32_e32 v71, vcc, v69, v71, vcc
	global_store_dwordx2 v[70:71], v[64:65], off
	s_or_b64 exec, exec, s[52:53]
	v_cmp_lt_u32_e64 s[50:51], v16, v183
	s_and_saveexec_b64 s[54:55], s[50:51]
	s_cbranch_execnz .LBB1222_493
.LBB1222_478:                           ;   in Loop: Header=BB1222_392 Depth=2
	s_or_b64 exec, exec, s[54:55]
	v_cmp_lt_u32_e64 s[52:53], v18, v183
	s_and_saveexec_b64 s[56:57], s[52:53]
	s_cbranch_execz .LBB1222_494
.LBB1222_479:                           ;   in Loop: Header=BB1222_392 Depth=2
	ds_read_b64 v[64:65], v104 offset:16384
	v_mov_b32_e32 v71, v4
	s_waitcnt lgkmcnt(0)
	v_cmp_ne_u64_e32 vcc, s[78:79], v[64:65]
	v_cndmask_b32_e32 v89, v133, v65, vcc
	v_cndmask_b32_e32 v88, 0, v64, vcc
	v_lshrrev_b64 v[88:89], s33, v[88:89]
	v_and_b32_e32 v70, s69, v88
	v_lshlrev_b32_e32 v70, 2, v70
	ds_read_b32 v70, v70
	v_cmp_lt_i64_e64 s[54:55], -1, v[64:65]
	v_cndmask_b32_e64 v69, v133, -1, s[54:55]
	v_ashrrev_i32_e32 v73, 31, v65
	v_not_b32_e32 v73, v73
	s_waitcnt lgkmcnt(0)
	v_add_u32_e32 v70, v70, v18
	v_lshlrev_b64 v[70:71], 3, v[70:71]
	v_xor_b32_e32 v65, v69, v65
	v_mov_b32_e32 v69, s77
	v_add_co_u32_e32 v70, vcc, s76, v70
	v_xor_b32_e32 v64, v73, v64
	v_addc_co_u32_e32 v71, vcc, v69, v71, vcc
	global_store_dwordx2 v[70:71], v[64:65], off
	s_or_b64 exec, exec, s[56:57]
	v_cmp_lt_u32_e64 s[54:55], v20, v183
	s_and_saveexec_b64 s[58:59], s[54:55]
	s_cbranch_execnz .LBB1222_495
.LBB1222_480:                           ;   in Loop: Header=BB1222_392 Depth=2
	s_or_b64 exec, exec, s[58:59]
	v_cmp_lt_u32_e64 s[56:57], v22, v183
	s_and_saveexec_b64 s[60:61], s[56:57]
	s_cbranch_execz .LBB1222_496
.LBB1222_481:                           ;   in Loop: Header=BB1222_392 Depth=2
	ds_read_b64 v[64:65], v104 offset:20480
	v_mov_b32_e32 v71, v4
	s_waitcnt lgkmcnt(0)
	v_cmp_ne_u64_e32 vcc, s[78:79], v[64:65]
	v_cndmask_b32_e32 v89, v133, v65, vcc
	v_cndmask_b32_e32 v88, 0, v64, vcc
	v_lshrrev_b64 v[88:89], s33, v[88:89]
	v_and_b32_e32 v70, s69, v88
	v_lshlrev_b32_e32 v70, 2, v70
	ds_read_b32 v70, v70
	v_cmp_lt_i64_e64 s[58:59], -1, v[64:65]
	v_cndmask_b32_e64 v69, v133, -1, s[58:59]
	v_ashrrev_i32_e32 v73, 31, v65
	v_not_b32_e32 v73, v73
	s_waitcnt lgkmcnt(0)
	v_add_u32_e32 v70, v70, v22
	v_lshlrev_b64 v[70:71], 3, v[70:71]
	v_xor_b32_e32 v65, v69, v65
	v_mov_b32_e32 v69, s77
	v_add_co_u32_e32 v70, vcc, s76, v70
	v_xor_b32_e32 v64, v73, v64
	v_addc_co_u32_e32 v71, vcc, v69, v71, vcc
	global_store_dwordx2 v[70:71], v[64:65], off
	s_or_b64 exec, exec, s[60:61]
	v_cmp_lt_u32_e64 s[58:59], v24, v183
	s_and_saveexec_b64 s[62:63], s[58:59]
	s_cbranch_execnz .LBB1222_497
.LBB1222_482:                           ;   in Loop: Header=BB1222_392 Depth=2
	s_or_b64 exec, exec, s[62:63]
	v_cmp_lt_u32_e64 s[60:61], v26, v183
	s_and_saveexec_b64 s[64:65], s[60:61]
	s_cbranch_execz .LBB1222_498
.LBB1222_483:                           ;   in Loop: Header=BB1222_392 Depth=2
	ds_read_b64 v[64:65], v104 offset:24576
	v_mov_b32_e32 v71, v4
	s_waitcnt lgkmcnt(0)
	v_cmp_ne_u64_e32 vcc, s[78:79], v[64:65]
	v_cndmask_b32_e32 v89, v133, v65, vcc
	v_cndmask_b32_e32 v88, 0, v64, vcc
	v_lshrrev_b64 v[88:89], s33, v[88:89]
	v_and_b32_e32 v70, s69, v88
	v_lshlrev_b32_e32 v70, 2, v70
	ds_read_b32 v70, v70
	v_cmp_lt_i64_e64 s[62:63], -1, v[64:65]
	v_cndmask_b32_e64 v69, v133, -1, s[62:63]
	v_ashrrev_i32_e32 v73, 31, v65
	v_not_b32_e32 v73, v73
	s_waitcnt lgkmcnt(0)
	v_add_u32_e32 v70, v70, v26
	v_lshlrev_b64 v[70:71], 3, v[70:71]
	v_xor_b32_e32 v65, v69, v65
	v_mov_b32_e32 v69, s77
	v_add_co_u32_e32 v70, vcc, s76, v70
	v_xor_b32_e32 v64, v73, v64
	v_addc_co_u32_e32 v71, vcc, v69, v71, vcc
	global_store_dwordx2 v[70:71], v[64:65], off
	s_or_b64 exec, exec, s[64:65]
	v_cmp_lt_u32_e64 s[62:63], v28, v183
	s_and_saveexec_b64 s[66:67], s[62:63]
	s_cbranch_execnz .LBB1222_499
.LBB1222_484:                           ;   in Loop: Header=BB1222_392 Depth=2
	s_or_b64 exec, exec, s[66:67]
	v_cmp_lt_u32_e64 s[64:65], v30, v183
	s_and_saveexec_b64 s[92:93], s[64:65]
	s_cbranch_execz .LBB1222_500
.LBB1222_485:                           ;   in Loop: Header=BB1222_392 Depth=2
	ds_read_b64 v[64:65], v104 offset:28672
	v_mov_b32_e32 v71, v4
	s_waitcnt lgkmcnt(0)
	v_cmp_ne_u64_e32 vcc, s[78:79], v[64:65]
	v_cndmask_b32_e32 v89, v133, v65, vcc
	v_cndmask_b32_e32 v88, 0, v64, vcc
	v_lshrrev_b64 v[88:89], s33, v[88:89]
	v_and_b32_e32 v70, s69, v88
	v_lshlrev_b32_e32 v70, 2, v70
	ds_read_b32 v70, v70
	v_cmp_lt_i64_e64 s[66:67], -1, v[64:65]
	v_cndmask_b32_e64 v69, v133, -1, s[66:67]
	v_ashrrev_i32_e32 v73, 31, v65
	v_not_b32_e32 v73, v73
	s_waitcnt lgkmcnt(0)
	v_add_u32_e32 v70, v70, v30
	v_lshlrev_b64 v[70:71], 3, v[70:71]
	v_xor_b32_e32 v65, v69, v65
	v_mov_b32_e32 v69, s77
	v_add_co_u32_e32 v70, vcc, s76, v70
	v_xor_b32_e32 v64, v73, v64
	v_addc_co_u32_e32 v71, vcc, v69, v71, vcc
	global_store_dwordx2 v[70:71], v[64:65], off
	s_or_b64 exec, exec, s[92:93]
	v_cmp_lt_u32_e64 s[66:67], v32, v183
	s_and_saveexec_b64 s[92:93], s[66:67]
	s_cbranch_execnz .LBB1222_501
	s_branch .LBB1222_502
.LBB1222_486:                           ;   in Loop: Header=BB1222_392 Depth=2
	s_or_b64 exec, exec, s[40:41]
	v_cmp_lt_u32_e64 s[38:39], v7, v183
	s_and_saveexec_b64 s[42:43], s[38:39]
	s_cbranch_execz .LBB1222_472
.LBB1222_487:                           ;   in Loop: Header=BB1222_392 Depth=2
	ds_read_b64 v[64:65], v104 offset:2048
	v_mov_b32_e32 v71, v4
	s_waitcnt lgkmcnt(0)
	v_cmp_ne_u64_e32 vcc, s[78:79], v[64:65]
	v_cndmask_b32_e32 v89, v133, v65, vcc
	v_cndmask_b32_e32 v88, 0, v64, vcc
	v_lshrrev_b64 v[88:89], s33, v[88:89]
	v_and_b32_e32 v70, s69, v88
	v_lshlrev_b32_e32 v70, 2, v70
	ds_read_b32 v70, v70
	v_cmp_lt_i64_e64 s[40:41], -1, v[64:65]
	v_cndmask_b32_e64 v69, v133, -1, s[40:41]
	v_ashrrev_i32_e32 v73, 31, v65
	v_not_b32_e32 v73, v73
	s_waitcnt lgkmcnt(0)
	v_add_u32_e32 v70, v70, v7
	v_lshlrev_b64 v[70:71], 3, v[70:71]
	v_xor_b32_e32 v65, v69, v65
	v_mov_b32_e32 v69, s77
	v_add_co_u32_e32 v70, vcc, s76, v70
	v_xor_b32_e32 v64, v73, v64
	v_addc_co_u32_e32 v71, vcc, v69, v71, vcc
	global_store_dwordx2 v[70:71], v[64:65], off
	s_or_b64 exec, exec, s[42:43]
	v_cmp_lt_u32_e64 s[40:41], v6, v183
	s_and_saveexec_b64 s[44:45], s[40:41]
	s_cbranch_execnz .LBB1222_473
.LBB1222_488:                           ;   in Loop: Header=BB1222_392 Depth=2
	s_or_b64 exec, exec, s[44:45]
	v_cmp_lt_u32_e64 s[42:43], v8, v183
	s_and_saveexec_b64 s[46:47], s[42:43]
	s_cbranch_execz .LBB1222_474
.LBB1222_489:                           ;   in Loop: Header=BB1222_392 Depth=2
	ds_read_b64 v[64:65], v104 offset:6144
	v_mov_b32_e32 v71, v4
	s_waitcnt lgkmcnt(0)
	v_cmp_ne_u64_e32 vcc, s[78:79], v[64:65]
	v_cndmask_b32_e32 v89, v133, v65, vcc
	v_cndmask_b32_e32 v88, 0, v64, vcc
	v_lshrrev_b64 v[88:89], s33, v[88:89]
	v_and_b32_e32 v70, s69, v88
	v_lshlrev_b32_e32 v70, 2, v70
	ds_read_b32 v70, v70
	v_cmp_lt_i64_e64 s[44:45], -1, v[64:65]
	v_cndmask_b32_e64 v69, v133, -1, s[44:45]
	v_ashrrev_i32_e32 v73, 31, v65
	v_not_b32_e32 v73, v73
	s_waitcnt lgkmcnt(0)
	v_add_u32_e32 v70, v70, v8
	v_lshlrev_b64 v[70:71], 3, v[70:71]
	v_xor_b32_e32 v65, v69, v65
	v_mov_b32_e32 v69, s77
	v_add_co_u32_e32 v70, vcc, s76, v70
	v_xor_b32_e32 v64, v73, v64
	v_addc_co_u32_e32 v71, vcc, v69, v71, vcc
	global_store_dwordx2 v[70:71], v[64:65], off
	s_or_b64 exec, exec, s[46:47]
	v_cmp_lt_u32_e64 s[44:45], v10, v183
	s_and_saveexec_b64 s[48:49], s[44:45]
	s_cbranch_execnz .LBB1222_475
.LBB1222_490:                           ;   in Loop: Header=BB1222_392 Depth=2
	s_or_b64 exec, exec, s[48:49]
	v_cmp_lt_u32_e64 s[46:47], v12, v183
	s_and_saveexec_b64 s[50:51], s[46:47]
	s_cbranch_execz .LBB1222_476
.LBB1222_491:                           ;   in Loop: Header=BB1222_392 Depth=2
	ds_read_b64 v[64:65], v104 offset:10240
	v_mov_b32_e32 v71, v4
	s_waitcnt lgkmcnt(0)
	v_cmp_ne_u64_e32 vcc, s[78:79], v[64:65]
	v_cndmask_b32_e32 v89, v133, v65, vcc
	v_cndmask_b32_e32 v88, 0, v64, vcc
	v_lshrrev_b64 v[88:89], s33, v[88:89]
	v_and_b32_e32 v70, s69, v88
	v_lshlrev_b32_e32 v70, 2, v70
	ds_read_b32 v70, v70
	v_cmp_lt_i64_e64 s[48:49], -1, v[64:65]
	v_cndmask_b32_e64 v69, v133, -1, s[48:49]
	v_ashrrev_i32_e32 v73, 31, v65
	v_not_b32_e32 v73, v73
	s_waitcnt lgkmcnt(0)
	v_add_u32_e32 v70, v70, v12
	v_lshlrev_b64 v[70:71], 3, v[70:71]
	v_xor_b32_e32 v65, v69, v65
	v_mov_b32_e32 v69, s77
	v_add_co_u32_e32 v70, vcc, s76, v70
	v_xor_b32_e32 v64, v73, v64
	v_addc_co_u32_e32 v71, vcc, v69, v71, vcc
	global_store_dwordx2 v[70:71], v[64:65], off
	s_or_b64 exec, exec, s[50:51]
	v_cmp_lt_u32_e64 s[48:49], v14, v183
	s_and_saveexec_b64 s[52:53], s[48:49]
	s_cbranch_execnz .LBB1222_477
.LBB1222_492:                           ;   in Loop: Header=BB1222_392 Depth=2
	s_or_b64 exec, exec, s[52:53]
	v_cmp_lt_u32_e64 s[50:51], v16, v183
	s_and_saveexec_b64 s[54:55], s[50:51]
	s_cbranch_execz .LBB1222_478
.LBB1222_493:                           ;   in Loop: Header=BB1222_392 Depth=2
	ds_read_b64 v[64:65], v104 offset:14336
	v_mov_b32_e32 v71, v4
	s_waitcnt lgkmcnt(0)
	v_cmp_ne_u64_e32 vcc, s[78:79], v[64:65]
	v_cndmask_b32_e32 v89, v133, v65, vcc
	v_cndmask_b32_e32 v88, 0, v64, vcc
	v_lshrrev_b64 v[88:89], s33, v[88:89]
	v_and_b32_e32 v70, s69, v88
	v_lshlrev_b32_e32 v70, 2, v70
	ds_read_b32 v70, v70
	v_cmp_lt_i64_e64 s[52:53], -1, v[64:65]
	v_cndmask_b32_e64 v69, v133, -1, s[52:53]
	v_ashrrev_i32_e32 v73, 31, v65
	v_not_b32_e32 v73, v73
	s_waitcnt lgkmcnt(0)
	v_add_u32_e32 v70, v70, v16
	v_lshlrev_b64 v[70:71], 3, v[70:71]
	v_xor_b32_e32 v65, v69, v65
	v_mov_b32_e32 v69, s77
	v_add_co_u32_e32 v70, vcc, s76, v70
	v_xor_b32_e32 v64, v73, v64
	v_addc_co_u32_e32 v71, vcc, v69, v71, vcc
	global_store_dwordx2 v[70:71], v[64:65], off
	s_or_b64 exec, exec, s[54:55]
	v_cmp_lt_u32_e64 s[52:53], v18, v183
	s_and_saveexec_b64 s[56:57], s[52:53]
	s_cbranch_execnz .LBB1222_479
.LBB1222_494:                           ;   in Loop: Header=BB1222_392 Depth=2
	s_or_b64 exec, exec, s[56:57]
	v_cmp_lt_u32_e64 s[54:55], v20, v183
	s_and_saveexec_b64 s[58:59], s[54:55]
	s_cbranch_execz .LBB1222_480
.LBB1222_495:                           ;   in Loop: Header=BB1222_392 Depth=2
	ds_read_b64 v[64:65], v104 offset:18432
	v_mov_b32_e32 v71, v4
	s_waitcnt lgkmcnt(0)
	v_cmp_ne_u64_e32 vcc, s[78:79], v[64:65]
	v_cndmask_b32_e32 v89, v133, v65, vcc
	v_cndmask_b32_e32 v88, 0, v64, vcc
	v_lshrrev_b64 v[88:89], s33, v[88:89]
	v_and_b32_e32 v70, s69, v88
	v_lshlrev_b32_e32 v70, 2, v70
	ds_read_b32 v70, v70
	v_cmp_lt_i64_e64 s[56:57], -1, v[64:65]
	v_cndmask_b32_e64 v69, v133, -1, s[56:57]
	v_ashrrev_i32_e32 v73, 31, v65
	v_not_b32_e32 v73, v73
	s_waitcnt lgkmcnt(0)
	v_add_u32_e32 v70, v70, v20
	v_lshlrev_b64 v[70:71], 3, v[70:71]
	v_xor_b32_e32 v65, v69, v65
	v_mov_b32_e32 v69, s77
	v_add_co_u32_e32 v70, vcc, s76, v70
	v_xor_b32_e32 v64, v73, v64
	v_addc_co_u32_e32 v71, vcc, v69, v71, vcc
	global_store_dwordx2 v[70:71], v[64:65], off
	s_or_b64 exec, exec, s[58:59]
	v_cmp_lt_u32_e64 s[56:57], v22, v183
	s_and_saveexec_b64 s[60:61], s[56:57]
	s_cbranch_execnz .LBB1222_481
.LBB1222_496:                           ;   in Loop: Header=BB1222_392 Depth=2
	s_or_b64 exec, exec, s[60:61]
	v_cmp_lt_u32_e64 s[58:59], v24, v183
	s_and_saveexec_b64 s[62:63], s[58:59]
	s_cbranch_execz .LBB1222_482
.LBB1222_497:                           ;   in Loop: Header=BB1222_392 Depth=2
	ds_read_b64 v[64:65], v104 offset:22528
	v_mov_b32_e32 v71, v4
	s_waitcnt lgkmcnt(0)
	v_cmp_ne_u64_e32 vcc, s[78:79], v[64:65]
	v_cndmask_b32_e32 v89, v133, v65, vcc
	v_cndmask_b32_e32 v88, 0, v64, vcc
	v_lshrrev_b64 v[88:89], s33, v[88:89]
	v_and_b32_e32 v70, s69, v88
	v_lshlrev_b32_e32 v70, 2, v70
	ds_read_b32 v70, v70
	v_cmp_lt_i64_e64 s[60:61], -1, v[64:65]
	v_cndmask_b32_e64 v69, v133, -1, s[60:61]
	v_ashrrev_i32_e32 v73, 31, v65
	v_not_b32_e32 v73, v73
	s_waitcnt lgkmcnt(0)
	v_add_u32_e32 v70, v70, v24
	v_lshlrev_b64 v[70:71], 3, v[70:71]
	v_xor_b32_e32 v65, v69, v65
	v_mov_b32_e32 v69, s77
	v_add_co_u32_e32 v70, vcc, s76, v70
	v_xor_b32_e32 v64, v73, v64
	v_addc_co_u32_e32 v71, vcc, v69, v71, vcc
	global_store_dwordx2 v[70:71], v[64:65], off
	s_or_b64 exec, exec, s[62:63]
	v_cmp_lt_u32_e64 s[60:61], v26, v183
	s_and_saveexec_b64 s[64:65], s[60:61]
	s_cbranch_execnz .LBB1222_483
.LBB1222_498:                           ;   in Loop: Header=BB1222_392 Depth=2
	s_or_b64 exec, exec, s[64:65]
	v_cmp_lt_u32_e64 s[62:63], v28, v183
	s_and_saveexec_b64 s[66:67], s[62:63]
	s_cbranch_execz .LBB1222_484
.LBB1222_499:                           ;   in Loop: Header=BB1222_392 Depth=2
	ds_read_b64 v[64:65], v104 offset:26624
	v_mov_b32_e32 v71, v4
	s_waitcnt lgkmcnt(0)
	v_cmp_ne_u64_e32 vcc, s[78:79], v[64:65]
	v_cndmask_b32_e32 v89, v133, v65, vcc
	v_cndmask_b32_e32 v88, 0, v64, vcc
	v_lshrrev_b64 v[88:89], s33, v[88:89]
	v_and_b32_e32 v70, s69, v88
	v_lshlrev_b32_e32 v70, 2, v70
	ds_read_b32 v70, v70
	v_cmp_lt_i64_e64 s[64:65], -1, v[64:65]
	v_cndmask_b32_e64 v69, v133, -1, s[64:65]
	v_ashrrev_i32_e32 v73, 31, v65
	v_not_b32_e32 v73, v73
	s_waitcnt lgkmcnt(0)
	v_add_u32_e32 v70, v70, v28
	v_lshlrev_b64 v[70:71], 3, v[70:71]
	v_xor_b32_e32 v65, v69, v65
	v_mov_b32_e32 v69, s77
	v_add_co_u32_e32 v70, vcc, s76, v70
	v_xor_b32_e32 v64, v73, v64
	v_addc_co_u32_e32 v71, vcc, v69, v71, vcc
	global_store_dwordx2 v[70:71], v[64:65], off
	s_or_b64 exec, exec, s[66:67]
	v_cmp_lt_u32_e64 s[64:65], v30, v183
	s_and_saveexec_b64 s[92:93], s[64:65]
	s_cbranch_execnz .LBB1222_485
.LBB1222_500:                           ;   in Loop: Header=BB1222_392 Depth=2
	s_or_b64 exec, exec, s[92:93]
	v_cmp_lt_u32_e64 s[66:67], v32, v183
	s_and_saveexec_b64 s[92:93], s[66:67]
	s_cbranch_execz .LBB1222_502
.LBB1222_501:                           ;   in Loop: Header=BB1222_392 Depth=2
	ds_read_b64 v[64:65], v104 offset:30720
	s_waitcnt lgkmcnt(0)
	v_cmp_ne_u64_e32 vcc, s[78:79], v[64:65]
	v_cndmask_b32_e32 v71, v133, v65, vcc
	v_cndmask_b32_e32 v70, 0, v64, vcc
	v_lshrrev_b64 v[70:71], s33, v[70:71]
	v_and_b32_e32 v69, s69, v70
	v_lshlrev_b32_e32 v69, 2, v69
	ds_read_b32 v69, v69
	v_cmp_lt_i64_e32 vcc, -1, v[64:65]
	v_ashrrev_i32_e32 v71, 31, v65
	v_cndmask_b32_e64 v70, v133, -1, vcc
	v_not_b32_e32 v71, v71
	v_xor_b32_e32 v65, v70, v65
	v_xor_b32_e32 v64, v71, v64
	s_waitcnt lgkmcnt(0)
	v_add_u32_e32 v70, v69, v32
	v_mov_b32_e32 v71, v4
	v_lshlrev_b64 v[70:71], 3, v[70:71]
	v_add_co_u32_e32 v70, vcc, s76, v70
	v_mov_b32_e32 v69, s77
	v_addc_co_u32_e32 v71, vcc, v69, v71, vcc
	global_store_dwordx2 v[70:71], v[64:65], off
.LBB1222_502:                           ;   in Loop: Header=BB1222_392 Depth=2
	s_or_b64 exec, exec, s[92:93]
	s_lshl_b64 s[92:93], s[88:89], 3
	v_mov_b32_e32 v65, s93
	v_add_co_u32_e32 v64, vcc, s92, v160
	v_addc_co_u32_e32 v65, vcc, v161, v65, vcc
	v_cmp_lt_u32_e32 vcc, v143, v183
	s_and_saveexec_b64 s[92:93], vcc
	s_xor_b64 s[92:93], exec, s[92:93]
	s_cbranch_execz .LBB1222_534
; %bb.503:                              ;   in Loop: Header=BB1222_392 Depth=2
	global_load_dwordx2 v[62:63], v[64:65], off
	s_or_b64 exec, exec, s[92:93]
	v_cmp_lt_u32_e32 vcc, v144, v183
	s_and_saveexec_b64 s[92:93], vcc
	s_cbranch_execnz .LBB1222_535
.LBB1222_504:                           ;   in Loop: Header=BB1222_392 Depth=2
	s_or_b64 exec, exec, s[92:93]
	v_cmp_lt_u32_e32 vcc, v145, v183
	s_and_saveexec_b64 s[92:93], vcc
	s_cbranch_execz .LBB1222_536
.LBB1222_505:                           ;   in Loop: Header=BB1222_392 Depth=2
	global_load_dwordx2 v[56:57], v[64:65], off offset:1024
	s_or_b64 exec, exec, s[92:93]
	v_cmp_lt_u32_e32 vcc, v146, v183
	s_and_saveexec_b64 s[92:93], vcc
	s_cbranch_execnz .LBB1222_537
.LBB1222_506:                           ;   in Loop: Header=BB1222_392 Depth=2
	s_or_b64 exec, exec, s[92:93]
	v_cmp_lt_u32_e32 vcc, v147, v183
	s_and_saveexec_b64 s[92:93], vcc
	s_cbranch_execz .LBB1222_538
.LBB1222_507:                           ;   in Loop: Header=BB1222_392 Depth=2
	global_load_dwordx2 v[48:49], v[64:65], off offset:2048
	s_or_b64 exec, exec, s[92:93]
	v_cmp_lt_u32_e32 vcc, v148, v183
	s_and_saveexec_b64 s[92:93], vcc
	s_cbranch_execnz .LBB1222_539
.LBB1222_508:                           ;   in Loop: Header=BB1222_392 Depth=2
	s_or_b64 exec, exec, s[92:93]
	v_cmp_lt_u32_e32 vcc, v149, v183
	s_and_saveexec_b64 s[92:93], vcc
	s_cbranch_execz .LBB1222_540
.LBB1222_509:                           ;   in Loop: Header=BB1222_392 Depth=2
	global_load_dwordx2 v[40:41], v[64:65], off offset:3072
	s_or_b64 exec, exec, s[92:93]
	v_cmp_lt_u32_e32 vcc, v150, v183
	s_and_saveexec_b64 s[92:93], vcc
	s_cbranch_execnz .LBB1222_541
.LBB1222_510:                           ;   in Loop: Header=BB1222_392 Depth=2
	s_or_b64 exec, exec, s[92:93]
	v_cmp_lt_u32_e32 vcc, v151, v183
	s_and_saveexec_b64 s[92:93], vcc
	s_cbranch_execz .LBB1222_542
.LBB1222_511:                           ;   in Loop: Header=BB1222_392 Depth=2
	v_add_co_u32_e32 v58, vcc, 0x1000, v64
	v_addc_co_u32_e32 v59, vcc, 0, v65, vcc
	global_load_dwordx2 v[58:59], v[58:59], off
	s_or_b64 exec, exec, s[92:93]
	v_cmp_lt_u32_e32 vcc, v152, v183
	s_and_saveexec_b64 s[92:93], vcc
	s_cbranch_execnz .LBB1222_543
.LBB1222_512:                           ;   in Loop: Header=BB1222_392 Depth=2
	s_or_b64 exec, exec, s[92:93]
	v_cmp_lt_u32_e32 vcc, v153, v183
	s_and_saveexec_b64 s[92:93], vcc
	s_cbranch_execz .LBB1222_544
.LBB1222_513:                           ;   in Loop: Header=BB1222_392 Depth=2
	v_add_co_u32_e32 v50, vcc, 0x1000, v64
	v_addc_co_u32_e32 v51, vcc, 0, v65, vcc
	global_load_dwordx2 v[50:51], v[50:51], off offset:1024
	s_or_b64 exec, exec, s[92:93]
	v_cmp_lt_u32_e32 vcc, v154, v183
	s_and_saveexec_b64 s[92:93], vcc
	s_cbranch_execnz .LBB1222_545
.LBB1222_514:                           ;   in Loop: Header=BB1222_392 Depth=2
	s_or_b64 exec, exec, s[92:93]
	v_cmp_lt_u32_e32 vcc, v155, v183
	s_and_saveexec_b64 s[92:93], vcc
	s_cbranch_execz .LBB1222_546
.LBB1222_515:                           ;   in Loop: Header=BB1222_392 Depth=2
	v_add_co_u32_e32 v42, vcc, 0x1000, v64
	v_addc_co_u32_e32 v43, vcc, 0, v65, vcc
	global_load_dwordx2 v[42:43], v[42:43], off offset:2048
	s_or_b64 exec, exec, s[92:93]
	v_cmp_lt_u32_e32 vcc, v156, v183
	s_and_saveexec_b64 s[92:93], vcc
	s_cbranch_execnz .LBB1222_547
.LBB1222_516:                           ;   in Loop: Header=BB1222_392 Depth=2
	s_or_b64 exec, exec, s[92:93]
	v_cmp_lt_u32_e32 vcc, v157, v183
	s_and_saveexec_b64 s[92:93], vcc
	s_cbranch_execz .LBB1222_548
.LBB1222_517:                           ;   in Loop: Header=BB1222_392 Depth=2
	v_add_co_u32_e32 v34, vcc, 0x1000, v64
	v_addc_co_u32_e32 v35, vcc, 0, v65, vcc
	global_load_dwordx2 v[34:35], v[34:35], off offset:3072
	s_or_b64 exec, exec, s[92:93]
	v_cmp_lt_u32_e32 vcc, v158, v183
	s_and_saveexec_b64 s[92:93], vcc
	s_cbranch_execnz .LBB1222_549
.LBB1222_518:                           ;   in Loop: Header=BB1222_392 Depth=2
	s_or_b64 exec, exec, s[92:93]
	s_and_saveexec_b64 s[92:93], s[36:37]
	s_cbranch_execz .LBB1222_550
.LBB1222_519:                           ;   in Loop: Header=BB1222_392 Depth=2
	v_add_u32_e32 v64, v33, v3
	ds_read_b64 v[64:65], v64 offset:1024
	s_waitcnt lgkmcnt(0)
	v_cmp_ne_u64_e32 vcc, s[78:79], v[64:65]
	v_cndmask_b32_e32 v65, v133, v65, vcc
	v_cndmask_b32_e32 v64, 0, v64, vcc
	v_lshrrev_b64 v[64:65], s33, v[64:65]
	v_and_b32_e32 v182, s69, v64
	s_or_b64 exec, exec, s[92:93]
	s_and_saveexec_b64 s[92:93], s[38:39]
	s_cbranch_execnz .LBB1222_551
.LBB1222_520:                           ;   in Loop: Header=BB1222_392 Depth=2
	s_or_b64 exec, exec, s[92:93]
	s_and_saveexec_b64 s[92:93], s[40:41]
	s_cbranch_execz .LBB1222_552
.LBB1222_521:                           ;   in Loop: Header=BB1222_392 Depth=2
	ds_read_b64 v[64:65], v104 offset:4096
	s_waitcnt lgkmcnt(0)
	v_cmp_ne_u64_e32 vcc, s[78:79], v[64:65]
	v_cndmask_b32_e32 v65, v133, v65, vcc
	v_cndmask_b32_e32 v64, 0, v64, vcc
	v_lshrrev_b64 v[64:65], s33, v[64:65]
	v_and_b32_e32 v180, s69, v64
	s_or_b64 exec, exec, s[92:93]
	s_and_saveexec_b64 s[92:93], s[42:43]
	s_cbranch_execnz .LBB1222_553
.LBB1222_522:                           ;   in Loop: Header=BB1222_392 Depth=2
	s_or_b64 exec, exec, s[92:93]
	s_and_saveexec_b64 s[92:93], s[44:45]
	s_cbranch_execz .LBB1222_554
.LBB1222_523:                           ;   in Loop: Header=BB1222_392 Depth=2
	ds_read_b64 v[64:65], v104 offset:8192
	s_waitcnt lgkmcnt(0)
	v_cmp_ne_u64_e32 vcc, s[78:79], v[64:65]
	v_cndmask_b32_e32 v65, v133, v65, vcc
	v_cndmask_b32_e32 v64, 0, v64, vcc
	v_lshrrev_b64 v[64:65], s33, v[64:65]
	v_and_b32_e32 v178, s69, v64
	s_or_b64 exec, exec, s[92:93]
	s_and_saveexec_b64 s[92:93], s[46:47]
	s_cbranch_execnz .LBB1222_555
.LBB1222_524:                           ;   in Loop: Header=BB1222_392 Depth=2
	s_or_b64 exec, exec, s[92:93]
	s_and_saveexec_b64 s[92:93], s[48:49]
	s_cbranch_execz .LBB1222_556
.LBB1222_525:                           ;   in Loop: Header=BB1222_392 Depth=2
	ds_read_b64 v[64:65], v104 offset:12288
	s_waitcnt lgkmcnt(0)
	v_cmp_ne_u64_e32 vcc, s[78:79], v[64:65]
	v_cndmask_b32_e32 v65, v133, v65, vcc
	v_cndmask_b32_e32 v64, 0, v64, vcc
	v_lshrrev_b64 v[64:65], s33, v[64:65]
	v_and_b32_e32 v175, s69, v64
	s_or_b64 exec, exec, s[92:93]
	s_and_saveexec_b64 s[92:93], s[50:51]
	s_cbranch_execnz .LBB1222_557
.LBB1222_526:                           ;   in Loop: Header=BB1222_392 Depth=2
	s_or_b64 exec, exec, s[92:93]
	s_and_saveexec_b64 s[92:93], s[52:53]
	s_cbranch_execz .LBB1222_558
.LBB1222_527:                           ;   in Loop: Header=BB1222_392 Depth=2
	ds_read_b64 v[64:65], v104 offset:16384
	s_waitcnt lgkmcnt(0)
	v_cmp_ne_u64_e32 vcc, s[78:79], v[64:65]
	v_cndmask_b32_e32 v65, v133, v65, vcc
	v_cndmask_b32_e32 v64, 0, v64, vcc
	v_lshrrev_b64 v[64:65], s33, v[64:65]
	v_and_b32_e32 v172, s69, v64
	s_or_b64 exec, exec, s[92:93]
	s_and_saveexec_b64 s[92:93], s[54:55]
	s_cbranch_execnz .LBB1222_559
.LBB1222_528:                           ;   in Loop: Header=BB1222_392 Depth=2
	s_or_b64 exec, exec, s[92:93]
	s_and_saveexec_b64 s[92:93], s[56:57]
	s_cbranch_execz .LBB1222_560
.LBB1222_529:                           ;   in Loop: Header=BB1222_392 Depth=2
	ds_read_b64 v[64:65], v104 offset:20480
	s_waitcnt lgkmcnt(0)
	v_cmp_ne_u64_e32 vcc, s[78:79], v[64:65]
	v_cndmask_b32_e32 v65, v133, v65, vcc
	v_cndmask_b32_e32 v64, 0, v64, vcc
	v_lshrrev_b64 v[64:65], s33, v[64:65]
	v_and_b32_e32 v169, s69, v64
	s_or_b64 exec, exec, s[92:93]
	s_and_saveexec_b64 s[92:93], s[58:59]
	s_cbranch_execnz .LBB1222_561
.LBB1222_530:                           ;   in Loop: Header=BB1222_392 Depth=2
	s_or_b64 exec, exec, s[92:93]
	s_and_saveexec_b64 s[92:93], s[60:61]
	s_cbranch_execz .LBB1222_562
.LBB1222_531:                           ;   in Loop: Header=BB1222_392 Depth=2
	ds_read_b64 v[64:65], v104 offset:24576
	s_waitcnt lgkmcnt(0)
	v_cmp_ne_u64_e32 vcc, s[78:79], v[64:65]
	v_cndmask_b32_e32 v65, v133, v65, vcc
	v_cndmask_b32_e32 v64, 0, v64, vcc
	v_lshrrev_b64 v[64:65], s33, v[64:65]
	v_and_b32_e32 v167, s69, v64
	s_or_b64 exec, exec, s[92:93]
	s_and_saveexec_b64 s[92:93], s[62:63]
	s_cbranch_execnz .LBB1222_563
.LBB1222_532:                           ;   in Loop: Header=BB1222_392 Depth=2
	s_or_b64 exec, exec, s[92:93]
	s_and_saveexec_b64 s[92:93], s[64:65]
	s_cbranch_execz .LBB1222_564
.LBB1222_533:                           ;   in Loop: Header=BB1222_392 Depth=2
	ds_read_b64 v[64:65], v104 offset:28672
	s_waitcnt lgkmcnt(0)
	v_cmp_ne_u64_e32 vcc, s[78:79], v[64:65]
	v_cndmask_b32_e32 v65, v133, v65, vcc
	v_cndmask_b32_e32 v64, 0, v64, vcc
	v_lshrrev_b64 v[64:65], s33, v[64:65]
	v_and_b32_e32 v165, s69, v64
	s_or_b64 exec, exec, s[92:93]
	s_and_saveexec_b64 s[92:93], s[66:67]
	s_cbranch_execnz .LBB1222_565
	s_branch .LBB1222_566
.LBB1222_534:                           ;   in Loop: Header=BB1222_392 Depth=2
	s_or_b64 exec, exec, s[92:93]
	v_cmp_lt_u32_e32 vcc, v144, v183
	s_and_saveexec_b64 s[92:93], vcc
	s_cbranch_execz .LBB1222_504
.LBB1222_535:                           ;   in Loop: Header=BB1222_392 Depth=2
	global_load_dwordx2 v[60:61], v[64:65], off offset:512
	s_or_b64 exec, exec, s[92:93]
	v_cmp_lt_u32_e32 vcc, v145, v183
	s_and_saveexec_b64 s[92:93], vcc
	s_cbranch_execnz .LBB1222_505
.LBB1222_536:                           ;   in Loop: Header=BB1222_392 Depth=2
	s_or_b64 exec, exec, s[92:93]
	v_cmp_lt_u32_e32 vcc, v146, v183
	s_and_saveexec_b64 s[92:93], vcc
	s_cbranch_execz .LBB1222_506
.LBB1222_537:                           ;   in Loop: Header=BB1222_392 Depth=2
	global_load_dwordx2 v[52:53], v[64:65], off offset:1536
	s_or_b64 exec, exec, s[92:93]
	v_cmp_lt_u32_e32 vcc, v147, v183
	s_and_saveexec_b64 s[92:93], vcc
	s_cbranch_execnz .LBB1222_507
.LBB1222_538:                           ;   in Loop: Header=BB1222_392 Depth=2
	s_or_b64 exec, exec, s[92:93]
	v_cmp_lt_u32_e32 vcc, v148, v183
	s_and_saveexec_b64 s[92:93], vcc
	s_cbranch_execz .LBB1222_508
.LBB1222_539:                           ;   in Loop: Header=BB1222_392 Depth=2
	global_load_dwordx2 v[44:45], v[64:65], off offset:2560
	s_or_b64 exec, exec, s[92:93]
	v_cmp_lt_u32_e32 vcc, v149, v183
	s_and_saveexec_b64 s[92:93], vcc
	s_cbranch_execnz .LBB1222_509
.LBB1222_540:                           ;   in Loop: Header=BB1222_392 Depth=2
	s_or_b64 exec, exec, s[92:93]
	v_cmp_lt_u32_e32 vcc, v150, v183
	s_and_saveexec_b64 s[92:93], vcc
	s_cbranch_execz .LBB1222_510
.LBB1222_541:                           ;   in Loop: Header=BB1222_392 Depth=2
	global_load_dwordx2 v[36:37], v[64:65], off offset:3584
	s_or_b64 exec, exec, s[92:93]
	v_cmp_lt_u32_e32 vcc, v151, v183
	s_and_saveexec_b64 s[92:93], vcc
	s_cbranch_execnz .LBB1222_511
.LBB1222_542:                           ;   in Loop: Header=BB1222_392 Depth=2
	s_or_b64 exec, exec, s[92:93]
	v_cmp_lt_u32_e32 vcc, v152, v183
	s_and_saveexec_b64 s[92:93], vcc
	s_cbranch_execz .LBB1222_512
.LBB1222_543:                           ;   in Loop: Header=BB1222_392 Depth=2
	v_add_co_u32_e32 v54, vcc, 0x1000, v64
	v_addc_co_u32_e32 v55, vcc, 0, v65, vcc
	global_load_dwordx2 v[54:55], v[54:55], off offset:512
	s_or_b64 exec, exec, s[92:93]
	v_cmp_lt_u32_e32 vcc, v153, v183
	s_and_saveexec_b64 s[92:93], vcc
	s_cbranch_execnz .LBB1222_513
.LBB1222_544:                           ;   in Loop: Header=BB1222_392 Depth=2
	s_or_b64 exec, exec, s[92:93]
	v_cmp_lt_u32_e32 vcc, v154, v183
	s_and_saveexec_b64 s[92:93], vcc
	s_cbranch_execz .LBB1222_514
.LBB1222_545:                           ;   in Loop: Header=BB1222_392 Depth=2
	v_add_co_u32_e32 v46, vcc, 0x1000, v64
	v_addc_co_u32_e32 v47, vcc, 0, v65, vcc
	global_load_dwordx2 v[46:47], v[46:47], off offset:1536
	s_or_b64 exec, exec, s[92:93]
	v_cmp_lt_u32_e32 vcc, v155, v183
	s_and_saveexec_b64 s[92:93], vcc
	s_cbranch_execnz .LBB1222_515
.LBB1222_546:                           ;   in Loop: Header=BB1222_392 Depth=2
	s_or_b64 exec, exec, s[92:93]
	v_cmp_lt_u32_e32 vcc, v156, v183
	s_and_saveexec_b64 s[92:93], vcc
	s_cbranch_execz .LBB1222_516
.LBB1222_547:                           ;   in Loop: Header=BB1222_392 Depth=2
	v_add_co_u32_e32 v38, vcc, 0x1000, v64
	v_addc_co_u32_e32 v39, vcc, 0, v65, vcc
	global_load_dwordx2 v[38:39], v[38:39], off offset:2560
	s_or_b64 exec, exec, s[92:93]
	v_cmp_lt_u32_e32 vcc, v157, v183
	s_and_saveexec_b64 s[92:93], vcc
	s_cbranch_execnz .LBB1222_517
.LBB1222_548:                           ;   in Loop: Header=BB1222_392 Depth=2
	s_or_b64 exec, exec, s[92:93]
	v_cmp_lt_u32_e32 vcc, v158, v183
	s_and_saveexec_b64 s[92:93], vcc
	s_cbranch_execz .LBB1222_518
.LBB1222_549:                           ;   in Loop: Header=BB1222_392 Depth=2
	v_add_co_u32_e32 v0, vcc, 0x1000, v64
	v_addc_co_u32_e32 v1, vcc, 0, v65, vcc
	global_load_dwordx2 v[0:1], v[0:1], off offset:3584
	s_or_b64 exec, exec, s[92:93]
	s_and_saveexec_b64 s[92:93], s[36:37]
	s_cbranch_execnz .LBB1222_519
.LBB1222_550:                           ;   in Loop: Header=BB1222_392 Depth=2
	s_or_b64 exec, exec, s[92:93]
	s_and_saveexec_b64 s[92:93], s[38:39]
	s_cbranch_execz .LBB1222_520
.LBB1222_551:                           ;   in Loop: Header=BB1222_392 Depth=2
	ds_read_b64 v[64:65], v104 offset:2048
	s_waitcnt lgkmcnt(0)
	v_cmp_ne_u64_e32 vcc, s[78:79], v[64:65]
	v_cndmask_b32_e32 v65, v133, v65, vcc
	v_cndmask_b32_e32 v64, 0, v64, vcc
	v_lshrrev_b64 v[64:65], s33, v[64:65]
	v_and_b32_e32 v181, s69, v64
	s_or_b64 exec, exec, s[92:93]
	s_and_saveexec_b64 s[92:93], s[40:41]
	s_cbranch_execnz .LBB1222_521
.LBB1222_552:                           ;   in Loop: Header=BB1222_392 Depth=2
	s_or_b64 exec, exec, s[92:93]
	s_and_saveexec_b64 s[92:93], s[42:43]
	s_cbranch_execz .LBB1222_522
.LBB1222_553:                           ;   in Loop: Header=BB1222_392 Depth=2
	ds_read_b64 v[64:65], v104 offset:6144
	s_waitcnt lgkmcnt(0)
	v_cmp_ne_u64_e32 vcc, s[78:79], v[64:65]
	v_cndmask_b32_e32 v65, v133, v65, vcc
	v_cndmask_b32_e32 v64, 0, v64, vcc
	v_lshrrev_b64 v[64:65], s33, v[64:65]
	v_and_b32_e32 v179, s69, v64
	s_or_b64 exec, exec, s[92:93]
	s_and_saveexec_b64 s[92:93], s[44:45]
	s_cbranch_execnz .LBB1222_523
.LBB1222_554:                           ;   in Loop: Header=BB1222_392 Depth=2
	s_or_b64 exec, exec, s[92:93]
	s_and_saveexec_b64 s[92:93], s[46:47]
	s_cbranch_execz .LBB1222_524
.LBB1222_555:                           ;   in Loop: Header=BB1222_392 Depth=2
	ds_read_b64 v[64:65], v104 offset:10240
	s_waitcnt lgkmcnt(0)
	v_cmp_ne_u64_e32 vcc, s[78:79], v[64:65]
	v_cndmask_b32_e32 v65, v133, v65, vcc
	v_cndmask_b32_e32 v64, 0, v64, vcc
	v_lshrrev_b64 v[64:65], s33, v[64:65]
	v_and_b32_e32 v176, s69, v64
	s_or_b64 exec, exec, s[92:93]
	s_and_saveexec_b64 s[92:93], s[48:49]
	s_cbranch_execnz .LBB1222_525
.LBB1222_556:                           ;   in Loop: Header=BB1222_392 Depth=2
	s_or_b64 exec, exec, s[92:93]
	s_and_saveexec_b64 s[92:93], s[50:51]
	s_cbranch_execz .LBB1222_526
.LBB1222_557:                           ;   in Loop: Header=BB1222_392 Depth=2
	ds_read_b64 v[64:65], v104 offset:14336
	s_waitcnt lgkmcnt(0)
	v_cmp_ne_u64_e32 vcc, s[78:79], v[64:65]
	v_cndmask_b32_e32 v65, v133, v65, vcc
	v_cndmask_b32_e32 v64, 0, v64, vcc
	v_lshrrev_b64 v[64:65], s33, v[64:65]
	v_and_b32_e32 v174, s69, v64
	s_or_b64 exec, exec, s[92:93]
	s_and_saveexec_b64 s[92:93], s[52:53]
	s_cbranch_execnz .LBB1222_527
.LBB1222_558:                           ;   in Loop: Header=BB1222_392 Depth=2
	s_or_b64 exec, exec, s[92:93]
	s_and_saveexec_b64 s[92:93], s[54:55]
	s_cbranch_execz .LBB1222_528
.LBB1222_559:                           ;   in Loop: Header=BB1222_392 Depth=2
	ds_read_b64 v[64:65], v104 offset:18432
	s_waitcnt lgkmcnt(0)
	v_cmp_ne_u64_e32 vcc, s[78:79], v[64:65]
	v_cndmask_b32_e32 v65, v133, v65, vcc
	v_cndmask_b32_e32 v64, 0, v64, vcc
	v_lshrrev_b64 v[64:65], s33, v[64:65]
	v_and_b32_e32 v171, s69, v64
	s_or_b64 exec, exec, s[92:93]
	s_and_saveexec_b64 s[92:93], s[56:57]
	s_cbranch_execnz .LBB1222_529
.LBB1222_560:                           ;   in Loop: Header=BB1222_392 Depth=2
	s_or_b64 exec, exec, s[92:93]
	s_and_saveexec_b64 s[92:93], s[58:59]
	s_cbranch_execz .LBB1222_530
.LBB1222_561:                           ;   in Loop: Header=BB1222_392 Depth=2
	ds_read_b64 v[64:65], v104 offset:22528
	s_waitcnt lgkmcnt(0)
	v_cmp_ne_u64_e32 vcc, s[78:79], v[64:65]
	v_cndmask_b32_e32 v65, v133, v65, vcc
	v_cndmask_b32_e32 v64, 0, v64, vcc
	v_lshrrev_b64 v[64:65], s33, v[64:65]
	v_and_b32_e32 v168, s69, v64
	s_or_b64 exec, exec, s[92:93]
	s_and_saveexec_b64 s[92:93], s[60:61]
	s_cbranch_execnz .LBB1222_531
.LBB1222_562:                           ;   in Loop: Header=BB1222_392 Depth=2
	s_or_b64 exec, exec, s[92:93]
	s_and_saveexec_b64 s[92:93], s[62:63]
	s_cbranch_execz .LBB1222_532
.LBB1222_563:                           ;   in Loop: Header=BB1222_392 Depth=2
	ds_read_b64 v[64:65], v104 offset:26624
	s_waitcnt lgkmcnt(0)
	v_cmp_ne_u64_e32 vcc, s[78:79], v[64:65]
	v_cndmask_b32_e32 v65, v133, v65, vcc
	v_cndmask_b32_e32 v64, 0, v64, vcc
	v_lshrrev_b64 v[64:65], s33, v[64:65]
	v_and_b32_e32 v166, s69, v64
	s_or_b64 exec, exec, s[92:93]
	s_and_saveexec_b64 s[92:93], s[64:65]
	s_cbranch_execnz .LBB1222_533
.LBB1222_564:                           ;   in Loop: Header=BB1222_392 Depth=2
	s_or_b64 exec, exec, s[92:93]
	s_and_saveexec_b64 s[92:93], s[66:67]
	s_cbranch_execz .LBB1222_566
.LBB1222_565:                           ;   in Loop: Header=BB1222_392 Depth=2
	ds_read_b64 v[64:65], v104 offset:30720
	s_waitcnt lgkmcnt(0)
	v_cmp_ne_u64_e32 vcc, s[78:79], v[64:65]
	v_cndmask_b32_e32 v65, v133, v65, vcc
	v_cndmask_b32_e32 v64, 0, v64, vcc
	v_lshrrev_b64 v[64:65], s33, v[64:65]
	v_and_b32_e32 v164, s69, v64
.LBB1222_566:                           ;   in Loop: Header=BB1222_392 Depth=2
	s_or_b64 exec, exec, s[92:93]
	v_add_u32_e32 v64, 0x400, v96
	v_add_u32_e32 v65, 0x400, v97
	;; [unrolled: 1-line block ×16, first 2 shown]
	s_barrier
	s_waitcnt vmcnt(0)
	ds_write_b64 v64, v[62:63]
	ds_write_b64 v65, v[60:61]
	;; [unrolled: 1-line block ×16, first 2 shown]
	s_waitcnt lgkmcnt(0)
	s_barrier
	s_and_saveexec_b64 s[92:93], s[36:37]
	s_cbranch_execz .LBB1222_582
; %bb.567:                              ;   in Loop: Header=BB1222_392 Depth=2
	v_lshlrev_b32_e32 v64, 2, v182
	ds_read_b32 v66, v64
	v_add_u32_e32 v64, v33, v3
	ds_read_b64 v[64:65], v64 offset:1024
	v_mov_b32_e32 v67, v4
	v_mov_b32_e32 v68, s83
	s_waitcnt lgkmcnt(1)
	v_add_u32_e32 v66, v66, v2
	v_lshlrev_b64 v[66:67], 3, v[66:67]
	v_add_co_u32_e32 v66, vcc, s82, v66
	v_addc_co_u32_e32 v67, vcc, v68, v67, vcc
	s_waitcnt lgkmcnt(0)
	global_store_dwordx2 v[66:67], v[64:65], off
	s_or_b64 exec, exec, s[92:93]
	s_and_saveexec_b64 s[36:37], s[38:39]
	s_cbranch_execnz .LBB1222_583
.LBB1222_568:                           ;   in Loop: Header=BB1222_392 Depth=2
	s_or_b64 exec, exec, s[36:37]
	s_and_saveexec_b64 s[36:37], s[40:41]
	s_cbranch_execz .LBB1222_584
.LBB1222_569:                           ;   in Loop: Header=BB1222_392 Depth=2
	v_lshlrev_b32_e32 v64, 2, v180
	ds_read_b32 v66, v64
	ds_read_b64 v[64:65], v104 offset:4096
	v_mov_b32_e32 v67, v4
	v_mov_b32_e32 v68, s83
	s_waitcnt lgkmcnt(1)
	v_add_u32_e32 v66, v66, v6
	v_lshlrev_b64 v[66:67], 3, v[66:67]
	v_add_co_u32_e32 v66, vcc, s82, v66
	v_addc_co_u32_e32 v67, vcc, v68, v67, vcc
	s_waitcnt lgkmcnt(0)
	global_store_dwordx2 v[66:67], v[64:65], off
	s_or_b64 exec, exec, s[36:37]
	s_and_saveexec_b64 s[36:37], s[42:43]
	s_cbranch_execnz .LBB1222_585
.LBB1222_570:                           ;   in Loop: Header=BB1222_392 Depth=2
	s_or_b64 exec, exec, s[36:37]
	s_and_saveexec_b64 s[36:37], s[44:45]
	s_cbranch_execz .LBB1222_586
.LBB1222_571:                           ;   in Loop: Header=BB1222_392 Depth=2
	v_lshlrev_b32_e32 v64, 2, v178
	ds_read_b32 v66, v64
	ds_read_b64 v[64:65], v104 offset:8192
	v_mov_b32_e32 v67, v4
	v_mov_b32_e32 v68, s83
	s_waitcnt lgkmcnt(1)
	v_add_u32_e32 v66, v66, v10
	v_lshlrev_b64 v[66:67], 3, v[66:67]
	v_add_co_u32_e32 v66, vcc, s82, v66
	v_addc_co_u32_e32 v67, vcc, v68, v67, vcc
	s_waitcnt lgkmcnt(0)
	global_store_dwordx2 v[66:67], v[64:65], off
	s_or_b64 exec, exec, s[36:37]
	s_and_saveexec_b64 s[36:37], s[46:47]
	s_cbranch_execnz .LBB1222_587
.LBB1222_572:                           ;   in Loop: Header=BB1222_392 Depth=2
	s_or_b64 exec, exec, s[36:37]
	s_and_saveexec_b64 s[36:37], s[48:49]
	s_cbranch_execz .LBB1222_588
.LBB1222_573:                           ;   in Loop: Header=BB1222_392 Depth=2
	v_lshlrev_b32_e32 v64, 2, v175
	ds_read_b32 v66, v64
	ds_read_b64 v[64:65], v104 offset:12288
	v_mov_b32_e32 v67, v4
	v_mov_b32_e32 v68, s83
	s_waitcnt lgkmcnt(1)
	v_add_u32_e32 v66, v66, v14
	v_lshlrev_b64 v[66:67], 3, v[66:67]
	v_add_co_u32_e32 v66, vcc, s82, v66
	v_addc_co_u32_e32 v67, vcc, v68, v67, vcc
	s_waitcnt lgkmcnt(0)
	global_store_dwordx2 v[66:67], v[64:65], off
	s_or_b64 exec, exec, s[36:37]
	s_and_saveexec_b64 s[36:37], s[50:51]
	s_cbranch_execnz .LBB1222_589
.LBB1222_574:                           ;   in Loop: Header=BB1222_392 Depth=2
	s_or_b64 exec, exec, s[36:37]
	s_and_saveexec_b64 s[36:37], s[52:53]
	s_cbranch_execz .LBB1222_590
.LBB1222_575:                           ;   in Loop: Header=BB1222_392 Depth=2
	v_lshlrev_b32_e32 v64, 2, v172
	ds_read_b32 v66, v64
	ds_read_b64 v[64:65], v104 offset:16384
	v_mov_b32_e32 v67, v4
	v_mov_b32_e32 v68, s83
	s_waitcnt lgkmcnt(1)
	v_add_u32_e32 v66, v66, v18
	v_lshlrev_b64 v[66:67], 3, v[66:67]
	v_add_co_u32_e32 v66, vcc, s82, v66
	v_addc_co_u32_e32 v67, vcc, v68, v67, vcc
	s_waitcnt lgkmcnt(0)
	global_store_dwordx2 v[66:67], v[64:65], off
	s_or_b64 exec, exec, s[36:37]
	s_and_saveexec_b64 s[36:37], s[54:55]
	s_cbranch_execnz .LBB1222_591
.LBB1222_576:                           ;   in Loop: Header=BB1222_392 Depth=2
	s_or_b64 exec, exec, s[36:37]
	s_and_saveexec_b64 s[36:37], s[56:57]
	s_cbranch_execz .LBB1222_592
.LBB1222_577:                           ;   in Loop: Header=BB1222_392 Depth=2
	v_lshlrev_b32_e32 v64, 2, v169
	ds_read_b32 v66, v64
	ds_read_b64 v[64:65], v104 offset:20480
	v_mov_b32_e32 v67, v4
	v_mov_b32_e32 v68, s83
	s_waitcnt lgkmcnt(1)
	v_add_u32_e32 v66, v66, v22
	v_lshlrev_b64 v[66:67], 3, v[66:67]
	v_add_co_u32_e32 v66, vcc, s82, v66
	v_addc_co_u32_e32 v67, vcc, v68, v67, vcc
	s_waitcnt lgkmcnt(0)
	global_store_dwordx2 v[66:67], v[64:65], off
	s_or_b64 exec, exec, s[36:37]
	s_and_saveexec_b64 s[36:37], s[58:59]
	s_cbranch_execnz .LBB1222_593
.LBB1222_578:                           ;   in Loop: Header=BB1222_392 Depth=2
	s_or_b64 exec, exec, s[36:37]
	s_and_saveexec_b64 s[36:37], s[60:61]
	s_cbranch_execz .LBB1222_594
.LBB1222_579:                           ;   in Loop: Header=BB1222_392 Depth=2
	v_lshlrev_b32_e32 v64, 2, v167
	ds_read_b32 v66, v64
	ds_read_b64 v[64:65], v104 offset:24576
	v_mov_b32_e32 v67, v4
	v_mov_b32_e32 v68, s83
	s_waitcnt lgkmcnt(1)
	v_add_u32_e32 v66, v66, v26
	v_lshlrev_b64 v[66:67], 3, v[66:67]
	v_add_co_u32_e32 v66, vcc, s82, v66
	v_addc_co_u32_e32 v67, vcc, v68, v67, vcc
	s_waitcnt lgkmcnt(0)
	global_store_dwordx2 v[66:67], v[64:65], off
	s_or_b64 exec, exec, s[36:37]
	s_and_saveexec_b64 s[36:37], s[62:63]
	s_cbranch_execnz .LBB1222_595
.LBB1222_580:                           ;   in Loop: Header=BB1222_392 Depth=2
	s_or_b64 exec, exec, s[36:37]
	s_and_saveexec_b64 s[36:37], s[64:65]
	s_cbranch_execz .LBB1222_596
.LBB1222_581:                           ;   in Loop: Header=BB1222_392 Depth=2
	v_lshlrev_b32_e32 v64, 2, v165
	ds_read_b32 v66, v64
	ds_read_b64 v[64:65], v104 offset:28672
	v_mov_b32_e32 v67, v4
	v_mov_b32_e32 v68, s83
	s_waitcnt lgkmcnt(1)
	v_add_u32_e32 v66, v66, v30
	v_lshlrev_b64 v[66:67], 3, v[66:67]
	v_add_co_u32_e32 v66, vcc, s82, v66
	v_addc_co_u32_e32 v67, vcc, v68, v67, vcc
	s_waitcnt lgkmcnt(0)
	global_store_dwordx2 v[66:67], v[64:65], off
	s_or_b64 exec, exec, s[36:37]
	s_and_saveexec_b64 s[36:37], s[66:67]
	s_cbranch_execnz .LBB1222_597
	s_branch .LBB1222_598
.LBB1222_582:                           ;   in Loop: Header=BB1222_392 Depth=2
	s_or_b64 exec, exec, s[92:93]
	s_and_saveexec_b64 s[36:37], s[38:39]
	s_cbranch_execz .LBB1222_568
.LBB1222_583:                           ;   in Loop: Header=BB1222_392 Depth=2
	v_lshlrev_b32_e32 v64, 2, v181
	ds_read_b32 v66, v64
	ds_read_b64 v[64:65], v104 offset:2048
	v_mov_b32_e32 v67, v4
	v_mov_b32_e32 v68, s83
	s_waitcnt lgkmcnt(1)
	v_add_u32_e32 v66, v66, v7
	v_lshlrev_b64 v[66:67], 3, v[66:67]
	v_add_co_u32_e32 v66, vcc, s82, v66
	v_addc_co_u32_e32 v67, vcc, v68, v67, vcc
	s_waitcnt lgkmcnt(0)
	global_store_dwordx2 v[66:67], v[64:65], off
	s_or_b64 exec, exec, s[36:37]
	s_and_saveexec_b64 s[36:37], s[40:41]
	s_cbranch_execnz .LBB1222_569
.LBB1222_584:                           ;   in Loop: Header=BB1222_392 Depth=2
	s_or_b64 exec, exec, s[36:37]
	s_and_saveexec_b64 s[36:37], s[42:43]
	s_cbranch_execz .LBB1222_570
.LBB1222_585:                           ;   in Loop: Header=BB1222_392 Depth=2
	v_lshlrev_b32_e32 v64, 2, v179
	ds_read_b32 v66, v64
	ds_read_b64 v[64:65], v104 offset:6144
	v_mov_b32_e32 v67, v4
	v_mov_b32_e32 v68, s83
	s_waitcnt lgkmcnt(1)
	v_add_u32_e32 v66, v66, v8
	v_lshlrev_b64 v[66:67], 3, v[66:67]
	v_add_co_u32_e32 v66, vcc, s82, v66
	v_addc_co_u32_e32 v67, vcc, v68, v67, vcc
	s_waitcnt lgkmcnt(0)
	global_store_dwordx2 v[66:67], v[64:65], off
	s_or_b64 exec, exec, s[36:37]
	s_and_saveexec_b64 s[36:37], s[44:45]
	s_cbranch_execnz .LBB1222_571
.LBB1222_586:                           ;   in Loop: Header=BB1222_392 Depth=2
	s_or_b64 exec, exec, s[36:37]
	s_and_saveexec_b64 s[36:37], s[46:47]
	s_cbranch_execz .LBB1222_572
.LBB1222_587:                           ;   in Loop: Header=BB1222_392 Depth=2
	v_lshlrev_b32_e32 v64, 2, v176
	ds_read_b32 v66, v64
	ds_read_b64 v[64:65], v104 offset:10240
	v_mov_b32_e32 v67, v4
	v_mov_b32_e32 v68, s83
	s_waitcnt lgkmcnt(1)
	v_add_u32_e32 v66, v66, v12
	v_lshlrev_b64 v[66:67], 3, v[66:67]
	v_add_co_u32_e32 v66, vcc, s82, v66
	v_addc_co_u32_e32 v67, vcc, v68, v67, vcc
	s_waitcnt lgkmcnt(0)
	global_store_dwordx2 v[66:67], v[64:65], off
	s_or_b64 exec, exec, s[36:37]
	s_and_saveexec_b64 s[36:37], s[48:49]
	s_cbranch_execnz .LBB1222_573
.LBB1222_588:                           ;   in Loop: Header=BB1222_392 Depth=2
	s_or_b64 exec, exec, s[36:37]
	s_and_saveexec_b64 s[36:37], s[50:51]
	s_cbranch_execz .LBB1222_574
.LBB1222_589:                           ;   in Loop: Header=BB1222_392 Depth=2
	v_lshlrev_b32_e32 v64, 2, v174
	ds_read_b32 v66, v64
	ds_read_b64 v[64:65], v104 offset:14336
	v_mov_b32_e32 v67, v4
	v_mov_b32_e32 v68, s83
	s_waitcnt lgkmcnt(1)
	v_add_u32_e32 v66, v66, v16
	v_lshlrev_b64 v[66:67], 3, v[66:67]
	v_add_co_u32_e32 v66, vcc, s82, v66
	v_addc_co_u32_e32 v67, vcc, v68, v67, vcc
	s_waitcnt lgkmcnt(0)
	global_store_dwordx2 v[66:67], v[64:65], off
	s_or_b64 exec, exec, s[36:37]
	s_and_saveexec_b64 s[36:37], s[52:53]
	s_cbranch_execnz .LBB1222_575
.LBB1222_590:                           ;   in Loop: Header=BB1222_392 Depth=2
	s_or_b64 exec, exec, s[36:37]
	s_and_saveexec_b64 s[36:37], s[54:55]
	s_cbranch_execz .LBB1222_576
.LBB1222_591:                           ;   in Loop: Header=BB1222_392 Depth=2
	v_lshlrev_b32_e32 v64, 2, v171
	ds_read_b32 v66, v64
	ds_read_b64 v[64:65], v104 offset:18432
	v_mov_b32_e32 v67, v4
	v_mov_b32_e32 v68, s83
	s_waitcnt lgkmcnt(1)
	v_add_u32_e32 v66, v66, v20
	v_lshlrev_b64 v[66:67], 3, v[66:67]
	v_add_co_u32_e32 v66, vcc, s82, v66
	v_addc_co_u32_e32 v67, vcc, v68, v67, vcc
	s_waitcnt lgkmcnt(0)
	global_store_dwordx2 v[66:67], v[64:65], off
	s_or_b64 exec, exec, s[36:37]
	s_and_saveexec_b64 s[36:37], s[56:57]
	s_cbranch_execnz .LBB1222_577
.LBB1222_592:                           ;   in Loop: Header=BB1222_392 Depth=2
	s_or_b64 exec, exec, s[36:37]
	s_and_saveexec_b64 s[36:37], s[58:59]
	s_cbranch_execz .LBB1222_578
.LBB1222_593:                           ;   in Loop: Header=BB1222_392 Depth=2
	v_lshlrev_b32_e32 v64, 2, v168
	ds_read_b32 v66, v64
	ds_read_b64 v[64:65], v104 offset:22528
	v_mov_b32_e32 v67, v4
	v_mov_b32_e32 v68, s83
	s_waitcnt lgkmcnt(1)
	v_add_u32_e32 v66, v66, v24
	v_lshlrev_b64 v[66:67], 3, v[66:67]
	v_add_co_u32_e32 v66, vcc, s82, v66
	v_addc_co_u32_e32 v67, vcc, v68, v67, vcc
	s_waitcnt lgkmcnt(0)
	global_store_dwordx2 v[66:67], v[64:65], off
	s_or_b64 exec, exec, s[36:37]
	s_and_saveexec_b64 s[36:37], s[60:61]
	s_cbranch_execnz .LBB1222_579
.LBB1222_594:                           ;   in Loop: Header=BB1222_392 Depth=2
	s_or_b64 exec, exec, s[36:37]
	s_and_saveexec_b64 s[36:37], s[62:63]
	s_cbranch_execz .LBB1222_580
.LBB1222_595:                           ;   in Loop: Header=BB1222_392 Depth=2
	v_lshlrev_b32_e32 v64, 2, v166
	ds_read_b32 v66, v64
	ds_read_b64 v[64:65], v104 offset:26624
	v_mov_b32_e32 v67, v4
	v_mov_b32_e32 v68, s83
	s_waitcnt lgkmcnt(1)
	v_add_u32_e32 v66, v66, v28
	v_lshlrev_b64 v[66:67], 3, v[66:67]
	v_add_co_u32_e32 v66, vcc, s82, v66
	v_addc_co_u32_e32 v67, vcc, v68, v67, vcc
	s_waitcnt lgkmcnt(0)
	global_store_dwordx2 v[66:67], v[64:65], off
	s_or_b64 exec, exec, s[36:37]
	s_and_saveexec_b64 s[36:37], s[64:65]
	s_cbranch_execnz .LBB1222_581
.LBB1222_596:                           ;   in Loop: Header=BB1222_392 Depth=2
	s_or_b64 exec, exec, s[36:37]
	s_and_saveexec_b64 s[36:37], s[66:67]
	s_cbranch_execz .LBB1222_598
.LBB1222_597:                           ;   in Loop: Header=BB1222_392 Depth=2
	v_lshlrev_b32_e32 v64, 2, v164
	ds_read_b32 v66, v64
	ds_read_b64 v[64:65], v104 offset:30720
	v_mov_b32_e32 v67, v4
	v_mov_b32_e32 v68, s83
	s_waitcnt lgkmcnt(1)
	v_add_u32_e32 v66, v66, v32
	v_lshlrev_b64 v[66:67], 3, v[66:67]
	v_add_co_u32_e32 v66, vcc, s82, v66
	v_addc_co_u32_e32 v67, vcc, v68, v67, vcc
	s_waitcnt lgkmcnt(0)
	global_store_dwordx2 v[66:67], v[64:65], off
.LBB1222_598:                           ;   in Loop: Header=BB1222_392 Depth=2
	s_or_b64 exec, exec, s[36:37]
	s_barrier
	s_and_saveexec_b64 s[36:37], s[4:5]
	s_cbranch_execz .LBB1222_391
; %bb.599:                              ;   in Loop: Header=BB1222_392 Depth=2
	ds_read_b32 v64, v3
	s_waitcnt lgkmcnt(0)
	v_add_u32_e32 v5, v64, v5
	ds_write_b32 v3, v5
	s_branch .LBB1222_391
.LBB1222_600:                           ;   in Loop: Header=BB1222_12 Depth=1
	v_readlane_b32 s49, v236, 2
	s_waitcnt lgkmcnt(0)
	s_barrier
.LBB1222_601:                           ;   in Loop: Header=BB1222_12 Depth=1
	s_mov_b64 s[16:17], 0
.LBB1222_602:                           ;   in Loop: Header=BB1222_12 Depth=1
	s_andn2_b64 vcc, exec, s[16:17]
	s_cbranch_vccnz .LBB1222_11
; %bb.603:                              ;   in Loop: Header=BB1222_12 Depth=1
	s_lshl_b32 s16, -1, s68
	s_not_b32 s68, s16
	s_mov_b64 s[16:17], -1
	s_and_b64 vcc, exec, s[70:71]
	s_cbranch_vccz .LBB1222_897
; %bb.604:                              ;   in Loop: Header=BB1222_12 Depth=1
	s_mov_b32 s22, s85
	s_mov_b32 s88, s49
	s_barrier
	s_waitcnt lgkmcnt(0)
                                        ; implicit-def: $vgpr62_vgpr63
                                        ; implicit-def: $vgpr0_vgpr1
                                        ; implicit-def: $vgpr34_vgpr35
                                        ; implicit-def: $vgpr36_vgpr37
                                        ; implicit-def: $vgpr38_vgpr39
                                        ; implicit-def: $vgpr40_vgpr41
                                        ; implicit-def: $vgpr42_vgpr43
                                        ; implicit-def: $vgpr44_vgpr45
                                        ; implicit-def: $vgpr46_vgpr47
                                        ; implicit-def: $vgpr48_vgpr49
                                        ; implicit-def: $vgpr50_vgpr51
                                        ; implicit-def: $vgpr52_vgpr53
                                        ; implicit-def: $vgpr54_vgpr55
                                        ; implicit-def: $vgpr56_vgpr57
                                        ; implicit-def: $vgpr58_vgpr59
                                        ; implicit-def: $vgpr60_vgpr61
	s_branch .LBB1222_606
.LBB1222_605:                           ;   in Loop: Header=BB1222_606 Depth=2
	s_or_b64 exec, exec, s[16:17]
	s_addk_i32 s22, 0xf000
	s_cmp_ge_u32 s23, s94
	s_mov_b32 s88, s23
	s_cbranch_scc1 .LBB1222_676
.LBB1222_606:                           ;   Parent Loop BB1222_12 Depth=1
                                        ; =>  This Inner Loop Header: Depth=2
	s_add_i32 s23, s88, 0x1000
	s_cmp_gt_u32 s23, s94
	s_cbranch_scc1 .LBB1222_609
; %bb.607:                              ;   in Loop: Header=BB1222_606 Depth=2
	s_lshl_b64 s[16:17], s[88:89], 3
	v_mov_b32_e32 v5, s17
	v_add_co_u32_e32 v64, vcc, s16, v111
	v_addc_co_u32_e32 v65, vcc, v112, v5, vcc
	s_waitcnt vmcnt(11)
	v_add_co_u32_e32 v72, vcc, 0x1000, v64
	v_addc_co_u32_e32 v73, vcc, 0, v65, vcc
	s_waitcnt vmcnt(5)
	;; [unrolled: 3-line block ×3, first 2 shown]
	v_add_co_u32_e32 v82, vcc, s96, v64
	v_addc_co_u32_e32 v83, vcc, 0, v65, vcc
	v_add_co_u32_e32 v86, vcc, s97, v64
	v_addc_co_u32_e32 v87, vcc, 0, v65, vcc
	v_add_co_u32_e32 v88, vcc, s98, v64
	v_addc_co_u32_e32 v89, vcc, 0, v65, vcc
	v_add_co_u32_e32 v92, vcc, s99, v64
	v_addc_co_u32_e32 v93, vcc, 0, v65, vcc
	global_load_dwordx2 v[66:67], v[64:65], off
	global_load_dwordx2 v[68:69], v[64:65], off offset:2048
	global_load_dwordx2 v[70:71], v[72:73], off
	s_nop 0
	global_load_dwordx2 v[72:73], v[72:73], off offset:2048
	s_nop 0
	global_load_dwordx2 v[74:75], v[82:83], off
	global_load_dwordx2 v[76:77], v[82:83], off offset:2048
	global_load_dwordx2 v[80:81], v[88:89], off offset:-4096
	global_load_dwordx2 v[84:85], v[88:89], off
	s_nop 0
	global_load_dwordx2 v[88:89], v[88:89], off offset:2048
	s_nop 0
	global_load_dwordx2 v[78:79], v[78:79], off offset:2048
	s_nop 0
	global_load_dwordx2 v[86:87], v[86:87], off offset:2048
	s_nop 0
	global_load_dwordx2 v[90:91], v[92:93], off
	s_nop 0
	global_load_dwordx2 v[92:93], v[92:93], off offset:2048
	s_waitcnt vmcnt(13)
	v_add_co_u32_e32 v94, vcc, 0x7000, v64
	v_addc_co_u32_e32 v95, vcc, 0, v65, vcc
	global_load_dwordx2 v[82:83], v[82:83], off offset:-4096
	s_nop 0
	global_load_dwordx2 v[94:95], v[94:95], off
	v_add_co_u32_e32 v64, vcc, 0x7800, v64
	s_movk_i32 s24, 0x1000
	v_addc_co_u32_e32 v65, vcc, 0, v65, vcc
	s_mov_b64 s[16:17], -1
	s_cbranch_execz .LBB1222_610
; %bb.608:                              ;   in Loop: Header=BB1222_606 Depth=2
                                        ; implicit-def: $vgpr60_vgpr61
                                        ; implicit-def: $vgpr58_vgpr59
                                        ; implicit-def: $vgpr56_vgpr57
                                        ; implicit-def: $vgpr54_vgpr55
                                        ; implicit-def: $vgpr52_vgpr53
                                        ; implicit-def: $vgpr50_vgpr51
                                        ; implicit-def: $vgpr48_vgpr49
                                        ; implicit-def: $vgpr46_vgpr47
                                        ; implicit-def: $vgpr44_vgpr45
                                        ; implicit-def: $vgpr42_vgpr43
                                        ; implicit-def: $vgpr40_vgpr41
                                        ; implicit-def: $vgpr38_vgpr39
                                        ; implicit-def: $vgpr36_vgpr37
                                        ; implicit-def: $vgpr34_vgpr35
                                        ; implicit-def: $vgpr0_vgpr1
                                        ; implicit-def: $vgpr62_vgpr63
	v_mov_b32_e32 v5, s22
	s_and_saveexec_b64 s[18:19], s[16:17]
	s_cbranch_execnz .LBB1222_629
	s_branch .LBB1222_630
.LBB1222_609:                           ;   in Loop: Header=BB1222_606 Depth=2
	s_mov_b64 s[16:17], 0
                                        ; implicit-def: $sgpr24
                                        ; implicit-def: $vgpr66_vgpr67
                                        ; implicit-def: $vgpr68_vgpr69
                                        ; implicit-def: $vgpr70_vgpr71
                                        ; implicit-def: $vgpr72_vgpr73
                                        ; implicit-def: $vgpr82_vgpr83
                                        ; implicit-def: $vgpr78_vgpr79
                                        ; implicit-def: $vgpr74_vgpr75
                                        ; implicit-def: $vgpr76_vgpr77
                                        ; implicit-def: $vgpr80_vgpr81
                                        ; implicit-def: $vgpr86_vgpr87
                                        ; implicit-def: $vgpr84_vgpr85
                                        ; implicit-def: $vgpr88_vgpr89
                                        ; implicit-def: $vgpr90_vgpr91
                                        ; implicit-def: $vgpr92_vgpr93
                                        ; implicit-def: $vgpr94_vgpr95
                                        ; implicit-def: $vgpr64_vgpr65
.LBB1222_610:                           ;   in Loop: Header=BB1222_606 Depth=2
	s_lshl_b64 s[18:19], s[88:89], 3
	s_add_u32 s18, s72, s18
	s_addc_u32 s19, s73, s19
	v_cmp_gt_u32_e32 vcc, s22, v2
	s_and_saveexec_b64 s[20:21], vcc
	s_cbranch_execz .LBB1222_662
; %bb.611:                              ;   in Loop: Header=BB1222_606 Depth=2
	global_load_dwordx2 v[60:61], v118, s[18:19]
	s_or_b64 exec, exec, s[20:21]
	v_cmp_gt_u32_e32 vcc, s22, v7
	s_and_saveexec_b64 s[20:21], vcc
	s_cbranch_execnz .LBB1222_663
.LBB1222_612:                           ;   in Loop: Header=BB1222_606 Depth=2
	s_or_b64 exec, exec, s[20:21]
	v_cmp_gt_u32_e32 vcc, s22, v6
	s_and_saveexec_b64 s[20:21], vcc
	s_cbranch_execz .LBB1222_664
.LBB1222_613:                           ;   in Loop: Header=BB1222_606 Depth=2
	global_load_dwordx2 v[56:57], v119, s[18:19]
	s_or_b64 exec, exec, s[20:21]
	v_cmp_gt_u32_e32 vcc, s22, v8
	s_and_saveexec_b64 s[20:21], vcc
	s_cbranch_execnz .LBB1222_665
.LBB1222_614:                           ;   in Loop: Header=BB1222_606 Depth=2
	s_or_b64 exec, exec, s[20:21]
	v_cmp_gt_u32_e32 vcc, s22, v10
	s_and_saveexec_b64 s[20:21], vcc
	s_cbranch_execz .LBB1222_666
.LBB1222_615:                           ;   in Loop: Header=BB1222_606 Depth=2
	global_load_dwordx2 v[52:53], v121, s[18:19]
	s_or_b64 exec, exec, s[20:21]
	v_cmp_gt_u32_e32 vcc, s22, v12
	s_and_saveexec_b64 s[20:21], vcc
	s_cbranch_execnz .LBB1222_667
.LBB1222_616:                           ;   in Loop: Header=BB1222_606 Depth=2
	s_or_b64 exec, exec, s[20:21]
	v_cmp_gt_u32_e32 vcc, s22, v14
	s_and_saveexec_b64 s[20:21], vcc
	s_cbranch_execz .LBB1222_668
.LBB1222_617:                           ;   in Loop: Header=BB1222_606 Depth=2
	global_load_dwordx2 v[48:49], v123, s[18:19]
	s_or_b64 exec, exec, s[20:21]
	v_cmp_gt_u32_e32 vcc, s22, v16
	s_and_saveexec_b64 s[20:21], vcc
	s_cbranch_execnz .LBB1222_669
.LBB1222_618:                           ;   in Loop: Header=BB1222_606 Depth=2
	s_or_b64 exec, exec, s[20:21]
	v_cmp_gt_u32_e32 vcc, s22, v18
	s_and_saveexec_b64 s[20:21], vcc
	s_cbranch_execz .LBB1222_670
.LBB1222_619:                           ;   in Loop: Header=BB1222_606 Depth=2
	global_load_dwordx2 v[44:45], v125, s[18:19]
	s_or_b64 exec, exec, s[20:21]
	v_cmp_gt_u32_e32 vcc, s22, v20
	s_and_saveexec_b64 s[20:21], vcc
	s_cbranch_execnz .LBB1222_671
.LBB1222_620:                           ;   in Loop: Header=BB1222_606 Depth=2
	s_or_b64 exec, exec, s[20:21]
	v_cmp_gt_u32_e32 vcc, s22, v22
	s_and_saveexec_b64 s[20:21], vcc
	s_cbranch_execz .LBB1222_672
.LBB1222_621:                           ;   in Loop: Header=BB1222_606 Depth=2
	global_load_dwordx2 v[40:41], v127, s[18:19]
	s_or_b64 exec, exec, s[20:21]
	v_cmp_gt_u32_e32 vcc, s22, v24
	s_and_saveexec_b64 s[20:21], vcc
	s_cbranch_execnz .LBB1222_673
.LBB1222_622:                           ;   in Loop: Header=BB1222_606 Depth=2
	s_or_b64 exec, exec, s[20:21]
	v_cmp_gt_u32_e32 vcc, s22, v26
	s_and_saveexec_b64 s[20:21], vcc
	s_cbranch_execz .LBB1222_674
.LBB1222_623:                           ;   in Loop: Header=BB1222_606 Depth=2
	global_load_dwordx2 v[36:37], v129, s[18:19]
	s_or_b64 exec, exec, s[20:21]
	v_cmp_gt_u32_e32 vcc, s22, v28
	s_and_saveexec_b64 s[20:21], vcc
	s_cbranch_execnz .LBB1222_675
.LBB1222_624:                           ;   in Loop: Header=BB1222_606 Depth=2
	s_or_b64 exec, exec, s[20:21]
	v_cmp_gt_u32_e32 vcc, s22, v30
	s_and_saveexec_b64 s[20:21], vcc
	s_cbranch_execz .LBB1222_626
.LBB1222_625:                           ;   in Loop: Header=BB1222_606 Depth=2
	global_load_dwordx2 v[0:1], v131, s[18:19]
.LBB1222_626:                           ;   in Loop: Header=BB1222_606 Depth=2
	s_or_b64 exec, exec, s[20:21]
	v_cmp_gt_u32_e32 vcc, s22, v32
                                        ; implicit-def: $sgpr24
                                        ; implicit-def: $vgpr64_vgpr65
	s_and_saveexec_b64 s[20:21], vcc
; %bb.627:                              ;   in Loop: Header=BB1222_606 Depth=2
	v_mov_b32_e32 v5, s19
	v_add_co_u32_e32 v64, vcc, s18, v132
	s_sub_i32 s24, s94, s88
	v_addc_co_u32_e32 v65, vcc, 0, v5, vcc
	s_or_b64 s[16:17], s[16:17], exec
                                        ; implicit-def: $vgpr62_vgpr63
; %bb.628:                              ;   in Loop: Header=BB1222_606 Depth=2
	s_or_b64 exec, exec, s[20:21]
	s_waitcnt vmcnt(0)
	v_pk_mov_b32 v[66:67], v[60:61], v[60:61] op_sel:[0,1]
	v_pk_mov_b32 v[68:69], v[58:59], v[58:59] op_sel:[0,1]
	;; [unrolled: 1-line block ×15, first 2 shown]
	v_mov_b32_e32 v5, s22
	s_and_saveexec_b64 s[18:19], s[16:17]
	s_cbranch_execz .LBB1222_630
.LBB1222_629:                           ;   in Loop: Header=BB1222_606 Depth=2
	global_load_dwordx2 v[62:63], v[64:65], off
	v_mov_b32_e32 v5, s24
	s_waitcnt vmcnt(1)
	v_pk_mov_b32 v[0:1], v[94:95], v[94:95] op_sel:[0,1]
	v_pk_mov_b32 v[34:35], v[92:93], v[92:93] op_sel:[0,1]
	;; [unrolled: 1-line block ×15, first 2 shown]
.LBB1222_630:                           ;   in Loop: Header=BB1222_606 Depth=2
	s_or_b64 exec, exec, s[18:19]
	v_cmp_lt_u32_e32 vcc, v2, v5
	s_and_saveexec_b64 s[16:17], vcc
	s_cbranch_execz .LBB1222_646
; %bb.631:                              ;   in Loop: Header=BB1222_606 Depth=2
	v_cmp_lt_i64_e32 vcc, -1, v[60:61]
	v_cndmask_b32_e32 v64, -1, v133, vcc
	s_waitcnt vmcnt(14)
	v_ashrrev_i32_e32 v66, 31, v61
	v_xor_b32_e32 v65, v64, v61
	v_xor_b32_e32 v64, v66, v60
	v_cmp_ne_u64_e32 vcc, s[78:79], v[64:65]
	v_cndmask_b32_e32 v65, v133, v65, vcc
	v_cndmask_b32_e32 v64, 0, v64, vcc
	v_lshrrev_b64 v[64:65], s84, v[64:65]
	v_and_b32_e32 v64, s68, v64
	v_lshl_or_b32 v64, v64, 4, v134
	ds_add_u32 v64, v117
	s_or_b64 exec, exec, s[16:17]
	v_cmp_lt_u32_e32 vcc, v7, v5
	s_and_saveexec_b64 s[16:17], vcc
	s_cbranch_execnz .LBB1222_647
.LBB1222_632:                           ;   in Loop: Header=BB1222_606 Depth=2
	s_or_b64 exec, exec, s[16:17]
	v_cmp_lt_u32_e32 vcc, v6, v5
	s_and_saveexec_b64 s[16:17], vcc
	s_cbranch_execz .LBB1222_648
.LBB1222_633:                           ;   in Loop: Header=BB1222_606 Depth=2
	v_cmp_lt_i64_e32 vcc, -1, v[56:57]
	v_cndmask_b32_e32 v64, -1, v133, vcc
	s_waitcnt vmcnt(14)
	v_ashrrev_i32_e32 v66, 31, v57
	v_xor_b32_e32 v65, v64, v57
	v_xor_b32_e32 v64, v66, v56
	v_cmp_ne_u64_e32 vcc, s[78:79], v[64:65]
	v_cndmask_b32_e32 v65, v133, v65, vcc
	v_cndmask_b32_e32 v64, 0, v64, vcc
	v_lshrrev_b64 v[64:65], s84, v[64:65]
	v_and_b32_e32 v64, s68, v64
	v_lshl_or_b32 v64, v64, 4, v134
	ds_add_u32 v64, v117
	s_or_b64 exec, exec, s[16:17]
	v_cmp_lt_u32_e32 vcc, v8, v5
	s_and_saveexec_b64 s[16:17], vcc
	s_cbranch_execnz .LBB1222_649
.LBB1222_634:                           ;   in Loop: Header=BB1222_606 Depth=2
	s_or_b64 exec, exec, s[16:17]
	v_cmp_lt_u32_e32 vcc, v10, v5
	s_and_saveexec_b64 s[16:17], vcc
	s_cbranch_execz .LBB1222_650
.LBB1222_635:                           ;   in Loop: Header=BB1222_606 Depth=2
	v_cmp_lt_i64_e32 vcc, -1, v[52:53]
	v_cndmask_b32_e32 v64, -1, v133, vcc
	s_waitcnt vmcnt(14)
	v_ashrrev_i32_e32 v66, 31, v53
	v_xor_b32_e32 v65, v64, v53
	v_xor_b32_e32 v64, v66, v52
	v_cmp_ne_u64_e32 vcc, s[78:79], v[64:65]
	v_cndmask_b32_e32 v65, v133, v65, vcc
	v_cndmask_b32_e32 v64, 0, v64, vcc
	v_lshrrev_b64 v[64:65], s84, v[64:65]
	v_and_b32_e32 v64, s68, v64
	v_lshl_or_b32 v64, v64, 4, v134
	ds_add_u32 v64, v117
	s_or_b64 exec, exec, s[16:17]
	v_cmp_lt_u32_e32 vcc, v12, v5
	s_and_saveexec_b64 s[16:17], vcc
	s_cbranch_execnz .LBB1222_651
.LBB1222_636:                           ;   in Loop: Header=BB1222_606 Depth=2
	s_or_b64 exec, exec, s[16:17]
	v_cmp_lt_u32_e32 vcc, v14, v5
	s_and_saveexec_b64 s[16:17], vcc
	s_cbranch_execz .LBB1222_652
.LBB1222_637:                           ;   in Loop: Header=BB1222_606 Depth=2
	v_cmp_lt_i64_e32 vcc, -1, v[48:49]
	v_cndmask_b32_e32 v64, -1, v133, vcc
	s_waitcnt vmcnt(14)
	v_ashrrev_i32_e32 v66, 31, v49
	v_xor_b32_e32 v65, v64, v49
	v_xor_b32_e32 v64, v66, v48
	v_cmp_ne_u64_e32 vcc, s[78:79], v[64:65]
	v_cndmask_b32_e32 v65, v133, v65, vcc
	v_cndmask_b32_e32 v64, 0, v64, vcc
	v_lshrrev_b64 v[64:65], s84, v[64:65]
	v_and_b32_e32 v64, s68, v64
	v_lshl_or_b32 v64, v64, 4, v134
	ds_add_u32 v64, v117
	s_or_b64 exec, exec, s[16:17]
	v_cmp_lt_u32_e32 vcc, v16, v5
	s_and_saveexec_b64 s[16:17], vcc
	s_cbranch_execnz .LBB1222_653
.LBB1222_638:                           ;   in Loop: Header=BB1222_606 Depth=2
	s_or_b64 exec, exec, s[16:17]
	v_cmp_lt_u32_e32 vcc, v18, v5
	s_and_saveexec_b64 s[16:17], vcc
	s_cbranch_execz .LBB1222_654
.LBB1222_639:                           ;   in Loop: Header=BB1222_606 Depth=2
	v_cmp_lt_i64_e32 vcc, -1, v[44:45]
	v_cndmask_b32_e32 v64, -1, v133, vcc
	s_waitcnt vmcnt(14)
	v_ashrrev_i32_e32 v66, 31, v45
	v_xor_b32_e32 v65, v64, v45
	v_xor_b32_e32 v64, v66, v44
	v_cmp_ne_u64_e32 vcc, s[78:79], v[64:65]
	v_cndmask_b32_e32 v65, v133, v65, vcc
	v_cndmask_b32_e32 v64, 0, v64, vcc
	v_lshrrev_b64 v[64:65], s84, v[64:65]
	v_and_b32_e32 v64, s68, v64
	v_lshl_or_b32 v64, v64, 4, v134
	ds_add_u32 v64, v117
	s_or_b64 exec, exec, s[16:17]
	v_cmp_lt_u32_e32 vcc, v20, v5
	s_and_saveexec_b64 s[16:17], vcc
	s_cbranch_execnz .LBB1222_655
.LBB1222_640:                           ;   in Loop: Header=BB1222_606 Depth=2
	s_or_b64 exec, exec, s[16:17]
	v_cmp_lt_u32_e32 vcc, v22, v5
	s_and_saveexec_b64 s[16:17], vcc
	s_cbranch_execz .LBB1222_656
.LBB1222_641:                           ;   in Loop: Header=BB1222_606 Depth=2
	v_cmp_lt_i64_e32 vcc, -1, v[40:41]
	v_cndmask_b32_e32 v64, -1, v133, vcc
	s_waitcnt vmcnt(14)
	v_ashrrev_i32_e32 v66, 31, v41
	v_xor_b32_e32 v65, v64, v41
	v_xor_b32_e32 v64, v66, v40
	v_cmp_ne_u64_e32 vcc, s[78:79], v[64:65]
	v_cndmask_b32_e32 v65, v133, v65, vcc
	v_cndmask_b32_e32 v64, 0, v64, vcc
	v_lshrrev_b64 v[64:65], s84, v[64:65]
	v_and_b32_e32 v64, s68, v64
	v_lshl_or_b32 v64, v64, 4, v134
	ds_add_u32 v64, v117
	s_or_b64 exec, exec, s[16:17]
	v_cmp_lt_u32_e32 vcc, v24, v5
	s_and_saveexec_b64 s[16:17], vcc
	s_cbranch_execnz .LBB1222_657
.LBB1222_642:                           ;   in Loop: Header=BB1222_606 Depth=2
	s_or_b64 exec, exec, s[16:17]
	v_cmp_lt_u32_e32 vcc, v26, v5
	s_and_saveexec_b64 s[16:17], vcc
	s_cbranch_execz .LBB1222_658
.LBB1222_643:                           ;   in Loop: Header=BB1222_606 Depth=2
	v_cmp_lt_i64_e32 vcc, -1, v[36:37]
	v_cndmask_b32_e32 v64, -1, v133, vcc
	s_waitcnt vmcnt(14)
	v_ashrrev_i32_e32 v66, 31, v37
	v_xor_b32_e32 v65, v64, v37
	v_xor_b32_e32 v64, v66, v36
	v_cmp_ne_u64_e32 vcc, s[78:79], v[64:65]
	v_cndmask_b32_e32 v65, v133, v65, vcc
	v_cndmask_b32_e32 v64, 0, v64, vcc
	v_lshrrev_b64 v[64:65], s84, v[64:65]
	v_and_b32_e32 v64, s68, v64
	v_lshl_or_b32 v64, v64, 4, v134
	ds_add_u32 v64, v117
	s_or_b64 exec, exec, s[16:17]
	v_cmp_lt_u32_e32 vcc, v28, v5
	s_and_saveexec_b64 s[16:17], vcc
	s_cbranch_execnz .LBB1222_659
.LBB1222_644:                           ;   in Loop: Header=BB1222_606 Depth=2
	s_or_b64 exec, exec, s[16:17]
	v_cmp_lt_u32_e32 vcc, v30, v5
	s_and_saveexec_b64 s[16:17], vcc
	s_cbranch_execz .LBB1222_660
.LBB1222_645:                           ;   in Loop: Header=BB1222_606 Depth=2
	v_cmp_lt_i64_e32 vcc, -1, v[0:1]
	v_cndmask_b32_e32 v64, -1, v133, vcc
	s_waitcnt vmcnt(14)
	v_ashrrev_i32_e32 v66, 31, v1
	v_xor_b32_e32 v65, v64, v1
	v_xor_b32_e32 v64, v66, v0
	v_cmp_ne_u64_e32 vcc, s[78:79], v[64:65]
	v_cndmask_b32_e32 v65, v133, v65, vcc
	v_cndmask_b32_e32 v64, 0, v64, vcc
	v_lshrrev_b64 v[64:65], s84, v[64:65]
	v_and_b32_e32 v64, s68, v64
	v_lshl_or_b32 v64, v64, 4, v134
	ds_add_u32 v64, v117
	s_or_b64 exec, exec, s[16:17]
	v_cmp_lt_u32_e32 vcc, v32, v5
	s_and_saveexec_b64 s[16:17], vcc
	s_cbranch_execz .LBB1222_605
	s_branch .LBB1222_661
.LBB1222_646:                           ;   in Loop: Header=BB1222_606 Depth=2
	s_or_b64 exec, exec, s[16:17]
	v_cmp_lt_u32_e32 vcc, v7, v5
	s_and_saveexec_b64 s[16:17], vcc
	s_cbranch_execz .LBB1222_632
.LBB1222_647:                           ;   in Loop: Header=BB1222_606 Depth=2
	v_cmp_lt_i64_e32 vcc, -1, v[58:59]
	v_cndmask_b32_e32 v64, -1, v133, vcc
	s_waitcnt vmcnt(14)
	v_ashrrev_i32_e32 v66, 31, v59
	v_xor_b32_e32 v65, v64, v59
	v_xor_b32_e32 v64, v66, v58
	v_cmp_ne_u64_e32 vcc, s[78:79], v[64:65]
	v_cndmask_b32_e32 v65, v133, v65, vcc
	v_cndmask_b32_e32 v64, 0, v64, vcc
	v_lshrrev_b64 v[64:65], s84, v[64:65]
	v_and_b32_e32 v64, s68, v64
	v_lshl_or_b32 v64, v64, 4, v134
	ds_add_u32 v64, v117
	s_or_b64 exec, exec, s[16:17]
	v_cmp_lt_u32_e32 vcc, v6, v5
	s_and_saveexec_b64 s[16:17], vcc
	s_cbranch_execnz .LBB1222_633
.LBB1222_648:                           ;   in Loop: Header=BB1222_606 Depth=2
	s_or_b64 exec, exec, s[16:17]
	v_cmp_lt_u32_e32 vcc, v8, v5
	s_and_saveexec_b64 s[16:17], vcc
	s_cbranch_execz .LBB1222_634
.LBB1222_649:                           ;   in Loop: Header=BB1222_606 Depth=2
	v_cmp_lt_i64_e32 vcc, -1, v[54:55]
	v_cndmask_b32_e32 v64, -1, v133, vcc
	s_waitcnt vmcnt(14)
	v_ashrrev_i32_e32 v66, 31, v55
	v_xor_b32_e32 v65, v64, v55
	v_xor_b32_e32 v64, v66, v54
	v_cmp_ne_u64_e32 vcc, s[78:79], v[64:65]
	v_cndmask_b32_e32 v65, v133, v65, vcc
	v_cndmask_b32_e32 v64, 0, v64, vcc
	v_lshrrev_b64 v[64:65], s84, v[64:65]
	v_and_b32_e32 v64, s68, v64
	v_lshl_or_b32 v64, v64, 4, v134
	ds_add_u32 v64, v117
	s_or_b64 exec, exec, s[16:17]
	v_cmp_lt_u32_e32 vcc, v10, v5
	s_and_saveexec_b64 s[16:17], vcc
	s_cbranch_execnz .LBB1222_635
.LBB1222_650:                           ;   in Loop: Header=BB1222_606 Depth=2
	s_or_b64 exec, exec, s[16:17]
	v_cmp_lt_u32_e32 vcc, v12, v5
	s_and_saveexec_b64 s[16:17], vcc
	s_cbranch_execz .LBB1222_636
.LBB1222_651:                           ;   in Loop: Header=BB1222_606 Depth=2
	v_cmp_lt_i64_e32 vcc, -1, v[50:51]
	v_cndmask_b32_e32 v64, -1, v133, vcc
	s_waitcnt vmcnt(14)
	v_ashrrev_i32_e32 v66, 31, v51
	v_xor_b32_e32 v65, v64, v51
	v_xor_b32_e32 v64, v66, v50
	v_cmp_ne_u64_e32 vcc, s[78:79], v[64:65]
	v_cndmask_b32_e32 v65, v133, v65, vcc
	v_cndmask_b32_e32 v64, 0, v64, vcc
	v_lshrrev_b64 v[64:65], s84, v[64:65]
	v_and_b32_e32 v64, s68, v64
	v_lshl_or_b32 v64, v64, 4, v134
	ds_add_u32 v64, v117
	s_or_b64 exec, exec, s[16:17]
	v_cmp_lt_u32_e32 vcc, v14, v5
	s_and_saveexec_b64 s[16:17], vcc
	s_cbranch_execnz .LBB1222_637
.LBB1222_652:                           ;   in Loop: Header=BB1222_606 Depth=2
	s_or_b64 exec, exec, s[16:17]
	v_cmp_lt_u32_e32 vcc, v16, v5
	s_and_saveexec_b64 s[16:17], vcc
	s_cbranch_execz .LBB1222_638
.LBB1222_653:                           ;   in Loop: Header=BB1222_606 Depth=2
	v_cmp_lt_i64_e32 vcc, -1, v[46:47]
	v_cndmask_b32_e32 v64, -1, v133, vcc
	s_waitcnt vmcnt(14)
	v_ashrrev_i32_e32 v66, 31, v47
	v_xor_b32_e32 v65, v64, v47
	v_xor_b32_e32 v64, v66, v46
	v_cmp_ne_u64_e32 vcc, s[78:79], v[64:65]
	v_cndmask_b32_e32 v65, v133, v65, vcc
	v_cndmask_b32_e32 v64, 0, v64, vcc
	v_lshrrev_b64 v[64:65], s84, v[64:65]
	v_and_b32_e32 v64, s68, v64
	v_lshl_or_b32 v64, v64, 4, v134
	ds_add_u32 v64, v117
	s_or_b64 exec, exec, s[16:17]
	v_cmp_lt_u32_e32 vcc, v18, v5
	s_and_saveexec_b64 s[16:17], vcc
	s_cbranch_execnz .LBB1222_639
.LBB1222_654:                           ;   in Loop: Header=BB1222_606 Depth=2
	s_or_b64 exec, exec, s[16:17]
	v_cmp_lt_u32_e32 vcc, v20, v5
	s_and_saveexec_b64 s[16:17], vcc
	s_cbranch_execz .LBB1222_640
.LBB1222_655:                           ;   in Loop: Header=BB1222_606 Depth=2
	v_cmp_lt_i64_e32 vcc, -1, v[42:43]
	v_cndmask_b32_e32 v64, -1, v133, vcc
	s_waitcnt vmcnt(14)
	v_ashrrev_i32_e32 v66, 31, v43
	v_xor_b32_e32 v65, v64, v43
	v_xor_b32_e32 v64, v66, v42
	v_cmp_ne_u64_e32 vcc, s[78:79], v[64:65]
	v_cndmask_b32_e32 v65, v133, v65, vcc
	v_cndmask_b32_e32 v64, 0, v64, vcc
	v_lshrrev_b64 v[64:65], s84, v[64:65]
	v_and_b32_e32 v64, s68, v64
	v_lshl_or_b32 v64, v64, 4, v134
	ds_add_u32 v64, v117
	s_or_b64 exec, exec, s[16:17]
	v_cmp_lt_u32_e32 vcc, v22, v5
	s_and_saveexec_b64 s[16:17], vcc
	s_cbranch_execnz .LBB1222_641
.LBB1222_656:                           ;   in Loop: Header=BB1222_606 Depth=2
	s_or_b64 exec, exec, s[16:17]
	v_cmp_lt_u32_e32 vcc, v24, v5
	s_and_saveexec_b64 s[16:17], vcc
	s_cbranch_execz .LBB1222_642
.LBB1222_657:                           ;   in Loop: Header=BB1222_606 Depth=2
	v_cmp_lt_i64_e32 vcc, -1, v[38:39]
	v_cndmask_b32_e32 v64, -1, v133, vcc
	s_waitcnt vmcnt(14)
	v_ashrrev_i32_e32 v66, 31, v39
	v_xor_b32_e32 v65, v64, v39
	v_xor_b32_e32 v64, v66, v38
	v_cmp_ne_u64_e32 vcc, s[78:79], v[64:65]
	v_cndmask_b32_e32 v65, v133, v65, vcc
	v_cndmask_b32_e32 v64, 0, v64, vcc
	v_lshrrev_b64 v[64:65], s84, v[64:65]
	v_and_b32_e32 v64, s68, v64
	v_lshl_or_b32 v64, v64, 4, v134
	ds_add_u32 v64, v117
	s_or_b64 exec, exec, s[16:17]
	v_cmp_lt_u32_e32 vcc, v26, v5
	s_and_saveexec_b64 s[16:17], vcc
	s_cbranch_execnz .LBB1222_643
.LBB1222_658:                           ;   in Loop: Header=BB1222_606 Depth=2
	s_or_b64 exec, exec, s[16:17]
	v_cmp_lt_u32_e32 vcc, v28, v5
	s_and_saveexec_b64 s[16:17], vcc
	s_cbranch_execz .LBB1222_644
.LBB1222_659:                           ;   in Loop: Header=BB1222_606 Depth=2
	v_cmp_lt_i64_e32 vcc, -1, v[34:35]
	v_cndmask_b32_e32 v64, -1, v133, vcc
	s_waitcnt vmcnt(14)
	v_ashrrev_i32_e32 v66, 31, v35
	v_xor_b32_e32 v65, v64, v35
	v_xor_b32_e32 v64, v66, v34
	v_cmp_ne_u64_e32 vcc, s[78:79], v[64:65]
	v_cndmask_b32_e32 v65, v133, v65, vcc
	v_cndmask_b32_e32 v64, 0, v64, vcc
	v_lshrrev_b64 v[64:65], s84, v[64:65]
	v_and_b32_e32 v64, s68, v64
	v_lshl_or_b32 v64, v64, 4, v134
	ds_add_u32 v64, v117
	s_or_b64 exec, exec, s[16:17]
	v_cmp_lt_u32_e32 vcc, v30, v5
	s_and_saveexec_b64 s[16:17], vcc
	s_cbranch_execnz .LBB1222_645
.LBB1222_660:                           ;   in Loop: Header=BB1222_606 Depth=2
	s_or_b64 exec, exec, s[16:17]
	v_cmp_lt_u32_e32 vcc, v32, v5
	s_and_saveexec_b64 s[16:17], vcc
	s_cbranch_execz .LBB1222_605
.LBB1222_661:                           ;   in Loop: Header=BB1222_606 Depth=2
	s_waitcnt vmcnt(0)
	v_cmp_lt_i64_e32 vcc, -1, v[62:63]
	v_cndmask_b32_e32 v5, -1, v133, vcc
	v_ashrrev_i32_e32 v64, 31, v63
	v_xor_b32_e32 v65, v5, v63
	v_xor_b32_e32 v64, v64, v62
	v_cmp_ne_u64_e32 vcc, s[78:79], v[64:65]
	v_cndmask_b32_e32 v65, v133, v65, vcc
	v_cndmask_b32_e32 v64, 0, v64, vcc
	v_lshrrev_b64 v[64:65], s84, v[64:65]
	v_and_b32_e32 v5, s68, v64
	v_lshl_or_b32 v5, v5, 4, v134
	ds_add_u32 v5, v117
	s_branch .LBB1222_605
.LBB1222_662:                           ;   in Loop: Header=BB1222_606 Depth=2
	s_or_b64 exec, exec, s[20:21]
	v_cmp_gt_u32_e32 vcc, s22, v7
	s_and_saveexec_b64 s[20:21], vcc
	s_cbranch_execz .LBB1222_612
.LBB1222_663:                           ;   in Loop: Header=BB1222_606 Depth=2
	global_load_dwordx2 v[58:59], v118, s[18:19] offset:2048
	s_or_b64 exec, exec, s[20:21]
	v_cmp_gt_u32_e32 vcc, s22, v6
	s_and_saveexec_b64 s[20:21], vcc
	s_cbranch_execnz .LBB1222_613
.LBB1222_664:                           ;   in Loop: Header=BB1222_606 Depth=2
	s_or_b64 exec, exec, s[20:21]
	v_cmp_gt_u32_e32 vcc, s22, v8
	s_and_saveexec_b64 s[20:21], vcc
	s_cbranch_execz .LBB1222_614
.LBB1222_665:                           ;   in Loop: Header=BB1222_606 Depth=2
	global_load_dwordx2 v[54:55], v120, s[18:19]
	s_or_b64 exec, exec, s[20:21]
	v_cmp_gt_u32_e32 vcc, s22, v10
	s_and_saveexec_b64 s[20:21], vcc
	s_cbranch_execnz .LBB1222_615
.LBB1222_666:                           ;   in Loop: Header=BB1222_606 Depth=2
	s_or_b64 exec, exec, s[20:21]
	v_cmp_gt_u32_e32 vcc, s22, v12
	s_and_saveexec_b64 s[20:21], vcc
	s_cbranch_execz .LBB1222_616
.LBB1222_667:                           ;   in Loop: Header=BB1222_606 Depth=2
	global_load_dwordx2 v[50:51], v122, s[18:19]
	s_or_b64 exec, exec, s[20:21]
	v_cmp_gt_u32_e32 vcc, s22, v14
	s_and_saveexec_b64 s[20:21], vcc
	s_cbranch_execnz .LBB1222_617
.LBB1222_668:                           ;   in Loop: Header=BB1222_606 Depth=2
	s_or_b64 exec, exec, s[20:21]
	v_cmp_gt_u32_e32 vcc, s22, v16
	s_and_saveexec_b64 s[20:21], vcc
	s_cbranch_execz .LBB1222_618
.LBB1222_669:                           ;   in Loop: Header=BB1222_606 Depth=2
	global_load_dwordx2 v[46:47], v124, s[18:19]
	s_or_b64 exec, exec, s[20:21]
	v_cmp_gt_u32_e32 vcc, s22, v18
	s_and_saveexec_b64 s[20:21], vcc
	s_cbranch_execnz .LBB1222_619
.LBB1222_670:                           ;   in Loop: Header=BB1222_606 Depth=2
	s_or_b64 exec, exec, s[20:21]
	v_cmp_gt_u32_e32 vcc, s22, v20
	s_and_saveexec_b64 s[20:21], vcc
	s_cbranch_execz .LBB1222_620
.LBB1222_671:                           ;   in Loop: Header=BB1222_606 Depth=2
	global_load_dwordx2 v[42:43], v126, s[18:19]
	s_or_b64 exec, exec, s[20:21]
	v_cmp_gt_u32_e32 vcc, s22, v22
	s_and_saveexec_b64 s[20:21], vcc
	s_cbranch_execnz .LBB1222_621
.LBB1222_672:                           ;   in Loop: Header=BB1222_606 Depth=2
	s_or_b64 exec, exec, s[20:21]
	v_cmp_gt_u32_e32 vcc, s22, v24
	s_and_saveexec_b64 s[20:21], vcc
	s_cbranch_execz .LBB1222_622
.LBB1222_673:                           ;   in Loop: Header=BB1222_606 Depth=2
	global_load_dwordx2 v[38:39], v128, s[18:19]
	s_or_b64 exec, exec, s[20:21]
	v_cmp_gt_u32_e32 vcc, s22, v26
	s_and_saveexec_b64 s[20:21], vcc
	s_cbranch_execnz .LBB1222_623
.LBB1222_674:                           ;   in Loop: Header=BB1222_606 Depth=2
	s_or_b64 exec, exec, s[20:21]
	v_cmp_gt_u32_e32 vcc, s22, v28
	s_and_saveexec_b64 s[20:21], vcc
	s_cbranch_execz .LBB1222_624
.LBB1222_675:                           ;   in Loop: Header=BB1222_606 Depth=2
	global_load_dwordx2 v[34:35], v130, s[18:19]
	s_or_b64 exec, exec, s[20:21]
	v_cmp_gt_u32_e32 vcc, s22, v30
	s_and_saveexec_b64 s[20:21], vcc
	s_cbranch_execz .LBB1222_626
	s_branch .LBB1222_625
.LBB1222_676:                           ;   in Loop: Header=BB1222_12 Depth=1
	v_mov_b32_e32 v0, 0
	s_waitcnt lgkmcnt(0)
	s_barrier
	s_and_saveexec_b64 s[16:17], s[4:5]
	s_cbranch_execz .LBB1222_678
; %bb.677:                              ;   in Loop: Header=BB1222_12 Depth=1
	ds_read2_b64 v[34:37], v13 offset1:1
	s_waitcnt lgkmcnt(0)
	v_add_u32_e32 v0, v35, v34
	v_add3_u32 v0, v0, v36, v37
.LBB1222_678:                           ;   in Loop: Header=BB1222_12 Depth=1
	s_or_b64 exec, exec, s[16:17]
	s_nop 0
	v_mov_b32_dpp v1, v0 row_shr:1 row_mask:0xf bank_mask:0xf
	v_cmp_eq_u32_e64 s[16:17], 0, v136
	v_cndmask_b32_e64 v1, v1, 0, s[16:17]
	v_add_u32_e32 v0, v1, v0
	v_cmp_lt_u32_e64 s[18:19], 1, v136
	v_cmp_lt_u32_e64 s[20:21], 3, v136
	v_mov_b32_dpp v1, v0 row_shr:2 row_mask:0xf bank_mask:0xf
	v_cndmask_b32_e64 v1, 0, v1, s[18:19]
	v_add_u32_e32 v0, v0, v1
	v_cmp_lt_u32_e64 s[22:23], 7, v136
	v_cmp_lt_u32_e64 s[26:27], 31, v135
	v_mov_b32_dpp v1, v0 row_shr:4 row_mask:0xf bank_mask:0xf
	v_cndmask_b32_e64 v1, 0, v1, s[20:21]
	v_add_u32_e32 v0, v0, v1
	v_cmp_eq_u32_e64 s[24:25], 0, v138
	s_nop 0
	v_mov_b32_dpp v1, v0 row_shr:8 row_mask:0xf bank_mask:0xf
	v_cndmask_b32_e64 v1, 0, v1, s[22:23]
	v_add_u32_e32 v0, v0, v1
	s_nop 1
	v_mov_b32_dpp v1, v0 row_bcast:15 row_mask:0xf bank_mask:0xf
	v_and_b32_e32 v1, v137, v1
	v_add_u32_e32 v0, v0, v1
	s_nop 1
	v_mov_b32_dpp v1, v0 row_bcast:31 row_mask:0xf bank_mask:0xf
	v_cndmask_b32_e64 v1, 0, v1, s[26:27]
	v_add_u32_e32 v0, v0, v1
	s_and_saveexec_b64 s[28:29], s[6:7]
	v_readlane_b32 s38, v236, 2
	s_cbranch_execz .LBB1222_680
; %bb.679:                              ;   in Loop: Header=BB1222_12 Depth=1
	ds_write_b32 v17, v0
.LBB1222_680:                           ;   in Loop: Header=BB1222_12 Depth=1
	s_or_b64 exec, exec, s[28:29]
	s_waitcnt lgkmcnt(0)
	s_barrier
	s_and_saveexec_b64 s[28:29], s[8:9]
	s_cbranch_execz .LBB1222_682
; %bb.681:                              ;   in Loop: Header=BB1222_12 Depth=1
	ds_read_b32 v1, v19
	v_cmp_ne_u32_e32 vcc, 0, v139
	s_waitcnt lgkmcnt(0)
	v_mov_b32_dpp v5, v1 row_shr:1 row_mask:0xf bank_mask:0xf
	v_cndmask_b32_e32 v5, 0, v5, vcc
	v_add_u32_e32 v1, v5, v1
	v_cmp_lt_u32_e32 vcc, 1, v139
	s_nop 0
	v_mov_b32_dpp v5, v1 row_shr:2 row_mask:0xf bank_mask:0xf
	v_cndmask_b32_e32 v5, 0, v5, vcc
	v_add_u32_e32 v1, v1, v5
	ds_write_b32 v19, v1
.LBB1222_682:                           ;   in Loop: Header=BB1222_12 Depth=1
	s_or_b64 exec, exec, s[28:29]
	v_mov_b32_e32 v1, 0
	s_waitcnt lgkmcnt(0)
	s_barrier
	s_and_saveexec_b64 s[28:29], s[10:11]
	s_cbranch_execz .LBB1222_684
; %bb.683:                              ;   in Loop: Header=BB1222_12 Depth=1
	ds_read_b32 v1, v21
.LBB1222_684:                           ;   in Loop: Header=BB1222_12 Depth=1
	s_or_b64 exec, exec, s[28:29]
	v_cmp_lt_i32_e32 vcc, v140, v141
	v_cndmask_b32_e32 v5, v140, v135, vcc
	s_waitcnt lgkmcnt(0)
	v_add_u32_e32 v0, v1, v0
	v_lshlrev_b32_e32 v159, 2, v5
	ds_bpermute_b32 v0, v159, v0
	v_cmp_eq_u32_e64 s[28:29], 0, v135
	s_waitcnt lgkmcnt(0)
	s_barrier
	s_and_saveexec_b64 s[30:31], s[4:5]
	s_cbranch_execz .LBB1222_686
; %bb.685:                              ;   in Loop: Header=BB1222_12 Depth=1
	v_cndmask_b32_e64 v0, v0, v1, s[28:29]
	v_add_u32_e32 v0, s38, v0
	ds_write_b32 v3, v0
.LBB1222_686:                           ;   in Loop: Header=BB1222_12 Depth=1
	s_or_b64 exec, exec, s[30:31]
	s_load_dwordx2 s[30:31], s[90:91], 0x0
	v_readlane_b32 s34, v236, 1
	v_add_co_u32_e32 v160, vcc, v113, v142
	v_addc_co_u32_e32 v161, vcc, 0, v114, vcc
	s_waitcnt lgkmcnt(0)
	s_cmp_lt_u32 s34, s30
	v_readlane_b32 s30, v236, 0
	s_cselect_b32 s34, 12, 18
	s_cmp_lt_u32 s30, s31
	s_cselect_b32 s30, 14, 20
	s_add_u32 s30, s90, s30
	s_addc_u32 s31, s91, 0
	s_add_u32 s34, s90, s34
	global_load_ushort v5, v4, s[30:31]
	s_addc_u32 s35, s91, 0
	global_load_ushort v64, v4, s[34:35]
	v_add_co_u32_e32 v162, vcc, v115, v142
	v_addc_co_u32_e32 v163, vcc, 0, v116, vcc
	v_add_co_u32_e32 v170, vcc, 0x1e00, v162
	v_cmp_eq_u32_e64 s[30:31], 0, v139
	v_cmp_lt_u32_e64 s[34:35], 1, v139
	s_mov_b32 s69, s85
	v_addc_co_u32_e32 v173, vcc, 0, v163, vcc
	s_mov_b32 s88, s38
                                        ; implicit-def: $vgpr0_vgpr1
                                        ; implicit-def: $vgpr34_vgpr35
                                        ; implicit-def: $vgpr36_vgpr37
                                        ; implicit-def: $vgpr40_vgpr41
                                        ; implicit-def: $vgpr44_vgpr45
                                        ; implicit-def: $vgpr48_vgpr49
                                        ; implicit-def: $vgpr52_vgpr53
                                        ; implicit-def: $vgpr56_vgpr57
                                        ; implicit-def: $vgpr38_vgpr39
                                        ; implicit-def: $vgpr42_vgpr43
                                        ; implicit-def: $vgpr46_vgpr47
                                        ; implicit-def: $vgpr50_vgpr51
                                        ; implicit-def: $vgpr54_vgpr55
                                        ; implicit-def: $vgpr58_vgpr59
                                        ; implicit-def: $vgpr60_vgpr61
                                        ; implicit-def: $vgpr62_vgpr63
                                        ; implicit-def: $vgpr164
                                        ; implicit-def: $vgpr165
                                        ; implicit-def: $vgpr166
                                        ; implicit-def: $vgpr167
                                        ; implicit-def: $vgpr168
                                        ; implicit-def: $vgpr169
                                        ; implicit-def: $vgpr171
                                        ; implicit-def: $vgpr172
                                        ; implicit-def: $vgpr174
                                        ; implicit-def: $vgpr175
                                        ; implicit-def: $vgpr176
                                        ; implicit-def: $vgpr178
                                        ; implicit-def: $vgpr179
                                        ; implicit-def: $vgpr180
                                        ; implicit-def: $vgpr181
                                        ; implicit-def: $vgpr182
	s_waitcnt vmcnt(1)
	v_mad_u32_u24 v5, v23, v5, v25
	s_waitcnt vmcnt(0)
	v_mad_u64_u32 v[64:65], s[36:37], v5, v64, v[2:3]
	v_lshrrev_b32_e32 v177, 6, v64
	s_branch .LBB1222_688
.LBB1222_687:                           ;   in Loop: Header=BB1222_688 Depth=2
	s_or_b64 exec, exec, s[36:37]
	s_addk_i32 s69, 0xf000
	s_cmp_lt_u32 s86, s94
	s_mov_b32 s88, s86
	s_cbranch_scc0 .LBB1222_896
.LBB1222_688:                           ;   Parent Loop BB1222_12 Depth=1
                                        ; =>  This Inner Loop Header: Depth=2
	s_add_i32 s86, s88, 0x1000
	s_cmp_gt_u32 s86, s94
	s_cbranch_scc1 .LBB1222_690
; %bb.689:                              ;   in Loop: Header=BB1222_688 Depth=2
	s_lshl_b64 s[36:37], s[88:89], 3
	v_mov_b32_e32 v5, s37
	v_add_co_u32_e32 v68, vcc, s36, v162
	v_addc_co_u32_e32 v69, vcc, v163, v5, vcc
	global_load_dwordx2 v[64:65], v[68:69], off
	global_load_dwordx2 v[66:67], v[68:69], off offset:512
	global_load_dwordx2 v[74:75], v[68:69], off offset:1024
	;; [unrolled: 1-line block ×7, first 2 shown]
	v_add_co_u32_e32 v68, vcc, 0x1000, v68
	v_addc_co_u32_e32 v69, vcc, 0, v69, vcc
	global_load_dwordx2 v[92:93], v[68:69], off
	global_load_dwordx2 v[88:89], v[68:69], off offset:512
	global_load_dwordx2 v[84:85], v[68:69], off offset:1024
	;; [unrolled: 1-line block ×5, first 2 shown]
	s_nop 0
	global_load_dwordx2 v[68:69], v[68:69], off offset:3072
	s_movk_i32 s40, 0x1000
	s_mov_b64 s[36:37], -1
	s_cbranch_execz .LBB1222_691
	s_branch .LBB1222_722
.LBB1222_690:                           ;   in Loop: Header=BB1222_688 Depth=2
	s_mov_b64 s[36:37], 0
                                        ; implicit-def: $sgpr40
                                        ; implicit-def: $vgpr64_vgpr65
                                        ; implicit-def: $vgpr66_vgpr67
                                        ; implicit-def: $vgpr74_vgpr75
                                        ; implicit-def: $vgpr78_vgpr79
                                        ; implicit-def: $vgpr82_vgpr83
                                        ; implicit-def: $vgpr86_vgpr87
                                        ; implicit-def: $vgpr90_vgpr91
                                        ; implicit-def: $vgpr94_vgpr95
                                        ; implicit-def: $vgpr92_vgpr93
                                        ; implicit-def: $vgpr88_vgpr89
                                        ; implicit-def: $vgpr84_vgpr85
                                        ; implicit-def: $vgpr80_vgpr81
                                        ; implicit-def: $vgpr76_vgpr77
                                        ; implicit-def: $vgpr72_vgpr73
                                        ; implicit-def: $vgpr68_vgpr69
.LBB1222_691:                           ;   in Loop: Header=BB1222_688 Depth=2
	s_lshl_b64 s[36:37], s[88:89], 3
	v_mov_b32_e32 v5, s37
	v_add_co_u32_e32 v70, vcc, s36, v162
	v_addc_co_u32_e32 v71, vcc, v163, v5, vcc
	v_cmp_gt_u32_e32 vcc, s69, v143
	s_waitcnt vmcnt(14)
	v_pk_mov_b32 v[64:65], s[78:79], s[78:79] op_sel:[0,1]
	s_and_saveexec_b64 s[36:37], vcc
	s_cbranch_execz .LBB1222_693
; %bb.692:                              ;   in Loop: Header=BB1222_688 Depth=2
	global_load_dwordx2 v[64:65], v[70:71], off
.LBB1222_693:                           ;   in Loop: Header=BB1222_688 Depth=2
	s_or_b64 exec, exec, s[36:37]
	v_cmp_gt_u32_e32 vcc, s69, v144
	s_waitcnt vmcnt(13)
	v_pk_mov_b32 v[66:67], s[78:79], s[78:79] op_sel:[0,1]
	s_and_saveexec_b64 s[36:37], vcc
	s_cbranch_execz .LBB1222_695
; %bb.694:                              ;   in Loop: Header=BB1222_688 Depth=2
	global_load_dwordx2 v[66:67], v[70:71], off offset:512
.LBB1222_695:                           ;   in Loop: Header=BB1222_688 Depth=2
	s_or_b64 exec, exec, s[36:37]
	v_cmp_gt_u32_e32 vcc, s69, v145
	s_waitcnt vmcnt(12)
	v_pk_mov_b32 v[74:75], s[78:79], s[78:79] op_sel:[0,1]
	s_and_saveexec_b64 s[36:37], vcc
	s_cbranch_execz .LBB1222_697
; %bb.696:                              ;   in Loop: Header=BB1222_688 Depth=2
	global_load_dwordx2 v[74:75], v[70:71], off offset:1024
.LBB1222_697:                           ;   in Loop: Header=BB1222_688 Depth=2
	;; [unrolled: 9-line block ×7, first 2 shown]
	s_or_b64 exec, exec, s[36:37]
	v_cmp_gt_u32_e32 vcc, s69, v151
	s_waitcnt vmcnt(6)
	v_pk_mov_b32 v[92:93], s[78:79], s[78:79] op_sel:[0,1]
	s_and_saveexec_b64 s[36:37], vcc
	s_cbranch_execz .LBB1222_709
; %bb.708:                              ;   in Loop: Header=BB1222_688 Depth=2
	s_waitcnt vmcnt(0)
	v_add_co_u32_e32 v68, vcc, 0x1000, v70
	v_addc_co_u32_e32 v69, vcc, 0, v71, vcc
	global_load_dwordx2 v[92:93], v[68:69], off
.LBB1222_709:                           ;   in Loop: Header=BB1222_688 Depth=2
	s_or_b64 exec, exec, s[36:37]
	v_cmp_gt_u32_e32 vcc, s69, v152
	s_waitcnt vmcnt(5)
	v_pk_mov_b32 v[88:89], s[78:79], s[78:79] op_sel:[0,1]
	s_and_saveexec_b64 s[36:37], vcc
	s_cbranch_execz .LBB1222_711
; %bb.710:                              ;   in Loop: Header=BB1222_688 Depth=2
	s_waitcnt vmcnt(0)
	v_add_co_u32_e32 v68, vcc, 0x1000, v70
	v_addc_co_u32_e32 v69, vcc, 0, v71, vcc
	global_load_dwordx2 v[88:89], v[68:69], off offset:512
.LBB1222_711:                           ;   in Loop: Header=BB1222_688 Depth=2
	s_or_b64 exec, exec, s[36:37]
	v_cmp_gt_u32_e32 vcc, s69, v153
	s_waitcnt vmcnt(4)
	v_pk_mov_b32 v[84:85], s[78:79], s[78:79] op_sel:[0,1]
	s_and_saveexec_b64 s[36:37], vcc
	s_cbranch_execz .LBB1222_713
; %bb.712:                              ;   in Loop: Header=BB1222_688 Depth=2
	s_waitcnt vmcnt(0)
	v_add_co_u32_e32 v68, vcc, 0x1000, v70
	v_addc_co_u32_e32 v69, vcc, 0, v71, vcc
	global_load_dwordx2 v[84:85], v[68:69], off offset:1024
.LBB1222_713:                           ;   in Loop: Header=BB1222_688 Depth=2
	;; [unrolled: 12-line block ×5, first 2 shown]
	s_or_b64 exec, exec, s[36:37]
	v_cmp_gt_u32_e32 vcc, s69, v157
	s_waitcnt vmcnt(0)
	v_pk_mov_b32 v[68:69], s[78:79], s[78:79] op_sel:[0,1]
	s_and_saveexec_b64 s[36:37], vcc
	s_cbranch_execz .LBB1222_721
; %bb.720:                              ;   in Loop: Header=BB1222_688 Depth=2
	v_add_co_u32_e32 v68, vcc, 0x1000, v70
	v_addc_co_u32_e32 v69, vcc, 0, v71, vcc
	global_load_dwordx2 v[68:69], v[68:69], off offset:3072
.LBB1222_721:                           ;   in Loop: Header=BB1222_688 Depth=2
	s_or_b64 exec, exec, s[36:37]
	s_sub_i32 s40, s94, s88
	v_cmp_gt_u32_e64 s[36:37], s69, v158
.LBB1222_722:                           ;   in Loop: Header=BB1222_688 Depth=2
	v_pk_mov_b32 v[70:71], s[78:79], s[78:79] op_sel:[0,1]
	v_mov_b32_e32 v183, s69
	s_and_saveexec_b64 s[38:39], s[36:37]
	s_cbranch_execz .LBB1222_724
; %bb.723:                              ;   in Loop: Header=BB1222_688 Depth=2
	s_lshl_b64 s[36:37], s[88:89], 3
	v_mov_b32_e32 v5, s37
	v_add_co_u32_e32 v70, vcc, s36, v170
	v_addc_co_u32_e32 v71, vcc, v173, v5, vcc
	global_load_dwordx2 v[70:71], v[70:71], off
	v_mov_b32_e32 v183, s40
.LBB1222_724:                           ;   in Loop: Header=BB1222_688 Depth=2
	s_or_b64 exec, exec, s[38:39]
	s_waitcnt vmcnt(14)
	v_cmp_lt_i64_e32 vcc, -1, v[64:65]
	v_cndmask_b32_e32 v5, -1, v133, vcc
	v_ashrrev_i32_e32 v96, 31, v65
	v_xor_b32_e32 v65, v5, v65
	v_xor_b32_e32 v64, v96, v64
	v_cmp_ne_u64_e32 vcc, s[78:79], v[64:65]
	v_cndmask_b32_e32 v97, v133, v65, vcc
	v_cndmask_b32_e32 v96, 0, v64, vcc
	v_lshrrev_b64 v[96:97], s84, v[96:97]
	v_add_u32_e32 v5, 0x410, v27
	v_and_b32_e32 v96, s68, v96
	ds_write2_b32 v5, v4, v4 offset1:1
	ds_write2_b32 v31, v4, v4 offset0:2 offset1:3
	ds_write_b32 v31, v4 offset:16
	v_mad_u32_u24 v5, v96, 5, v177
	v_lshl_add_u32 v184, v5, 2, v29
	v_and_b32_e32 v5, 1, v96
	v_add_co_u32_e32 v97, vcc, -1, v5
	v_addc_co_u32_e64 v98, s[36:37], 0, -1, vcc
	v_cmp_ne_u32_e32 vcc, 0, v5
	v_xor_b32_e32 v5, vcc_hi, v98
	v_and_b32_e32 v98, exec_hi, v5
	v_lshlrev_b32_e32 v5, 30, v96
	v_xor_b32_e32 v97, vcc_lo, v97
	v_cmp_gt_i64_e32 vcc, 0, v[4:5]
	v_not_b32_e32 v5, v5
	v_ashrrev_i32_e32 v5, 31, v5
	v_and_b32_e32 v97, exec_lo, v97
	v_xor_b32_e32 v99, vcc_hi, v5
	v_xor_b32_e32 v5, vcc_lo, v5
	v_and_b32_e32 v97, v97, v5
	v_lshlrev_b32_e32 v5, 29, v96
	v_cmp_gt_i64_e32 vcc, 0, v[4:5]
	v_not_b32_e32 v5, v5
	v_ashrrev_i32_e32 v5, 31, v5
	v_and_b32_e32 v98, v98, v99
	v_xor_b32_e32 v99, vcc_hi, v5
	v_xor_b32_e32 v5, vcc_lo, v5
	v_and_b32_e32 v97, v97, v5
	v_lshlrev_b32_e32 v5, 28, v96
	v_cmp_gt_i64_e32 vcc, 0, v[4:5]
	v_not_b32_e32 v5, v5
	v_ashrrev_i32_e32 v5, 31, v5
	v_and_b32_e32 v98, v98, v99
	;; [unrolled: 8-line block ×5, first 2 shown]
	v_xor_b32_e32 v99, vcc_hi, v5
	v_xor_b32_e32 v5, vcc_lo, v5
	v_and_b32_e32 v98, v98, v99
	v_and_b32_e32 v99, v97, v5
	v_lshlrev_b32_e32 v5, 24, v96
	v_cmp_gt_i64_e32 vcc, 0, v[4:5]
	v_not_b32_e32 v5, v5
	v_ashrrev_i32_e32 v5, 31, v5
	v_xor_b32_e32 v96, vcc_hi, v5
	v_xor_b32_e32 v5, vcc_lo, v5
	v_and_b32_e32 v97, v98, v96
	v_and_b32_e32 v96, v99, v5
	v_mbcnt_lo_u32_b32 v5, v96, 0
	v_mbcnt_hi_u32_b32 v185, v97, v5
	v_cmp_eq_u32_e32 vcc, 0, v185
	v_cmp_ne_u64_e64 s[36:37], 0, v[96:97]
	s_and_b64 s[38:39], s[36:37], vcc
	s_waitcnt lgkmcnt(0)
	s_barrier
	s_waitcnt lgkmcnt(0)
	; wave barrier
	s_and_saveexec_b64 s[36:37], s[38:39]
	s_cbranch_execz .LBB1222_726
; %bb.725:                              ;   in Loop: Header=BB1222_688 Depth=2
	v_bcnt_u32_b32 v5, v96, 0
	v_bcnt_u32_b32 v5, v97, v5
	ds_write_b32 v184, v5
.LBB1222_726:                           ;   in Loop: Header=BB1222_688 Depth=2
	s_or_b64 exec, exec, s[36:37]
	s_waitcnt vmcnt(13)
	v_cmp_lt_i64_e32 vcc, -1, v[66:67]
	v_cndmask_b32_e32 v5, -1, v133, vcc
	v_ashrrev_i32_e32 v96, 31, v67
	v_xor_b32_e32 v67, v5, v67
	v_xor_b32_e32 v66, v96, v66
	v_cmp_ne_u64_e32 vcc, s[78:79], v[66:67]
	v_cndmask_b32_e32 v97, v133, v67, vcc
	v_cndmask_b32_e32 v96, 0, v66, vcc
	v_lshrrev_b64 v[96:97], s84, v[96:97]
	v_and_b32_e32 v96, s68, v96
	v_mul_u32_u24_e32 v5, 5, v96
	v_add_lshl_u32 v5, v5, v177, 2
	; wave barrier
	v_add_u32_e32 v187, 0x410, v5
	ds_read_b32 v186, v5 offset:1040
	v_and_b32_e32 v5, 1, v96
	v_add_co_u32_e32 v97, vcc, -1, v5
	v_addc_co_u32_e64 v98, s[36:37], 0, -1, vcc
	v_cmp_ne_u32_e32 vcc, 0, v5
	v_xor_b32_e32 v5, vcc_hi, v98
	v_and_b32_e32 v98, exec_hi, v5
	v_lshlrev_b32_e32 v5, 30, v96
	v_xor_b32_e32 v97, vcc_lo, v97
	v_cmp_gt_i64_e32 vcc, 0, v[4:5]
	v_not_b32_e32 v5, v5
	v_ashrrev_i32_e32 v5, 31, v5
	v_and_b32_e32 v97, exec_lo, v97
	v_xor_b32_e32 v99, vcc_hi, v5
	v_xor_b32_e32 v5, vcc_lo, v5
	v_and_b32_e32 v97, v97, v5
	v_lshlrev_b32_e32 v5, 29, v96
	v_cmp_gt_i64_e32 vcc, 0, v[4:5]
	v_not_b32_e32 v5, v5
	v_ashrrev_i32_e32 v5, 31, v5
	v_and_b32_e32 v98, v98, v99
	v_xor_b32_e32 v99, vcc_hi, v5
	v_xor_b32_e32 v5, vcc_lo, v5
	v_and_b32_e32 v97, v97, v5
	v_lshlrev_b32_e32 v5, 28, v96
	v_cmp_gt_i64_e32 vcc, 0, v[4:5]
	v_not_b32_e32 v5, v5
	v_ashrrev_i32_e32 v5, 31, v5
	v_and_b32_e32 v98, v98, v99
	;; [unrolled: 8-line block ×5, first 2 shown]
	v_xor_b32_e32 v99, vcc_hi, v5
	v_xor_b32_e32 v5, vcc_lo, v5
	v_and_b32_e32 v98, v98, v99
	v_and_b32_e32 v99, v97, v5
	v_lshlrev_b32_e32 v5, 24, v96
	v_cmp_gt_i64_e32 vcc, 0, v[4:5]
	v_not_b32_e32 v5, v5
	v_ashrrev_i32_e32 v5, 31, v5
	v_xor_b32_e32 v96, vcc_hi, v5
	v_xor_b32_e32 v5, vcc_lo, v5
	v_and_b32_e32 v97, v98, v96
	v_and_b32_e32 v96, v99, v5
	v_mbcnt_lo_u32_b32 v5, v96, 0
	v_mbcnt_hi_u32_b32 v188, v97, v5
	v_cmp_eq_u32_e32 vcc, 0, v188
	v_cmp_ne_u64_e64 s[36:37], 0, v[96:97]
	s_and_b64 s[38:39], s[36:37], vcc
	; wave barrier
	s_and_saveexec_b64 s[36:37], s[38:39]
	s_cbranch_execz .LBB1222_728
; %bb.727:                              ;   in Loop: Header=BB1222_688 Depth=2
	v_bcnt_u32_b32 v5, v96, 0
	v_bcnt_u32_b32 v5, v97, v5
	s_waitcnt lgkmcnt(0)
	v_add_u32_e32 v5, v186, v5
	ds_write_b32 v187, v5
.LBB1222_728:                           ;   in Loop: Header=BB1222_688 Depth=2
	s_or_b64 exec, exec, s[36:37]
	s_waitcnt vmcnt(12)
	v_cmp_lt_i64_e32 vcc, -1, v[74:75]
	v_cndmask_b32_e32 v5, -1, v133, vcc
	v_ashrrev_i32_e32 v96, 31, v75
	v_xor_b32_e32 v75, v5, v75
	v_xor_b32_e32 v74, v96, v74
	v_cmp_ne_u64_e32 vcc, s[78:79], v[74:75]
	v_cndmask_b32_e32 v97, v133, v75, vcc
	v_cndmask_b32_e32 v96, 0, v74, vcc
	v_lshrrev_b64 v[96:97], s84, v[96:97]
	v_and_b32_e32 v96, s68, v96
	v_mul_u32_u24_e32 v5, 5, v96
	v_add_lshl_u32 v5, v5, v177, 2
	; wave barrier
	v_add_u32_e32 v190, 0x410, v5
	ds_read_b32 v189, v5 offset:1040
	v_and_b32_e32 v5, 1, v96
	v_add_co_u32_e32 v97, vcc, -1, v5
	v_addc_co_u32_e64 v98, s[36:37], 0, -1, vcc
	v_cmp_ne_u32_e32 vcc, 0, v5
	v_xor_b32_e32 v5, vcc_hi, v98
	v_and_b32_e32 v98, exec_hi, v5
	v_lshlrev_b32_e32 v5, 30, v96
	v_xor_b32_e32 v97, vcc_lo, v97
	v_cmp_gt_i64_e32 vcc, 0, v[4:5]
	v_not_b32_e32 v5, v5
	v_ashrrev_i32_e32 v5, 31, v5
	v_and_b32_e32 v97, exec_lo, v97
	v_xor_b32_e32 v99, vcc_hi, v5
	v_xor_b32_e32 v5, vcc_lo, v5
	v_and_b32_e32 v97, v97, v5
	v_lshlrev_b32_e32 v5, 29, v96
	v_cmp_gt_i64_e32 vcc, 0, v[4:5]
	v_not_b32_e32 v5, v5
	v_ashrrev_i32_e32 v5, 31, v5
	v_and_b32_e32 v98, v98, v99
	v_xor_b32_e32 v99, vcc_hi, v5
	v_xor_b32_e32 v5, vcc_lo, v5
	v_and_b32_e32 v97, v97, v5
	v_lshlrev_b32_e32 v5, 28, v96
	v_cmp_gt_i64_e32 vcc, 0, v[4:5]
	v_not_b32_e32 v5, v5
	v_ashrrev_i32_e32 v5, 31, v5
	v_and_b32_e32 v98, v98, v99
	;; [unrolled: 8-line block ×5, first 2 shown]
	v_xor_b32_e32 v99, vcc_hi, v5
	v_xor_b32_e32 v5, vcc_lo, v5
	v_and_b32_e32 v98, v98, v99
	v_and_b32_e32 v99, v97, v5
	v_lshlrev_b32_e32 v5, 24, v96
	v_cmp_gt_i64_e32 vcc, 0, v[4:5]
	v_not_b32_e32 v5, v5
	v_ashrrev_i32_e32 v5, 31, v5
	v_xor_b32_e32 v96, vcc_hi, v5
	v_xor_b32_e32 v5, vcc_lo, v5
	v_and_b32_e32 v97, v98, v96
	v_and_b32_e32 v96, v99, v5
	v_mbcnt_lo_u32_b32 v5, v96, 0
	v_mbcnt_hi_u32_b32 v191, v97, v5
	v_cmp_eq_u32_e32 vcc, 0, v191
	v_cmp_ne_u64_e64 s[36:37], 0, v[96:97]
	s_and_b64 s[38:39], s[36:37], vcc
	; wave barrier
	s_and_saveexec_b64 s[36:37], s[38:39]
	s_cbranch_execz .LBB1222_730
; %bb.729:                              ;   in Loop: Header=BB1222_688 Depth=2
	v_bcnt_u32_b32 v5, v96, 0
	v_bcnt_u32_b32 v5, v97, v5
	s_waitcnt lgkmcnt(0)
	v_add_u32_e32 v5, v189, v5
	ds_write_b32 v190, v5
.LBB1222_730:                           ;   in Loop: Header=BB1222_688 Depth=2
	s_or_b64 exec, exec, s[36:37]
	s_waitcnt vmcnt(11)
	v_cmp_lt_i64_e32 vcc, -1, v[78:79]
	v_cndmask_b32_e32 v5, -1, v133, vcc
	v_ashrrev_i32_e32 v96, 31, v79
	v_xor_b32_e32 v79, v5, v79
	v_xor_b32_e32 v78, v96, v78
	v_cmp_ne_u64_e32 vcc, s[78:79], v[78:79]
	v_cndmask_b32_e32 v97, v133, v79, vcc
	v_cndmask_b32_e32 v96, 0, v78, vcc
	v_lshrrev_b64 v[96:97], s84, v[96:97]
	v_and_b32_e32 v96, s68, v96
	v_mul_u32_u24_e32 v5, 5, v96
	v_add_lshl_u32 v5, v5, v177, 2
	; wave barrier
	v_add_u32_e32 v193, 0x410, v5
	ds_read_b32 v192, v5 offset:1040
	v_and_b32_e32 v5, 1, v96
	v_add_co_u32_e32 v97, vcc, -1, v5
	v_addc_co_u32_e64 v98, s[36:37], 0, -1, vcc
	v_cmp_ne_u32_e32 vcc, 0, v5
	v_xor_b32_e32 v5, vcc_hi, v98
	v_and_b32_e32 v98, exec_hi, v5
	v_lshlrev_b32_e32 v5, 30, v96
	v_xor_b32_e32 v97, vcc_lo, v97
	v_cmp_gt_i64_e32 vcc, 0, v[4:5]
	v_not_b32_e32 v5, v5
	v_ashrrev_i32_e32 v5, 31, v5
	v_and_b32_e32 v97, exec_lo, v97
	v_xor_b32_e32 v99, vcc_hi, v5
	v_xor_b32_e32 v5, vcc_lo, v5
	v_and_b32_e32 v97, v97, v5
	v_lshlrev_b32_e32 v5, 29, v96
	v_cmp_gt_i64_e32 vcc, 0, v[4:5]
	v_not_b32_e32 v5, v5
	v_ashrrev_i32_e32 v5, 31, v5
	v_and_b32_e32 v98, v98, v99
	v_xor_b32_e32 v99, vcc_hi, v5
	v_xor_b32_e32 v5, vcc_lo, v5
	v_and_b32_e32 v97, v97, v5
	v_lshlrev_b32_e32 v5, 28, v96
	v_cmp_gt_i64_e32 vcc, 0, v[4:5]
	v_not_b32_e32 v5, v5
	v_ashrrev_i32_e32 v5, 31, v5
	v_and_b32_e32 v98, v98, v99
	;; [unrolled: 8-line block ×5, first 2 shown]
	v_xor_b32_e32 v99, vcc_hi, v5
	v_xor_b32_e32 v5, vcc_lo, v5
	v_and_b32_e32 v98, v98, v99
	v_and_b32_e32 v99, v97, v5
	v_lshlrev_b32_e32 v5, 24, v96
	v_cmp_gt_i64_e32 vcc, 0, v[4:5]
	v_not_b32_e32 v5, v5
	v_ashrrev_i32_e32 v5, 31, v5
	v_xor_b32_e32 v96, vcc_hi, v5
	v_xor_b32_e32 v5, vcc_lo, v5
	v_and_b32_e32 v97, v98, v96
	v_and_b32_e32 v96, v99, v5
	v_mbcnt_lo_u32_b32 v5, v96, 0
	v_mbcnt_hi_u32_b32 v194, v97, v5
	v_cmp_eq_u32_e32 vcc, 0, v194
	v_cmp_ne_u64_e64 s[36:37], 0, v[96:97]
	s_and_b64 s[38:39], s[36:37], vcc
	; wave barrier
	s_and_saveexec_b64 s[36:37], s[38:39]
	s_cbranch_execz .LBB1222_732
; %bb.731:                              ;   in Loop: Header=BB1222_688 Depth=2
	v_bcnt_u32_b32 v5, v96, 0
	v_bcnt_u32_b32 v5, v97, v5
	s_waitcnt lgkmcnt(0)
	v_add_u32_e32 v5, v192, v5
	ds_write_b32 v193, v5
.LBB1222_732:                           ;   in Loop: Header=BB1222_688 Depth=2
	s_or_b64 exec, exec, s[36:37]
	s_waitcnt vmcnt(10)
	v_cmp_lt_i64_e32 vcc, -1, v[82:83]
	v_cndmask_b32_e32 v5, -1, v133, vcc
	v_ashrrev_i32_e32 v96, 31, v83
	v_xor_b32_e32 v83, v5, v83
	v_xor_b32_e32 v82, v96, v82
	v_cmp_ne_u64_e32 vcc, s[78:79], v[82:83]
	v_cndmask_b32_e32 v97, v133, v83, vcc
	v_cndmask_b32_e32 v96, 0, v82, vcc
	v_lshrrev_b64 v[96:97], s84, v[96:97]
	v_and_b32_e32 v96, s68, v96
	v_mul_u32_u24_e32 v5, 5, v96
	v_add_lshl_u32 v5, v5, v177, 2
	; wave barrier
	v_add_u32_e32 v196, 0x410, v5
	ds_read_b32 v195, v5 offset:1040
	v_and_b32_e32 v5, 1, v96
	v_add_co_u32_e32 v97, vcc, -1, v5
	v_addc_co_u32_e64 v98, s[36:37], 0, -1, vcc
	v_cmp_ne_u32_e32 vcc, 0, v5
	v_xor_b32_e32 v5, vcc_hi, v98
	v_and_b32_e32 v98, exec_hi, v5
	v_lshlrev_b32_e32 v5, 30, v96
	v_xor_b32_e32 v97, vcc_lo, v97
	v_cmp_gt_i64_e32 vcc, 0, v[4:5]
	v_not_b32_e32 v5, v5
	v_ashrrev_i32_e32 v5, 31, v5
	v_and_b32_e32 v97, exec_lo, v97
	v_xor_b32_e32 v99, vcc_hi, v5
	v_xor_b32_e32 v5, vcc_lo, v5
	v_and_b32_e32 v97, v97, v5
	v_lshlrev_b32_e32 v5, 29, v96
	v_cmp_gt_i64_e32 vcc, 0, v[4:5]
	v_not_b32_e32 v5, v5
	v_ashrrev_i32_e32 v5, 31, v5
	v_and_b32_e32 v98, v98, v99
	v_xor_b32_e32 v99, vcc_hi, v5
	v_xor_b32_e32 v5, vcc_lo, v5
	v_and_b32_e32 v97, v97, v5
	v_lshlrev_b32_e32 v5, 28, v96
	v_cmp_gt_i64_e32 vcc, 0, v[4:5]
	v_not_b32_e32 v5, v5
	v_ashrrev_i32_e32 v5, 31, v5
	v_and_b32_e32 v98, v98, v99
	;; [unrolled: 8-line block ×5, first 2 shown]
	v_xor_b32_e32 v99, vcc_hi, v5
	v_xor_b32_e32 v5, vcc_lo, v5
	v_and_b32_e32 v98, v98, v99
	v_and_b32_e32 v99, v97, v5
	v_lshlrev_b32_e32 v5, 24, v96
	v_cmp_gt_i64_e32 vcc, 0, v[4:5]
	v_not_b32_e32 v5, v5
	v_ashrrev_i32_e32 v5, 31, v5
	v_xor_b32_e32 v96, vcc_hi, v5
	v_xor_b32_e32 v5, vcc_lo, v5
	v_and_b32_e32 v97, v98, v96
	v_and_b32_e32 v96, v99, v5
	v_mbcnt_lo_u32_b32 v5, v96, 0
	v_mbcnt_hi_u32_b32 v197, v97, v5
	v_cmp_eq_u32_e32 vcc, 0, v197
	v_cmp_ne_u64_e64 s[36:37], 0, v[96:97]
	s_and_b64 s[38:39], s[36:37], vcc
	; wave barrier
	s_and_saveexec_b64 s[36:37], s[38:39]
	s_cbranch_execz .LBB1222_734
; %bb.733:                              ;   in Loop: Header=BB1222_688 Depth=2
	v_bcnt_u32_b32 v5, v96, 0
	v_bcnt_u32_b32 v5, v97, v5
	s_waitcnt lgkmcnt(0)
	v_add_u32_e32 v5, v195, v5
	ds_write_b32 v196, v5
.LBB1222_734:                           ;   in Loop: Header=BB1222_688 Depth=2
	s_or_b64 exec, exec, s[36:37]
	s_waitcnt vmcnt(9)
	v_cmp_lt_i64_e32 vcc, -1, v[86:87]
	v_cndmask_b32_e32 v5, -1, v133, vcc
	v_ashrrev_i32_e32 v96, 31, v87
	v_xor_b32_e32 v87, v5, v87
	v_xor_b32_e32 v86, v96, v86
	v_cmp_ne_u64_e32 vcc, s[78:79], v[86:87]
	v_cndmask_b32_e32 v97, v133, v87, vcc
	v_cndmask_b32_e32 v96, 0, v86, vcc
	v_lshrrev_b64 v[96:97], s84, v[96:97]
	v_and_b32_e32 v96, s68, v96
	v_mul_u32_u24_e32 v5, 5, v96
	v_add_lshl_u32 v5, v5, v177, 2
	; wave barrier
	v_add_u32_e32 v199, 0x410, v5
	ds_read_b32 v198, v5 offset:1040
	v_and_b32_e32 v5, 1, v96
	v_add_co_u32_e32 v97, vcc, -1, v5
	v_addc_co_u32_e64 v98, s[36:37], 0, -1, vcc
	v_cmp_ne_u32_e32 vcc, 0, v5
	v_xor_b32_e32 v5, vcc_hi, v98
	v_and_b32_e32 v98, exec_hi, v5
	v_lshlrev_b32_e32 v5, 30, v96
	v_xor_b32_e32 v97, vcc_lo, v97
	v_cmp_gt_i64_e32 vcc, 0, v[4:5]
	v_not_b32_e32 v5, v5
	v_ashrrev_i32_e32 v5, 31, v5
	v_and_b32_e32 v97, exec_lo, v97
	v_xor_b32_e32 v99, vcc_hi, v5
	v_xor_b32_e32 v5, vcc_lo, v5
	v_and_b32_e32 v97, v97, v5
	v_lshlrev_b32_e32 v5, 29, v96
	v_cmp_gt_i64_e32 vcc, 0, v[4:5]
	v_not_b32_e32 v5, v5
	v_ashrrev_i32_e32 v5, 31, v5
	v_and_b32_e32 v98, v98, v99
	v_xor_b32_e32 v99, vcc_hi, v5
	v_xor_b32_e32 v5, vcc_lo, v5
	v_and_b32_e32 v97, v97, v5
	v_lshlrev_b32_e32 v5, 28, v96
	v_cmp_gt_i64_e32 vcc, 0, v[4:5]
	v_not_b32_e32 v5, v5
	v_ashrrev_i32_e32 v5, 31, v5
	v_and_b32_e32 v98, v98, v99
	;; [unrolled: 8-line block ×5, first 2 shown]
	v_xor_b32_e32 v99, vcc_hi, v5
	v_xor_b32_e32 v5, vcc_lo, v5
	v_and_b32_e32 v98, v98, v99
	v_and_b32_e32 v99, v97, v5
	v_lshlrev_b32_e32 v5, 24, v96
	v_cmp_gt_i64_e32 vcc, 0, v[4:5]
	v_not_b32_e32 v5, v5
	v_ashrrev_i32_e32 v5, 31, v5
	v_xor_b32_e32 v96, vcc_hi, v5
	v_xor_b32_e32 v5, vcc_lo, v5
	v_and_b32_e32 v97, v98, v96
	v_and_b32_e32 v96, v99, v5
	v_mbcnt_lo_u32_b32 v5, v96, 0
	v_mbcnt_hi_u32_b32 v200, v97, v5
	v_cmp_eq_u32_e32 vcc, 0, v200
	v_cmp_ne_u64_e64 s[36:37], 0, v[96:97]
	s_and_b64 s[38:39], s[36:37], vcc
	; wave barrier
	s_and_saveexec_b64 s[36:37], s[38:39]
	s_cbranch_execz .LBB1222_736
; %bb.735:                              ;   in Loop: Header=BB1222_688 Depth=2
	v_bcnt_u32_b32 v5, v96, 0
	v_bcnt_u32_b32 v5, v97, v5
	s_waitcnt lgkmcnt(0)
	v_add_u32_e32 v5, v198, v5
	ds_write_b32 v199, v5
.LBB1222_736:                           ;   in Loop: Header=BB1222_688 Depth=2
	s_or_b64 exec, exec, s[36:37]
	s_waitcnt vmcnt(8)
	v_cmp_lt_i64_e32 vcc, -1, v[90:91]
	v_cndmask_b32_e32 v5, -1, v133, vcc
	v_ashrrev_i32_e32 v96, 31, v91
	v_xor_b32_e32 v91, v5, v91
	v_xor_b32_e32 v90, v96, v90
	v_cmp_ne_u64_e32 vcc, s[78:79], v[90:91]
	v_cndmask_b32_e32 v97, v133, v91, vcc
	v_cndmask_b32_e32 v96, 0, v90, vcc
	v_lshrrev_b64 v[96:97], s84, v[96:97]
	v_and_b32_e32 v96, s68, v96
	v_mul_u32_u24_e32 v5, 5, v96
	v_add_lshl_u32 v5, v5, v177, 2
	; wave barrier
	v_add_u32_e32 v202, 0x410, v5
	ds_read_b32 v201, v5 offset:1040
	v_and_b32_e32 v5, 1, v96
	v_add_co_u32_e32 v97, vcc, -1, v5
	v_addc_co_u32_e64 v98, s[36:37], 0, -1, vcc
	v_cmp_ne_u32_e32 vcc, 0, v5
	v_xor_b32_e32 v5, vcc_hi, v98
	v_and_b32_e32 v98, exec_hi, v5
	v_lshlrev_b32_e32 v5, 30, v96
	v_xor_b32_e32 v97, vcc_lo, v97
	v_cmp_gt_i64_e32 vcc, 0, v[4:5]
	v_not_b32_e32 v5, v5
	v_ashrrev_i32_e32 v5, 31, v5
	v_and_b32_e32 v97, exec_lo, v97
	v_xor_b32_e32 v99, vcc_hi, v5
	v_xor_b32_e32 v5, vcc_lo, v5
	v_and_b32_e32 v97, v97, v5
	v_lshlrev_b32_e32 v5, 29, v96
	v_cmp_gt_i64_e32 vcc, 0, v[4:5]
	v_not_b32_e32 v5, v5
	v_ashrrev_i32_e32 v5, 31, v5
	v_and_b32_e32 v98, v98, v99
	v_xor_b32_e32 v99, vcc_hi, v5
	v_xor_b32_e32 v5, vcc_lo, v5
	v_and_b32_e32 v97, v97, v5
	v_lshlrev_b32_e32 v5, 28, v96
	v_cmp_gt_i64_e32 vcc, 0, v[4:5]
	v_not_b32_e32 v5, v5
	v_ashrrev_i32_e32 v5, 31, v5
	v_and_b32_e32 v98, v98, v99
	;; [unrolled: 8-line block ×5, first 2 shown]
	v_xor_b32_e32 v99, vcc_hi, v5
	v_xor_b32_e32 v5, vcc_lo, v5
	v_and_b32_e32 v98, v98, v99
	v_and_b32_e32 v99, v97, v5
	v_lshlrev_b32_e32 v5, 24, v96
	v_cmp_gt_i64_e32 vcc, 0, v[4:5]
	v_not_b32_e32 v5, v5
	v_ashrrev_i32_e32 v5, 31, v5
	v_xor_b32_e32 v96, vcc_hi, v5
	v_xor_b32_e32 v5, vcc_lo, v5
	v_and_b32_e32 v97, v98, v96
	v_and_b32_e32 v96, v99, v5
	v_mbcnt_lo_u32_b32 v5, v96, 0
	v_mbcnt_hi_u32_b32 v203, v97, v5
	v_cmp_eq_u32_e32 vcc, 0, v203
	v_cmp_ne_u64_e64 s[36:37], 0, v[96:97]
	s_and_b64 s[38:39], s[36:37], vcc
	; wave barrier
	s_and_saveexec_b64 s[36:37], s[38:39]
	s_cbranch_execz .LBB1222_738
; %bb.737:                              ;   in Loop: Header=BB1222_688 Depth=2
	v_bcnt_u32_b32 v5, v96, 0
	v_bcnt_u32_b32 v5, v97, v5
	s_waitcnt lgkmcnt(0)
	v_add_u32_e32 v5, v201, v5
	ds_write_b32 v202, v5
.LBB1222_738:                           ;   in Loop: Header=BB1222_688 Depth=2
	s_or_b64 exec, exec, s[36:37]
	s_waitcnt vmcnt(7)
	v_cmp_lt_i64_e32 vcc, -1, v[94:95]
	v_cndmask_b32_e32 v5, -1, v133, vcc
	v_ashrrev_i32_e32 v96, 31, v95
	v_xor_b32_e32 v95, v5, v95
	v_xor_b32_e32 v94, v96, v94
	v_cmp_ne_u64_e32 vcc, s[78:79], v[94:95]
	v_cndmask_b32_e32 v97, v133, v95, vcc
	v_cndmask_b32_e32 v96, 0, v94, vcc
	v_lshrrev_b64 v[96:97], s84, v[96:97]
	v_and_b32_e32 v96, s68, v96
	v_mul_u32_u24_e32 v5, 5, v96
	v_add_lshl_u32 v5, v5, v177, 2
	; wave barrier
	v_add_u32_e32 v205, 0x410, v5
	ds_read_b32 v204, v5 offset:1040
	v_and_b32_e32 v5, 1, v96
	v_add_co_u32_e32 v97, vcc, -1, v5
	v_addc_co_u32_e64 v98, s[36:37], 0, -1, vcc
	v_cmp_ne_u32_e32 vcc, 0, v5
	v_xor_b32_e32 v5, vcc_hi, v98
	v_and_b32_e32 v98, exec_hi, v5
	v_lshlrev_b32_e32 v5, 30, v96
	v_xor_b32_e32 v97, vcc_lo, v97
	v_cmp_gt_i64_e32 vcc, 0, v[4:5]
	v_not_b32_e32 v5, v5
	v_ashrrev_i32_e32 v5, 31, v5
	v_and_b32_e32 v97, exec_lo, v97
	v_xor_b32_e32 v99, vcc_hi, v5
	v_xor_b32_e32 v5, vcc_lo, v5
	v_and_b32_e32 v97, v97, v5
	v_lshlrev_b32_e32 v5, 29, v96
	v_cmp_gt_i64_e32 vcc, 0, v[4:5]
	v_not_b32_e32 v5, v5
	v_ashrrev_i32_e32 v5, 31, v5
	v_and_b32_e32 v98, v98, v99
	v_xor_b32_e32 v99, vcc_hi, v5
	v_xor_b32_e32 v5, vcc_lo, v5
	v_and_b32_e32 v97, v97, v5
	v_lshlrev_b32_e32 v5, 28, v96
	v_cmp_gt_i64_e32 vcc, 0, v[4:5]
	v_not_b32_e32 v5, v5
	v_ashrrev_i32_e32 v5, 31, v5
	v_and_b32_e32 v98, v98, v99
	;; [unrolled: 8-line block ×5, first 2 shown]
	v_xor_b32_e32 v99, vcc_hi, v5
	v_xor_b32_e32 v5, vcc_lo, v5
	v_and_b32_e32 v98, v98, v99
	v_and_b32_e32 v99, v97, v5
	v_lshlrev_b32_e32 v5, 24, v96
	v_cmp_gt_i64_e32 vcc, 0, v[4:5]
	v_not_b32_e32 v5, v5
	v_ashrrev_i32_e32 v5, 31, v5
	v_xor_b32_e32 v96, vcc_hi, v5
	v_xor_b32_e32 v5, vcc_lo, v5
	v_and_b32_e32 v97, v98, v96
	v_and_b32_e32 v96, v99, v5
	v_mbcnt_lo_u32_b32 v5, v96, 0
	v_mbcnt_hi_u32_b32 v206, v97, v5
	v_cmp_eq_u32_e32 vcc, 0, v206
	v_cmp_ne_u64_e64 s[36:37], 0, v[96:97]
	s_and_b64 s[38:39], s[36:37], vcc
	; wave barrier
	s_and_saveexec_b64 s[36:37], s[38:39]
	s_cbranch_execz .LBB1222_740
; %bb.739:                              ;   in Loop: Header=BB1222_688 Depth=2
	v_bcnt_u32_b32 v5, v96, 0
	v_bcnt_u32_b32 v5, v97, v5
	s_waitcnt lgkmcnt(0)
	v_add_u32_e32 v5, v204, v5
	ds_write_b32 v205, v5
.LBB1222_740:                           ;   in Loop: Header=BB1222_688 Depth=2
	s_or_b64 exec, exec, s[36:37]
	s_waitcnt vmcnt(6)
	v_cmp_lt_i64_e32 vcc, -1, v[92:93]
	v_cndmask_b32_e32 v5, -1, v133, vcc
	v_ashrrev_i32_e32 v96, 31, v93
	v_xor_b32_e32 v93, v5, v93
	v_xor_b32_e32 v92, v96, v92
	v_cmp_ne_u64_e32 vcc, s[78:79], v[92:93]
	v_cndmask_b32_e32 v97, v133, v93, vcc
	v_cndmask_b32_e32 v96, 0, v92, vcc
	v_lshrrev_b64 v[96:97], s84, v[96:97]
	v_and_b32_e32 v96, s68, v96
	v_mul_u32_u24_e32 v5, 5, v96
	v_add_lshl_u32 v5, v5, v177, 2
	; wave barrier
	v_add_u32_e32 v208, 0x410, v5
	ds_read_b32 v207, v5 offset:1040
	v_and_b32_e32 v5, 1, v96
	v_add_co_u32_e32 v97, vcc, -1, v5
	v_addc_co_u32_e64 v98, s[36:37], 0, -1, vcc
	v_cmp_ne_u32_e32 vcc, 0, v5
	v_xor_b32_e32 v5, vcc_hi, v98
	v_and_b32_e32 v98, exec_hi, v5
	v_lshlrev_b32_e32 v5, 30, v96
	v_xor_b32_e32 v97, vcc_lo, v97
	v_cmp_gt_i64_e32 vcc, 0, v[4:5]
	v_not_b32_e32 v5, v5
	v_ashrrev_i32_e32 v5, 31, v5
	v_and_b32_e32 v97, exec_lo, v97
	v_xor_b32_e32 v99, vcc_hi, v5
	v_xor_b32_e32 v5, vcc_lo, v5
	v_and_b32_e32 v97, v97, v5
	v_lshlrev_b32_e32 v5, 29, v96
	v_cmp_gt_i64_e32 vcc, 0, v[4:5]
	v_not_b32_e32 v5, v5
	v_ashrrev_i32_e32 v5, 31, v5
	v_and_b32_e32 v98, v98, v99
	v_xor_b32_e32 v99, vcc_hi, v5
	v_xor_b32_e32 v5, vcc_lo, v5
	v_and_b32_e32 v97, v97, v5
	v_lshlrev_b32_e32 v5, 28, v96
	v_cmp_gt_i64_e32 vcc, 0, v[4:5]
	v_not_b32_e32 v5, v5
	v_ashrrev_i32_e32 v5, 31, v5
	v_and_b32_e32 v98, v98, v99
	;; [unrolled: 8-line block ×5, first 2 shown]
	v_xor_b32_e32 v99, vcc_hi, v5
	v_xor_b32_e32 v5, vcc_lo, v5
	v_and_b32_e32 v98, v98, v99
	v_and_b32_e32 v99, v97, v5
	v_lshlrev_b32_e32 v5, 24, v96
	v_cmp_gt_i64_e32 vcc, 0, v[4:5]
	v_not_b32_e32 v5, v5
	v_ashrrev_i32_e32 v5, 31, v5
	v_xor_b32_e32 v96, vcc_hi, v5
	v_xor_b32_e32 v5, vcc_lo, v5
	v_and_b32_e32 v97, v98, v96
	v_and_b32_e32 v96, v99, v5
	v_mbcnt_lo_u32_b32 v5, v96, 0
	v_mbcnt_hi_u32_b32 v209, v97, v5
	v_cmp_eq_u32_e32 vcc, 0, v209
	v_cmp_ne_u64_e64 s[36:37], 0, v[96:97]
	s_and_b64 s[38:39], s[36:37], vcc
	; wave barrier
	s_and_saveexec_b64 s[36:37], s[38:39]
	s_cbranch_execz .LBB1222_742
; %bb.741:                              ;   in Loop: Header=BB1222_688 Depth=2
	v_bcnt_u32_b32 v5, v96, 0
	v_bcnt_u32_b32 v5, v97, v5
	s_waitcnt lgkmcnt(0)
	v_add_u32_e32 v5, v207, v5
	ds_write_b32 v208, v5
.LBB1222_742:                           ;   in Loop: Header=BB1222_688 Depth=2
	s_or_b64 exec, exec, s[36:37]
	s_waitcnt vmcnt(5)
	v_cmp_lt_i64_e32 vcc, -1, v[88:89]
	v_cndmask_b32_e32 v5, -1, v133, vcc
	v_ashrrev_i32_e32 v96, 31, v89
	v_xor_b32_e32 v89, v5, v89
	v_xor_b32_e32 v88, v96, v88
	v_cmp_ne_u64_e32 vcc, s[78:79], v[88:89]
	v_cndmask_b32_e32 v97, v133, v89, vcc
	v_cndmask_b32_e32 v96, 0, v88, vcc
	v_lshrrev_b64 v[96:97], s84, v[96:97]
	v_and_b32_e32 v96, s68, v96
	v_mul_u32_u24_e32 v5, 5, v96
	v_add_lshl_u32 v5, v5, v177, 2
	; wave barrier
	v_add_u32_e32 v211, 0x410, v5
	ds_read_b32 v210, v5 offset:1040
	v_and_b32_e32 v5, 1, v96
	v_add_co_u32_e32 v97, vcc, -1, v5
	v_addc_co_u32_e64 v98, s[36:37], 0, -1, vcc
	v_cmp_ne_u32_e32 vcc, 0, v5
	v_xor_b32_e32 v5, vcc_hi, v98
	v_and_b32_e32 v98, exec_hi, v5
	v_lshlrev_b32_e32 v5, 30, v96
	v_xor_b32_e32 v97, vcc_lo, v97
	v_cmp_gt_i64_e32 vcc, 0, v[4:5]
	v_not_b32_e32 v5, v5
	v_ashrrev_i32_e32 v5, 31, v5
	v_and_b32_e32 v97, exec_lo, v97
	v_xor_b32_e32 v99, vcc_hi, v5
	v_xor_b32_e32 v5, vcc_lo, v5
	v_and_b32_e32 v97, v97, v5
	v_lshlrev_b32_e32 v5, 29, v96
	v_cmp_gt_i64_e32 vcc, 0, v[4:5]
	v_not_b32_e32 v5, v5
	v_ashrrev_i32_e32 v5, 31, v5
	v_and_b32_e32 v98, v98, v99
	v_xor_b32_e32 v99, vcc_hi, v5
	v_xor_b32_e32 v5, vcc_lo, v5
	v_and_b32_e32 v97, v97, v5
	v_lshlrev_b32_e32 v5, 28, v96
	v_cmp_gt_i64_e32 vcc, 0, v[4:5]
	v_not_b32_e32 v5, v5
	v_ashrrev_i32_e32 v5, 31, v5
	v_and_b32_e32 v98, v98, v99
	;; [unrolled: 8-line block ×5, first 2 shown]
	v_xor_b32_e32 v99, vcc_hi, v5
	v_xor_b32_e32 v5, vcc_lo, v5
	v_and_b32_e32 v98, v98, v99
	v_and_b32_e32 v99, v97, v5
	v_lshlrev_b32_e32 v5, 24, v96
	v_cmp_gt_i64_e32 vcc, 0, v[4:5]
	v_not_b32_e32 v5, v5
	v_ashrrev_i32_e32 v5, 31, v5
	v_xor_b32_e32 v96, vcc_hi, v5
	v_xor_b32_e32 v5, vcc_lo, v5
	v_and_b32_e32 v97, v98, v96
	v_and_b32_e32 v96, v99, v5
	v_mbcnt_lo_u32_b32 v5, v96, 0
	v_mbcnt_hi_u32_b32 v212, v97, v5
	v_cmp_eq_u32_e32 vcc, 0, v212
	v_cmp_ne_u64_e64 s[36:37], 0, v[96:97]
	s_and_b64 s[38:39], s[36:37], vcc
	; wave barrier
	s_and_saveexec_b64 s[36:37], s[38:39]
	s_cbranch_execz .LBB1222_744
; %bb.743:                              ;   in Loop: Header=BB1222_688 Depth=2
	v_bcnt_u32_b32 v5, v96, 0
	v_bcnt_u32_b32 v5, v97, v5
	s_waitcnt lgkmcnt(0)
	v_add_u32_e32 v5, v210, v5
	ds_write_b32 v211, v5
.LBB1222_744:                           ;   in Loop: Header=BB1222_688 Depth=2
	s_or_b64 exec, exec, s[36:37]
	s_waitcnt vmcnt(4)
	v_cmp_lt_i64_e32 vcc, -1, v[84:85]
	v_cndmask_b32_e32 v5, -1, v133, vcc
	v_ashrrev_i32_e32 v96, 31, v85
	v_xor_b32_e32 v85, v5, v85
	v_xor_b32_e32 v84, v96, v84
	v_cmp_ne_u64_e32 vcc, s[78:79], v[84:85]
	v_cndmask_b32_e32 v97, v133, v85, vcc
	v_cndmask_b32_e32 v96, 0, v84, vcc
	v_lshrrev_b64 v[96:97], s84, v[96:97]
	v_and_b32_e32 v96, s68, v96
	v_mul_u32_u24_e32 v5, 5, v96
	v_add_lshl_u32 v5, v5, v177, 2
	; wave barrier
	v_add_u32_e32 v214, 0x410, v5
	ds_read_b32 v213, v5 offset:1040
	v_and_b32_e32 v5, 1, v96
	v_add_co_u32_e32 v97, vcc, -1, v5
	v_addc_co_u32_e64 v98, s[36:37], 0, -1, vcc
	v_cmp_ne_u32_e32 vcc, 0, v5
	v_xor_b32_e32 v5, vcc_hi, v98
	v_and_b32_e32 v98, exec_hi, v5
	v_lshlrev_b32_e32 v5, 30, v96
	v_xor_b32_e32 v97, vcc_lo, v97
	v_cmp_gt_i64_e32 vcc, 0, v[4:5]
	v_not_b32_e32 v5, v5
	v_ashrrev_i32_e32 v5, 31, v5
	v_and_b32_e32 v97, exec_lo, v97
	v_xor_b32_e32 v99, vcc_hi, v5
	v_xor_b32_e32 v5, vcc_lo, v5
	v_and_b32_e32 v97, v97, v5
	v_lshlrev_b32_e32 v5, 29, v96
	v_cmp_gt_i64_e32 vcc, 0, v[4:5]
	v_not_b32_e32 v5, v5
	v_ashrrev_i32_e32 v5, 31, v5
	v_and_b32_e32 v98, v98, v99
	v_xor_b32_e32 v99, vcc_hi, v5
	v_xor_b32_e32 v5, vcc_lo, v5
	v_and_b32_e32 v97, v97, v5
	v_lshlrev_b32_e32 v5, 28, v96
	v_cmp_gt_i64_e32 vcc, 0, v[4:5]
	v_not_b32_e32 v5, v5
	v_ashrrev_i32_e32 v5, 31, v5
	v_and_b32_e32 v98, v98, v99
	;; [unrolled: 8-line block ×5, first 2 shown]
	v_xor_b32_e32 v99, vcc_hi, v5
	v_xor_b32_e32 v5, vcc_lo, v5
	v_and_b32_e32 v98, v98, v99
	v_and_b32_e32 v99, v97, v5
	v_lshlrev_b32_e32 v5, 24, v96
	v_cmp_gt_i64_e32 vcc, 0, v[4:5]
	v_not_b32_e32 v5, v5
	v_ashrrev_i32_e32 v5, 31, v5
	v_xor_b32_e32 v96, vcc_hi, v5
	v_xor_b32_e32 v5, vcc_lo, v5
	v_and_b32_e32 v97, v98, v96
	v_and_b32_e32 v96, v99, v5
	v_mbcnt_lo_u32_b32 v5, v96, 0
	v_mbcnt_hi_u32_b32 v215, v97, v5
	v_cmp_eq_u32_e32 vcc, 0, v215
	v_cmp_ne_u64_e64 s[36:37], 0, v[96:97]
	s_and_b64 s[38:39], s[36:37], vcc
	; wave barrier
	s_and_saveexec_b64 s[36:37], s[38:39]
	s_cbranch_execz .LBB1222_746
; %bb.745:                              ;   in Loop: Header=BB1222_688 Depth=2
	v_bcnt_u32_b32 v5, v96, 0
	v_bcnt_u32_b32 v5, v97, v5
	s_waitcnt lgkmcnt(0)
	v_add_u32_e32 v5, v213, v5
	ds_write_b32 v214, v5
.LBB1222_746:                           ;   in Loop: Header=BB1222_688 Depth=2
	s_or_b64 exec, exec, s[36:37]
	s_waitcnt vmcnt(3)
	v_cmp_lt_i64_e32 vcc, -1, v[80:81]
	v_cndmask_b32_e32 v5, -1, v133, vcc
	v_ashrrev_i32_e32 v96, 31, v81
	v_xor_b32_e32 v81, v5, v81
	v_xor_b32_e32 v80, v96, v80
	v_cmp_ne_u64_e32 vcc, s[78:79], v[80:81]
	v_cndmask_b32_e32 v97, v133, v81, vcc
	v_cndmask_b32_e32 v96, 0, v80, vcc
	v_lshrrev_b64 v[96:97], s84, v[96:97]
	v_and_b32_e32 v96, s68, v96
	v_mul_u32_u24_e32 v5, 5, v96
	v_add_lshl_u32 v5, v5, v177, 2
	; wave barrier
	v_add_u32_e32 v217, 0x410, v5
	ds_read_b32 v216, v5 offset:1040
	v_and_b32_e32 v5, 1, v96
	v_add_co_u32_e32 v97, vcc, -1, v5
	v_addc_co_u32_e64 v98, s[36:37], 0, -1, vcc
	v_cmp_ne_u32_e32 vcc, 0, v5
	v_xor_b32_e32 v5, vcc_hi, v98
	v_and_b32_e32 v98, exec_hi, v5
	v_lshlrev_b32_e32 v5, 30, v96
	v_xor_b32_e32 v97, vcc_lo, v97
	v_cmp_gt_i64_e32 vcc, 0, v[4:5]
	v_not_b32_e32 v5, v5
	v_ashrrev_i32_e32 v5, 31, v5
	v_and_b32_e32 v97, exec_lo, v97
	v_xor_b32_e32 v99, vcc_hi, v5
	v_xor_b32_e32 v5, vcc_lo, v5
	v_and_b32_e32 v97, v97, v5
	v_lshlrev_b32_e32 v5, 29, v96
	v_cmp_gt_i64_e32 vcc, 0, v[4:5]
	v_not_b32_e32 v5, v5
	v_ashrrev_i32_e32 v5, 31, v5
	v_and_b32_e32 v98, v98, v99
	v_xor_b32_e32 v99, vcc_hi, v5
	v_xor_b32_e32 v5, vcc_lo, v5
	v_and_b32_e32 v97, v97, v5
	v_lshlrev_b32_e32 v5, 28, v96
	v_cmp_gt_i64_e32 vcc, 0, v[4:5]
	v_not_b32_e32 v5, v5
	v_ashrrev_i32_e32 v5, 31, v5
	v_and_b32_e32 v98, v98, v99
	;; [unrolled: 8-line block ×5, first 2 shown]
	v_xor_b32_e32 v99, vcc_hi, v5
	v_xor_b32_e32 v5, vcc_lo, v5
	v_and_b32_e32 v98, v98, v99
	v_and_b32_e32 v99, v97, v5
	v_lshlrev_b32_e32 v5, 24, v96
	v_cmp_gt_i64_e32 vcc, 0, v[4:5]
	v_not_b32_e32 v5, v5
	v_ashrrev_i32_e32 v5, 31, v5
	v_xor_b32_e32 v96, vcc_hi, v5
	v_xor_b32_e32 v5, vcc_lo, v5
	v_and_b32_e32 v97, v98, v96
	v_and_b32_e32 v96, v99, v5
	v_mbcnt_lo_u32_b32 v5, v96, 0
	v_mbcnt_hi_u32_b32 v218, v97, v5
	v_cmp_eq_u32_e32 vcc, 0, v218
	v_cmp_ne_u64_e64 s[36:37], 0, v[96:97]
	s_and_b64 s[38:39], s[36:37], vcc
	; wave barrier
	s_and_saveexec_b64 s[36:37], s[38:39]
	s_cbranch_execz .LBB1222_748
; %bb.747:                              ;   in Loop: Header=BB1222_688 Depth=2
	v_bcnt_u32_b32 v5, v96, 0
	v_bcnt_u32_b32 v5, v97, v5
	s_waitcnt lgkmcnt(0)
	v_add_u32_e32 v5, v216, v5
	ds_write_b32 v217, v5
.LBB1222_748:                           ;   in Loop: Header=BB1222_688 Depth=2
	s_or_b64 exec, exec, s[36:37]
	s_waitcnt vmcnt(2)
	v_cmp_lt_i64_e32 vcc, -1, v[76:77]
	v_cndmask_b32_e32 v5, -1, v133, vcc
	v_ashrrev_i32_e32 v96, 31, v77
	v_xor_b32_e32 v77, v5, v77
	v_xor_b32_e32 v76, v96, v76
	v_cmp_ne_u64_e32 vcc, s[78:79], v[76:77]
	v_cndmask_b32_e32 v97, v133, v77, vcc
	v_cndmask_b32_e32 v96, 0, v76, vcc
	v_lshrrev_b64 v[96:97], s84, v[96:97]
	v_and_b32_e32 v96, s68, v96
	v_mul_u32_u24_e32 v5, 5, v96
	v_add_lshl_u32 v5, v5, v177, 2
	; wave barrier
	v_add_u32_e32 v220, 0x410, v5
	ds_read_b32 v219, v5 offset:1040
	v_and_b32_e32 v5, 1, v96
	v_add_co_u32_e32 v97, vcc, -1, v5
	v_addc_co_u32_e64 v98, s[36:37], 0, -1, vcc
	v_cmp_ne_u32_e32 vcc, 0, v5
	v_xor_b32_e32 v5, vcc_hi, v98
	v_and_b32_e32 v98, exec_hi, v5
	v_lshlrev_b32_e32 v5, 30, v96
	v_xor_b32_e32 v97, vcc_lo, v97
	v_cmp_gt_i64_e32 vcc, 0, v[4:5]
	v_not_b32_e32 v5, v5
	v_ashrrev_i32_e32 v5, 31, v5
	v_and_b32_e32 v97, exec_lo, v97
	v_xor_b32_e32 v99, vcc_hi, v5
	v_xor_b32_e32 v5, vcc_lo, v5
	v_and_b32_e32 v97, v97, v5
	v_lshlrev_b32_e32 v5, 29, v96
	v_cmp_gt_i64_e32 vcc, 0, v[4:5]
	v_not_b32_e32 v5, v5
	v_ashrrev_i32_e32 v5, 31, v5
	v_and_b32_e32 v98, v98, v99
	v_xor_b32_e32 v99, vcc_hi, v5
	v_xor_b32_e32 v5, vcc_lo, v5
	v_and_b32_e32 v97, v97, v5
	v_lshlrev_b32_e32 v5, 28, v96
	v_cmp_gt_i64_e32 vcc, 0, v[4:5]
	v_not_b32_e32 v5, v5
	v_ashrrev_i32_e32 v5, 31, v5
	v_and_b32_e32 v98, v98, v99
	;; [unrolled: 8-line block ×5, first 2 shown]
	v_xor_b32_e32 v99, vcc_hi, v5
	v_xor_b32_e32 v5, vcc_lo, v5
	v_and_b32_e32 v98, v98, v99
	v_and_b32_e32 v99, v97, v5
	v_lshlrev_b32_e32 v5, 24, v96
	v_cmp_gt_i64_e32 vcc, 0, v[4:5]
	v_not_b32_e32 v5, v5
	v_ashrrev_i32_e32 v5, 31, v5
	v_xor_b32_e32 v96, vcc_hi, v5
	v_xor_b32_e32 v5, vcc_lo, v5
	v_and_b32_e32 v97, v98, v96
	v_and_b32_e32 v96, v99, v5
	v_mbcnt_lo_u32_b32 v5, v96, 0
	v_mbcnt_hi_u32_b32 v221, v97, v5
	v_cmp_eq_u32_e32 vcc, 0, v221
	v_cmp_ne_u64_e64 s[36:37], 0, v[96:97]
	s_and_b64 s[38:39], s[36:37], vcc
	; wave barrier
	s_and_saveexec_b64 s[36:37], s[38:39]
	s_cbranch_execz .LBB1222_750
; %bb.749:                              ;   in Loop: Header=BB1222_688 Depth=2
	v_bcnt_u32_b32 v5, v96, 0
	v_bcnt_u32_b32 v5, v97, v5
	s_waitcnt lgkmcnt(0)
	v_add_u32_e32 v5, v219, v5
	ds_write_b32 v220, v5
.LBB1222_750:                           ;   in Loop: Header=BB1222_688 Depth=2
	s_or_b64 exec, exec, s[36:37]
	s_waitcnt vmcnt(1)
	v_cmp_lt_i64_e32 vcc, -1, v[72:73]
	v_cndmask_b32_e32 v5, -1, v133, vcc
	v_ashrrev_i32_e32 v96, 31, v73
	v_xor_b32_e32 v73, v5, v73
	v_xor_b32_e32 v72, v96, v72
	v_cmp_ne_u64_e32 vcc, s[78:79], v[72:73]
	v_cndmask_b32_e32 v97, v133, v73, vcc
	v_cndmask_b32_e32 v96, 0, v72, vcc
	v_lshrrev_b64 v[96:97], s84, v[96:97]
	v_and_b32_e32 v96, s68, v96
	v_mul_u32_u24_e32 v5, 5, v96
	v_add_lshl_u32 v5, v5, v177, 2
	; wave barrier
	v_add_u32_e32 v223, 0x410, v5
	ds_read_b32 v222, v5 offset:1040
	v_and_b32_e32 v5, 1, v96
	v_add_co_u32_e32 v97, vcc, -1, v5
	v_addc_co_u32_e64 v98, s[36:37], 0, -1, vcc
	v_cmp_ne_u32_e32 vcc, 0, v5
	v_xor_b32_e32 v5, vcc_hi, v98
	v_and_b32_e32 v98, exec_hi, v5
	v_lshlrev_b32_e32 v5, 30, v96
	v_xor_b32_e32 v97, vcc_lo, v97
	v_cmp_gt_i64_e32 vcc, 0, v[4:5]
	v_not_b32_e32 v5, v5
	v_ashrrev_i32_e32 v5, 31, v5
	v_and_b32_e32 v97, exec_lo, v97
	v_xor_b32_e32 v99, vcc_hi, v5
	v_xor_b32_e32 v5, vcc_lo, v5
	v_and_b32_e32 v97, v97, v5
	v_lshlrev_b32_e32 v5, 29, v96
	v_cmp_gt_i64_e32 vcc, 0, v[4:5]
	v_not_b32_e32 v5, v5
	v_ashrrev_i32_e32 v5, 31, v5
	v_and_b32_e32 v98, v98, v99
	v_xor_b32_e32 v99, vcc_hi, v5
	v_xor_b32_e32 v5, vcc_lo, v5
	v_and_b32_e32 v97, v97, v5
	v_lshlrev_b32_e32 v5, 28, v96
	v_cmp_gt_i64_e32 vcc, 0, v[4:5]
	v_not_b32_e32 v5, v5
	v_ashrrev_i32_e32 v5, 31, v5
	v_and_b32_e32 v98, v98, v99
	v_xor_b32_e32 v99, vcc_hi, v5
	v_xor_b32_e32 v5, vcc_lo, v5
	v_and_b32_e32 v97, v97, v5
	v_lshlrev_b32_e32 v5, 27, v96
	v_cmp_gt_i64_e32 vcc, 0, v[4:5]
	v_not_b32_e32 v5, v5
	v_ashrrev_i32_e32 v5, 31, v5
	v_and_b32_e32 v98, v98, v99
	v_xor_b32_e32 v99, vcc_hi, v5
	v_xor_b32_e32 v5, vcc_lo, v5
	v_and_b32_e32 v97, v97, v5
	v_lshlrev_b32_e32 v5, 26, v96
	v_cmp_gt_i64_e32 vcc, 0, v[4:5]
	v_not_b32_e32 v5, v5
	v_ashrrev_i32_e32 v5, 31, v5
	v_and_b32_e32 v98, v98, v99
	v_xor_b32_e32 v99, vcc_hi, v5
	v_xor_b32_e32 v5, vcc_lo, v5
	v_and_b32_e32 v97, v97, v5
	v_lshlrev_b32_e32 v5, 25, v96
	v_cmp_gt_i64_e32 vcc, 0, v[4:5]
	v_not_b32_e32 v5, v5
	v_ashrrev_i32_e32 v5, 31, v5
	v_and_b32_e32 v98, v98, v99
	v_xor_b32_e32 v99, vcc_hi, v5
	v_xor_b32_e32 v5, vcc_lo, v5
	v_and_b32_e32 v98, v98, v99
	v_and_b32_e32 v99, v97, v5
	v_lshlrev_b32_e32 v5, 24, v96
	v_cmp_gt_i64_e32 vcc, 0, v[4:5]
	v_not_b32_e32 v5, v5
	v_ashrrev_i32_e32 v5, 31, v5
	v_xor_b32_e32 v96, vcc_hi, v5
	v_xor_b32_e32 v5, vcc_lo, v5
	v_and_b32_e32 v97, v98, v96
	v_and_b32_e32 v96, v99, v5
	v_mbcnt_lo_u32_b32 v5, v96, 0
	v_mbcnt_hi_u32_b32 v224, v97, v5
	v_cmp_eq_u32_e32 vcc, 0, v224
	v_cmp_ne_u64_e64 s[36:37], 0, v[96:97]
	s_and_b64 s[38:39], s[36:37], vcc
	; wave barrier
	s_and_saveexec_b64 s[36:37], s[38:39]
	s_cbranch_execz .LBB1222_752
; %bb.751:                              ;   in Loop: Header=BB1222_688 Depth=2
	v_bcnt_u32_b32 v5, v96, 0
	v_bcnt_u32_b32 v5, v97, v5
	s_waitcnt lgkmcnt(0)
	v_add_u32_e32 v5, v222, v5
	ds_write_b32 v223, v5
.LBB1222_752:                           ;   in Loop: Header=BB1222_688 Depth=2
	s_or_b64 exec, exec, s[36:37]
	s_waitcnt vmcnt(0)
	v_cmp_lt_i64_e32 vcc, -1, v[68:69]
	v_cndmask_b32_e32 v5, -1, v133, vcc
	v_ashrrev_i32_e32 v96, 31, v69
	v_xor_b32_e32 v69, v5, v69
	v_xor_b32_e32 v68, v96, v68
	v_cmp_ne_u64_e32 vcc, s[78:79], v[68:69]
	v_cndmask_b32_e32 v97, v133, v69, vcc
	v_cndmask_b32_e32 v96, 0, v68, vcc
	v_lshrrev_b64 v[96:97], s84, v[96:97]
	v_and_b32_e32 v96, s68, v96
	v_mul_u32_u24_e32 v5, 5, v96
	v_add_lshl_u32 v5, v5, v177, 2
	; wave barrier
	v_add_u32_e32 v226, 0x410, v5
	ds_read_b32 v225, v5 offset:1040
	v_and_b32_e32 v5, 1, v96
	v_add_co_u32_e32 v97, vcc, -1, v5
	v_addc_co_u32_e64 v98, s[36:37], 0, -1, vcc
	v_cmp_ne_u32_e32 vcc, 0, v5
	v_xor_b32_e32 v5, vcc_hi, v98
	v_and_b32_e32 v98, exec_hi, v5
	v_lshlrev_b32_e32 v5, 30, v96
	v_xor_b32_e32 v97, vcc_lo, v97
	v_cmp_gt_i64_e32 vcc, 0, v[4:5]
	v_not_b32_e32 v5, v5
	v_ashrrev_i32_e32 v5, 31, v5
	v_and_b32_e32 v97, exec_lo, v97
	v_xor_b32_e32 v99, vcc_hi, v5
	v_xor_b32_e32 v5, vcc_lo, v5
	v_and_b32_e32 v97, v97, v5
	v_lshlrev_b32_e32 v5, 29, v96
	v_cmp_gt_i64_e32 vcc, 0, v[4:5]
	v_not_b32_e32 v5, v5
	v_ashrrev_i32_e32 v5, 31, v5
	v_and_b32_e32 v98, v98, v99
	v_xor_b32_e32 v99, vcc_hi, v5
	v_xor_b32_e32 v5, vcc_lo, v5
	v_and_b32_e32 v97, v97, v5
	v_lshlrev_b32_e32 v5, 28, v96
	v_cmp_gt_i64_e32 vcc, 0, v[4:5]
	v_not_b32_e32 v5, v5
	v_ashrrev_i32_e32 v5, 31, v5
	v_and_b32_e32 v98, v98, v99
	;; [unrolled: 8-line block ×5, first 2 shown]
	v_xor_b32_e32 v99, vcc_hi, v5
	v_xor_b32_e32 v5, vcc_lo, v5
	v_and_b32_e32 v98, v98, v99
	v_and_b32_e32 v99, v97, v5
	v_lshlrev_b32_e32 v5, 24, v96
	v_cmp_gt_i64_e32 vcc, 0, v[4:5]
	v_not_b32_e32 v5, v5
	v_ashrrev_i32_e32 v5, 31, v5
	v_xor_b32_e32 v96, vcc_hi, v5
	v_xor_b32_e32 v5, vcc_lo, v5
	v_and_b32_e32 v97, v98, v96
	v_and_b32_e32 v96, v99, v5
	v_mbcnt_lo_u32_b32 v5, v96, 0
	v_mbcnt_hi_u32_b32 v227, v97, v5
	v_cmp_eq_u32_e32 vcc, 0, v227
	v_cmp_ne_u64_e64 s[36:37], 0, v[96:97]
	s_and_b64 s[38:39], s[36:37], vcc
	; wave barrier
	s_and_saveexec_b64 s[36:37], s[38:39]
	s_cbranch_execz .LBB1222_754
; %bb.753:                              ;   in Loop: Header=BB1222_688 Depth=2
	v_bcnt_u32_b32 v5, v96, 0
	v_bcnt_u32_b32 v5, v97, v5
	s_waitcnt lgkmcnt(0)
	v_add_u32_e32 v5, v225, v5
	ds_write_b32 v226, v5
.LBB1222_754:                           ;   in Loop: Header=BB1222_688 Depth=2
	s_or_b64 exec, exec, s[36:37]
	v_cmp_lt_i64_e32 vcc, -1, v[70:71]
	v_cndmask_b32_e32 v5, -1, v133, vcc
	v_ashrrev_i32_e32 v96, 31, v71
	v_xor_b32_e32 v71, v5, v71
	v_xor_b32_e32 v70, v96, v70
	v_cmp_ne_u64_e32 vcc, s[78:79], v[70:71]
	v_cndmask_b32_e32 v97, v133, v71, vcc
	v_cndmask_b32_e32 v96, 0, v70, vcc
	v_lshrrev_b64 v[96:97], s84, v[96:97]
	v_and_b32_e32 v96, s68, v96
	v_mul_u32_u24_e32 v5, 5, v96
	v_add_lshl_u32 v5, v5, v177, 2
	; wave barrier
	v_add_u32_e32 v229, 0x410, v5
	ds_read_b32 v228, v5 offset:1040
	v_and_b32_e32 v5, 1, v96
	v_add_co_u32_e32 v97, vcc, -1, v5
	v_addc_co_u32_e64 v98, s[36:37], 0, -1, vcc
	v_cmp_ne_u32_e32 vcc, 0, v5
	v_xor_b32_e32 v5, vcc_hi, v98
	v_and_b32_e32 v98, exec_hi, v5
	v_lshlrev_b32_e32 v5, 30, v96
	v_xor_b32_e32 v97, vcc_lo, v97
	v_cmp_gt_i64_e32 vcc, 0, v[4:5]
	v_not_b32_e32 v5, v5
	v_ashrrev_i32_e32 v5, 31, v5
	v_and_b32_e32 v97, exec_lo, v97
	v_xor_b32_e32 v99, vcc_hi, v5
	v_xor_b32_e32 v5, vcc_lo, v5
	v_and_b32_e32 v97, v97, v5
	v_lshlrev_b32_e32 v5, 29, v96
	v_cmp_gt_i64_e32 vcc, 0, v[4:5]
	v_not_b32_e32 v5, v5
	v_ashrrev_i32_e32 v5, 31, v5
	v_and_b32_e32 v98, v98, v99
	v_xor_b32_e32 v99, vcc_hi, v5
	v_xor_b32_e32 v5, vcc_lo, v5
	v_and_b32_e32 v97, v97, v5
	v_lshlrev_b32_e32 v5, 28, v96
	v_cmp_gt_i64_e32 vcc, 0, v[4:5]
	v_not_b32_e32 v5, v5
	v_ashrrev_i32_e32 v5, 31, v5
	v_and_b32_e32 v98, v98, v99
	v_xor_b32_e32 v99, vcc_hi, v5
	v_xor_b32_e32 v5, vcc_lo, v5
	v_and_b32_e32 v97, v97, v5
	v_lshlrev_b32_e32 v5, 27, v96
	v_cmp_gt_i64_e32 vcc, 0, v[4:5]
	v_not_b32_e32 v5, v5
	v_ashrrev_i32_e32 v5, 31, v5
	v_and_b32_e32 v98, v98, v99
	v_xor_b32_e32 v99, vcc_hi, v5
	v_xor_b32_e32 v5, vcc_lo, v5
	v_and_b32_e32 v97, v97, v5
	v_lshlrev_b32_e32 v5, 26, v96
	v_cmp_gt_i64_e32 vcc, 0, v[4:5]
	v_not_b32_e32 v5, v5
	v_ashrrev_i32_e32 v5, 31, v5
	v_and_b32_e32 v98, v98, v99
	v_xor_b32_e32 v99, vcc_hi, v5
	v_xor_b32_e32 v5, vcc_lo, v5
	v_and_b32_e32 v97, v97, v5
	v_lshlrev_b32_e32 v5, 25, v96
	v_cmp_gt_i64_e32 vcc, 0, v[4:5]
	v_not_b32_e32 v5, v5
	v_ashrrev_i32_e32 v5, 31, v5
	v_and_b32_e32 v98, v98, v99
	v_xor_b32_e32 v99, vcc_hi, v5
	v_xor_b32_e32 v5, vcc_lo, v5
	v_and_b32_e32 v98, v98, v99
	v_and_b32_e32 v99, v97, v5
	v_lshlrev_b32_e32 v5, 24, v96
	v_cmp_gt_i64_e32 vcc, 0, v[4:5]
	v_not_b32_e32 v5, v5
	v_ashrrev_i32_e32 v5, 31, v5
	v_xor_b32_e32 v96, vcc_hi, v5
	v_xor_b32_e32 v5, vcc_lo, v5
	v_and_b32_e32 v97, v98, v96
	v_and_b32_e32 v96, v99, v5
	v_mbcnt_lo_u32_b32 v5, v96, 0
	v_mbcnt_hi_u32_b32 v230, v97, v5
	v_cmp_eq_u32_e32 vcc, 0, v230
	v_cmp_ne_u64_e64 s[36:37], 0, v[96:97]
	s_and_b64 s[38:39], s[36:37], vcc
	; wave barrier
	s_and_saveexec_b64 s[36:37], s[38:39]
	s_cbranch_execz .LBB1222_756
; %bb.755:                              ;   in Loop: Header=BB1222_688 Depth=2
	v_bcnt_u32_b32 v5, v96, 0
	v_bcnt_u32_b32 v5, v97, v5
	s_waitcnt lgkmcnt(0)
	v_add_u32_e32 v5, v228, v5
	ds_write_b32 v229, v5
.LBB1222_756:                           ;   in Loop: Header=BB1222_688 Depth=2
	s_or_b64 exec, exec, s[36:37]
	; wave barrier
	s_waitcnt lgkmcnt(0)
	s_barrier
	ds_read_b32 v5, v27 offset:1040
	ds_read2_b32 v[98:99], v31 offset0:1 offset1:2
	ds_read2_b32 v[96:97], v31 offset0:3 offset1:4
	s_waitcnt lgkmcnt(1)
	v_add3_u32 v231, v98, v5, v99
	s_waitcnt lgkmcnt(0)
	v_add3_u32 v97, v231, v96, v97
	s_nop 1
	v_mov_b32_dpp v231, v97 row_shr:1 row_mask:0xf bank_mask:0xf
	v_cndmask_b32_e64 v231, v231, 0, s[16:17]
	v_add_u32_e32 v97, v231, v97
	s_nop 1
	v_mov_b32_dpp v231, v97 row_shr:2 row_mask:0xf bank_mask:0xf
	v_cndmask_b32_e64 v231, 0, v231, s[18:19]
	v_add_u32_e32 v97, v97, v231
	;; [unrolled: 4-line block ×4, first 2 shown]
	s_nop 1
	v_mov_b32_dpp v231, v97 row_bcast:15 row_mask:0xf bank_mask:0xf
	v_cndmask_b32_e64 v231, v231, 0, s[24:25]
	v_add_u32_e32 v97, v97, v231
	s_nop 1
	v_mov_b32_dpp v231, v97 row_bcast:31 row_mask:0xf bank_mask:0xf
	v_cndmask_b32_e64 v231, 0, v231, s[26:27]
	v_add_u32_e32 v97, v97, v231
	s_and_saveexec_b64 s[36:37], s[6:7]
	s_cbranch_execz .LBB1222_758
; %bb.757:                              ;   in Loop: Header=BB1222_688 Depth=2
	ds_write_b32 v15, v97 offset:1024
.LBB1222_758:                           ;   in Loop: Header=BB1222_688 Depth=2
	s_or_b64 exec, exec, s[36:37]
	s_waitcnt lgkmcnt(0)
	s_barrier
	s_and_saveexec_b64 s[36:37], s[8:9]
	s_cbranch_execz .LBB1222_760
; %bb.759:                              ;   in Loop: Header=BB1222_688 Depth=2
	ds_read_b32 v231, v33 offset:1024
	s_waitcnt lgkmcnt(0)
	s_nop 0
	v_mov_b32_dpp v232, v231 row_shr:1 row_mask:0xf bank_mask:0xf
	v_cndmask_b32_e64 v232, v232, 0, s[30:31]
	v_add_u32_e32 v231, v232, v231
	s_nop 1
	v_mov_b32_dpp v232, v231 row_shr:2 row_mask:0xf bank_mask:0xf
	v_cndmask_b32_e64 v232, 0, v232, s[34:35]
	v_add_u32_e32 v231, v231, v232
	ds_write_b32 v33, v231 offset:1024
.LBB1222_760:                           ;   in Loop: Header=BB1222_688 Depth=2
	s_or_b64 exec, exec, s[36:37]
	v_mov_b32_e32 v231, 0
	s_waitcnt lgkmcnt(0)
	s_barrier
	s_and_saveexec_b64 s[36:37], s[10:11]
	s_cbranch_execz .LBB1222_762
; %bb.761:                              ;   in Loop: Header=BB1222_688 Depth=2
	ds_read_b32 v231, v15 offset:1020
.LBB1222_762:                           ;   in Loop: Header=BB1222_688 Depth=2
	s_or_b64 exec, exec, s[36:37]
	s_waitcnt lgkmcnt(0)
	v_add_u32_e32 v97, v231, v97
	ds_bpermute_b32 v97, v159, v97
	s_waitcnt lgkmcnt(0)
	v_cndmask_b32_e64 v97, v97, v231, s[28:29]
	v_cndmask_b32_e64 v97, v97, 0, s[12:13]
	v_add_u32_e32 v5, v97, v5
	ds_write_b32 v27, v97 offset:1040
	v_add_u32_e32 v97, v5, v98
	v_add_u32_e32 v98, v97, v99
	ds_write2_b32 v31, v5, v97 offset0:1 offset1:2
	v_add_u32_e32 v5, v98, v96
	ds_write2_b32 v31, v98, v5 offset0:3 offset1:4
	s_waitcnt lgkmcnt(0)
	s_barrier
	ds_read_b32 v97, v187
	ds_read_b32 v235, v190
	;; [unrolled: 1-line block ×16, first 2 shown]
	ds_read_b32 v184, v27 offset:1040
	v_mov_b32_e32 v5, 0x1000
	s_and_saveexec_b64 s[36:37], s[14:15]
	s_cbranch_execz .LBB1222_764
; %bb.763:                              ;   in Loop: Header=BB1222_688 Depth=2
	ds_read_b32 v5, v27 offset:1060
.LBB1222_764:                           ;   in Loop: Header=BB1222_688 Depth=2
	s_or_b64 exec, exec, s[36:37]
	s_waitcnt lgkmcnt(0)
	s_barrier
	s_and_saveexec_b64 s[36:37], s[4:5]
	s_cbranch_execz .LBB1222_766
; %bb.765:                              ;   in Loop: Header=BB1222_688 Depth=2
	ds_read_b32 v208, v3
	s_waitcnt lgkmcnt(0)
	v_sub_u32_e32 v184, v208, v184
	ds_write_b32 v3, v184
.LBB1222_766:                           ;   in Loop: Header=BB1222_688 Depth=2
	s_or_b64 exec, exec, s[36:37]
	v_add_u32_e32 v186, v188, v186
	v_add_u32_e32 v189, v191, v189
	v_add_lshl_u32 v96, v96, v185, 3
	v_add_lshl_u32 v97, v186, v97, 3
	v_add_u32_e32 v198, v200, v198
	v_add_u32_e32 v195, v197, v195
	;; [unrolled: 1-line block ×3, first 2 shown]
	ds_write_b64 v96, v[64:65] offset:1024
	ds_write_b64 v97, v[66:67] offset:1024
	v_add_lshl_u32 v66, v189, v235, 3
	v_add_u32_e32 v213, v215, v213
	v_add_u32_e32 v210, v212, v210
	;; [unrolled: 1-line block ×5, first 2 shown]
	ds_write_b64 v66, v[74:75] offset:1024
	v_add_lshl_u32 v67, v192, v234, 3
	v_add_lshl_u32 v74, v195, v233, 3
	;; [unrolled: 1-line block ×3, first 2 shown]
	v_add_u32_e32 v216, v218, v216
	ds_write_b64 v67, v[78:79] offset:1024
	ds_write_b64 v74, v[82:83] offset:1024
	;; [unrolled: 1-line block ×3, first 2 shown]
	v_add_lshl_u32 v78, v201, v231, 3
	v_add_lshl_u32 v79, v204, v205, 3
	;; [unrolled: 1-line block ×5, first 2 shown]
	v_add_u32_e32 v214, v221, v219
	ds_write_b64 v78, v[90:91] offset:1024
	ds_write_b64 v79, v[94:95] offset:1024
	;; [unrolled: 1-line block ×5, first 2 shown]
	v_add_lshl_u32 v84, v216, v193, 3
	v_add_u32_e32 v211, v224, v222
	ds_write_b64 v84, v[80:81] offset:1024
	v_add_lshl_u32 v80, v214, v190, 3
	v_add_u32_e32 v208, v227, v225
	ds_write_b64 v80, v[76:77] offset:1024
	;; [unrolled: 3-line block ×3, first 2 shown]
	v_add_lshl_u32 v72, v208, v99, 3
	ds_write_b64 v72, v[68:69] offset:1024
	v_add_lshl_u32 v68, v184, v98, 3
	v_cmp_lt_u32_e64 s[36:37], v2, v183
	ds_write_b64 v68, v[70:71] offset:1024
	s_waitcnt lgkmcnt(0)
	s_barrier
	s_and_saveexec_b64 s[40:41], s[36:37]
	s_cbranch_execz .LBB1222_782
; %bb.767:                              ;   in Loop: Header=BB1222_688 Depth=2
	v_add_u32_e32 v64, v33, v3
	ds_read_b64 v[64:65], v64 offset:1024
	v_mov_b32_e32 v71, v4
	s_waitcnt lgkmcnt(0)
	v_cmp_ne_u64_e32 vcc, s[78:79], v[64:65]
	v_cndmask_b32_e32 v89, v133, v65, vcc
	v_cndmask_b32_e32 v88, 0, v64, vcc
	v_lshrrev_b64 v[88:89], s84, v[88:89]
	v_and_b32_e32 v70, s68, v88
	v_lshlrev_b32_e32 v70, 2, v70
	ds_read_b32 v70, v70
	v_cmp_lt_i64_e64 s[38:39], -1, v[64:65]
	v_cndmask_b32_e64 v69, v133, -1, s[38:39]
	v_ashrrev_i32_e32 v73, 31, v65
	v_not_b32_e32 v73, v73
	s_waitcnt lgkmcnt(0)
	v_add_u32_e32 v70, v70, v2
	v_lshlrev_b64 v[70:71], 3, v[70:71]
	v_xor_b32_e32 v65, v69, v65
	v_mov_b32_e32 v69, s75
	v_add_co_u32_e32 v70, vcc, s74, v70
	v_xor_b32_e32 v64, v73, v64
	v_addc_co_u32_e32 v71, vcc, v69, v71, vcc
	global_store_dwordx2 v[70:71], v[64:65], off
	s_or_b64 exec, exec, s[40:41]
	v_cmp_lt_u32_e64 s[38:39], v7, v183
	s_and_saveexec_b64 s[42:43], s[38:39]
	s_cbranch_execnz .LBB1222_783
.LBB1222_768:                           ;   in Loop: Header=BB1222_688 Depth=2
	s_or_b64 exec, exec, s[42:43]
	v_cmp_lt_u32_e64 s[40:41], v6, v183
	s_and_saveexec_b64 s[44:45], s[40:41]
	s_cbranch_execz .LBB1222_784
.LBB1222_769:                           ;   in Loop: Header=BB1222_688 Depth=2
	ds_read_b64 v[64:65], v104 offset:4096
	v_mov_b32_e32 v71, v4
	s_waitcnt lgkmcnt(0)
	v_cmp_ne_u64_e32 vcc, s[78:79], v[64:65]
	v_cndmask_b32_e32 v89, v133, v65, vcc
	v_cndmask_b32_e32 v88, 0, v64, vcc
	v_lshrrev_b64 v[88:89], s84, v[88:89]
	v_and_b32_e32 v70, s68, v88
	v_lshlrev_b32_e32 v70, 2, v70
	ds_read_b32 v70, v70
	v_cmp_lt_i64_e64 s[42:43], -1, v[64:65]
	v_cndmask_b32_e64 v69, v133, -1, s[42:43]
	v_ashrrev_i32_e32 v73, 31, v65
	v_not_b32_e32 v73, v73
	s_waitcnt lgkmcnt(0)
	v_add_u32_e32 v70, v70, v6
	v_lshlrev_b64 v[70:71], 3, v[70:71]
	v_xor_b32_e32 v65, v69, v65
	v_mov_b32_e32 v69, s75
	v_add_co_u32_e32 v70, vcc, s74, v70
	v_xor_b32_e32 v64, v73, v64
	v_addc_co_u32_e32 v71, vcc, v69, v71, vcc
	global_store_dwordx2 v[70:71], v[64:65], off
	s_or_b64 exec, exec, s[44:45]
	v_cmp_lt_u32_e64 s[42:43], v8, v183
	s_and_saveexec_b64 s[46:47], s[42:43]
	s_cbranch_execnz .LBB1222_785
.LBB1222_770:                           ;   in Loop: Header=BB1222_688 Depth=2
	s_or_b64 exec, exec, s[46:47]
	v_cmp_lt_u32_e64 s[44:45], v10, v183
	s_and_saveexec_b64 s[48:49], s[44:45]
	s_cbranch_execz .LBB1222_786
.LBB1222_771:                           ;   in Loop: Header=BB1222_688 Depth=2
	ds_read_b64 v[64:65], v104 offset:8192
	v_mov_b32_e32 v71, v4
	s_waitcnt lgkmcnt(0)
	v_cmp_ne_u64_e32 vcc, s[78:79], v[64:65]
	v_cndmask_b32_e32 v89, v133, v65, vcc
	v_cndmask_b32_e32 v88, 0, v64, vcc
	v_lshrrev_b64 v[88:89], s84, v[88:89]
	v_and_b32_e32 v70, s68, v88
	v_lshlrev_b32_e32 v70, 2, v70
	ds_read_b32 v70, v70
	v_cmp_lt_i64_e64 s[46:47], -1, v[64:65]
	v_cndmask_b32_e64 v69, v133, -1, s[46:47]
	v_ashrrev_i32_e32 v73, 31, v65
	v_not_b32_e32 v73, v73
	s_waitcnt lgkmcnt(0)
	v_add_u32_e32 v70, v70, v10
	v_lshlrev_b64 v[70:71], 3, v[70:71]
	v_xor_b32_e32 v65, v69, v65
	v_mov_b32_e32 v69, s75
	v_add_co_u32_e32 v70, vcc, s74, v70
	v_xor_b32_e32 v64, v73, v64
	v_addc_co_u32_e32 v71, vcc, v69, v71, vcc
	global_store_dwordx2 v[70:71], v[64:65], off
	s_or_b64 exec, exec, s[48:49]
	v_cmp_lt_u32_e64 s[46:47], v12, v183
	s_and_saveexec_b64 s[50:51], s[46:47]
	s_cbranch_execnz .LBB1222_787
.LBB1222_772:                           ;   in Loop: Header=BB1222_688 Depth=2
	s_or_b64 exec, exec, s[50:51]
	v_cmp_lt_u32_e64 s[48:49], v14, v183
	s_and_saveexec_b64 s[52:53], s[48:49]
	s_cbranch_execz .LBB1222_788
.LBB1222_773:                           ;   in Loop: Header=BB1222_688 Depth=2
	ds_read_b64 v[64:65], v104 offset:12288
	v_mov_b32_e32 v71, v4
	s_waitcnt lgkmcnt(0)
	v_cmp_ne_u64_e32 vcc, s[78:79], v[64:65]
	v_cndmask_b32_e32 v89, v133, v65, vcc
	v_cndmask_b32_e32 v88, 0, v64, vcc
	v_lshrrev_b64 v[88:89], s84, v[88:89]
	v_and_b32_e32 v70, s68, v88
	v_lshlrev_b32_e32 v70, 2, v70
	ds_read_b32 v70, v70
	v_cmp_lt_i64_e64 s[50:51], -1, v[64:65]
	v_cndmask_b32_e64 v69, v133, -1, s[50:51]
	v_ashrrev_i32_e32 v73, 31, v65
	v_not_b32_e32 v73, v73
	s_waitcnt lgkmcnt(0)
	v_add_u32_e32 v70, v70, v14
	v_lshlrev_b64 v[70:71], 3, v[70:71]
	v_xor_b32_e32 v65, v69, v65
	v_mov_b32_e32 v69, s75
	v_add_co_u32_e32 v70, vcc, s74, v70
	v_xor_b32_e32 v64, v73, v64
	v_addc_co_u32_e32 v71, vcc, v69, v71, vcc
	global_store_dwordx2 v[70:71], v[64:65], off
	s_or_b64 exec, exec, s[52:53]
	v_cmp_lt_u32_e64 s[50:51], v16, v183
	s_and_saveexec_b64 s[54:55], s[50:51]
	s_cbranch_execnz .LBB1222_789
.LBB1222_774:                           ;   in Loop: Header=BB1222_688 Depth=2
	s_or_b64 exec, exec, s[54:55]
	v_cmp_lt_u32_e64 s[52:53], v18, v183
	s_and_saveexec_b64 s[56:57], s[52:53]
	s_cbranch_execz .LBB1222_790
.LBB1222_775:                           ;   in Loop: Header=BB1222_688 Depth=2
	ds_read_b64 v[64:65], v104 offset:16384
	v_mov_b32_e32 v71, v4
	s_waitcnt lgkmcnt(0)
	v_cmp_ne_u64_e32 vcc, s[78:79], v[64:65]
	v_cndmask_b32_e32 v89, v133, v65, vcc
	v_cndmask_b32_e32 v88, 0, v64, vcc
	v_lshrrev_b64 v[88:89], s84, v[88:89]
	v_and_b32_e32 v70, s68, v88
	v_lshlrev_b32_e32 v70, 2, v70
	ds_read_b32 v70, v70
	v_cmp_lt_i64_e64 s[54:55], -1, v[64:65]
	v_cndmask_b32_e64 v69, v133, -1, s[54:55]
	v_ashrrev_i32_e32 v73, 31, v65
	v_not_b32_e32 v73, v73
	s_waitcnt lgkmcnt(0)
	v_add_u32_e32 v70, v70, v18
	v_lshlrev_b64 v[70:71], 3, v[70:71]
	v_xor_b32_e32 v65, v69, v65
	v_mov_b32_e32 v69, s75
	v_add_co_u32_e32 v70, vcc, s74, v70
	v_xor_b32_e32 v64, v73, v64
	v_addc_co_u32_e32 v71, vcc, v69, v71, vcc
	global_store_dwordx2 v[70:71], v[64:65], off
	s_or_b64 exec, exec, s[56:57]
	v_cmp_lt_u32_e64 s[54:55], v20, v183
	s_and_saveexec_b64 s[58:59], s[54:55]
	s_cbranch_execnz .LBB1222_791
.LBB1222_776:                           ;   in Loop: Header=BB1222_688 Depth=2
	s_or_b64 exec, exec, s[58:59]
	v_cmp_lt_u32_e64 s[56:57], v22, v183
	s_and_saveexec_b64 s[60:61], s[56:57]
	s_cbranch_execz .LBB1222_792
.LBB1222_777:                           ;   in Loop: Header=BB1222_688 Depth=2
	ds_read_b64 v[64:65], v104 offset:20480
	v_mov_b32_e32 v71, v4
	s_waitcnt lgkmcnt(0)
	v_cmp_ne_u64_e32 vcc, s[78:79], v[64:65]
	v_cndmask_b32_e32 v89, v133, v65, vcc
	v_cndmask_b32_e32 v88, 0, v64, vcc
	v_lshrrev_b64 v[88:89], s84, v[88:89]
	v_and_b32_e32 v70, s68, v88
	v_lshlrev_b32_e32 v70, 2, v70
	ds_read_b32 v70, v70
	v_cmp_lt_i64_e64 s[58:59], -1, v[64:65]
	v_cndmask_b32_e64 v69, v133, -1, s[58:59]
	v_ashrrev_i32_e32 v73, 31, v65
	v_not_b32_e32 v73, v73
	s_waitcnt lgkmcnt(0)
	v_add_u32_e32 v70, v70, v22
	v_lshlrev_b64 v[70:71], 3, v[70:71]
	v_xor_b32_e32 v65, v69, v65
	v_mov_b32_e32 v69, s75
	v_add_co_u32_e32 v70, vcc, s74, v70
	v_xor_b32_e32 v64, v73, v64
	v_addc_co_u32_e32 v71, vcc, v69, v71, vcc
	global_store_dwordx2 v[70:71], v[64:65], off
	s_or_b64 exec, exec, s[60:61]
	v_cmp_lt_u32_e64 s[58:59], v24, v183
	s_and_saveexec_b64 s[62:63], s[58:59]
	s_cbranch_execnz .LBB1222_793
.LBB1222_778:                           ;   in Loop: Header=BB1222_688 Depth=2
	s_or_b64 exec, exec, s[62:63]
	v_cmp_lt_u32_e64 s[60:61], v26, v183
	s_and_saveexec_b64 s[64:65], s[60:61]
	s_cbranch_execz .LBB1222_794
.LBB1222_779:                           ;   in Loop: Header=BB1222_688 Depth=2
	ds_read_b64 v[64:65], v104 offset:24576
	v_mov_b32_e32 v71, v4
	s_waitcnt lgkmcnt(0)
	v_cmp_ne_u64_e32 vcc, s[78:79], v[64:65]
	v_cndmask_b32_e32 v89, v133, v65, vcc
	v_cndmask_b32_e32 v88, 0, v64, vcc
	v_lshrrev_b64 v[88:89], s84, v[88:89]
	v_and_b32_e32 v70, s68, v88
	v_lshlrev_b32_e32 v70, 2, v70
	ds_read_b32 v70, v70
	v_cmp_lt_i64_e64 s[62:63], -1, v[64:65]
	v_cndmask_b32_e64 v69, v133, -1, s[62:63]
	v_ashrrev_i32_e32 v73, 31, v65
	v_not_b32_e32 v73, v73
	s_waitcnt lgkmcnt(0)
	v_add_u32_e32 v70, v70, v26
	v_lshlrev_b64 v[70:71], 3, v[70:71]
	v_xor_b32_e32 v65, v69, v65
	v_mov_b32_e32 v69, s75
	v_add_co_u32_e32 v70, vcc, s74, v70
	v_xor_b32_e32 v64, v73, v64
	v_addc_co_u32_e32 v71, vcc, v69, v71, vcc
	global_store_dwordx2 v[70:71], v[64:65], off
	s_or_b64 exec, exec, s[64:65]
	v_cmp_lt_u32_e64 s[62:63], v28, v183
	s_and_saveexec_b64 s[66:67], s[62:63]
	s_cbranch_execnz .LBB1222_795
.LBB1222_780:                           ;   in Loop: Header=BB1222_688 Depth=2
	s_or_b64 exec, exec, s[66:67]
	v_cmp_lt_u32_e64 s[64:65], v30, v183
	s_and_saveexec_b64 s[92:93], s[64:65]
	s_cbranch_execz .LBB1222_796
.LBB1222_781:                           ;   in Loop: Header=BB1222_688 Depth=2
	ds_read_b64 v[64:65], v104 offset:28672
	v_mov_b32_e32 v71, v4
	s_waitcnt lgkmcnt(0)
	v_cmp_ne_u64_e32 vcc, s[78:79], v[64:65]
	v_cndmask_b32_e32 v89, v133, v65, vcc
	v_cndmask_b32_e32 v88, 0, v64, vcc
	v_lshrrev_b64 v[88:89], s84, v[88:89]
	v_and_b32_e32 v70, s68, v88
	v_lshlrev_b32_e32 v70, 2, v70
	ds_read_b32 v70, v70
	v_cmp_lt_i64_e64 s[66:67], -1, v[64:65]
	v_cndmask_b32_e64 v69, v133, -1, s[66:67]
	v_ashrrev_i32_e32 v73, 31, v65
	v_not_b32_e32 v73, v73
	s_waitcnt lgkmcnt(0)
	v_add_u32_e32 v70, v70, v30
	v_lshlrev_b64 v[70:71], 3, v[70:71]
	v_xor_b32_e32 v65, v69, v65
	v_mov_b32_e32 v69, s75
	v_add_co_u32_e32 v70, vcc, s74, v70
	v_xor_b32_e32 v64, v73, v64
	v_addc_co_u32_e32 v71, vcc, v69, v71, vcc
	global_store_dwordx2 v[70:71], v[64:65], off
	s_or_b64 exec, exec, s[92:93]
	v_cmp_lt_u32_e64 s[66:67], v32, v183
	s_and_saveexec_b64 s[92:93], s[66:67]
	s_cbranch_execnz .LBB1222_797
	s_branch .LBB1222_798
.LBB1222_782:                           ;   in Loop: Header=BB1222_688 Depth=2
	s_or_b64 exec, exec, s[40:41]
	v_cmp_lt_u32_e64 s[38:39], v7, v183
	s_and_saveexec_b64 s[42:43], s[38:39]
	s_cbranch_execz .LBB1222_768
.LBB1222_783:                           ;   in Loop: Header=BB1222_688 Depth=2
	ds_read_b64 v[64:65], v104 offset:2048
	v_mov_b32_e32 v71, v4
	s_waitcnt lgkmcnt(0)
	v_cmp_ne_u64_e32 vcc, s[78:79], v[64:65]
	v_cndmask_b32_e32 v89, v133, v65, vcc
	v_cndmask_b32_e32 v88, 0, v64, vcc
	v_lshrrev_b64 v[88:89], s84, v[88:89]
	v_and_b32_e32 v70, s68, v88
	v_lshlrev_b32_e32 v70, 2, v70
	ds_read_b32 v70, v70
	v_cmp_lt_i64_e64 s[40:41], -1, v[64:65]
	v_cndmask_b32_e64 v69, v133, -1, s[40:41]
	v_ashrrev_i32_e32 v73, 31, v65
	v_not_b32_e32 v73, v73
	s_waitcnt lgkmcnt(0)
	v_add_u32_e32 v70, v70, v7
	v_lshlrev_b64 v[70:71], 3, v[70:71]
	v_xor_b32_e32 v65, v69, v65
	v_mov_b32_e32 v69, s75
	v_add_co_u32_e32 v70, vcc, s74, v70
	v_xor_b32_e32 v64, v73, v64
	v_addc_co_u32_e32 v71, vcc, v69, v71, vcc
	global_store_dwordx2 v[70:71], v[64:65], off
	s_or_b64 exec, exec, s[42:43]
	v_cmp_lt_u32_e64 s[40:41], v6, v183
	s_and_saveexec_b64 s[44:45], s[40:41]
	s_cbranch_execnz .LBB1222_769
.LBB1222_784:                           ;   in Loop: Header=BB1222_688 Depth=2
	s_or_b64 exec, exec, s[44:45]
	v_cmp_lt_u32_e64 s[42:43], v8, v183
	s_and_saveexec_b64 s[46:47], s[42:43]
	s_cbranch_execz .LBB1222_770
.LBB1222_785:                           ;   in Loop: Header=BB1222_688 Depth=2
	ds_read_b64 v[64:65], v104 offset:6144
	v_mov_b32_e32 v71, v4
	s_waitcnt lgkmcnt(0)
	v_cmp_ne_u64_e32 vcc, s[78:79], v[64:65]
	v_cndmask_b32_e32 v89, v133, v65, vcc
	v_cndmask_b32_e32 v88, 0, v64, vcc
	v_lshrrev_b64 v[88:89], s84, v[88:89]
	v_and_b32_e32 v70, s68, v88
	v_lshlrev_b32_e32 v70, 2, v70
	ds_read_b32 v70, v70
	v_cmp_lt_i64_e64 s[44:45], -1, v[64:65]
	v_cndmask_b32_e64 v69, v133, -1, s[44:45]
	v_ashrrev_i32_e32 v73, 31, v65
	v_not_b32_e32 v73, v73
	s_waitcnt lgkmcnt(0)
	v_add_u32_e32 v70, v70, v8
	v_lshlrev_b64 v[70:71], 3, v[70:71]
	v_xor_b32_e32 v65, v69, v65
	v_mov_b32_e32 v69, s75
	v_add_co_u32_e32 v70, vcc, s74, v70
	v_xor_b32_e32 v64, v73, v64
	v_addc_co_u32_e32 v71, vcc, v69, v71, vcc
	global_store_dwordx2 v[70:71], v[64:65], off
	s_or_b64 exec, exec, s[46:47]
	v_cmp_lt_u32_e64 s[44:45], v10, v183
	s_and_saveexec_b64 s[48:49], s[44:45]
	s_cbranch_execnz .LBB1222_771
.LBB1222_786:                           ;   in Loop: Header=BB1222_688 Depth=2
	s_or_b64 exec, exec, s[48:49]
	v_cmp_lt_u32_e64 s[46:47], v12, v183
	s_and_saveexec_b64 s[50:51], s[46:47]
	s_cbranch_execz .LBB1222_772
.LBB1222_787:                           ;   in Loop: Header=BB1222_688 Depth=2
	ds_read_b64 v[64:65], v104 offset:10240
	v_mov_b32_e32 v71, v4
	s_waitcnt lgkmcnt(0)
	v_cmp_ne_u64_e32 vcc, s[78:79], v[64:65]
	v_cndmask_b32_e32 v89, v133, v65, vcc
	v_cndmask_b32_e32 v88, 0, v64, vcc
	v_lshrrev_b64 v[88:89], s84, v[88:89]
	v_and_b32_e32 v70, s68, v88
	v_lshlrev_b32_e32 v70, 2, v70
	ds_read_b32 v70, v70
	v_cmp_lt_i64_e64 s[48:49], -1, v[64:65]
	v_cndmask_b32_e64 v69, v133, -1, s[48:49]
	v_ashrrev_i32_e32 v73, 31, v65
	v_not_b32_e32 v73, v73
	s_waitcnt lgkmcnt(0)
	v_add_u32_e32 v70, v70, v12
	v_lshlrev_b64 v[70:71], 3, v[70:71]
	v_xor_b32_e32 v65, v69, v65
	v_mov_b32_e32 v69, s75
	v_add_co_u32_e32 v70, vcc, s74, v70
	v_xor_b32_e32 v64, v73, v64
	v_addc_co_u32_e32 v71, vcc, v69, v71, vcc
	global_store_dwordx2 v[70:71], v[64:65], off
	s_or_b64 exec, exec, s[50:51]
	v_cmp_lt_u32_e64 s[48:49], v14, v183
	s_and_saveexec_b64 s[52:53], s[48:49]
	s_cbranch_execnz .LBB1222_773
.LBB1222_788:                           ;   in Loop: Header=BB1222_688 Depth=2
	s_or_b64 exec, exec, s[52:53]
	v_cmp_lt_u32_e64 s[50:51], v16, v183
	s_and_saveexec_b64 s[54:55], s[50:51]
	s_cbranch_execz .LBB1222_774
.LBB1222_789:                           ;   in Loop: Header=BB1222_688 Depth=2
	ds_read_b64 v[64:65], v104 offset:14336
	v_mov_b32_e32 v71, v4
	s_waitcnt lgkmcnt(0)
	v_cmp_ne_u64_e32 vcc, s[78:79], v[64:65]
	v_cndmask_b32_e32 v89, v133, v65, vcc
	v_cndmask_b32_e32 v88, 0, v64, vcc
	v_lshrrev_b64 v[88:89], s84, v[88:89]
	v_and_b32_e32 v70, s68, v88
	v_lshlrev_b32_e32 v70, 2, v70
	ds_read_b32 v70, v70
	v_cmp_lt_i64_e64 s[52:53], -1, v[64:65]
	v_cndmask_b32_e64 v69, v133, -1, s[52:53]
	v_ashrrev_i32_e32 v73, 31, v65
	v_not_b32_e32 v73, v73
	s_waitcnt lgkmcnt(0)
	v_add_u32_e32 v70, v70, v16
	v_lshlrev_b64 v[70:71], 3, v[70:71]
	v_xor_b32_e32 v65, v69, v65
	v_mov_b32_e32 v69, s75
	v_add_co_u32_e32 v70, vcc, s74, v70
	v_xor_b32_e32 v64, v73, v64
	v_addc_co_u32_e32 v71, vcc, v69, v71, vcc
	global_store_dwordx2 v[70:71], v[64:65], off
	s_or_b64 exec, exec, s[54:55]
	v_cmp_lt_u32_e64 s[52:53], v18, v183
	s_and_saveexec_b64 s[56:57], s[52:53]
	s_cbranch_execnz .LBB1222_775
.LBB1222_790:                           ;   in Loop: Header=BB1222_688 Depth=2
	s_or_b64 exec, exec, s[56:57]
	v_cmp_lt_u32_e64 s[54:55], v20, v183
	s_and_saveexec_b64 s[58:59], s[54:55]
	s_cbranch_execz .LBB1222_776
.LBB1222_791:                           ;   in Loop: Header=BB1222_688 Depth=2
	ds_read_b64 v[64:65], v104 offset:18432
	v_mov_b32_e32 v71, v4
	s_waitcnt lgkmcnt(0)
	v_cmp_ne_u64_e32 vcc, s[78:79], v[64:65]
	v_cndmask_b32_e32 v89, v133, v65, vcc
	v_cndmask_b32_e32 v88, 0, v64, vcc
	v_lshrrev_b64 v[88:89], s84, v[88:89]
	v_and_b32_e32 v70, s68, v88
	v_lshlrev_b32_e32 v70, 2, v70
	ds_read_b32 v70, v70
	v_cmp_lt_i64_e64 s[56:57], -1, v[64:65]
	v_cndmask_b32_e64 v69, v133, -1, s[56:57]
	v_ashrrev_i32_e32 v73, 31, v65
	v_not_b32_e32 v73, v73
	s_waitcnt lgkmcnt(0)
	v_add_u32_e32 v70, v70, v20
	v_lshlrev_b64 v[70:71], 3, v[70:71]
	v_xor_b32_e32 v65, v69, v65
	v_mov_b32_e32 v69, s75
	v_add_co_u32_e32 v70, vcc, s74, v70
	v_xor_b32_e32 v64, v73, v64
	v_addc_co_u32_e32 v71, vcc, v69, v71, vcc
	global_store_dwordx2 v[70:71], v[64:65], off
	s_or_b64 exec, exec, s[58:59]
	v_cmp_lt_u32_e64 s[56:57], v22, v183
	s_and_saveexec_b64 s[60:61], s[56:57]
	s_cbranch_execnz .LBB1222_777
.LBB1222_792:                           ;   in Loop: Header=BB1222_688 Depth=2
	s_or_b64 exec, exec, s[60:61]
	v_cmp_lt_u32_e64 s[58:59], v24, v183
	s_and_saveexec_b64 s[62:63], s[58:59]
	s_cbranch_execz .LBB1222_778
.LBB1222_793:                           ;   in Loop: Header=BB1222_688 Depth=2
	ds_read_b64 v[64:65], v104 offset:22528
	v_mov_b32_e32 v71, v4
	s_waitcnt lgkmcnt(0)
	v_cmp_ne_u64_e32 vcc, s[78:79], v[64:65]
	v_cndmask_b32_e32 v89, v133, v65, vcc
	v_cndmask_b32_e32 v88, 0, v64, vcc
	v_lshrrev_b64 v[88:89], s84, v[88:89]
	v_and_b32_e32 v70, s68, v88
	v_lshlrev_b32_e32 v70, 2, v70
	ds_read_b32 v70, v70
	v_cmp_lt_i64_e64 s[60:61], -1, v[64:65]
	v_cndmask_b32_e64 v69, v133, -1, s[60:61]
	v_ashrrev_i32_e32 v73, 31, v65
	v_not_b32_e32 v73, v73
	s_waitcnt lgkmcnt(0)
	v_add_u32_e32 v70, v70, v24
	v_lshlrev_b64 v[70:71], 3, v[70:71]
	v_xor_b32_e32 v65, v69, v65
	v_mov_b32_e32 v69, s75
	v_add_co_u32_e32 v70, vcc, s74, v70
	v_xor_b32_e32 v64, v73, v64
	v_addc_co_u32_e32 v71, vcc, v69, v71, vcc
	global_store_dwordx2 v[70:71], v[64:65], off
	s_or_b64 exec, exec, s[62:63]
	v_cmp_lt_u32_e64 s[60:61], v26, v183
	s_and_saveexec_b64 s[64:65], s[60:61]
	s_cbranch_execnz .LBB1222_779
.LBB1222_794:                           ;   in Loop: Header=BB1222_688 Depth=2
	s_or_b64 exec, exec, s[64:65]
	v_cmp_lt_u32_e64 s[62:63], v28, v183
	s_and_saveexec_b64 s[66:67], s[62:63]
	s_cbranch_execz .LBB1222_780
.LBB1222_795:                           ;   in Loop: Header=BB1222_688 Depth=2
	ds_read_b64 v[64:65], v104 offset:26624
	v_mov_b32_e32 v71, v4
	s_waitcnt lgkmcnt(0)
	v_cmp_ne_u64_e32 vcc, s[78:79], v[64:65]
	v_cndmask_b32_e32 v89, v133, v65, vcc
	v_cndmask_b32_e32 v88, 0, v64, vcc
	v_lshrrev_b64 v[88:89], s84, v[88:89]
	v_and_b32_e32 v70, s68, v88
	v_lshlrev_b32_e32 v70, 2, v70
	ds_read_b32 v70, v70
	v_cmp_lt_i64_e64 s[64:65], -1, v[64:65]
	v_cndmask_b32_e64 v69, v133, -1, s[64:65]
	v_ashrrev_i32_e32 v73, 31, v65
	v_not_b32_e32 v73, v73
	s_waitcnt lgkmcnt(0)
	v_add_u32_e32 v70, v70, v28
	v_lshlrev_b64 v[70:71], 3, v[70:71]
	v_xor_b32_e32 v65, v69, v65
	v_mov_b32_e32 v69, s75
	v_add_co_u32_e32 v70, vcc, s74, v70
	v_xor_b32_e32 v64, v73, v64
	v_addc_co_u32_e32 v71, vcc, v69, v71, vcc
	global_store_dwordx2 v[70:71], v[64:65], off
	s_or_b64 exec, exec, s[66:67]
	v_cmp_lt_u32_e64 s[64:65], v30, v183
	s_and_saveexec_b64 s[92:93], s[64:65]
	s_cbranch_execnz .LBB1222_781
.LBB1222_796:                           ;   in Loop: Header=BB1222_688 Depth=2
	s_or_b64 exec, exec, s[92:93]
	v_cmp_lt_u32_e64 s[66:67], v32, v183
	s_and_saveexec_b64 s[92:93], s[66:67]
	s_cbranch_execz .LBB1222_798
.LBB1222_797:                           ;   in Loop: Header=BB1222_688 Depth=2
	ds_read_b64 v[64:65], v104 offset:30720
	s_waitcnt lgkmcnt(0)
	v_cmp_ne_u64_e32 vcc, s[78:79], v[64:65]
	v_cndmask_b32_e32 v71, v133, v65, vcc
	v_cndmask_b32_e32 v70, 0, v64, vcc
	v_lshrrev_b64 v[70:71], s84, v[70:71]
	v_and_b32_e32 v69, s68, v70
	v_lshlrev_b32_e32 v69, 2, v69
	ds_read_b32 v69, v69
	v_cmp_lt_i64_e32 vcc, -1, v[64:65]
	v_ashrrev_i32_e32 v71, 31, v65
	v_cndmask_b32_e64 v70, v133, -1, vcc
	v_not_b32_e32 v71, v71
	v_xor_b32_e32 v65, v70, v65
	v_xor_b32_e32 v64, v71, v64
	s_waitcnt lgkmcnt(0)
	v_add_u32_e32 v70, v69, v32
	v_mov_b32_e32 v71, v4
	v_lshlrev_b64 v[70:71], 3, v[70:71]
	v_add_co_u32_e32 v70, vcc, s74, v70
	v_mov_b32_e32 v69, s75
	v_addc_co_u32_e32 v71, vcc, v69, v71, vcc
	global_store_dwordx2 v[70:71], v[64:65], off
.LBB1222_798:                           ;   in Loop: Header=BB1222_688 Depth=2
	s_or_b64 exec, exec, s[92:93]
	s_lshl_b64 s[92:93], s[88:89], 3
	v_mov_b32_e32 v65, s93
	v_add_co_u32_e32 v64, vcc, s92, v160
	v_addc_co_u32_e32 v65, vcc, v161, v65, vcc
	v_cmp_lt_u32_e32 vcc, v143, v183
	s_and_saveexec_b64 s[92:93], vcc
	s_xor_b64 s[92:93], exec, s[92:93]
	s_cbranch_execz .LBB1222_830
; %bb.799:                              ;   in Loop: Header=BB1222_688 Depth=2
	global_load_dwordx2 v[62:63], v[64:65], off
	s_or_b64 exec, exec, s[92:93]
	v_cmp_lt_u32_e32 vcc, v144, v183
	s_and_saveexec_b64 s[92:93], vcc
	s_cbranch_execnz .LBB1222_831
.LBB1222_800:                           ;   in Loop: Header=BB1222_688 Depth=2
	s_or_b64 exec, exec, s[92:93]
	v_cmp_lt_u32_e32 vcc, v145, v183
	s_and_saveexec_b64 s[92:93], vcc
	s_cbranch_execz .LBB1222_832
.LBB1222_801:                           ;   in Loop: Header=BB1222_688 Depth=2
	global_load_dwordx2 v[58:59], v[64:65], off offset:1024
	s_or_b64 exec, exec, s[92:93]
	v_cmp_lt_u32_e32 vcc, v146, v183
	s_and_saveexec_b64 s[92:93], vcc
	s_cbranch_execnz .LBB1222_833
.LBB1222_802:                           ;   in Loop: Header=BB1222_688 Depth=2
	s_or_b64 exec, exec, s[92:93]
	v_cmp_lt_u32_e32 vcc, v147, v183
	s_and_saveexec_b64 s[92:93], vcc
	s_cbranch_execz .LBB1222_834
.LBB1222_803:                           ;   in Loop: Header=BB1222_688 Depth=2
	global_load_dwordx2 v[50:51], v[64:65], off offset:2048
	s_or_b64 exec, exec, s[92:93]
	v_cmp_lt_u32_e32 vcc, v148, v183
	s_and_saveexec_b64 s[92:93], vcc
	s_cbranch_execnz .LBB1222_835
.LBB1222_804:                           ;   in Loop: Header=BB1222_688 Depth=2
	s_or_b64 exec, exec, s[92:93]
	v_cmp_lt_u32_e32 vcc, v149, v183
	s_and_saveexec_b64 s[92:93], vcc
	s_cbranch_execz .LBB1222_836
.LBB1222_805:                           ;   in Loop: Header=BB1222_688 Depth=2
	global_load_dwordx2 v[42:43], v[64:65], off offset:3072
	s_or_b64 exec, exec, s[92:93]
	v_cmp_lt_u32_e32 vcc, v150, v183
	s_and_saveexec_b64 s[92:93], vcc
	s_cbranch_execnz .LBB1222_837
.LBB1222_806:                           ;   in Loop: Header=BB1222_688 Depth=2
	s_or_b64 exec, exec, s[92:93]
	v_cmp_lt_u32_e32 vcc, v151, v183
	s_and_saveexec_b64 s[92:93], vcc
	s_cbranch_execz .LBB1222_838
.LBB1222_807:                           ;   in Loop: Header=BB1222_688 Depth=2
	v_add_co_u32_e32 v56, vcc, 0x1000, v64
	v_addc_co_u32_e32 v57, vcc, 0, v65, vcc
	global_load_dwordx2 v[56:57], v[56:57], off
	s_or_b64 exec, exec, s[92:93]
	v_cmp_lt_u32_e32 vcc, v152, v183
	s_and_saveexec_b64 s[92:93], vcc
	s_cbranch_execnz .LBB1222_839
.LBB1222_808:                           ;   in Loop: Header=BB1222_688 Depth=2
	s_or_b64 exec, exec, s[92:93]
	v_cmp_lt_u32_e32 vcc, v153, v183
	s_and_saveexec_b64 s[92:93], vcc
	s_cbranch_execz .LBB1222_840
.LBB1222_809:                           ;   in Loop: Header=BB1222_688 Depth=2
	v_add_co_u32_e32 v48, vcc, 0x1000, v64
	v_addc_co_u32_e32 v49, vcc, 0, v65, vcc
	global_load_dwordx2 v[48:49], v[48:49], off offset:1024
	s_or_b64 exec, exec, s[92:93]
	v_cmp_lt_u32_e32 vcc, v154, v183
	s_and_saveexec_b64 s[92:93], vcc
	s_cbranch_execnz .LBB1222_841
.LBB1222_810:                           ;   in Loop: Header=BB1222_688 Depth=2
	s_or_b64 exec, exec, s[92:93]
	v_cmp_lt_u32_e32 vcc, v155, v183
	s_and_saveexec_b64 s[92:93], vcc
	s_cbranch_execz .LBB1222_842
.LBB1222_811:                           ;   in Loop: Header=BB1222_688 Depth=2
	v_add_co_u32_e32 v40, vcc, 0x1000, v64
	v_addc_co_u32_e32 v41, vcc, 0, v65, vcc
	global_load_dwordx2 v[40:41], v[40:41], off offset:2048
	s_or_b64 exec, exec, s[92:93]
	v_cmp_lt_u32_e32 vcc, v156, v183
	s_and_saveexec_b64 s[92:93], vcc
	s_cbranch_execnz .LBB1222_843
.LBB1222_812:                           ;   in Loop: Header=BB1222_688 Depth=2
	s_or_b64 exec, exec, s[92:93]
	v_cmp_lt_u32_e32 vcc, v157, v183
	s_and_saveexec_b64 s[92:93], vcc
	s_cbranch_execz .LBB1222_844
.LBB1222_813:                           ;   in Loop: Header=BB1222_688 Depth=2
	v_add_co_u32_e32 v34, vcc, 0x1000, v64
	v_addc_co_u32_e32 v35, vcc, 0, v65, vcc
	global_load_dwordx2 v[34:35], v[34:35], off offset:3072
	s_or_b64 exec, exec, s[92:93]
	v_cmp_lt_u32_e32 vcc, v158, v183
	s_and_saveexec_b64 s[92:93], vcc
	s_cbranch_execnz .LBB1222_845
.LBB1222_814:                           ;   in Loop: Header=BB1222_688 Depth=2
	s_or_b64 exec, exec, s[92:93]
	s_and_saveexec_b64 s[92:93], s[36:37]
	s_cbranch_execz .LBB1222_846
.LBB1222_815:                           ;   in Loop: Header=BB1222_688 Depth=2
	v_add_u32_e32 v64, v33, v3
	ds_read_b64 v[64:65], v64 offset:1024
	s_waitcnt lgkmcnt(0)
	v_cmp_ne_u64_e32 vcc, s[78:79], v[64:65]
	v_cndmask_b32_e32 v65, v133, v65, vcc
	v_cndmask_b32_e32 v64, 0, v64, vcc
	v_lshrrev_b64 v[64:65], s84, v[64:65]
	v_and_b32_e32 v182, s68, v64
	s_or_b64 exec, exec, s[92:93]
	s_and_saveexec_b64 s[92:93], s[38:39]
	s_cbranch_execnz .LBB1222_847
.LBB1222_816:                           ;   in Loop: Header=BB1222_688 Depth=2
	s_or_b64 exec, exec, s[92:93]
	s_and_saveexec_b64 s[92:93], s[40:41]
	s_cbranch_execz .LBB1222_848
.LBB1222_817:                           ;   in Loop: Header=BB1222_688 Depth=2
	ds_read_b64 v[64:65], v104 offset:4096
	s_waitcnt lgkmcnt(0)
	v_cmp_ne_u64_e32 vcc, s[78:79], v[64:65]
	v_cndmask_b32_e32 v65, v133, v65, vcc
	v_cndmask_b32_e32 v64, 0, v64, vcc
	v_lshrrev_b64 v[64:65], s84, v[64:65]
	v_and_b32_e32 v180, s68, v64
	s_or_b64 exec, exec, s[92:93]
	s_and_saveexec_b64 s[92:93], s[42:43]
	s_cbranch_execnz .LBB1222_849
.LBB1222_818:                           ;   in Loop: Header=BB1222_688 Depth=2
	s_or_b64 exec, exec, s[92:93]
	s_and_saveexec_b64 s[92:93], s[44:45]
	s_cbranch_execz .LBB1222_850
.LBB1222_819:                           ;   in Loop: Header=BB1222_688 Depth=2
	ds_read_b64 v[64:65], v104 offset:8192
	s_waitcnt lgkmcnt(0)
	v_cmp_ne_u64_e32 vcc, s[78:79], v[64:65]
	v_cndmask_b32_e32 v65, v133, v65, vcc
	v_cndmask_b32_e32 v64, 0, v64, vcc
	v_lshrrev_b64 v[64:65], s84, v[64:65]
	v_and_b32_e32 v178, s68, v64
	s_or_b64 exec, exec, s[92:93]
	s_and_saveexec_b64 s[92:93], s[46:47]
	s_cbranch_execnz .LBB1222_851
.LBB1222_820:                           ;   in Loop: Header=BB1222_688 Depth=2
	s_or_b64 exec, exec, s[92:93]
	s_and_saveexec_b64 s[92:93], s[48:49]
	s_cbranch_execz .LBB1222_852
.LBB1222_821:                           ;   in Loop: Header=BB1222_688 Depth=2
	ds_read_b64 v[64:65], v104 offset:12288
	s_waitcnt lgkmcnt(0)
	v_cmp_ne_u64_e32 vcc, s[78:79], v[64:65]
	v_cndmask_b32_e32 v65, v133, v65, vcc
	v_cndmask_b32_e32 v64, 0, v64, vcc
	v_lshrrev_b64 v[64:65], s84, v[64:65]
	v_and_b32_e32 v175, s68, v64
	s_or_b64 exec, exec, s[92:93]
	s_and_saveexec_b64 s[92:93], s[50:51]
	s_cbranch_execnz .LBB1222_853
.LBB1222_822:                           ;   in Loop: Header=BB1222_688 Depth=2
	s_or_b64 exec, exec, s[92:93]
	s_and_saveexec_b64 s[92:93], s[52:53]
	s_cbranch_execz .LBB1222_854
.LBB1222_823:                           ;   in Loop: Header=BB1222_688 Depth=2
	ds_read_b64 v[64:65], v104 offset:16384
	s_waitcnt lgkmcnt(0)
	v_cmp_ne_u64_e32 vcc, s[78:79], v[64:65]
	v_cndmask_b32_e32 v65, v133, v65, vcc
	v_cndmask_b32_e32 v64, 0, v64, vcc
	v_lshrrev_b64 v[64:65], s84, v[64:65]
	v_and_b32_e32 v172, s68, v64
	s_or_b64 exec, exec, s[92:93]
	s_and_saveexec_b64 s[92:93], s[54:55]
	s_cbranch_execnz .LBB1222_855
.LBB1222_824:                           ;   in Loop: Header=BB1222_688 Depth=2
	s_or_b64 exec, exec, s[92:93]
	s_and_saveexec_b64 s[92:93], s[56:57]
	s_cbranch_execz .LBB1222_856
.LBB1222_825:                           ;   in Loop: Header=BB1222_688 Depth=2
	ds_read_b64 v[64:65], v104 offset:20480
	s_waitcnt lgkmcnt(0)
	v_cmp_ne_u64_e32 vcc, s[78:79], v[64:65]
	v_cndmask_b32_e32 v65, v133, v65, vcc
	v_cndmask_b32_e32 v64, 0, v64, vcc
	v_lshrrev_b64 v[64:65], s84, v[64:65]
	v_and_b32_e32 v169, s68, v64
	s_or_b64 exec, exec, s[92:93]
	s_and_saveexec_b64 s[92:93], s[58:59]
	s_cbranch_execnz .LBB1222_857
.LBB1222_826:                           ;   in Loop: Header=BB1222_688 Depth=2
	s_or_b64 exec, exec, s[92:93]
	s_and_saveexec_b64 s[92:93], s[60:61]
	s_cbranch_execz .LBB1222_858
.LBB1222_827:                           ;   in Loop: Header=BB1222_688 Depth=2
	ds_read_b64 v[64:65], v104 offset:24576
	s_waitcnt lgkmcnt(0)
	v_cmp_ne_u64_e32 vcc, s[78:79], v[64:65]
	v_cndmask_b32_e32 v65, v133, v65, vcc
	v_cndmask_b32_e32 v64, 0, v64, vcc
	v_lshrrev_b64 v[64:65], s84, v[64:65]
	v_and_b32_e32 v167, s68, v64
	s_or_b64 exec, exec, s[92:93]
	s_and_saveexec_b64 s[92:93], s[62:63]
	s_cbranch_execnz .LBB1222_859
.LBB1222_828:                           ;   in Loop: Header=BB1222_688 Depth=2
	s_or_b64 exec, exec, s[92:93]
	s_and_saveexec_b64 s[92:93], s[64:65]
	s_cbranch_execz .LBB1222_860
.LBB1222_829:                           ;   in Loop: Header=BB1222_688 Depth=2
	ds_read_b64 v[64:65], v104 offset:28672
	s_waitcnt lgkmcnt(0)
	v_cmp_ne_u64_e32 vcc, s[78:79], v[64:65]
	v_cndmask_b32_e32 v65, v133, v65, vcc
	v_cndmask_b32_e32 v64, 0, v64, vcc
	v_lshrrev_b64 v[64:65], s84, v[64:65]
	v_and_b32_e32 v165, s68, v64
	s_or_b64 exec, exec, s[92:93]
	s_and_saveexec_b64 s[92:93], s[66:67]
	s_cbranch_execnz .LBB1222_861
	s_branch .LBB1222_862
.LBB1222_830:                           ;   in Loop: Header=BB1222_688 Depth=2
	s_or_b64 exec, exec, s[92:93]
	v_cmp_lt_u32_e32 vcc, v144, v183
	s_and_saveexec_b64 s[92:93], vcc
	s_cbranch_execz .LBB1222_800
.LBB1222_831:                           ;   in Loop: Header=BB1222_688 Depth=2
	global_load_dwordx2 v[60:61], v[64:65], off offset:512
	s_or_b64 exec, exec, s[92:93]
	v_cmp_lt_u32_e32 vcc, v145, v183
	s_and_saveexec_b64 s[92:93], vcc
	s_cbranch_execnz .LBB1222_801
.LBB1222_832:                           ;   in Loop: Header=BB1222_688 Depth=2
	s_or_b64 exec, exec, s[92:93]
	v_cmp_lt_u32_e32 vcc, v146, v183
	s_and_saveexec_b64 s[92:93], vcc
	s_cbranch_execz .LBB1222_802
.LBB1222_833:                           ;   in Loop: Header=BB1222_688 Depth=2
	global_load_dwordx2 v[54:55], v[64:65], off offset:1536
	s_or_b64 exec, exec, s[92:93]
	v_cmp_lt_u32_e32 vcc, v147, v183
	s_and_saveexec_b64 s[92:93], vcc
	s_cbranch_execnz .LBB1222_803
.LBB1222_834:                           ;   in Loop: Header=BB1222_688 Depth=2
	s_or_b64 exec, exec, s[92:93]
	v_cmp_lt_u32_e32 vcc, v148, v183
	s_and_saveexec_b64 s[92:93], vcc
	s_cbranch_execz .LBB1222_804
.LBB1222_835:                           ;   in Loop: Header=BB1222_688 Depth=2
	global_load_dwordx2 v[46:47], v[64:65], off offset:2560
	s_or_b64 exec, exec, s[92:93]
	v_cmp_lt_u32_e32 vcc, v149, v183
	s_and_saveexec_b64 s[92:93], vcc
	s_cbranch_execnz .LBB1222_805
.LBB1222_836:                           ;   in Loop: Header=BB1222_688 Depth=2
	s_or_b64 exec, exec, s[92:93]
	v_cmp_lt_u32_e32 vcc, v150, v183
	s_and_saveexec_b64 s[92:93], vcc
	s_cbranch_execz .LBB1222_806
.LBB1222_837:                           ;   in Loop: Header=BB1222_688 Depth=2
	global_load_dwordx2 v[38:39], v[64:65], off offset:3584
	s_or_b64 exec, exec, s[92:93]
	v_cmp_lt_u32_e32 vcc, v151, v183
	s_and_saveexec_b64 s[92:93], vcc
	s_cbranch_execnz .LBB1222_807
.LBB1222_838:                           ;   in Loop: Header=BB1222_688 Depth=2
	s_or_b64 exec, exec, s[92:93]
	v_cmp_lt_u32_e32 vcc, v152, v183
	s_and_saveexec_b64 s[92:93], vcc
	s_cbranch_execz .LBB1222_808
.LBB1222_839:                           ;   in Loop: Header=BB1222_688 Depth=2
	v_add_co_u32_e32 v52, vcc, 0x1000, v64
	v_addc_co_u32_e32 v53, vcc, 0, v65, vcc
	global_load_dwordx2 v[52:53], v[52:53], off offset:512
	s_or_b64 exec, exec, s[92:93]
	v_cmp_lt_u32_e32 vcc, v153, v183
	s_and_saveexec_b64 s[92:93], vcc
	s_cbranch_execnz .LBB1222_809
.LBB1222_840:                           ;   in Loop: Header=BB1222_688 Depth=2
	s_or_b64 exec, exec, s[92:93]
	v_cmp_lt_u32_e32 vcc, v154, v183
	s_and_saveexec_b64 s[92:93], vcc
	s_cbranch_execz .LBB1222_810
.LBB1222_841:                           ;   in Loop: Header=BB1222_688 Depth=2
	v_add_co_u32_e32 v44, vcc, 0x1000, v64
	v_addc_co_u32_e32 v45, vcc, 0, v65, vcc
	global_load_dwordx2 v[44:45], v[44:45], off offset:1536
	s_or_b64 exec, exec, s[92:93]
	v_cmp_lt_u32_e32 vcc, v155, v183
	s_and_saveexec_b64 s[92:93], vcc
	s_cbranch_execnz .LBB1222_811
.LBB1222_842:                           ;   in Loop: Header=BB1222_688 Depth=2
	s_or_b64 exec, exec, s[92:93]
	v_cmp_lt_u32_e32 vcc, v156, v183
	s_and_saveexec_b64 s[92:93], vcc
	s_cbranch_execz .LBB1222_812
.LBB1222_843:                           ;   in Loop: Header=BB1222_688 Depth=2
	v_add_co_u32_e32 v36, vcc, 0x1000, v64
	v_addc_co_u32_e32 v37, vcc, 0, v65, vcc
	global_load_dwordx2 v[36:37], v[36:37], off offset:2560
	s_or_b64 exec, exec, s[92:93]
	v_cmp_lt_u32_e32 vcc, v157, v183
	s_and_saveexec_b64 s[92:93], vcc
	s_cbranch_execnz .LBB1222_813
.LBB1222_844:                           ;   in Loop: Header=BB1222_688 Depth=2
	s_or_b64 exec, exec, s[92:93]
	v_cmp_lt_u32_e32 vcc, v158, v183
	s_and_saveexec_b64 s[92:93], vcc
	s_cbranch_execz .LBB1222_814
.LBB1222_845:                           ;   in Loop: Header=BB1222_688 Depth=2
	v_add_co_u32_e32 v0, vcc, 0x1000, v64
	v_addc_co_u32_e32 v1, vcc, 0, v65, vcc
	global_load_dwordx2 v[0:1], v[0:1], off offset:3584
	s_or_b64 exec, exec, s[92:93]
	s_and_saveexec_b64 s[92:93], s[36:37]
	s_cbranch_execnz .LBB1222_815
.LBB1222_846:                           ;   in Loop: Header=BB1222_688 Depth=2
	s_or_b64 exec, exec, s[92:93]
	s_and_saveexec_b64 s[92:93], s[38:39]
	s_cbranch_execz .LBB1222_816
.LBB1222_847:                           ;   in Loop: Header=BB1222_688 Depth=2
	ds_read_b64 v[64:65], v104 offset:2048
	s_waitcnt lgkmcnt(0)
	v_cmp_ne_u64_e32 vcc, s[78:79], v[64:65]
	v_cndmask_b32_e32 v65, v133, v65, vcc
	v_cndmask_b32_e32 v64, 0, v64, vcc
	v_lshrrev_b64 v[64:65], s84, v[64:65]
	v_and_b32_e32 v181, s68, v64
	s_or_b64 exec, exec, s[92:93]
	s_and_saveexec_b64 s[92:93], s[40:41]
	s_cbranch_execnz .LBB1222_817
.LBB1222_848:                           ;   in Loop: Header=BB1222_688 Depth=2
	s_or_b64 exec, exec, s[92:93]
	s_and_saveexec_b64 s[92:93], s[42:43]
	s_cbranch_execz .LBB1222_818
.LBB1222_849:                           ;   in Loop: Header=BB1222_688 Depth=2
	ds_read_b64 v[64:65], v104 offset:6144
	s_waitcnt lgkmcnt(0)
	v_cmp_ne_u64_e32 vcc, s[78:79], v[64:65]
	v_cndmask_b32_e32 v65, v133, v65, vcc
	v_cndmask_b32_e32 v64, 0, v64, vcc
	v_lshrrev_b64 v[64:65], s84, v[64:65]
	v_and_b32_e32 v179, s68, v64
	s_or_b64 exec, exec, s[92:93]
	s_and_saveexec_b64 s[92:93], s[44:45]
	s_cbranch_execnz .LBB1222_819
.LBB1222_850:                           ;   in Loop: Header=BB1222_688 Depth=2
	s_or_b64 exec, exec, s[92:93]
	s_and_saveexec_b64 s[92:93], s[46:47]
	s_cbranch_execz .LBB1222_820
.LBB1222_851:                           ;   in Loop: Header=BB1222_688 Depth=2
	ds_read_b64 v[64:65], v104 offset:10240
	s_waitcnt lgkmcnt(0)
	v_cmp_ne_u64_e32 vcc, s[78:79], v[64:65]
	v_cndmask_b32_e32 v65, v133, v65, vcc
	v_cndmask_b32_e32 v64, 0, v64, vcc
	v_lshrrev_b64 v[64:65], s84, v[64:65]
	v_and_b32_e32 v176, s68, v64
	s_or_b64 exec, exec, s[92:93]
	s_and_saveexec_b64 s[92:93], s[48:49]
	s_cbranch_execnz .LBB1222_821
.LBB1222_852:                           ;   in Loop: Header=BB1222_688 Depth=2
	s_or_b64 exec, exec, s[92:93]
	s_and_saveexec_b64 s[92:93], s[50:51]
	s_cbranch_execz .LBB1222_822
.LBB1222_853:                           ;   in Loop: Header=BB1222_688 Depth=2
	ds_read_b64 v[64:65], v104 offset:14336
	s_waitcnt lgkmcnt(0)
	v_cmp_ne_u64_e32 vcc, s[78:79], v[64:65]
	v_cndmask_b32_e32 v65, v133, v65, vcc
	v_cndmask_b32_e32 v64, 0, v64, vcc
	v_lshrrev_b64 v[64:65], s84, v[64:65]
	v_and_b32_e32 v174, s68, v64
	s_or_b64 exec, exec, s[92:93]
	s_and_saveexec_b64 s[92:93], s[52:53]
	s_cbranch_execnz .LBB1222_823
.LBB1222_854:                           ;   in Loop: Header=BB1222_688 Depth=2
	s_or_b64 exec, exec, s[92:93]
	s_and_saveexec_b64 s[92:93], s[54:55]
	s_cbranch_execz .LBB1222_824
.LBB1222_855:                           ;   in Loop: Header=BB1222_688 Depth=2
	ds_read_b64 v[64:65], v104 offset:18432
	s_waitcnt lgkmcnt(0)
	v_cmp_ne_u64_e32 vcc, s[78:79], v[64:65]
	v_cndmask_b32_e32 v65, v133, v65, vcc
	v_cndmask_b32_e32 v64, 0, v64, vcc
	v_lshrrev_b64 v[64:65], s84, v[64:65]
	v_and_b32_e32 v171, s68, v64
	s_or_b64 exec, exec, s[92:93]
	s_and_saveexec_b64 s[92:93], s[56:57]
	s_cbranch_execnz .LBB1222_825
.LBB1222_856:                           ;   in Loop: Header=BB1222_688 Depth=2
	s_or_b64 exec, exec, s[92:93]
	s_and_saveexec_b64 s[92:93], s[58:59]
	s_cbranch_execz .LBB1222_826
.LBB1222_857:                           ;   in Loop: Header=BB1222_688 Depth=2
	ds_read_b64 v[64:65], v104 offset:22528
	s_waitcnt lgkmcnt(0)
	v_cmp_ne_u64_e32 vcc, s[78:79], v[64:65]
	v_cndmask_b32_e32 v65, v133, v65, vcc
	v_cndmask_b32_e32 v64, 0, v64, vcc
	v_lshrrev_b64 v[64:65], s84, v[64:65]
	v_and_b32_e32 v168, s68, v64
	s_or_b64 exec, exec, s[92:93]
	s_and_saveexec_b64 s[92:93], s[60:61]
	s_cbranch_execnz .LBB1222_827
.LBB1222_858:                           ;   in Loop: Header=BB1222_688 Depth=2
	s_or_b64 exec, exec, s[92:93]
	s_and_saveexec_b64 s[92:93], s[62:63]
	s_cbranch_execz .LBB1222_828
.LBB1222_859:                           ;   in Loop: Header=BB1222_688 Depth=2
	ds_read_b64 v[64:65], v104 offset:26624
	s_waitcnt lgkmcnt(0)
	v_cmp_ne_u64_e32 vcc, s[78:79], v[64:65]
	v_cndmask_b32_e32 v65, v133, v65, vcc
	v_cndmask_b32_e32 v64, 0, v64, vcc
	v_lshrrev_b64 v[64:65], s84, v[64:65]
	v_and_b32_e32 v166, s68, v64
	s_or_b64 exec, exec, s[92:93]
	s_and_saveexec_b64 s[92:93], s[64:65]
	s_cbranch_execnz .LBB1222_829
.LBB1222_860:                           ;   in Loop: Header=BB1222_688 Depth=2
	s_or_b64 exec, exec, s[92:93]
	s_and_saveexec_b64 s[92:93], s[66:67]
	s_cbranch_execz .LBB1222_862
.LBB1222_861:                           ;   in Loop: Header=BB1222_688 Depth=2
	ds_read_b64 v[64:65], v104 offset:30720
	s_waitcnt lgkmcnt(0)
	v_cmp_ne_u64_e32 vcc, s[78:79], v[64:65]
	v_cndmask_b32_e32 v65, v133, v65, vcc
	v_cndmask_b32_e32 v64, 0, v64, vcc
	v_lshrrev_b64 v[64:65], s84, v[64:65]
	v_and_b32_e32 v164, s68, v64
.LBB1222_862:                           ;   in Loop: Header=BB1222_688 Depth=2
	s_or_b64 exec, exec, s[92:93]
	v_add_u32_e32 v64, 0x400, v96
	v_add_u32_e32 v65, 0x400, v97
	;; [unrolled: 1-line block ×16, first 2 shown]
	s_barrier
	s_waitcnt vmcnt(0)
	ds_write_b64 v64, v[62:63]
	ds_write_b64 v65, v[60:61]
	;; [unrolled: 1-line block ×16, first 2 shown]
	s_waitcnt lgkmcnt(0)
	s_barrier
	s_and_saveexec_b64 s[92:93], s[36:37]
	s_cbranch_execz .LBB1222_878
; %bb.863:                              ;   in Loop: Header=BB1222_688 Depth=2
	v_lshlrev_b32_e32 v64, 2, v182
	ds_read_b32 v66, v64
	v_add_u32_e32 v64, v33, v3
	ds_read_b64 v[64:65], v64 offset:1024
	v_mov_b32_e32 v67, v4
	v_mov_b32_e32 v68, s81
	s_waitcnt lgkmcnt(1)
	v_add_u32_e32 v66, v66, v2
	v_lshlrev_b64 v[66:67], 3, v[66:67]
	v_add_co_u32_e32 v66, vcc, s80, v66
	v_addc_co_u32_e32 v67, vcc, v68, v67, vcc
	s_waitcnt lgkmcnt(0)
	global_store_dwordx2 v[66:67], v[64:65], off
	s_or_b64 exec, exec, s[92:93]
	s_and_saveexec_b64 s[36:37], s[38:39]
	s_cbranch_execnz .LBB1222_879
.LBB1222_864:                           ;   in Loop: Header=BB1222_688 Depth=2
	s_or_b64 exec, exec, s[36:37]
	s_and_saveexec_b64 s[36:37], s[40:41]
	s_cbranch_execz .LBB1222_880
.LBB1222_865:                           ;   in Loop: Header=BB1222_688 Depth=2
	v_lshlrev_b32_e32 v64, 2, v180
	ds_read_b32 v66, v64
	ds_read_b64 v[64:65], v104 offset:4096
	v_mov_b32_e32 v67, v4
	v_mov_b32_e32 v68, s81
	s_waitcnt lgkmcnt(1)
	v_add_u32_e32 v66, v66, v6
	v_lshlrev_b64 v[66:67], 3, v[66:67]
	v_add_co_u32_e32 v66, vcc, s80, v66
	v_addc_co_u32_e32 v67, vcc, v68, v67, vcc
	s_waitcnt lgkmcnt(0)
	global_store_dwordx2 v[66:67], v[64:65], off
	s_or_b64 exec, exec, s[36:37]
	s_and_saveexec_b64 s[36:37], s[42:43]
	s_cbranch_execnz .LBB1222_881
.LBB1222_866:                           ;   in Loop: Header=BB1222_688 Depth=2
	s_or_b64 exec, exec, s[36:37]
	s_and_saveexec_b64 s[36:37], s[44:45]
	s_cbranch_execz .LBB1222_882
.LBB1222_867:                           ;   in Loop: Header=BB1222_688 Depth=2
	v_lshlrev_b32_e32 v64, 2, v178
	ds_read_b32 v66, v64
	ds_read_b64 v[64:65], v104 offset:8192
	v_mov_b32_e32 v67, v4
	v_mov_b32_e32 v68, s81
	s_waitcnt lgkmcnt(1)
	v_add_u32_e32 v66, v66, v10
	v_lshlrev_b64 v[66:67], 3, v[66:67]
	v_add_co_u32_e32 v66, vcc, s80, v66
	v_addc_co_u32_e32 v67, vcc, v68, v67, vcc
	s_waitcnt lgkmcnt(0)
	global_store_dwordx2 v[66:67], v[64:65], off
	s_or_b64 exec, exec, s[36:37]
	s_and_saveexec_b64 s[36:37], s[46:47]
	s_cbranch_execnz .LBB1222_883
.LBB1222_868:                           ;   in Loop: Header=BB1222_688 Depth=2
	s_or_b64 exec, exec, s[36:37]
	s_and_saveexec_b64 s[36:37], s[48:49]
	s_cbranch_execz .LBB1222_884
.LBB1222_869:                           ;   in Loop: Header=BB1222_688 Depth=2
	v_lshlrev_b32_e32 v64, 2, v175
	ds_read_b32 v66, v64
	ds_read_b64 v[64:65], v104 offset:12288
	v_mov_b32_e32 v67, v4
	v_mov_b32_e32 v68, s81
	s_waitcnt lgkmcnt(1)
	v_add_u32_e32 v66, v66, v14
	v_lshlrev_b64 v[66:67], 3, v[66:67]
	v_add_co_u32_e32 v66, vcc, s80, v66
	v_addc_co_u32_e32 v67, vcc, v68, v67, vcc
	s_waitcnt lgkmcnt(0)
	global_store_dwordx2 v[66:67], v[64:65], off
	s_or_b64 exec, exec, s[36:37]
	s_and_saveexec_b64 s[36:37], s[50:51]
	s_cbranch_execnz .LBB1222_885
.LBB1222_870:                           ;   in Loop: Header=BB1222_688 Depth=2
	s_or_b64 exec, exec, s[36:37]
	s_and_saveexec_b64 s[36:37], s[52:53]
	s_cbranch_execz .LBB1222_886
.LBB1222_871:                           ;   in Loop: Header=BB1222_688 Depth=2
	v_lshlrev_b32_e32 v64, 2, v172
	ds_read_b32 v66, v64
	ds_read_b64 v[64:65], v104 offset:16384
	v_mov_b32_e32 v67, v4
	v_mov_b32_e32 v68, s81
	s_waitcnt lgkmcnt(1)
	v_add_u32_e32 v66, v66, v18
	v_lshlrev_b64 v[66:67], 3, v[66:67]
	v_add_co_u32_e32 v66, vcc, s80, v66
	v_addc_co_u32_e32 v67, vcc, v68, v67, vcc
	s_waitcnt lgkmcnt(0)
	global_store_dwordx2 v[66:67], v[64:65], off
	s_or_b64 exec, exec, s[36:37]
	s_and_saveexec_b64 s[36:37], s[54:55]
	s_cbranch_execnz .LBB1222_887
.LBB1222_872:                           ;   in Loop: Header=BB1222_688 Depth=2
	s_or_b64 exec, exec, s[36:37]
	s_and_saveexec_b64 s[36:37], s[56:57]
	s_cbranch_execz .LBB1222_888
.LBB1222_873:                           ;   in Loop: Header=BB1222_688 Depth=2
	v_lshlrev_b32_e32 v64, 2, v169
	ds_read_b32 v66, v64
	ds_read_b64 v[64:65], v104 offset:20480
	v_mov_b32_e32 v67, v4
	v_mov_b32_e32 v68, s81
	s_waitcnt lgkmcnt(1)
	v_add_u32_e32 v66, v66, v22
	v_lshlrev_b64 v[66:67], 3, v[66:67]
	v_add_co_u32_e32 v66, vcc, s80, v66
	v_addc_co_u32_e32 v67, vcc, v68, v67, vcc
	s_waitcnt lgkmcnt(0)
	global_store_dwordx2 v[66:67], v[64:65], off
	s_or_b64 exec, exec, s[36:37]
	s_and_saveexec_b64 s[36:37], s[58:59]
	s_cbranch_execnz .LBB1222_889
.LBB1222_874:                           ;   in Loop: Header=BB1222_688 Depth=2
	s_or_b64 exec, exec, s[36:37]
	s_and_saveexec_b64 s[36:37], s[60:61]
	s_cbranch_execz .LBB1222_890
.LBB1222_875:                           ;   in Loop: Header=BB1222_688 Depth=2
	v_lshlrev_b32_e32 v64, 2, v167
	ds_read_b32 v66, v64
	ds_read_b64 v[64:65], v104 offset:24576
	v_mov_b32_e32 v67, v4
	v_mov_b32_e32 v68, s81
	s_waitcnt lgkmcnt(1)
	v_add_u32_e32 v66, v66, v26
	v_lshlrev_b64 v[66:67], 3, v[66:67]
	v_add_co_u32_e32 v66, vcc, s80, v66
	v_addc_co_u32_e32 v67, vcc, v68, v67, vcc
	s_waitcnt lgkmcnt(0)
	global_store_dwordx2 v[66:67], v[64:65], off
	s_or_b64 exec, exec, s[36:37]
	s_and_saveexec_b64 s[36:37], s[62:63]
	s_cbranch_execnz .LBB1222_891
.LBB1222_876:                           ;   in Loop: Header=BB1222_688 Depth=2
	s_or_b64 exec, exec, s[36:37]
	s_and_saveexec_b64 s[36:37], s[64:65]
	s_cbranch_execz .LBB1222_892
.LBB1222_877:                           ;   in Loop: Header=BB1222_688 Depth=2
	v_lshlrev_b32_e32 v64, 2, v165
	ds_read_b32 v66, v64
	ds_read_b64 v[64:65], v104 offset:28672
	v_mov_b32_e32 v67, v4
	v_mov_b32_e32 v68, s81
	s_waitcnt lgkmcnt(1)
	v_add_u32_e32 v66, v66, v30
	v_lshlrev_b64 v[66:67], 3, v[66:67]
	v_add_co_u32_e32 v66, vcc, s80, v66
	v_addc_co_u32_e32 v67, vcc, v68, v67, vcc
	s_waitcnt lgkmcnt(0)
	global_store_dwordx2 v[66:67], v[64:65], off
	s_or_b64 exec, exec, s[36:37]
	s_and_saveexec_b64 s[36:37], s[66:67]
	s_cbranch_execnz .LBB1222_893
	s_branch .LBB1222_894
.LBB1222_878:                           ;   in Loop: Header=BB1222_688 Depth=2
	s_or_b64 exec, exec, s[92:93]
	s_and_saveexec_b64 s[36:37], s[38:39]
	s_cbranch_execz .LBB1222_864
.LBB1222_879:                           ;   in Loop: Header=BB1222_688 Depth=2
	v_lshlrev_b32_e32 v64, 2, v181
	ds_read_b32 v66, v64
	ds_read_b64 v[64:65], v104 offset:2048
	v_mov_b32_e32 v67, v4
	v_mov_b32_e32 v68, s81
	s_waitcnt lgkmcnt(1)
	v_add_u32_e32 v66, v66, v7
	v_lshlrev_b64 v[66:67], 3, v[66:67]
	v_add_co_u32_e32 v66, vcc, s80, v66
	v_addc_co_u32_e32 v67, vcc, v68, v67, vcc
	s_waitcnt lgkmcnt(0)
	global_store_dwordx2 v[66:67], v[64:65], off
	s_or_b64 exec, exec, s[36:37]
	s_and_saveexec_b64 s[36:37], s[40:41]
	s_cbranch_execnz .LBB1222_865
.LBB1222_880:                           ;   in Loop: Header=BB1222_688 Depth=2
	s_or_b64 exec, exec, s[36:37]
	s_and_saveexec_b64 s[36:37], s[42:43]
	s_cbranch_execz .LBB1222_866
.LBB1222_881:                           ;   in Loop: Header=BB1222_688 Depth=2
	v_lshlrev_b32_e32 v64, 2, v179
	ds_read_b32 v66, v64
	ds_read_b64 v[64:65], v104 offset:6144
	v_mov_b32_e32 v67, v4
	v_mov_b32_e32 v68, s81
	s_waitcnt lgkmcnt(1)
	v_add_u32_e32 v66, v66, v8
	v_lshlrev_b64 v[66:67], 3, v[66:67]
	v_add_co_u32_e32 v66, vcc, s80, v66
	v_addc_co_u32_e32 v67, vcc, v68, v67, vcc
	s_waitcnt lgkmcnt(0)
	global_store_dwordx2 v[66:67], v[64:65], off
	s_or_b64 exec, exec, s[36:37]
	s_and_saveexec_b64 s[36:37], s[44:45]
	s_cbranch_execnz .LBB1222_867
.LBB1222_882:                           ;   in Loop: Header=BB1222_688 Depth=2
	s_or_b64 exec, exec, s[36:37]
	s_and_saveexec_b64 s[36:37], s[46:47]
	s_cbranch_execz .LBB1222_868
.LBB1222_883:                           ;   in Loop: Header=BB1222_688 Depth=2
	v_lshlrev_b32_e32 v64, 2, v176
	ds_read_b32 v66, v64
	ds_read_b64 v[64:65], v104 offset:10240
	v_mov_b32_e32 v67, v4
	v_mov_b32_e32 v68, s81
	s_waitcnt lgkmcnt(1)
	v_add_u32_e32 v66, v66, v12
	v_lshlrev_b64 v[66:67], 3, v[66:67]
	v_add_co_u32_e32 v66, vcc, s80, v66
	v_addc_co_u32_e32 v67, vcc, v68, v67, vcc
	s_waitcnt lgkmcnt(0)
	global_store_dwordx2 v[66:67], v[64:65], off
	s_or_b64 exec, exec, s[36:37]
	s_and_saveexec_b64 s[36:37], s[48:49]
	s_cbranch_execnz .LBB1222_869
.LBB1222_884:                           ;   in Loop: Header=BB1222_688 Depth=2
	s_or_b64 exec, exec, s[36:37]
	s_and_saveexec_b64 s[36:37], s[50:51]
	s_cbranch_execz .LBB1222_870
.LBB1222_885:                           ;   in Loop: Header=BB1222_688 Depth=2
	v_lshlrev_b32_e32 v64, 2, v174
	ds_read_b32 v66, v64
	ds_read_b64 v[64:65], v104 offset:14336
	v_mov_b32_e32 v67, v4
	v_mov_b32_e32 v68, s81
	s_waitcnt lgkmcnt(1)
	v_add_u32_e32 v66, v66, v16
	v_lshlrev_b64 v[66:67], 3, v[66:67]
	v_add_co_u32_e32 v66, vcc, s80, v66
	v_addc_co_u32_e32 v67, vcc, v68, v67, vcc
	s_waitcnt lgkmcnt(0)
	global_store_dwordx2 v[66:67], v[64:65], off
	s_or_b64 exec, exec, s[36:37]
	s_and_saveexec_b64 s[36:37], s[52:53]
	s_cbranch_execnz .LBB1222_871
.LBB1222_886:                           ;   in Loop: Header=BB1222_688 Depth=2
	s_or_b64 exec, exec, s[36:37]
	s_and_saveexec_b64 s[36:37], s[54:55]
	s_cbranch_execz .LBB1222_872
.LBB1222_887:                           ;   in Loop: Header=BB1222_688 Depth=2
	v_lshlrev_b32_e32 v64, 2, v171
	ds_read_b32 v66, v64
	ds_read_b64 v[64:65], v104 offset:18432
	v_mov_b32_e32 v67, v4
	v_mov_b32_e32 v68, s81
	s_waitcnt lgkmcnt(1)
	v_add_u32_e32 v66, v66, v20
	v_lshlrev_b64 v[66:67], 3, v[66:67]
	v_add_co_u32_e32 v66, vcc, s80, v66
	v_addc_co_u32_e32 v67, vcc, v68, v67, vcc
	s_waitcnt lgkmcnt(0)
	global_store_dwordx2 v[66:67], v[64:65], off
	s_or_b64 exec, exec, s[36:37]
	s_and_saveexec_b64 s[36:37], s[56:57]
	s_cbranch_execnz .LBB1222_873
.LBB1222_888:                           ;   in Loop: Header=BB1222_688 Depth=2
	s_or_b64 exec, exec, s[36:37]
	s_and_saveexec_b64 s[36:37], s[58:59]
	s_cbranch_execz .LBB1222_874
.LBB1222_889:                           ;   in Loop: Header=BB1222_688 Depth=2
	v_lshlrev_b32_e32 v64, 2, v168
	ds_read_b32 v66, v64
	ds_read_b64 v[64:65], v104 offset:22528
	v_mov_b32_e32 v67, v4
	v_mov_b32_e32 v68, s81
	s_waitcnt lgkmcnt(1)
	v_add_u32_e32 v66, v66, v24
	v_lshlrev_b64 v[66:67], 3, v[66:67]
	v_add_co_u32_e32 v66, vcc, s80, v66
	v_addc_co_u32_e32 v67, vcc, v68, v67, vcc
	s_waitcnt lgkmcnt(0)
	global_store_dwordx2 v[66:67], v[64:65], off
	s_or_b64 exec, exec, s[36:37]
	s_and_saveexec_b64 s[36:37], s[60:61]
	s_cbranch_execnz .LBB1222_875
.LBB1222_890:                           ;   in Loop: Header=BB1222_688 Depth=2
	s_or_b64 exec, exec, s[36:37]
	s_and_saveexec_b64 s[36:37], s[62:63]
	s_cbranch_execz .LBB1222_876
.LBB1222_891:                           ;   in Loop: Header=BB1222_688 Depth=2
	v_lshlrev_b32_e32 v64, 2, v166
	ds_read_b32 v66, v64
	ds_read_b64 v[64:65], v104 offset:26624
	v_mov_b32_e32 v67, v4
	v_mov_b32_e32 v68, s81
	s_waitcnt lgkmcnt(1)
	v_add_u32_e32 v66, v66, v28
	v_lshlrev_b64 v[66:67], 3, v[66:67]
	v_add_co_u32_e32 v66, vcc, s80, v66
	v_addc_co_u32_e32 v67, vcc, v68, v67, vcc
	s_waitcnt lgkmcnt(0)
	global_store_dwordx2 v[66:67], v[64:65], off
	s_or_b64 exec, exec, s[36:37]
	s_and_saveexec_b64 s[36:37], s[64:65]
	s_cbranch_execnz .LBB1222_877
.LBB1222_892:                           ;   in Loop: Header=BB1222_688 Depth=2
	s_or_b64 exec, exec, s[36:37]
	s_and_saveexec_b64 s[36:37], s[66:67]
	s_cbranch_execz .LBB1222_894
.LBB1222_893:                           ;   in Loop: Header=BB1222_688 Depth=2
	v_lshlrev_b32_e32 v64, 2, v164
	ds_read_b32 v66, v64
	ds_read_b64 v[64:65], v104 offset:30720
	v_mov_b32_e32 v67, v4
	v_mov_b32_e32 v68, s81
	s_waitcnt lgkmcnt(1)
	v_add_u32_e32 v66, v66, v32
	v_lshlrev_b64 v[66:67], 3, v[66:67]
	v_add_co_u32_e32 v66, vcc, s80, v66
	v_addc_co_u32_e32 v67, vcc, v68, v67, vcc
	s_waitcnt lgkmcnt(0)
	global_store_dwordx2 v[66:67], v[64:65], off
.LBB1222_894:                           ;   in Loop: Header=BB1222_688 Depth=2
	s_or_b64 exec, exec, s[36:37]
	s_barrier
	s_and_saveexec_b64 s[36:37], s[4:5]
	s_cbranch_execz .LBB1222_687
; %bb.895:                              ;   in Loop: Header=BB1222_688 Depth=2
	ds_read_b32 v64, v3
	s_waitcnt lgkmcnt(0)
	v_add_u32_e32 v5, v64, v5
	ds_write_b32 v3, v5
	s_branch .LBB1222_687
.LBB1222_896:                           ;   in Loop: Header=BB1222_12 Depth=1
	s_waitcnt lgkmcnt(0)
	s_barrier
	s_mov_b64 s[16:17], 0
	v_readlane_b32 s49, v236, 2
.LBB1222_897:                           ;   in Loop: Header=BB1222_12 Depth=1
	s_and_b64 vcc, exec, s[16:17]
	s_cbranch_vccz .LBB1222_11
; %bb.898:                              ;   in Loop: Header=BB1222_12 Depth=1
	s_mov_b32 s22, s85
	s_mov_b32 s88, s49
	s_barrier
	s_waitcnt lgkmcnt(0)
                                        ; implicit-def: $vgpr62_vgpr63
                                        ; implicit-def: $vgpr0_vgpr1
                                        ; implicit-def: $vgpr34_vgpr35
                                        ; implicit-def: $vgpr36_vgpr37
                                        ; implicit-def: $vgpr38_vgpr39
                                        ; implicit-def: $vgpr40_vgpr41
                                        ; implicit-def: $vgpr42_vgpr43
                                        ; implicit-def: $vgpr44_vgpr45
                                        ; implicit-def: $vgpr46_vgpr47
                                        ; implicit-def: $vgpr48_vgpr49
                                        ; implicit-def: $vgpr50_vgpr51
                                        ; implicit-def: $vgpr52_vgpr53
                                        ; implicit-def: $vgpr54_vgpr55
                                        ; implicit-def: $vgpr56_vgpr57
                                        ; implicit-def: $vgpr58_vgpr59
                                        ; implicit-def: $vgpr60_vgpr61
	s_branch .LBB1222_900
.LBB1222_899:                           ;   in Loop: Header=BB1222_900 Depth=2
	s_or_b64 exec, exec, s[16:17]
	s_addk_i32 s22, 0xf000
	s_cmp_ge_u32 s23, s94
	s_mov_b32 s88, s23
	s_cbranch_scc1 .LBB1222_970
.LBB1222_900:                           ;   Parent Loop BB1222_12 Depth=1
                                        ; =>  This Inner Loop Header: Depth=2
	s_add_i32 s23, s88, 0x1000
	s_cmp_gt_u32 s23, s94
	s_cbranch_scc1 .LBB1222_903
; %bb.901:                              ;   in Loop: Header=BB1222_900 Depth=2
	s_lshl_b64 s[16:17], s[88:89], 3
	v_mov_b32_e32 v5, s17
	v_add_co_u32_e32 v64, vcc, s16, v111
	v_addc_co_u32_e32 v65, vcc, v112, v5, vcc
	s_waitcnt vmcnt(11)
	v_add_co_u32_e32 v72, vcc, 0x1000, v64
	v_addc_co_u32_e32 v73, vcc, 0, v65, vcc
	s_waitcnt vmcnt(5)
	v_add_co_u32_e32 v78, vcc, s95, v64
	v_addc_co_u32_e32 v79, vcc, 0, v65, vcc
	s_waitcnt vmcnt(1)
	v_add_co_u32_e32 v82, vcc, s96, v64
	v_addc_co_u32_e32 v83, vcc, 0, v65, vcc
	v_add_co_u32_e32 v86, vcc, s97, v64
	v_addc_co_u32_e32 v87, vcc, 0, v65, vcc
	;; [unrolled: 2-line block ×4, first 2 shown]
	global_load_dwordx2 v[66:67], v[64:65], off
	global_load_dwordx2 v[68:69], v[64:65], off offset:2048
	global_load_dwordx2 v[70:71], v[72:73], off
	s_nop 0
	global_load_dwordx2 v[72:73], v[72:73], off offset:2048
	s_nop 0
	global_load_dwordx2 v[74:75], v[82:83], off
	global_load_dwordx2 v[76:77], v[82:83], off offset:2048
	global_load_dwordx2 v[80:81], v[88:89], off offset:-4096
	global_load_dwordx2 v[84:85], v[88:89], off
	s_nop 0
	global_load_dwordx2 v[88:89], v[88:89], off offset:2048
	s_nop 0
	global_load_dwordx2 v[78:79], v[78:79], off offset:2048
	;; [unrolled: 2-line block ×3, first 2 shown]
	s_nop 0
	global_load_dwordx2 v[90:91], v[92:93], off
	s_nop 0
	global_load_dwordx2 v[92:93], v[92:93], off offset:2048
	s_waitcnt vmcnt(13)
	v_add_co_u32_e32 v94, vcc, 0x7000, v64
	v_addc_co_u32_e32 v95, vcc, 0, v65, vcc
	global_load_dwordx2 v[82:83], v[82:83], off offset:-4096
	s_nop 0
	global_load_dwordx2 v[94:95], v[94:95], off
	v_add_co_u32_e32 v64, vcc, 0x7800, v64
	s_movk_i32 s24, 0x1000
	v_addc_co_u32_e32 v65, vcc, 0, v65, vcc
	s_mov_b64 s[16:17], -1
	s_cbranch_execz .LBB1222_904
; %bb.902:                              ;   in Loop: Header=BB1222_900 Depth=2
                                        ; implicit-def: $vgpr60_vgpr61
                                        ; implicit-def: $vgpr58_vgpr59
                                        ; implicit-def: $vgpr56_vgpr57
                                        ; implicit-def: $vgpr54_vgpr55
                                        ; implicit-def: $vgpr52_vgpr53
                                        ; implicit-def: $vgpr50_vgpr51
                                        ; implicit-def: $vgpr48_vgpr49
                                        ; implicit-def: $vgpr46_vgpr47
                                        ; implicit-def: $vgpr44_vgpr45
                                        ; implicit-def: $vgpr42_vgpr43
                                        ; implicit-def: $vgpr40_vgpr41
                                        ; implicit-def: $vgpr38_vgpr39
                                        ; implicit-def: $vgpr36_vgpr37
                                        ; implicit-def: $vgpr34_vgpr35
                                        ; implicit-def: $vgpr0_vgpr1
                                        ; implicit-def: $vgpr62_vgpr63
	v_mov_b32_e32 v5, s22
	s_and_saveexec_b64 s[18:19], s[16:17]
	s_cbranch_execnz .LBB1222_923
	s_branch .LBB1222_924
.LBB1222_903:                           ;   in Loop: Header=BB1222_900 Depth=2
	s_mov_b64 s[16:17], 0
                                        ; implicit-def: $sgpr24
                                        ; implicit-def: $vgpr66_vgpr67
                                        ; implicit-def: $vgpr68_vgpr69
                                        ; implicit-def: $vgpr70_vgpr71
                                        ; implicit-def: $vgpr72_vgpr73
                                        ; implicit-def: $vgpr82_vgpr83
                                        ; implicit-def: $vgpr78_vgpr79
                                        ; implicit-def: $vgpr74_vgpr75
                                        ; implicit-def: $vgpr76_vgpr77
                                        ; implicit-def: $vgpr80_vgpr81
                                        ; implicit-def: $vgpr86_vgpr87
                                        ; implicit-def: $vgpr84_vgpr85
                                        ; implicit-def: $vgpr88_vgpr89
                                        ; implicit-def: $vgpr90_vgpr91
                                        ; implicit-def: $vgpr92_vgpr93
                                        ; implicit-def: $vgpr94_vgpr95
                                        ; implicit-def: $vgpr64_vgpr65
.LBB1222_904:                           ;   in Loop: Header=BB1222_900 Depth=2
	s_lshl_b64 s[18:19], s[88:89], 3
	s_add_u32 s18, s72, s18
	s_addc_u32 s19, s73, s19
	v_cmp_gt_u32_e32 vcc, s22, v2
	s_and_saveexec_b64 s[20:21], vcc
	s_cbranch_execz .LBB1222_956
; %bb.905:                              ;   in Loop: Header=BB1222_900 Depth=2
	global_load_dwordx2 v[60:61], v118, s[18:19]
	s_or_b64 exec, exec, s[20:21]
	v_cmp_gt_u32_e32 vcc, s22, v7
	s_and_saveexec_b64 s[20:21], vcc
	s_cbranch_execnz .LBB1222_957
.LBB1222_906:                           ;   in Loop: Header=BB1222_900 Depth=2
	s_or_b64 exec, exec, s[20:21]
	v_cmp_gt_u32_e32 vcc, s22, v6
	s_and_saveexec_b64 s[20:21], vcc
	s_cbranch_execz .LBB1222_958
.LBB1222_907:                           ;   in Loop: Header=BB1222_900 Depth=2
	global_load_dwordx2 v[56:57], v119, s[18:19]
	s_or_b64 exec, exec, s[20:21]
	v_cmp_gt_u32_e32 vcc, s22, v8
	s_and_saveexec_b64 s[20:21], vcc
	s_cbranch_execnz .LBB1222_959
.LBB1222_908:                           ;   in Loop: Header=BB1222_900 Depth=2
	s_or_b64 exec, exec, s[20:21]
	v_cmp_gt_u32_e32 vcc, s22, v10
	s_and_saveexec_b64 s[20:21], vcc
	s_cbranch_execz .LBB1222_960
.LBB1222_909:                           ;   in Loop: Header=BB1222_900 Depth=2
	global_load_dwordx2 v[52:53], v121, s[18:19]
	s_or_b64 exec, exec, s[20:21]
	v_cmp_gt_u32_e32 vcc, s22, v12
	s_and_saveexec_b64 s[20:21], vcc
	s_cbranch_execnz .LBB1222_961
.LBB1222_910:                           ;   in Loop: Header=BB1222_900 Depth=2
	s_or_b64 exec, exec, s[20:21]
	v_cmp_gt_u32_e32 vcc, s22, v14
	s_and_saveexec_b64 s[20:21], vcc
	s_cbranch_execz .LBB1222_962
.LBB1222_911:                           ;   in Loop: Header=BB1222_900 Depth=2
	global_load_dwordx2 v[48:49], v123, s[18:19]
	s_or_b64 exec, exec, s[20:21]
	v_cmp_gt_u32_e32 vcc, s22, v16
	s_and_saveexec_b64 s[20:21], vcc
	s_cbranch_execnz .LBB1222_963
.LBB1222_912:                           ;   in Loop: Header=BB1222_900 Depth=2
	s_or_b64 exec, exec, s[20:21]
	v_cmp_gt_u32_e32 vcc, s22, v18
	s_and_saveexec_b64 s[20:21], vcc
	s_cbranch_execz .LBB1222_964
.LBB1222_913:                           ;   in Loop: Header=BB1222_900 Depth=2
	global_load_dwordx2 v[44:45], v125, s[18:19]
	s_or_b64 exec, exec, s[20:21]
	v_cmp_gt_u32_e32 vcc, s22, v20
	s_and_saveexec_b64 s[20:21], vcc
	s_cbranch_execnz .LBB1222_965
.LBB1222_914:                           ;   in Loop: Header=BB1222_900 Depth=2
	s_or_b64 exec, exec, s[20:21]
	v_cmp_gt_u32_e32 vcc, s22, v22
	s_and_saveexec_b64 s[20:21], vcc
	s_cbranch_execz .LBB1222_966
.LBB1222_915:                           ;   in Loop: Header=BB1222_900 Depth=2
	global_load_dwordx2 v[40:41], v127, s[18:19]
	s_or_b64 exec, exec, s[20:21]
	v_cmp_gt_u32_e32 vcc, s22, v24
	s_and_saveexec_b64 s[20:21], vcc
	s_cbranch_execnz .LBB1222_967
.LBB1222_916:                           ;   in Loop: Header=BB1222_900 Depth=2
	s_or_b64 exec, exec, s[20:21]
	v_cmp_gt_u32_e32 vcc, s22, v26
	s_and_saveexec_b64 s[20:21], vcc
	s_cbranch_execz .LBB1222_968
.LBB1222_917:                           ;   in Loop: Header=BB1222_900 Depth=2
	global_load_dwordx2 v[36:37], v129, s[18:19]
	s_or_b64 exec, exec, s[20:21]
	v_cmp_gt_u32_e32 vcc, s22, v28
	s_and_saveexec_b64 s[20:21], vcc
	s_cbranch_execnz .LBB1222_969
.LBB1222_918:                           ;   in Loop: Header=BB1222_900 Depth=2
	s_or_b64 exec, exec, s[20:21]
	v_cmp_gt_u32_e32 vcc, s22, v30
	s_and_saveexec_b64 s[20:21], vcc
	s_cbranch_execz .LBB1222_920
.LBB1222_919:                           ;   in Loop: Header=BB1222_900 Depth=2
	global_load_dwordx2 v[0:1], v131, s[18:19]
.LBB1222_920:                           ;   in Loop: Header=BB1222_900 Depth=2
	s_or_b64 exec, exec, s[20:21]
	v_cmp_gt_u32_e32 vcc, s22, v32
                                        ; implicit-def: $sgpr24
                                        ; implicit-def: $vgpr64_vgpr65
	s_and_saveexec_b64 s[20:21], vcc
; %bb.921:                              ;   in Loop: Header=BB1222_900 Depth=2
	v_mov_b32_e32 v5, s19
	v_add_co_u32_e32 v64, vcc, s18, v132
	s_sub_i32 s24, s94, s88
	v_addc_co_u32_e32 v65, vcc, 0, v5, vcc
	s_or_b64 s[16:17], s[16:17], exec
                                        ; implicit-def: $vgpr62_vgpr63
; %bb.922:                              ;   in Loop: Header=BB1222_900 Depth=2
	s_or_b64 exec, exec, s[20:21]
	s_waitcnt vmcnt(0)
	v_pk_mov_b32 v[66:67], v[60:61], v[60:61] op_sel:[0,1]
	v_pk_mov_b32 v[68:69], v[58:59], v[58:59] op_sel:[0,1]
	;; [unrolled: 1-line block ×15, first 2 shown]
	v_mov_b32_e32 v5, s22
	s_and_saveexec_b64 s[18:19], s[16:17]
	s_cbranch_execz .LBB1222_924
.LBB1222_923:                           ;   in Loop: Header=BB1222_900 Depth=2
	global_load_dwordx2 v[62:63], v[64:65], off
	v_mov_b32_e32 v5, s24
	s_waitcnt vmcnt(1)
	v_pk_mov_b32 v[0:1], v[94:95], v[94:95] op_sel:[0,1]
	v_pk_mov_b32 v[34:35], v[92:93], v[92:93] op_sel:[0,1]
	;; [unrolled: 1-line block ×15, first 2 shown]
.LBB1222_924:                           ;   in Loop: Header=BB1222_900 Depth=2
	s_or_b64 exec, exec, s[18:19]
	v_cmp_lt_u32_e32 vcc, v2, v5
	s_and_saveexec_b64 s[16:17], vcc
	s_cbranch_execz .LBB1222_940
; %bb.925:                              ;   in Loop: Header=BB1222_900 Depth=2
	v_cmp_lt_i64_e32 vcc, -1, v[60:61]
	v_cndmask_b32_e32 v64, -1, v133, vcc
	s_waitcnt vmcnt(14)
	v_ashrrev_i32_e32 v66, 31, v61
	v_xor_b32_e32 v65, v64, v61
	v_xor_b32_e32 v64, v66, v60
	v_cmp_ne_u64_e32 vcc, s[78:79], v[64:65]
	v_cndmask_b32_e32 v65, v133, v65, vcc
	v_cndmask_b32_e32 v64, 0, v64, vcc
	v_lshrrev_b64 v[64:65], s84, v[64:65]
	v_and_b32_e32 v64, s68, v64
	v_lshl_or_b32 v64, v64, 4, v134
	ds_add_u32 v64, v117
	s_or_b64 exec, exec, s[16:17]
	v_cmp_lt_u32_e32 vcc, v7, v5
	s_and_saveexec_b64 s[16:17], vcc
	s_cbranch_execnz .LBB1222_941
.LBB1222_926:                           ;   in Loop: Header=BB1222_900 Depth=2
	s_or_b64 exec, exec, s[16:17]
	v_cmp_lt_u32_e32 vcc, v6, v5
	s_and_saveexec_b64 s[16:17], vcc
	s_cbranch_execz .LBB1222_942
.LBB1222_927:                           ;   in Loop: Header=BB1222_900 Depth=2
	v_cmp_lt_i64_e32 vcc, -1, v[56:57]
	v_cndmask_b32_e32 v64, -1, v133, vcc
	s_waitcnt vmcnt(14)
	v_ashrrev_i32_e32 v66, 31, v57
	v_xor_b32_e32 v65, v64, v57
	v_xor_b32_e32 v64, v66, v56
	v_cmp_ne_u64_e32 vcc, s[78:79], v[64:65]
	v_cndmask_b32_e32 v65, v133, v65, vcc
	v_cndmask_b32_e32 v64, 0, v64, vcc
	v_lshrrev_b64 v[64:65], s84, v[64:65]
	v_and_b32_e32 v64, s68, v64
	v_lshl_or_b32 v64, v64, 4, v134
	ds_add_u32 v64, v117
	s_or_b64 exec, exec, s[16:17]
	v_cmp_lt_u32_e32 vcc, v8, v5
	s_and_saveexec_b64 s[16:17], vcc
	s_cbranch_execnz .LBB1222_943
.LBB1222_928:                           ;   in Loop: Header=BB1222_900 Depth=2
	s_or_b64 exec, exec, s[16:17]
	v_cmp_lt_u32_e32 vcc, v10, v5
	s_and_saveexec_b64 s[16:17], vcc
	s_cbranch_execz .LBB1222_944
.LBB1222_929:                           ;   in Loop: Header=BB1222_900 Depth=2
	v_cmp_lt_i64_e32 vcc, -1, v[52:53]
	v_cndmask_b32_e32 v64, -1, v133, vcc
	s_waitcnt vmcnt(14)
	v_ashrrev_i32_e32 v66, 31, v53
	v_xor_b32_e32 v65, v64, v53
	v_xor_b32_e32 v64, v66, v52
	v_cmp_ne_u64_e32 vcc, s[78:79], v[64:65]
	v_cndmask_b32_e32 v65, v133, v65, vcc
	v_cndmask_b32_e32 v64, 0, v64, vcc
	v_lshrrev_b64 v[64:65], s84, v[64:65]
	v_and_b32_e32 v64, s68, v64
	v_lshl_or_b32 v64, v64, 4, v134
	ds_add_u32 v64, v117
	s_or_b64 exec, exec, s[16:17]
	v_cmp_lt_u32_e32 vcc, v12, v5
	s_and_saveexec_b64 s[16:17], vcc
	s_cbranch_execnz .LBB1222_945
.LBB1222_930:                           ;   in Loop: Header=BB1222_900 Depth=2
	s_or_b64 exec, exec, s[16:17]
	v_cmp_lt_u32_e32 vcc, v14, v5
	s_and_saveexec_b64 s[16:17], vcc
	s_cbranch_execz .LBB1222_946
.LBB1222_931:                           ;   in Loop: Header=BB1222_900 Depth=2
	v_cmp_lt_i64_e32 vcc, -1, v[48:49]
	v_cndmask_b32_e32 v64, -1, v133, vcc
	s_waitcnt vmcnt(14)
	v_ashrrev_i32_e32 v66, 31, v49
	v_xor_b32_e32 v65, v64, v49
	v_xor_b32_e32 v64, v66, v48
	v_cmp_ne_u64_e32 vcc, s[78:79], v[64:65]
	v_cndmask_b32_e32 v65, v133, v65, vcc
	v_cndmask_b32_e32 v64, 0, v64, vcc
	v_lshrrev_b64 v[64:65], s84, v[64:65]
	v_and_b32_e32 v64, s68, v64
	v_lshl_or_b32 v64, v64, 4, v134
	ds_add_u32 v64, v117
	s_or_b64 exec, exec, s[16:17]
	v_cmp_lt_u32_e32 vcc, v16, v5
	s_and_saveexec_b64 s[16:17], vcc
	s_cbranch_execnz .LBB1222_947
.LBB1222_932:                           ;   in Loop: Header=BB1222_900 Depth=2
	s_or_b64 exec, exec, s[16:17]
	v_cmp_lt_u32_e32 vcc, v18, v5
	s_and_saveexec_b64 s[16:17], vcc
	s_cbranch_execz .LBB1222_948
.LBB1222_933:                           ;   in Loop: Header=BB1222_900 Depth=2
	v_cmp_lt_i64_e32 vcc, -1, v[44:45]
	v_cndmask_b32_e32 v64, -1, v133, vcc
	s_waitcnt vmcnt(14)
	v_ashrrev_i32_e32 v66, 31, v45
	v_xor_b32_e32 v65, v64, v45
	v_xor_b32_e32 v64, v66, v44
	v_cmp_ne_u64_e32 vcc, s[78:79], v[64:65]
	v_cndmask_b32_e32 v65, v133, v65, vcc
	v_cndmask_b32_e32 v64, 0, v64, vcc
	v_lshrrev_b64 v[64:65], s84, v[64:65]
	v_and_b32_e32 v64, s68, v64
	v_lshl_or_b32 v64, v64, 4, v134
	ds_add_u32 v64, v117
	s_or_b64 exec, exec, s[16:17]
	v_cmp_lt_u32_e32 vcc, v20, v5
	s_and_saveexec_b64 s[16:17], vcc
	s_cbranch_execnz .LBB1222_949
.LBB1222_934:                           ;   in Loop: Header=BB1222_900 Depth=2
	s_or_b64 exec, exec, s[16:17]
	v_cmp_lt_u32_e32 vcc, v22, v5
	s_and_saveexec_b64 s[16:17], vcc
	s_cbranch_execz .LBB1222_950
.LBB1222_935:                           ;   in Loop: Header=BB1222_900 Depth=2
	v_cmp_lt_i64_e32 vcc, -1, v[40:41]
	v_cndmask_b32_e32 v64, -1, v133, vcc
	s_waitcnt vmcnt(14)
	v_ashrrev_i32_e32 v66, 31, v41
	v_xor_b32_e32 v65, v64, v41
	v_xor_b32_e32 v64, v66, v40
	v_cmp_ne_u64_e32 vcc, s[78:79], v[64:65]
	v_cndmask_b32_e32 v65, v133, v65, vcc
	v_cndmask_b32_e32 v64, 0, v64, vcc
	v_lshrrev_b64 v[64:65], s84, v[64:65]
	v_and_b32_e32 v64, s68, v64
	v_lshl_or_b32 v64, v64, 4, v134
	ds_add_u32 v64, v117
	s_or_b64 exec, exec, s[16:17]
	v_cmp_lt_u32_e32 vcc, v24, v5
	s_and_saveexec_b64 s[16:17], vcc
	s_cbranch_execnz .LBB1222_951
.LBB1222_936:                           ;   in Loop: Header=BB1222_900 Depth=2
	s_or_b64 exec, exec, s[16:17]
	v_cmp_lt_u32_e32 vcc, v26, v5
	s_and_saveexec_b64 s[16:17], vcc
	s_cbranch_execz .LBB1222_952
.LBB1222_937:                           ;   in Loop: Header=BB1222_900 Depth=2
	v_cmp_lt_i64_e32 vcc, -1, v[36:37]
	v_cndmask_b32_e32 v64, -1, v133, vcc
	s_waitcnt vmcnt(14)
	v_ashrrev_i32_e32 v66, 31, v37
	v_xor_b32_e32 v65, v64, v37
	v_xor_b32_e32 v64, v66, v36
	v_cmp_ne_u64_e32 vcc, s[78:79], v[64:65]
	v_cndmask_b32_e32 v65, v133, v65, vcc
	v_cndmask_b32_e32 v64, 0, v64, vcc
	v_lshrrev_b64 v[64:65], s84, v[64:65]
	v_and_b32_e32 v64, s68, v64
	v_lshl_or_b32 v64, v64, 4, v134
	ds_add_u32 v64, v117
	s_or_b64 exec, exec, s[16:17]
	v_cmp_lt_u32_e32 vcc, v28, v5
	s_and_saveexec_b64 s[16:17], vcc
	s_cbranch_execnz .LBB1222_953
.LBB1222_938:                           ;   in Loop: Header=BB1222_900 Depth=2
	s_or_b64 exec, exec, s[16:17]
	v_cmp_lt_u32_e32 vcc, v30, v5
	s_and_saveexec_b64 s[16:17], vcc
	s_cbranch_execz .LBB1222_954
.LBB1222_939:                           ;   in Loop: Header=BB1222_900 Depth=2
	v_cmp_lt_i64_e32 vcc, -1, v[0:1]
	v_cndmask_b32_e32 v64, -1, v133, vcc
	s_waitcnt vmcnt(14)
	v_ashrrev_i32_e32 v66, 31, v1
	v_xor_b32_e32 v65, v64, v1
	v_xor_b32_e32 v64, v66, v0
	v_cmp_ne_u64_e32 vcc, s[78:79], v[64:65]
	v_cndmask_b32_e32 v65, v133, v65, vcc
	v_cndmask_b32_e32 v64, 0, v64, vcc
	v_lshrrev_b64 v[64:65], s84, v[64:65]
	v_and_b32_e32 v64, s68, v64
	v_lshl_or_b32 v64, v64, 4, v134
	ds_add_u32 v64, v117
	s_or_b64 exec, exec, s[16:17]
	v_cmp_lt_u32_e32 vcc, v32, v5
	s_and_saveexec_b64 s[16:17], vcc
	s_cbranch_execz .LBB1222_899
	s_branch .LBB1222_955
.LBB1222_940:                           ;   in Loop: Header=BB1222_900 Depth=2
	s_or_b64 exec, exec, s[16:17]
	v_cmp_lt_u32_e32 vcc, v7, v5
	s_and_saveexec_b64 s[16:17], vcc
	s_cbranch_execz .LBB1222_926
.LBB1222_941:                           ;   in Loop: Header=BB1222_900 Depth=2
	v_cmp_lt_i64_e32 vcc, -1, v[58:59]
	v_cndmask_b32_e32 v64, -1, v133, vcc
	s_waitcnt vmcnt(14)
	v_ashrrev_i32_e32 v66, 31, v59
	v_xor_b32_e32 v65, v64, v59
	v_xor_b32_e32 v64, v66, v58
	v_cmp_ne_u64_e32 vcc, s[78:79], v[64:65]
	v_cndmask_b32_e32 v65, v133, v65, vcc
	v_cndmask_b32_e32 v64, 0, v64, vcc
	v_lshrrev_b64 v[64:65], s84, v[64:65]
	v_and_b32_e32 v64, s68, v64
	v_lshl_or_b32 v64, v64, 4, v134
	ds_add_u32 v64, v117
	s_or_b64 exec, exec, s[16:17]
	v_cmp_lt_u32_e32 vcc, v6, v5
	s_and_saveexec_b64 s[16:17], vcc
	s_cbranch_execnz .LBB1222_927
.LBB1222_942:                           ;   in Loop: Header=BB1222_900 Depth=2
	s_or_b64 exec, exec, s[16:17]
	v_cmp_lt_u32_e32 vcc, v8, v5
	s_and_saveexec_b64 s[16:17], vcc
	s_cbranch_execz .LBB1222_928
.LBB1222_943:                           ;   in Loop: Header=BB1222_900 Depth=2
	v_cmp_lt_i64_e32 vcc, -1, v[54:55]
	v_cndmask_b32_e32 v64, -1, v133, vcc
	s_waitcnt vmcnt(14)
	v_ashrrev_i32_e32 v66, 31, v55
	v_xor_b32_e32 v65, v64, v55
	v_xor_b32_e32 v64, v66, v54
	v_cmp_ne_u64_e32 vcc, s[78:79], v[64:65]
	v_cndmask_b32_e32 v65, v133, v65, vcc
	v_cndmask_b32_e32 v64, 0, v64, vcc
	v_lshrrev_b64 v[64:65], s84, v[64:65]
	v_and_b32_e32 v64, s68, v64
	v_lshl_or_b32 v64, v64, 4, v134
	ds_add_u32 v64, v117
	s_or_b64 exec, exec, s[16:17]
	v_cmp_lt_u32_e32 vcc, v10, v5
	s_and_saveexec_b64 s[16:17], vcc
	s_cbranch_execnz .LBB1222_929
.LBB1222_944:                           ;   in Loop: Header=BB1222_900 Depth=2
	s_or_b64 exec, exec, s[16:17]
	v_cmp_lt_u32_e32 vcc, v12, v5
	s_and_saveexec_b64 s[16:17], vcc
	s_cbranch_execz .LBB1222_930
.LBB1222_945:                           ;   in Loop: Header=BB1222_900 Depth=2
	v_cmp_lt_i64_e32 vcc, -1, v[50:51]
	v_cndmask_b32_e32 v64, -1, v133, vcc
	s_waitcnt vmcnt(14)
	v_ashrrev_i32_e32 v66, 31, v51
	v_xor_b32_e32 v65, v64, v51
	v_xor_b32_e32 v64, v66, v50
	v_cmp_ne_u64_e32 vcc, s[78:79], v[64:65]
	v_cndmask_b32_e32 v65, v133, v65, vcc
	v_cndmask_b32_e32 v64, 0, v64, vcc
	v_lshrrev_b64 v[64:65], s84, v[64:65]
	v_and_b32_e32 v64, s68, v64
	v_lshl_or_b32 v64, v64, 4, v134
	ds_add_u32 v64, v117
	s_or_b64 exec, exec, s[16:17]
	v_cmp_lt_u32_e32 vcc, v14, v5
	s_and_saveexec_b64 s[16:17], vcc
	s_cbranch_execnz .LBB1222_931
.LBB1222_946:                           ;   in Loop: Header=BB1222_900 Depth=2
	s_or_b64 exec, exec, s[16:17]
	v_cmp_lt_u32_e32 vcc, v16, v5
	s_and_saveexec_b64 s[16:17], vcc
	s_cbranch_execz .LBB1222_932
.LBB1222_947:                           ;   in Loop: Header=BB1222_900 Depth=2
	v_cmp_lt_i64_e32 vcc, -1, v[46:47]
	v_cndmask_b32_e32 v64, -1, v133, vcc
	s_waitcnt vmcnt(14)
	v_ashrrev_i32_e32 v66, 31, v47
	v_xor_b32_e32 v65, v64, v47
	v_xor_b32_e32 v64, v66, v46
	v_cmp_ne_u64_e32 vcc, s[78:79], v[64:65]
	v_cndmask_b32_e32 v65, v133, v65, vcc
	v_cndmask_b32_e32 v64, 0, v64, vcc
	v_lshrrev_b64 v[64:65], s84, v[64:65]
	v_and_b32_e32 v64, s68, v64
	v_lshl_or_b32 v64, v64, 4, v134
	ds_add_u32 v64, v117
	s_or_b64 exec, exec, s[16:17]
	v_cmp_lt_u32_e32 vcc, v18, v5
	s_and_saveexec_b64 s[16:17], vcc
	s_cbranch_execnz .LBB1222_933
.LBB1222_948:                           ;   in Loop: Header=BB1222_900 Depth=2
	s_or_b64 exec, exec, s[16:17]
	v_cmp_lt_u32_e32 vcc, v20, v5
	s_and_saveexec_b64 s[16:17], vcc
	s_cbranch_execz .LBB1222_934
.LBB1222_949:                           ;   in Loop: Header=BB1222_900 Depth=2
	v_cmp_lt_i64_e32 vcc, -1, v[42:43]
	v_cndmask_b32_e32 v64, -1, v133, vcc
	s_waitcnt vmcnt(14)
	v_ashrrev_i32_e32 v66, 31, v43
	v_xor_b32_e32 v65, v64, v43
	v_xor_b32_e32 v64, v66, v42
	v_cmp_ne_u64_e32 vcc, s[78:79], v[64:65]
	v_cndmask_b32_e32 v65, v133, v65, vcc
	v_cndmask_b32_e32 v64, 0, v64, vcc
	v_lshrrev_b64 v[64:65], s84, v[64:65]
	v_and_b32_e32 v64, s68, v64
	v_lshl_or_b32 v64, v64, 4, v134
	ds_add_u32 v64, v117
	s_or_b64 exec, exec, s[16:17]
	v_cmp_lt_u32_e32 vcc, v22, v5
	s_and_saveexec_b64 s[16:17], vcc
	s_cbranch_execnz .LBB1222_935
.LBB1222_950:                           ;   in Loop: Header=BB1222_900 Depth=2
	s_or_b64 exec, exec, s[16:17]
	v_cmp_lt_u32_e32 vcc, v24, v5
	s_and_saveexec_b64 s[16:17], vcc
	s_cbranch_execz .LBB1222_936
.LBB1222_951:                           ;   in Loop: Header=BB1222_900 Depth=2
	v_cmp_lt_i64_e32 vcc, -1, v[38:39]
	v_cndmask_b32_e32 v64, -1, v133, vcc
	s_waitcnt vmcnt(14)
	v_ashrrev_i32_e32 v66, 31, v39
	v_xor_b32_e32 v65, v64, v39
	v_xor_b32_e32 v64, v66, v38
	v_cmp_ne_u64_e32 vcc, s[78:79], v[64:65]
	v_cndmask_b32_e32 v65, v133, v65, vcc
	v_cndmask_b32_e32 v64, 0, v64, vcc
	v_lshrrev_b64 v[64:65], s84, v[64:65]
	v_and_b32_e32 v64, s68, v64
	v_lshl_or_b32 v64, v64, 4, v134
	ds_add_u32 v64, v117
	s_or_b64 exec, exec, s[16:17]
	v_cmp_lt_u32_e32 vcc, v26, v5
	s_and_saveexec_b64 s[16:17], vcc
	s_cbranch_execnz .LBB1222_937
.LBB1222_952:                           ;   in Loop: Header=BB1222_900 Depth=2
	s_or_b64 exec, exec, s[16:17]
	v_cmp_lt_u32_e32 vcc, v28, v5
	s_and_saveexec_b64 s[16:17], vcc
	s_cbranch_execz .LBB1222_938
.LBB1222_953:                           ;   in Loop: Header=BB1222_900 Depth=2
	v_cmp_lt_i64_e32 vcc, -1, v[34:35]
	v_cndmask_b32_e32 v64, -1, v133, vcc
	s_waitcnt vmcnt(14)
	v_ashrrev_i32_e32 v66, 31, v35
	v_xor_b32_e32 v65, v64, v35
	v_xor_b32_e32 v64, v66, v34
	v_cmp_ne_u64_e32 vcc, s[78:79], v[64:65]
	v_cndmask_b32_e32 v65, v133, v65, vcc
	v_cndmask_b32_e32 v64, 0, v64, vcc
	v_lshrrev_b64 v[64:65], s84, v[64:65]
	v_and_b32_e32 v64, s68, v64
	v_lshl_or_b32 v64, v64, 4, v134
	ds_add_u32 v64, v117
	s_or_b64 exec, exec, s[16:17]
	v_cmp_lt_u32_e32 vcc, v30, v5
	s_and_saveexec_b64 s[16:17], vcc
	s_cbranch_execnz .LBB1222_939
.LBB1222_954:                           ;   in Loop: Header=BB1222_900 Depth=2
	s_or_b64 exec, exec, s[16:17]
	v_cmp_lt_u32_e32 vcc, v32, v5
	s_and_saveexec_b64 s[16:17], vcc
	s_cbranch_execz .LBB1222_899
.LBB1222_955:                           ;   in Loop: Header=BB1222_900 Depth=2
	s_waitcnt vmcnt(0)
	v_cmp_lt_i64_e32 vcc, -1, v[62:63]
	v_cndmask_b32_e32 v5, -1, v133, vcc
	v_ashrrev_i32_e32 v64, 31, v63
	v_xor_b32_e32 v65, v5, v63
	v_xor_b32_e32 v64, v64, v62
	v_cmp_ne_u64_e32 vcc, s[78:79], v[64:65]
	v_cndmask_b32_e32 v65, v133, v65, vcc
	v_cndmask_b32_e32 v64, 0, v64, vcc
	v_lshrrev_b64 v[64:65], s84, v[64:65]
	v_and_b32_e32 v5, s68, v64
	v_lshl_or_b32 v5, v5, 4, v134
	ds_add_u32 v5, v117
	s_branch .LBB1222_899
.LBB1222_956:                           ;   in Loop: Header=BB1222_900 Depth=2
	s_or_b64 exec, exec, s[20:21]
	v_cmp_gt_u32_e32 vcc, s22, v7
	s_and_saveexec_b64 s[20:21], vcc
	s_cbranch_execz .LBB1222_906
.LBB1222_957:                           ;   in Loop: Header=BB1222_900 Depth=2
	global_load_dwordx2 v[58:59], v118, s[18:19] offset:2048
	s_or_b64 exec, exec, s[20:21]
	v_cmp_gt_u32_e32 vcc, s22, v6
	s_and_saveexec_b64 s[20:21], vcc
	s_cbranch_execnz .LBB1222_907
.LBB1222_958:                           ;   in Loop: Header=BB1222_900 Depth=2
	s_or_b64 exec, exec, s[20:21]
	v_cmp_gt_u32_e32 vcc, s22, v8
	s_and_saveexec_b64 s[20:21], vcc
	s_cbranch_execz .LBB1222_908
.LBB1222_959:                           ;   in Loop: Header=BB1222_900 Depth=2
	global_load_dwordx2 v[54:55], v120, s[18:19]
	s_or_b64 exec, exec, s[20:21]
	v_cmp_gt_u32_e32 vcc, s22, v10
	s_and_saveexec_b64 s[20:21], vcc
	s_cbranch_execnz .LBB1222_909
.LBB1222_960:                           ;   in Loop: Header=BB1222_900 Depth=2
	s_or_b64 exec, exec, s[20:21]
	v_cmp_gt_u32_e32 vcc, s22, v12
	s_and_saveexec_b64 s[20:21], vcc
	s_cbranch_execz .LBB1222_910
.LBB1222_961:                           ;   in Loop: Header=BB1222_900 Depth=2
	global_load_dwordx2 v[50:51], v122, s[18:19]
	s_or_b64 exec, exec, s[20:21]
	v_cmp_gt_u32_e32 vcc, s22, v14
	s_and_saveexec_b64 s[20:21], vcc
	s_cbranch_execnz .LBB1222_911
.LBB1222_962:                           ;   in Loop: Header=BB1222_900 Depth=2
	s_or_b64 exec, exec, s[20:21]
	v_cmp_gt_u32_e32 vcc, s22, v16
	s_and_saveexec_b64 s[20:21], vcc
	s_cbranch_execz .LBB1222_912
.LBB1222_963:                           ;   in Loop: Header=BB1222_900 Depth=2
	global_load_dwordx2 v[46:47], v124, s[18:19]
	s_or_b64 exec, exec, s[20:21]
	v_cmp_gt_u32_e32 vcc, s22, v18
	s_and_saveexec_b64 s[20:21], vcc
	s_cbranch_execnz .LBB1222_913
.LBB1222_964:                           ;   in Loop: Header=BB1222_900 Depth=2
	s_or_b64 exec, exec, s[20:21]
	v_cmp_gt_u32_e32 vcc, s22, v20
	s_and_saveexec_b64 s[20:21], vcc
	s_cbranch_execz .LBB1222_914
.LBB1222_965:                           ;   in Loop: Header=BB1222_900 Depth=2
	global_load_dwordx2 v[42:43], v126, s[18:19]
	s_or_b64 exec, exec, s[20:21]
	v_cmp_gt_u32_e32 vcc, s22, v22
	s_and_saveexec_b64 s[20:21], vcc
	s_cbranch_execnz .LBB1222_915
.LBB1222_966:                           ;   in Loop: Header=BB1222_900 Depth=2
	s_or_b64 exec, exec, s[20:21]
	v_cmp_gt_u32_e32 vcc, s22, v24
	s_and_saveexec_b64 s[20:21], vcc
	s_cbranch_execz .LBB1222_916
.LBB1222_967:                           ;   in Loop: Header=BB1222_900 Depth=2
	global_load_dwordx2 v[38:39], v128, s[18:19]
	s_or_b64 exec, exec, s[20:21]
	v_cmp_gt_u32_e32 vcc, s22, v26
	s_and_saveexec_b64 s[20:21], vcc
	s_cbranch_execnz .LBB1222_917
.LBB1222_968:                           ;   in Loop: Header=BB1222_900 Depth=2
	s_or_b64 exec, exec, s[20:21]
	v_cmp_gt_u32_e32 vcc, s22, v28
	s_and_saveexec_b64 s[20:21], vcc
	s_cbranch_execz .LBB1222_918
.LBB1222_969:                           ;   in Loop: Header=BB1222_900 Depth=2
	global_load_dwordx2 v[34:35], v130, s[18:19]
	s_or_b64 exec, exec, s[20:21]
	v_cmp_gt_u32_e32 vcc, s22, v30
	s_and_saveexec_b64 s[20:21], vcc
	s_cbranch_execz .LBB1222_920
	s_branch .LBB1222_919
.LBB1222_970:                           ;   in Loop: Header=BB1222_12 Depth=1
	v_mov_b32_e32 v0, 0
	s_waitcnt lgkmcnt(0)
	s_barrier
	s_and_saveexec_b64 s[16:17], s[4:5]
	s_cbranch_execz .LBB1222_972
; %bb.971:                              ;   in Loop: Header=BB1222_12 Depth=1
	ds_read2_b64 v[34:37], v13 offset1:1
	s_waitcnt lgkmcnt(0)
	v_add_u32_e32 v0, v35, v34
	v_add3_u32 v0, v0, v36, v37
.LBB1222_972:                           ;   in Loop: Header=BB1222_12 Depth=1
	s_or_b64 exec, exec, s[16:17]
	s_nop 0
	v_mov_b32_dpp v1, v0 row_shr:1 row_mask:0xf bank_mask:0xf
	v_cmp_eq_u32_e64 s[16:17], 0, v136
	v_cndmask_b32_e64 v1, v1, 0, s[16:17]
	v_add_u32_e32 v0, v1, v0
	v_cmp_lt_u32_e64 s[18:19], 1, v136
	v_cmp_lt_u32_e64 s[20:21], 3, v136
	v_mov_b32_dpp v1, v0 row_shr:2 row_mask:0xf bank_mask:0xf
	v_cndmask_b32_e64 v1, 0, v1, s[18:19]
	v_add_u32_e32 v0, v0, v1
	v_cmp_lt_u32_e64 s[22:23], 7, v136
	v_cmp_lt_u32_e64 s[26:27], 31, v135
	v_mov_b32_dpp v1, v0 row_shr:4 row_mask:0xf bank_mask:0xf
	v_cndmask_b32_e64 v1, 0, v1, s[20:21]
	v_add_u32_e32 v0, v0, v1
	v_cmp_eq_u32_e64 s[24:25], 0, v138
	s_nop 0
	v_mov_b32_dpp v1, v0 row_shr:8 row_mask:0xf bank_mask:0xf
	v_cndmask_b32_e64 v1, 0, v1, s[22:23]
	v_add_u32_e32 v0, v0, v1
	s_nop 1
	v_mov_b32_dpp v1, v0 row_bcast:15 row_mask:0xf bank_mask:0xf
	v_and_b32_e32 v1, v137, v1
	v_add_u32_e32 v0, v0, v1
	s_nop 1
	v_mov_b32_dpp v1, v0 row_bcast:31 row_mask:0xf bank_mask:0xf
	v_cndmask_b32_e64 v1, 0, v1, s[26:27]
	v_add_u32_e32 v0, v0, v1
	s_and_saveexec_b64 s[28:29], s[6:7]
	v_readlane_b32 s38, v236, 2
	s_cbranch_execz .LBB1222_974
; %bb.973:                              ;   in Loop: Header=BB1222_12 Depth=1
	ds_write_b32 v17, v0
.LBB1222_974:                           ;   in Loop: Header=BB1222_12 Depth=1
	s_or_b64 exec, exec, s[28:29]
	s_waitcnt lgkmcnt(0)
	s_barrier
	s_and_saveexec_b64 s[28:29], s[8:9]
	s_cbranch_execz .LBB1222_976
; %bb.975:                              ;   in Loop: Header=BB1222_12 Depth=1
	ds_read_b32 v1, v19
	v_cmp_ne_u32_e32 vcc, 0, v139
	s_waitcnt lgkmcnt(0)
	v_mov_b32_dpp v5, v1 row_shr:1 row_mask:0xf bank_mask:0xf
	v_cndmask_b32_e32 v5, 0, v5, vcc
	v_add_u32_e32 v1, v5, v1
	v_cmp_lt_u32_e32 vcc, 1, v139
	s_nop 0
	v_mov_b32_dpp v5, v1 row_shr:2 row_mask:0xf bank_mask:0xf
	v_cndmask_b32_e32 v5, 0, v5, vcc
	v_add_u32_e32 v1, v1, v5
	ds_write_b32 v19, v1
.LBB1222_976:                           ;   in Loop: Header=BB1222_12 Depth=1
	s_or_b64 exec, exec, s[28:29]
	v_mov_b32_e32 v1, 0
	s_waitcnt lgkmcnt(0)
	s_barrier
	s_and_saveexec_b64 s[28:29], s[10:11]
	s_cbranch_execz .LBB1222_978
; %bb.977:                              ;   in Loop: Header=BB1222_12 Depth=1
	ds_read_b32 v1, v21
.LBB1222_978:                           ;   in Loop: Header=BB1222_12 Depth=1
	s_or_b64 exec, exec, s[28:29]
	v_cmp_lt_i32_e32 vcc, v140, v141
	v_cndmask_b32_e32 v5, v140, v135, vcc
	s_waitcnt lgkmcnt(0)
	v_add_u32_e32 v0, v1, v0
	v_lshlrev_b32_e32 v159, 2, v5
	ds_bpermute_b32 v0, v159, v0
	v_cmp_eq_u32_e64 s[28:29], 0, v135
	s_waitcnt lgkmcnt(0)
	s_barrier
	s_and_saveexec_b64 s[30:31], s[4:5]
	s_cbranch_execz .LBB1222_980
; %bb.979:                              ;   in Loop: Header=BB1222_12 Depth=1
	v_cndmask_b32_e64 v0, v0, v1, s[28:29]
	v_add_u32_e32 v0, s38, v0
	ds_write_b32 v3, v0
.LBB1222_980:                           ;   in Loop: Header=BB1222_12 Depth=1
	s_or_b64 exec, exec, s[30:31]
	s_load_dwordx2 s[30:31], s[90:91], 0x0
	v_readlane_b32 s34, v236, 1
	v_add_co_u32_e32 v160, vcc, v113, v142
	v_addc_co_u32_e32 v161, vcc, 0, v114, vcc
	s_waitcnt lgkmcnt(0)
	s_cmp_lt_u32 s34, s30
	v_readlane_b32 s30, v236, 0
	s_cselect_b32 s34, 12, 18
	s_cmp_lt_u32 s30, s31
	s_cselect_b32 s30, 14, 20
	s_add_u32 s30, s90, s30
	s_addc_u32 s31, s91, 0
	s_add_u32 s34, s90, s34
	global_load_ushort v5, v4, s[30:31]
	s_addc_u32 s35, s91, 0
	global_load_ushort v64, v4, s[34:35]
	v_add_co_u32_e32 v162, vcc, v115, v142
	v_addc_co_u32_e32 v163, vcc, 0, v116, vcc
	v_add_co_u32_e32 v170, vcc, 0x1e00, v162
	v_cmp_eq_u32_e64 s[30:31], 0, v139
	v_cmp_lt_u32_e64 s[34:35], 1, v139
	s_mov_b32 s69, s85
	v_addc_co_u32_e32 v173, vcc, 0, v163, vcc
	s_mov_b32 s88, s38
                                        ; implicit-def: $vgpr0_vgpr1
                                        ; implicit-def: $vgpr34_vgpr35
                                        ; implicit-def: $vgpr36_vgpr37
                                        ; implicit-def: $vgpr40_vgpr41
                                        ; implicit-def: $vgpr44_vgpr45
                                        ; implicit-def: $vgpr48_vgpr49
                                        ; implicit-def: $vgpr52_vgpr53
                                        ; implicit-def: $vgpr56_vgpr57
                                        ; implicit-def: $vgpr38_vgpr39
                                        ; implicit-def: $vgpr42_vgpr43
                                        ; implicit-def: $vgpr46_vgpr47
                                        ; implicit-def: $vgpr50_vgpr51
                                        ; implicit-def: $vgpr54_vgpr55
                                        ; implicit-def: $vgpr58_vgpr59
                                        ; implicit-def: $vgpr60_vgpr61
                                        ; implicit-def: $vgpr62_vgpr63
                                        ; implicit-def: $vgpr164
                                        ; implicit-def: $vgpr165
                                        ; implicit-def: $vgpr166
                                        ; implicit-def: $vgpr167
                                        ; implicit-def: $vgpr168
                                        ; implicit-def: $vgpr169
                                        ; implicit-def: $vgpr171
                                        ; implicit-def: $vgpr172
                                        ; implicit-def: $vgpr174
                                        ; implicit-def: $vgpr175
                                        ; implicit-def: $vgpr176
                                        ; implicit-def: $vgpr178
                                        ; implicit-def: $vgpr179
                                        ; implicit-def: $vgpr180
                                        ; implicit-def: $vgpr181
                                        ; implicit-def: $vgpr182
	s_waitcnt vmcnt(1)
	v_mad_u32_u24 v5, v23, v5, v25
	s_waitcnt vmcnt(0)
	v_mad_u64_u32 v[64:65], s[36:37], v5, v64, v[2:3]
	v_lshrrev_b32_e32 v177, 6, v64
	s_branch .LBB1222_982
.LBB1222_981:                           ;   in Loop: Header=BB1222_982 Depth=2
	s_or_b64 exec, exec, s[36:37]
	s_addk_i32 s69, 0xf000
	s_cmp_lt_u32 s86, s94
	s_mov_b32 s88, s86
	s_cbranch_scc0 .LBB1222_10
.LBB1222_982:                           ;   Parent Loop BB1222_12 Depth=1
                                        ; =>  This Inner Loop Header: Depth=2
	s_add_i32 s86, s88, 0x1000
	s_cmp_gt_u32 s86, s94
	s_cbranch_scc1 .LBB1222_984
; %bb.983:                              ;   in Loop: Header=BB1222_982 Depth=2
	s_lshl_b64 s[36:37], s[88:89], 3
	v_mov_b32_e32 v5, s37
	v_add_co_u32_e32 v68, vcc, s36, v162
	v_addc_co_u32_e32 v69, vcc, v163, v5, vcc
	global_load_dwordx2 v[64:65], v[68:69], off
	global_load_dwordx2 v[66:67], v[68:69], off offset:512
	global_load_dwordx2 v[74:75], v[68:69], off offset:1024
	;; [unrolled: 1-line block ×7, first 2 shown]
	v_add_co_u32_e32 v68, vcc, 0x1000, v68
	v_addc_co_u32_e32 v69, vcc, 0, v69, vcc
	global_load_dwordx2 v[92:93], v[68:69], off
	global_load_dwordx2 v[88:89], v[68:69], off offset:512
	global_load_dwordx2 v[84:85], v[68:69], off offset:1024
	;; [unrolled: 1-line block ×5, first 2 shown]
	s_nop 0
	global_load_dwordx2 v[68:69], v[68:69], off offset:3072
	s_movk_i32 s40, 0x1000
	s_mov_b64 s[36:37], -1
	s_cbranch_execz .LBB1222_985
	s_branch .LBB1222_1016
.LBB1222_984:                           ;   in Loop: Header=BB1222_982 Depth=2
	s_mov_b64 s[36:37], 0
                                        ; implicit-def: $sgpr40
                                        ; implicit-def: $vgpr64_vgpr65
                                        ; implicit-def: $vgpr66_vgpr67
                                        ; implicit-def: $vgpr74_vgpr75
                                        ; implicit-def: $vgpr78_vgpr79
                                        ; implicit-def: $vgpr82_vgpr83
                                        ; implicit-def: $vgpr86_vgpr87
                                        ; implicit-def: $vgpr90_vgpr91
                                        ; implicit-def: $vgpr94_vgpr95
                                        ; implicit-def: $vgpr92_vgpr93
                                        ; implicit-def: $vgpr88_vgpr89
                                        ; implicit-def: $vgpr84_vgpr85
                                        ; implicit-def: $vgpr80_vgpr81
                                        ; implicit-def: $vgpr76_vgpr77
                                        ; implicit-def: $vgpr72_vgpr73
                                        ; implicit-def: $vgpr68_vgpr69
.LBB1222_985:                           ;   in Loop: Header=BB1222_982 Depth=2
	s_lshl_b64 s[36:37], s[88:89], 3
	v_mov_b32_e32 v5, s37
	v_add_co_u32_e32 v70, vcc, s36, v162
	v_addc_co_u32_e32 v71, vcc, v163, v5, vcc
	v_cmp_gt_u32_e32 vcc, s69, v143
	s_waitcnt vmcnt(14)
	v_pk_mov_b32 v[64:65], s[78:79], s[78:79] op_sel:[0,1]
	s_and_saveexec_b64 s[36:37], vcc
	s_cbranch_execz .LBB1222_987
; %bb.986:                              ;   in Loop: Header=BB1222_982 Depth=2
	global_load_dwordx2 v[64:65], v[70:71], off
.LBB1222_987:                           ;   in Loop: Header=BB1222_982 Depth=2
	s_or_b64 exec, exec, s[36:37]
	v_cmp_gt_u32_e32 vcc, s69, v144
	s_waitcnt vmcnt(13)
	v_pk_mov_b32 v[66:67], s[78:79], s[78:79] op_sel:[0,1]
	s_and_saveexec_b64 s[36:37], vcc
	s_cbranch_execz .LBB1222_989
; %bb.988:                              ;   in Loop: Header=BB1222_982 Depth=2
	global_load_dwordx2 v[66:67], v[70:71], off offset:512
.LBB1222_989:                           ;   in Loop: Header=BB1222_982 Depth=2
	s_or_b64 exec, exec, s[36:37]
	v_cmp_gt_u32_e32 vcc, s69, v145
	s_waitcnt vmcnt(12)
	v_pk_mov_b32 v[74:75], s[78:79], s[78:79] op_sel:[0,1]
	s_and_saveexec_b64 s[36:37], vcc
	s_cbranch_execz .LBB1222_991
; %bb.990:                              ;   in Loop: Header=BB1222_982 Depth=2
	global_load_dwordx2 v[74:75], v[70:71], off offset:1024
.LBB1222_991:                           ;   in Loop: Header=BB1222_982 Depth=2
	;; [unrolled: 9-line block ×6, first 2 shown]
	s_or_b64 exec, exec, s[36:37]
	v_cmp_gt_u32_e32 vcc, s69, v150
	s_waitcnt vmcnt(7)
	v_pk_mov_b32 v[94:95], s[78:79], s[78:79] op_sel:[0,1]
	s_and_saveexec_b64 s[36:37], vcc
	s_cbranch_execz .LBB1222_1001
; %bb.1000:                             ;   in Loop: Header=BB1222_982 Depth=2
	global_load_dwordx2 v[94:95], v[70:71], off offset:3584
.LBB1222_1001:                          ;   in Loop: Header=BB1222_982 Depth=2
	s_or_b64 exec, exec, s[36:37]
	v_cmp_gt_u32_e32 vcc, s69, v151
	s_waitcnt vmcnt(6)
	v_pk_mov_b32 v[92:93], s[78:79], s[78:79] op_sel:[0,1]
	s_and_saveexec_b64 s[36:37], vcc
	s_cbranch_execz .LBB1222_1003
; %bb.1002:                             ;   in Loop: Header=BB1222_982 Depth=2
	s_waitcnt vmcnt(0)
	v_add_co_u32_e32 v68, vcc, 0x1000, v70
	v_addc_co_u32_e32 v69, vcc, 0, v71, vcc
	global_load_dwordx2 v[92:93], v[68:69], off
.LBB1222_1003:                          ;   in Loop: Header=BB1222_982 Depth=2
	s_or_b64 exec, exec, s[36:37]
	v_cmp_gt_u32_e32 vcc, s69, v152
	s_waitcnt vmcnt(5)
	v_pk_mov_b32 v[88:89], s[78:79], s[78:79] op_sel:[0,1]
	s_and_saveexec_b64 s[36:37], vcc
	s_cbranch_execz .LBB1222_1005
; %bb.1004:                             ;   in Loop: Header=BB1222_982 Depth=2
	s_waitcnt vmcnt(0)
	v_add_co_u32_e32 v68, vcc, 0x1000, v70
	v_addc_co_u32_e32 v69, vcc, 0, v71, vcc
	global_load_dwordx2 v[88:89], v[68:69], off offset:512
.LBB1222_1005:                          ;   in Loop: Header=BB1222_982 Depth=2
	s_or_b64 exec, exec, s[36:37]
	v_cmp_gt_u32_e32 vcc, s69, v153
	s_waitcnt vmcnt(4)
	v_pk_mov_b32 v[84:85], s[78:79], s[78:79] op_sel:[0,1]
	s_and_saveexec_b64 s[36:37], vcc
	s_cbranch_execz .LBB1222_1007
; %bb.1006:                             ;   in Loop: Header=BB1222_982 Depth=2
	s_waitcnt vmcnt(0)
	v_add_co_u32_e32 v68, vcc, 0x1000, v70
	v_addc_co_u32_e32 v69, vcc, 0, v71, vcc
	global_load_dwordx2 v[84:85], v[68:69], off offset:1024
.LBB1222_1007:                          ;   in Loop: Header=BB1222_982 Depth=2
	s_or_b64 exec, exec, s[36:37]
	v_cmp_gt_u32_e32 vcc, s69, v154
	s_waitcnt vmcnt(3)
	v_pk_mov_b32 v[80:81], s[78:79], s[78:79] op_sel:[0,1]
	s_and_saveexec_b64 s[36:37], vcc
	s_cbranch_execz .LBB1222_1009
; %bb.1008:                             ;   in Loop: Header=BB1222_982 Depth=2
	s_waitcnt vmcnt(0)
	v_add_co_u32_e32 v68, vcc, 0x1000, v70
	v_addc_co_u32_e32 v69, vcc, 0, v71, vcc
	global_load_dwordx2 v[80:81], v[68:69], off offset:1536
.LBB1222_1009:                          ;   in Loop: Header=BB1222_982 Depth=2
	s_or_b64 exec, exec, s[36:37]
	v_cmp_gt_u32_e32 vcc, s69, v155
	s_waitcnt vmcnt(2)
	v_pk_mov_b32 v[76:77], s[78:79], s[78:79] op_sel:[0,1]
	s_and_saveexec_b64 s[36:37], vcc
	s_cbranch_execz .LBB1222_1011
; %bb.1010:                             ;   in Loop: Header=BB1222_982 Depth=2
	s_waitcnt vmcnt(0)
	v_add_co_u32_e32 v68, vcc, 0x1000, v70
	v_addc_co_u32_e32 v69, vcc, 0, v71, vcc
	global_load_dwordx2 v[76:77], v[68:69], off offset:2048
.LBB1222_1011:                          ;   in Loop: Header=BB1222_982 Depth=2
	s_or_b64 exec, exec, s[36:37]
	v_cmp_gt_u32_e32 vcc, s69, v156
	s_waitcnt vmcnt(1)
	v_pk_mov_b32 v[72:73], s[78:79], s[78:79] op_sel:[0,1]
	s_and_saveexec_b64 s[36:37], vcc
	s_cbranch_execz .LBB1222_1013
; %bb.1012:                             ;   in Loop: Header=BB1222_982 Depth=2
	s_waitcnt vmcnt(0)
	v_add_co_u32_e32 v68, vcc, 0x1000, v70
	v_addc_co_u32_e32 v69, vcc, 0, v71, vcc
	global_load_dwordx2 v[72:73], v[68:69], off offset:2560
.LBB1222_1013:                          ;   in Loop: Header=BB1222_982 Depth=2
	s_or_b64 exec, exec, s[36:37]
	v_cmp_gt_u32_e32 vcc, s69, v157
	s_waitcnt vmcnt(0)
	v_pk_mov_b32 v[68:69], s[78:79], s[78:79] op_sel:[0,1]
	s_and_saveexec_b64 s[36:37], vcc
	s_cbranch_execz .LBB1222_1015
; %bb.1014:                             ;   in Loop: Header=BB1222_982 Depth=2
	v_add_co_u32_e32 v68, vcc, 0x1000, v70
	v_addc_co_u32_e32 v69, vcc, 0, v71, vcc
	global_load_dwordx2 v[68:69], v[68:69], off offset:3072
.LBB1222_1015:                          ;   in Loop: Header=BB1222_982 Depth=2
	s_or_b64 exec, exec, s[36:37]
	s_sub_i32 s40, s94, s88
	v_cmp_gt_u32_e64 s[36:37], s69, v158
.LBB1222_1016:                          ;   in Loop: Header=BB1222_982 Depth=2
	v_pk_mov_b32 v[70:71], s[78:79], s[78:79] op_sel:[0,1]
	v_mov_b32_e32 v183, s69
	s_and_saveexec_b64 s[38:39], s[36:37]
	s_cbranch_execz .LBB1222_1018
; %bb.1017:                             ;   in Loop: Header=BB1222_982 Depth=2
	s_lshl_b64 s[36:37], s[88:89], 3
	v_mov_b32_e32 v5, s37
	v_add_co_u32_e32 v70, vcc, s36, v170
	v_addc_co_u32_e32 v71, vcc, v173, v5, vcc
	global_load_dwordx2 v[70:71], v[70:71], off
	v_mov_b32_e32 v183, s40
.LBB1222_1018:                          ;   in Loop: Header=BB1222_982 Depth=2
	s_or_b64 exec, exec, s[38:39]
	s_waitcnt vmcnt(14)
	v_cmp_lt_i64_e32 vcc, -1, v[64:65]
	v_cndmask_b32_e32 v5, -1, v133, vcc
	v_ashrrev_i32_e32 v96, 31, v65
	v_xor_b32_e32 v65, v5, v65
	v_xor_b32_e32 v64, v96, v64
	v_cmp_ne_u64_e32 vcc, s[78:79], v[64:65]
	v_cndmask_b32_e32 v97, v133, v65, vcc
	v_cndmask_b32_e32 v96, 0, v64, vcc
	v_lshrrev_b64 v[96:97], s84, v[96:97]
	v_add_u32_e32 v5, 0x410, v27
	v_and_b32_e32 v96, s68, v96
	ds_write2_b32 v5, v4, v4 offset1:1
	ds_write2_b32 v31, v4, v4 offset0:2 offset1:3
	ds_write_b32 v31, v4 offset:16
	v_mad_u32_u24 v5, v96, 5, v177
	v_lshl_add_u32 v184, v5, 2, v29
	v_and_b32_e32 v5, 1, v96
	v_add_co_u32_e32 v97, vcc, -1, v5
	v_addc_co_u32_e64 v98, s[36:37], 0, -1, vcc
	v_cmp_ne_u32_e32 vcc, 0, v5
	v_xor_b32_e32 v5, vcc_hi, v98
	v_and_b32_e32 v98, exec_hi, v5
	v_lshlrev_b32_e32 v5, 30, v96
	v_xor_b32_e32 v97, vcc_lo, v97
	v_cmp_gt_i64_e32 vcc, 0, v[4:5]
	v_not_b32_e32 v5, v5
	v_ashrrev_i32_e32 v5, 31, v5
	v_and_b32_e32 v97, exec_lo, v97
	v_xor_b32_e32 v99, vcc_hi, v5
	v_xor_b32_e32 v5, vcc_lo, v5
	v_and_b32_e32 v97, v97, v5
	v_lshlrev_b32_e32 v5, 29, v96
	v_cmp_gt_i64_e32 vcc, 0, v[4:5]
	v_not_b32_e32 v5, v5
	v_ashrrev_i32_e32 v5, 31, v5
	v_and_b32_e32 v98, v98, v99
	v_xor_b32_e32 v99, vcc_hi, v5
	v_xor_b32_e32 v5, vcc_lo, v5
	v_and_b32_e32 v97, v97, v5
	v_lshlrev_b32_e32 v5, 28, v96
	v_cmp_gt_i64_e32 vcc, 0, v[4:5]
	v_not_b32_e32 v5, v5
	v_ashrrev_i32_e32 v5, 31, v5
	v_and_b32_e32 v98, v98, v99
	;; [unrolled: 8-line block ×5, first 2 shown]
	v_xor_b32_e32 v99, vcc_hi, v5
	v_xor_b32_e32 v5, vcc_lo, v5
	v_and_b32_e32 v98, v98, v99
	v_and_b32_e32 v99, v97, v5
	v_lshlrev_b32_e32 v5, 24, v96
	v_cmp_gt_i64_e32 vcc, 0, v[4:5]
	v_not_b32_e32 v5, v5
	v_ashrrev_i32_e32 v5, 31, v5
	v_xor_b32_e32 v96, vcc_hi, v5
	v_xor_b32_e32 v5, vcc_lo, v5
	v_and_b32_e32 v97, v98, v96
	v_and_b32_e32 v96, v99, v5
	v_mbcnt_lo_u32_b32 v5, v96, 0
	v_mbcnt_hi_u32_b32 v185, v97, v5
	v_cmp_eq_u32_e32 vcc, 0, v185
	v_cmp_ne_u64_e64 s[36:37], 0, v[96:97]
	s_and_b64 s[38:39], s[36:37], vcc
	s_waitcnt lgkmcnt(0)
	s_barrier
	s_waitcnt lgkmcnt(0)
	; wave barrier
	s_and_saveexec_b64 s[36:37], s[38:39]
	s_cbranch_execz .LBB1222_1020
; %bb.1019:                             ;   in Loop: Header=BB1222_982 Depth=2
	v_bcnt_u32_b32 v5, v96, 0
	v_bcnt_u32_b32 v5, v97, v5
	ds_write_b32 v184, v5
.LBB1222_1020:                          ;   in Loop: Header=BB1222_982 Depth=2
	s_or_b64 exec, exec, s[36:37]
	s_waitcnt vmcnt(13)
	v_cmp_lt_i64_e32 vcc, -1, v[66:67]
	v_cndmask_b32_e32 v5, -1, v133, vcc
	v_ashrrev_i32_e32 v96, 31, v67
	v_xor_b32_e32 v67, v5, v67
	v_xor_b32_e32 v66, v96, v66
	v_cmp_ne_u64_e32 vcc, s[78:79], v[66:67]
	v_cndmask_b32_e32 v97, v133, v67, vcc
	v_cndmask_b32_e32 v96, 0, v66, vcc
	v_lshrrev_b64 v[96:97], s84, v[96:97]
	v_and_b32_e32 v96, s68, v96
	v_mul_u32_u24_e32 v5, 5, v96
	v_add_lshl_u32 v5, v5, v177, 2
	; wave barrier
	v_add_u32_e32 v187, 0x410, v5
	ds_read_b32 v186, v5 offset:1040
	v_and_b32_e32 v5, 1, v96
	v_add_co_u32_e32 v97, vcc, -1, v5
	v_addc_co_u32_e64 v98, s[36:37], 0, -1, vcc
	v_cmp_ne_u32_e32 vcc, 0, v5
	v_xor_b32_e32 v5, vcc_hi, v98
	v_and_b32_e32 v98, exec_hi, v5
	v_lshlrev_b32_e32 v5, 30, v96
	v_xor_b32_e32 v97, vcc_lo, v97
	v_cmp_gt_i64_e32 vcc, 0, v[4:5]
	v_not_b32_e32 v5, v5
	v_ashrrev_i32_e32 v5, 31, v5
	v_and_b32_e32 v97, exec_lo, v97
	v_xor_b32_e32 v99, vcc_hi, v5
	v_xor_b32_e32 v5, vcc_lo, v5
	v_and_b32_e32 v97, v97, v5
	v_lshlrev_b32_e32 v5, 29, v96
	v_cmp_gt_i64_e32 vcc, 0, v[4:5]
	v_not_b32_e32 v5, v5
	v_ashrrev_i32_e32 v5, 31, v5
	v_and_b32_e32 v98, v98, v99
	v_xor_b32_e32 v99, vcc_hi, v5
	v_xor_b32_e32 v5, vcc_lo, v5
	v_and_b32_e32 v97, v97, v5
	v_lshlrev_b32_e32 v5, 28, v96
	v_cmp_gt_i64_e32 vcc, 0, v[4:5]
	v_not_b32_e32 v5, v5
	v_ashrrev_i32_e32 v5, 31, v5
	v_and_b32_e32 v98, v98, v99
	;; [unrolled: 8-line block ×5, first 2 shown]
	v_xor_b32_e32 v99, vcc_hi, v5
	v_xor_b32_e32 v5, vcc_lo, v5
	v_and_b32_e32 v98, v98, v99
	v_and_b32_e32 v99, v97, v5
	v_lshlrev_b32_e32 v5, 24, v96
	v_cmp_gt_i64_e32 vcc, 0, v[4:5]
	v_not_b32_e32 v5, v5
	v_ashrrev_i32_e32 v5, 31, v5
	v_xor_b32_e32 v96, vcc_hi, v5
	v_xor_b32_e32 v5, vcc_lo, v5
	v_and_b32_e32 v97, v98, v96
	v_and_b32_e32 v96, v99, v5
	v_mbcnt_lo_u32_b32 v5, v96, 0
	v_mbcnt_hi_u32_b32 v188, v97, v5
	v_cmp_eq_u32_e32 vcc, 0, v188
	v_cmp_ne_u64_e64 s[36:37], 0, v[96:97]
	s_and_b64 s[38:39], s[36:37], vcc
	; wave barrier
	s_and_saveexec_b64 s[36:37], s[38:39]
	s_cbranch_execz .LBB1222_1022
; %bb.1021:                             ;   in Loop: Header=BB1222_982 Depth=2
	v_bcnt_u32_b32 v5, v96, 0
	v_bcnt_u32_b32 v5, v97, v5
	s_waitcnt lgkmcnt(0)
	v_add_u32_e32 v5, v186, v5
	ds_write_b32 v187, v5
.LBB1222_1022:                          ;   in Loop: Header=BB1222_982 Depth=2
	s_or_b64 exec, exec, s[36:37]
	s_waitcnt vmcnt(12)
	v_cmp_lt_i64_e32 vcc, -1, v[74:75]
	v_cndmask_b32_e32 v5, -1, v133, vcc
	v_ashrrev_i32_e32 v96, 31, v75
	v_xor_b32_e32 v75, v5, v75
	v_xor_b32_e32 v74, v96, v74
	v_cmp_ne_u64_e32 vcc, s[78:79], v[74:75]
	v_cndmask_b32_e32 v97, v133, v75, vcc
	v_cndmask_b32_e32 v96, 0, v74, vcc
	v_lshrrev_b64 v[96:97], s84, v[96:97]
	v_and_b32_e32 v96, s68, v96
	v_mul_u32_u24_e32 v5, 5, v96
	v_add_lshl_u32 v5, v5, v177, 2
	; wave barrier
	v_add_u32_e32 v190, 0x410, v5
	ds_read_b32 v189, v5 offset:1040
	v_and_b32_e32 v5, 1, v96
	v_add_co_u32_e32 v97, vcc, -1, v5
	v_addc_co_u32_e64 v98, s[36:37], 0, -1, vcc
	v_cmp_ne_u32_e32 vcc, 0, v5
	v_xor_b32_e32 v5, vcc_hi, v98
	v_and_b32_e32 v98, exec_hi, v5
	v_lshlrev_b32_e32 v5, 30, v96
	v_xor_b32_e32 v97, vcc_lo, v97
	v_cmp_gt_i64_e32 vcc, 0, v[4:5]
	v_not_b32_e32 v5, v5
	v_ashrrev_i32_e32 v5, 31, v5
	v_and_b32_e32 v97, exec_lo, v97
	v_xor_b32_e32 v99, vcc_hi, v5
	v_xor_b32_e32 v5, vcc_lo, v5
	v_and_b32_e32 v97, v97, v5
	v_lshlrev_b32_e32 v5, 29, v96
	v_cmp_gt_i64_e32 vcc, 0, v[4:5]
	v_not_b32_e32 v5, v5
	v_ashrrev_i32_e32 v5, 31, v5
	v_and_b32_e32 v98, v98, v99
	v_xor_b32_e32 v99, vcc_hi, v5
	v_xor_b32_e32 v5, vcc_lo, v5
	v_and_b32_e32 v97, v97, v5
	v_lshlrev_b32_e32 v5, 28, v96
	v_cmp_gt_i64_e32 vcc, 0, v[4:5]
	v_not_b32_e32 v5, v5
	v_ashrrev_i32_e32 v5, 31, v5
	v_and_b32_e32 v98, v98, v99
	;; [unrolled: 8-line block ×5, first 2 shown]
	v_xor_b32_e32 v99, vcc_hi, v5
	v_xor_b32_e32 v5, vcc_lo, v5
	v_and_b32_e32 v98, v98, v99
	v_and_b32_e32 v99, v97, v5
	v_lshlrev_b32_e32 v5, 24, v96
	v_cmp_gt_i64_e32 vcc, 0, v[4:5]
	v_not_b32_e32 v5, v5
	v_ashrrev_i32_e32 v5, 31, v5
	v_xor_b32_e32 v96, vcc_hi, v5
	v_xor_b32_e32 v5, vcc_lo, v5
	v_and_b32_e32 v97, v98, v96
	v_and_b32_e32 v96, v99, v5
	v_mbcnt_lo_u32_b32 v5, v96, 0
	v_mbcnt_hi_u32_b32 v191, v97, v5
	v_cmp_eq_u32_e32 vcc, 0, v191
	v_cmp_ne_u64_e64 s[36:37], 0, v[96:97]
	s_and_b64 s[38:39], s[36:37], vcc
	; wave barrier
	s_and_saveexec_b64 s[36:37], s[38:39]
	s_cbranch_execz .LBB1222_1024
; %bb.1023:                             ;   in Loop: Header=BB1222_982 Depth=2
	v_bcnt_u32_b32 v5, v96, 0
	v_bcnt_u32_b32 v5, v97, v5
	s_waitcnt lgkmcnt(0)
	v_add_u32_e32 v5, v189, v5
	ds_write_b32 v190, v5
.LBB1222_1024:                          ;   in Loop: Header=BB1222_982 Depth=2
	s_or_b64 exec, exec, s[36:37]
	s_waitcnt vmcnt(11)
	v_cmp_lt_i64_e32 vcc, -1, v[78:79]
	v_cndmask_b32_e32 v5, -1, v133, vcc
	v_ashrrev_i32_e32 v96, 31, v79
	v_xor_b32_e32 v79, v5, v79
	v_xor_b32_e32 v78, v96, v78
	v_cmp_ne_u64_e32 vcc, s[78:79], v[78:79]
	v_cndmask_b32_e32 v97, v133, v79, vcc
	v_cndmask_b32_e32 v96, 0, v78, vcc
	v_lshrrev_b64 v[96:97], s84, v[96:97]
	v_and_b32_e32 v96, s68, v96
	v_mul_u32_u24_e32 v5, 5, v96
	v_add_lshl_u32 v5, v5, v177, 2
	; wave barrier
	v_add_u32_e32 v193, 0x410, v5
	ds_read_b32 v192, v5 offset:1040
	v_and_b32_e32 v5, 1, v96
	v_add_co_u32_e32 v97, vcc, -1, v5
	v_addc_co_u32_e64 v98, s[36:37], 0, -1, vcc
	v_cmp_ne_u32_e32 vcc, 0, v5
	v_xor_b32_e32 v5, vcc_hi, v98
	v_and_b32_e32 v98, exec_hi, v5
	v_lshlrev_b32_e32 v5, 30, v96
	v_xor_b32_e32 v97, vcc_lo, v97
	v_cmp_gt_i64_e32 vcc, 0, v[4:5]
	v_not_b32_e32 v5, v5
	v_ashrrev_i32_e32 v5, 31, v5
	v_and_b32_e32 v97, exec_lo, v97
	v_xor_b32_e32 v99, vcc_hi, v5
	v_xor_b32_e32 v5, vcc_lo, v5
	v_and_b32_e32 v97, v97, v5
	v_lshlrev_b32_e32 v5, 29, v96
	v_cmp_gt_i64_e32 vcc, 0, v[4:5]
	v_not_b32_e32 v5, v5
	v_ashrrev_i32_e32 v5, 31, v5
	v_and_b32_e32 v98, v98, v99
	v_xor_b32_e32 v99, vcc_hi, v5
	v_xor_b32_e32 v5, vcc_lo, v5
	v_and_b32_e32 v97, v97, v5
	v_lshlrev_b32_e32 v5, 28, v96
	v_cmp_gt_i64_e32 vcc, 0, v[4:5]
	v_not_b32_e32 v5, v5
	v_ashrrev_i32_e32 v5, 31, v5
	v_and_b32_e32 v98, v98, v99
	;; [unrolled: 8-line block ×5, first 2 shown]
	v_xor_b32_e32 v99, vcc_hi, v5
	v_xor_b32_e32 v5, vcc_lo, v5
	v_and_b32_e32 v98, v98, v99
	v_and_b32_e32 v99, v97, v5
	v_lshlrev_b32_e32 v5, 24, v96
	v_cmp_gt_i64_e32 vcc, 0, v[4:5]
	v_not_b32_e32 v5, v5
	v_ashrrev_i32_e32 v5, 31, v5
	v_xor_b32_e32 v96, vcc_hi, v5
	v_xor_b32_e32 v5, vcc_lo, v5
	v_and_b32_e32 v97, v98, v96
	v_and_b32_e32 v96, v99, v5
	v_mbcnt_lo_u32_b32 v5, v96, 0
	v_mbcnt_hi_u32_b32 v194, v97, v5
	v_cmp_eq_u32_e32 vcc, 0, v194
	v_cmp_ne_u64_e64 s[36:37], 0, v[96:97]
	s_and_b64 s[38:39], s[36:37], vcc
	; wave barrier
	s_and_saveexec_b64 s[36:37], s[38:39]
	s_cbranch_execz .LBB1222_1026
; %bb.1025:                             ;   in Loop: Header=BB1222_982 Depth=2
	v_bcnt_u32_b32 v5, v96, 0
	v_bcnt_u32_b32 v5, v97, v5
	s_waitcnt lgkmcnt(0)
	v_add_u32_e32 v5, v192, v5
	ds_write_b32 v193, v5
.LBB1222_1026:                          ;   in Loop: Header=BB1222_982 Depth=2
	s_or_b64 exec, exec, s[36:37]
	s_waitcnt vmcnt(10)
	v_cmp_lt_i64_e32 vcc, -1, v[82:83]
	v_cndmask_b32_e32 v5, -1, v133, vcc
	v_ashrrev_i32_e32 v96, 31, v83
	v_xor_b32_e32 v83, v5, v83
	v_xor_b32_e32 v82, v96, v82
	v_cmp_ne_u64_e32 vcc, s[78:79], v[82:83]
	v_cndmask_b32_e32 v97, v133, v83, vcc
	v_cndmask_b32_e32 v96, 0, v82, vcc
	v_lshrrev_b64 v[96:97], s84, v[96:97]
	v_and_b32_e32 v96, s68, v96
	v_mul_u32_u24_e32 v5, 5, v96
	v_add_lshl_u32 v5, v5, v177, 2
	; wave barrier
	v_add_u32_e32 v196, 0x410, v5
	ds_read_b32 v195, v5 offset:1040
	v_and_b32_e32 v5, 1, v96
	v_add_co_u32_e32 v97, vcc, -1, v5
	v_addc_co_u32_e64 v98, s[36:37], 0, -1, vcc
	v_cmp_ne_u32_e32 vcc, 0, v5
	v_xor_b32_e32 v5, vcc_hi, v98
	v_and_b32_e32 v98, exec_hi, v5
	v_lshlrev_b32_e32 v5, 30, v96
	v_xor_b32_e32 v97, vcc_lo, v97
	v_cmp_gt_i64_e32 vcc, 0, v[4:5]
	v_not_b32_e32 v5, v5
	v_ashrrev_i32_e32 v5, 31, v5
	v_and_b32_e32 v97, exec_lo, v97
	v_xor_b32_e32 v99, vcc_hi, v5
	v_xor_b32_e32 v5, vcc_lo, v5
	v_and_b32_e32 v97, v97, v5
	v_lshlrev_b32_e32 v5, 29, v96
	v_cmp_gt_i64_e32 vcc, 0, v[4:5]
	v_not_b32_e32 v5, v5
	v_ashrrev_i32_e32 v5, 31, v5
	v_and_b32_e32 v98, v98, v99
	v_xor_b32_e32 v99, vcc_hi, v5
	v_xor_b32_e32 v5, vcc_lo, v5
	v_and_b32_e32 v97, v97, v5
	v_lshlrev_b32_e32 v5, 28, v96
	v_cmp_gt_i64_e32 vcc, 0, v[4:5]
	v_not_b32_e32 v5, v5
	v_ashrrev_i32_e32 v5, 31, v5
	v_and_b32_e32 v98, v98, v99
	v_xor_b32_e32 v99, vcc_hi, v5
	v_xor_b32_e32 v5, vcc_lo, v5
	v_and_b32_e32 v97, v97, v5
	v_lshlrev_b32_e32 v5, 27, v96
	v_cmp_gt_i64_e32 vcc, 0, v[4:5]
	v_not_b32_e32 v5, v5
	v_ashrrev_i32_e32 v5, 31, v5
	v_and_b32_e32 v98, v98, v99
	v_xor_b32_e32 v99, vcc_hi, v5
	v_xor_b32_e32 v5, vcc_lo, v5
	v_and_b32_e32 v97, v97, v5
	v_lshlrev_b32_e32 v5, 26, v96
	v_cmp_gt_i64_e32 vcc, 0, v[4:5]
	v_not_b32_e32 v5, v5
	v_ashrrev_i32_e32 v5, 31, v5
	v_and_b32_e32 v98, v98, v99
	v_xor_b32_e32 v99, vcc_hi, v5
	v_xor_b32_e32 v5, vcc_lo, v5
	v_and_b32_e32 v97, v97, v5
	v_lshlrev_b32_e32 v5, 25, v96
	v_cmp_gt_i64_e32 vcc, 0, v[4:5]
	v_not_b32_e32 v5, v5
	v_ashrrev_i32_e32 v5, 31, v5
	v_and_b32_e32 v98, v98, v99
	v_xor_b32_e32 v99, vcc_hi, v5
	v_xor_b32_e32 v5, vcc_lo, v5
	v_and_b32_e32 v98, v98, v99
	v_and_b32_e32 v99, v97, v5
	v_lshlrev_b32_e32 v5, 24, v96
	v_cmp_gt_i64_e32 vcc, 0, v[4:5]
	v_not_b32_e32 v5, v5
	v_ashrrev_i32_e32 v5, 31, v5
	v_xor_b32_e32 v96, vcc_hi, v5
	v_xor_b32_e32 v5, vcc_lo, v5
	v_and_b32_e32 v97, v98, v96
	v_and_b32_e32 v96, v99, v5
	v_mbcnt_lo_u32_b32 v5, v96, 0
	v_mbcnt_hi_u32_b32 v197, v97, v5
	v_cmp_eq_u32_e32 vcc, 0, v197
	v_cmp_ne_u64_e64 s[36:37], 0, v[96:97]
	s_and_b64 s[38:39], s[36:37], vcc
	; wave barrier
	s_and_saveexec_b64 s[36:37], s[38:39]
	s_cbranch_execz .LBB1222_1028
; %bb.1027:                             ;   in Loop: Header=BB1222_982 Depth=2
	v_bcnt_u32_b32 v5, v96, 0
	v_bcnt_u32_b32 v5, v97, v5
	s_waitcnt lgkmcnt(0)
	v_add_u32_e32 v5, v195, v5
	ds_write_b32 v196, v5
.LBB1222_1028:                          ;   in Loop: Header=BB1222_982 Depth=2
	s_or_b64 exec, exec, s[36:37]
	s_waitcnt vmcnt(9)
	v_cmp_lt_i64_e32 vcc, -1, v[86:87]
	v_cndmask_b32_e32 v5, -1, v133, vcc
	v_ashrrev_i32_e32 v96, 31, v87
	v_xor_b32_e32 v87, v5, v87
	v_xor_b32_e32 v86, v96, v86
	v_cmp_ne_u64_e32 vcc, s[78:79], v[86:87]
	v_cndmask_b32_e32 v97, v133, v87, vcc
	v_cndmask_b32_e32 v96, 0, v86, vcc
	v_lshrrev_b64 v[96:97], s84, v[96:97]
	v_and_b32_e32 v96, s68, v96
	v_mul_u32_u24_e32 v5, 5, v96
	v_add_lshl_u32 v5, v5, v177, 2
	; wave barrier
	v_add_u32_e32 v199, 0x410, v5
	ds_read_b32 v198, v5 offset:1040
	v_and_b32_e32 v5, 1, v96
	v_add_co_u32_e32 v97, vcc, -1, v5
	v_addc_co_u32_e64 v98, s[36:37], 0, -1, vcc
	v_cmp_ne_u32_e32 vcc, 0, v5
	v_xor_b32_e32 v5, vcc_hi, v98
	v_and_b32_e32 v98, exec_hi, v5
	v_lshlrev_b32_e32 v5, 30, v96
	v_xor_b32_e32 v97, vcc_lo, v97
	v_cmp_gt_i64_e32 vcc, 0, v[4:5]
	v_not_b32_e32 v5, v5
	v_ashrrev_i32_e32 v5, 31, v5
	v_and_b32_e32 v97, exec_lo, v97
	v_xor_b32_e32 v99, vcc_hi, v5
	v_xor_b32_e32 v5, vcc_lo, v5
	v_and_b32_e32 v97, v97, v5
	v_lshlrev_b32_e32 v5, 29, v96
	v_cmp_gt_i64_e32 vcc, 0, v[4:5]
	v_not_b32_e32 v5, v5
	v_ashrrev_i32_e32 v5, 31, v5
	v_and_b32_e32 v98, v98, v99
	v_xor_b32_e32 v99, vcc_hi, v5
	v_xor_b32_e32 v5, vcc_lo, v5
	v_and_b32_e32 v97, v97, v5
	v_lshlrev_b32_e32 v5, 28, v96
	v_cmp_gt_i64_e32 vcc, 0, v[4:5]
	v_not_b32_e32 v5, v5
	v_ashrrev_i32_e32 v5, 31, v5
	v_and_b32_e32 v98, v98, v99
	;; [unrolled: 8-line block ×5, first 2 shown]
	v_xor_b32_e32 v99, vcc_hi, v5
	v_xor_b32_e32 v5, vcc_lo, v5
	v_and_b32_e32 v98, v98, v99
	v_and_b32_e32 v99, v97, v5
	v_lshlrev_b32_e32 v5, 24, v96
	v_cmp_gt_i64_e32 vcc, 0, v[4:5]
	v_not_b32_e32 v5, v5
	v_ashrrev_i32_e32 v5, 31, v5
	v_xor_b32_e32 v96, vcc_hi, v5
	v_xor_b32_e32 v5, vcc_lo, v5
	v_and_b32_e32 v97, v98, v96
	v_and_b32_e32 v96, v99, v5
	v_mbcnt_lo_u32_b32 v5, v96, 0
	v_mbcnt_hi_u32_b32 v200, v97, v5
	v_cmp_eq_u32_e32 vcc, 0, v200
	v_cmp_ne_u64_e64 s[36:37], 0, v[96:97]
	s_and_b64 s[38:39], s[36:37], vcc
	; wave barrier
	s_and_saveexec_b64 s[36:37], s[38:39]
	s_cbranch_execz .LBB1222_1030
; %bb.1029:                             ;   in Loop: Header=BB1222_982 Depth=2
	v_bcnt_u32_b32 v5, v96, 0
	v_bcnt_u32_b32 v5, v97, v5
	s_waitcnt lgkmcnt(0)
	v_add_u32_e32 v5, v198, v5
	ds_write_b32 v199, v5
.LBB1222_1030:                          ;   in Loop: Header=BB1222_982 Depth=2
	s_or_b64 exec, exec, s[36:37]
	s_waitcnt vmcnt(8)
	v_cmp_lt_i64_e32 vcc, -1, v[90:91]
	v_cndmask_b32_e32 v5, -1, v133, vcc
	v_ashrrev_i32_e32 v96, 31, v91
	v_xor_b32_e32 v91, v5, v91
	v_xor_b32_e32 v90, v96, v90
	v_cmp_ne_u64_e32 vcc, s[78:79], v[90:91]
	v_cndmask_b32_e32 v97, v133, v91, vcc
	v_cndmask_b32_e32 v96, 0, v90, vcc
	v_lshrrev_b64 v[96:97], s84, v[96:97]
	v_and_b32_e32 v96, s68, v96
	v_mul_u32_u24_e32 v5, 5, v96
	v_add_lshl_u32 v5, v5, v177, 2
	; wave barrier
	v_add_u32_e32 v202, 0x410, v5
	ds_read_b32 v201, v5 offset:1040
	v_and_b32_e32 v5, 1, v96
	v_add_co_u32_e32 v97, vcc, -1, v5
	v_addc_co_u32_e64 v98, s[36:37], 0, -1, vcc
	v_cmp_ne_u32_e32 vcc, 0, v5
	v_xor_b32_e32 v5, vcc_hi, v98
	v_and_b32_e32 v98, exec_hi, v5
	v_lshlrev_b32_e32 v5, 30, v96
	v_xor_b32_e32 v97, vcc_lo, v97
	v_cmp_gt_i64_e32 vcc, 0, v[4:5]
	v_not_b32_e32 v5, v5
	v_ashrrev_i32_e32 v5, 31, v5
	v_and_b32_e32 v97, exec_lo, v97
	v_xor_b32_e32 v99, vcc_hi, v5
	v_xor_b32_e32 v5, vcc_lo, v5
	v_and_b32_e32 v97, v97, v5
	v_lshlrev_b32_e32 v5, 29, v96
	v_cmp_gt_i64_e32 vcc, 0, v[4:5]
	v_not_b32_e32 v5, v5
	v_ashrrev_i32_e32 v5, 31, v5
	v_and_b32_e32 v98, v98, v99
	v_xor_b32_e32 v99, vcc_hi, v5
	v_xor_b32_e32 v5, vcc_lo, v5
	v_and_b32_e32 v97, v97, v5
	v_lshlrev_b32_e32 v5, 28, v96
	v_cmp_gt_i64_e32 vcc, 0, v[4:5]
	v_not_b32_e32 v5, v5
	v_ashrrev_i32_e32 v5, 31, v5
	v_and_b32_e32 v98, v98, v99
	;; [unrolled: 8-line block ×5, first 2 shown]
	v_xor_b32_e32 v99, vcc_hi, v5
	v_xor_b32_e32 v5, vcc_lo, v5
	v_and_b32_e32 v98, v98, v99
	v_and_b32_e32 v99, v97, v5
	v_lshlrev_b32_e32 v5, 24, v96
	v_cmp_gt_i64_e32 vcc, 0, v[4:5]
	v_not_b32_e32 v5, v5
	v_ashrrev_i32_e32 v5, 31, v5
	v_xor_b32_e32 v96, vcc_hi, v5
	v_xor_b32_e32 v5, vcc_lo, v5
	v_and_b32_e32 v97, v98, v96
	v_and_b32_e32 v96, v99, v5
	v_mbcnt_lo_u32_b32 v5, v96, 0
	v_mbcnt_hi_u32_b32 v203, v97, v5
	v_cmp_eq_u32_e32 vcc, 0, v203
	v_cmp_ne_u64_e64 s[36:37], 0, v[96:97]
	s_and_b64 s[38:39], s[36:37], vcc
	; wave barrier
	s_and_saveexec_b64 s[36:37], s[38:39]
	s_cbranch_execz .LBB1222_1032
; %bb.1031:                             ;   in Loop: Header=BB1222_982 Depth=2
	v_bcnt_u32_b32 v5, v96, 0
	v_bcnt_u32_b32 v5, v97, v5
	s_waitcnt lgkmcnt(0)
	v_add_u32_e32 v5, v201, v5
	ds_write_b32 v202, v5
.LBB1222_1032:                          ;   in Loop: Header=BB1222_982 Depth=2
	s_or_b64 exec, exec, s[36:37]
	s_waitcnt vmcnt(7)
	v_cmp_lt_i64_e32 vcc, -1, v[94:95]
	v_cndmask_b32_e32 v5, -1, v133, vcc
	v_ashrrev_i32_e32 v96, 31, v95
	v_xor_b32_e32 v95, v5, v95
	v_xor_b32_e32 v94, v96, v94
	v_cmp_ne_u64_e32 vcc, s[78:79], v[94:95]
	v_cndmask_b32_e32 v97, v133, v95, vcc
	v_cndmask_b32_e32 v96, 0, v94, vcc
	v_lshrrev_b64 v[96:97], s84, v[96:97]
	v_and_b32_e32 v96, s68, v96
	v_mul_u32_u24_e32 v5, 5, v96
	v_add_lshl_u32 v5, v5, v177, 2
	; wave barrier
	v_add_u32_e32 v205, 0x410, v5
	ds_read_b32 v204, v5 offset:1040
	v_and_b32_e32 v5, 1, v96
	v_add_co_u32_e32 v97, vcc, -1, v5
	v_addc_co_u32_e64 v98, s[36:37], 0, -1, vcc
	v_cmp_ne_u32_e32 vcc, 0, v5
	v_xor_b32_e32 v5, vcc_hi, v98
	v_and_b32_e32 v98, exec_hi, v5
	v_lshlrev_b32_e32 v5, 30, v96
	v_xor_b32_e32 v97, vcc_lo, v97
	v_cmp_gt_i64_e32 vcc, 0, v[4:5]
	v_not_b32_e32 v5, v5
	v_ashrrev_i32_e32 v5, 31, v5
	v_and_b32_e32 v97, exec_lo, v97
	v_xor_b32_e32 v99, vcc_hi, v5
	v_xor_b32_e32 v5, vcc_lo, v5
	v_and_b32_e32 v97, v97, v5
	v_lshlrev_b32_e32 v5, 29, v96
	v_cmp_gt_i64_e32 vcc, 0, v[4:5]
	v_not_b32_e32 v5, v5
	v_ashrrev_i32_e32 v5, 31, v5
	v_and_b32_e32 v98, v98, v99
	v_xor_b32_e32 v99, vcc_hi, v5
	v_xor_b32_e32 v5, vcc_lo, v5
	v_and_b32_e32 v97, v97, v5
	v_lshlrev_b32_e32 v5, 28, v96
	v_cmp_gt_i64_e32 vcc, 0, v[4:5]
	v_not_b32_e32 v5, v5
	v_ashrrev_i32_e32 v5, 31, v5
	v_and_b32_e32 v98, v98, v99
	;; [unrolled: 8-line block ×5, first 2 shown]
	v_xor_b32_e32 v99, vcc_hi, v5
	v_xor_b32_e32 v5, vcc_lo, v5
	v_and_b32_e32 v98, v98, v99
	v_and_b32_e32 v99, v97, v5
	v_lshlrev_b32_e32 v5, 24, v96
	v_cmp_gt_i64_e32 vcc, 0, v[4:5]
	v_not_b32_e32 v5, v5
	v_ashrrev_i32_e32 v5, 31, v5
	v_xor_b32_e32 v96, vcc_hi, v5
	v_xor_b32_e32 v5, vcc_lo, v5
	v_and_b32_e32 v97, v98, v96
	v_and_b32_e32 v96, v99, v5
	v_mbcnt_lo_u32_b32 v5, v96, 0
	v_mbcnt_hi_u32_b32 v206, v97, v5
	v_cmp_eq_u32_e32 vcc, 0, v206
	v_cmp_ne_u64_e64 s[36:37], 0, v[96:97]
	s_and_b64 s[38:39], s[36:37], vcc
	; wave barrier
	s_and_saveexec_b64 s[36:37], s[38:39]
	s_cbranch_execz .LBB1222_1034
; %bb.1033:                             ;   in Loop: Header=BB1222_982 Depth=2
	v_bcnt_u32_b32 v5, v96, 0
	v_bcnt_u32_b32 v5, v97, v5
	s_waitcnt lgkmcnt(0)
	v_add_u32_e32 v5, v204, v5
	ds_write_b32 v205, v5
.LBB1222_1034:                          ;   in Loop: Header=BB1222_982 Depth=2
	s_or_b64 exec, exec, s[36:37]
	s_waitcnt vmcnt(6)
	v_cmp_lt_i64_e32 vcc, -1, v[92:93]
	v_cndmask_b32_e32 v5, -1, v133, vcc
	v_ashrrev_i32_e32 v96, 31, v93
	v_xor_b32_e32 v93, v5, v93
	v_xor_b32_e32 v92, v96, v92
	v_cmp_ne_u64_e32 vcc, s[78:79], v[92:93]
	v_cndmask_b32_e32 v97, v133, v93, vcc
	v_cndmask_b32_e32 v96, 0, v92, vcc
	v_lshrrev_b64 v[96:97], s84, v[96:97]
	v_and_b32_e32 v96, s68, v96
	v_mul_u32_u24_e32 v5, 5, v96
	v_add_lshl_u32 v5, v5, v177, 2
	; wave barrier
	v_add_u32_e32 v208, 0x410, v5
	ds_read_b32 v207, v5 offset:1040
	v_and_b32_e32 v5, 1, v96
	v_add_co_u32_e32 v97, vcc, -1, v5
	v_addc_co_u32_e64 v98, s[36:37], 0, -1, vcc
	v_cmp_ne_u32_e32 vcc, 0, v5
	v_xor_b32_e32 v5, vcc_hi, v98
	v_and_b32_e32 v98, exec_hi, v5
	v_lshlrev_b32_e32 v5, 30, v96
	v_xor_b32_e32 v97, vcc_lo, v97
	v_cmp_gt_i64_e32 vcc, 0, v[4:5]
	v_not_b32_e32 v5, v5
	v_ashrrev_i32_e32 v5, 31, v5
	v_and_b32_e32 v97, exec_lo, v97
	v_xor_b32_e32 v99, vcc_hi, v5
	v_xor_b32_e32 v5, vcc_lo, v5
	v_and_b32_e32 v97, v97, v5
	v_lshlrev_b32_e32 v5, 29, v96
	v_cmp_gt_i64_e32 vcc, 0, v[4:5]
	v_not_b32_e32 v5, v5
	v_ashrrev_i32_e32 v5, 31, v5
	v_and_b32_e32 v98, v98, v99
	v_xor_b32_e32 v99, vcc_hi, v5
	v_xor_b32_e32 v5, vcc_lo, v5
	v_and_b32_e32 v97, v97, v5
	v_lshlrev_b32_e32 v5, 28, v96
	v_cmp_gt_i64_e32 vcc, 0, v[4:5]
	v_not_b32_e32 v5, v5
	v_ashrrev_i32_e32 v5, 31, v5
	v_and_b32_e32 v98, v98, v99
	;; [unrolled: 8-line block ×5, first 2 shown]
	v_xor_b32_e32 v99, vcc_hi, v5
	v_xor_b32_e32 v5, vcc_lo, v5
	v_and_b32_e32 v98, v98, v99
	v_and_b32_e32 v99, v97, v5
	v_lshlrev_b32_e32 v5, 24, v96
	v_cmp_gt_i64_e32 vcc, 0, v[4:5]
	v_not_b32_e32 v5, v5
	v_ashrrev_i32_e32 v5, 31, v5
	v_xor_b32_e32 v96, vcc_hi, v5
	v_xor_b32_e32 v5, vcc_lo, v5
	v_and_b32_e32 v97, v98, v96
	v_and_b32_e32 v96, v99, v5
	v_mbcnt_lo_u32_b32 v5, v96, 0
	v_mbcnt_hi_u32_b32 v209, v97, v5
	v_cmp_eq_u32_e32 vcc, 0, v209
	v_cmp_ne_u64_e64 s[36:37], 0, v[96:97]
	s_and_b64 s[38:39], s[36:37], vcc
	; wave barrier
	s_and_saveexec_b64 s[36:37], s[38:39]
	s_cbranch_execz .LBB1222_1036
; %bb.1035:                             ;   in Loop: Header=BB1222_982 Depth=2
	v_bcnt_u32_b32 v5, v96, 0
	v_bcnt_u32_b32 v5, v97, v5
	s_waitcnt lgkmcnt(0)
	v_add_u32_e32 v5, v207, v5
	ds_write_b32 v208, v5
.LBB1222_1036:                          ;   in Loop: Header=BB1222_982 Depth=2
	s_or_b64 exec, exec, s[36:37]
	s_waitcnt vmcnt(5)
	v_cmp_lt_i64_e32 vcc, -1, v[88:89]
	v_cndmask_b32_e32 v5, -1, v133, vcc
	v_ashrrev_i32_e32 v96, 31, v89
	v_xor_b32_e32 v89, v5, v89
	v_xor_b32_e32 v88, v96, v88
	v_cmp_ne_u64_e32 vcc, s[78:79], v[88:89]
	v_cndmask_b32_e32 v97, v133, v89, vcc
	v_cndmask_b32_e32 v96, 0, v88, vcc
	v_lshrrev_b64 v[96:97], s84, v[96:97]
	v_and_b32_e32 v96, s68, v96
	v_mul_u32_u24_e32 v5, 5, v96
	v_add_lshl_u32 v5, v5, v177, 2
	; wave barrier
	v_add_u32_e32 v211, 0x410, v5
	ds_read_b32 v210, v5 offset:1040
	v_and_b32_e32 v5, 1, v96
	v_add_co_u32_e32 v97, vcc, -1, v5
	v_addc_co_u32_e64 v98, s[36:37], 0, -1, vcc
	v_cmp_ne_u32_e32 vcc, 0, v5
	v_xor_b32_e32 v5, vcc_hi, v98
	v_and_b32_e32 v98, exec_hi, v5
	v_lshlrev_b32_e32 v5, 30, v96
	v_xor_b32_e32 v97, vcc_lo, v97
	v_cmp_gt_i64_e32 vcc, 0, v[4:5]
	v_not_b32_e32 v5, v5
	v_ashrrev_i32_e32 v5, 31, v5
	v_and_b32_e32 v97, exec_lo, v97
	v_xor_b32_e32 v99, vcc_hi, v5
	v_xor_b32_e32 v5, vcc_lo, v5
	v_and_b32_e32 v97, v97, v5
	v_lshlrev_b32_e32 v5, 29, v96
	v_cmp_gt_i64_e32 vcc, 0, v[4:5]
	v_not_b32_e32 v5, v5
	v_ashrrev_i32_e32 v5, 31, v5
	v_and_b32_e32 v98, v98, v99
	v_xor_b32_e32 v99, vcc_hi, v5
	v_xor_b32_e32 v5, vcc_lo, v5
	v_and_b32_e32 v97, v97, v5
	v_lshlrev_b32_e32 v5, 28, v96
	v_cmp_gt_i64_e32 vcc, 0, v[4:5]
	v_not_b32_e32 v5, v5
	v_ashrrev_i32_e32 v5, 31, v5
	v_and_b32_e32 v98, v98, v99
	;; [unrolled: 8-line block ×5, first 2 shown]
	v_xor_b32_e32 v99, vcc_hi, v5
	v_xor_b32_e32 v5, vcc_lo, v5
	v_and_b32_e32 v98, v98, v99
	v_and_b32_e32 v99, v97, v5
	v_lshlrev_b32_e32 v5, 24, v96
	v_cmp_gt_i64_e32 vcc, 0, v[4:5]
	v_not_b32_e32 v5, v5
	v_ashrrev_i32_e32 v5, 31, v5
	v_xor_b32_e32 v96, vcc_hi, v5
	v_xor_b32_e32 v5, vcc_lo, v5
	v_and_b32_e32 v97, v98, v96
	v_and_b32_e32 v96, v99, v5
	v_mbcnt_lo_u32_b32 v5, v96, 0
	v_mbcnt_hi_u32_b32 v212, v97, v5
	v_cmp_eq_u32_e32 vcc, 0, v212
	v_cmp_ne_u64_e64 s[36:37], 0, v[96:97]
	s_and_b64 s[38:39], s[36:37], vcc
	; wave barrier
	s_and_saveexec_b64 s[36:37], s[38:39]
	s_cbranch_execz .LBB1222_1038
; %bb.1037:                             ;   in Loop: Header=BB1222_982 Depth=2
	v_bcnt_u32_b32 v5, v96, 0
	v_bcnt_u32_b32 v5, v97, v5
	s_waitcnt lgkmcnt(0)
	v_add_u32_e32 v5, v210, v5
	ds_write_b32 v211, v5
.LBB1222_1038:                          ;   in Loop: Header=BB1222_982 Depth=2
	s_or_b64 exec, exec, s[36:37]
	s_waitcnt vmcnt(4)
	v_cmp_lt_i64_e32 vcc, -1, v[84:85]
	v_cndmask_b32_e32 v5, -1, v133, vcc
	v_ashrrev_i32_e32 v96, 31, v85
	v_xor_b32_e32 v85, v5, v85
	v_xor_b32_e32 v84, v96, v84
	v_cmp_ne_u64_e32 vcc, s[78:79], v[84:85]
	v_cndmask_b32_e32 v97, v133, v85, vcc
	v_cndmask_b32_e32 v96, 0, v84, vcc
	v_lshrrev_b64 v[96:97], s84, v[96:97]
	v_and_b32_e32 v96, s68, v96
	v_mul_u32_u24_e32 v5, 5, v96
	v_add_lshl_u32 v5, v5, v177, 2
	; wave barrier
	v_add_u32_e32 v214, 0x410, v5
	ds_read_b32 v213, v5 offset:1040
	v_and_b32_e32 v5, 1, v96
	v_add_co_u32_e32 v97, vcc, -1, v5
	v_addc_co_u32_e64 v98, s[36:37], 0, -1, vcc
	v_cmp_ne_u32_e32 vcc, 0, v5
	v_xor_b32_e32 v5, vcc_hi, v98
	v_and_b32_e32 v98, exec_hi, v5
	v_lshlrev_b32_e32 v5, 30, v96
	v_xor_b32_e32 v97, vcc_lo, v97
	v_cmp_gt_i64_e32 vcc, 0, v[4:5]
	v_not_b32_e32 v5, v5
	v_ashrrev_i32_e32 v5, 31, v5
	v_and_b32_e32 v97, exec_lo, v97
	v_xor_b32_e32 v99, vcc_hi, v5
	v_xor_b32_e32 v5, vcc_lo, v5
	v_and_b32_e32 v97, v97, v5
	v_lshlrev_b32_e32 v5, 29, v96
	v_cmp_gt_i64_e32 vcc, 0, v[4:5]
	v_not_b32_e32 v5, v5
	v_ashrrev_i32_e32 v5, 31, v5
	v_and_b32_e32 v98, v98, v99
	v_xor_b32_e32 v99, vcc_hi, v5
	v_xor_b32_e32 v5, vcc_lo, v5
	v_and_b32_e32 v97, v97, v5
	v_lshlrev_b32_e32 v5, 28, v96
	v_cmp_gt_i64_e32 vcc, 0, v[4:5]
	v_not_b32_e32 v5, v5
	v_ashrrev_i32_e32 v5, 31, v5
	v_and_b32_e32 v98, v98, v99
	;; [unrolled: 8-line block ×5, first 2 shown]
	v_xor_b32_e32 v99, vcc_hi, v5
	v_xor_b32_e32 v5, vcc_lo, v5
	v_and_b32_e32 v98, v98, v99
	v_and_b32_e32 v99, v97, v5
	v_lshlrev_b32_e32 v5, 24, v96
	v_cmp_gt_i64_e32 vcc, 0, v[4:5]
	v_not_b32_e32 v5, v5
	v_ashrrev_i32_e32 v5, 31, v5
	v_xor_b32_e32 v96, vcc_hi, v5
	v_xor_b32_e32 v5, vcc_lo, v5
	v_and_b32_e32 v97, v98, v96
	v_and_b32_e32 v96, v99, v5
	v_mbcnt_lo_u32_b32 v5, v96, 0
	v_mbcnt_hi_u32_b32 v215, v97, v5
	v_cmp_eq_u32_e32 vcc, 0, v215
	v_cmp_ne_u64_e64 s[36:37], 0, v[96:97]
	s_and_b64 s[38:39], s[36:37], vcc
	; wave barrier
	s_and_saveexec_b64 s[36:37], s[38:39]
	s_cbranch_execz .LBB1222_1040
; %bb.1039:                             ;   in Loop: Header=BB1222_982 Depth=2
	v_bcnt_u32_b32 v5, v96, 0
	v_bcnt_u32_b32 v5, v97, v5
	s_waitcnt lgkmcnt(0)
	v_add_u32_e32 v5, v213, v5
	ds_write_b32 v214, v5
.LBB1222_1040:                          ;   in Loop: Header=BB1222_982 Depth=2
	s_or_b64 exec, exec, s[36:37]
	s_waitcnt vmcnt(3)
	v_cmp_lt_i64_e32 vcc, -1, v[80:81]
	v_cndmask_b32_e32 v5, -1, v133, vcc
	v_ashrrev_i32_e32 v96, 31, v81
	v_xor_b32_e32 v81, v5, v81
	v_xor_b32_e32 v80, v96, v80
	v_cmp_ne_u64_e32 vcc, s[78:79], v[80:81]
	v_cndmask_b32_e32 v97, v133, v81, vcc
	v_cndmask_b32_e32 v96, 0, v80, vcc
	v_lshrrev_b64 v[96:97], s84, v[96:97]
	v_and_b32_e32 v96, s68, v96
	v_mul_u32_u24_e32 v5, 5, v96
	v_add_lshl_u32 v5, v5, v177, 2
	; wave barrier
	v_add_u32_e32 v217, 0x410, v5
	ds_read_b32 v216, v5 offset:1040
	v_and_b32_e32 v5, 1, v96
	v_add_co_u32_e32 v97, vcc, -1, v5
	v_addc_co_u32_e64 v98, s[36:37], 0, -1, vcc
	v_cmp_ne_u32_e32 vcc, 0, v5
	v_xor_b32_e32 v5, vcc_hi, v98
	v_and_b32_e32 v98, exec_hi, v5
	v_lshlrev_b32_e32 v5, 30, v96
	v_xor_b32_e32 v97, vcc_lo, v97
	v_cmp_gt_i64_e32 vcc, 0, v[4:5]
	v_not_b32_e32 v5, v5
	v_ashrrev_i32_e32 v5, 31, v5
	v_and_b32_e32 v97, exec_lo, v97
	v_xor_b32_e32 v99, vcc_hi, v5
	v_xor_b32_e32 v5, vcc_lo, v5
	v_and_b32_e32 v97, v97, v5
	v_lshlrev_b32_e32 v5, 29, v96
	v_cmp_gt_i64_e32 vcc, 0, v[4:5]
	v_not_b32_e32 v5, v5
	v_ashrrev_i32_e32 v5, 31, v5
	v_and_b32_e32 v98, v98, v99
	v_xor_b32_e32 v99, vcc_hi, v5
	v_xor_b32_e32 v5, vcc_lo, v5
	v_and_b32_e32 v97, v97, v5
	v_lshlrev_b32_e32 v5, 28, v96
	v_cmp_gt_i64_e32 vcc, 0, v[4:5]
	v_not_b32_e32 v5, v5
	v_ashrrev_i32_e32 v5, 31, v5
	v_and_b32_e32 v98, v98, v99
	;; [unrolled: 8-line block ×5, first 2 shown]
	v_xor_b32_e32 v99, vcc_hi, v5
	v_xor_b32_e32 v5, vcc_lo, v5
	v_and_b32_e32 v98, v98, v99
	v_and_b32_e32 v99, v97, v5
	v_lshlrev_b32_e32 v5, 24, v96
	v_cmp_gt_i64_e32 vcc, 0, v[4:5]
	v_not_b32_e32 v5, v5
	v_ashrrev_i32_e32 v5, 31, v5
	v_xor_b32_e32 v96, vcc_hi, v5
	v_xor_b32_e32 v5, vcc_lo, v5
	v_and_b32_e32 v97, v98, v96
	v_and_b32_e32 v96, v99, v5
	v_mbcnt_lo_u32_b32 v5, v96, 0
	v_mbcnt_hi_u32_b32 v218, v97, v5
	v_cmp_eq_u32_e32 vcc, 0, v218
	v_cmp_ne_u64_e64 s[36:37], 0, v[96:97]
	s_and_b64 s[38:39], s[36:37], vcc
	; wave barrier
	s_and_saveexec_b64 s[36:37], s[38:39]
	s_cbranch_execz .LBB1222_1042
; %bb.1041:                             ;   in Loop: Header=BB1222_982 Depth=2
	v_bcnt_u32_b32 v5, v96, 0
	v_bcnt_u32_b32 v5, v97, v5
	s_waitcnt lgkmcnt(0)
	v_add_u32_e32 v5, v216, v5
	ds_write_b32 v217, v5
.LBB1222_1042:                          ;   in Loop: Header=BB1222_982 Depth=2
	s_or_b64 exec, exec, s[36:37]
	s_waitcnt vmcnt(2)
	v_cmp_lt_i64_e32 vcc, -1, v[76:77]
	v_cndmask_b32_e32 v5, -1, v133, vcc
	v_ashrrev_i32_e32 v96, 31, v77
	v_xor_b32_e32 v77, v5, v77
	v_xor_b32_e32 v76, v96, v76
	v_cmp_ne_u64_e32 vcc, s[78:79], v[76:77]
	v_cndmask_b32_e32 v97, v133, v77, vcc
	v_cndmask_b32_e32 v96, 0, v76, vcc
	v_lshrrev_b64 v[96:97], s84, v[96:97]
	v_and_b32_e32 v96, s68, v96
	v_mul_u32_u24_e32 v5, 5, v96
	v_add_lshl_u32 v5, v5, v177, 2
	; wave barrier
	v_add_u32_e32 v220, 0x410, v5
	ds_read_b32 v219, v5 offset:1040
	v_and_b32_e32 v5, 1, v96
	v_add_co_u32_e32 v97, vcc, -1, v5
	v_addc_co_u32_e64 v98, s[36:37], 0, -1, vcc
	v_cmp_ne_u32_e32 vcc, 0, v5
	v_xor_b32_e32 v5, vcc_hi, v98
	v_and_b32_e32 v98, exec_hi, v5
	v_lshlrev_b32_e32 v5, 30, v96
	v_xor_b32_e32 v97, vcc_lo, v97
	v_cmp_gt_i64_e32 vcc, 0, v[4:5]
	v_not_b32_e32 v5, v5
	v_ashrrev_i32_e32 v5, 31, v5
	v_and_b32_e32 v97, exec_lo, v97
	v_xor_b32_e32 v99, vcc_hi, v5
	v_xor_b32_e32 v5, vcc_lo, v5
	v_and_b32_e32 v97, v97, v5
	v_lshlrev_b32_e32 v5, 29, v96
	v_cmp_gt_i64_e32 vcc, 0, v[4:5]
	v_not_b32_e32 v5, v5
	v_ashrrev_i32_e32 v5, 31, v5
	v_and_b32_e32 v98, v98, v99
	v_xor_b32_e32 v99, vcc_hi, v5
	v_xor_b32_e32 v5, vcc_lo, v5
	v_and_b32_e32 v97, v97, v5
	v_lshlrev_b32_e32 v5, 28, v96
	v_cmp_gt_i64_e32 vcc, 0, v[4:5]
	v_not_b32_e32 v5, v5
	v_ashrrev_i32_e32 v5, 31, v5
	v_and_b32_e32 v98, v98, v99
	;; [unrolled: 8-line block ×5, first 2 shown]
	v_xor_b32_e32 v99, vcc_hi, v5
	v_xor_b32_e32 v5, vcc_lo, v5
	v_and_b32_e32 v98, v98, v99
	v_and_b32_e32 v99, v97, v5
	v_lshlrev_b32_e32 v5, 24, v96
	v_cmp_gt_i64_e32 vcc, 0, v[4:5]
	v_not_b32_e32 v5, v5
	v_ashrrev_i32_e32 v5, 31, v5
	v_xor_b32_e32 v96, vcc_hi, v5
	v_xor_b32_e32 v5, vcc_lo, v5
	v_and_b32_e32 v97, v98, v96
	v_and_b32_e32 v96, v99, v5
	v_mbcnt_lo_u32_b32 v5, v96, 0
	v_mbcnt_hi_u32_b32 v221, v97, v5
	v_cmp_eq_u32_e32 vcc, 0, v221
	v_cmp_ne_u64_e64 s[36:37], 0, v[96:97]
	s_and_b64 s[38:39], s[36:37], vcc
	; wave barrier
	s_and_saveexec_b64 s[36:37], s[38:39]
	s_cbranch_execz .LBB1222_1044
; %bb.1043:                             ;   in Loop: Header=BB1222_982 Depth=2
	v_bcnt_u32_b32 v5, v96, 0
	v_bcnt_u32_b32 v5, v97, v5
	s_waitcnt lgkmcnt(0)
	v_add_u32_e32 v5, v219, v5
	ds_write_b32 v220, v5
.LBB1222_1044:                          ;   in Loop: Header=BB1222_982 Depth=2
	s_or_b64 exec, exec, s[36:37]
	s_waitcnt vmcnt(1)
	v_cmp_lt_i64_e32 vcc, -1, v[72:73]
	v_cndmask_b32_e32 v5, -1, v133, vcc
	v_ashrrev_i32_e32 v96, 31, v73
	v_xor_b32_e32 v73, v5, v73
	v_xor_b32_e32 v72, v96, v72
	v_cmp_ne_u64_e32 vcc, s[78:79], v[72:73]
	v_cndmask_b32_e32 v97, v133, v73, vcc
	v_cndmask_b32_e32 v96, 0, v72, vcc
	v_lshrrev_b64 v[96:97], s84, v[96:97]
	v_and_b32_e32 v96, s68, v96
	v_mul_u32_u24_e32 v5, 5, v96
	v_add_lshl_u32 v5, v5, v177, 2
	; wave barrier
	v_add_u32_e32 v223, 0x410, v5
	ds_read_b32 v222, v5 offset:1040
	v_and_b32_e32 v5, 1, v96
	v_add_co_u32_e32 v97, vcc, -1, v5
	v_addc_co_u32_e64 v98, s[36:37], 0, -1, vcc
	v_cmp_ne_u32_e32 vcc, 0, v5
	v_xor_b32_e32 v5, vcc_hi, v98
	v_and_b32_e32 v98, exec_hi, v5
	v_lshlrev_b32_e32 v5, 30, v96
	v_xor_b32_e32 v97, vcc_lo, v97
	v_cmp_gt_i64_e32 vcc, 0, v[4:5]
	v_not_b32_e32 v5, v5
	v_ashrrev_i32_e32 v5, 31, v5
	v_and_b32_e32 v97, exec_lo, v97
	v_xor_b32_e32 v99, vcc_hi, v5
	v_xor_b32_e32 v5, vcc_lo, v5
	v_and_b32_e32 v97, v97, v5
	v_lshlrev_b32_e32 v5, 29, v96
	v_cmp_gt_i64_e32 vcc, 0, v[4:5]
	v_not_b32_e32 v5, v5
	v_ashrrev_i32_e32 v5, 31, v5
	v_and_b32_e32 v98, v98, v99
	v_xor_b32_e32 v99, vcc_hi, v5
	v_xor_b32_e32 v5, vcc_lo, v5
	v_and_b32_e32 v97, v97, v5
	v_lshlrev_b32_e32 v5, 28, v96
	v_cmp_gt_i64_e32 vcc, 0, v[4:5]
	v_not_b32_e32 v5, v5
	v_ashrrev_i32_e32 v5, 31, v5
	v_and_b32_e32 v98, v98, v99
	;; [unrolled: 8-line block ×5, first 2 shown]
	v_xor_b32_e32 v99, vcc_hi, v5
	v_xor_b32_e32 v5, vcc_lo, v5
	v_and_b32_e32 v98, v98, v99
	v_and_b32_e32 v99, v97, v5
	v_lshlrev_b32_e32 v5, 24, v96
	v_cmp_gt_i64_e32 vcc, 0, v[4:5]
	v_not_b32_e32 v5, v5
	v_ashrrev_i32_e32 v5, 31, v5
	v_xor_b32_e32 v96, vcc_hi, v5
	v_xor_b32_e32 v5, vcc_lo, v5
	v_and_b32_e32 v97, v98, v96
	v_and_b32_e32 v96, v99, v5
	v_mbcnt_lo_u32_b32 v5, v96, 0
	v_mbcnt_hi_u32_b32 v224, v97, v5
	v_cmp_eq_u32_e32 vcc, 0, v224
	v_cmp_ne_u64_e64 s[36:37], 0, v[96:97]
	s_and_b64 s[38:39], s[36:37], vcc
	; wave barrier
	s_and_saveexec_b64 s[36:37], s[38:39]
	s_cbranch_execz .LBB1222_1046
; %bb.1045:                             ;   in Loop: Header=BB1222_982 Depth=2
	v_bcnt_u32_b32 v5, v96, 0
	v_bcnt_u32_b32 v5, v97, v5
	s_waitcnt lgkmcnt(0)
	v_add_u32_e32 v5, v222, v5
	ds_write_b32 v223, v5
.LBB1222_1046:                          ;   in Loop: Header=BB1222_982 Depth=2
	s_or_b64 exec, exec, s[36:37]
	s_waitcnt vmcnt(0)
	v_cmp_lt_i64_e32 vcc, -1, v[68:69]
	v_cndmask_b32_e32 v5, -1, v133, vcc
	v_ashrrev_i32_e32 v96, 31, v69
	v_xor_b32_e32 v69, v5, v69
	v_xor_b32_e32 v68, v96, v68
	v_cmp_ne_u64_e32 vcc, s[78:79], v[68:69]
	v_cndmask_b32_e32 v97, v133, v69, vcc
	v_cndmask_b32_e32 v96, 0, v68, vcc
	v_lshrrev_b64 v[96:97], s84, v[96:97]
	v_and_b32_e32 v96, s68, v96
	v_mul_u32_u24_e32 v5, 5, v96
	v_add_lshl_u32 v5, v5, v177, 2
	; wave barrier
	v_add_u32_e32 v226, 0x410, v5
	ds_read_b32 v225, v5 offset:1040
	v_and_b32_e32 v5, 1, v96
	v_add_co_u32_e32 v97, vcc, -1, v5
	v_addc_co_u32_e64 v98, s[36:37], 0, -1, vcc
	v_cmp_ne_u32_e32 vcc, 0, v5
	v_xor_b32_e32 v5, vcc_hi, v98
	v_and_b32_e32 v98, exec_hi, v5
	v_lshlrev_b32_e32 v5, 30, v96
	v_xor_b32_e32 v97, vcc_lo, v97
	v_cmp_gt_i64_e32 vcc, 0, v[4:5]
	v_not_b32_e32 v5, v5
	v_ashrrev_i32_e32 v5, 31, v5
	v_and_b32_e32 v97, exec_lo, v97
	v_xor_b32_e32 v99, vcc_hi, v5
	v_xor_b32_e32 v5, vcc_lo, v5
	v_and_b32_e32 v97, v97, v5
	v_lshlrev_b32_e32 v5, 29, v96
	v_cmp_gt_i64_e32 vcc, 0, v[4:5]
	v_not_b32_e32 v5, v5
	v_ashrrev_i32_e32 v5, 31, v5
	v_and_b32_e32 v98, v98, v99
	v_xor_b32_e32 v99, vcc_hi, v5
	v_xor_b32_e32 v5, vcc_lo, v5
	v_and_b32_e32 v97, v97, v5
	v_lshlrev_b32_e32 v5, 28, v96
	v_cmp_gt_i64_e32 vcc, 0, v[4:5]
	v_not_b32_e32 v5, v5
	v_ashrrev_i32_e32 v5, 31, v5
	v_and_b32_e32 v98, v98, v99
	;; [unrolled: 8-line block ×5, first 2 shown]
	v_xor_b32_e32 v99, vcc_hi, v5
	v_xor_b32_e32 v5, vcc_lo, v5
	v_and_b32_e32 v98, v98, v99
	v_and_b32_e32 v99, v97, v5
	v_lshlrev_b32_e32 v5, 24, v96
	v_cmp_gt_i64_e32 vcc, 0, v[4:5]
	v_not_b32_e32 v5, v5
	v_ashrrev_i32_e32 v5, 31, v5
	v_xor_b32_e32 v96, vcc_hi, v5
	v_xor_b32_e32 v5, vcc_lo, v5
	v_and_b32_e32 v97, v98, v96
	v_and_b32_e32 v96, v99, v5
	v_mbcnt_lo_u32_b32 v5, v96, 0
	v_mbcnt_hi_u32_b32 v227, v97, v5
	v_cmp_eq_u32_e32 vcc, 0, v227
	v_cmp_ne_u64_e64 s[36:37], 0, v[96:97]
	s_and_b64 s[38:39], s[36:37], vcc
	; wave barrier
	s_and_saveexec_b64 s[36:37], s[38:39]
	s_cbranch_execz .LBB1222_1048
; %bb.1047:                             ;   in Loop: Header=BB1222_982 Depth=2
	v_bcnt_u32_b32 v5, v96, 0
	v_bcnt_u32_b32 v5, v97, v5
	s_waitcnt lgkmcnt(0)
	v_add_u32_e32 v5, v225, v5
	ds_write_b32 v226, v5
.LBB1222_1048:                          ;   in Loop: Header=BB1222_982 Depth=2
	s_or_b64 exec, exec, s[36:37]
	v_cmp_lt_i64_e32 vcc, -1, v[70:71]
	v_cndmask_b32_e32 v5, -1, v133, vcc
	v_ashrrev_i32_e32 v96, 31, v71
	v_xor_b32_e32 v71, v5, v71
	v_xor_b32_e32 v70, v96, v70
	v_cmp_ne_u64_e32 vcc, s[78:79], v[70:71]
	v_cndmask_b32_e32 v97, v133, v71, vcc
	v_cndmask_b32_e32 v96, 0, v70, vcc
	v_lshrrev_b64 v[96:97], s84, v[96:97]
	v_and_b32_e32 v96, s68, v96
	v_mul_u32_u24_e32 v5, 5, v96
	v_add_lshl_u32 v5, v5, v177, 2
	; wave barrier
	v_add_u32_e32 v229, 0x410, v5
	ds_read_b32 v228, v5 offset:1040
	v_and_b32_e32 v5, 1, v96
	v_add_co_u32_e32 v97, vcc, -1, v5
	v_addc_co_u32_e64 v98, s[36:37], 0, -1, vcc
	v_cmp_ne_u32_e32 vcc, 0, v5
	v_xor_b32_e32 v5, vcc_hi, v98
	v_and_b32_e32 v98, exec_hi, v5
	v_lshlrev_b32_e32 v5, 30, v96
	v_xor_b32_e32 v97, vcc_lo, v97
	v_cmp_gt_i64_e32 vcc, 0, v[4:5]
	v_not_b32_e32 v5, v5
	v_ashrrev_i32_e32 v5, 31, v5
	v_and_b32_e32 v97, exec_lo, v97
	v_xor_b32_e32 v99, vcc_hi, v5
	v_xor_b32_e32 v5, vcc_lo, v5
	v_and_b32_e32 v97, v97, v5
	v_lshlrev_b32_e32 v5, 29, v96
	v_cmp_gt_i64_e32 vcc, 0, v[4:5]
	v_not_b32_e32 v5, v5
	v_ashrrev_i32_e32 v5, 31, v5
	v_and_b32_e32 v98, v98, v99
	v_xor_b32_e32 v99, vcc_hi, v5
	v_xor_b32_e32 v5, vcc_lo, v5
	v_and_b32_e32 v97, v97, v5
	v_lshlrev_b32_e32 v5, 28, v96
	v_cmp_gt_i64_e32 vcc, 0, v[4:5]
	v_not_b32_e32 v5, v5
	v_ashrrev_i32_e32 v5, 31, v5
	v_and_b32_e32 v98, v98, v99
	;; [unrolled: 8-line block ×5, first 2 shown]
	v_xor_b32_e32 v99, vcc_hi, v5
	v_xor_b32_e32 v5, vcc_lo, v5
	v_and_b32_e32 v98, v98, v99
	v_and_b32_e32 v99, v97, v5
	v_lshlrev_b32_e32 v5, 24, v96
	v_cmp_gt_i64_e32 vcc, 0, v[4:5]
	v_not_b32_e32 v5, v5
	v_ashrrev_i32_e32 v5, 31, v5
	v_xor_b32_e32 v96, vcc_hi, v5
	v_xor_b32_e32 v5, vcc_lo, v5
	v_and_b32_e32 v97, v98, v96
	v_and_b32_e32 v96, v99, v5
	v_mbcnt_lo_u32_b32 v5, v96, 0
	v_mbcnt_hi_u32_b32 v230, v97, v5
	v_cmp_eq_u32_e32 vcc, 0, v230
	v_cmp_ne_u64_e64 s[36:37], 0, v[96:97]
	s_and_b64 s[38:39], s[36:37], vcc
	; wave barrier
	s_and_saveexec_b64 s[36:37], s[38:39]
	s_cbranch_execz .LBB1222_1050
; %bb.1049:                             ;   in Loop: Header=BB1222_982 Depth=2
	v_bcnt_u32_b32 v5, v96, 0
	v_bcnt_u32_b32 v5, v97, v5
	s_waitcnt lgkmcnt(0)
	v_add_u32_e32 v5, v228, v5
	ds_write_b32 v229, v5
.LBB1222_1050:                          ;   in Loop: Header=BB1222_982 Depth=2
	s_or_b64 exec, exec, s[36:37]
	; wave barrier
	s_waitcnt lgkmcnt(0)
	s_barrier
	ds_read_b32 v5, v27 offset:1040
	ds_read2_b32 v[98:99], v31 offset0:1 offset1:2
	ds_read2_b32 v[96:97], v31 offset0:3 offset1:4
	s_waitcnt lgkmcnt(1)
	v_add3_u32 v231, v98, v5, v99
	s_waitcnt lgkmcnt(0)
	v_add3_u32 v97, v231, v96, v97
	s_nop 1
	v_mov_b32_dpp v231, v97 row_shr:1 row_mask:0xf bank_mask:0xf
	v_cndmask_b32_e64 v231, v231, 0, s[16:17]
	v_add_u32_e32 v97, v231, v97
	s_nop 1
	v_mov_b32_dpp v231, v97 row_shr:2 row_mask:0xf bank_mask:0xf
	v_cndmask_b32_e64 v231, 0, v231, s[18:19]
	v_add_u32_e32 v97, v97, v231
	;; [unrolled: 4-line block ×4, first 2 shown]
	s_nop 1
	v_mov_b32_dpp v231, v97 row_bcast:15 row_mask:0xf bank_mask:0xf
	v_cndmask_b32_e64 v231, v231, 0, s[24:25]
	v_add_u32_e32 v97, v97, v231
	s_nop 1
	v_mov_b32_dpp v231, v97 row_bcast:31 row_mask:0xf bank_mask:0xf
	v_cndmask_b32_e64 v231, 0, v231, s[26:27]
	v_add_u32_e32 v97, v97, v231
	s_and_saveexec_b64 s[36:37], s[6:7]
	s_cbranch_execz .LBB1222_1052
; %bb.1051:                             ;   in Loop: Header=BB1222_982 Depth=2
	ds_write_b32 v15, v97 offset:1024
.LBB1222_1052:                          ;   in Loop: Header=BB1222_982 Depth=2
	s_or_b64 exec, exec, s[36:37]
	s_waitcnt lgkmcnt(0)
	s_barrier
	s_and_saveexec_b64 s[36:37], s[8:9]
	s_cbranch_execz .LBB1222_1054
; %bb.1053:                             ;   in Loop: Header=BB1222_982 Depth=2
	ds_read_b32 v231, v33 offset:1024
	s_waitcnt lgkmcnt(0)
	s_nop 0
	v_mov_b32_dpp v232, v231 row_shr:1 row_mask:0xf bank_mask:0xf
	v_cndmask_b32_e64 v232, v232, 0, s[30:31]
	v_add_u32_e32 v231, v232, v231
	s_nop 1
	v_mov_b32_dpp v232, v231 row_shr:2 row_mask:0xf bank_mask:0xf
	v_cndmask_b32_e64 v232, 0, v232, s[34:35]
	v_add_u32_e32 v231, v231, v232
	ds_write_b32 v33, v231 offset:1024
.LBB1222_1054:                          ;   in Loop: Header=BB1222_982 Depth=2
	s_or_b64 exec, exec, s[36:37]
	v_mov_b32_e32 v231, 0
	s_waitcnt lgkmcnt(0)
	s_barrier
	s_and_saveexec_b64 s[36:37], s[10:11]
	s_cbranch_execz .LBB1222_1056
; %bb.1055:                             ;   in Loop: Header=BB1222_982 Depth=2
	ds_read_b32 v231, v15 offset:1020
.LBB1222_1056:                          ;   in Loop: Header=BB1222_982 Depth=2
	s_or_b64 exec, exec, s[36:37]
	s_waitcnt lgkmcnt(0)
	v_add_u32_e32 v97, v231, v97
	ds_bpermute_b32 v97, v159, v97
	s_waitcnt lgkmcnt(0)
	v_cndmask_b32_e64 v97, v97, v231, s[28:29]
	v_cndmask_b32_e64 v97, v97, 0, s[12:13]
	v_add_u32_e32 v5, v97, v5
	ds_write_b32 v27, v97 offset:1040
	v_add_u32_e32 v97, v5, v98
	v_add_u32_e32 v98, v97, v99
	ds_write2_b32 v31, v5, v97 offset0:1 offset1:2
	v_add_u32_e32 v5, v98, v96
	ds_write2_b32 v31, v98, v5 offset0:3 offset1:4
	s_waitcnt lgkmcnt(0)
	s_barrier
	ds_read_b32 v97, v187
	ds_read_b32 v235, v190
	;; [unrolled: 1-line block ×16, first 2 shown]
	ds_read_b32 v184, v27 offset:1040
	v_mov_b32_e32 v5, 0x1000
	s_and_saveexec_b64 s[36:37], s[14:15]
	s_cbranch_execz .LBB1222_1058
; %bb.1057:                             ;   in Loop: Header=BB1222_982 Depth=2
	ds_read_b32 v5, v27 offset:1060
.LBB1222_1058:                          ;   in Loop: Header=BB1222_982 Depth=2
	s_or_b64 exec, exec, s[36:37]
	s_waitcnt lgkmcnt(0)
	s_barrier
	s_and_saveexec_b64 s[36:37], s[4:5]
	s_cbranch_execz .LBB1222_1060
; %bb.1059:                             ;   in Loop: Header=BB1222_982 Depth=2
	ds_read_b32 v208, v3
	s_waitcnt lgkmcnt(0)
	v_sub_u32_e32 v184, v208, v184
	ds_write_b32 v3, v184
.LBB1222_1060:                          ;   in Loop: Header=BB1222_982 Depth=2
	s_or_b64 exec, exec, s[36:37]
	v_add_u32_e32 v186, v188, v186
	v_add_u32_e32 v189, v191, v189
	v_add_lshl_u32 v96, v96, v185, 3
	v_add_lshl_u32 v97, v186, v97, 3
	v_add_u32_e32 v192, v194, v192
	ds_write_b64 v96, v[64:65] offset:1024
	ds_write_b64 v97, v[66:67] offset:1024
	v_add_lshl_u32 v67, v189, v235, 3
	v_add_u32_e32 v198, v200, v198
	v_add_u32_e32 v195, v197, v195
	ds_write_b64 v67, v[74:75] offset:1024
	v_add_lshl_u32 v74, v192, v234, 3
	v_add_u32_e32 v213, v215, v213
	v_add_u32_e32 v210, v212, v210
	;; [unrolled: 1-line block ×5, first 2 shown]
	ds_write_b64 v74, v[78:79] offset:1024
	v_add_lshl_u32 v75, v195, v233, 3
	v_add_lshl_u32 v78, v198, v232, 3
	v_add_u32_e32 v216, v218, v216
	ds_write_b64 v75, v[82:83] offset:1024
	ds_write_b64 v78, v[86:87] offset:1024
	v_add_lshl_u32 v79, v201, v231, 3
	v_add_lshl_u32 v82, v204, v205, 3
	;; [unrolled: 1-line block ×5, first 2 shown]
	v_add_u32_e32 v214, v221, v219
	ds_write_b64 v79, v[90:91] offset:1024
	ds_write_b64 v82, v[94:95] offset:1024
	;; [unrolled: 1-line block ×5, first 2 shown]
	v_add_lshl_u32 v84, v216, v193, 3
	v_add_u32_e32 v211, v224, v222
	ds_write_b64 v84, v[80:81] offset:1024
	v_add_lshl_u32 v80, v214, v190, 3
	v_add_u32_e32 v208, v227, v225
	ds_write_b64 v80, v[76:77] offset:1024
	;; [unrolled: 3-line block ×3, first 2 shown]
	v_add_lshl_u32 v72, v208, v99, 3
	ds_write_b64 v72, v[68:69] offset:1024
	v_add_lshl_u32 v68, v184, v98, 3
	v_cmp_lt_u32_e64 s[36:37], v2, v183
	v_add_u32_e32 v66, v33, v3
	ds_write_b64 v68, v[70:71] offset:1024
	s_waitcnt lgkmcnt(0)
	s_barrier
	s_and_saveexec_b64 s[40:41], s[36:37]
	s_cbranch_execz .LBB1222_1076
; %bb.1061:                             ;   in Loop: Header=BB1222_982 Depth=2
	ds_read_b64 v[64:65], v66 offset:1024
	v_mov_b32_e32 v71, v4
	s_waitcnt lgkmcnt(0)
	v_cmp_ne_u64_e32 vcc, s[78:79], v[64:65]
	v_cndmask_b32_e32 v89, v133, v65, vcc
	v_cndmask_b32_e32 v88, 0, v64, vcc
	v_lshrrev_b64 v[88:89], s84, v[88:89]
	v_and_b32_e32 v70, s68, v88
	v_lshlrev_b32_e32 v70, 2, v70
	ds_read_b32 v70, v70
	v_cmp_lt_i64_e64 s[38:39], -1, v[64:65]
	v_cndmask_b32_e64 v69, v133, -1, s[38:39]
	v_ashrrev_i32_e32 v73, 31, v65
	v_not_b32_e32 v73, v73
	s_waitcnt lgkmcnt(0)
	v_add_u32_e32 v70, v70, v2
	v_lshlrev_b64 v[70:71], 3, v[70:71]
	v_xor_b32_e32 v65, v69, v65
	v_mov_b32_e32 v69, s77
	v_add_co_u32_e32 v70, vcc, s76, v70
	v_xor_b32_e32 v64, v73, v64
	v_addc_co_u32_e32 v71, vcc, v69, v71, vcc
	global_store_dwordx2 v[70:71], v[64:65], off
	s_or_b64 exec, exec, s[40:41]
	v_cmp_lt_u32_e64 s[38:39], v7, v183
	s_and_saveexec_b64 s[42:43], s[38:39]
	s_cbranch_execnz .LBB1222_1077
.LBB1222_1062:                          ;   in Loop: Header=BB1222_982 Depth=2
	s_or_b64 exec, exec, s[42:43]
	v_cmp_lt_u32_e64 s[40:41], v6, v183
	s_and_saveexec_b64 s[44:45], s[40:41]
	s_cbranch_execz .LBB1222_1078
.LBB1222_1063:                          ;   in Loop: Header=BB1222_982 Depth=2
	ds_read_b64 v[64:65], v104 offset:4096
	v_mov_b32_e32 v71, v4
	s_waitcnt lgkmcnt(0)
	v_cmp_ne_u64_e32 vcc, s[78:79], v[64:65]
	v_cndmask_b32_e32 v89, v133, v65, vcc
	v_cndmask_b32_e32 v88, 0, v64, vcc
	v_lshrrev_b64 v[88:89], s84, v[88:89]
	v_and_b32_e32 v70, s68, v88
	v_lshlrev_b32_e32 v70, 2, v70
	ds_read_b32 v70, v70
	v_cmp_lt_i64_e64 s[42:43], -1, v[64:65]
	v_cndmask_b32_e64 v69, v133, -1, s[42:43]
	v_ashrrev_i32_e32 v73, 31, v65
	v_not_b32_e32 v73, v73
	s_waitcnt lgkmcnt(0)
	v_add_u32_e32 v70, v70, v6
	v_lshlrev_b64 v[70:71], 3, v[70:71]
	v_xor_b32_e32 v65, v69, v65
	v_mov_b32_e32 v69, s77
	v_add_co_u32_e32 v70, vcc, s76, v70
	v_xor_b32_e32 v64, v73, v64
	v_addc_co_u32_e32 v71, vcc, v69, v71, vcc
	global_store_dwordx2 v[70:71], v[64:65], off
	s_or_b64 exec, exec, s[44:45]
	v_cmp_lt_u32_e64 s[42:43], v8, v183
	s_and_saveexec_b64 s[46:47], s[42:43]
	s_cbranch_execnz .LBB1222_1079
.LBB1222_1064:                          ;   in Loop: Header=BB1222_982 Depth=2
	s_or_b64 exec, exec, s[46:47]
	v_cmp_lt_u32_e64 s[44:45], v10, v183
	s_and_saveexec_b64 s[48:49], s[44:45]
	s_cbranch_execz .LBB1222_1080
.LBB1222_1065:                          ;   in Loop: Header=BB1222_982 Depth=2
	ds_read_b64 v[64:65], v104 offset:8192
	v_mov_b32_e32 v71, v4
	s_waitcnt lgkmcnt(0)
	v_cmp_ne_u64_e32 vcc, s[78:79], v[64:65]
	v_cndmask_b32_e32 v89, v133, v65, vcc
	v_cndmask_b32_e32 v88, 0, v64, vcc
	v_lshrrev_b64 v[88:89], s84, v[88:89]
	v_and_b32_e32 v70, s68, v88
	v_lshlrev_b32_e32 v70, 2, v70
	ds_read_b32 v70, v70
	v_cmp_lt_i64_e64 s[46:47], -1, v[64:65]
	v_cndmask_b32_e64 v69, v133, -1, s[46:47]
	v_ashrrev_i32_e32 v73, 31, v65
	v_not_b32_e32 v73, v73
	s_waitcnt lgkmcnt(0)
	v_add_u32_e32 v70, v70, v10
	v_lshlrev_b64 v[70:71], 3, v[70:71]
	v_xor_b32_e32 v65, v69, v65
	v_mov_b32_e32 v69, s77
	v_add_co_u32_e32 v70, vcc, s76, v70
	v_xor_b32_e32 v64, v73, v64
	v_addc_co_u32_e32 v71, vcc, v69, v71, vcc
	global_store_dwordx2 v[70:71], v[64:65], off
	s_or_b64 exec, exec, s[48:49]
	v_cmp_lt_u32_e64 s[46:47], v12, v183
	s_and_saveexec_b64 s[50:51], s[46:47]
	s_cbranch_execnz .LBB1222_1081
.LBB1222_1066:                          ;   in Loop: Header=BB1222_982 Depth=2
	s_or_b64 exec, exec, s[50:51]
	v_cmp_lt_u32_e64 s[48:49], v14, v183
	s_and_saveexec_b64 s[52:53], s[48:49]
	s_cbranch_execz .LBB1222_1082
.LBB1222_1067:                          ;   in Loop: Header=BB1222_982 Depth=2
	ds_read_b64 v[64:65], v104 offset:12288
	v_mov_b32_e32 v71, v4
	s_waitcnt lgkmcnt(0)
	v_cmp_ne_u64_e32 vcc, s[78:79], v[64:65]
	v_cndmask_b32_e32 v89, v133, v65, vcc
	v_cndmask_b32_e32 v88, 0, v64, vcc
	v_lshrrev_b64 v[88:89], s84, v[88:89]
	v_and_b32_e32 v70, s68, v88
	v_lshlrev_b32_e32 v70, 2, v70
	ds_read_b32 v70, v70
	v_cmp_lt_i64_e64 s[50:51], -1, v[64:65]
	v_cndmask_b32_e64 v69, v133, -1, s[50:51]
	v_ashrrev_i32_e32 v73, 31, v65
	v_not_b32_e32 v73, v73
	s_waitcnt lgkmcnt(0)
	v_add_u32_e32 v70, v70, v14
	v_lshlrev_b64 v[70:71], 3, v[70:71]
	v_xor_b32_e32 v65, v69, v65
	v_mov_b32_e32 v69, s77
	v_add_co_u32_e32 v70, vcc, s76, v70
	v_xor_b32_e32 v64, v73, v64
	v_addc_co_u32_e32 v71, vcc, v69, v71, vcc
	global_store_dwordx2 v[70:71], v[64:65], off
	s_or_b64 exec, exec, s[52:53]
	v_cmp_lt_u32_e64 s[50:51], v16, v183
	s_and_saveexec_b64 s[54:55], s[50:51]
	s_cbranch_execnz .LBB1222_1083
.LBB1222_1068:                          ;   in Loop: Header=BB1222_982 Depth=2
	s_or_b64 exec, exec, s[54:55]
	v_cmp_lt_u32_e64 s[52:53], v18, v183
	s_and_saveexec_b64 s[56:57], s[52:53]
	s_cbranch_execz .LBB1222_1084
.LBB1222_1069:                          ;   in Loop: Header=BB1222_982 Depth=2
	ds_read_b64 v[64:65], v104 offset:16384
	v_mov_b32_e32 v71, v4
	s_waitcnt lgkmcnt(0)
	v_cmp_ne_u64_e32 vcc, s[78:79], v[64:65]
	v_cndmask_b32_e32 v89, v133, v65, vcc
	v_cndmask_b32_e32 v88, 0, v64, vcc
	v_lshrrev_b64 v[88:89], s84, v[88:89]
	v_and_b32_e32 v70, s68, v88
	v_lshlrev_b32_e32 v70, 2, v70
	ds_read_b32 v70, v70
	v_cmp_lt_i64_e64 s[54:55], -1, v[64:65]
	v_cndmask_b32_e64 v69, v133, -1, s[54:55]
	v_ashrrev_i32_e32 v73, 31, v65
	v_not_b32_e32 v73, v73
	s_waitcnt lgkmcnt(0)
	v_add_u32_e32 v70, v70, v18
	v_lshlrev_b64 v[70:71], 3, v[70:71]
	v_xor_b32_e32 v65, v69, v65
	v_mov_b32_e32 v69, s77
	v_add_co_u32_e32 v70, vcc, s76, v70
	v_xor_b32_e32 v64, v73, v64
	v_addc_co_u32_e32 v71, vcc, v69, v71, vcc
	global_store_dwordx2 v[70:71], v[64:65], off
	s_or_b64 exec, exec, s[56:57]
	v_cmp_lt_u32_e64 s[54:55], v20, v183
	s_and_saveexec_b64 s[58:59], s[54:55]
	s_cbranch_execnz .LBB1222_1085
.LBB1222_1070:                          ;   in Loop: Header=BB1222_982 Depth=2
	s_or_b64 exec, exec, s[58:59]
	v_cmp_lt_u32_e64 s[56:57], v22, v183
	s_and_saveexec_b64 s[60:61], s[56:57]
	s_cbranch_execz .LBB1222_1086
.LBB1222_1071:                          ;   in Loop: Header=BB1222_982 Depth=2
	ds_read_b64 v[64:65], v104 offset:20480
	v_mov_b32_e32 v71, v4
	s_waitcnt lgkmcnt(0)
	v_cmp_ne_u64_e32 vcc, s[78:79], v[64:65]
	v_cndmask_b32_e32 v89, v133, v65, vcc
	v_cndmask_b32_e32 v88, 0, v64, vcc
	v_lshrrev_b64 v[88:89], s84, v[88:89]
	v_and_b32_e32 v70, s68, v88
	v_lshlrev_b32_e32 v70, 2, v70
	ds_read_b32 v70, v70
	v_cmp_lt_i64_e64 s[58:59], -1, v[64:65]
	v_cndmask_b32_e64 v69, v133, -1, s[58:59]
	v_ashrrev_i32_e32 v73, 31, v65
	v_not_b32_e32 v73, v73
	s_waitcnt lgkmcnt(0)
	v_add_u32_e32 v70, v70, v22
	v_lshlrev_b64 v[70:71], 3, v[70:71]
	v_xor_b32_e32 v65, v69, v65
	v_mov_b32_e32 v69, s77
	v_add_co_u32_e32 v70, vcc, s76, v70
	v_xor_b32_e32 v64, v73, v64
	v_addc_co_u32_e32 v71, vcc, v69, v71, vcc
	global_store_dwordx2 v[70:71], v[64:65], off
	s_or_b64 exec, exec, s[60:61]
	v_cmp_lt_u32_e64 s[58:59], v24, v183
	s_and_saveexec_b64 s[62:63], s[58:59]
	s_cbranch_execnz .LBB1222_1087
.LBB1222_1072:                          ;   in Loop: Header=BB1222_982 Depth=2
	s_or_b64 exec, exec, s[62:63]
	v_cmp_lt_u32_e64 s[60:61], v26, v183
	s_and_saveexec_b64 s[64:65], s[60:61]
	s_cbranch_execz .LBB1222_1088
.LBB1222_1073:                          ;   in Loop: Header=BB1222_982 Depth=2
	ds_read_b64 v[64:65], v104 offset:24576
	v_mov_b32_e32 v71, v4
	s_waitcnt lgkmcnt(0)
	v_cmp_ne_u64_e32 vcc, s[78:79], v[64:65]
	v_cndmask_b32_e32 v89, v133, v65, vcc
	v_cndmask_b32_e32 v88, 0, v64, vcc
	v_lshrrev_b64 v[88:89], s84, v[88:89]
	v_and_b32_e32 v70, s68, v88
	v_lshlrev_b32_e32 v70, 2, v70
	ds_read_b32 v70, v70
	v_cmp_lt_i64_e64 s[62:63], -1, v[64:65]
	v_cndmask_b32_e64 v69, v133, -1, s[62:63]
	v_ashrrev_i32_e32 v73, 31, v65
	v_not_b32_e32 v73, v73
	s_waitcnt lgkmcnt(0)
	v_add_u32_e32 v70, v70, v26
	v_lshlrev_b64 v[70:71], 3, v[70:71]
	v_xor_b32_e32 v65, v69, v65
	v_mov_b32_e32 v69, s77
	v_add_co_u32_e32 v70, vcc, s76, v70
	v_xor_b32_e32 v64, v73, v64
	v_addc_co_u32_e32 v71, vcc, v69, v71, vcc
	global_store_dwordx2 v[70:71], v[64:65], off
	s_or_b64 exec, exec, s[64:65]
	v_cmp_lt_u32_e64 s[62:63], v28, v183
	s_and_saveexec_b64 s[66:67], s[62:63]
	s_cbranch_execnz .LBB1222_1089
.LBB1222_1074:                          ;   in Loop: Header=BB1222_982 Depth=2
	s_or_b64 exec, exec, s[66:67]
	v_cmp_lt_u32_e64 s[64:65], v30, v183
	s_and_saveexec_b64 s[92:93], s[64:65]
	s_cbranch_execz .LBB1222_1090
.LBB1222_1075:                          ;   in Loop: Header=BB1222_982 Depth=2
	ds_read_b64 v[64:65], v104 offset:28672
	v_mov_b32_e32 v71, v4
	s_waitcnt lgkmcnt(0)
	v_cmp_ne_u64_e32 vcc, s[78:79], v[64:65]
	v_cndmask_b32_e32 v89, v133, v65, vcc
	v_cndmask_b32_e32 v88, 0, v64, vcc
	v_lshrrev_b64 v[88:89], s84, v[88:89]
	v_and_b32_e32 v70, s68, v88
	v_lshlrev_b32_e32 v70, 2, v70
	ds_read_b32 v70, v70
	v_cmp_lt_i64_e64 s[66:67], -1, v[64:65]
	v_cndmask_b32_e64 v69, v133, -1, s[66:67]
	v_ashrrev_i32_e32 v73, 31, v65
	v_not_b32_e32 v73, v73
	s_waitcnt lgkmcnt(0)
	v_add_u32_e32 v70, v70, v30
	v_lshlrev_b64 v[70:71], 3, v[70:71]
	v_xor_b32_e32 v65, v69, v65
	v_mov_b32_e32 v69, s77
	v_add_co_u32_e32 v70, vcc, s76, v70
	v_xor_b32_e32 v64, v73, v64
	v_addc_co_u32_e32 v71, vcc, v69, v71, vcc
	global_store_dwordx2 v[70:71], v[64:65], off
	s_or_b64 exec, exec, s[92:93]
	v_cmp_lt_u32_e64 s[66:67], v32, v183
	s_and_saveexec_b64 s[92:93], s[66:67]
	s_cbranch_execnz .LBB1222_1091
	s_branch .LBB1222_1092
.LBB1222_1076:                          ;   in Loop: Header=BB1222_982 Depth=2
	s_or_b64 exec, exec, s[40:41]
	v_cmp_lt_u32_e64 s[38:39], v7, v183
	s_and_saveexec_b64 s[42:43], s[38:39]
	s_cbranch_execz .LBB1222_1062
.LBB1222_1077:                          ;   in Loop: Header=BB1222_982 Depth=2
	ds_read_b64 v[64:65], v104 offset:2048
	v_mov_b32_e32 v71, v4
	s_waitcnt lgkmcnt(0)
	v_cmp_ne_u64_e32 vcc, s[78:79], v[64:65]
	v_cndmask_b32_e32 v89, v133, v65, vcc
	v_cndmask_b32_e32 v88, 0, v64, vcc
	v_lshrrev_b64 v[88:89], s84, v[88:89]
	v_and_b32_e32 v70, s68, v88
	v_lshlrev_b32_e32 v70, 2, v70
	ds_read_b32 v70, v70
	v_cmp_lt_i64_e64 s[40:41], -1, v[64:65]
	v_cndmask_b32_e64 v69, v133, -1, s[40:41]
	v_ashrrev_i32_e32 v73, 31, v65
	v_not_b32_e32 v73, v73
	s_waitcnt lgkmcnt(0)
	v_add_u32_e32 v70, v70, v7
	v_lshlrev_b64 v[70:71], 3, v[70:71]
	v_xor_b32_e32 v65, v69, v65
	v_mov_b32_e32 v69, s77
	v_add_co_u32_e32 v70, vcc, s76, v70
	v_xor_b32_e32 v64, v73, v64
	v_addc_co_u32_e32 v71, vcc, v69, v71, vcc
	global_store_dwordx2 v[70:71], v[64:65], off
	s_or_b64 exec, exec, s[42:43]
	v_cmp_lt_u32_e64 s[40:41], v6, v183
	s_and_saveexec_b64 s[44:45], s[40:41]
	s_cbranch_execnz .LBB1222_1063
.LBB1222_1078:                          ;   in Loop: Header=BB1222_982 Depth=2
	s_or_b64 exec, exec, s[44:45]
	v_cmp_lt_u32_e64 s[42:43], v8, v183
	s_and_saveexec_b64 s[46:47], s[42:43]
	s_cbranch_execz .LBB1222_1064
.LBB1222_1079:                          ;   in Loop: Header=BB1222_982 Depth=2
	ds_read_b64 v[64:65], v104 offset:6144
	v_mov_b32_e32 v71, v4
	s_waitcnt lgkmcnt(0)
	v_cmp_ne_u64_e32 vcc, s[78:79], v[64:65]
	v_cndmask_b32_e32 v89, v133, v65, vcc
	v_cndmask_b32_e32 v88, 0, v64, vcc
	v_lshrrev_b64 v[88:89], s84, v[88:89]
	v_and_b32_e32 v70, s68, v88
	v_lshlrev_b32_e32 v70, 2, v70
	ds_read_b32 v70, v70
	v_cmp_lt_i64_e64 s[44:45], -1, v[64:65]
	v_cndmask_b32_e64 v69, v133, -1, s[44:45]
	v_ashrrev_i32_e32 v73, 31, v65
	v_not_b32_e32 v73, v73
	s_waitcnt lgkmcnt(0)
	v_add_u32_e32 v70, v70, v8
	v_lshlrev_b64 v[70:71], 3, v[70:71]
	v_xor_b32_e32 v65, v69, v65
	v_mov_b32_e32 v69, s77
	v_add_co_u32_e32 v70, vcc, s76, v70
	v_xor_b32_e32 v64, v73, v64
	v_addc_co_u32_e32 v71, vcc, v69, v71, vcc
	global_store_dwordx2 v[70:71], v[64:65], off
	s_or_b64 exec, exec, s[46:47]
	v_cmp_lt_u32_e64 s[44:45], v10, v183
	s_and_saveexec_b64 s[48:49], s[44:45]
	s_cbranch_execnz .LBB1222_1065
.LBB1222_1080:                          ;   in Loop: Header=BB1222_982 Depth=2
	s_or_b64 exec, exec, s[48:49]
	v_cmp_lt_u32_e64 s[46:47], v12, v183
	s_and_saveexec_b64 s[50:51], s[46:47]
	s_cbranch_execz .LBB1222_1066
.LBB1222_1081:                          ;   in Loop: Header=BB1222_982 Depth=2
	ds_read_b64 v[64:65], v104 offset:10240
	v_mov_b32_e32 v71, v4
	s_waitcnt lgkmcnt(0)
	v_cmp_ne_u64_e32 vcc, s[78:79], v[64:65]
	v_cndmask_b32_e32 v89, v133, v65, vcc
	v_cndmask_b32_e32 v88, 0, v64, vcc
	v_lshrrev_b64 v[88:89], s84, v[88:89]
	v_and_b32_e32 v70, s68, v88
	v_lshlrev_b32_e32 v70, 2, v70
	ds_read_b32 v70, v70
	v_cmp_lt_i64_e64 s[48:49], -1, v[64:65]
	v_cndmask_b32_e64 v69, v133, -1, s[48:49]
	v_ashrrev_i32_e32 v73, 31, v65
	v_not_b32_e32 v73, v73
	s_waitcnt lgkmcnt(0)
	v_add_u32_e32 v70, v70, v12
	v_lshlrev_b64 v[70:71], 3, v[70:71]
	v_xor_b32_e32 v65, v69, v65
	v_mov_b32_e32 v69, s77
	v_add_co_u32_e32 v70, vcc, s76, v70
	v_xor_b32_e32 v64, v73, v64
	v_addc_co_u32_e32 v71, vcc, v69, v71, vcc
	global_store_dwordx2 v[70:71], v[64:65], off
	s_or_b64 exec, exec, s[50:51]
	v_cmp_lt_u32_e64 s[48:49], v14, v183
	s_and_saveexec_b64 s[52:53], s[48:49]
	s_cbranch_execnz .LBB1222_1067
.LBB1222_1082:                          ;   in Loop: Header=BB1222_982 Depth=2
	s_or_b64 exec, exec, s[52:53]
	v_cmp_lt_u32_e64 s[50:51], v16, v183
	s_and_saveexec_b64 s[54:55], s[50:51]
	s_cbranch_execz .LBB1222_1068
.LBB1222_1083:                          ;   in Loop: Header=BB1222_982 Depth=2
	ds_read_b64 v[64:65], v104 offset:14336
	v_mov_b32_e32 v71, v4
	s_waitcnt lgkmcnt(0)
	v_cmp_ne_u64_e32 vcc, s[78:79], v[64:65]
	v_cndmask_b32_e32 v89, v133, v65, vcc
	v_cndmask_b32_e32 v88, 0, v64, vcc
	v_lshrrev_b64 v[88:89], s84, v[88:89]
	v_and_b32_e32 v70, s68, v88
	v_lshlrev_b32_e32 v70, 2, v70
	ds_read_b32 v70, v70
	v_cmp_lt_i64_e64 s[52:53], -1, v[64:65]
	v_cndmask_b32_e64 v69, v133, -1, s[52:53]
	v_ashrrev_i32_e32 v73, 31, v65
	v_not_b32_e32 v73, v73
	s_waitcnt lgkmcnt(0)
	v_add_u32_e32 v70, v70, v16
	v_lshlrev_b64 v[70:71], 3, v[70:71]
	v_xor_b32_e32 v65, v69, v65
	v_mov_b32_e32 v69, s77
	v_add_co_u32_e32 v70, vcc, s76, v70
	v_xor_b32_e32 v64, v73, v64
	v_addc_co_u32_e32 v71, vcc, v69, v71, vcc
	global_store_dwordx2 v[70:71], v[64:65], off
	s_or_b64 exec, exec, s[54:55]
	v_cmp_lt_u32_e64 s[52:53], v18, v183
	s_and_saveexec_b64 s[56:57], s[52:53]
	s_cbranch_execnz .LBB1222_1069
.LBB1222_1084:                          ;   in Loop: Header=BB1222_982 Depth=2
	s_or_b64 exec, exec, s[56:57]
	v_cmp_lt_u32_e64 s[54:55], v20, v183
	s_and_saveexec_b64 s[58:59], s[54:55]
	s_cbranch_execz .LBB1222_1070
.LBB1222_1085:                          ;   in Loop: Header=BB1222_982 Depth=2
	ds_read_b64 v[64:65], v104 offset:18432
	v_mov_b32_e32 v71, v4
	s_waitcnt lgkmcnt(0)
	v_cmp_ne_u64_e32 vcc, s[78:79], v[64:65]
	v_cndmask_b32_e32 v89, v133, v65, vcc
	v_cndmask_b32_e32 v88, 0, v64, vcc
	v_lshrrev_b64 v[88:89], s84, v[88:89]
	v_and_b32_e32 v70, s68, v88
	v_lshlrev_b32_e32 v70, 2, v70
	ds_read_b32 v70, v70
	v_cmp_lt_i64_e64 s[56:57], -1, v[64:65]
	v_cndmask_b32_e64 v69, v133, -1, s[56:57]
	v_ashrrev_i32_e32 v73, 31, v65
	v_not_b32_e32 v73, v73
	s_waitcnt lgkmcnt(0)
	v_add_u32_e32 v70, v70, v20
	v_lshlrev_b64 v[70:71], 3, v[70:71]
	v_xor_b32_e32 v65, v69, v65
	v_mov_b32_e32 v69, s77
	v_add_co_u32_e32 v70, vcc, s76, v70
	v_xor_b32_e32 v64, v73, v64
	v_addc_co_u32_e32 v71, vcc, v69, v71, vcc
	global_store_dwordx2 v[70:71], v[64:65], off
	s_or_b64 exec, exec, s[58:59]
	v_cmp_lt_u32_e64 s[56:57], v22, v183
	s_and_saveexec_b64 s[60:61], s[56:57]
	s_cbranch_execnz .LBB1222_1071
.LBB1222_1086:                          ;   in Loop: Header=BB1222_982 Depth=2
	s_or_b64 exec, exec, s[60:61]
	v_cmp_lt_u32_e64 s[58:59], v24, v183
	s_and_saveexec_b64 s[62:63], s[58:59]
	s_cbranch_execz .LBB1222_1072
.LBB1222_1087:                          ;   in Loop: Header=BB1222_982 Depth=2
	ds_read_b64 v[64:65], v104 offset:22528
	v_mov_b32_e32 v71, v4
	s_waitcnt lgkmcnt(0)
	v_cmp_ne_u64_e32 vcc, s[78:79], v[64:65]
	v_cndmask_b32_e32 v89, v133, v65, vcc
	v_cndmask_b32_e32 v88, 0, v64, vcc
	v_lshrrev_b64 v[88:89], s84, v[88:89]
	v_and_b32_e32 v70, s68, v88
	v_lshlrev_b32_e32 v70, 2, v70
	ds_read_b32 v70, v70
	v_cmp_lt_i64_e64 s[60:61], -1, v[64:65]
	v_cndmask_b32_e64 v69, v133, -1, s[60:61]
	v_ashrrev_i32_e32 v73, 31, v65
	v_not_b32_e32 v73, v73
	s_waitcnt lgkmcnt(0)
	v_add_u32_e32 v70, v70, v24
	v_lshlrev_b64 v[70:71], 3, v[70:71]
	v_xor_b32_e32 v65, v69, v65
	v_mov_b32_e32 v69, s77
	v_add_co_u32_e32 v70, vcc, s76, v70
	v_xor_b32_e32 v64, v73, v64
	v_addc_co_u32_e32 v71, vcc, v69, v71, vcc
	global_store_dwordx2 v[70:71], v[64:65], off
	s_or_b64 exec, exec, s[62:63]
	v_cmp_lt_u32_e64 s[60:61], v26, v183
	s_and_saveexec_b64 s[64:65], s[60:61]
	s_cbranch_execnz .LBB1222_1073
.LBB1222_1088:                          ;   in Loop: Header=BB1222_982 Depth=2
	s_or_b64 exec, exec, s[64:65]
	v_cmp_lt_u32_e64 s[62:63], v28, v183
	s_and_saveexec_b64 s[66:67], s[62:63]
	s_cbranch_execz .LBB1222_1074
.LBB1222_1089:                          ;   in Loop: Header=BB1222_982 Depth=2
	ds_read_b64 v[64:65], v104 offset:26624
	v_mov_b32_e32 v71, v4
	s_waitcnt lgkmcnt(0)
	v_cmp_ne_u64_e32 vcc, s[78:79], v[64:65]
	v_cndmask_b32_e32 v89, v133, v65, vcc
	v_cndmask_b32_e32 v88, 0, v64, vcc
	v_lshrrev_b64 v[88:89], s84, v[88:89]
	v_and_b32_e32 v70, s68, v88
	v_lshlrev_b32_e32 v70, 2, v70
	ds_read_b32 v70, v70
	v_cmp_lt_i64_e64 s[64:65], -1, v[64:65]
	v_cndmask_b32_e64 v69, v133, -1, s[64:65]
	v_ashrrev_i32_e32 v73, 31, v65
	v_not_b32_e32 v73, v73
	s_waitcnt lgkmcnt(0)
	v_add_u32_e32 v70, v70, v28
	v_lshlrev_b64 v[70:71], 3, v[70:71]
	v_xor_b32_e32 v65, v69, v65
	v_mov_b32_e32 v69, s77
	v_add_co_u32_e32 v70, vcc, s76, v70
	v_xor_b32_e32 v64, v73, v64
	v_addc_co_u32_e32 v71, vcc, v69, v71, vcc
	global_store_dwordx2 v[70:71], v[64:65], off
	s_or_b64 exec, exec, s[66:67]
	v_cmp_lt_u32_e64 s[64:65], v30, v183
	s_and_saveexec_b64 s[92:93], s[64:65]
	s_cbranch_execnz .LBB1222_1075
.LBB1222_1090:                          ;   in Loop: Header=BB1222_982 Depth=2
	s_or_b64 exec, exec, s[92:93]
	v_cmp_lt_u32_e64 s[66:67], v32, v183
	s_and_saveexec_b64 s[92:93], s[66:67]
	s_cbranch_execz .LBB1222_1092
.LBB1222_1091:                          ;   in Loop: Header=BB1222_982 Depth=2
	ds_read_b64 v[64:65], v104 offset:30720
	s_waitcnt lgkmcnt(0)
	v_cmp_ne_u64_e32 vcc, s[78:79], v[64:65]
	v_cndmask_b32_e32 v71, v133, v65, vcc
	v_cndmask_b32_e32 v70, 0, v64, vcc
	v_lshrrev_b64 v[70:71], s84, v[70:71]
	v_and_b32_e32 v69, s68, v70
	v_lshlrev_b32_e32 v69, 2, v69
	ds_read_b32 v69, v69
	v_cmp_lt_i64_e32 vcc, -1, v[64:65]
	v_ashrrev_i32_e32 v71, 31, v65
	v_cndmask_b32_e64 v70, v133, -1, vcc
	v_not_b32_e32 v71, v71
	v_xor_b32_e32 v65, v70, v65
	v_xor_b32_e32 v64, v71, v64
	s_waitcnt lgkmcnt(0)
	v_add_u32_e32 v70, v69, v32
	v_mov_b32_e32 v71, v4
	v_lshlrev_b64 v[70:71], 3, v[70:71]
	v_add_co_u32_e32 v70, vcc, s76, v70
	v_mov_b32_e32 v69, s77
	v_addc_co_u32_e32 v71, vcc, v69, v71, vcc
	global_store_dwordx2 v[70:71], v[64:65], off
.LBB1222_1092:                          ;   in Loop: Header=BB1222_982 Depth=2
	s_or_b64 exec, exec, s[92:93]
	s_lshl_b64 s[92:93], s[88:89], 3
	v_mov_b32_e32 v65, s93
	v_add_co_u32_e32 v64, vcc, s92, v160
	v_addc_co_u32_e32 v65, vcc, v161, v65, vcc
	v_cmp_lt_u32_e32 vcc, v143, v183
	s_and_saveexec_b64 s[92:93], vcc
	s_xor_b64 s[92:93], exec, s[92:93]
	s_cbranch_execz .LBB1222_1124
; %bb.1093:                             ;   in Loop: Header=BB1222_982 Depth=2
	global_load_dwordx2 v[62:63], v[64:65], off
	s_or_b64 exec, exec, s[92:93]
	v_cmp_lt_u32_e32 vcc, v144, v183
	s_and_saveexec_b64 s[92:93], vcc
	s_cbranch_execnz .LBB1222_1125
.LBB1222_1094:                          ;   in Loop: Header=BB1222_982 Depth=2
	s_or_b64 exec, exec, s[92:93]
	v_cmp_lt_u32_e32 vcc, v145, v183
	s_and_saveexec_b64 s[92:93], vcc
	s_cbranch_execz .LBB1222_1126
.LBB1222_1095:                          ;   in Loop: Header=BB1222_982 Depth=2
	global_load_dwordx2 v[58:59], v[64:65], off offset:1024
	s_or_b64 exec, exec, s[92:93]
	v_cmp_lt_u32_e32 vcc, v146, v183
	s_and_saveexec_b64 s[92:93], vcc
	s_cbranch_execnz .LBB1222_1127
.LBB1222_1096:                          ;   in Loop: Header=BB1222_982 Depth=2
	s_or_b64 exec, exec, s[92:93]
	v_cmp_lt_u32_e32 vcc, v147, v183
	s_and_saveexec_b64 s[92:93], vcc
	s_cbranch_execz .LBB1222_1128
.LBB1222_1097:                          ;   in Loop: Header=BB1222_982 Depth=2
	global_load_dwordx2 v[50:51], v[64:65], off offset:2048
	s_or_b64 exec, exec, s[92:93]
	v_cmp_lt_u32_e32 vcc, v148, v183
	s_and_saveexec_b64 s[92:93], vcc
	s_cbranch_execnz .LBB1222_1129
.LBB1222_1098:                          ;   in Loop: Header=BB1222_982 Depth=2
	s_or_b64 exec, exec, s[92:93]
	v_cmp_lt_u32_e32 vcc, v149, v183
	s_and_saveexec_b64 s[92:93], vcc
	s_cbranch_execz .LBB1222_1130
.LBB1222_1099:                          ;   in Loop: Header=BB1222_982 Depth=2
	global_load_dwordx2 v[42:43], v[64:65], off offset:3072
	s_or_b64 exec, exec, s[92:93]
	v_cmp_lt_u32_e32 vcc, v150, v183
	s_and_saveexec_b64 s[92:93], vcc
	s_cbranch_execnz .LBB1222_1131
.LBB1222_1100:                          ;   in Loop: Header=BB1222_982 Depth=2
	s_or_b64 exec, exec, s[92:93]
	v_cmp_lt_u32_e32 vcc, v151, v183
	s_and_saveexec_b64 s[92:93], vcc
	s_cbranch_execz .LBB1222_1132
.LBB1222_1101:                          ;   in Loop: Header=BB1222_982 Depth=2
	v_add_co_u32_e32 v56, vcc, 0x1000, v64
	v_addc_co_u32_e32 v57, vcc, 0, v65, vcc
	global_load_dwordx2 v[56:57], v[56:57], off
	s_or_b64 exec, exec, s[92:93]
	v_cmp_lt_u32_e32 vcc, v152, v183
	s_and_saveexec_b64 s[92:93], vcc
	s_cbranch_execnz .LBB1222_1133
.LBB1222_1102:                          ;   in Loop: Header=BB1222_982 Depth=2
	s_or_b64 exec, exec, s[92:93]
	v_cmp_lt_u32_e32 vcc, v153, v183
	s_and_saveexec_b64 s[92:93], vcc
	s_cbranch_execz .LBB1222_1134
.LBB1222_1103:                          ;   in Loop: Header=BB1222_982 Depth=2
	v_add_co_u32_e32 v48, vcc, 0x1000, v64
	v_addc_co_u32_e32 v49, vcc, 0, v65, vcc
	global_load_dwordx2 v[48:49], v[48:49], off offset:1024
	s_or_b64 exec, exec, s[92:93]
	v_cmp_lt_u32_e32 vcc, v154, v183
	s_and_saveexec_b64 s[92:93], vcc
	s_cbranch_execnz .LBB1222_1135
.LBB1222_1104:                          ;   in Loop: Header=BB1222_982 Depth=2
	s_or_b64 exec, exec, s[92:93]
	v_cmp_lt_u32_e32 vcc, v155, v183
	s_and_saveexec_b64 s[92:93], vcc
	s_cbranch_execz .LBB1222_1136
.LBB1222_1105:                          ;   in Loop: Header=BB1222_982 Depth=2
	v_add_co_u32_e32 v40, vcc, 0x1000, v64
	v_addc_co_u32_e32 v41, vcc, 0, v65, vcc
	global_load_dwordx2 v[40:41], v[40:41], off offset:2048
	s_or_b64 exec, exec, s[92:93]
	v_cmp_lt_u32_e32 vcc, v156, v183
	s_and_saveexec_b64 s[92:93], vcc
	s_cbranch_execnz .LBB1222_1137
.LBB1222_1106:                          ;   in Loop: Header=BB1222_982 Depth=2
	s_or_b64 exec, exec, s[92:93]
	v_cmp_lt_u32_e32 vcc, v157, v183
	s_and_saveexec_b64 s[92:93], vcc
	s_cbranch_execz .LBB1222_1138
.LBB1222_1107:                          ;   in Loop: Header=BB1222_982 Depth=2
	v_add_co_u32_e32 v34, vcc, 0x1000, v64
	v_addc_co_u32_e32 v35, vcc, 0, v65, vcc
	global_load_dwordx2 v[34:35], v[34:35], off offset:3072
	s_or_b64 exec, exec, s[92:93]
	v_cmp_lt_u32_e32 vcc, v158, v183
	s_and_saveexec_b64 s[92:93], vcc
	s_cbranch_execnz .LBB1222_1139
.LBB1222_1108:                          ;   in Loop: Header=BB1222_982 Depth=2
	s_or_b64 exec, exec, s[92:93]
	s_and_saveexec_b64 s[92:93], s[36:37]
	s_cbranch_execz .LBB1222_1140
.LBB1222_1109:                          ;   in Loop: Header=BB1222_982 Depth=2
	ds_read_b64 v[64:65], v66 offset:1024
	s_waitcnt lgkmcnt(0)
	v_cmp_ne_u64_e32 vcc, s[78:79], v[64:65]
	v_cndmask_b32_e32 v65, v133, v65, vcc
	v_cndmask_b32_e32 v64, 0, v64, vcc
	v_lshrrev_b64 v[64:65], s84, v[64:65]
	v_and_b32_e32 v182, s68, v64
	s_or_b64 exec, exec, s[92:93]
	s_and_saveexec_b64 s[92:93], s[38:39]
	s_cbranch_execnz .LBB1222_1141
.LBB1222_1110:                          ;   in Loop: Header=BB1222_982 Depth=2
	s_or_b64 exec, exec, s[92:93]
	s_and_saveexec_b64 s[92:93], s[40:41]
	s_cbranch_execz .LBB1222_1142
.LBB1222_1111:                          ;   in Loop: Header=BB1222_982 Depth=2
	ds_read_b64 v[64:65], v104 offset:4096
	s_waitcnt lgkmcnt(0)
	v_cmp_ne_u64_e32 vcc, s[78:79], v[64:65]
	v_cndmask_b32_e32 v65, v133, v65, vcc
	v_cndmask_b32_e32 v64, 0, v64, vcc
	v_lshrrev_b64 v[64:65], s84, v[64:65]
	v_and_b32_e32 v180, s68, v64
	s_or_b64 exec, exec, s[92:93]
	s_and_saveexec_b64 s[92:93], s[42:43]
	s_cbranch_execnz .LBB1222_1143
.LBB1222_1112:                          ;   in Loop: Header=BB1222_982 Depth=2
	s_or_b64 exec, exec, s[92:93]
	s_and_saveexec_b64 s[92:93], s[44:45]
	s_cbranch_execz .LBB1222_1144
.LBB1222_1113:                          ;   in Loop: Header=BB1222_982 Depth=2
	ds_read_b64 v[64:65], v104 offset:8192
	s_waitcnt lgkmcnt(0)
	v_cmp_ne_u64_e32 vcc, s[78:79], v[64:65]
	v_cndmask_b32_e32 v65, v133, v65, vcc
	v_cndmask_b32_e32 v64, 0, v64, vcc
	v_lshrrev_b64 v[64:65], s84, v[64:65]
	v_and_b32_e32 v178, s68, v64
	s_or_b64 exec, exec, s[92:93]
	s_and_saveexec_b64 s[92:93], s[46:47]
	s_cbranch_execnz .LBB1222_1145
.LBB1222_1114:                          ;   in Loop: Header=BB1222_982 Depth=2
	s_or_b64 exec, exec, s[92:93]
	s_and_saveexec_b64 s[92:93], s[48:49]
	s_cbranch_execz .LBB1222_1146
.LBB1222_1115:                          ;   in Loop: Header=BB1222_982 Depth=2
	ds_read_b64 v[64:65], v104 offset:12288
	s_waitcnt lgkmcnt(0)
	v_cmp_ne_u64_e32 vcc, s[78:79], v[64:65]
	v_cndmask_b32_e32 v65, v133, v65, vcc
	v_cndmask_b32_e32 v64, 0, v64, vcc
	v_lshrrev_b64 v[64:65], s84, v[64:65]
	v_and_b32_e32 v175, s68, v64
	s_or_b64 exec, exec, s[92:93]
	s_and_saveexec_b64 s[92:93], s[50:51]
	s_cbranch_execnz .LBB1222_1147
.LBB1222_1116:                          ;   in Loop: Header=BB1222_982 Depth=2
	s_or_b64 exec, exec, s[92:93]
	s_and_saveexec_b64 s[92:93], s[52:53]
	s_cbranch_execz .LBB1222_1148
.LBB1222_1117:                          ;   in Loop: Header=BB1222_982 Depth=2
	ds_read_b64 v[64:65], v104 offset:16384
	s_waitcnt lgkmcnt(0)
	v_cmp_ne_u64_e32 vcc, s[78:79], v[64:65]
	v_cndmask_b32_e32 v65, v133, v65, vcc
	v_cndmask_b32_e32 v64, 0, v64, vcc
	v_lshrrev_b64 v[64:65], s84, v[64:65]
	v_and_b32_e32 v172, s68, v64
	s_or_b64 exec, exec, s[92:93]
	s_and_saveexec_b64 s[92:93], s[54:55]
	s_cbranch_execnz .LBB1222_1149
.LBB1222_1118:                          ;   in Loop: Header=BB1222_982 Depth=2
	s_or_b64 exec, exec, s[92:93]
	s_and_saveexec_b64 s[92:93], s[56:57]
	s_cbranch_execz .LBB1222_1150
.LBB1222_1119:                          ;   in Loop: Header=BB1222_982 Depth=2
	ds_read_b64 v[64:65], v104 offset:20480
	s_waitcnt lgkmcnt(0)
	v_cmp_ne_u64_e32 vcc, s[78:79], v[64:65]
	v_cndmask_b32_e32 v65, v133, v65, vcc
	v_cndmask_b32_e32 v64, 0, v64, vcc
	v_lshrrev_b64 v[64:65], s84, v[64:65]
	v_and_b32_e32 v169, s68, v64
	s_or_b64 exec, exec, s[92:93]
	s_and_saveexec_b64 s[92:93], s[58:59]
	s_cbranch_execnz .LBB1222_1151
.LBB1222_1120:                          ;   in Loop: Header=BB1222_982 Depth=2
	s_or_b64 exec, exec, s[92:93]
	s_and_saveexec_b64 s[92:93], s[60:61]
	s_cbranch_execz .LBB1222_1152
.LBB1222_1121:                          ;   in Loop: Header=BB1222_982 Depth=2
	ds_read_b64 v[64:65], v104 offset:24576
	s_waitcnt lgkmcnt(0)
	v_cmp_ne_u64_e32 vcc, s[78:79], v[64:65]
	v_cndmask_b32_e32 v65, v133, v65, vcc
	v_cndmask_b32_e32 v64, 0, v64, vcc
	v_lshrrev_b64 v[64:65], s84, v[64:65]
	v_and_b32_e32 v167, s68, v64
	s_or_b64 exec, exec, s[92:93]
	s_and_saveexec_b64 s[92:93], s[62:63]
	s_cbranch_execnz .LBB1222_1153
.LBB1222_1122:                          ;   in Loop: Header=BB1222_982 Depth=2
	s_or_b64 exec, exec, s[92:93]
	s_and_saveexec_b64 s[92:93], s[64:65]
	s_cbranch_execz .LBB1222_1154
.LBB1222_1123:                          ;   in Loop: Header=BB1222_982 Depth=2
	ds_read_b64 v[64:65], v104 offset:28672
	s_waitcnt lgkmcnt(0)
	v_cmp_ne_u64_e32 vcc, s[78:79], v[64:65]
	v_cndmask_b32_e32 v65, v133, v65, vcc
	v_cndmask_b32_e32 v64, 0, v64, vcc
	v_lshrrev_b64 v[64:65], s84, v[64:65]
	v_and_b32_e32 v165, s68, v64
	s_or_b64 exec, exec, s[92:93]
	s_and_saveexec_b64 s[92:93], s[66:67]
	s_cbranch_execnz .LBB1222_1155
	s_branch .LBB1222_1156
.LBB1222_1124:                          ;   in Loop: Header=BB1222_982 Depth=2
	s_or_b64 exec, exec, s[92:93]
	v_cmp_lt_u32_e32 vcc, v144, v183
	s_and_saveexec_b64 s[92:93], vcc
	s_cbranch_execz .LBB1222_1094
.LBB1222_1125:                          ;   in Loop: Header=BB1222_982 Depth=2
	global_load_dwordx2 v[60:61], v[64:65], off offset:512
	s_or_b64 exec, exec, s[92:93]
	v_cmp_lt_u32_e32 vcc, v145, v183
	s_and_saveexec_b64 s[92:93], vcc
	s_cbranch_execnz .LBB1222_1095
.LBB1222_1126:                          ;   in Loop: Header=BB1222_982 Depth=2
	s_or_b64 exec, exec, s[92:93]
	v_cmp_lt_u32_e32 vcc, v146, v183
	s_and_saveexec_b64 s[92:93], vcc
	s_cbranch_execz .LBB1222_1096
.LBB1222_1127:                          ;   in Loop: Header=BB1222_982 Depth=2
	global_load_dwordx2 v[54:55], v[64:65], off offset:1536
	s_or_b64 exec, exec, s[92:93]
	v_cmp_lt_u32_e32 vcc, v147, v183
	s_and_saveexec_b64 s[92:93], vcc
	s_cbranch_execnz .LBB1222_1097
.LBB1222_1128:                          ;   in Loop: Header=BB1222_982 Depth=2
	s_or_b64 exec, exec, s[92:93]
	v_cmp_lt_u32_e32 vcc, v148, v183
	s_and_saveexec_b64 s[92:93], vcc
	s_cbranch_execz .LBB1222_1098
.LBB1222_1129:                          ;   in Loop: Header=BB1222_982 Depth=2
	global_load_dwordx2 v[46:47], v[64:65], off offset:2560
	s_or_b64 exec, exec, s[92:93]
	v_cmp_lt_u32_e32 vcc, v149, v183
	s_and_saveexec_b64 s[92:93], vcc
	s_cbranch_execnz .LBB1222_1099
.LBB1222_1130:                          ;   in Loop: Header=BB1222_982 Depth=2
	s_or_b64 exec, exec, s[92:93]
	v_cmp_lt_u32_e32 vcc, v150, v183
	s_and_saveexec_b64 s[92:93], vcc
	s_cbranch_execz .LBB1222_1100
.LBB1222_1131:                          ;   in Loop: Header=BB1222_982 Depth=2
	global_load_dwordx2 v[38:39], v[64:65], off offset:3584
	s_or_b64 exec, exec, s[92:93]
	v_cmp_lt_u32_e32 vcc, v151, v183
	s_and_saveexec_b64 s[92:93], vcc
	s_cbranch_execnz .LBB1222_1101
.LBB1222_1132:                          ;   in Loop: Header=BB1222_982 Depth=2
	s_or_b64 exec, exec, s[92:93]
	v_cmp_lt_u32_e32 vcc, v152, v183
	s_and_saveexec_b64 s[92:93], vcc
	s_cbranch_execz .LBB1222_1102
.LBB1222_1133:                          ;   in Loop: Header=BB1222_982 Depth=2
	v_add_co_u32_e32 v52, vcc, 0x1000, v64
	v_addc_co_u32_e32 v53, vcc, 0, v65, vcc
	global_load_dwordx2 v[52:53], v[52:53], off offset:512
	s_or_b64 exec, exec, s[92:93]
	v_cmp_lt_u32_e32 vcc, v153, v183
	s_and_saveexec_b64 s[92:93], vcc
	s_cbranch_execnz .LBB1222_1103
.LBB1222_1134:                          ;   in Loop: Header=BB1222_982 Depth=2
	s_or_b64 exec, exec, s[92:93]
	v_cmp_lt_u32_e32 vcc, v154, v183
	s_and_saveexec_b64 s[92:93], vcc
	s_cbranch_execz .LBB1222_1104
.LBB1222_1135:                          ;   in Loop: Header=BB1222_982 Depth=2
	v_add_co_u32_e32 v44, vcc, 0x1000, v64
	v_addc_co_u32_e32 v45, vcc, 0, v65, vcc
	global_load_dwordx2 v[44:45], v[44:45], off offset:1536
	s_or_b64 exec, exec, s[92:93]
	v_cmp_lt_u32_e32 vcc, v155, v183
	s_and_saveexec_b64 s[92:93], vcc
	s_cbranch_execnz .LBB1222_1105
.LBB1222_1136:                          ;   in Loop: Header=BB1222_982 Depth=2
	s_or_b64 exec, exec, s[92:93]
	v_cmp_lt_u32_e32 vcc, v156, v183
	s_and_saveexec_b64 s[92:93], vcc
	s_cbranch_execz .LBB1222_1106
.LBB1222_1137:                          ;   in Loop: Header=BB1222_982 Depth=2
	v_add_co_u32_e32 v36, vcc, 0x1000, v64
	v_addc_co_u32_e32 v37, vcc, 0, v65, vcc
	global_load_dwordx2 v[36:37], v[36:37], off offset:2560
	s_or_b64 exec, exec, s[92:93]
	v_cmp_lt_u32_e32 vcc, v157, v183
	s_and_saveexec_b64 s[92:93], vcc
	s_cbranch_execnz .LBB1222_1107
.LBB1222_1138:                          ;   in Loop: Header=BB1222_982 Depth=2
	s_or_b64 exec, exec, s[92:93]
	v_cmp_lt_u32_e32 vcc, v158, v183
	s_and_saveexec_b64 s[92:93], vcc
	s_cbranch_execz .LBB1222_1108
.LBB1222_1139:                          ;   in Loop: Header=BB1222_982 Depth=2
	v_add_co_u32_e32 v0, vcc, 0x1000, v64
	v_addc_co_u32_e32 v1, vcc, 0, v65, vcc
	global_load_dwordx2 v[0:1], v[0:1], off offset:3584
	s_or_b64 exec, exec, s[92:93]
	s_and_saveexec_b64 s[92:93], s[36:37]
	s_cbranch_execnz .LBB1222_1109
.LBB1222_1140:                          ;   in Loop: Header=BB1222_982 Depth=2
	s_or_b64 exec, exec, s[92:93]
	s_and_saveexec_b64 s[92:93], s[38:39]
	s_cbranch_execz .LBB1222_1110
.LBB1222_1141:                          ;   in Loop: Header=BB1222_982 Depth=2
	ds_read_b64 v[64:65], v104 offset:2048
	s_waitcnt lgkmcnt(0)
	v_cmp_ne_u64_e32 vcc, s[78:79], v[64:65]
	v_cndmask_b32_e32 v65, v133, v65, vcc
	v_cndmask_b32_e32 v64, 0, v64, vcc
	v_lshrrev_b64 v[64:65], s84, v[64:65]
	v_and_b32_e32 v181, s68, v64
	s_or_b64 exec, exec, s[92:93]
	s_and_saveexec_b64 s[92:93], s[40:41]
	s_cbranch_execnz .LBB1222_1111
.LBB1222_1142:                          ;   in Loop: Header=BB1222_982 Depth=2
	s_or_b64 exec, exec, s[92:93]
	s_and_saveexec_b64 s[92:93], s[42:43]
	s_cbranch_execz .LBB1222_1112
.LBB1222_1143:                          ;   in Loop: Header=BB1222_982 Depth=2
	ds_read_b64 v[64:65], v104 offset:6144
	s_waitcnt lgkmcnt(0)
	v_cmp_ne_u64_e32 vcc, s[78:79], v[64:65]
	v_cndmask_b32_e32 v65, v133, v65, vcc
	v_cndmask_b32_e32 v64, 0, v64, vcc
	v_lshrrev_b64 v[64:65], s84, v[64:65]
	v_and_b32_e32 v179, s68, v64
	s_or_b64 exec, exec, s[92:93]
	s_and_saveexec_b64 s[92:93], s[44:45]
	s_cbranch_execnz .LBB1222_1113
.LBB1222_1144:                          ;   in Loop: Header=BB1222_982 Depth=2
	s_or_b64 exec, exec, s[92:93]
	s_and_saveexec_b64 s[92:93], s[46:47]
	s_cbranch_execz .LBB1222_1114
.LBB1222_1145:                          ;   in Loop: Header=BB1222_982 Depth=2
	ds_read_b64 v[64:65], v104 offset:10240
	s_waitcnt lgkmcnt(0)
	v_cmp_ne_u64_e32 vcc, s[78:79], v[64:65]
	v_cndmask_b32_e32 v65, v133, v65, vcc
	v_cndmask_b32_e32 v64, 0, v64, vcc
	v_lshrrev_b64 v[64:65], s84, v[64:65]
	v_and_b32_e32 v176, s68, v64
	s_or_b64 exec, exec, s[92:93]
	s_and_saveexec_b64 s[92:93], s[48:49]
	s_cbranch_execnz .LBB1222_1115
.LBB1222_1146:                          ;   in Loop: Header=BB1222_982 Depth=2
	s_or_b64 exec, exec, s[92:93]
	s_and_saveexec_b64 s[92:93], s[50:51]
	s_cbranch_execz .LBB1222_1116
.LBB1222_1147:                          ;   in Loop: Header=BB1222_982 Depth=2
	ds_read_b64 v[64:65], v104 offset:14336
	s_waitcnt lgkmcnt(0)
	v_cmp_ne_u64_e32 vcc, s[78:79], v[64:65]
	v_cndmask_b32_e32 v65, v133, v65, vcc
	v_cndmask_b32_e32 v64, 0, v64, vcc
	v_lshrrev_b64 v[64:65], s84, v[64:65]
	v_and_b32_e32 v174, s68, v64
	s_or_b64 exec, exec, s[92:93]
	s_and_saveexec_b64 s[92:93], s[52:53]
	s_cbranch_execnz .LBB1222_1117
.LBB1222_1148:                          ;   in Loop: Header=BB1222_982 Depth=2
	s_or_b64 exec, exec, s[92:93]
	s_and_saveexec_b64 s[92:93], s[54:55]
	s_cbranch_execz .LBB1222_1118
.LBB1222_1149:                          ;   in Loop: Header=BB1222_982 Depth=2
	ds_read_b64 v[64:65], v104 offset:18432
	s_waitcnt lgkmcnt(0)
	v_cmp_ne_u64_e32 vcc, s[78:79], v[64:65]
	v_cndmask_b32_e32 v65, v133, v65, vcc
	v_cndmask_b32_e32 v64, 0, v64, vcc
	v_lshrrev_b64 v[64:65], s84, v[64:65]
	v_and_b32_e32 v171, s68, v64
	s_or_b64 exec, exec, s[92:93]
	s_and_saveexec_b64 s[92:93], s[56:57]
	s_cbranch_execnz .LBB1222_1119
.LBB1222_1150:                          ;   in Loop: Header=BB1222_982 Depth=2
	s_or_b64 exec, exec, s[92:93]
	s_and_saveexec_b64 s[92:93], s[58:59]
	s_cbranch_execz .LBB1222_1120
.LBB1222_1151:                          ;   in Loop: Header=BB1222_982 Depth=2
	ds_read_b64 v[64:65], v104 offset:22528
	s_waitcnt lgkmcnt(0)
	v_cmp_ne_u64_e32 vcc, s[78:79], v[64:65]
	v_cndmask_b32_e32 v65, v133, v65, vcc
	v_cndmask_b32_e32 v64, 0, v64, vcc
	v_lshrrev_b64 v[64:65], s84, v[64:65]
	v_and_b32_e32 v168, s68, v64
	s_or_b64 exec, exec, s[92:93]
	s_and_saveexec_b64 s[92:93], s[60:61]
	s_cbranch_execnz .LBB1222_1121
.LBB1222_1152:                          ;   in Loop: Header=BB1222_982 Depth=2
	s_or_b64 exec, exec, s[92:93]
	s_and_saveexec_b64 s[92:93], s[62:63]
	s_cbranch_execz .LBB1222_1122
.LBB1222_1153:                          ;   in Loop: Header=BB1222_982 Depth=2
	ds_read_b64 v[64:65], v104 offset:26624
	s_waitcnt lgkmcnt(0)
	v_cmp_ne_u64_e32 vcc, s[78:79], v[64:65]
	v_cndmask_b32_e32 v65, v133, v65, vcc
	v_cndmask_b32_e32 v64, 0, v64, vcc
	v_lshrrev_b64 v[64:65], s84, v[64:65]
	v_and_b32_e32 v166, s68, v64
	s_or_b64 exec, exec, s[92:93]
	s_and_saveexec_b64 s[92:93], s[64:65]
	s_cbranch_execnz .LBB1222_1123
.LBB1222_1154:                          ;   in Loop: Header=BB1222_982 Depth=2
	s_or_b64 exec, exec, s[92:93]
	s_and_saveexec_b64 s[92:93], s[66:67]
	s_cbranch_execz .LBB1222_1156
.LBB1222_1155:                          ;   in Loop: Header=BB1222_982 Depth=2
	ds_read_b64 v[64:65], v104 offset:30720
	s_waitcnt lgkmcnt(0)
	v_cmp_ne_u64_e32 vcc, s[78:79], v[64:65]
	v_cndmask_b32_e32 v65, v133, v65, vcc
	v_cndmask_b32_e32 v64, 0, v64, vcc
	v_lshrrev_b64 v[64:65], s84, v[64:65]
	v_and_b32_e32 v164, s68, v64
.LBB1222_1156:                          ;   in Loop: Header=BB1222_982 Depth=2
	s_or_b64 exec, exec, s[92:93]
	v_add_u32_e32 v64, 0x400, v96
	v_add_u32_e32 v65, 0x400, v97
	v_add_u32_e32 v67, 0x400, v67
	v_add_u32_e32 v69, 0x400, v74
	v_add_u32_e32 v70, 0x400, v75
	v_add_u32_e32 v71, 0x400, v78
	v_add_u32_e32 v73, 0x400, v79
	v_add_u32_e32 v74, 0x400, v82
	v_add_u32_e32 v75, 0x400, v83
	v_add_u32_e32 v77, 0x400, v86
	v_add_u32_e32 v78, 0x400, v87
	v_add_u32_e32 v79, 0x400, v84
	v_add_u32_e32 v80, 0x400, v80
	v_add_u32_e32 v76, 0x400, v76
	v_add_u32_e32 v72, 0x400, v72
	v_add_u32_e32 v68, 0x400, v68
	s_barrier
	s_waitcnt vmcnt(0)
	ds_write_b64 v64, v[62:63]
	ds_write_b64 v65, v[60:61]
	;; [unrolled: 1-line block ×16, first 2 shown]
	s_waitcnt lgkmcnt(0)
	s_barrier
	s_and_saveexec_b64 s[92:93], s[36:37]
	s_cbranch_execz .LBB1222_1172
; %bb.1157:                             ;   in Loop: Header=BB1222_982 Depth=2
	v_lshlrev_b32_e32 v64, 2, v182
	ds_read_b32 v68, v64
	ds_read_b64 v[64:65], v66 offset:1024
	v_mov_b32_e32 v67, v4
	v_mov_b32_e32 v69, s83
	s_waitcnt lgkmcnt(1)
	v_add_u32_e32 v66, v68, v2
	v_lshlrev_b64 v[66:67], 3, v[66:67]
	v_add_co_u32_e32 v66, vcc, s82, v66
	v_addc_co_u32_e32 v67, vcc, v69, v67, vcc
	s_waitcnt lgkmcnt(0)
	global_store_dwordx2 v[66:67], v[64:65], off
	s_or_b64 exec, exec, s[92:93]
	s_and_saveexec_b64 s[36:37], s[38:39]
	s_cbranch_execnz .LBB1222_1173
.LBB1222_1158:                          ;   in Loop: Header=BB1222_982 Depth=2
	s_or_b64 exec, exec, s[36:37]
	s_and_saveexec_b64 s[36:37], s[40:41]
	s_cbranch_execz .LBB1222_1174
.LBB1222_1159:                          ;   in Loop: Header=BB1222_982 Depth=2
	v_lshlrev_b32_e32 v64, 2, v180
	ds_read_b32 v66, v64
	ds_read_b64 v[64:65], v104 offset:4096
	v_mov_b32_e32 v67, v4
	v_mov_b32_e32 v68, s83
	s_waitcnt lgkmcnt(1)
	v_add_u32_e32 v66, v66, v6
	v_lshlrev_b64 v[66:67], 3, v[66:67]
	v_add_co_u32_e32 v66, vcc, s82, v66
	v_addc_co_u32_e32 v67, vcc, v68, v67, vcc
	s_waitcnt lgkmcnt(0)
	global_store_dwordx2 v[66:67], v[64:65], off
	s_or_b64 exec, exec, s[36:37]
	s_and_saveexec_b64 s[36:37], s[42:43]
	s_cbranch_execnz .LBB1222_1175
.LBB1222_1160:                          ;   in Loop: Header=BB1222_982 Depth=2
	s_or_b64 exec, exec, s[36:37]
	s_and_saveexec_b64 s[36:37], s[44:45]
	s_cbranch_execz .LBB1222_1176
.LBB1222_1161:                          ;   in Loop: Header=BB1222_982 Depth=2
	v_lshlrev_b32_e32 v64, 2, v178
	ds_read_b32 v66, v64
	ds_read_b64 v[64:65], v104 offset:8192
	v_mov_b32_e32 v67, v4
	v_mov_b32_e32 v68, s83
	s_waitcnt lgkmcnt(1)
	v_add_u32_e32 v66, v66, v10
	v_lshlrev_b64 v[66:67], 3, v[66:67]
	v_add_co_u32_e32 v66, vcc, s82, v66
	v_addc_co_u32_e32 v67, vcc, v68, v67, vcc
	s_waitcnt lgkmcnt(0)
	global_store_dwordx2 v[66:67], v[64:65], off
	s_or_b64 exec, exec, s[36:37]
	s_and_saveexec_b64 s[36:37], s[46:47]
	s_cbranch_execnz .LBB1222_1177
.LBB1222_1162:                          ;   in Loop: Header=BB1222_982 Depth=2
	s_or_b64 exec, exec, s[36:37]
	s_and_saveexec_b64 s[36:37], s[48:49]
	s_cbranch_execz .LBB1222_1178
.LBB1222_1163:                          ;   in Loop: Header=BB1222_982 Depth=2
	v_lshlrev_b32_e32 v64, 2, v175
	ds_read_b32 v66, v64
	ds_read_b64 v[64:65], v104 offset:12288
	v_mov_b32_e32 v67, v4
	v_mov_b32_e32 v68, s83
	s_waitcnt lgkmcnt(1)
	v_add_u32_e32 v66, v66, v14
	v_lshlrev_b64 v[66:67], 3, v[66:67]
	v_add_co_u32_e32 v66, vcc, s82, v66
	v_addc_co_u32_e32 v67, vcc, v68, v67, vcc
	s_waitcnt lgkmcnt(0)
	global_store_dwordx2 v[66:67], v[64:65], off
	s_or_b64 exec, exec, s[36:37]
	s_and_saveexec_b64 s[36:37], s[50:51]
	s_cbranch_execnz .LBB1222_1179
.LBB1222_1164:                          ;   in Loop: Header=BB1222_982 Depth=2
	s_or_b64 exec, exec, s[36:37]
	s_and_saveexec_b64 s[36:37], s[52:53]
	s_cbranch_execz .LBB1222_1180
.LBB1222_1165:                          ;   in Loop: Header=BB1222_982 Depth=2
	v_lshlrev_b32_e32 v64, 2, v172
	ds_read_b32 v66, v64
	ds_read_b64 v[64:65], v104 offset:16384
	v_mov_b32_e32 v67, v4
	v_mov_b32_e32 v68, s83
	s_waitcnt lgkmcnt(1)
	v_add_u32_e32 v66, v66, v18
	v_lshlrev_b64 v[66:67], 3, v[66:67]
	v_add_co_u32_e32 v66, vcc, s82, v66
	v_addc_co_u32_e32 v67, vcc, v68, v67, vcc
	s_waitcnt lgkmcnt(0)
	global_store_dwordx2 v[66:67], v[64:65], off
	s_or_b64 exec, exec, s[36:37]
	s_and_saveexec_b64 s[36:37], s[54:55]
	s_cbranch_execnz .LBB1222_1181
.LBB1222_1166:                          ;   in Loop: Header=BB1222_982 Depth=2
	s_or_b64 exec, exec, s[36:37]
	s_and_saveexec_b64 s[36:37], s[56:57]
	s_cbranch_execz .LBB1222_1182
.LBB1222_1167:                          ;   in Loop: Header=BB1222_982 Depth=2
	v_lshlrev_b32_e32 v64, 2, v169
	ds_read_b32 v66, v64
	ds_read_b64 v[64:65], v104 offset:20480
	v_mov_b32_e32 v67, v4
	v_mov_b32_e32 v68, s83
	s_waitcnt lgkmcnt(1)
	v_add_u32_e32 v66, v66, v22
	v_lshlrev_b64 v[66:67], 3, v[66:67]
	v_add_co_u32_e32 v66, vcc, s82, v66
	v_addc_co_u32_e32 v67, vcc, v68, v67, vcc
	s_waitcnt lgkmcnt(0)
	global_store_dwordx2 v[66:67], v[64:65], off
	s_or_b64 exec, exec, s[36:37]
	s_and_saveexec_b64 s[36:37], s[58:59]
	s_cbranch_execnz .LBB1222_1183
.LBB1222_1168:                          ;   in Loop: Header=BB1222_982 Depth=2
	s_or_b64 exec, exec, s[36:37]
	s_and_saveexec_b64 s[36:37], s[60:61]
	s_cbranch_execz .LBB1222_1184
.LBB1222_1169:                          ;   in Loop: Header=BB1222_982 Depth=2
	v_lshlrev_b32_e32 v64, 2, v167
	ds_read_b32 v66, v64
	ds_read_b64 v[64:65], v104 offset:24576
	v_mov_b32_e32 v67, v4
	v_mov_b32_e32 v68, s83
	s_waitcnt lgkmcnt(1)
	v_add_u32_e32 v66, v66, v26
	v_lshlrev_b64 v[66:67], 3, v[66:67]
	v_add_co_u32_e32 v66, vcc, s82, v66
	v_addc_co_u32_e32 v67, vcc, v68, v67, vcc
	s_waitcnt lgkmcnt(0)
	global_store_dwordx2 v[66:67], v[64:65], off
	s_or_b64 exec, exec, s[36:37]
	s_and_saveexec_b64 s[36:37], s[62:63]
	s_cbranch_execnz .LBB1222_1185
.LBB1222_1170:                          ;   in Loop: Header=BB1222_982 Depth=2
	s_or_b64 exec, exec, s[36:37]
	s_and_saveexec_b64 s[36:37], s[64:65]
	s_cbranch_execz .LBB1222_1186
.LBB1222_1171:                          ;   in Loop: Header=BB1222_982 Depth=2
	v_lshlrev_b32_e32 v64, 2, v165
	ds_read_b32 v66, v64
	ds_read_b64 v[64:65], v104 offset:28672
	v_mov_b32_e32 v67, v4
	v_mov_b32_e32 v68, s83
	s_waitcnt lgkmcnt(1)
	v_add_u32_e32 v66, v66, v30
	v_lshlrev_b64 v[66:67], 3, v[66:67]
	v_add_co_u32_e32 v66, vcc, s82, v66
	v_addc_co_u32_e32 v67, vcc, v68, v67, vcc
	s_waitcnt lgkmcnt(0)
	global_store_dwordx2 v[66:67], v[64:65], off
	s_or_b64 exec, exec, s[36:37]
	s_and_saveexec_b64 s[36:37], s[66:67]
	s_cbranch_execnz .LBB1222_1187
	s_branch .LBB1222_1188
.LBB1222_1172:                          ;   in Loop: Header=BB1222_982 Depth=2
	s_or_b64 exec, exec, s[92:93]
	s_and_saveexec_b64 s[36:37], s[38:39]
	s_cbranch_execz .LBB1222_1158
.LBB1222_1173:                          ;   in Loop: Header=BB1222_982 Depth=2
	v_lshlrev_b32_e32 v64, 2, v181
	ds_read_b32 v66, v64
	ds_read_b64 v[64:65], v104 offset:2048
	v_mov_b32_e32 v67, v4
	v_mov_b32_e32 v68, s83
	s_waitcnt lgkmcnt(1)
	v_add_u32_e32 v66, v66, v7
	v_lshlrev_b64 v[66:67], 3, v[66:67]
	v_add_co_u32_e32 v66, vcc, s82, v66
	v_addc_co_u32_e32 v67, vcc, v68, v67, vcc
	s_waitcnt lgkmcnt(0)
	global_store_dwordx2 v[66:67], v[64:65], off
	s_or_b64 exec, exec, s[36:37]
	s_and_saveexec_b64 s[36:37], s[40:41]
	s_cbranch_execnz .LBB1222_1159
.LBB1222_1174:                          ;   in Loop: Header=BB1222_982 Depth=2
	s_or_b64 exec, exec, s[36:37]
	s_and_saveexec_b64 s[36:37], s[42:43]
	s_cbranch_execz .LBB1222_1160
.LBB1222_1175:                          ;   in Loop: Header=BB1222_982 Depth=2
	v_lshlrev_b32_e32 v64, 2, v179
	ds_read_b32 v66, v64
	ds_read_b64 v[64:65], v104 offset:6144
	v_mov_b32_e32 v67, v4
	v_mov_b32_e32 v68, s83
	s_waitcnt lgkmcnt(1)
	v_add_u32_e32 v66, v66, v8
	v_lshlrev_b64 v[66:67], 3, v[66:67]
	v_add_co_u32_e32 v66, vcc, s82, v66
	v_addc_co_u32_e32 v67, vcc, v68, v67, vcc
	s_waitcnt lgkmcnt(0)
	global_store_dwordx2 v[66:67], v[64:65], off
	s_or_b64 exec, exec, s[36:37]
	s_and_saveexec_b64 s[36:37], s[44:45]
	s_cbranch_execnz .LBB1222_1161
.LBB1222_1176:                          ;   in Loop: Header=BB1222_982 Depth=2
	s_or_b64 exec, exec, s[36:37]
	s_and_saveexec_b64 s[36:37], s[46:47]
	s_cbranch_execz .LBB1222_1162
.LBB1222_1177:                          ;   in Loop: Header=BB1222_982 Depth=2
	v_lshlrev_b32_e32 v64, 2, v176
	ds_read_b32 v66, v64
	ds_read_b64 v[64:65], v104 offset:10240
	v_mov_b32_e32 v67, v4
	v_mov_b32_e32 v68, s83
	s_waitcnt lgkmcnt(1)
	v_add_u32_e32 v66, v66, v12
	v_lshlrev_b64 v[66:67], 3, v[66:67]
	v_add_co_u32_e32 v66, vcc, s82, v66
	v_addc_co_u32_e32 v67, vcc, v68, v67, vcc
	s_waitcnt lgkmcnt(0)
	global_store_dwordx2 v[66:67], v[64:65], off
	s_or_b64 exec, exec, s[36:37]
	s_and_saveexec_b64 s[36:37], s[48:49]
	s_cbranch_execnz .LBB1222_1163
.LBB1222_1178:                          ;   in Loop: Header=BB1222_982 Depth=2
	s_or_b64 exec, exec, s[36:37]
	s_and_saveexec_b64 s[36:37], s[50:51]
	s_cbranch_execz .LBB1222_1164
.LBB1222_1179:                          ;   in Loop: Header=BB1222_982 Depth=2
	v_lshlrev_b32_e32 v64, 2, v174
	ds_read_b32 v66, v64
	ds_read_b64 v[64:65], v104 offset:14336
	v_mov_b32_e32 v67, v4
	v_mov_b32_e32 v68, s83
	s_waitcnt lgkmcnt(1)
	v_add_u32_e32 v66, v66, v16
	v_lshlrev_b64 v[66:67], 3, v[66:67]
	v_add_co_u32_e32 v66, vcc, s82, v66
	v_addc_co_u32_e32 v67, vcc, v68, v67, vcc
	s_waitcnt lgkmcnt(0)
	global_store_dwordx2 v[66:67], v[64:65], off
	s_or_b64 exec, exec, s[36:37]
	s_and_saveexec_b64 s[36:37], s[52:53]
	s_cbranch_execnz .LBB1222_1165
.LBB1222_1180:                          ;   in Loop: Header=BB1222_982 Depth=2
	s_or_b64 exec, exec, s[36:37]
	s_and_saveexec_b64 s[36:37], s[54:55]
	s_cbranch_execz .LBB1222_1166
.LBB1222_1181:                          ;   in Loop: Header=BB1222_982 Depth=2
	v_lshlrev_b32_e32 v64, 2, v171
	ds_read_b32 v66, v64
	ds_read_b64 v[64:65], v104 offset:18432
	v_mov_b32_e32 v67, v4
	v_mov_b32_e32 v68, s83
	s_waitcnt lgkmcnt(1)
	v_add_u32_e32 v66, v66, v20
	v_lshlrev_b64 v[66:67], 3, v[66:67]
	v_add_co_u32_e32 v66, vcc, s82, v66
	v_addc_co_u32_e32 v67, vcc, v68, v67, vcc
	s_waitcnt lgkmcnt(0)
	global_store_dwordx2 v[66:67], v[64:65], off
	s_or_b64 exec, exec, s[36:37]
	s_and_saveexec_b64 s[36:37], s[56:57]
	s_cbranch_execnz .LBB1222_1167
.LBB1222_1182:                          ;   in Loop: Header=BB1222_982 Depth=2
	s_or_b64 exec, exec, s[36:37]
	s_and_saveexec_b64 s[36:37], s[58:59]
	s_cbranch_execz .LBB1222_1168
.LBB1222_1183:                          ;   in Loop: Header=BB1222_982 Depth=2
	v_lshlrev_b32_e32 v64, 2, v168
	ds_read_b32 v66, v64
	ds_read_b64 v[64:65], v104 offset:22528
	v_mov_b32_e32 v67, v4
	v_mov_b32_e32 v68, s83
	s_waitcnt lgkmcnt(1)
	v_add_u32_e32 v66, v66, v24
	v_lshlrev_b64 v[66:67], 3, v[66:67]
	v_add_co_u32_e32 v66, vcc, s82, v66
	v_addc_co_u32_e32 v67, vcc, v68, v67, vcc
	s_waitcnt lgkmcnt(0)
	global_store_dwordx2 v[66:67], v[64:65], off
	s_or_b64 exec, exec, s[36:37]
	s_and_saveexec_b64 s[36:37], s[60:61]
	s_cbranch_execnz .LBB1222_1169
.LBB1222_1184:                          ;   in Loop: Header=BB1222_982 Depth=2
	s_or_b64 exec, exec, s[36:37]
	s_and_saveexec_b64 s[36:37], s[62:63]
	s_cbranch_execz .LBB1222_1170
.LBB1222_1185:                          ;   in Loop: Header=BB1222_982 Depth=2
	v_lshlrev_b32_e32 v64, 2, v166
	ds_read_b32 v66, v64
	ds_read_b64 v[64:65], v104 offset:26624
	v_mov_b32_e32 v67, v4
	v_mov_b32_e32 v68, s83
	s_waitcnt lgkmcnt(1)
	v_add_u32_e32 v66, v66, v28
	v_lshlrev_b64 v[66:67], 3, v[66:67]
	v_add_co_u32_e32 v66, vcc, s82, v66
	v_addc_co_u32_e32 v67, vcc, v68, v67, vcc
	s_waitcnt lgkmcnt(0)
	global_store_dwordx2 v[66:67], v[64:65], off
	s_or_b64 exec, exec, s[36:37]
	s_and_saveexec_b64 s[36:37], s[64:65]
	s_cbranch_execnz .LBB1222_1171
.LBB1222_1186:                          ;   in Loop: Header=BB1222_982 Depth=2
	s_or_b64 exec, exec, s[36:37]
	s_and_saveexec_b64 s[36:37], s[66:67]
	s_cbranch_execz .LBB1222_1188
.LBB1222_1187:                          ;   in Loop: Header=BB1222_982 Depth=2
	v_lshlrev_b32_e32 v64, 2, v164
	ds_read_b32 v66, v64
	ds_read_b64 v[64:65], v104 offset:30720
	v_mov_b32_e32 v67, v4
	v_mov_b32_e32 v68, s83
	s_waitcnt lgkmcnt(1)
	v_add_u32_e32 v66, v66, v32
	v_lshlrev_b64 v[66:67], 3, v[66:67]
	v_add_co_u32_e32 v66, vcc, s82, v66
	v_addc_co_u32_e32 v67, vcc, v68, v67, vcc
	s_waitcnt lgkmcnt(0)
	global_store_dwordx2 v[66:67], v[64:65], off
.LBB1222_1188:                          ;   in Loop: Header=BB1222_982 Depth=2
	s_or_b64 exec, exec, s[36:37]
	s_barrier
	s_and_saveexec_b64 s[36:37], s[4:5]
	s_cbranch_execz .LBB1222_981
; %bb.1189:                             ;   in Loop: Header=BB1222_982 Depth=2
	ds_read_b32 v64, v3
	s_waitcnt lgkmcnt(0)
	v_add_u32_e32 v5, v64, v5
	ds_write_b32 v3, v5
	s_branch .LBB1222_981
.LBB1222_1190:
	s_endpgm
	.section	.rodata,"a",@progbits
	.p2align	6, 0x0
	.amdhsa_kernel _ZN7rocprim17ROCPRIM_400000_NS6detail17trampoline_kernelINS0_14default_configENS1_36segmented_radix_sort_config_selectorIdlEEZNS1_25segmented_radix_sort_implIS3_Lb0EPKdPdPKlPlN2at6native12_GLOBAL__N_18offset_tEEE10hipError_tPvRmT1_PNSt15iterator_traitsISK_E10value_typeET2_T3_PNSL_ISQ_E10value_typeET4_jRbjT5_SW_jjP12ihipStream_tbEUlT_E_NS1_11comp_targetILNS1_3genE4ELNS1_11target_archE910ELNS1_3gpuE8ELNS1_3repE0EEENS1_30default_config_static_selectorELNS0_4arch9wavefront6targetE1EEEvSK_
		.amdhsa_group_segment_fixed_size 33808
		.amdhsa_private_segment_fixed_size 132
		.amdhsa_kernarg_size 352
		.amdhsa_user_sgpr_count 8
		.amdhsa_user_sgpr_private_segment_buffer 1
		.amdhsa_user_sgpr_dispatch_ptr 0
		.amdhsa_user_sgpr_queue_ptr 0
		.amdhsa_user_sgpr_kernarg_segment_ptr 1
		.amdhsa_user_sgpr_dispatch_id 0
		.amdhsa_user_sgpr_flat_scratch_init 1
		.amdhsa_user_sgpr_kernarg_preload_length 0
		.amdhsa_user_sgpr_kernarg_preload_offset 0
		.amdhsa_user_sgpr_private_segment_size 0
		.amdhsa_uses_dynamic_stack 0
		.amdhsa_system_sgpr_private_segment_wavefront_offset 1
		.amdhsa_system_sgpr_workgroup_id_x 1
		.amdhsa_system_sgpr_workgroup_id_y 1
		.amdhsa_system_sgpr_workgroup_id_z 0
		.amdhsa_system_sgpr_workgroup_info 0
		.amdhsa_system_vgpr_workitem_id 2
		.amdhsa_next_free_vgpr 280
		.amdhsa_next_free_sgpr 100
		.amdhsa_accum_offset 248
		.amdhsa_reserve_vcc 1
		.amdhsa_reserve_flat_scratch 1
		.amdhsa_float_round_mode_32 0
		.amdhsa_float_round_mode_16_64 0
		.amdhsa_float_denorm_mode_32 3
		.amdhsa_float_denorm_mode_16_64 3
		.amdhsa_dx10_clamp 1
		.amdhsa_ieee_mode 1
		.amdhsa_fp16_overflow 0
		.amdhsa_tg_split 0
		.amdhsa_exception_fp_ieee_invalid_op 0
		.amdhsa_exception_fp_denorm_src 0
		.amdhsa_exception_fp_ieee_div_zero 0
		.amdhsa_exception_fp_ieee_overflow 0
		.amdhsa_exception_fp_ieee_underflow 0
		.amdhsa_exception_fp_ieee_inexact 0
		.amdhsa_exception_int_div_zero 0
	.end_amdhsa_kernel
	.section	.text._ZN7rocprim17ROCPRIM_400000_NS6detail17trampoline_kernelINS0_14default_configENS1_36segmented_radix_sort_config_selectorIdlEEZNS1_25segmented_radix_sort_implIS3_Lb0EPKdPdPKlPlN2at6native12_GLOBAL__N_18offset_tEEE10hipError_tPvRmT1_PNSt15iterator_traitsISK_E10value_typeET2_T3_PNSL_ISQ_E10value_typeET4_jRbjT5_SW_jjP12ihipStream_tbEUlT_E_NS1_11comp_targetILNS1_3genE4ELNS1_11target_archE910ELNS1_3gpuE8ELNS1_3repE0EEENS1_30default_config_static_selectorELNS0_4arch9wavefront6targetE1EEEvSK_,"axG",@progbits,_ZN7rocprim17ROCPRIM_400000_NS6detail17trampoline_kernelINS0_14default_configENS1_36segmented_radix_sort_config_selectorIdlEEZNS1_25segmented_radix_sort_implIS3_Lb0EPKdPdPKlPlN2at6native12_GLOBAL__N_18offset_tEEE10hipError_tPvRmT1_PNSt15iterator_traitsISK_E10value_typeET2_T3_PNSL_ISQ_E10value_typeET4_jRbjT5_SW_jjP12ihipStream_tbEUlT_E_NS1_11comp_targetILNS1_3genE4ELNS1_11target_archE910ELNS1_3gpuE8ELNS1_3repE0EEENS1_30default_config_static_selectorELNS0_4arch9wavefront6targetE1EEEvSK_,comdat
.Lfunc_end1222:
	.size	_ZN7rocprim17ROCPRIM_400000_NS6detail17trampoline_kernelINS0_14default_configENS1_36segmented_radix_sort_config_selectorIdlEEZNS1_25segmented_radix_sort_implIS3_Lb0EPKdPdPKlPlN2at6native12_GLOBAL__N_18offset_tEEE10hipError_tPvRmT1_PNSt15iterator_traitsISK_E10value_typeET2_T3_PNSL_ISQ_E10value_typeET4_jRbjT5_SW_jjP12ihipStream_tbEUlT_E_NS1_11comp_targetILNS1_3genE4ELNS1_11target_archE910ELNS1_3gpuE8ELNS1_3repE0EEENS1_30default_config_static_selectorELNS0_4arch9wavefront6targetE1EEEvSK_, .Lfunc_end1222-_ZN7rocprim17ROCPRIM_400000_NS6detail17trampoline_kernelINS0_14default_configENS1_36segmented_radix_sort_config_selectorIdlEEZNS1_25segmented_radix_sort_implIS3_Lb0EPKdPdPKlPlN2at6native12_GLOBAL__N_18offset_tEEE10hipError_tPvRmT1_PNSt15iterator_traitsISK_E10value_typeET2_T3_PNSL_ISQ_E10value_typeET4_jRbjT5_SW_jjP12ihipStream_tbEUlT_E_NS1_11comp_targetILNS1_3genE4ELNS1_11target_archE910ELNS1_3gpuE8ELNS1_3repE0EEENS1_30default_config_static_selectorELNS0_4arch9wavefront6targetE1EEEvSK_
                                        ; -- End function
	.section	.AMDGPU.csdata,"",@progbits
; Kernel info:
; codeLenInByte = 72888
; NumSgprs: 106
; NumVgprs: 248
; NumAgprs: 32
; TotalNumVgprs: 280
; ScratchSize: 132
; MemoryBound: 0
; FloatMode: 240
; IeeeMode: 1
; LDSByteSize: 33808 bytes/workgroup (compile time only)
; SGPRBlocks: 13
; VGPRBlocks: 34
; NumSGPRsForWavesPerEU: 106
; NumVGPRsForWavesPerEU: 280
; AccumOffset: 248
; Occupancy: 1
; WaveLimiterHint : 1
; COMPUTE_PGM_RSRC2:SCRATCH_EN: 1
; COMPUTE_PGM_RSRC2:USER_SGPR: 8
; COMPUTE_PGM_RSRC2:TRAP_HANDLER: 0
; COMPUTE_PGM_RSRC2:TGID_X_EN: 1
; COMPUTE_PGM_RSRC2:TGID_Y_EN: 1
; COMPUTE_PGM_RSRC2:TGID_Z_EN: 0
; COMPUTE_PGM_RSRC2:TIDIG_COMP_CNT: 2
; COMPUTE_PGM_RSRC3_GFX90A:ACCUM_OFFSET: 61
; COMPUTE_PGM_RSRC3_GFX90A:TG_SPLIT: 0
	.section	.text._ZN7rocprim17ROCPRIM_400000_NS6detail17trampoline_kernelINS0_14default_configENS1_36segmented_radix_sort_config_selectorIdlEEZNS1_25segmented_radix_sort_implIS3_Lb0EPKdPdPKlPlN2at6native12_GLOBAL__N_18offset_tEEE10hipError_tPvRmT1_PNSt15iterator_traitsISK_E10value_typeET2_T3_PNSL_ISQ_E10value_typeET4_jRbjT5_SW_jjP12ihipStream_tbEUlT_E_NS1_11comp_targetILNS1_3genE3ELNS1_11target_archE908ELNS1_3gpuE7ELNS1_3repE0EEENS1_30default_config_static_selectorELNS0_4arch9wavefront6targetE1EEEvSK_,"axG",@progbits,_ZN7rocprim17ROCPRIM_400000_NS6detail17trampoline_kernelINS0_14default_configENS1_36segmented_radix_sort_config_selectorIdlEEZNS1_25segmented_radix_sort_implIS3_Lb0EPKdPdPKlPlN2at6native12_GLOBAL__N_18offset_tEEE10hipError_tPvRmT1_PNSt15iterator_traitsISK_E10value_typeET2_T3_PNSL_ISQ_E10value_typeET4_jRbjT5_SW_jjP12ihipStream_tbEUlT_E_NS1_11comp_targetILNS1_3genE3ELNS1_11target_archE908ELNS1_3gpuE7ELNS1_3repE0EEENS1_30default_config_static_selectorELNS0_4arch9wavefront6targetE1EEEvSK_,comdat
	.globl	_ZN7rocprim17ROCPRIM_400000_NS6detail17trampoline_kernelINS0_14default_configENS1_36segmented_radix_sort_config_selectorIdlEEZNS1_25segmented_radix_sort_implIS3_Lb0EPKdPdPKlPlN2at6native12_GLOBAL__N_18offset_tEEE10hipError_tPvRmT1_PNSt15iterator_traitsISK_E10value_typeET2_T3_PNSL_ISQ_E10value_typeET4_jRbjT5_SW_jjP12ihipStream_tbEUlT_E_NS1_11comp_targetILNS1_3genE3ELNS1_11target_archE908ELNS1_3gpuE7ELNS1_3repE0EEENS1_30default_config_static_selectorELNS0_4arch9wavefront6targetE1EEEvSK_ ; -- Begin function _ZN7rocprim17ROCPRIM_400000_NS6detail17trampoline_kernelINS0_14default_configENS1_36segmented_radix_sort_config_selectorIdlEEZNS1_25segmented_radix_sort_implIS3_Lb0EPKdPdPKlPlN2at6native12_GLOBAL__N_18offset_tEEE10hipError_tPvRmT1_PNSt15iterator_traitsISK_E10value_typeET2_T3_PNSL_ISQ_E10value_typeET4_jRbjT5_SW_jjP12ihipStream_tbEUlT_E_NS1_11comp_targetILNS1_3genE3ELNS1_11target_archE908ELNS1_3gpuE7ELNS1_3repE0EEENS1_30default_config_static_selectorELNS0_4arch9wavefront6targetE1EEEvSK_
	.p2align	8
	.type	_ZN7rocprim17ROCPRIM_400000_NS6detail17trampoline_kernelINS0_14default_configENS1_36segmented_radix_sort_config_selectorIdlEEZNS1_25segmented_radix_sort_implIS3_Lb0EPKdPdPKlPlN2at6native12_GLOBAL__N_18offset_tEEE10hipError_tPvRmT1_PNSt15iterator_traitsISK_E10value_typeET2_T3_PNSL_ISQ_E10value_typeET4_jRbjT5_SW_jjP12ihipStream_tbEUlT_E_NS1_11comp_targetILNS1_3genE3ELNS1_11target_archE908ELNS1_3gpuE7ELNS1_3repE0EEENS1_30default_config_static_selectorELNS0_4arch9wavefront6targetE1EEEvSK_,@function
_ZN7rocprim17ROCPRIM_400000_NS6detail17trampoline_kernelINS0_14default_configENS1_36segmented_radix_sort_config_selectorIdlEEZNS1_25segmented_radix_sort_implIS3_Lb0EPKdPdPKlPlN2at6native12_GLOBAL__N_18offset_tEEE10hipError_tPvRmT1_PNSt15iterator_traitsISK_E10value_typeET2_T3_PNSL_ISQ_E10value_typeET4_jRbjT5_SW_jjP12ihipStream_tbEUlT_E_NS1_11comp_targetILNS1_3genE3ELNS1_11target_archE908ELNS1_3gpuE7ELNS1_3repE0EEENS1_30default_config_static_selectorELNS0_4arch9wavefront6targetE1EEEvSK_: ; @_ZN7rocprim17ROCPRIM_400000_NS6detail17trampoline_kernelINS0_14default_configENS1_36segmented_radix_sort_config_selectorIdlEEZNS1_25segmented_radix_sort_implIS3_Lb0EPKdPdPKlPlN2at6native12_GLOBAL__N_18offset_tEEE10hipError_tPvRmT1_PNSt15iterator_traitsISK_E10value_typeET2_T3_PNSL_ISQ_E10value_typeET4_jRbjT5_SW_jjP12ihipStream_tbEUlT_E_NS1_11comp_targetILNS1_3genE3ELNS1_11target_archE908ELNS1_3gpuE7ELNS1_3repE0EEENS1_30default_config_static_selectorELNS0_4arch9wavefront6targetE1EEEvSK_
; %bb.0:
	.section	.rodata,"a",@progbits
	.p2align	6, 0x0
	.amdhsa_kernel _ZN7rocprim17ROCPRIM_400000_NS6detail17trampoline_kernelINS0_14default_configENS1_36segmented_radix_sort_config_selectorIdlEEZNS1_25segmented_radix_sort_implIS3_Lb0EPKdPdPKlPlN2at6native12_GLOBAL__N_18offset_tEEE10hipError_tPvRmT1_PNSt15iterator_traitsISK_E10value_typeET2_T3_PNSL_ISQ_E10value_typeET4_jRbjT5_SW_jjP12ihipStream_tbEUlT_E_NS1_11comp_targetILNS1_3genE3ELNS1_11target_archE908ELNS1_3gpuE7ELNS1_3repE0EEENS1_30default_config_static_selectorELNS0_4arch9wavefront6targetE1EEEvSK_
		.amdhsa_group_segment_fixed_size 0
		.amdhsa_private_segment_fixed_size 0
		.amdhsa_kernarg_size 96
		.amdhsa_user_sgpr_count 6
		.amdhsa_user_sgpr_private_segment_buffer 1
		.amdhsa_user_sgpr_dispatch_ptr 0
		.amdhsa_user_sgpr_queue_ptr 0
		.amdhsa_user_sgpr_kernarg_segment_ptr 1
		.amdhsa_user_sgpr_dispatch_id 0
		.amdhsa_user_sgpr_flat_scratch_init 0
		.amdhsa_user_sgpr_kernarg_preload_length 0
		.amdhsa_user_sgpr_kernarg_preload_offset 0
		.amdhsa_user_sgpr_private_segment_size 0
		.amdhsa_uses_dynamic_stack 0
		.amdhsa_system_sgpr_private_segment_wavefront_offset 0
		.amdhsa_system_sgpr_workgroup_id_x 1
		.amdhsa_system_sgpr_workgroup_id_y 0
		.amdhsa_system_sgpr_workgroup_id_z 0
		.amdhsa_system_sgpr_workgroup_info 0
		.amdhsa_system_vgpr_workitem_id 0
		.amdhsa_next_free_vgpr 1
		.amdhsa_next_free_sgpr 0
		.amdhsa_accum_offset 4
		.amdhsa_reserve_vcc 0
		.amdhsa_reserve_flat_scratch 0
		.amdhsa_float_round_mode_32 0
		.amdhsa_float_round_mode_16_64 0
		.amdhsa_float_denorm_mode_32 3
		.amdhsa_float_denorm_mode_16_64 3
		.amdhsa_dx10_clamp 1
		.amdhsa_ieee_mode 1
		.amdhsa_fp16_overflow 0
		.amdhsa_tg_split 0
		.amdhsa_exception_fp_ieee_invalid_op 0
		.amdhsa_exception_fp_denorm_src 0
		.amdhsa_exception_fp_ieee_div_zero 0
		.amdhsa_exception_fp_ieee_overflow 0
		.amdhsa_exception_fp_ieee_underflow 0
		.amdhsa_exception_fp_ieee_inexact 0
		.amdhsa_exception_int_div_zero 0
	.end_amdhsa_kernel
	.section	.text._ZN7rocprim17ROCPRIM_400000_NS6detail17trampoline_kernelINS0_14default_configENS1_36segmented_radix_sort_config_selectorIdlEEZNS1_25segmented_radix_sort_implIS3_Lb0EPKdPdPKlPlN2at6native12_GLOBAL__N_18offset_tEEE10hipError_tPvRmT1_PNSt15iterator_traitsISK_E10value_typeET2_T3_PNSL_ISQ_E10value_typeET4_jRbjT5_SW_jjP12ihipStream_tbEUlT_E_NS1_11comp_targetILNS1_3genE3ELNS1_11target_archE908ELNS1_3gpuE7ELNS1_3repE0EEENS1_30default_config_static_selectorELNS0_4arch9wavefront6targetE1EEEvSK_,"axG",@progbits,_ZN7rocprim17ROCPRIM_400000_NS6detail17trampoline_kernelINS0_14default_configENS1_36segmented_radix_sort_config_selectorIdlEEZNS1_25segmented_radix_sort_implIS3_Lb0EPKdPdPKlPlN2at6native12_GLOBAL__N_18offset_tEEE10hipError_tPvRmT1_PNSt15iterator_traitsISK_E10value_typeET2_T3_PNSL_ISQ_E10value_typeET4_jRbjT5_SW_jjP12ihipStream_tbEUlT_E_NS1_11comp_targetILNS1_3genE3ELNS1_11target_archE908ELNS1_3gpuE7ELNS1_3repE0EEENS1_30default_config_static_selectorELNS0_4arch9wavefront6targetE1EEEvSK_,comdat
.Lfunc_end1223:
	.size	_ZN7rocprim17ROCPRIM_400000_NS6detail17trampoline_kernelINS0_14default_configENS1_36segmented_radix_sort_config_selectorIdlEEZNS1_25segmented_radix_sort_implIS3_Lb0EPKdPdPKlPlN2at6native12_GLOBAL__N_18offset_tEEE10hipError_tPvRmT1_PNSt15iterator_traitsISK_E10value_typeET2_T3_PNSL_ISQ_E10value_typeET4_jRbjT5_SW_jjP12ihipStream_tbEUlT_E_NS1_11comp_targetILNS1_3genE3ELNS1_11target_archE908ELNS1_3gpuE7ELNS1_3repE0EEENS1_30default_config_static_selectorELNS0_4arch9wavefront6targetE1EEEvSK_, .Lfunc_end1223-_ZN7rocprim17ROCPRIM_400000_NS6detail17trampoline_kernelINS0_14default_configENS1_36segmented_radix_sort_config_selectorIdlEEZNS1_25segmented_radix_sort_implIS3_Lb0EPKdPdPKlPlN2at6native12_GLOBAL__N_18offset_tEEE10hipError_tPvRmT1_PNSt15iterator_traitsISK_E10value_typeET2_T3_PNSL_ISQ_E10value_typeET4_jRbjT5_SW_jjP12ihipStream_tbEUlT_E_NS1_11comp_targetILNS1_3genE3ELNS1_11target_archE908ELNS1_3gpuE7ELNS1_3repE0EEENS1_30default_config_static_selectorELNS0_4arch9wavefront6targetE1EEEvSK_
                                        ; -- End function
	.section	.AMDGPU.csdata,"",@progbits
; Kernel info:
; codeLenInByte = 0
; NumSgprs: 4
; NumVgprs: 0
; NumAgprs: 0
; TotalNumVgprs: 0
; ScratchSize: 0
; MemoryBound: 0
; FloatMode: 240
; IeeeMode: 1
; LDSByteSize: 0 bytes/workgroup (compile time only)
; SGPRBlocks: 0
; VGPRBlocks: 0
; NumSGPRsForWavesPerEU: 4
; NumVGPRsForWavesPerEU: 1
; AccumOffset: 4
; Occupancy: 8
; WaveLimiterHint : 0
; COMPUTE_PGM_RSRC2:SCRATCH_EN: 0
; COMPUTE_PGM_RSRC2:USER_SGPR: 6
; COMPUTE_PGM_RSRC2:TRAP_HANDLER: 0
; COMPUTE_PGM_RSRC2:TGID_X_EN: 1
; COMPUTE_PGM_RSRC2:TGID_Y_EN: 0
; COMPUTE_PGM_RSRC2:TGID_Z_EN: 0
; COMPUTE_PGM_RSRC2:TIDIG_COMP_CNT: 0
; COMPUTE_PGM_RSRC3_GFX90A:ACCUM_OFFSET: 0
; COMPUTE_PGM_RSRC3_GFX90A:TG_SPLIT: 0
	.section	.text._ZN7rocprim17ROCPRIM_400000_NS6detail17trampoline_kernelINS0_14default_configENS1_36segmented_radix_sort_config_selectorIdlEEZNS1_25segmented_radix_sort_implIS3_Lb0EPKdPdPKlPlN2at6native12_GLOBAL__N_18offset_tEEE10hipError_tPvRmT1_PNSt15iterator_traitsISK_E10value_typeET2_T3_PNSL_ISQ_E10value_typeET4_jRbjT5_SW_jjP12ihipStream_tbEUlT_E_NS1_11comp_targetILNS1_3genE2ELNS1_11target_archE906ELNS1_3gpuE6ELNS1_3repE0EEENS1_30default_config_static_selectorELNS0_4arch9wavefront6targetE1EEEvSK_,"axG",@progbits,_ZN7rocprim17ROCPRIM_400000_NS6detail17trampoline_kernelINS0_14default_configENS1_36segmented_radix_sort_config_selectorIdlEEZNS1_25segmented_radix_sort_implIS3_Lb0EPKdPdPKlPlN2at6native12_GLOBAL__N_18offset_tEEE10hipError_tPvRmT1_PNSt15iterator_traitsISK_E10value_typeET2_T3_PNSL_ISQ_E10value_typeET4_jRbjT5_SW_jjP12ihipStream_tbEUlT_E_NS1_11comp_targetILNS1_3genE2ELNS1_11target_archE906ELNS1_3gpuE6ELNS1_3repE0EEENS1_30default_config_static_selectorELNS0_4arch9wavefront6targetE1EEEvSK_,comdat
	.globl	_ZN7rocprim17ROCPRIM_400000_NS6detail17trampoline_kernelINS0_14default_configENS1_36segmented_radix_sort_config_selectorIdlEEZNS1_25segmented_radix_sort_implIS3_Lb0EPKdPdPKlPlN2at6native12_GLOBAL__N_18offset_tEEE10hipError_tPvRmT1_PNSt15iterator_traitsISK_E10value_typeET2_T3_PNSL_ISQ_E10value_typeET4_jRbjT5_SW_jjP12ihipStream_tbEUlT_E_NS1_11comp_targetILNS1_3genE2ELNS1_11target_archE906ELNS1_3gpuE6ELNS1_3repE0EEENS1_30default_config_static_selectorELNS0_4arch9wavefront6targetE1EEEvSK_ ; -- Begin function _ZN7rocprim17ROCPRIM_400000_NS6detail17trampoline_kernelINS0_14default_configENS1_36segmented_radix_sort_config_selectorIdlEEZNS1_25segmented_radix_sort_implIS3_Lb0EPKdPdPKlPlN2at6native12_GLOBAL__N_18offset_tEEE10hipError_tPvRmT1_PNSt15iterator_traitsISK_E10value_typeET2_T3_PNSL_ISQ_E10value_typeET4_jRbjT5_SW_jjP12ihipStream_tbEUlT_E_NS1_11comp_targetILNS1_3genE2ELNS1_11target_archE906ELNS1_3gpuE6ELNS1_3repE0EEENS1_30default_config_static_selectorELNS0_4arch9wavefront6targetE1EEEvSK_
	.p2align	8
	.type	_ZN7rocprim17ROCPRIM_400000_NS6detail17trampoline_kernelINS0_14default_configENS1_36segmented_radix_sort_config_selectorIdlEEZNS1_25segmented_radix_sort_implIS3_Lb0EPKdPdPKlPlN2at6native12_GLOBAL__N_18offset_tEEE10hipError_tPvRmT1_PNSt15iterator_traitsISK_E10value_typeET2_T3_PNSL_ISQ_E10value_typeET4_jRbjT5_SW_jjP12ihipStream_tbEUlT_E_NS1_11comp_targetILNS1_3genE2ELNS1_11target_archE906ELNS1_3gpuE6ELNS1_3repE0EEENS1_30default_config_static_selectorELNS0_4arch9wavefront6targetE1EEEvSK_,@function
_ZN7rocprim17ROCPRIM_400000_NS6detail17trampoline_kernelINS0_14default_configENS1_36segmented_radix_sort_config_selectorIdlEEZNS1_25segmented_radix_sort_implIS3_Lb0EPKdPdPKlPlN2at6native12_GLOBAL__N_18offset_tEEE10hipError_tPvRmT1_PNSt15iterator_traitsISK_E10value_typeET2_T3_PNSL_ISQ_E10value_typeET4_jRbjT5_SW_jjP12ihipStream_tbEUlT_E_NS1_11comp_targetILNS1_3genE2ELNS1_11target_archE906ELNS1_3gpuE6ELNS1_3repE0EEENS1_30default_config_static_selectorELNS0_4arch9wavefront6targetE1EEEvSK_: ; @_ZN7rocprim17ROCPRIM_400000_NS6detail17trampoline_kernelINS0_14default_configENS1_36segmented_radix_sort_config_selectorIdlEEZNS1_25segmented_radix_sort_implIS3_Lb0EPKdPdPKlPlN2at6native12_GLOBAL__N_18offset_tEEE10hipError_tPvRmT1_PNSt15iterator_traitsISK_E10value_typeET2_T3_PNSL_ISQ_E10value_typeET4_jRbjT5_SW_jjP12ihipStream_tbEUlT_E_NS1_11comp_targetILNS1_3genE2ELNS1_11target_archE906ELNS1_3gpuE6ELNS1_3repE0EEENS1_30default_config_static_selectorELNS0_4arch9wavefront6targetE1EEEvSK_
; %bb.0:
	.section	.rodata,"a",@progbits
	.p2align	6, 0x0
	.amdhsa_kernel _ZN7rocprim17ROCPRIM_400000_NS6detail17trampoline_kernelINS0_14default_configENS1_36segmented_radix_sort_config_selectorIdlEEZNS1_25segmented_radix_sort_implIS3_Lb0EPKdPdPKlPlN2at6native12_GLOBAL__N_18offset_tEEE10hipError_tPvRmT1_PNSt15iterator_traitsISK_E10value_typeET2_T3_PNSL_ISQ_E10value_typeET4_jRbjT5_SW_jjP12ihipStream_tbEUlT_E_NS1_11comp_targetILNS1_3genE2ELNS1_11target_archE906ELNS1_3gpuE6ELNS1_3repE0EEENS1_30default_config_static_selectorELNS0_4arch9wavefront6targetE1EEEvSK_
		.amdhsa_group_segment_fixed_size 0
		.amdhsa_private_segment_fixed_size 0
		.amdhsa_kernarg_size 96
		.amdhsa_user_sgpr_count 6
		.amdhsa_user_sgpr_private_segment_buffer 1
		.amdhsa_user_sgpr_dispatch_ptr 0
		.amdhsa_user_sgpr_queue_ptr 0
		.amdhsa_user_sgpr_kernarg_segment_ptr 1
		.amdhsa_user_sgpr_dispatch_id 0
		.amdhsa_user_sgpr_flat_scratch_init 0
		.amdhsa_user_sgpr_kernarg_preload_length 0
		.amdhsa_user_sgpr_kernarg_preload_offset 0
		.amdhsa_user_sgpr_private_segment_size 0
		.amdhsa_uses_dynamic_stack 0
		.amdhsa_system_sgpr_private_segment_wavefront_offset 0
		.amdhsa_system_sgpr_workgroup_id_x 1
		.amdhsa_system_sgpr_workgroup_id_y 0
		.amdhsa_system_sgpr_workgroup_id_z 0
		.amdhsa_system_sgpr_workgroup_info 0
		.amdhsa_system_vgpr_workitem_id 0
		.amdhsa_next_free_vgpr 1
		.amdhsa_next_free_sgpr 0
		.amdhsa_accum_offset 4
		.amdhsa_reserve_vcc 0
		.amdhsa_reserve_flat_scratch 0
		.amdhsa_float_round_mode_32 0
		.amdhsa_float_round_mode_16_64 0
		.amdhsa_float_denorm_mode_32 3
		.amdhsa_float_denorm_mode_16_64 3
		.amdhsa_dx10_clamp 1
		.amdhsa_ieee_mode 1
		.amdhsa_fp16_overflow 0
		.amdhsa_tg_split 0
		.amdhsa_exception_fp_ieee_invalid_op 0
		.amdhsa_exception_fp_denorm_src 0
		.amdhsa_exception_fp_ieee_div_zero 0
		.amdhsa_exception_fp_ieee_overflow 0
		.amdhsa_exception_fp_ieee_underflow 0
		.amdhsa_exception_fp_ieee_inexact 0
		.amdhsa_exception_int_div_zero 0
	.end_amdhsa_kernel
	.section	.text._ZN7rocprim17ROCPRIM_400000_NS6detail17trampoline_kernelINS0_14default_configENS1_36segmented_radix_sort_config_selectorIdlEEZNS1_25segmented_radix_sort_implIS3_Lb0EPKdPdPKlPlN2at6native12_GLOBAL__N_18offset_tEEE10hipError_tPvRmT1_PNSt15iterator_traitsISK_E10value_typeET2_T3_PNSL_ISQ_E10value_typeET4_jRbjT5_SW_jjP12ihipStream_tbEUlT_E_NS1_11comp_targetILNS1_3genE2ELNS1_11target_archE906ELNS1_3gpuE6ELNS1_3repE0EEENS1_30default_config_static_selectorELNS0_4arch9wavefront6targetE1EEEvSK_,"axG",@progbits,_ZN7rocprim17ROCPRIM_400000_NS6detail17trampoline_kernelINS0_14default_configENS1_36segmented_radix_sort_config_selectorIdlEEZNS1_25segmented_radix_sort_implIS3_Lb0EPKdPdPKlPlN2at6native12_GLOBAL__N_18offset_tEEE10hipError_tPvRmT1_PNSt15iterator_traitsISK_E10value_typeET2_T3_PNSL_ISQ_E10value_typeET4_jRbjT5_SW_jjP12ihipStream_tbEUlT_E_NS1_11comp_targetILNS1_3genE2ELNS1_11target_archE906ELNS1_3gpuE6ELNS1_3repE0EEENS1_30default_config_static_selectorELNS0_4arch9wavefront6targetE1EEEvSK_,comdat
.Lfunc_end1224:
	.size	_ZN7rocprim17ROCPRIM_400000_NS6detail17trampoline_kernelINS0_14default_configENS1_36segmented_radix_sort_config_selectorIdlEEZNS1_25segmented_radix_sort_implIS3_Lb0EPKdPdPKlPlN2at6native12_GLOBAL__N_18offset_tEEE10hipError_tPvRmT1_PNSt15iterator_traitsISK_E10value_typeET2_T3_PNSL_ISQ_E10value_typeET4_jRbjT5_SW_jjP12ihipStream_tbEUlT_E_NS1_11comp_targetILNS1_3genE2ELNS1_11target_archE906ELNS1_3gpuE6ELNS1_3repE0EEENS1_30default_config_static_selectorELNS0_4arch9wavefront6targetE1EEEvSK_, .Lfunc_end1224-_ZN7rocprim17ROCPRIM_400000_NS6detail17trampoline_kernelINS0_14default_configENS1_36segmented_radix_sort_config_selectorIdlEEZNS1_25segmented_radix_sort_implIS3_Lb0EPKdPdPKlPlN2at6native12_GLOBAL__N_18offset_tEEE10hipError_tPvRmT1_PNSt15iterator_traitsISK_E10value_typeET2_T3_PNSL_ISQ_E10value_typeET4_jRbjT5_SW_jjP12ihipStream_tbEUlT_E_NS1_11comp_targetILNS1_3genE2ELNS1_11target_archE906ELNS1_3gpuE6ELNS1_3repE0EEENS1_30default_config_static_selectorELNS0_4arch9wavefront6targetE1EEEvSK_
                                        ; -- End function
	.section	.AMDGPU.csdata,"",@progbits
; Kernel info:
; codeLenInByte = 0
; NumSgprs: 4
; NumVgprs: 0
; NumAgprs: 0
; TotalNumVgprs: 0
; ScratchSize: 0
; MemoryBound: 0
; FloatMode: 240
; IeeeMode: 1
; LDSByteSize: 0 bytes/workgroup (compile time only)
; SGPRBlocks: 0
; VGPRBlocks: 0
; NumSGPRsForWavesPerEU: 4
; NumVGPRsForWavesPerEU: 1
; AccumOffset: 4
; Occupancy: 8
; WaveLimiterHint : 0
; COMPUTE_PGM_RSRC2:SCRATCH_EN: 0
; COMPUTE_PGM_RSRC2:USER_SGPR: 6
; COMPUTE_PGM_RSRC2:TRAP_HANDLER: 0
; COMPUTE_PGM_RSRC2:TGID_X_EN: 1
; COMPUTE_PGM_RSRC2:TGID_Y_EN: 0
; COMPUTE_PGM_RSRC2:TGID_Z_EN: 0
; COMPUTE_PGM_RSRC2:TIDIG_COMP_CNT: 0
; COMPUTE_PGM_RSRC3_GFX90A:ACCUM_OFFSET: 0
; COMPUTE_PGM_RSRC3_GFX90A:TG_SPLIT: 0
	.section	.text._ZN7rocprim17ROCPRIM_400000_NS6detail17trampoline_kernelINS0_14default_configENS1_36segmented_radix_sort_config_selectorIdlEEZNS1_25segmented_radix_sort_implIS3_Lb0EPKdPdPKlPlN2at6native12_GLOBAL__N_18offset_tEEE10hipError_tPvRmT1_PNSt15iterator_traitsISK_E10value_typeET2_T3_PNSL_ISQ_E10value_typeET4_jRbjT5_SW_jjP12ihipStream_tbEUlT_E_NS1_11comp_targetILNS1_3genE10ELNS1_11target_archE1201ELNS1_3gpuE5ELNS1_3repE0EEENS1_30default_config_static_selectorELNS0_4arch9wavefront6targetE1EEEvSK_,"axG",@progbits,_ZN7rocprim17ROCPRIM_400000_NS6detail17trampoline_kernelINS0_14default_configENS1_36segmented_radix_sort_config_selectorIdlEEZNS1_25segmented_radix_sort_implIS3_Lb0EPKdPdPKlPlN2at6native12_GLOBAL__N_18offset_tEEE10hipError_tPvRmT1_PNSt15iterator_traitsISK_E10value_typeET2_T3_PNSL_ISQ_E10value_typeET4_jRbjT5_SW_jjP12ihipStream_tbEUlT_E_NS1_11comp_targetILNS1_3genE10ELNS1_11target_archE1201ELNS1_3gpuE5ELNS1_3repE0EEENS1_30default_config_static_selectorELNS0_4arch9wavefront6targetE1EEEvSK_,comdat
	.globl	_ZN7rocprim17ROCPRIM_400000_NS6detail17trampoline_kernelINS0_14default_configENS1_36segmented_radix_sort_config_selectorIdlEEZNS1_25segmented_radix_sort_implIS3_Lb0EPKdPdPKlPlN2at6native12_GLOBAL__N_18offset_tEEE10hipError_tPvRmT1_PNSt15iterator_traitsISK_E10value_typeET2_T3_PNSL_ISQ_E10value_typeET4_jRbjT5_SW_jjP12ihipStream_tbEUlT_E_NS1_11comp_targetILNS1_3genE10ELNS1_11target_archE1201ELNS1_3gpuE5ELNS1_3repE0EEENS1_30default_config_static_selectorELNS0_4arch9wavefront6targetE1EEEvSK_ ; -- Begin function _ZN7rocprim17ROCPRIM_400000_NS6detail17trampoline_kernelINS0_14default_configENS1_36segmented_radix_sort_config_selectorIdlEEZNS1_25segmented_radix_sort_implIS3_Lb0EPKdPdPKlPlN2at6native12_GLOBAL__N_18offset_tEEE10hipError_tPvRmT1_PNSt15iterator_traitsISK_E10value_typeET2_T3_PNSL_ISQ_E10value_typeET4_jRbjT5_SW_jjP12ihipStream_tbEUlT_E_NS1_11comp_targetILNS1_3genE10ELNS1_11target_archE1201ELNS1_3gpuE5ELNS1_3repE0EEENS1_30default_config_static_selectorELNS0_4arch9wavefront6targetE1EEEvSK_
	.p2align	8
	.type	_ZN7rocprim17ROCPRIM_400000_NS6detail17trampoline_kernelINS0_14default_configENS1_36segmented_radix_sort_config_selectorIdlEEZNS1_25segmented_radix_sort_implIS3_Lb0EPKdPdPKlPlN2at6native12_GLOBAL__N_18offset_tEEE10hipError_tPvRmT1_PNSt15iterator_traitsISK_E10value_typeET2_T3_PNSL_ISQ_E10value_typeET4_jRbjT5_SW_jjP12ihipStream_tbEUlT_E_NS1_11comp_targetILNS1_3genE10ELNS1_11target_archE1201ELNS1_3gpuE5ELNS1_3repE0EEENS1_30default_config_static_selectorELNS0_4arch9wavefront6targetE1EEEvSK_,@function
_ZN7rocprim17ROCPRIM_400000_NS6detail17trampoline_kernelINS0_14default_configENS1_36segmented_radix_sort_config_selectorIdlEEZNS1_25segmented_radix_sort_implIS3_Lb0EPKdPdPKlPlN2at6native12_GLOBAL__N_18offset_tEEE10hipError_tPvRmT1_PNSt15iterator_traitsISK_E10value_typeET2_T3_PNSL_ISQ_E10value_typeET4_jRbjT5_SW_jjP12ihipStream_tbEUlT_E_NS1_11comp_targetILNS1_3genE10ELNS1_11target_archE1201ELNS1_3gpuE5ELNS1_3repE0EEENS1_30default_config_static_selectorELNS0_4arch9wavefront6targetE1EEEvSK_: ; @_ZN7rocprim17ROCPRIM_400000_NS6detail17trampoline_kernelINS0_14default_configENS1_36segmented_radix_sort_config_selectorIdlEEZNS1_25segmented_radix_sort_implIS3_Lb0EPKdPdPKlPlN2at6native12_GLOBAL__N_18offset_tEEE10hipError_tPvRmT1_PNSt15iterator_traitsISK_E10value_typeET2_T3_PNSL_ISQ_E10value_typeET4_jRbjT5_SW_jjP12ihipStream_tbEUlT_E_NS1_11comp_targetILNS1_3genE10ELNS1_11target_archE1201ELNS1_3gpuE5ELNS1_3repE0EEENS1_30default_config_static_selectorELNS0_4arch9wavefront6targetE1EEEvSK_
; %bb.0:
	.section	.rodata,"a",@progbits
	.p2align	6, 0x0
	.amdhsa_kernel _ZN7rocprim17ROCPRIM_400000_NS6detail17trampoline_kernelINS0_14default_configENS1_36segmented_radix_sort_config_selectorIdlEEZNS1_25segmented_radix_sort_implIS3_Lb0EPKdPdPKlPlN2at6native12_GLOBAL__N_18offset_tEEE10hipError_tPvRmT1_PNSt15iterator_traitsISK_E10value_typeET2_T3_PNSL_ISQ_E10value_typeET4_jRbjT5_SW_jjP12ihipStream_tbEUlT_E_NS1_11comp_targetILNS1_3genE10ELNS1_11target_archE1201ELNS1_3gpuE5ELNS1_3repE0EEENS1_30default_config_static_selectorELNS0_4arch9wavefront6targetE1EEEvSK_
		.amdhsa_group_segment_fixed_size 0
		.amdhsa_private_segment_fixed_size 0
		.amdhsa_kernarg_size 96
		.amdhsa_user_sgpr_count 6
		.amdhsa_user_sgpr_private_segment_buffer 1
		.amdhsa_user_sgpr_dispatch_ptr 0
		.amdhsa_user_sgpr_queue_ptr 0
		.amdhsa_user_sgpr_kernarg_segment_ptr 1
		.amdhsa_user_sgpr_dispatch_id 0
		.amdhsa_user_sgpr_flat_scratch_init 0
		.amdhsa_user_sgpr_kernarg_preload_length 0
		.amdhsa_user_sgpr_kernarg_preload_offset 0
		.amdhsa_user_sgpr_private_segment_size 0
		.amdhsa_uses_dynamic_stack 0
		.amdhsa_system_sgpr_private_segment_wavefront_offset 0
		.amdhsa_system_sgpr_workgroup_id_x 1
		.amdhsa_system_sgpr_workgroup_id_y 0
		.amdhsa_system_sgpr_workgroup_id_z 0
		.amdhsa_system_sgpr_workgroup_info 0
		.amdhsa_system_vgpr_workitem_id 0
		.amdhsa_next_free_vgpr 1
		.amdhsa_next_free_sgpr 0
		.amdhsa_accum_offset 4
		.amdhsa_reserve_vcc 0
		.amdhsa_reserve_flat_scratch 0
		.amdhsa_float_round_mode_32 0
		.amdhsa_float_round_mode_16_64 0
		.amdhsa_float_denorm_mode_32 3
		.amdhsa_float_denorm_mode_16_64 3
		.amdhsa_dx10_clamp 1
		.amdhsa_ieee_mode 1
		.amdhsa_fp16_overflow 0
		.amdhsa_tg_split 0
		.amdhsa_exception_fp_ieee_invalid_op 0
		.amdhsa_exception_fp_denorm_src 0
		.amdhsa_exception_fp_ieee_div_zero 0
		.amdhsa_exception_fp_ieee_overflow 0
		.amdhsa_exception_fp_ieee_underflow 0
		.amdhsa_exception_fp_ieee_inexact 0
		.amdhsa_exception_int_div_zero 0
	.end_amdhsa_kernel
	.section	.text._ZN7rocprim17ROCPRIM_400000_NS6detail17trampoline_kernelINS0_14default_configENS1_36segmented_radix_sort_config_selectorIdlEEZNS1_25segmented_radix_sort_implIS3_Lb0EPKdPdPKlPlN2at6native12_GLOBAL__N_18offset_tEEE10hipError_tPvRmT1_PNSt15iterator_traitsISK_E10value_typeET2_T3_PNSL_ISQ_E10value_typeET4_jRbjT5_SW_jjP12ihipStream_tbEUlT_E_NS1_11comp_targetILNS1_3genE10ELNS1_11target_archE1201ELNS1_3gpuE5ELNS1_3repE0EEENS1_30default_config_static_selectorELNS0_4arch9wavefront6targetE1EEEvSK_,"axG",@progbits,_ZN7rocprim17ROCPRIM_400000_NS6detail17trampoline_kernelINS0_14default_configENS1_36segmented_radix_sort_config_selectorIdlEEZNS1_25segmented_radix_sort_implIS3_Lb0EPKdPdPKlPlN2at6native12_GLOBAL__N_18offset_tEEE10hipError_tPvRmT1_PNSt15iterator_traitsISK_E10value_typeET2_T3_PNSL_ISQ_E10value_typeET4_jRbjT5_SW_jjP12ihipStream_tbEUlT_E_NS1_11comp_targetILNS1_3genE10ELNS1_11target_archE1201ELNS1_3gpuE5ELNS1_3repE0EEENS1_30default_config_static_selectorELNS0_4arch9wavefront6targetE1EEEvSK_,comdat
.Lfunc_end1225:
	.size	_ZN7rocprim17ROCPRIM_400000_NS6detail17trampoline_kernelINS0_14default_configENS1_36segmented_radix_sort_config_selectorIdlEEZNS1_25segmented_radix_sort_implIS3_Lb0EPKdPdPKlPlN2at6native12_GLOBAL__N_18offset_tEEE10hipError_tPvRmT1_PNSt15iterator_traitsISK_E10value_typeET2_T3_PNSL_ISQ_E10value_typeET4_jRbjT5_SW_jjP12ihipStream_tbEUlT_E_NS1_11comp_targetILNS1_3genE10ELNS1_11target_archE1201ELNS1_3gpuE5ELNS1_3repE0EEENS1_30default_config_static_selectorELNS0_4arch9wavefront6targetE1EEEvSK_, .Lfunc_end1225-_ZN7rocprim17ROCPRIM_400000_NS6detail17trampoline_kernelINS0_14default_configENS1_36segmented_radix_sort_config_selectorIdlEEZNS1_25segmented_radix_sort_implIS3_Lb0EPKdPdPKlPlN2at6native12_GLOBAL__N_18offset_tEEE10hipError_tPvRmT1_PNSt15iterator_traitsISK_E10value_typeET2_T3_PNSL_ISQ_E10value_typeET4_jRbjT5_SW_jjP12ihipStream_tbEUlT_E_NS1_11comp_targetILNS1_3genE10ELNS1_11target_archE1201ELNS1_3gpuE5ELNS1_3repE0EEENS1_30default_config_static_selectorELNS0_4arch9wavefront6targetE1EEEvSK_
                                        ; -- End function
	.section	.AMDGPU.csdata,"",@progbits
; Kernel info:
; codeLenInByte = 0
; NumSgprs: 4
; NumVgprs: 0
; NumAgprs: 0
; TotalNumVgprs: 0
; ScratchSize: 0
; MemoryBound: 0
; FloatMode: 240
; IeeeMode: 1
; LDSByteSize: 0 bytes/workgroup (compile time only)
; SGPRBlocks: 0
; VGPRBlocks: 0
; NumSGPRsForWavesPerEU: 4
; NumVGPRsForWavesPerEU: 1
; AccumOffset: 4
; Occupancy: 8
; WaveLimiterHint : 0
; COMPUTE_PGM_RSRC2:SCRATCH_EN: 0
; COMPUTE_PGM_RSRC2:USER_SGPR: 6
; COMPUTE_PGM_RSRC2:TRAP_HANDLER: 0
; COMPUTE_PGM_RSRC2:TGID_X_EN: 1
; COMPUTE_PGM_RSRC2:TGID_Y_EN: 0
; COMPUTE_PGM_RSRC2:TGID_Z_EN: 0
; COMPUTE_PGM_RSRC2:TIDIG_COMP_CNT: 0
; COMPUTE_PGM_RSRC3_GFX90A:ACCUM_OFFSET: 0
; COMPUTE_PGM_RSRC3_GFX90A:TG_SPLIT: 0
	.section	.text._ZN7rocprim17ROCPRIM_400000_NS6detail17trampoline_kernelINS0_14default_configENS1_36segmented_radix_sort_config_selectorIdlEEZNS1_25segmented_radix_sort_implIS3_Lb0EPKdPdPKlPlN2at6native12_GLOBAL__N_18offset_tEEE10hipError_tPvRmT1_PNSt15iterator_traitsISK_E10value_typeET2_T3_PNSL_ISQ_E10value_typeET4_jRbjT5_SW_jjP12ihipStream_tbEUlT_E_NS1_11comp_targetILNS1_3genE10ELNS1_11target_archE1200ELNS1_3gpuE4ELNS1_3repE0EEENS1_30default_config_static_selectorELNS0_4arch9wavefront6targetE1EEEvSK_,"axG",@progbits,_ZN7rocprim17ROCPRIM_400000_NS6detail17trampoline_kernelINS0_14default_configENS1_36segmented_radix_sort_config_selectorIdlEEZNS1_25segmented_radix_sort_implIS3_Lb0EPKdPdPKlPlN2at6native12_GLOBAL__N_18offset_tEEE10hipError_tPvRmT1_PNSt15iterator_traitsISK_E10value_typeET2_T3_PNSL_ISQ_E10value_typeET4_jRbjT5_SW_jjP12ihipStream_tbEUlT_E_NS1_11comp_targetILNS1_3genE10ELNS1_11target_archE1200ELNS1_3gpuE4ELNS1_3repE0EEENS1_30default_config_static_selectorELNS0_4arch9wavefront6targetE1EEEvSK_,comdat
	.globl	_ZN7rocprim17ROCPRIM_400000_NS6detail17trampoline_kernelINS0_14default_configENS1_36segmented_radix_sort_config_selectorIdlEEZNS1_25segmented_radix_sort_implIS3_Lb0EPKdPdPKlPlN2at6native12_GLOBAL__N_18offset_tEEE10hipError_tPvRmT1_PNSt15iterator_traitsISK_E10value_typeET2_T3_PNSL_ISQ_E10value_typeET4_jRbjT5_SW_jjP12ihipStream_tbEUlT_E_NS1_11comp_targetILNS1_3genE10ELNS1_11target_archE1200ELNS1_3gpuE4ELNS1_3repE0EEENS1_30default_config_static_selectorELNS0_4arch9wavefront6targetE1EEEvSK_ ; -- Begin function _ZN7rocprim17ROCPRIM_400000_NS6detail17trampoline_kernelINS0_14default_configENS1_36segmented_radix_sort_config_selectorIdlEEZNS1_25segmented_radix_sort_implIS3_Lb0EPKdPdPKlPlN2at6native12_GLOBAL__N_18offset_tEEE10hipError_tPvRmT1_PNSt15iterator_traitsISK_E10value_typeET2_T3_PNSL_ISQ_E10value_typeET4_jRbjT5_SW_jjP12ihipStream_tbEUlT_E_NS1_11comp_targetILNS1_3genE10ELNS1_11target_archE1200ELNS1_3gpuE4ELNS1_3repE0EEENS1_30default_config_static_selectorELNS0_4arch9wavefront6targetE1EEEvSK_
	.p2align	8
	.type	_ZN7rocprim17ROCPRIM_400000_NS6detail17trampoline_kernelINS0_14default_configENS1_36segmented_radix_sort_config_selectorIdlEEZNS1_25segmented_radix_sort_implIS3_Lb0EPKdPdPKlPlN2at6native12_GLOBAL__N_18offset_tEEE10hipError_tPvRmT1_PNSt15iterator_traitsISK_E10value_typeET2_T3_PNSL_ISQ_E10value_typeET4_jRbjT5_SW_jjP12ihipStream_tbEUlT_E_NS1_11comp_targetILNS1_3genE10ELNS1_11target_archE1200ELNS1_3gpuE4ELNS1_3repE0EEENS1_30default_config_static_selectorELNS0_4arch9wavefront6targetE1EEEvSK_,@function
_ZN7rocprim17ROCPRIM_400000_NS6detail17trampoline_kernelINS0_14default_configENS1_36segmented_radix_sort_config_selectorIdlEEZNS1_25segmented_radix_sort_implIS3_Lb0EPKdPdPKlPlN2at6native12_GLOBAL__N_18offset_tEEE10hipError_tPvRmT1_PNSt15iterator_traitsISK_E10value_typeET2_T3_PNSL_ISQ_E10value_typeET4_jRbjT5_SW_jjP12ihipStream_tbEUlT_E_NS1_11comp_targetILNS1_3genE10ELNS1_11target_archE1200ELNS1_3gpuE4ELNS1_3repE0EEENS1_30default_config_static_selectorELNS0_4arch9wavefront6targetE1EEEvSK_: ; @_ZN7rocprim17ROCPRIM_400000_NS6detail17trampoline_kernelINS0_14default_configENS1_36segmented_radix_sort_config_selectorIdlEEZNS1_25segmented_radix_sort_implIS3_Lb0EPKdPdPKlPlN2at6native12_GLOBAL__N_18offset_tEEE10hipError_tPvRmT1_PNSt15iterator_traitsISK_E10value_typeET2_T3_PNSL_ISQ_E10value_typeET4_jRbjT5_SW_jjP12ihipStream_tbEUlT_E_NS1_11comp_targetILNS1_3genE10ELNS1_11target_archE1200ELNS1_3gpuE4ELNS1_3repE0EEENS1_30default_config_static_selectorELNS0_4arch9wavefront6targetE1EEEvSK_
; %bb.0:
	.section	.rodata,"a",@progbits
	.p2align	6, 0x0
	.amdhsa_kernel _ZN7rocprim17ROCPRIM_400000_NS6detail17trampoline_kernelINS0_14default_configENS1_36segmented_radix_sort_config_selectorIdlEEZNS1_25segmented_radix_sort_implIS3_Lb0EPKdPdPKlPlN2at6native12_GLOBAL__N_18offset_tEEE10hipError_tPvRmT1_PNSt15iterator_traitsISK_E10value_typeET2_T3_PNSL_ISQ_E10value_typeET4_jRbjT5_SW_jjP12ihipStream_tbEUlT_E_NS1_11comp_targetILNS1_3genE10ELNS1_11target_archE1200ELNS1_3gpuE4ELNS1_3repE0EEENS1_30default_config_static_selectorELNS0_4arch9wavefront6targetE1EEEvSK_
		.amdhsa_group_segment_fixed_size 0
		.amdhsa_private_segment_fixed_size 0
		.amdhsa_kernarg_size 96
		.amdhsa_user_sgpr_count 6
		.amdhsa_user_sgpr_private_segment_buffer 1
		.amdhsa_user_sgpr_dispatch_ptr 0
		.amdhsa_user_sgpr_queue_ptr 0
		.amdhsa_user_sgpr_kernarg_segment_ptr 1
		.amdhsa_user_sgpr_dispatch_id 0
		.amdhsa_user_sgpr_flat_scratch_init 0
		.amdhsa_user_sgpr_kernarg_preload_length 0
		.amdhsa_user_sgpr_kernarg_preload_offset 0
		.amdhsa_user_sgpr_private_segment_size 0
		.amdhsa_uses_dynamic_stack 0
		.amdhsa_system_sgpr_private_segment_wavefront_offset 0
		.amdhsa_system_sgpr_workgroup_id_x 1
		.amdhsa_system_sgpr_workgroup_id_y 0
		.amdhsa_system_sgpr_workgroup_id_z 0
		.amdhsa_system_sgpr_workgroup_info 0
		.amdhsa_system_vgpr_workitem_id 0
		.amdhsa_next_free_vgpr 1
		.amdhsa_next_free_sgpr 0
		.amdhsa_accum_offset 4
		.amdhsa_reserve_vcc 0
		.amdhsa_reserve_flat_scratch 0
		.amdhsa_float_round_mode_32 0
		.amdhsa_float_round_mode_16_64 0
		.amdhsa_float_denorm_mode_32 3
		.amdhsa_float_denorm_mode_16_64 3
		.amdhsa_dx10_clamp 1
		.amdhsa_ieee_mode 1
		.amdhsa_fp16_overflow 0
		.amdhsa_tg_split 0
		.amdhsa_exception_fp_ieee_invalid_op 0
		.amdhsa_exception_fp_denorm_src 0
		.amdhsa_exception_fp_ieee_div_zero 0
		.amdhsa_exception_fp_ieee_overflow 0
		.amdhsa_exception_fp_ieee_underflow 0
		.amdhsa_exception_fp_ieee_inexact 0
		.amdhsa_exception_int_div_zero 0
	.end_amdhsa_kernel
	.section	.text._ZN7rocprim17ROCPRIM_400000_NS6detail17trampoline_kernelINS0_14default_configENS1_36segmented_radix_sort_config_selectorIdlEEZNS1_25segmented_radix_sort_implIS3_Lb0EPKdPdPKlPlN2at6native12_GLOBAL__N_18offset_tEEE10hipError_tPvRmT1_PNSt15iterator_traitsISK_E10value_typeET2_T3_PNSL_ISQ_E10value_typeET4_jRbjT5_SW_jjP12ihipStream_tbEUlT_E_NS1_11comp_targetILNS1_3genE10ELNS1_11target_archE1200ELNS1_3gpuE4ELNS1_3repE0EEENS1_30default_config_static_selectorELNS0_4arch9wavefront6targetE1EEEvSK_,"axG",@progbits,_ZN7rocprim17ROCPRIM_400000_NS6detail17trampoline_kernelINS0_14default_configENS1_36segmented_radix_sort_config_selectorIdlEEZNS1_25segmented_radix_sort_implIS3_Lb0EPKdPdPKlPlN2at6native12_GLOBAL__N_18offset_tEEE10hipError_tPvRmT1_PNSt15iterator_traitsISK_E10value_typeET2_T3_PNSL_ISQ_E10value_typeET4_jRbjT5_SW_jjP12ihipStream_tbEUlT_E_NS1_11comp_targetILNS1_3genE10ELNS1_11target_archE1200ELNS1_3gpuE4ELNS1_3repE0EEENS1_30default_config_static_selectorELNS0_4arch9wavefront6targetE1EEEvSK_,comdat
.Lfunc_end1226:
	.size	_ZN7rocprim17ROCPRIM_400000_NS6detail17trampoline_kernelINS0_14default_configENS1_36segmented_radix_sort_config_selectorIdlEEZNS1_25segmented_radix_sort_implIS3_Lb0EPKdPdPKlPlN2at6native12_GLOBAL__N_18offset_tEEE10hipError_tPvRmT1_PNSt15iterator_traitsISK_E10value_typeET2_T3_PNSL_ISQ_E10value_typeET4_jRbjT5_SW_jjP12ihipStream_tbEUlT_E_NS1_11comp_targetILNS1_3genE10ELNS1_11target_archE1200ELNS1_3gpuE4ELNS1_3repE0EEENS1_30default_config_static_selectorELNS0_4arch9wavefront6targetE1EEEvSK_, .Lfunc_end1226-_ZN7rocprim17ROCPRIM_400000_NS6detail17trampoline_kernelINS0_14default_configENS1_36segmented_radix_sort_config_selectorIdlEEZNS1_25segmented_radix_sort_implIS3_Lb0EPKdPdPKlPlN2at6native12_GLOBAL__N_18offset_tEEE10hipError_tPvRmT1_PNSt15iterator_traitsISK_E10value_typeET2_T3_PNSL_ISQ_E10value_typeET4_jRbjT5_SW_jjP12ihipStream_tbEUlT_E_NS1_11comp_targetILNS1_3genE10ELNS1_11target_archE1200ELNS1_3gpuE4ELNS1_3repE0EEENS1_30default_config_static_selectorELNS0_4arch9wavefront6targetE1EEEvSK_
                                        ; -- End function
	.section	.AMDGPU.csdata,"",@progbits
; Kernel info:
; codeLenInByte = 0
; NumSgprs: 4
; NumVgprs: 0
; NumAgprs: 0
; TotalNumVgprs: 0
; ScratchSize: 0
; MemoryBound: 0
; FloatMode: 240
; IeeeMode: 1
; LDSByteSize: 0 bytes/workgroup (compile time only)
; SGPRBlocks: 0
; VGPRBlocks: 0
; NumSGPRsForWavesPerEU: 4
; NumVGPRsForWavesPerEU: 1
; AccumOffset: 4
; Occupancy: 8
; WaveLimiterHint : 0
; COMPUTE_PGM_RSRC2:SCRATCH_EN: 0
; COMPUTE_PGM_RSRC2:USER_SGPR: 6
; COMPUTE_PGM_RSRC2:TRAP_HANDLER: 0
; COMPUTE_PGM_RSRC2:TGID_X_EN: 1
; COMPUTE_PGM_RSRC2:TGID_Y_EN: 0
; COMPUTE_PGM_RSRC2:TGID_Z_EN: 0
; COMPUTE_PGM_RSRC2:TIDIG_COMP_CNT: 0
; COMPUTE_PGM_RSRC3_GFX90A:ACCUM_OFFSET: 0
; COMPUTE_PGM_RSRC3_GFX90A:TG_SPLIT: 0
	.section	.text._ZN7rocprim17ROCPRIM_400000_NS6detail17trampoline_kernelINS0_14default_configENS1_36segmented_radix_sort_config_selectorIdlEEZNS1_25segmented_radix_sort_implIS3_Lb0EPKdPdPKlPlN2at6native12_GLOBAL__N_18offset_tEEE10hipError_tPvRmT1_PNSt15iterator_traitsISK_E10value_typeET2_T3_PNSL_ISQ_E10value_typeET4_jRbjT5_SW_jjP12ihipStream_tbEUlT_E_NS1_11comp_targetILNS1_3genE9ELNS1_11target_archE1100ELNS1_3gpuE3ELNS1_3repE0EEENS1_30default_config_static_selectorELNS0_4arch9wavefront6targetE1EEEvSK_,"axG",@progbits,_ZN7rocprim17ROCPRIM_400000_NS6detail17trampoline_kernelINS0_14default_configENS1_36segmented_radix_sort_config_selectorIdlEEZNS1_25segmented_radix_sort_implIS3_Lb0EPKdPdPKlPlN2at6native12_GLOBAL__N_18offset_tEEE10hipError_tPvRmT1_PNSt15iterator_traitsISK_E10value_typeET2_T3_PNSL_ISQ_E10value_typeET4_jRbjT5_SW_jjP12ihipStream_tbEUlT_E_NS1_11comp_targetILNS1_3genE9ELNS1_11target_archE1100ELNS1_3gpuE3ELNS1_3repE0EEENS1_30default_config_static_selectorELNS0_4arch9wavefront6targetE1EEEvSK_,comdat
	.globl	_ZN7rocprim17ROCPRIM_400000_NS6detail17trampoline_kernelINS0_14default_configENS1_36segmented_radix_sort_config_selectorIdlEEZNS1_25segmented_radix_sort_implIS3_Lb0EPKdPdPKlPlN2at6native12_GLOBAL__N_18offset_tEEE10hipError_tPvRmT1_PNSt15iterator_traitsISK_E10value_typeET2_T3_PNSL_ISQ_E10value_typeET4_jRbjT5_SW_jjP12ihipStream_tbEUlT_E_NS1_11comp_targetILNS1_3genE9ELNS1_11target_archE1100ELNS1_3gpuE3ELNS1_3repE0EEENS1_30default_config_static_selectorELNS0_4arch9wavefront6targetE1EEEvSK_ ; -- Begin function _ZN7rocprim17ROCPRIM_400000_NS6detail17trampoline_kernelINS0_14default_configENS1_36segmented_radix_sort_config_selectorIdlEEZNS1_25segmented_radix_sort_implIS3_Lb0EPKdPdPKlPlN2at6native12_GLOBAL__N_18offset_tEEE10hipError_tPvRmT1_PNSt15iterator_traitsISK_E10value_typeET2_T3_PNSL_ISQ_E10value_typeET4_jRbjT5_SW_jjP12ihipStream_tbEUlT_E_NS1_11comp_targetILNS1_3genE9ELNS1_11target_archE1100ELNS1_3gpuE3ELNS1_3repE0EEENS1_30default_config_static_selectorELNS0_4arch9wavefront6targetE1EEEvSK_
	.p2align	8
	.type	_ZN7rocprim17ROCPRIM_400000_NS6detail17trampoline_kernelINS0_14default_configENS1_36segmented_radix_sort_config_selectorIdlEEZNS1_25segmented_radix_sort_implIS3_Lb0EPKdPdPKlPlN2at6native12_GLOBAL__N_18offset_tEEE10hipError_tPvRmT1_PNSt15iterator_traitsISK_E10value_typeET2_T3_PNSL_ISQ_E10value_typeET4_jRbjT5_SW_jjP12ihipStream_tbEUlT_E_NS1_11comp_targetILNS1_3genE9ELNS1_11target_archE1100ELNS1_3gpuE3ELNS1_3repE0EEENS1_30default_config_static_selectorELNS0_4arch9wavefront6targetE1EEEvSK_,@function
_ZN7rocprim17ROCPRIM_400000_NS6detail17trampoline_kernelINS0_14default_configENS1_36segmented_radix_sort_config_selectorIdlEEZNS1_25segmented_radix_sort_implIS3_Lb0EPKdPdPKlPlN2at6native12_GLOBAL__N_18offset_tEEE10hipError_tPvRmT1_PNSt15iterator_traitsISK_E10value_typeET2_T3_PNSL_ISQ_E10value_typeET4_jRbjT5_SW_jjP12ihipStream_tbEUlT_E_NS1_11comp_targetILNS1_3genE9ELNS1_11target_archE1100ELNS1_3gpuE3ELNS1_3repE0EEENS1_30default_config_static_selectorELNS0_4arch9wavefront6targetE1EEEvSK_: ; @_ZN7rocprim17ROCPRIM_400000_NS6detail17trampoline_kernelINS0_14default_configENS1_36segmented_radix_sort_config_selectorIdlEEZNS1_25segmented_radix_sort_implIS3_Lb0EPKdPdPKlPlN2at6native12_GLOBAL__N_18offset_tEEE10hipError_tPvRmT1_PNSt15iterator_traitsISK_E10value_typeET2_T3_PNSL_ISQ_E10value_typeET4_jRbjT5_SW_jjP12ihipStream_tbEUlT_E_NS1_11comp_targetILNS1_3genE9ELNS1_11target_archE1100ELNS1_3gpuE3ELNS1_3repE0EEENS1_30default_config_static_selectorELNS0_4arch9wavefront6targetE1EEEvSK_
; %bb.0:
	.section	.rodata,"a",@progbits
	.p2align	6, 0x0
	.amdhsa_kernel _ZN7rocprim17ROCPRIM_400000_NS6detail17trampoline_kernelINS0_14default_configENS1_36segmented_radix_sort_config_selectorIdlEEZNS1_25segmented_radix_sort_implIS3_Lb0EPKdPdPKlPlN2at6native12_GLOBAL__N_18offset_tEEE10hipError_tPvRmT1_PNSt15iterator_traitsISK_E10value_typeET2_T3_PNSL_ISQ_E10value_typeET4_jRbjT5_SW_jjP12ihipStream_tbEUlT_E_NS1_11comp_targetILNS1_3genE9ELNS1_11target_archE1100ELNS1_3gpuE3ELNS1_3repE0EEENS1_30default_config_static_selectorELNS0_4arch9wavefront6targetE1EEEvSK_
		.amdhsa_group_segment_fixed_size 0
		.amdhsa_private_segment_fixed_size 0
		.amdhsa_kernarg_size 96
		.amdhsa_user_sgpr_count 6
		.amdhsa_user_sgpr_private_segment_buffer 1
		.amdhsa_user_sgpr_dispatch_ptr 0
		.amdhsa_user_sgpr_queue_ptr 0
		.amdhsa_user_sgpr_kernarg_segment_ptr 1
		.amdhsa_user_sgpr_dispatch_id 0
		.amdhsa_user_sgpr_flat_scratch_init 0
		.amdhsa_user_sgpr_kernarg_preload_length 0
		.amdhsa_user_sgpr_kernarg_preload_offset 0
		.amdhsa_user_sgpr_private_segment_size 0
		.amdhsa_uses_dynamic_stack 0
		.amdhsa_system_sgpr_private_segment_wavefront_offset 0
		.amdhsa_system_sgpr_workgroup_id_x 1
		.amdhsa_system_sgpr_workgroup_id_y 0
		.amdhsa_system_sgpr_workgroup_id_z 0
		.amdhsa_system_sgpr_workgroup_info 0
		.amdhsa_system_vgpr_workitem_id 0
		.amdhsa_next_free_vgpr 1
		.amdhsa_next_free_sgpr 0
		.amdhsa_accum_offset 4
		.amdhsa_reserve_vcc 0
		.amdhsa_reserve_flat_scratch 0
		.amdhsa_float_round_mode_32 0
		.amdhsa_float_round_mode_16_64 0
		.amdhsa_float_denorm_mode_32 3
		.amdhsa_float_denorm_mode_16_64 3
		.amdhsa_dx10_clamp 1
		.amdhsa_ieee_mode 1
		.amdhsa_fp16_overflow 0
		.amdhsa_tg_split 0
		.amdhsa_exception_fp_ieee_invalid_op 0
		.amdhsa_exception_fp_denorm_src 0
		.amdhsa_exception_fp_ieee_div_zero 0
		.amdhsa_exception_fp_ieee_overflow 0
		.amdhsa_exception_fp_ieee_underflow 0
		.amdhsa_exception_fp_ieee_inexact 0
		.amdhsa_exception_int_div_zero 0
	.end_amdhsa_kernel
	.section	.text._ZN7rocprim17ROCPRIM_400000_NS6detail17trampoline_kernelINS0_14default_configENS1_36segmented_radix_sort_config_selectorIdlEEZNS1_25segmented_radix_sort_implIS3_Lb0EPKdPdPKlPlN2at6native12_GLOBAL__N_18offset_tEEE10hipError_tPvRmT1_PNSt15iterator_traitsISK_E10value_typeET2_T3_PNSL_ISQ_E10value_typeET4_jRbjT5_SW_jjP12ihipStream_tbEUlT_E_NS1_11comp_targetILNS1_3genE9ELNS1_11target_archE1100ELNS1_3gpuE3ELNS1_3repE0EEENS1_30default_config_static_selectorELNS0_4arch9wavefront6targetE1EEEvSK_,"axG",@progbits,_ZN7rocprim17ROCPRIM_400000_NS6detail17trampoline_kernelINS0_14default_configENS1_36segmented_radix_sort_config_selectorIdlEEZNS1_25segmented_radix_sort_implIS3_Lb0EPKdPdPKlPlN2at6native12_GLOBAL__N_18offset_tEEE10hipError_tPvRmT1_PNSt15iterator_traitsISK_E10value_typeET2_T3_PNSL_ISQ_E10value_typeET4_jRbjT5_SW_jjP12ihipStream_tbEUlT_E_NS1_11comp_targetILNS1_3genE9ELNS1_11target_archE1100ELNS1_3gpuE3ELNS1_3repE0EEENS1_30default_config_static_selectorELNS0_4arch9wavefront6targetE1EEEvSK_,comdat
.Lfunc_end1227:
	.size	_ZN7rocprim17ROCPRIM_400000_NS6detail17trampoline_kernelINS0_14default_configENS1_36segmented_radix_sort_config_selectorIdlEEZNS1_25segmented_radix_sort_implIS3_Lb0EPKdPdPKlPlN2at6native12_GLOBAL__N_18offset_tEEE10hipError_tPvRmT1_PNSt15iterator_traitsISK_E10value_typeET2_T3_PNSL_ISQ_E10value_typeET4_jRbjT5_SW_jjP12ihipStream_tbEUlT_E_NS1_11comp_targetILNS1_3genE9ELNS1_11target_archE1100ELNS1_3gpuE3ELNS1_3repE0EEENS1_30default_config_static_selectorELNS0_4arch9wavefront6targetE1EEEvSK_, .Lfunc_end1227-_ZN7rocprim17ROCPRIM_400000_NS6detail17trampoline_kernelINS0_14default_configENS1_36segmented_radix_sort_config_selectorIdlEEZNS1_25segmented_radix_sort_implIS3_Lb0EPKdPdPKlPlN2at6native12_GLOBAL__N_18offset_tEEE10hipError_tPvRmT1_PNSt15iterator_traitsISK_E10value_typeET2_T3_PNSL_ISQ_E10value_typeET4_jRbjT5_SW_jjP12ihipStream_tbEUlT_E_NS1_11comp_targetILNS1_3genE9ELNS1_11target_archE1100ELNS1_3gpuE3ELNS1_3repE0EEENS1_30default_config_static_selectorELNS0_4arch9wavefront6targetE1EEEvSK_
                                        ; -- End function
	.section	.AMDGPU.csdata,"",@progbits
; Kernel info:
; codeLenInByte = 0
; NumSgprs: 4
; NumVgprs: 0
; NumAgprs: 0
; TotalNumVgprs: 0
; ScratchSize: 0
; MemoryBound: 0
; FloatMode: 240
; IeeeMode: 1
; LDSByteSize: 0 bytes/workgroup (compile time only)
; SGPRBlocks: 0
; VGPRBlocks: 0
; NumSGPRsForWavesPerEU: 4
; NumVGPRsForWavesPerEU: 1
; AccumOffset: 4
; Occupancy: 8
; WaveLimiterHint : 0
; COMPUTE_PGM_RSRC2:SCRATCH_EN: 0
; COMPUTE_PGM_RSRC2:USER_SGPR: 6
; COMPUTE_PGM_RSRC2:TRAP_HANDLER: 0
; COMPUTE_PGM_RSRC2:TGID_X_EN: 1
; COMPUTE_PGM_RSRC2:TGID_Y_EN: 0
; COMPUTE_PGM_RSRC2:TGID_Z_EN: 0
; COMPUTE_PGM_RSRC2:TIDIG_COMP_CNT: 0
; COMPUTE_PGM_RSRC3_GFX90A:ACCUM_OFFSET: 0
; COMPUTE_PGM_RSRC3_GFX90A:TG_SPLIT: 0
	.section	.text._ZN7rocprim17ROCPRIM_400000_NS6detail17trampoline_kernelINS0_14default_configENS1_36segmented_radix_sort_config_selectorIdlEEZNS1_25segmented_radix_sort_implIS3_Lb0EPKdPdPKlPlN2at6native12_GLOBAL__N_18offset_tEEE10hipError_tPvRmT1_PNSt15iterator_traitsISK_E10value_typeET2_T3_PNSL_ISQ_E10value_typeET4_jRbjT5_SW_jjP12ihipStream_tbEUlT_E_NS1_11comp_targetILNS1_3genE8ELNS1_11target_archE1030ELNS1_3gpuE2ELNS1_3repE0EEENS1_30default_config_static_selectorELNS0_4arch9wavefront6targetE1EEEvSK_,"axG",@progbits,_ZN7rocprim17ROCPRIM_400000_NS6detail17trampoline_kernelINS0_14default_configENS1_36segmented_radix_sort_config_selectorIdlEEZNS1_25segmented_radix_sort_implIS3_Lb0EPKdPdPKlPlN2at6native12_GLOBAL__N_18offset_tEEE10hipError_tPvRmT1_PNSt15iterator_traitsISK_E10value_typeET2_T3_PNSL_ISQ_E10value_typeET4_jRbjT5_SW_jjP12ihipStream_tbEUlT_E_NS1_11comp_targetILNS1_3genE8ELNS1_11target_archE1030ELNS1_3gpuE2ELNS1_3repE0EEENS1_30default_config_static_selectorELNS0_4arch9wavefront6targetE1EEEvSK_,comdat
	.globl	_ZN7rocprim17ROCPRIM_400000_NS6detail17trampoline_kernelINS0_14default_configENS1_36segmented_radix_sort_config_selectorIdlEEZNS1_25segmented_radix_sort_implIS3_Lb0EPKdPdPKlPlN2at6native12_GLOBAL__N_18offset_tEEE10hipError_tPvRmT1_PNSt15iterator_traitsISK_E10value_typeET2_T3_PNSL_ISQ_E10value_typeET4_jRbjT5_SW_jjP12ihipStream_tbEUlT_E_NS1_11comp_targetILNS1_3genE8ELNS1_11target_archE1030ELNS1_3gpuE2ELNS1_3repE0EEENS1_30default_config_static_selectorELNS0_4arch9wavefront6targetE1EEEvSK_ ; -- Begin function _ZN7rocprim17ROCPRIM_400000_NS6detail17trampoline_kernelINS0_14default_configENS1_36segmented_radix_sort_config_selectorIdlEEZNS1_25segmented_radix_sort_implIS3_Lb0EPKdPdPKlPlN2at6native12_GLOBAL__N_18offset_tEEE10hipError_tPvRmT1_PNSt15iterator_traitsISK_E10value_typeET2_T3_PNSL_ISQ_E10value_typeET4_jRbjT5_SW_jjP12ihipStream_tbEUlT_E_NS1_11comp_targetILNS1_3genE8ELNS1_11target_archE1030ELNS1_3gpuE2ELNS1_3repE0EEENS1_30default_config_static_selectorELNS0_4arch9wavefront6targetE1EEEvSK_
	.p2align	8
	.type	_ZN7rocprim17ROCPRIM_400000_NS6detail17trampoline_kernelINS0_14default_configENS1_36segmented_radix_sort_config_selectorIdlEEZNS1_25segmented_radix_sort_implIS3_Lb0EPKdPdPKlPlN2at6native12_GLOBAL__N_18offset_tEEE10hipError_tPvRmT1_PNSt15iterator_traitsISK_E10value_typeET2_T3_PNSL_ISQ_E10value_typeET4_jRbjT5_SW_jjP12ihipStream_tbEUlT_E_NS1_11comp_targetILNS1_3genE8ELNS1_11target_archE1030ELNS1_3gpuE2ELNS1_3repE0EEENS1_30default_config_static_selectorELNS0_4arch9wavefront6targetE1EEEvSK_,@function
_ZN7rocprim17ROCPRIM_400000_NS6detail17trampoline_kernelINS0_14default_configENS1_36segmented_radix_sort_config_selectorIdlEEZNS1_25segmented_radix_sort_implIS3_Lb0EPKdPdPKlPlN2at6native12_GLOBAL__N_18offset_tEEE10hipError_tPvRmT1_PNSt15iterator_traitsISK_E10value_typeET2_T3_PNSL_ISQ_E10value_typeET4_jRbjT5_SW_jjP12ihipStream_tbEUlT_E_NS1_11comp_targetILNS1_3genE8ELNS1_11target_archE1030ELNS1_3gpuE2ELNS1_3repE0EEENS1_30default_config_static_selectorELNS0_4arch9wavefront6targetE1EEEvSK_: ; @_ZN7rocprim17ROCPRIM_400000_NS6detail17trampoline_kernelINS0_14default_configENS1_36segmented_radix_sort_config_selectorIdlEEZNS1_25segmented_radix_sort_implIS3_Lb0EPKdPdPKlPlN2at6native12_GLOBAL__N_18offset_tEEE10hipError_tPvRmT1_PNSt15iterator_traitsISK_E10value_typeET2_T3_PNSL_ISQ_E10value_typeET4_jRbjT5_SW_jjP12ihipStream_tbEUlT_E_NS1_11comp_targetILNS1_3genE8ELNS1_11target_archE1030ELNS1_3gpuE2ELNS1_3repE0EEENS1_30default_config_static_selectorELNS0_4arch9wavefront6targetE1EEEvSK_
; %bb.0:
	.section	.rodata,"a",@progbits
	.p2align	6, 0x0
	.amdhsa_kernel _ZN7rocprim17ROCPRIM_400000_NS6detail17trampoline_kernelINS0_14default_configENS1_36segmented_radix_sort_config_selectorIdlEEZNS1_25segmented_radix_sort_implIS3_Lb0EPKdPdPKlPlN2at6native12_GLOBAL__N_18offset_tEEE10hipError_tPvRmT1_PNSt15iterator_traitsISK_E10value_typeET2_T3_PNSL_ISQ_E10value_typeET4_jRbjT5_SW_jjP12ihipStream_tbEUlT_E_NS1_11comp_targetILNS1_3genE8ELNS1_11target_archE1030ELNS1_3gpuE2ELNS1_3repE0EEENS1_30default_config_static_selectorELNS0_4arch9wavefront6targetE1EEEvSK_
		.amdhsa_group_segment_fixed_size 0
		.amdhsa_private_segment_fixed_size 0
		.amdhsa_kernarg_size 96
		.amdhsa_user_sgpr_count 6
		.amdhsa_user_sgpr_private_segment_buffer 1
		.amdhsa_user_sgpr_dispatch_ptr 0
		.amdhsa_user_sgpr_queue_ptr 0
		.amdhsa_user_sgpr_kernarg_segment_ptr 1
		.amdhsa_user_sgpr_dispatch_id 0
		.amdhsa_user_sgpr_flat_scratch_init 0
		.amdhsa_user_sgpr_kernarg_preload_length 0
		.amdhsa_user_sgpr_kernarg_preload_offset 0
		.amdhsa_user_sgpr_private_segment_size 0
		.amdhsa_uses_dynamic_stack 0
		.amdhsa_system_sgpr_private_segment_wavefront_offset 0
		.amdhsa_system_sgpr_workgroup_id_x 1
		.amdhsa_system_sgpr_workgroup_id_y 0
		.amdhsa_system_sgpr_workgroup_id_z 0
		.amdhsa_system_sgpr_workgroup_info 0
		.amdhsa_system_vgpr_workitem_id 0
		.amdhsa_next_free_vgpr 1
		.amdhsa_next_free_sgpr 0
		.amdhsa_accum_offset 4
		.amdhsa_reserve_vcc 0
		.amdhsa_reserve_flat_scratch 0
		.amdhsa_float_round_mode_32 0
		.amdhsa_float_round_mode_16_64 0
		.amdhsa_float_denorm_mode_32 3
		.amdhsa_float_denorm_mode_16_64 3
		.amdhsa_dx10_clamp 1
		.amdhsa_ieee_mode 1
		.amdhsa_fp16_overflow 0
		.amdhsa_tg_split 0
		.amdhsa_exception_fp_ieee_invalid_op 0
		.amdhsa_exception_fp_denorm_src 0
		.amdhsa_exception_fp_ieee_div_zero 0
		.amdhsa_exception_fp_ieee_overflow 0
		.amdhsa_exception_fp_ieee_underflow 0
		.amdhsa_exception_fp_ieee_inexact 0
		.amdhsa_exception_int_div_zero 0
	.end_amdhsa_kernel
	.section	.text._ZN7rocprim17ROCPRIM_400000_NS6detail17trampoline_kernelINS0_14default_configENS1_36segmented_radix_sort_config_selectorIdlEEZNS1_25segmented_radix_sort_implIS3_Lb0EPKdPdPKlPlN2at6native12_GLOBAL__N_18offset_tEEE10hipError_tPvRmT1_PNSt15iterator_traitsISK_E10value_typeET2_T3_PNSL_ISQ_E10value_typeET4_jRbjT5_SW_jjP12ihipStream_tbEUlT_E_NS1_11comp_targetILNS1_3genE8ELNS1_11target_archE1030ELNS1_3gpuE2ELNS1_3repE0EEENS1_30default_config_static_selectorELNS0_4arch9wavefront6targetE1EEEvSK_,"axG",@progbits,_ZN7rocprim17ROCPRIM_400000_NS6detail17trampoline_kernelINS0_14default_configENS1_36segmented_radix_sort_config_selectorIdlEEZNS1_25segmented_radix_sort_implIS3_Lb0EPKdPdPKlPlN2at6native12_GLOBAL__N_18offset_tEEE10hipError_tPvRmT1_PNSt15iterator_traitsISK_E10value_typeET2_T3_PNSL_ISQ_E10value_typeET4_jRbjT5_SW_jjP12ihipStream_tbEUlT_E_NS1_11comp_targetILNS1_3genE8ELNS1_11target_archE1030ELNS1_3gpuE2ELNS1_3repE0EEENS1_30default_config_static_selectorELNS0_4arch9wavefront6targetE1EEEvSK_,comdat
.Lfunc_end1228:
	.size	_ZN7rocprim17ROCPRIM_400000_NS6detail17trampoline_kernelINS0_14default_configENS1_36segmented_radix_sort_config_selectorIdlEEZNS1_25segmented_radix_sort_implIS3_Lb0EPKdPdPKlPlN2at6native12_GLOBAL__N_18offset_tEEE10hipError_tPvRmT1_PNSt15iterator_traitsISK_E10value_typeET2_T3_PNSL_ISQ_E10value_typeET4_jRbjT5_SW_jjP12ihipStream_tbEUlT_E_NS1_11comp_targetILNS1_3genE8ELNS1_11target_archE1030ELNS1_3gpuE2ELNS1_3repE0EEENS1_30default_config_static_selectorELNS0_4arch9wavefront6targetE1EEEvSK_, .Lfunc_end1228-_ZN7rocprim17ROCPRIM_400000_NS6detail17trampoline_kernelINS0_14default_configENS1_36segmented_radix_sort_config_selectorIdlEEZNS1_25segmented_radix_sort_implIS3_Lb0EPKdPdPKlPlN2at6native12_GLOBAL__N_18offset_tEEE10hipError_tPvRmT1_PNSt15iterator_traitsISK_E10value_typeET2_T3_PNSL_ISQ_E10value_typeET4_jRbjT5_SW_jjP12ihipStream_tbEUlT_E_NS1_11comp_targetILNS1_3genE8ELNS1_11target_archE1030ELNS1_3gpuE2ELNS1_3repE0EEENS1_30default_config_static_selectorELNS0_4arch9wavefront6targetE1EEEvSK_
                                        ; -- End function
	.section	.AMDGPU.csdata,"",@progbits
; Kernel info:
; codeLenInByte = 0
; NumSgprs: 4
; NumVgprs: 0
; NumAgprs: 0
; TotalNumVgprs: 0
; ScratchSize: 0
; MemoryBound: 0
; FloatMode: 240
; IeeeMode: 1
; LDSByteSize: 0 bytes/workgroup (compile time only)
; SGPRBlocks: 0
; VGPRBlocks: 0
; NumSGPRsForWavesPerEU: 4
; NumVGPRsForWavesPerEU: 1
; AccumOffset: 4
; Occupancy: 8
; WaveLimiterHint : 0
; COMPUTE_PGM_RSRC2:SCRATCH_EN: 0
; COMPUTE_PGM_RSRC2:USER_SGPR: 6
; COMPUTE_PGM_RSRC2:TRAP_HANDLER: 0
; COMPUTE_PGM_RSRC2:TGID_X_EN: 1
; COMPUTE_PGM_RSRC2:TGID_Y_EN: 0
; COMPUTE_PGM_RSRC2:TGID_Z_EN: 0
; COMPUTE_PGM_RSRC2:TIDIG_COMP_CNT: 0
; COMPUTE_PGM_RSRC3_GFX90A:ACCUM_OFFSET: 0
; COMPUTE_PGM_RSRC3_GFX90A:TG_SPLIT: 0
	.section	.text._ZN7rocprim17ROCPRIM_400000_NS6detail17trampoline_kernelINS0_14default_configENS1_36segmented_radix_sort_config_selectorIdlEEZNS1_25segmented_radix_sort_implIS3_Lb0EPKdPdPKlPlN2at6native12_GLOBAL__N_18offset_tEEE10hipError_tPvRmT1_PNSt15iterator_traitsISK_E10value_typeET2_T3_PNSL_ISQ_E10value_typeET4_jRbjT5_SW_jjP12ihipStream_tbEUlT_E0_NS1_11comp_targetILNS1_3genE0ELNS1_11target_archE4294967295ELNS1_3gpuE0ELNS1_3repE0EEENS1_60segmented_radix_sort_warp_sort_medium_config_static_selectorELNS0_4arch9wavefront6targetE1EEEvSK_,"axG",@progbits,_ZN7rocprim17ROCPRIM_400000_NS6detail17trampoline_kernelINS0_14default_configENS1_36segmented_radix_sort_config_selectorIdlEEZNS1_25segmented_radix_sort_implIS3_Lb0EPKdPdPKlPlN2at6native12_GLOBAL__N_18offset_tEEE10hipError_tPvRmT1_PNSt15iterator_traitsISK_E10value_typeET2_T3_PNSL_ISQ_E10value_typeET4_jRbjT5_SW_jjP12ihipStream_tbEUlT_E0_NS1_11comp_targetILNS1_3genE0ELNS1_11target_archE4294967295ELNS1_3gpuE0ELNS1_3repE0EEENS1_60segmented_radix_sort_warp_sort_medium_config_static_selectorELNS0_4arch9wavefront6targetE1EEEvSK_,comdat
	.globl	_ZN7rocprim17ROCPRIM_400000_NS6detail17trampoline_kernelINS0_14default_configENS1_36segmented_radix_sort_config_selectorIdlEEZNS1_25segmented_radix_sort_implIS3_Lb0EPKdPdPKlPlN2at6native12_GLOBAL__N_18offset_tEEE10hipError_tPvRmT1_PNSt15iterator_traitsISK_E10value_typeET2_T3_PNSL_ISQ_E10value_typeET4_jRbjT5_SW_jjP12ihipStream_tbEUlT_E0_NS1_11comp_targetILNS1_3genE0ELNS1_11target_archE4294967295ELNS1_3gpuE0ELNS1_3repE0EEENS1_60segmented_radix_sort_warp_sort_medium_config_static_selectorELNS0_4arch9wavefront6targetE1EEEvSK_ ; -- Begin function _ZN7rocprim17ROCPRIM_400000_NS6detail17trampoline_kernelINS0_14default_configENS1_36segmented_radix_sort_config_selectorIdlEEZNS1_25segmented_radix_sort_implIS3_Lb0EPKdPdPKlPlN2at6native12_GLOBAL__N_18offset_tEEE10hipError_tPvRmT1_PNSt15iterator_traitsISK_E10value_typeET2_T3_PNSL_ISQ_E10value_typeET4_jRbjT5_SW_jjP12ihipStream_tbEUlT_E0_NS1_11comp_targetILNS1_3genE0ELNS1_11target_archE4294967295ELNS1_3gpuE0ELNS1_3repE0EEENS1_60segmented_radix_sort_warp_sort_medium_config_static_selectorELNS0_4arch9wavefront6targetE1EEEvSK_
	.p2align	8
	.type	_ZN7rocprim17ROCPRIM_400000_NS6detail17trampoline_kernelINS0_14default_configENS1_36segmented_radix_sort_config_selectorIdlEEZNS1_25segmented_radix_sort_implIS3_Lb0EPKdPdPKlPlN2at6native12_GLOBAL__N_18offset_tEEE10hipError_tPvRmT1_PNSt15iterator_traitsISK_E10value_typeET2_T3_PNSL_ISQ_E10value_typeET4_jRbjT5_SW_jjP12ihipStream_tbEUlT_E0_NS1_11comp_targetILNS1_3genE0ELNS1_11target_archE4294967295ELNS1_3gpuE0ELNS1_3repE0EEENS1_60segmented_radix_sort_warp_sort_medium_config_static_selectorELNS0_4arch9wavefront6targetE1EEEvSK_,@function
_ZN7rocprim17ROCPRIM_400000_NS6detail17trampoline_kernelINS0_14default_configENS1_36segmented_radix_sort_config_selectorIdlEEZNS1_25segmented_radix_sort_implIS3_Lb0EPKdPdPKlPlN2at6native12_GLOBAL__N_18offset_tEEE10hipError_tPvRmT1_PNSt15iterator_traitsISK_E10value_typeET2_T3_PNSL_ISQ_E10value_typeET4_jRbjT5_SW_jjP12ihipStream_tbEUlT_E0_NS1_11comp_targetILNS1_3genE0ELNS1_11target_archE4294967295ELNS1_3gpuE0ELNS1_3repE0EEENS1_60segmented_radix_sort_warp_sort_medium_config_static_selectorELNS0_4arch9wavefront6targetE1EEEvSK_: ; @_ZN7rocprim17ROCPRIM_400000_NS6detail17trampoline_kernelINS0_14default_configENS1_36segmented_radix_sort_config_selectorIdlEEZNS1_25segmented_radix_sort_implIS3_Lb0EPKdPdPKlPlN2at6native12_GLOBAL__N_18offset_tEEE10hipError_tPvRmT1_PNSt15iterator_traitsISK_E10value_typeET2_T3_PNSL_ISQ_E10value_typeET4_jRbjT5_SW_jjP12ihipStream_tbEUlT_E0_NS1_11comp_targetILNS1_3genE0ELNS1_11target_archE4294967295ELNS1_3gpuE0ELNS1_3repE0EEENS1_60segmented_radix_sort_warp_sort_medium_config_static_selectorELNS0_4arch9wavefront6targetE1EEEvSK_
; %bb.0:
	.section	.rodata,"a",@progbits
	.p2align	6, 0x0
	.amdhsa_kernel _ZN7rocprim17ROCPRIM_400000_NS6detail17trampoline_kernelINS0_14default_configENS1_36segmented_radix_sort_config_selectorIdlEEZNS1_25segmented_radix_sort_implIS3_Lb0EPKdPdPKlPlN2at6native12_GLOBAL__N_18offset_tEEE10hipError_tPvRmT1_PNSt15iterator_traitsISK_E10value_typeET2_T3_PNSL_ISQ_E10value_typeET4_jRbjT5_SW_jjP12ihipStream_tbEUlT_E0_NS1_11comp_targetILNS1_3genE0ELNS1_11target_archE4294967295ELNS1_3gpuE0ELNS1_3repE0EEENS1_60segmented_radix_sort_warp_sort_medium_config_static_selectorELNS0_4arch9wavefront6targetE1EEEvSK_
		.amdhsa_group_segment_fixed_size 0
		.amdhsa_private_segment_fixed_size 0
		.amdhsa_kernarg_size 88
		.amdhsa_user_sgpr_count 6
		.amdhsa_user_sgpr_private_segment_buffer 1
		.amdhsa_user_sgpr_dispatch_ptr 0
		.amdhsa_user_sgpr_queue_ptr 0
		.amdhsa_user_sgpr_kernarg_segment_ptr 1
		.amdhsa_user_sgpr_dispatch_id 0
		.amdhsa_user_sgpr_flat_scratch_init 0
		.amdhsa_user_sgpr_kernarg_preload_length 0
		.amdhsa_user_sgpr_kernarg_preload_offset 0
		.amdhsa_user_sgpr_private_segment_size 0
		.amdhsa_uses_dynamic_stack 0
		.amdhsa_system_sgpr_private_segment_wavefront_offset 0
		.amdhsa_system_sgpr_workgroup_id_x 1
		.amdhsa_system_sgpr_workgroup_id_y 0
		.amdhsa_system_sgpr_workgroup_id_z 0
		.amdhsa_system_sgpr_workgroup_info 0
		.amdhsa_system_vgpr_workitem_id 0
		.amdhsa_next_free_vgpr 1
		.amdhsa_next_free_sgpr 0
		.amdhsa_accum_offset 4
		.amdhsa_reserve_vcc 0
		.amdhsa_reserve_flat_scratch 0
		.amdhsa_float_round_mode_32 0
		.amdhsa_float_round_mode_16_64 0
		.amdhsa_float_denorm_mode_32 3
		.amdhsa_float_denorm_mode_16_64 3
		.amdhsa_dx10_clamp 1
		.amdhsa_ieee_mode 1
		.amdhsa_fp16_overflow 0
		.amdhsa_tg_split 0
		.amdhsa_exception_fp_ieee_invalid_op 0
		.amdhsa_exception_fp_denorm_src 0
		.amdhsa_exception_fp_ieee_div_zero 0
		.amdhsa_exception_fp_ieee_overflow 0
		.amdhsa_exception_fp_ieee_underflow 0
		.amdhsa_exception_fp_ieee_inexact 0
		.amdhsa_exception_int_div_zero 0
	.end_amdhsa_kernel
	.section	.text._ZN7rocprim17ROCPRIM_400000_NS6detail17trampoline_kernelINS0_14default_configENS1_36segmented_radix_sort_config_selectorIdlEEZNS1_25segmented_radix_sort_implIS3_Lb0EPKdPdPKlPlN2at6native12_GLOBAL__N_18offset_tEEE10hipError_tPvRmT1_PNSt15iterator_traitsISK_E10value_typeET2_T3_PNSL_ISQ_E10value_typeET4_jRbjT5_SW_jjP12ihipStream_tbEUlT_E0_NS1_11comp_targetILNS1_3genE0ELNS1_11target_archE4294967295ELNS1_3gpuE0ELNS1_3repE0EEENS1_60segmented_radix_sort_warp_sort_medium_config_static_selectorELNS0_4arch9wavefront6targetE1EEEvSK_,"axG",@progbits,_ZN7rocprim17ROCPRIM_400000_NS6detail17trampoline_kernelINS0_14default_configENS1_36segmented_radix_sort_config_selectorIdlEEZNS1_25segmented_radix_sort_implIS3_Lb0EPKdPdPKlPlN2at6native12_GLOBAL__N_18offset_tEEE10hipError_tPvRmT1_PNSt15iterator_traitsISK_E10value_typeET2_T3_PNSL_ISQ_E10value_typeET4_jRbjT5_SW_jjP12ihipStream_tbEUlT_E0_NS1_11comp_targetILNS1_3genE0ELNS1_11target_archE4294967295ELNS1_3gpuE0ELNS1_3repE0EEENS1_60segmented_radix_sort_warp_sort_medium_config_static_selectorELNS0_4arch9wavefront6targetE1EEEvSK_,comdat
.Lfunc_end1229:
	.size	_ZN7rocprim17ROCPRIM_400000_NS6detail17trampoline_kernelINS0_14default_configENS1_36segmented_radix_sort_config_selectorIdlEEZNS1_25segmented_radix_sort_implIS3_Lb0EPKdPdPKlPlN2at6native12_GLOBAL__N_18offset_tEEE10hipError_tPvRmT1_PNSt15iterator_traitsISK_E10value_typeET2_T3_PNSL_ISQ_E10value_typeET4_jRbjT5_SW_jjP12ihipStream_tbEUlT_E0_NS1_11comp_targetILNS1_3genE0ELNS1_11target_archE4294967295ELNS1_3gpuE0ELNS1_3repE0EEENS1_60segmented_radix_sort_warp_sort_medium_config_static_selectorELNS0_4arch9wavefront6targetE1EEEvSK_, .Lfunc_end1229-_ZN7rocprim17ROCPRIM_400000_NS6detail17trampoline_kernelINS0_14default_configENS1_36segmented_radix_sort_config_selectorIdlEEZNS1_25segmented_radix_sort_implIS3_Lb0EPKdPdPKlPlN2at6native12_GLOBAL__N_18offset_tEEE10hipError_tPvRmT1_PNSt15iterator_traitsISK_E10value_typeET2_T3_PNSL_ISQ_E10value_typeET4_jRbjT5_SW_jjP12ihipStream_tbEUlT_E0_NS1_11comp_targetILNS1_3genE0ELNS1_11target_archE4294967295ELNS1_3gpuE0ELNS1_3repE0EEENS1_60segmented_radix_sort_warp_sort_medium_config_static_selectorELNS0_4arch9wavefront6targetE1EEEvSK_
                                        ; -- End function
	.section	.AMDGPU.csdata,"",@progbits
; Kernel info:
; codeLenInByte = 0
; NumSgprs: 4
; NumVgprs: 0
; NumAgprs: 0
; TotalNumVgprs: 0
; ScratchSize: 0
; MemoryBound: 0
; FloatMode: 240
; IeeeMode: 1
; LDSByteSize: 0 bytes/workgroup (compile time only)
; SGPRBlocks: 0
; VGPRBlocks: 0
; NumSGPRsForWavesPerEU: 4
; NumVGPRsForWavesPerEU: 1
; AccumOffset: 4
; Occupancy: 8
; WaveLimiterHint : 0
; COMPUTE_PGM_RSRC2:SCRATCH_EN: 0
; COMPUTE_PGM_RSRC2:USER_SGPR: 6
; COMPUTE_PGM_RSRC2:TRAP_HANDLER: 0
; COMPUTE_PGM_RSRC2:TGID_X_EN: 1
; COMPUTE_PGM_RSRC2:TGID_Y_EN: 0
; COMPUTE_PGM_RSRC2:TGID_Z_EN: 0
; COMPUTE_PGM_RSRC2:TIDIG_COMP_CNT: 0
; COMPUTE_PGM_RSRC3_GFX90A:ACCUM_OFFSET: 0
; COMPUTE_PGM_RSRC3_GFX90A:TG_SPLIT: 0
	.section	.text._ZN7rocprim17ROCPRIM_400000_NS6detail17trampoline_kernelINS0_14default_configENS1_36segmented_radix_sort_config_selectorIdlEEZNS1_25segmented_radix_sort_implIS3_Lb0EPKdPdPKlPlN2at6native12_GLOBAL__N_18offset_tEEE10hipError_tPvRmT1_PNSt15iterator_traitsISK_E10value_typeET2_T3_PNSL_ISQ_E10value_typeET4_jRbjT5_SW_jjP12ihipStream_tbEUlT_E0_NS1_11comp_targetILNS1_3genE5ELNS1_11target_archE942ELNS1_3gpuE9ELNS1_3repE0EEENS1_60segmented_radix_sort_warp_sort_medium_config_static_selectorELNS0_4arch9wavefront6targetE1EEEvSK_,"axG",@progbits,_ZN7rocprim17ROCPRIM_400000_NS6detail17trampoline_kernelINS0_14default_configENS1_36segmented_radix_sort_config_selectorIdlEEZNS1_25segmented_radix_sort_implIS3_Lb0EPKdPdPKlPlN2at6native12_GLOBAL__N_18offset_tEEE10hipError_tPvRmT1_PNSt15iterator_traitsISK_E10value_typeET2_T3_PNSL_ISQ_E10value_typeET4_jRbjT5_SW_jjP12ihipStream_tbEUlT_E0_NS1_11comp_targetILNS1_3genE5ELNS1_11target_archE942ELNS1_3gpuE9ELNS1_3repE0EEENS1_60segmented_radix_sort_warp_sort_medium_config_static_selectorELNS0_4arch9wavefront6targetE1EEEvSK_,comdat
	.globl	_ZN7rocprim17ROCPRIM_400000_NS6detail17trampoline_kernelINS0_14default_configENS1_36segmented_radix_sort_config_selectorIdlEEZNS1_25segmented_radix_sort_implIS3_Lb0EPKdPdPKlPlN2at6native12_GLOBAL__N_18offset_tEEE10hipError_tPvRmT1_PNSt15iterator_traitsISK_E10value_typeET2_T3_PNSL_ISQ_E10value_typeET4_jRbjT5_SW_jjP12ihipStream_tbEUlT_E0_NS1_11comp_targetILNS1_3genE5ELNS1_11target_archE942ELNS1_3gpuE9ELNS1_3repE0EEENS1_60segmented_radix_sort_warp_sort_medium_config_static_selectorELNS0_4arch9wavefront6targetE1EEEvSK_ ; -- Begin function _ZN7rocprim17ROCPRIM_400000_NS6detail17trampoline_kernelINS0_14default_configENS1_36segmented_radix_sort_config_selectorIdlEEZNS1_25segmented_radix_sort_implIS3_Lb0EPKdPdPKlPlN2at6native12_GLOBAL__N_18offset_tEEE10hipError_tPvRmT1_PNSt15iterator_traitsISK_E10value_typeET2_T3_PNSL_ISQ_E10value_typeET4_jRbjT5_SW_jjP12ihipStream_tbEUlT_E0_NS1_11comp_targetILNS1_3genE5ELNS1_11target_archE942ELNS1_3gpuE9ELNS1_3repE0EEENS1_60segmented_radix_sort_warp_sort_medium_config_static_selectorELNS0_4arch9wavefront6targetE1EEEvSK_
	.p2align	8
	.type	_ZN7rocprim17ROCPRIM_400000_NS6detail17trampoline_kernelINS0_14default_configENS1_36segmented_radix_sort_config_selectorIdlEEZNS1_25segmented_radix_sort_implIS3_Lb0EPKdPdPKlPlN2at6native12_GLOBAL__N_18offset_tEEE10hipError_tPvRmT1_PNSt15iterator_traitsISK_E10value_typeET2_T3_PNSL_ISQ_E10value_typeET4_jRbjT5_SW_jjP12ihipStream_tbEUlT_E0_NS1_11comp_targetILNS1_3genE5ELNS1_11target_archE942ELNS1_3gpuE9ELNS1_3repE0EEENS1_60segmented_radix_sort_warp_sort_medium_config_static_selectorELNS0_4arch9wavefront6targetE1EEEvSK_,@function
_ZN7rocprim17ROCPRIM_400000_NS6detail17trampoline_kernelINS0_14default_configENS1_36segmented_radix_sort_config_selectorIdlEEZNS1_25segmented_radix_sort_implIS3_Lb0EPKdPdPKlPlN2at6native12_GLOBAL__N_18offset_tEEE10hipError_tPvRmT1_PNSt15iterator_traitsISK_E10value_typeET2_T3_PNSL_ISQ_E10value_typeET4_jRbjT5_SW_jjP12ihipStream_tbEUlT_E0_NS1_11comp_targetILNS1_3genE5ELNS1_11target_archE942ELNS1_3gpuE9ELNS1_3repE0EEENS1_60segmented_radix_sort_warp_sort_medium_config_static_selectorELNS0_4arch9wavefront6targetE1EEEvSK_: ; @_ZN7rocprim17ROCPRIM_400000_NS6detail17trampoline_kernelINS0_14default_configENS1_36segmented_radix_sort_config_selectorIdlEEZNS1_25segmented_radix_sort_implIS3_Lb0EPKdPdPKlPlN2at6native12_GLOBAL__N_18offset_tEEE10hipError_tPvRmT1_PNSt15iterator_traitsISK_E10value_typeET2_T3_PNSL_ISQ_E10value_typeET4_jRbjT5_SW_jjP12ihipStream_tbEUlT_E0_NS1_11comp_targetILNS1_3genE5ELNS1_11target_archE942ELNS1_3gpuE9ELNS1_3repE0EEENS1_60segmented_radix_sort_warp_sort_medium_config_static_selectorELNS0_4arch9wavefront6targetE1EEEvSK_
; %bb.0:
	.section	.rodata,"a",@progbits
	.p2align	6, 0x0
	.amdhsa_kernel _ZN7rocprim17ROCPRIM_400000_NS6detail17trampoline_kernelINS0_14default_configENS1_36segmented_radix_sort_config_selectorIdlEEZNS1_25segmented_radix_sort_implIS3_Lb0EPKdPdPKlPlN2at6native12_GLOBAL__N_18offset_tEEE10hipError_tPvRmT1_PNSt15iterator_traitsISK_E10value_typeET2_T3_PNSL_ISQ_E10value_typeET4_jRbjT5_SW_jjP12ihipStream_tbEUlT_E0_NS1_11comp_targetILNS1_3genE5ELNS1_11target_archE942ELNS1_3gpuE9ELNS1_3repE0EEENS1_60segmented_radix_sort_warp_sort_medium_config_static_selectorELNS0_4arch9wavefront6targetE1EEEvSK_
		.amdhsa_group_segment_fixed_size 0
		.amdhsa_private_segment_fixed_size 0
		.amdhsa_kernarg_size 88
		.amdhsa_user_sgpr_count 6
		.amdhsa_user_sgpr_private_segment_buffer 1
		.amdhsa_user_sgpr_dispatch_ptr 0
		.amdhsa_user_sgpr_queue_ptr 0
		.amdhsa_user_sgpr_kernarg_segment_ptr 1
		.amdhsa_user_sgpr_dispatch_id 0
		.amdhsa_user_sgpr_flat_scratch_init 0
		.amdhsa_user_sgpr_kernarg_preload_length 0
		.amdhsa_user_sgpr_kernarg_preload_offset 0
		.amdhsa_user_sgpr_private_segment_size 0
		.amdhsa_uses_dynamic_stack 0
		.amdhsa_system_sgpr_private_segment_wavefront_offset 0
		.amdhsa_system_sgpr_workgroup_id_x 1
		.amdhsa_system_sgpr_workgroup_id_y 0
		.amdhsa_system_sgpr_workgroup_id_z 0
		.amdhsa_system_sgpr_workgroup_info 0
		.amdhsa_system_vgpr_workitem_id 0
		.amdhsa_next_free_vgpr 1
		.amdhsa_next_free_sgpr 0
		.amdhsa_accum_offset 4
		.amdhsa_reserve_vcc 0
		.amdhsa_reserve_flat_scratch 0
		.amdhsa_float_round_mode_32 0
		.amdhsa_float_round_mode_16_64 0
		.amdhsa_float_denorm_mode_32 3
		.amdhsa_float_denorm_mode_16_64 3
		.amdhsa_dx10_clamp 1
		.amdhsa_ieee_mode 1
		.amdhsa_fp16_overflow 0
		.amdhsa_tg_split 0
		.amdhsa_exception_fp_ieee_invalid_op 0
		.amdhsa_exception_fp_denorm_src 0
		.amdhsa_exception_fp_ieee_div_zero 0
		.amdhsa_exception_fp_ieee_overflow 0
		.amdhsa_exception_fp_ieee_underflow 0
		.amdhsa_exception_fp_ieee_inexact 0
		.amdhsa_exception_int_div_zero 0
	.end_amdhsa_kernel
	.section	.text._ZN7rocprim17ROCPRIM_400000_NS6detail17trampoline_kernelINS0_14default_configENS1_36segmented_radix_sort_config_selectorIdlEEZNS1_25segmented_radix_sort_implIS3_Lb0EPKdPdPKlPlN2at6native12_GLOBAL__N_18offset_tEEE10hipError_tPvRmT1_PNSt15iterator_traitsISK_E10value_typeET2_T3_PNSL_ISQ_E10value_typeET4_jRbjT5_SW_jjP12ihipStream_tbEUlT_E0_NS1_11comp_targetILNS1_3genE5ELNS1_11target_archE942ELNS1_3gpuE9ELNS1_3repE0EEENS1_60segmented_radix_sort_warp_sort_medium_config_static_selectorELNS0_4arch9wavefront6targetE1EEEvSK_,"axG",@progbits,_ZN7rocprim17ROCPRIM_400000_NS6detail17trampoline_kernelINS0_14default_configENS1_36segmented_radix_sort_config_selectorIdlEEZNS1_25segmented_radix_sort_implIS3_Lb0EPKdPdPKlPlN2at6native12_GLOBAL__N_18offset_tEEE10hipError_tPvRmT1_PNSt15iterator_traitsISK_E10value_typeET2_T3_PNSL_ISQ_E10value_typeET4_jRbjT5_SW_jjP12ihipStream_tbEUlT_E0_NS1_11comp_targetILNS1_3genE5ELNS1_11target_archE942ELNS1_3gpuE9ELNS1_3repE0EEENS1_60segmented_radix_sort_warp_sort_medium_config_static_selectorELNS0_4arch9wavefront6targetE1EEEvSK_,comdat
.Lfunc_end1230:
	.size	_ZN7rocprim17ROCPRIM_400000_NS6detail17trampoline_kernelINS0_14default_configENS1_36segmented_radix_sort_config_selectorIdlEEZNS1_25segmented_radix_sort_implIS3_Lb0EPKdPdPKlPlN2at6native12_GLOBAL__N_18offset_tEEE10hipError_tPvRmT1_PNSt15iterator_traitsISK_E10value_typeET2_T3_PNSL_ISQ_E10value_typeET4_jRbjT5_SW_jjP12ihipStream_tbEUlT_E0_NS1_11comp_targetILNS1_3genE5ELNS1_11target_archE942ELNS1_3gpuE9ELNS1_3repE0EEENS1_60segmented_radix_sort_warp_sort_medium_config_static_selectorELNS0_4arch9wavefront6targetE1EEEvSK_, .Lfunc_end1230-_ZN7rocprim17ROCPRIM_400000_NS6detail17trampoline_kernelINS0_14default_configENS1_36segmented_radix_sort_config_selectorIdlEEZNS1_25segmented_radix_sort_implIS3_Lb0EPKdPdPKlPlN2at6native12_GLOBAL__N_18offset_tEEE10hipError_tPvRmT1_PNSt15iterator_traitsISK_E10value_typeET2_T3_PNSL_ISQ_E10value_typeET4_jRbjT5_SW_jjP12ihipStream_tbEUlT_E0_NS1_11comp_targetILNS1_3genE5ELNS1_11target_archE942ELNS1_3gpuE9ELNS1_3repE0EEENS1_60segmented_radix_sort_warp_sort_medium_config_static_selectorELNS0_4arch9wavefront6targetE1EEEvSK_
                                        ; -- End function
	.section	.AMDGPU.csdata,"",@progbits
; Kernel info:
; codeLenInByte = 0
; NumSgprs: 4
; NumVgprs: 0
; NumAgprs: 0
; TotalNumVgprs: 0
; ScratchSize: 0
; MemoryBound: 0
; FloatMode: 240
; IeeeMode: 1
; LDSByteSize: 0 bytes/workgroup (compile time only)
; SGPRBlocks: 0
; VGPRBlocks: 0
; NumSGPRsForWavesPerEU: 4
; NumVGPRsForWavesPerEU: 1
; AccumOffset: 4
; Occupancy: 8
; WaveLimiterHint : 0
; COMPUTE_PGM_RSRC2:SCRATCH_EN: 0
; COMPUTE_PGM_RSRC2:USER_SGPR: 6
; COMPUTE_PGM_RSRC2:TRAP_HANDLER: 0
; COMPUTE_PGM_RSRC2:TGID_X_EN: 1
; COMPUTE_PGM_RSRC2:TGID_Y_EN: 0
; COMPUTE_PGM_RSRC2:TGID_Z_EN: 0
; COMPUTE_PGM_RSRC2:TIDIG_COMP_CNT: 0
; COMPUTE_PGM_RSRC3_GFX90A:ACCUM_OFFSET: 0
; COMPUTE_PGM_RSRC3_GFX90A:TG_SPLIT: 0
	.text
	.p2align	2                               ; -- Begin function _ZN7rocprim17ROCPRIM_400000_NS6detail26segmented_warp_sort_helperINS1_20WarpSortHelperConfigILj16ELj8ELj256EEEdlLi256ELb0EvE4sortIPKdPdPKlPlEEvT_T0_T1_T2_jjjjRNS5_12storage_typeE
	.type	_ZN7rocprim17ROCPRIM_400000_NS6detail26segmented_warp_sort_helperINS1_20WarpSortHelperConfigILj16ELj8ELj256EEEdlLi256ELb0EvE4sortIPKdPdPKlPlEEvT_T0_T1_T2_jjjjRNS5_12storage_typeE,@function
_ZN7rocprim17ROCPRIM_400000_NS6detail26segmented_warp_sort_helperINS1_20WarpSortHelperConfigILj16ELj8ELj256EEEdlLi256ELb0EvE4sortIPKdPdPKlPlEEvT_T0_T1_T2_jjjjRNS5_12storage_typeE: ; @_ZN7rocprim17ROCPRIM_400000_NS6detail26segmented_warp_sort_helperINS1_20WarpSortHelperConfigILj16ELj8ELj256EEEdlLi256ELb0EvE4sortIPKdPdPKlPlEEvT_T0_T1_T2_jjjjRNS5_12storage_typeE
; %bb.0:
	s_waitcnt vmcnt(0) expcnt(0) lgkmcnt(0)
	s_or_saveexec_b64 s[4:5], -1
	buffer_store_dword v40, off, s[0:3], s32 ; 4-byte Folded Spill
	s_mov_b64 exec, s[4:5]
	v_writelane_b32 v40, s34, 0
	v_writelane_b32 v40, s35, 1
	;; [unrolled: 1-line block ×12, first 2 shown]
	v_sub_u32_e32 v10, v9, v8
	v_mov_b32_e32 v9, 0
	v_lshlrev_b64 v[24:25], 3, v[8:9]
	v_mbcnt_lo_u32_b32 v8, -1, 0
	v_mbcnt_hi_u32_b32 v8, -1, v8
	v_lshlrev_b32_e32 v70, 3, v8
	v_add_co_u32_e32 v0, vcc, v0, v24
	v_and_b32_e32 v69, 0x78, v70
	v_addc_co_u32_e32 v1, vcc, v1, v25, vcc
	v_lshlrev_b32_e32 v68, 3, v69
	s_mov_b32 s6, -1
	v_add_co_u32_e32 v0, vcc, v0, v68
	s_brev_b32 s7, -2
	v_addc_co_u32_e32 v1, vcc, 0, v1, vcc
	v_cmp_lt_u32_e32 vcc, v69, v10
	v_pk_mov_b32 v[26:27], s[6:7], s[6:7] op_sel:[0,1]
	s_and_saveexec_b64 s[4:5], vcc
	s_cbranch_execz .LBB1231_2
; %bb.1:
	flat_load_dwordx2 v[26:27], v[0:1]
.LBB1231_2:
	s_or_b64 exec, exec, s[4:5]
	v_or_b32_e32 v8, 1, v69
	v_cmp_lt_u32_e64 s[4:5], v8, v10
	v_pk_mov_b32 v[38:39], s[6:7], s[6:7] op_sel:[0,1]
	s_and_saveexec_b64 s[6:7], s[4:5]
	s_cbranch_execz .LBB1231_4
; %bb.3:
	flat_load_dwordx2 v[38:39], v[0:1] offset:8
.LBB1231_4:
	s_or_b64 exec, exec, s[6:7]
	s_mov_b32 s10, -1
	v_or_b32_e32 v8, 2, v69
	s_brev_b32 s11, -2
	v_cmp_lt_u32_e64 s[6:7], v8, v10
	v_pk_mov_b32 v[36:37], s[10:11], s[10:11] op_sel:[0,1]
	s_and_saveexec_b64 s[14:15], s[6:7]
	s_cbranch_execz .LBB1231_6
; %bb.5:
	flat_load_dwordx2 v[36:37], v[0:1] offset:16
.LBB1231_6:
	s_or_b64 exec, exec, s[14:15]
	v_or_b32_e32 v8, 3, v69
	v_cmp_lt_u32_e64 s[18:19], v8, v10
	v_pk_mov_b32 v[50:51], s[10:11], s[10:11] op_sel:[0,1]
	s_and_saveexec_b64 s[10:11], s[18:19]
	s_cbranch_execz .LBB1231_8
; %bb.7:
	flat_load_dwordx2 v[50:51], v[0:1] offset:24
.LBB1231_8:
	s_or_b64 exec, exec, s[10:11]
	s_mov_b32 s14, -1
	v_or_b32_e32 v8, 4, v69
	s_brev_b32 s15, -2
	v_cmp_lt_u32_e64 s[10:11], v8, v10
	v_pk_mov_b32 v[34:35], s[14:15], s[14:15] op_sel:[0,1]
	s_and_saveexec_b64 s[16:17], s[10:11]
	s_cbranch_execz .LBB1231_10
; %bb.9:
	flat_load_dwordx2 v[34:35], v[0:1] offset:32
.LBB1231_10:
	;; [unrolled: 20-line block ×3, first 2 shown]
	s_or_b64 exec, exec, s[16:17]
	v_or_b32_e32 v8, 7, v69
	v_cmp_lt_u32_e64 s[16:17], v8, v10
	v_pk_mov_b32 v[28:29], s[22:23], s[22:23] op_sel:[0,1]
	s_and_saveexec_b64 s[22:23], s[16:17]
	s_cbranch_execz .LBB1231_16
; %bb.15:
	flat_load_dwordx2 v[28:29], v[0:1] offset:56
.LBB1231_16:
	s_or_b64 exec, exec, s[22:23]
	v_add_co_u32_e64 v0, s[22:23], v4, v24
	v_addc_co_u32_e64 v1, s[22:23], v5, v25, s[22:23]
	v_add_co_u32_e64 v52, s[22:23], v0, v68
	v_addc_co_u32_e64 v53, s[22:23], 0, v1, s[22:23]
	; wave barrier
                                        ; implicit-def: $vgpr0_vgpr1
	s_and_saveexec_b64 s[22:23], vcc
	s_cbranch_execnz .LBB1231_262
; %bb.17:
	s_or_b64 exec, exec, s[22:23]
	s_and_saveexec_b64 s[22:23], s[4:5]
                                        ; implicit-def: $vgpr8_vgpr9_vgpr10_vgpr11
	s_cbranch_execnz .LBB1231_263
.LBB1231_18:
	s_or_b64 exec, exec, s[22:23]
                                        ; implicit-def: $vgpr4_vgpr5
	s_and_saveexec_b64 s[22:23], s[6:7]
	s_cbranch_execnz .LBB1231_264
.LBB1231_19:
	s_or_b64 exec, exec, s[22:23]
	s_and_saveexec_b64 s[22:23], s[18:19]
                                        ; implicit-def: $vgpr12_vgpr13_vgpr14_vgpr15
	s_cbranch_execnz .LBB1231_265
.LBB1231_20:
	s_or_b64 exec, exec, s[22:23]
                                        ; implicit-def: $vgpr8_vgpr9
	s_and_saveexec_b64 s[22:23], s[10:11]
	s_cbranch_execnz .LBB1231_266
.LBB1231_21:
	s_or_b64 exec, exec, s[22:23]
	s_and_saveexec_b64 s[22:23], s[20:21]
                                        ; implicit-def: $vgpr16_vgpr17_vgpr18_vgpr19
	s_cbranch_execnz .LBB1231_267
.LBB1231_22:
	s_or_b64 exec, exec, s[22:23]
                                        ; implicit-def: $vgpr12_vgpr13
	s_and_saveexec_b64 s[22:23], s[14:15]
	s_cbranch_execnz .LBB1231_268
.LBB1231_23:
	s_or_b64 exec, exec, s[22:23]
	s_and_saveexec_b64 s[22:23], s[16:17]
                                        ; implicit-def: $vgpr20_vgpr21_vgpr22_vgpr23
	s_cbranch_execz .LBB1231_25
.LBB1231_24:
	flat_load_dwordx2 v[22:23], v[52:53] offset:56
.LBB1231_25:
	s_or_b64 exec, exec, s[22:23]
	; wave barrier
	s_load_dwordx2 s[22:23], s[8:9], 0x0
	v_mov_b32_e32 v16, 0
	v_bfe_u32 v21, v31, 20, 10
	v_and_b32_e32 v30, 0x3ff, v31
	s_waitcnt lgkmcnt(0)
	s_cmp_lt_u32 s12, s22
	s_cselect_b32 s22, 12, 18
	s_cmp_lt_u32 s13, s23
	s_cselect_b32 s12, 14, 20
	s_add_u32 s12, s8, s12
	s_addc_u32 s13, s9, 0
	s_add_u32 s8, s8, s22
	s_addc_u32 s9, s9, 0
	global_load_ushort v17, v16, s[12:13]
	global_load_ushort v20, v16, s[8:9]
	v_bfe_u32 v16, v31, 10, 10
	s_movk_i32 s8, 0x800
	s_waitcnt vmcnt(0)
	v_mad_u32_u24 v16, v21, v17, v16
	v_mul_lo_u32 v16, v16, v20
	v_add_lshl_u32 v71, v16, v30, 3
	v_cmp_gt_u32_e64 s[8:9], s8, v71
	s_and_saveexec_b64 s[12:13], s[8:9]
	s_cbranch_execz .LBB1231_83
; %bb.26:
	v_add_f64 v[16:17], v[26:27], 0
	v_add_f64 v[20:21], v[38:39], 0
	v_ashrrev_i32_e32 v30, 31, v17
	v_or_b32_e32 v31, 0x80000000, v30
	v_xor_b32_e32 v16, v30, v16
	v_ashrrev_i32_e32 v30, 31, v21
	v_xor_b32_e32 v17, v31, v17
	v_or_b32_e32 v31, 0x80000000, v30
	v_xor_b32_e32 v21, v31, v21
	v_xor_b32_e32 v20, v30, v20
	v_cmp_gt_u64_e64 s[8:9], v[16:17], v[20:21]
	v_pk_mov_b32 v[16:17], v[38:39], v[38:39] op_sel:[0,1]
	v_pk_mov_b32 v[20:21], v[10:11], v[10:11] op_sel:[0,1]
	s_and_saveexec_b64 s[22:23], s[8:9]
; %bb.27:
	v_pk_mov_b32 v[16:17], v[26:27], v[26:27] op_sel:[0,1]
	v_pk_mov_b32 v[26:27], v[38:39], v[38:39] op_sel:[0,1]
	v_pk_mov_b32 v[20:21], v[0:1], v[0:1] op_sel:[0,1]
	v_pk_mov_b32 v[0:1], v[10:11], v[10:11] op_sel:[0,1]
; %bb.28:
	s_or_b64 exec, exec, s[22:23]
	v_add_f64 v[10:11], v[36:37], 0
	v_add_f64 v[30:31], v[50:51], 0
	v_ashrrev_i32_e32 v38, 31, v11
	v_or_b32_e32 v39, 0x80000000, v38
	v_xor_b32_e32 v10, v38, v10
	v_ashrrev_i32_e32 v38, 31, v31
	v_xor_b32_e32 v11, v39, v11
	v_or_b32_e32 v39, 0x80000000, v38
	v_xor_b32_e32 v31, v39, v31
	v_xor_b32_e32 v30, v38, v30
	v_cmp_gt_u64_e64 s[8:9], v[10:11], v[30:31]
	v_pk_mov_b32 v[38:39], v[50:51], v[50:51] op_sel:[0,1]
	v_pk_mov_b32 v[30:31], v[14:15], v[14:15] op_sel:[0,1]
	s_and_saveexec_b64 s[22:23], s[8:9]
; %bb.29:
	v_pk_mov_b32 v[38:39], v[36:37], v[36:37] op_sel:[0,1]
	v_pk_mov_b32 v[36:37], v[50:51], v[50:51] op_sel:[0,1]
	v_pk_mov_b32 v[30:31], v[4:5], v[4:5] op_sel:[0,1]
	v_pk_mov_b32 v[4:5], v[14:15], v[14:15] op_sel:[0,1]
; %bb.30:
	s_or_b64 exec, exec, s[22:23]
	;; [unrolled: 21-line block ×4, first 2 shown]
	v_add_f64 v[18:19], v[16:17], 0
	v_add_f64 v[22:23], v[36:37], 0
	v_ashrrev_i32_e32 v48, 31, v19
	v_or_b32_e32 v49, 0x80000000, v48
	v_xor_b32_e32 v18, v48, v18
	v_ashrrev_i32_e32 v48, 31, v23
	v_xor_b32_e32 v19, v49, v19
	v_or_b32_e32 v49, 0x80000000, v48
	v_xor_b32_e32 v23, v49, v23
	v_xor_b32_e32 v22, v48, v22
	v_cmp_gt_u64_e64 s[8:9], v[18:19], v[22:23]
	v_pk_mov_b32 v[18:19], v[36:37], v[36:37] op_sel:[0,1]
	v_pk_mov_b32 v[22:23], v[4:5], v[4:5] op_sel:[0,1]
	s_and_saveexec_b64 s[22:23], s[8:9]
	s_xor_b64 s[8:9], exec, s[22:23]
; %bb.35:
	v_pk_mov_b32 v[18:19], v[16:17], v[16:17] op_sel:[0,1]
	v_pk_mov_b32 v[16:17], v[36:37], v[36:37] op_sel:[0,1]
	v_pk_mov_b32 v[22:23], v[20:21], v[20:21] op_sel:[0,1]
	v_pk_mov_b32 v[20:21], v[4:5], v[4:5] op_sel:[0,1]
; %bb.36:
	s_or_b64 exec, exec, s[8:9]
	v_add_f64 v[4:5], v[38:39], 0
	v_add_f64 v[36:37], v[50:51], 0
	v_ashrrev_i32_e32 v48, 31, v5
	v_or_b32_e32 v49, 0x80000000, v48
	v_xor_b32_e32 v4, v48, v4
	v_ashrrev_i32_e32 v48, 31, v37
	v_xor_b32_e32 v5, v49, v5
	v_or_b32_e32 v49, 0x80000000, v48
	v_xor_b32_e32 v37, v49, v37
	v_xor_b32_e32 v36, v48, v36
	v_cmp_gt_u64_e64 s[8:9], v[4:5], v[36:37]
	v_pk_mov_b32 v[4:5], v[38:39], v[38:39] op_sel:[0,1]
	v_pk_mov_b32 v[36:37], v[8:9], v[8:9] op_sel:[0,1]
	s_and_saveexec_b64 s[22:23], s[8:9]
; %bb.37:
	v_pk_mov_b32 v[4:5], v[50:51], v[50:51] op_sel:[0,1]
	v_pk_mov_b32 v[36:37], v[30:31], v[30:31] op_sel:[0,1]
	v_pk_mov_b32 v[30:31], v[8:9], v[8:9] op_sel:[0,1]
	v_pk_mov_b32 v[50:51], v[38:39], v[38:39] op_sel:[0,1]
; %bb.38:
	s_or_b64 exec, exec, s[22:23]
	v_add_f64 v[8:9], v[32:33], 0
	v_add_f64 v[38:39], v[34:35], 0
	v_ashrrev_i32_e32 v48, 31, v9
	v_or_b32_e32 v49, 0x80000000, v48
	v_xor_b32_e32 v8, v48, v8
	v_ashrrev_i32_e32 v48, 31, v39
	v_xor_b32_e32 v9, v49, v9
	v_or_b32_e32 v49, 0x80000000, v48
	v_xor_b32_e32 v39, v49, v39
	v_xor_b32_e32 v38, v48, v38
	v_cmp_gt_u64_e64 s[8:9], v[8:9], v[38:39]
	v_pk_mov_b32 v[8:9], v[12:13], v[12:13] op_sel:[0,1]
	v_pk_mov_b32 v[38:39], v[32:33], v[32:33] op_sel:[0,1]
	s_and_saveexec_b64 s[22:23], s[8:9]
	;; [unrolled: 21-line block ×23, first 2 shown]
; %bb.81:
	v_pk_mov_b32 v[48:49], v[32:33], v[32:33] op_sel:[0,1]
	v_pk_mov_b32 v[32:33], v[20:21], v[20:21] op_sel:[0,1]
	;; [unrolled: 1-line block ×4, first 2 shown]
; %bb.82:
	s_or_b64 exec, exec, s[22:23]
.LBB1231_83:
	s_or_b64 exec, exec, s[12:13]
	v_and_b32_e32 v16, 0xfffffe00, v71
	v_lshlrev_b32_e32 v71, 3, v16
	s_movk_i32 s8, 0x800
	v_lshl_add_u32 v82, v70, 3, v71
	v_sub_u32_e64 v80, s8, v16 clamp
	v_add_u32_e32 v16, 0x4010, v82
	v_or_b32_e32 v17, 8, v70
	v_add_u32_e32 v81, 0x4000, v82
	ds_write2_b64 v82, v[26:27], v[38:39] offset1:1
	ds_write2_b64 v81, v[0:1], v[10:11] offset1:1
	ds_write2_b64 v82, v[36:37], v[50:51] offset0:2 offset1:3
	ds_write2_b64 v16, v[4:5], v[14:15] offset1:1
	v_add_u32_e32 v16, 0x4020, v82
	v_min_u32_e32 v83, v80, v17
	ds_write2_b64 v82, v[34:35], v[32:33] offset0:4 offset1:5
	ds_write2_b64 v16, v[8:9], v[18:19] offset1:1
	v_add_u32_e32 v16, 0x4030, v82
	v_add_u32_e32 v17, 8, v83
	ds_write2_b64 v82, v[48:49], v[28:29] offset0:6 offset1:7
	ds_write2_b64 v16, v[12:13], v[22:23] offset1:1
	v_and_b32_e32 v16, 0x3f0, v70
	v_min_u32_e32 v84, v80, v17
	v_and_b32_e32 v17, 8, v70
	v_min_u32_e32 v17, v80, v17
	v_sub_u32_e32 v30, v83, v16
	v_sub_u32_e32 v21, v84, v83
	v_sub_u32_e64 v21, v17, v21 clamp
	v_min_u32_e32 v30, v17, v30
	v_lshl_add_u32 v20, v16, 3, v71
	v_cmp_lt_u32_e64 s[8:9], v21, v30
	; wave barrier
	s_and_saveexec_b64 s[12:13], s[8:9]
	s_cbranch_execz .LBB1231_87
; %bb.84:
	v_lshlrev_b32_e32 v31, 3, v83
	v_lshlrev_b32_e32 v52, 3, v17
	v_add3_u32 v31, v71, v31, v52
	s_mov_b64 s[22:23], 0
.LBB1231_85:                            ; =>This Inner Loop Header: Depth=1
	v_add_u32_e32 v52, v30, v21
	v_lshrrev_b32_e32 v64, 1, v52
	v_not_b32_e32 v52, v64
	v_lshl_add_u32 v53, v64, 3, v20
	v_lshl_add_u32 v54, v52, 3, v31
	ds_read_b64 v[52:53], v53
	ds_read_b64 v[54:55], v54
	v_add_u32_e32 v65, 1, v64
	s_waitcnt lgkmcnt(1)
	v_add_f64 v[52:53], v[52:53], 0
	s_waitcnt lgkmcnt(0)
	v_add_f64 v[54:55], v[54:55], 0
	v_ashrrev_i32_e32 v66, 31, v53
	v_or_b32_e32 v67, 0x80000000, v66
	v_xor_b32_e32 v52, v66, v52
	v_ashrrev_i32_e32 v66, 31, v55
	v_xor_b32_e32 v53, v67, v53
	v_or_b32_e32 v67, 0x80000000, v66
	v_xor_b32_e32 v54, v66, v54
	v_xor_b32_e32 v55, v67, v55
	v_cmp_gt_u64_e64 s[8:9], v[52:53], v[54:55]
	v_cndmask_b32_e64 v30, v30, v64, s[8:9]
	v_cndmask_b32_e64 v21, v65, v21, s[8:9]
	v_cmp_ge_u32_e64 s[8:9], v21, v30
	s_or_b64 s[22:23], s[8:9], s[22:23]
	s_andn2_b64 exec, exec, s[22:23]
	s_cbranch_execnz .LBB1231_85
; %bb.86:
	s_or_b64 exec, exec, s[22:23]
.LBB1231_87:
	s_or_b64 exec, exec, s[12:13]
	v_add_u32_e32 v30, v21, v16
	v_add_u32_e32 v16, v83, v17
	v_sub_u32_e32 v31, v16, v21
	v_cmp_le_u32_e64 s[8:9], v30, v83
	v_cmp_le_u32_e64 s[12:13], v31, v84
	s_or_b64 s[8:9], s[8:9], s[12:13]
	s_and_saveexec_b64 s[22:23], s[8:9]
	s_cbranch_execz .LBB1231_123
; %bb.88:
	v_cmp_ge_u32_e64 s[8:9], v30, v83
	v_cmp_lt_u32_e64 s[12:13], v30, v83
                                        ; implicit-def: $vgpr16_vgpr17
	s_and_saveexec_b64 s[24:25], s[12:13]
	s_cbranch_execz .LBB1231_90
; %bb.89:
	v_lshl_add_u32 v0, v21, 3, v20
	ds_read_b64 v[16:17], v0
.LBB1231_90:
	s_or_b64 exec, exec, s[24:25]
	v_cmp_ge_u32_e64 s[24:25], v31, v84
	v_cmp_lt_u32_e64 s[12:13], v31, v84
                                        ; implicit-def: $vgpr20_vgpr21
	s_and_saveexec_b64 s[26:27], s[12:13]
	s_cbranch_execz .LBB1231_92
; %bb.91:
	v_lshl_add_u32 v0, v31, 3, v71
	ds_read_b64 v[20:21], v0
.LBB1231_92:
	s_or_b64 exec, exec, s[26:27]
	s_or_b64 s[8:9], s[8:9], s[24:25]
	s_mov_b64 s[12:13], -1
	s_xor_b64 s[8:9], s[8:9], -1
	s_and_saveexec_b64 s[26:27], s[8:9]
	s_cbranch_execz .LBB1231_94
; %bb.93:
	s_waitcnt lgkmcnt(0)
	v_add_f64 v[0:1], v[16:17], 0
	v_add_f64 v[4:5], v[20:21], 0
	v_ashrrev_i32_e32 v8, 31, v1
	v_or_b32_e32 v9, 0x80000000, v8
	v_xor_b32_e32 v0, v8, v0
	v_ashrrev_i32_e32 v8, 31, v5
	v_xor_b32_e32 v1, v9, v1
	v_or_b32_e32 v9, 0x80000000, v8
	v_xor_b32_e32 v5, v9, v5
	v_xor_b32_e32 v4, v8, v4
	v_cmp_le_u64_e64 s[8:9], v[0:1], v[4:5]
	s_andn2_b64 s[24:25], s[24:25], exec
	s_and_b64 s[8:9], s[8:9], exec
	s_or_b64 s[24:25], s[24:25], s[8:9]
.LBB1231_94:
	s_or_b64 exec, exec, s[26:27]
	v_cndmask_b32_e64 v0, v31, v30, s[24:25]
	v_cndmask_b32_e64 v1, v84, v83, s[24:25]
	v_add_u32_e32 v8, 1, v0
	v_add_u32_e32 v1, -1, v1
	v_min_u32_e32 v1, v8, v1
	v_lshl_add_u32 v1, v1, 3, v71
	ds_read_b64 v[4:5], v1
	v_lshl_add_u32 v0, v0, 3, v71
	ds_read_b64 v[0:1], v0 offset:16384
	s_waitcnt lgkmcnt(1)
	v_cndmask_b32_e64 v22, v4, v20, s[24:25]
	v_cndmask_b32_e64 v26, v16, v4, s[24:25]
	;; [unrolled: 1-line block ×6, first 2 shown]
	v_cmp_lt_u32_e64 s[8:9], v4, v84
	s_and_saveexec_b64 s[26:27], s[8:9]
	s_cbranch_execz .LBB1231_98
; %bb.95:
	v_cmp_lt_u32_e64 s[8:9], v5, v83
	s_mov_b64 s[28:29], 0
	s_and_saveexec_b64 s[12:13], s[8:9]
	s_cbranch_execz .LBB1231_97
; %bb.96:
	v_add_f64 v[8:9], v[26:27], 0
	v_add_f64 v[10:11], v[22:23], 0
	v_ashrrev_i32_e32 v12, 31, v9
	v_or_b32_e32 v13, 0x80000000, v12
	v_xor_b32_e32 v8, v12, v8
	v_ashrrev_i32_e32 v12, 31, v11
	v_xor_b32_e32 v9, v13, v9
	v_or_b32_e32 v13, 0x80000000, v12
	v_xor_b32_e32 v11, v13, v11
	v_xor_b32_e32 v10, v12, v10
	v_cmp_le_u64_e64 s[8:9], v[8:9], v[10:11]
	s_and_b64 s[28:29], s[8:9], exec
.LBB1231_97:
	s_or_b64 exec, exec, s[12:13]
	s_orn2_b64 s[12:13], s[28:29], exec
.LBB1231_98:
	s_or_b64 exec, exec, s[26:27]
	v_cndmask_b32_e64 v10, v4, v5, s[12:13]
	v_cndmask_b32_e64 v8, v84, v83, s[12:13]
	v_add_u32_e32 v12, 1, v10
	v_add_u32_e32 v8, -1, v8
	v_min_u32_e32 v8, v12, v8
	v_lshl_add_u32 v8, v8, 3, v71
	ds_read_b64 v[8:9], v8
	v_lshl_add_u32 v10, v10, 3, v71
	ds_read_b64 v[10:11], v10 offset:16384
	s_mov_b64 s[28:29], -1
	s_mov_b64 s[26:27], -1
	s_waitcnt lgkmcnt(1)
	v_cndmask_b32_e64 v28, v8, v22, s[12:13]
	v_cndmask_b32_e64 v30, v26, v8, s[12:13]
	;; [unrolled: 1-line block ×6, first 2 shown]
	v_cmp_lt_u32_e64 s[8:9], v8, v84
	s_and_saveexec_b64 s[30:31], s[8:9]
	s_cbranch_execz .LBB1231_102
; %bb.99:
	v_cmp_lt_u32_e64 s[8:9], v9, v83
	s_mov_b64 s[34:35], 0
	s_and_saveexec_b64 s[26:27], s[8:9]
	s_cbranch_execz .LBB1231_101
; %bb.100:
	v_add_f64 v[4:5], v[30:31], 0
	v_add_f64 v[12:13], v[28:29], 0
	v_ashrrev_i32_e32 v14, 31, v5
	v_or_b32_e32 v15, 0x80000000, v14
	v_xor_b32_e32 v4, v14, v4
	v_ashrrev_i32_e32 v14, 31, v13
	v_xor_b32_e32 v5, v15, v5
	v_or_b32_e32 v15, 0x80000000, v14
	v_xor_b32_e32 v13, v15, v13
	v_xor_b32_e32 v12, v14, v12
	v_cmp_le_u64_e64 s[8:9], v[4:5], v[12:13]
	s_and_b64 s[34:35], s[8:9], exec
.LBB1231_101:
	s_or_b64 exec, exec, s[26:27]
	s_orn2_b64 s[26:27], s[34:35], exec
.LBB1231_102:
	s_or_b64 exec, exec, s[30:31]
	v_cndmask_b32_e64 v4, v8, v9, s[26:27]
	v_cndmask_b32_e64 v5, v84, v83, s[26:27]
	v_add_u32_e32 v14, 1, v4
	v_add_u32_e32 v5, -1, v5
	v_min_u32_e32 v5, v14, v5
	v_lshl_add_u32 v5, v5, 3, v71
	ds_read_b64 v[12:13], v5
	v_lshl_add_u32 v4, v4, 3, v71
	ds_read_b64 v[4:5], v4 offset:16384
	v_cndmask_b32_e64 v8, v14, v8, s[26:27]
	v_cndmask_b32_e64 v9, v9, v14, s[26:27]
	s_waitcnt lgkmcnt(1)
	v_cndmask_b32_e64 v37, v13, v29, s[26:27]
	v_cndmask_b32_e64 v36, v12, v28, s[26:27]
	;; [unrolled: 1-line block ×4, first 2 shown]
	v_cmp_lt_u32_e64 s[8:9], v8, v84
	s_and_saveexec_b64 s[30:31], s[8:9]
	s_cbranch_execz .LBB1231_106
; %bb.103:
	v_cmp_lt_u32_e64 s[8:9], v9, v83
	s_mov_b64 s[34:35], 0
	s_and_saveexec_b64 s[28:29], s[8:9]
	s_cbranch_execz .LBB1231_105
; %bb.104:
	v_add_f64 v[12:13], v[38:39], 0
	v_add_f64 v[14:15], v[36:37], 0
	v_ashrrev_i32_e32 v18, 31, v13
	v_or_b32_e32 v19, 0x80000000, v18
	v_xor_b32_e32 v12, v18, v12
	v_ashrrev_i32_e32 v18, 31, v15
	v_xor_b32_e32 v13, v19, v13
	v_or_b32_e32 v19, 0x80000000, v18
	v_xor_b32_e32 v15, v19, v15
	v_xor_b32_e32 v14, v18, v14
	v_cmp_le_u64_e64 s[8:9], v[12:13], v[14:15]
	s_and_b64 s[34:35], s[8:9], exec
.LBB1231_105:
	s_or_b64 exec, exec, s[28:29]
	s_orn2_b64 s[28:29], s[34:35], exec
.LBB1231_106:
	s_or_b64 exec, exec, s[30:31]
	v_cndmask_b32_e64 v14, v8, v9, s[28:29]
	v_cndmask_b32_e64 v12, v84, v83, s[28:29]
	v_add_u32_e32 v18, 1, v14
	v_add_u32_e32 v12, -1, v12
	v_min_u32_e32 v12, v18, v12
	v_lshl_add_u32 v12, v12, 3, v71
	ds_read_b64 v[12:13], v12
	v_lshl_add_u32 v14, v14, 3, v71
	ds_read_b64 v[14:15], v14 offset:16384
	s_mov_b64 s[34:35], -1
	s_mov_b64 s[30:31], -1
	s_waitcnt lgkmcnt(1)
	v_cndmask_b32_e64 v34, v12, v36, s[28:29]
	v_cndmask_b32_e64 v50, v38, v12, s[28:29]
	;; [unrolled: 1-line block ×6, first 2 shown]
	v_cmp_lt_u32_e64 s[8:9], v12, v84
	s_and_saveexec_b64 s[36:37], s[8:9]
	s_cbranch_execz .LBB1231_110
; %bb.107:
	v_cmp_lt_u32_e64 s[8:9], v13, v83
	s_mov_b64 s[38:39], 0
	s_and_saveexec_b64 s[30:31], s[8:9]
	s_cbranch_execz .LBB1231_109
; %bb.108:
	v_add_f64 v[8:9], v[50:51], 0
	v_add_f64 v[18:19], v[34:35], 0
	v_ashrrev_i32_e32 v32, 31, v9
	v_or_b32_e32 v33, 0x80000000, v32
	v_xor_b32_e32 v8, v32, v8
	v_ashrrev_i32_e32 v32, 31, v19
	v_xor_b32_e32 v9, v33, v9
	v_or_b32_e32 v33, 0x80000000, v32
	v_xor_b32_e32 v19, v33, v19
	v_xor_b32_e32 v18, v32, v18
	v_cmp_le_u64_e64 s[8:9], v[8:9], v[18:19]
	s_and_b64 s[38:39], s[8:9], exec
.LBB1231_109:
	s_or_b64 exec, exec, s[30:31]
	s_orn2_b64 s[30:31], s[38:39], exec
.LBB1231_110:
	s_or_b64 exec, exec, s[36:37]
	v_cndmask_b32_e64 v8, v12, v13, s[30:31]
	v_cndmask_b32_e64 v9, v84, v83, s[30:31]
	v_add_u32_e32 v48, 1, v8
	v_add_u32_e32 v9, -1, v9
	v_min_u32_e32 v9, v48, v9
	v_lshl_add_u32 v9, v9, 3, v71
	ds_read_b64 v[18:19], v9
	v_lshl_add_u32 v8, v8, 3, v71
	ds_read_b64 v[8:9], v8 offset:16384
	v_cndmask_b32_e64 v12, v48, v12, s[30:31]
	v_cndmask_b32_e64 v13, v13, v48, s[30:31]
	s_waitcnt lgkmcnt(1)
	v_cndmask_b32_e64 v33, v19, v35, s[30:31]
	v_cndmask_b32_e64 v32, v18, v34, s[30:31]
	;; [unrolled: 1-line block ×4, first 2 shown]
	v_cmp_lt_u32_e64 s[8:9], v12, v84
	s_and_saveexec_b64 s[36:37], s[8:9]
	s_cbranch_execz .LBB1231_114
; %bb.111:
	v_cmp_lt_u32_e64 s[8:9], v13, v83
	s_mov_b64 s[38:39], 0
	s_and_saveexec_b64 s[34:35], s[8:9]
	s_cbranch_execz .LBB1231_113
; %bb.112:
	v_add_f64 v[18:19], v[52:53], 0
	v_add_f64 v[48:49], v[32:33], 0
	v_ashrrev_i32_e32 v54, 31, v19
	v_or_b32_e32 v55, 0x80000000, v54
	v_xor_b32_e32 v18, v54, v18
	v_ashrrev_i32_e32 v54, 31, v49
	v_xor_b32_e32 v19, v55, v19
	v_or_b32_e32 v55, 0x80000000, v54
	v_xor_b32_e32 v49, v55, v49
	v_xor_b32_e32 v48, v54, v48
	v_cmp_le_u64_e64 s[8:9], v[18:19], v[48:49]
	s_and_b64 s[38:39], s[8:9], exec
.LBB1231_113:
	s_or_b64 exec, exec, s[34:35]
	s_orn2_b64 s[34:35], s[38:39], exec
.LBB1231_114:
	s_or_b64 exec, exec, s[36:37]
	v_cndmask_b32_e64 v18, v12, v13, s[34:35]
	v_cndmask_b32_e64 v19, v84, v83, s[34:35]
	v_add_u32_e32 v64, 1, v18
	v_add_u32_e32 v19, -1, v19
	v_min_u32_e32 v19, v64, v19
	v_lshl_add_u32 v19, v19, 3, v71
	ds_read_b64 v[54:55], v19
	v_lshl_add_u32 v18, v18, 3, v71
	ds_read_b64 v[18:19], v18 offset:16384
	v_cndmask_b32_e64 v85, v64, v12, s[34:35]
	v_cndmask_b32_e64 v86, v13, v64, s[34:35]
	s_waitcnt lgkmcnt(1)
	v_cndmask_b32_e64 v49, v55, v33, s[34:35]
	v_cndmask_b32_e64 v48, v54, v32, s[34:35]
	;; [unrolled: 1-line block ×4, first 2 shown]
	v_cmp_lt_u32_e64 s[8:9], v85, v84
	s_mov_b64 s[36:37], -1
	s_mov_b64 s[38:39], -1
	s_and_saveexec_b64 s[40:41], s[8:9]
	s_cbranch_execz .LBB1231_118
; %bb.115:
	v_cmp_lt_u32_e64 s[8:9], v86, v83
	s_mov_b64 s[42:43], 0
	s_and_saveexec_b64 s[38:39], s[8:9]
	s_cbranch_execz .LBB1231_117
; %bb.116:
	v_add_f64 v[12:13], v[54:55], 0
	v_add_f64 v[64:65], v[48:49], 0
	v_ashrrev_i32_e32 v66, 31, v13
	v_or_b32_e32 v67, 0x80000000, v66
	v_xor_b32_e32 v12, v66, v12
	v_ashrrev_i32_e32 v66, 31, v65
	v_xor_b32_e32 v13, v67, v13
	v_or_b32_e32 v67, 0x80000000, v66
	v_xor_b32_e32 v65, v67, v65
	v_xor_b32_e32 v64, v66, v64
	v_cmp_le_u64_e64 s[8:9], v[12:13], v[64:65]
	s_and_b64 s[42:43], s[8:9], exec
.LBB1231_117:
	s_or_b64 exec, exec, s[38:39]
	s_orn2_b64 s[38:39], s[42:43], exec
.LBB1231_118:
	s_or_b64 exec, exec, s[40:41]
	v_cndmask_b32_e64 v12, v85, v86, s[38:39]
	v_cndmask_b32_e64 v13, v84, v83, s[38:39]
	v_add_u32_e32 v87, 1, v12
	v_add_u32_e32 v13, -1, v13
	v_min_u32_e32 v13, v87, v13
	v_lshl_add_u32 v13, v13, 3, v71
	ds_read_b64 v[66:67], v13
	v_lshl_add_u32 v12, v12, 3, v71
	ds_read_b64 v[12:13], v12 offset:16384
	v_cndmask_b32_e64 v85, v87, v85, s[38:39]
	v_cndmask_b32_e64 v86, v86, v87, s[38:39]
	s_waitcnt lgkmcnt(1)
	v_cndmask_b32_e64 v65, v67, v49, s[38:39]
	v_cndmask_b32_e64 v64, v66, v48, s[38:39]
	;; [unrolled: 1-line block ×4, first 2 shown]
	v_cmp_lt_u32_e64 s[8:9], v85, v84
	s_and_saveexec_b64 s[40:41], s[8:9]
	s_cbranch_execz .LBB1231_122
; %bb.119:
	v_cmp_lt_u32_e64 s[8:9], v86, v83
	s_mov_b64 s[42:43], 0
	s_and_saveexec_b64 s[36:37], s[8:9]
	s_cbranch_execz .LBB1231_121
; %bb.120:
	v_add_f64 v[96:97], v[66:67], 0
	v_add_f64 v[98:99], v[64:65], 0
	v_ashrrev_i32_e32 v83, 31, v97
	v_or_b32_e32 v84, 0x80000000, v83
	v_xor_b32_e32 v96, v83, v96
	v_ashrrev_i32_e32 v83, 31, v99
	v_xor_b32_e32 v97, v84, v97
	v_or_b32_e32 v84, 0x80000000, v83
	v_xor_b32_e32 v99, v84, v99
	v_xor_b32_e32 v98, v83, v98
	v_cmp_le_u64_e64 s[8:9], v[96:97], v[98:99]
	s_and_b64 s[42:43], s[8:9], exec
.LBB1231_121:
	s_or_b64 exec, exec, s[36:37]
	s_orn2_b64 s[36:37], s[42:43], exec
.LBB1231_122:
	s_or_b64 exec, exec, s[40:41]
	v_cndmask_b32_e64 v34, v34, v50, s[30:31]
	v_cndmask_b32_e64 v50, v36, v38, s[28:29]
	;; [unrolled: 1-line block ×4, first 2 shown]
	v_lshl_add_u32 v22, v22, 3, v71
	v_cndmask_b32_e64 v35, v35, v51, s[30:31]
	v_cndmask_b32_e64 v51, v37, v39, s[28:29]
	;; [unrolled: 1-line block ×3, first 2 shown]
	ds_read_b64 v[22:23], v22 offset:16384
	v_cndmask_b32_e64 v49, v49, v55, s[38:39]
	v_cndmask_b32_e64 v48, v48, v54, s[38:39]
	;; [unrolled: 1-line block ×10, first 2 shown]
.LBB1231_123:
	s_or_b64 exec, exec, s[22:23]
	v_add_u32_e32 v16, 0x4000, v82
	; wave barrier
	ds_write2_b64 v82, v[26:27], v[38:39] offset1:1
	ds_write2_b64 v16, v[0:1], v[10:11] offset1:1
	ds_write2_b64 v82, v[36:37], v[50:51] offset0:2 offset1:3
	ds_write2_b64 v81, v[4:5], v[14:15] offset0:2 offset1:3
	;; [unrolled: 1-line block ×5, first 2 shown]
	s_waitcnt lgkmcnt(7)
	ds_write2_b64 v81, v[12:13], v[22:23] offset0:6 offset1:7
	v_and_b32_e32 v16, 0x3e0, v70
	v_or_b32_e32 v17, 16, v16
	v_min_u32_e32 v83, v80, v17
	v_add_u32_e32 v17, 16, v83
	v_min_u32_e32 v84, v80, v17
	v_and_b32_e32 v17, 24, v70
	v_min_u32_e32 v17, v80, v17
	v_sub_u32_e32 v30, v83, v16
	v_sub_u32_e32 v21, v84, v83
	v_sub_u32_e64 v21, v17, v21 clamp
	v_min_u32_e32 v30, v17, v30
	v_lshl_add_u32 v20, v16, 3, v71
	v_cmp_lt_u32_e64 s[8:9], v21, v30
	; wave barrier
	s_and_saveexec_b64 s[12:13], s[8:9]
	s_cbranch_execz .LBB1231_127
; %bb.124:
	v_lshlrev_b32_e32 v31, 3, v83
	v_lshlrev_b32_e32 v52, 3, v17
	v_add3_u32 v31, v71, v31, v52
	s_mov_b64 s[22:23], 0
.LBB1231_125:                           ; =>This Inner Loop Header: Depth=1
	v_add_u32_e32 v52, v30, v21
	v_lshrrev_b32_e32 v64, 1, v52
	v_not_b32_e32 v52, v64
	v_lshl_add_u32 v53, v64, 3, v20
	v_lshl_add_u32 v54, v52, 3, v31
	ds_read_b64 v[52:53], v53
	ds_read_b64 v[54:55], v54
	v_add_u32_e32 v65, 1, v64
	s_waitcnt lgkmcnt(1)
	v_add_f64 v[52:53], v[52:53], 0
	s_waitcnt lgkmcnt(0)
	v_add_f64 v[54:55], v[54:55], 0
	v_ashrrev_i32_e32 v66, 31, v53
	v_or_b32_e32 v67, 0x80000000, v66
	v_xor_b32_e32 v52, v66, v52
	v_ashrrev_i32_e32 v66, 31, v55
	v_xor_b32_e32 v53, v67, v53
	v_or_b32_e32 v67, 0x80000000, v66
	v_xor_b32_e32 v54, v66, v54
	v_xor_b32_e32 v55, v67, v55
	v_cmp_gt_u64_e64 s[8:9], v[52:53], v[54:55]
	v_cndmask_b32_e64 v30, v30, v64, s[8:9]
	v_cndmask_b32_e64 v21, v65, v21, s[8:9]
	v_cmp_ge_u32_e64 s[8:9], v21, v30
	s_or_b64 s[22:23], s[8:9], s[22:23]
	s_andn2_b64 exec, exec, s[22:23]
	s_cbranch_execnz .LBB1231_125
; %bb.126:
	s_or_b64 exec, exec, s[22:23]
.LBB1231_127:
	s_or_b64 exec, exec, s[12:13]
	v_add_u32_e32 v30, v21, v16
	v_add_u32_e32 v16, v83, v17
	v_sub_u32_e32 v31, v16, v21
	v_cmp_le_u32_e64 s[8:9], v30, v83
	v_cmp_le_u32_e64 s[12:13], v31, v84
	s_or_b64 s[8:9], s[8:9], s[12:13]
	s_and_saveexec_b64 s[22:23], s[8:9]
	s_cbranch_execz .LBB1231_163
; %bb.128:
	v_cmp_ge_u32_e64 s[8:9], v30, v83
	v_cmp_lt_u32_e64 s[12:13], v30, v83
                                        ; implicit-def: $vgpr16_vgpr17
	s_and_saveexec_b64 s[24:25], s[12:13]
	s_cbranch_execz .LBB1231_130
; %bb.129:
	v_lshl_add_u32 v0, v21, 3, v20
	ds_read_b64 v[16:17], v0
.LBB1231_130:
	s_or_b64 exec, exec, s[24:25]
	v_cmp_ge_u32_e64 s[24:25], v31, v84
	v_cmp_lt_u32_e64 s[12:13], v31, v84
                                        ; implicit-def: $vgpr20_vgpr21
	s_and_saveexec_b64 s[26:27], s[12:13]
	s_cbranch_execz .LBB1231_132
; %bb.131:
	v_lshl_add_u32 v0, v31, 3, v71
	ds_read_b64 v[20:21], v0
.LBB1231_132:
	s_or_b64 exec, exec, s[26:27]
	s_or_b64 s[8:9], s[8:9], s[24:25]
	s_mov_b64 s[12:13], -1
	s_xor_b64 s[8:9], s[8:9], -1
	s_and_saveexec_b64 s[26:27], s[8:9]
	s_cbranch_execz .LBB1231_134
; %bb.133:
	s_waitcnt lgkmcnt(0)
	v_add_f64 v[0:1], v[16:17], 0
	v_add_f64 v[4:5], v[20:21], 0
	v_ashrrev_i32_e32 v8, 31, v1
	v_or_b32_e32 v9, 0x80000000, v8
	v_xor_b32_e32 v0, v8, v0
	v_ashrrev_i32_e32 v8, 31, v5
	v_xor_b32_e32 v1, v9, v1
	v_or_b32_e32 v9, 0x80000000, v8
	v_xor_b32_e32 v5, v9, v5
	v_xor_b32_e32 v4, v8, v4
	v_cmp_le_u64_e64 s[8:9], v[0:1], v[4:5]
	s_andn2_b64 s[24:25], s[24:25], exec
	s_and_b64 s[8:9], s[8:9], exec
	s_or_b64 s[24:25], s[24:25], s[8:9]
.LBB1231_134:
	s_or_b64 exec, exec, s[26:27]
	v_cndmask_b32_e64 v0, v31, v30, s[24:25]
	v_cndmask_b32_e64 v1, v84, v83, s[24:25]
	v_add_u32_e32 v8, 1, v0
	v_add_u32_e32 v1, -1, v1
	v_min_u32_e32 v1, v8, v1
	v_lshl_add_u32 v1, v1, 3, v71
	ds_read_b64 v[4:5], v1
	v_lshl_add_u32 v0, v0, 3, v71
	ds_read_b64 v[0:1], v0 offset:16384
	s_waitcnt lgkmcnt(1)
	v_cndmask_b32_e64 v22, v4, v20, s[24:25]
	v_cndmask_b32_e64 v26, v16, v4, s[24:25]
	;; [unrolled: 1-line block ×6, first 2 shown]
	v_cmp_lt_u32_e64 s[8:9], v4, v84
	s_and_saveexec_b64 s[26:27], s[8:9]
	s_cbranch_execz .LBB1231_138
; %bb.135:
	v_cmp_lt_u32_e64 s[8:9], v5, v83
	s_mov_b64 s[28:29], 0
	s_and_saveexec_b64 s[12:13], s[8:9]
	s_cbranch_execz .LBB1231_137
; %bb.136:
	v_add_f64 v[8:9], v[26:27], 0
	v_add_f64 v[10:11], v[22:23], 0
	v_ashrrev_i32_e32 v12, 31, v9
	v_or_b32_e32 v13, 0x80000000, v12
	v_xor_b32_e32 v8, v12, v8
	v_ashrrev_i32_e32 v12, 31, v11
	v_xor_b32_e32 v9, v13, v9
	v_or_b32_e32 v13, 0x80000000, v12
	v_xor_b32_e32 v11, v13, v11
	v_xor_b32_e32 v10, v12, v10
	v_cmp_le_u64_e64 s[8:9], v[8:9], v[10:11]
	s_and_b64 s[28:29], s[8:9], exec
.LBB1231_137:
	s_or_b64 exec, exec, s[12:13]
	s_orn2_b64 s[12:13], s[28:29], exec
.LBB1231_138:
	s_or_b64 exec, exec, s[26:27]
	v_cndmask_b32_e64 v10, v4, v5, s[12:13]
	v_cndmask_b32_e64 v8, v84, v83, s[12:13]
	v_add_u32_e32 v12, 1, v10
	v_add_u32_e32 v8, -1, v8
	v_min_u32_e32 v8, v12, v8
	v_lshl_add_u32 v8, v8, 3, v71
	ds_read_b64 v[8:9], v8
	v_lshl_add_u32 v10, v10, 3, v71
	ds_read_b64 v[10:11], v10 offset:16384
	s_mov_b64 s[28:29], -1
	s_mov_b64 s[26:27], -1
	s_waitcnt lgkmcnt(1)
	v_cndmask_b32_e64 v28, v8, v22, s[12:13]
	v_cndmask_b32_e64 v30, v26, v8, s[12:13]
	;; [unrolled: 1-line block ×6, first 2 shown]
	v_cmp_lt_u32_e64 s[8:9], v8, v84
	s_and_saveexec_b64 s[30:31], s[8:9]
	s_cbranch_execz .LBB1231_142
; %bb.139:
	v_cmp_lt_u32_e64 s[8:9], v9, v83
	s_mov_b64 s[34:35], 0
	s_and_saveexec_b64 s[26:27], s[8:9]
	s_cbranch_execz .LBB1231_141
; %bb.140:
	v_add_f64 v[4:5], v[30:31], 0
	v_add_f64 v[12:13], v[28:29], 0
	v_ashrrev_i32_e32 v14, 31, v5
	v_or_b32_e32 v15, 0x80000000, v14
	v_xor_b32_e32 v4, v14, v4
	v_ashrrev_i32_e32 v14, 31, v13
	v_xor_b32_e32 v5, v15, v5
	v_or_b32_e32 v15, 0x80000000, v14
	v_xor_b32_e32 v13, v15, v13
	v_xor_b32_e32 v12, v14, v12
	v_cmp_le_u64_e64 s[8:9], v[4:5], v[12:13]
	s_and_b64 s[34:35], s[8:9], exec
.LBB1231_141:
	s_or_b64 exec, exec, s[26:27]
	s_orn2_b64 s[26:27], s[34:35], exec
.LBB1231_142:
	s_or_b64 exec, exec, s[30:31]
	v_cndmask_b32_e64 v4, v8, v9, s[26:27]
	v_cndmask_b32_e64 v5, v84, v83, s[26:27]
	v_add_u32_e32 v14, 1, v4
	v_add_u32_e32 v5, -1, v5
	v_min_u32_e32 v5, v14, v5
	v_lshl_add_u32 v5, v5, 3, v71
	ds_read_b64 v[12:13], v5
	v_lshl_add_u32 v4, v4, 3, v71
	ds_read_b64 v[4:5], v4 offset:16384
	v_cndmask_b32_e64 v8, v14, v8, s[26:27]
	v_cndmask_b32_e64 v9, v9, v14, s[26:27]
	s_waitcnt lgkmcnt(1)
	v_cndmask_b32_e64 v37, v13, v29, s[26:27]
	v_cndmask_b32_e64 v36, v12, v28, s[26:27]
	;; [unrolled: 1-line block ×4, first 2 shown]
	v_cmp_lt_u32_e64 s[8:9], v8, v84
	s_and_saveexec_b64 s[30:31], s[8:9]
	s_cbranch_execz .LBB1231_146
; %bb.143:
	v_cmp_lt_u32_e64 s[8:9], v9, v83
	s_mov_b64 s[34:35], 0
	s_and_saveexec_b64 s[28:29], s[8:9]
	s_cbranch_execz .LBB1231_145
; %bb.144:
	v_add_f64 v[12:13], v[38:39], 0
	v_add_f64 v[14:15], v[36:37], 0
	v_ashrrev_i32_e32 v18, 31, v13
	v_or_b32_e32 v19, 0x80000000, v18
	v_xor_b32_e32 v12, v18, v12
	v_ashrrev_i32_e32 v18, 31, v15
	v_xor_b32_e32 v13, v19, v13
	v_or_b32_e32 v19, 0x80000000, v18
	v_xor_b32_e32 v15, v19, v15
	v_xor_b32_e32 v14, v18, v14
	v_cmp_le_u64_e64 s[8:9], v[12:13], v[14:15]
	s_and_b64 s[34:35], s[8:9], exec
.LBB1231_145:
	s_or_b64 exec, exec, s[28:29]
	s_orn2_b64 s[28:29], s[34:35], exec
.LBB1231_146:
	s_or_b64 exec, exec, s[30:31]
	v_cndmask_b32_e64 v14, v8, v9, s[28:29]
	v_cndmask_b32_e64 v12, v84, v83, s[28:29]
	v_add_u32_e32 v18, 1, v14
	v_add_u32_e32 v12, -1, v12
	v_min_u32_e32 v12, v18, v12
	v_lshl_add_u32 v12, v12, 3, v71
	ds_read_b64 v[12:13], v12
	v_lshl_add_u32 v14, v14, 3, v71
	ds_read_b64 v[14:15], v14 offset:16384
	s_mov_b64 s[34:35], -1
	s_mov_b64 s[30:31], -1
	s_waitcnt lgkmcnt(1)
	v_cndmask_b32_e64 v34, v12, v36, s[28:29]
	v_cndmask_b32_e64 v50, v38, v12, s[28:29]
	;; [unrolled: 1-line block ×6, first 2 shown]
	v_cmp_lt_u32_e64 s[8:9], v12, v84
	s_and_saveexec_b64 s[36:37], s[8:9]
	s_cbranch_execz .LBB1231_150
; %bb.147:
	v_cmp_lt_u32_e64 s[8:9], v13, v83
	s_mov_b64 s[38:39], 0
	s_and_saveexec_b64 s[30:31], s[8:9]
	s_cbranch_execz .LBB1231_149
; %bb.148:
	v_add_f64 v[8:9], v[50:51], 0
	v_add_f64 v[18:19], v[34:35], 0
	v_ashrrev_i32_e32 v32, 31, v9
	v_or_b32_e32 v33, 0x80000000, v32
	v_xor_b32_e32 v8, v32, v8
	v_ashrrev_i32_e32 v32, 31, v19
	v_xor_b32_e32 v9, v33, v9
	v_or_b32_e32 v33, 0x80000000, v32
	v_xor_b32_e32 v19, v33, v19
	v_xor_b32_e32 v18, v32, v18
	v_cmp_le_u64_e64 s[8:9], v[8:9], v[18:19]
	s_and_b64 s[38:39], s[8:9], exec
.LBB1231_149:
	s_or_b64 exec, exec, s[30:31]
	s_orn2_b64 s[30:31], s[38:39], exec
.LBB1231_150:
	s_or_b64 exec, exec, s[36:37]
	v_cndmask_b32_e64 v8, v12, v13, s[30:31]
	v_cndmask_b32_e64 v9, v84, v83, s[30:31]
	v_add_u32_e32 v48, 1, v8
	v_add_u32_e32 v9, -1, v9
	v_min_u32_e32 v9, v48, v9
	v_lshl_add_u32 v9, v9, 3, v71
	ds_read_b64 v[18:19], v9
	v_lshl_add_u32 v8, v8, 3, v71
	ds_read_b64 v[8:9], v8 offset:16384
	v_cndmask_b32_e64 v12, v48, v12, s[30:31]
	v_cndmask_b32_e64 v13, v13, v48, s[30:31]
	s_waitcnt lgkmcnt(1)
	v_cndmask_b32_e64 v33, v19, v35, s[30:31]
	v_cndmask_b32_e64 v32, v18, v34, s[30:31]
	;; [unrolled: 1-line block ×4, first 2 shown]
	v_cmp_lt_u32_e64 s[8:9], v12, v84
	s_and_saveexec_b64 s[36:37], s[8:9]
	s_cbranch_execz .LBB1231_154
; %bb.151:
	v_cmp_lt_u32_e64 s[8:9], v13, v83
	s_mov_b64 s[38:39], 0
	s_and_saveexec_b64 s[34:35], s[8:9]
	s_cbranch_execz .LBB1231_153
; %bb.152:
	v_add_f64 v[18:19], v[52:53], 0
	v_add_f64 v[48:49], v[32:33], 0
	v_ashrrev_i32_e32 v54, 31, v19
	v_or_b32_e32 v55, 0x80000000, v54
	v_xor_b32_e32 v18, v54, v18
	v_ashrrev_i32_e32 v54, 31, v49
	v_xor_b32_e32 v19, v55, v19
	v_or_b32_e32 v55, 0x80000000, v54
	v_xor_b32_e32 v49, v55, v49
	v_xor_b32_e32 v48, v54, v48
	v_cmp_le_u64_e64 s[8:9], v[18:19], v[48:49]
	s_and_b64 s[38:39], s[8:9], exec
.LBB1231_153:
	s_or_b64 exec, exec, s[34:35]
	s_orn2_b64 s[34:35], s[38:39], exec
.LBB1231_154:
	s_or_b64 exec, exec, s[36:37]
	v_cndmask_b32_e64 v18, v12, v13, s[34:35]
	v_cndmask_b32_e64 v19, v84, v83, s[34:35]
	v_add_u32_e32 v64, 1, v18
	v_add_u32_e32 v19, -1, v19
	v_min_u32_e32 v19, v64, v19
	v_lshl_add_u32 v19, v19, 3, v71
	ds_read_b64 v[54:55], v19
	v_lshl_add_u32 v18, v18, 3, v71
	ds_read_b64 v[18:19], v18 offset:16384
	v_cndmask_b32_e64 v85, v64, v12, s[34:35]
	v_cndmask_b32_e64 v86, v13, v64, s[34:35]
	s_waitcnt lgkmcnt(1)
	v_cndmask_b32_e64 v49, v55, v33, s[34:35]
	v_cndmask_b32_e64 v48, v54, v32, s[34:35]
	;; [unrolled: 1-line block ×4, first 2 shown]
	v_cmp_lt_u32_e64 s[8:9], v85, v84
	s_mov_b64 s[36:37], -1
	s_mov_b64 s[38:39], -1
	s_and_saveexec_b64 s[40:41], s[8:9]
	s_cbranch_execz .LBB1231_158
; %bb.155:
	v_cmp_lt_u32_e64 s[8:9], v86, v83
	s_mov_b64 s[42:43], 0
	s_and_saveexec_b64 s[38:39], s[8:9]
	s_cbranch_execz .LBB1231_157
; %bb.156:
	v_add_f64 v[12:13], v[54:55], 0
	v_add_f64 v[64:65], v[48:49], 0
	v_ashrrev_i32_e32 v66, 31, v13
	v_or_b32_e32 v67, 0x80000000, v66
	v_xor_b32_e32 v12, v66, v12
	v_ashrrev_i32_e32 v66, 31, v65
	v_xor_b32_e32 v13, v67, v13
	v_or_b32_e32 v67, 0x80000000, v66
	v_xor_b32_e32 v65, v67, v65
	v_xor_b32_e32 v64, v66, v64
	v_cmp_le_u64_e64 s[8:9], v[12:13], v[64:65]
	s_and_b64 s[42:43], s[8:9], exec
.LBB1231_157:
	s_or_b64 exec, exec, s[38:39]
	s_orn2_b64 s[38:39], s[42:43], exec
.LBB1231_158:
	s_or_b64 exec, exec, s[40:41]
	v_cndmask_b32_e64 v12, v85, v86, s[38:39]
	v_cndmask_b32_e64 v13, v84, v83, s[38:39]
	v_add_u32_e32 v87, 1, v12
	v_add_u32_e32 v13, -1, v13
	v_min_u32_e32 v13, v87, v13
	v_lshl_add_u32 v13, v13, 3, v71
	ds_read_b64 v[66:67], v13
	v_lshl_add_u32 v12, v12, 3, v71
	ds_read_b64 v[12:13], v12 offset:16384
	v_cndmask_b32_e64 v85, v87, v85, s[38:39]
	v_cndmask_b32_e64 v86, v86, v87, s[38:39]
	s_waitcnt lgkmcnt(1)
	v_cndmask_b32_e64 v65, v67, v49, s[38:39]
	v_cndmask_b32_e64 v64, v66, v48, s[38:39]
	;; [unrolled: 1-line block ×4, first 2 shown]
	v_cmp_lt_u32_e64 s[8:9], v85, v84
	s_and_saveexec_b64 s[40:41], s[8:9]
	s_cbranch_execz .LBB1231_162
; %bb.159:
	v_cmp_lt_u32_e64 s[8:9], v86, v83
	s_mov_b64 s[42:43], 0
	s_and_saveexec_b64 s[36:37], s[8:9]
	s_cbranch_execz .LBB1231_161
; %bb.160:
	v_add_f64 v[96:97], v[66:67], 0
	v_add_f64 v[98:99], v[64:65], 0
	v_ashrrev_i32_e32 v83, 31, v97
	v_or_b32_e32 v84, 0x80000000, v83
	v_xor_b32_e32 v96, v83, v96
	v_ashrrev_i32_e32 v83, 31, v99
	v_xor_b32_e32 v97, v84, v97
	v_or_b32_e32 v84, 0x80000000, v83
	v_xor_b32_e32 v99, v84, v99
	v_xor_b32_e32 v98, v83, v98
	v_cmp_le_u64_e64 s[8:9], v[96:97], v[98:99]
	s_and_b64 s[42:43], s[8:9], exec
.LBB1231_161:
	s_or_b64 exec, exec, s[36:37]
	s_orn2_b64 s[36:37], s[42:43], exec
.LBB1231_162:
	s_or_b64 exec, exec, s[40:41]
	v_cndmask_b32_e64 v34, v34, v50, s[30:31]
	v_cndmask_b32_e64 v50, v36, v38, s[28:29]
	;; [unrolled: 1-line block ×4, first 2 shown]
	v_lshl_add_u32 v22, v22, 3, v71
	v_cndmask_b32_e64 v35, v35, v51, s[30:31]
	v_cndmask_b32_e64 v51, v37, v39, s[28:29]
	;; [unrolled: 1-line block ×3, first 2 shown]
	ds_read_b64 v[22:23], v22 offset:16384
	v_cndmask_b32_e64 v49, v49, v55, s[38:39]
	v_cndmask_b32_e64 v48, v48, v54, s[38:39]
	v_cndmask_b32_e64 v33, v33, v53, s[34:35]
	v_cndmask_b32_e64 v32, v32, v52, s[34:35]
	v_cndmask_b32_e64 v37, v29, v31, s[26:27]
	v_cndmask_b32_e64 v36, v28, v30, s[26:27]
	v_cndmask_b32_e64 v27, v21, v17, s[24:25]
	v_cndmask_b32_e64 v26, v20, v16, s[24:25]
	v_cndmask_b32_e64 v29, v65, v67, s[36:37]
	v_cndmask_b32_e64 v28, v64, v66, s[36:37]
.LBB1231_163:
	s_or_b64 exec, exec, s[22:23]
	v_add_u32_e32 v16, 0x4000, v82
	; wave barrier
	ds_write2_b64 v82, v[26:27], v[38:39] offset1:1
	ds_write2_b64 v16, v[0:1], v[10:11] offset1:1
	ds_write2_b64 v82, v[36:37], v[50:51] offset0:2 offset1:3
	ds_write2_b64 v81, v[4:5], v[14:15] offset0:2 offset1:3
	;; [unrolled: 1-line block ×5, first 2 shown]
	s_waitcnt lgkmcnt(7)
	ds_write2_b64 v81, v[12:13], v[22:23] offset0:6 offset1:7
	v_and_b32_e32 v16, 0x3c0, v70
	v_or_b32_e32 v17, 32, v16
	v_min_u32_e32 v83, v80, v17
	v_add_u32_e32 v17, 32, v83
	v_min_u32_e32 v84, v80, v17
	v_and_b32_e32 v17, 56, v70
	v_min_u32_e32 v17, v80, v17
	v_sub_u32_e32 v30, v83, v16
	v_sub_u32_e32 v21, v84, v83
	v_sub_u32_e64 v21, v17, v21 clamp
	v_min_u32_e32 v30, v17, v30
	v_lshl_add_u32 v20, v16, 3, v71
	v_cmp_lt_u32_e64 s[8:9], v21, v30
	; wave barrier
	s_and_saveexec_b64 s[12:13], s[8:9]
	s_cbranch_execz .LBB1231_167
; %bb.164:
	v_lshlrev_b32_e32 v31, 3, v83
	v_lshlrev_b32_e32 v52, 3, v17
	v_add3_u32 v31, v71, v31, v52
	s_mov_b64 s[22:23], 0
.LBB1231_165:                           ; =>This Inner Loop Header: Depth=1
	v_add_u32_e32 v52, v30, v21
	v_lshrrev_b32_e32 v64, 1, v52
	v_not_b32_e32 v52, v64
	v_lshl_add_u32 v53, v64, 3, v20
	v_lshl_add_u32 v54, v52, 3, v31
	ds_read_b64 v[52:53], v53
	ds_read_b64 v[54:55], v54
	v_add_u32_e32 v65, 1, v64
	s_waitcnt lgkmcnt(1)
	v_add_f64 v[52:53], v[52:53], 0
	s_waitcnt lgkmcnt(0)
	v_add_f64 v[54:55], v[54:55], 0
	v_ashrrev_i32_e32 v66, 31, v53
	v_or_b32_e32 v67, 0x80000000, v66
	v_xor_b32_e32 v52, v66, v52
	v_ashrrev_i32_e32 v66, 31, v55
	v_xor_b32_e32 v53, v67, v53
	v_or_b32_e32 v67, 0x80000000, v66
	v_xor_b32_e32 v54, v66, v54
	v_xor_b32_e32 v55, v67, v55
	v_cmp_gt_u64_e64 s[8:9], v[52:53], v[54:55]
	v_cndmask_b32_e64 v30, v30, v64, s[8:9]
	v_cndmask_b32_e64 v21, v65, v21, s[8:9]
	v_cmp_ge_u32_e64 s[8:9], v21, v30
	s_or_b64 s[22:23], s[8:9], s[22:23]
	s_andn2_b64 exec, exec, s[22:23]
	s_cbranch_execnz .LBB1231_165
; %bb.166:
	s_or_b64 exec, exec, s[22:23]
.LBB1231_167:
	s_or_b64 exec, exec, s[12:13]
	v_add_u32_e32 v30, v21, v16
	v_add_u32_e32 v16, v83, v17
	v_sub_u32_e32 v31, v16, v21
	v_cmp_le_u32_e64 s[8:9], v30, v83
	v_cmp_le_u32_e64 s[12:13], v31, v84
	s_or_b64 s[8:9], s[8:9], s[12:13]
	s_and_saveexec_b64 s[22:23], s[8:9]
	s_cbranch_execz .LBB1231_203
; %bb.168:
	v_cmp_ge_u32_e64 s[8:9], v30, v83
	v_cmp_lt_u32_e64 s[12:13], v30, v83
                                        ; implicit-def: $vgpr16_vgpr17
	s_and_saveexec_b64 s[24:25], s[12:13]
	s_cbranch_execz .LBB1231_170
; %bb.169:
	v_lshl_add_u32 v0, v21, 3, v20
	ds_read_b64 v[16:17], v0
.LBB1231_170:
	s_or_b64 exec, exec, s[24:25]
	v_cmp_ge_u32_e64 s[24:25], v31, v84
	v_cmp_lt_u32_e64 s[12:13], v31, v84
                                        ; implicit-def: $vgpr20_vgpr21
	s_and_saveexec_b64 s[26:27], s[12:13]
	s_cbranch_execz .LBB1231_172
; %bb.171:
	v_lshl_add_u32 v0, v31, 3, v71
	ds_read_b64 v[20:21], v0
.LBB1231_172:
	s_or_b64 exec, exec, s[26:27]
	s_or_b64 s[8:9], s[8:9], s[24:25]
	s_mov_b64 s[12:13], -1
	s_xor_b64 s[8:9], s[8:9], -1
	s_and_saveexec_b64 s[26:27], s[8:9]
	s_cbranch_execz .LBB1231_174
; %bb.173:
	s_waitcnt lgkmcnt(0)
	v_add_f64 v[0:1], v[16:17], 0
	v_add_f64 v[4:5], v[20:21], 0
	v_ashrrev_i32_e32 v8, 31, v1
	v_or_b32_e32 v9, 0x80000000, v8
	v_xor_b32_e32 v0, v8, v0
	v_ashrrev_i32_e32 v8, 31, v5
	v_xor_b32_e32 v1, v9, v1
	v_or_b32_e32 v9, 0x80000000, v8
	v_xor_b32_e32 v5, v9, v5
	v_xor_b32_e32 v4, v8, v4
	v_cmp_le_u64_e64 s[8:9], v[0:1], v[4:5]
	s_andn2_b64 s[24:25], s[24:25], exec
	s_and_b64 s[8:9], s[8:9], exec
	s_or_b64 s[24:25], s[24:25], s[8:9]
.LBB1231_174:
	s_or_b64 exec, exec, s[26:27]
	v_cndmask_b32_e64 v0, v31, v30, s[24:25]
	v_cndmask_b32_e64 v1, v84, v83, s[24:25]
	v_add_u32_e32 v8, 1, v0
	v_add_u32_e32 v1, -1, v1
	v_min_u32_e32 v1, v8, v1
	v_lshl_add_u32 v1, v1, 3, v71
	ds_read_b64 v[4:5], v1
	v_lshl_add_u32 v0, v0, 3, v71
	ds_read_b64 v[0:1], v0 offset:16384
	s_waitcnt lgkmcnt(1)
	v_cndmask_b32_e64 v22, v4, v20, s[24:25]
	v_cndmask_b32_e64 v26, v16, v4, s[24:25]
	;; [unrolled: 1-line block ×6, first 2 shown]
	v_cmp_lt_u32_e64 s[8:9], v4, v84
	s_and_saveexec_b64 s[26:27], s[8:9]
	s_cbranch_execz .LBB1231_178
; %bb.175:
	v_cmp_lt_u32_e64 s[8:9], v5, v83
	s_mov_b64 s[28:29], 0
	s_and_saveexec_b64 s[12:13], s[8:9]
	s_cbranch_execz .LBB1231_177
; %bb.176:
	v_add_f64 v[8:9], v[26:27], 0
	v_add_f64 v[10:11], v[22:23], 0
	v_ashrrev_i32_e32 v12, 31, v9
	v_or_b32_e32 v13, 0x80000000, v12
	v_xor_b32_e32 v8, v12, v8
	v_ashrrev_i32_e32 v12, 31, v11
	v_xor_b32_e32 v9, v13, v9
	v_or_b32_e32 v13, 0x80000000, v12
	v_xor_b32_e32 v11, v13, v11
	v_xor_b32_e32 v10, v12, v10
	v_cmp_le_u64_e64 s[8:9], v[8:9], v[10:11]
	s_and_b64 s[28:29], s[8:9], exec
.LBB1231_177:
	s_or_b64 exec, exec, s[12:13]
	s_orn2_b64 s[12:13], s[28:29], exec
.LBB1231_178:
	s_or_b64 exec, exec, s[26:27]
	v_cndmask_b32_e64 v10, v4, v5, s[12:13]
	v_cndmask_b32_e64 v8, v84, v83, s[12:13]
	v_add_u32_e32 v12, 1, v10
	v_add_u32_e32 v8, -1, v8
	v_min_u32_e32 v8, v12, v8
	v_lshl_add_u32 v8, v8, 3, v71
	ds_read_b64 v[8:9], v8
	v_lshl_add_u32 v10, v10, 3, v71
	ds_read_b64 v[10:11], v10 offset:16384
	s_mov_b64 s[28:29], -1
	s_mov_b64 s[26:27], -1
	s_waitcnt lgkmcnt(1)
	v_cndmask_b32_e64 v28, v8, v22, s[12:13]
	v_cndmask_b32_e64 v30, v26, v8, s[12:13]
	;; [unrolled: 1-line block ×6, first 2 shown]
	v_cmp_lt_u32_e64 s[8:9], v8, v84
	s_and_saveexec_b64 s[30:31], s[8:9]
	s_cbranch_execz .LBB1231_182
; %bb.179:
	v_cmp_lt_u32_e64 s[8:9], v9, v83
	s_mov_b64 s[34:35], 0
	s_and_saveexec_b64 s[26:27], s[8:9]
	s_cbranch_execz .LBB1231_181
; %bb.180:
	v_add_f64 v[4:5], v[30:31], 0
	v_add_f64 v[12:13], v[28:29], 0
	v_ashrrev_i32_e32 v14, 31, v5
	v_or_b32_e32 v15, 0x80000000, v14
	v_xor_b32_e32 v4, v14, v4
	v_ashrrev_i32_e32 v14, 31, v13
	v_xor_b32_e32 v5, v15, v5
	v_or_b32_e32 v15, 0x80000000, v14
	v_xor_b32_e32 v13, v15, v13
	v_xor_b32_e32 v12, v14, v12
	v_cmp_le_u64_e64 s[8:9], v[4:5], v[12:13]
	s_and_b64 s[34:35], s[8:9], exec
.LBB1231_181:
	s_or_b64 exec, exec, s[26:27]
	s_orn2_b64 s[26:27], s[34:35], exec
.LBB1231_182:
	s_or_b64 exec, exec, s[30:31]
	v_cndmask_b32_e64 v4, v8, v9, s[26:27]
	v_cndmask_b32_e64 v5, v84, v83, s[26:27]
	v_add_u32_e32 v14, 1, v4
	v_add_u32_e32 v5, -1, v5
	v_min_u32_e32 v5, v14, v5
	v_lshl_add_u32 v5, v5, 3, v71
	ds_read_b64 v[12:13], v5
	v_lshl_add_u32 v4, v4, 3, v71
	ds_read_b64 v[4:5], v4 offset:16384
	v_cndmask_b32_e64 v8, v14, v8, s[26:27]
	v_cndmask_b32_e64 v9, v9, v14, s[26:27]
	s_waitcnt lgkmcnt(1)
	v_cndmask_b32_e64 v37, v13, v29, s[26:27]
	v_cndmask_b32_e64 v36, v12, v28, s[26:27]
	;; [unrolled: 1-line block ×4, first 2 shown]
	v_cmp_lt_u32_e64 s[8:9], v8, v84
	s_and_saveexec_b64 s[30:31], s[8:9]
	s_cbranch_execz .LBB1231_186
; %bb.183:
	v_cmp_lt_u32_e64 s[8:9], v9, v83
	s_mov_b64 s[34:35], 0
	s_and_saveexec_b64 s[28:29], s[8:9]
	s_cbranch_execz .LBB1231_185
; %bb.184:
	v_add_f64 v[12:13], v[38:39], 0
	v_add_f64 v[14:15], v[36:37], 0
	v_ashrrev_i32_e32 v18, 31, v13
	v_or_b32_e32 v19, 0x80000000, v18
	v_xor_b32_e32 v12, v18, v12
	v_ashrrev_i32_e32 v18, 31, v15
	v_xor_b32_e32 v13, v19, v13
	v_or_b32_e32 v19, 0x80000000, v18
	v_xor_b32_e32 v15, v19, v15
	v_xor_b32_e32 v14, v18, v14
	v_cmp_le_u64_e64 s[8:9], v[12:13], v[14:15]
	s_and_b64 s[34:35], s[8:9], exec
.LBB1231_185:
	s_or_b64 exec, exec, s[28:29]
	s_orn2_b64 s[28:29], s[34:35], exec
.LBB1231_186:
	s_or_b64 exec, exec, s[30:31]
	v_cndmask_b32_e64 v14, v8, v9, s[28:29]
	v_cndmask_b32_e64 v12, v84, v83, s[28:29]
	v_add_u32_e32 v18, 1, v14
	v_add_u32_e32 v12, -1, v12
	v_min_u32_e32 v12, v18, v12
	v_lshl_add_u32 v12, v12, 3, v71
	ds_read_b64 v[12:13], v12
	v_lshl_add_u32 v14, v14, 3, v71
	ds_read_b64 v[14:15], v14 offset:16384
	s_mov_b64 s[34:35], -1
	s_mov_b64 s[30:31], -1
	s_waitcnt lgkmcnt(1)
	v_cndmask_b32_e64 v34, v12, v36, s[28:29]
	v_cndmask_b32_e64 v50, v38, v12, s[28:29]
	v_cndmask_b32_e64 v12, v18, v8, s[28:29]
	v_cndmask_b32_e64 v35, v13, v37, s[28:29]
	v_cndmask_b32_e64 v51, v39, v13, s[28:29]
	v_cndmask_b32_e64 v13, v9, v18, s[28:29]
	v_cmp_lt_u32_e64 s[8:9], v12, v84
	s_and_saveexec_b64 s[36:37], s[8:9]
	s_cbranch_execz .LBB1231_190
; %bb.187:
	v_cmp_lt_u32_e64 s[8:9], v13, v83
	s_mov_b64 s[38:39], 0
	s_and_saveexec_b64 s[30:31], s[8:9]
	s_cbranch_execz .LBB1231_189
; %bb.188:
	v_add_f64 v[8:9], v[50:51], 0
	v_add_f64 v[18:19], v[34:35], 0
	v_ashrrev_i32_e32 v32, 31, v9
	v_or_b32_e32 v33, 0x80000000, v32
	v_xor_b32_e32 v8, v32, v8
	v_ashrrev_i32_e32 v32, 31, v19
	v_xor_b32_e32 v9, v33, v9
	v_or_b32_e32 v33, 0x80000000, v32
	v_xor_b32_e32 v19, v33, v19
	v_xor_b32_e32 v18, v32, v18
	v_cmp_le_u64_e64 s[8:9], v[8:9], v[18:19]
	s_and_b64 s[38:39], s[8:9], exec
.LBB1231_189:
	s_or_b64 exec, exec, s[30:31]
	s_orn2_b64 s[30:31], s[38:39], exec
.LBB1231_190:
	s_or_b64 exec, exec, s[36:37]
	v_cndmask_b32_e64 v8, v12, v13, s[30:31]
	v_cndmask_b32_e64 v9, v84, v83, s[30:31]
	v_add_u32_e32 v48, 1, v8
	v_add_u32_e32 v9, -1, v9
	v_min_u32_e32 v9, v48, v9
	v_lshl_add_u32 v9, v9, 3, v71
	ds_read_b64 v[18:19], v9
	v_lshl_add_u32 v8, v8, 3, v71
	ds_read_b64 v[8:9], v8 offset:16384
	v_cndmask_b32_e64 v12, v48, v12, s[30:31]
	v_cndmask_b32_e64 v13, v13, v48, s[30:31]
	s_waitcnt lgkmcnt(1)
	v_cndmask_b32_e64 v33, v19, v35, s[30:31]
	v_cndmask_b32_e64 v32, v18, v34, s[30:31]
	;; [unrolled: 1-line block ×4, first 2 shown]
	v_cmp_lt_u32_e64 s[8:9], v12, v84
	s_and_saveexec_b64 s[36:37], s[8:9]
	s_cbranch_execz .LBB1231_194
; %bb.191:
	v_cmp_lt_u32_e64 s[8:9], v13, v83
	s_mov_b64 s[38:39], 0
	s_and_saveexec_b64 s[34:35], s[8:9]
	s_cbranch_execz .LBB1231_193
; %bb.192:
	v_add_f64 v[18:19], v[52:53], 0
	v_add_f64 v[48:49], v[32:33], 0
	v_ashrrev_i32_e32 v54, 31, v19
	v_or_b32_e32 v55, 0x80000000, v54
	v_xor_b32_e32 v18, v54, v18
	v_ashrrev_i32_e32 v54, 31, v49
	v_xor_b32_e32 v19, v55, v19
	v_or_b32_e32 v55, 0x80000000, v54
	v_xor_b32_e32 v49, v55, v49
	v_xor_b32_e32 v48, v54, v48
	v_cmp_le_u64_e64 s[8:9], v[18:19], v[48:49]
	s_and_b64 s[38:39], s[8:9], exec
.LBB1231_193:
	s_or_b64 exec, exec, s[34:35]
	s_orn2_b64 s[34:35], s[38:39], exec
.LBB1231_194:
	s_or_b64 exec, exec, s[36:37]
	v_cndmask_b32_e64 v18, v12, v13, s[34:35]
	v_cndmask_b32_e64 v19, v84, v83, s[34:35]
	v_add_u32_e32 v64, 1, v18
	v_add_u32_e32 v19, -1, v19
	v_min_u32_e32 v19, v64, v19
	v_lshl_add_u32 v19, v19, 3, v71
	ds_read_b64 v[54:55], v19
	v_lshl_add_u32 v18, v18, 3, v71
	ds_read_b64 v[18:19], v18 offset:16384
	v_cndmask_b32_e64 v85, v64, v12, s[34:35]
	v_cndmask_b32_e64 v86, v13, v64, s[34:35]
	s_waitcnt lgkmcnt(1)
	v_cndmask_b32_e64 v49, v55, v33, s[34:35]
	v_cndmask_b32_e64 v48, v54, v32, s[34:35]
	;; [unrolled: 1-line block ×4, first 2 shown]
	v_cmp_lt_u32_e64 s[8:9], v85, v84
	s_mov_b64 s[36:37], -1
	s_mov_b64 s[38:39], -1
	s_and_saveexec_b64 s[40:41], s[8:9]
	s_cbranch_execz .LBB1231_198
; %bb.195:
	v_cmp_lt_u32_e64 s[8:9], v86, v83
	s_mov_b64 s[42:43], 0
	s_and_saveexec_b64 s[38:39], s[8:9]
	s_cbranch_execz .LBB1231_197
; %bb.196:
	v_add_f64 v[12:13], v[54:55], 0
	v_add_f64 v[64:65], v[48:49], 0
	v_ashrrev_i32_e32 v66, 31, v13
	v_or_b32_e32 v67, 0x80000000, v66
	v_xor_b32_e32 v12, v66, v12
	v_ashrrev_i32_e32 v66, 31, v65
	v_xor_b32_e32 v13, v67, v13
	v_or_b32_e32 v67, 0x80000000, v66
	v_xor_b32_e32 v65, v67, v65
	v_xor_b32_e32 v64, v66, v64
	v_cmp_le_u64_e64 s[8:9], v[12:13], v[64:65]
	s_and_b64 s[42:43], s[8:9], exec
.LBB1231_197:
	s_or_b64 exec, exec, s[38:39]
	s_orn2_b64 s[38:39], s[42:43], exec
.LBB1231_198:
	s_or_b64 exec, exec, s[40:41]
	v_cndmask_b32_e64 v12, v85, v86, s[38:39]
	v_cndmask_b32_e64 v13, v84, v83, s[38:39]
	v_add_u32_e32 v87, 1, v12
	v_add_u32_e32 v13, -1, v13
	v_min_u32_e32 v13, v87, v13
	v_lshl_add_u32 v13, v13, 3, v71
	ds_read_b64 v[66:67], v13
	v_lshl_add_u32 v12, v12, 3, v71
	ds_read_b64 v[12:13], v12 offset:16384
	v_cndmask_b32_e64 v85, v87, v85, s[38:39]
	v_cndmask_b32_e64 v86, v86, v87, s[38:39]
	s_waitcnt lgkmcnt(1)
	v_cndmask_b32_e64 v65, v67, v49, s[38:39]
	v_cndmask_b32_e64 v64, v66, v48, s[38:39]
	v_cndmask_b32_e64 v67, v55, v67, s[38:39]
	v_cndmask_b32_e64 v66, v54, v66, s[38:39]
	v_cmp_lt_u32_e64 s[8:9], v85, v84
	s_and_saveexec_b64 s[40:41], s[8:9]
	s_cbranch_execz .LBB1231_202
; %bb.199:
	v_cmp_lt_u32_e64 s[8:9], v86, v83
	s_mov_b64 s[42:43], 0
	s_and_saveexec_b64 s[36:37], s[8:9]
	s_cbranch_execz .LBB1231_201
; %bb.200:
	v_add_f64 v[96:97], v[66:67], 0
	v_add_f64 v[98:99], v[64:65], 0
	v_ashrrev_i32_e32 v83, 31, v97
	v_or_b32_e32 v84, 0x80000000, v83
	v_xor_b32_e32 v96, v83, v96
	v_ashrrev_i32_e32 v83, 31, v99
	v_xor_b32_e32 v97, v84, v97
	v_or_b32_e32 v84, 0x80000000, v83
	v_xor_b32_e32 v99, v84, v99
	v_xor_b32_e32 v98, v83, v98
	v_cmp_le_u64_e64 s[8:9], v[96:97], v[98:99]
	s_and_b64 s[42:43], s[8:9], exec
.LBB1231_201:
	s_or_b64 exec, exec, s[36:37]
	s_orn2_b64 s[36:37], s[42:43], exec
.LBB1231_202:
	s_or_b64 exec, exec, s[40:41]
	v_cndmask_b32_e64 v34, v34, v50, s[30:31]
	v_cndmask_b32_e64 v50, v36, v38, s[28:29]
	v_cndmask_b32_e64 v38, v22, v26, s[12:13]
	v_cndmask_b32_e64 v22, v85, v86, s[36:37]
	v_lshl_add_u32 v22, v22, 3, v71
	v_cndmask_b32_e64 v35, v35, v51, s[30:31]
	v_cndmask_b32_e64 v51, v37, v39, s[28:29]
	;; [unrolled: 1-line block ×3, first 2 shown]
	ds_read_b64 v[22:23], v22 offset:16384
	v_cndmask_b32_e64 v49, v49, v55, s[38:39]
	v_cndmask_b32_e64 v48, v48, v54, s[38:39]
	;; [unrolled: 1-line block ×10, first 2 shown]
.LBB1231_203:
	s_or_b64 exec, exec, s[22:23]
	v_add_u32_e32 v16, 0x4000, v82
	; wave barrier
	ds_write2_b64 v82, v[26:27], v[38:39] offset1:1
	ds_write2_b64 v16, v[0:1], v[10:11] offset1:1
	ds_write2_b64 v82, v[36:37], v[50:51] offset0:2 offset1:3
	ds_write2_b64 v81, v[4:5], v[14:15] offset0:2 offset1:3
	;; [unrolled: 1-line block ×5, first 2 shown]
	s_waitcnt lgkmcnt(7)
	ds_write2_b64 v81, v[12:13], v[22:23] offset0:6 offset1:7
	v_and_b32_e32 v16, 0x380, v70
	v_or_b32_e32 v17, 64, v16
	v_min_u32_e32 v70, v80, v17
	v_add_u32_e32 v17, 64, v70
	v_min_u32_e32 v81, v80, v17
	v_min_u32_e32 v17, v80, v69
	v_sub_u32_e32 v30, v70, v16
	v_sub_u32_e32 v21, v81, v70
	v_sub_u32_e64 v21, v17, v21 clamp
	v_min_u32_e32 v30, v17, v30
	v_lshl_add_u32 v20, v16, 3, v71
	v_cmp_lt_u32_e64 s[8:9], v21, v30
	; wave barrier
	s_and_saveexec_b64 s[12:13], s[8:9]
	s_cbranch_execz .LBB1231_207
; %bb.204:
	v_lshlrev_b32_e32 v31, 3, v70
	v_lshlrev_b32_e32 v52, 3, v17
	v_add3_u32 v31, v71, v31, v52
	s_mov_b64 s[22:23], 0
.LBB1231_205:                           ; =>This Inner Loop Header: Depth=1
	v_add_u32_e32 v52, v30, v21
	v_lshrrev_b32_e32 v64, 1, v52
	v_not_b32_e32 v52, v64
	v_lshl_add_u32 v53, v64, 3, v20
	v_lshl_add_u32 v54, v52, 3, v31
	ds_read_b64 v[52:53], v53
	ds_read_b64 v[54:55], v54
	v_add_u32_e32 v65, 1, v64
	s_waitcnt lgkmcnt(1)
	v_add_f64 v[52:53], v[52:53], 0
	s_waitcnt lgkmcnt(0)
	v_add_f64 v[54:55], v[54:55], 0
	v_ashrrev_i32_e32 v66, 31, v53
	v_or_b32_e32 v67, 0x80000000, v66
	v_xor_b32_e32 v52, v66, v52
	v_ashrrev_i32_e32 v66, 31, v55
	v_xor_b32_e32 v53, v67, v53
	v_or_b32_e32 v67, 0x80000000, v66
	v_xor_b32_e32 v54, v66, v54
	v_xor_b32_e32 v55, v67, v55
	v_cmp_gt_u64_e64 s[8:9], v[52:53], v[54:55]
	v_cndmask_b32_e64 v30, v30, v64, s[8:9]
	v_cndmask_b32_e64 v21, v65, v21, s[8:9]
	v_cmp_ge_u32_e64 s[8:9], v21, v30
	s_or_b64 s[22:23], s[8:9], s[22:23]
	s_andn2_b64 exec, exec, s[22:23]
	s_cbranch_execnz .LBB1231_205
; %bb.206:
	s_or_b64 exec, exec, s[22:23]
.LBB1231_207:
	s_or_b64 exec, exec, s[12:13]
	v_add_u32_e32 v30, v21, v16
	v_add_u32_e32 v16, v70, v17
	v_sub_u32_e32 v31, v16, v21
	v_cmp_le_u32_e64 s[8:9], v30, v70
	v_cmp_le_u32_e64 s[12:13], v31, v81
	s_or_b64 s[8:9], s[8:9], s[12:13]
	s_and_saveexec_b64 s[22:23], s[8:9]
	s_cbranch_execz .LBB1231_243
; %bb.208:
	v_cmp_ge_u32_e64 s[8:9], v30, v70
	v_cmp_lt_u32_e64 s[12:13], v30, v70
                                        ; implicit-def: $vgpr16_vgpr17
	s_and_saveexec_b64 s[24:25], s[12:13]
	s_cbranch_execz .LBB1231_210
; %bb.209:
	v_lshl_add_u32 v0, v21, 3, v20
	ds_read_b64 v[16:17], v0
.LBB1231_210:
	s_or_b64 exec, exec, s[24:25]
	v_cmp_ge_u32_e64 s[24:25], v31, v81
	v_cmp_lt_u32_e64 s[12:13], v31, v81
                                        ; implicit-def: $vgpr20_vgpr21
	s_and_saveexec_b64 s[26:27], s[12:13]
	s_cbranch_execz .LBB1231_212
; %bb.211:
	v_lshl_add_u32 v0, v31, 3, v71
	ds_read_b64 v[20:21], v0
.LBB1231_212:
	s_or_b64 exec, exec, s[26:27]
	s_or_b64 s[8:9], s[8:9], s[24:25]
	s_mov_b64 s[12:13], -1
	s_xor_b64 s[8:9], s[8:9], -1
	s_and_saveexec_b64 s[26:27], s[8:9]
	s_cbranch_execz .LBB1231_214
; %bb.213:
	s_waitcnt lgkmcnt(0)
	v_add_f64 v[0:1], v[16:17], 0
	v_add_f64 v[4:5], v[20:21], 0
	v_ashrrev_i32_e32 v8, 31, v1
	v_or_b32_e32 v9, 0x80000000, v8
	v_xor_b32_e32 v0, v8, v0
	v_ashrrev_i32_e32 v8, 31, v5
	v_xor_b32_e32 v1, v9, v1
	v_or_b32_e32 v9, 0x80000000, v8
	v_xor_b32_e32 v5, v9, v5
	v_xor_b32_e32 v4, v8, v4
	v_cmp_le_u64_e64 s[8:9], v[0:1], v[4:5]
	s_andn2_b64 s[24:25], s[24:25], exec
	s_and_b64 s[8:9], s[8:9], exec
	s_or_b64 s[24:25], s[24:25], s[8:9]
.LBB1231_214:
	s_or_b64 exec, exec, s[26:27]
	v_cndmask_b32_e64 v0, v31, v30, s[24:25]
	v_cndmask_b32_e64 v1, v81, v70, s[24:25]
	v_add_u32_e32 v8, 1, v0
	v_add_u32_e32 v1, -1, v1
	v_min_u32_e32 v1, v8, v1
	v_lshl_add_u32 v1, v1, 3, v71
	ds_read_b64 v[4:5], v1
	v_lshl_add_u32 v0, v0, 3, v71
	ds_read_b64 v[0:1], v0 offset:16384
	s_waitcnt lgkmcnt(1)
	v_cndmask_b32_e64 v22, v4, v20, s[24:25]
	v_cndmask_b32_e64 v26, v16, v4, s[24:25]
	;; [unrolled: 1-line block ×6, first 2 shown]
	v_cmp_lt_u32_e64 s[8:9], v4, v81
	s_and_saveexec_b64 s[26:27], s[8:9]
	s_cbranch_execz .LBB1231_218
; %bb.215:
	v_cmp_lt_u32_e64 s[8:9], v5, v70
	s_mov_b64 s[28:29], 0
	s_and_saveexec_b64 s[12:13], s[8:9]
	s_cbranch_execz .LBB1231_217
; %bb.216:
	v_add_f64 v[8:9], v[26:27], 0
	v_add_f64 v[10:11], v[22:23], 0
	v_ashrrev_i32_e32 v12, 31, v9
	v_or_b32_e32 v13, 0x80000000, v12
	v_xor_b32_e32 v8, v12, v8
	v_ashrrev_i32_e32 v12, 31, v11
	v_xor_b32_e32 v9, v13, v9
	v_or_b32_e32 v13, 0x80000000, v12
	v_xor_b32_e32 v11, v13, v11
	v_xor_b32_e32 v10, v12, v10
	v_cmp_le_u64_e64 s[8:9], v[8:9], v[10:11]
	s_and_b64 s[28:29], s[8:9], exec
.LBB1231_217:
	s_or_b64 exec, exec, s[12:13]
	s_orn2_b64 s[12:13], s[28:29], exec
.LBB1231_218:
	s_or_b64 exec, exec, s[26:27]
	v_cndmask_b32_e64 v10, v4, v5, s[12:13]
	v_cndmask_b32_e64 v8, v81, v70, s[12:13]
	v_add_u32_e32 v12, 1, v10
	v_add_u32_e32 v8, -1, v8
	v_min_u32_e32 v8, v12, v8
	v_lshl_add_u32 v8, v8, 3, v71
	ds_read_b64 v[8:9], v8
	v_lshl_add_u32 v10, v10, 3, v71
	ds_read_b64 v[10:11], v10 offset:16384
	s_mov_b64 s[28:29], -1
	s_mov_b64 s[26:27], -1
	s_waitcnt lgkmcnt(1)
	v_cndmask_b32_e64 v28, v8, v22, s[12:13]
	v_cndmask_b32_e64 v30, v26, v8, s[12:13]
	;; [unrolled: 1-line block ×6, first 2 shown]
	v_cmp_lt_u32_e64 s[8:9], v8, v81
	s_and_saveexec_b64 s[30:31], s[8:9]
	s_cbranch_execz .LBB1231_222
; %bb.219:
	v_cmp_lt_u32_e64 s[8:9], v9, v70
	s_mov_b64 s[34:35], 0
	s_and_saveexec_b64 s[26:27], s[8:9]
	s_cbranch_execz .LBB1231_221
; %bb.220:
	v_add_f64 v[4:5], v[30:31], 0
	v_add_f64 v[12:13], v[28:29], 0
	v_ashrrev_i32_e32 v14, 31, v5
	v_or_b32_e32 v15, 0x80000000, v14
	v_xor_b32_e32 v4, v14, v4
	v_ashrrev_i32_e32 v14, 31, v13
	v_xor_b32_e32 v5, v15, v5
	v_or_b32_e32 v15, 0x80000000, v14
	v_xor_b32_e32 v13, v15, v13
	v_xor_b32_e32 v12, v14, v12
	v_cmp_le_u64_e64 s[8:9], v[4:5], v[12:13]
	s_and_b64 s[34:35], s[8:9], exec
.LBB1231_221:
	s_or_b64 exec, exec, s[26:27]
	s_orn2_b64 s[26:27], s[34:35], exec
.LBB1231_222:
	s_or_b64 exec, exec, s[30:31]
	v_cndmask_b32_e64 v4, v8, v9, s[26:27]
	v_cndmask_b32_e64 v5, v81, v70, s[26:27]
	v_add_u32_e32 v14, 1, v4
	v_add_u32_e32 v5, -1, v5
	v_min_u32_e32 v5, v14, v5
	v_lshl_add_u32 v5, v5, 3, v71
	ds_read_b64 v[12:13], v5
	v_lshl_add_u32 v4, v4, 3, v71
	ds_read_b64 v[4:5], v4 offset:16384
	v_cndmask_b32_e64 v8, v14, v8, s[26:27]
	v_cndmask_b32_e64 v9, v9, v14, s[26:27]
	s_waitcnt lgkmcnt(1)
	v_cndmask_b32_e64 v37, v13, v29, s[26:27]
	v_cndmask_b32_e64 v36, v12, v28, s[26:27]
	;; [unrolled: 1-line block ×4, first 2 shown]
	v_cmp_lt_u32_e64 s[8:9], v8, v81
	s_and_saveexec_b64 s[30:31], s[8:9]
	s_cbranch_execz .LBB1231_226
; %bb.223:
	v_cmp_lt_u32_e64 s[8:9], v9, v70
	s_mov_b64 s[34:35], 0
	s_and_saveexec_b64 s[28:29], s[8:9]
	s_cbranch_execz .LBB1231_225
; %bb.224:
	v_add_f64 v[12:13], v[38:39], 0
	v_add_f64 v[14:15], v[36:37], 0
	v_ashrrev_i32_e32 v18, 31, v13
	v_or_b32_e32 v19, 0x80000000, v18
	v_xor_b32_e32 v12, v18, v12
	v_ashrrev_i32_e32 v18, 31, v15
	v_xor_b32_e32 v13, v19, v13
	v_or_b32_e32 v19, 0x80000000, v18
	v_xor_b32_e32 v15, v19, v15
	v_xor_b32_e32 v14, v18, v14
	v_cmp_le_u64_e64 s[8:9], v[12:13], v[14:15]
	s_and_b64 s[34:35], s[8:9], exec
.LBB1231_225:
	s_or_b64 exec, exec, s[28:29]
	s_orn2_b64 s[28:29], s[34:35], exec
.LBB1231_226:
	s_or_b64 exec, exec, s[30:31]
	v_cndmask_b32_e64 v14, v8, v9, s[28:29]
	v_cndmask_b32_e64 v12, v81, v70, s[28:29]
	v_add_u32_e32 v18, 1, v14
	v_add_u32_e32 v12, -1, v12
	v_min_u32_e32 v12, v18, v12
	v_lshl_add_u32 v12, v12, 3, v71
	ds_read_b64 v[12:13], v12
	v_lshl_add_u32 v14, v14, 3, v71
	ds_read_b64 v[14:15], v14 offset:16384
	s_mov_b64 s[34:35], -1
	s_mov_b64 s[30:31], -1
	s_waitcnt lgkmcnt(1)
	v_cndmask_b32_e64 v34, v12, v36, s[28:29]
	v_cndmask_b32_e64 v50, v38, v12, s[28:29]
	;; [unrolled: 1-line block ×6, first 2 shown]
	v_cmp_lt_u32_e64 s[8:9], v12, v81
	s_and_saveexec_b64 s[36:37], s[8:9]
	s_cbranch_execz .LBB1231_230
; %bb.227:
	v_cmp_lt_u32_e64 s[8:9], v13, v70
	s_mov_b64 s[38:39], 0
	s_and_saveexec_b64 s[30:31], s[8:9]
	s_cbranch_execz .LBB1231_229
; %bb.228:
	v_add_f64 v[8:9], v[50:51], 0
	v_add_f64 v[18:19], v[34:35], 0
	v_ashrrev_i32_e32 v32, 31, v9
	v_or_b32_e32 v33, 0x80000000, v32
	v_xor_b32_e32 v8, v32, v8
	v_ashrrev_i32_e32 v32, 31, v19
	v_xor_b32_e32 v9, v33, v9
	v_or_b32_e32 v33, 0x80000000, v32
	v_xor_b32_e32 v19, v33, v19
	v_xor_b32_e32 v18, v32, v18
	v_cmp_le_u64_e64 s[8:9], v[8:9], v[18:19]
	s_and_b64 s[38:39], s[8:9], exec
.LBB1231_229:
	s_or_b64 exec, exec, s[30:31]
	s_orn2_b64 s[30:31], s[38:39], exec
.LBB1231_230:
	s_or_b64 exec, exec, s[36:37]
	v_cndmask_b32_e64 v8, v12, v13, s[30:31]
	v_cndmask_b32_e64 v9, v81, v70, s[30:31]
	v_add_u32_e32 v48, 1, v8
	v_add_u32_e32 v9, -1, v9
	v_min_u32_e32 v9, v48, v9
	v_lshl_add_u32 v9, v9, 3, v71
	ds_read_b64 v[18:19], v9
	v_lshl_add_u32 v8, v8, 3, v71
	ds_read_b64 v[8:9], v8 offset:16384
	v_cndmask_b32_e64 v12, v48, v12, s[30:31]
	v_cndmask_b32_e64 v13, v13, v48, s[30:31]
	s_waitcnt lgkmcnt(1)
	v_cndmask_b32_e64 v33, v19, v35, s[30:31]
	v_cndmask_b32_e64 v32, v18, v34, s[30:31]
	;; [unrolled: 1-line block ×4, first 2 shown]
	v_cmp_lt_u32_e64 s[8:9], v12, v81
	s_and_saveexec_b64 s[36:37], s[8:9]
	s_cbranch_execz .LBB1231_234
; %bb.231:
	v_cmp_lt_u32_e64 s[8:9], v13, v70
	s_mov_b64 s[38:39], 0
	s_and_saveexec_b64 s[34:35], s[8:9]
	s_cbranch_execz .LBB1231_233
; %bb.232:
	v_add_f64 v[18:19], v[52:53], 0
	v_add_f64 v[48:49], v[32:33], 0
	v_ashrrev_i32_e32 v54, 31, v19
	v_or_b32_e32 v55, 0x80000000, v54
	v_xor_b32_e32 v18, v54, v18
	v_ashrrev_i32_e32 v54, 31, v49
	v_xor_b32_e32 v19, v55, v19
	v_or_b32_e32 v55, 0x80000000, v54
	v_xor_b32_e32 v49, v55, v49
	v_xor_b32_e32 v48, v54, v48
	v_cmp_le_u64_e64 s[8:9], v[18:19], v[48:49]
	s_and_b64 s[38:39], s[8:9], exec
.LBB1231_233:
	s_or_b64 exec, exec, s[34:35]
	s_orn2_b64 s[34:35], s[38:39], exec
.LBB1231_234:
	s_or_b64 exec, exec, s[36:37]
	v_cndmask_b32_e64 v18, v12, v13, s[34:35]
	v_cndmask_b32_e64 v19, v81, v70, s[34:35]
	v_add_u32_e32 v64, 1, v18
	v_add_u32_e32 v19, -1, v19
	v_min_u32_e32 v19, v64, v19
	v_lshl_add_u32 v19, v19, 3, v71
	ds_read_b64 v[54:55], v19
	v_lshl_add_u32 v18, v18, 3, v71
	ds_read_b64 v[18:19], v18 offset:16384
	v_cndmask_b32_e64 v69, v64, v12, s[34:35]
	v_cndmask_b32_e64 v80, v13, v64, s[34:35]
	s_waitcnt lgkmcnt(1)
	v_cndmask_b32_e64 v49, v55, v33, s[34:35]
	v_cndmask_b32_e64 v48, v54, v32, s[34:35]
	;; [unrolled: 1-line block ×4, first 2 shown]
	v_cmp_lt_u32_e64 s[8:9], v69, v81
	s_mov_b64 s[36:37], -1
	s_mov_b64 s[38:39], -1
	s_and_saveexec_b64 s[40:41], s[8:9]
	s_cbranch_execz .LBB1231_238
; %bb.235:
	v_cmp_lt_u32_e64 s[8:9], v80, v70
	s_mov_b64 s[42:43], 0
	s_and_saveexec_b64 s[38:39], s[8:9]
	s_cbranch_execz .LBB1231_237
; %bb.236:
	v_add_f64 v[12:13], v[54:55], 0
	v_add_f64 v[64:65], v[48:49], 0
	v_ashrrev_i32_e32 v66, 31, v13
	v_or_b32_e32 v67, 0x80000000, v66
	v_xor_b32_e32 v12, v66, v12
	v_ashrrev_i32_e32 v66, 31, v65
	v_xor_b32_e32 v13, v67, v13
	v_or_b32_e32 v67, 0x80000000, v66
	v_xor_b32_e32 v65, v67, v65
	v_xor_b32_e32 v64, v66, v64
	v_cmp_le_u64_e64 s[8:9], v[12:13], v[64:65]
	s_and_b64 s[42:43], s[8:9], exec
.LBB1231_237:
	s_or_b64 exec, exec, s[38:39]
	s_orn2_b64 s[38:39], s[42:43], exec
.LBB1231_238:
	s_or_b64 exec, exec, s[40:41]
	v_cndmask_b32_e64 v12, v69, v80, s[38:39]
	v_cndmask_b32_e64 v13, v81, v70, s[38:39]
	v_add_u32_e32 v82, 1, v12
	v_add_u32_e32 v13, -1, v13
	v_min_u32_e32 v13, v82, v13
	v_lshl_add_u32 v13, v13, 3, v71
	ds_read_b64 v[66:67], v13
	v_lshl_add_u32 v12, v12, 3, v71
	ds_read_b64 v[12:13], v12 offset:16384
	v_cndmask_b32_e64 v69, v82, v69, s[38:39]
	v_cndmask_b32_e64 v80, v80, v82, s[38:39]
	s_waitcnt lgkmcnt(1)
	v_cndmask_b32_e64 v65, v67, v49, s[38:39]
	v_cndmask_b32_e64 v64, v66, v48, s[38:39]
	;; [unrolled: 1-line block ×4, first 2 shown]
	v_cmp_lt_u32_e64 s[8:9], v69, v81
	s_and_saveexec_b64 s[40:41], s[8:9]
	s_cbranch_execz .LBB1231_242
; %bb.239:
	v_cmp_lt_u32_e64 s[8:9], v80, v70
	s_mov_b64 s[42:43], 0
	s_and_saveexec_b64 s[36:37], s[8:9]
	s_cbranch_execz .LBB1231_241
; %bb.240:
	v_add_f64 v[82:83], v[66:67], 0
	v_add_f64 v[84:85], v[64:65], 0
	v_ashrrev_i32_e32 v70, 31, v83
	v_or_b32_e32 v81, 0x80000000, v70
	v_xor_b32_e32 v82, v70, v82
	v_ashrrev_i32_e32 v70, 31, v85
	v_xor_b32_e32 v83, v81, v83
	v_or_b32_e32 v81, 0x80000000, v70
	v_xor_b32_e32 v85, v81, v85
	v_xor_b32_e32 v84, v70, v84
	v_cmp_le_u64_e64 s[8:9], v[82:83], v[84:85]
	s_and_b64 s[42:43], s[8:9], exec
.LBB1231_241:
	s_or_b64 exec, exec, s[36:37]
	s_orn2_b64 s[36:37], s[42:43], exec
.LBB1231_242:
	s_or_b64 exec, exec, s[40:41]
	v_cndmask_b32_e64 v34, v34, v50, s[30:31]
	v_cndmask_b32_e64 v50, v36, v38, s[28:29]
	;; [unrolled: 1-line block ×4, first 2 shown]
	v_lshl_add_u32 v22, v22, 3, v71
	v_cndmask_b32_e64 v35, v35, v51, s[30:31]
	v_cndmask_b32_e64 v51, v37, v39, s[28:29]
	;; [unrolled: 1-line block ×3, first 2 shown]
	ds_read_b64 v[22:23], v22 offset:16384
	v_cndmask_b32_e64 v49, v49, v55, s[38:39]
	v_cndmask_b32_e64 v48, v48, v54, s[38:39]
	v_cndmask_b32_e64 v33, v33, v53, s[34:35]
	v_cndmask_b32_e64 v32, v32, v52, s[34:35]
	v_cndmask_b32_e64 v37, v29, v31, s[26:27]
	v_cndmask_b32_e64 v36, v28, v30, s[26:27]
	v_cndmask_b32_e64 v27, v21, v17, s[24:25]
	v_cndmask_b32_e64 v26, v20, v16, s[24:25]
	v_cndmask_b32_e64 v29, v65, v67, s[36:37]
	v_cndmask_b32_e64 v28, v64, v66, s[36:37]
.LBB1231_243:
	s_or_b64 exec, exec, s[22:23]
	v_add_co_u32_e64 v2, s[8:9], v2, v24
	v_addc_co_u32_e64 v3, s[8:9], v3, v25, s[8:9]
	v_add_co_u32_e64 v2, s[8:9], v2, v68
	v_addc_co_u32_e64 v3, s[8:9], 0, v3, s[8:9]
	; wave barrier
	s_waitcnt lgkmcnt(0)
	s_barrier
	s_waitcnt lgkmcnt(0)
	; wave barrier
	s_and_saveexec_b64 s[8:9], vcc
	s_cbranch_execnz .LBB1231_269
; %bb.244:
	s_or_b64 exec, exec, s[8:9]
	s_and_saveexec_b64 s[8:9], s[4:5]
	s_cbranch_execnz .LBB1231_270
.LBB1231_245:
	s_or_b64 exec, exec, s[8:9]
	s_and_saveexec_b64 s[8:9], s[6:7]
	s_cbranch_execnz .LBB1231_271
.LBB1231_246:
	s_or_b64 exec, exec, s[8:9]
	s_and_saveexec_b64 s[8:9], s[18:19]
	s_cbranch_execnz .LBB1231_272
.LBB1231_247:
	s_or_b64 exec, exec, s[8:9]
	s_and_saveexec_b64 s[8:9], s[10:11]
	s_cbranch_execnz .LBB1231_273
.LBB1231_248:
	s_or_b64 exec, exec, s[8:9]
	s_and_saveexec_b64 s[8:9], s[20:21]
	s_cbranch_execnz .LBB1231_274
.LBB1231_249:
	s_or_b64 exec, exec, s[8:9]
	s_and_saveexec_b64 s[8:9], s[14:15]
	s_cbranch_execnz .LBB1231_275
.LBB1231_250:
	s_or_b64 exec, exec, s[8:9]
	s_and_saveexec_b64 s[8:9], s[16:17]
	s_cbranch_execz .LBB1231_252
.LBB1231_251:
	flat_store_dwordx2 v[2:3], v[28:29] offset:56
.LBB1231_252:
	s_or_b64 exec, exec, s[8:9]
	v_add_co_u32_e64 v2, s[8:9], v6, v24
	v_addc_co_u32_e64 v3, s[8:9], v7, v25, s[8:9]
	v_add_co_u32_e64 v2, s[8:9], v2, v68
	v_addc_co_u32_e64 v3, s[8:9], 0, v3, s[8:9]
	; wave barrier
	s_and_saveexec_b64 s[8:9], vcc
	s_cbranch_execnz .LBB1231_276
; %bb.253:
	s_or_b64 exec, exec, s[8:9]
	s_and_saveexec_b64 s[8:9], s[4:5]
	s_cbranch_execnz .LBB1231_277
.LBB1231_254:
	s_or_b64 exec, exec, s[8:9]
	s_and_saveexec_b64 s[4:5], s[6:7]
	s_cbranch_execnz .LBB1231_278
.LBB1231_255:
	s_or_b64 exec, exec, s[4:5]
	s_and_saveexec_b64 s[4:5], s[18:19]
	s_cbranch_execnz .LBB1231_279
.LBB1231_256:
	s_or_b64 exec, exec, s[4:5]
	s_and_saveexec_b64 s[4:5], s[10:11]
	s_cbranch_execnz .LBB1231_280
.LBB1231_257:
	s_or_b64 exec, exec, s[4:5]
	s_and_saveexec_b64 s[4:5], s[20:21]
	s_cbranch_execnz .LBB1231_281
.LBB1231_258:
	s_or_b64 exec, exec, s[4:5]
	s_and_saveexec_b64 s[4:5], s[14:15]
	s_cbranch_execnz .LBB1231_282
.LBB1231_259:
	s_or_b64 exec, exec, s[4:5]
	s_and_saveexec_b64 s[4:5], s[16:17]
	s_cbranch_execz .LBB1231_261
.LBB1231_260:
	flat_store_dwordx2 v[2:3], v[22:23] offset:56
.LBB1231_261:
	s_or_b64 exec, exec, s[4:5]
	v_readlane_b32 s30, v40, 10
	v_readlane_b32 s31, v40, 11
	;; [unrolled: 1-line block ×12, first 2 shown]
	s_or_saveexec_b64 s[4:5], -1
	buffer_load_dword v40, off, s[0:3], s32 ; 4-byte Folded Reload
	s_mov_b64 exec, s[4:5]
	s_waitcnt vmcnt(0) lgkmcnt(0)
	s_setpc_b64 s[30:31]
.LBB1231_262:
	flat_load_dwordx2 v[0:1], v[52:53]
	s_or_b64 exec, exec, s[22:23]
	s_and_saveexec_b64 s[22:23], s[4:5]
                                        ; implicit-def: $vgpr8_vgpr9_vgpr10_vgpr11
	s_cbranch_execz .LBB1231_18
.LBB1231_263:
	flat_load_dwordx2 v[10:11], v[52:53] offset:8
	s_or_b64 exec, exec, s[22:23]
                                        ; implicit-def: $vgpr4_vgpr5
	s_and_saveexec_b64 s[22:23], s[6:7]
	s_cbranch_execz .LBB1231_19
.LBB1231_264:
	flat_load_dwordx2 v[4:5], v[52:53] offset:16
	s_or_b64 exec, exec, s[22:23]
	s_and_saveexec_b64 s[22:23], s[18:19]
                                        ; implicit-def: $vgpr12_vgpr13_vgpr14_vgpr15
	s_cbranch_execz .LBB1231_20
.LBB1231_265:
	flat_load_dwordx2 v[14:15], v[52:53] offset:24
	s_or_b64 exec, exec, s[22:23]
                                        ; implicit-def: $vgpr8_vgpr9
	s_and_saveexec_b64 s[22:23], s[10:11]
	s_cbranch_execz .LBB1231_21
.LBB1231_266:
	flat_load_dwordx2 v[8:9], v[52:53] offset:32
	s_or_b64 exec, exec, s[22:23]
	s_and_saveexec_b64 s[22:23], s[20:21]
                                        ; implicit-def: $vgpr16_vgpr17_vgpr18_vgpr19
	s_cbranch_execz .LBB1231_22
.LBB1231_267:
	flat_load_dwordx2 v[18:19], v[52:53] offset:40
	s_or_b64 exec, exec, s[22:23]
                                        ; implicit-def: $vgpr12_vgpr13
	s_and_saveexec_b64 s[22:23], s[14:15]
	s_cbranch_execz .LBB1231_23
.LBB1231_268:
	flat_load_dwordx2 v[12:13], v[52:53] offset:48
	s_or_b64 exec, exec, s[22:23]
	s_and_saveexec_b64 s[22:23], s[16:17]
                                        ; implicit-def: $vgpr20_vgpr21_vgpr22_vgpr23
	s_cbranch_execnz .LBB1231_24
	s_branch .LBB1231_25
.LBB1231_269:
	flat_store_dwordx2 v[2:3], v[26:27]
	s_or_b64 exec, exec, s[8:9]
	s_and_saveexec_b64 s[8:9], s[4:5]
	s_cbranch_execz .LBB1231_245
.LBB1231_270:
	flat_store_dwordx2 v[2:3], v[38:39] offset:8
	s_or_b64 exec, exec, s[8:9]
	s_and_saveexec_b64 s[8:9], s[6:7]
	s_cbranch_execz .LBB1231_246
.LBB1231_271:
	flat_store_dwordx2 v[2:3], v[36:37] offset:16
	s_or_b64 exec, exec, s[8:9]
	s_and_saveexec_b64 s[8:9], s[18:19]
	s_cbranch_execz .LBB1231_247
.LBB1231_272:
	flat_store_dwordx2 v[2:3], v[50:51] offset:24
	s_or_b64 exec, exec, s[8:9]
	s_and_saveexec_b64 s[8:9], s[10:11]
	s_cbranch_execz .LBB1231_248
.LBB1231_273:
	flat_store_dwordx2 v[2:3], v[34:35] offset:32
	s_or_b64 exec, exec, s[8:9]
	s_and_saveexec_b64 s[8:9], s[20:21]
	s_cbranch_execz .LBB1231_249
.LBB1231_274:
	flat_store_dwordx2 v[2:3], v[32:33] offset:40
	s_or_b64 exec, exec, s[8:9]
	s_and_saveexec_b64 s[8:9], s[14:15]
	s_cbranch_execz .LBB1231_250
.LBB1231_275:
	flat_store_dwordx2 v[2:3], v[48:49] offset:48
	s_or_b64 exec, exec, s[8:9]
	s_and_saveexec_b64 s[8:9], s[16:17]
	s_cbranch_execnz .LBB1231_251
	s_branch .LBB1231_252
.LBB1231_276:
	flat_store_dwordx2 v[2:3], v[0:1]
	s_or_b64 exec, exec, s[8:9]
	s_and_saveexec_b64 s[8:9], s[4:5]
	s_cbranch_execz .LBB1231_254
.LBB1231_277:
	flat_store_dwordx2 v[2:3], v[10:11] offset:8
	s_or_b64 exec, exec, s[8:9]
	s_and_saveexec_b64 s[4:5], s[6:7]
	s_cbranch_execz .LBB1231_255
.LBB1231_278:
	flat_store_dwordx2 v[2:3], v[4:5] offset:16
	s_or_b64 exec, exec, s[4:5]
	s_and_saveexec_b64 s[4:5], s[18:19]
	s_cbranch_execz .LBB1231_256
.LBB1231_279:
	flat_store_dwordx2 v[2:3], v[14:15] offset:24
	s_or_b64 exec, exec, s[4:5]
	s_and_saveexec_b64 s[4:5], s[10:11]
	s_cbranch_execz .LBB1231_257
.LBB1231_280:
	flat_store_dwordx2 v[2:3], v[8:9] offset:32
	s_or_b64 exec, exec, s[4:5]
	s_and_saveexec_b64 s[4:5], s[20:21]
	s_cbranch_execz .LBB1231_258
.LBB1231_281:
	flat_store_dwordx2 v[2:3], v[18:19] offset:40
	s_or_b64 exec, exec, s[4:5]
	s_and_saveexec_b64 s[4:5], s[14:15]
	s_cbranch_execz .LBB1231_259
.LBB1231_282:
	flat_store_dwordx2 v[2:3], v[12:13] offset:48
	s_or_b64 exec, exec, s[4:5]
	s_and_saveexec_b64 s[4:5], s[16:17]
	s_cbranch_execnz .LBB1231_260
	s_branch .LBB1231_261
.Lfunc_end1231:
	.size	_ZN7rocprim17ROCPRIM_400000_NS6detail26segmented_warp_sort_helperINS1_20WarpSortHelperConfigILj16ELj8ELj256EEEdlLi256ELb0EvE4sortIPKdPdPKlPlEEvT_T0_T1_T2_jjjjRNS5_12storage_typeE, .Lfunc_end1231-_ZN7rocprim17ROCPRIM_400000_NS6detail26segmented_warp_sort_helperINS1_20WarpSortHelperConfigILj16ELj8ELj256EEEdlLi256ELb0EvE4sortIPKdPdPKlPlEEvT_T0_T1_T2_jjjjRNS5_12storage_typeE
                                        ; -- End function
	.section	.AMDGPU.csdata,"",@progbits
; Function info:
; codeLenInByte = 14424
; NumSgprs: 48
; NumVgprs: 100
; NumAgprs: 0
; TotalNumVgprs: 100
; ScratchSize: 8
; MemoryBound: 0
	.section	.text._ZN7rocprim17ROCPRIM_400000_NS6detail17trampoline_kernelINS0_14default_configENS1_36segmented_radix_sort_config_selectorIdlEEZNS1_25segmented_radix_sort_implIS3_Lb0EPKdPdPKlPlN2at6native12_GLOBAL__N_18offset_tEEE10hipError_tPvRmT1_PNSt15iterator_traitsISK_E10value_typeET2_T3_PNSL_ISQ_E10value_typeET4_jRbjT5_SW_jjP12ihipStream_tbEUlT_E0_NS1_11comp_targetILNS1_3genE4ELNS1_11target_archE910ELNS1_3gpuE8ELNS1_3repE0EEENS1_60segmented_radix_sort_warp_sort_medium_config_static_selectorELNS0_4arch9wavefront6targetE1EEEvSK_,"axG",@progbits,_ZN7rocprim17ROCPRIM_400000_NS6detail17trampoline_kernelINS0_14default_configENS1_36segmented_radix_sort_config_selectorIdlEEZNS1_25segmented_radix_sort_implIS3_Lb0EPKdPdPKlPlN2at6native12_GLOBAL__N_18offset_tEEE10hipError_tPvRmT1_PNSt15iterator_traitsISK_E10value_typeET2_T3_PNSL_ISQ_E10value_typeET4_jRbjT5_SW_jjP12ihipStream_tbEUlT_E0_NS1_11comp_targetILNS1_3genE4ELNS1_11target_archE910ELNS1_3gpuE8ELNS1_3repE0EEENS1_60segmented_radix_sort_warp_sort_medium_config_static_selectorELNS0_4arch9wavefront6targetE1EEEvSK_,comdat
	.globl	_ZN7rocprim17ROCPRIM_400000_NS6detail17trampoline_kernelINS0_14default_configENS1_36segmented_radix_sort_config_selectorIdlEEZNS1_25segmented_radix_sort_implIS3_Lb0EPKdPdPKlPlN2at6native12_GLOBAL__N_18offset_tEEE10hipError_tPvRmT1_PNSt15iterator_traitsISK_E10value_typeET2_T3_PNSL_ISQ_E10value_typeET4_jRbjT5_SW_jjP12ihipStream_tbEUlT_E0_NS1_11comp_targetILNS1_3genE4ELNS1_11target_archE910ELNS1_3gpuE8ELNS1_3repE0EEENS1_60segmented_radix_sort_warp_sort_medium_config_static_selectorELNS0_4arch9wavefront6targetE1EEEvSK_ ; -- Begin function _ZN7rocprim17ROCPRIM_400000_NS6detail17trampoline_kernelINS0_14default_configENS1_36segmented_radix_sort_config_selectorIdlEEZNS1_25segmented_radix_sort_implIS3_Lb0EPKdPdPKlPlN2at6native12_GLOBAL__N_18offset_tEEE10hipError_tPvRmT1_PNSt15iterator_traitsISK_E10value_typeET2_T3_PNSL_ISQ_E10value_typeET4_jRbjT5_SW_jjP12ihipStream_tbEUlT_E0_NS1_11comp_targetILNS1_3genE4ELNS1_11target_archE910ELNS1_3gpuE8ELNS1_3repE0EEENS1_60segmented_radix_sort_warp_sort_medium_config_static_selectorELNS0_4arch9wavefront6targetE1EEEvSK_
	.p2align	8
	.type	_ZN7rocprim17ROCPRIM_400000_NS6detail17trampoline_kernelINS0_14default_configENS1_36segmented_radix_sort_config_selectorIdlEEZNS1_25segmented_radix_sort_implIS3_Lb0EPKdPdPKlPlN2at6native12_GLOBAL__N_18offset_tEEE10hipError_tPvRmT1_PNSt15iterator_traitsISK_E10value_typeET2_T3_PNSL_ISQ_E10value_typeET4_jRbjT5_SW_jjP12ihipStream_tbEUlT_E0_NS1_11comp_targetILNS1_3genE4ELNS1_11target_archE910ELNS1_3gpuE8ELNS1_3repE0EEENS1_60segmented_radix_sort_warp_sort_medium_config_static_selectorELNS0_4arch9wavefront6targetE1EEEvSK_,@function
_ZN7rocprim17ROCPRIM_400000_NS6detail17trampoline_kernelINS0_14default_configENS1_36segmented_radix_sort_config_selectorIdlEEZNS1_25segmented_radix_sort_implIS3_Lb0EPKdPdPKlPlN2at6native12_GLOBAL__N_18offset_tEEE10hipError_tPvRmT1_PNSt15iterator_traitsISK_E10value_typeET2_T3_PNSL_ISQ_E10value_typeET4_jRbjT5_SW_jjP12ihipStream_tbEUlT_E0_NS1_11comp_targetILNS1_3genE4ELNS1_11target_archE910ELNS1_3gpuE8ELNS1_3repE0EEENS1_60segmented_radix_sort_warp_sort_medium_config_static_selectorELNS0_4arch9wavefront6targetE1EEEvSK_: ; @_ZN7rocprim17ROCPRIM_400000_NS6detail17trampoline_kernelINS0_14default_configENS1_36segmented_radix_sort_config_selectorIdlEEZNS1_25segmented_radix_sort_implIS3_Lb0EPKdPdPKlPlN2at6native12_GLOBAL__N_18offset_tEEE10hipError_tPvRmT1_PNSt15iterator_traitsISK_E10value_typeET2_T3_PNSL_ISQ_E10value_typeET4_jRbjT5_SW_jjP12ihipStream_tbEUlT_E0_NS1_11comp_targetILNS1_3genE4ELNS1_11target_archE910ELNS1_3gpuE8ELNS1_3repE0EEENS1_60segmented_radix_sort_warp_sort_medium_config_static_selectorELNS0_4arch9wavefront6targetE1EEEvSK_
; %bb.0:
	s_add_u32 flat_scratch_lo, s6, s10
	s_addc_u32 flat_scratch_hi, s7, 0
	s_add_u32 s0, s0, s10
	s_load_dword s6, s[4:5], 0x64
	s_load_dword s10, s[4:5], 0x34
	s_addc_u32 s1, s1, 0
	v_bfe_u32 v1, v0, 10, 10
	v_bfe_u32 v2, v0, 20, 10
	s_waitcnt lgkmcnt(0)
	s_lshr_b32 s7, s6, 16
	s_and_b32 s6, s6, 0xffff
	v_mad_u32_u24 v1, v2, s7, v1
	v_and_b32_e32 v2, 0x3ff, v0
	v_mad_u64_u32 v[2:3], s[6:7], v1, s6, v[2:3]
	v_lshrrev_b32_e32 v1, 4, v2
	v_lshl_add_u32 v2, s8, 4, v1
	v_cmp_gt_u32_e32 vcc, s10, v2
	s_mov_b32 s32, 0
	s_and_saveexec_b64 s[6:7], vcc
	s_cbranch_execz .LBB1232_6
; %bb.1:
	s_load_dwordx2 s[6:7], s[4:5], 0x38
	s_load_dwordx4 s[12:15], s[4:5], 0x40
	v_mov_b32_e32 v3, 0
	v_lshlrev_b64 v[2:3], 2, v[2:3]
	s_waitcnt lgkmcnt(0)
	v_mov_b32_e32 v1, s7
	v_add_co_u32_e32 v2, vcc, s6, v2
	v_addc_co_u32_e32 v3, vcc, v1, v3, vcc
	global_load_dword v1, v[2:3], off
	s_waitcnt vmcnt(0)
	v_add_u32_e32 v2, s13, v1
	v_add_u32_e32 v1, s15, v1
	v_mul_lo_u32 v41, v2, s12
	v_mul_lo_u32 v42, v1, s14
	v_cmp_gt_u32_e32 vcc, v42, v41
	s_and_b64 exec, exec, vcc
	s_cbranch_execz .LBB1232_6
; %bb.2:
	s_load_dword s6, s[4:5], 0x30
	s_load_dwordx4 s[56:59], s[4:5], 0x20
	s_load_dwordx8 s[48:55], s[4:5], 0x0
	s_mov_b32 s44, s8
	s_mov_b32 s33, s9
	s_waitcnt lgkmcnt(0)
	s_bitcmp0_b32 s6, 0
	s_mov_b64 s[6:7], -1
	s_cbranch_scc0 .LBB1232_4
; %bb.3:
	s_add_u32 s8, s4, 0x58
	s_addc_u32 s9, s5, 0
	s_mov_b32 s12, s44
	s_mov_b32 s13, s33
	v_mov_b32_e32 v31, v0
	v_mov_b32_e32 v43, v0
	v_mov_b32_e32 v0, s48
	v_mov_b32_e32 v1, s49
	v_mov_b32_e32 v2, s50
	v_mov_b32_e32 v3, s51
	v_mov_b32_e32 v4, s54
	v_mov_b32_e32 v5, s55
	v_mov_b32_e32 v6, s56
	v_mov_b32_e32 v7, s57
	v_mov_b32_e32 v8, v41
	v_mov_b32_e32 v9, v42
	s_getpc_b64 s[6:7]
	s_add_u32 s6, s6, _ZN7rocprim17ROCPRIM_400000_NS6detail26segmented_warp_sort_helperINS1_20WarpSortHelperConfigILj16ELj8ELj256EEEdlLi256ELb0EvE4sortIPKdPdPKlPlEEvT_T0_T1_T2_jjjjRNS5_12storage_typeE@rel32@lo+4
	s_addc_u32 s7, s7, _ZN7rocprim17ROCPRIM_400000_NS6detail26segmented_warp_sort_helperINS1_20WarpSortHelperConfigILj16ELj8ELj256EEEdlLi256ELb0EvE4sortIPKdPdPKlPlEEvT_T0_T1_T2_jjjjRNS5_12storage_typeE@rel32@hi+12
	s_mov_b64 s[46:47], s[4:5]
	s_swappc_b64 s[30:31], s[6:7]
	v_mov_b32_e32 v0, v43
	s_mov_b64 s[4:5], s[46:47]
	s_mov_b64 s[6:7], 0
.LBB1232_4:
	s_andn2_b64 vcc, exec, s[6:7]
	s_cbranch_vccnz .LBB1232_6
; %bb.5:
	s_add_u32 s8, s4, 0x58
	s_addc_u32 s9, s5, 0
	s_mov_b32 s12, s44
	s_mov_b32 s13, s33
	v_mov_b32_e32 v31, v0
	v_mov_b32_e32 v0, s48
	v_mov_b32_e32 v1, s49
	v_mov_b32_e32 v2, s52
	v_mov_b32_e32 v3, s53
	v_mov_b32_e32 v4, s54
	v_mov_b32_e32 v5, s55
	v_mov_b32_e32 v6, s58
	v_mov_b32_e32 v7, s59
	v_mov_b32_e32 v8, v41
	v_mov_b32_e32 v9, v42
	s_getpc_b64 s[4:5]
	s_add_u32 s4, s4, _ZN7rocprim17ROCPRIM_400000_NS6detail26segmented_warp_sort_helperINS1_20WarpSortHelperConfigILj16ELj8ELj256EEEdlLi256ELb0EvE4sortIPKdPdPKlPlEEvT_T0_T1_T2_jjjjRNS5_12storage_typeE@rel32@lo+4
	s_addc_u32 s5, s5, _ZN7rocprim17ROCPRIM_400000_NS6detail26segmented_warp_sort_helperINS1_20WarpSortHelperConfigILj16ELj8ELj256EEEdlLi256ELb0EvE4sortIPKdPdPKlPlEEvT_T0_T1_T2_jjjjRNS5_12storage_typeE@rel32@hi+12
	s_swappc_b64 s[30:31], s[4:5]
.LBB1232_6:
	s_endpgm
	.section	.rodata,"a",@progbits
	.p2align	6, 0x0
	.amdhsa_kernel _ZN7rocprim17ROCPRIM_400000_NS6detail17trampoline_kernelINS0_14default_configENS1_36segmented_radix_sort_config_selectorIdlEEZNS1_25segmented_radix_sort_implIS3_Lb0EPKdPdPKlPlN2at6native12_GLOBAL__N_18offset_tEEE10hipError_tPvRmT1_PNSt15iterator_traitsISK_E10value_typeET2_T3_PNSL_ISQ_E10value_typeET4_jRbjT5_SW_jjP12ihipStream_tbEUlT_E0_NS1_11comp_targetILNS1_3genE4ELNS1_11target_archE910ELNS1_3gpuE8ELNS1_3repE0EEENS1_60segmented_radix_sort_warp_sort_medium_config_static_selectorELNS0_4arch9wavefront6targetE1EEEvSK_
		.amdhsa_group_segment_fixed_size 32768
		.amdhsa_private_segment_fixed_size 8
		.amdhsa_kernarg_size 344
		.amdhsa_user_sgpr_count 8
		.amdhsa_user_sgpr_private_segment_buffer 1
		.amdhsa_user_sgpr_dispatch_ptr 0
		.amdhsa_user_sgpr_queue_ptr 0
		.amdhsa_user_sgpr_kernarg_segment_ptr 1
		.amdhsa_user_sgpr_dispatch_id 0
		.amdhsa_user_sgpr_flat_scratch_init 1
		.amdhsa_user_sgpr_kernarg_preload_length 0
		.amdhsa_user_sgpr_kernarg_preload_offset 0
		.amdhsa_user_sgpr_private_segment_size 0
		.amdhsa_uses_dynamic_stack 0
		.amdhsa_system_sgpr_private_segment_wavefront_offset 1
		.amdhsa_system_sgpr_workgroup_id_x 1
		.amdhsa_system_sgpr_workgroup_id_y 1
		.amdhsa_system_sgpr_workgroup_id_z 0
		.amdhsa_system_sgpr_workgroup_info 0
		.amdhsa_system_vgpr_workitem_id 2
		.amdhsa_next_free_vgpr 100
		.amdhsa_next_free_sgpr 60
		.amdhsa_accum_offset 100
		.amdhsa_reserve_vcc 1
		.amdhsa_reserve_flat_scratch 1
		.amdhsa_float_round_mode_32 0
		.amdhsa_float_round_mode_16_64 0
		.amdhsa_float_denorm_mode_32 3
		.amdhsa_float_denorm_mode_16_64 3
		.amdhsa_dx10_clamp 1
		.amdhsa_ieee_mode 1
		.amdhsa_fp16_overflow 0
		.amdhsa_tg_split 0
		.amdhsa_exception_fp_ieee_invalid_op 0
		.amdhsa_exception_fp_denorm_src 0
		.amdhsa_exception_fp_ieee_div_zero 0
		.amdhsa_exception_fp_ieee_overflow 0
		.amdhsa_exception_fp_ieee_underflow 0
		.amdhsa_exception_fp_ieee_inexact 0
		.amdhsa_exception_int_div_zero 0
	.end_amdhsa_kernel
	.section	.text._ZN7rocprim17ROCPRIM_400000_NS6detail17trampoline_kernelINS0_14default_configENS1_36segmented_radix_sort_config_selectorIdlEEZNS1_25segmented_radix_sort_implIS3_Lb0EPKdPdPKlPlN2at6native12_GLOBAL__N_18offset_tEEE10hipError_tPvRmT1_PNSt15iterator_traitsISK_E10value_typeET2_T3_PNSL_ISQ_E10value_typeET4_jRbjT5_SW_jjP12ihipStream_tbEUlT_E0_NS1_11comp_targetILNS1_3genE4ELNS1_11target_archE910ELNS1_3gpuE8ELNS1_3repE0EEENS1_60segmented_radix_sort_warp_sort_medium_config_static_selectorELNS0_4arch9wavefront6targetE1EEEvSK_,"axG",@progbits,_ZN7rocprim17ROCPRIM_400000_NS6detail17trampoline_kernelINS0_14default_configENS1_36segmented_radix_sort_config_selectorIdlEEZNS1_25segmented_radix_sort_implIS3_Lb0EPKdPdPKlPlN2at6native12_GLOBAL__N_18offset_tEEE10hipError_tPvRmT1_PNSt15iterator_traitsISK_E10value_typeET2_T3_PNSL_ISQ_E10value_typeET4_jRbjT5_SW_jjP12ihipStream_tbEUlT_E0_NS1_11comp_targetILNS1_3genE4ELNS1_11target_archE910ELNS1_3gpuE8ELNS1_3repE0EEENS1_60segmented_radix_sort_warp_sort_medium_config_static_selectorELNS0_4arch9wavefront6targetE1EEEvSK_,comdat
.Lfunc_end1232:
	.size	_ZN7rocprim17ROCPRIM_400000_NS6detail17trampoline_kernelINS0_14default_configENS1_36segmented_radix_sort_config_selectorIdlEEZNS1_25segmented_radix_sort_implIS3_Lb0EPKdPdPKlPlN2at6native12_GLOBAL__N_18offset_tEEE10hipError_tPvRmT1_PNSt15iterator_traitsISK_E10value_typeET2_T3_PNSL_ISQ_E10value_typeET4_jRbjT5_SW_jjP12ihipStream_tbEUlT_E0_NS1_11comp_targetILNS1_3genE4ELNS1_11target_archE910ELNS1_3gpuE8ELNS1_3repE0EEENS1_60segmented_radix_sort_warp_sort_medium_config_static_selectorELNS0_4arch9wavefront6targetE1EEEvSK_, .Lfunc_end1232-_ZN7rocprim17ROCPRIM_400000_NS6detail17trampoline_kernelINS0_14default_configENS1_36segmented_radix_sort_config_selectorIdlEEZNS1_25segmented_radix_sort_implIS3_Lb0EPKdPdPKlPlN2at6native12_GLOBAL__N_18offset_tEEE10hipError_tPvRmT1_PNSt15iterator_traitsISK_E10value_typeET2_T3_PNSL_ISQ_E10value_typeET4_jRbjT5_SW_jjP12ihipStream_tbEUlT_E0_NS1_11comp_targetILNS1_3genE4ELNS1_11target_archE910ELNS1_3gpuE8ELNS1_3repE0EEENS1_60segmented_radix_sort_warp_sort_medium_config_static_selectorELNS0_4arch9wavefront6targetE1EEEvSK_
                                        ; -- End function
	.section	.AMDGPU.csdata,"",@progbits
; Kernel info:
; codeLenInByte = 464
; NumSgprs: 66
; NumVgprs: 100
; NumAgprs: 0
; TotalNumVgprs: 100
; ScratchSize: 8
; MemoryBound: 0
; FloatMode: 240
; IeeeMode: 1
; LDSByteSize: 32768 bytes/workgroup (compile time only)
; SGPRBlocks: 8
; VGPRBlocks: 12
; NumSGPRsForWavesPerEU: 66
; NumVGPRsForWavesPerEU: 100
; AccumOffset: 100
; Occupancy: 2
; WaveLimiterHint : 0
; COMPUTE_PGM_RSRC2:SCRATCH_EN: 1
; COMPUTE_PGM_RSRC2:USER_SGPR: 8
; COMPUTE_PGM_RSRC2:TRAP_HANDLER: 0
; COMPUTE_PGM_RSRC2:TGID_X_EN: 1
; COMPUTE_PGM_RSRC2:TGID_Y_EN: 1
; COMPUTE_PGM_RSRC2:TGID_Z_EN: 0
; COMPUTE_PGM_RSRC2:TIDIG_COMP_CNT: 2
; COMPUTE_PGM_RSRC3_GFX90A:ACCUM_OFFSET: 24
; COMPUTE_PGM_RSRC3_GFX90A:TG_SPLIT: 0
	.section	.text._ZN7rocprim17ROCPRIM_400000_NS6detail17trampoline_kernelINS0_14default_configENS1_36segmented_radix_sort_config_selectorIdlEEZNS1_25segmented_radix_sort_implIS3_Lb0EPKdPdPKlPlN2at6native12_GLOBAL__N_18offset_tEEE10hipError_tPvRmT1_PNSt15iterator_traitsISK_E10value_typeET2_T3_PNSL_ISQ_E10value_typeET4_jRbjT5_SW_jjP12ihipStream_tbEUlT_E0_NS1_11comp_targetILNS1_3genE3ELNS1_11target_archE908ELNS1_3gpuE7ELNS1_3repE0EEENS1_60segmented_radix_sort_warp_sort_medium_config_static_selectorELNS0_4arch9wavefront6targetE1EEEvSK_,"axG",@progbits,_ZN7rocprim17ROCPRIM_400000_NS6detail17trampoline_kernelINS0_14default_configENS1_36segmented_radix_sort_config_selectorIdlEEZNS1_25segmented_radix_sort_implIS3_Lb0EPKdPdPKlPlN2at6native12_GLOBAL__N_18offset_tEEE10hipError_tPvRmT1_PNSt15iterator_traitsISK_E10value_typeET2_T3_PNSL_ISQ_E10value_typeET4_jRbjT5_SW_jjP12ihipStream_tbEUlT_E0_NS1_11comp_targetILNS1_3genE3ELNS1_11target_archE908ELNS1_3gpuE7ELNS1_3repE0EEENS1_60segmented_radix_sort_warp_sort_medium_config_static_selectorELNS0_4arch9wavefront6targetE1EEEvSK_,comdat
	.globl	_ZN7rocprim17ROCPRIM_400000_NS6detail17trampoline_kernelINS0_14default_configENS1_36segmented_radix_sort_config_selectorIdlEEZNS1_25segmented_radix_sort_implIS3_Lb0EPKdPdPKlPlN2at6native12_GLOBAL__N_18offset_tEEE10hipError_tPvRmT1_PNSt15iterator_traitsISK_E10value_typeET2_T3_PNSL_ISQ_E10value_typeET4_jRbjT5_SW_jjP12ihipStream_tbEUlT_E0_NS1_11comp_targetILNS1_3genE3ELNS1_11target_archE908ELNS1_3gpuE7ELNS1_3repE0EEENS1_60segmented_radix_sort_warp_sort_medium_config_static_selectorELNS0_4arch9wavefront6targetE1EEEvSK_ ; -- Begin function _ZN7rocprim17ROCPRIM_400000_NS6detail17trampoline_kernelINS0_14default_configENS1_36segmented_radix_sort_config_selectorIdlEEZNS1_25segmented_radix_sort_implIS3_Lb0EPKdPdPKlPlN2at6native12_GLOBAL__N_18offset_tEEE10hipError_tPvRmT1_PNSt15iterator_traitsISK_E10value_typeET2_T3_PNSL_ISQ_E10value_typeET4_jRbjT5_SW_jjP12ihipStream_tbEUlT_E0_NS1_11comp_targetILNS1_3genE3ELNS1_11target_archE908ELNS1_3gpuE7ELNS1_3repE0EEENS1_60segmented_radix_sort_warp_sort_medium_config_static_selectorELNS0_4arch9wavefront6targetE1EEEvSK_
	.p2align	8
	.type	_ZN7rocprim17ROCPRIM_400000_NS6detail17trampoline_kernelINS0_14default_configENS1_36segmented_radix_sort_config_selectorIdlEEZNS1_25segmented_radix_sort_implIS3_Lb0EPKdPdPKlPlN2at6native12_GLOBAL__N_18offset_tEEE10hipError_tPvRmT1_PNSt15iterator_traitsISK_E10value_typeET2_T3_PNSL_ISQ_E10value_typeET4_jRbjT5_SW_jjP12ihipStream_tbEUlT_E0_NS1_11comp_targetILNS1_3genE3ELNS1_11target_archE908ELNS1_3gpuE7ELNS1_3repE0EEENS1_60segmented_radix_sort_warp_sort_medium_config_static_selectorELNS0_4arch9wavefront6targetE1EEEvSK_,@function
_ZN7rocprim17ROCPRIM_400000_NS6detail17trampoline_kernelINS0_14default_configENS1_36segmented_radix_sort_config_selectorIdlEEZNS1_25segmented_radix_sort_implIS3_Lb0EPKdPdPKlPlN2at6native12_GLOBAL__N_18offset_tEEE10hipError_tPvRmT1_PNSt15iterator_traitsISK_E10value_typeET2_T3_PNSL_ISQ_E10value_typeET4_jRbjT5_SW_jjP12ihipStream_tbEUlT_E0_NS1_11comp_targetILNS1_3genE3ELNS1_11target_archE908ELNS1_3gpuE7ELNS1_3repE0EEENS1_60segmented_radix_sort_warp_sort_medium_config_static_selectorELNS0_4arch9wavefront6targetE1EEEvSK_: ; @_ZN7rocprim17ROCPRIM_400000_NS6detail17trampoline_kernelINS0_14default_configENS1_36segmented_radix_sort_config_selectorIdlEEZNS1_25segmented_radix_sort_implIS3_Lb0EPKdPdPKlPlN2at6native12_GLOBAL__N_18offset_tEEE10hipError_tPvRmT1_PNSt15iterator_traitsISK_E10value_typeET2_T3_PNSL_ISQ_E10value_typeET4_jRbjT5_SW_jjP12ihipStream_tbEUlT_E0_NS1_11comp_targetILNS1_3genE3ELNS1_11target_archE908ELNS1_3gpuE7ELNS1_3repE0EEENS1_60segmented_radix_sort_warp_sort_medium_config_static_selectorELNS0_4arch9wavefront6targetE1EEEvSK_
; %bb.0:
	.section	.rodata,"a",@progbits
	.p2align	6, 0x0
	.amdhsa_kernel _ZN7rocprim17ROCPRIM_400000_NS6detail17trampoline_kernelINS0_14default_configENS1_36segmented_radix_sort_config_selectorIdlEEZNS1_25segmented_radix_sort_implIS3_Lb0EPKdPdPKlPlN2at6native12_GLOBAL__N_18offset_tEEE10hipError_tPvRmT1_PNSt15iterator_traitsISK_E10value_typeET2_T3_PNSL_ISQ_E10value_typeET4_jRbjT5_SW_jjP12ihipStream_tbEUlT_E0_NS1_11comp_targetILNS1_3genE3ELNS1_11target_archE908ELNS1_3gpuE7ELNS1_3repE0EEENS1_60segmented_radix_sort_warp_sort_medium_config_static_selectorELNS0_4arch9wavefront6targetE1EEEvSK_
		.amdhsa_group_segment_fixed_size 0
		.amdhsa_private_segment_fixed_size 0
		.amdhsa_kernarg_size 88
		.amdhsa_user_sgpr_count 6
		.amdhsa_user_sgpr_private_segment_buffer 1
		.amdhsa_user_sgpr_dispatch_ptr 0
		.amdhsa_user_sgpr_queue_ptr 0
		.amdhsa_user_sgpr_kernarg_segment_ptr 1
		.amdhsa_user_sgpr_dispatch_id 0
		.amdhsa_user_sgpr_flat_scratch_init 0
		.amdhsa_user_sgpr_kernarg_preload_length 0
		.amdhsa_user_sgpr_kernarg_preload_offset 0
		.amdhsa_user_sgpr_private_segment_size 0
		.amdhsa_uses_dynamic_stack 0
		.amdhsa_system_sgpr_private_segment_wavefront_offset 0
		.amdhsa_system_sgpr_workgroup_id_x 1
		.amdhsa_system_sgpr_workgroup_id_y 0
		.amdhsa_system_sgpr_workgroup_id_z 0
		.amdhsa_system_sgpr_workgroup_info 0
		.amdhsa_system_vgpr_workitem_id 0
		.amdhsa_next_free_vgpr 1
		.amdhsa_next_free_sgpr 0
		.amdhsa_accum_offset 4
		.amdhsa_reserve_vcc 0
		.amdhsa_reserve_flat_scratch 0
		.amdhsa_float_round_mode_32 0
		.amdhsa_float_round_mode_16_64 0
		.amdhsa_float_denorm_mode_32 3
		.amdhsa_float_denorm_mode_16_64 3
		.amdhsa_dx10_clamp 1
		.amdhsa_ieee_mode 1
		.amdhsa_fp16_overflow 0
		.amdhsa_tg_split 0
		.amdhsa_exception_fp_ieee_invalid_op 0
		.amdhsa_exception_fp_denorm_src 0
		.amdhsa_exception_fp_ieee_div_zero 0
		.amdhsa_exception_fp_ieee_overflow 0
		.amdhsa_exception_fp_ieee_underflow 0
		.amdhsa_exception_fp_ieee_inexact 0
		.amdhsa_exception_int_div_zero 0
	.end_amdhsa_kernel
	.section	.text._ZN7rocprim17ROCPRIM_400000_NS6detail17trampoline_kernelINS0_14default_configENS1_36segmented_radix_sort_config_selectorIdlEEZNS1_25segmented_radix_sort_implIS3_Lb0EPKdPdPKlPlN2at6native12_GLOBAL__N_18offset_tEEE10hipError_tPvRmT1_PNSt15iterator_traitsISK_E10value_typeET2_T3_PNSL_ISQ_E10value_typeET4_jRbjT5_SW_jjP12ihipStream_tbEUlT_E0_NS1_11comp_targetILNS1_3genE3ELNS1_11target_archE908ELNS1_3gpuE7ELNS1_3repE0EEENS1_60segmented_radix_sort_warp_sort_medium_config_static_selectorELNS0_4arch9wavefront6targetE1EEEvSK_,"axG",@progbits,_ZN7rocprim17ROCPRIM_400000_NS6detail17trampoline_kernelINS0_14default_configENS1_36segmented_radix_sort_config_selectorIdlEEZNS1_25segmented_radix_sort_implIS3_Lb0EPKdPdPKlPlN2at6native12_GLOBAL__N_18offset_tEEE10hipError_tPvRmT1_PNSt15iterator_traitsISK_E10value_typeET2_T3_PNSL_ISQ_E10value_typeET4_jRbjT5_SW_jjP12ihipStream_tbEUlT_E0_NS1_11comp_targetILNS1_3genE3ELNS1_11target_archE908ELNS1_3gpuE7ELNS1_3repE0EEENS1_60segmented_radix_sort_warp_sort_medium_config_static_selectorELNS0_4arch9wavefront6targetE1EEEvSK_,comdat
.Lfunc_end1233:
	.size	_ZN7rocprim17ROCPRIM_400000_NS6detail17trampoline_kernelINS0_14default_configENS1_36segmented_radix_sort_config_selectorIdlEEZNS1_25segmented_radix_sort_implIS3_Lb0EPKdPdPKlPlN2at6native12_GLOBAL__N_18offset_tEEE10hipError_tPvRmT1_PNSt15iterator_traitsISK_E10value_typeET2_T3_PNSL_ISQ_E10value_typeET4_jRbjT5_SW_jjP12ihipStream_tbEUlT_E0_NS1_11comp_targetILNS1_3genE3ELNS1_11target_archE908ELNS1_3gpuE7ELNS1_3repE0EEENS1_60segmented_radix_sort_warp_sort_medium_config_static_selectorELNS0_4arch9wavefront6targetE1EEEvSK_, .Lfunc_end1233-_ZN7rocprim17ROCPRIM_400000_NS6detail17trampoline_kernelINS0_14default_configENS1_36segmented_radix_sort_config_selectorIdlEEZNS1_25segmented_radix_sort_implIS3_Lb0EPKdPdPKlPlN2at6native12_GLOBAL__N_18offset_tEEE10hipError_tPvRmT1_PNSt15iterator_traitsISK_E10value_typeET2_T3_PNSL_ISQ_E10value_typeET4_jRbjT5_SW_jjP12ihipStream_tbEUlT_E0_NS1_11comp_targetILNS1_3genE3ELNS1_11target_archE908ELNS1_3gpuE7ELNS1_3repE0EEENS1_60segmented_radix_sort_warp_sort_medium_config_static_selectorELNS0_4arch9wavefront6targetE1EEEvSK_
                                        ; -- End function
	.section	.AMDGPU.csdata,"",@progbits
; Kernel info:
; codeLenInByte = 0
; NumSgprs: 4
; NumVgprs: 0
; NumAgprs: 0
; TotalNumVgprs: 0
; ScratchSize: 0
; MemoryBound: 0
; FloatMode: 240
; IeeeMode: 1
; LDSByteSize: 0 bytes/workgroup (compile time only)
; SGPRBlocks: 0
; VGPRBlocks: 0
; NumSGPRsForWavesPerEU: 4
; NumVGPRsForWavesPerEU: 1
; AccumOffset: 4
; Occupancy: 8
; WaveLimiterHint : 0
; COMPUTE_PGM_RSRC2:SCRATCH_EN: 0
; COMPUTE_PGM_RSRC2:USER_SGPR: 6
; COMPUTE_PGM_RSRC2:TRAP_HANDLER: 0
; COMPUTE_PGM_RSRC2:TGID_X_EN: 1
; COMPUTE_PGM_RSRC2:TGID_Y_EN: 0
; COMPUTE_PGM_RSRC2:TGID_Z_EN: 0
; COMPUTE_PGM_RSRC2:TIDIG_COMP_CNT: 0
; COMPUTE_PGM_RSRC3_GFX90A:ACCUM_OFFSET: 0
; COMPUTE_PGM_RSRC3_GFX90A:TG_SPLIT: 0
	.section	.text._ZN7rocprim17ROCPRIM_400000_NS6detail17trampoline_kernelINS0_14default_configENS1_36segmented_radix_sort_config_selectorIdlEEZNS1_25segmented_radix_sort_implIS3_Lb0EPKdPdPKlPlN2at6native12_GLOBAL__N_18offset_tEEE10hipError_tPvRmT1_PNSt15iterator_traitsISK_E10value_typeET2_T3_PNSL_ISQ_E10value_typeET4_jRbjT5_SW_jjP12ihipStream_tbEUlT_E0_NS1_11comp_targetILNS1_3genE2ELNS1_11target_archE906ELNS1_3gpuE6ELNS1_3repE0EEENS1_60segmented_radix_sort_warp_sort_medium_config_static_selectorELNS0_4arch9wavefront6targetE1EEEvSK_,"axG",@progbits,_ZN7rocprim17ROCPRIM_400000_NS6detail17trampoline_kernelINS0_14default_configENS1_36segmented_radix_sort_config_selectorIdlEEZNS1_25segmented_radix_sort_implIS3_Lb0EPKdPdPKlPlN2at6native12_GLOBAL__N_18offset_tEEE10hipError_tPvRmT1_PNSt15iterator_traitsISK_E10value_typeET2_T3_PNSL_ISQ_E10value_typeET4_jRbjT5_SW_jjP12ihipStream_tbEUlT_E0_NS1_11comp_targetILNS1_3genE2ELNS1_11target_archE906ELNS1_3gpuE6ELNS1_3repE0EEENS1_60segmented_radix_sort_warp_sort_medium_config_static_selectorELNS0_4arch9wavefront6targetE1EEEvSK_,comdat
	.globl	_ZN7rocprim17ROCPRIM_400000_NS6detail17trampoline_kernelINS0_14default_configENS1_36segmented_radix_sort_config_selectorIdlEEZNS1_25segmented_radix_sort_implIS3_Lb0EPKdPdPKlPlN2at6native12_GLOBAL__N_18offset_tEEE10hipError_tPvRmT1_PNSt15iterator_traitsISK_E10value_typeET2_T3_PNSL_ISQ_E10value_typeET4_jRbjT5_SW_jjP12ihipStream_tbEUlT_E0_NS1_11comp_targetILNS1_3genE2ELNS1_11target_archE906ELNS1_3gpuE6ELNS1_3repE0EEENS1_60segmented_radix_sort_warp_sort_medium_config_static_selectorELNS0_4arch9wavefront6targetE1EEEvSK_ ; -- Begin function _ZN7rocprim17ROCPRIM_400000_NS6detail17trampoline_kernelINS0_14default_configENS1_36segmented_radix_sort_config_selectorIdlEEZNS1_25segmented_radix_sort_implIS3_Lb0EPKdPdPKlPlN2at6native12_GLOBAL__N_18offset_tEEE10hipError_tPvRmT1_PNSt15iterator_traitsISK_E10value_typeET2_T3_PNSL_ISQ_E10value_typeET4_jRbjT5_SW_jjP12ihipStream_tbEUlT_E0_NS1_11comp_targetILNS1_3genE2ELNS1_11target_archE906ELNS1_3gpuE6ELNS1_3repE0EEENS1_60segmented_radix_sort_warp_sort_medium_config_static_selectorELNS0_4arch9wavefront6targetE1EEEvSK_
	.p2align	8
	.type	_ZN7rocprim17ROCPRIM_400000_NS6detail17trampoline_kernelINS0_14default_configENS1_36segmented_radix_sort_config_selectorIdlEEZNS1_25segmented_radix_sort_implIS3_Lb0EPKdPdPKlPlN2at6native12_GLOBAL__N_18offset_tEEE10hipError_tPvRmT1_PNSt15iterator_traitsISK_E10value_typeET2_T3_PNSL_ISQ_E10value_typeET4_jRbjT5_SW_jjP12ihipStream_tbEUlT_E0_NS1_11comp_targetILNS1_3genE2ELNS1_11target_archE906ELNS1_3gpuE6ELNS1_3repE0EEENS1_60segmented_radix_sort_warp_sort_medium_config_static_selectorELNS0_4arch9wavefront6targetE1EEEvSK_,@function
_ZN7rocprim17ROCPRIM_400000_NS6detail17trampoline_kernelINS0_14default_configENS1_36segmented_radix_sort_config_selectorIdlEEZNS1_25segmented_radix_sort_implIS3_Lb0EPKdPdPKlPlN2at6native12_GLOBAL__N_18offset_tEEE10hipError_tPvRmT1_PNSt15iterator_traitsISK_E10value_typeET2_T3_PNSL_ISQ_E10value_typeET4_jRbjT5_SW_jjP12ihipStream_tbEUlT_E0_NS1_11comp_targetILNS1_3genE2ELNS1_11target_archE906ELNS1_3gpuE6ELNS1_3repE0EEENS1_60segmented_radix_sort_warp_sort_medium_config_static_selectorELNS0_4arch9wavefront6targetE1EEEvSK_: ; @_ZN7rocprim17ROCPRIM_400000_NS6detail17trampoline_kernelINS0_14default_configENS1_36segmented_radix_sort_config_selectorIdlEEZNS1_25segmented_radix_sort_implIS3_Lb0EPKdPdPKlPlN2at6native12_GLOBAL__N_18offset_tEEE10hipError_tPvRmT1_PNSt15iterator_traitsISK_E10value_typeET2_T3_PNSL_ISQ_E10value_typeET4_jRbjT5_SW_jjP12ihipStream_tbEUlT_E0_NS1_11comp_targetILNS1_3genE2ELNS1_11target_archE906ELNS1_3gpuE6ELNS1_3repE0EEENS1_60segmented_radix_sort_warp_sort_medium_config_static_selectorELNS0_4arch9wavefront6targetE1EEEvSK_
; %bb.0:
	.section	.rodata,"a",@progbits
	.p2align	6, 0x0
	.amdhsa_kernel _ZN7rocprim17ROCPRIM_400000_NS6detail17trampoline_kernelINS0_14default_configENS1_36segmented_radix_sort_config_selectorIdlEEZNS1_25segmented_radix_sort_implIS3_Lb0EPKdPdPKlPlN2at6native12_GLOBAL__N_18offset_tEEE10hipError_tPvRmT1_PNSt15iterator_traitsISK_E10value_typeET2_T3_PNSL_ISQ_E10value_typeET4_jRbjT5_SW_jjP12ihipStream_tbEUlT_E0_NS1_11comp_targetILNS1_3genE2ELNS1_11target_archE906ELNS1_3gpuE6ELNS1_3repE0EEENS1_60segmented_radix_sort_warp_sort_medium_config_static_selectorELNS0_4arch9wavefront6targetE1EEEvSK_
		.amdhsa_group_segment_fixed_size 0
		.amdhsa_private_segment_fixed_size 0
		.amdhsa_kernarg_size 88
		.amdhsa_user_sgpr_count 6
		.amdhsa_user_sgpr_private_segment_buffer 1
		.amdhsa_user_sgpr_dispatch_ptr 0
		.amdhsa_user_sgpr_queue_ptr 0
		.amdhsa_user_sgpr_kernarg_segment_ptr 1
		.amdhsa_user_sgpr_dispatch_id 0
		.amdhsa_user_sgpr_flat_scratch_init 0
		.amdhsa_user_sgpr_kernarg_preload_length 0
		.amdhsa_user_sgpr_kernarg_preload_offset 0
		.amdhsa_user_sgpr_private_segment_size 0
		.amdhsa_uses_dynamic_stack 0
		.amdhsa_system_sgpr_private_segment_wavefront_offset 0
		.amdhsa_system_sgpr_workgroup_id_x 1
		.amdhsa_system_sgpr_workgroup_id_y 0
		.amdhsa_system_sgpr_workgroup_id_z 0
		.amdhsa_system_sgpr_workgroup_info 0
		.amdhsa_system_vgpr_workitem_id 0
		.amdhsa_next_free_vgpr 1
		.amdhsa_next_free_sgpr 0
		.amdhsa_accum_offset 4
		.amdhsa_reserve_vcc 0
		.amdhsa_reserve_flat_scratch 0
		.amdhsa_float_round_mode_32 0
		.amdhsa_float_round_mode_16_64 0
		.amdhsa_float_denorm_mode_32 3
		.amdhsa_float_denorm_mode_16_64 3
		.amdhsa_dx10_clamp 1
		.amdhsa_ieee_mode 1
		.amdhsa_fp16_overflow 0
		.amdhsa_tg_split 0
		.amdhsa_exception_fp_ieee_invalid_op 0
		.amdhsa_exception_fp_denorm_src 0
		.amdhsa_exception_fp_ieee_div_zero 0
		.amdhsa_exception_fp_ieee_overflow 0
		.amdhsa_exception_fp_ieee_underflow 0
		.amdhsa_exception_fp_ieee_inexact 0
		.amdhsa_exception_int_div_zero 0
	.end_amdhsa_kernel
	.section	.text._ZN7rocprim17ROCPRIM_400000_NS6detail17trampoline_kernelINS0_14default_configENS1_36segmented_radix_sort_config_selectorIdlEEZNS1_25segmented_radix_sort_implIS3_Lb0EPKdPdPKlPlN2at6native12_GLOBAL__N_18offset_tEEE10hipError_tPvRmT1_PNSt15iterator_traitsISK_E10value_typeET2_T3_PNSL_ISQ_E10value_typeET4_jRbjT5_SW_jjP12ihipStream_tbEUlT_E0_NS1_11comp_targetILNS1_3genE2ELNS1_11target_archE906ELNS1_3gpuE6ELNS1_3repE0EEENS1_60segmented_radix_sort_warp_sort_medium_config_static_selectorELNS0_4arch9wavefront6targetE1EEEvSK_,"axG",@progbits,_ZN7rocprim17ROCPRIM_400000_NS6detail17trampoline_kernelINS0_14default_configENS1_36segmented_radix_sort_config_selectorIdlEEZNS1_25segmented_radix_sort_implIS3_Lb0EPKdPdPKlPlN2at6native12_GLOBAL__N_18offset_tEEE10hipError_tPvRmT1_PNSt15iterator_traitsISK_E10value_typeET2_T3_PNSL_ISQ_E10value_typeET4_jRbjT5_SW_jjP12ihipStream_tbEUlT_E0_NS1_11comp_targetILNS1_3genE2ELNS1_11target_archE906ELNS1_3gpuE6ELNS1_3repE0EEENS1_60segmented_radix_sort_warp_sort_medium_config_static_selectorELNS0_4arch9wavefront6targetE1EEEvSK_,comdat
.Lfunc_end1234:
	.size	_ZN7rocprim17ROCPRIM_400000_NS6detail17trampoline_kernelINS0_14default_configENS1_36segmented_radix_sort_config_selectorIdlEEZNS1_25segmented_radix_sort_implIS3_Lb0EPKdPdPKlPlN2at6native12_GLOBAL__N_18offset_tEEE10hipError_tPvRmT1_PNSt15iterator_traitsISK_E10value_typeET2_T3_PNSL_ISQ_E10value_typeET4_jRbjT5_SW_jjP12ihipStream_tbEUlT_E0_NS1_11comp_targetILNS1_3genE2ELNS1_11target_archE906ELNS1_3gpuE6ELNS1_3repE0EEENS1_60segmented_radix_sort_warp_sort_medium_config_static_selectorELNS0_4arch9wavefront6targetE1EEEvSK_, .Lfunc_end1234-_ZN7rocprim17ROCPRIM_400000_NS6detail17trampoline_kernelINS0_14default_configENS1_36segmented_radix_sort_config_selectorIdlEEZNS1_25segmented_radix_sort_implIS3_Lb0EPKdPdPKlPlN2at6native12_GLOBAL__N_18offset_tEEE10hipError_tPvRmT1_PNSt15iterator_traitsISK_E10value_typeET2_T3_PNSL_ISQ_E10value_typeET4_jRbjT5_SW_jjP12ihipStream_tbEUlT_E0_NS1_11comp_targetILNS1_3genE2ELNS1_11target_archE906ELNS1_3gpuE6ELNS1_3repE0EEENS1_60segmented_radix_sort_warp_sort_medium_config_static_selectorELNS0_4arch9wavefront6targetE1EEEvSK_
                                        ; -- End function
	.section	.AMDGPU.csdata,"",@progbits
; Kernel info:
; codeLenInByte = 0
; NumSgprs: 4
; NumVgprs: 0
; NumAgprs: 0
; TotalNumVgprs: 0
; ScratchSize: 0
; MemoryBound: 0
; FloatMode: 240
; IeeeMode: 1
; LDSByteSize: 0 bytes/workgroup (compile time only)
; SGPRBlocks: 0
; VGPRBlocks: 0
; NumSGPRsForWavesPerEU: 4
; NumVGPRsForWavesPerEU: 1
; AccumOffset: 4
; Occupancy: 8
; WaveLimiterHint : 0
; COMPUTE_PGM_RSRC2:SCRATCH_EN: 0
; COMPUTE_PGM_RSRC2:USER_SGPR: 6
; COMPUTE_PGM_RSRC2:TRAP_HANDLER: 0
; COMPUTE_PGM_RSRC2:TGID_X_EN: 1
; COMPUTE_PGM_RSRC2:TGID_Y_EN: 0
; COMPUTE_PGM_RSRC2:TGID_Z_EN: 0
; COMPUTE_PGM_RSRC2:TIDIG_COMP_CNT: 0
; COMPUTE_PGM_RSRC3_GFX90A:ACCUM_OFFSET: 0
; COMPUTE_PGM_RSRC3_GFX90A:TG_SPLIT: 0
	.section	.text._ZN7rocprim17ROCPRIM_400000_NS6detail17trampoline_kernelINS0_14default_configENS1_36segmented_radix_sort_config_selectorIdlEEZNS1_25segmented_radix_sort_implIS3_Lb0EPKdPdPKlPlN2at6native12_GLOBAL__N_18offset_tEEE10hipError_tPvRmT1_PNSt15iterator_traitsISK_E10value_typeET2_T3_PNSL_ISQ_E10value_typeET4_jRbjT5_SW_jjP12ihipStream_tbEUlT_E0_NS1_11comp_targetILNS1_3genE10ELNS1_11target_archE1201ELNS1_3gpuE5ELNS1_3repE0EEENS1_60segmented_radix_sort_warp_sort_medium_config_static_selectorELNS0_4arch9wavefront6targetE1EEEvSK_,"axG",@progbits,_ZN7rocprim17ROCPRIM_400000_NS6detail17trampoline_kernelINS0_14default_configENS1_36segmented_radix_sort_config_selectorIdlEEZNS1_25segmented_radix_sort_implIS3_Lb0EPKdPdPKlPlN2at6native12_GLOBAL__N_18offset_tEEE10hipError_tPvRmT1_PNSt15iterator_traitsISK_E10value_typeET2_T3_PNSL_ISQ_E10value_typeET4_jRbjT5_SW_jjP12ihipStream_tbEUlT_E0_NS1_11comp_targetILNS1_3genE10ELNS1_11target_archE1201ELNS1_3gpuE5ELNS1_3repE0EEENS1_60segmented_radix_sort_warp_sort_medium_config_static_selectorELNS0_4arch9wavefront6targetE1EEEvSK_,comdat
	.globl	_ZN7rocprim17ROCPRIM_400000_NS6detail17trampoline_kernelINS0_14default_configENS1_36segmented_radix_sort_config_selectorIdlEEZNS1_25segmented_radix_sort_implIS3_Lb0EPKdPdPKlPlN2at6native12_GLOBAL__N_18offset_tEEE10hipError_tPvRmT1_PNSt15iterator_traitsISK_E10value_typeET2_T3_PNSL_ISQ_E10value_typeET4_jRbjT5_SW_jjP12ihipStream_tbEUlT_E0_NS1_11comp_targetILNS1_3genE10ELNS1_11target_archE1201ELNS1_3gpuE5ELNS1_3repE0EEENS1_60segmented_radix_sort_warp_sort_medium_config_static_selectorELNS0_4arch9wavefront6targetE1EEEvSK_ ; -- Begin function _ZN7rocprim17ROCPRIM_400000_NS6detail17trampoline_kernelINS0_14default_configENS1_36segmented_radix_sort_config_selectorIdlEEZNS1_25segmented_radix_sort_implIS3_Lb0EPKdPdPKlPlN2at6native12_GLOBAL__N_18offset_tEEE10hipError_tPvRmT1_PNSt15iterator_traitsISK_E10value_typeET2_T3_PNSL_ISQ_E10value_typeET4_jRbjT5_SW_jjP12ihipStream_tbEUlT_E0_NS1_11comp_targetILNS1_3genE10ELNS1_11target_archE1201ELNS1_3gpuE5ELNS1_3repE0EEENS1_60segmented_radix_sort_warp_sort_medium_config_static_selectorELNS0_4arch9wavefront6targetE1EEEvSK_
	.p2align	8
	.type	_ZN7rocprim17ROCPRIM_400000_NS6detail17trampoline_kernelINS0_14default_configENS1_36segmented_radix_sort_config_selectorIdlEEZNS1_25segmented_radix_sort_implIS3_Lb0EPKdPdPKlPlN2at6native12_GLOBAL__N_18offset_tEEE10hipError_tPvRmT1_PNSt15iterator_traitsISK_E10value_typeET2_T3_PNSL_ISQ_E10value_typeET4_jRbjT5_SW_jjP12ihipStream_tbEUlT_E0_NS1_11comp_targetILNS1_3genE10ELNS1_11target_archE1201ELNS1_3gpuE5ELNS1_3repE0EEENS1_60segmented_radix_sort_warp_sort_medium_config_static_selectorELNS0_4arch9wavefront6targetE1EEEvSK_,@function
_ZN7rocprim17ROCPRIM_400000_NS6detail17trampoline_kernelINS0_14default_configENS1_36segmented_radix_sort_config_selectorIdlEEZNS1_25segmented_radix_sort_implIS3_Lb0EPKdPdPKlPlN2at6native12_GLOBAL__N_18offset_tEEE10hipError_tPvRmT1_PNSt15iterator_traitsISK_E10value_typeET2_T3_PNSL_ISQ_E10value_typeET4_jRbjT5_SW_jjP12ihipStream_tbEUlT_E0_NS1_11comp_targetILNS1_3genE10ELNS1_11target_archE1201ELNS1_3gpuE5ELNS1_3repE0EEENS1_60segmented_radix_sort_warp_sort_medium_config_static_selectorELNS0_4arch9wavefront6targetE1EEEvSK_: ; @_ZN7rocprim17ROCPRIM_400000_NS6detail17trampoline_kernelINS0_14default_configENS1_36segmented_radix_sort_config_selectorIdlEEZNS1_25segmented_radix_sort_implIS3_Lb0EPKdPdPKlPlN2at6native12_GLOBAL__N_18offset_tEEE10hipError_tPvRmT1_PNSt15iterator_traitsISK_E10value_typeET2_T3_PNSL_ISQ_E10value_typeET4_jRbjT5_SW_jjP12ihipStream_tbEUlT_E0_NS1_11comp_targetILNS1_3genE10ELNS1_11target_archE1201ELNS1_3gpuE5ELNS1_3repE0EEENS1_60segmented_radix_sort_warp_sort_medium_config_static_selectorELNS0_4arch9wavefront6targetE1EEEvSK_
; %bb.0:
	.section	.rodata,"a",@progbits
	.p2align	6, 0x0
	.amdhsa_kernel _ZN7rocprim17ROCPRIM_400000_NS6detail17trampoline_kernelINS0_14default_configENS1_36segmented_radix_sort_config_selectorIdlEEZNS1_25segmented_radix_sort_implIS3_Lb0EPKdPdPKlPlN2at6native12_GLOBAL__N_18offset_tEEE10hipError_tPvRmT1_PNSt15iterator_traitsISK_E10value_typeET2_T3_PNSL_ISQ_E10value_typeET4_jRbjT5_SW_jjP12ihipStream_tbEUlT_E0_NS1_11comp_targetILNS1_3genE10ELNS1_11target_archE1201ELNS1_3gpuE5ELNS1_3repE0EEENS1_60segmented_radix_sort_warp_sort_medium_config_static_selectorELNS0_4arch9wavefront6targetE1EEEvSK_
		.amdhsa_group_segment_fixed_size 0
		.amdhsa_private_segment_fixed_size 0
		.amdhsa_kernarg_size 88
		.amdhsa_user_sgpr_count 6
		.amdhsa_user_sgpr_private_segment_buffer 1
		.amdhsa_user_sgpr_dispatch_ptr 0
		.amdhsa_user_sgpr_queue_ptr 0
		.amdhsa_user_sgpr_kernarg_segment_ptr 1
		.amdhsa_user_sgpr_dispatch_id 0
		.amdhsa_user_sgpr_flat_scratch_init 0
		.amdhsa_user_sgpr_kernarg_preload_length 0
		.amdhsa_user_sgpr_kernarg_preload_offset 0
		.amdhsa_user_sgpr_private_segment_size 0
		.amdhsa_uses_dynamic_stack 0
		.amdhsa_system_sgpr_private_segment_wavefront_offset 0
		.amdhsa_system_sgpr_workgroup_id_x 1
		.amdhsa_system_sgpr_workgroup_id_y 0
		.amdhsa_system_sgpr_workgroup_id_z 0
		.amdhsa_system_sgpr_workgroup_info 0
		.amdhsa_system_vgpr_workitem_id 0
		.amdhsa_next_free_vgpr 1
		.amdhsa_next_free_sgpr 0
		.amdhsa_accum_offset 4
		.amdhsa_reserve_vcc 0
		.amdhsa_reserve_flat_scratch 0
		.amdhsa_float_round_mode_32 0
		.amdhsa_float_round_mode_16_64 0
		.amdhsa_float_denorm_mode_32 3
		.amdhsa_float_denorm_mode_16_64 3
		.amdhsa_dx10_clamp 1
		.amdhsa_ieee_mode 1
		.amdhsa_fp16_overflow 0
		.amdhsa_tg_split 0
		.amdhsa_exception_fp_ieee_invalid_op 0
		.amdhsa_exception_fp_denorm_src 0
		.amdhsa_exception_fp_ieee_div_zero 0
		.amdhsa_exception_fp_ieee_overflow 0
		.amdhsa_exception_fp_ieee_underflow 0
		.amdhsa_exception_fp_ieee_inexact 0
		.amdhsa_exception_int_div_zero 0
	.end_amdhsa_kernel
	.section	.text._ZN7rocprim17ROCPRIM_400000_NS6detail17trampoline_kernelINS0_14default_configENS1_36segmented_radix_sort_config_selectorIdlEEZNS1_25segmented_radix_sort_implIS3_Lb0EPKdPdPKlPlN2at6native12_GLOBAL__N_18offset_tEEE10hipError_tPvRmT1_PNSt15iterator_traitsISK_E10value_typeET2_T3_PNSL_ISQ_E10value_typeET4_jRbjT5_SW_jjP12ihipStream_tbEUlT_E0_NS1_11comp_targetILNS1_3genE10ELNS1_11target_archE1201ELNS1_3gpuE5ELNS1_3repE0EEENS1_60segmented_radix_sort_warp_sort_medium_config_static_selectorELNS0_4arch9wavefront6targetE1EEEvSK_,"axG",@progbits,_ZN7rocprim17ROCPRIM_400000_NS6detail17trampoline_kernelINS0_14default_configENS1_36segmented_radix_sort_config_selectorIdlEEZNS1_25segmented_radix_sort_implIS3_Lb0EPKdPdPKlPlN2at6native12_GLOBAL__N_18offset_tEEE10hipError_tPvRmT1_PNSt15iterator_traitsISK_E10value_typeET2_T3_PNSL_ISQ_E10value_typeET4_jRbjT5_SW_jjP12ihipStream_tbEUlT_E0_NS1_11comp_targetILNS1_3genE10ELNS1_11target_archE1201ELNS1_3gpuE5ELNS1_3repE0EEENS1_60segmented_radix_sort_warp_sort_medium_config_static_selectorELNS0_4arch9wavefront6targetE1EEEvSK_,comdat
.Lfunc_end1235:
	.size	_ZN7rocprim17ROCPRIM_400000_NS6detail17trampoline_kernelINS0_14default_configENS1_36segmented_radix_sort_config_selectorIdlEEZNS1_25segmented_radix_sort_implIS3_Lb0EPKdPdPKlPlN2at6native12_GLOBAL__N_18offset_tEEE10hipError_tPvRmT1_PNSt15iterator_traitsISK_E10value_typeET2_T3_PNSL_ISQ_E10value_typeET4_jRbjT5_SW_jjP12ihipStream_tbEUlT_E0_NS1_11comp_targetILNS1_3genE10ELNS1_11target_archE1201ELNS1_3gpuE5ELNS1_3repE0EEENS1_60segmented_radix_sort_warp_sort_medium_config_static_selectorELNS0_4arch9wavefront6targetE1EEEvSK_, .Lfunc_end1235-_ZN7rocprim17ROCPRIM_400000_NS6detail17trampoline_kernelINS0_14default_configENS1_36segmented_radix_sort_config_selectorIdlEEZNS1_25segmented_radix_sort_implIS3_Lb0EPKdPdPKlPlN2at6native12_GLOBAL__N_18offset_tEEE10hipError_tPvRmT1_PNSt15iterator_traitsISK_E10value_typeET2_T3_PNSL_ISQ_E10value_typeET4_jRbjT5_SW_jjP12ihipStream_tbEUlT_E0_NS1_11comp_targetILNS1_3genE10ELNS1_11target_archE1201ELNS1_3gpuE5ELNS1_3repE0EEENS1_60segmented_radix_sort_warp_sort_medium_config_static_selectorELNS0_4arch9wavefront6targetE1EEEvSK_
                                        ; -- End function
	.section	.AMDGPU.csdata,"",@progbits
; Kernel info:
; codeLenInByte = 0
; NumSgprs: 4
; NumVgprs: 0
; NumAgprs: 0
; TotalNumVgprs: 0
; ScratchSize: 0
; MemoryBound: 0
; FloatMode: 240
; IeeeMode: 1
; LDSByteSize: 0 bytes/workgroup (compile time only)
; SGPRBlocks: 0
; VGPRBlocks: 0
; NumSGPRsForWavesPerEU: 4
; NumVGPRsForWavesPerEU: 1
; AccumOffset: 4
; Occupancy: 8
; WaveLimiterHint : 0
; COMPUTE_PGM_RSRC2:SCRATCH_EN: 0
; COMPUTE_PGM_RSRC2:USER_SGPR: 6
; COMPUTE_PGM_RSRC2:TRAP_HANDLER: 0
; COMPUTE_PGM_RSRC2:TGID_X_EN: 1
; COMPUTE_PGM_RSRC2:TGID_Y_EN: 0
; COMPUTE_PGM_RSRC2:TGID_Z_EN: 0
; COMPUTE_PGM_RSRC2:TIDIG_COMP_CNT: 0
; COMPUTE_PGM_RSRC3_GFX90A:ACCUM_OFFSET: 0
; COMPUTE_PGM_RSRC3_GFX90A:TG_SPLIT: 0
	.section	.text._ZN7rocprim17ROCPRIM_400000_NS6detail17trampoline_kernelINS0_14default_configENS1_36segmented_radix_sort_config_selectorIdlEEZNS1_25segmented_radix_sort_implIS3_Lb0EPKdPdPKlPlN2at6native12_GLOBAL__N_18offset_tEEE10hipError_tPvRmT1_PNSt15iterator_traitsISK_E10value_typeET2_T3_PNSL_ISQ_E10value_typeET4_jRbjT5_SW_jjP12ihipStream_tbEUlT_E0_NS1_11comp_targetILNS1_3genE10ELNS1_11target_archE1200ELNS1_3gpuE4ELNS1_3repE0EEENS1_60segmented_radix_sort_warp_sort_medium_config_static_selectorELNS0_4arch9wavefront6targetE1EEEvSK_,"axG",@progbits,_ZN7rocprim17ROCPRIM_400000_NS6detail17trampoline_kernelINS0_14default_configENS1_36segmented_radix_sort_config_selectorIdlEEZNS1_25segmented_radix_sort_implIS3_Lb0EPKdPdPKlPlN2at6native12_GLOBAL__N_18offset_tEEE10hipError_tPvRmT1_PNSt15iterator_traitsISK_E10value_typeET2_T3_PNSL_ISQ_E10value_typeET4_jRbjT5_SW_jjP12ihipStream_tbEUlT_E0_NS1_11comp_targetILNS1_3genE10ELNS1_11target_archE1200ELNS1_3gpuE4ELNS1_3repE0EEENS1_60segmented_radix_sort_warp_sort_medium_config_static_selectorELNS0_4arch9wavefront6targetE1EEEvSK_,comdat
	.globl	_ZN7rocprim17ROCPRIM_400000_NS6detail17trampoline_kernelINS0_14default_configENS1_36segmented_radix_sort_config_selectorIdlEEZNS1_25segmented_radix_sort_implIS3_Lb0EPKdPdPKlPlN2at6native12_GLOBAL__N_18offset_tEEE10hipError_tPvRmT1_PNSt15iterator_traitsISK_E10value_typeET2_T3_PNSL_ISQ_E10value_typeET4_jRbjT5_SW_jjP12ihipStream_tbEUlT_E0_NS1_11comp_targetILNS1_3genE10ELNS1_11target_archE1200ELNS1_3gpuE4ELNS1_3repE0EEENS1_60segmented_radix_sort_warp_sort_medium_config_static_selectorELNS0_4arch9wavefront6targetE1EEEvSK_ ; -- Begin function _ZN7rocprim17ROCPRIM_400000_NS6detail17trampoline_kernelINS0_14default_configENS1_36segmented_radix_sort_config_selectorIdlEEZNS1_25segmented_radix_sort_implIS3_Lb0EPKdPdPKlPlN2at6native12_GLOBAL__N_18offset_tEEE10hipError_tPvRmT1_PNSt15iterator_traitsISK_E10value_typeET2_T3_PNSL_ISQ_E10value_typeET4_jRbjT5_SW_jjP12ihipStream_tbEUlT_E0_NS1_11comp_targetILNS1_3genE10ELNS1_11target_archE1200ELNS1_3gpuE4ELNS1_3repE0EEENS1_60segmented_radix_sort_warp_sort_medium_config_static_selectorELNS0_4arch9wavefront6targetE1EEEvSK_
	.p2align	8
	.type	_ZN7rocprim17ROCPRIM_400000_NS6detail17trampoline_kernelINS0_14default_configENS1_36segmented_radix_sort_config_selectorIdlEEZNS1_25segmented_radix_sort_implIS3_Lb0EPKdPdPKlPlN2at6native12_GLOBAL__N_18offset_tEEE10hipError_tPvRmT1_PNSt15iterator_traitsISK_E10value_typeET2_T3_PNSL_ISQ_E10value_typeET4_jRbjT5_SW_jjP12ihipStream_tbEUlT_E0_NS1_11comp_targetILNS1_3genE10ELNS1_11target_archE1200ELNS1_3gpuE4ELNS1_3repE0EEENS1_60segmented_radix_sort_warp_sort_medium_config_static_selectorELNS0_4arch9wavefront6targetE1EEEvSK_,@function
_ZN7rocprim17ROCPRIM_400000_NS6detail17trampoline_kernelINS0_14default_configENS1_36segmented_radix_sort_config_selectorIdlEEZNS1_25segmented_radix_sort_implIS3_Lb0EPKdPdPKlPlN2at6native12_GLOBAL__N_18offset_tEEE10hipError_tPvRmT1_PNSt15iterator_traitsISK_E10value_typeET2_T3_PNSL_ISQ_E10value_typeET4_jRbjT5_SW_jjP12ihipStream_tbEUlT_E0_NS1_11comp_targetILNS1_3genE10ELNS1_11target_archE1200ELNS1_3gpuE4ELNS1_3repE0EEENS1_60segmented_radix_sort_warp_sort_medium_config_static_selectorELNS0_4arch9wavefront6targetE1EEEvSK_: ; @_ZN7rocprim17ROCPRIM_400000_NS6detail17trampoline_kernelINS0_14default_configENS1_36segmented_radix_sort_config_selectorIdlEEZNS1_25segmented_radix_sort_implIS3_Lb0EPKdPdPKlPlN2at6native12_GLOBAL__N_18offset_tEEE10hipError_tPvRmT1_PNSt15iterator_traitsISK_E10value_typeET2_T3_PNSL_ISQ_E10value_typeET4_jRbjT5_SW_jjP12ihipStream_tbEUlT_E0_NS1_11comp_targetILNS1_3genE10ELNS1_11target_archE1200ELNS1_3gpuE4ELNS1_3repE0EEENS1_60segmented_radix_sort_warp_sort_medium_config_static_selectorELNS0_4arch9wavefront6targetE1EEEvSK_
; %bb.0:
	.section	.rodata,"a",@progbits
	.p2align	6, 0x0
	.amdhsa_kernel _ZN7rocprim17ROCPRIM_400000_NS6detail17trampoline_kernelINS0_14default_configENS1_36segmented_radix_sort_config_selectorIdlEEZNS1_25segmented_radix_sort_implIS3_Lb0EPKdPdPKlPlN2at6native12_GLOBAL__N_18offset_tEEE10hipError_tPvRmT1_PNSt15iterator_traitsISK_E10value_typeET2_T3_PNSL_ISQ_E10value_typeET4_jRbjT5_SW_jjP12ihipStream_tbEUlT_E0_NS1_11comp_targetILNS1_3genE10ELNS1_11target_archE1200ELNS1_3gpuE4ELNS1_3repE0EEENS1_60segmented_radix_sort_warp_sort_medium_config_static_selectorELNS0_4arch9wavefront6targetE1EEEvSK_
		.amdhsa_group_segment_fixed_size 0
		.amdhsa_private_segment_fixed_size 0
		.amdhsa_kernarg_size 88
		.amdhsa_user_sgpr_count 6
		.amdhsa_user_sgpr_private_segment_buffer 1
		.amdhsa_user_sgpr_dispatch_ptr 0
		.amdhsa_user_sgpr_queue_ptr 0
		.amdhsa_user_sgpr_kernarg_segment_ptr 1
		.amdhsa_user_sgpr_dispatch_id 0
		.amdhsa_user_sgpr_flat_scratch_init 0
		.amdhsa_user_sgpr_kernarg_preload_length 0
		.amdhsa_user_sgpr_kernarg_preload_offset 0
		.amdhsa_user_sgpr_private_segment_size 0
		.amdhsa_uses_dynamic_stack 0
		.amdhsa_system_sgpr_private_segment_wavefront_offset 0
		.amdhsa_system_sgpr_workgroup_id_x 1
		.amdhsa_system_sgpr_workgroup_id_y 0
		.amdhsa_system_sgpr_workgroup_id_z 0
		.amdhsa_system_sgpr_workgroup_info 0
		.amdhsa_system_vgpr_workitem_id 0
		.amdhsa_next_free_vgpr 1
		.amdhsa_next_free_sgpr 0
		.amdhsa_accum_offset 4
		.amdhsa_reserve_vcc 0
		.amdhsa_reserve_flat_scratch 0
		.amdhsa_float_round_mode_32 0
		.amdhsa_float_round_mode_16_64 0
		.amdhsa_float_denorm_mode_32 3
		.amdhsa_float_denorm_mode_16_64 3
		.amdhsa_dx10_clamp 1
		.amdhsa_ieee_mode 1
		.amdhsa_fp16_overflow 0
		.amdhsa_tg_split 0
		.amdhsa_exception_fp_ieee_invalid_op 0
		.amdhsa_exception_fp_denorm_src 0
		.amdhsa_exception_fp_ieee_div_zero 0
		.amdhsa_exception_fp_ieee_overflow 0
		.amdhsa_exception_fp_ieee_underflow 0
		.amdhsa_exception_fp_ieee_inexact 0
		.amdhsa_exception_int_div_zero 0
	.end_amdhsa_kernel
	.section	.text._ZN7rocprim17ROCPRIM_400000_NS6detail17trampoline_kernelINS0_14default_configENS1_36segmented_radix_sort_config_selectorIdlEEZNS1_25segmented_radix_sort_implIS3_Lb0EPKdPdPKlPlN2at6native12_GLOBAL__N_18offset_tEEE10hipError_tPvRmT1_PNSt15iterator_traitsISK_E10value_typeET2_T3_PNSL_ISQ_E10value_typeET4_jRbjT5_SW_jjP12ihipStream_tbEUlT_E0_NS1_11comp_targetILNS1_3genE10ELNS1_11target_archE1200ELNS1_3gpuE4ELNS1_3repE0EEENS1_60segmented_radix_sort_warp_sort_medium_config_static_selectorELNS0_4arch9wavefront6targetE1EEEvSK_,"axG",@progbits,_ZN7rocprim17ROCPRIM_400000_NS6detail17trampoline_kernelINS0_14default_configENS1_36segmented_radix_sort_config_selectorIdlEEZNS1_25segmented_radix_sort_implIS3_Lb0EPKdPdPKlPlN2at6native12_GLOBAL__N_18offset_tEEE10hipError_tPvRmT1_PNSt15iterator_traitsISK_E10value_typeET2_T3_PNSL_ISQ_E10value_typeET4_jRbjT5_SW_jjP12ihipStream_tbEUlT_E0_NS1_11comp_targetILNS1_3genE10ELNS1_11target_archE1200ELNS1_3gpuE4ELNS1_3repE0EEENS1_60segmented_radix_sort_warp_sort_medium_config_static_selectorELNS0_4arch9wavefront6targetE1EEEvSK_,comdat
.Lfunc_end1236:
	.size	_ZN7rocprim17ROCPRIM_400000_NS6detail17trampoline_kernelINS0_14default_configENS1_36segmented_radix_sort_config_selectorIdlEEZNS1_25segmented_radix_sort_implIS3_Lb0EPKdPdPKlPlN2at6native12_GLOBAL__N_18offset_tEEE10hipError_tPvRmT1_PNSt15iterator_traitsISK_E10value_typeET2_T3_PNSL_ISQ_E10value_typeET4_jRbjT5_SW_jjP12ihipStream_tbEUlT_E0_NS1_11comp_targetILNS1_3genE10ELNS1_11target_archE1200ELNS1_3gpuE4ELNS1_3repE0EEENS1_60segmented_radix_sort_warp_sort_medium_config_static_selectorELNS0_4arch9wavefront6targetE1EEEvSK_, .Lfunc_end1236-_ZN7rocprim17ROCPRIM_400000_NS6detail17trampoline_kernelINS0_14default_configENS1_36segmented_radix_sort_config_selectorIdlEEZNS1_25segmented_radix_sort_implIS3_Lb0EPKdPdPKlPlN2at6native12_GLOBAL__N_18offset_tEEE10hipError_tPvRmT1_PNSt15iterator_traitsISK_E10value_typeET2_T3_PNSL_ISQ_E10value_typeET4_jRbjT5_SW_jjP12ihipStream_tbEUlT_E0_NS1_11comp_targetILNS1_3genE10ELNS1_11target_archE1200ELNS1_3gpuE4ELNS1_3repE0EEENS1_60segmented_radix_sort_warp_sort_medium_config_static_selectorELNS0_4arch9wavefront6targetE1EEEvSK_
                                        ; -- End function
	.section	.AMDGPU.csdata,"",@progbits
; Kernel info:
; codeLenInByte = 0
; NumSgprs: 4
; NumVgprs: 0
; NumAgprs: 0
; TotalNumVgprs: 0
; ScratchSize: 0
; MemoryBound: 0
; FloatMode: 240
; IeeeMode: 1
; LDSByteSize: 0 bytes/workgroup (compile time only)
; SGPRBlocks: 0
; VGPRBlocks: 0
; NumSGPRsForWavesPerEU: 4
; NumVGPRsForWavesPerEU: 1
; AccumOffset: 4
; Occupancy: 8
; WaveLimiterHint : 0
; COMPUTE_PGM_RSRC2:SCRATCH_EN: 0
; COMPUTE_PGM_RSRC2:USER_SGPR: 6
; COMPUTE_PGM_RSRC2:TRAP_HANDLER: 0
; COMPUTE_PGM_RSRC2:TGID_X_EN: 1
; COMPUTE_PGM_RSRC2:TGID_Y_EN: 0
; COMPUTE_PGM_RSRC2:TGID_Z_EN: 0
; COMPUTE_PGM_RSRC2:TIDIG_COMP_CNT: 0
; COMPUTE_PGM_RSRC3_GFX90A:ACCUM_OFFSET: 0
; COMPUTE_PGM_RSRC3_GFX90A:TG_SPLIT: 0
	.section	.text._ZN7rocprim17ROCPRIM_400000_NS6detail17trampoline_kernelINS0_14default_configENS1_36segmented_radix_sort_config_selectorIdlEEZNS1_25segmented_radix_sort_implIS3_Lb0EPKdPdPKlPlN2at6native12_GLOBAL__N_18offset_tEEE10hipError_tPvRmT1_PNSt15iterator_traitsISK_E10value_typeET2_T3_PNSL_ISQ_E10value_typeET4_jRbjT5_SW_jjP12ihipStream_tbEUlT_E0_NS1_11comp_targetILNS1_3genE9ELNS1_11target_archE1100ELNS1_3gpuE3ELNS1_3repE0EEENS1_60segmented_radix_sort_warp_sort_medium_config_static_selectorELNS0_4arch9wavefront6targetE1EEEvSK_,"axG",@progbits,_ZN7rocprim17ROCPRIM_400000_NS6detail17trampoline_kernelINS0_14default_configENS1_36segmented_radix_sort_config_selectorIdlEEZNS1_25segmented_radix_sort_implIS3_Lb0EPKdPdPKlPlN2at6native12_GLOBAL__N_18offset_tEEE10hipError_tPvRmT1_PNSt15iterator_traitsISK_E10value_typeET2_T3_PNSL_ISQ_E10value_typeET4_jRbjT5_SW_jjP12ihipStream_tbEUlT_E0_NS1_11comp_targetILNS1_3genE9ELNS1_11target_archE1100ELNS1_3gpuE3ELNS1_3repE0EEENS1_60segmented_radix_sort_warp_sort_medium_config_static_selectorELNS0_4arch9wavefront6targetE1EEEvSK_,comdat
	.globl	_ZN7rocprim17ROCPRIM_400000_NS6detail17trampoline_kernelINS0_14default_configENS1_36segmented_radix_sort_config_selectorIdlEEZNS1_25segmented_radix_sort_implIS3_Lb0EPKdPdPKlPlN2at6native12_GLOBAL__N_18offset_tEEE10hipError_tPvRmT1_PNSt15iterator_traitsISK_E10value_typeET2_T3_PNSL_ISQ_E10value_typeET4_jRbjT5_SW_jjP12ihipStream_tbEUlT_E0_NS1_11comp_targetILNS1_3genE9ELNS1_11target_archE1100ELNS1_3gpuE3ELNS1_3repE0EEENS1_60segmented_radix_sort_warp_sort_medium_config_static_selectorELNS0_4arch9wavefront6targetE1EEEvSK_ ; -- Begin function _ZN7rocprim17ROCPRIM_400000_NS6detail17trampoline_kernelINS0_14default_configENS1_36segmented_radix_sort_config_selectorIdlEEZNS1_25segmented_radix_sort_implIS3_Lb0EPKdPdPKlPlN2at6native12_GLOBAL__N_18offset_tEEE10hipError_tPvRmT1_PNSt15iterator_traitsISK_E10value_typeET2_T3_PNSL_ISQ_E10value_typeET4_jRbjT5_SW_jjP12ihipStream_tbEUlT_E0_NS1_11comp_targetILNS1_3genE9ELNS1_11target_archE1100ELNS1_3gpuE3ELNS1_3repE0EEENS1_60segmented_radix_sort_warp_sort_medium_config_static_selectorELNS0_4arch9wavefront6targetE1EEEvSK_
	.p2align	8
	.type	_ZN7rocprim17ROCPRIM_400000_NS6detail17trampoline_kernelINS0_14default_configENS1_36segmented_radix_sort_config_selectorIdlEEZNS1_25segmented_radix_sort_implIS3_Lb0EPKdPdPKlPlN2at6native12_GLOBAL__N_18offset_tEEE10hipError_tPvRmT1_PNSt15iterator_traitsISK_E10value_typeET2_T3_PNSL_ISQ_E10value_typeET4_jRbjT5_SW_jjP12ihipStream_tbEUlT_E0_NS1_11comp_targetILNS1_3genE9ELNS1_11target_archE1100ELNS1_3gpuE3ELNS1_3repE0EEENS1_60segmented_radix_sort_warp_sort_medium_config_static_selectorELNS0_4arch9wavefront6targetE1EEEvSK_,@function
_ZN7rocprim17ROCPRIM_400000_NS6detail17trampoline_kernelINS0_14default_configENS1_36segmented_radix_sort_config_selectorIdlEEZNS1_25segmented_radix_sort_implIS3_Lb0EPKdPdPKlPlN2at6native12_GLOBAL__N_18offset_tEEE10hipError_tPvRmT1_PNSt15iterator_traitsISK_E10value_typeET2_T3_PNSL_ISQ_E10value_typeET4_jRbjT5_SW_jjP12ihipStream_tbEUlT_E0_NS1_11comp_targetILNS1_3genE9ELNS1_11target_archE1100ELNS1_3gpuE3ELNS1_3repE0EEENS1_60segmented_radix_sort_warp_sort_medium_config_static_selectorELNS0_4arch9wavefront6targetE1EEEvSK_: ; @_ZN7rocprim17ROCPRIM_400000_NS6detail17trampoline_kernelINS0_14default_configENS1_36segmented_radix_sort_config_selectorIdlEEZNS1_25segmented_radix_sort_implIS3_Lb0EPKdPdPKlPlN2at6native12_GLOBAL__N_18offset_tEEE10hipError_tPvRmT1_PNSt15iterator_traitsISK_E10value_typeET2_T3_PNSL_ISQ_E10value_typeET4_jRbjT5_SW_jjP12ihipStream_tbEUlT_E0_NS1_11comp_targetILNS1_3genE9ELNS1_11target_archE1100ELNS1_3gpuE3ELNS1_3repE0EEENS1_60segmented_radix_sort_warp_sort_medium_config_static_selectorELNS0_4arch9wavefront6targetE1EEEvSK_
; %bb.0:
	.section	.rodata,"a",@progbits
	.p2align	6, 0x0
	.amdhsa_kernel _ZN7rocprim17ROCPRIM_400000_NS6detail17trampoline_kernelINS0_14default_configENS1_36segmented_radix_sort_config_selectorIdlEEZNS1_25segmented_radix_sort_implIS3_Lb0EPKdPdPKlPlN2at6native12_GLOBAL__N_18offset_tEEE10hipError_tPvRmT1_PNSt15iterator_traitsISK_E10value_typeET2_T3_PNSL_ISQ_E10value_typeET4_jRbjT5_SW_jjP12ihipStream_tbEUlT_E0_NS1_11comp_targetILNS1_3genE9ELNS1_11target_archE1100ELNS1_3gpuE3ELNS1_3repE0EEENS1_60segmented_radix_sort_warp_sort_medium_config_static_selectorELNS0_4arch9wavefront6targetE1EEEvSK_
		.amdhsa_group_segment_fixed_size 0
		.amdhsa_private_segment_fixed_size 0
		.amdhsa_kernarg_size 88
		.amdhsa_user_sgpr_count 6
		.amdhsa_user_sgpr_private_segment_buffer 1
		.amdhsa_user_sgpr_dispatch_ptr 0
		.amdhsa_user_sgpr_queue_ptr 0
		.amdhsa_user_sgpr_kernarg_segment_ptr 1
		.amdhsa_user_sgpr_dispatch_id 0
		.amdhsa_user_sgpr_flat_scratch_init 0
		.amdhsa_user_sgpr_kernarg_preload_length 0
		.amdhsa_user_sgpr_kernarg_preload_offset 0
		.amdhsa_user_sgpr_private_segment_size 0
		.amdhsa_uses_dynamic_stack 0
		.amdhsa_system_sgpr_private_segment_wavefront_offset 0
		.amdhsa_system_sgpr_workgroup_id_x 1
		.amdhsa_system_sgpr_workgroup_id_y 0
		.amdhsa_system_sgpr_workgroup_id_z 0
		.amdhsa_system_sgpr_workgroup_info 0
		.amdhsa_system_vgpr_workitem_id 0
		.amdhsa_next_free_vgpr 1
		.amdhsa_next_free_sgpr 0
		.amdhsa_accum_offset 4
		.amdhsa_reserve_vcc 0
		.amdhsa_reserve_flat_scratch 0
		.amdhsa_float_round_mode_32 0
		.amdhsa_float_round_mode_16_64 0
		.amdhsa_float_denorm_mode_32 3
		.amdhsa_float_denorm_mode_16_64 3
		.amdhsa_dx10_clamp 1
		.amdhsa_ieee_mode 1
		.amdhsa_fp16_overflow 0
		.amdhsa_tg_split 0
		.amdhsa_exception_fp_ieee_invalid_op 0
		.amdhsa_exception_fp_denorm_src 0
		.amdhsa_exception_fp_ieee_div_zero 0
		.amdhsa_exception_fp_ieee_overflow 0
		.amdhsa_exception_fp_ieee_underflow 0
		.amdhsa_exception_fp_ieee_inexact 0
		.amdhsa_exception_int_div_zero 0
	.end_amdhsa_kernel
	.section	.text._ZN7rocprim17ROCPRIM_400000_NS6detail17trampoline_kernelINS0_14default_configENS1_36segmented_radix_sort_config_selectorIdlEEZNS1_25segmented_radix_sort_implIS3_Lb0EPKdPdPKlPlN2at6native12_GLOBAL__N_18offset_tEEE10hipError_tPvRmT1_PNSt15iterator_traitsISK_E10value_typeET2_T3_PNSL_ISQ_E10value_typeET4_jRbjT5_SW_jjP12ihipStream_tbEUlT_E0_NS1_11comp_targetILNS1_3genE9ELNS1_11target_archE1100ELNS1_3gpuE3ELNS1_3repE0EEENS1_60segmented_radix_sort_warp_sort_medium_config_static_selectorELNS0_4arch9wavefront6targetE1EEEvSK_,"axG",@progbits,_ZN7rocprim17ROCPRIM_400000_NS6detail17trampoline_kernelINS0_14default_configENS1_36segmented_radix_sort_config_selectorIdlEEZNS1_25segmented_radix_sort_implIS3_Lb0EPKdPdPKlPlN2at6native12_GLOBAL__N_18offset_tEEE10hipError_tPvRmT1_PNSt15iterator_traitsISK_E10value_typeET2_T3_PNSL_ISQ_E10value_typeET4_jRbjT5_SW_jjP12ihipStream_tbEUlT_E0_NS1_11comp_targetILNS1_3genE9ELNS1_11target_archE1100ELNS1_3gpuE3ELNS1_3repE0EEENS1_60segmented_radix_sort_warp_sort_medium_config_static_selectorELNS0_4arch9wavefront6targetE1EEEvSK_,comdat
.Lfunc_end1237:
	.size	_ZN7rocprim17ROCPRIM_400000_NS6detail17trampoline_kernelINS0_14default_configENS1_36segmented_radix_sort_config_selectorIdlEEZNS1_25segmented_radix_sort_implIS3_Lb0EPKdPdPKlPlN2at6native12_GLOBAL__N_18offset_tEEE10hipError_tPvRmT1_PNSt15iterator_traitsISK_E10value_typeET2_T3_PNSL_ISQ_E10value_typeET4_jRbjT5_SW_jjP12ihipStream_tbEUlT_E0_NS1_11comp_targetILNS1_3genE9ELNS1_11target_archE1100ELNS1_3gpuE3ELNS1_3repE0EEENS1_60segmented_radix_sort_warp_sort_medium_config_static_selectorELNS0_4arch9wavefront6targetE1EEEvSK_, .Lfunc_end1237-_ZN7rocprim17ROCPRIM_400000_NS6detail17trampoline_kernelINS0_14default_configENS1_36segmented_radix_sort_config_selectorIdlEEZNS1_25segmented_radix_sort_implIS3_Lb0EPKdPdPKlPlN2at6native12_GLOBAL__N_18offset_tEEE10hipError_tPvRmT1_PNSt15iterator_traitsISK_E10value_typeET2_T3_PNSL_ISQ_E10value_typeET4_jRbjT5_SW_jjP12ihipStream_tbEUlT_E0_NS1_11comp_targetILNS1_3genE9ELNS1_11target_archE1100ELNS1_3gpuE3ELNS1_3repE0EEENS1_60segmented_radix_sort_warp_sort_medium_config_static_selectorELNS0_4arch9wavefront6targetE1EEEvSK_
                                        ; -- End function
	.section	.AMDGPU.csdata,"",@progbits
; Kernel info:
; codeLenInByte = 0
; NumSgprs: 4
; NumVgprs: 0
; NumAgprs: 0
; TotalNumVgprs: 0
; ScratchSize: 0
; MemoryBound: 0
; FloatMode: 240
; IeeeMode: 1
; LDSByteSize: 0 bytes/workgroup (compile time only)
; SGPRBlocks: 0
; VGPRBlocks: 0
; NumSGPRsForWavesPerEU: 4
; NumVGPRsForWavesPerEU: 1
; AccumOffset: 4
; Occupancy: 8
; WaveLimiterHint : 0
; COMPUTE_PGM_RSRC2:SCRATCH_EN: 0
; COMPUTE_PGM_RSRC2:USER_SGPR: 6
; COMPUTE_PGM_RSRC2:TRAP_HANDLER: 0
; COMPUTE_PGM_RSRC2:TGID_X_EN: 1
; COMPUTE_PGM_RSRC2:TGID_Y_EN: 0
; COMPUTE_PGM_RSRC2:TGID_Z_EN: 0
; COMPUTE_PGM_RSRC2:TIDIG_COMP_CNT: 0
; COMPUTE_PGM_RSRC3_GFX90A:ACCUM_OFFSET: 0
; COMPUTE_PGM_RSRC3_GFX90A:TG_SPLIT: 0
	.section	.text._ZN7rocprim17ROCPRIM_400000_NS6detail17trampoline_kernelINS0_14default_configENS1_36segmented_radix_sort_config_selectorIdlEEZNS1_25segmented_radix_sort_implIS3_Lb0EPKdPdPKlPlN2at6native12_GLOBAL__N_18offset_tEEE10hipError_tPvRmT1_PNSt15iterator_traitsISK_E10value_typeET2_T3_PNSL_ISQ_E10value_typeET4_jRbjT5_SW_jjP12ihipStream_tbEUlT_E0_NS1_11comp_targetILNS1_3genE8ELNS1_11target_archE1030ELNS1_3gpuE2ELNS1_3repE0EEENS1_60segmented_radix_sort_warp_sort_medium_config_static_selectorELNS0_4arch9wavefront6targetE1EEEvSK_,"axG",@progbits,_ZN7rocprim17ROCPRIM_400000_NS6detail17trampoline_kernelINS0_14default_configENS1_36segmented_radix_sort_config_selectorIdlEEZNS1_25segmented_radix_sort_implIS3_Lb0EPKdPdPKlPlN2at6native12_GLOBAL__N_18offset_tEEE10hipError_tPvRmT1_PNSt15iterator_traitsISK_E10value_typeET2_T3_PNSL_ISQ_E10value_typeET4_jRbjT5_SW_jjP12ihipStream_tbEUlT_E0_NS1_11comp_targetILNS1_3genE8ELNS1_11target_archE1030ELNS1_3gpuE2ELNS1_3repE0EEENS1_60segmented_radix_sort_warp_sort_medium_config_static_selectorELNS0_4arch9wavefront6targetE1EEEvSK_,comdat
	.globl	_ZN7rocprim17ROCPRIM_400000_NS6detail17trampoline_kernelINS0_14default_configENS1_36segmented_radix_sort_config_selectorIdlEEZNS1_25segmented_radix_sort_implIS3_Lb0EPKdPdPKlPlN2at6native12_GLOBAL__N_18offset_tEEE10hipError_tPvRmT1_PNSt15iterator_traitsISK_E10value_typeET2_T3_PNSL_ISQ_E10value_typeET4_jRbjT5_SW_jjP12ihipStream_tbEUlT_E0_NS1_11comp_targetILNS1_3genE8ELNS1_11target_archE1030ELNS1_3gpuE2ELNS1_3repE0EEENS1_60segmented_radix_sort_warp_sort_medium_config_static_selectorELNS0_4arch9wavefront6targetE1EEEvSK_ ; -- Begin function _ZN7rocprim17ROCPRIM_400000_NS6detail17trampoline_kernelINS0_14default_configENS1_36segmented_radix_sort_config_selectorIdlEEZNS1_25segmented_radix_sort_implIS3_Lb0EPKdPdPKlPlN2at6native12_GLOBAL__N_18offset_tEEE10hipError_tPvRmT1_PNSt15iterator_traitsISK_E10value_typeET2_T3_PNSL_ISQ_E10value_typeET4_jRbjT5_SW_jjP12ihipStream_tbEUlT_E0_NS1_11comp_targetILNS1_3genE8ELNS1_11target_archE1030ELNS1_3gpuE2ELNS1_3repE0EEENS1_60segmented_radix_sort_warp_sort_medium_config_static_selectorELNS0_4arch9wavefront6targetE1EEEvSK_
	.p2align	8
	.type	_ZN7rocprim17ROCPRIM_400000_NS6detail17trampoline_kernelINS0_14default_configENS1_36segmented_radix_sort_config_selectorIdlEEZNS1_25segmented_radix_sort_implIS3_Lb0EPKdPdPKlPlN2at6native12_GLOBAL__N_18offset_tEEE10hipError_tPvRmT1_PNSt15iterator_traitsISK_E10value_typeET2_T3_PNSL_ISQ_E10value_typeET4_jRbjT5_SW_jjP12ihipStream_tbEUlT_E0_NS1_11comp_targetILNS1_3genE8ELNS1_11target_archE1030ELNS1_3gpuE2ELNS1_3repE0EEENS1_60segmented_radix_sort_warp_sort_medium_config_static_selectorELNS0_4arch9wavefront6targetE1EEEvSK_,@function
_ZN7rocprim17ROCPRIM_400000_NS6detail17trampoline_kernelINS0_14default_configENS1_36segmented_radix_sort_config_selectorIdlEEZNS1_25segmented_radix_sort_implIS3_Lb0EPKdPdPKlPlN2at6native12_GLOBAL__N_18offset_tEEE10hipError_tPvRmT1_PNSt15iterator_traitsISK_E10value_typeET2_T3_PNSL_ISQ_E10value_typeET4_jRbjT5_SW_jjP12ihipStream_tbEUlT_E0_NS1_11comp_targetILNS1_3genE8ELNS1_11target_archE1030ELNS1_3gpuE2ELNS1_3repE0EEENS1_60segmented_radix_sort_warp_sort_medium_config_static_selectorELNS0_4arch9wavefront6targetE1EEEvSK_: ; @_ZN7rocprim17ROCPRIM_400000_NS6detail17trampoline_kernelINS0_14default_configENS1_36segmented_radix_sort_config_selectorIdlEEZNS1_25segmented_radix_sort_implIS3_Lb0EPKdPdPKlPlN2at6native12_GLOBAL__N_18offset_tEEE10hipError_tPvRmT1_PNSt15iterator_traitsISK_E10value_typeET2_T3_PNSL_ISQ_E10value_typeET4_jRbjT5_SW_jjP12ihipStream_tbEUlT_E0_NS1_11comp_targetILNS1_3genE8ELNS1_11target_archE1030ELNS1_3gpuE2ELNS1_3repE0EEENS1_60segmented_radix_sort_warp_sort_medium_config_static_selectorELNS0_4arch9wavefront6targetE1EEEvSK_
; %bb.0:
	.section	.rodata,"a",@progbits
	.p2align	6, 0x0
	.amdhsa_kernel _ZN7rocprim17ROCPRIM_400000_NS6detail17trampoline_kernelINS0_14default_configENS1_36segmented_radix_sort_config_selectorIdlEEZNS1_25segmented_radix_sort_implIS3_Lb0EPKdPdPKlPlN2at6native12_GLOBAL__N_18offset_tEEE10hipError_tPvRmT1_PNSt15iterator_traitsISK_E10value_typeET2_T3_PNSL_ISQ_E10value_typeET4_jRbjT5_SW_jjP12ihipStream_tbEUlT_E0_NS1_11comp_targetILNS1_3genE8ELNS1_11target_archE1030ELNS1_3gpuE2ELNS1_3repE0EEENS1_60segmented_radix_sort_warp_sort_medium_config_static_selectorELNS0_4arch9wavefront6targetE1EEEvSK_
		.amdhsa_group_segment_fixed_size 0
		.amdhsa_private_segment_fixed_size 0
		.amdhsa_kernarg_size 88
		.amdhsa_user_sgpr_count 6
		.amdhsa_user_sgpr_private_segment_buffer 1
		.amdhsa_user_sgpr_dispatch_ptr 0
		.amdhsa_user_sgpr_queue_ptr 0
		.amdhsa_user_sgpr_kernarg_segment_ptr 1
		.amdhsa_user_sgpr_dispatch_id 0
		.amdhsa_user_sgpr_flat_scratch_init 0
		.amdhsa_user_sgpr_kernarg_preload_length 0
		.amdhsa_user_sgpr_kernarg_preload_offset 0
		.amdhsa_user_sgpr_private_segment_size 0
		.amdhsa_uses_dynamic_stack 0
		.amdhsa_system_sgpr_private_segment_wavefront_offset 0
		.amdhsa_system_sgpr_workgroup_id_x 1
		.amdhsa_system_sgpr_workgroup_id_y 0
		.amdhsa_system_sgpr_workgroup_id_z 0
		.amdhsa_system_sgpr_workgroup_info 0
		.amdhsa_system_vgpr_workitem_id 0
		.amdhsa_next_free_vgpr 1
		.amdhsa_next_free_sgpr 0
		.amdhsa_accum_offset 4
		.amdhsa_reserve_vcc 0
		.amdhsa_reserve_flat_scratch 0
		.amdhsa_float_round_mode_32 0
		.amdhsa_float_round_mode_16_64 0
		.amdhsa_float_denorm_mode_32 3
		.amdhsa_float_denorm_mode_16_64 3
		.amdhsa_dx10_clamp 1
		.amdhsa_ieee_mode 1
		.amdhsa_fp16_overflow 0
		.amdhsa_tg_split 0
		.amdhsa_exception_fp_ieee_invalid_op 0
		.amdhsa_exception_fp_denorm_src 0
		.amdhsa_exception_fp_ieee_div_zero 0
		.amdhsa_exception_fp_ieee_overflow 0
		.amdhsa_exception_fp_ieee_underflow 0
		.amdhsa_exception_fp_ieee_inexact 0
		.amdhsa_exception_int_div_zero 0
	.end_amdhsa_kernel
	.section	.text._ZN7rocprim17ROCPRIM_400000_NS6detail17trampoline_kernelINS0_14default_configENS1_36segmented_radix_sort_config_selectorIdlEEZNS1_25segmented_radix_sort_implIS3_Lb0EPKdPdPKlPlN2at6native12_GLOBAL__N_18offset_tEEE10hipError_tPvRmT1_PNSt15iterator_traitsISK_E10value_typeET2_T3_PNSL_ISQ_E10value_typeET4_jRbjT5_SW_jjP12ihipStream_tbEUlT_E0_NS1_11comp_targetILNS1_3genE8ELNS1_11target_archE1030ELNS1_3gpuE2ELNS1_3repE0EEENS1_60segmented_radix_sort_warp_sort_medium_config_static_selectorELNS0_4arch9wavefront6targetE1EEEvSK_,"axG",@progbits,_ZN7rocprim17ROCPRIM_400000_NS6detail17trampoline_kernelINS0_14default_configENS1_36segmented_radix_sort_config_selectorIdlEEZNS1_25segmented_radix_sort_implIS3_Lb0EPKdPdPKlPlN2at6native12_GLOBAL__N_18offset_tEEE10hipError_tPvRmT1_PNSt15iterator_traitsISK_E10value_typeET2_T3_PNSL_ISQ_E10value_typeET4_jRbjT5_SW_jjP12ihipStream_tbEUlT_E0_NS1_11comp_targetILNS1_3genE8ELNS1_11target_archE1030ELNS1_3gpuE2ELNS1_3repE0EEENS1_60segmented_radix_sort_warp_sort_medium_config_static_selectorELNS0_4arch9wavefront6targetE1EEEvSK_,comdat
.Lfunc_end1238:
	.size	_ZN7rocprim17ROCPRIM_400000_NS6detail17trampoline_kernelINS0_14default_configENS1_36segmented_radix_sort_config_selectorIdlEEZNS1_25segmented_radix_sort_implIS3_Lb0EPKdPdPKlPlN2at6native12_GLOBAL__N_18offset_tEEE10hipError_tPvRmT1_PNSt15iterator_traitsISK_E10value_typeET2_T3_PNSL_ISQ_E10value_typeET4_jRbjT5_SW_jjP12ihipStream_tbEUlT_E0_NS1_11comp_targetILNS1_3genE8ELNS1_11target_archE1030ELNS1_3gpuE2ELNS1_3repE0EEENS1_60segmented_radix_sort_warp_sort_medium_config_static_selectorELNS0_4arch9wavefront6targetE1EEEvSK_, .Lfunc_end1238-_ZN7rocprim17ROCPRIM_400000_NS6detail17trampoline_kernelINS0_14default_configENS1_36segmented_radix_sort_config_selectorIdlEEZNS1_25segmented_radix_sort_implIS3_Lb0EPKdPdPKlPlN2at6native12_GLOBAL__N_18offset_tEEE10hipError_tPvRmT1_PNSt15iterator_traitsISK_E10value_typeET2_T3_PNSL_ISQ_E10value_typeET4_jRbjT5_SW_jjP12ihipStream_tbEUlT_E0_NS1_11comp_targetILNS1_3genE8ELNS1_11target_archE1030ELNS1_3gpuE2ELNS1_3repE0EEENS1_60segmented_radix_sort_warp_sort_medium_config_static_selectorELNS0_4arch9wavefront6targetE1EEEvSK_
                                        ; -- End function
	.section	.AMDGPU.csdata,"",@progbits
; Kernel info:
; codeLenInByte = 0
; NumSgprs: 4
; NumVgprs: 0
; NumAgprs: 0
; TotalNumVgprs: 0
; ScratchSize: 0
; MemoryBound: 0
; FloatMode: 240
; IeeeMode: 1
; LDSByteSize: 0 bytes/workgroup (compile time only)
; SGPRBlocks: 0
; VGPRBlocks: 0
; NumSGPRsForWavesPerEU: 4
; NumVGPRsForWavesPerEU: 1
; AccumOffset: 4
; Occupancy: 8
; WaveLimiterHint : 0
; COMPUTE_PGM_RSRC2:SCRATCH_EN: 0
; COMPUTE_PGM_RSRC2:USER_SGPR: 6
; COMPUTE_PGM_RSRC2:TRAP_HANDLER: 0
; COMPUTE_PGM_RSRC2:TGID_X_EN: 1
; COMPUTE_PGM_RSRC2:TGID_Y_EN: 0
; COMPUTE_PGM_RSRC2:TGID_Z_EN: 0
; COMPUTE_PGM_RSRC2:TIDIG_COMP_CNT: 0
; COMPUTE_PGM_RSRC3_GFX90A:ACCUM_OFFSET: 0
; COMPUTE_PGM_RSRC3_GFX90A:TG_SPLIT: 0
	.section	.text._ZN7rocprim17ROCPRIM_400000_NS6detail17trampoline_kernelINS0_14default_configENS1_36segmented_radix_sort_config_selectorIdlEEZNS1_25segmented_radix_sort_implIS3_Lb0EPKdPdPKlPlN2at6native12_GLOBAL__N_18offset_tEEE10hipError_tPvRmT1_PNSt15iterator_traitsISK_E10value_typeET2_T3_PNSL_ISQ_E10value_typeET4_jRbjT5_SW_jjP12ihipStream_tbEUlT_E1_NS1_11comp_targetILNS1_3genE0ELNS1_11target_archE4294967295ELNS1_3gpuE0ELNS1_3repE0EEENS1_59segmented_radix_sort_warp_sort_small_config_static_selectorELNS0_4arch9wavefront6targetE1EEEvSK_,"axG",@progbits,_ZN7rocprim17ROCPRIM_400000_NS6detail17trampoline_kernelINS0_14default_configENS1_36segmented_radix_sort_config_selectorIdlEEZNS1_25segmented_radix_sort_implIS3_Lb0EPKdPdPKlPlN2at6native12_GLOBAL__N_18offset_tEEE10hipError_tPvRmT1_PNSt15iterator_traitsISK_E10value_typeET2_T3_PNSL_ISQ_E10value_typeET4_jRbjT5_SW_jjP12ihipStream_tbEUlT_E1_NS1_11comp_targetILNS1_3genE0ELNS1_11target_archE4294967295ELNS1_3gpuE0ELNS1_3repE0EEENS1_59segmented_radix_sort_warp_sort_small_config_static_selectorELNS0_4arch9wavefront6targetE1EEEvSK_,comdat
	.globl	_ZN7rocprim17ROCPRIM_400000_NS6detail17trampoline_kernelINS0_14default_configENS1_36segmented_radix_sort_config_selectorIdlEEZNS1_25segmented_radix_sort_implIS3_Lb0EPKdPdPKlPlN2at6native12_GLOBAL__N_18offset_tEEE10hipError_tPvRmT1_PNSt15iterator_traitsISK_E10value_typeET2_T3_PNSL_ISQ_E10value_typeET4_jRbjT5_SW_jjP12ihipStream_tbEUlT_E1_NS1_11comp_targetILNS1_3genE0ELNS1_11target_archE4294967295ELNS1_3gpuE0ELNS1_3repE0EEENS1_59segmented_radix_sort_warp_sort_small_config_static_selectorELNS0_4arch9wavefront6targetE1EEEvSK_ ; -- Begin function _ZN7rocprim17ROCPRIM_400000_NS6detail17trampoline_kernelINS0_14default_configENS1_36segmented_radix_sort_config_selectorIdlEEZNS1_25segmented_radix_sort_implIS3_Lb0EPKdPdPKlPlN2at6native12_GLOBAL__N_18offset_tEEE10hipError_tPvRmT1_PNSt15iterator_traitsISK_E10value_typeET2_T3_PNSL_ISQ_E10value_typeET4_jRbjT5_SW_jjP12ihipStream_tbEUlT_E1_NS1_11comp_targetILNS1_3genE0ELNS1_11target_archE4294967295ELNS1_3gpuE0ELNS1_3repE0EEENS1_59segmented_radix_sort_warp_sort_small_config_static_selectorELNS0_4arch9wavefront6targetE1EEEvSK_
	.p2align	8
	.type	_ZN7rocprim17ROCPRIM_400000_NS6detail17trampoline_kernelINS0_14default_configENS1_36segmented_radix_sort_config_selectorIdlEEZNS1_25segmented_radix_sort_implIS3_Lb0EPKdPdPKlPlN2at6native12_GLOBAL__N_18offset_tEEE10hipError_tPvRmT1_PNSt15iterator_traitsISK_E10value_typeET2_T3_PNSL_ISQ_E10value_typeET4_jRbjT5_SW_jjP12ihipStream_tbEUlT_E1_NS1_11comp_targetILNS1_3genE0ELNS1_11target_archE4294967295ELNS1_3gpuE0ELNS1_3repE0EEENS1_59segmented_radix_sort_warp_sort_small_config_static_selectorELNS0_4arch9wavefront6targetE1EEEvSK_,@function
_ZN7rocprim17ROCPRIM_400000_NS6detail17trampoline_kernelINS0_14default_configENS1_36segmented_radix_sort_config_selectorIdlEEZNS1_25segmented_radix_sort_implIS3_Lb0EPKdPdPKlPlN2at6native12_GLOBAL__N_18offset_tEEE10hipError_tPvRmT1_PNSt15iterator_traitsISK_E10value_typeET2_T3_PNSL_ISQ_E10value_typeET4_jRbjT5_SW_jjP12ihipStream_tbEUlT_E1_NS1_11comp_targetILNS1_3genE0ELNS1_11target_archE4294967295ELNS1_3gpuE0ELNS1_3repE0EEENS1_59segmented_radix_sort_warp_sort_small_config_static_selectorELNS0_4arch9wavefront6targetE1EEEvSK_: ; @_ZN7rocprim17ROCPRIM_400000_NS6detail17trampoline_kernelINS0_14default_configENS1_36segmented_radix_sort_config_selectorIdlEEZNS1_25segmented_radix_sort_implIS3_Lb0EPKdPdPKlPlN2at6native12_GLOBAL__N_18offset_tEEE10hipError_tPvRmT1_PNSt15iterator_traitsISK_E10value_typeET2_T3_PNSL_ISQ_E10value_typeET4_jRbjT5_SW_jjP12ihipStream_tbEUlT_E1_NS1_11comp_targetILNS1_3genE0ELNS1_11target_archE4294967295ELNS1_3gpuE0ELNS1_3repE0EEENS1_59segmented_radix_sort_warp_sort_small_config_static_selectorELNS0_4arch9wavefront6targetE1EEEvSK_
; %bb.0:
	.section	.rodata,"a",@progbits
	.p2align	6, 0x0
	.amdhsa_kernel _ZN7rocprim17ROCPRIM_400000_NS6detail17trampoline_kernelINS0_14default_configENS1_36segmented_radix_sort_config_selectorIdlEEZNS1_25segmented_radix_sort_implIS3_Lb0EPKdPdPKlPlN2at6native12_GLOBAL__N_18offset_tEEE10hipError_tPvRmT1_PNSt15iterator_traitsISK_E10value_typeET2_T3_PNSL_ISQ_E10value_typeET4_jRbjT5_SW_jjP12ihipStream_tbEUlT_E1_NS1_11comp_targetILNS1_3genE0ELNS1_11target_archE4294967295ELNS1_3gpuE0ELNS1_3repE0EEENS1_59segmented_radix_sort_warp_sort_small_config_static_selectorELNS0_4arch9wavefront6targetE1EEEvSK_
		.amdhsa_group_segment_fixed_size 0
		.amdhsa_private_segment_fixed_size 0
		.amdhsa_kernarg_size 88
		.amdhsa_user_sgpr_count 6
		.amdhsa_user_sgpr_private_segment_buffer 1
		.amdhsa_user_sgpr_dispatch_ptr 0
		.amdhsa_user_sgpr_queue_ptr 0
		.amdhsa_user_sgpr_kernarg_segment_ptr 1
		.amdhsa_user_sgpr_dispatch_id 0
		.amdhsa_user_sgpr_flat_scratch_init 0
		.amdhsa_user_sgpr_kernarg_preload_length 0
		.amdhsa_user_sgpr_kernarg_preload_offset 0
		.amdhsa_user_sgpr_private_segment_size 0
		.amdhsa_uses_dynamic_stack 0
		.amdhsa_system_sgpr_private_segment_wavefront_offset 0
		.amdhsa_system_sgpr_workgroup_id_x 1
		.amdhsa_system_sgpr_workgroup_id_y 0
		.amdhsa_system_sgpr_workgroup_id_z 0
		.amdhsa_system_sgpr_workgroup_info 0
		.amdhsa_system_vgpr_workitem_id 0
		.amdhsa_next_free_vgpr 1
		.amdhsa_next_free_sgpr 0
		.amdhsa_accum_offset 4
		.amdhsa_reserve_vcc 0
		.amdhsa_reserve_flat_scratch 0
		.amdhsa_float_round_mode_32 0
		.amdhsa_float_round_mode_16_64 0
		.amdhsa_float_denorm_mode_32 3
		.amdhsa_float_denorm_mode_16_64 3
		.amdhsa_dx10_clamp 1
		.amdhsa_ieee_mode 1
		.amdhsa_fp16_overflow 0
		.amdhsa_tg_split 0
		.amdhsa_exception_fp_ieee_invalid_op 0
		.amdhsa_exception_fp_denorm_src 0
		.amdhsa_exception_fp_ieee_div_zero 0
		.amdhsa_exception_fp_ieee_overflow 0
		.amdhsa_exception_fp_ieee_underflow 0
		.amdhsa_exception_fp_ieee_inexact 0
		.amdhsa_exception_int_div_zero 0
	.end_amdhsa_kernel
	.section	.text._ZN7rocprim17ROCPRIM_400000_NS6detail17trampoline_kernelINS0_14default_configENS1_36segmented_radix_sort_config_selectorIdlEEZNS1_25segmented_radix_sort_implIS3_Lb0EPKdPdPKlPlN2at6native12_GLOBAL__N_18offset_tEEE10hipError_tPvRmT1_PNSt15iterator_traitsISK_E10value_typeET2_T3_PNSL_ISQ_E10value_typeET4_jRbjT5_SW_jjP12ihipStream_tbEUlT_E1_NS1_11comp_targetILNS1_3genE0ELNS1_11target_archE4294967295ELNS1_3gpuE0ELNS1_3repE0EEENS1_59segmented_radix_sort_warp_sort_small_config_static_selectorELNS0_4arch9wavefront6targetE1EEEvSK_,"axG",@progbits,_ZN7rocprim17ROCPRIM_400000_NS6detail17trampoline_kernelINS0_14default_configENS1_36segmented_radix_sort_config_selectorIdlEEZNS1_25segmented_radix_sort_implIS3_Lb0EPKdPdPKlPlN2at6native12_GLOBAL__N_18offset_tEEE10hipError_tPvRmT1_PNSt15iterator_traitsISK_E10value_typeET2_T3_PNSL_ISQ_E10value_typeET4_jRbjT5_SW_jjP12ihipStream_tbEUlT_E1_NS1_11comp_targetILNS1_3genE0ELNS1_11target_archE4294967295ELNS1_3gpuE0ELNS1_3repE0EEENS1_59segmented_radix_sort_warp_sort_small_config_static_selectorELNS0_4arch9wavefront6targetE1EEEvSK_,comdat
.Lfunc_end1239:
	.size	_ZN7rocprim17ROCPRIM_400000_NS6detail17trampoline_kernelINS0_14default_configENS1_36segmented_radix_sort_config_selectorIdlEEZNS1_25segmented_radix_sort_implIS3_Lb0EPKdPdPKlPlN2at6native12_GLOBAL__N_18offset_tEEE10hipError_tPvRmT1_PNSt15iterator_traitsISK_E10value_typeET2_T3_PNSL_ISQ_E10value_typeET4_jRbjT5_SW_jjP12ihipStream_tbEUlT_E1_NS1_11comp_targetILNS1_3genE0ELNS1_11target_archE4294967295ELNS1_3gpuE0ELNS1_3repE0EEENS1_59segmented_radix_sort_warp_sort_small_config_static_selectorELNS0_4arch9wavefront6targetE1EEEvSK_, .Lfunc_end1239-_ZN7rocprim17ROCPRIM_400000_NS6detail17trampoline_kernelINS0_14default_configENS1_36segmented_radix_sort_config_selectorIdlEEZNS1_25segmented_radix_sort_implIS3_Lb0EPKdPdPKlPlN2at6native12_GLOBAL__N_18offset_tEEE10hipError_tPvRmT1_PNSt15iterator_traitsISK_E10value_typeET2_T3_PNSL_ISQ_E10value_typeET4_jRbjT5_SW_jjP12ihipStream_tbEUlT_E1_NS1_11comp_targetILNS1_3genE0ELNS1_11target_archE4294967295ELNS1_3gpuE0ELNS1_3repE0EEENS1_59segmented_radix_sort_warp_sort_small_config_static_selectorELNS0_4arch9wavefront6targetE1EEEvSK_
                                        ; -- End function
	.section	.AMDGPU.csdata,"",@progbits
; Kernel info:
; codeLenInByte = 0
; NumSgprs: 4
; NumVgprs: 0
; NumAgprs: 0
; TotalNumVgprs: 0
; ScratchSize: 0
; MemoryBound: 0
; FloatMode: 240
; IeeeMode: 1
; LDSByteSize: 0 bytes/workgroup (compile time only)
; SGPRBlocks: 0
; VGPRBlocks: 0
; NumSGPRsForWavesPerEU: 4
; NumVGPRsForWavesPerEU: 1
; AccumOffset: 4
; Occupancy: 8
; WaveLimiterHint : 0
; COMPUTE_PGM_RSRC2:SCRATCH_EN: 0
; COMPUTE_PGM_RSRC2:USER_SGPR: 6
; COMPUTE_PGM_RSRC2:TRAP_HANDLER: 0
; COMPUTE_PGM_RSRC2:TGID_X_EN: 1
; COMPUTE_PGM_RSRC2:TGID_Y_EN: 0
; COMPUTE_PGM_RSRC2:TGID_Z_EN: 0
; COMPUTE_PGM_RSRC2:TIDIG_COMP_CNT: 0
; COMPUTE_PGM_RSRC3_GFX90A:ACCUM_OFFSET: 0
; COMPUTE_PGM_RSRC3_GFX90A:TG_SPLIT: 0
	.section	.text._ZN7rocprim17ROCPRIM_400000_NS6detail17trampoline_kernelINS0_14default_configENS1_36segmented_radix_sort_config_selectorIdlEEZNS1_25segmented_radix_sort_implIS3_Lb0EPKdPdPKlPlN2at6native12_GLOBAL__N_18offset_tEEE10hipError_tPvRmT1_PNSt15iterator_traitsISK_E10value_typeET2_T3_PNSL_ISQ_E10value_typeET4_jRbjT5_SW_jjP12ihipStream_tbEUlT_E1_NS1_11comp_targetILNS1_3genE5ELNS1_11target_archE942ELNS1_3gpuE9ELNS1_3repE0EEENS1_59segmented_radix_sort_warp_sort_small_config_static_selectorELNS0_4arch9wavefront6targetE1EEEvSK_,"axG",@progbits,_ZN7rocprim17ROCPRIM_400000_NS6detail17trampoline_kernelINS0_14default_configENS1_36segmented_radix_sort_config_selectorIdlEEZNS1_25segmented_radix_sort_implIS3_Lb0EPKdPdPKlPlN2at6native12_GLOBAL__N_18offset_tEEE10hipError_tPvRmT1_PNSt15iterator_traitsISK_E10value_typeET2_T3_PNSL_ISQ_E10value_typeET4_jRbjT5_SW_jjP12ihipStream_tbEUlT_E1_NS1_11comp_targetILNS1_3genE5ELNS1_11target_archE942ELNS1_3gpuE9ELNS1_3repE0EEENS1_59segmented_radix_sort_warp_sort_small_config_static_selectorELNS0_4arch9wavefront6targetE1EEEvSK_,comdat
	.globl	_ZN7rocprim17ROCPRIM_400000_NS6detail17trampoline_kernelINS0_14default_configENS1_36segmented_radix_sort_config_selectorIdlEEZNS1_25segmented_radix_sort_implIS3_Lb0EPKdPdPKlPlN2at6native12_GLOBAL__N_18offset_tEEE10hipError_tPvRmT1_PNSt15iterator_traitsISK_E10value_typeET2_T3_PNSL_ISQ_E10value_typeET4_jRbjT5_SW_jjP12ihipStream_tbEUlT_E1_NS1_11comp_targetILNS1_3genE5ELNS1_11target_archE942ELNS1_3gpuE9ELNS1_3repE0EEENS1_59segmented_radix_sort_warp_sort_small_config_static_selectorELNS0_4arch9wavefront6targetE1EEEvSK_ ; -- Begin function _ZN7rocprim17ROCPRIM_400000_NS6detail17trampoline_kernelINS0_14default_configENS1_36segmented_radix_sort_config_selectorIdlEEZNS1_25segmented_radix_sort_implIS3_Lb0EPKdPdPKlPlN2at6native12_GLOBAL__N_18offset_tEEE10hipError_tPvRmT1_PNSt15iterator_traitsISK_E10value_typeET2_T3_PNSL_ISQ_E10value_typeET4_jRbjT5_SW_jjP12ihipStream_tbEUlT_E1_NS1_11comp_targetILNS1_3genE5ELNS1_11target_archE942ELNS1_3gpuE9ELNS1_3repE0EEENS1_59segmented_radix_sort_warp_sort_small_config_static_selectorELNS0_4arch9wavefront6targetE1EEEvSK_
	.p2align	8
	.type	_ZN7rocprim17ROCPRIM_400000_NS6detail17trampoline_kernelINS0_14default_configENS1_36segmented_radix_sort_config_selectorIdlEEZNS1_25segmented_radix_sort_implIS3_Lb0EPKdPdPKlPlN2at6native12_GLOBAL__N_18offset_tEEE10hipError_tPvRmT1_PNSt15iterator_traitsISK_E10value_typeET2_T3_PNSL_ISQ_E10value_typeET4_jRbjT5_SW_jjP12ihipStream_tbEUlT_E1_NS1_11comp_targetILNS1_3genE5ELNS1_11target_archE942ELNS1_3gpuE9ELNS1_3repE0EEENS1_59segmented_radix_sort_warp_sort_small_config_static_selectorELNS0_4arch9wavefront6targetE1EEEvSK_,@function
_ZN7rocprim17ROCPRIM_400000_NS6detail17trampoline_kernelINS0_14default_configENS1_36segmented_radix_sort_config_selectorIdlEEZNS1_25segmented_radix_sort_implIS3_Lb0EPKdPdPKlPlN2at6native12_GLOBAL__N_18offset_tEEE10hipError_tPvRmT1_PNSt15iterator_traitsISK_E10value_typeET2_T3_PNSL_ISQ_E10value_typeET4_jRbjT5_SW_jjP12ihipStream_tbEUlT_E1_NS1_11comp_targetILNS1_3genE5ELNS1_11target_archE942ELNS1_3gpuE9ELNS1_3repE0EEENS1_59segmented_radix_sort_warp_sort_small_config_static_selectorELNS0_4arch9wavefront6targetE1EEEvSK_: ; @_ZN7rocprim17ROCPRIM_400000_NS6detail17trampoline_kernelINS0_14default_configENS1_36segmented_radix_sort_config_selectorIdlEEZNS1_25segmented_radix_sort_implIS3_Lb0EPKdPdPKlPlN2at6native12_GLOBAL__N_18offset_tEEE10hipError_tPvRmT1_PNSt15iterator_traitsISK_E10value_typeET2_T3_PNSL_ISQ_E10value_typeET4_jRbjT5_SW_jjP12ihipStream_tbEUlT_E1_NS1_11comp_targetILNS1_3genE5ELNS1_11target_archE942ELNS1_3gpuE9ELNS1_3repE0EEENS1_59segmented_radix_sort_warp_sort_small_config_static_selectorELNS0_4arch9wavefront6targetE1EEEvSK_
; %bb.0:
	.section	.rodata,"a",@progbits
	.p2align	6, 0x0
	.amdhsa_kernel _ZN7rocprim17ROCPRIM_400000_NS6detail17trampoline_kernelINS0_14default_configENS1_36segmented_radix_sort_config_selectorIdlEEZNS1_25segmented_radix_sort_implIS3_Lb0EPKdPdPKlPlN2at6native12_GLOBAL__N_18offset_tEEE10hipError_tPvRmT1_PNSt15iterator_traitsISK_E10value_typeET2_T3_PNSL_ISQ_E10value_typeET4_jRbjT5_SW_jjP12ihipStream_tbEUlT_E1_NS1_11comp_targetILNS1_3genE5ELNS1_11target_archE942ELNS1_3gpuE9ELNS1_3repE0EEENS1_59segmented_radix_sort_warp_sort_small_config_static_selectorELNS0_4arch9wavefront6targetE1EEEvSK_
		.amdhsa_group_segment_fixed_size 0
		.amdhsa_private_segment_fixed_size 0
		.amdhsa_kernarg_size 88
		.amdhsa_user_sgpr_count 6
		.amdhsa_user_sgpr_private_segment_buffer 1
		.amdhsa_user_sgpr_dispatch_ptr 0
		.amdhsa_user_sgpr_queue_ptr 0
		.amdhsa_user_sgpr_kernarg_segment_ptr 1
		.amdhsa_user_sgpr_dispatch_id 0
		.amdhsa_user_sgpr_flat_scratch_init 0
		.amdhsa_user_sgpr_kernarg_preload_length 0
		.amdhsa_user_sgpr_kernarg_preload_offset 0
		.amdhsa_user_sgpr_private_segment_size 0
		.amdhsa_uses_dynamic_stack 0
		.amdhsa_system_sgpr_private_segment_wavefront_offset 0
		.amdhsa_system_sgpr_workgroup_id_x 1
		.amdhsa_system_sgpr_workgroup_id_y 0
		.amdhsa_system_sgpr_workgroup_id_z 0
		.amdhsa_system_sgpr_workgroup_info 0
		.amdhsa_system_vgpr_workitem_id 0
		.amdhsa_next_free_vgpr 1
		.amdhsa_next_free_sgpr 0
		.amdhsa_accum_offset 4
		.amdhsa_reserve_vcc 0
		.amdhsa_reserve_flat_scratch 0
		.amdhsa_float_round_mode_32 0
		.amdhsa_float_round_mode_16_64 0
		.amdhsa_float_denorm_mode_32 3
		.amdhsa_float_denorm_mode_16_64 3
		.amdhsa_dx10_clamp 1
		.amdhsa_ieee_mode 1
		.amdhsa_fp16_overflow 0
		.amdhsa_tg_split 0
		.amdhsa_exception_fp_ieee_invalid_op 0
		.amdhsa_exception_fp_denorm_src 0
		.amdhsa_exception_fp_ieee_div_zero 0
		.amdhsa_exception_fp_ieee_overflow 0
		.amdhsa_exception_fp_ieee_underflow 0
		.amdhsa_exception_fp_ieee_inexact 0
		.amdhsa_exception_int_div_zero 0
	.end_amdhsa_kernel
	.section	.text._ZN7rocprim17ROCPRIM_400000_NS6detail17trampoline_kernelINS0_14default_configENS1_36segmented_radix_sort_config_selectorIdlEEZNS1_25segmented_radix_sort_implIS3_Lb0EPKdPdPKlPlN2at6native12_GLOBAL__N_18offset_tEEE10hipError_tPvRmT1_PNSt15iterator_traitsISK_E10value_typeET2_T3_PNSL_ISQ_E10value_typeET4_jRbjT5_SW_jjP12ihipStream_tbEUlT_E1_NS1_11comp_targetILNS1_3genE5ELNS1_11target_archE942ELNS1_3gpuE9ELNS1_3repE0EEENS1_59segmented_radix_sort_warp_sort_small_config_static_selectorELNS0_4arch9wavefront6targetE1EEEvSK_,"axG",@progbits,_ZN7rocprim17ROCPRIM_400000_NS6detail17trampoline_kernelINS0_14default_configENS1_36segmented_radix_sort_config_selectorIdlEEZNS1_25segmented_radix_sort_implIS3_Lb0EPKdPdPKlPlN2at6native12_GLOBAL__N_18offset_tEEE10hipError_tPvRmT1_PNSt15iterator_traitsISK_E10value_typeET2_T3_PNSL_ISQ_E10value_typeET4_jRbjT5_SW_jjP12ihipStream_tbEUlT_E1_NS1_11comp_targetILNS1_3genE5ELNS1_11target_archE942ELNS1_3gpuE9ELNS1_3repE0EEENS1_59segmented_radix_sort_warp_sort_small_config_static_selectorELNS0_4arch9wavefront6targetE1EEEvSK_,comdat
.Lfunc_end1240:
	.size	_ZN7rocprim17ROCPRIM_400000_NS6detail17trampoline_kernelINS0_14default_configENS1_36segmented_radix_sort_config_selectorIdlEEZNS1_25segmented_radix_sort_implIS3_Lb0EPKdPdPKlPlN2at6native12_GLOBAL__N_18offset_tEEE10hipError_tPvRmT1_PNSt15iterator_traitsISK_E10value_typeET2_T3_PNSL_ISQ_E10value_typeET4_jRbjT5_SW_jjP12ihipStream_tbEUlT_E1_NS1_11comp_targetILNS1_3genE5ELNS1_11target_archE942ELNS1_3gpuE9ELNS1_3repE0EEENS1_59segmented_radix_sort_warp_sort_small_config_static_selectorELNS0_4arch9wavefront6targetE1EEEvSK_, .Lfunc_end1240-_ZN7rocprim17ROCPRIM_400000_NS6detail17trampoline_kernelINS0_14default_configENS1_36segmented_radix_sort_config_selectorIdlEEZNS1_25segmented_radix_sort_implIS3_Lb0EPKdPdPKlPlN2at6native12_GLOBAL__N_18offset_tEEE10hipError_tPvRmT1_PNSt15iterator_traitsISK_E10value_typeET2_T3_PNSL_ISQ_E10value_typeET4_jRbjT5_SW_jjP12ihipStream_tbEUlT_E1_NS1_11comp_targetILNS1_3genE5ELNS1_11target_archE942ELNS1_3gpuE9ELNS1_3repE0EEENS1_59segmented_radix_sort_warp_sort_small_config_static_selectorELNS0_4arch9wavefront6targetE1EEEvSK_
                                        ; -- End function
	.section	.AMDGPU.csdata,"",@progbits
; Kernel info:
; codeLenInByte = 0
; NumSgprs: 4
; NumVgprs: 0
; NumAgprs: 0
; TotalNumVgprs: 0
; ScratchSize: 0
; MemoryBound: 0
; FloatMode: 240
; IeeeMode: 1
; LDSByteSize: 0 bytes/workgroup (compile time only)
; SGPRBlocks: 0
; VGPRBlocks: 0
; NumSGPRsForWavesPerEU: 4
; NumVGPRsForWavesPerEU: 1
; AccumOffset: 4
; Occupancy: 8
; WaveLimiterHint : 0
; COMPUTE_PGM_RSRC2:SCRATCH_EN: 0
; COMPUTE_PGM_RSRC2:USER_SGPR: 6
; COMPUTE_PGM_RSRC2:TRAP_HANDLER: 0
; COMPUTE_PGM_RSRC2:TGID_X_EN: 1
; COMPUTE_PGM_RSRC2:TGID_Y_EN: 0
; COMPUTE_PGM_RSRC2:TGID_Z_EN: 0
; COMPUTE_PGM_RSRC2:TIDIG_COMP_CNT: 0
; COMPUTE_PGM_RSRC3_GFX90A:ACCUM_OFFSET: 0
; COMPUTE_PGM_RSRC3_GFX90A:TG_SPLIT: 0
	.text
	.p2align	2                               ; -- Begin function _ZN7rocprim17ROCPRIM_400000_NS6detail26segmented_warp_sort_helperINS1_20WarpSortHelperConfigILj8ELj4ELj256EEEdlLi256ELb0EvE4sortIPKdPdPKlPlEEvT_S9_T0_T1_SC_T2_bjjjjRNS5_12storage_typeE
	.type	_ZN7rocprim17ROCPRIM_400000_NS6detail26segmented_warp_sort_helperINS1_20WarpSortHelperConfigILj8ELj4ELj256EEEdlLi256ELb0EvE4sortIPKdPdPKlPlEEvT_S9_T0_T1_SC_T2_bjjjjRNS5_12storage_typeE,@function
_ZN7rocprim17ROCPRIM_400000_NS6detail26segmented_warp_sort_helperINS1_20WarpSortHelperConfigILj8ELj4ELj256EEEdlLi256ELb0EvE4sortIPKdPdPKlPlEEvT_S9_T0_T1_SC_T2_bjjjjRNS5_12storage_typeE: ; @_ZN7rocprim17ROCPRIM_400000_NS6detail26segmented_warp_sort_helperINS1_20WarpSortHelperConfigILj8ELj4ELj256EEEdlLi256ELb0EvE4sortIPKdPdPKlPlEEvT_S9_T0_T1_SC_T2_bjjjjRNS5_12storage_typeE
; %bb.0:
	s_waitcnt vmcnt(0) expcnt(0) lgkmcnt(0)
	s_or_saveexec_b64 s[4:5], -1
	buffer_store_dword v40, off, s[0:3], s32 ; 4-byte Folded Spill
	s_mov_b64 exec, s[4:5]
	v_writelane_b32 v40, s30, 0
	v_writelane_b32 v40, s31, 1
	v_mov_b32_e32 v18, v13
	v_mbcnt_lo_u32_b32 v13, -1, 0
	v_and_b32_e32 v12, 1, v12
	v_mov_b32_e32 v19, 0
	v_mbcnt_hi_u32_b32 v13, -1, v13
	v_cmp_eq_u32_e32 vcc, 1, v12
	v_lshlrev_b64 v[96:97], 3, v[18:19]
	v_lshlrev_b32_e32 v99, 2, v13
	s_xor_b64 s[6:7], vcc, -1
	v_add_co_u32_e32 v0, vcc, v0, v96
	v_and_b32_e32 v100, 28, v99
	v_addc_co_u32_e32 v1, vcc, v1, v97, vcc
	v_lshlrev_b32_e32 v98, 3, v100
	v_sub_u32_e32 v12, v14, v18
	v_add_co_u32_e32 v0, vcc, v0, v98
	s_mov_b32 s20, -1
	v_addc_co_u32_e32 v1, vcc, 0, v1, vcc
	v_cmp_lt_u32_e64 s[4:5], v100, v12
	s_mov_b64 s[16:17], 0
                                        ; implicit-def: $vgpr18_vgpr19_vgpr20_vgpr21_vgpr22_vgpr23_vgpr24_vgpr25
	s_and_saveexec_b64 s[10:11], s[6:7]
	s_xor_b64 s[18:19], exec, s[10:11]
	s_cbranch_execnz .LBB1241_5
; %bb.1:
	s_andn2_saveexec_b64 s[18:19], s[18:19]
	s_cbranch_execnz .LBB1241_112
.LBB1241_2:
	s_or_b64 exec, exec, s[18:19]
	s_and_saveexec_b64 s[4:5], s[16:17]
	s_cbranch_execz .LBB1241_4
.LBB1241_3:
	v_add_co_u32_e32 v0, vcc, v8, v96
	v_addc_co_u32_e32 v1, vcc, v9, v97, vcc
	v_add_co_u32_e32 v0, vcc, v0, v98
	v_addc_co_u32_e32 v1, vcc, 0, v1, vcc
	s_waitcnt vmcnt(0)
	flat_store_dwordx2 v[0:1], v[24:25] offset:24
.LBB1241_4:
	s_or_b64 exec, exec, s[4:5]
	v_readlane_b32 s30, v40, 0
	v_readlane_b32 s31, v40, 1
	s_or_saveexec_b64 s[4:5], -1
	buffer_load_dword v40, off, s[0:3], s32 ; 4-byte Folded Reload
	s_mov_b64 exec, s[4:5]
	s_waitcnt vmcnt(0) lgkmcnt(0)
	s_setpc_b64 s[30:31]
.LBB1241_5:
	s_brev_b32 s21, -2
	v_pk_mov_b32 v[80:81], s[20:21], s[20:21] op_sel:[0,1]
	s_and_saveexec_b64 s[6:7], s[4:5]
	s_cbranch_execz .LBB1241_7
; %bb.6:
	flat_load_dwordx2 v[80:81], v[0:1]
.LBB1241_7:
	s_or_b64 exec, exec, s[6:7]
	v_or_b32_e32 v4, 1, v100
	v_cmp_lt_u32_e64 s[6:7], v4, v12
	v_pk_mov_b32 v[82:83], s[20:21], s[20:21] op_sel:[0,1]
	s_and_saveexec_b64 s[10:11], s[6:7]
	s_cbranch_execz .LBB1241_9
; %bb.8:
	flat_load_dwordx2 v[82:83], v[0:1] offset:8
.LBB1241_9:
	s_or_b64 exec, exec, s[10:11]
	v_or_b32_e32 v4, 2, v100
	v_cmp_lt_u32_e64 s[10:11], v4, v12
	v_pk_mov_b32 v[10:11], s[20:21], s[20:21] op_sel:[0,1]
	s_and_saveexec_b64 s[14:15], s[10:11]
	s_cbranch_execz .LBB1241_11
; %bb.10:
	flat_load_dwordx2 v[10:11], v[0:1] offset:16
.LBB1241_11:
	s_or_b64 exec, exec, s[14:15]
	v_or_b32_e32 v4, 3, v100
	v_cmp_lt_u32_e64 s[14:15], v4, v12
	v_pk_mov_b32 v[12:13], s[20:21], s[20:21] op_sel:[0,1]
	s_and_saveexec_b64 s[16:17], s[14:15]
	s_cbranch_execz .LBB1241_13
; %bb.12:
	flat_load_dwordx2 v[12:13], v[0:1] offset:24
.LBB1241_13:
	s_or_b64 exec, exec, s[16:17]
	v_add_co_u32_e32 v0, vcc, v6, v96
	v_addc_co_u32_e32 v1, vcc, v7, v97, vcc
	v_add_co_u32_e32 v0, vcc, v0, v98
	v_addc_co_u32_e32 v1, vcc, 0, v1, vcc
	; wave barrier
                                        ; implicit-def: $vgpr18_vgpr19_vgpr20_vgpr21_vgpr22_vgpr23_vgpr24_vgpr25
	s_and_saveexec_b64 s[16:17], s[4:5]
	s_cbranch_execnz .LBB1241_219
; %bb.14:
	s_or_b64 exec, exec, s[16:17]
	s_and_saveexec_b64 s[16:17], s[6:7]
	s_cbranch_execnz .LBB1241_220
.LBB1241_15:
	s_or_b64 exec, exec, s[16:17]
	s_and_saveexec_b64 s[16:17], s[10:11]
	s_cbranch_execnz .LBB1241_221
.LBB1241_16:
	s_or_b64 exec, exec, s[16:17]
	s_and_saveexec_b64 s[16:17], s[14:15]
	s_cbranch_execz .LBB1241_18
.LBB1241_17:
	flat_load_dwordx2 v[24:25], v[0:1] offset:24
.LBB1241_18:
	s_or_b64 exec, exec, s[16:17]
	; wave barrier
	s_load_dwordx2 s[16:17], s[8:9], 0x0
	v_mov_b32_e32 v0, 0
	v_bfe_u32 v5, v31, 20, 10
	v_and_b32_e32 v6, 0x3ff, v31
	s_waitcnt lgkmcnt(0)
	s_cmp_lt_u32 s12, s16
	s_cselect_b32 s20, 12, 18
	s_cmp_lt_u32 s13, s17
	s_cselect_b32 s16, 14, 20
	s_add_u32 s16, s8, s16
	s_addc_u32 s17, s9, 0
	s_add_u32 s20, s8, s20
	s_addc_u32 s21, s9, 0
	global_load_ushort v1, v0, s[16:17]
	global_load_ushort v4, v0, s[20:21]
	v_bfe_u32 v0, v31, 10, 10
	s_movk_i32 s16, 0x400
	s_waitcnt vmcnt(0)
	v_mad_u32_u24 v0, v5, v1, v0
	v_mul_lo_u32 v0, v0, v4
	v_add_lshl_u32 v14, v0, v6, 2
	v_cmp_gt_u32_e32 vcc, s16, v14
	s_and_saveexec_b64 s[20:21], vcc
	s_cbranch_execz .LBB1241_30
; %bb.19:
	v_add_f64 v[0:1], v[80:81], 0
	v_add_f64 v[4:5], v[82:83], 0
	v_ashrrev_i32_e32 v6, 31, v1
	v_or_b32_e32 v7, 0x80000000, v6
	v_xor_b32_e32 v0, v6, v0
	v_ashrrev_i32_e32 v6, 31, v5
	v_xor_b32_e32 v1, v7, v1
	v_or_b32_e32 v7, 0x80000000, v6
	v_xor_b32_e32 v5, v7, v5
	v_xor_b32_e32 v4, v6, v4
	v_add_f64 v[6:7], v[10:11], 0
	v_cmp_gt_u64_e32 vcc, v[0:1], v[4:5]
	v_ashrrev_i32_e32 v17, 31, v7
	v_cndmask_b32_e32 v5, v21, v19, vcc
	v_cndmask_b32_e32 v4, v20, v18, vcc
	;; [unrolled: 1-line block ×4, first 2 shown]
	v_add_f64 v[18:19], v[12:13], 0
	v_or_b32_e32 v20, 0x80000000, v17
	v_xor_b32_e32 v21, v20, v7
	v_xor_b32_e32 v20, v17, v6
	v_ashrrev_i32_e32 v6, 31, v19
	v_or_b32_e32 v7, 0x80000000, v6
	v_xor_b32_e32 v19, v7, v19
	v_xor_b32_e32 v18, v6, v18
	v_cmp_gt_u64_e64 s[16:17], v[20:21], v[18:19]
	v_pk_mov_b32 v[6:7], v[10:11], v[10:11] op_sel:[0,1]
	s_and_saveexec_b64 s[22:23], s[16:17]
; %bb.20:
	v_pk_mov_b32 v[26:27], v[22:23], v[22:23] op_sel:[0,1]
	v_pk_mov_b32 v[6:7], v[12:13], v[12:13] op_sel:[0,1]
	v_pk_mov_b32 v[12:13], v[10:11], v[10:11] op_sel:[0,1]
	v_pk_mov_b32 v[20:21], v[18:19], v[18:19] op_sel:[0,1]
	v_pk_mov_b32 v[22:23], v[24:25], v[24:25] op_sel:[0,1]
	v_pk_mov_b32 v[24:25], v[26:27], v[26:27] op_sel:[0,1]
; %bb.21:
	s_or_b64 exec, exec, s[22:23]
	v_cndmask_b32_e32 v85, v83, v81, vcc
	v_cndmask_b32_e32 v84, v82, v80, vcc
	v_add_f64 v[10:11], v[84:85], 0
	v_ashrrev_i32_e32 v17, 31, v11
	v_or_b32_e32 v18, 0x80000000, v17
	v_xor_b32_e32 v19, v18, v11
	v_xor_b32_e32 v18, v17, v10
	v_cmp_le_u64_e64 s[16:17], v[18:19], v[20:21]
                                        ; implicit-def: $vgpr10_vgpr11
	s_and_saveexec_b64 s[22:23], s[16:17]
	s_xor_b64 s[16:17], exec, s[22:23]
                                        ; implicit-def: $vgpr32_vgpr33_vgpr34_vgpr35_vgpr36_vgpr37_vgpr38_vgpr39
                                        ; implicit-def: $vgpr48_vgpr49_vgpr50_vgpr51_vgpr52_vgpr53_vgpr54_vgpr55
                                        ; implicit-def: $vgpr26_vgpr27_vgpr28_vgpr29_vgpr30_vgpr31_vgpr32_vgpr33
                                        ; implicit-def: $vgpr64_vgpr65_vgpr66_vgpr67_vgpr68_vgpr69_vgpr70_vgpr71
; %bb.22:
	v_add_f64 v[10:11], v[6:7], 0
	v_ashrrev_i32_e32 v17, 31, v11
	v_or_b32_e32 v20, 0x80000000, v17
	v_mov_b32_e32 v28, v4
	v_mov_b32_e32 v35, v5
	;; [unrolled: 1-line block ×6, first 2 shown]
	v_xor_b32_e32 v11, v20, v11
	v_xor_b32_e32 v10, v17, v10
                                        ; implicit-def: $vgpr22_vgpr23
                                        ; implicit-def: $vgpr20_vgpr21
; %bb.23:
	s_or_saveexec_b64 s[16:17], s[16:17]
	v_pk_mov_b32 v[26:27], v[84:85], v[84:85] op_sel:[0,1]
	s_xor_b64 exec, exec, s[16:17]
; %bb.24:
	v_mov_b32_e32 v28, v22
	v_mov_b32_e32 v35, v23
	;; [unrolled: 1-line block ×4, first 2 shown]
	v_pk_mov_b32 v[10:11], v[18:19], v[18:19] op_sel:[0,1]
	v_pk_mov_b32 v[26:27], v[6:7], v[6:7] op_sel:[0,1]
	;; [unrolled: 1-line block ×4, first 2 shown]
; %bb.25:
	s_or_b64 exec, exec, s[16:17]
	v_cndmask_b32_e32 v31, v81, v83, vcc
	v_cndmask_b32_e32 v30, v80, v82, vcc
	v_add_f64 v[20:21], v[30:31], 0
	v_ashrrev_i32_e32 v17, 31, v21
	v_or_b32_e32 v22, 0x80000000, v17
	v_xor_b32_e32 v21, v22, v21
	v_xor_b32_e32 v20, v17, v20
	v_cmp_gt_u64_e32 vcc, v[20:21], v[18:19]
	v_cndmask_b32_e32 v21, v35, v1, vcc
	v_cndmask_b32_e32 v19, v1, v35, vcc
	v_cndmask_b32_e32 v20, v28, v0, vcc
	v_cndmask_b32_e32 v18, v0, v28, vcc
	v_add_f64 v[0:1], v[12:13], 0
	v_mov_b32_e32 v22, v4
	v_ashrrev_i32_e32 v4, 31, v1
	v_mov_b32_e32 v23, v5
	v_or_b32_e32 v5, 0x80000000, v4
	v_xor_b32_e32 v5, v5, v1
	v_xor_b32_e32 v4, v4, v0
	v_mov_b32_e32 v24, v54
	v_mov_b32_e32 v25, v71
	v_cmp_gt_u64_e64 s[16:17], v[10:11], v[4:5]
	v_pk_mov_b32 v[0:1], v[6:7], v[6:7] op_sel:[0,1]
	s_and_saveexec_b64 s[22:23], s[16:17]
	s_cbranch_execz .LBB1241_27
; %bb.26:
	v_mov_b32_e32 v32, v18
	v_mov_b32_e32 v33, v19
	v_mov_b32_e32 v34, v20
	v_mov_b32_e32 v35, v21
	v_mov_b32_e32 v36, v24
	v_mov_b32_e32 v37, v25
	v_mov_b32_e32 v38, v22
	v_mov_b32_e32 v39, v23
	v_pk_mov_b32 v[18:19], v[32:33], v[32:33] op_sel:[0,1]
	v_pk_mov_b32 v[0:1], v[12:13], v[12:13] op_sel:[0,1]
	;; [unrolled: 1-line block ×7, first 2 shown]
.LBB1241_27:
	s_or_b64 exec, exec, s[22:23]
	v_cndmask_b32_e32 v83, v27, v31, vcc
	v_cndmask_b32_e32 v82, v26, v30, vcc
	v_add_f64 v[4:5], v[82:83], 0
	v_ashrrev_i32_e32 v6, 31, v5
	v_or_b32_e32 v7, 0x80000000, v6
	v_xor_b32_e32 v5, v7, v5
	v_xor_b32_e32 v4, v6, v4
	v_cndmask_b32_e32 v81, v31, v27, vcc
	v_cndmask_b32_e32 v80, v30, v26, vcc
	v_cmp_gt_u64_e32 vcc, v[4:5], v[10:11]
	v_pk_mov_b32 v[10:11], v[0:1], v[0:1] op_sel:[0,1]
	s_and_saveexec_b64 s[16:17], vcc
	s_cbranch_execz .LBB1241_29
; %bb.28:
	v_mov_b32_e32 v26, v18
	v_mov_b32_e32 v27, v19
	;; [unrolled: 1-line block ×8, first 2 shown]
	v_pk_mov_b32 v[18:19], v[26:27], v[26:27] op_sel:[0,1]
	v_pk_mov_b32 v[20:21], v[28:29], v[28:29] op_sel:[0,1]
	;; [unrolled: 1-line block ×6, first 2 shown]
.LBB1241_29:
	s_or_b64 exec, exec, s[16:17]
.LBB1241_30:
	s_or_b64 exec, exec, s[20:21]
	v_and_b32_e32 v6, 0xffffff00, v14
	v_mov_b32_e32 v7, 0
	v_lshlrev_b64 v[0:1], 3, v[6:7]
	v_add_co_u32_e32 v34, vcc, v15, v0
	s_movk_i32 s16, 0x400
	v_addc_co_u32_e32 v35, vcc, v16, v1, vcc
	v_sub_u32_e64 v36, s16, v6 clamp
	v_add_co_u32_e32 v32, vcc, 0x2000, v34
	v_or_b32_e32 v6, 4, v99
	v_addc_co_u32_e32 v33, vcc, 0, v35, vcc
	v_lshlrev_b32_e32 v0, 3, v99
	v_min_u32_e32 v37, v36, v6
	v_add_co_u32_e32 v4, vcc, v34, v0
	v_add_u32_e32 v6, 4, v37
	v_addc_co_u32_e32 v5, vcc, 0, v35, vcc
	v_and_b32_e32 v14, 0x1f8, v99
	v_min_u32_e32 v38, v36, v6
	v_and_b32_e32 v6, 4, v99
	v_add_co_u32_e32 v0, vcc, v32, v0
	v_min_u32_e32 v15, v36, v6
	v_sub_u32_e32 v6, v37, v14
	v_sub_u32_e32 v16, v38, v37
	v_addc_co_u32_e32 v1, vcc, 0, v33, vcc
	v_sub_u32_e64 v16, v15, v16 clamp
	v_min_u32_e32 v17, v15, v6
	v_cmp_lt_u32_e32 vcc, v16, v17
	flat_store_dwordx4 v[4:5], v[80:83]
	flat_store_dwordx4 v[0:1], v[18:21]
	flat_store_dwordx4 v[4:5], v[10:13] offset:16
	flat_store_dwordx4 v[0:1], v[22:25] offset:16
	; wave barrier
	s_and_saveexec_b64 s[16:17], vcc
	s_cbranch_execz .LBB1241_34
; %bb.31:
	v_lshlrev_b32_e32 v6, 3, v14
	v_add_co_u32_e32 v26, vcc, v34, v6
	v_addc_co_u32_e32 v27, vcc, 0, v35, vcc
	v_lshlrev_b32_e32 v6, 3, v37
	v_add_co_u32_e32 v28, vcc, v34, v6
	v_addc_co_u32_e32 v29, vcc, 0, v35, vcc
	s_mov_b64 s[20:21], 0
.LBB1241_32:                            ; =>This Inner Loop Header: Depth=1
	v_add_u32_e32 v6, v17, v16
	v_lshrrev_b32_e32 v6, 1, v6
	v_lshlrev_b64 v[48:49], 3, v[6:7]
	v_mov_b32_e32 v31, v7
	v_xad_u32 v30, v6, -1, v15
	v_add_co_u32_e32 v48, vcc, v26, v48
	v_addc_co_u32_e32 v49, vcc, v27, v49, vcc
	v_lshlrev_b64 v[30:31], 3, v[30:31]
	v_add_co_u32_e32 v30, vcc, v28, v30
	v_addc_co_u32_e32 v31, vcc, v29, v31, vcc
	flat_load_dwordx2 v[50:51], v[48:49]
	flat_load_dwordx2 v[52:53], v[30:31]
	v_add_u32_e32 v39, 1, v6
	s_waitcnt vmcnt(0) lgkmcnt(0)
	v_add_f64 v[30:31], v[50:51], 0
	v_add_f64 v[48:49], v[52:53], 0
	v_ashrrev_i32_e32 v50, 31, v31
	v_or_b32_e32 v51, 0x80000000, v50
	v_xor_b32_e32 v30, v50, v30
	v_ashrrev_i32_e32 v50, 31, v49
	v_xor_b32_e32 v31, v51, v31
	v_or_b32_e32 v51, 0x80000000, v50
	v_xor_b32_e32 v48, v50, v48
	v_xor_b32_e32 v49, v51, v49
	v_cmp_gt_u64_e32 vcc, v[30:31], v[48:49]
	v_cndmask_b32_e32 v17, v17, v6, vcc
	v_cndmask_b32_e32 v16, v39, v16, vcc
	v_cmp_ge_u32_e32 vcc, v16, v17
	s_or_b64 s[20:21], vcc, s[20:21]
	s_andn2_b64 exec, exec, s[20:21]
	s_cbranch_execnz .LBB1241_32
; %bb.33:
	s_or_b64 exec, exec, s[20:21]
.LBB1241_34:
	s_or_b64 exec, exec, s[16:17]
	v_add_u32_e32 v6, v37, v15
	v_add_u32_e32 v14, v16, v14
	v_sub_u32_e32 v16, v6, v16
	v_cmp_le_u32_e32 vcc, v14, v37
	v_cmp_le_u32_e64 s[16:17], v16, v38
	s_or_b64 s[16:17], vcc, s[16:17]
	s_and_saveexec_b64 s[20:21], s[16:17]
	s_cbranch_execz .LBB1241_54
; %bb.35:
	v_cmp_ge_u32_e32 vcc, v14, v37
	v_cmp_lt_u32_e64 s[16:17], v14, v37
                                        ; implicit-def: $vgpr6_vgpr7
	s_and_saveexec_b64 s[22:23], s[16:17]
	s_cbranch_execz .LBB1241_37
; %bb.36:
	v_mov_b32_e32 v15, 0
	v_lshlrev_b64 v[6:7], 3, v[14:15]
	v_add_co_u32_e64 v6, s[16:17], v34, v6
	v_addc_co_u32_e64 v7, s[16:17], v35, v7, s[16:17]
	flat_load_dwordx2 v[6:7], v[6:7]
.LBB1241_37:
	s_or_b64 exec, exec, s[22:23]
	v_cmp_ge_u32_e64 s[22:23], v16, v38
	v_cmp_lt_u32_e64 s[16:17], v16, v38
                                        ; implicit-def: $vgpr12_vgpr13
	s_and_saveexec_b64 s[24:25], s[16:17]
	s_cbranch_execz .LBB1241_39
; %bb.38:
	v_mov_b32_e32 v17, 0
	v_lshlrev_b64 v[10:11], 3, v[16:17]
	v_add_co_u32_e64 v10, s[16:17], v34, v10
	v_addc_co_u32_e64 v11, s[16:17], v35, v11, s[16:17]
	flat_load_dwordx2 v[12:13], v[10:11]
.LBB1241_39:
	s_or_b64 exec, exec, s[24:25]
	s_or_b64 s[24:25], vcc, s[22:23]
	s_mov_b64 s[16:17], -1
	s_xor_b64 s[26:27], s[24:25], -1
	s_and_saveexec_b64 s[24:25], s[26:27]
	s_cbranch_execz .LBB1241_41
; %bb.40:
	s_waitcnt vmcnt(0) lgkmcnt(0)
	v_add_f64 v[10:11], v[6:7], 0
	v_add_f64 v[18:19], v[12:13], 0
	v_ashrrev_i32_e32 v15, 31, v11
	v_or_b32_e32 v17, 0x80000000, v15
	v_xor_b32_e32 v10, v15, v10
	v_ashrrev_i32_e32 v15, 31, v19
	v_xor_b32_e32 v11, v17, v11
	v_or_b32_e32 v17, 0x80000000, v15
	v_xor_b32_e32 v19, v17, v19
	v_xor_b32_e32 v18, v15, v18
	v_cmp_le_u64_e32 vcc, v[10:11], v[18:19]
	s_andn2_b64 s[22:23], s[22:23], exec
	s_and_b64 s[26:27], vcc, exec
	s_or_b64 s[22:23], s[22:23], s[26:27]
.LBB1241_41:
	s_or_b64 exec, exec, s[24:25]
	v_cndmask_b32_e64 v10, v16, v14, s[22:23]
	v_cndmask_b32_e64 v15, v38, v37, s[22:23]
	v_mov_b32_e32 v11, 0
	v_lshlrev_b64 v[18:19], 3, v[10:11]
	v_add_u32_e32 v17, 1, v10
	v_add_u32_e32 v10, -1, v15
	v_min_u32_e32 v10, v17, v10
	v_lshlrev_b64 v[20:21], 3, v[10:11]
	v_add_co_u32_e32 v20, vcc, v34, v20
	v_addc_co_u32_e32 v21, vcc, v35, v21, vcc
	v_add_co_u32_e32 v18, vcc, v32, v18
	flat_load_dwordx2 v[20:21], v[20:21]
	v_addc_co_u32_e32 v19, vcc, v33, v19, vcc
	flat_load_dwordx2 v[18:19], v[18:19]
	v_cndmask_b32_e64 v22, v17, v16, s[22:23]
	v_cndmask_b32_e64 v23, v14, v17, s[22:23]
	v_cmp_lt_u32_e32 vcc, v22, v38
	s_waitcnt vmcnt(0) lgkmcnt(0)
	v_cndmask_b32_e64 v15, v21, v13, s[22:23]
	v_cndmask_b32_e64 v14, v20, v12, s[22:23]
	;; [unrolled: 1-line block ×4, first 2 shown]
	s_and_saveexec_b64 s[24:25], vcc
	s_cbranch_execz .LBB1241_45
; %bb.42:
	v_cmp_lt_u32_e32 vcc, v23, v37
	s_mov_b64 s[26:27], 0
	s_and_saveexec_b64 s[16:17], vcc
	s_cbranch_execz .LBB1241_44
; %bb.43:
	v_add_f64 v[20:21], v[16:17], 0
	v_add_f64 v[24:25], v[14:15], 0
	v_ashrrev_i32_e32 v10, 31, v21
	v_or_b32_e32 v26, 0x80000000, v10
	v_xor_b32_e32 v20, v10, v20
	v_ashrrev_i32_e32 v10, 31, v25
	v_xor_b32_e32 v21, v26, v21
	v_or_b32_e32 v26, 0x80000000, v10
	v_xor_b32_e32 v25, v26, v25
	v_xor_b32_e32 v24, v10, v24
	v_cmp_le_u64_e32 vcc, v[20:21], v[24:25]
	s_and_b64 s[26:27], vcc, exec
.LBB1241_44:
	s_or_b64 exec, exec, s[16:17]
	s_orn2_b64 s[16:17], s[26:27], exec
.LBB1241_45:
	s_or_b64 exec, exec, s[24:25]
	v_cndmask_b32_e64 v10, v22, v23, s[16:17]
	v_cndmask_b32_e64 v24, v38, v37, s[16:17]
	v_lshlrev_b64 v[20:21], 3, v[10:11]
	v_add_u32_e32 v26, 1, v10
	v_add_u32_e32 v10, -1, v24
	v_min_u32_e32 v10, v26, v10
	v_lshlrev_b64 v[10:11], 3, v[10:11]
	v_add_co_u32_e32 v10, vcc, v34, v10
	v_addc_co_u32_e32 v11, vcc, v35, v11, vcc
	flat_load_dwordx2 v[24:25], v[10:11]
	v_add_co_u32_e32 v10, vcc, v32, v20
	v_addc_co_u32_e32 v11, vcc, v33, v21, vcc
	flat_load_dwordx2 v[20:21], v[10:11]
	v_cndmask_b32_e64 v28, v26, v22, s[16:17]
	s_mov_b64 s[24:25], -1
	v_cndmask_b32_e64 v29, v23, v26, s[16:17]
	v_cmp_lt_u32_e32 vcc, v28, v38
	s_mov_b64 s[26:27], -1
	s_waitcnt vmcnt(0) lgkmcnt(0)
	v_cndmask_b32_e64 v11, v25, v15, s[16:17]
	v_cndmask_b32_e64 v10, v24, v14, s[16:17]
	;; [unrolled: 1-line block ×4, first 2 shown]
	s_and_saveexec_b64 s[28:29], vcc
	s_cbranch_execz .LBB1241_49
; %bb.46:
	v_cmp_lt_u32_e32 vcc, v29, v37
	s_mov_b64 s[30:31], 0
	s_and_saveexec_b64 s[26:27], vcc
	s_cbranch_execz .LBB1241_48
; %bb.47:
	v_add_f64 v[22:23], v[26:27], 0
	v_add_f64 v[24:25], v[10:11], 0
	v_ashrrev_i32_e32 v30, 31, v23
	v_or_b32_e32 v31, 0x80000000, v30
	v_xor_b32_e32 v22, v30, v22
	v_ashrrev_i32_e32 v30, 31, v25
	v_xor_b32_e32 v23, v31, v23
	v_or_b32_e32 v31, 0x80000000, v30
	v_xor_b32_e32 v25, v31, v25
	v_xor_b32_e32 v24, v30, v24
	v_cmp_le_u64_e32 vcc, v[22:23], v[24:25]
	s_and_b64 s[30:31], vcc, exec
.LBB1241_48:
	s_or_b64 exec, exec, s[26:27]
	s_orn2_b64 s[26:27], s[30:31], exec
.LBB1241_49:
	s_or_b64 exec, exec, s[28:29]
	v_cndmask_b32_e64 v24, v28, v29, s[26:27]
	v_cndmask_b32_e64 v30, v38, v37, s[26:27]
	v_mov_b32_e32 v25, 0
	v_lshlrev_b64 v[22:23], 3, v[24:25]
	v_add_u32_e32 v39, 1, v24
	v_add_u32_e32 v24, -1, v30
	v_min_u32_e32 v24, v39, v24
	v_lshlrev_b64 v[30:31], 3, v[24:25]
	v_add_co_u32_e32 v30, vcc, v34, v30
	v_addc_co_u32_e32 v31, vcc, v35, v31, vcc
	v_add_co_u32_e32 v22, vcc, v32, v22
	flat_load_dwordx2 v[30:31], v[30:31]
	v_addc_co_u32_e32 v23, vcc, v33, v23, vcc
	flat_load_dwordx2 v[22:23], v[22:23]
	v_cndmask_b32_e64 v24, v39, v28, s[26:27]
	v_cndmask_b32_e64 v39, v29, v39, s[26:27]
	v_cmp_lt_u32_e32 vcc, v24, v38
	s_waitcnt vmcnt(0) lgkmcnt(0)
	v_cndmask_b32_e64 v29, v31, v11, s[26:27]
	v_cndmask_b32_e64 v28, v30, v10, s[26:27]
	;; [unrolled: 1-line block ×4, first 2 shown]
	s_and_saveexec_b64 s[28:29], vcc
	s_cbranch_execz .LBB1241_53
; %bb.50:
	v_cmp_lt_u32_e32 vcc, v39, v37
	s_mov_b64 s[30:31], 0
	s_and_saveexec_b64 s[24:25], vcc
	s_cbranch_execz .LBB1241_52
; %bb.51:
	v_add_f64 v[48:49], v[30:31], 0
	v_add_f64 v[50:51], v[28:29], 0
	v_ashrrev_i32_e32 v37, 31, v49
	v_or_b32_e32 v38, 0x80000000, v37
	v_xor_b32_e32 v48, v37, v48
	v_ashrrev_i32_e32 v37, 31, v51
	v_xor_b32_e32 v49, v38, v49
	v_or_b32_e32 v38, 0x80000000, v37
	v_xor_b32_e32 v51, v38, v51
	v_xor_b32_e32 v50, v37, v50
	v_cmp_le_u64_e32 vcc, v[48:49], v[50:51]
	s_and_b64 s[30:31], vcc, exec
.LBB1241_52:
	s_or_b64 exec, exec, s[24:25]
	s_orn2_b64 s[24:25], s[30:31], exec
.LBB1241_53:
	s_or_b64 exec, exec, s[28:29]
	v_cndmask_b32_e64 v24, v24, v39, s[24:25]
	v_lshlrev_b64 v[24:25], 3, v[24:25]
	v_add_co_u32_e32 v24, vcc, v32, v24
	v_addc_co_u32_e32 v25, vcc, v33, v25, vcc
	flat_load_dwordx2 v[24:25], v[24:25]
	v_cndmask_b32_e64 v11, v11, v27, s[26:27]
	v_cndmask_b32_e64 v10, v10, v26, s[26:27]
	;; [unrolled: 1-line block ×8, first 2 shown]
.LBB1241_54:
	s_or_b64 exec, exec, s[20:21]
	v_and_b32_e32 v14, 0x1f0, v99
	v_or_b32_e32 v6, 8, v14
	v_min_u32_e32 v37, v36, v6
	v_add_u32_e32 v6, 8, v37
	v_min_u32_e32 v38, v36, v6
	v_and_b32_e32 v6, 12, v99
	v_min_u32_e32 v15, v36, v6
	v_sub_u32_e32 v6, v37, v14
	v_sub_u32_e32 v7, v38, v37
	v_sub_u32_e64 v16, v15, v7 clamp
	v_min_u32_e32 v17, v15, v6
	v_cmp_lt_u32_e32 vcc, v16, v17
	; wave barrier
	flat_store_dwordx4 v[4:5], v[80:83]
	flat_store_dwordx4 v[0:1], v[18:21]
	flat_store_dwordx4 v[4:5], v[10:13] offset:16
	s_waitcnt vmcnt(0) lgkmcnt(0)
	flat_store_dwordx4 v[0:1], v[22:25] offset:16
	; wave barrier
	s_and_saveexec_b64 s[16:17], vcc
	s_cbranch_execz .LBB1241_58
; %bb.55:
	v_lshlrev_b32_e32 v6, 3, v14
	v_add_co_u32_e32 v26, vcc, v34, v6
	v_addc_co_u32_e32 v27, vcc, 0, v35, vcc
	v_lshlrev_b32_e32 v6, 3, v37
	v_add_co_u32_e32 v28, vcc, v34, v6
	v_addc_co_u32_e32 v29, vcc, 0, v35, vcc
	s_mov_b64 s[20:21], 0
	v_mov_b32_e32 v7, 0
.LBB1241_56:                            ; =>This Inner Loop Header: Depth=1
	v_add_u32_e32 v6, v17, v16
	v_lshrrev_b32_e32 v6, 1, v6
	v_lshlrev_b64 v[48:49], 3, v[6:7]
	v_mov_b32_e32 v31, v7
	v_xad_u32 v30, v6, -1, v15
	v_add_co_u32_e32 v48, vcc, v26, v48
	v_addc_co_u32_e32 v49, vcc, v27, v49, vcc
	v_lshlrev_b64 v[30:31], 3, v[30:31]
	v_add_co_u32_e32 v30, vcc, v28, v30
	v_addc_co_u32_e32 v31, vcc, v29, v31, vcc
	flat_load_dwordx2 v[50:51], v[48:49]
	flat_load_dwordx2 v[52:53], v[30:31]
	v_add_u32_e32 v39, 1, v6
	s_waitcnt vmcnt(0) lgkmcnt(0)
	v_add_f64 v[30:31], v[50:51], 0
	v_add_f64 v[48:49], v[52:53], 0
	v_ashrrev_i32_e32 v50, 31, v31
	v_or_b32_e32 v51, 0x80000000, v50
	v_xor_b32_e32 v30, v50, v30
	v_ashrrev_i32_e32 v50, 31, v49
	v_xor_b32_e32 v31, v51, v31
	v_or_b32_e32 v51, 0x80000000, v50
	v_xor_b32_e32 v48, v50, v48
	v_xor_b32_e32 v49, v51, v49
	v_cmp_gt_u64_e32 vcc, v[30:31], v[48:49]
	v_cndmask_b32_e32 v17, v17, v6, vcc
	v_cndmask_b32_e32 v16, v39, v16, vcc
	v_cmp_ge_u32_e32 vcc, v16, v17
	s_or_b64 s[20:21], vcc, s[20:21]
	s_andn2_b64 exec, exec, s[20:21]
	s_cbranch_execnz .LBB1241_56
; %bb.57:
	s_or_b64 exec, exec, s[20:21]
.LBB1241_58:
	s_or_b64 exec, exec, s[16:17]
	v_add_u32_e32 v6, v37, v15
	v_add_u32_e32 v14, v16, v14
	v_sub_u32_e32 v16, v6, v16
	v_cmp_le_u32_e32 vcc, v14, v37
	v_cmp_le_u32_e64 s[16:17], v16, v38
	s_or_b64 s[16:17], vcc, s[16:17]
	s_and_saveexec_b64 s[20:21], s[16:17]
	s_cbranch_execz .LBB1241_78
; %bb.59:
	v_cmp_ge_u32_e32 vcc, v14, v37
	v_cmp_lt_u32_e64 s[16:17], v14, v37
                                        ; implicit-def: $vgpr6_vgpr7
	s_and_saveexec_b64 s[22:23], s[16:17]
	s_cbranch_execz .LBB1241_61
; %bb.60:
	v_mov_b32_e32 v15, 0
	v_lshlrev_b64 v[6:7], 3, v[14:15]
	v_add_co_u32_e64 v6, s[16:17], v34, v6
	v_addc_co_u32_e64 v7, s[16:17], v35, v7, s[16:17]
	flat_load_dwordx2 v[6:7], v[6:7]
.LBB1241_61:
	s_or_b64 exec, exec, s[22:23]
	v_cmp_ge_u32_e64 s[22:23], v16, v38
	v_cmp_lt_u32_e64 s[16:17], v16, v38
                                        ; implicit-def: $vgpr12_vgpr13
	s_and_saveexec_b64 s[24:25], s[16:17]
	s_cbranch_execz .LBB1241_63
; %bb.62:
	v_mov_b32_e32 v17, 0
	v_lshlrev_b64 v[10:11], 3, v[16:17]
	v_add_co_u32_e64 v10, s[16:17], v34, v10
	v_addc_co_u32_e64 v11, s[16:17], v35, v11, s[16:17]
	flat_load_dwordx2 v[12:13], v[10:11]
.LBB1241_63:
	s_or_b64 exec, exec, s[24:25]
	s_or_b64 s[24:25], vcc, s[22:23]
	s_mov_b64 s[16:17], -1
	s_xor_b64 s[26:27], s[24:25], -1
	s_and_saveexec_b64 s[24:25], s[26:27]
	s_cbranch_execz .LBB1241_65
; %bb.64:
	s_waitcnt vmcnt(0) lgkmcnt(0)
	v_add_f64 v[10:11], v[6:7], 0
	v_add_f64 v[18:19], v[12:13], 0
	v_ashrrev_i32_e32 v15, 31, v11
	v_or_b32_e32 v17, 0x80000000, v15
	v_xor_b32_e32 v10, v15, v10
	v_ashrrev_i32_e32 v15, 31, v19
	v_xor_b32_e32 v11, v17, v11
	v_or_b32_e32 v17, 0x80000000, v15
	v_xor_b32_e32 v19, v17, v19
	v_xor_b32_e32 v18, v15, v18
	v_cmp_le_u64_e32 vcc, v[10:11], v[18:19]
	s_andn2_b64 s[22:23], s[22:23], exec
	s_and_b64 s[26:27], vcc, exec
	s_or_b64 s[22:23], s[22:23], s[26:27]
.LBB1241_65:
	s_or_b64 exec, exec, s[24:25]
	v_cndmask_b32_e64 v10, v16, v14, s[22:23]
	v_cndmask_b32_e64 v15, v38, v37, s[22:23]
	v_mov_b32_e32 v11, 0
	v_lshlrev_b64 v[18:19], 3, v[10:11]
	v_add_u32_e32 v17, 1, v10
	v_add_u32_e32 v10, -1, v15
	v_min_u32_e32 v10, v17, v10
	v_lshlrev_b64 v[20:21], 3, v[10:11]
	v_add_co_u32_e32 v20, vcc, v34, v20
	v_addc_co_u32_e32 v21, vcc, v35, v21, vcc
	v_add_co_u32_e32 v18, vcc, v32, v18
	flat_load_dwordx2 v[20:21], v[20:21]
	v_addc_co_u32_e32 v19, vcc, v33, v19, vcc
	flat_load_dwordx2 v[18:19], v[18:19]
	v_cndmask_b32_e64 v22, v17, v16, s[22:23]
	v_cndmask_b32_e64 v23, v14, v17, s[22:23]
	v_cmp_lt_u32_e32 vcc, v22, v38
	s_waitcnt vmcnt(0) lgkmcnt(0)
	v_cndmask_b32_e64 v15, v21, v13, s[22:23]
	v_cndmask_b32_e64 v14, v20, v12, s[22:23]
	;; [unrolled: 1-line block ×4, first 2 shown]
	s_and_saveexec_b64 s[24:25], vcc
	s_cbranch_execz .LBB1241_69
; %bb.66:
	v_cmp_lt_u32_e32 vcc, v23, v37
	s_mov_b64 s[26:27], 0
	s_and_saveexec_b64 s[16:17], vcc
	s_cbranch_execz .LBB1241_68
; %bb.67:
	v_add_f64 v[20:21], v[16:17], 0
	v_add_f64 v[24:25], v[14:15], 0
	v_ashrrev_i32_e32 v10, 31, v21
	v_or_b32_e32 v26, 0x80000000, v10
	v_xor_b32_e32 v20, v10, v20
	v_ashrrev_i32_e32 v10, 31, v25
	v_xor_b32_e32 v21, v26, v21
	v_or_b32_e32 v26, 0x80000000, v10
	v_xor_b32_e32 v25, v26, v25
	v_xor_b32_e32 v24, v10, v24
	v_cmp_le_u64_e32 vcc, v[20:21], v[24:25]
	s_and_b64 s[26:27], vcc, exec
.LBB1241_68:
	s_or_b64 exec, exec, s[16:17]
	s_orn2_b64 s[16:17], s[26:27], exec
.LBB1241_69:
	s_or_b64 exec, exec, s[24:25]
	v_cndmask_b32_e64 v10, v22, v23, s[16:17]
	v_cndmask_b32_e64 v24, v38, v37, s[16:17]
	v_lshlrev_b64 v[20:21], 3, v[10:11]
	v_add_u32_e32 v26, 1, v10
	v_add_u32_e32 v10, -1, v24
	v_min_u32_e32 v10, v26, v10
	v_lshlrev_b64 v[10:11], 3, v[10:11]
	v_add_co_u32_e32 v10, vcc, v34, v10
	v_addc_co_u32_e32 v11, vcc, v35, v11, vcc
	flat_load_dwordx2 v[24:25], v[10:11]
	v_add_co_u32_e32 v10, vcc, v32, v20
	v_addc_co_u32_e32 v11, vcc, v33, v21, vcc
	flat_load_dwordx2 v[20:21], v[10:11]
	v_cndmask_b32_e64 v28, v26, v22, s[16:17]
	s_mov_b64 s[24:25], -1
	v_cndmask_b32_e64 v29, v23, v26, s[16:17]
	v_cmp_lt_u32_e32 vcc, v28, v38
	s_mov_b64 s[26:27], -1
	s_waitcnt vmcnt(0) lgkmcnt(0)
	v_cndmask_b32_e64 v11, v25, v15, s[16:17]
	v_cndmask_b32_e64 v10, v24, v14, s[16:17]
	;; [unrolled: 1-line block ×4, first 2 shown]
	s_and_saveexec_b64 s[28:29], vcc
	s_cbranch_execz .LBB1241_73
; %bb.70:
	v_cmp_lt_u32_e32 vcc, v29, v37
	s_mov_b64 s[30:31], 0
	s_and_saveexec_b64 s[26:27], vcc
	s_cbranch_execz .LBB1241_72
; %bb.71:
	v_add_f64 v[22:23], v[26:27], 0
	v_add_f64 v[24:25], v[10:11], 0
	v_ashrrev_i32_e32 v30, 31, v23
	v_or_b32_e32 v31, 0x80000000, v30
	v_xor_b32_e32 v22, v30, v22
	v_ashrrev_i32_e32 v30, 31, v25
	v_xor_b32_e32 v23, v31, v23
	v_or_b32_e32 v31, 0x80000000, v30
	v_xor_b32_e32 v25, v31, v25
	v_xor_b32_e32 v24, v30, v24
	v_cmp_le_u64_e32 vcc, v[22:23], v[24:25]
	s_and_b64 s[30:31], vcc, exec
.LBB1241_72:
	s_or_b64 exec, exec, s[26:27]
	s_orn2_b64 s[26:27], s[30:31], exec
.LBB1241_73:
	s_or_b64 exec, exec, s[28:29]
	v_cndmask_b32_e64 v24, v28, v29, s[26:27]
	v_cndmask_b32_e64 v30, v38, v37, s[26:27]
	v_mov_b32_e32 v25, 0
	v_lshlrev_b64 v[22:23], 3, v[24:25]
	v_add_u32_e32 v39, 1, v24
	v_add_u32_e32 v24, -1, v30
	v_min_u32_e32 v24, v39, v24
	v_lshlrev_b64 v[30:31], 3, v[24:25]
	v_add_co_u32_e32 v30, vcc, v34, v30
	v_addc_co_u32_e32 v31, vcc, v35, v31, vcc
	v_add_co_u32_e32 v22, vcc, v32, v22
	flat_load_dwordx2 v[30:31], v[30:31]
	v_addc_co_u32_e32 v23, vcc, v33, v23, vcc
	flat_load_dwordx2 v[22:23], v[22:23]
	v_cndmask_b32_e64 v24, v39, v28, s[26:27]
	v_cndmask_b32_e64 v39, v29, v39, s[26:27]
	v_cmp_lt_u32_e32 vcc, v24, v38
	s_waitcnt vmcnt(0) lgkmcnt(0)
	v_cndmask_b32_e64 v29, v31, v11, s[26:27]
	v_cndmask_b32_e64 v28, v30, v10, s[26:27]
	;; [unrolled: 1-line block ×4, first 2 shown]
	s_and_saveexec_b64 s[28:29], vcc
	s_cbranch_execz .LBB1241_77
; %bb.74:
	v_cmp_lt_u32_e32 vcc, v39, v37
	s_mov_b64 s[30:31], 0
	s_and_saveexec_b64 s[24:25], vcc
	s_cbranch_execz .LBB1241_76
; %bb.75:
	v_add_f64 v[48:49], v[30:31], 0
	v_add_f64 v[50:51], v[28:29], 0
	v_ashrrev_i32_e32 v37, 31, v49
	v_or_b32_e32 v38, 0x80000000, v37
	v_xor_b32_e32 v48, v37, v48
	v_ashrrev_i32_e32 v37, 31, v51
	v_xor_b32_e32 v49, v38, v49
	v_or_b32_e32 v38, 0x80000000, v37
	v_xor_b32_e32 v51, v38, v51
	v_xor_b32_e32 v50, v37, v50
	v_cmp_le_u64_e32 vcc, v[48:49], v[50:51]
	s_and_b64 s[30:31], vcc, exec
.LBB1241_76:
	s_or_b64 exec, exec, s[24:25]
	s_orn2_b64 s[24:25], s[30:31], exec
.LBB1241_77:
	s_or_b64 exec, exec, s[28:29]
	v_cndmask_b32_e64 v24, v24, v39, s[24:25]
	v_lshlrev_b64 v[24:25], 3, v[24:25]
	v_add_co_u32_e32 v24, vcc, v32, v24
	v_addc_co_u32_e32 v25, vcc, v33, v25, vcc
	flat_load_dwordx2 v[24:25], v[24:25]
	v_cndmask_b32_e64 v11, v11, v27, s[26:27]
	v_cndmask_b32_e64 v10, v10, v26, s[26:27]
	;; [unrolled: 1-line block ×8, first 2 shown]
.LBB1241_78:
	s_or_b64 exec, exec, s[20:21]
	; wave barrier
	flat_store_dwordx4 v[4:5], v[80:83]
	flat_store_dwordx4 v[0:1], v[18:21]
	flat_store_dwordx4 v[4:5], v[10:13] offset:16
	s_waitcnt vmcnt(0) lgkmcnt(0)
	flat_store_dwordx4 v[0:1], v[22:25] offset:16
	v_and_b32_e32 v4, 0x1e0, v99
	v_or_b32_e32 v0, 16, v4
	v_min_u32_e32 v30, v36, v0
	v_add_u32_e32 v0, 16, v30
	v_min_u32_e32 v31, v36, v0
	v_min_u32_e32 v5, v36, v100
	v_sub_u32_e32 v0, v30, v4
	v_sub_u32_e32 v1, v31, v30
	v_sub_u32_e64 v7, v5, v1 clamp
	v_min_u32_e32 v6, v5, v0
	v_cmp_lt_u32_e32 vcc, v7, v6
	; wave barrier
	s_and_saveexec_b64 s[16:17], vcc
	s_cbranch_execz .LBB1241_82
; %bb.79:
	v_lshlrev_b32_e32 v0, 3, v4
	v_add_co_u32_e32 v14, vcc, v34, v0
	v_addc_co_u32_e32 v15, vcc, 0, v35, vcc
	v_lshlrev_b32_e32 v0, 3, v30
	v_add_co_u32_e32 v16, vcc, v34, v0
	v_addc_co_u32_e32 v17, vcc, 0, v35, vcc
	s_mov_b64 s[20:21], 0
	v_mov_b32_e32 v1, 0
.LBB1241_80:                            ; =>This Inner Loop Header: Depth=1
	v_add_u32_e32 v0, v6, v7
	v_lshrrev_b32_e32 v0, 1, v0
	v_lshlrev_b64 v[28:29], 3, v[0:1]
	v_mov_b32_e32 v27, v1
	v_xad_u32 v26, v0, -1, v5
	v_add_co_u32_e32 v28, vcc, v14, v28
	v_addc_co_u32_e32 v29, vcc, v15, v29, vcc
	v_lshlrev_b64 v[26:27], 3, v[26:27]
	v_add_co_u32_e32 v26, vcc, v16, v26
	v_addc_co_u32_e32 v27, vcc, v17, v27, vcc
	flat_load_dwordx2 v[36:37], v[28:29]
	flat_load_dwordx2 v[38:39], v[26:27]
	v_add_u32_e32 v48, 1, v0
	s_waitcnt vmcnt(0) lgkmcnt(0)
	v_add_f64 v[26:27], v[36:37], 0
	v_add_f64 v[28:29], v[38:39], 0
	v_ashrrev_i32_e32 v36, 31, v27
	v_or_b32_e32 v37, 0x80000000, v36
	v_xor_b32_e32 v26, v36, v26
	v_ashrrev_i32_e32 v36, 31, v29
	v_xor_b32_e32 v27, v37, v27
	v_or_b32_e32 v37, 0x80000000, v36
	v_xor_b32_e32 v28, v36, v28
	v_xor_b32_e32 v29, v37, v29
	v_cmp_gt_u64_e32 vcc, v[26:27], v[28:29]
	v_cndmask_b32_e32 v6, v6, v0, vcc
	v_cndmask_b32_e32 v7, v48, v7, vcc
	v_cmp_ge_u32_e32 vcc, v7, v6
	s_or_b64 s[20:21], vcc, s[20:21]
	s_andn2_b64 exec, exec, s[20:21]
	s_cbranch_execnz .LBB1241_80
; %bb.81:
	s_or_b64 exec, exec, s[20:21]
.LBB1241_82:
	s_or_b64 exec, exec, s[16:17]
	v_add_u32_e32 v0, v30, v5
	v_add_u32_e32 v6, v7, v4
	v_sub_u32_e32 v14, v0, v7
	v_cmp_le_u32_e32 vcc, v6, v30
	v_cmp_le_u32_e64 s[16:17], v14, v31
	s_or_b64 s[16:17], vcc, s[16:17]
	s_and_saveexec_b64 s[20:21], s[16:17]
	s_cbranch_execz .LBB1241_102
; %bb.83:
	v_cmp_ge_u32_e32 vcc, v6, v30
	v_cmp_lt_u32_e64 s[16:17], v6, v30
                                        ; implicit-def: $vgpr0_vgpr1
	s_and_saveexec_b64 s[22:23], s[16:17]
	s_cbranch_execz .LBB1241_85
; %bb.84:
	v_mov_b32_e32 v7, 0
	v_lshlrev_b64 v[0:1], 3, v[6:7]
	v_add_co_u32_e64 v0, s[16:17], v34, v0
	v_addc_co_u32_e64 v1, s[16:17], v35, v1, s[16:17]
	flat_load_dwordx2 v[0:1], v[0:1]
.LBB1241_85:
	s_or_b64 exec, exec, s[22:23]
	v_cmp_ge_u32_e64 s[22:23], v14, v31
	v_cmp_lt_u32_e64 s[16:17], v14, v31
                                        ; implicit-def: $vgpr4_vgpr5
	s_and_saveexec_b64 s[24:25], s[16:17]
	s_cbranch_execz .LBB1241_87
; %bb.86:
	v_mov_b32_e32 v15, 0
	v_lshlrev_b64 v[4:5], 3, v[14:15]
	v_add_co_u32_e64 v4, s[16:17], v34, v4
	v_addc_co_u32_e64 v5, s[16:17], v35, v5, s[16:17]
	flat_load_dwordx2 v[4:5], v[4:5]
.LBB1241_87:
	s_or_b64 exec, exec, s[24:25]
	s_or_b64 s[24:25], vcc, s[22:23]
	s_mov_b64 s[16:17], -1
	s_xor_b64 s[26:27], s[24:25], -1
	s_and_saveexec_b64 s[24:25], s[26:27]
	s_cbranch_execz .LBB1241_89
; %bb.88:
	s_waitcnt vmcnt(0) lgkmcnt(0)
	v_add_f64 v[10:11], v[0:1], 0
	v_add_f64 v[12:13], v[4:5], 0
	v_ashrrev_i32_e32 v7, 31, v11
	v_or_b32_e32 v15, 0x80000000, v7
	v_xor_b32_e32 v10, v7, v10
	v_ashrrev_i32_e32 v7, 31, v13
	v_xor_b32_e32 v11, v15, v11
	v_or_b32_e32 v15, 0x80000000, v7
	v_xor_b32_e32 v13, v15, v13
	v_xor_b32_e32 v12, v7, v12
	v_cmp_le_u64_e32 vcc, v[10:11], v[12:13]
	s_andn2_b64 s[22:23], s[22:23], exec
	s_and_b64 s[26:27], vcc, exec
	s_or_b64 s[22:23], s[22:23], s[26:27]
.LBB1241_89:
	s_or_b64 exec, exec, s[24:25]
	v_cndmask_b32_e64 v10, v14, v6, s[22:23]
	v_cndmask_b32_e64 v7, v31, v30, s[22:23]
	v_mov_b32_e32 v11, 0
	v_add_u32_e32 v15, 1, v10
	v_add_u32_e32 v7, -1, v7
	v_lshlrev_b64 v[12:13], 3, v[10:11]
	v_min_u32_e32 v10, v15, v7
	v_lshlrev_b64 v[16:17], 3, v[10:11]
	v_add_co_u32_e32 v16, vcc, v34, v16
	v_addc_co_u32_e32 v17, vcc, v35, v17, vcc
	v_add_co_u32_e32 v12, vcc, v32, v12
	flat_load_dwordx2 v[16:17], v[16:17]
	v_addc_co_u32_e32 v13, vcc, v33, v13, vcc
	flat_load_dwordx2 v[18:19], v[12:13]
	v_cndmask_b32_e64 v14, v15, v14, s[22:23]
	v_cndmask_b32_e64 v15, v6, v15, s[22:23]
	v_cmp_lt_u32_e32 vcc, v14, v31
	s_waitcnt vmcnt(0) lgkmcnt(0)
	v_cndmask_b32_e64 v7, v17, v5, s[22:23]
	v_cndmask_b32_e64 v6, v16, v4, s[22:23]
	;; [unrolled: 1-line block ×4, first 2 shown]
	s_and_saveexec_b64 s[24:25], vcc
	s_cbranch_execz .LBB1241_93
; %bb.90:
	v_cmp_lt_u32_e32 vcc, v15, v30
	s_mov_b64 s[26:27], 0
	s_and_saveexec_b64 s[16:17], vcc
	s_cbranch_execz .LBB1241_92
; %bb.91:
	v_add_f64 v[16:17], v[12:13], 0
	v_add_f64 v[20:21], v[6:7], 0
	v_ashrrev_i32_e32 v10, 31, v17
	v_or_b32_e32 v22, 0x80000000, v10
	v_xor_b32_e32 v16, v10, v16
	v_ashrrev_i32_e32 v10, 31, v21
	v_xor_b32_e32 v17, v22, v17
	v_or_b32_e32 v22, 0x80000000, v10
	v_xor_b32_e32 v21, v22, v21
	v_xor_b32_e32 v20, v10, v20
	v_cmp_le_u64_e32 vcc, v[16:17], v[20:21]
	s_and_b64 s[26:27], vcc, exec
.LBB1241_92:
	s_or_b64 exec, exec, s[16:17]
	s_orn2_b64 s[16:17], s[26:27], exec
.LBB1241_93:
	s_or_b64 exec, exec, s[24:25]
	v_cndmask_b32_e64 v10, v14, v15, s[16:17]
	v_cndmask_b32_e64 v20, v31, v30, s[16:17]
	v_lshlrev_b64 v[16:17], 3, v[10:11]
	v_add_u32_e32 v25, 1, v10
	v_add_u32_e32 v10, -1, v20
	v_min_u32_e32 v10, v25, v10
	v_lshlrev_b64 v[10:11], 3, v[10:11]
	v_add_co_u32_e32 v10, vcc, v34, v10
	v_addc_co_u32_e32 v11, vcc, v35, v11, vcc
	flat_load_dwordx2 v[22:23], v[10:11]
	v_add_co_u32_e32 v10, vcc, v32, v16
	v_addc_co_u32_e32 v11, vcc, v33, v17, vcc
	flat_load_dwordx2 v[20:21], v[10:11]
	v_cndmask_b32_e64 v24, v25, v14, s[16:17]
	s_mov_b64 s[24:25], -1
	v_cndmask_b32_e64 v25, v15, v25, s[16:17]
	v_cmp_lt_u32_e32 vcc, v24, v31
	s_mov_b64 s[26:27], -1
	s_waitcnt vmcnt(0) lgkmcnt(0)
	v_cndmask_b32_e64 v11, v23, v7, s[16:17]
	v_cndmask_b32_e64 v10, v22, v6, s[16:17]
	;; [unrolled: 1-line block ×4, first 2 shown]
	s_and_saveexec_b64 s[28:29], vcc
	s_cbranch_execz .LBB1241_97
; %bb.94:
	v_cmp_lt_u32_e32 vcc, v25, v30
	s_mov_b64 s[30:31], 0
	s_and_saveexec_b64 s[26:27], vcc
	s_cbranch_execz .LBB1241_96
; %bb.95:
	v_add_f64 v[16:17], v[14:15], 0
	v_add_f64 v[22:23], v[10:11], 0
	v_ashrrev_i32_e32 v26, 31, v17
	v_or_b32_e32 v27, 0x80000000, v26
	v_xor_b32_e32 v16, v26, v16
	v_ashrrev_i32_e32 v26, 31, v23
	v_xor_b32_e32 v17, v27, v17
	v_or_b32_e32 v27, 0x80000000, v26
	v_xor_b32_e32 v23, v27, v23
	v_xor_b32_e32 v22, v26, v22
	v_cmp_le_u64_e32 vcc, v[16:17], v[22:23]
	s_and_b64 s[30:31], vcc, exec
.LBB1241_96:
	s_or_b64 exec, exec, s[26:27]
	s_orn2_b64 s[26:27], s[30:31], exec
.LBB1241_97:
	s_or_b64 exec, exec, s[28:29]
	v_cndmask_b32_e64 v16, v24, v25, s[26:27]
	v_cndmask_b32_e64 v26, v31, v30, s[26:27]
	v_mov_b32_e32 v17, 0
	v_lshlrev_b64 v[22:23], 3, v[16:17]
	v_add_u32_e32 v36, 1, v16
	v_add_u32_e32 v16, -1, v26
	v_min_u32_e32 v16, v36, v16
	v_lshlrev_b64 v[26:27], 3, v[16:17]
	v_add_co_u32_e32 v26, vcc, v34, v26
	v_addc_co_u32_e32 v27, vcc, v35, v27, vcc
	v_add_co_u32_e32 v22, vcc, v32, v22
	flat_load_dwordx2 v[28:29], v[26:27]
	v_addc_co_u32_e32 v23, vcc, v33, v23, vcc
	flat_load_dwordx2 v[22:23], v[22:23]
	v_cndmask_b32_e64 v16, v36, v24, s[26:27]
	v_cndmask_b32_e64 v24, v25, v36, s[26:27]
	v_cmp_lt_u32_e32 vcc, v16, v31
	s_waitcnt vmcnt(0) lgkmcnt(0)
	v_cndmask_b32_e64 v27, v29, v11, s[26:27]
	v_cndmask_b32_e64 v26, v28, v10, s[26:27]
	v_cndmask_b32_e64 v29, v15, v29, s[26:27]
	v_cndmask_b32_e64 v28, v14, v28, s[26:27]
	s_and_saveexec_b64 s[28:29], vcc
	s_cbranch_execz .LBB1241_101
; %bb.98:
	v_cmp_lt_u32_e32 vcc, v24, v30
	s_mov_b64 s[30:31], 0
	s_and_saveexec_b64 s[24:25], vcc
	s_cbranch_execz .LBB1241_100
; %bb.99:
	v_add_f64 v[30:31], v[28:29], 0
	v_add_f64 v[34:35], v[26:27], 0
	v_ashrrev_i32_e32 v25, 31, v31
	v_or_b32_e32 v36, 0x80000000, v25
	v_xor_b32_e32 v30, v25, v30
	v_ashrrev_i32_e32 v25, 31, v35
	v_xor_b32_e32 v31, v36, v31
	v_or_b32_e32 v36, 0x80000000, v25
	v_xor_b32_e32 v35, v36, v35
	v_xor_b32_e32 v34, v25, v34
	v_cmp_le_u64_e32 vcc, v[30:31], v[34:35]
	s_and_b64 s[30:31], vcc, exec
.LBB1241_100:
	s_or_b64 exec, exec, s[24:25]
	s_orn2_b64 s[24:25], s[30:31], exec
.LBB1241_101:
	s_or_b64 exec, exec, s[28:29]
	v_cndmask_b32_e64 v16, v16, v24, s[24:25]
	v_lshlrev_b64 v[16:17], 3, v[16:17]
	v_add_co_u32_e32 v16, vcc, v32, v16
	v_addc_co_u32_e32 v17, vcc, v33, v17, vcc
	flat_load_dwordx2 v[24:25], v[16:17]
	v_cndmask_b32_e64 v11, v11, v15, s[26:27]
	v_cndmask_b32_e64 v10, v10, v14, s[26:27]
	;; [unrolled: 1-line block ×8, first 2 shown]
.LBB1241_102:
	s_or_b64 exec, exec, s[20:21]
	v_add_co_u32_e32 v0, vcc, v2, v96
	v_addc_co_u32_e32 v1, vcc, v3, v97, vcc
	v_add_co_u32_e32 v0, vcc, v0, v98
	v_addc_co_u32_e32 v1, vcc, 0, v1, vcc
	; wave barrier
	s_waitcnt lgkmcnt(0)
	s_barrier
	s_waitcnt lgkmcnt(0)
	; wave barrier
	s_and_saveexec_b64 s[16:17], s[4:5]
	s_cbranch_execnz .LBB1241_222
; %bb.103:
	s_or_b64 exec, exec, s[16:17]
	s_and_saveexec_b64 s[16:17], s[6:7]
	s_cbranch_execnz .LBB1241_223
.LBB1241_104:
	s_or_b64 exec, exec, s[16:17]
	s_and_saveexec_b64 s[16:17], s[10:11]
	s_cbranch_execnz .LBB1241_224
.LBB1241_105:
	s_or_b64 exec, exec, s[16:17]
	s_and_saveexec_b64 s[16:17], s[14:15]
	s_cbranch_execz .LBB1241_107
.LBB1241_106:
	flat_store_dwordx2 v[0:1], v[12:13] offset:24
.LBB1241_107:
	s_or_b64 exec, exec, s[16:17]
	v_add_co_u32_e32 v0, vcc, v8, v96
	v_addc_co_u32_e32 v1, vcc, v9, v97, vcc
	v_add_co_u32_e32 v0, vcc, v0, v98
	v_addc_co_u32_e32 v1, vcc, 0, v1, vcc
	; wave barrier
	s_and_saveexec_b64 s[16:17], s[4:5]
	s_cbranch_execnz .LBB1241_225
; %bb.108:
	s_or_b64 exec, exec, s[16:17]
	s_and_saveexec_b64 s[16:17], s[6:7]
	s_cbranch_execnz .LBB1241_226
.LBB1241_109:
	s_or_b64 exec, exec, s[16:17]
	s_and_saveexec_b64 s[6:7], s[10:11]
	s_cbranch_execz .LBB1241_111
.LBB1241_110:
	flat_store_dwordx2 v[0:1], v[22:23] offset:16
.LBB1241_111:
	s_or_b64 exec, exec, s[6:7]
	s_and_b64 s[16:17], s[14:15], exec
                                        ; implicit-def: $vgpr12
                                        ; implicit-def: $vgpr99
                                        ; implicit-def: $vgpr0_vgpr1
                                        ; implicit-def: $vgpr4
                                        ; implicit-def: $vgpr5
                                        ; implicit-def: $vgpr6
                                        ; implicit-def: $vgpr7
                                        ; implicit-def: $vgpr10
                                        ; implicit-def: $vgpr15
                                        ; implicit-def: $vgpr16
                                        ; implicit-def: $vgpr100
                                        ; implicit-def: $vgpr31
	s_andn2_saveexec_b64 s[18:19], s[18:19]
	s_cbranch_execz .LBB1241_2
.LBB1241_112:
	s_mov_b32 s10, -1
	s_brev_b32 s11, -2
	v_pk_mov_b32 v[84:85], s[10:11], s[10:11] op_sel:[0,1]
	s_and_saveexec_b64 s[6:7], s[4:5]
	s_cbranch_execz .LBB1241_114
; %bb.113:
	flat_load_dwordx2 v[84:85], v[0:1]
.LBB1241_114:
	s_or_b64 exec, exec, s[6:7]
	v_or_b32_e32 v2, 1, v100
	v_cmp_lt_u32_e64 s[6:7], v2, v12
	v_pk_mov_b32 v[86:87], s[10:11], s[10:11] op_sel:[0,1]
	s_and_saveexec_b64 s[10:11], s[6:7]
	s_cbranch_execz .LBB1241_116
; %bb.115:
	flat_load_dwordx2 v[86:87], v[0:1] offset:8
.LBB1241_116:
	s_or_b64 exec, exec, s[10:11]
	s_mov_b32 s20, -1
	v_or_b32_e32 v2, 2, v100
	s_brev_b32 s21, -2
	v_cmp_lt_u32_e64 s[10:11], v2, v12
	v_pk_mov_b32 v[80:81], s[20:21], s[20:21] op_sel:[0,1]
	s_and_saveexec_b64 s[14:15], s[10:11]
	s_cbranch_execz .LBB1241_118
; %bb.117:
	flat_load_dwordx2 v[80:81], v[0:1] offset:16
.LBB1241_118:
	s_or_b64 exec, exec, s[14:15]
	v_or_b32_e32 v2, 3, v100
	v_cmp_lt_u32_e64 s[14:15], v2, v12
	v_pk_mov_b32 v[82:83], s[20:21], s[20:21] op_sel:[0,1]
	s_and_saveexec_b64 s[20:21], s[14:15]
	s_cbranch_execz .LBB1241_120
; %bb.119:
	flat_load_dwordx2 v[82:83], v[0:1] offset:24
.LBB1241_120:
	s_or_b64 exec, exec, s[20:21]
	v_add_co_u32_e32 v0, vcc, v6, v96
	v_addc_co_u32_e32 v1, vcc, v7, v97, vcc
	v_add_co_u32_e32 v0, vcc, v0, v98
	v_addc_co_u32_e32 v1, vcc, 0, v1, vcc
	; wave barrier
                                        ; implicit-def: $vgpr18_vgpr19_vgpr20_vgpr21_vgpr22_vgpr23_vgpr24_vgpr25
	s_and_saveexec_b64 s[20:21], s[4:5]
	s_cbranch_execnz .LBB1241_227
; %bb.121:
	s_or_b64 exec, exec, s[20:21]
	s_and_saveexec_b64 s[20:21], s[6:7]
	s_cbranch_execnz .LBB1241_228
.LBB1241_122:
	s_or_b64 exec, exec, s[20:21]
	s_and_saveexec_b64 s[20:21], s[10:11]
	s_cbranch_execnz .LBB1241_229
.LBB1241_123:
	s_or_b64 exec, exec, s[20:21]
	s_and_saveexec_b64 s[20:21], s[14:15]
	s_cbranch_execz .LBB1241_125
.LBB1241_124:
	s_waitcnt vmcnt(0)
	flat_load_dwordx2 v[24:25], v[0:1] offset:24
.LBB1241_125:
	s_or_b64 exec, exec, s[20:21]
	; wave barrier
	s_load_dwordx2 s[20:21], s[8:9], 0x0
	v_mov_b32_e32 v0, 0
	v_bfe_u32 v3, v31, 20, 10
	v_and_b32_e32 v6, 0x3ff, v31
	s_waitcnt lgkmcnt(0)
	s_cmp_lt_u32 s12, s20
	s_cselect_b32 s20, 12, 18
	s_cmp_lt_u32 s13, s21
	s_cselect_b32 s12, 14, 20
	s_add_u32 s12, s8, s12
	s_addc_u32 s13, s9, 0
	s_add_u32 s8, s8, s20
	s_addc_u32 s9, s9, 0
	global_load_ushort v1, v0, s[12:13]
	global_load_ushort v2, v0, s[8:9]
	v_bfe_u32 v0, v31, 10, 10
	s_movk_i32 s8, 0x400
	s_waitcnt vmcnt(0)
	v_mad_u32_u24 v0, v3, v1, v0
	v_mul_lo_u32 v0, v0, v2
	v_add_lshl_u32 v14, v0, v6, 2
	v_cmp_gt_u32_e32 vcc, s8, v14
	s_and_saveexec_b64 s[12:13], vcc
	s_cbranch_execz .LBB1241_137
; %bb.126:
	v_add_f64 v[0:1], v[84:85], 0
	v_add_f64 v[2:3], v[86:87], 0
	v_ashrrev_i32_e32 v6, 31, v1
	v_or_b32_e32 v7, 0x80000000, v6
	v_xor_b32_e32 v0, v6, v0
	v_ashrrev_i32_e32 v6, 31, v3
	v_xor_b32_e32 v1, v7, v1
	v_or_b32_e32 v7, 0x80000000, v6
	v_xor_b32_e32 v3, v7, v3
	v_xor_b32_e32 v2, v6, v2
	v_cmp_gt_u64_e32 vcc, v[0:1], v[2:3]
	v_add_f64 v[2:3], v[80:81], 0
	v_add_f64 v[8:9], v[82:83], 0
	v_ashrrev_i32_e32 v12, 31, v3
	v_cndmask_b32_e32 v6, v20, v18, vcc
	v_cndmask_b32_e32 v0, v18, v20, vcc
	v_or_b32_e32 v13, 0x80000000, v12
	v_xor_b32_e32 v18, v12, v2
	v_ashrrev_i32_e32 v2, 31, v9
	v_cndmask_b32_e32 v7, v21, v19, vcc
	v_cndmask_b32_e32 v1, v19, v21, vcc
	v_xor_b32_e32 v19, v13, v3
	v_or_b32_e32 v3, 0x80000000, v2
	v_xor_b32_e32 v9, v3, v9
	v_xor_b32_e32 v8, v2, v8
	v_cmp_gt_u64_e64 s[8:9], v[18:19], v[8:9]
	v_pk_mov_b32 v[2:3], v[80:81], v[80:81] op_sel:[0,1]
	s_and_saveexec_b64 s[20:21], s[8:9]
; %bb.127:
	v_pk_mov_b32 v[12:13], v[22:23], v[22:23] op_sel:[0,1]
	v_pk_mov_b32 v[2:3], v[82:83], v[82:83] op_sel:[0,1]
	;; [unrolled: 1-line block ×6, first 2 shown]
; %bb.128:
	s_or_b64 exec, exec, s[20:21]
	v_cndmask_b32_e32 v21, v87, v85, vcc
	v_cndmask_b32_e32 v20, v86, v84, vcc
	v_add_f64 v[8:9], v[20:21], 0
	v_ashrrev_i32_e32 v12, 31, v9
	v_or_b32_e32 v13, 0x80000000, v12
	v_xor_b32_e32 v13, v13, v9
	v_xor_b32_e32 v12, v12, v8
	v_cmp_le_u64_e64 s[8:9], v[12:13], v[18:19]
                                        ; implicit-def: $vgpr8_vgpr9
	s_and_saveexec_b64 s[20:21], s[8:9]
	s_xor_b64 s[8:9], exec, s[20:21]
                                        ; implicit-def: $vgpr32_vgpr33_vgpr34_vgpr35_vgpr36_vgpr37_vgpr38_vgpr39
                                        ; implicit-def: $vgpr48_vgpr49_vgpr50_vgpr51_vgpr52_vgpr53_vgpr54_vgpr55
                                        ; implicit-def: $vgpr26_vgpr27_vgpr28_vgpr29_vgpr30_vgpr31_vgpr32_vgpr33
                                        ; implicit-def: $vgpr64_vgpr65_vgpr66_vgpr67_vgpr68_vgpr69_vgpr70_vgpr71
; %bb.129:
	v_add_f64 v[8:9], v[2:3], 0
	v_ashrrev_i32_e32 v17, 31, v9
	v_or_b32_e32 v18, 0x80000000, v17
	v_mov_b32_e32 v28, v6
	v_mov_b32_e32 v35, v7
	;; [unrolled: 1-line block ×6, first 2 shown]
	v_xor_b32_e32 v9, v18, v9
	v_xor_b32_e32 v8, v17, v8
                                        ; implicit-def: $vgpr22_vgpr23
                                        ; implicit-def: $vgpr18_vgpr19
; %bb.130:
	s_or_saveexec_b64 s[8:9], s[8:9]
	v_pk_mov_b32 v[26:27], v[20:21], v[20:21] op_sel:[0,1]
	s_xor_b64 exec, exec, s[8:9]
; %bb.131:
	v_mov_b32_e32 v28, v22
	v_mov_b32_e32 v35, v23
	;; [unrolled: 1-line block ×4, first 2 shown]
	v_pk_mov_b32 v[8:9], v[12:13], v[12:13] op_sel:[0,1]
	v_pk_mov_b32 v[26:27], v[2:3], v[2:3] op_sel:[0,1]
	;; [unrolled: 1-line block ×4, first 2 shown]
; %bb.132:
	s_or_b64 exec, exec, s[8:9]
	v_cndmask_b32_e32 v31, v85, v87, vcc
	v_cndmask_b32_e32 v30, v84, v86, vcc
	v_add_f64 v[18:19], v[30:31], 0
	v_ashrrev_i32_e32 v17, 31, v19
	v_or_b32_e32 v20, 0x80000000, v17
	v_xor_b32_e32 v19, v20, v19
	v_xor_b32_e32 v18, v17, v18
	v_cmp_gt_u64_e32 vcc, v[18:19], v[12:13]
	v_cndmask_b32_e32 v21, v35, v1, vcc
	v_cndmask_b32_e32 v19, v1, v35, vcc
	;; [unrolled: 1-line block ×4, first 2 shown]
	v_add_f64 v[0:1], v[82:83], 0
	v_mov_b32_e32 v22, v6
	v_ashrrev_i32_e32 v6, 31, v1
	v_mov_b32_e32 v23, v7
	v_or_b32_e32 v7, 0x80000000, v6
	v_xor_b32_e32 v7, v7, v1
	v_xor_b32_e32 v6, v6, v0
	v_mov_b32_e32 v24, v54
	v_mov_b32_e32 v25, v71
	v_cmp_gt_u64_e64 s[8:9], v[8:9], v[6:7]
	v_pk_mov_b32 v[0:1], v[2:3], v[2:3] op_sel:[0,1]
	s_and_saveexec_b64 s[20:21], s[8:9]
	s_cbranch_execz .LBB1241_134
; %bb.133:
	v_mov_b32_e32 v32, v18
	v_mov_b32_e32 v33, v19
	;; [unrolled: 1-line block ×8, first 2 shown]
	v_pk_mov_b32 v[18:19], v[32:33], v[32:33] op_sel:[0,1]
	v_pk_mov_b32 v[0:1], v[82:83], v[82:83] op_sel:[0,1]
	;; [unrolled: 1-line block ×7, first 2 shown]
.LBB1241_134:
	s_or_b64 exec, exec, s[20:21]
	v_cndmask_b32_e32 v87, v27, v31, vcc
	v_cndmask_b32_e32 v86, v26, v30, vcc
	v_add_f64 v[2:3], v[86:87], 0
	v_ashrrev_i32_e32 v6, 31, v3
	v_or_b32_e32 v7, 0x80000000, v6
	v_xor_b32_e32 v3, v7, v3
	v_xor_b32_e32 v2, v6, v2
	v_cndmask_b32_e32 v85, v31, v27, vcc
	v_cndmask_b32_e32 v84, v30, v26, vcc
	v_cmp_gt_u64_e32 vcc, v[2:3], v[8:9]
	v_pk_mov_b32 v[80:81], v[0:1], v[0:1] op_sel:[0,1]
	s_and_saveexec_b64 s[8:9], vcc
	s_cbranch_execz .LBB1241_136
; %bb.135:
	v_mov_b32_e32 v26, v18
	v_mov_b32_e32 v27, v19
	;; [unrolled: 1-line block ×8, first 2 shown]
	v_pk_mov_b32 v[18:19], v[26:27], v[26:27] op_sel:[0,1]
	v_pk_mov_b32 v[20:21], v[28:29], v[28:29] op_sel:[0,1]
	;; [unrolled: 1-line block ×6, first 2 shown]
.LBB1241_136:
	s_or_b64 exec, exec, s[8:9]
.LBB1241_137:
	s_or_b64 exec, exec, s[12:13]
	v_and_b32_e32 v6, 0xffffff00, v14
	v_mov_b32_e32 v7, 0
	v_lshlrev_b64 v[0:1], 3, v[6:7]
	v_add_co_u32_e32 v34, vcc, v15, v0
	s_movk_i32 s8, 0x400
	v_addc_co_u32_e32 v35, vcc, v16, v1, vcc
	v_sub_u32_e64 v36, s8, v6 clamp
	v_add_co_u32_e32 v32, vcc, 0x2000, v34
	v_or_b32_e32 v6, 4, v99
	v_addc_co_u32_e32 v33, vcc, 0, v35, vcc
	v_lshlrev_b32_e32 v0, 3, v99
	v_min_u32_e32 v37, v36, v6
	v_add_co_u32_e32 v2, vcc, v34, v0
	v_add_u32_e32 v6, 4, v37
	v_addc_co_u32_e32 v3, vcc, 0, v35, vcc
	v_and_b32_e32 v8, 0x1f8, v99
	v_min_u32_e32 v38, v36, v6
	v_and_b32_e32 v6, 4, v99
	v_add_co_u32_e32 v0, vcc, v32, v0
	v_min_u32_e32 v9, v36, v6
	v_sub_u32_e32 v6, v37, v8
	v_sub_u32_e32 v12, v38, v37
	v_addc_co_u32_e32 v1, vcc, 0, v33, vcc
	v_sub_u32_e64 v13, v9, v12 clamp
	v_min_u32_e32 v12, v9, v6
	v_cmp_lt_u32_e32 vcc, v13, v12
	flat_store_dwordx4 v[2:3], v[84:87]
	flat_store_dwordx4 v[0:1], v[18:21]
	flat_store_dwordx4 v[2:3], v[80:83] offset:16
	flat_store_dwordx4 v[0:1], v[22:25] offset:16
	; wave barrier
	s_and_saveexec_b64 s[8:9], vcc
	s_cbranch_execz .LBB1241_141
; %bb.138:
	v_lshlrev_b32_e32 v6, 3, v8
	v_add_co_u32_e32 v14, vcc, v34, v6
	v_addc_co_u32_e32 v15, vcc, 0, v35, vcc
	v_lshlrev_b32_e32 v6, 3, v37
	v_add_co_u32_e32 v16, vcc, v34, v6
	v_addc_co_u32_e32 v17, vcc, 0, v35, vcc
	s_mov_b64 s[12:13], 0
.LBB1241_139:                           ; =>This Inner Loop Header: Depth=1
	v_add_u32_e32 v6, v12, v13
	v_lshrrev_b32_e32 v6, 1, v6
	v_lshlrev_b64 v[28:29], 3, v[6:7]
	v_mov_b32_e32 v27, v7
	v_xad_u32 v26, v6, -1, v9
	v_add_co_u32_e32 v28, vcc, v14, v28
	v_addc_co_u32_e32 v29, vcc, v15, v29, vcc
	v_lshlrev_b64 v[26:27], 3, v[26:27]
	v_add_co_u32_e32 v26, vcc, v16, v26
	v_addc_co_u32_e32 v27, vcc, v17, v27, vcc
	flat_load_dwordx2 v[30:31], v[28:29]
	flat_load_dwordx2 v[48:49], v[26:27]
	v_add_u32_e32 v39, 1, v6
	s_waitcnt vmcnt(0) lgkmcnt(0)
	v_add_f64 v[26:27], v[30:31], 0
	v_add_f64 v[28:29], v[48:49], 0
	v_ashrrev_i32_e32 v30, 31, v27
	v_or_b32_e32 v31, 0x80000000, v30
	v_xor_b32_e32 v26, v30, v26
	v_ashrrev_i32_e32 v30, 31, v29
	v_xor_b32_e32 v27, v31, v27
	v_or_b32_e32 v31, 0x80000000, v30
	v_xor_b32_e32 v28, v30, v28
	v_xor_b32_e32 v29, v31, v29
	v_cmp_gt_u64_e32 vcc, v[26:27], v[28:29]
	v_cndmask_b32_e32 v12, v12, v6, vcc
	v_cndmask_b32_e32 v13, v39, v13, vcc
	v_cmp_ge_u32_e32 vcc, v13, v12
	s_or_b64 s[12:13], vcc, s[12:13]
	s_andn2_b64 exec, exec, s[12:13]
	s_cbranch_execnz .LBB1241_139
; %bb.140:
	s_or_b64 exec, exec, s[12:13]
.LBB1241_141:
	s_or_b64 exec, exec, s[8:9]
	v_add_u32_e32 v6, v37, v9
	v_add_u32_e32 v12, v13, v8
	v_sub_u32_e32 v14, v6, v13
	v_cmp_le_u32_e32 vcc, v12, v37
	v_cmp_le_u32_e64 s[8:9], v14, v38
	s_or_b64 s[8:9], vcc, s[8:9]
	s_and_saveexec_b64 s[12:13], s[8:9]
	s_cbranch_execz .LBB1241_161
; %bb.142:
	v_cmp_ge_u32_e32 vcc, v12, v37
	v_cmp_lt_u32_e64 s[8:9], v12, v37
                                        ; implicit-def: $vgpr6_vgpr7
	s_and_saveexec_b64 s[20:21], s[8:9]
	s_cbranch_execz .LBB1241_144
; %bb.143:
	v_mov_b32_e32 v13, 0
	v_lshlrev_b64 v[6:7], 3, v[12:13]
	v_add_co_u32_e64 v6, s[8:9], v34, v6
	v_addc_co_u32_e64 v7, s[8:9], v35, v7, s[8:9]
	flat_load_dwordx2 v[6:7], v[6:7]
.LBB1241_144:
	s_or_b64 exec, exec, s[20:21]
	v_cmp_ge_u32_e64 s[20:21], v14, v38
	v_cmp_lt_u32_e64 s[8:9], v14, v38
                                        ; implicit-def: $vgpr8_vgpr9
	s_and_saveexec_b64 s[22:23], s[8:9]
	s_cbranch_execz .LBB1241_146
; %bb.145:
	v_mov_b32_e32 v15, 0
	v_lshlrev_b64 v[8:9], 3, v[14:15]
	v_add_co_u32_e64 v8, s[8:9], v34, v8
	v_addc_co_u32_e64 v9, s[8:9], v35, v9, s[8:9]
	flat_load_dwordx2 v[8:9], v[8:9]
.LBB1241_146:
	s_or_b64 exec, exec, s[22:23]
	s_or_b64 s[22:23], vcc, s[20:21]
	s_mov_b64 s[8:9], -1
	s_xor_b64 s[24:25], s[22:23], -1
	s_and_saveexec_b64 s[22:23], s[24:25]
	s_cbranch_execz .LBB1241_148
; %bb.147:
	s_waitcnt vmcnt(0) lgkmcnt(0)
	v_add_f64 v[16:17], v[6:7], 0
	v_add_f64 v[18:19], v[8:9], 0
	v_ashrrev_i32_e32 v13, 31, v17
	v_or_b32_e32 v15, 0x80000000, v13
	v_xor_b32_e32 v16, v13, v16
	v_ashrrev_i32_e32 v13, 31, v19
	v_xor_b32_e32 v17, v15, v17
	v_or_b32_e32 v15, 0x80000000, v13
	v_xor_b32_e32 v19, v15, v19
	v_xor_b32_e32 v18, v13, v18
	v_cmp_le_u64_e32 vcc, v[16:17], v[18:19]
	s_andn2_b64 s[20:21], s[20:21], exec
	s_and_b64 s[24:25], vcc, exec
	s_or_b64 s[20:21], s[20:21], s[24:25]
.LBB1241_148:
	s_or_b64 exec, exec, s[22:23]
	v_cndmask_b32_e64 v16, v14, v12, s[20:21]
	v_cndmask_b32_e64 v13, v38, v37, s[20:21]
	v_mov_b32_e32 v17, 0
	v_add_u32_e32 v15, 1, v16
	v_add_u32_e32 v13, -1, v13
	v_lshlrev_b64 v[18:19], 3, v[16:17]
	v_min_u32_e32 v16, v15, v13
	v_lshlrev_b64 v[20:21], 3, v[16:17]
	v_add_co_u32_e32 v20, vcc, v34, v20
	v_addc_co_u32_e32 v21, vcc, v35, v21, vcc
	v_add_co_u32_e32 v18, vcc, v32, v18
	flat_load_dwordx2 v[20:21], v[20:21]
	v_addc_co_u32_e32 v19, vcc, v33, v19, vcc
	flat_load_dwordx2 v[18:19], v[18:19]
	v_cndmask_b32_e64 v22, v15, v14, s[20:21]
	v_cndmask_b32_e64 v23, v12, v15, s[20:21]
	v_cmp_lt_u32_e32 vcc, v22, v38
	s_waitcnt vmcnt(0) lgkmcnt(0)
	v_cndmask_b32_e64 v13, v21, v9, s[20:21]
	v_cndmask_b32_e64 v12, v20, v8, s[20:21]
	;; [unrolled: 1-line block ×4, first 2 shown]
	s_and_saveexec_b64 s[22:23], vcc
	s_cbranch_execz .LBB1241_152
; %bb.149:
	v_cmp_lt_u32_e32 vcc, v23, v37
	s_mov_b64 s[24:25], 0
	s_and_saveexec_b64 s[8:9], vcc
	s_cbranch_execz .LBB1241_151
; %bb.150:
	v_add_f64 v[20:21], v[14:15], 0
	v_add_f64 v[24:25], v[12:13], 0
	v_ashrrev_i32_e32 v16, 31, v21
	v_or_b32_e32 v26, 0x80000000, v16
	v_xor_b32_e32 v20, v16, v20
	v_ashrrev_i32_e32 v16, 31, v25
	v_xor_b32_e32 v21, v26, v21
	v_or_b32_e32 v26, 0x80000000, v16
	v_xor_b32_e32 v25, v26, v25
	v_xor_b32_e32 v24, v16, v24
	v_cmp_le_u64_e32 vcc, v[20:21], v[24:25]
	s_and_b64 s[24:25], vcc, exec
.LBB1241_151:
	s_or_b64 exec, exec, s[8:9]
	s_orn2_b64 s[8:9], s[24:25], exec
.LBB1241_152:
	s_or_b64 exec, exec, s[22:23]
	v_cndmask_b32_e64 v16, v22, v23, s[8:9]
	v_cndmask_b32_e64 v24, v38, v37, s[8:9]
	v_lshlrev_b64 v[20:21], 3, v[16:17]
	v_add_u32_e32 v26, 1, v16
	v_add_u32_e32 v16, -1, v24
	v_min_u32_e32 v16, v26, v16
	v_lshlrev_b64 v[16:17], 3, v[16:17]
	v_add_co_u32_e32 v16, vcc, v34, v16
	v_addc_co_u32_e32 v17, vcc, v35, v17, vcc
	flat_load_dwordx2 v[24:25], v[16:17]
	v_add_co_u32_e32 v16, vcc, v32, v20
	v_addc_co_u32_e32 v17, vcc, v33, v21, vcc
	flat_load_dwordx2 v[20:21], v[16:17]
	v_cndmask_b32_e64 v28, v26, v22, s[8:9]
	s_mov_b64 s[22:23], -1
	v_cndmask_b32_e64 v29, v23, v26, s[8:9]
	v_cmp_lt_u32_e32 vcc, v28, v38
	s_mov_b64 s[24:25], -1
	s_waitcnt vmcnt(0) lgkmcnt(0)
	v_cndmask_b32_e64 v17, v25, v13, s[8:9]
	v_cndmask_b32_e64 v16, v24, v12, s[8:9]
	;; [unrolled: 1-line block ×4, first 2 shown]
	s_and_saveexec_b64 s[26:27], vcc
	s_cbranch_execz .LBB1241_156
; %bb.153:
	v_cmp_lt_u32_e32 vcc, v29, v37
	s_mov_b64 s[28:29], 0
	s_and_saveexec_b64 s[24:25], vcc
	s_cbranch_execz .LBB1241_155
; %bb.154:
	v_add_f64 v[22:23], v[26:27], 0
	v_add_f64 v[24:25], v[16:17], 0
	v_ashrrev_i32_e32 v30, 31, v23
	v_or_b32_e32 v31, 0x80000000, v30
	v_xor_b32_e32 v22, v30, v22
	v_ashrrev_i32_e32 v30, 31, v25
	v_xor_b32_e32 v23, v31, v23
	v_or_b32_e32 v31, 0x80000000, v30
	v_xor_b32_e32 v25, v31, v25
	v_xor_b32_e32 v24, v30, v24
	v_cmp_le_u64_e32 vcc, v[22:23], v[24:25]
	s_and_b64 s[28:29], vcc, exec
.LBB1241_155:
	s_or_b64 exec, exec, s[24:25]
	s_orn2_b64 s[24:25], s[28:29], exec
.LBB1241_156:
	s_or_b64 exec, exec, s[26:27]
	v_cndmask_b32_e64 v24, v28, v29, s[24:25]
	v_cndmask_b32_e64 v30, v38, v37, s[24:25]
	v_mov_b32_e32 v25, 0
	v_lshlrev_b64 v[22:23], 3, v[24:25]
	v_add_u32_e32 v39, 1, v24
	v_add_u32_e32 v24, -1, v30
	v_min_u32_e32 v24, v39, v24
	v_lshlrev_b64 v[30:31], 3, v[24:25]
	v_add_co_u32_e32 v30, vcc, v34, v30
	v_addc_co_u32_e32 v31, vcc, v35, v31, vcc
	v_add_co_u32_e32 v22, vcc, v32, v22
	flat_load_dwordx2 v[30:31], v[30:31]
	v_addc_co_u32_e32 v23, vcc, v33, v23, vcc
	flat_load_dwordx2 v[22:23], v[22:23]
	v_cndmask_b32_e64 v24, v39, v28, s[24:25]
	v_cndmask_b32_e64 v39, v29, v39, s[24:25]
	v_cmp_lt_u32_e32 vcc, v24, v38
	s_waitcnt vmcnt(0) lgkmcnt(0)
	v_cndmask_b32_e64 v29, v31, v17, s[24:25]
	v_cndmask_b32_e64 v28, v30, v16, s[24:25]
	v_cndmask_b32_e64 v31, v27, v31, s[24:25]
	v_cndmask_b32_e64 v30, v26, v30, s[24:25]
	s_and_saveexec_b64 s[26:27], vcc
	s_cbranch_execz .LBB1241_160
; %bb.157:
	v_cmp_lt_u32_e32 vcc, v39, v37
	s_mov_b64 s[28:29], 0
	s_and_saveexec_b64 s[22:23], vcc
	s_cbranch_execz .LBB1241_159
; %bb.158:
	v_add_f64 v[48:49], v[30:31], 0
	v_add_f64 v[50:51], v[28:29], 0
	v_ashrrev_i32_e32 v37, 31, v49
	v_or_b32_e32 v38, 0x80000000, v37
	v_xor_b32_e32 v48, v37, v48
	v_ashrrev_i32_e32 v37, 31, v51
	v_xor_b32_e32 v49, v38, v49
	v_or_b32_e32 v38, 0x80000000, v37
	v_xor_b32_e32 v51, v38, v51
	v_xor_b32_e32 v50, v37, v50
	v_cmp_le_u64_e32 vcc, v[48:49], v[50:51]
	s_and_b64 s[28:29], vcc, exec
.LBB1241_159:
	s_or_b64 exec, exec, s[22:23]
	s_orn2_b64 s[22:23], s[28:29], exec
.LBB1241_160:
	s_or_b64 exec, exec, s[26:27]
	v_cndmask_b32_e64 v24, v24, v39, s[22:23]
	v_lshlrev_b64 v[24:25], 3, v[24:25]
	v_add_co_u32_e32 v24, vcc, v32, v24
	v_addc_co_u32_e32 v25, vcc, v33, v25, vcc
	flat_load_dwordx2 v[24:25], v[24:25]
	v_cndmask_b32_e64 v81, v17, v27, s[24:25]
	v_cndmask_b32_e64 v80, v16, v26, s[24:25]
	;; [unrolled: 1-line block ×8, first 2 shown]
.LBB1241_161:
	s_or_b64 exec, exec, s[12:13]
	v_and_b32_e32 v8, 0x1f0, v99
	v_or_b32_e32 v6, 8, v8
	v_min_u32_e32 v37, v36, v6
	v_add_u32_e32 v6, 8, v37
	v_min_u32_e32 v38, v36, v6
	v_and_b32_e32 v6, 12, v99
	v_min_u32_e32 v9, v36, v6
	v_sub_u32_e32 v6, v37, v8
	v_sub_u32_e32 v7, v38, v37
	v_sub_u32_e64 v13, v9, v7 clamp
	v_min_u32_e32 v12, v9, v6
	v_cmp_lt_u32_e32 vcc, v13, v12
	; wave barrier
	flat_store_dwordx4 v[2:3], v[84:87]
	flat_store_dwordx4 v[0:1], v[18:21]
	flat_store_dwordx4 v[2:3], v[80:83] offset:16
	s_waitcnt vmcnt(0) lgkmcnt(0)
	flat_store_dwordx4 v[0:1], v[22:25] offset:16
	; wave barrier
	s_and_saveexec_b64 s[8:9], vcc
	s_cbranch_execz .LBB1241_165
; %bb.162:
	v_lshlrev_b32_e32 v6, 3, v8
	v_add_co_u32_e32 v14, vcc, v34, v6
	v_addc_co_u32_e32 v15, vcc, 0, v35, vcc
	v_lshlrev_b32_e32 v6, 3, v37
	v_add_co_u32_e32 v16, vcc, v34, v6
	v_addc_co_u32_e32 v17, vcc, 0, v35, vcc
	s_mov_b64 s[12:13], 0
	v_mov_b32_e32 v7, 0
.LBB1241_163:                           ; =>This Inner Loop Header: Depth=1
	v_add_u32_e32 v6, v12, v13
	v_lshrrev_b32_e32 v6, 1, v6
	v_lshlrev_b64 v[28:29], 3, v[6:7]
	v_mov_b32_e32 v27, v7
	v_xad_u32 v26, v6, -1, v9
	v_add_co_u32_e32 v28, vcc, v14, v28
	v_addc_co_u32_e32 v29, vcc, v15, v29, vcc
	v_lshlrev_b64 v[26:27], 3, v[26:27]
	v_add_co_u32_e32 v26, vcc, v16, v26
	v_addc_co_u32_e32 v27, vcc, v17, v27, vcc
	flat_load_dwordx2 v[30:31], v[28:29]
	flat_load_dwordx2 v[48:49], v[26:27]
	v_add_u32_e32 v39, 1, v6
	s_waitcnt vmcnt(0) lgkmcnt(0)
	v_add_f64 v[26:27], v[30:31], 0
	v_add_f64 v[28:29], v[48:49], 0
	v_ashrrev_i32_e32 v30, 31, v27
	v_or_b32_e32 v31, 0x80000000, v30
	v_xor_b32_e32 v26, v30, v26
	v_ashrrev_i32_e32 v30, 31, v29
	v_xor_b32_e32 v27, v31, v27
	v_or_b32_e32 v31, 0x80000000, v30
	v_xor_b32_e32 v28, v30, v28
	v_xor_b32_e32 v29, v31, v29
	v_cmp_gt_u64_e32 vcc, v[26:27], v[28:29]
	v_cndmask_b32_e32 v12, v12, v6, vcc
	v_cndmask_b32_e32 v13, v39, v13, vcc
	v_cmp_ge_u32_e32 vcc, v13, v12
	s_or_b64 s[12:13], vcc, s[12:13]
	s_andn2_b64 exec, exec, s[12:13]
	s_cbranch_execnz .LBB1241_163
; %bb.164:
	s_or_b64 exec, exec, s[12:13]
.LBB1241_165:
	s_or_b64 exec, exec, s[8:9]
	v_add_u32_e32 v6, v37, v9
	v_add_u32_e32 v12, v13, v8
	v_sub_u32_e32 v14, v6, v13
	v_cmp_le_u32_e32 vcc, v12, v37
	v_cmp_le_u32_e64 s[8:9], v14, v38
	s_or_b64 s[8:9], vcc, s[8:9]
	s_and_saveexec_b64 s[12:13], s[8:9]
	s_cbranch_execz .LBB1241_185
; %bb.166:
	v_cmp_ge_u32_e32 vcc, v12, v37
	v_cmp_lt_u32_e64 s[8:9], v12, v37
                                        ; implicit-def: $vgpr6_vgpr7
	s_and_saveexec_b64 s[20:21], s[8:9]
	s_cbranch_execz .LBB1241_168
; %bb.167:
	v_mov_b32_e32 v13, 0
	v_lshlrev_b64 v[6:7], 3, v[12:13]
	v_add_co_u32_e64 v6, s[8:9], v34, v6
	v_addc_co_u32_e64 v7, s[8:9], v35, v7, s[8:9]
	flat_load_dwordx2 v[6:7], v[6:7]
.LBB1241_168:
	s_or_b64 exec, exec, s[20:21]
	v_cmp_ge_u32_e64 s[20:21], v14, v38
	v_cmp_lt_u32_e64 s[8:9], v14, v38
                                        ; implicit-def: $vgpr8_vgpr9
	s_and_saveexec_b64 s[22:23], s[8:9]
	s_cbranch_execz .LBB1241_170
; %bb.169:
	v_mov_b32_e32 v15, 0
	v_lshlrev_b64 v[8:9], 3, v[14:15]
	v_add_co_u32_e64 v8, s[8:9], v34, v8
	v_addc_co_u32_e64 v9, s[8:9], v35, v9, s[8:9]
	flat_load_dwordx2 v[8:9], v[8:9]
.LBB1241_170:
	s_or_b64 exec, exec, s[22:23]
	s_or_b64 s[22:23], vcc, s[20:21]
	s_mov_b64 s[8:9], -1
	s_xor_b64 s[24:25], s[22:23], -1
	s_and_saveexec_b64 s[22:23], s[24:25]
	s_cbranch_execz .LBB1241_172
; %bb.171:
	s_waitcnt vmcnt(0) lgkmcnt(0)
	v_add_f64 v[16:17], v[6:7], 0
	v_add_f64 v[18:19], v[8:9], 0
	v_ashrrev_i32_e32 v13, 31, v17
	v_or_b32_e32 v15, 0x80000000, v13
	v_xor_b32_e32 v16, v13, v16
	v_ashrrev_i32_e32 v13, 31, v19
	v_xor_b32_e32 v17, v15, v17
	v_or_b32_e32 v15, 0x80000000, v13
	v_xor_b32_e32 v19, v15, v19
	v_xor_b32_e32 v18, v13, v18
	v_cmp_le_u64_e32 vcc, v[16:17], v[18:19]
	s_andn2_b64 s[20:21], s[20:21], exec
	s_and_b64 s[24:25], vcc, exec
	s_or_b64 s[20:21], s[20:21], s[24:25]
.LBB1241_172:
	s_or_b64 exec, exec, s[22:23]
	v_cndmask_b32_e64 v16, v14, v12, s[20:21]
	v_cndmask_b32_e64 v13, v38, v37, s[20:21]
	v_mov_b32_e32 v17, 0
	v_add_u32_e32 v15, 1, v16
	v_add_u32_e32 v13, -1, v13
	v_lshlrev_b64 v[18:19], 3, v[16:17]
	v_min_u32_e32 v16, v15, v13
	v_lshlrev_b64 v[20:21], 3, v[16:17]
	v_add_co_u32_e32 v20, vcc, v34, v20
	v_addc_co_u32_e32 v21, vcc, v35, v21, vcc
	v_add_co_u32_e32 v18, vcc, v32, v18
	flat_load_dwordx2 v[20:21], v[20:21]
	v_addc_co_u32_e32 v19, vcc, v33, v19, vcc
	flat_load_dwordx2 v[18:19], v[18:19]
	v_cndmask_b32_e64 v22, v15, v14, s[20:21]
	v_cndmask_b32_e64 v23, v12, v15, s[20:21]
	v_cmp_lt_u32_e32 vcc, v22, v38
	s_waitcnt vmcnt(0) lgkmcnt(0)
	v_cndmask_b32_e64 v13, v21, v9, s[20:21]
	v_cndmask_b32_e64 v12, v20, v8, s[20:21]
	;; [unrolled: 1-line block ×4, first 2 shown]
	s_and_saveexec_b64 s[22:23], vcc
	s_cbranch_execz .LBB1241_176
; %bb.173:
	v_cmp_lt_u32_e32 vcc, v23, v37
	s_mov_b64 s[24:25], 0
	s_and_saveexec_b64 s[8:9], vcc
	s_cbranch_execz .LBB1241_175
; %bb.174:
	v_add_f64 v[20:21], v[14:15], 0
	v_add_f64 v[24:25], v[12:13], 0
	v_ashrrev_i32_e32 v16, 31, v21
	v_or_b32_e32 v26, 0x80000000, v16
	v_xor_b32_e32 v20, v16, v20
	v_ashrrev_i32_e32 v16, 31, v25
	v_xor_b32_e32 v21, v26, v21
	v_or_b32_e32 v26, 0x80000000, v16
	v_xor_b32_e32 v25, v26, v25
	v_xor_b32_e32 v24, v16, v24
	v_cmp_le_u64_e32 vcc, v[20:21], v[24:25]
	s_and_b64 s[24:25], vcc, exec
.LBB1241_175:
	s_or_b64 exec, exec, s[8:9]
	s_orn2_b64 s[8:9], s[24:25], exec
.LBB1241_176:
	s_or_b64 exec, exec, s[22:23]
	v_cndmask_b32_e64 v16, v22, v23, s[8:9]
	v_cndmask_b32_e64 v24, v38, v37, s[8:9]
	v_lshlrev_b64 v[20:21], 3, v[16:17]
	v_add_u32_e32 v26, 1, v16
	v_add_u32_e32 v16, -1, v24
	v_min_u32_e32 v16, v26, v16
	v_lshlrev_b64 v[16:17], 3, v[16:17]
	v_add_co_u32_e32 v16, vcc, v34, v16
	v_addc_co_u32_e32 v17, vcc, v35, v17, vcc
	flat_load_dwordx2 v[24:25], v[16:17]
	v_add_co_u32_e32 v16, vcc, v32, v20
	v_addc_co_u32_e32 v17, vcc, v33, v21, vcc
	flat_load_dwordx2 v[20:21], v[16:17]
	v_cndmask_b32_e64 v28, v26, v22, s[8:9]
	s_mov_b64 s[22:23], -1
	v_cndmask_b32_e64 v29, v23, v26, s[8:9]
	v_cmp_lt_u32_e32 vcc, v28, v38
	s_mov_b64 s[24:25], -1
	s_waitcnt vmcnt(0) lgkmcnt(0)
	v_cndmask_b32_e64 v17, v25, v13, s[8:9]
	v_cndmask_b32_e64 v16, v24, v12, s[8:9]
	v_cndmask_b32_e64 v27, v15, v25, s[8:9]
	v_cndmask_b32_e64 v26, v14, v24, s[8:9]
	s_and_saveexec_b64 s[26:27], vcc
	s_cbranch_execz .LBB1241_180
; %bb.177:
	v_cmp_lt_u32_e32 vcc, v29, v37
	s_mov_b64 s[28:29], 0
	s_and_saveexec_b64 s[24:25], vcc
	s_cbranch_execz .LBB1241_179
; %bb.178:
	v_add_f64 v[22:23], v[26:27], 0
	v_add_f64 v[24:25], v[16:17], 0
	v_ashrrev_i32_e32 v30, 31, v23
	v_or_b32_e32 v31, 0x80000000, v30
	v_xor_b32_e32 v22, v30, v22
	v_ashrrev_i32_e32 v30, 31, v25
	v_xor_b32_e32 v23, v31, v23
	v_or_b32_e32 v31, 0x80000000, v30
	v_xor_b32_e32 v25, v31, v25
	v_xor_b32_e32 v24, v30, v24
	v_cmp_le_u64_e32 vcc, v[22:23], v[24:25]
	s_and_b64 s[28:29], vcc, exec
.LBB1241_179:
	s_or_b64 exec, exec, s[24:25]
	s_orn2_b64 s[24:25], s[28:29], exec
.LBB1241_180:
	s_or_b64 exec, exec, s[26:27]
	v_cndmask_b32_e64 v24, v28, v29, s[24:25]
	v_cndmask_b32_e64 v30, v38, v37, s[24:25]
	v_mov_b32_e32 v25, 0
	v_lshlrev_b64 v[22:23], 3, v[24:25]
	v_add_u32_e32 v39, 1, v24
	v_add_u32_e32 v24, -1, v30
	v_min_u32_e32 v24, v39, v24
	v_lshlrev_b64 v[30:31], 3, v[24:25]
	v_add_co_u32_e32 v30, vcc, v34, v30
	v_addc_co_u32_e32 v31, vcc, v35, v31, vcc
	v_add_co_u32_e32 v22, vcc, v32, v22
	flat_load_dwordx2 v[30:31], v[30:31]
	v_addc_co_u32_e32 v23, vcc, v33, v23, vcc
	flat_load_dwordx2 v[22:23], v[22:23]
	v_cndmask_b32_e64 v24, v39, v28, s[24:25]
	v_cndmask_b32_e64 v39, v29, v39, s[24:25]
	v_cmp_lt_u32_e32 vcc, v24, v38
	s_waitcnt vmcnt(0) lgkmcnt(0)
	v_cndmask_b32_e64 v29, v31, v17, s[24:25]
	v_cndmask_b32_e64 v28, v30, v16, s[24:25]
	;; [unrolled: 1-line block ×4, first 2 shown]
	s_and_saveexec_b64 s[26:27], vcc
	s_cbranch_execz .LBB1241_184
; %bb.181:
	v_cmp_lt_u32_e32 vcc, v39, v37
	s_mov_b64 s[28:29], 0
	s_and_saveexec_b64 s[22:23], vcc
	s_cbranch_execz .LBB1241_183
; %bb.182:
	v_add_f64 v[48:49], v[30:31], 0
	v_add_f64 v[50:51], v[28:29], 0
	v_ashrrev_i32_e32 v37, 31, v49
	v_or_b32_e32 v38, 0x80000000, v37
	v_xor_b32_e32 v48, v37, v48
	v_ashrrev_i32_e32 v37, 31, v51
	v_xor_b32_e32 v49, v38, v49
	v_or_b32_e32 v38, 0x80000000, v37
	v_xor_b32_e32 v51, v38, v51
	v_xor_b32_e32 v50, v37, v50
	v_cmp_le_u64_e32 vcc, v[48:49], v[50:51]
	s_and_b64 s[28:29], vcc, exec
.LBB1241_183:
	s_or_b64 exec, exec, s[22:23]
	s_orn2_b64 s[22:23], s[28:29], exec
.LBB1241_184:
	s_or_b64 exec, exec, s[26:27]
	v_cndmask_b32_e64 v24, v24, v39, s[22:23]
	v_lshlrev_b64 v[24:25], 3, v[24:25]
	v_add_co_u32_e32 v24, vcc, v32, v24
	v_addc_co_u32_e32 v25, vcc, v33, v25, vcc
	flat_load_dwordx2 v[24:25], v[24:25]
	v_cndmask_b32_e64 v81, v17, v27, s[24:25]
	v_cndmask_b32_e64 v80, v16, v26, s[24:25]
	;; [unrolled: 1-line block ×8, first 2 shown]
.LBB1241_185:
	s_or_b64 exec, exec, s[12:13]
	; wave barrier
	flat_store_dwordx4 v[2:3], v[84:87]
	flat_store_dwordx4 v[0:1], v[18:21]
	flat_store_dwordx4 v[2:3], v[80:83] offset:16
	s_waitcnt vmcnt(0) lgkmcnt(0)
	flat_store_dwordx4 v[0:1], v[22:25] offset:16
	v_and_b32_e32 v2, 0x1e0, v99
	v_or_b32_e32 v0, 16, v2
	v_min_u32_e32 v30, v36, v0
	v_add_u32_e32 v0, 16, v30
	v_min_u32_e32 v31, v36, v0
	v_min_u32_e32 v3, v36, v100
	v_sub_u32_e32 v0, v30, v2
	v_sub_u32_e32 v1, v31, v30
	v_sub_u32_e64 v7, v3, v1 clamp
	v_min_u32_e32 v6, v3, v0
	v_cmp_lt_u32_e32 vcc, v7, v6
	; wave barrier
	s_and_saveexec_b64 s[8:9], vcc
	s_cbranch_execz .LBB1241_189
; %bb.186:
	v_lshlrev_b32_e32 v0, 3, v2
	v_add_co_u32_e32 v8, vcc, v34, v0
	v_addc_co_u32_e32 v9, vcc, 0, v35, vcc
	v_lshlrev_b32_e32 v0, 3, v30
	v_add_co_u32_e32 v12, vcc, v34, v0
	v_addc_co_u32_e32 v13, vcc, 0, v35, vcc
	s_mov_b64 s[12:13], 0
	v_mov_b32_e32 v1, 0
.LBB1241_187:                           ; =>This Inner Loop Header: Depth=1
	v_add_u32_e32 v0, v6, v7
	v_lshrrev_b32_e32 v0, 1, v0
	v_lshlrev_b64 v[16:17], 3, v[0:1]
	v_mov_b32_e32 v15, v1
	v_xad_u32 v14, v0, -1, v3
	v_add_co_u32_e32 v16, vcc, v8, v16
	v_addc_co_u32_e32 v17, vcc, v9, v17, vcc
	v_lshlrev_b64 v[14:15], 3, v[14:15]
	v_add_co_u32_e32 v14, vcc, v12, v14
	v_addc_co_u32_e32 v15, vcc, v13, v15, vcc
	flat_load_dwordx2 v[26:27], v[16:17]
	flat_load_dwordx2 v[28:29], v[14:15]
	v_add_u32_e32 v36, 1, v0
	s_waitcnt vmcnt(0) lgkmcnt(0)
	v_add_f64 v[14:15], v[26:27], 0
	v_add_f64 v[16:17], v[28:29], 0
	v_ashrrev_i32_e32 v26, 31, v15
	v_or_b32_e32 v27, 0x80000000, v26
	v_xor_b32_e32 v14, v26, v14
	v_ashrrev_i32_e32 v26, 31, v17
	v_xor_b32_e32 v15, v27, v15
	v_or_b32_e32 v27, 0x80000000, v26
	v_xor_b32_e32 v16, v26, v16
	v_xor_b32_e32 v17, v27, v17
	v_cmp_gt_u64_e32 vcc, v[14:15], v[16:17]
	v_cndmask_b32_e32 v6, v6, v0, vcc
	v_cndmask_b32_e32 v7, v36, v7, vcc
	v_cmp_ge_u32_e32 vcc, v7, v6
	s_or_b64 s[12:13], vcc, s[12:13]
	s_andn2_b64 exec, exec, s[12:13]
	s_cbranch_execnz .LBB1241_187
; %bb.188:
	s_or_b64 exec, exec, s[12:13]
.LBB1241_189:
	s_or_b64 exec, exec, s[8:9]
	v_add_u32_e32 v0, v30, v3
	v_add_u32_e32 v6, v7, v2
	v_sub_u32_e32 v8, v0, v7
	v_cmp_le_u32_e32 vcc, v6, v30
	v_cmp_le_u32_e64 s[8:9], v8, v31
	s_or_b64 s[8:9], vcc, s[8:9]
	s_and_saveexec_b64 s[12:13], s[8:9]
	s_cbranch_execz .LBB1241_209
; %bb.190:
	v_cmp_ge_u32_e32 vcc, v6, v30
	v_cmp_lt_u32_e64 s[8:9], v6, v30
                                        ; implicit-def: $vgpr0_vgpr1
	s_and_saveexec_b64 s[20:21], s[8:9]
	s_cbranch_execz .LBB1241_192
; %bb.191:
	v_mov_b32_e32 v7, 0
	v_lshlrev_b64 v[0:1], 3, v[6:7]
	v_add_co_u32_e64 v0, s[8:9], v34, v0
	v_addc_co_u32_e64 v1, s[8:9], v35, v1, s[8:9]
	flat_load_dwordx2 v[0:1], v[0:1]
.LBB1241_192:
	s_or_b64 exec, exec, s[20:21]
	v_cmp_ge_u32_e64 s[20:21], v8, v31
	v_cmp_lt_u32_e64 s[8:9], v8, v31
                                        ; implicit-def: $vgpr2_vgpr3
	s_and_saveexec_b64 s[22:23], s[8:9]
	s_cbranch_execz .LBB1241_194
; %bb.193:
	v_mov_b32_e32 v9, 0
	v_lshlrev_b64 v[2:3], 3, v[8:9]
	v_add_co_u32_e64 v2, s[8:9], v34, v2
	v_addc_co_u32_e64 v3, s[8:9], v35, v3, s[8:9]
	flat_load_dwordx2 v[2:3], v[2:3]
.LBB1241_194:
	s_or_b64 exec, exec, s[22:23]
	s_or_b64 s[22:23], vcc, s[20:21]
	s_mov_b64 s[8:9], -1
	s_xor_b64 s[24:25], s[22:23], -1
	s_and_saveexec_b64 s[22:23], s[24:25]
	s_cbranch_execz .LBB1241_196
; %bb.195:
	s_waitcnt vmcnt(0) lgkmcnt(0)
	v_add_f64 v[12:13], v[0:1], 0
	v_add_f64 v[14:15], v[2:3], 0
	v_ashrrev_i32_e32 v7, 31, v13
	v_or_b32_e32 v9, 0x80000000, v7
	v_xor_b32_e32 v12, v7, v12
	v_ashrrev_i32_e32 v7, 31, v15
	v_xor_b32_e32 v13, v9, v13
	v_or_b32_e32 v9, 0x80000000, v7
	v_xor_b32_e32 v15, v9, v15
	v_xor_b32_e32 v14, v7, v14
	v_cmp_le_u64_e32 vcc, v[12:13], v[14:15]
	s_andn2_b64 s[20:21], s[20:21], exec
	s_and_b64 s[24:25], vcc, exec
	s_or_b64 s[20:21], s[20:21], s[24:25]
.LBB1241_196:
	s_or_b64 exec, exec, s[22:23]
	v_cndmask_b32_e64 v12, v8, v6, s[20:21]
	v_cndmask_b32_e64 v7, v31, v30, s[20:21]
	v_mov_b32_e32 v13, 0
	v_add_u32_e32 v9, 1, v12
	v_add_u32_e32 v7, -1, v7
	v_lshlrev_b64 v[14:15], 3, v[12:13]
	v_min_u32_e32 v12, v9, v7
	v_lshlrev_b64 v[16:17], 3, v[12:13]
	v_add_co_u32_e32 v16, vcc, v34, v16
	v_addc_co_u32_e32 v17, vcc, v35, v17, vcc
	v_add_co_u32_e32 v14, vcc, v32, v14
	flat_load_dwordx2 v[16:17], v[16:17]
	v_addc_co_u32_e32 v15, vcc, v33, v15, vcc
	flat_load_dwordx2 v[18:19], v[14:15]
	v_cndmask_b32_e64 v14, v9, v8, s[20:21]
	v_cndmask_b32_e64 v15, v6, v9, s[20:21]
	v_cmp_lt_u32_e32 vcc, v14, v31
	s_waitcnt vmcnt(0) lgkmcnt(0)
	v_cndmask_b32_e64 v7, v17, v3, s[20:21]
	v_cndmask_b32_e64 v6, v16, v2, s[20:21]
	;; [unrolled: 1-line block ×4, first 2 shown]
	s_and_saveexec_b64 s[22:23], vcc
	s_cbranch_execz .LBB1241_200
; %bb.197:
	v_cmp_lt_u32_e32 vcc, v15, v30
	s_mov_b64 s[24:25], 0
	s_and_saveexec_b64 s[8:9], vcc
	s_cbranch_execz .LBB1241_199
; %bb.198:
	v_add_f64 v[16:17], v[8:9], 0
	v_add_f64 v[20:21], v[6:7], 0
	v_ashrrev_i32_e32 v12, 31, v17
	v_or_b32_e32 v22, 0x80000000, v12
	v_xor_b32_e32 v16, v12, v16
	v_ashrrev_i32_e32 v12, 31, v21
	v_xor_b32_e32 v17, v22, v17
	v_or_b32_e32 v22, 0x80000000, v12
	v_xor_b32_e32 v21, v22, v21
	v_xor_b32_e32 v20, v12, v20
	v_cmp_le_u64_e32 vcc, v[16:17], v[20:21]
	s_and_b64 s[24:25], vcc, exec
.LBB1241_199:
	s_or_b64 exec, exec, s[8:9]
	s_orn2_b64 s[8:9], s[24:25], exec
.LBB1241_200:
	s_or_b64 exec, exec, s[22:23]
	v_cndmask_b32_e64 v12, v14, v15, s[8:9]
	v_cndmask_b32_e64 v20, v31, v30, s[8:9]
	v_lshlrev_b64 v[16:17], 3, v[12:13]
	v_add_u32_e32 v25, 1, v12
	v_add_u32_e32 v12, -1, v20
	v_min_u32_e32 v12, v25, v12
	v_lshlrev_b64 v[12:13], 3, v[12:13]
	v_add_co_u32_e32 v12, vcc, v34, v12
	v_addc_co_u32_e32 v13, vcc, v35, v13, vcc
	flat_load_dwordx2 v[22:23], v[12:13]
	v_add_co_u32_e32 v12, vcc, v32, v16
	v_addc_co_u32_e32 v13, vcc, v33, v17, vcc
	flat_load_dwordx2 v[20:21], v[12:13]
	v_cndmask_b32_e64 v24, v25, v14, s[8:9]
	s_mov_b64 s[22:23], -1
	v_cndmask_b32_e64 v25, v15, v25, s[8:9]
	v_cmp_lt_u32_e32 vcc, v24, v31
	s_mov_b64 s[24:25], -1
	s_waitcnt vmcnt(0) lgkmcnt(0)
	v_cndmask_b32_e64 v13, v23, v7, s[8:9]
	v_cndmask_b32_e64 v12, v22, v6, s[8:9]
	;; [unrolled: 1-line block ×4, first 2 shown]
	s_and_saveexec_b64 s[26:27], vcc
	s_cbranch_execz .LBB1241_204
; %bb.201:
	v_cmp_lt_u32_e32 vcc, v25, v30
	s_mov_b64 s[28:29], 0
	s_and_saveexec_b64 s[24:25], vcc
	s_cbranch_execz .LBB1241_203
; %bb.202:
	v_add_f64 v[16:17], v[14:15], 0
	v_add_f64 v[22:23], v[12:13], 0
	v_ashrrev_i32_e32 v26, 31, v17
	v_or_b32_e32 v27, 0x80000000, v26
	v_xor_b32_e32 v16, v26, v16
	v_ashrrev_i32_e32 v26, 31, v23
	v_xor_b32_e32 v17, v27, v17
	v_or_b32_e32 v27, 0x80000000, v26
	v_xor_b32_e32 v23, v27, v23
	v_xor_b32_e32 v22, v26, v22
	v_cmp_le_u64_e32 vcc, v[16:17], v[22:23]
	s_and_b64 s[28:29], vcc, exec
.LBB1241_203:
	s_or_b64 exec, exec, s[24:25]
	s_orn2_b64 s[24:25], s[28:29], exec
.LBB1241_204:
	s_or_b64 exec, exec, s[26:27]
	v_cndmask_b32_e64 v16, v24, v25, s[24:25]
	v_cndmask_b32_e64 v26, v31, v30, s[24:25]
	v_mov_b32_e32 v17, 0
	v_lshlrev_b64 v[22:23], 3, v[16:17]
	v_add_u32_e32 v36, 1, v16
	v_add_u32_e32 v16, -1, v26
	v_min_u32_e32 v16, v36, v16
	v_lshlrev_b64 v[26:27], 3, v[16:17]
	v_add_co_u32_e32 v26, vcc, v34, v26
	v_addc_co_u32_e32 v27, vcc, v35, v27, vcc
	v_add_co_u32_e32 v22, vcc, v32, v22
	flat_load_dwordx2 v[28:29], v[26:27]
	v_addc_co_u32_e32 v23, vcc, v33, v23, vcc
	flat_load_dwordx2 v[22:23], v[22:23]
	v_cndmask_b32_e64 v16, v36, v24, s[24:25]
	v_cndmask_b32_e64 v24, v25, v36, s[24:25]
	v_cmp_lt_u32_e32 vcc, v16, v31
	s_waitcnt vmcnt(0) lgkmcnt(0)
	v_cndmask_b32_e64 v27, v29, v13, s[24:25]
	v_cndmask_b32_e64 v26, v28, v12, s[24:25]
	;; [unrolled: 1-line block ×4, first 2 shown]
	s_and_saveexec_b64 s[26:27], vcc
	s_cbranch_execz .LBB1241_208
; %bb.205:
	v_cmp_lt_u32_e32 vcc, v24, v30
	s_mov_b64 s[28:29], 0
	s_and_saveexec_b64 s[22:23], vcc
	s_cbranch_execz .LBB1241_207
; %bb.206:
	v_add_f64 v[30:31], v[28:29], 0
	v_add_f64 v[34:35], v[26:27], 0
	v_ashrrev_i32_e32 v25, 31, v31
	v_or_b32_e32 v36, 0x80000000, v25
	v_xor_b32_e32 v30, v25, v30
	v_ashrrev_i32_e32 v25, 31, v35
	v_xor_b32_e32 v31, v36, v31
	v_or_b32_e32 v36, 0x80000000, v25
	v_xor_b32_e32 v35, v36, v35
	v_xor_b32_e32 v34, v25, v34
	v_cmp_le_u64_e32 vcc, v[30:31], v[34:35]
	s_and_b64 s[28:29], vcc, exec
.LBB1241_207:
	s_or_b64 exec, exec, s[22:23]
	s_orn2_b64 s[22:23], s[28:29], exec
.LBB1241_208:
	s_or_b64 exec, exec, s[26:27]
	v_cndmask_b32_e64 v16, v16, v24, s[22:23]
	v_lshlrev_b64 v[16:17], 3, v[16:17]
	v_add_co_u32_e32 v16, vcc, v32, v16
	v_addc_co_u32_e32 v17, vcc, v33, v17, vcc
	flat_load_dwordx2 v[24:25], v[16:17]
	v_cndmask_b32_e64 v81, v13, v15, s[24:25]
	v_cndmask_b32_e64 v80, v12, v14, s[24:25]
	;; [unrolled: 1-line block ×8, first 2 shown]
.LBB1241_209:
	s_or_b64 exec, exec, s[12:13]
	v_add_co_u32_e32 v0, vcc, v4, v96
	v_addc_co_u32_e32 v1, vcc, v5, v97, vcc
	v_add_co_u32_e32 v0, vcc, v0, v98
	v_addc_co_u32_e32 v1, vcc, 0, v1, vcc
	; wave barrier
	s_waitcnt lgkmcnt(0)
	s_barrier
	s_waitcnt lgkmcnt(0)
	; wave barrier
	s_and_saveexec_b64 s[8:9], s[4:5]
	s_cbranch_execnz .LBB1241_230
; %bb.210:
	s_or_b64 exec, exec, s[8:9]
	s_and_saveexec_b64 s[8:9], s[6:7]
	s_cbranch_execnz .LBB1241_231
.LBB1241_211:
	s_or_b64 exec, exec, s[8:9]
	s_and_saveexec_b64 s[8:9], s[10:11]
	s_cbranch_execnz .LBB1241_232
.LBB1241_212:
	s_or_b64 exec, exec, s[8:9]
	s_and_saveexec_b64 s[8:9], s[14:15]
	s_cbranch_execz .LBB1241_214
.LBB1241_213:
	flat_store_dwordx2 v[0:1], v[82:83] offset:24
.LBB1241_214:
	s_or_b64 exec, exec, s[8:9]
	v_add_co_u32_e32 v0, vcc, v10, v96
	v_addc_co_u32_e32 v1, vcc, v11, v97, vcc
	v_add_co_u32_e32 v0, vcc, v0, v98
	v_addc_co_u32_e32 v1, vcc, 0, v1, vcc
	; wave barrier
	s_and_saveexec_b64 s[8:9], s[4:5]
	s_cbranch_execnz .LBB1241_233
; %bb.215:
	s_or_b64 exec, exec, s[8:9]
	s_and_saveexec_b64 s[4:5], s[6:7]
	s_cbranch_execnz .LBB1241_234
.LBB1241_216:
	s_or_b64 exec, exec, s[4:5]
	s_and_saveexec_b64 s[4:5], s[10:11]
	s_cbranch_execz .LBB1241_218
.LBB1241_217:
	flat_store_dwordx2 v[0:1], v[22:23] offset:16
.LBB1241_218:
	s_or_b64 exec, exec, s[4:5]
	s_andn2_b64 s[4:5], s[16:17], exec
	s_and_b64 s[6:7], s[14:15], exec
	s_or_b64 s[16:17], s[4:5], s[6:7]
	v_pk_mov_b32 v[8:9], v[10:11], v[10:11] op_sel:[0,1]
	s_or_b64 exec, exec, s[18:19]
	s_and_saveexec_b64 s[4:5], s[16:17]
	s_cbranch_execnz .LBB1241_3
	s_branch .LBB1241_4
.LBB1241_219:
	flat_load_dwordx2 v[18:19], v[0:1]
	s_or_b64 exec, exec, s[16:17]
	s_and_saveexec_b64 s[16:17], s[6:7]
	s_cbranch_execz .LBB1241_15
.LBB1241_220:
	flat_load_dwordx2 v[20:21], v[0:1] offset:8
	s_or_b64 exec, exec, s[16:17]
	s_and_saveexec_b64 s[16:17], s[10:11]
	s_cbranch_execz .LBB1241_16
.LBB1241_221:
	flat_load_dwordx2 v[22:23], v[0:1] offset:16
	s_or_b64 exec, exec, s[16:17]
	s_and_saveexec_b64 s[16:17], s[14:15]
	s_cbranch_execnz .LBB1241_17
	s_branch .LBB1241_18
.LBB1241_222:
	flat_store_dwordx2 v[0:1], v[80:81]
	s_or_b64 exec, exec, s[16:17]
	s_and_saveexec_b64 s[16:17], s[6:7]
	s_cbranch_execz .LBB1241_104
.LBB1241_223:
	flat_store_dwordx2 v[0:1], v[82:83] offset:8
	s_or_b64 exec, exec, s[16:17]
	s_and_saveexec_b64 s[16:17], s[10:11]
	s_cbranch_execz .LBB1241_105
.LBB1241_224:
	flat_store_dwordx2 v[0:1], v[10:11] offset:16
	s_or_b64 exec, exec, s[16:17]
	s_and_saveexec_b64 s[16:17], s[14:15]
	s_cbranch_execnz .LBB1241_106
	s_branch .LBB1241_107
.LBB1241_225:
	flat_store_dwordx2 v[0:1], v[18:19]
	s_or_b64 exec, exec, s[16:17]
	s_and_saveexec_b64 s[16:17], s[6:7]
	s_cbranch_execz .LBB1241_109
.LBB1241_226:
	flat_store_dwordx2 v[0:1], v[20:21] offset:8
	s_or_b64 exec, exec, s[16:17]
	s_and_saveexec_b64 s[6:7], s[10:11]
	s_cbranch_execnz .LBB1241_110
	s_branch .LBB1241_111
.LBB1241_227:
	flat_load_dwordx2 v[18:19], v[0:1]
	s_or_b64 exec, exec, s[20:21]
	s_and_saveexec_b64 s[20:21], s[6:7]
	s_cbranch_execz .LBB1241_122
.LBB1241_228:
	flat_load_dwordx2 v[20:21], v[0:1] offset:8
	s_or_b64 exec, exec, s[20:21]
	s_and_saveexec_b64 s[20:21], s[10:11]
	s_cbranch_execz .LBB1241_123
.LBB1241_229:
	flat_load_dwordx2 v[22:23], v[0:1] offset:16
	s_or_b64 exec, exec, s[20:21]
	s_and_saveexec_b64 s[20:21], s[14:15]
	s_cbranch_execnz .LBB1241_124
	s_branch .LBB1241_125
.LBB1241_230:
	flat_store_dwordx2 v[0:1], v[84:85]
	s_or_b64 exec, exec, s[8:9]
	s_and_saveexec_b64 s[8:9], s[6:7]
	s_cbranch_execz .LBB1241_211
.LBB1241_231:
	flat_store_dwordx2 v[0:1], v[86:87] offset:8
	s_or_b64 exec, exec, s[8:9]
	s_and_saveexec_b64 s[8:9], s[10:11]
	s_cbranch_execz .LBB1241_212
.LBB1241_232:
	flat_store_dwordx2 v[0:1], v[80:81] offset:16
	s_or_b64 exec, exec, s[8:9]
	s_and_saveexec_b64 s[8:9], s[14:15]
	s_cbranch_execnz .LBB1241_213
	s_branch .LBB1241_214
.LBB1241_233:
	flat_store_dwordx2 v[0:1], v[18:19]
	s_or_b64 exec, exec, s[8:9]
	s_and_saveexec_b64 s[4:5], s[6:7]
	s_cbranch_execz .LBB1241_216
.LBB1241_234:
	flat_store_dwordx2 v[0:1], v[20:21] offset:8
	s_or_b64 exec, exec, s[4:5]
	s_and_saveexec_b64 s[4:5], s[10:11]
	s_cbranch_execnz .LBB1241_217
	s_branch .LBB1241_218
.Lfunc_end1241:
	.size	_ZN7rocprim17ROCPRIM_400000_NS6detail26segmented_warp_sort_helperINS1_20WarpSortHelperConfigILj8ELj4ELj256EEEdlLi256ELb0EvE4sortIPKdPdPKlPlEEvT_S9_T0_T1_SC_T2_bjjjjRNS5_12storage_typeE, .Lfunc_end1241-_ZN7rocprim17ROCPRIM_400000_NS6detail26segmented_warp_sort_helperINS1_20WarpSortHelperConfigILj8ELj4ELj256EEEdlLi256ELb0EvE4sortIPKdPdPKlPlEEvT_S9_T0_T1_SC_T2_bjjjjRNS5_12storage_typeE
                                        ; -- End function
	.section	.AMDGPU.csdata,"",@progbits
; Function info:
; codeLenInByte = 11480
; NumSgprs: 37
; NumVgprs: 101
; NumAgprs: 0
; TotalNumVgprs: 101
; ScratchSize: 8
; MemoryBound: 1
	.section	.text._ZN7rocprim17ROCPRIM_400000_NS6detail17trampoline_kernelINS0_14default_configENS1_36segmented_radix_sort_config_selectorIdlEEZNS1_25segmented_radix_sort_implIS3_Lb0EPKdPdPKlPlN2at6native12_GLOBAL__N_18offset_tEEE10hipError_tPvRmT1_PNSt15iterator_traitsISK_E10value_typeET2_T3_PNSL_ISQ_E10value_typeET4_jRbjT5_SW_jjP12ihipStream_tbEUlT_E1_NS1_11comp_targetILNS1_3genE4ELNS1_11target_archE910ELNS1_3gpuE8ELNS1_3repE0EEENS1_59segmented_radix_sort_warp_sort_small_config_static_selectorELNS0_4arch9wavefront6targetE1EEEvSK_,"axG",@progbits,_ZN7rocprim17ROCPRIM_400000_NS6detail17trampoline_kernelINS0_14default_configENS1_36segmented_radix_sort_config_selectorIdlEEZNS1_25segmented_radix_sort_implIS3_Lb0EPKdPdPKlPlN2at6native12_GLOBAL__N_18offset_tEEE10hipError_tPvRmT1_PNSt15iterator_traitsISK_E10value_typeET2_T3_PNSL_ISQ_E10value_typeET4_jRbjT5_SW_jjP12ihipStream_tbEUlT_E1_NS1_11comp_targetILNS1_3genE4ELNS1_11target_archE910ELNS1_3gpuE8ELNS1_3repE0EEENS1_59segmented_radix_sort_warp_sort_small_config_static_selectorELNS0_4arch9wavefront6targetE1EEEvSK_,comdat
	.globl	_ZN7rocprim17ROCPRIM_400000_NS6detail17trampoline_kernelINS0_14default_configENS1_36segmented_radix_sort_config_selectorIdlEEZNS1_25segmented_radix_sort_implIS3_Lb0EPKdPdPKlPlN2at6native12_GLOBAL__N_18offset_tEEE10hipError_tPvRmT1_PNSt15iterator_traitsISK_E10value_typeET2_T3_PNSL_ISQ_E10value_typeET4_jRbjT5_SW_jjP12ihipStream_tbEUlT_E1_NS1_11comp_targetILNS1_3genE4ELNS1_11target_archE910ELNS1_3gpuE8ELNS1_3repE0EEENS1_59segmented_radix_sort_warp_sort_small_config_static_selectorELNS0_4arch9wavefront6targetE1EEEvSK_ ; -- Begin function _ZN7rocprim17ROCPRIM_400000_NS6detail17trampoline_kernelINS0_14default_configENS1_36segmented_radix_sort_config_selectorIdlEEZNS1_25segmented_radix_sort_implIS3_Lb0EPKdPdPKlPlN2at6native12_GLOBAL__N_18offset_tEEE10hipError_tPvRmT1_PNSt15iterator_traitsISK_E10value_typeET2_T3_PNSL_ISQ_E10value_typeET4_jRbjT5_SW_jjP12ihipStream_tbEUlT_E1_NS1_11comp_targetILNS1_3genE4ELNS1_11target_archE910ELNS1_3gpuE8ELNS1_3repE0EEENS1_59segmented_radix_sort_warp_sort_small_config_static_selectorELNS0_4arch9wavefront6targetE1EEEvSK_
	.p2align	8
	.type	_ZN7rocprim17ROCPRIM_400000_NS6detail17trampoline_kernelINS0_14default_configENS1_36segmented_radix_sort_config_selectorIdlEEZNS1_25segmented_radix_sort_implIS3_Lb0EPKdPdPKlPlN2at6native12_GLOBAL__N_18offset_tEEE10hipError_tPvRmT1_PNSt15iterator_traitsISK_E10value_typeET2_T3_PNSL_ISQ_E10value_typeET4_jRbjT5_SW_jjP12ihipStream_tbEUlT_E1_NS1_11comp_targetILNS1_3genE4ELNS1_11target_archE910ELNS1_3gpuE8ELNS1_3repE0EEENS1_59segmented_radix_sort_warp_sort_small_config_static_selectorELNS0_4arch9wavefront6targetE1EEEvSK_,@function
_ZN7rocprim17ROCPRIM_400000_NS6detail17trampoline_kernelINS0_14default_configENS1_36segmented_radix_sort_config_selectorIdlEEZNS1_25segmented_radix_sort_implIS3_Lb0EPKdPdPKlPlN2at6native12_GLOBAL__N_18offset_tEEE10hipError_tPvRmT1_PNSt15iterator_traitsISK_E10value_typeET2_T3_PNSL_ISQ_E10value_typeET4_jRbjT5_SW_jjP12ihipStream_tbEUlT_E1_NS1_11comp_targetILNS1_3genE4ELNS1_11target_archE910ELNS1_3gpuE8ELNS1_3repE0EEENS1_59segmented_radix_sort_warp_sort_small_config_static_selectorELNS0_4arch9wavefront6targetE1EEEvSK_: ; @_ZN7rocprim17ROCPRIM_400000_NS6detail17trampoline_kernelINS0_14default_configENS1_36segmented_radix_sort_config_selectorIdlEEZNS1_25segmented_radix_sort_implIS3_Lb0EPKdPdPKlPlN2at6native12_GLOBAL__N_18offset_tEEE10hipError_tPvRmT1_PNSt15iterator_traitsISK_E10value_typeET2_T3_PNSL_ISQ_E10value_typeET4_jRbjT5_SW_jjP12ihipStream_tbEUlT_E1_NS1_11comp_targetILNS1_3genE4ELNS1_11target_archE910ELNS1_3gpuE8ELNS1_3repE0EEENS1_59segmented_radix_sort_warp_sort_small_config_static_selectorELNS0_4arch9wavefront6targetE1EEEvSK_
; %bb.0:
	s_add_u32 flat_scratch_lo, s6, s10
	s_mov_b32 s12, s8
	s_load_dword s6, s[4:5], 0x64
	s_load_dword s8, s[4:5], 0x34
	s_addc_u32 flat_scratch_hi, s7, 0
	s_add_u32 s0, s0, s10
	s_addc_u32 s1, s1, 0
	s_waitcnt lgkmcnt(0)
	s_lshr_b32 s7, s6, 16
	v_bfe_u32 v1, v0, 10, 10
	v_bfe_u32 v2, v0, 20, 10
	s_and_b32 s6, s6, 0xffff
	v_mad_u32_u24 v1, v2, s7, v1
	v_and_b32_e32 v2, 0x3ff, v0
	v_mad_u64_u32 v[2:3], s[6:7], v1, s6, v[2:3]
	v_lshrrev_b32_e32 v1, 3, v2
	v_lshl_add_u32 v2, s12, 5, v1
	v_cmp_gt_u32_e32 vcc, s8, v2
	s_mov_b32 s32, 0
	s_and_saveexec_b64 s[6:7], vcc
	s_cbranch_execz .LBB1242_3
; %bb.1:
	s_mov_b32 s13, s9
	s_load_dwordx2 s[6:7], s[4:5], 0x38
	s_load_dwordx4 s[8:11], s[4:5], 0x40
	v_mov_b32_e32 v3, 0
	v_lshlrev_b64 v[2:3], 2, v[2:3]
	s_waitcnt lgkmcnt(0)
	v_mov_b32_e32 v1, s7
	v_sub_co_u32_e32 v2, vcc, s6, v2
	v_subb_co_u32_e32 v3, vcc, v1, v3, vcc
	global_load_dword v1, v[2:3], off offset:-4
	s_waitcnt vmcnt(0)
	v_add_u32_e32 v2, s9, v1
	v_add_u32_e32 v1, s11, v1
	v_mul_lo_u32 v13, v2, s8
	v_mul_lo_u32 v14, v1, s10
	v_cmp_gt_u32_e32 vcc, v14, v13
	s_and_b64 exec, exec, vcc
	s_cbranch_execz .LBB1242_3
; %bb.2:
	s_load_dword s6, s[4:5], 0x30
	s_load_dwordx4 s[24:27], s[4:5], 0x20
	s_load_dwordx8 s[16:23], s[4:5], 0x0
	s_add_u32 s8, s4, 0x58
	s_addc_u32 s9, s5, 0
	s_waitcnt lgkmcnt(0)
	s_and_b32 s10, s6, 1
	s_mov_b64 s[4:5], src_shared_base
	v_mov_b32_e32 v31, v0
	v_mov_b32_e32 v0, s16
	;; [unrolled: 1-line block ×16, first 2 shown]
	s_getpc_b64 s[6:7]
	s_add_u32 s6, s6, _ZN7rocprim17ROCPRIM_400000_NS6detail26segmented_warp_sort_helperINS1_20WarpSortHelperConfigILj8ELj4ELj256EEEdlLi256ELb0EvE4sortIPKdPdPKlPlEEvT_S9_T0_T1_SC_T2_bjjjjRNS5_12storage_typeE@rel32@lo+4
	s_addc_u32 s7, s7, _ZN7rocprim17ROCPRIM_400000_NS6detail26segmented_warp_sort_helperINS1_20WarpSortHelperConfigILj8ELj4ELj256EEEdlLi256ELb0EvE4sortIPKdPdPKlPlEEvT_S9_T0_T1_SC_T2_bjjjjRNS5_12storage_typeE@rel32@hi+12
	s_swappc_b64 s[30:31], s[6:7]
.LBB1242_3:
	s_endpgm
	.section	.rodata,"a",@progbits
	.p2align	6, 0x0
	.amdhsa_kernel _ZN7rocprim17ROCPRIM_400000_NS6detail17trampoline_kernelINS0_14default_configENS1_36segmented_radix_sort_config_selectorIdlEEZNS1_25segmented_radix_sort_implIS3_Lb0EPKdPdPKlPlN2at6native12_GLOBAL__N_18offset_tEEE10hipError_tPvRmT1_PNSt15iterator_traitsISK_E10value_typeET2_T3_PNSL_ISQ_E10value_typeET4_jRbjT5_SW_jjP12ihipStream_tbEUlT_E1_NS1_11comp_targetILNS1_3genE4ELNS1_11target_archE910ELNS1_3gpuE8ELNS1_3repE0EEENS1_59segmented_radix_sort_warp_sort_small_config_static_selectorELNS0_4arch9wavefront6targetE1EEEvSK_
		.amdhsa_group_segment_fixed_size 16384
		.amdhsa_private_segment_fixed_size 8
		.amdhsa_kernarg_size 344
		.amdhsa_user_sgpr_count 8
		.amdhsa_user_sgpr_private_segment_buffer 1
		.amdhsa_user_sgpr_dispatch_ptr 0
		.amdhsa_user_sgpr_queue_ptr 0
		.amdhsa_user_sgpr_kernarg_segment_ptr 1
		.amdhsa_user_sgpr_dispatch_id 0
		.amdhsa_user_sgpr_flat_scratch_init 1
		.amdhsa_user_sgpr_kernarg_preload_length 0
		.amdhsa_user_sgpr_kernarg_preload_offset 0
		.amdhsa_user_sgpr_private_segment_size 0
		.amdhsa_uses_dynamic_stack 0
		.amdhsa_system_sgpr_private_segment_wavefront_offset 1
		.amdhsa_system_sgpr_workgroup_id_x 1
		.amdhsa_system_sgpr_workgroup_id_y 1
		.amdhsa_system_sgpr_workgroup_id_z 0
		.amdhsa_system_sgpr_workgroup_info 0
		.amdhsa_system_vgpr_workitem_id 2
		.amdhsa_next_free_vgpr 101
		.amdhsa_next_free_sgpr 33
		.amdhsa_accum_offset 104
		.amdhsa_reserve_vcc 1
		.amdhsa_reserve_flat_scratch 1
		.amdhsa_float_round_mode_32 0
		.amdhsa_float_round_mode_16_64 0
		.amdhsa_float_denorm_mode_32 3
		.amdhsa_float_denorm_mode_16_64 3
		.amdhsa_dx10_clamp 1
		.amdhsa_ieee_mode 1
		.amdhsa_fp16_overflow 0
		.amdhsa_tg_split 0
		.amdhsa_exception_fp_ieee_invalid_op 0
		.amdhsa_exception_fp_denorm_src 0
		.amdhsa_exception_fp_ieee_div_zero 0
		.amdhsa_exception_fp_ieee_overflow 0
		.amdhsa_exception_fp_ieee_underflow 0
		.amdhsa_exception_fp_ieee_inexact 0
		.amdhsa_exception_int_div_zero 0
	.end_amdhsa_kernel
	.section	.text._ZN7rocprim17ROCPRIM_400000_NS6detail17trampoline_kernelINS0_14default_configENS1_36segmented_radix_sort_config_selectorIdlEEZNS1_25segmented_radix_sort_implIS3_Lb0EPKdPdPKlPlN2at6native12_GLOBAL__N_18offset_tEEE10hipError_tPvRmT1_PNSt15iterator_traitsISK_E10value_typeET2_T3_PNSL_ISQ_E10value_typeET4_jRbjT5_SW_jjP12ihipStream_tbEUlT_E1_NS1_11comp_targetILNS1_3genE4ELNS1_11target_archE910ELNS1_3gpuE8ELNS1_3repE0EEENS1_59segmented_radix_sort_warp_sort_small_config_static_selectorELNS0_4arch9wavefront6targetE1EEEvSK_,"axG",@progbits,_ZN7rocprim17ROCPRIM_400000_NS6detail17trampoline_kernelINS0_14default_configENS1_36segmented_radix_sort_config_selectorIdlEEZNS1_25segmented_radix_sort_implIS3_Lb0EPKdPdPKlPlN2at6native12_GLOBAL__N_18offset_tEEE10hipError_tPvRmT1_PNSt15iterator_traitsISK_E10value_typeET2_T3_PNSL_ISQ_E10value_typeET4_jRbjT5_SW_jjP12ihipStream_tbEUlT_E1_NS1_11comp_targetILNS1_3genE4ELNS1_11target_archE910ELNS1_3gpuE8ELNS1_3repE0EEENS1_59segmented_radix_sort_warp_sort_small_config_static_selectorELNS0_4arch9wavefront6targetE1EEEvSK_,comdat
.Lfunc_end1242:
	.size	_ZN7rocprim17ROCPRIM_400000_NS6detail17trampoline_kernelINS0_14default_configENS1_36segmented_radix_sort_config_selectorIdlEEZNS1_25segmented_radix_sort_implIS3_Lb0EPKdPdPKlPlN2at6native12_GLOBAL__N_18offset_tEEE10hipError_tPvRmT1_PNSt15iterator_traitsISK_E10value_typeET2_T3_PNSL_ISQ_E10value_typeET4_jRbjT5_SW_jjP12ihipStream_tbEUlT_E1_NS1_11comp_targetILNS1_3genE4ELNS1_11target_archE910ELNS1_3gpuE8ELNS1_3repE0EEENS1_59segmented_radix_sort_warp_sort_small_config_static_selectorELNS0_4arch9wavefront6targetE1EEEvSK_, .Lfunc_end1242-_ZN7rocprim17ROCPRIM_400000_NS6detail17trampoline_kernelINS0_14default_configENS1_36segmented_radix_sort_config_selectorIdlEEZNS1_25segmented_radix_sort_implIS3_Lb0EPKdPdPKlPlN2at6native12_GLOBAL__N_18offset_tEEE10hipError_tPvRmT1_PNSt15iterator_traitsISK_E10value_typeET2_T3_PNSL_ISQ_E10value_typeET4_jRbjT5_SW_jjP12ihipStream_tbEUlT_E1_NS1_11comp_targetILNS1_3genE4ELNS1_11target_archE910ELNS1_3gpuE8ELNS1_3repE0EEENS1_59segmented_radix_sort_warp_sort_small_config_static_selectorELNS0_4arch9wavefront6targetE1EEEvSK_
                                        ; -- End function
	.section	.AMDGPU.csdata,"",@progbits
; Kernel info:
; codeLenInByte = 356
; NumSgprs: 39
; NumVgprs: 101
; NumAgprs: 0
; TotalNumVgprs: 101
; ScratchSize: 8
; MemoryBound: 0
; FloatMode: 240
; IeeeMode: 1
; LDSByteSize: 16384 bytes/workgroup (compile time only)
; SGPRBlocks: 4
; VGPRBlocks: 12
; NumSGPRsForWavesPerEU: 39
; NumVGPRsForWavesPerEU: 101
; AccumOffset: 104
; Occupancy: 4
; WaveLimiterHint : 0
; COMPUTE_PGM_RSRC2:SCRATCH_EN: 1
; COMPUTE_PGM_RSRC2:USER_SGPR: 8
; COMPUTE_PGM_RSRC2:TRAP_HANDLER: 0
; COMPUTE_PGM_RSRC2:TGID_X_EN: 1
; COMPUTE_PGM_RSRC2:TGID_Y_EN: 1
; COMPUTE_PGM_RSRC2:TGID_Z_EN: 0
; COMPUTE_PGM_RSRC2:TIDIG_COMP_CNT: 2
; COMPUTE_PGM_RSRC3_GFX90A:ACCUM_OFFSET: 25
; COMPUTE_PGM_RSRC3_GFX90A:TG_SPLIT: 0
	.section	.text._ZN7rocprim17ROCPRIM_400000_NS6detail17trampoline_kernelINS0_14default_configENS1_36segmented_radix_sort_config_selectorIdlEEZNS1_25segmented_radix_sort_implIS3_Lb0EPKdPdPKlPlN2at6native12_GLOBAL__N_18offset_tEEE10hipError_tPvRmT1_PNSt15iterator_traitsISK_E10value_typeET2_T3_PNSL_ISQ_E10value_typeET4_jRbjT5_SW_jjP12ihipStream_tbEUlT_E1_NS1_11comp_targetILNS1_3genE3ELNS1_11target_archE908ELNS1_3gpuE7ELNS1_3repE0EEENS1_59segmented_radix_sort_warp_sort_small_config_static_selectorELNS0_4arch9wavefront6targetE1EEEvSK_,"axG",@progbits,_ZN7rocprim17ROCPRIM_400000_NS6detail17trampoline_kernelINS0_14default_configENS1_36segmented_radix_sort_config_selectorIdlEEZNS1_25segmented_radix_sort_implIS3_Lb0EPKdPdPKlPlN2at6native12_GLOBAL__N_18offset_tEEE10hipError_tPvRmT1_PNSt15iterator_traitsISK_E10value_typeET2_T3_PNSL_ISQ_E10value_typeET4_jRbjT5_SW_jjP12ihipStream_tbEUlT_E1_NS1_11comp_targetILNS1_3genE3ELNS1_11target_archE908ELNS1_3gpuE7ELNS1_3repE0EEENS1_59segmented_radix_sort_warp_sort_small_config_static_selectorELNS0_4arch9wavefront6targetE1EEEvSK_,comdat
	.globl	_ZN7rocprim17ROCPRIM_400000_NS6detail17trampoline_kernelINS0_14default_configENS1_36segmented_radix_sort_config_selectorIdlEEZNS1_25segmented_radix_sort_implIS3_Lb0EPKdPdPKlPlN2at6native12_GLOBAL__N_18offset_tEEE10hipError_tPvRmT1_PNSt15iterator_traitsISK_E10value_typeET2_T3_PNSL_ISQ_E10value_typeET4_jRbjT5_SW_jjP12ihipStream_tbEUlT_E1_NS1_11comp_targetILNS1_3genE3ELNS1_11target_archE908ELNS1_3gpuE7ELNS1_3repE0EEENS1_59segmented_radix_sort_warp_sort_small_config_static_selectorELNS0_4arch9wavefront6targetE1EEEvSK_ ; -- Begin function _ZN7rocprim17ROCPRIM_400000_NS6detail17trampoline_kernelINS0_14default_configENS1_36segmented_radix_sort_config_selectorIdlEEZNS1_25segmented_radix_sort_implIS3_Lb0EPKdPdPKlPlN2at6native12_GLOBAL__N_18offset_tEEE10hipError_tPvRmT1_PNSt15iterator_traitsISK_E10value_typeET2_T3_PNSL_ISQ_E10value_typeET4_jRbjT5_SW_jjP12ihipStream_tbEUlT_E1_NS1_11comp_targetILNS1_3genE3ELNS1_11target_archE908ELNS1_3gpuE7ELNS1_3repE0EEENS1_59segmented_radix_sort_warp_sort_small_config_static_selectorELNS0_4arch9wavefront6targetE1EEEvSK_
	.p2align	8
	.type	_ZN7rocprim17ROCPRIM_400000_NS6detail17trampoline_kernelINS0_14default_configENS1_36segmented_radix_sort_config_selectorIdlEEZNS1_25segmented_radix_sort_implIS3_Lb0EPKdPdPKlPlN2at6native12_GLOBAL__N_18offset_tEEE10hipError_tPvRmT1_PNSt15iterator_traitsISK_E10value_typeET2_T3_PNSL_ISQ_E10value_typeET4_jRbjT5_SW_jjP12ihipStream_tbEUlT_E1_NS1_11comp_targetILNS1_3genE3ELNS1_11target_archE908ELNS1_3gpuE7ELNS1_3repE0EEENS1_59segmented_radix_sort_warp_sort_small_config_static_selectorELNS0_4arch9wavefront6targetE1EEEvSK_,@function
_ZN7rocprim17ROCPRIM_400000_NS6detail17trampoline_kernelINS0_14default_configENS1_36segmented_radix_sort_config_selectorIdlEEZNS1_25segmented_radix_sort_implIS3_Lb0EPKdPdPKlPlN2at6native12_GLOBAL__N_18offset_tEEE10hipError_tPvRmT1_PNSt15iterator_traitsISK_E10value_typeET2_T3_PNSL_ISQ_E10value_typeET4_jRbjT5_SW_jjP12ihipStream_tbEUlT_E1_NS1_11comp_targetILNS1_3genE3ELNS1_11target_archE908ELNS1_3gpuE7ELNS1_3repE0EEENS1_59segmented_radix_sort_warp_sort_small_config_static_selectorELNS0_4arch9wavefront6targetE1EEEvSK_: ; @_ZN7rocprim17ROCPRIM_400000_NS6detail17trampoline_kernelINS0_14default_configENS1_36segmented_radix_sort_config_selectorIdlEEZNS1_25segmented_radix_sort_implIS3_Lb0EPKdPdPKlPlN2at6native12_GLOBAL__N_18offset_tEEE10hipError_tPvRmT1_PNSt15iterator_traitsISK_E10value_typeET2_T3_PNSL_ISQ_E10value_typeET4_jRbjT5_SW_jjP12ihipStream_tbEUlT_E1_NS1_11comp_targetILNS1_3genE3ELNS1_11target_archE908ELNS1_3gpuE7ELNS1_3repE0EEENS1_59segmented_radix_sort_warp_sort_small_config_static_selectorELNS0_4arch9wavefront6targetE1EEEvSK_
; %bb.0:
	.section	.rodata,"a",@progbits
	.p2align	6, 0x0
	.amdhsa_kernel _ZN7rocprim17ROCPRIM_400000_NS6detail17trampoline_kernelINS0_14default_configENS1_36segmented_radix_sort_config_selectorIdlEEZNS1_25segmented_radix_sort_implIS3_Lb0EPKdPdPKlPlN2at6native12_GLOBAL__N_18offset_tEEE10hipError_tPvRmT1_PNSt15iterator_traitsISK_E10value_typeET2_T3_PNSL_ISQ_E10value_typeET4_jRbjT5_SW_jjP12ihipStream_tbEUlT_E1_NS1_11comp_targetILNS1_3genE3ELNS1_11target_archE908ELNS1_3gpuE7ELNS1_3repE0EEENS1_59segmented_radix_sort_warp_sort_small_config_static_selectorELNS0_4arch9wavefront6targetE1EEEvSK_
		.amdhsa_group_segment_fixed_size 0
		.amdhsa_private_segment_fixed_size 0
		.amdhsa_kernarg_size 88
		.amdhsa_user_sgpr_count 6
		.amdhsa_user_sgpr_private_segment_buffer 1
		.amdhsa_user_sgpr_dispatch_ptr 0
		.amdhsa_user_sgpr_queue_ptr 0
		.amdhsa_user_sgpr_kernarg_segment_ptr 1
		.amdhsa_user_sgpr_dispatch_id 0
		.amdhsa_user_sgpr_flat_scratch_init 0
		.amdhsa_user_sgpr_kernarg_preload_length 0
		.amdhsa_user_sgpr_kernarg_preload_offset 0
		.amdhsa_user_sgpr_private_segment_size 0
		.amdhsa_uses_dynamic_stack 0
		.amdhsa_system_sgpr_private_segment_wavefront_offset 0
		.amdhsa_system_sgpr_workgroup_id_x 1
		.amdhsa_system_sgpr_workgroup_id_y 0
		.amdhsa_system_sgpr_workgroup_id_z 0
		.amdhsa_system_sgpr_workgroup_info 0
		.amdhsa_system_vgpr_workitem_id 0
		.amdhsa_next_free_vgpr 1
		.amdhsa_next_free_sgpr 0
		.amdhsa_accum_offset 4
		.amdhsa_reserve_vcc 0
		.amdhsa_reserve_flat_scratch 0
		.amdhsa_float_round_mode_32 0
		.amdhsa_float_round_mode_16_64 0
		.amdhsa_float_denorm_mode_32 3
		.amdhsa_float_denorm_mode_16_64 3
		.amdhsa_dx10_clamp 1
		.amdhsa_ieee_mode 1
		.amdhsa_fp16_overflow 0
		.amdhsa_tg_split 0
		.amdhsa_exception_fp_ieee_invalid_op 0
		.amdhsa_exception_fp_denorm_src 0
		.amdhsa_exception_fp_ieee_div_zero 0
		.amdhsa_exception_fp_ieee_overflow 0
		.amdhsa_exception_fp_ieee_underflow 0
		.amdhsa_exception_fp_ieee_inexact 0
		.amdhsa_exception_int_div_zero 0
	.end_amdhsa_kernel
	.section	.text._ZN7rocprim17ROCPRIM_400000_NS6detail17trampoline_kernelINS0_14default_configENS1_36segmented_radix_sort_config_selectorIdlEEZNS1_25segmented_radix_sort_implIS3_Lb0EPKdPdPKlPlN2at6native12_GLOBAL__N_18offset_tEEE10hipError_tPvRmT1_PNSt15iterator_traitsISK_E10value_typeET2_T3_PNSL_ISQ_E10value_typeET4_jRbjT5_SW_jjP12ihipStream_tbEUlT_E1_NS1_11comp_targetILNS1_3genE3ELNS1_11target_archE908ELNS1_3gpuE7ELNS1_3repE0EEENS1_59segmented_radix_sort_warp_sort_small_config_static_selectorELNS0_4arch9wavefront6targetE1EEEvSK_,"axG",@progbits,_ZN7rocprim17ROCPRIM_400000_NS6detail17trampoline_kernelINS0_14default_configENS1_36segmented_radix_sort_config_selectorIdlEEZNS1_25segmented_radix_sort_implIS3_Lb0EPKdPdPKlPlN2at6native12_GLOBAL__N_18offset_tEEE10hipError_tPvRmT1_PNSt15iterator_traitsISK_E10value_typeET2_T3_PNSL_ISQ_E10value_typeET4_jRbjT5_SW_jjP12ihipStream_tbEUlT_E1_NS1_11comp_targetILNS1_3genE3ELNS1_11target_archE908ELNS1_3gpuE7ELNS1_3repE0EEENS1_59segmented_radix_sort_warp_sort_small_config_static_selectorELNS0_4arch9wavefront6targetE1EEEvSK_,comdat
.Lfunc_end1243:
	.size	_ZN7rocprim17ROCPRIM_400000_NS6detail17trampoline_kernelINS0_14default_configENS1_36segmented_radix_sort_config_selectorIdlEEZNS1_25segmented_radix_sort_implIS3_Lb0EPKdPdPKlPlN2at6native12_GLOBAL__N_18offset_tEEE10hipError_tPvRmT1_PNSt15iterator_traitsISK_E10value_typeET2_T3_PNSL_ISQ_E10value_typeET4_jRbjT5_SW_jjP12ihipStream_tbEUlT_E1_NS1_11comp_targetILNS1_3genE3ELNS1_11target_archE908ELNS1_3gpuE7ELNS1_3repE0EEENS1_59segmented_radix_sort_warp_sort_small_config_static_selectorELNS0_4arch9wavefront6targetE1EEEvSK_, .Lfunc_end1243-_ZN7rocprim17ROCPRIM_400000_NS6detail17trampoline_kernelINS0_14default_configENS1_36segmented_radix_sort_config_selectorIdlEEZNS1_25segmented_radix_sort_implIS3_Lb0EPKdPdPKlPlN2at6native12_GLOBAL__N_18offset_tEEE10hipError_tPvRmT1_PNSt15iterator_traitsISK_E10value_typeET2_T3_PNSL_ISQ_E10value_typeET4_jRbjT5_SW_jjP12ihipStream_tbEUlT_E1_NS1_11comp_targetILNS1_3genE3ELNS1_11target_archE908ELNS1_3gpuE7ELNS1_3repE0EEENS1_59segmented_radix_sort_warp_sort_small_config_static_selectorELNS0_4arch9wavefront6targetE1EEEvSK_
                                        ; -- End function
	.section	.AMDGPU.csdata,"",@progbits
; Kernel info:
; codeLenInByte = 0
; NumSgprs: 4
; NumVgprs: 0
; NumAgprs: 0
; TotalNumVgprs: 0
; ScratchSize: 0
; MemoryBound: 0
; FloatMode: 240
; IeeeMode: 1
; LDSByteSize: 0 bytes/workgroup (compile time only)
; SGPRBlocks: 0
; VGPRBlocks: 0
; NumSGPRsForWavesPerEU: 4
; NumVGPRsForWavesPerEU: 1
; AccumOffset: 4
; Occupancy: 8
; WaveLimiterHint : 0
; COMPUTE_PGM_RSRC2:SCRATCH_EN: 0
; COMPUTE_PGM_RSRC2:USER_SGPR: 6
; COMPUTE_PGM_RSRC2:TRAP_HANDLER: 0
; COMPUTE_PGM_RSRC2:TGID_X_EN: 1
; COMPUTE_PGM_RSRC2:TGID_Y_EN: 0
; COMPUTE_PGM_RSRC2:TGID_Z_EN: 0
; COMPUTE_PGM_RSRC2:TIDIG_COMP_CNT: 0
; COMPUTE_PGM_RSRC3_GFX90A:ACCUM_OFFSET: 0
; COMPUTE_PGM_RSRC3_GFX90A:TG_SPLIT: 0
	.section	.text._ZN7rocprim17ROCPRIM_400000_NS6detail17trampoline_kernelINS0_14default_configENS1_36segmented_radix_sort_config_selectorIdlEEZNS1_25segmented_radix_sort_implIS3_Lb0EPKdPdPKlPlN2at6native12_GLOBAL__N_18offset_tEEE10hipError_tPvRmT1_PNSt15iterator_traitsISK_E10value_typeET2_T3_PNSL_ISQ_E10value_typeET4_jRbjT5_SW_jjP12ihipStream_tbEUlT_E1_NS1_11comp_targetILNS1_3genE2ELNS1_11target_archE906ELNS1_3gpuE6ELNS1_3repE0EEENS1_59segmented_radix_sort_warp_sort_small_config_static_selectorELNS0_4arch9wavefront6targetE1EEEvSK_,"axG",@progbits,_ZN7rocprim17ROCPRIM_400000_NS6detail17trampoline_kernelINS0_14default_configENS1_36segmented_radix_sort_config_selectorIdlEEZNS1_25segmented_radix_sort_implIS3_Lb0EPKdPdPKlPlN2at6native12_GLOBAL__N_18offset_tEEE10hipError_tPvRmT1_PNSt15iterator_traitsISK_E10value_typeET2_T3_PNSL_ISQ_E10value_typeET4_jRbjT5_SW_jjP12ihipStream_tbEUlT_E1_NS1_11comp_targetILNS1_3genE2ELNS1_11target_archE906ELNS1_3gpuE6ELNS1_3repE0EEENS1_59segmented_radix_sort_warp_sort_small_config_static_selectorELNS0_4arch9wavefront6targetE1EEEvSK_,comdat
	.globl	_ZN7rocprim17ROCPRIM_400000_NS6detail17trampoline_kernelINS0_14default_configENS1_36segmented_radix_sort_config_selectorIdlEEZNS1_25segmented_radix_sort_implIS3_Lb0EPKdPdPKlPlN2at6native12_GLOBAL__N_18offset_tEEE10hipError_tPvRmT1_PNSt15iterator_traitsISK_E10value_typeET2_T3_PNSL_ISQ_E10value_typeET4_jRbjT5_SW_jjP12ihipStream_tbEUlT_E1_NS1_11comp_targetILNS1_3genE2ELNS1_11target_archE906ELNS1_3gpuE6ELNS1_3repE0EEENS1_59segmented_radix_sort_warp_sort_small_config_static_selectorELNS0_4arch9wavefront6targetE1EEEvSK_ ; -- Begin function _ZN7rocprim17ROCPRIM_400000_NS6detail17trampoline_kernelINS0_14default_configENS1_36segmented_radix_sort_config_selectorIdlEEZNS1_25segmented_radix_sort_implIS3_Lb0EPKdPdPKlPlN2at6native12_GLOBAL__N_18offset_tEEE10hipError_tPvRmT1_PNSt15iterator_traitsISK_E10value_typeET2_T3_PNSL_ISQ_E10value_typeET4_jRbjT5_SW_jjP12ihipStream_tbEUlT_E1_NS1_11comp_targetILNS1_3genE2ELNS1_11target_archE906ELNS1_3gpuE6ELNS1_3repE0EEENS1_59segmented_radix_sort_warp_sort_small_config_static_selectorELNS0_4arch9wavefront6targetE1EEEvSK_
	.p2align	8
	.type	_ZN7rocprim17ROCPRIM_400000_NS6detail17trampoline_kernelINS0_14default_configENS1_36segmented_radix_sort_config_selectorIdlEEZNS1_25segmented_radix_sort_implIS3_Lb0EPKdPdPKlPlN2at6native12_GLOBAL__N_18offset_tEEE10hipError_tPvRmT1_PNSt15iterator_traitsISK_E10value_typeET2_T3_PNSL_ISQ_E10value_typeET4_jRbjT5_SW_jjP12ihipStream_tbEUlT_E1_NS1_11comp_targetILNS1_3genE2ELNS1_11target_archE906ELNS1_3gpuE6ELNS1_3repE0EEENS1_59segmented_radix_sort_warp_sort_small_config_static_selectorELNS0_4arch9wavefront6targetE1EEEvSK_,@function
_ZN7rocprim17ROCPRIM_400000_NS6detail17trampoline_kernelINS0_14default_configENS1_36segmented_radix_sort_config_selectorIdlEEZNS1_25segmented_radix_sort_implIS3_Lb0EPKdPdPKlPlN2at6native12_GLOBAL__N_18offset_tEEE10hipError_tPvRmT1_PNSt15iterator_traitsISK_E10value_typeET2_T3_PNSL_ISQ_E10value_typeET4_jRbjT5_SW_jjP12ihipStream_tbEUlT_E1_NS1_11comp_targetILNS1_3genE2ELNS1_11target_archE906ELNS1_3gpuE6ELNS1_3repE0EEENS1_59segmented_radix_sort_warp_sort_small_config_static_selectorELNS0_4arch9wavefront6targetE1EEEvSK_: ; @_ZN7rocprim17ROCPRIM_400000_NS6detail17trampoline_kernelINS0_14default_configENS1_36segmented_radix_sort_config_selectorIdlEEZNS1_25segmented_radix_sort_implIS3_Lb0EPKdPdPKlPlN2at6native12_GLOBAL__N_18offset_tEEE10hipError_tPvRmT1_PNSt15iterator_traitsISK_E10value_typeET2_T3_PNSL_ISQ_E10value_typeET4_jRbjT5_SW_jjP12ihipStream_tbEUlT_E1_NS1_11comp_targetILNS1_3genE2ELNS1_11target_archE906ELNS1_3gpuE6ELNS1_3repE0EEENS1_59segmented_radix_sort_warp_sort_small_config_static_selectorELNS0_4arch9wavefront6targetE1EEEvSK_
; %bb.0:
	.section	.rodata,"a",@progbits
	.p2align	6, 0x0
	.amdhsa_kernel _ZN7rocprim17ROCPRIM_400000_NS6detail17trampoline_kernelINS0_14default_configENS1_36segmented_radix_sort_config_selectorIdlEEZNS1_25segmented_radix_sort_implIS3_Lb0EPKdPdPKlPlN2at6native12_GLOBAL__N_18offset_tEEE10hipError_tPvRmT1_PNSt15iterator_traitsISK_E10value_typeET2_T3_PNSL_ISQ_E10value_typeET4_jRbjT5_SW_jjP12ihipStream_tbEUlT_E1_NS1_11comp_targetILNS1_3genE2ELNS1_11target_archE906ELNS1_3gpuE6ELNS1_3repE0EEENS1_59segmented_radix_sort_warp_sort_small_config_static_selectorELNS0_4arch9wavefront6targetE1EEEvSK_
		.amdhsa_group_segment_fixed_size 0
		.amdhsa_private_segment_fixed_size 0
		.amdhsa_kernarg_size 88
		.amdhsa_user_sgpr_count 6
		.amdhsa_user_sgpr_private_segment_buffer 1
		.amdhsa_user_sgpr_dispatch_ptr 0
		.amdhsa_user_sgpr_queue_ptr 0
		.amdhsa_user_sgpr_kernarg_segment_ptr 1
		.amdhsa_user_sgpr_dispatch_id 0
		.amdhsa_user_sgpr_flat_scratch_init 0
		.amdhsa_user_sgpr_kernarg_preload_length 0
		.amdhsa_user_sgpr_kernarg_preload_offset 0
		.amdhsa_user_sgpr_private_segment_size 0
		.amdhsa_uses_dynamic_stack 0
		.amdhsa_system_sgpr_private_segment_wavefront_offset 0
		.amdhsa_system_sgpr_workgroup_id_x 1
		.amdhsa_system_sgpr_workgroup_id_y 0
		.amdhsa_system_sgpr_workgroup_id_z 0
		.amdhsa_system_sgpr_workgroup_info 0
		.amdhsa_system_vgpr_workitem_id 0
		.amdhsa_next_free_vgpr 1
		.amdhsa_next_free_sgpr 0
		.amdhsa_accum_offset 4
		.amdhsa_reserve_vcc 0
		.amdhsa_reserve_flat_scratch 0
		.amdhsa_float_round_mode_32 0
		.amdhsa_float_round_mode_16_64 0
		.amdhsa_float_denorm_mode_32 3
		.amdhsa_float_denorm_mode_16_64 3
		.amdhsa_dx10_clamp 1
		.amdhsa_ieee_mode 1
		.amdhsa_fp16_overflow 0
		.amdhsa_tg_split 0
		.amdhsa_exception_fp_ieee_invalid_op 0
		.amdhsa_exception_fp_denorm_src 0
		.amdhsa_exception_fp_ieee_div_zero 0
		.amdhsa_exception_fp_ieee_overflow 0
		.amdhsa_exception_fp_ieee_underflow 0
		.amdhsa_exception_fp_ieee_inexact 0
		.amdhsa_exception_int_div_zero 0
	.end_amdhsa_kernel
	.section	.text._ZN7rocprim17ROCPRIM_400000_NS6detail17trampoline_kernelINS0_14default_configENS1_36segmented_radix_sort_config_selectorIdlEEZNS1_25segmented_radix_sort_implIS3_Lb0EPKdPdPKlPlN2at6native12_GLOBAL__N_18offset_tEEE10hipError_tPvRmT1_PNSt15iterator_traitsISK_E10value_typeET2_T3_PNSL_ISQ_E10value_typeET4_jRbjT5_SW_jjP12ihipStream_tbEUlT_E1_NS1_11comp_targetILNS1_3genE2ELNS1_11target_archE906ELNS1_3gpuE6ELNS1_3repE0EEENS1_59segmented_radix_sort_warp_sort_small_config_static_selectorELNS0_4arch9wavefront6targetE1EEEvSK_,"axG",@progbits,_ZN7rocprim17ROCPRIM_400000_NS6detail17trampoline_kernelINS0_14default_configENS1_36segmented_radix_sort_config_selectorIdlEEZNS1_25segmented_radix_sort_implIS3_Lb0EPKdPdPKlPlN2at6native12_GLOBAL__N_18offset_tEEE10hipError_tPvRmT1_PNSt15iterator_traitsISK_E10value_typeET2_T3_PNSL_ISQ_E10value_typeET4_jRbjT5_SW_jjP12ihipStream_tbEUlT_E1_NS1_11comp_targetILNS1_3genE2ELNS1_11target_archE906ELNS1_3gpuE6ELNS1_3repE0EEENS1_59segmented_radix_sort_warp_sort_small_config_static_selectorELNS0_4arch9wavefront6targetE1EEEvSK_,comdat
.Lfunc_end1244:
	.size	_ZN7rocprim17ROCPRIM_400000_NS6detail17trampoline_kernelINS0_14default_configENS1_36segmented_radix_sort_config_selectorIdlEEZNS1_25segmented_radix_sort_implIS3_Lb0EPKdPdPKlPlN2at6native12_GLOBAL__N_18offset_tEEE10hipError_tPvRmT1_PNSt15iterator_traitsISK_E10value_typeET2_T3_PNSL_ISQ_E10value_typeET4_jRbjT5_SW_jjP12ihipStream_tbEUlT_E1_NS1_11comp_targetILNS1_3genE2ELNS1_11target_archE906ELNS1_3gpuE6ELNS1_3repE0EEENS1_59segmented_radix_sort_warp_sort_small_config_static_selectorELNS0_4arch9wavefront6targetE1EEEvSK_, .Lfunc_end1244-_ZN7rocprim17ROCPRIM_400000_NS6detail17trampoline_kernelINS0_14default_configENS1_36segmented_radix_sort_config_selectorIdlEEZNS1_25segmented_radix_sort_implIS3_Lb0EPKdPdPKlPlN2at6native12_GLOBAL__N_18offset_tEEE10hipError_tPvRmT1_PNSt15iterator_traitsISK_E10value_typeET2_T3_PNSL_ISQ_E10value_typeET4_jRbjT5_SW_jjP12ihipStream_tbEUlT_E1_NS1_11comp_targetILNS1_3genE2ELNS1_11target_archE906ELNS1_3gpuE6ELNS1_3repE0EEENS1_59segmented_radix_sort_warp_sort_small_config_static_selectorELNS0_4arch9wavefront6targetE1EEEvSK_
                                        ; -- End function
	.section	.AMDGPU.csdata,"",@progbits
; Kernel info:
; codeLenInByte = 0
; NumSgprs: 4
; NumVgprs: 0
; NumAgprs: 0
; TotalNumVgprs: 0
; ScratchSize: 0
; MemoryBound: 0
; FloatMode: 240
; IeeeMode: 1
; LDSByteSize: 0 bytes/workgroup (compile time only)
; SGPRBlocks: 0
; VGPRBlocks: 0
; NumSGPRsForWavesPerEU: 4
; NumVGPRsForWavesPerEU: 1
; AccumOffset: 4
; Occupancy: 8
; WaveLimiterHint : 0
; COMPUTE_PGM_RSRC2:SCRATCH_EN: 0
; COMPUTE_PGM_RSRC2:USER_SGPR: 6
; COMPUTE_PGM_RSRC2:TRAP_HANDLER: 0
; COMPUTE_PGM_RSRC2:TGID_X_EN: 1
; COMPUTE_PGM_RSRC2:TGID_Y_EN: 0
; COMPUTE_PGM_RSRC2:TGID_Z_EN: 0
; COMPUTE_PGM_RSRC2:TIDIG_COMP_CNT: 0
; COMPUTE_PGM_RSRC3_GFX90A:ACCUM_OFFSET: 0
; COMPUTE_PGM_RSRC3_GFX90A:TG_SPLIT: 0
	.section	.text._ZN7rocprim17ROCPRIM_400000_NS6detail17trampoline_kernelINS0_14default_configENS1_36segmented_radix_sort_config_selectorIdlEEZNS1_25segmented_radix_sort_implIS3_Lb0EPKdPdPKlPlN2at6native12_GLOBAL__N_18offset_tEEE10hipError_tPvRmT1_PNSt15iterator_traitsISK_E10value_typeET2_T3_PNSL_ISQ_E10value_typeET4_jRbjT5_SW_jjP12ihipStream_tbEUlT_E1_NS1_11comp_targetILNS1_3genE10ELNS1_11target_archE1201ELNS1_3gpuE5ELNS1_3repE0EEENS1_59segmented_radix_sort_warp_sort_small_config_static_selectorELNS0_4arch9wavefront6targetE1EEEvSK_,"axG",@progbits,_ZN7rocprim17ROCPRIM_400000_NS6detail17trampoline_kernelINS0_14default_configENS1_36segmented_radix_sort_config_selectorIdlEEZNS1_25segmented_radix_sort_implIS3_Lb0EPKdPdPKlPlN2at6native12_GLOBAL__N_18offset_tEEE10hipError_tPvRmT1_PNSt15iterator_traitsISK_E10value_typeET2_T3_PNSL_ISQ_E10value_typeET4_jRbjT5_SW_jjP12ihipStream_tbEUlT_E1_NS1_11comp_targetILNS1_3genE10ELNS1_11target_archE1201ELNS1_3gpuE5ELNS1_3repE0EEENS1_59segmented_radix_sort_warp_sort_small_config_static_selectorELNS0_4arch9wavefront6targetE1EEEvSK_,comdat
	.globl	_ZN7rocprim17ROCPRIM_400000_NS6detail17trampoline_kernelINS0_14default_configENS1_36segmented_radix_sort_config_selectorIdlEEZNS1_25segmented_radix_sort_implIS3_Lb0EPKdPdPKlPlN2at6native12_GLOBAL__N_18offset_tEEE10hipError_tPvRmT1_PNSt15iterator_traitsISK_E10value_typeET2_T3_PNSL_ISQ_E10value_typeET4_jRbjT5_SW_jjP12ihipStream_tbEUlT_E1_NS1_11comp_targetILNS1_3genE10ELNS1_11target_archE1201ELNS1_3gpuE5ELNS1_3repE0EEENS1_59segmented_radix_sort_warp_sort_small_config_static_selectorELNS0_4arch9wavefront6targetE1EEEvSK_ ; -- Begin function _ZN7rocprim17ROCPRIM_400000_NS6detail17trampoline_kernelINS0_14default_configENS1_36segmented_radix_sort_config_selectorIdlEEZNS1_25segmented_radix_sort_implIS3_Lb0EPKdPdPKlPlN2at6native12_GLOBAL__N_18offset_tEEE10hipError_tPvRmT1_PNSt15iterator_traitsISK_E10value_typeET2_T3_PNSL_ISQ_E10value_typeET4_jRbjT5_SW_jjP12ihipStream_tbEUlT_E1_NS1_11comp_targetILNS1_3genE10ELNS1_11target_archE1201ELNS1_3gpuE5ELNS1_3repE0EEENS1_59segmented_radix_sort_warp_sort_small_config_static_selectorELNS0_4arch9wavefront6targetE1EEEvSK_
	.p2align	8
	.type	_ZN7rocprim17ROCPRIM_400000_NS6detail17trampoline_kernelINS0_14default_configENS1_36segmented_radix_sort_config_selectorIdlEEZNS1_25segmented_radix_sort_implIS3_Lb0EPKdPdPKlPlN2at6native12_GLOBAL__N_18offset_tEEE10hipError_tPvRmT1_PNSt15iterator_traitsISK_E10value_typeET2_T3_PNSL_ISQ_E10value_typeET4_jRbjT5_SW_jjP12ihipStream_tbEUlT_E1_NS1_11comp_targetILNS1_3genE10ELNS1_11target_archE1201ELNS1_3gpuE5ELNS1_3repE0EEENS1_59segmented_radix_sort_warp_sort_small_config_static_selectorELNS0_4arch9wavefront6targetE1EEEvSK_,@function
_ZN7rocprim17ROCPRIM_400000_NS6detail17trampoline_kernelINS0_14default_configENS1_36segmented_radix_sort_config_selectorIdlEEZNS1_25segmented_radix_sort_implIS3_Lb0EPKdPdPKlPlN2at6native12_GLOBAL__N_18offset_tEEE10hipError_tPvRmT1_PNSt15iterator_traitsISK_E10value_typeET2_T3_PNSL_ISQ_E10value_typeET4_jRbjT5_SW_jjP12ihipStream_tbEUlT_E1_NS1_11comp_targetILNS1_3genE10ELNS1_11target_archE1201ELNS1_3gpuE5ELNS1_3repE0EEENS1_59segmented_radix_sort_warp_sort_small_config_static_selectorELNS0_4arch9wavefront6targetE1EEEvSK_: ; @_ZN7rocprim17ROCPRIM_400000_NS6detail17trampoline_kernelINS0_14default_configENS1_36segmented_radix_sort_config_selectorIdlEEZNS1_25segmented_radix_sort_implIS3_Lb0EPKdPdPKlPlN2at6native12_GLOBAL__N_18offset_tEEE10hipError_tPvRmT1_PNSt15iterator_traitsISK_E10value_typeET2_T3_PNSL_ISQ_E10value_typeET4_jRbjT5_SW_jjP12ihipStream_tbEUlT_E1_NS1_11comp_targetILNS1_3genE10ELNS1_11target_archE1201ELNS1_3gpuE5ELNS1_3repE0EEENS1_59segmented_radix_sort_warp_sort_small_config_static_selectorELNS0_4arch9wavefront6targetE1EEEvSK_
; %bb.0:
	.section	.rodata,"a",@progbits
	.p2align	6, 0x0
	.amdhsa_kernel _ZN7rocprim17ROCPRIM_400000_NS6detail17trampoline_kernelINS0_14default_configENS1_36segmented_radix_sort_config_selectorIdlEEZNS1_25segmented_radix_sort_implIS3_Lb0EPKdPdPKlPlN2at6native12_GLOBAL__N_18offset_tEEE10hipError_tPvRmT1_PNSt15iterator_traitsISK_E10value_typeET2_T3_PNSL_ISQ_E10value_typeET4_jRbjT5_SW_jjP12ihipStream_tbEUlT_E1_NS1_11comp_targetILNS1_3genE10ELNS1_11target_archE1201ELNS1_3gpuE5ELNS1_3repE0EEENS1_59segmented_radix_sort_warp_sort_small_config_static_selectorELNS0_4arch9wavefront6targetE1EEEvSK_
		.amdhsa_group_segment_fixed_size 0
		.amdhsa_private_segment_fixed_size 0
		.amdhsa_kernarg_size 88
		.amdhsa_user_sgpr_count 6
		.amdhsa_user_sgpr_private_segment_buffer 1
		.amdhsa_user_sgpr_dispatch_ptr 0
		.amdhsa_user_sgpr_queue_ptr 0
		.amdhsa_user_sgpr_kernarg_segment_ptr 1
		.amdhsa_user_sgpr_dispatch_id 0
		.amdhsa_user_sgpr_flat_scratch_init 0
		.amdhsa_user_sgpr_kernarg_preload_length 0
		.amdhsa_user_sgpr_kernarg_preload_offset 0
		.amdhsa_user_sgpr_private_segment_size 0
		.amdhsa_uses_dynamic_stack 0
		.amdhsa_system_sgpr_private_segment_wavefront_offset 0
		.amdhsa_system_sgpr_workgroup_id_x 1
		.amdhsa_system_sgpr_workgroup_id_y 0
		.amdhsa_system_sgpr_workgroup_id_z 0
		.amdhsa_system_sgpr_workgroup_info 0
		.amdhsa_system_vgpr_workitem_id 0
		.amdhsa_next_free_vgpr 1
		.amdhsa_next_free_sgpr 0
		.amdhsa_accum_offset 4
		.amdhsa_reserve_vcc 0
		.amdhsa_reserve_flat_scratch 0
		.amdhsa_float_round_mode_32 0
		.amdhsa_float_round_mode_16_64 0
		.amdhsa_float_denorm_mode_32 3
		.amdhsa_float_denorm_mode_16_64 3
		.amdhsa_dx10_clamp 1
		.amdhsa_ieee_mode 1
		.amdhsa_fp16_overflow 0
		.amdhsa_tg_split 0
		.amdhsa_exception_fp_ieee_invalid_op 0
		.amdhsa_exception_fp_denorm_src 0
		.amdhsa_exception_fp_ieee_div_zero 0
		.amdhsa_exception_fp_ieee_overflow 0
		.amdhsa_exception_fp_ieee_underflow 0
		.amdhsa_exception_fp_ieee_inexact 0
		.amdhsa_exception_int_div_zero 0
	.end_amdhsa_kernel
	.section	.text._ZN7rocprim17ROCPRIM_400000_NS6detail17trampoline_kernelINS0_14default_configENS1_36segmented_radix_sort_config_selectorIdlEEZNS1_25segmented_radix_sort_implIS3_Lb0EPKdPdPKlPlN2at6native12_GLOBAL__N_18offset_tEEE10hipError_tPvRmT1_PNSt15iterator_traitsISK_E10value_typeET2_T3_PNSL_ISQ_E10value_typeET4_jRbjT5_SW_jjP12ihipStream_tbEUlT_E1_NS1_11comp_targetILNS1_3genE10ELNS1_11target_archE1201ELNS1_3gpuE5ELNS1_3repE0EEENS1_59segmented_radix_sort_warp_sort_small_config_static_selectorELNS0_4arch9wavefront6targetE1EEEvSK_,"axG",@progbits,_ZN7rocprim17ROCPRIM_400000_NS6detail17trampoline_kernelINS0_14default_configENS1_36segmented_radix_sort_config_selectorIdlEEZNS1_25segmented_radix_sort_implIS3_Lb0EPKdPdPKlPlN2at6native12_GLOBAL__N_18offset_tEEE10hipError_tPvRmT1_PNSt15iterator_traitsISK_E10value_typeET2_T3_PNSL_ISQ_E10value_typeET4_jRbjT5_SW_jjP12ihipStream_tbEUlT_E1_NS1_11comp_targetILNS1_3genE10ELNS1_11target_archE1201ELNS1_3gpuE5ELNS1_3repE0EEENS1_59segmented_radix_sort_warp_sort_small_config_static_selectorELNS0_4arch9wavefront6targetE1EEEvSK_,comdat
.Lfunc_end1245:
	.size	_ZN7rocprim17ROCPRIM_400000_NS6detail17trampoline_kernelINS0_14default_configENS1_36segmented_radix_sort_config_selectorIdlEEZNS1_25segmented_radix_sort_implIS3_Lb0EPKdPdPKlPlN2at6native12_GLOBAL__N_18offset_tEEE10hipError_tPvRmT1_PNSt15iterator_traitsISK_E10value_typeET2_T3_PNSL_ISQ_E10value_typeET4_jRbjT5_SW_jjP12ihipStream_tbEUlT_E1_NS1_11comp_targetILNS1_3genE10ELNS1_11target_archE1201ELNS1_3gpuE5ELNS1_3repE0EEENS1_59segmented_radix_sort_warp_sort_small_config_static_selectorELNS0_4arch9wavefront6targetE1EEEvSK_, .Lfunc_end1245-_ZN7rocprim17ROCPRIM_400000_NS6detail17trampoline_kernelINS0_14default_configENS1_36segmented_radix_sort_config_selectorIdlEEZNS1_25segmented_radix_sort_implIS3_Lb0EPKdPdPKlPlN2at6native12_GLOBAL__N_18offset_tEEE10hipError_tPvRmT1_PNSt15iterator_traitsISK_E10value_typeET2_T3_PNSL_ISQ_E10value_typeET4_jRbjT5_SW_jjP12ihipStream_tbEUlT_E1_NS1_11comp_targetILNS1_3genE10ELNS1_11target_archE1201ELNS1_3gpuE5ELNS1_3repE0EEENS1_59segmented_radix_sort_warp_sort_small_config_static_selectorELNS0_4arch9wavefront6targetE1EEEvSK_
                                        ; -- End function
	.section	.AMDGPU.csdata,"",@progbits
; Kernel info:
; codeLenInByte = 0
; NumSgprs: 4
; NumVgprs: 0
; NumAgprs: 0
; TotalNumVgprs: 0
; ScratchSize: 0
; MemoryBound: 0
; FloatMode: 240
; IeeeMode: 1
; LDSByteSize: 0 bytes/workgroup (compile time only)
; SGPRBlocks: 0
; VGPRBlocks: 0
; NumSGPRsForWavesPerEU: 4
; NumVGPRsForWavesPerEU: 1
; AccumOffset: 4
; Occupancy: 8
; WaveLimiterHint : 0
; COMPUTE_PGM_RSRC2:SCRATCH_EN: 0
; COMPUTE_PGM_RSRC2:USER_SGPR: 6
; COMPUTE_PGM_RSRC2:TRAP_HANDLER: 0
; COMPUTE_PGM_RSRC2:TGID_X_EN: 1
; COMPUTE_PGM_RSRC2:TGID_Y_EN: 0
; COMPUTE_PGM_RSRC2:TGID_Z_EN: 0
; COMPUTE_PGM_RSRC2:TIDIG_COMP_CNT: 0
; COMPUTE_PGM_RSRC3_GFX90A:ACCUM_OFFSET: 0
; COMPUTE_PGM_RSRC3_GFX90A:TG_SPLIT: 0
	.section	.text._ZN7rocprim17ROCPRIM_400000_NS6detail17trampoline_kernelINS0_14default_configENS1_36segmented_radix_sort_config_selectorIdlEEZNS1_25segmented_radix_sort_implIS3_Lb0EPKdPdPKlPlN2at6native12_GLOBAL__N_18offset_tEEE10hipError_tPvRmT1_PNSt15iterator_traitsISK_E10value_typeET2_T3_PNSL_ISQ_E10value_typeET4_jRbjT5_SW_jjP12ihipStream_tbEUlT_E1_NS1_11comp_targetILNS1_3genE10ELNS1_11target_archE1200ELNS1_3gpuE4ELNS1_3repE0EEENS1_59segmented_radix_sort_warp_sort_small_config_static_selectorELNS0_4arch9wavefront6targetE1EEEvSK_,"axG",@progbits,_ZN7rocprim17ROCPRIM_400000_NS6detail17trampoline_kernelINS0_14default_configENS1_36segmented_radix_sort_config_selectorIdlEEZNS1_25segmented_radix_sort_implIS3_Lb0EPKdPdPKlPlN2at6native12_GLOBAL__N_18offset_tEEE10hipError_tPvRmT1_PNSt15iterator_traitsISK_E10value_typeET2_T3_PNSL_ISQ_E10value_typeET4_jRbjT5_SW_jjP12ihipStream_tbEUlT_E1_NS1_11comp_targetILNS1_3genE10ELNS1_11target_archE1200ELNS1_3gpuE4ELNS1_3repE0EEENS1_59segmented_radix_sort_warp_sort_small_config_static_selectorELNS0_4arch9wavefront6targetE1EEEvSK_,comdat
	.globl	_ZN7rocprim17ROCPRIM_400000_NS6detail17trampoline_kernelINS0_14default_configENS1_36segmented_radix_sort_config_selectorIdlEEZNS1_25segmented_radix_sort_implIS3_Lb0EPKdPdPKlPlN2at6native12_GLOBAL__N_18offset_tEEE10hipError_tPvRmT1_PNSt15iterator_traitsISK_E10value_typeET2_T3_PNSL_ISQ_E10value_typeET4_jRbjT5_SW_jjP12ihipStream_tbEUlT_E1_NS1_11comp_targetILNS1_3genE10ELNS1_11target_archE1200ELNS1_3gpuE4ELNS1_3repE0EEENS1_59segmented_radix_sort_warp_sort_small_config_static_selectorELNS0_4arch9wavefront6targetE1EEEvSK_ ; -- Begin function _ZN7rocprim17ROCPRIM_400000_NS6detail17trampoline_kernelINS0_14default_configENS1_36segmented_radix_sort_config_selectorIdlEEZNS1_25segmented_radix_sort_implIS3_Lb0EPKdPdPKlPlN2at6native12_GLOBAL__N_18offset_tEEE10hipError_tPvRmT1_PNSt15iterator_traitsISK_E10value_typeET2_T3_PNSL_ISQ_E10value_typeET4_jRbjT5_SW_jjP12ihipStream_tbEUlT_E1_NS1_11comp_targetILNS1_3genE10ELNS1_11target_archE1200ELNS1_3gpuE4ELNS1_3repE0EEENS1_59segmented_radix_sort_warp_sort_small_config_static_selectorELNS0_4arch9wavefront6targetE1EEEvSK_
	.p2align	8
	.type	_ZN7rocprim17ROCPRIM_400000_NS6detail17trampoline_kernelINS0_14default_configENS1_36segmented_radix_sort_config_selectorIdlEEZNS1_25segmented_radix_sort_implIS3_Lb0EPKdPdPKlPlN2at6native12_GLOBAL__N_18offset_tEEE10hipError_tPvRmT1_PNSt15iterator_traitsISK_E10value_typeET2_T3_PNSL_ISQ_E10value_typeET4_jRbjT5_SW_jjP12ihipStream_tbEUlT_E1_NS1_11comp_targetILNS1_3genE10ELNS1_11target_archE1200ELNS1_3gpuE4ELNS1_3repE0EEENS1_59segmented_radix_sort_warp_sort_small_config_static_selectorELNS0_4arch9wavefront6targetE1EEEvSK_,@function
_ZN7rocprim17ROCPRIM_400000_NS6detail17trampoline_kernelINS0_14default_configENS1_36segmented_radix_sort_config_selectorIdlEEZNS1_25segmented_radix_sort_implIS3_Lb0EPKdPdPKlPlN2at6native12_GLOBAL__N_18offset_tEEE10hipError_tPvRmT1_PNSt15iterator_traitsISK_E10value_typeET2_T3_PNSL_ISQ_E10value_typeET4_jRbjT5_SW_jjP12ihipStream_tbEUlT_E1_NS1_11comp_targetILNS1_3genE10ELNS1_11target_archE1200ELNS1_3gpuE4ELNS1_3repE0EEENS1_59segmented_radix_sort_warp_sort_small_config_static_selectorELNS0_4arch9wavefront6targetE1EEEvSK_: ; @_ZN7rocprim17ROCPRIM_400000_NS6detail17trampoline_kernelINS0_14default_configENS1_36segmented_radix_sort_config_selectorIdlEEZNS1_25segmented_radix_sort_implIS3_Lb0EPKdPdPKlPlN2at6native12_GLOBAL__N_18offset_tEEE10hipError_tPvRmT1_PNSt15iterator_traitsISK_E10value_typeET2_T3_PNSL_ISQ_E10value_typeET4_jRbjT5_SW_jjP12ihipStream_tbEUlT_E1_NS1_11comp_targetILNS1_3genE10ELNS1_11target_archE1200ELNS1_3gpuE4ELNS1_3repE0EEENS1_59segmented_radix_sort_warp_sort_small_config_static_selectorELNS0_4arch9wavefront6targetE1EEEvSK_
; %bb.0:
	.section	.rodata,"a",@progbits
	.p2align	6, 0x0
	.amdhsa_kernel _ZN7rocprim17ROCPRIM_400000_NS6detail17trampoline_kernelINS0_14default_configENS1_36segmented_radix_sort_config_selectorIdlEEZNS1_25segmented_radix_sort_implIS3_Lb0EPKdPdPKlPlN2at6native12_GLOBAL__N_18offset_tEEE10hipError_tPvRmT1_PNSt15iterator_traitsISK_E10value_typeET2_T3_PNSL_ISQ_E10value_typeET4_jRbjT5_SW_jjP12ihipStream_tbEUlT_E1_NS1_11comp_targetILNS1_3genE10ELNS1_11target_archE1200ELNS1_3gpuE4ELNS1_3repE0EEENS1_59segmented_radix_sort_warp_sort_small_config_static_selectorELNS0_4arch9wavefront6targetE1EEEvSK_
		.amdhsa_group_segment_fixed_size 0
		.amdhsa_private_segment_fixed_size 0
		.amdhsa_kernarg_size 88
		.amdhsa_user_sgpr_count 6
		.amdhsa_user_sgpr_private_segment_buffer 1
		.amdhsa_user_sgpr_dispatch_ptr 0
		.amdhsa_user_sgpr_queue_ptr 0
		.amdhsa_user_sgpr_kernarg_segment_ptr 1
		.amdhsa_user_sgpr_dispatch_id 0
		.amdhsa_user_sgpr_flat_scratch_init 0
		.amdhsa_user_sgpr_kernarg_preload_length 0
		.amdhsa_user_sgpr_kernarg_preload_offset 0
		.amdhsa_user_sgpr_private_segment_size 0
		.amdhsa_uses_dynamic_stack 0
		.amdhsa_system_sgpr_private_segment_wavefront_offset 0
		.amdhsa_system_sgpr_workgroup_id_x 1
		.amdhsa_system_sgpr_workgroup_id_y 0
		.amdhsa_system_sgpr_workgroup_id_z 0
		.amdhsa_system_sgpr_workgroup_info 0
		.amdhsa_system_vgpr_workitem_id 0
		.amdhsa_next_free_vgpr 1
		.amdhsa_next_free_sgpr 0
		.amdhsa_accum_offset 4
		.amdhsa_reserve_vcc 0
		.amdhsa_reserve_flat_scratch 0
		.amdhsa_float_round_mode_32 0
		.amdhsa_float_round_mode_16_64 0
		.amdhsa_float_denorm_mode_32 3
		.amdhsa_float_denorm_mode_16_64 3
		.amdhsa_dx10_clamp 1
		.amdhsa_ieee_mode 1
		.amdhsa_fp16_overflow 0
		.amdhsa_tg_split 0
		.amdhsa_exception_fp_ieee_invalid_op 0
		.amdhsa_exception_fp_denorm_src 0
		.amdhsa_exception_fp_ieee_div_zero 0
		.amdhsa_exception_fp_ieee_overflow 0
		.amdhsa_exception_fp_ieee_underflow 0
		.amdhsa_exception_fp_ieee_inexact 0
		.amdhsa_exception_int_div_zero 0
	.end_amdhsa_kernel
	.section	.text._ZN7rocprim17ROCPRIM_400000_NS6detail17trampoline_kernelINS0_14default_configENS1_36segmented_radix_sort_config_selectorIdlEEZNS1_25segmented_radix_sort_implIS3_Lb0EPKdPdPKlPlN2at6native12_GLOBAL__N_18offset_tEEE10hipError_tPvRmT1_PNSt15iterator_traitsISK_E10value_typeET2_T3_PNSL_ISQ_E10value_typeET4_jRbjT5_SW_jjP12ihipStream_tbEUlT_E1_NS1_11comp_targetILNS1_3genE10ELNS1_11target_archE1200ELNS1_3gpuE4ELNS1_3repE0EEENS1_59segmented_radix_sort_warp_sort_small_config_static_selectorELNS0_4arch9wavefront6targetE1EEEvSK_,"axG",@progbits,_ZN7rocprim17ROCPRIM_400000_NS6detail17trampoline_kernelINS0_14default_configENS1_36segmented_radix_sort_config_selectorIdlEEZNS1_25segmented_radix_sort_implIS3_Lb0EPKdPdPKlPlN2at6native12_GLOBAL__N_18offset_tEEE10hipError_tPvRmT1_PNSt15iterator_traitsISK_E10value_typeET2_T3_PNSL_ISQ_E10value_typeET4_jRbjT5_SW_jjP12ihipStream_tbEUlT_E1_NS1_11comp_targetILNS1_3genE10ELNS1_11target_archE1200ELNS1_3gpuE4ELNS1_3repE0EEENS1_59segmented_radix_sort_warp_sort_small_config_static_selectorELNS0_4arch9wavefront6targetE1EEEvSK_,comdat
.Lfunc_end1246:
	.size	_ZN7rocprim17ROCPRIM_400000_NS6detail17trampoline_kernelINS0_14default_configENS1_36segmented_radix_sort_config_selectorIdlEEZNS1_25segmented_radix_sort_implIS3_Lb0EPKdPdPKlPlN2at6native12_GLOBAL__N_18offset_tEEE10hipError_tPvRmT1_PNSt15iterator_traitsISK_E10value_typeET2_T3_PNSL_ISQ_E10value_typeET4_jRbjT5_SW_jjP12ihipStream_tbEUlT_E1_NS1_11comp_targetILNS1_3genE10ELNS1_11target_archE1200ELNS1_3gpuE4ELNS1_3repE0EEENS1_59segmented_radix_sort_warp_sort_small_config_static_selectorELNS0_4arch9wavefront6targetE1EEEvSK_, .Lfunc_end1246-_ZN7rocprim17ROCPRIM_400000_NS6detail17trampoline_kernelINS0_14default_configENS1_36segmented_radix_sort_config_selectorIdlEEZNS1_25segmented_radix_sort_implIS3_Lb0EPKdPdPKlPlN2at6native12_GLOBAL__N_18offset_tEEE10hipError_tPvRmT1_PNSt15iterator_traitsISK_E10value_typeET2_T3_PNSL_ISQ_E10value_typeET4_jRbjT5_SW_jjP12ihipStream_tbEUlT_E1_NS1_11comp_targetILNS1_3genE10ELNS1_11target_archE1200ELNS1_3gpuE4ELNS1_3repE0EEENS1_59segmented_radix_sort_warp_sort_small_config_static_selectorELNS0_4arch9wavefront6targetE1EEEvSK_
                                        ; -- End function
	.section	.AMDGPU.csdata,"",@progbits
; Kernel info:
; codeLenInByte = 0
; NumSgprs: 4
; NumVgprs: 0
; NumAgprs: 0
; TotalNumVgprs: 0
; ScratchSize: 0
; MemoryBound: 0
; FloatMode: 240
; IeeeMode: 1
; LDSByteSize: 0 bytes/workgroup (compile time only)
; SGPRBlocks: 0
; VGPRBlocks: 0
; NumSGPRsForWavesPerEU: 4
; NumVGPRsForWavesPerEU: 1
; AccumOffset: 4
; Occupancy: 8
; WaveLimiterHint : 0
; COMPUTE_PGM_RSRC2:SCRATCH_EN: 0
; COMPUTE_PGM_RSRC2:USER_SGPR: 6
; COMPUTE_PGM_RSRC2:TRAP_HANDLER: 0
; COMPUTE_PGM_RSRC2:TGID_X_EN: 1
; COMPUTE_PGM_RSRC2:TGID_Y_EN: 0
; COMPUTE_PGM_RSRC2:TGID_Z_EN: 0
; COMPUTE_PGM_RSRC2:TIDIG_COMP_CNT: 0
; COMPUTE_PGM_RSRC3_GFX90A:ACCUM_OFFSET: 0
; COMPUTE_PGM_RSRC3_GFX90A:TG_SPLIT: 0
	.section	.text._ZN7rocprim17ROCPRIM_400000_NS6detail17trampoline_kernelINS0_14default_configENS1_36segmented_radix_sort_config_selectorIdlEEZNS1_25segmented_radix_sort_implIS3_Lb0EPKdPdPKlPlN2at6native12_GLOBAL__N_18offset_tEEE10hipError_tPvRmT1_PNSt15iterator_traitsISK_E10value_typeET2_T3_PNSL_ISQ_E10value_typeET4_jRbjT5_SW_jjP12ihipStream_tbEUlT_E1_NS1_11comp_targetILNS1_3genE9ELNS1_11target_archE1100ELNS1_3gpuE3ELNS1_3repE0EEENS1_59segmented_radix_sort_warp_sort_small_config_static_selectorELNS0_4arch9wavefront6targetE1EEEvSK_,"axG",@progbits,_ZN7rocprim17ROCPRIM_400000_NS6detail17trampoline_kernelINS0_14default_configENS1_36segmented_radix_sort_config_selectorIdlEEZNS1_25segmented_radix_sort_implIS3_Lb0EPKdPdPKlPlN2at6native12_GLOBAL__N_18offset_tEEE10hipError_tPvRmT1_PNSt15iterator_traitsISK_E10value_typeET2_T3_PNSL_ISQ_E10value_typeET4_jRbjT5_SW_jjP12ihipStream_tbEUlT_E1_NS1_11comp_targetILNS1_3genE9ELNS1_11target_archE1100ELNS1_3gpuE3ELNS1_3repE0EEENS1_59segmented_radix_sort_warp_sort_small_config_static_selectorELNS0_4arch9wavefront6targetE1EEEvSK_,comdat
	.globl	_ZN7rocprim17ROCPRIM_400000_NS6detail17trampoline_kernelINS0_14default_configENS1_36segmented_radix_sort_config_selectorIdlEEZNS1_25segmented_radix_sort_implIS3_Lb0EPKdPdPKlPlN2at6native12_GLOBAL__N_18offset_tEEE10hipError_tPvRmT1_PNSt15iterator_traitsISK_E10value_typeET2_T3_PNSL_ISQ_E10value_typeET4_jRbjT5_SW_jjP12ihipStream_tbEUlT_E1_NS1_11comp_targetILNS1_3genE9ELNS1_11target_archE1100ELNS1_3gpuE3ELNS1_3repE0EEENS1_59segmented_radix_sort_warp_sort_small_config_static_selectorELNS0_4arch9wavefront6targetE1EEEvSK_ ; -- Begin function _ZN7rocprim17ROCPRIM_400000_NS6detail17trampoline_kernelINS0_14default_configENS1_36segmented_radix_sort_config_selectorIdlEEZNS1_25segmented_radix_sort_implIS3_Lb0EPKdPdPKlPlN2at6native12_GLOBAL__N_18offset_tEEE10hipError_tPvRmT1_PNSt15iterator_traitsISK_E10value_typeET2_T3_PNSL_ISQ_E10value_typeET4_jRbjT5_SW_jjP12ihipStream_tbEUlT_E1_NS1_11comp_targetILNS1_3genE9ELNS1_11target_archE1100ELNS1_3gpuE3ELNS1_3repE0EEENS1_59segmented_radix_sort_warp_sort_small_config_static_selectorELNS0_4arch9wavefront6targetE1EEEvSK_
	.p2align	8
	.type	_ZN7rocprim17ROCPRIM_400000_NS6detail17trampoline_kernelINS0_14default_configENS1_36segmented_radix_sort_config_selectorIdlEEZNS1_25segmented_radix_sort_implIS3_Lb0EPKdPdPKlPlN2at6native12_GLOBAL__N_18offset_tEEE10hipError_tPvRmT1_PNSt15iterator_traitsISK_E10value_typeET2_T3_PNSL_ISQ_E10value_typeET4_jRbjT5_SW_jjP12ihipStream_tbEUlT_E1_NS1_11comp_targetILNS1_3genE9ELNS1_11target_archE1100ELNS1_3gpuE3ELNS1_3repE0EEENS1_59segmented_radix_sort_warp_sort_small_config_static_selectorELNS0_4arch9wavefront6targetE1EEEvSK_,@function
_ZN7rocprim17ROCPRIM_400000_NS6detail17trampoline_kernelINS0_14default_configENS1_36segmented_radix_sort_config_selectorIdlEEZNS1_25segmented_radix_sort_implIS3_Lb0EPKdPdPKlPlN2at6native12_GLOBAL__N_18offset_tEEE10hipError_tPvRmT1_PNSt15iterator_traitsISK_E10value_typeET2_T3_PNSL_ISQ_E10value_typeET4_jRbjT5_SW_jjP12ihipStream_tbEUlT_E1_NS1_11comp_targetILNS1_3genE9ELNS1_11target_archE1100ELNS1_3gpuE3ELNS1_3repE0EEENS1_59segmented_radix_sort_warp_sort_small_config_static_selectorELNS0_4arch9wavefront6targetE1EEEvSK_: ; @_ZN7rocprim17ROCPRIM_400000_NS6detail17trampoline_kernelINS0_14default_configENS1_36segmented_radix_sort_config_selectorIdlEEZNS1_25segmented_radix_sort_implIS3_Lb0EPKdPdPKlPlN2at6native12_GLOBAL__N_18offset_tEEE10hipError_tPvRmT1_PNSt15iterator_traitsISK_E10value_typeET2_T3_PNSL_ISQ_E10value_typeET4_jRbjT5_SW_jjP12ihipStream_tbEUlT_E1_NS1_11comp_targetILNS1_3genE9ELNS1_11target_archE1100ELNS1_3gpuE3ELNS1_3repE0EEENS1_59segmented_radix_sort_warp_sort_small_config_static_selectorELNS0_4arch9wavefront6targetE1EEEvSK_
; %bb.0:
	.section	.rodata,"a",@progbits
	.p2align	6, 0x0
	.amdhsa_kernel _ZN7rocprim17ROCPRIM_400000_NS6detail17trampoline_kernelINS0_14default_configENS1_36segmented_radix_sort_config_selectorIdlEEZNS1_25segmented_radix_sort_implIS3_Lb0EPKdPdPKlPlN2at6native12_GLOBAL__N_18offset_tEEE10hipError_tPvRmT1_PNSt15iterator_traitsISK_E10value_typeET2_T3_PNSL_ISQ_E10value_typeET4_jRbjT5_SW_jjP12ihipStream_tbEUlT_E1_NS1_11comp_targetILNS1_3genE9ELNS1_11target_archE1100ELNS1_3gpuE3ELNS1_3repE0EEENS1_59segmented_radix_sort_warp_sort_small_config_static_selectorELNS0_4arch9wavefront6targetE1EEEvSK_
		.amdhsa_group_segment_fixed_size 0
		.amdhsa_private_segment_fixed_size 0
		.amdhsa_kernarg_size 88
		.amdhsa_user_sgpr_count 6
		.amdhsa_user_sgpr_private_segment_buffer 1
		.amdhsa_user_sgpr_dispatch_ptr 0
		.amdhsa_user_sgpr_queue_ptr 0
		.amdhsa_user_sgpr_kernarg_segment_ptr 1
		.amdhsa_user_sgpr_dispatch_id 0
		.amdhsa_user_sgpr_flat_scratch_init 0
		.amdhsa_user_sgpr_kernarg_preload_length 0
		.amdhsa_user_sgpr_kernarg_preload_offset 0
		.amdhsa_user_sgpr_private_segment_size 0
		.amdhsa_uses_dynamic_stack 0
		.amdhsa_system_sgpr_private_segment_wavefront_offset 0
		.amdhsa_system_sgpr_workgroup_id_x 1
		.amdhsa_system_sgpr_workgroup_id_y 0
		.amdhsa_system_sgpr_workgroup_id_z 0
		.amdhsa_system_sgpr_workgroup_info 0
		.amdhsa_system_vgpr_workitem_id 0
		.amdhsa_next_free_vgpr 1
		.amdhsa_next_free_sgpr 0
		.amdhsa_accum_offset 4
		.amdhsa_reserve_vcc 0
		.amdhsa_reserve_flat_scratch 0
		.amdhsa_float_round_mode_32 0
		.amdhsa_float_round_mode_16_64 0
		.amdhsa_float_denorm_mode_32 3
		.amdhsa_float_denorm_mode_16_64 3
		.amdhsa_dx10_clamp 1
		.amdhsa_ieee_mode 1
		.amdhsa_fp16_overflow 0
		.amdhsa_tg_split 0
		.amdhsa_exception_fp_ieee_invalid_op 0
		.amdhsa_exception_fp_denorm_src 0
		.amdhsa_exception_fp_ieee_div_zero 0
		.amdhsa_exception_fp_ieee_overflow 0
		.amdhsa_exception_fp_ieee_underflow 0
		.amdhsa_exception_fp_ieee_inexact 0
		.amdhsa_exception_int_div_zero 0
	.end_amdhsa_kernel
	.section	.text._ZN7rocprim17ROCPRIM_400000_NS6detail17trampoline_kernelINS0_14default_configENS1_36segmented_radix_sort_config_selectorIdlEEZNS1_25segmented_radix_sort_implIS3_Lb0EPKdPdPKlPlN2at6native12_GLOBAL__N_18offset_tEEE10hipError_tPvRmT1_PNSt15iterator_traitsISK_E10value_typeET2_T3_PNSL_ISQ_E10value_typeET4_jRbjT5_SW_jjP12ihipStream_tbEUlT_E1_NS1_11comp_targetILNS1_3genE9ELNS1_11target_archE1100ELNS1_3gpuE3ELNS1_3repE0EEENS1_59segmented_radix_sort_warp_sort_small_config_static_selectorELNS0_4arch9wavefront6targetE1EEEvSK_,"axG",@progbits,_ZN7rocprim17ROCPRIM_400000_NS6detail17trampoline_kernelINS0_14default_configENS1_36segmented_radix_sort_config_selectorIdlEEZNS1_25segmented_radix_sort_implIS3_Lb0EPKdPdPKlPlN2at6native12_GLOBAL__N_18offset_tEEE10hipError_tPvRmT1_PNSt15iterator_traitsISK_E10value_typeET2_T3_PNSL_ISQ_E10value_typeET4_jRbjT5_SW_jjP12ihipStream_tbEUlT_E1_NS1_11comp_targetILNS1_3genE9ELNS1_11target_archE1100ELNS1_3gpuE3ELNS1_3repE0EEENS1_59segmented_radix_sort_warp_sort_small_config_static_selectorELNS0_4arch9wavefront6targetE1EEEvSK_,comdat
.Lfunc_end1247:
	.size	_ZN7rocprim17ROCPRIM_400000_NS6detail17trampoline_kernelINS0_14default_configENS1_36segmented_radix_sort_config_selectorIdlEEZNS1_25segmented_radix_sort_implIS3_Lb0EPKdPdPKlPlN2at6native12_GLOBAL__N_18offset_tEEE10hipError_tPvRmT1_PNSt15iterator_traitsISK_E10value_typeET2_T3_PNSL_ISQ_E10value_typeET4_jRbjT5_SW_jjP12ihipStream_tbEUlT_E1_NS1_11comp_targetILNS1_3genE9ELNS1_11target_archE1100ELNS1_3gpuE3ELNS1_3repE0EEENS1_59segmented_radix_sort_warp_sort_small_config_static_selectorELNS0_4arch9wavefront6targetE1EEEvSK_, .Lfunc_end1247-_ZN7rocprim17ROCPRIM_400000_NS6detail17trampoline_kernelINS0_14default_configENS1_36segmented_radix_sort_config_selectorIdlEEZNS1_25segmented_radix_sort_implIS3_Lb0EPKdPdPKlPlN2at6native12_GLOBAL__N_18offset_tEEE10hipError_tPvRmT1_PNSt15iterator_traitsISK_E10value_typeET2_T3_PNSL_ISQ_E10value_typeET4_jRbjT5_SW_jjP12ihipStream_tbEUlT_E1_NS1_11comp_targetILNS1_3genE9ELNS1_11target_archE1100ELNS1_3gpuE3ELNS1_3repE0EEENS1_59segmented_radix_sort_warp_sort_small_config_static_selectorELNS0_4arch9wavefront6targetE1EEEvSK_
                                        ; -- End function
	.section	.AMDGPU.csdata,"",@progbits
; Kernel info:
; codeLenInByte = 0
; NumSgprs: 4
; NumVgprs: 0
; NumAgprs: 0
; TotalNumVgprs: 0
; ScratchSize: 0
; MemoryBound: 0
; FloatMode: 240
; IeeeMode: 1
; LDSByteSize: 0 bytes/workgroup (compile time only)
; SGPRBlocks: 0
; VGPRBlocks: 0
; NumSGPRsForWavesPerEU: 4
; NumVGPRsForWavesPerEU: 1
; AccumOffset: 4
; Occupancy: 8
; WaveLimiterHint : 0
; COMPUTE_PGM_RSRC2:SCRATCH_EN: 0
; COMPUTE_PGM_RSRC2:USER_SGPR: 6
; COMPUTE_PGM_RSRC2:TRAP_HANDLER: 0
; COMPUTE_PGM_RSRC2:TGID_X_EN: 1
; COMPUTE_PGM_RSRC2:TGID_Y_EN: 0
; COMPUTE_PGM_RSRC2:TGID_Z_EN: 0
; COMPUTE_PGM_RSRC2:TIDIG_COMP_CNT: 0
; COMPUTE_PGM_RSRC3_GFX90A:ACCUM_OFFSET: 0
; COMPUTE_PGM_RSRC3_GFX90A:TG_SPLIT: 0
	.section	.text._ZN7rocprim17ROCPRIM_400000_NS6detail17trampoline_kernelINS0_14default_configENS1_36segmented_radix_sort_config_selectorIdlEEZNS1_25segmented_radix_sort_implIS3_Lb0EPKdPdPKlPlN2at6native12_GLOBAL__N_18offset_tEEE10hipError_tPvRmT1_PNSt15iterator_traitsISK_E10value_typeET2_T3_PNSL_ISQ_E10value_typeET4_jRbjT5_SW_jjP12ihipStream_tbEUlT_E1_NS1_11comp_targetILNS1_3genE8ELNS1_11target_archE1030ELNS1_3gpuE2ELNS1_3repE0EEENS1_59segmented_radix_sort_warp_sort_small_config_static_selectorELNS0_4arch9wavefront6targetE1EEEvSK_,"axG",@progbits,_ZN7rocprim17ROCPRIM_400000_NS6detail17trampoline_kernelINS0_14default_configENS1_36segmented_radix_sort_config_selectorIdlEEZNS1_25segmented_radix_sort_implIS3_Lb0EPKdPdPKlPlN2at6native12_GLOBAL__N_18offset_tEEE10hipError_tPvRmT1_PNSt15iterator_traitsISK_E10value_typeET2_T3_PNSL_ISQ_E10value_typeET4_jRbjT5_SW_jjP12ihipStream_tbEUlT_E1_NS1_11comp_targetILNS1_3genE8ELNS1_11target_archE1030ELNS1_3gpuE2ELNS1_3repE0EEENS1_59segmented_radix_sort_warp_sort_small_config_static_selectorELNS0_4arch9wavefront6targetE1EEEvSK_,comdat
	.globl	_ZN7rocprim17ROCPRIM_400000_NS6detail17trampoline_kernelINS0_14default_configENS1_36segmented_radix_sort_config_selectorIdlEEZNS1_25segmented_radix_sort_implIS3_Lb0EPKdPdPKlPlN2at6native12_GLOBAL__N_18offset_tEEE10hipError_tPvRmT1_PNSt15iterator_traitsISK_E10value_typeET2_T3_PNSL_ISQ_E10value_typeET4_jRbjT5_SW_jjP12ihipStream_tbEUlT_E1_NS1_11comp_targetILNS1_3genE8ELNS1_11target_archE1030ELNS1_3gpuE2ELNS1_3repE0EEENS1_59segmented_radix_sort_warp_sort_small_config_static_selectorELNS0_4arch9wavefront6targetE1EEEvSK_ ; -- Begin function _ZN7rocprim17ROCPRIM_400000_NS6detail17trampoline_kernelINS0_14default_configENS1_36segmented_radix_sort_config_selectorIdlEEZNS1_25segmented_radix_sort_implIS3_Lb0EPKdPdPKlPlN2at6native12_GLOBAL__N_18offset_tEEE10hipError_tPvRmT1_PNSt15iterator_traitsISK_E10value_typeET2_T3_PNSL_ISQ_E10value_typeET4_jRbjT5_SW_jjP12ihipStream_tbEUlT_E1_NS1_11comp_targetILNS1_3genE8ELNS1_11target_archE1030ELNS1_3gpuE2ELNS1_3repE0EEENS1_59segmented_radix_sort_warp_sort_small_config_static_selectorELNS0_4arch9wavefront6targetE1EEEvSK_
	.p2align	8
	.type	_ZN7rocprim17ROCPRIM_400000_NS6detail17trampoline_kernelINS0_14default_configENS1_36segmented_radix_sort_config_selectorIdlEEZNS1_25segmented_radix_sort_implIS3_Lb0EPKdPdPKlPlN2at6native12_GLOBAL__N_18offset_tEEE10hipError_tPvRmT1_PNSt15iterator_traitsISK_E10value_typeET2_T3_PNSL_ISQ_E10value_typeET4_jRbjT5_SW_jjP12ihipStream_tbEUlT_E1_NS1_11comp_targetILNS1_3genE8ELNS1_11target_archE1030ELNS1_3gpuE2ELNS1_3repE0EEENS1_59segmented_radix_sort_warp_sort_small_config_static_selectorELNS0_4arch9wavefront6targetE1EEEvSK_,@function
_ZN7rocprim17ROCPRIM_400000_NS6detail17trampoline_kernelINS0_14default_configENS1_36segmented_radix_sort_config_selectorIdlEEZNS1_25segmented_radix_sort_implIS3_Lb0EPKdPdPKlPlN2at6native12_GLOBAL__N_18offset_tEEE10hipError_tPvRmT1_PNSt15iterator_traitsISK_E10value_typeET2_T3_PNSL_ISQ_E10value_typeET4_jRbjT5_SW_jjP12ihipStream_tbEUlT_E1_NS1_11comp_targetILNS1_3genE8ELNS1_11target_archE1030ELNS1_3gpuE2ELNS1_3repE0EEENS1_59segmented_radix_sort_warp_sort_small_config_static_selectorELNS0_4arch9wavefront6targetE1EEEvSK_: ; @_ZN7rocprim17ROCPRIM_400000_NS6detail17trampoline_kernelINS0_14default_configENS1_36segmented_radix_sort_config_selectorIdlEEZNS1_25segmented_radix_sort_implIS3_Lb0EPKdPdPKlPlN2at6native12_GLOBAL__N_18offset_tEEE10hipError_tPvRmT1_PNSt15iterator_traitsISK_E10value_typeET2_T3_PNSL_ISQ_E10value_typeET4_jRbjT5_SW_jjP12ihipStream_tbEUlT_E1_NS1_11comp_targetILNS1_3genE8ELNS1_11target_archE1030ELNS1_3gpuE2ELNS1_3repE0EEENS1_59segmented_radix_sort_warp_sort_small_config_static_selectorELNS0_4arch9wavefront6targetE1EEEvSK_
; %bb.0:
	.section	.rodata,"a",@progbits
	.p2align	6, 0x0
	.amdhsa_kernel _ZN7rocprim17ROCPRIM_400000_NS6detail17trampoline_kernelINS0_14default_configENS1_36segmented_radix_sort_config_selectorIdlEEZNS1_25segmented_radix_sort_implIS3_Lb0EPKdPdPKlPlN2at6native12_GLOBAL__N_18offset_tEEE10hipError_tPvRmT1_PNSt15iterator_traitsISK_E10value_typeET2_T3_PNSL_ISQ_E10value_typeET4_jRbjT5_SW_jjP12ihipStream_tbEUlT_E1_NS1_11comp_targetILNS1_3genE8ELNS1_11target_archE1030ELNS1_3gpuE2ELNS1_3repE0EEENS1_59segmented_radix_sort_warp_sort_small_config_static_selectorELNS0_4arch9wavefront6targetE1EEEvSK_
		.amdhsa_group_segment_fixed_size 0
		.amdhsa_private_segment_fixed_size 0
		.amdhsa_kernarg_size 88
		.amdhsa_user_sgpr_count 6
		.amdhsa_user_sgpr_private_segment_buffer 1
		.amdhsa_user_sgpr_dispatch_ptr 0
		.amdhsa_user_sgpr_queue_ptr 0
		.amdhsa_user_sgpr_kernarg_segment_ptr 1
		.amdhsa_user_sgpr_dispatch_id 0
		.amdhsa_user_sgpr_flat_scratch_init 0
		.amdhsa_user_sgpr_kernarg_preload_length 0
		.amdhsa_user_sgpr_kernarg_preload_offset 0
		.amdhsa_user_sgpr_private_segment_size 0
		.amdhsa_uses_dynamic_stack 0
		.amdhsa_system_sgpr_private_segment_wavefront_offset 0
		.amdhsa_system_sgpr_workgroup_id_x 1
		.amdhsa_system_sgpr_workgroup_id_y 0
		.amdhsa_system_sgpr_workgroup_id_z 0
		.amdhsa_system_sgpr_workgroup_info 0
		.amdhsa_system_vgpr_workitem_id 0
		.amdhsa_next_free_vgpr 1
		.amdhsa_next_free_sgpr 0
		.amdhsa_accum_offset 4
		.amdhsa_reserve_vcc 0
		.amdhsa_reserve_flat_scratch 0
		.amdhsa_float_round_mode_32 0
		.amdhsa_float_round_mode_16_64 0
		.amdhsa_float_denorm_mode_32 3
		.amdhsa_float_denorm_mode_16_64 3
		.amdhsa_dx10_clamp 1
		.amdhsa_ieee_mode 1
		.amdhsa_fp16_overflow 0
		.amdhsa_tg_split 0
		.amdhsa_exception_fp_ieee_invalid_op 0
		.amdhsa_exception_fp_denorm_src 0
		.amdhsa_exception_fp_ieee_div_zero 0
		.amdhsa_exception_fp_ieee_overflow 0
		.amdhsa_exception_fp_ieee_underflow 0
		.amdhsa_exception_fp_ieee_inexact 0
		.amdhsa_exception_int_div_zero 0
	.end_amdhsa_kernel
	.section	.text._ZN7rocprim17ROCPRIM_400000_NS6detail17trampoline_kernelINS0_14default_configENS1_36segmented_radix_sort_config_selectorIdlEEZNS1_25segmented_radix_sort_implIS3_Lb0EPKdPdPKlPlN2at6native12_GLOBAL__N_18offset_tEEE10hipError_tPvRmT1_PNSt15iterator_traitsISK_E10value_typeET2_T3_PNSL_ISQ_E10value_typeET4_jRbjT5_SW_jjP12ihipStream_tbEUlT_E1_NS1_11comp_targetILNS1_3genE8ELNS1_11target_archE1030ELNS1_3gpuE2ELNS1_3repE0EEENS1_59segmented_radix_sort_warp_sort_small_config_static_selectorELNS0_4arch9wavefront6targetE1EEEvSK_,"axG",@progbits,_ZN7rocprim17ROCPRIM_400000_NS6detail17trampoline_kernelINS0_14default_configENS1_36segmented_radix_sort_config_selectorIdlEEZNS1_25segmented_radix_sort_implIS3_Lb0EPKdPdPKlPlN2at6native12_GLOBAL__N_18offset_tEEE10hipError_tPvRmT1_PNSt15iterator_traitsISK_E10value_typeET2_T3_PNSL_ISQ_E10value_typeET4_jRbjT5_SW_jjP12ihipStream_tbEUlT_E1_NS1_11comp_targetILNS1_3genE8ELNS1_11target_archE1030ELNS1_3gpuE2ELNS1_3repE0EEENS1_59segmented_radix_sort_warp_sort_small_config_static_selectorELNS0_4arch9wavefront6targetE1EEEvSK_,comdat
.Lfunc_end1248:
	.size	_ZN7rocprim17ROCPRIM_400000_NS6detail17trampoline_kernelINS0_14default_configENS1_36segmented_radix_sort_config_selectorIdlEEZNS1_25segmented_radix_sort_implIS3_Lb0EPKdPdPKlPlN2at6native12_GLOBAL__N_18offset_tEEE10hipError_tPvRmT1_PNSt15iterator_traitsISK_E10value_typeET2_T3_PNSL_ISQ_E10value_typeET4_jRbjT5_SW_jjP12ihipStream_tbEUlT_E1_NS1_11comp_targetILNS1_3genE8ELNS1_11target_archE1030ELNS1_3gpuE2ELNS1_3repE0EEENS1_59segmented_radix_sort_warp_sort_small_config_static_selectorELNS0_4arch9wavefront6targetE1EEEvSK_, .Lfunc_end1248-_ZN7rocprim17ROCPRIM_400000_NS6detail17trampoline_kernelINS0_14default_configENS1_36segmented_radix_sort_config_selectorIdlEEZNS1_25segmented_radix_sort_implIS3_Lb0EPKdPdPKlPlN2at6native12_GLOBAL__N_18offset_tEEE10hipError_tPvRmT1_PNSt15iterator_traitsISK_E10value_typeET2_T3_PNSL_ISQ_E10value_typeET4_jRbjT5_SW_jjP12ihipStream_tbEUlT_E1_NS1_11comp_targetILNS1_3genE8ELNS1_11target_archE1030ELNS1_3gpuE2ELNS1_3repE0EEENS1_59segmented_radix_sort_warp_sort_small_config_static_selectorELNS0_4arch9wavefront6targetE1EEEvSK_
                                        ; -- End function
	.section	.AMDGPU.csdata,"",@progbits
; Kernel info:
; codeLenInByte = 0
; NumSgprs: 4
; NumVgprs: 0
; NumAgprs: 0
; TotalNumVgprs: 0
; ScratchSize: 0
; MemoryBound: 0
; FloatMode: 240
; IeeeMode: 1
; LDSByteSize: 0 bytes/workgroup (compile time only)
; SGPRBlocks: 0
; VGPRBlocks: 0
; NumSGPRsForWavesPerEU: 4
; NumVGPRsForWavesPerEU: 1
; AccumOffset: 4
; Occupancy: 8
; WaveLimiterHint : 0
; COMPUTE_PGM_RSRC2:SCRATCH_EN: 0
; COMPUTE_PGM_RSRC2:USER_SGPR: 6
; COMPUTE_PGM_RSRC2:TRAP_HANDLER: 0
; COMPUTE_PGM_RSRC2:TGID_X_EN: 1
; COMPUTE_PGM_RSRC2:TGID_Y_EN: 0
; COMPUTE_PGM_RSRC2:TGID_Z_EN: 0
; COMPUTE_PGM_RSRC2:TIDIG_COMP_CNT: 0
; COMPUTE_PGM_RSRC3_GFX90A:ACCUM_OFFSET: 0
; COMPUTE_PGM_RSRC3_GFX90A:TG_SPLIT: 0
	.section	.text._ZN7rocprim17ROCPRIM_400000_NS6detail17trampoline_kernelINS0_14default_configENS1_36segmented_radix_sort_config_selectorIdlEEZNS1_25segmented_radix_sort_implIS3_Lb0EPKdPdPKlPlN2at6native12_GLOBAL__N_18offset_tEEE10hipError_tPvRmT1_PNSt15iterator_traitsISK_E10value_typeET2_T3_PNSL_ISQ_E10value_typeET4_jRbjT5_SW_jjP12ihipStream_tbEUlT_E2_NS1_11comp_targetILNS1_3genE0ELNS1_11target_archE4294967295ELNS1_3gpuE0ELNS1_3repE0EEENS1_30default_config_static_selectorELNS0_4arch9wavefront6targetE1EEEvSK_,"axG",@progbits,_ZN7rocprim17ROCPRIM_400000_NS6detail17trampoline_kernelINS0_14default_configENS1_36segmented_radix_sort_config_selectorIdlEEZNS1_25segmented_radix_sort_implIS3_Lb0EPKdPdPKlPlN2at6native12_GLOBAL__N_18offset_tEEE10hipError_tPvRmT1_PNSt15iterator_traitsISK_E10value_typeET2_T3_PNSL_ISQ_E10value_typeET4_jRbjT5_SW_jjP12ihipStream_tbEUlT_E2_NS1_11comp_targetILNS1_3genE0ELNS1_11target_archE4294967295ELNS1_3gpuE0ELNS1_3repE0EEENS1_30default_config_static_selectorELNS0_4arch9wavefront6targetE1EEEvSK_,comdat
	.globl	_ZN7rocprim17ROCPRIM_400000_NS6detail17trampoline_kernelINS0_14default_configENS1_36segmented_radix_sort_config_selectorIdlEEZNS1_25segmented_radix_sort_implIS3_Lb0EPKdPdPKlPlN2at6native12_GLOBAL__N_18offset_tEEE10hipError_tPvRmT1_PNSt15iterator_traitsISK_E10value_typeET2_T3_PNSL_ISQ_E10value_typeET4_jRbjT5_SW_jjP12ihipStream_tbEUlT_E2_NS1_11comp_targetILNS1_3genE0ELNS1_11target_archE4294967295ELNS1_3gpuE0ELNS1_3repE0EEENS1_30default_config_static_selectorELNS0_4arch9wavefront6targetE1EEEvSK_ ; -- Begin function _ZN7rocprim17ROCPRIM_400000_NS6detail17trampoline_kernelINS0_14default_configENS1_36segmented_radix_sort_config_selectorIdlEEZNS1_25segmented_radix_sort_implIS3_Lb0EPKdPdPKlPlN2at6native12_GLOBAL__N_18offset_tEEE10hipError_tPvRmT1_PNSt15iterator_traitsISK_E10value_typeET2_T3_PNSL_ISQ_E10value_typeET4_jRbjT5_SW_jjP12ihipStream_tbEUlT_E2_NS1_11comp_targetILNS1_3genE0ELNS1_11target_archE4294967295ELNS1_3gpuE0ELNS1_3repE0EEENS1_30default_config_static_selectorELNS0_4arch9wavefront6targetE1EEEvSK_
	.p2align	8
	.type	_ZN7rocprim17ROCPRIM_400000_NS6detail17trampoline_kernelINS0_14default_configENS1_36segmented_radix_sort_config_selectorIdlEEZNS1_25segmented_radix_sort_implIS3_Lb0EPKdPdPKlPlN2at6native12_GLOBAL__N_18offset_tEEE10hipError_tPvRmT1_PNSt15iterator_traitsISK_E10value_typeET2_T3_PNSL_ISQ_E10value_typeET4_jRbjT5_SW_jjP12ihipStream_tbEUlT_E2_NS1_11comp_targetILNS1_3genE0ELNS1_11target_archE4294967295ELNS1_3gpuE0ELNS1_3repE0EEENS1_30default_config_static_selectorELNS0_4arch9wavefront6targetE1EEEvSK_,@function
_ZN7rocprim17ROCPRIM_400000_NS6detail17trampoline_kernelINS0_14default_configENS1_36segmented_radix_sort_config_selectorIdlEEZNS1_25segmented_radix_sort_implIS3_Lb0EPKdPdPKlPlN2at6native12_GLOBAL__N_18offset_tEEE10hipError_tPvRmT1_PNSt15iterator_traitsISK_E10value_typeET2_T3_PNSL_ISQ_E10value_typeET4_jRbjT5_SW_jjP12ihipStream_tbEUlT_E2_NS1_11comp_targetILNS1_3genE0ELNS1_11target_archE4294967295ELNS1_3gpuE0ELNS1_3repE0EEENS1_30default_config_static_selectorELNS0_4arch9wavefront6targetE1EEEvSK_: ; @_ZN7rocprim17ROCPRIM_400000_NS6detail17trampoline_kernelINS0_14default_configENS1_36segmented_radix_sort_config_selectorIdlEEZNS1_25segmented_radix_sort_implIS3_Lb0EPKdPdPKlPlN2at6native12_GLOBAL__N_18offset_tEEE10hipError_tPvRmT1_PNSt15iterator_traitsISK_E10value_typeET2_T3_PNSL_ISQ_E10value_typeET4_jRbjT5_SW_jjP12ihipStream_tbEUlT_E2_NS1_11comp_targetILNS1_3genE0ELNS1_11target_archE4294967295ELNS1_3gpuE0ELNS1_3repE0EEENS1_30default_config_static_selectorELNS0_4arch9wavefront6targetE1EEEvSK_
; %bb.0:
	.section	.rodata,"a",@progbits
	.p2align	6, 0x0
	.amdhsa_kernel _ZN7rocprim17ROCPRIM_400000_NS6detail17trampoline_kernelINS0_14default_configENS1_36segmented_radix_sort_config_selectorIdlEEZNS1_25segmented_radix_sort_implIS3_Lb0EPKdPdPKlPlN2at6native12_GLOBAL__N_18offset_tEEE10hipError_tPvRmT1_PNSt15iterator_traitsISK_E10value_typeET2_T3_PNSL_ISQ_E10value_typeET4_jRbjT5_SW_jjP12ihipStream_tbEUlT_E2_NS1_11comp_targetILNS1_3genE0ELNS1_11target_archE4294967295ELNS1_3gpuE0ELNS1_3repE0EEENS1_30default_config_static_selectorELNS0_4arch9wavefront6targetE1EEEvSK_
		.amdhsa_group_segment_fixed_size 0
		.amdhsa_private_segment_fixed_size 0
		.amdhsa_kernarg_size 80
		.amdhsa_user_sgpr_count 6
		.amdhsa_user_sgpr_private_segment_buffer 1
		.amdhsa_user_sgpr_dispatch_ptr 0
		.amdhsa_user_sgpr_queue_ptr 0
		.amdhsa_user_sgpr_kernarg_segment_ptr 1
		.amdhsa_user_sgpr_dispatch_id 0
		.amdhsa_user_sgpr_flat_scratch_init 0
		.amdhsa_user_sgpr_kernarg_preload_length 0
		.amdhsa_user_sgpr_kernarg_preload_offset 0
		.amdhsa_user_sgpr_private_segment_size 0
		.amdhsa_uses_dynamic_stack 0
		.amdhsa_system_sgpr_private_segment_wavefront_offset 0
		.amdhsa_system_sgpr_workgroup_id_x 1
		.amdhsa_system_sgpr_workgroup_id_y 0
		.amdhsa_system_sgpr_workgroup_id_z 0
		.amdhsa_system_sgpr_workgroup_info 0
		.amdhsa_system_vgpr_workitem_id 0
		.amdhsa_next_free_vgpr 1
		.amdhsa_next_free_sgpr 0
		.amdhsa_accum_offset 4
		.amdhsa_reserve_vcc 0
		.amdhsa_reserve_flat_scratch 0
		.amdhsa_float_round_mode_32 0
		.amdhsa_float_round_mode_16_64 0
		.amdhsa_float_denorm_mode_32 3
		.amdhsa_float_denorm_mode_16_64 3
		.amdhsa_dx10_clamp 1
		.amdhsa_ieee_mode 1
		.amdhsa_fp16_overflow 0
		.amdhsa_tg_split 0
		.amdhsa_exception_fp_ieee_invalid_op 0
		.amdhsa_exception_fp_denorm_src 0
		.amdhsa_exception_fp_ieee_div_zero 0
		.amdhsa_exception_fp_ieee_overflow 0
		.amdhsa_exception_fp_ieee_underflow 0
		.amdhsa_exception_fp_ieee_inexact 0
		.amdhsa_exception_int_div_zero 0
	.end_amdhsa_kernel
	.section	.text._ZN7rocprim17ROCPRIM_400000_NS6detail17trampoline_kernelINS0_14default_configENS1_36segmented_radix_sort_config_selectorIdlEEZNS1_25segmented_radix_sort_implIS3_Lb0EPKdPdPKlPlN2at6native12_GLOBAL__N_18offset_tEEE10hipError_tPvRmT1_PNSt15iterator_traitsISK_E10value_typeET2_T3_PNSL_ISQ_E10value_typeET4_jRbjT5_SW_jjP12ihipStream_tbEUlT_E2_NS1_11comp_targetILNS1_3genE0ELNS1_11target_archE4294967295ELNS1_3gpuE0ELNS1_3repE0EEENS1_30default_config_static_selectorELNS0_4arch9wavefront6targetE1EEEvSK_,"axG",@progbits,_ZN7rocprim17ROCPRIM_400000_NS6detail17trampoline_kernelINS0_14default_configENS1_36segmented_radix_sort_config_selectorIdlEEZNS1_25segmented_radix_sort_implIS3_Lb0EPKdPdPKlPlN2at6native12_GLOBAL__N_18offset_tEEE10hipError_tPvRmT1_PNSt15iterator_traitsISK_E10value_typeET2_T3_PNSL_ISQ_E10value_typeET4_jRbjT5_SW_jjP12ihipStream_tbEUlT_E2_NS1_11comp_targetILNS1_3genE0ELNS1_11target_archE4294967295ELNS1_3gpuE0ELNS1_3repE0EEENS1_30default_config_static_selectorELNS0_4arch9wavefront6targetE1EEEvSK_,comdat
.Lfunc_end1249:
	.size	_ZN7rocprim17ROCPRIM_400000_NS6detail17trampoline_kernelINS0_14default_configENS1_36segmented_radix_sort_config_selectorIdlEEZNS1_25segmented_radix_sort_implIS3_Lb0EPKdPdPKlPlN2at6native12_GLOBAL__N_18offset_tEEE10hipError_tPvRmT1_PNSt15iterator_traitsISK_E10value_typeET2_T3_PNSL_ISQ_E10value_typeET4_jRbjT5_SW_jjP12ihipStream_tbEUlT_E2_NS1_11comp_targetILNS1_3genE0ELNS1_11target_archE4294967295ELNS1_3gpuE0ELNS1_3repE0EEENS1_30default_config_static_selectorELNS0_4arch9wavefront6targetE1EEEvSK_, .Lfunc_end1249-_ZN7rocprim17ROCPRIM_400000_NS6detail17trampoline_kernelINS0_14default_configENS1_36segmented_radix_sort_config_selectorIdlEEZNS1_25segmented_radix_sort_implIS3_Lb0EPKdPdPKlPlN2at6native12_GLOBAL__N_18offset_tEEE10hipError_tPvRmT1_PNSt15iterator_traitsISK_E10value_typeET2_T3_PNSL_ISQ_E10value_typeET4_jRbjT5_SW_jjP12ihipStream_tbEUlT_E2_NS1_11comp_targetILNS1_3genE0ELNS1_11target_archE4294967295ELNS1_3gpuE0ELNS1_3repE0EEENS1_30default_config_static_selectorELNS0_4arch9wavefront6targetE1EEEvSK_
                                        ; -- End function
	.section	.AMDGPU.csdata,"",@progbits
; Kernel info:
; codeLenInByte = 0
; NumSgprs: 4
; NumVgprs: 0
; NumAgprs: 0
; TotalNumVgprs: 0
; ScratchSize: 0
; MemoryBound: 0
; FloatMode: 240
; IeeeMode: 1
; LDSByteSize: 0 bytes/workgroup (compile time only)
; SGPRBlocks: 0
; VGPRBlocks: 0
; NumSGPRsForWavesPerEU: 4
; NumVGPRsForWavesPerEU: 1
; AccumOffset: 4
; Occupancy: 8
; WaveLimiterHint : 0
; COMPUTE_PGM_RSRC2:SCRATCH_EN: 0
; COMPUTE_PGM_RSRC2:USER_SGPR: 6
; COMPUTE_PGM_RSRC2:TRAP_HANDLER: 0
; COMPUTE_PGM_RSRC2:TGID_X_EN: 1
; COMPUTE_PGM_RSRC2:TGID_Y_EN: 0
; COMPUTE_PGM_RSRC2:TGID_Z_EN: 0
; COMPUTE_PGM_RSRC2:TIDIG_COMP_CNT: 0
; COMPUTE_PGM_RSRC3_GFX90A:ACCUM_OFFSET: 0
; COMPUTE_PGM_RSRC3_GFX90A:TG_SPLIT: 0
	.section	.text._ZN7rocprim17ROCPRIM_400000_NS6detail17trampoline_kernelINS0_14default_configENS1_36segmented_radix_sort_config_selectorIdlEEZNS1_25segmented_radix_sort_implIS3_Lb0EPKdPdPKlPlN2at6native12_GLOBAL__N_18offset_tEEE10hipError_tPvRmT1_PNSt15iterator_traitsISK_E10value_typeET2_T3_PNSL_ISQ_E10value_typeET4_jRbjT5_SW_jjP12ihipStream_tbEUlT_E2_NS1_11comp_targetILNS1_3genE5ELNS1_11target_archE942ELNS1_3gpuE9ELNS1_3repE0EEENS1_30default_config_static_selectorELNS0_4arch9wavefront6targetE1EEEvSK_,"axG",@progbits,_ZN7rocprim17ROCPRIM_400000_NS6detail17trampoline_kernelINS0_14default_configENS1_36segmented_radix_sort_config_selectorIdlEEZNS1_25segmented_radix_sort_implIS3_Lb0EPKdPdPKlPlN2at6native12_GLOBAL__N_18offset_tEEE10hipError_tPvRmT1_PNSt15iterator_traitsISK_E10value_typeET2_T3_PNSL_ISQ_E10value_typeET4_jRbjT5_SW_jjP12ihipStream_tbEUlT_E2_NS1_11comp_targetILNS1_3genE5ELNS1_11target_archE942ELNS1_3gpuE9ELNS1_3repE0EEENS1_30default_config_static_selectorELNS0_4arch9wavefront6targetE1EEEvSK_,comdat
	.globl	_ZN7rocprim17ROCPRIM_400000_NS6detail17trampoline_kernelINS0_14default_configENS1_36segmented_radix_sort_config_selectorIdlEEZNS1_25segmented_radix_sort_implIS3_Lb0EPKdPdPKlPlN2at6native12_GLOBAL__N_18offset_tEEE10hipError_tPvRmT1_PNSt15iterator_traitsISK_E10value_typeET2_T3_PNSL_ISQ_E10value_typeET4_jRbjT5_SW_jjP12ihipStream_tbEUlT_E2_NS1_11comp_targetILNS1_3genE5ELNS1_11target_archE942ELNS1_3gpuE9ELNS1_3repE0EEENS1_30default_config_static_selectorELNS0_4arch9wavefront6targetE1EEEvSK_ ; -- Begin function _ZN7rocprim17ROCPRIM_400000_NS6detail17trampoline_kernelINS0_14default_configENS1_36segmented_radix_sort_config_selectorIdlEEZNS1_25segmented_radix_sort_implIS3_Lb0EPKdPdPKlPlN2at6native12_GLOBAL__N_18offset_tEEE10hipError_tPvRmT1_PNSt15iterator_traitsISK_E10value_typeET2_T3_PNSL_ISQ_E10value_typeET4_jRbjT5_SW_jjP12ihipStream_tbEUlT_E2_NS1_11comp_targetILNS1_3genE5ELNS1_11target_archE942ELNS1_3gpuE9ELNS1_3repE0EEENS1_30default_config_static_selectorELNS0_4arch9wavefront6targetE1EEEvSK_
	.p2align	8
	.type	_ZN7rocprim17ROCPRIM_400000_NS6detail17trampoline_kernelINS0_14default_configENS1_36segmented_radix_sort_config_selectorIdlEEZNS1_25segmented_radix_sort_implIS3_Lb0EPKdPdPKlPlN2at6native12_GLOBAL__N_18offset_tEEE10hipError_tPvRmT1_PNSt15iterator_traitsISK_E10value_typeET2_T3_PNSL_ISQ_E10value_typeET4_jRbjT5_SW_jjP12ihipStream_tbEUlT_E2_NS1_11comp_targetILNS1_3genE5ELNS1_11target_archE942ELNS1_3gpuE9ELNS1_3repE0EEENS1_30default_config_static_selectorELNS0_4arch9wavefront6targetE1EEEvSK_,@function
_ZN7rocprim17ROCPRIM_400000_NS6detail17trampoline_kernelINS0_14default_configENS1_36segmented_radix_sort_config_selectorIdlEEZNS1_25segmented_radix_sort_implIS3_Lb0EPKdPdPKlPlN2at6native12_GLOBAL__N_18offset_tEEE10hipError_tPvRmT1_PNSt15iterator_traitsISK_E10value_typeET2_T3_PNSL_ISQ_E10value_typeET4_jRbjT5_SW_jjP12ihipStream_tbEUlT_E2_NS1_11comp_targetILNS1_3genE5ELNS1_11target_archE942ELNS1_3gpuE9ELNS1_3repE0EEENS1_30default_config_static_selectorELNS0_4arch9wavefront6targetE1EEEvSK_: ; @_ZN7rocprim17ROCPRIM_400000_NS6detail17trampoline_kernelINS0_14default_configENS1_36segmented_radix_sort_config_selectorIdlEEZNS1_25segmented_radix_sort_implIS3_Lb0EPKdPdPKlPlN2at6native12_GLOBAL__N_18offset_tEEE10hipError_tPvRmT1_PNSt15iterator_traitsISK_E10value_typeET2_T3_PNSL_ISQ_E10value_typeET4_jRbjT5_SW_jjP12ihipStream_tbEUlT_E2_NS1_11comp_targetILNS1_3genE5ELNS1_11target_archE942ELNS1_3gpuE9ELNS1_3repE0EEENS1_30default_config_static_selectorELNS0_4arch9wavefront6targetE1EEEvSK_
; %bb.0:
	.section	.rodata,"a",@progbits
	.p2align	6, 0x0
	.amdhsa_kernel _ZN7rocprim17ROCPRIM_400000_NS6detail17trampoline_kernelINS0_14default_configENS1_36segmented_radix_sort_config_selectorIdlEEZNS1_25segmented_radix_sort_implIS3_Lb0EPKdPdPKlPlN2at6native12_GLOBAL__N_18offset_tEEE10hipError_tPvRmT1_PNSt15iterator_traitsISK_E10value_typeET2_T3_PNSL_ISQ_E10value_typeET4_jRbjT5_SW_jjP12ihipStream_tbEUlT_E2_NS1_11comp_targetILNS1_3genE5ELNS1_11target_archE942ELNS1_3gpuE9ELNS1_3repE0EEENS1_30default_config_static_selectorELNS0_4arch9wavefront6targetE1EEEvSK_
		.amdhsa_group_segment_fixed_size 0
		.amdhsa_private_segment_fixed_size 0
		.amdhsa_kernarg_size 80
		.amdhsa_user_sgpr_count 6
		.amdhsa_user_sgpr_private_segment_buffer 1
		.amdhsa_user_sgpr_dispatch_ptr 0
		.amdhsa_user_sgpr_queue_ptr 0
		.amdhsa_user_sgpr_kernarg_segment_ptr 1
		.amdhsa_user_sgpr_dispatch_id 0
		.amdhsa_user_sgpr_flat_scratch_init 0
		.amdhsa_user_sgpr_kernarg_preload_length 0
		.amdhsa_user_sgpr_kernarg_preload_offset 0
		.amdhsa_user_sgpr_private_segment_size 0
		.amdhsa_uses_dynamic_stack 0
		.amdhsa_system_sgpr_private_segment_wavefront_offset 0
		.amdhsa_system_sgpr_workgroup_id_x 1
		.amdhsa_system_sgpr_workgroup_id_y 0
		.amdhsa_system_sgpr_workgroup_id_z 0
		.amdhsa_system_sgpr_workgroup_info 0
		.amdhsa_system_vgpr_workitem_id 0
		.amdhsa_next_free_vgpr 1
		.amdhsa_next_free_sgpr 0
		.amdhsa_accum_offset 4
		.amdhsa_reserve_vcc 0
		.amdhsa_reserve_flat_scratch 0
		.amdhsa_float_round_mode_32 0
		.amdhsa_float_round_mode_16_64 0
		.amdhsa_float_denorm_mode_32 3
		.amdhsa_float_denorm_mode_16_64 3
		.amdhsa_dx10_clamp 1
		.amdhsa_ieee_mode 1
		.amdhsa_fp16_overflow 0
		.amdhsa_tg_split 0
		.amdhsa_exception_fp_ieee_invalid_op 0
		.amdhsa_exception_fp_denorm_src 0
		.amdhsa_exception_fp_ieee_div_zero 0
		.amdhsa_exception_fp_ieee_overflow 0
		.amdhsa_exception_fp_ieee_underflow 0
		.amdhsa_exception_fp_ieee_inexact 0
		.amdhsa_exception_int_div_zero 0
	.end_amdhsa_kernel
	.section	.text._ZN7rocprim17ROCPRIM_400000_NS6detail17trampoline_kernelINS0_14default_configENS1_36segmented_radix_sort_config_selectorIdlEEZNS1_25segmented_radix_sort_implIS3_Lb0EPKdPdPKlPlN2at6native12_GLOBAL__N_18offset_tEEE10hipError_tPvRmT1_PNSt15iterator_traitsISK_E10value_typeET2_T3_PNSL_ISQ_E10value_typeET4_jRbjT5_SW_jjP12ihipStream_tbEUlT_E2_NS1_11comp_targetILNS1_3genE5ELNS1_11target_archE942ELNS1_3gpuE9ELNS1_3repE0EEENS1_30default_config_static_selectorELNS0_4arch9wavefront6targetE1EEEvSK_,"axG",@progbits,_ZN7rocprim17ROCPRIM_400000_NS6detail17trampoline_kernelINS0_14default_configENS1_36segmented_radix_sort_config_selectorIdlEEZNS1_25segmented_radix_sort_implIS3_Lb0EPKdPdPKlPlN2at6native12_GLOBAL__N_18offset_tEEE10hipError_tPvRmT1_PNSt15iterator_traitsISK_E10value_typeET2_T3_PNSL_ISQ_E10value_typeET4_jRbjT5_SW_jjP12ihipStream_tbEUlT_E2_NS1_11comp_targetILNS1_3genE5ELNS1_11target_archE942ELNS1_3gpuE9ELNS1_3repE0EEENS1_30default_config_static_selectorELNS0_4arch9wavefront6targetE1EEEvSK_,comdat
.Lfunc_end1250:
	.size	_ZN7rocprim17ROCPRIM_400000_NS6detail17trampoline_kernelINS0_14default_configENS1_36segmented_radix_sort_config_selectorIdlEEZNS1_25segmented_radix_sort_implIS3_Lb0EPKdPdPKlPlN2at6native12_GLOBAL__N_18offset_tEEE10hipError_tPvRmT1_PNSt15iterator_traitsISK_E10value_typeET2_T3_PNSL_ISQ_E10value_typeET4_jRbjT5_SW_jjP12ihipStream_tbEUlT_E2_NS1_11comp_targetILNS1_3genE5ELNS1_11target_archE942ELNS1_3gpuE9ELNS1_3repE0EEENS1_30default_config_static_selectorELNS0_4arch9wavefront6targetE1EEEvSK_, .Lfunc_end1250-_ZN7rocprim17ROCPRIM_400000_NS6detail17trampoline_kernelINS0_14default_configENS1_36segmented_radix_sort_config_selectorIdlEEZNS1_25segmented_radix_sort_implIS3_Lb0EPKdPdPKlPlN2at6native12_GLOBAL__N_18offset_tEEE10hipError_tPvRmT1_PNSt15iterator_traitsISK_E10value_typeET2_T3_PNSL_ISQ_E10value_typeET4_jRbjT5_SW_jjP12ihipStream_tbEUlT_E2_NS1_11comp_targetILNS1_3genE5ELNS1_11target_archE942ELNS1_3gpuE9ELNS1_3repE0EEENS1_30default_config_static_selectorELNS0_4arch9wavefront6targetE1EEEvSK_
                                        ; -- End function
	.section	.AMDGPU.csdata,"",@progbits
; Kernel info:
; codeLenInByte = 0
; NumSgprs: 4
; NumVgprs: 0
; NumAgprs: 0
; TotalNumVgprs: 0
; ScratchSize: 0
; MemoryBound: 0
; FloatMode: 240
; IeeeMode: 1
; LDSByteSize: 0 bytes/workgroup (compile time only)
; SGPRBlocks: 0
; VGPRBlocks: 0
; NumSGPRsForWavesPerEU: 4
; NumVGPRsForWavesPerEU: 1
; AccumOffset: 4
; Occupancy: 8
; WaveLimiterHint : 0
; COMPUTE_PGM_RSRC2:SCRATCH_EN: 0
; COMPUTE_PGM_RSRC2:USER_SGPR: 6
; COMPUTE_PGM_RSRC2:TRAP_HANDLER: 0
; COMPUTE_PGM_RSRC2:TGID_X_EN: 1
; COMPUTE_PGM_RSRC2:TGID_Y_EN: 0
; COMPUTE_PGM_RSRC2:TGID_Z_EN: 0
; COMPUTE_PGM_RSRC2:TIDIG_COMP_CNT: 0
; COMPUTE_PGM_RSRC3_GFX90A:ACCUM_OFFSET: 0
; COMPUTE_PGM_RSRC3_GFX90A:TG_SPLIT: 0
	.section	.text._ZN7rocprim17ROCPRIM_400000_NS6detail17trampoline_kernelINS0_14default_configENS1_36segmented_radix_sort_config_selectorIdlEEZNS1_25segmented_radix_sort_implIS3_Lb0EPKdPdPKlPlN2at6native12_GLOBAL__N_18offset_tEEE10hipError_tPvRmT1_PNSt15iterator_traitsISK_E10value_typeET2_T3_PNSL_ISQ_E10value_typeET4_jRbjT5_SW_jjP12ihipStream_tbEUlT_E2_NS1_11comp_targetILNS1_3genE4ELNS1_11target_archE910ELNS1_3gpuE8ELNS1_3repE0EEENS1_30default_config_static_selectorELNS0_4arch9wavefront6targetE1EEEvSK_,"axG",@progbits,_ZN7rocprim17ROCPRIM_400000_NS6detail17trampoline_kernelINS0_14default_configENS1_36segmented_radix_sort_config_selectorIdlEEZNS1_25segmented_radix_sort_implIS3_Lb0EPKdPdPKlPlN2at6native12_GLOBAL__N_18offset_tEEE10hipError_tPvRmT1_PNSt15iterator_traitsISK_E10value_typeET2_T3_PNSL_ISQ_E10value_typeET4_jRbjT5_SW_jjP12ihipStream_tbEUlT_E2_NS1_11comp_targetILNS1_3genE4ELNS1_11target_archE910ELNS1_3gpuE8ELNS1_3repE0EEENS1_30default_config_static_selectorELNS0_4arch9wavefront6targetE1EEEvSK_,comdat
	.globl	_ZN7rocprim17ROCPRIM_400000_NS6detail17trampoline_kernelINS0_14default_configENS1_36segmented_radix_sort_config_selectorIdlEEZNS1_25segmented_radix_sort_implIS3_Lb0EPKdPdPKlPlN2at6native12_GLOBAL__N_18offset_tEEE10hipError_tPvRmT1_PNSt15iterator_traitsISK_E10value_typeET2_T3_PNSL_ISQ_E10value_typeET4_jRbjT5_SW_jjP12ihipStream_tbEUlT_E2_NS1_11comp_targetILNS1_3genE4ELNS1_11target_archE910ELNS1_3gpuE8ELNS1_3repE0EEENS1_30default_config_static_selectorELNS0_4arch9wavefront6targetE1EEEvSK_ ; -- Begin function _ZN7rocprim17ROCPRIM_400000_NS6detail17trampoline_kernelINS0_14default_configENS1_36segmented_radix_sort_config_selectorIdlEEZNS1_25segmented_radix_sort_implIS3_Lb0EPKdPdPKlPlN2at6native12_GLOBAL__N_18offset_tEEE10hipError_tPvRmT1_PNSt15iterator_traitsISK_E10value_typeET2_T3_PNSL_ISQ_E10value_typeET4_jRbjT5_SW_jjP12ihipStream_tbEUlT_E2_NS1_11comp_targetILNS1_3genE4ELNS1_11target_archE910ELNS1_3gpuE8ELNS1_3repE0EEENS1_30default_config_static_selectorELNS0_4arch9wavefront6targetE1EEEvSK_
	.p2align	8
	.type	_ZN7rocprim17ROCPRIM_400000_NS6detail17trampoline_kernelINS0_14default_configENS1_36segmented_radix_sort_config_selectorIdlEEZNS1_25segmented_radix_sort_implIS3_Lb0EPKdPdPKlPlN2at6native12_GLOBAL__N_18offset_tEEE10hipError_tPvRmT1_PNSt15iterator_traitsISK_E10value_typeET2_T3_PNSL_ISQ_E10value_typeET4_jRbjT5_SW_jjP12ihipStream_tbEUlT_E2_NS1_11comp_targetILNS1_3genE4ELNS1_11target_archE910ELNS1_3gpuE8ELNS1_3repE0EEENS1_30default_config_static_selectorELNS0_4arch9wavefront6targetE1EEEvSK_,@function
_ZN7rocprim17ROCPRIM_400000_NS6detail17trampoline_kernelINS0_14default_configENS1_36segmented_radix_sort_config_selectorIdlEEZNS1_25segmented_radix_sort_implIS3_Lb0EPKdPdPKlPlN2at6native12_GLOBAL__N_18offset_tEEE10hipError_tPvRmT1_PNSt15iterator_traitsISK_E10value_typeET2_T3_PNSL_ISQ_E10value_typeET4_jRbjT5_SW_jjP12ihipStream_tbEUlT_E2_NS1_11comp_targetILNS1_3genE4ELNS1_11target_archE910ELNS1_3gpuE8ELNS1_3repE0EEENS1_30default_config_static_selectorELNS0_4arch9wavefront6targetE1EEEvSK_: ; @_ZN7rocprim17ROCPRIM_400000_NS6detail17trampoline_kernelINS0_14default_configENS1_36segmented_radix_sort_config_selectorIdlEEZNS1_25segmented_radix_sort_implIS3_Lb0EPKdPdPKlPlN2at6native12_GLOBAL__N_18offset_tEEE10hipError_tPvRmT1_PNSt15iterator_traitsISK_E10value_typeET2_T3_PNSL_ISQ_E10value_typeET4_jRbjT5_SW_jjP12ihipStream_tbEUlT_E2_NS1_11comp_targetILNS1_3genE4ELNS1_11target_archE910ELNS1_3gpuE8ELNS1_3repE0EEENS1_30default_config_static_selectorELNS0_4arch9wavefront6targetE1EEEvSK_
; %bb.0:
	s_load_dwordx4 s[12:15], s[4:5], 0x34
	s_add_u32 flat_scratch_lo, s6, s10
	s_addc_u32 flat_scratch_hi, s7, 0
	s_add_u32 s0, s0, s10
	s_addc_u32 s1, s1, 0
	s_waitcnt lgkmcnt(0)
	s_add_i32 s6, s13, s8
	s_add_i32 s94, s15, s8
                                        ; implicit-def: $vgpr236 : SGPR spill to VGPR lane
	s_mul_i32 s49, s6, s12
	s_mul_i32 s94, s94, s14
	v_writelane_b32 v236, s9, 0
	s_cmp_le_u32 s94, s49
	s_mov_b32 s32, 0
	v_writelane_b32 v236, s8, 1
	s_cbranch_scc1 .LBB1251_1195
; %bb.1:
	s_load_dword s6, s[4:5], 0x30
	s_load_dwordx4 s[80:83], s[4:5], 0x20
	s_load_dwordx4 s[52:55], s[4:5], 0x44
	s_load_dwordx8 s[72:79], s[4:5], 0x0
	s_waitcnt lgkmcnt(0)
	s_bitcmp1_b32 s6, 0
	s_cselect_b64 s[70:71], -1, 0
	s_sub_i32 s85, s94, s49
	s_cmpk_lt_u32 s85, 0x1001
	s_mov_b64 s[6:7], -1
	s_cbranch_scc0 .LBB1251_12
; %bb.2:
	s_cmp_lt_u32 s85, 33
	s_cbranch_scc0 .LBB1251_6
; %bb.3:
	s_load_dword s6, s[4:5], 0x5c
	v_bfe_u32 v1, v0, 10, 10
	v_bfe_u32 v3, v0, 20, 10
	v_and_b32_e32 v2, 0x3ff, v0
	s_waitcnt lgkmcnt(0)
	s_lshr_b32 s7, s6, 16
	s_and_b32 s6, s6, 0xffff
	v_mad_u32_u24 v1, v3, s7, v1
	v_mad_u64_u32 v[2:3], s[6:7], v1, s6, v[2:3]
	v_cmp_gt_u32_e32 vcc, 8, v2
	s_and_saveexec_b64 s[34:35], vcc
	s_cbranch_execz .LBB1251_5
; %bb.4:
	s_bitcmp1_b32 s52, 0
	s_cselect_b64 s[6:7], -1, 0
	s_xor_b64 s[6:7], s[70:71], s[6:7]
	s_xor_b64 s[6:7], s[6:7], -1
	v_cndmask_b32_e64 v12, 0, 1, s[6:7]
	s_add_u32 s8, s4, 0x50
	s_mov_b64 s[6:7], src_shared_base
	s_addc_u32 s9, s5, 0
	v_readlane_b32 s12, v236, 1
	v_readlane_b32 s13, v236, 0
	v_mov_b32_e32 v31, v0
	v_mov_b32_e32 v41, v0
	;; [unrolled: 1-line block ×18, first 2 shown]
	s_getpc_b64 s[10:11]
	s_add_u32 s10, s10, _ZN7rocprim17ROCPRIM_400000_NS6detail26segmented_warp_sort_helperINS1_20WarpSortHelperConfigILj8ELj4ELj256EEEdlLi256ELb0EvE4sortIPKdPdPKlPlEEvT_S9_T0_T1_SC_T2_bjjjjRNS5_12storage_typeE@rel32@lo+4
	s_addc_u32 s11, s11, _ZN7rocprim17ROCPRIM_400000_NS6detail26segmented_warp_sort_helperINS1_20WarpSortHelperConfigILj8ELj4ELj256EEEdlLi256ELb0EvE4sortIPKdPdPKlPlEEvT_S9_T0_T1_SC_T2_bjjjjRNS5_12storage_typeE@rel32@hi+12
	s_mov_b64 s[36:37], s[4:5]
	s_swappc_b64 s[30:31], s[10:11]
	v_mov_b32_e32 v0, v41
	s_mov_b64 s[4:5], s[36:37]
.LBB1251_5:
	s_or_b64 exec, exec, s[34:35]
	s_mov_b64 s[6:7], 0
.LBB1251_6:
	s_andn2_b64 vcc, exec, s[6:7]
	s_cbranch_vccnz .LBB1251_11
; %bb.7:
	s_and_b32 s6, s52, 1
	v_cndmask_b32_e64 v1, 0, 1, s[70:71]
	v_cmp_ne_u32_e32 vcc, s6, v1
	s_mov_b64 s[6:7], -1
	s_cbranch_vccnz .LBB1251_9
; %bb.8:
	s_add_u32 s8, s4, 0x50
	s_mov_b64 s[6:7], src_shared_base
	s_addc_u32 s9, s5, 0
	v_readlane_b32 s12, v236, 1
	v_readlane_b32 s13, v236, 0
	v_mov_b32_e32 v31, v0
	v_mov_b32_e32 v40, v0
	;; [unrolled: 1-line block ×16, first 2 shown]
	s_getpc_b64 s[10:11]
	s_add_u32 s10, s10, _ZN7rocprim17ROCPRIM_400000_NS6detail40segmented_radix_sort_single_block_helperIdlLj256ELj16ELb0EE4sortIPKdPdPKlPlEEbT_T0_T1_T2_jjjjRNS3_12storage_typeE@rel32@lo+4
	s_addc_u32 s11, s11, _ZN7rocprim17ROCPRIM_400000_NS6detail40segmented_radix_sort_single_block_helperIdlLj256ELj16ELb0EE4sortIPKdPdPKlPlEEbT_T0_T1_T2_jjjjRNS3_12storage_typeE@rel32@hi+12
	s_mov_b64 s[50:51], s[4:5]
	s_swappc_b64 s[30:31], s[10:11]
	v_mov_b32_e32 v0, v40
	s_mov_b64 s[4:5], s[50:51]
	s_mov_b64 s[6:7], 0
.LBB1251_9:
	s_andn2_b64 vcc, exec, s[6:7]
	s_cbranch_vccnz .LBB1251_11
; %bb.10:
	s_add_u32 s8, s4, 0x50
	s_mov_b64 s[6:7], src_shared_base
	s_addc_u32 s9, s5, 0
	v_readlane_b32 s12, v236, 1
	v_readlane_b32 s13, v236, 0
	v_mov_b32_e32 v31, v0
	v_mov_b32_e32 v40, v0
	;; [unrolled: 1-line block ×16, first 2 shown]
	s_getpc_b64 s[10:11]
	s_add_u32 s10, s10, _ZN7rocprim17ROCPRIM_400000_NS6detail40segmented_radix_sort_single_block_helperIdlLj256ELj16ELb0EE4sortIPKdPdPKlPlEEbT_T0_T1_T2_jjjjRNS3_12storage_typeE@rel32@lo+4
	s_addc_u32 s11, s11, _ZN7rocprim17ROCPRIM_400000_NS6detail40segmented_radix_sort_single_block_helperIdlLj256ELj16ELb0EE4sortIPKdPdPKlPlEEbT_T0_T1_T2_jjjjRNS3_12storage_typeE@rel32@hi+12
	s_mov_b64 s[50:51], s[4:5]
	s_swappc_b64 s[30:31], s[10:11]
	v_mov_b32_e32 v0, v40
	s_mov_b64 s[4:5], s[50:51]
.LBB1251_11:
	s_mov_b64 s[6:7], 0
.LBB1251_12:
	s_andn2_b64 vcc, exec, s[6:7]
	s_cbranch_vccnz .LBB1251_1195
; %bb.13:
	s_cmp_ge_u32 s53, s54
	s_cbranch_scc1 .LBB1251_1195
; %bb.14:
	v_and_b32_e32 v2, 0x3ff, v0
	v_lshlrev_b32_e32 v5, 3, v2
	v_lshlrev_b32_e32 v33, 4, v2
	v_mov_b32_e32 v10, s77
	v_add_co_u32_e32 v9, vcc, s76, v5
	v_and_b32_e32 v34, 0xc00, v33
	v_bfe_u32 v23, v0, 20, 10
	v_bfe_u32 v25, v0, 10, 10
	v_mul_u32_u24_e32 v0, 5, v2
	v_mov_b32_e32 v29, 0x410
	v_addc_co_u32_e32 v11, vcc, 0, v10, vcc
	v_lshl_add_u32 v31, v0, 2, v29
	v_lshlrev_b32_e32 v0, 3, v34
	v_mov_b32_e32 v35, s83
	v_add_co_u32_e32 v100, vcc, s82, v0
	v_addc_co_u32_e32 v101, vcc, 0, v35, vcc
	v_mov_b32_e32 v35, s77
	v_add_co_u32_e32 v102, vcc, s76, v0
	v_addc_co_u32_e32 v103, vcc, 0, v35, vcc
	;; [unrolled: 3-line block ×6, first 2 shown]
	v_add_u32_e32 v104, 0x400, v5
	v_mov_b32_e32 v5, s79
	v_add_co_u32_e32 v113, vcc, s78, v0
	v_addc_co_u32_e32 v114, vcc, 0, v5, vcc
	v_add_co_u32_e32 v115, vcc, s72, v0
	v_mbcnt_lo_u32_b32 v0, -1, 0
	v_lshlrev_b32_e32 v3, 2, v2
	s_movk_i32 s6, 0x100
	v_or_b32_e32 v15, 63, v2
	v_mbcnt_hi_u32_b32 v135, -1, v0
	v_writelane_b32 v236, s49, 2
	s_mov_b64 s[12:13], s[4:5]
	v_cmp_gt_u32_e64 s[4:5], s6, v2
	v_mad_u32_u24 v13, v2, 12, v3
	v_cmp_eq_u32_e64 s[6:7], v15, v2
	v_lshrrev_b32_e32 v15, 4, v2
	s_mov_b32 s84, s53
	v_and_b32_e32 v0, 63, v135
	s_mov_b32 s33, s53
	v_writelane_b32 v236, s52, 3
	v_or_b32_e32 v6, 0x200, v2
	v_or_b32_e32 v8, 0x300, v2
	v_and_b32_e32 v1, 3, v2
	v_or_b32_e32 v10, 0x400, v2
	v_or_b32_e32 v12, 0x500, v2
	;; [unrolled: 1-line block ×12, first 2 shown]
	v_and_b32_e32 v15, 12, v15
	s_add_u32 s90, s12, 0x50
	v_add_u32_e32 v27, v13, v3
	s_movk_i32 s14, 0xff
	v_mov_b32_e32 v5, s73
	s_mov_b32 s78, -1
	v_or_b32_e32 v143, v0, v34
	v_writelane_b32 v236, s53, 4
	s_mov_b32 s89, 0
	v_mov_b32_e32 v4, 0
	v_or_b32_e32 v7, 0x100, v2
	v_or_b32_e32 v17, 0x8400, v15
	v_cmp_gt_u32_e64 s[8:9], 4, v2
	v_add_u32_e32 v19, 0x8400, v3
	v_cmp_lt_u32_e64 s[10:11], 63, v2
	v_add_u32_e32 v21, 0x83fc, v15
	s_addc_u32 s91, s13, 0
	v_sub_u32_e32 v33, v27, v33
	v_cmp_eq_u32_e64 s[12:13], 0, v2
	v_cmp_ne_u32_e64 s[14:15], s14, v2
	v_addc_co_u32_e32 v116, vcc, 0, v5, vcc
	s_brev_b32 s79, -2
	s_movk_i32 s95, 0x2000
	s_movk_i32 s96, 0x3000
	;; [unrolled: 1-line block ×5, first 2 shown]
	v_mov_b32_e32 v117, 1
	v_lshlrev_b32_e32 v118, 3, v2
	v_lshlrev_b32_e32 v119, 3, v6
	;; [unrolled: 1-line block ×15, first 2 shown]
	v_bfrev_b32_e32 v133, 1
	v_lshlrev_b32_e32 v134, 2, v1
	v_and_b32_e32 v136, 15, v135
	v_bfe_i32 v137, v135, 4, 1
	v_and_b32_e32 v138, 16, v135
	v_and_b32_e32 v139, 3, v135
	v_add_u32_e32 v140, -1, v135
	v_and_b32_e32 v141, 64, v135
	v_lshlrev_b32_e32 v142, 3, v0
	v_or_b32_e32 v144, 64, v143
	v_or_b32_e32 v145, 0x80, v143
	;; [unrolled: 1-line block ×15, first 2 shown]
	v_writelane_b32 v236, s54, 5
	v_writelane_b32 v236, s55, 6
	s_branch .LBB1251_17
.LBB1251_15:                            ;   in Loop: Header=BB1251_17 Depth=1
	v_readlane_b32 s49, v236, 2
	s_waitcnt lgkmcnt(0)
	s_barrier
.LBB1251_16:                            ;   in Loop: Header=BB1251_17 Depth=1
	v_readlane_b32 s52, v236, 3
	s_add_i32 s33, s33, 8
	v_readlane_b32 s54, v236, 5
	v_readlane_b32 s53, v236, 4
	s_cmp_ge_u32 s33, s54
	v_readlane_b32 s55, v236, 6
	s_cbranch_scc1 .LBB1251_1195
.LBB1251_17:                            ; =>This Loop Header: Depth=1
                                        ;     Child Loop BB1251_21 Depth 2
                                        ;     Child Loop BB1251_103 Depth 2
	;; [unrolled: 1-line block ×8, first 2 shown]
	s_sub_i32 s16, s54, s33
	s_xor_b64 s[70:71], s[70:71], -1
	s_min_u32 s68, s16, 8
	s_cmp_lg_u32 s33, s53
	s_mov_b64 s[16:17], -1
	ds_write2st64_b32 v3, v4, v4 offset1:4
	ds_write2st64_b32 v3, v4, v4 offset0:8 offset1:12
	s_waitcnt lgkmcnt(0)
	s_cbranch_scc0 .LBB1251_607
; %bb.18:                               ;   in Loop: Header=BB1251_17 Depth=1
	s_lshl_b32 s16, -1, s68
	s_not_b32 s69, s16
	s_mov_b64 s[16:17], -1
	s_and_b64 vcc, exec, s[70:71]
	s_cbranch_vccz .LBB1251_312
; %bb.19:                               ;   in Loop: Header=BB1251_17 Depth=1
	s_mov_b32 s22, s85
	s_mov_b32 s88, s49
	s_barrier
	s_waitcnt lgkmcnt(0)
                                        ; implicit-def: $vgpr62_vgpr63
                                        ; implicit-def: $vgpr0_vgpr1
                                        ; implicit-def: $vgpr34_vgpr35
                                        ; implicit-def: $vgpr36_vgpr37
                                        ; implicit-def: $vgpr38_vgpr39
                                        ; implicit-def: $vgpr40_vgpr41
                                        ; implicit-def: $vgpr42_vgpr43
                                        ; implicit-def: $vgpr44_vgpr45
                                        ; implicit-def: $vgpr46_vgpr47
                                        ; implicit-def: $vgpr48_vgpr49
                                        ; implicit-def: $vgpr50_vgpr51
                                        ; implicit-def: $vgpr52_vgpr53
                                        ; implicit-def: $vgpr54_vgpr55
                                        ; implicit-def: $vgpr56_vgpr57
                                        ; implicit-def: $vgpr58_vgpr59
                                        ; implicit-def: $vgpr60_vgpr61
	s_branch .LBB1251_21
.LBB1251_20:                            ;   in Loop: Header=BB1251_21 Depth=2
	s_or_b64 exec, exec, s[16:17]
	s_addk_i32 s22, 0xf000
	s_cmp_ge_u32 s23, s94
	s_mov_b32 s88, s23
	s_cbranch_scc1 .LBB1251_91
.LBB1251_21:                            ;   Parent Loop BB1251_17 Depth=1
                                        ; =>  This Inner Loop Header: Depth=2
	s_add_i32 s23, s88, 0x1000
	s_cmp_gt_u32 s23, s94
	s_cbranch_scc1 .LBB1251_24
; %bb.22:                               ;   in Loop: Header=BB1251_21 Depth=2
	s_lshl_b64 s[16:17], s[88:89], 3
	v_mov_b32_e32 v5, s17
	v_add_co_u32_e32 v64, vcc, s16, v9
	v_addc_co_u32_e32 v65, vcc, v11, v5, vcc
	s_waitcnt vmcnt(11)
	v_add_co_u32_e32 v72, vcc, 0x1000, v64
	v_addc_co_u32_e32 v73, vcc, 0, v65, vcc
	s_waitcnt vmcnt(5)
	;; [unrolled: 3-line block ×3, first 2 shown]
	v_add_co_u32_e32 v82, vcc, s96, v64
	v_addc_co_u32_e32 v83, vcc, 0, v65, vcc
	v_add_co_u32_e32 v86, vcc, s97, v64
	v_addc_co_u32_e32 v87, vcc, 0, v65, vcc
	;; [unrolled: 2-line block ×4, first 2 shown]
	global_load_dwordx2 v[66:67], v[64:65], off
	global_load_dwordx2 v[68:69], v[64:65], off offset:2048
	global_load_dwordx2 v[70:71], v[72:73], off
	s_nop 0
	global_load_dwordx2 v[72:73], v[72:73], off offset:2048
	s_nop 0
	global_load_dwordx2 v[74:75], v[82:83], off
	global_load_dwordx2 v[76:77], v[82:83], off offset:2048
	global_load_dwordx2 v[80:81], v[88:89], off offset:-4096
	global_load_dwordx2 v[84:85], v[88:89], off
	s_nop 0
	global_load_dwordx2 v[88:89], v[88:89], off offset:2048
	s_nop 0
	global_load_dwordx2 v[78:79], v[78:79], off offset:2048
	;; [unrolled: 2-line block ×3, first 2 shown]
	s_nop 0
	global_load_dwordx2 v[90:91], v[92:93], off
	s_nop 0
	global_load_dwordx2 v[92:93], v[92:93], off offset:2048
	s_waitcnt vmcnt(13)
	v_add_co_u32_e32 v94, vcc, 0x7000, v64
	v_addc_co_u32_e32 v95, vcc, 0, v65, vcc
	global_load_dwordx2 v[82:83], v[82:83], off offset:-4096
	s_nop 0
	global_load_dwordx2 v[94:95], v[94:95], off
	v_add_co_u32_e32 v64, vcc, 0x7800, v64
	s_movk_i32 s24, 0x1000
	v_addc_co_u32_e32 v65, vcc, 0, v65, vcc
	s_mov_b64 s[16:17], -1
	s_cbranch_execz .LBB1251_25
; %bb.23:                               ;   in Loop: Header=BB1251_21 Depth=2
                                        ; implicit-def: $vgpr60_vgpr61
                                        ; implicit-def: $vgpr58_vgpr59
                                        ; implicit-def: $vgpr56_vgpr57
                                        ; implicit-def: $vgpr54_vgpr55
                                        ; implicit-def: $vgpr52_vgpr53
                                        ; implicit-def: $vgpr50_vgpr51
                                        ; implicit-def: $vgpr48_vgpr49
                                        ; implicit-def: $vgpr46_vgpr47
                                        ; implicit-def: $vgpr44_vgpr45
                                        ; implicit-def: $vgpr42_vgpr43
                                        ; implicit-def: $vgpr40_vgpr41
                                        ; implicit-def: $vgpr38_vgpr39
                                        ; implicit-def: $vgpr36_vgpr37
                                        ; implicit-def: $vgpr34_vgpr35
                                        ; implicit-def: $vgpr0_vgpr1
                                        ; implicit-def: $vgpr62_vgpr63
	v_mov_b32_e32 v5, s22
	s_and_saveexec_b64 s[18:19], s[16:17]
	s_cbranch_execnz .LBB1251_44
	s_branch .LBB1251_45
.LBB1251_24:                            ;   in Loop: Header=BB1251_21 Depth=2
	s_mov_b64 s[16:17], 0
                                        ; implicit-def: $sgpr24
                                        ; implicit-def: $vgpr66_vgpr67
                                        ; implicit-def: $vgpr68_vgpr69
                                        ; implicit-def: $vgpr70_vgpr71
                                        ; implicit-def: $vgpr72_vgpr73
                                        ; implicit-def: $vgpr82_vgpr83
                                        ; implicit-def: $vgpr78_vgpr79
                                        ; implicit-def: $vgpr74_vgpr75
                                        ; implicit-def: $vgpr76_vgpr77
                                        ; implicit-def: $vgpr80_vgpr81
                                        ; implicit-def: $vgpr86_vgpr87
                                        ; implicit-def: $vgpr84_vgpr85
                                        ; implicit-def: $vgpr88_vgpr89
                                        ; implicit-def: $vgpr90_vgpr91
                                        ; implicit-def: $vgpr92_vgpr93
                                        ; implicit-def: $vgpr94_vgpr95
                                        ; implicit-def: $vgpr64_vgpr65
.LBB1251_25:                            ;   in Loop: Header=BB1251_21 Depth=2
	s_lshl_b64 s[18:19], s[88:89], 3
	s_add_u32 s18, s76, s18
	s_addc_u32 s19, s77, s19
	v_cmp_gt_u32_e32 vcc, s22, v2
	s_and_saveexec_b64 s[20:21], vcc
	s_cbranch_execz .LBB1251_77
; %bb.26:                               ;   in Loop: Header=BB1251_21 Depth=2
	global_load_dwordx2 v[60:61], v118, s[18:19]
	s_or_b64 exec, exec, s[20:21]
	v_cmp_gt_u32_e32 vcc, s22, v7
	s_and_saveexec_b64 s[20:21], vcc
	s_cbranch_execnz .LBB1251_78
.LBB1251_27:                            ;   in Loop: Header=BB1251_21 Depth=2
	s_or_b64 exec, exec, s[20:21]
	v_cmp_gt_u32_e32 vcc, s22, v6
	s_and_saveexec_b64 s[20:21], vcc
	s_cbranch_execz .LBB1251_79
.LBB1251_28:                            ;   in Loop: Header=BB1251_21 Depth=2
	global_load_dwordx2 v[56:57], v119, s[18:19]
	s_or_b64 exec, exec, s[20:21]
	v_cmp_gt_u32_e32 vcc, s22, v8
	s_and_saveexec_b64 s[20:21], vcc
	s_cbranch_execnz .LBB1251_80
.LBB1251_29:                            ;   in Loop: Header=BB1251_21 Depth=2
	s_or_b64 exec, exec, s[20:21]
	v_cmp_gt_u32_e32 vcc, s22, v10
	s_and_saveexec_b64 s[20:21], vcc
	s_cbranch_execz .LBB1251_81
.LBB1251_30:                            ;   in Loop: Header=BB1251_21 Depth=2
	global_load_dwordx2 v[52:53], v121, s[18:19]
	s_or_b64 exec, exec, s[20:21]
	v_cmp_gt_u32_e32 vcc, s22, v12
	s_and_saveexec_b64 s[20:21], vcc
	s_cbranch_execnz .LBB1251_82
.LBB1251_31:                            ;   in Loop: Header=BB1251_21 Depth=2
	s_or_b64 exec, exec, s[20:21]
	v_cmp_gt_u32_e32 vcc, s22, v14
	s_and_saveexec_b64 s[20:21], vcc
	s_cbranch_execz .LBB1251_83
.LBB1251_32:                            ;   in Loop: Header=BB1251_21 Depth=2
	global_load_dwordx2 v[48:49], v123, s[18:19]
	s_or_b64 exec, exec, s[20:21]
	v_cmp_gt_u32_e32 vcc, s22, v16
	s_and_saveexec_b64 s[20:21], vcc
	s_cbranch_execnz .LBB1251_84
.LBB1251_33:                            ;   in Loop: Header=BB1251_21 Depth=2
	s_or_b64 exec, exec, s[20:21]
	v_cmp_gt_u32_e32 vcc, s22, v18
	s_and_saveexec_b64 s[20:21], vcc
	s_cbranch_execz .LBB1251_85
.LBB1251_34:                            ;   in Loop: Header=BB1251_21 Depth=2
	global_load_dwordx2 v[44:45], v125, s[18:19]
	s_or_b64 exec, exec, s[20:21]
	v_cmp_gt_u32_e32 vcc, s22, v20
	s_and_saveexec_b64 s[20:21], vcc
	s_cbranch_execnz .LBB1251_86
.LBB1251_35:                            ;   in Loop: Header=BB1251_21 Depth=2
	s_or_b64 exec, exec, s[20:21]
	v_cmp_gt_u32_e32 vcc, s22, v22
	s_and_saveexec_b64 s[20:21], vcc
	s_cbranch_execz .LBB1251_87
.LBB1251_36:                            ;   in Loop: Header=BB1251_21 Depth=2
	global_load_dwordx2 v[40:41], v127, s[18:19]
	s_or_b64 exec, exec, s[20:21]
	v_cmp_gt_u32_e32 vcc, s22, v24
	s_and_saveexec_b64 s[20:21], vcc
	s_cbranch_execnz .LBB1251_88
.LBB1251_37:                            ;   in Loop: Header=BB1251_21 Depth=2
	s_or_b64 exec, exec, s[20:21]
	v_cmp_gt_u32_e32 vcc, s22, v26
	s_and_saveexec_b64 s[20:21], vcc
	s_cbranch_execz .LBB1251_89
.LBB1251_38:                            ;   in Loop: Header=BB1251_21 Depth=2
	global_load_dwordx2 v[36:37], v129, s[18:19]
	s_or_b64 exec, exec, s[20:21]
	v_cmp_gt_u32_e32 vcc, s22, v28
	s_and_saveexec_b64 s[20:21], vcc
	s_cbranch_execnz .LBB1251_90
.LBB1251_39:                            ;   in Loop: Header=BB1251_21 Depth=2
	s_or_b64 exec, exec, s[20:21]
	v_cmp_gt_u32_e32 vcc, s22, v30
	s_and_saveexec_b64 s[20:21], vcc
	s_cbranch_execz .LBB1251_41
.LBB1251_40:                            ;   in Loop: Header=BB1251_21 Depth=2
	global_load_dwordx2 v[0:1], v131, s[18:19]
.LBB1251_41:                            ;   in Loop: Header=BB1251_21 Depth=2
	s_or_b64 exec, exec, s[20:21]
	v_cmp_gt_u32_e32 vcc, s22, v32
                                        ; implicit-def: $sgpr24
                                        ; implicit-def: $vgpr64_vgpr65
	s_and_saveexec_b64 s[20:21], vcc
; %bb.42:                               ;   in Loop: Header=BB1251_21 Depth=2
	v_mov_b32_e32 v5, s19
	v_add_co_u32_e32 v64, vcc, s18, v132
	s_sub_i32 s24, s94, s88
	v_addc_co_u32_e32 v65, vcc, 0, v5, vcc
	s_or_b64 s[16:17], s[16:17], exec
                                        ; implicit-def: $vgpr62_vgpr63
; %bb.43:                               ;   in Loop: Header=BB1251_21 Depth=2
	s_or_b64 exec, exec, s[20:21]
	s_waitcnt vmcnt(0)
	v_pk_mov_b32 v[66:67], v[60:61], v[60:61] op_sel:[0,1]
	v_pk_mov_b32 v[68:69], v[58:59], v[58:59] op_sel:[0,1]
	;; [unrolled: 1-line block ×15, first 2 shown]
	v_mov_b32_e32 v5, s22
	s_and_saveexec_b64 s[18:19], s[16:17]
	s_cbranch_execz .LBB1251_45
.LBB1251_44:                            ;   in Loop: Header=BB1251_21 Depth=2
	global_load_dwordx2 v[62:63], v[64:65], off
	v_mov_b32_e32 v5, s24
	s_waitcnt vmcnt(1)
	v_pk_mov_b32 v[0:1], v[94:95], v[94:95] op_sel:[0,1]
	v_pk_mov_b32 v[34:35], v[92:93], v[92:93] op_sel:[0,1]
	;; [unrolled: 1-line block ×15, first 2 shown]
.LBB1251_45:                            ;   in Loop: Header=BB1251_21 Depth=2
	s_or_b64 exec, exec, s[18:19]
	v_cmp_lt_u32_e32 vcc, v2, v5
	s_and_saveexec_b64 s[16:17], vcc
	s_cbranch_execz .LBB1251_61
; %bb.46:                               ;   in Loop: Header=BB1251_21 Depth=2
	v_cmp_lt_i64_e32 vcc, -1, v[60:61]
	v_cndmask_b32_e32 v64, -1, v133, vcc
	s_waitcnt vmcnt(14)
	v_ashrrev_i32_e32 v66, 31, v61
	v_xor_b32_e32 v65, v64, v61
	v_xor_b32_e32 v64, v66, v60
	v_cmp_ne_u64_e32 vcc, s[78:79], v[64:65]
	v_cndmask_b32_e32 v65, v133, v65, vcc
	v_cndmask_b32_e32 v64, 0, v64, vcc
	v_lshrrev_b64 v[64:65], s33, v[64:65]
	v_and_b32_e32 v64, s69, v64
	v_lshl_or_b32 v64, v64, 4, v134
	ds_add_u32 v64, v117
	s_or_b64 exec, exec, s[16:17]
	v_cmp_lt_u32_e32 vcc, v7, v5
	s_and_saveexec_b64 s[16:17], vcc
	s_cbranch_execnz .LBB1251_62
.LBB1251_47:                            ;   in Loop: Header=BB1251_21 Depth=2
	s_or_b64 exec, exec, s[16:17]
	v_cmp_lt_u32_e32 vcc, v6, v5
	s_and_saveexec_b64 s[16:17], vcc
	s_cbranch_execz .LBB1251_63
.LBB1251_48:                            ;   in Loop: Header=BB1251_21 Depth=2
	v_cmp_lt_i64_e32 vcc, -1, v[56:57]
	v_cndmask_b32_e32 v64, -1, v133, vcc
	s_waitcnt vmcnt(14)
	v_ashrrev_i32_e32 v66, 31, v57
	v_xor_b32_e32 v65, v64, v57
	v_xor_b32_e32 v64, v66, v56
	v_cmp_ne_u64_e32 vcc, s[78:79], v[64:65]
	v_cndmask_b32_e32 v65, v133, v65, vcc
	v_cndmask_b32_e32 v64, 0, v64, vcc
	v_lshrrev_b64 v[64:65], s33, v[64:65]
	v_and_b32_e32 v64, s69, v64
	v_lshl_or_b32 v64, v64, 4, v134
	ds_add_u32 v64, v117
	s_or_b64 exec, exec, s[16:17]
	v_cmp_lt_u32_e32 vcc, v8, v5
	s_and_saveexec_b64 s[16:17], vcc
	s_cbranch_execnz .LBB1251_64
.LBB1251_49:                            ;   in Loop: Header=BB1251_21 Depth=2
	s_or_b64 exec, exec, s[16:17]
	v_cmp_lt_u32_e32 vcc, v10, v5
	s_and_saveexec_b64 s[16:17], vcc
	s_cbranch_execz .LBB1251_65
.LBB1251_50:                            ;   in Loop: Header=BB1251_21 Depth=2
	v_cmp_lt_i64_e32 vcc, -1, v[52:53]
	v_cndmask_b32_e32 v64, -1, v133, vcc
	s_waitcnt vmcnt(14)
	v_ashrrev_i32_e32 v66, 31, v53
	v_xor_b32_e32 v65, v64, v53
	v_xor_b32_e32 v64, v66, v52
	v_cmp_ne_u64_e32 vcc, s[78:79], v[64:65]
	v_cndmask_b32_e32 v65, v133, v65, vcc
	v_cndmask_b32_e32 v64, 0, v64, vcc
	v_lshrrev_b64 v[64:65], s33, v[64:65]
	v_and_b32_e32 v64, s69, v64
	v_lshl_or_b32 v64, v64, 4, v134
	ds_add_u32 v64, v117
	s_or_b64 exec, exec, s[16:17]
	v_cmp_lt_u32_e32 vcc, v12, v5
	s_and_saveexec_b64 s[16:17], vcc
	s_cbranch_execnz .LBB1251_66
.LBB1251_51:                            ;   in Loop: Header=BB1251_21 Depth=2
	s_or_b64 exec, exec, s[16:17]
	v_cmp_lt_u32_e32 vcc, v14, v5
	s_and_saveexec_b64 s[16:17], vcc
	s_cbranch_execz .LBB1251_67
.LBB1251_52:                            ;   in Loop: Header=BB1251_21 Depth=2
	v_cmp_lt_i64_e32 vcc, -1, v[48:49]
	v_cndmask_b32_e32 v64, -1, v133, vcc
	s_waitcnt vmcnt(14)
	v_ashrrev_i32_e32 v66, 31, v49
	v_xor_b32_e32 v65, v64, v49
	v_xor_b32_e32 v64, v66, v48
	v_cmp_ne_u64_e32 vcc, s[78:79], v[64:65]
	v_cndmask_b32_e32 v65, v133, v65, vcc
	v_cndmask_b32_e32 v64, 0, v64, vcc
	v_lshrrev_b64 v[64:65], s33, v[64:65]
	v_and_b32_e32 v64, s69, v64
	v_lshl_or_b32 v64, v64, 4, v134
	ds_add_u32 v64, v117
	s_or_b64 exec, exec, s[16:17]
	v_cmp_lt_u32_e32 vcc, v16, v5
	s_and_saveexec_b64 s[16:17], vcc
	s_cbranch_execnz .LBB1251_68
.LBB1251_53:                            ;   in Loop: Header=BB1251_21 Depth=2
	s_or_b64 exec, exec, s[16:17]
	v_cmp_lt_u32_e32 vcc, v18, v5
	s_and_saveexec_b64 s[16:17], vcc
	s_cbranch_execz .LBB1251_69
.LBB1251_54:                            ;   in Loop: Header=BB1251_21 Depth=2
	v_cmp_lt_i64_e32 vcc, -1, v[44:45]
	v_cndmask_b32_e32 v64, -1, v133, vcc
	s_waitcnt vmcnt(14)
	v_ashrrev_i32_e32 v66, 31, v45
	v_xor_b32_e32 v65, v64, v45
	v_xor_b32_e32 v64, v66, v44
	v_cmp_ne_u64_e32 vcc, s[78:79], v[64:65]
	v_cndmask_b32_e32 v65, v133, v65, vcc
	v_cndmask_b32_e32 v64, 0, v64, vcc
	v_lshrrev_b64 v[64:65], s33, v[64:65]
	v_and_b32_e32 v64, s69, v64
	v_lshl_or_b32 v64, v64, 4, v134
	ds_add_u32 v64, v117
	s_or_b64 exec, exec, s[16:17]
	v_cmp_lt_u32_e32 vcc, v20, v5
	s_and_saveexec_b64 s[16:17], vcc
	s_cbranch_execnz .LBB1251_70
.LBB1251_55:                            ;   in Loop: Header=BB1251_21 Depth=2
	s_or_b64 exec, exec, s[16:17]
	v_cmp_lt_u32_e32 vcc, v22, v5
	s_and_saveexec_b64 s[16:17], vcc
	s_cbranch_execz .LBB1251_71
.LBB1251_56:                            ;   in Loop: Header=BB1251_21 Depth=2
	v_cmp_lt_i64_e32 vcc, -1, v[40:41]
	v_cndmask_b32_e32 v64, -1, v133, vcc
	s_waitcnt vmcnt(14)
	v_ashrrev_i32_e32 v66, 31, v41
	v_xor_b32_e32 v65, v64, v41
	v_xor_b32_e32 v64, v66, v40
	v_cmp_ne_u64_e32 vcc, s[78:79], v[64:65]
	v_cndmask_b32_e32 v65, v133, v65, vcc
	v_cndmask_b32_e32 v64, 0, v64, vcc
	v_lshrrev_b64 v[64:65], s33, v[64:65]
	v_and_b32_e32 v64, s69, v64
	v_lshl_or_b32 v64, v64, 4, v134
	ds_add_u32 v64, v117
	s_or_b64 exec, exec, s[16:17]
	v_cmp_lt_u32_e32 vcc, v24, v5
	s_and_saveexec_b64 s[16:17], vcc
	s_cbranch_execnz .LBB1251_72
.LBB1251_57:                            ;   in Loop: Header=BB1251_21 Depth=2
	s_or_b64 exec, exec, s[16:17]
	v_cmp_lt_u32_e32 vcc, v26, v5
	s_and_saveexec_b64 s[16:17], vcc
	s_cbranch_execz .LBB1251_73
.LBB1251_58:                            ;   in Loop: Header=BB1251_21 Depth=2
	v_cmp_lt_i64_e32 vcc, -1, v[36:37]
	v_cndmask_b32_e32 v64, -1, v133, vcc
	s_waitcnt vmcnt(14)
	v_ashrrev_i32_e32 v66, 31, v37
	v_xor_b32_e32 v65, v64, v37
	v_xor_b32_e32 v64, v66, v36
	v_cmp_ne_u64_e32 vcc, s[78:79], v[64:65]
	v_cndmask_b32_e32 v65, v133, v65, vcc
	v_cndmask_b32_e32 v64, 0, v64, vcc
	v_lshrrev_b64 v[64:65], s33, v[64:65]
	v_and_b32_e32 v64, s69, v64
	v_lshl_or_b32 v64, v64, 4, v134
	ds_add_u32 v64, v117
	s_or_b64 exec, exec, s[16:17]
	v_cmp_lt_u32_e32 vcc, v28, v5
	s_and_saveexec_b64 s[16:17], vcc
	s_cbranch_execnz .LBB1251_74
.LBB1251_59:                            ;   in Loop: Header=BB1251_21 Depth=2
	s_or_b64 exec, exec, s[16:17]
	v_cmp_lt_u32_e32 vcc, v30, v5
	s_and_saveexec_b64 s[16:17], vcc
	s_cbranch_execz .LBB1251_75
.LBB1251_60:                            ;   in Loop: Header=BB1251_21 Depth=2
	v_cmp_lt_i64_e32 vcc, -1, v[0:1]
	v_cndmask_b32_e32 v64, -1, v133, vcc
	s_waitcnt vmcnt(14)
	v_ashrrev_i32_e32 v66, 31, v1
	v_xor_b32_e32 v65, v64, v1
	v_xor_b32_e32 v64, v66, v0
	v_cmp_ne_u64_e32 vcc, s[78:79], v[64:65]
	v_cndmask_b32_e32 v65, v133, v65, vcc
	v_cndmask_b32_e32 v64, 0, v64, vcc
	v_lshrrev_b64 v[64:65], s33, v[64:65]
	v_and_b32_e32 v64, s69, v64
	v_lshl_or_b32 v64, v64, 4, v134
	ds_add_u32 v64, v117
	s_or_b64 exec, exec, s[16:17]
	v_cmp_lt_u32_e32 vcc, v32, v5
	s_and_saveexec_b64 s[16:17], vcc
	s_cbranch_execz .LBB1251_20
	s_branch .LBB1251_76
.LBB1251_61:                            ;   in Loop: Header=BB1251_21 Depth=2
	s_or_b64 exec, exec, s[16:17]
	v_cmp_lt_u32_e32 vcc, v7, v5
	s_and_saveexec_b64 s[16:17], vcc
	s_cbranch_execz .LBB1251_47
.LBB1251_62:                            ;   in Loop: Header=BB1251_21 Depth=2
	v_cmp_lt_i64_e32 vcc, -1, v[58:59]
	v_cndmask_b32_e32 v64, -1, v133, vcc
	s_waitcnt vmcnt(14)
	v_ashrrev_i32_e32 v66, 31, v59
	v_xor_b32_e32 v65, v64, v59
	v_xor_b32_e32 v64, v66, v58
	v_cmp_ne_u64_e32 vcc, s[78:79], v[64:65]
	v_cndmask_b32_e32 v65, v133, v65, vcc
	v_cndmask_b32_e32 v64, 0, v64, vcc
	v_lshrrev_b64 v[64:65], s33, v[64:65]
	v_and_b32_e32 v64, s69, v64
	v_lshl_or_b32 v64, v64, 4, v134
	ds_add_u32 v64, v117
	s_or_b64 exec, exec, s[16:17]
	v_cmp_lt_u32_e32 vcc, v6, v5
	s_and_saveexec_b64 s[16:17], vcc
	s_cbranch_execnz .LBB1251_48
.LBB1251_63:                            ;   in Loop: Header=BB1251_21 Depth=2
	s_or_b64 exec, exec, s[16:17]
	v_cmp_lt_u32_e32 vcc, v8, v5
	s_and_saveexec_b64 s[16:17], vcc
	s_cbranch_execz .LBB1251_49
.LBB1251_64:                            ;   in Loop: Header=BB1251_21 Depth=2
	v_cmp_lt_i64_e32 vcc, -1, v[54:55]
	v_cndmask_b32_e32 v64, -1, v133, vcc
	s_waitcnt vmcnt(14)
	v_ashrrev_i32_e32 v66, 31, v55
	v_xor_b32_e32 v65, v64, v55
	v_xor_b32_e32 v64, v66, v54
	v_cmp_ne_u64_e32 vcc, s[78:79], v[64:65]
	v_cndmask_b32_e32 v65, v133, v65, vcc
	v_cndmask_b32_e32 v64, 0, v64, vcc
	v_lshrrev_b64 v[64:65], s33, v[64:65]
	v_and_b32_e32 v64, s69, v64
	v_lshl_or_b32 v64, v64, 4, v134
	ds_add_u32 v64, v117
	s_or_b64 exec, exec, s[16:17]
	v_cmp_lt_u32_e32 vcc, v10, v5
	s_and_saveexec_b64 s[16:17], vcc
	s_cbranch_execnz .LBB1251_50
.LBB1251_65:                            ;   in Loop: Header=BB1251_21 Depth=2
	s_or_b64 exec, exec, s[16:17]
	v_cmp_lt_u32_e32 vcc, v12, v5
	s_and_saveexec_b64 s[16:17], vcc
	s_cbranch_execz .LBB1251_51
.LBB1251_66:                            ;   in Loop: Header=BB1251_21 Depth=2
	v_cmp_lt_i64_e32 vcc, -1, v[50:51]
	v_cndmask_b32_e32 v64, -1, v133, vcc
	s_waitcnt vmcnt(14)
	v_ashrrev_i32_e32 v66, 31, v51
	v_xor_b32_e32 v65, v64, v51
	v_xor_b32_e32 v64, v66, v50
	v_cmp_ne_u64_e32 vcc, s[78:79], v[64:65]
	v_cndmask_b32_e32 v65, v133, v65, vcc
	v_cndmask_b32_e32 v64, 0, v64, vcc
	v_lshrrev_b64 v[64:65], s33, v[64:65]
	v_and_b32_e32 v64, s69, v64
	v_lshl_or_b32 v64, v64, 4, v134
	ds_add_u32 v64, v117
	s_or_b64 exec, exec, s[16:17]
	v_cmp_lt_u32_e32 vcc, v14, v5
	s_and_saveexec_b64 s[16:17], vcc
	s_cbranch_execnz .LBB1251_52
.LBB1251_67:                            ;   in Loop: Header=BB1251_21 Depth=2
	s_or_b64 exec, exec, s[16:17]
	v_cmp_lt_u32_e32 vcc, v16, v5
	s_and_saveexec_b64 s[16:17], vcc
	s_cbranch_execz .LBB1251_53
.LBB1251_68:                            ;   in Loop: Header=BB1251_21 Depth=2
	v_cmp_lt_i64_e32 vcc, -1, v[46:47]
	v_cndmask_b32_e32 v64, -1, v133, vcc
	s_waitcnt vmcnt(14)
	v_ashrrev_i32_e32 v66, 31, v47
	v_xor_b32_e32 v65, v64, v47
	v_xor_b32_e32 v64, v66, v46
	v_cmp_ne_u64_e32 vcc, s[78:79], v[64:65]
	v_cndmask_b32_e32 v65, v133, v65, vcc
	v_cndmask_b32_e32 v64, 0, v64, vcc
	v_lshrrev_b64 v[64:65], s33, v[64:65]
	v_and_b32_e32 v64, s69, v64
	v_lshl_or_b32 v64, v64, 4, v134
	ds_add_u32 v64, v117
	s_or_b64 exec, exec, s[16:17]
	v_cmp_lt_u32_e32 vcc, v18, v5
	s_and_saveexec_b64 s[16:17], vcc
	s_cbranch_execnz .LBB1251_54
.LBB1251_69:                            ;   in Loop: Header=BB1251_21 Depth=2
	s_or_b64 exec, exec, s[16:17]
	v_cmp_lt_u32_e32 vcc, v20, v5
	s_and_saveexec_b64 s[16:17], vcc
	s_cbranch_execz .LBB1251_55
.LBB1251_70:                            ;   in Loop: Header=BB1251_21 Depth=2
	v_cmp_lt_i64_e32 vcc, -1, v[42:43]
	v_cndmask_b32_e32 v64, -1, v133, vcc
	s_waitcnt vmcnt(14)
	v_ashrrev_i32_e32 v66, 31, v43
	v_xor_b32_e32 v65, v64, v43
	v_xor_b32_e32 v64, v66, v42
	v_cmp_ne_u64_e32 vcc, s[78:79], v[64:65]
	v_cndmask_b32_e32 v65, v133, v65, vcc
	v_cndmask_b32_e32 v64, 0, v64, vcc
	v_lshrrev_b64 v[64:65], s33, v[64:65]
	v_and_b32_e32 v64, s69, v64
	v_lshl_or_b32 v64, v64, 4, v134
	ds_add_u32 v64, v117
	s_or_b64 exec, exec, s[16:17]
	v_cmp_lt_u32_e32 vcc, v22, v5
	s_and_saveexec_b64 s[16:17], vcc
	s_cbranch_execnz .LBB1251_56
.LBB1251_71:                            ;   in Loop: Header=BB1251_21 Depth=2
	s_or_b64 exec, exec, s[16:17]
	v_cmp_lt_u32_e32 vcc, v24, v5
	s_and_saveexec_b64 s[16:17], vcc
	s_cbranch_execz .LBB1251_57
.LBB1251_72:                            ;   in Loop: Header=BB1251_21 Depth=2
	v_cmp_lt_i64_e32 vcc, -1, v[38:39]
	v_cndmask_b32_e32 v64, -1, v133, vcc
	s_waitcnt vmcnt(14)
	v_ashrrev_i32_e32 v66, 31, v39
	v_xor_b32_e32 v65, v64, v39
	v_xor_b32_e32 v64, v66, v38
	v_cmp_ne_u64_e32 vcc, s[78:79], v[64:65]
	v_cndmask_b32_e32 v65, v133, v65, vcc
	v_cndmask_b32_e32 v64, 0, v64, vcc
	v_lshrrev_b64 v[64:65], s33, v[64:65]
	v_and_b32_e32 v64, s69, v64
	v_lshl_or_b32 v64, v64, 4, v134
	ds_add_u32 v64, v117
	s_or_b64 exec, exec, s[16:17]
	v_cmp_lt_u32_e32 vcc, v26, v5
	s_and_saveexec_b64 s[16:17], vcc
	s_cbranch_execnz .LBB1251_58
.LBB1251_73:                            ;   in Loop: Header=BB1251_21 Depth=2
	s_or_b64 exec, exec, s[16:17]
	v_cmp_lt_u32_e32 vcc, v28, v5
	s_and_saveexec_b64 s[16:17], vcc
	s_cbranch_execz .LBB1251_59
.LBB1251_74:                            ;   in Loop: Header=BB1251_21 Depth=2
	v_cmp_lt_i64_e32 vcc, -1, v[34:35]
	v_cndmask_b32_e32 v64, -1, v133, vcc
	s_waitcnt vmcnt(14)
	v_ashrrev_i32_e32 v66, 31, v35
	v_xor_b32_e32 v65, v64, v35
	v_xor_b32_e32 v64, v66, v34
	v_cmp_ne_u64_e32 vcc, s[78:79], v[64:65]
	v_cndmask_b32_e32 v65, v133, v65, vcc
	v_cndmask_b32_e32 v64, 0, v64, vcc
	v_lshrrev_b64 v[64:65], s33, v[64:65]
	v_and_b32_e32 v64, s69, v64
	v_lshl_or_b32 v64, v64, 4, v134
	ds_add_u32 v64, v117
	s_or_b64 exec, exec, s[16:17]
	v_cmp_lt_u32_e32 vcc, v30, v5
	s_and_saveexec_b64 s[16:17], vcc
	s_cbranch_execnz .LBB1251_60
.LBB1251_75:                            ;   in Loop: Header=BB1251_21 Depth=2
	s_or_b64 exec, exec, s[16:17]
	v_cmp_lt_u32_e32 vcc, v32, v5
	s_and_saveexec_b64 s[16:17], vcc
	s_cbranch_execz .LBB1251_20
.LBB1251_76:                            ;   in Loop: Header=BB1251_21 Depth=2
	s_waitcnt vmcnt(0)
	v_cmp_lt_i64_e32 vcc, -1, v[62:63]
	v_cndmask_b32_e32 v5, -1, v133, vcc
	v_ashrrev_i32_e32 v64, 31, v63
	v_xor_b32_e32 v65, v5, v63
	v_xor_b32_e32 v64, v64, v62
	v_cmp_ne_u64_e32 vcc, s[78:79], v[64:65]
	v_cndmask_b32_e32 v65, v133, v65, vcc
	v_cndmask_b32_e32 v64, 0, v64, vcc
	v_lshrrev_b64 v[64:65], s33, v[64:65]
	v_and_b32_e32 v5, s69, v64
	v_lshl_or_b32 v5, v5, 4, v134
	ds_add_u32 v5, v117
	s_branch .LBB1251_20
.LBB1251_77:                            ;   in Loop: Header=BB1251_21 Depth=2
	s_or_b64 exec, exec, s[20:21]
	v_cmp_gt_u32_e32 vcc, s22, v7
	s_and_saveexec_b64 s[20:21], vcc
	s_cbranch_execz .LBB1251_27
.LBB1251_78:                            ;   in Loop: Header=BB1251_21 Depth=2
	global_load_dwordx2 v[58:59], v118, s[18:19] offset:2048
	s_or_b64 exec, exec, s[20:21]
	v_cmp_gt_u32_e32 vcc, s22, v6
	s_and_saveexec_b64 s[20:21], vcc
	s_cbranch_execnz .LBB1251_28
.LBB1251_79:                            ;   in Loop: Header=BB1251_21 Depth=2
	s_or_b64 exec, exec, s[20:21]
	v_cmp_gt_u32_e32 vcc, s22, v8
	s_and_saveexec_b64 s[20:21], vcc
	s_cbranch_execz .LBB1251_29
.LBB1251_80:                            ;   in Loop: Header=BB1251_21 Depth=2
	global_load_dwordx2 v[54:55], v120, s[18:19]
	s_or_b64 exec, exec, s[20:21]
	v_cmp_gt_u32_e32 vcc, s22, v10
	s_and_saveexec_b64 s[20:21], vcc
	s_cbranch_execnz .LBB1251_30
.LBB1251_81:                            ;   in Loop: Header=BB1251_21 Depth=2
	s_or_b64 exec, exec, s[20:21]
	v_cmp_gt_u32_e32 vcc, s22, v12
	s_and_saveexec_b64 s[20:21], vcc
	s_cbranch_execz .LBB1251_31
.LBB1251_82:                            ;   in Loop: Header=BB1251_21 Depth=2
	global_load_dwordx2 v[50:51], v122, s[18:19]
	s_or_b64 exec, exec, s[20:21]
	v_cmp_gt_u32_e32 vcc, s22, v14
	s_and_saveexec_b64 s[20:21], vcc
	s_cbranch_execnz .LBB1251_32
.LBB1251_83:                            ;   in Loop: Header=BB1251_21 Depth=2
	s_or_b64 exec, exec, s[20:21]
	v_cmp_gt_u32_e32 vcc, s22, v16
	s_and_saveexec_b64 s[20:21], vcc
	s_cbranch_execz .LBB1251_33
.LBB1251_84:                            ;   in Loop: Header=BB1251_21 Depth=2
	global_load_dwordx2 v[46:47], v124, s[18:19]
	s_or_b64 exec, exec, s[20:21]
	v_cmp_gt_u32_e32 vcc, s22, v18
	s_and_saveexec_b64 s[20:21], vcc
	s_cbranch_execnz .LBB1251_34
.LBB1251_85:                            ;   in Loop: Header=BB1251_21 Depth=2
	s_or_b64 exec, exec, s[20:21]
	v_cmp_gt_u32_e32 vcc, s22, v20
	s_and_saveexec_b64 s[20:21], vcc
	s_cbranch_execz .LBB1251_35
.LBB1251_86:                            ;   in Loop: Header=BB1251_21 Depth=2
	global_load_dwordx2 v[42:43], v126, s[18:19]
	s_or_b64 exec, exec, s[20:21]
	v_cmp_gt_u32_e32 vcc, s22, v22
	s_and_saveexec_b64 s[20:21], vcc
	s_cbranch_execnz .LBB1251_36
.LBB1251_87:                            ;   in Loop: Header=BB1251_21 Depth=2
	s_or_b64 exec, exec, s[20:21]
	v_cmp_gt_u32_e32 vcc, s22, v24
	s_and_saveexec_b64 s[20:21], vcc
	s_cbranch_execz .LBB1251_37
.LBB1251_88:                            ;   in Loop: Header=BB1251_21 Depth=2
	global_load_dwordx2 v[38:39], v128, s[18:19]
	s_or_b64 exec, exec, s[20:21]
	v_cmp_gt_u32_e32 vcc, s22, v26
	s_and_saveexec_b64 s[20:21], vcc
	s_cbranch_execnz .LBB1251_38
.LBB1251_89:                            ;   in Loop: Header=BB1251_21 Depth=2
	s_or_b64 exec, exec, s[20:21]
	v_cmp_gt_u32_e32 vcc, s22, v28
	s_and_saveexec_b64 s[20:21], vcc
	s_cbranch_execz .LBB1251_39
.LBB1251_90:                            ;   in Loop: Header=BB1251_21 Depth=2
	global_load_dwordx2 v[34:35], v130, s[18:19]
	s_or_b64 exec, exec, s[20:21]
	v_cmp_gt_u32_e32 vcc, s22, v30
	s_and_saveexec_b64 s[20:21], vcc
	s_cbranch_execz .LBB1251_41
	s_branch .LBB1251_40
.LBB1251_91:                            ;   in Loop: Header=BB1251_17 Depth=1
	v_mov_b32_e32 v0, 0
	s_waitcnt lgkmcnt(0)
	s_barrier
	s_and_saveexec_b64 s[16:17], s[4:5]
	s_cbranch_execz .LBB1251_93
; %bb.92:                               ;   in Loop: Header=BB1251_17 Depth=1
	ds_read2_b64 v[34:37], v13 offset1:1
	s_waitcnt lgkmcnt(0)
	v_add_u32_e32 v0, v35, v34
	v_add3_u32 v0, v0, v36, v37
.LBB1251_93:                            ;   in Loop: Header=BB1251_17 Depth=1
	s_or_b64 exec, exec, s[16:17]
	s_nop 0
	v_mov_b32_dpp v1, v0 row_shr:1 row_mask:0xf bank_mask:0xf
	v_cmp_eq_u32_e64 s[16:17], 0, v136
	v_cndmask_b32_e64 v1, v1, 0, s[16:17]
	v_add_u32_e32 v0, v1, v0
	v_cmp_lt_u32_e64 s[18:19], 1, v136
	v_cmp_lt_u32_e64 s[20:21], 3, v136
	v_mov_b32_dpp v1, v0 row_shr:2 row_mask:0xf bank_mask:0xf
	v_cndmask_b32_e64 v1, 0, v1, s[18:19]
	v_add_u32_e32 v0, v0, v1
	v_cmp_lt_u32_e64 s[22:23], 7, v136
	v_cmp_lt_u32_e64 s[26:27], 31, v135
	v_mov_b32_dpp v1, v0 row_shr:4 row_mask:0xf bank_mask:0xf
	v_cndmask_b32_e64 v1, 0, v1, s[20:21]
	v_add_u32_e32 v0, v0, v1
	v_cmp_eq_u32_e64 s[24:25], 0, v138
	s_nop 0
	v_mov_b32_dpp v1, v0 row_shr:8 row_mask:0xf bank_mask:0xf
	v_cndmask_b32_e64 v1, 0, v1, s[22:23]
	v_add_u32_e32 v0, v0, v1
	s_nop 1
	v_mov_b32_dpp v1, v0 row_bcast:15 row_mask:0xf bank_mask:0xf
	v_and_b32_e32 v1, v137, v1
	v_add_u32_e32 v0, v0, v1
	s_nop 1
	v_mov_b32_dpp v1, v0 row_bcast:31 row_mask:0xf bank_mask:0xf
	v_cndmask_b32_e64 v1, 0, v1, s[26:27]
	v_add_u32_e32 v0, v0, v1
	s_and_saveexec_b64 s[28:29], s[6:7]
	v_readlane_b32 s38, v236, 2
	s_cbranch_execz .LBB1251_95
; %bb.94:                               ;   in Loop: Header=BB1251_17 Depth=1
	ds_write_b32 v17, v0
.LBB1251_95:                            ;   in Loop: Header=BB1251_17 Depth=1
	s_or_b64 exec, exec, s[28:29]
	s_waitcnt lgkmcnt(0)
	s_barrier
	s_and_saveexec_b64 s[28:29], s[8:9]
	s_cbranch_execz .LBB1251_97
; %bb.96:                               ;   in Loop: Header=BB1251_17 Depth=1
	ds_read_b32 v1, v19
	v_cmp_ne_u32_e32 vcc, 0, v139
	s_waitcnt lgkmcnt(0)
	v_mov_b32_dpp v5, v1 row_shr:1 row_mask:0xf bank_mask:0xf
	v_cndmask_b32_e32 v5, 0, v5, vcc
	v_add_u32_e32 v1, v5, v1
	v_cmp_lt_u32_e32 vcc, 1, v139
	s_nop 0
	v_mov_b32_dpp v5, v1 row_shr:2 row_mask:0xf bank_mask:0xf
	v_cndmask_b32_e32 v5, 0, v5, vcc
	v_add_u32_e32 v1, v1, v5
	ds_write_b32 v19, v1
.LBB1251_97:                            ;   in Loop: Header=BB1251_17 Depth=1
	s_or_b64 exec, exec, s[28:29]
	v_mov_b32_e32 v1, 0
	s_waitcnt lgkmcnt(0)
	s_barrier
	s_and_saveexec_b64 s[28:29], s[10:11]
	s_cbranch_execz .LBB1251_99
; %bb.98:                               ;   in Loop: Header=BB1251_17 Depth=1
	ds_read_b32 v1, v21
.LBB1251_99:                            ;   in Loop: Header=BB1251_17 Depth=1
	s_or_b64 exec, exec, s[28:29]
	v_cmp_lt_i32_e32 vcc, v140, v141
	v_cndmask_b32_e32 v5, v140, v135, vcc
	s_waitcnt lgkmcnt(0)
	v_add_u32_e32 v0, v1, v0
	v_lshlrev_b32_e32 v159, 2, v5
	ds_bpermute_b32 v0, v159, v0
	v_cmp_eq_u32_e64 s[28:29], 0, v135
	s_waitcnt lgkmcnt(0)
	s_barrier
	s_and_saveexec_b64 s[30:31], s[4:5]
	s_cbranch_execz .LBB1251_101
; %bb.100:                              ;   in Loop: Header=BB1251_17 Depth=1
	v_cndmask_b32_e64 v0, v0, v1, s[28:29]
	v_add_u32_e32 v0, s38, v0
	ds_write_b32 v3, v0
.LBB1251_101:                           ;   in Loop: Header=BB1251_17 Depth=1
	s_or_b64 exec, exec, s[30:31]
	s_load_dword s30, s[90:91], 0x4
	s_load_dword s36, s[90:91], 0xc
	v_readlane_b32 s31, v236, 0
	v_add_co_u32_e32 v160, vcc, v100, v142
	s_waitcnt lgkmcnt(0)
	s_cmp_lt_u32 s31, s30
	s_cselect_b32 s30, 14, 20
	s_add_u32 s30, s90, s30
	s_addc_u32 s31, s91, 0
	global_load_ushort v5, v4, s[30:31]
	v_addc_co_u32_e32 v161, vcc, 0, v101, vcc
	v_add_co_u32_e32 v162, vcc, v102, v142
	v_addc_co_u32_e32 v163, vcc, 0, v103, vcc
	s_and_b32 s36, s36, 0xffff
	v_add_co_u32_e32 v170, vcc, 0x1e00, v162
	v_cmp_eq_u32_e64 s[30:31], 0, v139
	v_cmp_lt_u32_e64 s[34:35], 1, v139
	s_mov_b32 s87, s85
	v_addc_co_u32_e32 v173, vcc, 0, v163, vcc
	s_mov_b32 s88, s38
                                        ; implicit-def: $vgpr0_vgpr1
                                        ; implicit-def: $vgpr34_vgpr35
                                        ; implicit-def: $vgpr38_vgpr39
                                        ; implicit-def: $vgpr42_vgpr43
                                        ; implicit-def: $vgpr46_vgpr47
                                        ; implicit-def: $vgpr50_vgpr51
                                        ; implicit-def: $vgpr54_vgpr55
                                        ; implicit-def: $vgpr58_vgpr59
                                        ; implicit-def: $vgpr36_vgpr37
                                        ; implicit-def: $vgpr40_vgpr41
                                        ; implicit-def: $vgpr44_vgpr45
                                        ; implicit-def: $vgpr48_vgpr49
                                        ; implicit-def: $vgpr52_vgpr53
                                        ; implicit-def: $vgpr56_vgpr57
                                        ; implicit-def: $vgpr60_vgpr61
                                        ; implicit-def: $vgpr62_vgpr63
                                        ; implicit-def: $vgpr164
                                        ; implicit-def: $vgpr165
                                        ; implicit-def: $vgpr166
                                        ; implicit-def: $vgpr167
                                        ; implicit-def: $vgpr168
                                        ; implicit-def: $vgpr169
                                        ; implicit-def: $vgpr171
                                        ; implicit-def: $vgpr172
                                        ; implicit-def: $vgpr174
                                        ; implicit-def: $vgpr175
                                        ; implicit-def: $vgpr176
                                        ; implicit-def: $vgpr177
                                        ; implicit-def: $vgpr179
                                        ; implicit-def: $vgpr180
                                        ; implicit-def: $vgpr181
                                        ; implicit-def: $vgpr182
	s_waitcnt vmcnt(0)
	v_mad_u32_u24 v5, v23, v5, v25
	v_mad_u64_u32 v[64:65], s[36:37], v5, s36, v[2:3]
	v_lshrrev_b32_e32 v178, 6, v64
	s_branch .LBB1251_103
.LBB1251_102:                           ;   in Loop: Header=BB1251_103 Depth=2
	s_or_b64 exec, exec, s[36:37]
	s_addk_i32 s87, 0xf000
	s_cmp_lt_u32 s86, s94
	s_mov_b32 s88, s86
	s_cbranch_scc0 .LBB1251_311
.LBB1251_103:                           ;   Parent Loop BB1251_17 Depth=1
                                        ; =>  This Inner Loop Header: Depth=2
	s_add_i32 s86, s88, 0x1000
	s_cmp_gt_u32 s86, s94
	s_cbranch_scc1 .LBB1251_105
; %bb.104:                              ;   in Loop: Header=BB1251_103 Depth=2
	s_lshl_b64 s[36:37], s[88:89], 3
	v_mov_b32_e32 v5, s37
	v_add_co_u32_e32 v68, vcc, s36, v162
	v_addc_co_u32_e32 v69, vcc, v163, v5, vcc
	global_load_dwordx2 v[64:65], v[68:69], off
	global_load_dwordx2 v[66:67], v[68:69], off offset:512
	global_load_dwordx2 v[74:75], v[68:69], off offset:1024
	;; [unrolled: 1-line block ×7, first 2 shown]
	v_add_co_u32_e32 v68, vcc, 0x1000, v68
	v_addc_co_u32_e32 v69, vcc, 0, v69, vcc
	global_load_dwordx2 v[92:93], v[68:69], off
	global_load_dwordx2 v[88:89], v[68:69], off offset:512
	global_load_dwordx2 v[84:85], v[68:69], off offset:1024
	;; [unrolled: 1-line block ×5, first 2 shown]
	s_nop 0
	global_load_dwordx2 v[68:69], v[68:69], off offset:3072
	s_movk_i32 s40, 0x1000
	s_mov_b64 s[36:37], -1
	s_cbranch_execz .LBB1251_106
	s_branch .LBB1251_137
.LBB1251_105:                           ;   in Loop: Header=BB1251_103 Depth=2
	s_mov_b64 s[36:37], 0
                                        ; implicit-def: $sgpr40
                                        ; implicit-def: $vgpr64_vgpr65
                                        ; implicit-def: $vgpr66_vgpr67
                                        ; implicit-def: $vgpr74_vgpr75
                                        ; implicit-def: $vgpr78_vgpr79
                                        ; implicit-def: $vgpr82_vgpr83
                                        ; implicit-def: $vgpr86_vgpr87
                                        ; implicit-def: $vgpr90_vgpr91
                                        ; implicit-def: $vgpr94_vgpr95
                                        ; implicit-def: $vgpr92_vgpr93
                                        ; implicit-def: $vgpr88_vgpr89
                                        ; implicit-def: $vgpr84_vgpr85
                                        ; implicit-def: $vgpr80_vgpr81
                                        ; implicit-def: $vgpr76_vgpr77
                                        ; implicit-def: $vgpr72_vgpr73
                                        ; implicit-def: $vgpr68_vgpr69
.LBB1251_106:                           ;   in Loop: Header=BB1251_103 Depth=2
	s_lshl_b64 s[36:37], s[88:89], 3
	v_mov_b32_e32 v5, s37
	v_add_co_u32_e32 v70, vcc, s36, v162
	v_addc_co_u32_e32 v71, vcc, v163, v5, vcc
	v_cmp_gt_u32_e32 vcc, s87, v143
	s_waitcnt vmcnt(14)
	v_pk_mov_b32 v[64:65], s[78:79], s[78:79] op_sel:[0,1]
	s_and_saveexec_b64 s[36:37], vcc
	s_cbranch_execz .LBB1251_108
; %bb.107:                              ;   in Loop: Header=BB1251_103 Depth=2
	global_load_dwordx2 v[64:65], v[70:71], off
.LBB1251_108:                           ;   in Loop: Header=BB1251_103 Depth=2
	s_or_b64 exec, exec, s[36:37]
	v_cmp_gt_u32_e32 vcc, s87, v144
	s_waitcnt vmcnt(13)
	v_pk_mov_b32 v[66:67], s[78:79], s[78:79] op_sel:[0,1]
	s_and_saveexec_b64 s[36:37], vcc
	s_cbranch_execz .LBB1251_110
; %bb.109:                              ;   in Loop: Header=BB1251_103 Depth=2
	global_load_dwordx2 v[66:67], v[70:71], off offset:512
.LBB1251_110:                           ;   in Loop: Header=BB1251_103 Depth=2
	s_or_b64 exec, exec, s[36:37]
	v_cmp_gt_u32_e32 vcc, s87, v145
	s_waitcnt vmcnt(12)
	v_pk_mov_b32 v[74:75], s[78:79], s[78:79] op_sel:[0,1]
	s_and_saveexec_b64 s[36:37], vcc
	s_cbranch_execz .LBB1251_112
; %bb.111:                              ;   in Loop: Header=BB1251_103 Depth=2
	global_load_dwordx2 v[74:75], v[70:71], off offset:1024
.LBB1251_112:                           ;   in Loop: Header=BB1251_103 Depth=2
	;; [unrolled: 9-line block ×7, first 2 shown]
	s_or_b64 exec, exec, s[36:37]
	v_cmp_gt_u32_e32 vcc, s87, v151
	s_waitcnt vmcnt(6)
	v_pk_mov_b32 v[92:93], s[78:79], s[78:79] op_sel:[0,1]
	s_and_saveexec_b64 s[36:37], vcc
	s_cbranch_execz .LBB1251_124
; %bb.123:                              ;   in Loop: Header=BB1251_103 Depth=2
	s_waitcnt vmcnt(0)
	v_add_co_u32_e32 v68, vcc, 0x1000, v70
	v_addc_co_u32_e32 v69, vcc, 0, v71, vcc
	global_load_dwordx2 v[92:93], v[68:69], off
.LBB1251_124:                           ;   in Loop: Header=BB1251_103 Depth=2
	s_or_b64 exec, exec, s[36:37]
	v_cmp_gt_u32_e32 vcc, s87, v152
	s_waitcnt vmcnt(5)
	v_pk_mov_b32 v[88:89], s[78:79], s[78:79] op_sel:[0,1]
	s_and_saveexec_b64 s[36:37], vcc
	s_cbranch_execz .LBB1251_126
; %bb.125:                              ;   in Loop: Header=BB1251_103 Depth=2
	s_waitcnt vmcnt(0)
	v_add_co_u32_e32 v68, vcc, 0x1000, v70
	v_addc_co_u32_e32 v69, vcc, 0, v71, vcc
	global_load_dwordx2 v[88:89], v[68:69], off offset:512
.LBB1251_126:                           ;   in Loop: Header=BB1251_103 Depth=2
	s_or_b64 exec, exec, s[36:37]
	v_cmp_gt_u32_e32 vcc, s87, v153
	s_waitcnt vmcnt(4)
	v_pk_mov_b32 v[84:85], s[78:79], s[78:79] op_sel:[0,1]
	s_and_saveexec_b64 s[36:37], vcc
	s_cbranch_execz .LBB1251_128
; %bb.127:                              ;   in Loop: Header=BB1251_103 Depth=2
	s_waitcnt vmcnt(0)
	v_add_co_u32_e32 v68, vcc, 0x1000, v70
	v_addc_co_u32_e32 v69, vcc, 0, v71, vcc
	global_load_dwordx2 v[84:85], v[68:69], off offset:1024
.LBB1251_128:                           ;   in Loop: Header=BB1251_103 Depth=2
	;; [unrolled: 12-line block ×5, first 2 shown]
	s_or_b64 exec, exec, s[36:37]
	v_cmp_gt_u32_e32 vcc, s87, v157
	s_waitcnt vmcnt(0)
	v_pk_mov_b32 v[68:69], s[78:79], s[78:79] op_sel:[0,1]
	s_and_saveexec_b64 s[36:37], vcc
	s_cbranch_execz .LBB1251_136
; %bb.135:                              ;   in Loop: Header=BB1251_103 Depth=2
	v_add_co_u32_e32 v68, vcc, 0x1000, v70
	v_addc_co_u32_e32 v69, vcc, 0, v71, vcc
	global_load_dwordx2 v[68:69], v[68:69], off offset:3072
.LBB1251_136:                           ;   in Loop: Header=BB1251_103 Depth=2
	s_or_b64 exec, exec, s[36:37]
	s_sub_i32 s40, s94, s88
	v_cmp_gt_u32_e64 s[36:37], s87, v158
.LBB1251_137:                           ;   in Loop: Header=BB1251_103 Depth=2
	v_pk_mov_b32 v[70:71], s[78:79], s[78:79] op_sel:[0,1]
	v_mov_b32_e32 v183, s87
	s_and_saveexec_b64 s[38:39], s[36:37]
	s_cbranch_execz .LBB1251_139
; %bb.138:                              ;   in Loop: Header=BB1251_103 Depth=2
	s_lshl_b64 s[36:37], s[88:89], 3
	v_mov_b32_e32 v5, s37
	v_add_co_u32_e32 v70, vcc, s36, v170
	v_addc_co_u32_e32 v71, vcc, v173, v5, vcc
	global_load_dwordx2 v[70:71], v[70:71], off
	v_mov_b32_e32 v183, s40
.LBB1251_139:                           ;   in Loop: Header=BB1251_103 Depth=2
	s_or_b64 exec, exec, s[38:39]
	s_waitcnt vmcnt(14)
	v_cmp_lt_i64_e32 vcc, -1, v[64:65]
	v_cndmask_b32_e32 v5, -1, v133, vcc
	v_ashrrev_i32_e32 v96, 31, v65
	v_xor_b32_e32 v65, v5, v65
	v_xor_b32_e32 v64, v96, v64
	v_cmp_ne_u64_e32 vcc, s[78:79], v[64:65]
	v_cndmask_b32_e32 v97, v133, v65, vcc
	v_cndmask_b32_e32 v96, 0, v64, vcc
	v_lshrrev_b64 v[96:97], s33, v[96:97]
	v_add_u32_e32 v5, 0x410, v27
	v_and_b32_e32 v96, s69, v96
	ds_write2_b32 v5, v4, v4 offset1:1
	ds_write2_b32 v31, v4, v4 offset0:2 offset1:3
	ds_write_b32 v31, v4 offset:16
	v_mad_u32_u24 v5, v96, 5, v178
	v_lshl_add_u32 v184, v5, 2, v29
	v_and_b32_e32 v5, 1, v96
	v_add_co_u32_e32 v97, vcc, -1, v5
	v_addc_co_u32_e64 v98, s[36:37], 0, -1, vcc
	v_cmp_ne_u32_e32 vcc, 0, v5
	v_xor_b32_e32 v5, vcc_hi, v98
	v_and_b32_e32 v98, exec_hi, v5
	v_lshlrev_b32_e32 v5, 30, v96
	v_xor_b32_e32 v97, vcc_lo, v97
	v_cmp_gt_i64_e32 vcc, 0, v[4:5]
	v_not_b32_e32 v5, v5
	v_ashrrev_i32_e32 v5, 31, v5
	v_and_b32_e32 v97, exec_lo, v97
	v_xor_b32_e32 v99, vcc_hi, v5
	v_xor_b32_e32 v5, vcc_lo, v5
	v_and_b32_e32 v97, v97, v5
	v_lshlrev_b32_e32 v5, 29, v96
	v_cmp_gt_i64_e32 vcc, 0, v[4:5]
	v_not_b32_e32 v5, v5
	v_ashrrev_i32_e32 v5, 31, v5
	v_and_b32_e32 v98, v98, v99
	v_xor_b32_e32 v99, vcc_hi, v5
	v_xor_b32_e32 v5, vcc_lo, v5
	v_and_b32_e32 v97, v97, v5
	v_lshlrev_b32_e32 v5, 28, v96
	v_cmp_gt_i64_e32 vcc, 0, v[4:5]
	v_not_b32_e32 v5, v5
	v_ashrrev_i32_e32 v5, 31, v5
	v_and_b32_e32 v98, v98, v99
	;; [unrolled: 8-line block ×5, first 2 shown]
	v_xor_b32_e32 v99, vcc_hi, v5
	v_xor_b32_e32 v5, vcc_lo, v5
	v_and_b32_e32 v98, v98, v99
	v_and_b32_e32 v99, v97, v5
	v_lshlrev_b32_e32 v5, 24, v96
	v_cmp_gt_i64_e32 vcc, 0, v[4:5]
	v_not_b32_e32 v5, v5
	v_ashrrev_i32_e32 v5, 31, v5
	v_xor_b32_e32 v96, vcc_hi, v5
	v_xor_b32_e32 v5, vcc_lo, v5
	v_and_b32_e32 v97, v98, v96
	v_and_b32_e32 v96, v99, v5
	v_mbcnt_lo_u32_b32 v5, v96, 0
	v_mbcnt_hi_u32_b32 v185, v97, v5
	v_cmp_eq_u32_e32 vcc, 0, v185
	v_cmp_ne_u64_e64 s[36:37], 0, v[96:97]
	s_and_b64 s[38:39], s[36:37], vcc
	s_waitcnt lgkmcnt(0)
	s_barrier
	s_waitcnt lgkmcnt(0)
	; wave barrier
	s_and_saveexec_b64 s[36:37], s[38:39]
	s_cbranch_execz .LBB1251_141
; %bb.140:                              ;   in Loop: Header=BB1251_103 Depth=2
	v_bcnt_u32_b32 v5, v96, 0
	v_bcnt_u32_b32 v5, v97, v5
	ds_write_b32 v184, v5
.LBB1251_141:                           ;   in Loop: Header=BB1251_103 Depth=2
	s_or_b64 exec, exec, s[36:37]
	s_waitcnt vmcnt(13)
	v_cmp_lt_i64_e32 vcc, -1, v[66:67]
	v_cndmask_b32_e32 v5, -1, v133, vcc
	v_ashrrev_i32_e32 v96, 31, v67
	v_xor_b32_e32 v67, v5, v67
	v_xor_b32_e32 v66, v96, v66
	v_cmp_ne_u64_e32 vcc, s[78:79], v[66:67]
	v_cndmask_b32_e32 v97, v133, v67, vcc
	v_cndmask_b32_e32 v96, 0, v66, vcc
	v_lshrrev_b64 v[96:97], s33, v[96:97]
	v_and_b32_e32 v96, s69, v96
	v_mul_u32_u24_e32 v5, 5, v96
	v_add_lshl_u32 v5, v5, v178, 2
	; wave barrier
	v_add_u32_e32 v187, 0x410, v5
	ds_read_b32 v186, v5 offset:1040
	v_and_b32_e32 v5, 1, v96
	v_add_co_u32_e32 v97, vcc, -1, v5
	v_addc_co_u32_e64 v98, s[36:37], 0, -1, vcc
	v_cmp_ne_u32_e32 vcc, 0, v5
	v_xor_b32_e32 v5, vcc_hi, v98
	v_and_b32_e32 v98, exec_hi, v5
	v_lshlrev_b32_e32 v5, 30, v96
	v_xor_b32_e32 v97, vcc_lo, v97
	v_cmp_gt_i64_e32 vcc, 0, v[4:5]
	v_not_b32_e32 v5, v5
	v_ashrrev_i32_e32 v5, 31, v5
	v_and_b32_e32 v97, exec_lo, v97
	v_xor_b32_e32 v99, vcc_hi, v5
	v_xor_b32_e32 v5, vcc_lo, v5
	v_and_b32_e32 v97, v97, v5
	v_lshlrev_b32_e32 v5, 29, v96
	v_cmp_gt_i64_e32 vcc, 0, v[4:5]
	v_not_b32_e32 v5, v5
	v_ashrrev_i32_e32 v5, 31, v5
	v_and_b32_e32 v98, v98, v99
	v_xor_b32_e32 v99, vcc_hi, v5
	v_xor_b32_e32 v5, vcc_lo, v5
	v_and_b32_e32 v97, v97, v5
	v_lshlrev_b32_e32 v5, 28, v96
	v_cmp_gt_i64_e32 vcc, 0, v[4:5]
	v_not_b32_e32 v5, v5
	v_ashrrev_i32_e32 v5, 31, v5
	v_and_b32_e32 v98, v98, v99
	;; [unrolled: 8-line block ×5, first 2 shown]
	v_xor_b32_e32 v99, vcc_hi, v5
	v_xor_b32_e32 v5, vcc_lo, v5
	v_and_b32_e32 v98, v98, v99
	v_and_b32_e32 v99, v97, v5
	v_lshlrev_b32_e32 v5, 24, v96
	v_cmp_gt_i64_e32 vcc, 0, v[4:5]
	v_not_b32_e32 v5, v5
	v_ashrrev_i32_e32 v5, 31, v5
	v_xor_b32_e32 v96, vcc_hi, v5
	v_xor_b32_e32 v5, vcc_lo, v5
	v_and_b32_e32 v97, v98, v96
	v_and_b32_e32 v96, v99, v5
	v_mbcnt_lo_u32_b32 v5, v96, 0
	v_mbcnt_hi_u32_b32 v188, v97, v5
	v_cmp_eq_u32_e32 vcc, 0, v188
	v_cmp_ne_u64_e64 s[36:37], 0, v[96:97]
	s_and_b64 s[38:39], s[36:37], vcc
	; wave barrier
	s_and_saveexec_b64 s[36:37], s[38:39]
	s_cbranch_execz .LBB1251_143
; %bb.142:                              ;   in Loop: Header=BB1251_103 Depth=2
	v_bcnt_u32_b32 v5, v96, 0
	v_bcnt_u32_b32 v5, v97, v5
	s_waitcnt lgkmcnt(0)
	v_add_u32_e32 v5, v186, v5
	ds_write_b32 v187, v5
.LBB1251_143:                           ;   in Loop: Header=BB1251_103 Depth=2
	s_or_b64 exec, exec, s[36:37]
	s_waitcnt vmcnt(12)
	v_cmp_lt_i64_e32 vcc, -1, v[74:75]
	v_cndmask_b32_e32 v5, -1, v133, vcc
	v_ashrrev_i32_e32 v96, 31, v75
	v_xor_b32_e32 v75, v5, v75
	v_xor_b32_e32 v74, v96, v74
	v_cmp_ne_u64_e32 vcc, s[78:79], v[74:75]
	v_cndmask_b32_e32 v97, v133, v75, vcc
	v_cndmask_b32_e32 v96, 0, v74, vcc
	v_lshrrev_b64 v[96:97], s33, v[96:97]
	v_and_b32_e32 v96, s69, v96
	v_mul_u32_u24_e32 v5, 5, v96
	v_add_lshl_u32 v5, v5, v178, 2
	; wave barrier
	v_add_u32_e32 v190, 0x410, v5
	ds_read_b32 v189, v5 offset:1040
	v_and_b32_e32 v5, 1, v96
	v_add_co_u32_e32 v97, vcc, -1, v5
	v_addc_co_u32_e64 v98, s[36:37], 0, -1, vcc
	v_cmp_ne_u32_e32 vcc, 0, v5
	v_xor_b32_e32 v5, vcc_hi, v98
	v_and_b32_e32 v98, exec_hi, v5
	v_lshlrev_b32_e32 v5, 30, v96
	v_xor_b32_e32 v97, vcc_lo, v97
	v_cmp_gt_i64_e32 vcc, 0, v[4:5]
	v_not_b32_e32 v5, v5
	v_ashrrev_i32_e32 v5, 31, v5
	v_and_b32_e32 v97, exec_lo, v97
	v_xor_b32_e32 v99, vcc_hi, v5
	v_xor_b32_e32 v5, vcc_lo, v5
	v_and_b32_e32 v97, v97, v5
	v_lshlrev_b32_e32 v5, 29, v96
	v_cmp_gt_i64_e32 vcc, 0, v[4:5]
	v_not_b32_e32 v5, v5
	v_ashrrev_i32_e32 v5, 31, v5
	v_and_b32_e32 v98, v98, v99
	v_xor_b32_e32 v99, vcc_hi, v5
	v_xor_b32_e32 v5, vcc_lo, v5
	v_and_b32_e32 v97, v97, v5
	v_lshlrev_b32_e32 v5, 28, v96
	v_cmp_gt_i64_e32 vcc, 0, v[4:5]
	v_not_b32_e32 v5, v5
	v_ashrrev_i32_e32 v5, 31, v5
	v_and_b32_e32 v98, v98, v99
	;; [unrolled: 8-line block ×5, first 2 shown]
	v_xor_b32_e32 v99, vcc_hi, v5
	v_xor_b32_e32 v5, vcc_lo, v5
	v_and_b32_e32 v98, v98, v99
	v_and_b32_e32 v99, v97, v5
	v_lshlrev_b32_e32 v5, 24, v96
	v_cmp_gt_i64_e32 vcc, 0, v[4:5]
	v_not_b32_e32 v5, v5
	v_ashrrev_i32_e32 v5, 31, v5
	v_xor_b32_e32 v96, vcc_hi, v5
	v_xor_b32_e32 v5, vcc_lo, v5
	v_and_b32_e32 v97, v98, v96
	v_and_b32_e32 v96, v99, v5
	v_mbcnt_lo_u32_b32 v5, v96, 0
	v_mbcnt_hi_u32_b32 v191, v97, v5
	v_cmp_eq_u32_e32 vcc, 0, v191
	v_cmp_ne_u64_e64 s[36:37], 0, v[96:97]
	s_and_b64 s[38:39], s[36:37], vcc
	; wave barrier
	s_and_saveexec_b64 s[36:37], s[38:39]
	s_cbranch_execz .LBB1251_145
; %bb.144:                              ;   in Loop: Header=BB1251_103 Depth=2
	v_bcnt_u32_b32 v5, v96, 0
	v_bcnt_u32_b32 v5, v97, v5
	s_waitcnt lgkmcnt(0)
	v_add_u32_e32 v5, v189, v5
	ds_write_b32 v190, v5
.LBB1251_145:                           ;   in Loop: Header=BB1251_103 Depth=2
	s_or_b64 exec, exec, s[36:37]
	s_waitcnt vmcnt(11)
	v_cmp_lt_i64_e32 vcc, -1, v[78:79]
	v_cndmask_b32_e32 v5, -1, v133, vcc
	v_ashrrev_i32_e32 v96, 31, v79
	v_xor_b32_e32 v79, v5, v79
	v_xor_b32_e32 v78, v96, v78
	v_cmp_ne_u64_e32 vcc, s[78:79], v[78:79]
	v_cndmask_b32_e32 v97, v133, v79, vcc
	v_cndmask_b32_e32 v96, 0, v78, vcc
	v_lshrrev_b64 v[96:97], s33, v[96:97]
	v_and_b32_e32 v96, s69, v96
	v_mul_u32_u24_e32 v5, 5, v96
	v_add_lshl_u32 v5, v5, v178, 2
	; wave barrier
	v_add_u32_e32 v193, 0x410, v5
	ds_read_b32 v192, v5 offset:1040
	v_and_b32_e32 v5, 1, v96
	v_add_co_u32_e32 v97, vcc, -1, v5
	v_addc_co_u32_e64 v98, s[36:37], 0, -1, vcc
	v_cmp_ne_u32_e32 vcc, 0, v5
	v_xor_b32_e32 v5, vcc_hi, v98
	v_and_b32_e32 v98, exec_hi, v5
	v_lshlrev_b32_e32 v5, 30, v96
	v_xor_b32_e32 v97, vcc_lo, v97
	v_cmp_gt_i64_e32 vcc, 0, v[4:5]
	v_not_b32_e32 v5, v5
	v_ashrrev_i32_e32 v5, 31, v5
	v_and_b32_e32 v97, exec_lo, v97
	v_xor_b32_e32 v99, vcc_hi, v5
	v_xor_b32_e32 v5, vcc_lo, v5
	v_and_b32_e32 v97, v97, v5
	v_lshlrev_b32_e32 v5, 29, v96
	v_cmp_gt_i64_e32 vcc, 0, v[4:5]
	v_not_b32_e32 v5, v5
	v_ashrrev_i32_e32 v5, 31, v5
	v_and_b32_e32 v98, v98, v99
	v_xor_b32_e32 v99, vcc_hi, v5
	v_xor_b32_e32 v5, vcc_lo, v5
	v_and_b32_e32 v97, v97, v5
	v_lshlrev_b32_e32 v5, 28, v96
	v_cmp_gt_i64_e32 vcc, 0, v[4:5]
	v_not_b32_e32 v5, v5
	v_ashrrev_i32_e32 v5, 31, v5
	v_and_b32_e32 v98, v98, v99
	;; [unrolled: 8-line block ×5, first 2 shown]
	v_xor_b32_e32 v99, vcc_hi, v5
	v_xor_b32_e32 v5, vcc_lo, v5
	v_and_b32_e32 v98, v98, v99
	v_and_b32_e32 v99, v97, v5
	v_lshlrev_b32_e32 v5, 24, v96
	v_cmp_gt_i64_e32 vcc, 0, v[4:5]
	v_not_b32_e32 v5, v5
	v_ashrrev_i32_e32 v5, 31, v5
	v_xor_b32_e32 v96, vcc_hi, v5
	v_xor_b32_e32 v5, vcc_lo, v5
	v_and_b32_e32 v97, v98, v96
	v_and_b32_e32 v96, v99, v5
	v_mbcnt_lo_u32_b32 v5, v96, 0
	v_mbcnt_hi_u32_b32 v194, v97, v5
	v_cmp_eq_u32_e32 vcc, 0, v194
	v_cmp_ne_u64_e64 s[36:37], 0, v[96:97]
	s_and_b64 s[38:39], s[36:37], vcc
	; wave barrier
	s_and_saveexec_b64 s[36:37], s[38:39]
	s_cbranch_execz .LBB1251_147
; %bb.146:                              ;   in Loop: Header=BB1251_103 Depth=2
	v_bcnt_u32_b32 v5, v96, 0
	v_bcnt_u32_b32 v5, v97, v5
	s_waitcnt lgkmcnt(0)
	v_add_u32_e32 v5, v192, v5
	ds_write_b32 v193, v5
.LBB1251_147:                           ;   in Loop: Header=BB1251_103 Depth=2
	s_or_b64 exec, exec, s[36:37]
	s_waitcnt vmcnt(10)
	v_cmp_lt_i64_e32 vcc, -1, v[82:83]
	v_cndmask_b32_e32 v5, -1, v133, vcc
	v_ashrrev_i32_e32 v96, 31, v83
	v_xor_b32_e32 v83, v5, v83
	v_xor_b32_e32 v82, v96, v82
	v_cmp_ne_u64_e32 vcc, s[78:79], v[82:83]
	v_cndmask_b32_e32 v97, v133, v83, vcc
	v_cndmask_b32_e32 v96, 0, v82, vcc
	v_lshrrev_b64 v[96:97], s33, v[96:97]
	v_and_b32_e32 v96, s69, v96
	v_mul_u32_u24_e32 v5, 5, v96
	v_add_lshl_u32 v5, v5, v178, 2
	; wave barrier
	v_add_u32_e32 v196, 0x410, v5
	ds_read_b32 v195, v5 offset:1040
	v_and_b32_e32 v5, 1, v96
	v_add_co_u32_e32 v97, vcc, -1, v5
	v_addc_co_u32_e64 v98, s[36:37], 0, -1, vcc
	v_cmp_ne_u32_e32 vcc, 0, v5
	v_xor_b32_e32 v5, vcc_hi, v98
	v_and_b32_e32 v98, exec_hi, v5
	v_lshlrev_b32_e32 v5, 30, v96
	v_xor_b32_e32 v97, vcc_lo, v97
	v_cmp_gt_i64_e32 vcc, 0, v[4:5]
	v_not_b32_e32 v5, v5
	v_ashrrev_i32_e32 v5, 31, v5
	v_and_b32_e32 v97, exec_lo, v97
	v_xor_b32_e32 v99, vcc_hi, v5
	v_xor_b32_e32 v5, vcc_lo, v5
	v_and_b32_e32 v97, v97, v5
	v_lshlrev_b32_e32 v5, 29, v96
	v_cmp_gt_i64_e32 vcc, 0, v[4:5]
	v_not_b32_e32 v5, v5
	v_ashrrev_i32_e32 v5, 31, v5
	v_and_b32_e32 v98, v98, v99
	v_xor_b32_e32 v99, vcc_hi, v5
	v_xor_b32_e32 v5, vcc_lo, v5
	v_and_b32_e32 v97, v97, v5
	v_lshlrev_b32_e32 v5, 28, v96
	v_cmp_gt_i64_e32 vcc, 0, v[4:5]
	v_not_b32_e32 v5, v5
	v_ashrrev_i32_e32 v5, 31, v5
	v_and_b32_e32 v98, v98, v99
	;; [unrolled: 8-line block ×5, first 2 shown]
	v_xor_b32_e32 v99, vcc_hi, v5
	v_xor_b32_e32 v5, vcc_lo, v5
	v_and_b32_e32 v98, v98, v99
	v_and_b32_e32 v99, v97, v5
	v_lshlrev_b32_e32 v5, 24, v96
	v_cmp_gt_i64_e32 vcc, 0, v[4:5]
	v_not_b32_e32 v5, v5
	v_ashrrev_i32_e32 v5, 31, v5
	v_xor_b32_e32 v96, vcc_hi, v5
	v_xor_b32_e32 v5, vcc_lo, v5
	v_and_b32_e32 v97, v98, v96
	v_and_b32_e32 v96, v99, v5
	v_mbcnt_lo_u32_b32 v5, v96, 0
	v_mbcnt_hi_u32_b32 v197, v97, v5
	v_cmp_eq_u32_e32 vcc, 0, v197
	v_cmp_ne_u64_e64 s[36:37], 0, v[96:97]
	s_and_b64 s[38:39], s[36:37], vcc
	; wave barrier
	s_and_saveexec_b64 s[36:37], s[38:39]
	s_cbranch_execz .LBB1251_149
; %bb.148:                              ;   in Loop: Header=BB1251_103 Depth=2
	v_bcnt_u32_b32 v5, v96, 0
	v_bcnt_u32_b32 v5, v97, v5
	s_waitcnt lgkmcnt(0)
	v_add_u32_e32 v5, v195, v5
	ds_write_b32 v196, v5
.LBB1251_149:                           ;   in Loop: Header=BB1251_103 Depth=2
	s_or_b64 exec, exec, s[36:37]
	s_waitcnt vmcnt(9)
	v_cmp_lt_i64_e32 vcc, -1, v[86:87]
	v_cndmask_b32_e32 v5, -1, v133, vcc
	v_ashrrev_i32_e32 v96, 31, v87
	v_xor_b32_e32 v87, v5, v87
	v_xor_b32_e32 v86, v96, v86
	v_cmp_ne_u64_e32 vcc, s[78:79], v[86:87]
	v_cndmask_b32_e32 v97, v133, v87, vcc
	v_cndmask_b32_e32 v96, 0, v86, vcc
	v_lshrrev_b64 v[96:97], s33, v[96:97]
	v_and_b32_e32 v96, s69, v96
	v_mul_u32_u24_e32 v5, 5, v96
	v_add_lshl_u32 v5, v5, v178, 2
	; wave barrier
	v_add_u32_e32 v199, 0x410, v5
	ds_read_b32 v198, v5 offset:1040
	v_and_b32_e32 v5, 1, v96
	v_add_co_u32_e32 v97, vcc, -1, v5
	v_addc_co_u32_e64 v98, s[36:37], 0, -1, vcc
	v_cmp_ne_u32_e32 vcc, 0, v5
	v_xor_b32_e32 v5, vcc_hi, v98
	v_and_b32_e32 v98, exec_hi, v5
	v_lshlrev_b32_e32 v5, 30, v96
	v_xor_b32_e32 v97, vcc_lo, v97
	v_cmp_gt_i64_e32 vcc, 0, v[4:5]
	v_not_b32_e32 v5, v5
	v_ashrrev_i32_e32 v5, 31, v5
	v_and_b32_e32 v97, exec_lo, v97
	v_xor_b32_e32 v99, vcc_hi, v5
	v_xor_b32_e32 v5, vcc_lo, v5
	v_and_b32_e32 v97, v97, v5
	v_lshlrev_b32_e32 v5, 29, v96
	v_cmp_gt_i64_e32 vcc, 0, v[4:5]
	v_not_b32_e32 v5, v5
	v_ashrrev_i32_e32 v5, 31, v5
	v_and_b32_e32 v98, v98, v99
	v_xor_b32_e32 v99, vcc_hi, v5
	v_xor_b32_e32 v5, vcc_lo, v5
	v_and_b32_e32 v97, v97, v5
	v_lshlrev_b32_e32 v5, 28, v96
	v_cmp_gt_i64_e32 vcc, 0, v[4:5]
	v_not_b32_e32 v5, v5
	v_ashrrev_i32_e32 v5, 31, v5
	v_and_b32_e32 v98, v98, v99
	;; [unrolled: 8-line block ×5, first 2 shown]
	v_xor_b32_e32 v99, vcc_hi, v5
	v_xor_b32_e32 v5, vcc_lo, v5
	v_and_b32_e32 v98, v98, v99
	v_and_b32_e32 v99, v97, v5
	v_lshlrev_b32_e32 v5, 24, v96
	v_cmp_gt_i64_e32 vcc, 0, v[4:5]
	v_not_b32_e32 v5, v5
	v_ashrrev_i32_e32 v5, 31, v5
	v_xor_b32_e32 v96, vcc_hi, v5
	v_xor_b32_e32 v5, vcc_lo, v5
	v_and_b32_e32 v97, v98, v96
	v_and_b32_e32 v96, v99, v5
	v_mbcnt_lo_u32_b32 v5, v96, 0
	v_mbcnt_hi_u32_b32 v200, v97, v5
	v_cmp_eq_u32_e32 vcc, 0, v200
	v_cmp_ne_u64_e64 s[36:37], 0, v[96:97]
	s_and_b64 s[38:39], s[36:37], vcc
	; wave barrier
	s_and_saveexec_b64 s[36:37], s[38:39]
	s_cbranch_execz .LBB1251_151
; %bb.150:                              ;   in Loop: Header=BB1251_103 Depth=2
	v_bcnt_u32_b32 v5, v96, 0
	v_bcnt_u32_b32 v5, v97, v5
	s_waitcnt lgkmcnt(0)
	v_add_u32_e32 v5, v198, v5
	ds_write_b32 v199, v5
.LBB1251_151:                           ;   in Loop: Header=BB1251_103 Depth=2
	s_or_b64 exec, exec, s[36:37]
	s_waitcnt vmcnt(8)
	v_cmp_lt_i64_e32 vcc, -1, v[90:91]
	v_cndmask_b32_e32 v5, -1, v133, vcc
	v_ashrrev_i32_e32 v96, 31, v91
	v_xor_b32_e32 v91, v5, v91
	v_xor_b32_e32 v90, v96, v90
	v_cmp_ne_u64_e32 vcc, s[78:79], v[90:91]
	v_cndmask_b32_e32 v97, v133, v91, vcc
	v_cndmask_b32_e32 v96, 0, v90, vcc
	v_lshrrev_b64 v[96:97], s33, v[96:97]
	v_and_b32_e32 v96, s69, v96
	v_mul_u32_u24_e32 v5, 5, v96
	v_add_lshl_u32 v5, v5, v178, 2
	; wave barrier
	v_add_u32_e32 v202, 0x410, v5
	ds_read_b32 v201, v5 offset:1040
	v_and_b32_e32 v5, 1, v96
	v_add_co_u32_e32 v97, vcc, -1, v5
	v_addc_co_u32_e64 v98, s[36:37], 0, -1, vcc
	v_cmp_ne_u32_e32 vcc, 0, v5
	v_xor_b32_e32 v5, vcc_hi, v98
	v_and_b32_e32 v98, exec_hi, v5
	v_lshlrev_b32_e32 v5, 30, v96
	v_xor_b32_e32 v97, vcc_lo, v97
	v_cmp_gt_i64_e32 vcc, 0, v[4:5]
	v_not_b32_e32 v5, v5
	v_ashrrev_i32_e32 v5, 31, v5
	v_and_b32_e32 v97, exec_lo, v97
	v_xor_b32_e32 v99, vcc_hi, v5
	v_xor_b32_e32 v5, vcc_lo, v5
	v_and_b32_e32 v97, v97, v5
	v_lshlrev_b32_e32 v5, 29, v96
	v_cmp_gt_i64_e32 vcc, 0, v[4:5]
	v_not_b32_e32 v5, v5
	v_ashrrev_i32_e32 v5, 31, v5
	v_and_b32_e32 v98, v98, v99
	v_xor_b32_e32 v99, vcc_hi, v5
	v_xor_b32_e32 v5, vcc_lo, v5
	v_and_b32_e32 v97, v97, v5
	v_lshlrev_b32_e32 v5, 28, v96
	v_cmp_gt_i64_e32 vcc, 0, v[4:5]
	v_not_b32_e32 v5, v5
	v_ashrrev_i32_e32 v5, 31, v5
	v_and_b32_e32 v98, v98, v99
	;; [unrolled: 8-line block ×5, first 2 shown]
	v_xor_b32_e32 v99, vcc_hi, v5
	v_xor_b32_e32 v5, vcc_lo, v5
	v_and_b32_e32 v98, v98, v99
	v_and_b32_e32 v99, v97, v5
	v_lshlrev_b32_e32 v5, 24, v96
	v_cmp_gt_i64_e32 vcc, 0, v[4:5]
	v_not_b32_e32 v5, v5
	v_ashrrev_i32_e32 v5, 31, v5
	v_xor_b32_e32 v96, vcc_hi, v5
	v_xor_b32_e32 v5, vcc_lo, v5
	v_and_b32_e32 v97, v98, v96
	v_and_b32_e32 v96, v99, v5
	v_mbcnt_lo_u32_b32 v5, v96, 0
	v_mbcnt_hi_u32_b32 v203, v97, v5
	v_cmp_eq_u32_e32 vcc, 0, v203
	v_cmp_ne_u64_e64 s[36:37], 0, v[96:97]
	s_and_b64 s[38:39], s[36:37], vcc
	; wave barrier
	s_and_saveexec_b64 s[36:37], s[38:39]
	s_cbranch_execz .LBB1251_153
; %bb.152:                              ;   in Loop: Header=BB1251_103 Depth=2
	v_bcnt_u32_b32 v5, v96, 0
	v_bcnt_u32_b32 v5, v97, v5
	s_waitcnt lgkmcnt(0)
	v_add_u32_e32 v5, v201, v5
	ds_write_b32 v202, v5
.LBB1251_153:                           ;   in Loop: Header=BB1251_103 Depth=2
	s_or_b64 exec, exec, s[36:37]
	s_waitcnt vmcnt(7)
	v_cmp_lt_i64_e32 vcc, -1, v[94:95]
	v_cndmask_b32_e32 v5, -1, v133, vcc
	v_ashrrev_i32_e32 v96, 31, v95
	v_xor_b32_e32 v95, v5, v95
	v_xor_b32_e32 v94, v96, v94
	v_cmp_ne_u64_e32 vcc, s[78:79], v[94:95]
	v_cndmask_b32_e32 v97, v133, v95, vcc
	v_cndmask_b32_e32 v96, 0, v94, vcc
	v_lshrrev_b64 v[96:97], s33, v[96:97]
	v_and_b32_e32 v96, s69, v96
	v_mul_u32_u24_e32 v5, 5, v96
	v_add_lshl_u32 v5, v5, v178, 2
	; wave barrier
	v_add_u32_e32 v205, 0x410, v5
	ds_read_b32 v204, v5 offset:1040
	v_and_b32_e32 v5, 1, v96
	v_add_co_u32_e32 v97, vcc, -1, v5
	v_addc_co_u32_e64 v98, s[36:37], 0, -1, vcc
	v_cmp_ne_u32_e32 vcc, 0, v5
	v_xor_b32_e32 v5, vcc_hi, v98
	v_and_b32_e32 v98, exec_hi, v5
	v_lshlrev_b32_e32 v5, 30, v96
	v_xor_b32_e32 v97, vcc_lo, v97
	v_cmp_gt_i64_e32 vcc, 0, v[4:5]
	v_not_b32_e32 v5, v5
	v_ashrrev_i32_e32 v5, 31, v5
	v_and_b32_e32 v97, exec_lo, v97
	v_xor_b32_e32 v99, vcc_hi, v5
	v_xor_b32_e32 v5, vcc_lo, v5
	v_and_b32_e32 v97, v97, v5
	v_lshlrev_b32_e32 v5, 29, v96
	v_cmp_gt_i64_e32 vcc, 0, v[4:5]
	v_not_b32_e32 v5, v5
	v_ashrrev_i32_e32 v5, 31, v5
	v_and_b32_e32 v98, v98, v99
	v_xor_b32_e32 v99, vcc_hi, v5
	v_xor_b32_e32 v5, vcc_lo, v5
	v_and_b32_e32 v97, v97, v5
	v_lshlrev_b32_e32 v5, 28, v96
	v_cmp_gt_i64_e32 vcc, 0, v[4:5]
	v_not_b32_e32 v5, v5
	v_ashrrev_i32_e32 v5, 31, v5
	v_and_b32_e32 v98, v98, v99
	v_xor_b32_e32 v99, vcc_hi, v5
	v_xor_b32_e32 v5, vcc_lo, v5
	v_and_b32_e32 v97, v97, v5
	v_lshlrev_b32_e32 v5, 27, v96
	v_cmp_gt_i64_e32 vcc, 0, v[4:5]
	v_not_b32_e32 v5, v5
	v_ashrrev_i32_e32 v5, 31, v5
	v_and_b32_e32 v98, v98, v99
	v_xor_b32_e32 v99, vcc_hi, v5
	v_xor_b32_e32 v5, vcc_lo, v5
	v_and_b32_e32 v97, v97, v5
	v_lshlrev_b32_e32 v5, 26, v96
	v_cmp_gt_i64_e32 vcc, 0, v[4:5]
	v_not_b32_e32 v5, v5
	v_ashrrev_i32_e32 v5, 31, v5
	v_and_b32_e32 v98, v98, v99
	v_xor_b32_e32 v99, vcc_hi, v5
	v_xor_b32_e32 v5, vcc_lo, v5
	v_and_b32_e32 v97, v97, v5
	v_lshlrev_b32_e32 v5, 25, v96
	v_cmp_gt_i64_e32 vcc, 0, v[4:5]
	v_not_b32_e32 v5, v5
	v_ashrrev_i32_e32 v5, 31, v5
	v_and_b32_e32 v98, v98, v99
	v_xor_b32_e32 v99, vcc_hi, v5
	v_xor_b32_e32 v5, vcc_lo, v5
	v_and_b32_e32 v98, v98, v99
	v_and_b32_e32 v99, v97, v5
	v_lshlrev_b32_e32 v5, 24, v96
	v_cmp_gt_i64_e32 vcc, 0, v[4:5]
	v_not_b32_e32 v5, v5
	v_ashrrev_i32_e32 v5, 31, v5
	v_xor_b32_e32 v96, vcc_hi, v5
	v_xor_b32_e32 v5, vcc_lo, v5
	v_and_b32_e32 v97, v98, v96
	v_and_b32_e32 v96, v99, v5
	v_mbcnt_lo_u32_b32 v5, v96, 0
	v_mbcnt_hi_u32_b32 v206, v97, v5
	v_cmp_eq_u32_e32 vcc, 0, v206
	v_cmp_ne_u64_e64 s[36:37], 0, v[96:97]
	s_and_b64 s[38:39], s[36:37], vcc
	; wave barrier
	s_and_saveexec_b64 s[36:37], s[38:39]
	s_cbranch_execz .LBB1251_155
; %bb.154:                              ;   in Loop: Header=BB1251_103 Depth=2
	v_bcnt_u32_b32 v5, v96, 0
	v_bcnt_u32_b32 v5, v97, v5
	s_waitcnt lgkmcnt(0)
	v_add_u32_e32 v5, v204, v5
	ds_write_b32 v205, v5
.LBB1251_155:                           ;   in Loop: Header=BB1251_103 Depth=2
	s_or_b64 exec, exec, s[36:37]
	s_waitcnt vmcnt(6)
	v_cmp_lt_i64_e32 vcc, -1, v[92:93]
	v_cndmask_b32_e32 v5, -1, v133, vcc
	v_ashrrev_i32_e32 v96, 31, v93
	v_xor_b32_e32 v93, v5, v93
	v_xor_b32_e32 v92, v96, v92
	v_cmp_ne_u64_e32 vcc, s[78:79], v[92:93]
	v_cndmask_b32_e32 v97, v133, v93, vcc
	v_cndmask_b32_e32 v96, 0, v92, vcc
	v_lshrrev_b64 v[96:97], s33, v[96:97]
	v_and_b32_e32 v96, s69, v96
	v_mul_u32_u24_e32 v5, 5, v96
	v_add_lshl_u32 v5, v5, v178, 2
	; wave barrier
	v_add_u32_e32 v208, 0x410, v5
	ds_read_b32 v207, v5 offset:1040
	v_and_b32_e32 v5, 1, v96
	v_add_co_u32_e32 v97, vcc, -1, v5
	v_addc_co_u32_e64 v98, s[36:37], 0, -1, vcc
	v_cmp_ne_u32_e32 vcc, 0, v5
	v_xor_b32_e32 v5, vcc_hi, v98
	v_and_b32_e32 v98, exec_hi, v5
	v_lshlrev_b32_e32 v5, 30, v96
	v_xor_b32_e32 v97, vcc_lo, v97
	v_cmp_gt_i64_e32 vcc, 0, v[4:5]
	v_not_b32_e32 v5, v5
	v_ashrrev_i32_e32 v5, 31, v5
	v_and_b32_e32 v97, exec_lo, v97
	v_xor_b32_e32 v99, vcc_hi, v5
	v_xor_b32_e32 v5, vcc_lo, v5
	v_and_b32_e32 v97, v97, v5
	v_lshlrev_b32_e32 v5, 29, v96
	v_cmp_gt_i64_e32 vcc, 0, v[4:5]
	v_not_b32_e32 v5, v5
	v_ashrrev_i32_e32 v5, 31, v5
	v_and_b32_e32 v98, v98, v99
	v_xor_b32_e32 v99, vcc_hi, v5
	v_xor_b32_e32 v5, vcc_lo, v5
	v_and_b32_e32 v97, v97, v5
	v_lshlrev_b32_e32 v5, 28, v96
	v_cmp_gt_i64_e32 vcc, 0, v[4:5]
	v_not_b32_e32 v5, v5
	v_ashrrev_i32_e32 v5, 31, v5
	v_and_b32_e32 v98, v98, v99
	;; [unrolled: 8-line block ×5, first 2 shown]
	v_xor_b32_e32 v99, vcc_hi, v5
	v_xor_b32_e32 v5, vcc_lo, v5
	v_and_b32_e32 v98, v98, v99
	v_and_b32_e32 v99, v97, v5
	v_lshlrev_b32_e32 v5, 24, v96
	v_cmp_gt_i64_e32 vcc, 0, v[4:5]
	v_not_b32_e32 v5, v5
	v_ashrrev_i32_e32 v5, 31, v5
	v_xor_b32_e32 v96, vcc_hi, v5
	v_xor_b32_e32 v5, vcc_lo, v5
	v_and_b32_e32 v97, v98, v96
	v_and_b32_e32 v96, v99, v5
	v_mbcnt_lo_u32_b32 v5, v96, 0
	v_mbcnt_hi_u32_b32 v209, v97, v5
	v_cmp_eq_u32_e32 vcc, 0, v209
	v_cmp_ne_u64_e64 s[36:37], 0, v[96:97]
	s_and_b64 s[38:39], s[36:37], vcc
	; wave barrier
	s_and_saveexec_b64 s[36:37], s[38:39]
	s_cbranch_execz .LBB1251_157
; %bb.156:                              ;   in Loop: Header=BB1251_103 Depth=2
	v_bcnt_u32_b32 v5, v96, 0
	v_bcnt_u32_b32 v5, v97, v5
	s_waitcnt lgkmcnt(0)
	v_add_u32_e32 v5, v207, v5
	ds_write_b32 v208, v5
.LBB1251_157:                           ;   in Loop: Header=BB1251_103 Depth=2
	s_or_b64 exec, exec, s[36:37]
	s_waitcnt vmcnt(5)
	v_cmp_lt_i64_e32 vcc, -1, v[88:89]
	v_cndmask_b32_e32 v5, -1, v133, vcc
	v_ashrrev_i32_e32 v96, 31, v89
	v_xor_b32_e32 v89, v5, v89
	v_xor_b32_e32 v88, v96, v88
	v_cmp_ne_u64_e32 vcc, s[78:79], v[88:89]
	v_cndmask_b32_e32 v97, v133, v89, vcc
	v_cndmask_b32_e32 v96, 0, v88, vcc
	v_lshrrev_b64 v[96:97], s33, v[96:97]
	v_and_b32_e32 v96, s69, v96
	v_mul_u32_u24_e32 v5, 5, v96
	v_add_lshl_u32 v5, v5, v178, 2
	; wave barrier
	v_add_u32_e32 v211, 0x410, v5
	ds_read_b32 v210, v5 offset:1040
	v_and_b32_e32 v5, 1, v96
	v_add_co_u32_e32 v97, vcc, -1, v5
	v_addc_co_u32_e64 v98, s[36:37], 0, -1, vcc
	v_cmp_ne_u32_e32 vcc, 0, v5
	v_xor_b32_e32 v5, vcc_hi, v98
	v_and_b32_e32 v98, exec_hi, v5
	v_lshlrev_b32_e32 v5, 30, v96
	v_xor_b32_e32 v97, vcc_lo, v97
	v_cmp_gt_i64_e32 vcc, 0, v[4:5]
	v_not_b32_e32 v5, v5
	v_ashrrev_i32_e32 v5, 31, v5
	v_and_b32_e32 v97, exec_lo, v97
	v_xor_b32_e32 v99, vcc_hi, v5
	v_xor_b32_e32 v5, vcc_lo, v5
	v_and_b32_e32 v97, v97, v5
	v_lshlrev_b32_e32 v5, 29, v96
	v_cmp_gt_i64_e32 vcc, 0, v[4:5]
	v_not_b32_e32 v5, v5
	v_ashrrev_i32_e32 v5, 31, v5
	v_and_b32_e32 v98, v98, v99
	v_xor_b32_e32 v99, vcc_hi, v5
	v_xor_b32_e32 v5, vcc_lo, v5
	v_and_b32_e32 v97, v97, v5
	v_lshlrev_b32_e32 v5, 28, v96
	v_cmp_gt_i64_e32 vcc, 0, v[4:5]
	v_not_b32_e32 v5, v5
	v_ashrrev_i32_e32 v5, 31, v5
	v_and_b32_e32 v98, v98, v99
	;; [unrolled: 8-line block ×5, first 2 shown]
	v_xor_b32_e32 v99, vcc_hi, v5
	v_xor_b32_e32 v5, vcc_lo, v5
	v_and_b32_e32 v98, v98, v99
	v_and_b32_e32 v99, v97, v5
	v_lshlrev_b32_e32 v5, 24, v96
	v_cmp_gt_i64_e32 vcc, 0, v[4:5]
	v_not_b32_e32 v5, v5
	v_ashrrev_i32_e32 v5, 31, v5
	v_xor_b32_e32 v96, vcc_hi, v5
	v_xor_b32_e32 v5, vcc_lo, v5
	v_and_b32_e32 v97, v98, v96
	v_and_b32_e32 v96, v99, v5
	v_mbcnt_lo_u32_b32 v5, v96, 0
	v_mbcnt_hi_u32_b32 v212, v97, v5
	v_cmp_eq_u32_e32 vcc, 0, v212
	v_cmp_ne_u64_e64 s[36:37], 0, v[96:97]
	s_and_b64 s[38:39], s[36:37], vcc
	; wave barrier
	s_and_saveexec_b64 s[36:37], s[38:39]
	s_cbranch_execz .LBB1251_159
; %bb.158:                              ;   in Loop: Header=BB1251_103 Depth=2
	v_bcnt_u32_b32 v5, v96, 0
	v_bcnt_u32_b32 v5, v97, v5
	s_waitcnt lgkmcnt(0)
	v_add_u32_e32 v5, v210, v5
	ds_write_b32 v211, v5
.LBB1251_159:                           ;   in Loop: Header=BB1251_103 Depth=2
	s_or_b64 exec, exec, s[36:37]
	s_waitcnt vmcnt(4)
	v_cmp_lt_i64_e32 vcc, -1, v[84:85]
	v_cndmask_b32_e32 v5, -1, v133, vcc
	v_ashrrev_i32_e32 v96, 31, v85
	v_xor_b32_e32 v85, v5, v85
	v_xor_b32_e32 v84, v96, v84
	v_cmp_ne_u64_e32 vcc, s[78:79], v[84:85]
	v_cndmask_b32_e32 v97, v133, v85, vcc
	v_cndmask_b32_e32 v96, 0, v84, vcc
	v_lshrrev_b64 v[96:97], s33, v[96:97]
	v_and_b32_e32 v96, s69, v96
	v_mul_u32_u24_e32 v5, 5, v96
	v_add_lshl_u32 v5, v5, v178, 2
	; wave barrier
	v_add_u32_e32 v214, 0x410, v5
	ds_read_b32 v213, v5 offset:1040
	v_and_b32_e32 v5, 1, v96
	v_add_co_u32_e32 v97, vcc, -1, v5
	v_addc_co_u32_e64 v98, s[36:37], 0, -1, vcc
	v_cmp_ne_u32_e32 vcc, 0, v5
	v_xor_b32_e32 v5, vcc_hi, v98
	v_and_b32_e32 v98, exec_hi, v5
	v_lshlrev_b32_e32 v5, 30, v96
	v_xor_b32_e32 v97, vcc_lo, v97
	v_cmp_gt_i64_e32 vcc, 0, v[4:5]
	v_not_b32_e32 v5, v5
	v_ashrrev_i32_e32 v5, 31, v5
	v_and_b32_e32 v97, exec_lo, v97
	v_xor_b32_e32 v99, vcc_hi, v5
	v_xor_b32_e32 v5, vcc_lo, v5
	v_and_b32_e32 v97, v97, v5
	v_lshlrev_b32_e32 v5, 29, v96
	v_cmp_gt_i64_e32 vcc, 0, v[4:5]
	v_not_b32_e32 v5, v5
	v_ashrrev_i32_e32 v5, 31, v5
	v_and_b32_e32 v98, v98, v99
	v_xor_b32_e32 v99, vcc_hi, v5
	v_xor_b32_e32 v5, vcc_lo, v5
	v_and_b32_e32 v97, v97, v5
	v_lshlrev_b32_e32 v5, 28, v96
	v_cmp_gt_i64_e32 vcc, 0, v[4:5]
	v_not_b32_e32 v5, v5
	v_ashrrev_i32_e32 v5, 31, v5
	v_and_b32_e32 v98, v98, v99
	;; [unrolled: 8-line block ×5, first 2 shown]
	v_xor_b32_e32 v99, vcc_hi, v5
	v_xor_b32_e32 v5, vcc_lo, v5
	v_and_b32_e32 v98, v98, v99
	v_and_b32_e32 v99, v97, v5
	v_lshlrev_b32_e32 v5, 24, v96
	v_cmp_gt_i64_e32 vcc, 0, v[4:5]
	v_not_b32_e32 v5, v5
	v_ashrrev_i32_e32 v5, 31, v5
	v_xor_b32_e32 v96, vcc_hi, v5
	v_xor_b32_e32 v5, vcc_lo, v5
	v_and_b32_e32 v97, v98, v96
	v_and_b32_e32 v96, v99, v5
	v_mbcnt_lo_u32_b32 v5, v96, 0
	v_mbcnt_hi_u32_b32 v215, v97, v5
	v_cmp_eq_u32_e32 vcc, 0, v215
	v_cmp_ne_u64_e64 s[36:37], 0, v[96:97]
	s_and_b64 s[38:39], s[36:37], vcc
	; wave barrier
	s_and_saveexec_b64 s[36:37], s[38:39]
	s_cbranch_execz .LBB1251_161
; %bb.160:                              ;   in Loop: Header=BB1251_103 Depth=2
	v_bcnt_u32_b32 v5, v96, 0
	v_bcnt_u32_b32 v5, v97, v5
	s_waitcnt lgkmcnt(0)
	v_add_u32_e32 v5, v213, v5
	ds_write_b32 v214, v5
.LBB1251_161:                           ;   in Loop: Header=BB1251_103 Depth=2
	s_or_b64 exec, exec, s[36:37]
	s_waitcnt vmcnt(3)
	v_cmp_lt_i64_e32 vcc, -1, v[80:81]
	v_cndmask_b32_e32 v5, -1, v133, vcc
	v_ashrrev_i32_e32 v96, 31, v81
	v_xor_b32_e32 v81, v5, v81
	v_xor_b32_e32 v80, v96, v80
	v_cmp_ne_u64_e32 vcc, s[78:79], v[80:81]
	v_cndmask_b32_e32 v97, v133, v81, vcc
	v_cndmask_b32_e32 v96, 0, v80, vcc
	v_lshrrev_b64 v[96:97], s33, v[96:97]
	v_and_b32_e32 v96, s69, v96
	v_mul_u32_u24_e32 v5, 5, v96
	v_add_lshl_u32 v5, v5, v178, 2
	; wave barrier
	v_add_u32_e32 v217, 0x410, v5
	ds_read_b32 v216, v5 offset:1040
	v_and_b32_e32 v5, 1, v96
	v_add_co_u32_e32 v97, vcc, -1, v5
	v_addc_co_u32_e64 v98, s[36:37], 0, -1, vcc
	v_cmp_ne_u32_e32 vcc, 0, v5
	v_xor_b32_e32 v5, vcc_hi, v98
	v_and_b32_e32 v98, exec_hi, v5
	v_lshlrev_b32_e32 v5, 30, v96
	v_xor_b32_e32 v97, vcc_lo, v97
	v_cmp_gt_i64_e32 vcc, 0, v[4:5]
	v_not_b32_e32 v5, v5
	v_ashrrev_i32_e32 v5, 31, v5
	v_and_b32_e32 v97, exec_lo, v97
	v_xor_b32_e32 v99, vcc_hi, v5
	v_xor_b32_e32 v5, vcc_lo, v5
	v_and_b32_e32 v97, v97, v5
	v_lshlrev_b32_e32 v5, 29, v96
	v_cmp_gt_i64_e32 vcc, 0, v[4:5]
	v_not_b32_e32 v5, v5
	v_ashrrev_i32_e32 v5, 31, v5
	v_and_b32_e32 v98, v98, v99
	v_xor_b32_e32 v99, vcc_hi, v5
	v_xor_b32_e32 v5, vcc_lo, v5
	v_and_b32_e32 v97, v97, v5
	v_lshlrev_b32_e32 v5, 28, v96
	v_cmp_gt_i64_e32 vcc, 0, v[4:5]
	v_not_b32_e32 v5, v5
	v_ashrrev_i32_e32 v5, 31, v5
	v_and_b32_e32 v98, v98, v99
	;; [unrolled: 8-line block ×5, first 2 shown]
	v_xor_b32_e32 v99, vcc_hi, v5
	v_xor_b32_e32 v5, vcc_lo, v5
	v_and_b32_e32 v98, v98, v99
	v_and_b32_e32 v99, v97, v5
	v_lshlrev_b32_e32 v5, 24, v96
	v_cmp_gt_i64_e32 vcc, 0, v[4:5]
	v_not_b32_e32 v5, v5
	v_ashrrev_i32_e32 v5, 31, v5
	v_xor_b32_e32 v96, vcc_hi, v5
	v_xor_b32_e32 v5, vcc_lo, v5
	v_and_b32_e32 v97, v98, v96
	v_and_b32_e32 v96, v99, v5
	v_mbcnt_lo_u32_b32 v5, v96, 0
	v_mbcnt_hi_u32_b32 v218, v97, v5
	v_cmp_eq_u32_e32 vcc, 0, v218
	v_cmp_ne_u64_e64 s[36:37], 0, v[96:97]
	s_and_b64 s[38:39], s[36:37], vcc
	; wave barrier
	s_and_saveexec_b64 s[36:37], s[38:39]
	s_cbranch_execz .LBB1251_163
; %bb.162:                              ;   in Loop: Header=BB1251_103 Depth=2
	v_bcnt_u32_b32 v5, v96, 0
	v_bcnt_u32_b32 v5, v97, v5
	s_waitcnt lgkmcnt(0)
	v_add_u32_e32 v5, v216, v5
	ds_write_b32 v217, v5
.LBB1251_163:                           ;   in Loop: Header=BB1251_103 Depth=2
	s_or_b64 exec, exec, s[36:37]
	s_waitcnt vmcnt(2)
	v_cmp_lt_i64_e32 vcc, -1, v[76:77]
	v_cndmask_b32_e32 v5, -1, v133, vcc
	v_ashrrev_i32_e32 v96, 31, v77
	v_xor_b32_e32 v77, v5, v77
	v_xor_b32_e32 v76, v96, v76
	v_cmp_ne_u64_e32 vcc, s[78:79], v[76:77]
	v_cndmask_b32_e32 v97, v133, v77, vcc
	v_cndmask_b32_e32 v96, 0, v76, vcc
	v_lshrrev_b64 v[96:97], s33, v[96:97]
	v_and_b32_e32 v96, s69, v96
	v_mul_u32_u24_e32 v5, 5, v96
	v_add_lshl_u32 v5, v5, v178, 2
	; wave barrier
	v_add_u32_e32 v220, 0x410, v5
	ds_read_b32 v219, v5 offset:1040
	v_and_b32_e32 v5, 1, v96
	v_add_co_u32_e32 v97, vcc, -1, v5
	v_addc_co_u32_e64 v98, s[36:37], 0, -1, vcc
	v_cmp_ne_u32_e32 vcc, 0, v5
	v_xor_b32_e32 v5, vcc_hi, v98
	v_and_b32_e32 v98, exec_hi, v5
	v_lshlrev_b32_e32 v5, 30, v96
	v_xor_b32_e32 v97, vcc_lo, v97
	v_cmp_gt_i64_e32 vcc, 0, v[4:5]
	v_not_b32_e32 v5, v5
	v_ashrrev_i32_e32 v5, 31, v5
	v_and_b32_e32 v97, exec_lo, v97
	v_xor_b32_e32 v99, vcc_hi, v5
	v_xor_b32_e32 v5, vcc_lo, v5
	v_and_b32_e32 v97, v97, v5
	v_lshlrev_b32_e32 v5, 29, v96
	v_cmp_gt_i64_e32 vcc, 0, v[4:5]
	v_not_b32_e32 v5, v5
	v_ashrrev_i32_e32 v5, 31, v5
	v_and_b32_e32 v98, v98, v99
	v_xor_b32_e32 v99, vcc_hi, v5
	v_xor_b32_e32 v5, vcc_lo, v5
	v_and_b32_e32 v97, v97, v5
	v_lshlrev_b32_e32 v5, 28, v96
	v_cmp_gt_i64_e32 vcc, 0, v[4:5]
	v_not_b32_e32 v5, v5
	v_ashrrev_i32_e32 v5, 31, v5
	v_and_b32_e32 v98, v98, v99
	;; [unrolled: 8-line block ×5, first 2 shown]
	v_xor_b32_e32 v99, vcc_hi, v5
	v_xor_b32_e32 v5, vcc_lo, v5
	v_and_b32_e32 v98, v98, v99
	v_and_b32_e32 v99, v97, v5
	v_lshlrev_b32_e32 v5, 24, v96
	v_cmp_gt_i64_e32 vcc, 0, v[4:5]
	v_not_b32_e32 v5, v5
	v_ashrrev_i32_e32 v5, 31, v5
	v_xor_b32_e32 v96, vcc_hi, v5
	v_xor_b32_e32 v5, vcc_lo, v5
	v_and_b32_e32 v97, v98, v96
	v_and_b32_e32 v96, v99, v5
	v_mbcnt_lo_u32_b32 v5, v96, 0
	v_mbcnt_hi_u32_b32 v221, v97, v5
	v_cmp_eq_u32_e32 vcc, 0, v221
	v_cmp_ne_u64_e64 s[36:37], 0, v[96:97]
	s_and_b64 s[38:39], s[36:37], vcc
	; wave barrier
	s_and_saveexec_b64 s[36:37], s[38:39]
	s_cbranch_execz .LBB1251_165
; %bb.164:                              ;   in Loop: Header=BB1251_103 Depth=2
	v_bcnt_u32_b32 v5, v96, 0
	v_bcnt_u32_b32 v5, v97, v5
	s_waitcnt lgkmcnt(0)
	v_add_u32_e32 v5, v219, v5
	ds_write_b32 v220, v5
.LBB1251_165:                           ;   in Loop: Header=BB1251_103 Depth=2
	s_or_b64 exec, exec, s[36:37]
	s_waitcnt vmcnt(1)
	v_cmp_lt_i64_e32 vcc, -1, v[72:73]
	v_cndmask_b32_e32 v5, -1, v133, vcc
	v_ashrrev_i32_e32 v96, 31, v73
	v_xor_b32_e32 v73, v5, v73
	v_xor_b32_e32 v72, v96, v72
	v_cmp_ne_u64_e32 vcc, s[78:79], v[72:73]
	v_cndmask_b32_e32 v97, v133, v73, vcc
	v_cndmask_b32_e32 v96, 0, v72, vcc
	v_lshrrev_b64 v[96:97], s33, v[96:97]
	v_and_b32_e32 v96, s69, v96
	v_mul_u32_u24_e32 v5, 5, v96
	v_add_lshl_u32 v5, v5, v178, 2
	; wave barrier
	v_add_u32_e32 v223, 0x410, v5
	ds_read_b32 v222, v5 offset:1040
	v_and_b32_e32 v5, 1, v96
	v_add_co_u32_e32 v97, vcc, -1, v5
	v_addc_co_u32_e64 v98, s[36:37], 0, -1, vcc
	v_cmp_ne_u32_e32 vcc, 0, v5
	v_xor_b32_e32 v5, vcc_hi, v98
	v_and_b32_e32 v98, exec_hi, v5
	v_lshlrev_b32_e32 v5, 30, v96
	v_xor_b32_e32 v97, vcc_lo, v97
	v_cmp_gt_i64_e32 vcc, 0, v[4:5]
	v_not_b32_e32 v5, v5
	v_ashrrev_i32_e32 v5, 31, v5
	v_and_b32_e32 v97, exec_lo, v97
	v_xor_b32_e32 v99, vcc_hi, v5
	v_xor_b32_e32 v5, vcc_lo, v5
	v_and_b32_e32 v97, v97, v5
	v_lshlrev_b32_e32 v5, 29, v96
	v_cmp_gt_i64_e32 vcc, 0, v[4:5]
	v_not_b32_e32 v5, v5
	v_ashrrev_i32_e32 v5, 31, v5
	v_and_b32_e32 v98, v98, v99
	v_xor_b32_e32 v99, vcc_hi, v5
	v_xor_b32_e32 v5, vcc_lo, v5
	v_and_b32_e32 v97, v97, v5
	v_lshlrev_b32_e32 v5, 28, v96
	v_cmp_gt_i64_e32 vcc, 0, v[4:5]
	v_not_b32_e32 v5, v5
	v_ashrrev_i32_e32 v5, 31, v5
	v_and_b32_e32 v98, v98, v99
	;; [unrolled: 8-line block ×5, first 2 shown]
	v_xor_b32_e32 v99, vcc_hi, v5
	v_xor_b32_e32 v5, vcc_lo, v5
	v_and_b32_e32 v98, v98, v99
	v_and_b32_e32 v99, v97, v5
	v_lshlrev_b32_e32 v5, 24, v96
	v_cmp_gt_i64_e32 vcc, 0, v[4:5]
	v_not_b32_e32 v5, v5
	v_ashrrev_i32_e32 v5, 31, v5
	v_xor_b32_e32 v96, vcc_hi, v5
	v_xor_b32_e32 v5, vcc_lo, v5
	v_and_b32_e32 v97, v98, v96
	v_and_b32_e32 v96, v99, v5
	v_mbcnt_lo_u32_b32 v5, v96, 0
	v_mbcnt_hi_u32_b32 v224, v97, v5
	v_cmp_eq_u32_e32 vcc, 0, v224
	v_cmp_ne_u64_e64 s[36:37], 0, v[96:97]
	s_and_b64 s[38:39], s[36:37], vcc
	; wave barrier
	s_and_saveexec_b64 s[36:37], s[38:39]
	s_cbranch_execz .LBB1251_167
; %bb.166:                              ;   in Loop: Header=BB1251_103 Depth=2
	v_bcnt_u32_b32 v5, v96, 0
	v_bcnt_u32_b32 v5, v97, v5
	s_waitcnt lgkmcnt(0)
	v_add_u32_e32 v5, v222, v5
	ds_write_b32 v223, v5
.LBB1251_167:                           ;   in Loop: Header=BB1251_103 Depth=2
	s_or_b64 exec, exec, s[36:37]
	s_waitcnt vmcnt(0)
	v_cmp_lt_i64_e32 vcc, -1, v[68:69]
	v_cndmask_b32_e32 v5, -1, v133, vcc
	v_ashrrev_i32_e32 v96, 31, v69
	v_xor_b32_e32 v69, v5, v69
	v_xor_b32_e32 v68, v96, v68
	v_cmp_ne_u64_e32 vcc, s[78:79], v[68:69]
	v_cndmask_b32_e32 v97, v133, v69, vcc
	v_cndmask_b32_e32 v96, 0, v68, vcc
	v_lshrrev_b64 v[96:97], s33, v[96:97]
	v_and_b32_e32 v96, s69, v96
	v_mul_u32_u24_e32 v5, 5, v96
	v_add_lshl_u32 v5, v5, v178, 2
	; wave barrier
	v_add_u32_e32 v226, 0x410, v5
	ds_read_b32 v225, v5 offset:1040
	v_and_b32_e32 v5, 1, v96
	v_add_co_u32_e32 v97, vcc, -1, v5
	v_addc_co_u32_e64 v98, s[36:37], 0, -1, vcc
	v_cmp_ne_u32_e32 vcc, 0, v5
	v_xor_b32_e32 v5, vcc_hi, v98
	v_and_b32_e32 v98, exec_hi, v5
	v_lshlrev_b32_e32 v5, 30, v96
	v_xor_b32_e32 v97, vcc_lo, v97
	v_cmp_gt_i64_e32 vcc, 0, v[4:5]
	v_not_b32_e32 v5, v5
	v_ashrrev_i32_e32 v5, 31, v5
	v_and_b32_e32 v97, exec_lo, v97
	v_xor_b32_e32 v99, vcc_hi, v5
	v_xor_b32_e32 v5, vcc_lo, v5
	v_and_b32_e32 v97, v97, v5
	v_lshlrev_b32_e32 v5, 29, v96
	v_cmp_gt_i64_e32 vcc, 0, v[4:5]
	v_not_b32_e32 v5, v5
	v_ashrrev_i32_e32 v5, 31, v5
	v_and_b32_e32 v98, v98, v99
	v_xor_b32_e32 v99, vcc_hi, v5
	v_xor_b32_e32 v5, vcc_lo, v5
	v_and_b32_e32 v97, v97, v5
	v_lshlrev_b32_e32 v5, 28, v96
	v_cmp_gt_i64_e32 vcc, 0, v[4:5]
	v_not_b32_e32 v5, v5
	v_ashrrev_i32_e32 v5, 31, v5
	v_and_b32_e32 v98, v98, v99
	;; [unrolled: 8-line block ×5, first 2 shown]
	v_xor_b32_e32 v99, vcc_hi, v5
	v_xor_b32_e32 v5, vcc_lo, v5
	v_and_b32_e32 v98, v98, v99
	v_and_b32_e32 v99, v97, v5
	v_lshlrev_b32_e32 v5, 24, v96
	v_cmp_gt_i64_e32 vcc, 0, v[4:5]
	v_not_b32_e32 v5, v5
	v_ashrrev_i32_e32 v5, 31, v5
	v_xor_b32_e32 v96, vcc_hi, v5
	v_xor_b32_e32 v5, vcc_lo, v5
	v_and_b32_e32 v97, v98, v96
	v_and_b32_e32 v96, v99, v5
	v_mbcnt_lo_u32_b32 v5, v96, 0
	v_mbcnt_hi_u32_b32 v227, v97, v5
	v_cmp_eq_u32_e32 vcc, 0, v227
	v_cmp_ne_u64_e64 s[36:37], 0, v[96:97]
	s_and_b64 s[38:39], s[36:37], vcc
	; wave barrier
	s_and_saveexec_b64 s[36:37], s[38:39]
	s_cbranch_execz .LBB1251_169
; %bb.168:                              ;   in Loop: Header=BB1251_103 Depth=2
	v_bcnt_u32_b32 v5, v96, 0
	v_bcnt_u32_b32 v5, v97, v5
	s_waitcnt lgkmcnt(0)
	v_add_u32_e32 v5, v225, v5
	ds_write_b32 v226, v5
.LBB1251_169:                           ;   in Loop: Header=BB1251_103 Depth=2
	s_or_b64 exec, exec, s[36:37]
	v_cmp_lt_i64_e32 vcc, -1, v[70:71]
	v_cndmask_b32_e32 v5, -1, v133, vcc
	v_ashrrev_i32_e32 v96, 31, v71
	v_xor_b32_e32 v71, v5, v71
	v_xor_b32_e32 v70, v96, v70
	v_cmp_ne_u64_e32 vcc, s[78:79], v[70:71]
	v_cndmask_b32_e32 v97, v133, v71, vcc
	v_cndmask_b32_e32 v96, 0, v70, vcc
	v_lshrrev_b64 v[96:97], s33, v[96:97]
	v_and_b32_e32 v96, s69, v96
	v_mul_u32_u24_e32 v5, 5, v96
	v_add_lshl_u32 v5, v5, v178, 2
	; wave barrier
	v_add_u32_e32 v229, 0x410, v5
	ds_read_b32 v228, v5 offset:1040
	v_and_b32_e32 v5, 1, v96
	v_add_co_u32_e32 v97, vcc, -1, v5
	v_addc_co_u32_e64 v98, s[36:37], 0, -1, vcc
	v_cmp_ne_u32_e32 vcc, 0, v5
	v_xor_b32_e32 v5, vcc_hi, v98
	v_and_b32_e32 v98, exec_hi, v5
	v_lshlrev_b32_e32 v5, 30, v96
	v_xor_b32_e32 v97, vcc_lo, v97
	v_cmp_gt_i64_e32 vcc, 0, v[4:5]
	v_not_b32_e32 v5, v5
	v_ashrrev_i32_e32 v5, 31, v5
	v_and_b32_e32 v97, exec_lo, v97
	v_xor_b32_e32 v99, vcc_hi, v5
	v_xor_b32_e32 v5, vcc_lo, v5
	v_and_b32_e32 v97, v97, v5
	v_lshlrev_b32_e32 v5, 29, v96
	v_cmp_gt_i64_e32 vcc, 0, v[4:5]
	v_not_b32_e32 v5, v5
	v_ashrrev_i32_e32 v5, 31, v5
	v_and_b32_e32 v98, v98, v99
	v_xor_b32_e32 v99, vcc_hi, v5
	v_xor_b32_e32 v5, vcc_lo, v5
	v_and_b32_e32 v97, v97, v5
	v_lshlrev_b32_e32 v5, 28, v96
	v_cmp_gt_i64_e32 vcc, 0, v[4:5]
	v_not_b32_e32 v5, v5
	v_ashrrev_i32_e32 v5, 31, v5
	v_and_b32_e32 v98, v98, v99
	;; [unrolled: 8-line block ×5, first 2 shown]
	v_xor_b32_e32 v99, vcc_hi, v5
	v_xor_b32_e32 v5, vcc_lo, v5
	v_and_b32_e32 v98, v98, v99
	v_and_b32_e32 v99, v97, v5
	v_lshlrev_b32_e32 v5, 24, v96
	v_cmp_gt_i64_e32 vcc, 0, v[4:5]
	v_not_b32_e32 v5, v5
	v_ashrrev_i32_e32 v5, 31, v5
	v_xor_b32_e32 v96, vcc_hi, v5
	v_xor_b32_e32 v5, vcc_lo, v5
	v_and_b32_e32 v97, v98, v96
	v_and_b32_e32 v96, v99, v5
	v_mbcnt_lo_u32_b32 v5, v96, 0
	v_mbcnt_hi_u32_b32 v230, v97, v5
	v_cmp_eq_u32_e32 vcc, 0, v230
	v_cmp_ne_u64_e64 s[36:37], 0, v[96:97]
	s_and_b64 s[38:39], s[36:37], vcc
	; wave barrier
	s_and_saveexec_b64 s[36:37], s[38:39]
	s_cbranch_execz .LBB1251_171
; %bb.170:                              ;   in Loop: Header=BB1251_103 Depth=2
	v_bcnt_u32_b32 v5, v96, 0
	v_bcnt_u32_b32 v5, v97, v5
	s_waitcnt lgkmcnt(0)
	v_add_u32_e32 v5, v228, v5
	ds_write_b32 v229, v5
.LBB1251_171:                           ;   in Loop: Header=BB1251_103 Depth=2
	s_or_b64 exec, exec, s[36:37]
	; wave barrier
	s_waitcnt lgkmcnt(0)
	s_barrier
	ds_read_b32 v5, v27 offset:1040
	ds_read2_b32 v[98:99], v31 offset0:1 offset1:2
	ds_read2_b32 v[96:97], v31 offset0:3 offset1:4
	s_waitcnt lgkmcnt(1)
	v_add3_u32 v231, v98, v5, v99
	s_waitcnt lgkmcnt(0)
	v_add3_u32 v97, v231, v96, v97
	s_nop 1
	v_mov_b32_dpp v231, v97 row_shr:1 row_mask:0xf bank_mask:0xf
	v_cndmask_b32_e64 v231, v231, 0, s[16:17]
	v_add_u32_e32 v97, v231, v97
	s_nop 1
	v_mov_b32_dpp v231, v97 row_shr:2 row_mask:0xf bank_mask:0xf
	v_cndmask_b32_e64 v231, 0, v231, s[18:19]
	v_add_u32_e32 v97, v97, v231
	;; [unrolled: 4-line block ×4, first 2 shown]
	s_nop 1
	v_mov_b32_dpp v231, v97 row_bcast:15 row_mask:0xf bank_mask:0xf
	v_cndmask_b32_e64 v231, v231, 0, s[24:25]
	v_add_u32_e32 v97, v97, v231
	s_nop 1
	v_mov_b32_dpp v231, v97 row_bcast:31 row_mask:0xf bank_mask:0xf
	v_cndmask_b32_e64 v231, 0, v231, s[26:27]
	v_add_u32_e32 v97, v97, v231
	s_and_saveexec_b64 s[36:37], s[6:7]
	s_cbranch_execz .LBB1251_173
; %bb.172:                              ;   in Loop: Header=BB1251_103 Depth=2
	ds_write_b32 v15, v97 offset:1024
.LBB1251_173:                           ;   in Loop: Header=BB1251_103 Depth=2
	s_or_b64 exec, exec, s[36:37]
	s_waitcnt lgkmcnt(0)
	s_barrier
	s_and_saveexec_b64 s[36:37], s[8:9]
	s_cbranch_execz .LBB1251_175
; %bb.174:                              ;   in Loop: Header=BB1251_103 Depth=2
	ds_read_b32 v231, v33 offset:1024
	s_waitcnt lgkmcnt(0)
	s_nop 0
	v_mov_b32_dpp v232, v231 row_shr:1 row_mask:0xf bank_mask:0xf
	v_cndmask_b32_e64 v232, v232, 0, s[30:31]
	v_add_u32_e32 v231, v232, v231
	s_nop 1
	v_mov_b32_dpp v232, v231 row_shr:2 row_mask:0xf bank_mask:0xf
	v_cndmask_b32_e64 v232, 0, v232, s[34:35]
	v_add_u32_e32 v231, v231, v232
	ds_write_b32 v33, v231 offset:1024
.LBB1251_175:                           ;   in Loop: Header=BB1251_103 Depth=2
	s_or_b64 exec, exec, s[36:37]
	v_mov_b32_e32 v231, 0
	s_waitcnt lgkmcnt(0)
	s_barrier
	s_and_saveexec_b64 s[36:37], s[10:11]
	s_cbranch_execz .LBB1251_177
; %bb.176:                              ;   in Loop: Header=BB1251_103 Depth=2
	ds_read_b32 v231, v15 offset:1020
.LBB1251_177:                           ;   in Loop: Header=BB1251_103 Depth=2
	s_or_b64 exec, exec, s[36:37]
	s_waitcnt lgkmcnt(0)
	v_add_u32_e32 v97, v231, v97
	ds_bpermute_b32 v97, v159, v97
	s_waitcnt lgkmcnt(0)
	v_cndmask_b32_e64 v97, v97, v231, s[28:29]
	v_cndmask_b32_e64 v97, v97, 0, s[12:13]
	v_add_u32_e32 v5, v97, v5
	ds_write_b32 v27, v97 offset:1040
	v_add_u32_e32 v97, v5, v98
	v_add_u32_e32 v98, v97, v99
	ds_write2_b32 v31, v5, v97 offset0:1 offset1:2
	v_add_u32_e32 v5, v98, v96
	ds_write2_b32 v31, v98, v5 offset0:3 offset1:4
	s_waitcnt lgkmcnt(0)
	s_barrier
	ds_read_b32 v97, v187
	ds_read_b32 v235, v190
	;; [unrolled: 1-line block ×16, first 2 shown]
	ds_read_b32 v184, v27 offset:1040
	v_mov_b32_e32 v5, 0x1000
	s_and_saveexec_b64 s[36:37], s[14:15]
	s_cbranch_execz .LBB1251_179
; %bb.178:                              ;   in Loop: Header=BB1251_103 Depth=2
	ds_read_b32 v5, v27 offset:1060
.LBB1251_179:                           ;   in Loop: Header=BB1251_103 Depth=2
	s_or_b64 exec, exec, s[36:37]
	s_waitcnt lgkmcnt(0)
	s_barrier
	s_and_saveexec_b64 s[36:37], s[4:5]
	s_cbranch_execz .LBB1251_181
; %bb.180:                              ;   in Loop: Header=BB1251_103 Depth=2
	ds_read_b32 v208, v3
	s_waitcnt lgkmcnt(0)
	v_sub_u32_e32 v184, v208, v184
	ds_write_b32 v3, v184
.LBB1251_181:                           ;   in Loop: Header=BB1251_103 Depth=2
	s_or_b64 exec, exec, s[36:37]
	v_add_u32_e32 v186, v188, v186
	v_add_u32_e32 v189, v191, v189
	v_add_lshl_u32 v96, v96, v185, 3
	v_add_lshl_u32 v97, v186, v97, 3
	v_add_u32_e32 v198, v200, v198
	v_add_u32_e32 v195, v197, v195
	;; [unrolled: 1-line block ×3, first 2 shown]
	ds_write_b64 v96, v[64:65] offset:1024
	ds_write_b64 v97, v[66:67] offset:1024
	v_add_lshl_u32 v66, v189, v235, 3
	v_add_u32_e32 v213, v215, v213
	v_add_u32_e32 v210, v212, v210
	;; [unrolled: 1-line block ×5, first 2 shown]
	ds_write_b64 v66, v[74:75] offset:1024
	v_add_lshl_u32 v67, v192, v234, 3
	v_add_lshl_u32 v74, v195, v233, 3
	;; [unrolled: 1-line block ×3, first 2 shown]
	v_add_u32_e32 v216, v218, v216
	ds_write_b64 v67, v[78:79] offset:1024
	ds_write_b64 v74, v[82:83] offset:1024
	;; [unrolled: 1-line block ×3, first 2 shown]
	v_add_lshl_u32 v78, v201, v231, 3
	v_add_lshl_u32 v79, v204, v205, 3
	;; [unrolled: 1-line block ×5, first 2 shown]
	v_add_u32_e32 v214, v221, v219
	ds_write_b64 v78, v[90:91] offset:1024
	ds_write_b64 v79, v[94:95] offset:1024
	;; [unrolled: 1-line block ×5, first 2 shown]
	v_add_lshl_u32 v84, v216, v193, 3
	v_add_u32_e32 v211, v224, v222
	ds_write_b64 v84, v[80:81] offset:1024
	v_add_lshl_u32 v80, v214, v190, 3
	v_add_u32_e32 v208, v227, v225
	ds_write_b64 v80, v[76:77] offset:1024
	;; [unrolled: 3-line block ×3, first 2 shown]
	v_add_lshl_u32 v72, v208, v99, 3
	ds_write_b64 v72, v[68:69] offset:1024
	v_add_lshl_u32 v68, v184, v98, 3
	v_cmp_lt_u32_e64 s[36:37], v2, v183
	ds_write_b64 v68, v[70:71] offset:1024
	s_waitcnt lgkmcnt(0)
	s_barrier
	s_and_saveexec_b64 s[40:41], s[36:37]
	s_cbranch_execz .LBB1251_197
; %bb.182:                              ;   in Loop: Header=BB1251_103 Depth=2
	v_add_u32_e32 v64, v33, v3
	ds_read_b64 v[64:65], v64 offset:1024
	v_mov_b32_e32 v71, v4
	s_waitcnt lgkmcnt(0)
	v_cmp_ne_u64_e32 vcc, s[78:79], v[64:65]
	v_cndmask_b32_e32 v89, v133, v65, vcc
	v_cndmask_b32_e32 v88, 0, v64, vcc
	v_lshrrev_b64 v[88:89], s33, v[88:89]
	v_and_b32_e32 v70, s69, v88
	v_lshlrev_b32_e32 v70, 2, v70
	ds_read_b32 v70, v70
	v_cmp_lt_i64_e64 s[38:39], -1, v[64:65]
	v_cndmask_b32_e64 v69, v133, -1, s[38:39]
	v_ashrrev_i32_e32 v73, 31, v65
	v_not_b32_e32 v73, v73
	s_waitcnt lgkmcnt(0)
	v_add_u32_e32 v70, v70, v2
	v_lshlrev_b64 v[70:71], 3, v[70:71]
	v_xor_b32_e32 v65, v69, v65
	v_mov_b32_e32 v69, s75
	v_add_co_u32_e32 v70, vcc, s74, v70
	v_xor_b32_e32 v64, v73, v64
	v_addc_co_u32_e32 v71, vcc, v69, v71, vcc
	global_store_dwordx2 v[70:71], v[64:65], off
	s_or_b64 exec, exec, s[40:41]
	v_cmp_lt_u32_e64 s[38:39], v7, v183
	s_and_saveexec_b64 s[42:43], s[38:39]
	s_cbranch_execnz .LBB1251_198
.LBB1251_183:                           ;   in Loop: Header=BB1251_103 Depth=2
	s_or_b64 exec, exec, s[42:43]
	v_cmp_lt_u32_e64 s[40:41], v6, v183
	s_and_saveexec_b64 s[44:45], s[40:41]
	s_cbranch_execz .LBB1251_199
.LBB1251_184:                           ;   in Loop: Header=BB1251_103 Depth=2
	ds_read_b64 v[64:65], v104 offset:4096
	v_mov_b32_e32 v71, v4
	s_waitcnt lgkmcnt(0)
	v_cmp_ne_u64_e32 vcc, s[78:79], v[64:65]
	v_cndmask_b32_e32 v89, v133, v65, vcc
	v_cndmask_b32_e32 v88, 0, v64, vcc
	v_lshrrev_b64 v[88:89], s33, v[88:89]
	v_and_b32_e32 v70, s69, v88
	v_lshlrev_b32_e32 v70, 2, v70
	ds_read_b32 v70, v70
	v_cmp_lt_i64_e64 s[42:43], -1, v[64:65]
	v_cndmask_b32_e64 v69, v133, -1, s[42:43]
	v_ashrrev_i32_e32 v73, 31, v65
	v_not_b32_e32 v73, v73
	s_waitcnt lgkmcnt(0)
	v_add_u32_e32 v70, v70, v6
	v_lshlrev_b64 v[70:71], 3, v[70:71]
	v_xor_b32_e32 v65, v69, v65
	v_mov_b32_e32 v69, s75
	v_add_co_u32_e32 v70, vcc, s74, v70
	v_xor_b32_e32 v64, v73, v64
	v_addc_co_u32_e32 v71, vcc, v69, v71, vcc
	global_store_dwordx2 v[70:71], v[64:65], off
	s_or_b64 exec, exec, s[44:45]
	v_cmp_lt_u32_e64 s[42:43], v8, v183
	s_and_saveexec_b64 s[46:47], s[42:43]
	s_cbranch_execnz .LBB1251_200
.LBB1251_185:                           ;   in Loop: Header=BB1251_103 Depth=2
	s_or_b64 exec, exec, s[46:47]
	v_cmp_lt_u32_e64 s[44:45], v10, v183
	s_and_saveexec_b64 s[48:49], s[44:45]
	s_cbranch_execz .LBB1251_201
.LBB1251_186:                           ;   in Loop: Header=BB1251_103 Depth=2
	ds_read_b64 v[64:65], v104 offset:8192
	v_mov_b32_e32 v71, v4
	s_waitcnt lgkmcnt(0)
	v_cmp_ne_u64_e32 vcc, s[78:79], v[64:65]
	v_cndmask_b32_e32 v89, v133, v65, vcc
	v_cndmask_b32_e32 v88, 0, v64, vcc
	v_lshrrev_b64 v[88:89], s33, v[88:89]
	v_and_b32_e32 v70, s69, v88
	v_lshlrev_b32_e32 v70, 2, v70
	ds_read_b32 v70, v70
	v_cmp_lt_i64_e64 s[46:47], -1, v[64:65]
	v_cndmask_b32_e64 v69, v133, -1, s[46:47]
	v_ashrrev_i32_e32 v73, 31, v65
	v_not_b32_e32 v73, v73
	s_waitcnt lgkmcnt(0)
	v_add_u32_e32 v70, v70, v10
	v_lshlrev_b64 v[70:71], 3, v[70:71]
	v_xor_b32_e32 v65, v69, v65
	v_mov_b32_e32 v69, s75
	v_add_co_u32_e32 v70, vcc, s74, v70
	v_xor_b32_e32 v64, v73, v64
	v_addc_co_u32_e32 v71, vcc, v69, v71, vcc
	global_store_dwordx2 v[70:71], v[64:65], off
	s_or_b64 exec, exec, s[48:49]
	v_cmp_lt_u32_e64 s[46:47], v12, v183
	s_and_saveexec_b64 s[50:51], s[46:47]
	s_cbranch_execnz .LBB1251_202
.LBB1251_187:                           ;   in Loop: Header=BB1251_103 Depth=2
	s_or_b64 exec, exec, s[50:51]
	v_cmp_lt_u32_e64 s[48:49], v14, v183
	s_and_saveexec_b64 s[52:53], s[48:49]
	s_cbranch_execz .LBB1251_203
.LBB1251_188:                           ;   in Loop: Header=BB1251_103 Depth=2
	ds_read_b64 v[64:65], v104 offset:12288
	v_mov_b32_e32 v71, v4
	s_waitcnt lgkmcnt(0)
	v_cmp_ne_u64_e32 vcc, s[78:79], v[64:65]
	v_cndmask_b32_e32 v89, v133, v65, vcc
	v_cndmask_b32_e32 v88, 0, v64, vcc
	v_lshrrev_b64 v[88:89], s33, v[88:89]
	v_and_b32_e32 v70, s69, v88
	v_lshlrev_b32_e32 v70, 2, v70
	ds_read_b32 v70, v70
	v_cmp_lt_i64_e64 s[50:51], -1, v[64:65]
	v_cndmask_b32_e64 v69, v133, -1, s[50:51]
	v_ashrrev_i32_e32 v73, 31, v65
	v_not_b32_e32 v73, v73
	s_waitcnt lgkmcnt(0)
	v_add_u32_e32 v70, v70, v14
	v_lshlrev_b64 v[70:71], 3, v[70:71]
	v_xor_b32_e32 v65, v69, v65
	v_mov_b32_e32 v69, s75
	v_add_co_u32_e32 v70, vcc, s74, v70
	v_xor_b32_e32 v64, v73, v64
	v_addc_co_u32_e32 v71, vcc, v69, v71, vcc
	global_store_dwordx2 v[70:71], v[64:65], off
	s_or_b64 exec, exec, s[52:53]
	v_cmp_lt_u32_e64 s[50:51], v16, v183
	s_and_saveexec_b64 s[54:55], s[50:51]
	s_cbranch_execnz .LBB1251_204
.LBB1251_189:                           ;   in Loop: Header=BB1251_103 Depth=2
	s_or_b64 exec, exec, s[54:55]
	v_cmp_lt_u32_e64 s[52:53], v18, v183
	s_and_saveexec_b64 s[56:57], s[52:53]
	s_cbranch_execz .LBB1251_205
.LBB1251_190:                           ;   in Loop: Header=BB1251_103 Depth=2
	ds_read_b64 v[64:65], v104 offset:16384
	v_mov_b32_e32 v71, v4
	s_waitcnt lgkmcnt(0)
	v_cmp_ne_u64_e32 vcc, s[78:79], v[64:65]
	v_cndmask_b32_e32 v89, v133, v65, vcc
	v_cndmask_b32_e32 v88, 0, v64, vcc
	v_lshrrev_b64 v[88:89], s33, v[88:89]
	v_and_b32_e32 v70, s69, v88
	v_lshlrev_b32_e32 v70, 2, v70
	ds_read_b32 v70, v70
	v_cmp_lt_i64_e64 s[54:55], -1, v[64:65]
	v_cndmask_b32_e64 v69, v133, -1, s[54:55]
	v_ashrrev_i32_e32 v73, 31, v65
	v_not_b32_e32 v73, v73
	s_waitcnt lgkmcnt(0)
	v_add_u32_e32 v70, v70, v18
	v_lshlrev_b64 v[70:71], 3, v[70:71]
	v_xor_b32_e32 v65, v69, v65
	v_mov_b32_e32 v69, s75
	v_add_co_u32_e32 v70, vcc, s74, v70
	v_xor_b32_e32 v64, v73, v64
	v_addc_co_u32_e32 v71, vcc, v69, v71, vcc
	global_store_dwordx2 v[70:71], v[64:65], off
	s_or_b64 exec, exec, s[56:57]
	v_cmp_lt_u32_e64 s[54:55], v20, v183
	s_and_saveexec_b64 s[58:59], s[54:55]
	s_cbranch_execnz .LBB1251_206
.LBB1251_191:                           ;   in Loop: Header=BB1251_103 Depth=2
	s_or_b64 exec, exec, s[58:59]
	v_cmp_lt_u32_e64 s[56:57], v22, v183
	s_and_saveexec_b64 s[60:61], s[56:57]
	s_cbranch_execz .LBB1251_207
.LBB1251_192:                           ;   in Loop: Header=BB1251_103 Depth=2
	ds_read_b64 v[64:65], v104 offset:20480
	v_mov_b32_e32 v71, v4
	s_waitcnt lgkmcnt(0)
	v_cmp_ne_u64_e32 vcc, s[78:79], v[64:65]
	v_cndmask_b32_e32 v89, v133, v65, vcc
	v_cndmask_b32_e32 v88, 0, v64, vcc
	v_lshrrev_b64 v[88:89], s33, v[88:89]
	v_and_b32_e32 v70, s69, v88
	v_lshlrev_b32_e32 v70, 2, v70
	ds_read_b32 v70, v70
	v_cmp_lt_i64_e64 s[58:59], -1, v[64:65]
	v_cndmask_b32_e64 v69, v133, -1, s[58:59]
	v_ashrrev_i32_e32 v73, 31, v65
	v_not_b32_e32 v73, v73
	s_waitcnt lgkmcnt(0)
	v_add_u32_e32 v70, v70, v22
	v_lshlrev_b64 v[70:71], 3, v[70:71]
	v_xor_b32_e32 v65, v69, v65
	v_mov_b32_e32 v69, s75
	v_add_co_u32_e32 v70, vcc, s74, v70
	v_xor_b32_e32 v64, v73, v64
	v_addc_co_u32_e32 v71, vcc, v69, v71, vcc
	global_store_dwordx2 v[70:71], v[64:65], off
	s_or_b64 exec, exec, s[60:61]
	v_cmp_lt_u32_e64 s[58:59], v24, v183
	s_and_saveexec_b64 s[62:63], s[58:59]
	s_cbranch_execnz .LBB1251_208
.LBB1251_193:                           ;   in Loop: Header=BB1251_103 Depth=2
	s_or_b64 exec, exec, s[62:63]
	v_cmp_lt_u32_e64 s[60:61], v26, v183
	s_and_saveexec_b64 s[64:65], s[60:61]
	s_cbranch_execz .LBB1251_209
.LBB1251_194:                           ;   in Loop: Header=BB1251_103 Depth=2
	ds_read_b64 v[64:65], v104 offset:24576
	v_mov_b32_e32 v71, v4
	s_waitcnt lgkmcnt(0)
	v_cmp_ne_u64_e32 vcc, s[78:79], v[64:65]
	v_cndmask_b32_e32 v89, v133, v65, vcc
	v_cndmask_b32_e32 v88, 0, v64, vcc
	v_lshrrev_b64 v[88:89], s33, v[88:89]
	v_and_b32_e32 v70, s69, v88
	v_lshlrev_b32_e32 v70, 2, v70
	ds_read_b32 v70, v70
	v_cmp_lt_i64_e64 s[62:63], -1, v[64:65]
	v_cndmask_b32_e64 v69, v133, -1, s[62:63]
	v_ashrrev_i32_e32 v73, 31, v65
	v_not_b32_e32 v73, v73
	s_waitcnt lgkmcnt(0)
	v_add_u32_e32 v70, v70, v26
	v_lshlrev_b64 v[70:71], 3, v[70:71]
	v_xor_b32_e32 v65, v69, v65
	v_mov_b32_e32 v69, s75
	v_add_co_u32_e32 v70, vcc, s74, v70
	v_xor_b32_e32 v64, v73, v64
	v_addc_co_u32_e32 v71, vcc, v69, v71, vcc
	global_store_dwordx2 v[70:71], v[64:65], off
	s_or_b64 exec, exec, s[64:65]
	v_cmp_lt_u32_e64 s[62:63], v28, v183
	s_and_saveexec_b64 s[66:67], s[62:63]
	s_cbranch_execnz .LBB1251_210
.LBB1251_195:                           ;   in Loop: Header=BB1251_103 Depth=2
	s_or_b64 exec, exec, s[66:67]
	v_cmp_lt_u32_e64 s[64:65], v30, v183
	s_and_saveexec_b64 s[92:93], s[64:65]
	s_cbranch_execz .LBB1251_211
.LBB1251_196:                           ;   in Loop: Header=BB1251_103 Depth=2
	ds_read_b64 v[64:65], v104 offset:28672
	v_mov_b32_e32 v71, v4
	s_waitcnt lgkmcnt(0)
	v_cmp_ne_u64_e32 vcc, s[78:79], v[64:65]
	v_cndmask_b32_e32 v89, v133, v65, vcc
	v_cndmask_b32_e32 v88, 0, v64, vcc
	v_lshrrev_b64 v[88:89], s33, v[88:89]
	v_and_b32_e32 v70, s69, v88
	v_lshlrev_b32_e32 v70, 2, v70
	ds_read_b32 v70, v70
	v_cmp_lt_i64_e64 s[66:67], -1, v[64:65]
	v_cndmask_b32_e64 v69, v133, -1, s[66:67]
	v_ashrrev_i32_e32 v73, 31, v65
	v_not_b32_e32 v73, v73
	s_waitcnt lgkmcnt(0)
	v_add_u32_e32 v70, v70, v30
	v_lshlrev_b64 v[70:71], 3, v[70:71]
	v_xor_b32_e32 v65, v69, v65
	v_mov_b32_e32 v69, s75
	v_add_co_u32_e32 v70, vcc, s74, v70
	v_xor_b32_e32 v64, v73, v64
	v_addc_co_u32_e32 v71, vcc, v69, v71, vcc
	global_store_dwordx2 v[70:71], v[64:65], off
	s_or_b64 exec, exec, s[92:93]
	v_cmp_lt_u32_e64 s[66:67], v32, v183
	s_and_saveexec_b64 s[92:93], s[66:67]
	s_cbranch_execnz .LBB1251_212
	s_branch .LBB1251_213
.LBB1251_197:                           ;   in Loop: Header=BB1251_103 Depth=2
	s_or_b64 exec, exec, s[40:41]
	v_cmp_lt_u32_e64 s[38:39], v7, v183
	s_and_saveexec_b64 s[42:43], s[38:39]
	s_cbranch_execz .LBB1251_183
.LBB1251_198:                           ;   in Loop: Header=BB1251_103 Depth=2
	ds_read_b64 v[64:65], v104 offset:2048
	v_mov_b32_e32 v71, v4
	s_waitcnt lgkmcnt(0)
	v_cmp_ne_u64_e32 vcc, s[78:79], v[64:65]
	v_cndmask_b32_e32 v89, v133, v65, vcc
	v_cndmask_b32_e32 v88, 0, v64, vcc
	v_lshrrev_b64 v[88:89], s33, v[88:89]
	v_and_b32_e32 v70, s69, v88
	v_lshlrev_b32_e32 v70, 2, v70
	ds_read_b32 v70, v70
	v_cmp_lt_i64_e64 s[40:41], -1, v[64:65]
	v_cndmask_b32_e64 v69, v133, -1, s[40:41]
	v_ashrrev_i32_e32 v73, 31, v65
	v_not_b32_e32 v73, v73
	s_waitcnt lgkmcnt(0)
	v_add_u32_e32 v70, v70, v7
	v_lshlrev_b64 v[70:71], 3, v[70:71]
	v_xor_b32_e32 v65, v69, v65
	v_mov_b32_e32 v69, s75
	v_add_co_u32_e32 v70, vcc, s74, v70
	v_xor_b32_e32 v64, v73, v64
	v_addc_co_u32_e32 v71, vcc, v69, v71, vcc
	global_store_dwordx2 v[70:71], v[64:65], off
	s_or_b64 exec, exec, s[42:43]
	v_cmp_lt_u32_e64 s[40:41], v6, v183
	s_and_saveexec_b64 s[44:45], s[40:41]
	s_cbranch_execnz .LBB1251_184
.LBB1251_199:                           ;   in Loop: Header=BB1251_103 Depth=2
	s_or_b64 exec, exec, s[44:45]
	v_cmp_lt_u32_e64 s[42:43], v8, v183
	s_and_saveexec_b64 s[46:47], s[42:43]
	s_cbranch_execz .LBB1251_185
.LBB1251_200:                           ;   in Loop: Header=BB1251_103 Depth=2
	ds_read_b64 v[64:65], v104 offset:6144
	v_mov_b32_e32 v71, v4
	s_waitcnt lgkmcnt(0)
	v_cmp_ne_u64_e32 vcc, s[78:79], v[64:65]
	v_cndmask_b32_e32 v89, v133, v65, vcc
	v_cndmask_b32_e32 v88, 0, v64, vcc
	v_lshrrev_b64 v[88:89], s33, v[88:89]
	v_and_b32_e32 v70, s69, v88
	v_lshlrev_b32_e32 v70, 2, v70
	ds_read_b32 v70, v70
	v_cmp_lt_i64_e64 s[44:45], -1, v[64:65]
	v_cndmask_b32_e64 v69, v133, -1, s[44:45]
	v_ashrrev_i32_e32 v73, 31, v65
	v_not_b32_e32 v73, v73
	s_waitcnt lgkmcnt(0)
	v_add_u32_e32 v70, v70, v8
	v_lshlrev_b64 v[70:71], 3, v[70:71]
	v_xor_b32_e32 v65, v69, v65
	v_mov_b32_e32 v69, s75
	v_add_co_u32_e32 v70, vcc, s74, v70
	v_xor_b32_e32 v64, v73, v64
	v_addc_co_u32_e32 v71, vcc, v69, v71, vcc
	global_store_dwordx2 v[70:71], v[64:65], off
	s_or_b64 exec, exec, s[46:47]
	v_cmp_lt_u32_e64 s[44:45], v10, v183
	s_and_saveexec_b64 s[48:49], s[44:45]
	s_cbranch_execnz .LBB1251_186
.LBB1251_201:                           ;   in Loop: Header=BB1251_103 Depth=2
	s_or_b64 exec, exec, s[48:49]
	v_cmp_lt_u32_e64 s[46:47], v12, v183
	s_and_saveexec_b64 s[50:51], s[46:47]
	s_cbranch_execz .LBB1251_187
.LBB1251_202:                           ;   in Loop: Header=BB1251_103 Depth=2
	ds_read_b64 v[64:65], v104 offset:10240
	v_mov_b32_e32 v71, v4
	s_waitcnt lgkmcnt(0)
	v_cmp_ne_u64_e32 vcc, s[78:79], v[64:65]
	v_cndmask_b32_e32 v89, v133, v65, vcc
	v_cndmask_b32_e32 v88, 0, v64, vcc
	v_lshrrev_b64 v[88:89], s33, v[88:89]
	v_and_b32_e32 v70, s69, v88
	v_lshlrev_b32_e32 v70, 2, v70
	ds_read_b32 v70, v70
	v_cmp_lt_i64_e64 s[48:49], -1, v[64:65]
	v_cndmask_b32_e64 v69, v133, -1, s[48:49]
	v_ashrrev_i32_e32 v73, 31, v65
	v_not_b32_e32 v73, v73
	s_waitcnt lgkmcnt(0)
	v_add_u32_e32 v70, v70, v12
	v_lshlrev_b64 v[70:71], 3, v[70:71]
	v_xor_b32_e32 v65, v69, v65
	v_mov_b32_e32 v69, s75
	v_add_co_u32_e32 v70, vcc, s74, v70
	v_xor_b32_e32 v64, v73, v64
	v_addc_co_u32_e32 v71, vcc, v69, v71, vcc
	global_store_dwordx2 v[70:71], v[64:65], off
	s_or_b64 exec, exec, s[50:51]
	v_cmp_lt_u32_e64 s[48:49], v14, v183
	s_and_saveexec_b64 s[52:53], s[48:49]
	s_cbranch_execnz .LBB1251_188
.LBB1251_203:                           ;   in Loop: Header=BB1251_103 Depth=2
	s_or_b64 exec, exec, s[52:53]
	v_cmp_lt_u32_e64 s[50:51], v16, v183
	s_and_saveexec_b64 s[54:55], s[50:51]
	s_cbranch_execz .LBB1251_189
.LBB1251_204:                           ;   in Loop: Header=BB1251_103 Depth=2
	ds_read_b64 v[64:65], v104 offset:14336
	v_mov_b32_e32 v71, v4
	s_waitcnt lgkmcnt(0)
	v_cmp_ne_u64_e32 vcc, s[78:79], v[64:65]
	v_cndmask_b32_e32 v89, v133, v65, vcc
	v_cndmask_b32_e32 v88, 0, v64, vcc
	v_lshrrev_b64 v[88:89], s33, v[88:89]
	v_and_b32_e32 v70, s69, v88
	v_lshlrev_b32_e32 v70, 2, v70
	ds_read_b32 v70, v70
	v_cmp_lt_i64_e64 s[52:53], -1, v[64:65]
	v_cndmask_b32_e64 v69, v133, -1, s[52:53]
	v_ashrrev_i32_e32 v73, 31, v65
	v_not_b32_e32 v73, v73
	s_waitcnt lgkmcnt(0)
	v_add_u32_e32 v70, v70, v16
	v_lshlrev_b64 v[70:71], 3, v[70:71]
	v_xor_b32_e32 v65, v69, v65
	v_mov_b32_e32 v69, s75
	v_add_co_u32_e32 v70, vcc, s74, v70
	v_xor_b32_e32 v64, v73, v64
	v_addc_co_u32_e32 v71, vcc, v69, v71, vcc
	global_store_dwordx2 v[70:71], v[64:65], off
	s_or_b64 exec, exec, s[54:55]
	v_cmp_lt_u32_e64 s[52:53], v18, v183
	s_and_saveexec_b64 s[56:57], s[52:53]
	s_cbranch_execnz .LBB1251_190
.LBB1251_205:                           ;   in Loop: Header=BB1251_103 Depth=2
	s_or_b64 exec, exec, s[56:57]
	v_cmp_lt_u32_e64 s[54:55], v20, v183
	s_and_saveexec_b64 s[58:59], s[54:55]
	s_cbranch_execz .LBB1251_191
.LBB1251_206:                           ;   in Loop: Header=BB1251_103 Depth=2
	ds_read_b64 v[64:65], v104 offset:18432
	v_mov_b32_e32 v71, v4
	s_waitcnt lgkmcnt(0)
	v_cmp_ne_u64_e32 vcc, s[78:79], v[64:65]
	v_cndmask_b32_e32 v89, v133, v65, vcc
	v_cndmask_b32_e32 v88, 0, v64, vcc
	v_lshrrev_b64 v[88:89], s33, v[88:89]
	v_and_b32_e32 v70, s69, v88
	v_lshlrev_b32_e32 v70, 2, v70
	ds_read_b32 v70, v70
	v_cmp_lt_i64_e64 s[56:57], -1, v[64:65]
	v_cndmask_b32_e64 v69, v133, -1, s[56:57]
	v_ashrrev_i32_e32 v73, 31, v65
	v_not_b32_e32 v73, v73
	s_waitcnt lgkmcnt(0)
	v_add_u32_e32 v70, v70, v20
	v_lshlrev_b64 v[70:71], 3, v[70:71]
	v_xor_b32_e32 v65, v69, v65
	v_mov_b32_e32 v69, s75
	v_add_co_u32_e32 v70, vcc, s74, v70
	v_xor_b32_e32 v64, v73, v64
	v_addc_co_u32_e32 v71, vcc, v69, v71, vcc
	global_store_dwordx2 v[70:71], v[64:65], off
	s_or_b64 exec, exec, s[58:59]
	v_cmp_lt_u32_e64 s[56:57], v22, v183
	s_and_saveexec_b64 s[60:61], s[56:57]
	s_cbranch_execnz .LBB1251_192
.LBB1251_207:                           ;   in Loop: Header=BB1251_103 Depth=2
	s_or_b64 exec, exec, s[60:61]
	v_cmp_lt_u32_e64 s[58:59], v24, v183
	s_and_saveexec_b64 s[62:63], s[58:59]
	s_cbranch_execz .LBB1251_193
.LBB1251_208:                           ;   in Loop: Header=BB1251_103 Depth=2
	ds_read_b64 v[64:65], v104 offset:22528
	v_mov_b32_e32 v71, v4
	s_waitcnt lgkmcnt(0)
	v_cmp_ne_u64_e32 vcc, s[78:79], v[64:65]
	v_cndmask_b32_e32 v89, v133, v65, vcc
	v_cndmask_b32_e32 v88, 0, v64, vcc
	v_lshrrev_b64 v[88:89], s33, v[88:89]
	v_and_b32_e32 v70, s69, v88
	v_lshlrev_b32_e32 v70, 2, v70
	ds_read_b32 v70, v70
	v_cmp_lt_i64_e64 s[60:61], -1, v[64:65]
	v_cndmask_b32_e64 v69, v133, -1, s[60:61]
	v_ashrrev_i32_e32 v73, 31, v65
	v_not_b32_e32 v73, v73
	s_waitcnt lgkmcnt(0)
	v_add_u32_e32 v70, v70, v24
	v_lshlrev_b64 v[70:71], 3, v[70:71]
	v_xor_b32_e32 v65, v69, v65
	v_mov_b32_e32 v69, s75
	v_add_co_u32_e32 v70, vcc, s74, v70
	v_xor_b32_e32 v64, v73, v64
	v_addc_co_u32_e32 v71, vcc, v69, v71, vcc
	global_store_dwordx2 v[70:71], v[64:65], off
	s_or_b64 exec, exec, s[62:63]
	v_cmp_lt_u32_e64 s[60:61], v26, v183
	s_and_saveexec_b64 s[64:65], s[60:61]
	s_cbranch_execnz .LBB1251_194
.LBB1251_209:                           ;   in Loop: Header=BB1251_103 Depth=2
	s_or_b64 exec, exec, s[64:65]
	v_cmp_lt_u32_e64 s[62:63], v28, v183
	s_and_saveexec_b64 s[66:67], s[62:63]
	s_cbranch_execz .LBB1251_195
.LBB1251_210:                           ;   in Loop: Header=BB1251_103 Depth=2
	ds_read_b64 v[64:65], v104 offset:26624
	v_mov_b32_e32 v71, v4
	s_waitcnt lgkmcnt(0)
	v_cmp_ne_u64_e32 vcc, s[78:79], v[64:65]
	v_cndmask_b32_e32 v89, v133, v65, vcc
	v_cndmask_b32_e32 v88, 0, v64, vcc
	v_lshrrev_b64 v[88:89], s33, v[88:89]
	v_and_b32_e32 v70, s69, v88
	v_lshlrev_b32_e32 v70, 2, v70
	ds_read_b32 v70, v70
	v_cmp_lt_i64_e64 s[64:65], -1, v[64:65]
	v_cndmask_b32_e64 v69, v133, -1, s[64:65]
	v_ashrrev_i32_e32 v73, 31, v65
	v_not_b32_e32 v73, v73
	s_waitcnt lgkmcnt(0)
	v_add_u32_e32 v70, v70, v28
	v_lshlrev_b64 v[70:71], 3, v[70:71]
	v_xor_b32_e32 v65, v69, v65
	v_mov_b32_e32 v69, s75
	v_add_co_u32_e32 v70, vcc, s74, v70
	v_xor_b32_e32 v64, v73, v64
	v_addc_co_u32_e32 v71, vcc, v69, v71, vcc
	global_store_dwordx2 v[70:71], v[64:65], off
	s_or_b64 exec, exec, s[66:67]
	v_cmp_lt_u32_e64 s[64:65], v30, v183
	s_and_saveexec_b64 s[92:93], s[64:65]
	s_cbranch_execnz .LBB1251_196
.LBB1251_211:                           ;   in Loop: Header=BB1251_103 Depth=2
	s_or_b64 exec, exec, s[92:93]
	v_cmp_lt_u32_e64 s[66:67], v32, v183
	s_and_saveexec_b64 s[92:93], s[66:67]
	s_cbranch_execz .LBB1251_213
.LBB1251_212:                           ;   in Loop: Header=BB1251_103 Depth=2
	ds_read_b64 v[64:65], v104 offset:30720
	s_waitcnt lgkmcnt(0)
	v_cmp_ne_u64_e32 vcc, s[78:79], v[64:65]
	v_cndmask_b32_e32 v71, v133, v65, vcc
	v_cndmask_b32_e32 v70, 0, v64, vcc
	v_lshrrev_b64 v[70:71], s33, v[70:71]
	v_and_b32_e32 v69, s69, v70
	v_lshlrev_b32_e32 v69, 2, v69
	ds_read_b32 v69, v69
	v_cmp_lt_i64_e32 vcc, -1, v[64:65]
	v_ashrrev_i32_e32 v71, 31, v65
	v_cndmask_b32_e64 v70, v133, -1, vcc
	v_not_b32_e32 v71, v71
	v_xor_b32_e32 v65, v70, v65
	v_xor_b32_e32 v64, v71, v64
	s_waitcnt lgkmcnt(0)
	v_add_u32_e32 v70, v69, v32
	v_mov_b32_e32 v71, v4
	v_lshlrev_b64 v[70:71], 3, v[70:71]
	v_add_co_u32_e32 v70, vcc, s74, v70
	v_mov_b32_e32 v69, s75
	v_addc_co_u32_e32 v71, vcc, v69, v71, vcc
	global_store_dwordx2 v[70:71], v[64:65], off
.LBB1251_213:                           ;   in Loop: Header=BB1251_103 Depth=2
	s_or_b64 exec, exec, s[92:93]
	s_lshl_b64 s[92:93], s[88:89], 3
	v_mov_b32_e32 v65, s93
	v_add_co_u32_e32 v64, vcc, s92, v160
	v_addc_co_u32_e32 v65, vcc, v161, v65, vcc
	v_cmp_lt_u32_e32 vcc, v143, v183
	s_and_saveexec_b64 s[92:93], vcc
	s_xor_b64 s[92:93], exec, s[92:93]
	s_cbranch_execz .LBB1251_245
; %bb.214:                              ;   in Loop: Header=BB1251_103 Depth=2
	global_load_dwordx2 v[62:63], v[64:65], off
	s_or_b64 exec, exec, s[92:93]
	v_cmp_lt_u32_e32 vcc, v144, v183
	s_and_saveexec_b64 s[92:93], vcc
	s_cbranch_execnz .LBB1251_246
.LBB1251_215:                           ;   in Loop: Header=BB1251_103 Depth=2
	s_or_b64 exec, exec, s[92:93]
	v_cmp_lt_u32_e32 vcc, v145, v183
	s_and_saveexec_b64 s[92:93], vcc
	s_cbranch_execz .LBB1251_247
.LBB1251_216:                           ;   in Loop: Header=BB1251_103 Depth=2
	global_load_dwordx2 v[56:57], v[64:65], off offset:1024
	s_or_b64 exec, exec, s[92:93]
	v_cmp_lt_u32_e32 vcc, v146, v183
	s_and_saveexec_b64 s[92:93], vcc
	s_cbranch_execnz .LBB1251_248
.LBB1251_217:                           ;   in Loop: Header=BB1251_103 Depth=2
	s_or_b64 exec, exec, s[92:93]
	v_cmp_lt_u32_e32 vcc, v147, v183
	s_and_saveexec_b64 s[92:93], vcc
	s_cbranch_execz .LBB1251_249
.LBB1251_218:                           ;   in Loop: Header=BB1251_103 Depth=2
	global_load_dwordx2 v[48:49], v[64:65], off offset:2048
	s_or_b64 exec, exec, s[92:93]
	v_cmp_lt_u32_e32 vcc, v148, v183
	s_and_saveexec_b64 s[92:93], vcc
	s_cbranch_execnz .LBB1251_250
.LBB1251_219:                           ;   in Loop: Header=BB1251_103 Depth=2
	s_or_b64 exec, exec, s[92:93]
	v_cmp_lt_u32_e32 vcc, v149, v183
	s_and_saveexec_b64 s[92:93], vcc
	s_cbranch_execz .LBB1251_251
.LBB1251_220:                           ;   in Loop: Header=BB1251_103 Depth=2
	global_load_dwordx2 v[40:41], v[64:65], off offset:3072
	s_or_b64 exec, exec, s[92:93]
	v_cmp_lt_u32_e32 vcc, v150, v183
	s_and_saveexec_b64 s[92:93], vcc
	s_cbranch_execnz .LBB1251_252
.LBB1251_221:                           ;   in Loop: Header=BB1251_103 Depth=2
	s_or_b64 exec, exec, s[92:93]
	v_cmp_lt_u32_e32 vcc, v151, v183
	s_and_saveexec_b64 s[92:93], vcc
	s_cbranch_execz .LBB1251_253
.LBB1251_222:                           ;   in Loop: Header=BB1251_103 Depth=2
	v_add_co_u32_e32 v58, vcc, 0x1000, v64
	v_addc_co_u32_e32 v59, vcc, 0, v65, vcc
	global_load_dwordx2 v[58:59], v[58:59], off
	s_or_b64 exec, exec, s[92:93]
	v_cmp_lt_u32_e32 vcc, v152, v183
	s_and_saveexec_b64 s[92:93], vcc
	s_cbranch_execnz .LBB1251_254
.LBB1251_223:                           ;   in Loop: Header=BB1251_103 Depth=2
	s_or_b64 exec, exec, s[92:93]
	v_cmp_lt_u32_e32 vcc, v153, v183
	s_and_saveexec_b64 s[92:93], vcc
	s_cbranch_execz .LBB1251_255
.LBB1251_224:                           ;   in Loop: Header=BB1251_103 Depth=2
	v_add_co_u32_e32 v50, vcc, 0x1000, v64
	v_addc_co_u32_e32 v51, vcc, 0, v65, vcc
	global_load_dwordx2 v[50:51], v[50:51], off offset:1024
	s_or_b64 exec, exec, s[92:93]
	v_cmp_lt_u32_e32 vcc, v154, v183
	s_and_saveexec_b64 s[92:93], vcc
	s_cbranch_execnz .LBB1251_256
.LBB1251_225:                           ;   in Loop: Header=BB1251_103 Depth=2
	s_or_b64 exec, exec, s[92:93]
	v_cmp_lt_u32_e32 vcc, v155, v183
	s_and_saveexec_b64 s[92:93], vcc
	s_cbranch_execz .LBB1251_257
.LBB1251_226:                           ;   in Loop: Header=BB1251_103 Depth=2
	v_add_co_u32_e32 v42, vcc, 0x1000, v64
	v_addc_co_u32_e32 v43, vcc, 0, v65, vcc
	global_load_dwordx2 v[42:43], v[42:43], off offset:2048
	s_or_b64 exec, exec, s[92:93]
	v_cmp_lt_u32_e32 vcc, v156, v183
	s_and_saveexec_b64 s[92:93], vcc
	s_cbranch_execnz .LBB1251_258
.LBB1251_227:                           ;   in Loop: Header=BB1251_103 Depth=2
	s_or_b64 exec, exec, s[92:93]
	v_cmp_lt_u32_e32 vcc, v157, v183
	s_and_saveexec_b64 s[92:93], vcc
	s_cbranch_execz .LBB1251_259
.LBB1251_228:                           ;   in Loop: Header=BB1251_103 Depth=2
	v_add_co_u32_e32 v34, vcc, 0x1000, v64
	v_addc_co_u32_e32 v35, vcc, 0, v65, vcc
	global_load_dwordx2 v[34:35], v[34:35], off offset:3072
	s_or_b64 exec, exec, s[92:93]
	v_cmp_lt_u32_e32 vcc, v158, v183
	s_and_saveexec_b64 s[92:93], vcc
	s_cbranch_execnz .LBB1251_260
.LBB1251_229:                           ;   in Loop: Header=BB1251_103 Depth=2
	s_or_b64 exec, exec, s[92:93]
	s_and_saveexec_b64 s[92:93], s[36:37]
	s_cbranch_execz .LBB1251_261
.LBB1251_230:                           ;   in Loop: Header=BB1251_103 Depth=2
	v_add_u32_e32 v64, v33, v3
	ds_read_b64 v[64:65], v64 offset:1024
	s_waitcnt lgkmcnt(0)
	v_cmp_ne_u64_e32 vcc, s[78:79], v[64:65]
	v_cndmask_b32_e32 v65, v133, v65, vcc
	v_cndmask_b32_e32 v64, 0, v64, vcc
	v_lshrrev_b64 v[64:65], s33, v[64:65]
	v_and_b32_e32 v182, s69, v64
	s_or_b64 exec, exec, s[92:93]
	s_and_saveexec_b64 s[92:93], s[38:39]
	s_cbranch_execnz .LBB1251_262
.LBB1251_231:                           ;   in Loop: Header=BB1251_103 Depth=2
	s_or_b64 exec, exec, s[92:93]
	s_and_saveexec_b64 s[92:93], s[40:41]
	s_cbranch_execz .LBB1251_263
.LBB1251_232:                           ;   in Loop: Header=BB1251_103 Depth=2
	ds_read_b64 v[64:65], v104 offset:4096
	s_waitcnt lgkmcnt(0)
	v_cmp_ne_u64_e32 vcc, s[78:79], v[64:65]
	v_cndmask_b32_e32 v65, v133, v65, vcc
	v_cndmask_b32_e32 v64, 0, v64, vcc
	v_lshrrev_b64 v[64:65], s33, v[64:65]
	v_and_b32_e32 v180, s69, v64
	s_or_b64 exec, exec, s[92:93]
	s_and_saveexec_b64 s[92:93], s[42:43]
	s_cbranch_execnz .LBB1251_264
.LBB1251_233:                           ;   in Loop: Header=BB1251_103 Depth=2
	s_or_b64 exec, exec, s[92:93]
	s_and_saveexec_b64 s[92:93], s[44:45]
	s_cbranch_execz .LBB1251_265
.LBB1251_234:                           ;   in Loop: Header=BB1251_103 Depth=2
	ds_read_b64 v[64:65], v104 offset:8192
	s_waitcnt lgkmcnt(0)
	v_cmp_ne_u64_e32 vcc, s[78:79], v[64:65]
	v_cndmask_b32_e32 v65, v133, v65, vcc
	v_cndmask_b32_e32 v64, 0, v64, vcc
	v_lshrrev_b64 v[64:65], s33, v[64:65]
	v_and_b32_e32 v177, s69, v64
	s_or_b64 exec, exec, s[92:93]
	s_and_saveexec_b64 s[92:93], s[46:47]
	s_cbranch_execnz .LBB1251_266
.LBB1251_235:                           ;   in Loop: Header=BB1251_103 Depth=2
	s_or_b64 exec, exec, s[92:93]
	s_and_saveexec_b64 s[92:93], s[48:49]
	s_cbranch_execz .LBB1251_267
.LBB1251_236:                           ;   in Loop: Header=BB1251_103 Depth=2
	ds_read_b64 v[64:65], v104 offset:12288
	s_waitcnt lgkmcnt(0)
	v_cmp_ne_u64_e32 vcc, s[78:79], v[64:65]
	v_cndmask_b32_e32 v65, v133, v65, vcc
	v_cndmask_b32_e32 v64, 0, v64, vcc
	v_lshrrev_b64 v[64:65], s33, v[64:65]
	v_and_b32_e32 v175, s69, v64
	s_or_b64 exec, exec, s[92:93]
	s_and_saveexec_b64 s[92:93], s[50:51]
	s_cbranch_execnz .LBB1251_268
.LBB1251_237:                           ;   in Loop: Header=BB1251_103 Depth=2
	s_or_b64 exec, exec, s[92:93]
	s_and_saveexec_b64 s[92:93], s[52:53]
	s_cbranch_execz .LBB1251_269
.LBB1251_238:                           ;   in Loop: Header=BB1251_103 Depth=2
	ds_read_b64 v[64:65], v104 offset:16384
	s_waitcnt lgkmcnt(0)
	v_cmp_ne_u64_e32 vcc, s[78:79], v[64:65]
	v_cndmask_b32_e32 v65, v133, v65, vcc
	v_cndmask_b32_e32 v64, 0, v64, vcc
	v_lshrrev_b64 v[64:65], s33, v[64:65]
	v_and_b32_e32 v172, s69, v64
	s_or_b64 exec, exec, s[92:93]
	s_and_saveexec_b64 s[92:93], s[54:55]
	s_cbranch_execnz .LBB1251_270
.LBB1251_239:                           ;   in Loop: Header=BB1251_103 Depth=2
	s_or_b64 exec, exec, s[92:93]
	s_and_saveexec_b64 s[92:93], s[56:57]
	s_cbranch_execz .LBB1251_271
.LBB1251_240:                           ;   in Loop: Header=BB1251_103 Depth=2
	ds_read_b64 v[64:65], v104 offset:20480
	s_waitcnt lgkmcnt(0)
	v_cmp_ne_u64_e32 vcc, s[78:79], v[64:65]
	v_cndmask_b32_e32 v65, v133, v65, vcc
	v_cndmask_b32_e32 v64, 0, v64, vcc
	v_lshrrev_b64 v[64:65], s33, v[64:65]
	v_and_b32_e32 v169, s69, v64
	s_or_b64 exec, exec, s[92:93]
	s_and_saveexec_b64 s[92:93], s[58:59]
	s_cbranch_execnz .LBB1251_272
.LBB1251_241:                           ;   in Loop: Header=BB1251_103 Depth=2
	s_or_b64 exec, exec, s[92:93]
	s_and_saveexec_b64 s[92:93], s[60:61]
	s_cbranch_execz .LBB1251_273
.LBB1251_242:                           ;   in Loop: Header=BB1251_103 Depth=2
	ds_read_b64 v[64:65], v104 offset:24576
	s_waitcnt lgkmcnt(0)
	v_cmp_ne_u64_e32 vcc, s[78:79], v[64:65]
	v_cndmask_b32_e32 v65, v133, v65, vcc
	v_cndmask_b32_e32 v64, 0, v64, vcc
	v_lshrrev_b64 v[64:65], s33, v[64:65]
	v_and_b32_e32 v167, s69, v64
	s_or_b64 exec, exec, s[92:93]
	s_and_saveexec_b64 s[92:93], s[62:63]
	s_cbranch_execnz .LBB1251_274
.LBB1251_243:                           ;   in Loop: Header=BB1251_103 Depth=2
	s_or_b64 exec, exec, s[92:93]
	s_and_saveexec_b64 s[92:93], s[64:65]
	s_cbranch_execz .LBB1251_275
.LBB1251_244:                           ;   in Loop: Header=BB1251_103 Depth=2
	ds_read_b64 v[64:65], v104 offset:28672
	s_waitcnt lgkmcnt(0)
	v_cmp_ne_u64_e32 vcc, s[78:79], v[64:65]
	v_cndmask_b32_e32 v65, v133, v65, vcc
	v_cndmask_b32_e32 v64, 0, v64, vcc
	v_lshrrev_b64 v[64:65], s33, v[64:65]
	v_and_b32_e32 v165, s69, v64
	s_or_b64 exec, exec, s[92:93]
	s_and_saveexec_b64 s[92:93], s[66:67]
	s_cbranch_execnz .LBB1251_276
	s_branch .LBB1251_277
.LBB1251_245:                           ;   in Loop: Header=BB1251_103 Depth=2
	s_or_b64 exec, exec, s[92:93]
	v_cmp_lt_u32_e32 vcc, v144, v183
	s_and_saveexec_b64 s[92:93], vcc
	s_cbranch_execz .LBB1251_215
.LBB1251_246:                           ;   in Loop: Header=BB1251_103 Depth=2
	global_load_dwordx2 v[60:61], v[64:65], off offset:512
	s_or_b64 exec, exec, s[92:93]
	v_cmp_lt_u32_e32 vcc, v145, v183
	s_and_saveexec_b64 s[92:93], vcc
	s_cbranch_execnz .LBB1251_216
.LBB1251_247:                           ;   in Loop: Header=BB1251_103 Depth=2
	s_or_b64 exec, exec, s[92:93]
	v_cmp_lt_u32_e32 vcc, v146, v183
	s_and_saveexec_b64 s[92:93], vcc
	s_cbranch_execz .LBB1251_217
.LBB1251_248:                           ;   in Loop: Header=BB1251_103 Depth=2
	global_load_dwordx2 v[52:53], v[64:65], off offset:1536
	s_or_b64 exec, exec, s[92:93]
	v_cmp_lt_u32_e32 vcc, v147, v183
	s_and_saveexec_b64 s[92:93], vcc
	s_cbranch_execnz .LBB1251_218
.LBB1251_249:                           ;   in Loop: Header=BB1251_103 Depth=2
	s_or_b64 exec, exec, s[92:93]
	v_cmp_lt_u32_e32 vcc, v148, v183
	s_and_saveexec_b64 s[92:93], vcc
	s_cbranch_execz .LBB1251_219
.LBB1251_250:                           ;   in Loop: Header=BB1251_103 Depth=2
	global_load_dwordx2 v[44:45], v[64:65], off offset:2560
	s_or_b64 exec, exec, s[92:93]
	v_cmp_lt_u32_e32 vcc, v149, v183
	s_and_saveexec_b64 s[92:93], vcc
	s_cbranch_execnz .LBB1251_220
.LBB1251_251:                           ;   in Loop: Header=BB1251_103 Depth=2
	s_or_b64 exec, exec, s[92:93]
	v_cmp_lt_u32_e32 vcc, v150, v183
	s_and_saveexec_b64 s[92:93], vcc
	s_cbranch_execz .LBB1251_221
.LBB1251_252:                           ;   in Loop: Header=BB1251_103 Depth=2
	global_load_dwordx2 v[36:37], v[64:65], off offset:3584
	s_or_b64 exec, exec, s[92:93]
	v_cmp_lt_u32_e32 vcc, v151, v183
	s_and_saveexec_b64 s[92:93], vcc
	s_cbranch_execnz .LBB1251_222
.LBB1251_253:                           ;   in Loop: Header=BB1251_103 Depth=2
	s_or_b64 exec, exec, s[92:93]
	v_cmp_lt_u32_e32 vcc, v152, v183
	s_and_saveexec_b64 s[92:93], vcc
	s_cbranch_execz .LBB1251_223
.LBB1251_254:                           ;   in Loop: Header=BB1251_103 Depth=2
	v_add_co_u32_e32 v54, vcc, 0x1000, v64
	v_addc_co_u32_e32 v55, vcc, 0, v65, vcc
	global_load_dwordx2 v[54:55], v[54:55], off offset:512
	s_or_b64 exec, exec, s[92:93]
	v_cmp_lt_u32_e32 vcc, v153, v183
	s_and_saveexec_b64 s[92:93], vcc
	s_cbranch_execnz .LBB1251_224
.LBB1251_255:                           ;   in Loop: Header=BB1251_103 Depth=2
	s_or_b64 exec, exec, s[92:93]
	v_cmp_lt_u32_e32 vcc, v154, v183
	s_and_saveexec_b64 s[92:93], vcc
	s_cbranch_execz .LBB1251_225
.LBB1251_256:                           ;   in Loop: Header=BB1251_103 Depth=2
	v_add_co_u32_e32 v46, vcc, 0x1000, v64
	v_addc_co_u32_e32 v47, vcc, 0, v65, vcc
	global_load_dwordx2 v[46:47], v[46:47], off offset:1536
	s_or_b64 exec, exec, s[92:93]
	v_cmp_lt_u32_e32 vcc, v155, v183
	s_and_saveexec_b64 s[92:93], vcc
	s_cbranch_execnz .LBB1251_226
.LBB1251_257:                           ;   in Loop: Header=BB1251_103 Depth=2
	s_or_b64 exec, exec, s[92:93]
	v_cmp_lt_u32_e32 vcc, v156, v183
	s_and_saveexec_b64 s[92:93], vcc
	s_cbranch_execz .LBB1251_227
.LBB1251_258:                           ;   in Loop: Header=BB1251_103 Depth=2
	v_add_co_u32_e32 v38, vcc, 0x1000, v64
	v_addc_co_u32_e32 v39, vcc, 0, v65, vcc
	global_load_dwordx2 v[38:39], v[38:39], off offset:2560
	s_or_b64 exec, exec, s[92:93]
	v_cmp_lt_u32_e32 vcc, v157, v183
	s_and_saveexec_b64 s[92:93], vcc
	s_cbranch_execnz .LBB1251_228
.LBB1251_259:                           ;   in Loop: Header=BB1251_103 Depth=2
	s_or_b64 exec, exec, s[92:93]
	v_cmp_lt_u32_e32 vcc, v158, v183
	s_and_saveexec_b64 s[92:93], vcc
	s_cbranch_execz .LBB1251_229
.LBB1251_260:                           ;   in Loop: Header=BB1251_103 Depth=2
	v_add_co_u32_e32 v0, vcc, 0x1000, v64
	v_addc_co_u32_e32 v1, vcc, 0, v65, vcc
	global_load_dwordx2 v[0:1], v[0:1], off offset:3584
	s_or_b64 exec, exec, s[92:93]
	s_and_saveexec_b64 s[92:93], s[36:37]
	s_cbranch_execnz .LBB1251_230
.LBB1251_261:                           ;   in Loop: Header=BB1251_103 Depth=2
	s_or_b64 exec, exec, s[92:93]
	s_and_saveexec_b64 s[92:93], s[38:39]
	s_cbranch_execz .LBB1251_231
.LBB1251_262:                           ;   in Loop: Header=BB1251_103 Depth=2
	ds_read_b64 v[64:65], v104 offset:2048
	s_waitcnt lgkmcnt(0)
	v_cmp_ne_u64_e32 vcc, s[78:79], v[64:65]
	v_cndmask_b32_e32 v65, v133, v65, vcc
	v_cndmask_b32_e32 v64, 0, v64, vcc
	v_lshrrev_b64 v[64:65], s33, v[64:65]
	v_and_b32_e32 v181, s69, v64
	s_or_b64 exec, exec, s[92:93]
	s_and_saveexec_b64 s[92:93], s[40:41]
	s_cbranch_execnz .LBB1251_232
.LBB1251_263:                           ;   in Loop: Header=BB1251_103 Depth=2
	s_or_b64 exec, exec, s[92:93]
	s_and_saveexec_b64 s[92:93], s[42:43]
	s_cbranch_execz .LBB1251_233
.LBB1251_264:                           ;   in Loop: Header=BB1251_103 Depth=2
	ds_read_b64 v[64:65], v104 offset:6144
	s_waitcnt lgkmcnt(0)
	v_cmp_ne_u64_e32 vcc, s[78:79], v[64:65]
	v_cndmask_b32_e32 v65, v133, v65, vcc
	v_cndmask_b32_e32 v64, 0, v64, vcc
	v_lshrrev_b64 v[64:65], s33, v[64:65]
	v_and_b32_e32 v179, s69, v64
	s_or_b64 exec, exec, s[92:93]
	s_and_saveexec_b64 s[92:93], s[44:45]
	s_cbranch_execnz .LBB1251_234
.LBB1251_265:                           ;   in Loop: Header=BB1251_103 Depth=2
	s_or_b64 exec, exec, s[92:93]
	s_and_saveexec_b64 s[92:93], s[46:47]
	s_cbranch_execz .LBB1251_235
.LBB1251_266:                           ;   in Loop: Header=BB1251_103 Depth=2
	ds_read_b64 v[64:65], v104 offset:10240
	s_waitcnt lgkmcnt(0)
	v_cmp_ne_u64_e32 vcc, s[78:79], v[64:65]
	v_cndmask_b32_e32 v65, v133, v65, vcc
	v_cndmask_b32_e32 v64, 0, v64, vcc
	v_lshrrev_b64 v[64:65], s33, v[64:65]
	v_and_b32_e32 v176, s69, v64
	s_or_b64 exec, exec, s[92:93]
	s_and_saveexec_b64 s[92:93], s[48:49]
	s_cbranch_execnz .LBB1251_236
.LBB1251_267:                           ;   in Loop: Header=BB1251_103 Depth=2
	s_or_b64 exec, exec, s[92:93]
	s_and_saveexec_b64 s[92:93], s[50:51]
	s_cbranch_execz .LBB1251_237
.LBB1251_268:                           ;   in Loop: Header=BB1251_103 Depth=2
	ds_read_b64 v[64:65], v104 offset:14336
	s_waitcnt lgkmcnt(0)
	v_cmp_ne_u64_e32 vcc, s[78:79], v[64:65]
	v_cndmask_b32_e32 v65, v133, v65, vcc
	v_cndmask_b32_e32 v64, 0, v64, vcc
	v_lshrrev_b64 v[64:65], s33, v[64:65]
	v_and_b32_e32 v174, s69, v64
	s_or_b64 exec, exec, s[92:93]
	s_and_saveexec_b64 s[92:93], s[52:53]
	s_cbranch_execnz .LBB1251_238
.LBB1251_269:                           ;   in Loop: Header=BB1251_103 Depth=2
	s_or_b64 exec, exec, s[92:93]
	s_and_saveexec_b64 s[92:93], s[54:55]
	s_cbranch_execz .LBB1251_239
.LBB1251_270:                           ;   in Loop: Header=BB1251_103 Depth=2
	ds_read_b64 v[64:65], v104 offset:18432
	s_waitcnt lgkmcnt(0)
	v_cmp_ne_u64_e32 vcc, s[78:79], v[64:65]
	v_cndmask_b32_e32 v65, v133, v65, vcc
	v_cndmask_b32_e32 v64, 0, v64, vcc
	v_lshrrev_b64 v[64:65], s33, v[64:65]
	v_and_b32_e32 v171, s69, v64
	s_or_b64 exec, exec, s[92:93]
	s_and_saveexec_b64 s[92:93], s[56:57]
	s_cbranch_execnz .LBB1251_240
.LBB1251_271:                           ;   in Loop: Header=BB1251_103 Depth=2
	s_or_b64 exec, exec, s[92:93]
	s_and_saveexec_b64 s[92:93], s[58:59]
	s_cbranch_execz .LBB1251_241
.LBB1251_272:                           ;   in Loop: Header=BB1251_103 Depth=2
	ds_read_b64 v[64:65], v104 offset:22528
	s_waitcnt lgkmcnt(0)
	v_cmp_ne_u64_e32 vcc, s[78:79], v[64:65]
	v_cndmask_b32_e32 v65, v133, v65, vcc
	v_cndmask_b32_e32 v64, 0, v64, vcc
	v_lshrrev_b64 v[64:65], s33, v[64:65]
	v_and_b32_e32 v168, s69, v64
	s_or_b64 exec, exec, s[92:93]
	s_and_saveexec_b64 s[92:93], s[60:61]
	s_cbranch_execnz .LBB1251_242
.LBB1251_273:                           ;   in Loop: Header=BB1251_103 Depth=2
	s_or_b64 exec, exec, s[92:93]
	s_and_saveexec_b64 s[92:93], s[62:63]
	s_cbranch_execz .LBB1251_243
.LBB1251_274:                           ;   in Loop: Header=BB1251_103 Depth=2
	ds_read_b64 v[64:65], v104 offset:26624
	s_waitcnt lgkmcnt(0)
	v_cmp_ne_u64_e32 vcc, s[78:79], v[64:65]
	v_cndmask_b32_e32 v65, v133, v65, vcc
	v_cndmask_b32_e32 v64, 0, v64, vcc
	v_lshrrev_b64 v[64:65], s33, v[64:65]
	v_and_b32_e32 v166, s69, v64
	s_or_b64 exec, exec, s[92:93]
	s_and_saveexec_b64 s[92:93], s[64:65]
	s_cbranch_execnz .LBB1251_244
.LBB1251_275:                           ;   in Loop: Header=BB1251_103 Depth=2
	s_or_b64 exec, exec, s[92:93]
	s_and_saveexec_b64 s[92:93], s[66:67]
	s_cbranch_execz .LBB1251_277
.LBB1251_276:                           ;   in Loop: Header=BB1251_103 Depth=2
	ds_read_b64 v[64:65], v104 offset:30720
	s_waitcnt lgkmcnt(0)
	v_cmp_ne_u64_e32 vcc, s[78:79], v[64:65]
	v_cndmask_b32_e32 v65, v133, v65, vcc
	v_cndmask_b32_e32 v64, 0, v64, vcc
	v_lshrrev_b64 v[64:65], s33, v[64:65]
	v_and_b32_e32 v164, s69, v64
.LBB1251_277:                           ;   in Loop: Header=BB1251_103 Depth=2
	s_or_b64 exec, exec, s[92:93]
	v_add_u32_e32 v64, 0x400, v96
	v_add_u32_e32 v65, 0x400, v97
	;; [unrolled: 1-line block ×16, first 2 shown]
	s_barrier
	s_waitcnt vmcnt(0)
	ds_write_b64 v64, v[62:63]
	ds_write_b64 v65, v[60:61]
	ds_write_b64 v66, v[56:57]
	ds_write_b64 v67, v[52:53]
	ds_write_b64 v69, v[48:49]
	ds_write_b64 v70, v[44:45]
	ds_write_b64 v71, v[40:41]
	ds_write_b64 v73, v[36:37]
	ds_write_b64 v74, v[58:59]
	ds_write_b64 v75, v[54:55]
	ds_write_b64 v77, v[50:51]
	ds_write_b64 v78, v[46:47]
	ds_write_b64 v79, v[42:43]
	ds_write_b64 v76, v[38:39]
	ds_write_b64 v72, v[34:35]
	ds_write_b64 v68, v[0:1]
	s_waitcnt lgkmcnt(0)
	s_barrier
	s_and_saveexec_b64 s[92:93], s[36:37]
	s_cbranch_execz .LBB1251_293
; %bb.278:                              ;   in Loop: Header=BB1251_103 Depth=2
	v_lshlrev_b32_e32 v64, 2, v182
	ds_read_b32 v66, v64
	v_add_u32_e32 v64, v33, v3
	ds_read_b64 v[64:65], v64 offset:1024
	v_mov_b32_e32 v67, v4
	v_mov_b32_e32 v68, s81
	s_waitcnt lgkmcnt(1)
	v_add_u32_e32 v66, v66, v2
	v_lshlrev_b64 v[66:67], 3, v[66:67]
	v_add_co_u32_e32 v66, vcc, s80, v66
	v_addc_co_u32_e32 v67, vcc, v68, v67, vcc
	s_waitcnt lgkmcnt(0)
	global_store_dwordx2 v[66:67], v[64:65], off
	s_or_b64 exec, exec, s[92:93]
	s_and_saveexec_b64 s[36:37], s[38:39]
	s_cbranch_execnz .LBB1251_294
.LBB1251_279:                           ;   in Loop: Header=BB1251_103 Depth=2
	s_or_b64 exec, exec, s[36:37]
	s_and_saveexec_b64 s[36:37], s[40:41]
	s_cbranch_execz .LBB1251_295
.LBB1251_280:                           ;   in Loop: Header=BB1251_103 Depth=2
	v_lshlrev_b32_e32 v64, 2, v180
	ds_read_b32 v66, v64
	ds_read_b64 v[64:65], v104 offset:4096
	v_mov_b32_e32 v67, v4
	v_mov_b32_e32 v68, s81
	s_waitcnt lgkmcnt(1)
	v_add_u32_e32 v66, v66, v6
	v_lshlrev_b64 v[66:67], 3, v[66:67]
	v_add_co_u32_e32 v66, vcc, s80, v66
	v_addc_co_u32_e32 v67, vcc, v68, v67, vcc
	s_waitcnt lgkmcnt(0)
	global_store_dwordx2 v[66:67], v[64:65], off
	s_or_b64 exec, exec, s[36:37]
	s_and_saveexec_b64 s[36:37], s[42:43]
	s_cbranch_execnz .LBB1251_296
.LBB1251_281:                           ;   in Loop: Header=BB1251_103 Depth=2
	s_or_b64 exec, exec, s[36:37]
	s_and_saveexec_b64 s[36:37], s[44:45]
	s_cbranch_execz .LBB1251_297
.LBB1251_282:                           ;   in Loop: Header=BB1251_103 Depth=2
	v_lshlrev_b32_e32 v64, 2, v177
	ds_read_b32 v66, v64
	ds_read_b64 v[64:65], v104 offset:8192
	v_mov_b32_e32 v67, v4
	v_mov_b32_e32 v68, s81
	s_waitcnt lgkmcnt(1)
	v_add_u32_e32 v66, v66, v10
	v_lshlrev_b64 v[66:67], 3, v[66:67]
	v_add_co_u32_e32 v66, vcc, s80, v66
	v_addc_co_u32_e32 v67, vcc, v68, v67, vcc
	s_waitcnt lgkmcnt(0)
	global_store_dwordx2 v[66:67], v[64:65], off
	s_or_b64 exec, exec, s[36:37]
	s_and_saveexec_b64 s[36:37], s[46:47]
	s_cbranch_execnz .LBB1251_298
.LBB1251_283:                           ;   in Loop: Header=BB1251_103 Depth=2
	s_or_b64 exec, exec, s[36:37]
	s_and_saveexec_b64 s[36:37], s[48:49]
	s_cbranch_execz .LBB1251_299
.LBB1251_284:                           ;   in Loop: Header=BB1251_103 Depth=2
	v_lshlrev_b32_e32 v64, 2, v175
	ds_read_b32 v66, v64
	ds_read_b64 v[64:65], v104 offset:12288
	v_mov_b32_e32 v67, v4
	v_mov_b32_e32 v68, s81
	s_waitcnt lgkmcnt(1)
	v_add_u32_e32 v66, v66, v14
	v_lshlrev_b64 v[66:67], 3, v[66:67]
	v_add_co_u32_e32 v66, vcc, s80, v66
	v_addc_co_u32_e32 v67, vcc, v68, v67, vcc
	s_waitcnt lgkmcnt(0)
	global_store_dwordx2 v[66:67], v[64:65], off
	s_or_b64 exec, exec, s[36:37]
	s_and_saveexec_b64 s[36:37], s[50:51]
	s_cbranch_execnz .LBB1251_300
.LBB1251_285:                           ;   in Loop: Header=BB1251_103 Depth=2
	s_or_b64 exec, exec, s[36:37]
	s_and_saveexec_b64 s[36:37], s[52:53]
	s_cbranch_execz .LBB1251_301
.LBB1251_286:                           ;   in Loop: Header=BB1251_103 Depth=2
	v_lshlrev_b32_e32 v64, 2, v172
	ds_read_b32 v66, v64
	ds_read_b64 v[64:65], v104 offset:16384
	v_mov_b32_e32 v67, v4
	v_mov_b32_e32 v68, s81
	s_waitcnt lgkmcnt(1)
	v_add_u32_e32 v66, v66, v18
	v_lshlrev_b64 v[66:67], 3, v[66:67]
	v_add_co_u32_e32 v66, vcc, s80, v66
	v_addc_co_u32_e32 v67, vcc, v68, v67, vcc
	s_waitcnt lgkmcnt(0)
	global_store_dwordx2 v[66:67], v[64:65], off
	s_or_b64 exec, exec, s[36:37]
	s_and_saveexec_b64 s[36:37], s[54:55]
	s_cbranch_execnz .LBB1251_302
.LBB1251_287:                           ;   in Loop: Header=BB1251_103 Depth=2
	s_or_b64 exec, exec, s[36:37]
	s_and_saveexec_b64 s[36:37], s[56:57]
	s_cbranch_execz .LBB1251_303
.LBB1251_288:                           ;   in Loop: Header=BB1251_103 Depth=2
	v_lshlrev_b32_e32 v64, 2, v169
	ds_read_b32 v66, v64
	ds_read_b64 v[64:65], v104 offset:20480
	v_mov_b32_e32 v67, v4
	v_mov_b32_e32 v68, s81
	s_waitcnt lgkmcnt(1)
	v_add_u32_e32 v66, v66, v22
	v_lshlrev_b64 v[66:67], 3, v[66:67]
	v_add_co_u32_e32 v66, vcc, s80, v66
	v_addc_co_u32_e32 v67, vcc, v68, v67, vcc
	s_waitcnt lgkmcnt(0)
	global_store_dwordx2 v[66:67], v[64:65], off
	s_or_b64 exec, exec, s[36:37]
	s_and_saveexec_b64 s[36:37], s[58:59]
	s_cbranch_execnz .LBB1251_304
.LBB1251_289:                           ;   in Loop: Header=BB1251_103 Depth=2
	s_or_b64 exec, exec, s[36:37]
	s_and_saveexec_b64 s[36:37], s[60:61]
	s_cbranch_execz .LBB1251_305
.LBB1251_290:                           ;   in Loop: Header=BB1251_103 Depth=2
	v_lshlrev_b32_e32 v64, 2, v167
	ds_read_b32 v66, v64
	ds_read_b64 v[64:65], v104 offset:24576
	v_mov_b32_e32 v67, v4
	v_mov_b32_e32 v68, s81
	s_waitcnt lgkmcnt(1)
	v_add_u32_e32 v66, v66, v26
	v_lshlrev_b64 v[66:67], 3, v[66:67]
	v_add_co_u32_e32 v66, vcc, s80, v66
	v_addc_co_u32_e32 v67, vcc, v68, v67, vcc
	s_waitcnt lgkmcnt(0)
	global_store_dwordx2 v[66:67], v[64:65], off
	s_or_b64 exec, exec, s[36:37]
	s_and_saveexec_b64 s[36:37], s[62:63]
	s_cbranch_execnz .LBB1251_306
.LBB1251_291:                           ;   in Loop: Header=BB1251_103 Depth=2
	s_or_b64 exec, exec, s[36:37]
	s_and_saveexec_b64 s[36:37], s[64:65]
	s_cbranch_execz .LBB1251_307
.LBB1251_292:                           ;   in Loop: Header=BB1251_103 Depth=2
	v_lshlrev_b32_e32 v64, 2, v165
	ds_read_b32 v66, v64
	ds_read_b64 v[64:65], v104 offset:28672
	v_mov_b32_e32 v67, v4
	v_mov_b32_e32 v68, s81
	s_waitcnt lgkmcnt(1)
	v_add_u32_e32 v66, v66, v30
	v_lshlrev_b64 v[66:67], 3, v[66:67]
	v_add_co_u32_e32 v66, vcc, s80, v66
	v_addc_co_u32_e32 v67, vcc, v68, v67, vcc
	s_waitcnt lgkmcnt(0)
	global_store_dwordx2 v[66:67], v[64:65], off
	s_or_b64 exec, exec, s[36:37]
	s_and_saveexec_b64 s[36:37], s[66:67]
	s_cbranch_execnz .LBB1251_308
	s_branch .LBB1251_309
.LBB1251_293:                           ;   in Loop: Header=BB1251_103 Depth=2
	s_or_b64 exec, exec, s[92:93]
	s_and_saveexec_b64 s[36:37], s[38:39]
	s_cbranch_execz .LBB1251_279
.LBB1251_294:                           ;   in Loop: Header=BB1251_103 Depth=2
	v_lshlrev_b32_e32 v64, 2, v181
	ds_read_b32 v66, v64
	ds_read_b64 v[64:65], v104 offset:2048
	v_mov_b32_e32 v67, v4
	v_mov_b32_e32 v68, s81
	s_waitcnt lgkmcnt(1)
	v_add_u32_e32 v66, v66, v7
	v_lshlrev_b64 v[66:67], 3, v[66:67]
	v_add_co_u32_e32 v66, vcc, s80, v66
	v_addc_co_u32_e32 v67, vcc, v68, v67, vcc
	s_waitcnt lgkmcnt(0)
	global_store_dwordx2 v[66:67], v[64:65], off
	s_or_b64 exec, exec, s[36:37]
	s_and_saveexec_b64 s[36:37], s[40:41]
	s_cbranch_execnz .LBB1251_280
.LBB1251_295:                           ;   in Loop: Header=BB1251_103 Depth=2
	s_or_b64 exec, exec, s[36:37]
	s_and_saveexec_b64 s[36:37], s[42:43]
	s_cbranch_execz .LBB1251_281
.LBB1251_296:                           ;   in Loop: Header=BB1251_103 Depth=2
	v_lshlrev_b32_e32 v64, 2, v179
	ds_read_b32 v66, v64
	ds_read_b64 v[64:65], v104 offset:6144
	v_mov_b32_e32 v67, v4
	v_mov_b32_e32 v68, s81
	s_waitcnt lgkmcnt(1)
	v_add_u32_e32 v66, v66, v8
	v_lshlrev_b64 v[66:67], 3, v[66:67]
	v_add_co_u32_e32 v66, vcc, s80, v66
	v_addc_co_u32_e32 v67, vcc, v68, v67, vcc
	s_waitcnt lgkmcnt(0)
	global_store_dwordx2 v[66:67], v[64:65], off
	s_or_b64 exec, exec, s[36:37]
	s_and_saveexec_b64 s[36:37], s[44:45]
	s_cbranch_execnz .LBB1251_282
.LBB1251_297:                           ;   in Loop: Header=BB1251_103 Depth=2
	s_or_b64 exec, exec, s[36:37]
	s_and_saveexec_b64 s[36:37], s[46:47]
	s_cbranch_execz .LBB1251_283
.LBB1251_298:                           ;   in Loop: Header=BB1251_103 Depth=2
	v_lshlrev_b32_e32 v64, 2, v176
	ds_read_b32 v66, v64
	ds_read_b64 v[64:65], v104 offset:10240
	v_mov_b32_e32 v67, v4
	v_mov_b32_e32 v68, s81
	s_waitcnt lgkmcnt(1)
	v_add_u32_e32 v66, v66, v12
	v_lshlrev_b64 v[66:67], 3, v[66:67]
	v_add_co_u32_e32 v66, vcc, s80, v66
	v_addc_co_u32_e32 v67, vcc, v68, v67, vcc
	s_waitcnt lgkmcnt(0)
	global_store_dwordx2 v[66:67], v[64:65], off
	s_or_b64 exec, exec, s[36:37]
	s_and_saveexec_b64 s[36:37], s[48:49]
	s_cbranch_execnz .LBB1251_284
.LBB1251_299:                           ;   in Loop: Header=BB1251_103 Depth=2
	s_or_b64 exec, exec, s[36:37]
	s_and_saveexec_b64 s[36:37], s[50:51]
	s_cbranch_execz .LBB1251_285
.LBB1251_300:                           ;   in Loop: Header=BB1251_103 Depth=2
	v_lshlrev_b32_e32 v64, 2, v174
	ds_read_b32 v66, v64
	ds_read_b64 v[64:65], v104 offset:14336
	v_mov_b32_e32 v67, v4
	v_mov_b32_e32 v68, s81
	s_waitcnt lgkmcnt(1)
	v_add_u32_e32 v66, v66, v16
	v_lshlrev_b64 v[66:67], 3, v[66:67]
	v_add_co_u32_e32 v66, vcc, s80, v66
	v_addc_co_u32_e32 v67, vcc, v68, v67, vcc
	s_waitcnt lgkmcnt(0)
	global_store_dwordx2 v[66:67], v[64:65], off
	s_or_b64 exec, exec, s[36:37]
	s_and_saveexec_b64 s[36:37], s[52:53]
	s_cbranch_execnz .LBB1251_286
.LBB1251_301:                           ;   in Loop: Header=BB1251_103 Depth=2
	s_or_b64 exec, exec, s[36:37]
	s_and_saveexec_b64 s[36:37], s[54:55]
	s_cbranch_execz .LBB1251_287
.LBB1251_302:                           ;   in Loop: Header=BB1251_103 Depth=2
	v_lshlrev_b32_e32 v64, 2, v171
	ds_read_b32 v66, v64
	ds_read_b64 v[64:65], v104 offset:18432
	v_mov_b32_e32 v67, v4
	v_mov_b32_e32 v68, s81
	s_waitcnt lgkmcnt(1)
	v_add_u32_e32 v66, v66, v20
	v_lshlrev_b64 v[66:67], 3, v[66:67]
	v_add_co_u32_e32 v66, vcc, s80, v66
	v_addc_co_u32_e32 v67, vcc, v68, v67, vcc
	s_waitcnt lgkmcnt(0)
	global_store_dwordx2 v[66:67], v[64:65], off
	s_or_b64 exec, exec, s[36:37]
	s_and_saveexec_b64 s[36:37], s[56:57]
	s_cbranch_execnz .LBB1251_288
.LBB1251_303:                           ;   in Loop: Header=BB1251_103 Depth=2
	s_or_b64 exec, exec, s[36:37]
	s_and_saveexec_b64 s[36:37], s[58:59]
	s_cbranch_execz .LBB1251_289
.LBB1251_304:                           ;   in Loop: Header=BB1251_103 Depth=2
	v_lshlrev_b32_e32 v64, 2, v168
	ds_read_b32 v66, v64
	ds_read_b64 v[64:65], v104 offset:22528
	v_mov_b32_e32 v67, v4
	v_mov_b32_e32 v68, s81
	s_waitcnt lgkmcnt(1)
	v_add_u32_e32 v66, v66, v24
	v_lshlrev_b64 v[66:67], 3, v[66:67]
	v_add_co_u32_e32 v66, vcc, s80, v66
	v_addc_co_u32_e32 v67, vcc, v68, v67, vcc
	s_waitcnt lgkmcnt(0)
	global_store_dwordx2 v[66:67], v[64:65], off
	s_or_b64 exec, exec, s[36:37]
	s_and_saveexec_b64 s[36:37], s[60:61]
	s_cbranch_execnz .LBB1251_290
.LBB1251_305:                           ;   in Loop: Header=BB1251_103 Depth=2
	s_or_b64 exec, exec, s[36:37]
	s_and_saveexec_b64 s[36:37], s[62:63]
	s_cbranch_execz .LBB1251_291
.LBB1251_306:                           ;   in Loop: Header=BB1251_103 Depth=2
	v_lshlrev_b32_e32 v64, 2, v166
	ds_read_b32 v66, v64
	ds_read_b64 v[64:65], v104 offset:26624
	v_mov_b32_e32 v67, v4
	v_mov_b32_e32 v68, s81
	s_waitcnt lgkmcnt(1)
	v_add_u32_e32 v66, v66, v28
	v_lshlrev_b64 v[66:67], 3, v[66:67]
	v_add_co_u32_e32 v66, vcc, s80, v66
	v_addc_co_u32_e32 v67, vcc, v68, v67, vcc
	s_waitcnt lgkmcnt(0)
	global_store_dwordx2 v[66:67], v[64:65], off
	s_or_b64 exec, exec, s[36:37]
	s_and_saveexec_b64 s[36:37], s[64:65]
	s_cbranch_execnz .LBB1251_292
.LBB1251_307:                           ;   in Loop: Header=BB1251_103 Depth=2
	s_or_b64 exec, exec, s[36:37]
	s_and_saveexec_b64 s[36:37], s[66:67]
	s_cbranch_execz .LBB1251_309
.LBB1251_308:                           ;   in Loop: Header=BB1251_103 Depth=2
	v_lshlrev_b32_e32 v64, 2, v164
	ds_read_b32 v66, v64
	ds_read_b64 v[64:65], v104 offset:30720
	v_mov_b32_e32 v67, v4
	v_mov_b32_e32 v68, s81
	s_waitcnt lgkmcnt(1)
	v_add_u32_e32 v66, v66, v32
	v_lshlrev_b64 v[66:67], 3, v[66:67]
	v_add_co_u32_e32 v66, vcc, s80, v66
	v_addc_co_u32_e32 v67, vcc, v68, v67, vcc
	s_waitcnt lgkmcnt(0)
	global_store_dwordx2 v[66:67], v[64:65], off
.LBB1251_309:                           ;   in Loop: Header=BB1251_103 Depth=2
	s_or_b64 exec, exec, s[36:37]
	s_barrier
	s_and_saveexec_b64 s[36:37], s[4:5]
	s_cbranch_execz .LBB1251_102
; %bb.310:                              ;   in Loop: Header=BB1251_103 Depth=2
	ds_read_b32 v64, v3
	s_waitcnt lgkmcnt(0)
	v_add_u32_e32 v5, v64, v5
	ds_write_b32 v3, v5
	s_branch .LBB1251_102
.LBB1251_311:                           ;   in Loop: Header=BB1251_17 Depth=1
	s_waitcnt lgkmcnt(0)
	s_barrier
	s_mov_b64 s[16:17], 0
	v_readlane_b32 s49, v236, 2
.LBB1251_312:                           ;   in Loop: Header=BB1251_17 Depth=1
	s_and_b64 vcc, exec, s[16:17]
	s_cbranch_vccz .LBB1251_606
; %bb.313:                              ;   in Loop: Header=BB1251_17 Depth=1
	s_mov_b32 s22, s85
	s_mov_b32 s88, s49
	s_barrier
	s_waitcnt lgkmcnt(0)
                                        ; implicit-def: $vgpr62_vgpr63
                                        ; implicit-def: $vgpr0_vgpr1
                                        ; implicit-def: $vgpr34_vgpr35
                                        ; implicit-def: $vgpr36_vgpr37
                                        ; implicit-def: $vgpr38_vgpr39
                                        ; implicit-def: $vgpr40_vgpr41
                                        ; implicit-def: $vgpr42_vgpr43
                                        ; implicit-def: $vgpr44_vgpr45
                                        ; implicit-def: $vgpr46_vgpr47
                                        ; implicit-def: $vgpr48_vgpr49
                                        ; implicit-def: $vgpr50_vgpr51
                                        ; implicit-def: $vgpr52_vgpr53
                                        ; implicit-def: $vgpr54_vgpr55
                                        ; implicit-def: $vgpr56_vgpr57
                                        ; implicit-def: $vgpr58_vgpr59
                                        ; implicit-def: $vgpr60_vgpr61
	s_branch .LBB1251_315
.LBB1251_314:                           ;   in Loop: Header=BB1251_315 Depth=2
	s_or_b64 exec, exec, s[16:17]
	s_addk_i32 s22, 0xf000
	s_cmp_ge_u32 s23, s94
	s_mov_b32 s88, s23
	s_cbranch_scc1 .LBB1251_385
.LBB1251_315:                           ;   Parent Loop BB1251_17 Depth=1
                                        ; =>  This Inner Loop Header: Depth=2
	s_add_i32 s23, s88, 0x1000
	s_cmp_gt_u32 s23, s94
	s_cbranch_scc1 .LBB1251_318
; %bb.316:                              ;   in Loop: Header=BB1251_315 Depth=2
	s_lshl_b64 s[16:17], s[88:89], 3
	v_mov_b32_e32 v5, s17
	v_add_co_u32_e32 v64, vcc, s16, v105
	v_addc_co_u32_e32 v65, vcc, v106, v5, vcc
	s_waitcnt vmcnt(11)
	v_add_co_u32_e32 v72, vcc, 0x1000, v64
	v_addc_co_u32_e32 v73, vcc, 0, v65, vcc
	s_waitcnt vmcnt(5)
	;; [unrolled: 3-line block ×3, first 2 shown]
	v_add_co_u32_e32 v82, vcc, s96, v64
	v_addc_co_u32_e32 v83, vcc, 0, v65, vcc
	v_add_co_u32_e32 v86, vcc, s97, v64
	v_addc_co_u32_e32 v87, vcc, 0, v65, vcc
	v_add_co_u32_e32 v88, vcc, s98, v64
	v_addc_co_u32_e32 v89, vcc, 0, v65, vcc
	v_add_co_u32_e32 v92, vcc, s99, v64
	v_addc_co_u32_e32 v93, vcc, 0, v65, vcc
	global_load_dwordx2 v[66:67], v[64:65], off
	global_load_dwordx2 v[68:69], v[64:65], off offset:2048
	global_load_dwordx2 v[70:71], v[72:73], off
	s_nop 0
	global_load_dwordx2 v[72:73], v[72:73], off offset:2048
	s_nop 0
	global_load_dwordx2 v[74:75], v[82:83], off
	global_load_dwordx2 v[76:77], v[82:83], off offset:2048
	global_load_dwordx2 v[80:81], v[88:89], off offset:-4096
	global_load_dwordx2 v[84:85], v[88:89], off
	s_nop 0
	global_load_dwordx2 v[88:89], v[88:89], off offset:2048
	s_nop 0
	global_load_dwordx2 v[78:79], v[78:79], off offset:2048
	;; [unrolled: 2-line block ×3, first 2 shown]
	s_nop 0
	global_load_dwordx2 v[90:91], v[92:93], off
	s_nop 0
	global_load_dwordx2 v[92:93], v[92:93], off offset:2048
	s_waitcnt vmcnt(13)
	v_add_co_u32_e32 v94, vcc, 0x7000, v64
	v_addc_co_u32_e32 v95, vcc, 0, v65, vcc
	global_load_dwordx2 v[82:83], v[82:83], off offset:-4096
	s_nop 0
	global_load_dwordx2 v[94:95], v[94:95], off
	v_add_co_u32_e32 v64, vcc, 0x7800, v64
	s_movk_i32 s24, 0x1000
	v_addc_co_u32_e32 v65, vcc, 0, v65, vcc
	s_mov_b64 s[16:17], -1
	s_cbranch_execz .LBB1251_319
; %bb.317:                              ;   in Loop: Header=BB1251_315 Depth=2
                                        ; implicit-def: $vgpr60_vgpr61
                                        ; implicit-def: $vgpr58_vgpr59
                                        ; implicit-def: $vgpr56_vgpr57
                                        ; implicit-def: $vgpr54_vgpr55
                                        ; implicit-def: $vgpr52_vgpr53
                                        ; implicit-def: $vgpr50_vgpr51
                                        ; implicit-def: $vgpr48_vgpr49
                                        ; implicit-def: $vgpr46_vgpr47
                                        ; implicit-def: $vgpr44_vgpr45
                                        ; implicit-def: $vgpr42_vgpr43
                                        ; implicit-def: $vgpr40_vgpr41
                                        ; implicit-def: $vgpr38_vgpr39
                                        ; implicit-def: $vgpr36_vgpr37
                                        ; implicit-def: $vgpr34_vgpr35
                                        ; implicit-def: $vgpr0_vgpr1
                                        ; implicit-def: $vgpr62_vgpr63
	v_mov_b32_e32 v5, s22
	s_and_saveexec_b64 s[18:19], s[16:17]
	s_cbranch_execnz .LBB1251_338
	s_branch .LBB1251_339
.LBB1251_318:                           ;   in Loop: Header=BB1251_315 Depth=2
	s_mov_b64 s[16:17], 0
                                        ; implicit-def: $sgpr24
                                        ; implicit-def: $vgpr66_vgpr67
                                        ; implicit-def: $vgpr68_vgpr69
                                        ; implicit-def: $vgpr70_vgpr71
                                        ; implicit-def: $vgpr72_vgpr73
                                        ; implicit-def: $vgpr82_vgpr83
                                        ; implicit-def: $vgpr78_vgpr79
                                        ; implicit-def: $vgpr74_vgpr75
                                        ; implicit-def: $vgpr76_vgpr77
                                        ; implicit-def: $vgpr80_vgpr81
                                        ; implicit-def: $vgpr86_vgpr87
                                        ; implicit-def: $vgpr84_vgpr85
                                        ; implicit-def: $vgpr88_vgpr89
                                        ; implicit-def: $vgpr90_vgpr91
                                        ; implicit-def: $vgpr92_vgpr93
                                        ; implicit-def: $vgpr94_vgpr95
                                        ; implicit-def: $vgpr64_vgpr65
.LBB1251_319:                           ;   in Loop: Header=BB1251_315 Depth=2
	s_lshl_b64 s[18:19], s[88:89], 3
	s_add_u32 s18, s74, s18
	s_addc_u32 s19, s75, s19
	v_cmp_gt_u32_e32 vcc, s22, v2
	s_and_saveexec_b64 s[20:21], vcc
	s_cbranch_execz .LBB1251_371
; %bb.320:                              ;   in Loop: Header=BB1251_315 Depth=2
	global_load_dwordx2 v[60:61], v118, s[18:19]
	s_or_b64 exec, exec, s[20:21]
	v_cmp_gt_u32_e32 vcc, s22, v7
	s_and_saveexec_b64 s[20:21], vcc
	s_cbranch_execnz .LBB1251_372
.LBB1251_321:                           ;   in Loop: Header=BB1251_315 Depth=2
	s_or_b64 exec, exec, s[20:21]
	v_cmp_gt_u32_e32 vcc, s22, v6
	s_and_saveexec_b64 s[20:21], vcc
	s_cbranch_execz .LBB1251_373
.LBB1251_322:                           ;   in Loop: Header=BB1251_315 Depth=2
	global_load_dwordx2 v[56:57], v119, s[18:19]
	s_or_b64 exec, exec, s[20:21]
	v_cmp_gt_u32_e32 vcc, s22, v8
	s_and_saveexec_b64 s[20:21], vcc
	s_cbranch_execnz .LBB1251_374
.LBB1251_323:                           ;   in Loop: Header=BB1251_315 Depth=2
	s_or_b64 exec, exec, s[20:21]
	v_cmp_gt_u32_e32 vcc, s22, v10
	s_and_saveexec_b64 s[20:21], vcc
	s_cbranch_execz .LBB1251_375
.LBB1251_324:                           ;   in Loop: Header=BB1251_315 Depth=2
	global_load_dwordx2 v[52:53], v121, s[18:19]
	s_or_b64 exec, exec, s[20:21]
	v_cmp_gt_u32_e32 vcc, s22, v12
	s_and_saveexec_b64 s[20:21], vcc
	s_cbranch_execnz .LBB1251_376
.LBB1251_325:                           ;   in Loop: Header=BB1251_315 Depth=2
	s_or_b64 exec, exec, s[20:21]
	v_cmp_gt_u32_e32 vcc, s22, v14
	s_and_saveexec_b64 s[20:21], vcc
	s_cbranch_execz .LBB1251_377
.LBB1251_326:                           ;   in Loop: Header=BB1251_315 Depth=2
	global_load_dwordx2 v[48:49], v123, s[18:19]
	s_or_b64 exec, exec, s[20:21]
	v_cmp_gt_u32_e32 vcc, s22, v16
	s_and_saveexec_b64 s[20:21], vcc
	s_cbranch_execnz .LBB1251_378
.LBB1251_327:                           ;   in Loop: Header=BB1251_315 Depth=2
	s_or_b64 exec, exec, s[20:21]
	v_cmp_gt_u32_e32 vcc, s22, v18
	s_and_saveexec_b64 s[20:21], vcc
	s_cbranch_execz .LBB1251_379
.LBB1251_328:                           ;   in Loop: Header=BB1251_315 Depth=2
	global_load_dwordx2 v[44:45], v125, s[18:19]
	s_or_b64 exec, exec, s[20:21]
	v_cmp_gt_u32_e32 vcc, s22, v20
	s_and_saveexec_b64 s[20:21], vcc
	s_cbranch_execnz .LBB1251_380
.LBB1251_329:                           ;   in Loop: Header=BB1251_315 Depth=2
	s_or_b64 exec, exec, s[20:21]
	v_cmp_gt_u32_e32 vcc, s22, v22
	s_and_saveexec_b64 s[20:21], vcc
	s_cbranch_execz .LBB1251_381
.LBB1251_330:                           ;   in Loop: Header=BB1251_315 Depth=2
	global_load_dwordx2 v[40:41], v127, s[18:19]
	s_or_b64 exec, exec, s[20:21]
	v_cmp_gt_u32_e32 vcc, s22, v24
	s_and_saveexec_b64 s[20:21], vcc
	s_cbranch_execnz .LBB1251_382
.LBB1251_331:                           ;   in Loop: Header=BB1251_315 Depth=2
	s_or_b64 exec, exec, s[20:21]
	v_cmp_gt_u32_e32 vcc, s22, v26
	s_and_saveexec_b64 s[20:21], vcc
	s_cbranch_execz .LBB1251_383
.LBB1251_332:                           ;   in Loop: Header=BB1251_315 Depth=2
	global_load_dwordx2 v[36:37], v129, s[18:19]
	s_or_b64 exec, exec, s[20:21]
	v_cmp_gt_u32_e32 vcc, s22, v28
	s_and_saveexec_b64 s[20:21], vcc
	s_cbranch_execnz .LBB1251_384
.LBB1251_333:                           ;   in Loop: Header=BB1251_315 Depth=2
	s_or_b64 exec, exec, s[20:21]
	v_cmp_gt_u32_e32 vcc, s22, v30
	s_and_saveexec_b64 s[20:21], vcc
	s_cbranch_execz .LBB1251_335
.LBB1251_334:                           ;   in Loop: Header=BB1251_315 Depth=2
	global_load_dwordx2 v[0:1], v131, s[18:19]
.LBB1251_335:                           ;   in Loop: Header=BB1251_315 Depth=2
	s_or_b64 exec, exec, s[20:21]
	v_cmp_gt_u32_e32 vcc, s22, v32
                                        ; implicit-def: $sgpr24
                                        ; implicit-def: $vgpr64_vgpr65
	s_and_saveexec_b64 s[20:21], vcc
; %bb.336:                              ;   in Loop: Header=BB1251_315 Depth=2
	v_mov_b32_e32 v5, s19
	v_add_co_u32_e32 v64, vcc, s18, v132
	s_sub_i32 s24, s94, s88
	v_addc_co_u32_e32 v65, vcc, 0, v5, vcc
	s_or_b64 s[16:17], s[16:17], exec
                                        ; implicit-def: $vgpr62_vgpr63
; %bb.337:                              ;   in Loop: Header=BB1251_315 Depth=2
	s_or_b64 exec, exec, s[20:21]
	s_waitcnt vmcnt(0)
	v_pk_mov_b32 v[66:67], v[60:61], v[60:61] op_sel:[0,1]
	v_pk_mov_b32 v[68:69], v[58:59], v[58:59] op_sel:[0,1]
	;; [unrolled: 1-line block ×15, first 2 shown]
	v_mov_b32_e32 v5, s22
	s_and_saveexec_b64 s[18:19], s[16:17]
	s_cbranch_execz .LBB1251_339
.LBB1251_338:                           ;   in Loop: Header=BB1251_315 Depth=2
	global_load_dwordx2 v[62:63], v[64:65], off
	v_mov_b32_e32 v5, s24
	s_waitcnt vmcnt(1)
	v_pk_mov_b32 v[0:1], v[94:95], v[94:95] op_sel:[0,1]
	v_pk_mov_b32 v[34:35], v[92:93], v[92:93] op_sel:[0,1]
	;; [unrolled: 1-line block ×15, first 2 shown]
.LBB1251_339:                           ;   in Loop: Header=BB1251_315 Depth=2
	s_or_b64 exec, exec, s[18:19]
	v_cmp_lt_u32_e32 vcc, v2, v5
	s_and_saveexec_b64 s[16:17], vcc
	s_cbranch_execz .LBB1251_355
; %bb.340:                              ;   in Loop: Header=BB1251_315 Depth=2
	v_cmp_lt_i64_e32 vcc, -1, v[60:61]
	v_cndmask_b32_e32 v64, -1, v133, vcc
	s_waitcnt vmcnt(14)
	v_ashrrev_i32_e32 v66, 31, v61
	v_xor_b32_e32 v65, v64, v61
	v_xor_b32_e32 v64, v66, v60
	v_cmp_ne_u64_e32 vcc, s[78:79], v[64:65]
	v_cndmask_b32_e32 v65, v133, v65, vcc
	v_cndmask_b32_e32 v64, 0, v64, vcc
	v_lshrrev_b64 v[64:65], s33, v[64:65]
	v_and_b32_e32 v64, s69, v64
	v_lshl_or_b32 v64, v64, 4, v134
	ds_add_u32 v64, v117
	s_or_b64 exec, exec, s[16:17]
	v_cmp_lt_u32_e32 vcc, v7, v5
	s_and_saveexec_b64 s[16:17], vcc
	s_cbranch_execnz .LBB1251_356
.LBB1251_341:                           ;   in Loop: Header=BB1251_315 Depth=2
	s_or_b64 exec, exec, s[16:17]
	v_cmp_lt_u32_e32 vcc, v6, v5
	s_and_saveexec_b64 s[16:17], vcc
	s_cbranch_execz .LBB1251_357
.LBB1251_342:                           ;   in Loop: Header=BB1251_315 Depth=2
	v_cmp_lt_i64_e32 vcc, -1, v[56:57]
	v_cndmask_b32_e32 v64, -1, v133, vcc
	s_waitcnt vmcnt(14)
	v_ashrrev_i32_e32 v66, 31, v57
	v_xor_b32_e32 v65, v64, v57
	v_xor_b32_e32 v64, v66, v56
	v_cmp_ne_u64_e32 vcc, s[78:79], v[64:65]
	v_cndmask_b32_e32 v65, v133, v65, vcc
	v_cndmask_b32_e32 v64, 0, v64, vcc
	v_lshrrev_b64 v[64:65], s33, v[64:65]
	v_and_b32_e32 v64, s69, v64
	v_lshl_or_b32 v64, v64, 4, v134
	ds_add_u32 v64, v117
	s_or_b64 exec, exec, s[16:17]
	v_cmp_lt_u32_e32 vcc, v8, v5
	s_and_saveexec_b64 s[16:17], vcc
	s_cbranch_execnz .LBB1251_358
.LBB1251_343:                           ;   in Loop: Header=BB1251_315 Depth=2
	s_or_b64 exec, exec, s[16:17]
	v_cmp_lt_u32_e32 vcc, v10, v5
	s_and_saveexec_b64 s[16:17], vcc
	s_cbranch_execz .LBB1251_359
.LBB1251_344:                           ;   in Loop: Header=BB1251_315 Depth=2
	v_cmp_lt_i64_e32 vcc, -1, v[52:53]
	v_cndmask_b32_e32 v64, -1, v133, vcc
	s_waitcnt vmcnt(14)
	v_ashrrev_i32_e32 v66, 31, v53
	v_xor_b32_e32 v65, v64, v53
	v_xor_b32_e32 v64, v66, v52
	v_cmp_ne_u64_e32 vcc, s[78:79], v[64:65]
	v_cndmask_b32_e32 v65, v133, v65, vcc
	v_cndmask_b32_e32 v64, 0, v64, vcc
	v_lshrrev_b64 v[64:65], s33, v[64:65]
	v_and_b32_e32 v64, s69, v64
	v_lshl_or_b32 v64, v64, 4, v134
	ds_add_u32 v64, v117
	s_or_b64 exec, exec, s[16:17]
	v_cmp_lt_u32_e32 vcc, v12, v5
	s_and_saveexec_b64 s[16:17], vcc
	s_cbranch_execnz .LBB1251_360
.LBB1251_345:                           ;   in Loop: Header=BB1251_315 Depth=2
	s_or_b64 exec, exec, s[16:17]
	v_cmp_lt_u32_e32 vcc, v14, v5
	s_and_saveexec_b64 s[16:17], vcc
	s_cbranch_execz .LBB1251_361
.LBB1251_346:                           ;   in Loop: Header=BB1251_315 Depth=2
	v_cmp_lt_i64_e32 vcc, -1, v[48:49]
	v_cndmask_b32_e32 v64, -1, v133, vcc
	s_waitcnt vmcnt(14)
	v_ashrrev_i32_e32 v66, 31, v49
	v_xor_b32_e32 v65, v64, v49
	v_xor_b32_e32 v64, v66, v48
	v_cmp_ne_u64_e32 vcc, s[78:79], v[64:65]
	v_cndmask_b32_e32 v65, v133, v65, vcc
	v_cndmask_b32_e32 v64, 0, v64, vcc
	v_lshrrev_b64 v[64:65], s33, v[64:65]
	v_and_b32_e32 v64, s69, v64
	v_lshl_or_b32 v64, v64, 4, v134
	ds_add_u32 v64, v117
	s_or_b64 exec, exec, s[16:17]
	v_cmp_lt_u32_e32 vcc, v16, v5
	s_and_saveexec_b64 s[16:17], vcc
	s_cbranch_execnz .LBB1251_362
.LBB1251_347:                           ;   in Loop: Header=BB1251_315 Depth=2
	s_or_b64 exec, exec, s[16:17]
	v_cmp_lt_u32_e32 vcc, v18, v5
	s_and_saveexec_b64 s[16:17], vcc
	s_cbranch_execz .LBB1251_363
.LBB1251_348:                           ;   in Loop: Header=BB1251_315 Depth=2
	v_cmp_lt_i64_e32 vcc, -1, v[44:45]
	v_cndmask_b32_e32 v64, -1, v133, vcc
	s_waitcnt vmcnt(14)
	v_ashrrev_i32_e32 v66, 31, v45
	v_xor_b32_e32 v65, v64, v45
	v_xor_b32_e32 v64, v66, v44
	v_cmp_ne_u64_e32 vcc, s[78:79], v[64:65]
	v_cndmask_b32_e32 v65, v133, v65, vcc
	v_cndmask_b32_e32 v64, 0, v64, vcc
	v_lshrrev_b64 v[64:65], s33, v[64:65]
	v_and_b32_e32 v64, s69, v64
	v_lshl_or_b32 v64, v64, 4, v134
	ds_add_u32 v64, v117
	s_or_b64 exec, exec, s[16:17]
	v_cmp_lt_u32_e32 vcc, v20, v5
	s_and_saveexec_b64 s[16:17], vcc
	s_cbranch_execnz .LBB1251_364
.LBB1251_349:                           ;   in Loop: Header=BB1251_315 Depth=2
	s_or_b64 exec, exec, s[16:17]
	v_cmp_lt_u32_e32 vcc, v22, v5
	s_and_saveexec_b64 s[16:17], vcc
	s_cbranch_execz .LBB1251_365
.LBB1251_350:                           ;   in Loop: Header=BB1251_315 Depth=2
	v_cmp_lt_i64_e32 vcc, -1, v[40:41]
	v_cndmask_b32_e32 v64, -1, v133, vcc
	s_waitcnt vmcnt(14)
	v_ashrrev_i32_e32 v66, 31, v41
	v_xor_b32_e32 v65, v64, v41
	v_xor_b32_e32 v64, v66, v40
	v_cmp_ne_u64_e32 vcc, s[78:79], v[64:65]
	v_cndmask_b32_e32 v65, v133, v65, vcc
	v_cndmask_b32_e32 v64, 0, v64, vcc
	v_lshrrev_b64 v[64:65], s33, v[64:65]
	v_and_b32_e32 v64, s69, v64
	v_lshl_or_b32 v64, v64, 4, v134
	ds_add_u32 v64, v117
	s_or_b64 exec, exec, s[16:17]
	v_cmp_lt_u32_e32 vcc, v24, v5
	s_and_saveexec_b64 s[16:17], vcc
	s_cbranch_execnz .LBB1251_366
.LBB1251_351:                           ;   in Loop: Header=BB1251_315 Depth=2
	s_or_b64 exec, exec, s[16:17]
	v_cmp_lt_u32_e32 vcc, v26, v5
	s_and_saveexec_b64 s[16:17], vcc
	s_cbranch_execz .LBB1251_367
.LBB1251_352:                           ;   in Loop: Header=BB1251_315 Depth=2
	v_cmp_lt_i64_e32 vcc, -1, v[36:37]
	v_cndmask_b32_e32 v64, -1, v133, vcc
	s_waitcnt vmcnt(14)
	v_ashrrev_i32_e32 v66, 31, v37
	v_xor_b32_e32 v65, v64, v37
	v_xor_b32_e32 v64, v66, v36
	v_cmp_ne_u64_e32 vcc, s[78:79], v[64:65]
	v_cndmask_b32_e32 v65, v133, v65, vcc
	v_cndmask_b32_e32 v64, 0, v64, vcc
	v_lshrrev_b64 v[64:65], s33, v[64:65]
	v_and_b32_e32 v64, s69, v64
	v_lshl_or_b32 v64, v64, 4, v134
	ds_add_u32 v64, v117
	s_or_b64 exec, exec, s[16:17]
	v_cmp_lt_u32_e32 vcc, v28, v5
	s_and_saveexec_b64 s[16:17], vcc
	s_cbranch_execnz .LBB1251_368
.LBB1251_353:                           ;   in Loop: Header=BB1251_315 Depth=2
	s_or_b64 exec, exec, s[16:17]
	v_cmp_lt_u32_e32 vcc, v30, v5
	s_and_saveexec_b64 s[16:17], vcc
	s_cbranch_execz .LBB1251_369
.LBB1251_354:                           ;   in Loop: Header=BB1251_315 Depth=2
	v_cmp_lt_i64_e32 vcc, -1, v[0:1]
	v_cndmask_b32_e32 v64, -1, v133, vcc
	s_waitcnt vmcnt(14)
	v_ashrrev_i32_e32 v66, 31, v1
	v_xor_b32_e32 v65, v64, v1
	v_xor_b32_e32 v64, v66, v0
	v_cmp_ne_u64_e32 vcc, s[78:79], v[64:65]
	v_cndmask_b32_e32 v65, v133, v65, vcc
	v_cndmask_b32_e32 v64, 0, v64, vcc
	v_lshrrev_b64 v[64:65], s33, v[64:65]
	v_and_b32_e32 v64, s69, v64
	v_lshl_or_b32 v64, v64, 4, v134
	ds_add_u32 v64, v117
	s_or_b64 exec, exec, s[16:17]
	v_cmp_lt_u32_e32 vcc, v32, v5
	s_and_saveexec_b64 s[16:17], vcc
	s_cbranch_execz .LBB1251_314
	s_branch .LBB1251_370
.LBB1251_355:                           ;   in Loop: Header=BB1251_315 Depth=2
	s_or_b64 exec, exec, s[16:17]
	v_cmp_lt_u32_e32 vcc, v7, v5
	s_and_saveexec_b64 s[16:17], vcc
	s_cbranch_execz .LBB1251_341
.LBB1251_356:                           ;   in Loop: Header=BB1251_315 Depth=2
	v_cmp_lt_i64_e32 vcc, -1, v[58:59]
	v_cndmask_b32_e32 v64, -1, v133, vcc
	s_waitcnt vmcnt(14)
	v_ashrrev_i32_e32 v66, 31, v59
	v_xor_b32_e32 v65, v64, v59
	v_xor_b32_e32 v64, v66, v58
	v_cmp_ne_u64_e32 vcc, s[78:79], v[64:65]
	v_cndmask_b32_e32 v65, v133, v65, vcc
	v_cndmask_b32_e32 v64, 0, v64, vcc
	v_lshrrev_b64 v[64:65], s33, v[64:65]
	v_and_b32_e32 v64, s69, v64
	v_lshl_or_b32 v64, v64, 4, v134
	ds_add_u32 v64, v117
	s_or_b64 exec, exec, s[16:17]
	v_cmp_lt_u32_e32 vcc, v6, v5
	s_and_saveexec_b64 s[16:17], vcc
	s_cbranch_execnz .LBB1251_342
.LBB1251_357:                           ;   in Loop: Header=BB1251_315 Depth=2
	s_or_b64 exec, exec, s[16:17]
	v_cmp_lt_u32_e32 vcc, v8, v5
	s_and_saveexec_b64 s[16:17], vcc
	s_cbranch_execz .LBB1251_343
.LBB1251_358:                           ;   in Loop: Header=BB1251_315 Depth=2
	v_cmp_lt_i64_e32 vcc, -1, v[54:55]
	v_cndmask_b32_e32 v64, -1, v133, vcc
	s_waitcnt vmcnt(14)
	v_ashrrev_i32_e32 v66, 31, v55
	v_xor_b32_e32 v65, v64, v55
	v_xor_b32_e32 v64, v66, v54
	v_cmp_ne_u64_e32 vcc, s[78:79], v[64:65]
	v_cndmask_b32_e32 v65, v133, v65, vcc
	v_cndmask_b32_e32 v64, 0, v64, vcc
	v_lshrrev_b64 v[64:65], s33, v[64:65]
	v_and_b32_e32 v64, s69, v64
	v_lshl_or_b32 v64, v64, 4, v134
	ds_add_u32 v64, v117
	s_or_b64 exec, exec, s[16:17]
	v_cmp_lt_u32_e32 vcc, v10, v5
	s_and_saveexec_b64 s[16:17], vcc
	s_cbranch_execnz .LBB1251_344
.LBB1251_359:                           ;   in Loop: Header=BB1251_315 Depth=2
	s_or_b64 exec, exec, s[16:17]
	v_cmp_lt_u32_e32 vcc, v12, v5
	s_and_saveexec_b64 s[16:17], vcc
	s_cbranch_execz .LBB1251_345
.LBB1251_360:                           ;   in Loop: Header=BB1251_315 Depth=2
	v_cmp_lt_i64_e32 vcc, -1, v[50:51]
	v_cndmask_b32_e32 v64, -1, v133, vcc
	s_waitcnt vmcnt(14)
	v_ashrrev_i32_e32 v66, 31, v51
	v_xor_b32_e32 v65, v64, v51
	v_xor_b32_e32 v64, v66, v50
	v_cmp_ne_u64_e32 vcc, s[78:79], v[64:65]
	v_cndmask_b32_e32 v65, v133, v65, vcc
	v_cndmask_b32_e32 v64, 0, v64, vcc
	v_lshrrev_b64 v[64:65], s33, v[64:65]
	v_and_b32_e32 v64, s69, v64
	v_lshl_or_b32 v64, v64, 4, v134
	ds_add_u32 v64, v117
	s_or_b64 exec, exec, s[16:17]
	v_cmp_lt_u32_e32 vcc, v14, v5
	s_and_saveexec_b64 s[16:17], vcc
	s_cbranch_execnz .LBB1251_346
.LBB1251_361:                           ;   in Loop: Header=BB1251_315 Depth=2
	s_or_b64 exec, exec, s[16:17]
	v_cmp_lt_u32_e32 vcc, v16, v5
	s_and_saveexec_b64 s[16:17], vcc
	s_cbranch_execz .LBB1251_347
.LBB1251_362:                           ;   in Loop: Header=BB1251_315 Depth=2
	v_cmp_lt_i64_e32 vcc, -1, v[46:47]
	v_cndmask_b32_e32 v64, -1, v133, vcc
	s_waitcnt vmcnt(14)
	v_ashrrev_i32_e32 v66, 31, v47
	v_xor_b32_e32 v65, v64, v47
	v_xor_b32_e32 v64, v66, v46
	v_cmp_ne_u64_e32 vcc, s[78:79], v[64:65]
	v_cndmask_b32_e32 v65, v133, v65, vcc
	v_cndmask_b32_e32 v64, 0, v64, vcc
	v_lshrrev_b64 v[64:65], s33, v[64:65]
	v_and_b32_e32 v64, s69, v64
	v_lshl_or_b32 v64, v64, 4, v134
	ds_add_u32 v64, v117
	s_or_b64 exec, exec, s[16:17]
	v_cmp_lt_u32_e32 vcc, v18, v5
	s_and_saveexec_b64 s[16:17], vcc
	s_cbranch_execnz .LBB1251_348
.LBB1251_363:                           ;   in Loop: Header=BB1251_315 Depth=2
	s_or_b64 exec, exec, s[16:17]
	v_cmp_lt_u32_e32 vcc, v20, v5
	s_and_saveexec_b64 s[16:17], vcc
	s_cbranch_execz .LBB1251_349
.LBB1251_364:                           ;   in Loop: Header=BB1251_315 Depth=2
	v_cmp_lt_i64_e32 vcc, -1, v[42:43]
	v_cndmask_b32_e32 v64, -1, v133, vcc
	s_waitcnt vmcnt(14)
	v_ashrrev_i32_e32 v66, 31, v43
	v_xor_b32_e32 v65, v64, v43
	v_xor_b32_e32 v64, v66, v42
	v_cmp_ne_u64_e32 vcc, s[78:79], v[64:65]
	v_cndmask_b32_e32 v65, v133, v65, vcc
	v_cndmask_b32_e32 v64, 0, v64, vcc
	v_lshrrev_b64 v[64:65], s33, v[64:65]
	v_and_b32_e32 v64, s69, v64
	v_lshl_or_b32 v64, v64, 4, v134
	ds_add_u32 v64, v117
	s_or_b64 exec, exec, s[16:17]
	v_cmp_lt_u32_e32 vcc, v22, v5
	s_and_saveexec_b64 s[16:17], vcc
	s_cbranch_execnz .LBB1251_350
.LBB1251_365:                           ;   in Loop: Header=BB1251_315 Depth=2
	s_or_b64 exec, exec, s[16:17]
	v_cmp_lt_u32_e32 vcc, v24, v5
	s_and_saveexec_b64 s[16:17], vcc
	s_cbranch_execz .LBB1251_351
.LBB1251_366:                           ;   in Loop: Header=BB1251_315 Depth=2
	v_cmp_lt_i64_e32 vcc, -1, v[38:39]
	v_cndmask_b32_e32 v64, -1, v133, vcc
	s_waitcnt vmcnt(14)
	v_ashrrev_i32_e32 v66, 31, v39
	v_xor_b32_e32 v65, v64, v39
	v_xor_b32_e32 v64, v66, v38
	v_cmp_ne_u64_e32 vcc, s[78:79], v[64:65]
	v_cndmask_b32_e32 v65, v133, v65, vcc
	v_cndmask_b32_e32 v64, 0, v64, vcc
	v_lshrrev_b64 v[64:65], s33, v[64:65]
	v_and_b32_e32 v64, s69, v64
	v_lshl_or_b32 v64, v64, 4, v134
	ds_add_u32 v64, v117
	s_or_b64 exec, exec, s[16:17]
	v_cmp_lt_u32_e32 vcc, v26, v5
	s_and_saveexec_b64 s[16:17], vcc
	s_cbranch_execnz .LBB1251_352
.LBB1251_367:                           ;   in Loop: Header=BB1251_315 Depth=2
	s_or_b64 exec, exec, s[16:17]
	v_cmp_lt_u32_e32 vcc, v28, v5
	s_and_saveexec_b64 s[16:17], vcc
	s_cbranch_execz .LBB1251_353
.LBB1251_368:                           ;   in Loop: Header=BB1251_315 Depth=2
	v_cmp_lt_i64_e32 vcc, -1, v[34:35]
	v_cndmask_b32_e32 v64, -1, v133, vcc
	s_waitcnt vmcnt(14)
	v_ashrrev_i32_e32 v66, 31, v35
	v_xor_b32_e32 v65, v64, v35
	v_xor_b32_e32 v64, v66, v34
	v_cmp_ne_u64_e32 vcc, s[78:79], v[64:65]
	v_cndmask_b32_e32 v65, v133, v65, vcc
	v_cndmask_b32_e32 v64, 0, v64, vcc
	v_lshrrev_b64 v[64:65], s33, v[64:65]
	v_and_b32_e32 v64, s69, v64
	v_lshl_or_b32 v64, v64, 4, v134
	ds_add_u32 v64, v117
	s_or_b64 exec, exec, s[16:17]
	v_cmp_lt_u32_e32 vcc, v30, v5
	s_and_saveexec_b64 s[16:17], vcc
	s_cbranch_execnz .LBB1251_354
.LBB1251_369:                           ;   in Loop: Header=BB1251_315 Depth=2
	s_or_b64 exec, exec, s[16:17]
	v_cmp_lt_u32_e32 vcc, v32, v5
	s_and_saveexec_b64 s[16:17], vcc
	s_cbranch_execz .LBB1251_314
.LBB1251_370:                           ;   in Loop: Header=BB1251_315 Depth=2
	s_waitcnt vmcnt(0)
	v_cmp_lt_i64_e32 vcc, -1, v[62:63]
	v_cndmask_b32_e32 v5, -1, v133, vcc
	v_ashrrev_i32_e32 v64, 31, v63
	v_xor_b32_e32 v65, v5, v63
	v_xor_b32_e32 v64, v64, v62
	v_cmp_ne_u64_e32 vcc, s[78:79], v[64:65]
	v_cndmask_b32_e32 v65, v133, v65, vcc
	v_cndmask_b32_e32 v64, 0, v64, vcc
	v_lshrrev_b64 v[64:65], s33, v[64:65]
	v_and_b32_e32 v5, s69, v64
	v_lshl_or_b32 v5, v5, 4, v134
	ds_add_u32 v5, v117
	s_branch .LBB1251_314
.LBB1251_371:                           ;   in Loop: Header=BB1251_315 Depth=2
	s_or_b64 exec, exec, s[20:21]
	v_cmp_gt_u32_e32 vcc, s22, v7
	s_and_saveexec_b64 s[20:21], vcc
	s_cbranch_execz .LBB1251_321
.LBB1251_372:                           ;   in Loop: Header=BB1251_315 Depth=2
	global_load_dwordx2 v[58:59], v118, s[18:19] offset:2048
	s_or_b64 exec, exec, s[20:21]
	v_cmp_gt_u32_e32 vcc, s22, v6
	s_and_saveexec_b64 s[20:21], vcc
	s_cbranch_execnz .LBB1251_322
.LBB1251_373:                           ;   in Loop: Header=BB1251_315 Depth=2
	s_or_b64 exec, exec, s[20:21]
	v_cmp_gt_u32_e32 vcc, s22, v8
	s_and_saveexec_b64 s[20:21], vcc
	s_cbranch_execz .LBB1251_323
.LBB1251_374:                           ;   in Loop: Header=BB1251_315 Depth=2
	global_load_dwordx2 v[54:55], v120, s[18:19]
	s_or_b64 exec, exec, s[20:21]
	v_cmp_gt_u32_e32 vcc, s22, v10
	s_and_saveexec_b64 s[20:21], vcc
	s_cbranch_execnz .LBB1251_324
.LBB1251_375:                           ;   in Loop: Header=BB1251_315 Depth=2
	s_or_b64 exec, exec, s[20:21]
	v_cmp_gt_u32_e32 vcc, s22, v12
	s_and_saveexec_b64 s[20:21], vcc
	s_cbranch_execz .LBB1251_325
.LBB1251_376:                           ;   in Loop: Header=BB1251_315 Depth=2
	global_load_dwordx2 v[50:51], v122, s[18:19]
	s_or_b64 exec, exec, s[20:21]
	v_cmp_gt_u32_e32 vcc, s22, v14
	s_and_saveexec_b64 s[20:21], vcc
	s_cbranch_execnz .LBB1251_326
.LBB1251_377:                           ;   in Loop: Header=BB1251_315 Depth=2
	s_or_b64 exec, exec, s[20:21]
	v_cmp_gt_u32_e32 vcc, s22, v16
	s_and_saveexec_b64 s[20:21], vcc
	s_cbranch_execz .LBB1251_327
.LBB1251_378:                           ;   in Loop: Header=BB1251_315 Depth=2
	global_load_dwordx2 v[46:47], v124, s[18:19]
	s_or_b64 exec, exec, s[20:21]
	v_cmp_gt_u32_e32 vcc, s22, v18
	s_and_saveexec_b64 s[20:21], vcc
	s_cbranch_execnz .LBB1251_328
.LBB1251_379:                           ;   in Loop: Header=BB1251_315 Depth=2
	s_or_b64 exec, exec, s[20:21]
	v_cmp_gt_u32_e32 vcc, s22, v20
	s_and_saveexec_b64 s[20:21], vcc
	s_cbranch_execz .LBB1251_329
.LBB1251_380:                           ;   in Loop: Header=BB1251_315 Depth=2
	global_load_dwordx2 v[42:43], v126, s[18:19]
	s_or_b64 exec, exec, s[20:21]
	v_cmp_gt_u32_e32 vcc, s22, v22
	s_and_saveexec_b64 s[20:21], vcc
	s_cbranch_execnz .LBB1251_330
.LBB1251_381:                           ;   in Loop: Header=BB1251_315 Depth=2
	s_or_b64 exec, exec, s[20:21]
	v_cmp_gt_u32_e32 vcc, s22, v24
	s_and_saveexec_b64 s[20:21], vcc
	s_cbranch_execz .LBB1251_331
.LBB1251_382:                           ;   in Loop: Header=BB1251_315 Depth=2
	global_load_dwordx2 v[38:39], v128, s[18:19]
	s_or_b64 exec, exec, s[20:21]
	v_cmp_gt_u32_e32 vcc, s22, v26
	s_and_saveexec_b64 s[20:21], vcc
	s_cbranch_execnz .LBB1251_332
.LBB1251_383:                           ;   in Loop: Header=BB1251_315 Depth=2
	s_or_b64 exec, exec, s[20:21]
	v_cmp_gt_u32_e32 vcc, s22, v28
	s_and_saveexec_b64 s[20:21], vcc
	s_cbranch_execz .LBB1251_333
.LBB1251_384:                           ;   in Loop: Header=BB1251_315 Depth=2
	global_load_dwordx2 v[34:35], v130, s[18:19]
	s_or_b64 exec, exec, s[20:21]
	v_cmp_gt_u32_e32 vcc, s22, v30
	s_and_saveexec_b64 s[20:21], vcc
	s_cbranch_execz .LBB1251_335
	s_branch .LBB1251_334
.LBB1251_385:                           ;   in Loop: Header=BB1251_17 Depth=1
	v_mov_b32_e32 v0, 0
	s_waitcnt lgkmcnt(0)
	s_barrier
	s_and_saveexec_b64 s[16:17], s[4:5]
	s_cbranch_execz .LBB1251_387
; %bb.386:                              ;   in Loop: Header=BB1251_17 Depth=1
	ds_read2_b64 v[34:37], v13 offset1:1
	s_waitcnt lgkmcnt(0)
	v_add_u32_e32 v0, v35, v34
	v_add3_u32 v0, v0, v36, v37
.LBB1251_387:                           ;   in Loop: Header=BB1251_17 Depth=1
	s_or_b64 exec, exec, s[16:17]
	s_nop 0
	v_mov_b32_dpp v1, v0 row_shr:1 row_mask:0xf bank_mask:0xf
	v_cmp_eq_u32_e64 s[16:17], 0, v136
	v_cndmask_b32_e64 v1, v1, 0, s[16:17]
	v_add_u32_e32 v0, v1, v0
	v_cmp_lt_u32_e64 s[18:19], 1, v136
	v_cmp_lt_u32_e64 s[20:21], 3, v136
	v_mov_b32_dpp v1, v0 row_shr:2 row_mask:0xf bank_mask:0xf
	v_cndmask_b32_e64 v1, 0, v1, s[18:19]
	v_add_u32_e32 v0, v0, v1
	v_cmp_lt_u32_e64 s[22:23], 7, v136
	v_cmp_lt_u32_e64 s[26:27], 31, v135
	v_mov_b32_dpp v1, v0 row_shr:4 row_mask:0xf bank_mask:0xf
	v_cndmask_b32_e64 v1, 0, v1, s[20:21]
	v_add_u32_e32 v0, v0, v1
	v_cmp_eq_u32_e64 s[24:25], 0, v138
	s_nop 0
	v_mov_b32_dpp v1, v0 row_shr:8 row_mask:0xf bank_mask:0xf
	v_cndmask_b32_e64 v1, 0, v1, s[22:23]
	v_add_u32_e32 v0, v0, v1
	s_nop 1
	v_mov_b32_dpp v1, v0 row_bcast:15 row_mask:0xf bank_mask:0xf
	v_and_b32_e32 v1, v137, v1
	v_add_u32_e32 v0, v0, v1
	s_nop 1
	v_mov_b32_dpp v1, v0 row_bcast:31 row_mask:0xf bank_mask:0xf
	v_cndmask_b32_e64 v1, 0, v1, s[26:27]
	v_add_u32_e32 v0, v0, v1
	s_and_saveexec_b64 s[28:29], s[6:7]
	v_readlane_b32 s38, v236, 2
	s_cbranch_execz .LBB1251_389
; %bb.388:                              ;   in Loop: Header=BB1251_17 Depth=1
	ds_write_b32 v17, v0
.LBB1251_389:                           ;   in Loop: Header=BB1251_17 Depth=1
	s_or_b64 exec, exec, s[28:29]
	s_waitcnt lgkmcnt(0)
	s_barrier
	s_and_saveexec_b64 s[28:29], s[8:9]
	s_cbranch_execz .LBB1251_391
; %bb.390:                              ;   in Loop: Header=BB1251_17 Depth=1
	ds_read_b32 v1, v19
	v_cmp_ne_u32_e32 vcc, 0, v139
	s_waitcnt lgkmcnt(0)
	v_mov_b32_dpp v5, v1 row_shr:1 row_mask:0xf bank_mask:0xf
	v_cndmask_b32_e32 v5, 0, v5, vcc
	v_add_u32_e32 v1, v5, v1
	v_cmp_lt_u32_e32 vcc, 1, v139
	s_nop 0
	v_mov_b32_dpp v5, v1 row_shr:2 row_mask:0xf bank_mask:0xf
	v_cndmask_b32_e32 v5, 0, v5, vcc
	v_add_u32_e32 v1, v1, v5
	ds_write_b32 v19, v1
.LBB1251_391:                           ;   in Loop: Header=BB1251_17 Depth=1
	s_or_b64 exec, exec, s[28:29]
	v_mov_b32_e32 v1, 0
	s_waitcnt lgkmcnt(0)
	s_barrier
	s_and_saveexec_b64 s[28:29], s[10:11]
	s_cbranch_execz .LBB1251_393
; %bb.392:                              ;   in Loop: Header=BB1251_17 Depth=1
	ds_read_b32 v1, v21
.LBB1251_393:                           ;   in Loop: Header=BB1251_17 Depth=1
	s_or_b64 exec, exec, s[28:29]
	v_cmp_lt_i32_e32 vcc, v140, v141
	v_cndmask_b32_e32 v5, v140, v135, vcc
	s_waitcnt lgkmcnt(0)
	v_add_u32_e32 v0, v1, v0
	v_lshlrev_b32_e32 v159, 2, v5
	ds_bpermute_b32 v0, v159, v0
	v_cmp_eq_u32_e64 s[28:29], 0, v135
	s_waitcnt lgkmcnt(0)
	s_barrier
	s_and_saveexec_b64 s[30:31], s[4:5]
	s_cbranch_execz .LBB1251_395
; %bb.394:                              ;   in Loop: Header=BB1251_17 Depth=1
	v_cndmask_b32_e64 v0, v0, v1, s[28:29]
	v_add_u32_e32 v0, s38, v0
	ds_write_b32 v3, v0
.LBB1251_395:                           ;   in Loop: Header=BB1251_17 Depth=1
	s_or_b64 exec, exec, s[30:31]
	s_load_dwordx2 s[30:31], s[90:91], 0x0
	v_readlane_b32 s34, v236, 1
	v_add_co_u32_e32 v160, vcc, v107, v142
	v_addc_co_u32_e32 v161, vcc, 0, v108, vcc
	s_waitcnt lgkmcnt(0)
	s_cmp_lt_u32 s34, s30
	v_readlane_b32 s30, v236, 0
	s_cselect_b32 s34, 12, 18
	s_cmp_lt_u32 s30, s31
	s_cselect_b32 s30, 14, 20
	s_add_u32 s30, s90, s30
	s_addc_u32 s31, s91, 0
	s_add_u32 s34, s90, s34
	global_load_ushort v5, v4, s[30:31]
	s_addc_u32 s35, s91, 0
	global_load_ushort v64, v4, s[34:35]
	v_add_co_u32_e32 v162, vcc, v109, v142
	v_addc_co_u32_e32 v163, vcc, 0, v110, vcc
	v_add_co_u32_e32 v170, vcc, 0x1e00, v162
	v_cmp_eq_u32_e64 s[30:31], 0, v139
	v_cmp_lt_u32_e64 s[34:35], 1, v139
	s_mov_b32 s86, s85
	v_addc_co_u32_e32 v173, vcc, 0, v163, vcc
	s_mov_b32 s88, s38
                                        ; implicit-def: $vgpr0_vgpr1
                                        ; implicit-def: $vgpr34_vgpr35
                                        ; implicit-def: $vgpr38_vgpr39
                                        ; implicit-def: $vgpr42_vgpr43
                                        ; implicit-def: $vgpr46_vgpr47
                                        ; implicit-def: $vgpr50_vgpr51
                                        ; implicit-def: $vgpr54_vgpr55
                                        ; implicit-def: $vgpr58_vgpr59
                                        ; implicit-def: $vgpr36_vgpr37
                                        ; implicit-def: $vgpr40_vgpr41
                                        ; implicit-def: $vgpr44_vgpr45
                                        ; implicit-def: $vgpr48_vgpr49
                                        ; implicit-def: $vgpr52_vgpr53
                                        ; implicit-def: $vgpr56_vgpr57
                                        ; implicit-def: $vgpr60_vgpr61
                                        ; implicit-def: $vgpr62_vgpr63
                                        ; implicit-def: $vgpr164
                                        ; implicit-def: $vgpr165
                                        ; implicit-def: $vgpr166
                                        ; implicit-def: $vgpr167
                                        ; implicit-def: $vgpr168
                                        ; implicit-def: $vgpr169
                                        ; implicit-def: $vgpr171
                                        ; implicit-def: $vgpr172
                                        ; implicit-def: $vgpr174
                                        ; implicit-def: $vgpr175
                                        ; implicit-def: $vgpr176
                                        ; implicit-def: $vgpr178
                                        ; implicit-def: $vgpr179
                                        ; implicit-def: $vgpr180
                                        ; implicit-def: $vgpr181
                                        ; implicit-def: $vgpr182
	s_waitcnt vmcnt(1)
	v_mad_u32_u24 v5, v23, v5, v25
	s_waitcnt vmcnt(0)
	v_mad_u64_u32 v[64:65], s[36:37], v5, v64, v[2:3]
	v_lshrrev_b32_e32 v177, 6, v64
	s_branch .LBB1251_397
.LBB1251_396:                           ;   in Loop: Header=BB1251_397 Depth=2
	s_or_b64 exec, exec, s[36:37]
	s_addk_i32 s86, 0xf000
	s_cmp_lt_u32 s87, s94
	s_mov_b32 s88, s87
	s_cbranch_scc0 .LBB1251_605
.LBB1251_397:                           ;   Parent Loop BB1251_17 Depth=1
                                        ; =>  This Inner Loop Header: Depth=2
	s_add_i32 s87, s88, 0x1000
	s_cmp_gt_u32 s87, s94
	s_cbranch_scc1 .LBB1251_399
; %bb.398:                              ;   in Loop: Header=BB1251_397 Depth=2
	s_lshl_b64 s[36:37], s[88:89], 3
	v_mov_b32_e32 v5, s37
	v_add_co_u32_e32 v68, vcc, s36, v162
	v_addc_co_u32_e32 v69, vcc, v163, v5, vcc
	global_load_dwordx2 v[64:65], v[68:69], off
	global_load_dwordx2 v[66:67], v[68:69], off offset:512
	global_load_dwordx2 v[74:75], v[68:69], off offset:1024
	;; [unrolled: 1-line block ×7, first 2 shown]
	v_add_co_u32_e32 v68, vcc, 0x1000, v68
	v_addc_co_u32_e32 v69, vcc, 0, v69, vcc
	global_load_dwordx2 v[92:93], v[68:69], off
	global_load_dwordx2 v[88:89], v[68:69], off offset:512
	global_load_dwordx2 v[84:85], v[68:69], off offset:1024
	;; [unrolled: 1-line block ×5, first 2 shown]
	s_nop 0
	global_load_dwordx2 v[68:69], v[68:69], off offset:3072
	s_movk_i32 s40, 0x1000
	s_mov_b64 s[36:37], -1
	s_cbranch_execz .LBB1251_400
	s_branch .LBB1251_431
.LBB1251_399:                           ;   in Loop: Header=BB1251_397 Depth=2
	s_mov_b64 s[36:37], 0
                                        ; implicit-def: $sgpr40
                                        ; implicit-def: $vgpr64_vgpr65
                                        ; implicit-def: $vgpr66_vgpr67
                                        ; implicit-def: $vgpr74_vgpr75
                                        ; implicit-def: $vgpr78_vgpr79
                                        ; implicit-def: $vgpr82_vgpr83
                                        ; implicit-def: $vgpr86_vgpr87
                                        ; implicit-def: $vgpr90_vgpr91
                                        ; implicit-def: $vgpr94_vgpr95
                                        ; implicit-def: $vgpr92_vgpr93
                                        ; implicit-def: $vgpr88_vgpr89
                                        ; implicit-def: $vgpr84_vgpr85
                                        ; implicit-def: $vgpr80_vgpr81
                                        ; implicit-def: $vgpr76_vgpr77
                                        ; implicit-def: $vgpr72_vgpr73
                                        ; implicit-def: $vgpr68_vgpr69
.LBB1251_400:                           ;   in Loop: Header=BB1251_397 Depth=2
	s_lshl_b64 s[36:37], s[88:89], 3
	v_mov_b32_e32 v5, s37
	v_add_co_u32_e32 v70, vcc, s36, v162
	v_addc_co_u32_e32 v71, vcc, v163, v5, vcc
	v_cmp_gt_u32_e32 vcc, s86, v143
	s_waitcnt vmcnt(14)
	v_pk_mov_b32 v[64:65], s[78:79], s[78:79] op_sel:[0,1]
	s_and_saveexec_b64 s[36:37], vcc
	s_cbranch_execz .LBB1251_402
; %bb.401:                              ;   in Loop: Header=BB1251_397 Depth=2
	global_load_dwordx2 v[64:65], v[70:71], off
.LBB1251_402:                           ;   in Loop: Header=BB1251_397 Depth=2
	s_or_b64 exec, exec, s[36:37]
	v_cmp_gt_u32_e32 vcc, s86, v144
	s_waitcnt vmcnt(13)
	v_pk_mov_b32 v[66:67], s[78:79], s[78:79] op_sel:[0,1]
	s_and_saveexec_b64 s[36:37], vcc
	s_cbranch_execz .LBB1251_404
; %bb.403:                              ;   in Loop: Header=BB1251_397 Depth=2
	global_load_dwordx2 v[66:67], v[70:71], off offset:512
.LBB1251_404:                           ;   in Loop: Header=BB1251_397 Depth=2
	s_or_b64 exec, exec, s[36:37]
	v_cmp_gt_u32_e32 vcc, s86, v145
	s_waitcnt vmcnt(12)
	v_pk_mov_b32 v[74:75], s[78:79], s[78:79] op_sel:[0,1]
	s_and_saveexec_b64 s[36:37], vcc
	s_cbranch_execz .LBB1251_406
; %bb.405:                              ;   in Loop: Header=BB1251_397 Depth=2
	global_load_dwordx2 v[74:75], v[70:71], off offset:1024
.LBB1251_406:                           ;   in Loop: Header=BB1251_397 Depth=2
	;; [unrolled: 9-line block ×7, first 2 shown]
	s_or_b64 exec, exec, s[36:37]
	v_cmp_gt_u32_e32 vcc, s86, v151
	s_waitcnt vmcnt(6)
	v_pk_mov_b32 v[92:93], s[78:79], s[78:79] op_sel:[0,1]
	s_and_saveexec_b64 s[36:37], vcc
	s_cbranch_execz .LBB1251_418
; %bb.417:                              ;   in Loop: Header=BB1251_397 Depth=2
	s_waitcnt vmcnt(0)
	v_add_co_u32_e32 v68, vcc, 0x1000, v70
	v_addc_co_u32_e32 v69, vcc, 0, v71, vcc
	global_load_dwordx2 v[92:93], v[68:69], off
.LBB1251_418:                           ;   in Loop: Header=BB1251_397 Depth=2
	s_or_b64 exec, exec, s[36:37]
	v_cmp_gt_u32_e32 vcc, s86, v152
	s_waitcnt vmcnt(5)
	v_pk_mov_b32 v[88:89], s[78:79], s[78:79] op_sel:[0,1]
	s_and_saveexec_b64 s[36:37], vcc
	s_cbranch_execz .LBB1251_420
; %bb.419:                              ;   in Loop: Header=BB1251_397 Depth=2
	s_waitcnt vmcnt(0)
	v_add_co_u32_e32 v68, vcc, 0x1000, v70
	v_addc_co_u32_e32 v69, vcc, 0, v71, vcc
	global_load_dwordx2 v[88:89], v[68:69], off offset:512
.LBB1251_420:                           ;   in Loop: Header=BB1251_397 Depth=2
	s_or_b64 exec, exec, s[36:37]
	v_cmp_gt_u32_e32 vcc, s86, v153
	s_waitcnt vmcnt(4)
	v_pk_mov_b32 v[84:85], s[78:79], s[78:79] op_sel:[0,1]
	s_and_saveexec_b64 s[36:37], vcc
	s_cbranch_execz .LBB1251_422
; %bb.421:                              ;   in Loop: Header=BB1251_397 Depth=2
	s_waitcnt vmcnt(0)
	v_add_co_u32_e32 v68, vcc, 0x1000, v70
	v_addc_co_u32_e32 v69, vcc, 0, v71, vcc
	global_load_dwordx2 v[84:85], v[68:69], off offset:1024
.LBB1251_422:                           ;   in Loop: Header=BB1251_397 Depth=2
	;; [unrolled: 12-line block ×5, first 2 shown]
	s_or_b64 exec, exec, s[36:37]
	v_cmp_gt_u32_e32 vcc, s86, v157
	s_waitcnt vmcnt(0)
	v_pk_mov_b32 v[68:69], s[78:79], s[78:79] op_sel:[0,1]
	s_and_saveexec_b64 s[36:37], vcc
	s_cbranch_execz .LBB1251_430
; %bb.429:                              ;   in Loop: Header=BB1251_397 Depth=2
	v_add_co_u32_e32 v68, vcc, 0x1000, v70
	v_addc_co_u32_e32 v69, vcc, 0, v71, vcc
	global_load_dwordx2 v[68:69], v[68:69], off offset:3072
.LBB1251_430:                           ;   in Loop: Header=BB1251_397 Depth=2
	s_or_b64 exec, exec, s[36:37]
	s_sub_i32 s40, s94, s88
	v_cmp_gt_u32_e64 s[36:37], s86, v158
.LBB1251_431:                           ;   in Loop: Header=BB1251_397 Depth=2
	v_pk_mov_b32 v[70:71], s[78:79], s[78:79] op_sel:[0,1]
	v_mov_b32_e32 v183, s86
	s_and_saveexec_b64 s[38:39], s[36:37]
	s_cbranch_execz .LBB1251_433
; %bb.432:                              ;   in Loop: Header=BB1251_397 Depth=2
	s_lshl_b64 s[36:37], s[88:89], 3
	v_mov_b32_e32 v5, s37
	v_add_co_u32_e32 v70, vcc, s36, v170
	v_addc_co_u32_e32 v71, vcc, v173, v5, vcc
	global_load_dwordx2 v[70:71], v[70:71], off
	v_mov_b32_e32 v183, s40
.LBB1251_433:                           ;   in Loop: Header=BB1251_397 Depth=2
	s_or_b64 exec, exec, s[38:39]
	s_waitcnt vmcnt(14)
	v_cmp_lt_i64_e32 vcc, -1, v[64:65]
	v_cndmask_b32_e32 v5, -1, v133, vcc
	v_ashrrev_i32_e32 v96, 31, v65
	v_xor_b32_e32 v65, v5, v65
	v_xor_b32_e32 v64, v96, v64
	v_cmp_ne_u64_e32 vcc, s[78:79], v[64:65]
	v_cndmask_b32_e32 v97, v133, v65, vcc
	v_cndmask_b32_e32 v96, 0, v64, vcc
	v_lshrrev_b64 v[96:97], s33, v[96:97]
	v_add_u32_e32 v5, 0x410, v27
	v_and_b32_e32 v96, s69, v96
	ds_write2_b32 v5, v4, v4 offset1:1
	ds_write2_b32 v31, v4, v4 offset0:2 offset1:3
	ds_write_b32 v31, v4 offset:16
	v_mad_u32_u24 v5, v96, 5, v177
	v_lshl_add_u32 v184, v5, 2, v29
	v_and_b32_e32 v5, 1, v96
	v_add_co_u32_e32 v97, vcc, -1, v5
	v_addc_co_u32_e64 v98, s[36:37], 0, -1, vcc
	v_cmp_ne_u32_e32 vcc, 0, v5
	v_xor_b32_e32 v5, vcc_hi, v98
	v_and_b32_e32 v98, exec_hi, v5
	v_lshlrev_b32_e32 v5, 30, v96
	v_xor_b32_e32 v97, vcc_lo, v97
	v_cmp_gt_i64_e32 vcc, 0, v[4:5]
	v_not_b32_e32 v5, v5
	v_ashrrev_i32_e32 v5, 31, v5
	v_and_b32_e32 v97, exec_lo, v97
	v_xor_b32_e32 v99, vcc_hi, v5
	v_xor_b32_e32 v5, vcc_lo, v5
	v_and_b32_e32 v97, v97, v5
	v_lshlrev_b32_e32 v5, 29, v96
	v_cmp_gt_i64_e32 vcc, 0, v[4:5]
	v_not_b32_e32 v5, v5
	v_ashrrev_i32_e32 v5, 31, v5
	v_and_b32_e32 v98, v98, v99
	v_xor_b32_e32 v99, vcc_hi, v5
	v_xor_b32_e32 v5, vcc_lo, v5
	v_and_b32_e32 v97, v97, v5
	v_lshlrev_b32_e32 v5, 28, v96
	v_cmp_gt_i64_e32 vcc, 0, v[4:5]
	v_not_b32_e32 v5, v5
	v_ashrrev_i32_e32 v5, 31, v5
	v_and_b32_e32 v98, v98, v99
	;; [unrolled: 8-line block ×5, first 2 shown]
	v_xor_b32_e32 v99, vcc_hi, v5
	v_xor_b32_e32 v5, vcc_lo, v5
	v_and_b32_e32 v98, v98, v99
	v_and_b32_e32 v99, v97, v5
	v_lshlrev_b32_e32 v5, 24, v96
	v_cmp_gt_i64_e32 vcc, 0, v[4:5]
	v_not_b32_e32 v5, v5
	v_ashrrev_i32_e32 v5, 31, v5
	v_xor_b32_e32 v96, vcc_hi, v5
	v_xor_b32_e32 v5, vcc_lo, v5
	v_and_b32_e32 v97, v98, v96
	v_and_b32_e32 v96, v99, v5
	v_mbcnt_lo_u32_b32 v5, v96, 0
	v_mbcnt_hi_u32_b32 v185, v97, v5
	v_cmp_eq_u32_e32 vcc, 0, v185
	v_cmp_ne_u64_e64 s[36:37], 0, v[96:97]
	s_and_b64 s[38:39], s[36:37], vcc
	s_waitcnt lgkmcnt(0)
	s_barrier
	s_waitcnt lgkmcnt(0)
	; wave barrier
	s_and_saveexec_b64 s[36:37], s[38:39]
	s_cbranch_execz .LBB1251_435
; %bb.434:                              ;   in Loop: Header=BB1251_397 Depth=2
	v_bcnt_u32_b32 v5, v96, 0
	v_bcnt_u32_b32 v5, v97, v5
	ds_write_b32 v184, v5
.LBB1251_435:                           ;   in Loop: Header=BB1251_397 Depth=2
	s_or_b64 exec, exec, s[36:37]
	s_waitcnt vmcnt(13)
	v_cmp_lt_i64_e32 vcc, -1, v[66:67]
	v_cndmask_b32_e32 v5, -1, v133, vcc
	v_ashrrev_i32_e32 v96, 31, v67
	v_xor_b32_e32 v67, v5, v67
	v_xor_b32_e32 v66, v96, v66
	v_cmp_ne_u64_e32 vcc, s[78:79], v[66:67]
	v_cndmask_b32_e32 v97, v133, v67, vcc
	v_cndmask_b32_e32 v96, 0, v66, vcc
	v_lshrrev_b64 v[96:97], s33, v[96:97]
	v_and_b32_e32 v96, s69, v96
	v_mul_u32_u24_e32 v5, 5, v96
	v_add_lshl_u32 v5, v5, v177, 2
	; wave barrier
	v_add_u32_e32 v187, 0x410, v5
	ds_read_b32 v186, v5 offset:1040
	v_and_b32_e32 v5, 1, v96
	v_add_co_u32_e32 v97, vcc, -1, v5
	v_addc_co_u32_e64 v98, s[36:37], 0, -1, vcc
	v_cmp_ne_u32_e32 vcc, 0, v5
	v_xor_b32_e32 v5, vcc_hi, v98
	v_and_b32_e32 v98, exec_hi, v5
	v_lshlrev_b32_e32 v5, 30, v96
	v_xor_b32_e32 v97, vcc_lo, v97
	v_cmp_gt_i64_e32 vcc, 0, v[4:5]
	v_not_b32_e32 v5, v5
	v_ashrrev_i32_e32 v5, 31, v5
	v_and_b32_e32 v97, exec_lo, v97
	v_xor_b32_e32 v99, vcc_hi, v5
	v_xor_b32_e32 v5, vcc_lo, v5
	v_and_b32_e32 v97, v97, v5
	v_lshlrev_b32_e32 v5, 29, v96
	v_cmp_gt_i64_e32 vcc, 0, v[4:5]
	v_not_b32_e32 v5, v5
	v_ashrrev_i32_e32 v5, 31, v5
	v_and_b32_e32 v98, v98, v99
	v_xor_b32_e32 v99, vcc_hi, v5
	v_xor_b32_e32 v5, vcc_lo, v5
	v_and_b32_e32 v97, v97, v5
	v_lshlrev_b32_e32 v5, 28, v96
	v_cmp_gt_i64_e32 vcc, 0, v[4:5]
	v_not_b32_e32 v5, v5
	v_ashrrev_i32_e32 v5, 31, v5
	v_and_b32_e32 v98, v98, v99
	;; [unrolled: 8-line block ×5, first 2 shown]
	v_xor_b32_e32 v99, vcc_hi, v5
	v_xor_b32_e32 v5, vcc_lo, v5
	v_and_b32_e32 v98, v98, v99
	v_and_b32_e32 v99, v97, v5
	v_lshlrev_b32_e32 v5, 24, v96
	v_cmp_gt_i64_e32 vcc, 0, v[4:5]
	v_not_b32_e32 v5, v5
	v_ashrrev_i32_e32 v5, 31, v5
	v_xor_b32_e32 v96, vcc_hi, v5
	v_xor_b32_e32 v5, vcc_lo, v5
	v_and_b32_e32 v97, v98, v96
	v_and_b32_e32 v96, v99, v5
	v_mbcnt_lo_u32_b32 v5, v96, 0
	v_mbcnt_hi_u32_b32 v188, v97, v5
	v_cmp_eq_u32_e32 vcc, 0, v188
	v_cmp_ne_u64_e64 s[36:37], 0, v[96:97]
	s_and_b64 s[38:39], s[36:37], vcc
	; wave barrier
	s_and_saveexec_b64 s[36:37], s[38:39]
	s_cbranch_execz .LBB1251_437
; %bb.436:                              ;   in Loop: Header=BB1251_397 Depth=2
	v_bcnt_u32_b32 v5, v96, 0
	v_bcnt_u32_b32 v5, v97, v5
	s_waitcnt lgkmcnt(0)
	v_add_u32_e32 v5, v186, v5
	ds_write_b32 v187, v5
.LBB1251_437:                           ;   in Loop: Header=BB1251_397 Depth=2
	s_or_b64 exec, exec, s[36:37]
	s_waitcnt vmcnt(12)
	v_cmp_lt_i64_e32 vcc, -1, v[74:75]
	v_cndmask_b32_e32 v5, -1, v133, vcc
	v_ashrrev_i32_e32 v96, 31, v75
	v_xor_b32_e32 v75, v5, v75
	v_xor_b32_e32 v74, v96, v74
	v_cmp_ne_u64_e32 vcc, s[78:79], v[74:75]
	v_cndmask_b32_e32 v97, v133, v75, vcc
	v_cndmask_b32_e32 v96, 0, v74, vcc
	v_lshrrev_b64 v[96:97], s33, v[96:97]
	v_and_b32_e32 v96, s69, v96
	v_mul_u32_u24_e32 v5, 5, v96
	v_add_lshl_u32 v5, v5, v177, 2
	; wave barrier
	v_add_u32_e32 v190, 0x410, v5
	ds_read_b32 v189, v5 offset:1040
	v_and_b32_e32 v5, 1, v96
	v_add_co_u32_e32 v97, vcc, -1, v5
	v_addc_co_u32_e64 v98, s[36:37], 0, -1, vcc
	v_cmp_ne_u32_e32 vcc, 0, v5
	v_xor_b32_e32 v5, vcc_hi, v98
	v_and_b32_e32 v98, exec_hi, v5
	v_lshlrev_b32_e32 v5, 30, v96
	v_xor_b32_e32 v97, vcc_lo, v97
	v_cmp_gt_i64_e32 vcc, 0, v[4:5]
	v_not_b32_e32 v5, v5
	v_ashrrev_i32_e32 v5, 31, v5
	v_and_b32_e32 v97, exec_lo, v97
	v_xor_b32_e32 v99, vcc_hi, v5
	v_xor_b32_e32 v5, vcc_lo, v5
	v_and_b32_e32 v97, v97, v5
	v_lshlrev_b32_e32 v5, 29, v96
	v_cmp_gt_i64_e32 vcc, 0, v[4:5]
	v_not_b32_e32 v5, v5
	v_ashrrev_i32_e32 v5, 31, v5
	v_and_b32_e32 v98, v98, v99
	v_xor_b32_e32 v99, vcc_hi, v5
	v_xor_b32_e32 v5, vcc_lo, v5
	v_and_b32_e32 v97, v97, v5
	v_lshlrev_b32_e32 v5, 28, v96
	v_cmp_gt_i64_e32 vcc, 0, v[4:5]
	v_not_b32_e32 v5, v5
	v_ashrrev_i32_e32 v5, 31, v5
	v_and_b32_e32 v98, v98, v99
	;; [unrolled: 8-line block ×5, first 2 shown]
	v_xor_b32_e32 v99, vcc_hi, v5
	v_xor_b32_e32 v5, vcc_lo, v5
	v_and_b32_e32 v98, v98, v99
	v_and_b32_e32 v99, v97, v5
	v_lshlrev_b32_e32 v5, 24, v96
	v_cmp_gt_i64_e32 vcc, 0, v[4:5]
	v_not_b32_e32 v5, v5
	v_ashrrev_i32_e32 v5, 31, v5
	v_xor_b32_e32 v96, vcc_hi, v5
	v_xor_b32_e32 v5, vcc_lo, v5
	v_and_b32_e32 v97, v98, v96
	v_and_b32_e32 v96, v99, v5
	v_mbcnt_lo_u32_b32 v5, v96, 0
	v_mbcnt_hi_u32_b32 v191, v97, v5
	v_cmp_eq_u32_e32 vcc, 0, v191
	v_cmp_ne_u64_e64 s[36:37], 0, v[96:97]
	s_and_b64 s[38:39], s[36:37], vcc
	; wave barrier
	s_and_saveexec_b64 s[36:37], s[38:39]
	s_cbranch_execz .LBB1251_439
; %bb.438:                              ;   in Loop: Header=BB1251_397 Depth=2
	v_bcnt_u32_b32 v5, v96, 0
	v_bcnt_u32_b32 v5, v97, v5
	s_waitcnt lgkmcnt(0)
	v_add_u32_e32 v5, v189, v5
	ds_write_b32 v190, v5
.LBB1251_439:                           ;   in Loop: Header=BB1251_397 Depth=2
	s_or_b64 exec, exec, s[36:37]
	s_waitcnt vmcnt(11)
	v_cmp_lt_i64_e32 vcc, -1, v[78:79]
	v_cndmask_b32_e32 v5, -1, v133, vcc
	v_ashrrev_i32_e32 v96, 31, v79
	v_xor_b32_e32 v79, v5, v79
	v_xor_b32_e32 v78, v96, v78
	v_cmp_ne_u64_e32 vcc, s[78:79], v[78:79]
	v_cndmask_b32_e32 v97, v133, v79, vcc
	v_cndmask_b32_e32 v96, 0, v78, vcc
	v_lshrrev_b64 v[96:97], s33, v[96:97]
	v_and_b32_e32 v96, s69, v96
	v_mul_u32_u24_e32 v5, 5, v96
	v_add_lshl_u32 v5, v5, v177, 2
	; wave barrier
	v_add_u32_e32 v193, 0x410, v5
	ds_read_b32 v192, v5 offset:1040
	v_and_b32_e32 v5, 1, v96
	v_add_co_u32_e32 v97, vcc, -1, v5
	v_addc_co_u32_e64 v98, s[36:37], 0, -1, vcc
	v_cmp_ne_u32_e32 vcc, 0, v5
	v_xor_b32_e32 v5, vcc_hi, v98
	v_and_b32_e32 v98, exec_hi, v5
	v_lshlrev_b32_e32 v5, 30, v96
	v_xor_b32_e32 v97, vcc_lo, v97
	v_cmp_gt_i64_e32 vcc, 0, v[4:5]
	v_not_b32_e32 v5, v5
	v_ashrrev_i32_e32 v5, 31, v5
	v_and_b32_e32 v97, exec_lo, v97
	v_xor_b32_e32 v99, vcc_hi, v5
	v_xor_b32_e32 v5, vcc_lo, v5
	v_and_b32_e32 v97, v97, v5
	v_lshlrev_b32_e32 v5, 29, v96
	v_cmp_gt_i64_e32 vcc, 0, v[4:5]
	v_not_b32_e32 v5, v5
	v_ashrrev_i32_e32 v5, 31, v5
	v_and_b32_e32 v98, v98, v99
	v_xor_b32_e32 v99, vcc_hi, v5
	v_xor_b32_e32 v5, vcc_lo, v5
	v_and_b32_e32 v97, v97, v5
	v_lshlrev_b32_e32 v5, 28, v96
	v_cmp_gt_i64_e32 vcc, 0, v[4:5]
	v_not_b32_e32 v5, v5
	v_ashrrev_i32_e32 v5, 31, v5
	v_and_b32_e32 v98, v98, v99
	;; [unrolled: 8-line block ×5, first 2 shown]
	v_xor_b32_e32 v99, vcc_hi, v5
	v_xor_b32_e32 v5, vcc_lo, v5
	v_and_b32_e32 v98, v98, v99
	v_and_b32_e32 v99, v97, v5
	v_lshlrev_b32_e32 v5, 24, v96
	v_cmp_gt_i64_e32 vcc, 0, v[4:5]
	v_not_b32_e32 v5, v5
	v_ashrrev_i32_e32 v5, 31, v5
	v_xor_b32_e32 v96, vcc_hi, v5
	v_xor_b32_e32 v5, vcc_lo, v5
	v_and_b32_e32 v97, v98, v96
	v_and_b32_e32 v96, v99, v5
	v_mbcnt_lo_u32_b32 v5, v96, 0
	v_mbcnt_hi_u32_b32 v194, v97, v5
	v_cmp_eq_u32_e32 vcc, 0, v194
	v_cmp_ne_u64_e64 s[36:37], 0, v[96:97]
	s_and_b64 s[38:39], s[36:37], vcc
	; wave barrier
	s_and_saveexec_b64 s[36:37], s[38:39]
	s_cbranch_execz .LBB1251_441
; %bb.440:                              ;   in Loop: Header=BB1251_397 Depth=2
	v_bcnt_u32_b32 v5, v96, 0
	v_bcnt_u32_b32 v5, v97, v5
	s_waitcnt lgkmcnt(0)
	v_add_u32_e32 v5, v192, v5
	ds_write_b32 v193, v5
.LBB1251_441:                           ;   in Loop: Header=BB1251_397 Depth=2
	s_or_b64 exec, exec, s[36:37]
	s_waitcnt vmcnt(10)
	v_cmp_lt_i64_e32 vcc, -1, v[82:83]
	v_cndmask_b32_e32 v5, -1, v133, vcc
	v_ashrrev_i32_e32 v96, 31, v83
	v_xor_b32_e32 v83, v5, v83
	v_xor_b32_e32 v82, v96, v82
	v_cmp_ne_u64_e32 vcc, s[78:79], v[82:83]
	v_cndmask_b32_e32 v97, v133, v83, vcc
	v_cndmask_b32_e32 v96, 0, v82, vcc
	v_lshrrev_b64 v[96:97], s33, v[96:97]
	v_and_b32_e32 v96, s69, v96
	v_mul_u32_u24_e32 v5, 5, v96
	v_add_lshl_u32 v5, v5, v177, 2
	; wave barrier
	v_add_u32_e32 v196, 0x410, v5
	ds_read_b32 v195, v5 offset:1040
	v_and_b32_e32 v5, 1, v96
	v_add_co_u32_e32 v97, vcc, -1, v5
	v_addc_co_u32_e64 v98, s[36:37], 0, -1, vcc
	v_cmp_ne_u32_e32 vcc, 0, v5
	v_xor_b32_e32 v5, vcc_hi, v98
	v_and_b32_e32 v98, exec_hi, v5
	v_lshlrev_b32_e32 v5, 30, v96
	v_xor_b32_e32 v97, vcc_lo, v97
	v_cmp_gt_i64_e32 vcc, 0, v[4:5]
	v_not_b32_e32 v5, v5
	v_ashrrev_i32_e32 v5, 31, v5
	v_and_b32_e32 v97, exec_lo, v97
	v_xor_b32_e32 v99, vcc_hi, v5
	v_xor_b32_e32 v5, vcc_lo, v5
	v_and_b32_e32 v97, v97, v5
	v_lshlrev_b32_e32 v5, 29, v96
	v_cmp_gt_i64_e32 vcc, 0, v[4:5]
	v_not_b32_e32 v5, v5
	v_ashrrev_i32_e32 v5, 31, v5
	v_and_b32_e32 v98, v98, v99
	v_xor_b32_e32 v99, vcc_hi, v5
	v_xor_b32_e32 v5, vcc_lo, v5
	v_and_b32_e32 v97, v97, v5
	v_lshlrev_b32_e32 v5, 28, v96
	v_cmp_gt_i64_e32 vcc, 0, v[4:5]
	v_not_b32_e32 v5, v5
	v_ashrrev_i32_e32 v5, 31, v5
	v_and_b32_e32 v98, v98, v99
	;; [unrolled: 8-line block ×5, first 2 shown]
	v_xor_b32_e32 v99, vcc_hi, v5
	v_xor_b32_e32 v5, vcc_lo, v5
	v_and_b32_e32 v98, v98, v99
	v_and_b32_e32 v99, v97, v5
	v_lshlrev_b32_e32 v5, 24, v96
	v_cmp_gt_i64_e32 vcc, 0, v[4:5]
	v_not_b32_e32 v5, v5
	v_ashrrev_i32_e32 v5, 31, v5
	v_xor_b32_e32 v96, vcc_hi, v5
	v_xor_b32_e32 v5, vcc_lo, v5
	v_and_b32_e32 v97, v98, v96
	v_and_b32_e32 v96, v99, v5
	v_mbcnt_lo_u32_b32 v5, v96, 0
	v_mbcnt_hi_u32_b32 v197, v97, v5
	v_cmp_eq_u32_e32 vcc, 0, v197
	v_cmp_ne_u64_e64 s[36:37], 0, v[96:97]
	s_and_b64 s[38:39], s[36:37], vcc
	; wave barrier
	s_and_saveexec_b64 s[36:37], s[38:39]
	s_cbranch_execz .LBB1251_443
; %bb.442:                              ;   in Loop: Header=BB1251_397 Depth=2
	v_bcnt_u32_b32 v5, v96, 0
	v_bcnt_u32_b32 v5, v97, v5
	s_waitcnt lgkmcnt(0)
	v_add_u32_e32 v5, v195, v5
	ds_write_b32 v196, v5
.LBB1251_443:                           ;   in Loop: Header=BB1251_397 Depth=2
	s_or_b64 exec, exec, s[36:37]
	s_waitcnt vmcnt(9)
	v_cmp_lt_i64_e32 vcc, -1, v[86:87]
	v_cndmask_b32_e32 v5, -1, v133, vcc
	v_ashrrev_i32_e32 v96, 31, v87
	v_xor_b32_e32 v87, v5, v87
	v_xor_b32_e32 v86, v96, v86
	v_cmp_ne_u64_e32 vcc, s[78:79], v[86:87]
	v_cndmask_b32_e32 v97, v133, v87, vcc
	v_cndmask_b32_e32 v96, 0, v86, vcc
	v_lshrrev_b64 v[96:97], s33, v[96:97]
	v_and_b32_e32 v96, s69, v96
	v_mul_u32_u24_e32 v5, 5, v96
	v_add_lshl_u32 v5, v5, v177, 2
	; wave barrier
	v_add_u32_e32 v199, 0x410, v5
	ds_read_b32 v198, v5 offset:1040
	v_and_b32_e32 v5, 1, v96
	v_add_co_u32_e32 v97, vcc, -1, v5
	v_addc_co_u32_e64 v98, s[36:37], 0, -1, vcc
	v_cmp_ne_u32_e32 vcc, 0, v5
	v_xor_b32_e32 v5, vcc_hi, v98
	v_and_b32_e32 v98, exec_hi, v5
	v_lshlrev_b32_e32 v5, 30, v96
	v_xor_b32_e32 v97, vcc_lo, v97
	v_cmp_gt_i64_e32 vcc, 0, v[4:5]
	v_not_b32_e32 v5, v5
	v_ashrrev_i32_e32 v5, 31, v5
	v_and_b32_e32 v97, exec_lo, v97
	v_xor_b32_e32 v99, vcc_hi, v5
	v_xor_b32_e32 v5, vcc_lo, v5
	v_and_b32_e32 v97, v97, v5
	v_lshlrev_b32_e32 v5, 29, v96
	v_cmp_gt_i64_e32 vcc, 0, v[4:5]
	v_not_b32_e32 v5, v5
	v_ashrrev_i32_e32 v5, 31, v5
	v_and_b32_e32 v98, v98, v99
	v_xor_b32_e32 v99, vcc_hi, v5
	v_xor_b32_e32 v5, vcc_lo, v5
	v_and_b32_e32 v97, v97, v5
	v_lshlrev_b32_e32 v5, 28, v96
	v_cmp_gt_i64_e32 vcc, 0, v[4:5]
	v_not_b32_e32 v5, v5
	v_ashrrev_i32_e32 v5, 31, v5
	v_and_b32_e32 v98, v98, v99
	;; [unrolled: 8-line block ×5, first 2 shown]
	v_xor_b32_e32 v99, vcc_hi, v5
	v_xor_b32_e32 v5, vcc_lo, v5
	v_and_b32_e32 v98, v98, v99
	v_and_b32_e32 v99, v97, v5
	v_lshlrev_b32_e32 v5, 24, v96
	v_cmp_gt_i64_e32 vcc, 0, v[4:5]
	v_not_b32_e32 v5, v5
	v_ashrrev_i32_e32 v5, 31, v5
	v_xor_b32_e32 v96, vcc_hi, v5
	v_xor_b32_e32 v5, vcc_lo, v5
	v_and_b32_e32 v97, v98, v96
	v_and_b32_e32 v96, v99, v5
	v_mbcnt_lo_u32_b32 v5, v96, 0
	v_mbcnt_hi_u32_b32 v200, v97, v5
	v_cmp_eq_u32_e32 vcc, 0, v200
	v_cmp_ne_u64_e64 s[36:37], 0, v[96:97]
	s_and_b64 s[38:39], s[36:37], vcc
	; wave barrier
	s_and_saveexec_b64 s[36:37], s[38:39]
	s_cbranch_execz .LBB1251_445
; %bb.444:                              ;   in Loop: Header=BB1251_397 Depth=2
	v_bcnt_u32_b32 v5, v96, 0
	v_bcnt_u32_b32 v5, v97, v5
	s_waitcnt lgkmcnt(0)
	v_add_u32_e32 v5, v198, v5
	ds_write_b32 v199, v5
.LBB1251_445:                           ;   in Loop: Header=BB1251_397 Depth=2
	s_or_b64 exec, exec, s[36:37]
	s_waitcnt vmcnt(8)
	v_cmp_lt_i64_e32 vcc, -1, v[90:91]
	v_cndmask_b32_e32 v5, -1, v133, vcc
	v_ashrrev_i32_e32 v96, 31, v91
	v_xor_b32_e32 v91, v5, v91
	v_xor_b32_e32 v90, v96, v90
	v_cmp_ne_u64_e32 vcc, s[78:79], v[90:91]
	v_cndmask_b32_e32 v97, v133, v91, vcc
	v_cndmask_b32_e32 v96, 0, v90, vcc
	v_lshrrev_b64 v[96:97], s33, v[96:97]
	v_and_b32_e32 v96, s69, v96
	v_mul_u32_u24_e32 v5, 5, v96
	v_add_lshl_u32 v5, v5, v177, 2
	; wave barrier
	v_add_u32_e32 v202, 0x410, v5
	ds_read_b32 v201, v5 offset:1040
	v_and_b32_e32 v5, 1, v96
	v_add_co_u32_e32 v97, vcc, -1, v5
	v_addc_co_u32_e64 v98, s[36:37], 0, -1, vcc
	v_cmp_ne_u32_e32 vcc, 0, v5
	v_xor_b32_e32 v5, vcc_hi, v98
	v_and_b32_e32 v98, exec_hi, v5
	v_lshlrev_b32_e32 v5, 30, v96
	v_xor_b32_e32 v97, vcc_lo, v97
	v_cmp_gt_i64_e32 vcc, 0, v[4:5]
	v_not_b32_e32 v5, v5
	v_ashrrev_i32_e32 v5, 31, v5
	v_and_b32_e32 v97, exec_lo, v97
	v_xor_b32_e32 v99, vcc_hi, v5
	v_xor_b32_e32 v5, vcc_lo, v5
	v_and_b32_e32 v97, v97, v5
	v_lshlrev_b32_e32 v5, 29, v96
	v_cmp_gt_i64_e32 vcc, 0, v[4:5]
	v_not_b32_e32 v5, v5
	v_ashrrev_i32_e32 v5, 31, v5
	v_and_b32_e32 v98, v98, v99
	v_xor_b32_e32 v99, vcc_hi, v5
	v_xor_b32_e32 v5, vcc_lo, v5
	v_and_b32_e32 v97, v97, v5
	v_lshlrev_b32_e32 v5, 28, v96
	v_cmp_gt_i64_e32 vcc, 0, v[4:5]
	v_not_b32_e32 v5, v5
	v_ashrrev_i32_e32 v5, 31, v5
	v_and_b32_e32 v98, v98, v99
	;; [unrolled: 8-line block ×5, first 2 shown]
	v_xor_b32_e32 v99, vcc_hi, v5
	v_xor_b32_e32 v5, vcc_lo, v5
	v_and_b32_e32 v98, v98, v99
	v_and_b32_e32 v99, v97, v5
	v_lshlrev_b32_e32 v5, 24, v96
	v_cmp_gt_i64_e32 vcc, 0, v[4:5]
	v_not_b32_e32 v5, v5
	v_ashrrev_i32_e32 v5, 31, v5
	v_xor_b32_e32 v96, vcc_hi, v5
	v_xor_b32_e32 v5, vcc_lo, v5
	v_and_b32_e32 v97, v98, v96
	v_and_b32_e32 v96, v99, v5
	v_mbcnt_lo_u32_b32 v5, v96, 0
	v_mbcnt_hi_u32_b32 v203, v97, v5
	v_cmp_eq_u32_e32 vcc, 0, v203
	v_cmp_ne_u64_e64 s[36:37], 0, v[96:97]
	s_and_b64 s[38:39], s[36:37], vcc
	; wave barrier
	s_and_saveexec_b64 s[36:37], s[38:39]
	s_cbranch_execz .LBB1251_447
; %bb.446:                              ;   in Loop: Header=BB1251_397 Depth=2
	v_bcnt_u32_b32 v5, v96, 0
	v_bcnt_u32_b32 v5, v97, v5
	s_waitcnt lgkmcnt(0)
	v_add_u32_e32 v5, v201, v5
	ds_write_b32 v202, v5
.LBB1251_447:                           ;   in Loop: Header=BB1251_397 Depth=2
	s_or_b64 exec, exec, s[36:37]
	s_waitcnt vmcnt(7)
	v_cmp_lt_i64_e32 vcc, -1, v[94:95]
	v_cndmask_b32_e32 v5, -1, v133, vcc
	v_ashrrev_i32_e32 v96, 31, v95
	v_xor_b32_e32 v95, v5, v95
	v_xor_b32_e32 v94, v96, v94
	v_cmp_ne_u64_e32 vcc, s[78:79], v[94:95]
	v_cndmask_b32_e32 v97, v133, v95, vcc
	v_cndmask_b32_e32 v96, 0, v94, vcc
	v_lshrrev_b64 v[96:97], s33, v[96:97]
	v_and_b32_e32 v96, s69, v96
	v_mul_u32_u24_e32 v5, 5, v96
	v_add_lshl_u32 v5, v5, v177, 2
	; wave barrier
	v_add_u32_e32 v205, 0x410, v5
	ds_read_b32 v204, v5 offset:1040
	v_and_b32_e32 v5, 1, v96
	v_add_co_u32_e32 v97, vcc, -1, v5
	v_addc_co_u32_e64 v98, s[36:37], 0, -1, vcc
	v_cmp_ne_u32_e32 vcc, 0, v5
	v_xor_b32_e32 v5, vcc_hi, v98
	v_and_b32_e32 v98, exec_hi, v5
	v_lshlrev_b32_e32 v5, 30, v96
	v_xor_b32_e32 v97, vcc_lo, v97
	v_cmp_gt_i64_e32 vcc, 0, v[4:5]
	v_not_b32_e32 v5, v5
	v_ashrrev_i32_e32 v5, 31, v5
	v_and_b32_e32 v97, exec_lo, v97
	v_xor_b32_e32 v99, vcc_hi, v5
	v_xor_b32_e32 v5, vcc_lo, v5
	v_and_b32_e32 v97, v97, v5
	v_lshlrev_b32_e32 v5, 29, v96
	v_cmp_gt_i64_e32 vcc, 0, v[4:5]
	v_not_b32_e32 v5, v5
	v_ashrrev_i32_e32 v5, 31, v5
	v_and_b32_e32 v98, v98, v99
	v_xor_b32_e32 v99, vcc_hi, v5
	v_xor_b32_e32 v5, vcc_lo, v5
	v_and_b32_e32 v97, v97, v5
	v_lshlrev_b32_e32 v5, 28, v96
	v_cmp_gt_i64_e32 vcc, 0, v[4:5]
	v_not_b32_e32 v5, v5
	v_ashrrev_i32_e32 v5, 31, v5
	v_and_b32_e32 v98, v98, v99
	;; [unrolled: 8-line block ×5, first 2 shown]
	v_xor_b32_e32 v99, vcc_hi, v5
	v_xor_b32_e32 v5, vcc_lo, v5
	v_and_b32_e32 v98, v98, v99
	v_and_b32_e32 v99, v97, v5
	v_lshlrev_b32_e32 v5, 24, v96
	v_cmp_gt_i64_e32 vcc, 0, v[4:5]
	v_not_b32_e32 v5, v5
	v_ashrrev_i32_e32 v5, 31, v5
	v_xor_b32_e32 v96, vcc_hi, v5
	v_xor_b32_e32 v5, vcc_lo, v5
	v_and_b32_e32 v97, v98, v96
	v_and_b32_e32 v96, v99, v5
	v_mbcnt_lo_u32_b32 v5, v96, 0
	v_mbcnt_hi_u32_b32 v206, v97, v5
	v_cmp_eq_u32_e32 vcc, 0, v206
	v_cmp_ne_u64_e64 s[36:37], 0, v[96:97]
	s_and_b64 s[38:39], s[36:37], vcc
	; wave barrier
	s_and_saveexec_b64 s[36:37], s[38:39]
	s_cbranch_execz .LBB1251_449
; %bb.448:                              ;   in Loop: Header=BB1251_397 Depth=2
	v_bcnt_u32_b32 v5, v96, 0
	v_bcnt_u32_b32 v5, v97, v5
	s_waitcnt lgkmcnt(0)
	v_add_u32_e32 v5, v204, v5
	ds_write_b32 v205, v5
.LBB1251_449:                           ;   in Loop: Header=BB1251_397 Depth=2
	s_or_b64 exec, exec, s[36:37]
	s_waitcnt vmcnt(6)
	v_cmp_lt_i64_e32 vcc, -1, v[92:93]
	v_cndmask_b32_e32 v5, -1, v133, vcc
	v_ashrrev_i32_e32 v96, 31, v93
	v_xor_b32_e32 v93, v5, v93
	v_xor_b32_e32 v92, v96, v92
	v_cmp_ne_u64_e32 vcc, s[78:79], v[92:93]
	v_cndmask_b32_e32 v97, v133, v93, vcc
	v_cndmask_b32_e32 v96, 0, v92, vcc
	v_lshrrev_b64 v[96:97], s33, v[96:97]
	v_and_b32_e32 v96, s69, v96
	v_mul_u32_u24_e32 v5, 5, v96
	v_add_lshl_u32 v5, v5, v177, 2
	; wave barrier
	v_add_u32_e32 v208, 0x410, v5
	ds_read_b32 v207, v5 offset:1040
	v_and_b32_e32 v5, 1, v96
	v_add_co_u32_e32 v97, vcc, -1, v5
	v_addc_co_u32_e64 v98, s[36:37], 0, -1, vcc
	v_cmp_ne_u32_e32 vcc, 0, v5
	v_xor_b32_e32 v5, vcc_hi, v98
	v_and_b32_e32 v98, exec_hi, v5
	v_lshlrev_b32_e32 v5, 30, v96
	v_xor_b32_e32 v97, vcc_lo, v97
	v_cmp_gt_i64_e32 vcc, 0, v[4:5]
	v_not_b32_e32 v5, v5
	v_ashrrev_i32_e32 v5, 31, v5
	v_and_b32_e32 v97, exec_lo, v97
	v_xor_b32_e32 v99, vcc_hi, v5
	v_xor_b32_e32 v5, vcc_lo, v5
	v_and_b32_e32 v97, v97, v5
	v_lshlrev_b32_e32 v5, 29, v96
	v_cmp_gt_i64_e32 vcc, 0, v[4:5]
	v_not_b32_e32 v5, v5
	v_ashrrev_i32_e32 v5, 31, v5
	v_and_b32_e32 v98, v98, v99
	v_xor_b32_e32 v99, vcc_hi, v5
	v_xor_b32_e32 v5, vcc_lo, v5
	v_and_b32_e32 v97, v97, v5
	v_lshlrev_b32_e32 v5, 28, v96
	v_cmp_gt_i64_e32 vcc, 0, v[4:5]
	v_not_b32_e32 v5, v5
	v_ashrrev_i32_e32 v5, 31, v5
	v_and_b32_e32 v98, v98, v99
	;; [unrolled: 8-line block ×5, first 2 shown]
	v_xor_b32_e32 v99, vcc_hi, v5
	v_xor_b32_e32 v5, vcc_lo, v5
	v_and_b32_e32 v98, v98, v99
	v_and_b32_e32 v99, v97, v5
	v_lshlrev_b32_e32 v5, 24, v96
	v_cmp_gt_i64_e32 vcc, 0, v[4:5]
	v_not_b32_e32 v5, v5
	v_ashrrev_i32_e32 v5, 31, v5
	v_xor_b32_e32 v96, vcc_hi, v5
	v_xor_b32_e32 v5, vcc_lo, v5
	v_and_b32_e32 v97, v98, v96
	v_and_b32_e32 v96, v99, v5
	v_mbcnt_lo_u32_b32 v5, v96, 0
	v_mbcnt_hi_u32_b32 v209, v97, v5
	v_cmp_eq_u32_e32 vcc, 0, v209
	v_cmp_ne_u64_e64 s[36:37], 0, v[96:97]
	s_and_b64 s[38:39], s[36:37], vcc
	; wave barrier
	s_and_saveexec_b64 s[36:37], s[38:39]
	s_cbranch_execz .LBB1251_451
; %bb.450:                              ;   in Loop: Header=BB1251_397 Depth=2
	v_bcnt_u32_b32 v5, v96, 0
	v_bcnt_u32_b32 v5, v97, v5
	s_waitcnt lgkmcnt(0)
	v_add_u32_e32 v5, v207, v5
	ds_write_b32 v208, v5
.LBB1251_451:                           ;   in Loop: Header=BB1251_397 Depth=2
	s_or_b64 exec, exec, s[36:37]
	s_waitcnt vmcnt(5)
	v_cmp_lt_i64_e32 vcc, -1, v[88:89]
	v_cndmask_b32_e32 v5, -1, v133, vcc
	v_ashrrev_i32_e32 v96, 31, v89
	v_xor_b32_e32 v89, v5, v89
	v_xor_b32_e32 v88, v96, v88
	v_cmp_ne_u64_e32 vcc, s[78:79], v[88:89]
	v_cndmask_b32_e32 v97, v133, v89, vcc
	v_cndmask_b32_e32 v96, 0, v88, vcc
	v_lshrrev_b64 v[96:97], s33, v[96:97]
	v_and_b32_e32 v96, s69, v96
	v_mul_u32_u24_e32 v5, 5, v96
	v_add_lshl_u32 v5, v5, v177, 2
	; wave barrier
	v_add_u32_e32 v211, 0x410, v5
	ds_read_b32 v210, v5 offset:1040
	v_and_b32_e32 v5, 1, v96
	v_add_co_u32_e32 v97, vcc, -1, v5
	v_addc_co_u32_e64 v98, s[36:37], 0, -1, vcc
	v_cmp_ne_u32_e32 vcc, 0, v5
	v_xor_b32_e32 v5, vcc_hi, v98
	v_and_b32_e32 v98, exec_hi, v5
	v_lshlrev_b32_e32 v5, 30, v96
	v_xor_b32_e32 v97, vcc_lo, v97
	v_cmp_gt_i64_e32 vcc, 0, v[4:5]
	v_not_b32_e32 v5, v5
	v_ashrrev_i32_e32 v5, 31, v5
	v_and_b32_e32 v97, exec_lo, v97
	v_xor_b32_e32 v99, vcc_hi, v5
	v_xor_b32_e32 v5, vcc_lo, v5
	v_and_b32_e32 v97, v97, v5
	v_lshlrev_b32_e32 v5, 29, v96
	v_cmp_gt_i64_e32 vcc, 0, v[4:5]
	v_not_b32_e32 v5, v5
	v_ashrrev_i32_e32 v5, 31, v5
	v_and_b32_e32 v98, v98, v99
	v_xor_b32_e32 v99, vcc_hi, v5
	v_xor_b32_e32 v5, vcc_lo, v5
	v_and_b32_e32 v97, v97, v5
	v_lshlrev_b32_e32 v5, 28, v96
	v_cmp_gt_i64_e32 vcc, 0, v[4:5]
	v_not_b32_e32 v5, v5
	v_ashrrev_i32_e32 v5, 31, v5
	v_and_b32_e32 v98, v98, v99
	;; [unrolled: 8-line block ×5, first 2 shown]
	v_xor_b32_e32 v99, vcc_hi, v5
	v_xor_b32_e32 v5, vcc_lo, v5
	v_and_b32_e32 v98, v98, v99
	v_and_b32_e32 v99, v97, v5
	v_lshlrev_b32_e32 v5, 24, v96
	v_cmp_gt_i64_e32 vcc, 0, v[4:5]
	v_not_b32_e32 v5, v5
	v_ashrrev_i32_e32 v5, 31, v5
	v_xor_b32_e32 v96, vcc_hi, v5
	v_xor_b32_e32 v5, vcc_lo, v5
	v_and_b32_e32 v97, v98, v96
	v_and_b32_e32 v96, v99, v5
	v_mbcnt_lo_u32_b32 v5, v96, 0
	v_mbcnt_hi_u32_b32 v212, v97, v5
	v_cmp_eq_u32_e32 vcc, 0, v212
	v_cmp_ne_u64_e64 s[36:37], 0, v[96:97]
	s_and_b64 s[38:39], s[36:37], vcc
	; wave barrier
	s_and_saveexec_b64 s[36:37], s[38:39]
	s_cbranch_execz .LBB1251_453
; %bb.452:                              ;   in Loop: Header=BB1251_397 Depth=2
	v_bcnt_u32_b32 v5, v96, 0
	v_bcnt_u32_b32 v5, v97, v5
	s_waitcnt lgkmcnt(0)
	v_add_u32_e32 v5, v210, v5
	ds_write_b32 v211, v5
.LBB1251_453:                           ;   in Loop: Header=BB1251_397 Depth=2
	s_or_b64 exec, exec, s[36:37]
	s_waitcnt vmcnt(4)
	v_cmp_lt_i64_e32 vcc, -1, v[84:85]
	v_cndmask_b32_e32 v5, -1, v133, vcc
	v_ashrrev_i32_e32 v96, 31, v85
	v_xor_b32_e32 v85, v5, v85
	v_xor_b32_e32 v84, v96, v84
	v_cmp_ne_u64_e32 vcc, s[78:79], v[84:85]
	v_cndmask_b32_e32 v97, v133, v85, vcc
	v_cndmask_b32_e32 v96, 0, v84, vcc
	v_lshrrev_b64 v[96:97], s33, v[96:97]
	v_and_b32_e32 v96, s69, v96
	v_mul_u32_u24_e32 v5, 5, v96
	v_add_lshl_u32 v5, v5, v177, 2
	; wave barrier
	v_add_u32_e32 v214, 0x410, v5
	ds_read_b32 v213, v5 offset:1040
	v_and_b32_e32 v5, 1, v96
	v_add_co_u32_e32 v97, vcc, -1, v5
	v_addc_co_u32_e64 v98, s[36:37], 0, -1, vcc
	v_cmp_ne_u32_e32 vcc, 0, v5
	v_xor_b32_e32 v5, vcc_hi, v98
	v_and_b32_e32 v98, exec_hi, v5
	v_lshlrev_b32_e32 v5, 30, v96
	v_xor_b32_e32 v97, vcc_lo, v97
	v_cmp_gt_i64_e32 vcc, 0, v[4:5]
	v_not_b32_e32 v5, v5
	v_ashrrev_i32_e32 v5, 31, v5
	v_and_b32_e32 v97, exec_lo, v97
	v_xor_b32_e32 v99, vcc_hi, v5
	v_xor_b32_e32 v5, vcc_lo, v5
	v_and_b32_e32 v97, v97, v5
	v_lshlrev_b32_e32 v5, 29, v96
	v_cmp_gt_i64_e32 vcc, 0, v[4:5]
	v_not_b32_e32 v5, v5
	v_ashrrev_i32_e32 v5, 31, v5
	v_and_b32_e32 v98, v98, v99
	v_xor_b32_e32 v99, vcc_hi, v5
	v_xor_b32_e32 v5, vcc_lo, v5
	v_and_b32_e32 v97, v97, v5
	v_lshlrev_b32_e32 v5, 28, v96
	v_cmp_gt_i64_e32 vcc, 0, v[4:5]
	v_not_b32_e32 v5, v5
	v_ashrrev_i32_e32 v5, 31, v5
	v_and_b32_e32 v98, v98, v99
	;; [unrolled: 8-line block ×5, first 2 shown]
	v_xor_b32_e32 v99, vcc_hi, v5
	v_xor_b32_e32 v5, vcc_lo, v5
	v_and_b32_e32 v98, v98, v99
	v_and_b32_e32 v99, v97, v5
	v_lshlrev_b32_e32 v5, 24, v96
	v_cmp_gt_i64_e32 vcc, 0, v[4:5]
	v_not_b32_e32 v5, v5
	v_ashrrev_i32_e32 v5, 31, v5
	v_xor_b32_e32 v96, vcc_hi, v5
	v_xor_b32_e32 v5, vcc_lo, v5
	v_and_b32_e32 v97, v98, v96
	v_and_b32_e32 v96, v99, v5
	v_mbcnt_lo_u32_b32 v5, v96, 0
	v_mbcnt_hi_u32_b32 v215, v97, v5
	v_cmp_eq_u32_e32 vcc, 0, v215
	v_cmp_ne_u64_e64 s[36:37], 0, v[96:97]
	s_and_b64 s[38:39], s[36:37], vcc
	; wave barrier
	s_and_saveexec_b64 s[36:37], s[38:39]
	s_cbranch_execz .LBB1251_455
; %bb.454:                              ;   in Loop: Header=BB1251_397 Depth=2
	v_bcnt_u32_b32 v5, v96, 0
	v_bcnt_u32_b32 v5, v97, v5
	s_waitcnt lgkmcnt(0)
	v_add_u32_e32 v5, v213, v5
	ds_write_b32 v214, v5
.LBB1251_455:                           ;   in Loop: Header=BB1251_397 Depth=2
	s_or_b64 exec, exec, s[36:37]
	s_waitcnt vmcnt(3)
	v_cmp_lt_i64_e32 vcc, -1, v[80:81]
	v_cndmask_b32_e32 v5, -1, v133, vcc
	v_ashrrev_i32_e32 v96, 31, v81
	v_xor_b32_e32 v81, v5, v81
	v_xor_b32_e32 v80, v96, v80
	v_cmp_ne_u64_e32 vcc, s[78:79], v[80:81]
	v_cndmask_b32_e32 v97, v133, v81, vcc
	v_cndmask_b32_e32 v96, 0, v80, vcc
	v_lshrrev_b64 v[96:97], s33, v[96:97]
	v_and_b32_e32 v96, s69, v96
	v_mul_u32_u24_e32 v5, 5, v96
	v_add_lshl_u32 v5, v5, v177, 2
	; wave barrier
	v_add_u32_e32 v217, 0x410, v5
	ds_read_b32 v216, v5 offset:1040
	v_and_b32_e32 v5, 1, v96
	v_add_co_u32_e32 v97, vcc, -1, v5
	v_addc_co_u32_e64 v98, s[36:37], 0, -1, vcc
	v_cmp_ne_u32_e32 vcc, 0, v5
	v_xor_b32_e32 v5, vcc_hi, v98
	v_and_b32_e32 v98, exec_hi, v5
	v_lshlrev_b32_e32 v5, 30, v96
	v_xor_b32_e32 v97, vcc_lo, v97
	v_cmp_gt_i64_e32 vcc, 0, v[4:5]
	v_not_b32_e32 v5, v5
	v_ashrrev_i32_e32 v5, 31, v5
	v_and_b32_e32 v97, exec_lo, v97
	v_xor_b32_e32 v99, vcc_hi, v5
	v_xor_b32_e32 v5, vcc_lo, v5
	v_and_b32_e32 v97, v97, v5
	v_lshlrev_b32_e32 v5, 29, v96
	v_cmp_gt_i64_e32 vcc, 0, v[4:5]
	v_not_b32_e32 v5, v5
	v_ashrrev_i32_e32 v5, 31, v5
	v_and_b32_e32 v98, v98, v99
	v_xor_b32_e32 v99, vcc_hi, v5
	v_xor_b32_e32 v5, vcc_lo, v5
	v_and_b32_e32 v97, v97, v5
	v_lshlrev_b32_e32 v5, 28, v96
	v_cmp_gt_i64_e32 vcc, 0, v[4:5]
	v_not_b32_e32 v5, v5
	v_ashrrev_i32_e32 v5, 31, v5
	v_and_b32_e32 v98, v98, v99
	;; [unrolled: 8-line block ×5, first 2 shown]
	v_xor_b32_e32 v99, vcc_hi, v5
	v_xor_b32_e32 v5, vcc_lo, v5
	v_and_b32_e32 v98, v98, v99
	v_and_b32_e32 v99, v97, v5
	v_lshlrev_b32_e32 v5, 24, v96
	v_cmp_gt_i64_e32 vcc, 0, v[4:5]
	v_not_b32_e32 v5, v5
	v_ashrrev_i32_e32 v5, 31, v5
	v_xor_b32_e32 v96, vcc_hi, v5
	v_xor_b32_e32 v5, vcc_lo, v5
	v_and_b32_e32 v97, v98, v96
	v_and_b32_e32 v96, v99, v5
	v_mbcnt_lo_u32_b32 v5, v96, 0
	v_mbcnt_hi_u32_b32 v218, v97, v5
	v_cmp_eq_u32_e32 vcc, 0, v218
	v_cmp_ne_u64_e64 s[36:37], 0, v[96:97]
	s_and_b64 s[38:39], s[36:37], vcc
	; wave barrier
	s_and_saveexec_b64 s[36:37], s[38:39]
	s_cbranch_execz .LBB1251_457
; %bb.456:                              ;   in Loop: Header=BB1251_397 Depth=2
	v_bcnt_u32_b32 v5, v96, 0
	v_bcnt_u32_b32 v5, v97, v5
	s_waitcnt lgkmcnt(0)
	v_add_u32_e32 v5, v216, v5
	ds_write_b32 v217, v5
.LBB1251_457:                           ;   in Loop: Header=BB1251_397 Depth=2
	s_or_b64 exec, exec, s[36:37]
	s_waitcnt vmcnt(2)
	v_cmp_lt_i64_e32 vcc, -1, v[76:77]
	v_cndmask_b32_e32 v5, -1, v133, vcc
	v_ashrrev_i32_e32 v96, 31, v77
	v_xor_b32_e32 v77, v5, v77
	v_xor_b32_e32 v76, v96, v76
	v_cmp_ne_u64_e32 vcc, s[78:79], v[76:77]
	v_cndmask_b32_e32 v97, v133, v77, vcc
	v_cndmask_b32_e32 v96, 0, v76, vcc
	v_lshrrev_b64 v[96:97], s33, v[96:97]
	v_and_b32_e32 v96, s69, v96
	v_mul_u32_u24_e32 v5, 5, v96
	v_add_lshl_u32 v5, v5, v177, 2
	; wave barrier
	v_add_u32_e32 v220, 0x410, v5
	ds_read_b32 v219, v5 offset:1040
	v_and_b32_e32 v5, 1, v96
	v_add_co_u32_e32 v97, vcc, -1, v5
	v_addc_co_u32_e64 v98, s[36:37], 0, -1, vcc
	v_cmp_ne_u32_e32 vcc, 0, v5
	v_xor_b32_e32 v5, vcc_hi, v98
	v_and_b32_e32 v98, exec_hi, v5
	v_lshlrev_b32_e32 v5, 30, v96
	v_xor_b32_e32 v97, vcc_lo, v97
	v_cmp_gt_i64_e32 vcc, 0, v[4:5]
	v_not_b32_e32 v5, v5
	v_ashrrev_i32_e32 v5, 31, v5
	v_and_b32_e32 v97, exec_lo, v97
	v_xor_b32_e32 v99, vcc_hi, v5
	v_xor_b32_e32 v5, vcc_lo, v5
	v_and_b32_e32 v97, v97, v5
	v_lshlrev_b32_e32 v5, 29, v96
	v_cmp_gt_i64_e32 vcc, 0, v[4:5]
	v_not_b32_e32 v5, v5
	v_ashrrev_i32_e32 v5, 31, v5
	v_and_b32_e32 v98, v98, v99
	v_xor_b32_e32 v99, vcc_hi, v5
	v_xor_b32_e32 v5, vcc_lo, v5
	v_and_b32_e32 v97, v97, v5
	v_lshlrev_b32_e32 v5, 28, v96
	v_cmp_gt_i64_e32 vcc, 0, v[4:5]
	v_not_b32_e32 v5, v5
	v_ashrrev_i32_e32 v5, 31, v5
	v_and_b32_e32 v98, v98, v99
	v_xor_b32_e32 v99, vcc_hi, v5
	v_xor_b32_e32 v5, vcc_lo, v5
	v_and_b32_e32 v97, v97, v5
	v_lshlrev_b32_e32 v5, 27, v96
	v_cmp_gt_i64_e32 vcc, 0, v[4:5]
	v_not_b32_e32 v5, v5
	v_ashrrev_i32_e32 v5, 31, v5
	v_and_b32_e32 v98, v98, v99
	v_xor_b32_e32 v99, vcc_hi, v5
	v_xor_b32_e32 v5, vcc_lo, v5
	v_and_b32_e32 v97, v97, v5
	v_lshlrev_b32_e32 v5, 26, v96
	v_cmp_gt_i64_e32 vcc, 0, v[4:5]
	v_not_b32_e32 v5, v5
	v_ashrrev_i32_e32 v5, 31, v5
	v_and_b32_e32 v98, v98, v99
	v_xor_b32_e32 v99, vcc_hi, v5
	v_xor_b32_e32 v5, vcc_lo, v5
	v_and_b32_e32 v97, v97, v5
	v_lshlrev_b32_e32 v5, 25, v96
	v_cmp_gt_i64_e32 vcc, 0, v[4:5]
	v_not_b32_e32 v5, v5
	v_ashrrev_i32_e32 v5, 31, v5
	v_and_b32_e32 v98, v98, v99
	v_xor_b32_e32 v99, vcc_hi, v5
	v_xor_b32_e32 v5, vcc_lo, v5
	v_and_b32_e32 v98, v98, v99
	v_and_b32_e32 v99, v97, v5
	v_lshlrev_b32_e32 v5, 24, v96
	v_cmp_gt_i64_e32 vcc, 0, v[4:5]
	v_not_b32_e32 v5, v5
	v_ashrrev_i32_e32 v5, 31, v5
	v_xor_b32_e32 v96, vcc_hi, v5
	v_xor_b32_e32 v5, vcc_lo, v5
	v_and_b32_e32 v97, v98, v96
	v_and_b32_e32 v96, v99, v5
	v_mbcnt_lo_u32_b32 v5, v96, 0
	v_mbcnt_hi_u32_b32 v221, v97, v5
	v_cmp_eq_u32_e32 vcc, 0, v221
	v_cmp_ne_u64_e64 s[36:37], 0, v[96:97]
	s_and_b64 s[38:39], s[36:37], vcc
	; wave barrier
	s_and_saveexec_b64 s[36:37], s[38:39]
	s_cbranch_execz .LBB1251_459
; %bb.458:                              ;   in Loop: Header=BB1251_397 Depth=2
	v_bcnt_u32_b32 v5, v96, 0
	v_bcnt_u32_b32 v5, v97, v5
	s_waitcnt lgkmcnt(0)
	v_add_u32_e32 v5, v219, v5
	ds_write_b32 v220, v5
.LBB1251_459:                           ;   in Loop: Header=BB1251_397 Depth=2
	s_or_b64 exec, exec, s[36:37]
	s_waitcnt vmcnt(1)
	v_cmp_lt_i64_e32 vcc, -1, v[72:73]
	v_cndmask_b32_e32 v5, -1, v133, vcc
	v_ashrrev_i32_e32 v96, 31, v73
	v_xor_b32_e32 v73, v5, v73
	v_xor_b32_e32 v72, v96, v72
	v_cmp_ne_u64_e32 vcc, s[78:79], v[72:73]
	v_cndmask_b32_e32 v97, v133, v73, vcc
	v_cndmask_b32_e32 v96, 0, v72, vcc
	v_lshrrev_b64 v[96:97], s33, v[96:97]
	v_and_b32_e32 v96, s69, v96
	v_mul_u32_u24_e32 v5, 5, v96
	v_add_lshl_u32 v5, v5, v177, 2
	; wave barrier
	v_add_u32_e32 v223, 0x410, v5
	ds_read_b32 v222, v5 offset:1040
	v_and_b32_e32 v5, 1, v96
	v_add_co_u32_e32 v97, vcc, -1, v5
	v_addc_co_u32_e64 v98, s[36:37], 0, -1, vcc
	v_cmp_ne_u32_e32 vcc, 0, v5
	v_xor_b32_e32 v5, vcc_hi, v98
	v_and_b32_e32 v98, exec_hi, v5
	v_lshlrev_b32_e32 v5, 30, v96
	v_xor_b32_e32 v97, vcc_lo, v97
	v_cmp_gt_i64_e32 vcc, 0, v[4:5]
	v_not_b32_e32 v5, v5
	v_ashrrev_i32_e32 v5, 31, v5
	v_and_b32_e32 v97, exec_lo, v97
	v_xor_b32_e32 v99, vcc_hi, v5
	v_xor_b32_e32 v5, vcc_lo, v5
	v_and_b32_e32 v97, v97, v5
	v_lshlrev_b32_e32 v5, 29, v96
	v_cmp_gt_i64_e32 vcc, 0, v[4:5]
	v_not_b32_e32 v5, v5
	v_ashrrev_i32_e32 v5, 31, v5
	v_and_b32_e32 v98, v98, v99
	v_xor_b32_e32 v99, vcc_hi, v5
	v_xor_b32_e32 v5, vcc_lo, v5
	v_and_b32_e32 v97, v97, v5
	v_lshlrev_b32_e32 v5, 28, v96
	v_cmp_gt_i64_e32 vcc, 0, v[4:5]
	v_not_b32_e32 v5, v5
	v_ashrrev_i32_e32 v5, 31, v5
	v_and_b32_e32 v98, v98, v99
	v_xor_b32_e32 v99, vcc_hi, v5
	v_xor_b32_e32 v5, vcc_lo, v5
	v_and_b32_e32 v97, v97, v5
	v_lshlrev_b32_e32 v5, 27, v96
	v_cmp_gt_i64_e32 vcc, 0, v[4:5]
	v_not_b32_e32 v5, v5
	v_ashrrev_i32_e32 v5, 31, v5
	v_and_b32_e32 v98, v98, v99
	v_xor_b32_e32 v99, vcc_hi, v5
	v_xor_b32_e32 v5, vcc_lo, v5
	v_and_b32_e32 v97, v97, v5
	v_lshlrev_b32_e32 v5, 26, v96
	v_cmp_gt_i64_e32 vcc, 0, v[4:5]
	v_not_b32_e32 v5, v5
	v_ashrrev_i32_e32 v5, 31, v5
	v_and_b32_e32 v98, v98, v99
	v_xor_b32_e32 v99, vcc_hi, v5
	v_xor_b32_e32 v5, vcc_lo, v5
	v_and_b32_e32 v97, v97, v5
	v_lshlrev_b32_e32 v5, 25, v96
	v_cmp_gt_i64_e32 vcc, 0, v[4:5]
	v_not_b32_e32 v5, v5
	v_ashrrev_i32_e32 v5, 31, v5
	v_and_b32_e32 v98, v98, v99
	v_xor_b32_e32 v99, vcc_hi, v5
	v_xor_b32_e32 v5, vcc_lo, v5
	v_and_b32_e32 v98, v98, v99
	v_and_b32_e32 v99, v97, v5
	v_lshlrev_b32_e32 v5, 24, v96
	v_cmp_gt_i64_e32 vcc, 0, v[4:5]
	v_not_b32_e32 v5, v5
	v_ashrrev_i32_e32 v5, 31, v5
	v_xor_b32_e32 v96, vcc_hi, v5
	v_xor_b32_e32 v5, vcc_lo, v5
	v_and_b32_e32 v97, v98, v96
	v_and_b32_e32 v96, v99, v5
	v_mbcnt_lo_u32_b32 v5, v96, 0
	v_mbcnt_hi_u32_b32 v224, v97, v5
	v_cmp_eq_u32_e32 vcc, 0, v224
	v_cmp_ne_u64_e64 s[36:37], 0, v[96:97]
	s_and_b64 s[38:39], s[36:37], vcc
	; wave barrier
	s_and_saveexec_b64 s[36:37], s[38:39]
	s_cbranch_execz .LBB1251_461
; %bb.460:                              ;   in Loop: Header=BB1251_397 Depth=2
	v_bcnt_u32_b32 v5, v96, 0
	v_bcnt_u32_b32 v5, v97, v5
	s_waitcnt lgkmcnt(0)
	v_add_u32_e32 v5, v222, v5
	ds_write_b32 v223, v5
.LBB1251_461:                           ;   in Loop: Header=BB1251_397 Depth=2
	s_or_b64 exec, exec, s[36:37]
	s_waitcnt vmcnt(0)
	v_cmp_lt_i64_e32 vcc, -1, v[68:69]
	v_cndmask_b32_e32 v5, -1, v133, vcc
	v_ashrrev_i32_e32 v96, 31, v69
	v_xor_b32_e32 v69, v5, v69
	v_xor_b32_e32 v68, v96, v68
	v_cmp_ne_u64_e32 vcc, s[78:79], v[68:69]
	v_cndmask_b32_e32 v97, v133, v69, vcc
	v_cndmask_b32_e32 v96, 0, v68, vcc
	v_lshrrev_b64 v[96:97], s33, v[96:97]
	v_and_b32_e32 v96, s69, v96
	v_mul_u32_u24_e32 v5, 5, v96
	v_add_lshl_u32 v5, v5, v177, 2
	; wave barrier
	v_add_u32_e32 v226, 0x410, v5
	ds_read_b32 v225, v5 offset:1040
	v_and_b32_e32 v5, 1, v96
	v_add_co_u32_e32 v97, vcc, -1, v5
	v_addc_co_u32_e64 v98, s[36:37], 0, -1, vcc
	v_cmp_ne_u32_e32 vcc, 0, v5
	v_xor_b32_e32 v5, vcc_hi, v98
	v_and_b32_e32 v98, exec_hi, v5
	v_lshlrev_b32_e32 v5, 30, v96
	v_xor_b32_e32 v97, vcc_lo, v97
	v_cmp_gt_i64_e32 vcc, 0, v[4:5]
	v_not_b32_e32 v5, v5
	v_ashrrev_i32_e32 v5, 31, v5
	v_and_b32_e32 v97, exec_lo, v97
	v_xor_b32_e32 v99, vcc_hi, v5
	v_xor_b32_e32 v5, vcc_lo, v5
	v_and_b32_e32 v97, v97, v5
	v_lshlrev_b32_e32 v5, 29, v96
	v_cmp_gt_i64_e32 vcc, 0, v[4:5]
	v_not_b32_e32 v5, v5
	v_ashrrev_i32_e32 v5, 31, v5
	v_and_b32_e32 v98, v98, v99
	v_xor_b32_e32 v99, vcc_hi, v5
	v_xor_b32_e32 v5, vcc_lo, v5
	v_and_b32_e32 v97, v97, v5
	v_lshlrev_b32_e32 v5, 28, v96
	v_cmp_gt_i64_e32 vcc, 0, v[4:5]
	v_not_b32_e32 v5, v5
	v_ashrrev_i32_e32 v5, 31, v5
	v_and_b32_e32 v98, v98, v99
	;; [unrolled: 8-line block ×5, first 2 shown]
	v_xor_b32_e32 v99, vcc_hi, v5
	v_xor_b32_e32 v5, vcc_lo, v5
	v_and_b32_e32 v98, v98, v99
	v_and_b32_e32 v99, v97, v5
	v_lshlrev_b32_e32 v5, 24, v96
	v_cmp_gt_i64_e32 vcc, 0, v[4:5]
	v_not_b32_e32 v5, v5
	v_ashrrev_i32_e32 v5, 31, v5
	v_xor_b32_e32 v96, vcc_hi, v5
	v_xor_b32_e32 v5, vcc_lo, v5
	v_and_b32_e32 v97, v98, v96
	v_and_b32_e32 v96, v99, v5
	v_mbcnt_lo_u32_b32 v5, v96, 0
	v_mbcnt_hi_u32_b32 v227, v97, v5
	v_cmp_eq_u32_e32 vcc, 0, v227
	v_cmp_ne_u64_e64 s[36:37], 0, v[96:97]
	s_and_b64 s[38:39], s[36:37], vcc
	; wave barrier
	s_and_saveexec_b64 s[36:37], s[38:39]
	s_cbranch_execz .LBB1251_463
; %bb.462:                              ;   in Loop: Header=BB1251_397 Depth=2
	v_bcnt_u32_b32 v5, v96, 0
	v_bcnt_u32_b32 v5, v97, v5
	s_waitcnt lgkmcnt(0)
	v_add_u32_e32 v5, v225, v5
	ds_write_b32 v226, v5
.LBB1251_463:                           ;   in Loop: Header=BB1251_397 Depth=2
	s_or_b64 exec, exec, s[36:37]
	v_cmp_lt_i64_e32 vcc, -1, v[70:71]
	v_cndmask_b32_e32 v5, -1, v133, vcc
	v_ashrrev_i32_e32 v96, 31, v71
	v_xor_b32_e32 v71, v5, v71
	v_xor_b32_e32 v70, v96, v70
	v_cmp_ne_u64_e32 vcc, s[78:79], v[70:71]
	v_cndmask_b32_e32 v97, v133, v71, vcc
	v_cndmask_b32_e32 v96, 0, v70, vcc
	v_lshrrev_b64 v[96:97], s33, v[96:97]
	v_and_b32_e32 v96, s69, v96
	v_mul_u32_u24_e32 v5, 5, v96
	v_add_lshl_u32 v5, v5, v177, 2
	; wave barrier
	v_add_u32_e32 v229, 0x410, v5
	ds_read_b32 v228, v5 offset:1040
	v_and_b32_e32 v5, 1, v96
	v_add_co_u32_e32 v97, vcc, -1, v5
	v_addc_co_u32_e64 v98, s[36:37], 0, -1, vcc
	v_cmp_ne_u32_e32 vcc, 0, v5
	v_xor_b32_e32 v5, vcc_hi, v98
	v_and_b32_e32 v98, exec_hi, v5
	v_lshlrev_b32_e32 v5, 30, v96
	v_xor_b32_e32 v97, vcc_lo, v97
	v_cmp_gt_i64_e32 vcc, 0, v[4:5]
	v_not_b32_e32 v5, v5
	v_ashrrev_i32_e32 v5, 31, v5
	v_and_b32_e32 v97, exec_lo, v97
	v_xor_b32_e32 v99, vcc_hi, v5
	v_xor_b32_e32 v5, vcc_lo, v5
	v_and_b32_e32 v97, v97, v5
	v_lshlrev_b32_e32 v5, 29, v96
	v_cmp_gt_i64_e32 vcc, 0, v[4:5]
	v_not_b32_e32 v5, v5
	v_ashrrev_i32_e32 v5, 31, v5
	v_and_b32_e32 v98, v98, v99
	v_xor_b32_e32 v99, vcc_hi, v5
	v_xor_b32_e32 v5, vcc_lo, v5
	v_and_b32_e32 v97, v97, v5
	v_lshlrev_b32_e32 v5, 28, v96
	v_cmp_gt_i64_e32 vcc, 0, v[4:5]
	v_not_b32_e32 v5, v5
	v_ashrrev_i32_e32 v5, 31, v5
	v_and_b32_e32 v98, v98, v99
	;; [unrolled: 8-line block ×5, first 2 shown]
	v_xor_b32_e32 v99, vcc_hi, v5
	v_xor_b32_e32 v5, vcc_lo, v5
	v_and_b32_e32 v98, v98, v99
	v_and_b32_e32 v99, v97, v5
	v_lshlrev_b32_e32 v5, 24, v96
	v_cmp_gt_i64_e32 vcc, 0, v[4:5]
	v_not_b32_e32 v5, v5
	v_ashrrev_i32_e32 v5, 31, v5
	v_xor_b32_e32 v96, vcc_hi, v5
	v_xor_b32_e32 v5, vcc_lo, v5
	v_and_b32_e32 v97, v98, v96
	v_and_b32_e32 v96, v99, v5
	v_mbcnt_lo_u32_b32 v5, v96, 0
	v_mbcnt_hi_u32_b32 v230, v97, v5
	v_cmp_eq_u32_e32 vcc, 0, v230
	v_cmp_ne_u64_e64 s[36:37], 0, v[96:97]
	s_and_b64 s[38:39], s[36:37], vcc
	; wave barrier
	s_and_saveexec_b64 s[36:37], s[38:39]
	s_cbranch_execz .LBB1251_465
; %bb.464:                              ;   in Loop: Header=BB1251_397 Depth=2
	v_bcnt_u32_b32 v5, v96, 0
	v_bcnt_u32_b32 v5, v97, v5
	s_waitcnt lgkmcnt(0)
	v_add_u32_e32 v5, v228, v5
	ds_write_b32 v229, v5
.LBB1251_465:                           ;   in Loop: Header=BB1251_397 Depth=2
	s_or_b64 exec, exec, s[36:37]
	; wave barrier
	s_waitcnt lgkmcnt(0)
	s_barrier
	ds_read_b32 v5, v27 offset:1040
	ds_read2_b32 v[98:99], v31 offset0:1 offset1:2
	ds_read2_b32 v[96:97], v31 offset0:3 offset1:4
	s_waitcnt lgkmcnt(1)
	v_add3_u32 v231, v98, v5, v99
	s_waitcnt lgkmcnt(0)
	v_add3_u32 v97, v231, v96, v97
	s_nop 1
	v_mov_b32_dpp v231, v97 row_shr:1 row_mask:0xf bank_mask:0xf
	v_cndmask_b32_e64 v231, v231, 0, s[16:17]
	v_add_u32_e32 v97, v231, v97
	s_nop 1
	v_mov_b32_dpp v231, v97 row_shr:2 row_mask:0xf bank_mask:0xf
	v_cndmask_b32_e64 v231, 0, v231, s[18:19]
	v_add_u32_e32 v97, v97, v231
	;; [unrolled: 4-line block ×4, first 2 shown]
	s_nop 1
	v_mov_b32_dpp v231, v97 row_bcast:15 row_mask:0xf bank_mask:0xf
	v_cndmask_b32_e64 v231, v231, 0, s[24:25]
	v_add_u32_e32 v97, v97, v231
	s_nop 1
	v_mov_b32_dpp v231, v97 row_bcast:31 row_mask:0xf bank_mask:0xf
	v_cndmask_b32_e64 v231, 0, v231, s[26:27]
	v_add_u32_e32 v97, v97, v231
	s_and_saveexec_b64 s[36:37], s[6:7]
	s_cbranch_execz .LBB1251_467
; %bb.466:                              ;   in Loop: Header=BB1251_397 Depth=2
	ds_write_b32 v15, v97 offset:1024
.LBB1251_467:                           ;   in Loop: Header=BB1251_397 Depth=2
	s_or_b64 exec, exec, s[36:37]
	s_waitcnt lgkmcnt(0)
	s_barrier
	s_and_saveexec_b64 s[36:37], s[8:9]
	s_cbranch_execz .LBB1251_469
; %bb.468:                              ;   in Loop: Header=BB1251_397 Depth=2
	ds_read_b32 v231, v33 offset:1024
	s_waitcnt lgkmcnt(0)
	s_nop 0
	v_mov_b32_dpp v232, v231 row_shr:1 row_mask:0xf bank_mask:0xf
	v_cndmask_b32_e64 v232, v232, 0, s[30:31]
	v_add_u32_e32 v231, v232, v231
	s_nop 1
	v_mov_b32_dpp v232, v231 row_shr:2 row_mask:0xf bank_mask:0xf
	v_cndmask_b32_e64 v232, 0, v232, s[34:35]
	v_add_u32_e32 v231, v231, v232
	ds_write_b32 v33, v231 offset:1024
.LBB1251_469:                           ;   in Loop: Header=BB1251_397 Depth=2
	s_or_b64 exec, exec, s[36:37]
	v_mov_b32_e32 v231, 0
	s_waitcnt lgkmcnt(0)
	s_barrier
	s_and_saveexec_b64 s[36:37], s[10:11]
	s_cbranch_execz .LBB1251_471
; %bb.470:                              ;   in Loop: Header=BB1251_397 Depth=2
	ds_read_b32 v231, v15 offset:1020
.LBB1251_471:                           ;   in Loop: Header=BB1251_397 Depth=2
	s_or_b64 exec, exec, s[36:37]
	s_waitcnt lgkmcnt(0)
	v_add_u32_e32 v97, v231, v97
	ds_bpermute_b32 v97, v159, v97
	s_waitcnt lgkmcnt(0)
	v_cndmask_b32_e64 v97, v97, v231, s[28:29]
	v_cndmask_b32_e64 v97, v97, 0, s[12:13]
	v_add_u32_e32 v5, v97, v5
	ds_write_b32 v27, v97 offset:1040
	v_add_u32_e32 v97, v5, v98
	v_add_u32_e32 v98, v97, v99
	ds_write2_b32 v31, v5, v97 offset0:1 offset1:2
	v_add_u32_e32 v5, v98, v96
	ds_write2_b32 v31, v98, v5 offset0:3 offset1:4
	s_waitcnt lgkmcnt(0)
	s_barrier
	ds_read_b32 v97, v187
	ds_read_b32 v235, v190
	;; [unrolled: 1-line block ×16, first 2 shown]
	ds_read_b32 v184, v27 offset:1040
	v_mov_b32_e32 v5, 0x1000
	s_and_saveexec_b64 s[36:37], s[14:15]
	s_cbranch_execz .LBB1251_473
; %bb.472:                              ;   in Loop: Header=BB1251_397 Depth=2
	ds_read_b32 v5, v27 offset:1060
.LBB1251_473:                           ;   in Loop: Header=BB1251_397 Depth=2
	s_or_b64 exec, exec, s[36:37]
	s_waitcnt lgkmcnt(0)
	s_barrier
	s_and_saveexec_b64 s[36:37], s[4:5]
	s_cbranch_execz .LBB1251_475
; %bb.474:                              ;   in Loop: Header=BB1251_397 Depth=2
	ds_read_b32 v208, v3
	s_waitcnt lgkmcnt(0)
	v_sub_u32_e32 v184, v208, v184
	ds_write_b32 v3, v184
.LBB1251_475:                           ;   in Loop: Header=BB1251_397 Depth=2
	s_or_b64 exec, exec, s[36:37]
	v_add_u32_e32 v186, v188, v186
	v_add_u32_e32 v189, v191, v189
	v_add_lshl_u32 v96, v96, v185, 3
	v_add_lshl_u32 v97, v186, v97, 3
	v_add_u32_e32 v198, v200, v198
	v_add_u32_e32 v195, v197, v195
	;; [unrolled: 1-line block ×3, first 2 shown]
	ds_write_b64 v96, v[64:65] offset:1024
	ds_write_b64 v97, v[66:67] offset:1024
	v_add_lshl_u32 v66, v189, v235, 3
	v_add_u32_e32 v213, v215, v213
	v_add_u32_e32 v210, v212, v210
	;; [unrolled: 1-line block ×5, first 2 shown]
	ds_write_b64 v66, v[74:75] offset:1024
	v_add_lshl_u32 v67, v192, v234, 3
	v_add_lshl_u32 v74, v195, v233, 3
	;; [unrolled: 1-line block ×3, first 2 shown]
	v_add_u32_e32 v216, v218, v216
	ds_write_b64 v67, v[78:79] offset:1024
	ds_write_b64 v74, v[82:83] offset:1024
	;; [unrolled: 1-line block ×3, first 2 shown]
	v_add_lshl_u32 v78, v201, v231, 3
	v_add_lshl_u32 v79, v204, v205, 3
	;; [unrolled: 1-line block ×5, first 2 shown]
	v_add_u32_e32 v214, v221, v219
	ds_write_b64 v78, v[90:91] offset:1024
	ds_write_b64 v79, v[94:95] offset:1024
	;; [unrolled: 1-line block ×5, first 2 shown]
	v_add_lshl_u32 v84, v216, v193, 3
	v_add_u32_e32 v211, v224, v222
	ds_write_b64 v84, v[80:81] offset:1024
	v_add_lshl_u32 v80, v214, v190, 3
	v_add_u32_e32 v208, v227, v225
	ds_write_b64 v80, v[76:77] offset:1024
	;; [unrolled: 3-line block ×3, first 2 shown]
	v_add_lshl_u32 v72, v208, v99, 3
	ds_write_b64 v72, v[68:69] offset:1024
	v_add_lshl_u32 v68, v184, v98, 3
	v_cmp_lt_u32_e64 s[36:37], v2, v183
	ds_write_b64 v68, v[70:71] offset:1024
	s_waitcnt lgkmcnt(0)
	s_barrier
	s_and_saveexec_b64 s[40:41], s[36:37]
	s_cbranch_execz .LBB1251_491
; %bb.476:                              ;   in Loop: Header=BB1251_397 Depth=2
	v_add_u32_e32 v64, v33, v3
	ds_read_b64 v[64:65], v64 offset:1024
	v_mov_b32_e32 v71, v4
	s_waitcnt lgkmcnt(0)
	v_cmp_ne_u64_e32 vcc, s[78:79], v[64:65]
	v_cndmask_b32_e32 v89, v133, v65, vcc
	v_cndmask_b32_e32 v88, 0, v64, vcc
	v_lshrrev_b64 v[88:89], s33, v[88:89]
	v_and_b32_e32 v70, s69, v88
	v_lshlrev_b32_e32 v70, 2, v70
	ds_read_b32 v70, v70
	v_cmp_lt_i64_e64 s[38:39], -1, v[64:65]
	v_cndmask_b32_e64 v69, v133, -1, s[38:39]
	v_ashrrev_i32_e32 v73, 31, v65
	v_not_b32_e32 v73, v73
	s_waitcnt lgkmcnt(0)
	v_add_u32_e32 v70, v70, v2
	v_lshlrev_b64 v[70:71], 3, v[70:71]
	v_xor_b32_e32 v65, v69, v65
	v_mov_b32_e32 v69, s77
	v_add_co_u32_e32 v70, vcc, s76, v70
	v_xor_b32_e32 v64, v73, v64
	v_addc_co_u32_e32 v71, vcc, v69, v71, vcc
	global_store_dwordx2 v[70:71], v[64:65], off
	s_or_b64 exec, exec, s[40:41]
	v_cmp_lt_u32_e64 s[38:39], v7, v183
	s_and_saveexec_b64 s[42:43], s[38:39]
	s_cbranch_execnz .LBB1251_492
.LBB1251_477:                           ;   in Loop: Header=BB1251_397 Depth=2
	s_or_b64 exec, exec, s[42:43]
	v_cmp_lt_u32_e64 s[40:41], v6, v183
	s_and_saveexec_b64 s[44:45], s[40:41]
	s_cbranch_execz .LBB1251_493
.LBB1251_478:                           ;   in Loop: Header=BB1251_397 Depth=2
	ds_read_b64 v[64:65], v104 offset:4096
	v_mov_b32_e32 v71, v4
	s_waitcnt lgkmcnt(0)
	v_cmp_ne_u64_e32 vcc, s[78:79], v[64:65]
	v_cndmask_b32_e32 v89, v133, v65, vcc
	v_cndmask_b32_e32 v88, 0, v64, vcc
	v_lshrrev_b64 v[88:89], s33, v[88:89]
	v_and_b32_e32 v70, s69, v88
	v_lshlrev_b32_e32 v70, 2, v70
	ds_read_b32 v70, v70
	v_cmp_lt_i64_e64 s[42:43], -1, v[64:65]
	v_cndmask_b32_e64 v69, v133, -1, s[42:43]
	v_ashrrev_i32_e32 v73, 31, v65
	v_not_b32_e32 v73, v73
	s_waitcnt lgkmcnt(0)
	v_add_u32_e32 v70, v70, v6
	v_lshlrev_b64 v[70:71], 3, v[70:71]
	v_xor_b32_e32 v65, v69, v65
	v_mov_b32_e32 v69, s77
	v_add_co_u32_e32 v70, vcc, s76, v70
	v_xor_b32_e32 v64, v73, v64
	v_addc_co_u32_e32 v71, vcc, v69, v71, vcc
	global_store_dwordx2 v[70:71], v[64:65], off
	s_or_b64 exec, exec, s[44:45]
	v_cmp_lt_u32_e64 s[42:43], v8, v183
	s_and_saveexec_b64 s[46:47], s[42:43]
	s_cbranch_execnz .LBB1251_494
.LBB1251_479:                           ;   in Loop: Header=BB1251_397 Depth=2
	s_or_b64 exec, exec, s[46:47]
	v_cmp_lt_u32_e64 s[44:45], v10, v183
	s_and_saveexec_b64 s[48:49], s[44:45]
	s_cbranch_execz .LBB1251_495
.LBB1251_480:                           ;   in Loop: Header=BB1251_397 Depth=2
	ds_read_b64 v[64:65], v104 offset:8192
	v_mov_b32_e32 v71, v4
	s_waitcnt lgkmcnt(0)
	v_cmp_ne_u64_e32 vcc, s[78:79], v[64:65]
	v_cndmask_b32_e32 v89, v133, v65, vcc
	v_cndmask_b32_e32 v88, 0, v64, vcc
	v_lshrrev_b64 v[88:89], s33, v[88:89]
	v_and_b32_e32 v70, s69, v88
	v_lshlrev_b32_e32 v70, 2, v70
	ds_read_b32 v70, v70
	v_cmp_lt_i64_e64 s[46:47], -1, v[64:65]
	v_cndmask_b32_e64 v69, v133, -1, s[46:47]
	v_ashrrev_i32_e32 v73, 31, v65
	v_not_b32_e32 v73, v73
	s_waitcnt lgkmcnt(0)
	v_add_u32_e32 v70, v70, v10
	v_lshlrev_b64 v[70:71], 3, v[70:71]
	v_xor_b32_e32 v65, v69, v65
	v_mov_b32_e32 v69, s77
	v_add_co_u32_e32 v70, vcc, s76, v70
	v_xor_b32_e32 v64, v73, v64
	v_addc_co_u32_e32 v71, vcc, v69, v71, vcc
	global_store_dwordx2 v[70:71], v[64:65], off
	s_or_b64 exec, exec, s[48:49]
	v_cmp_lt_u32_e64 s[46:47], v12, v183
	s_and_saveexec_b64 s[50:51], s[46:47]
	s_cbranch_execnz .LBB1251_496
.LBB1251_481:                           ;   in Loop: Header=BB1251_397 Depth=2
	s_or_b64 exec, exec, s[50:51]
	v_cmp_lt_u32_e64 s[48:49], v14, v183
	s_and_saveexec_b64 s[52:53], s[48:49]
	s_cbranch_execz .LBB1251_497
.LBB1251_482:                           ;   in Loop: Header=BB1251_397 Depth=2
	ds_read_b64 v[64:65], v104 offset:12288
	v_mov_b32_e32 v71, v4
	s_waitcnt lgkmcnt(0)
	v_cmp_ne_u64_e32 vcc, s[78:79], v[64:65]
	v_cndmask_b32_e32 v89, v133, v65, vcc
	v_cndmask_b32_e32 v88, 0, v64, vcc
	v_lshrrev_b64 v[88:89], s33, v[88:89]
	v_and_b32_e32 v70, s69, v88
	v_lshlrev_b32_e32 v70, 2, v70
	ds_read_b32 v70, v70
	v_cmp_lt_i64_e64 s[50:51], -1, v[64:65]
	v_cndmask_b32_e64 v69, v133, -1, s[50:51]
	v_ashrrev_i32_e32 v73, 31, v65
	v_not_b32_e32 v73, v73
	s_waitcnt lgkmcnt(0)
	v_add_u32_e32 v70, v70, v14
	v_lshlrev_b64 v[70:71], 3, v[70:71]
	v_xor_b32_e32 v65, v69, v65
	v_mov_b32_e32 v69, s77
	v_add_co_u32_e32 v70, vcc, s76, v70
	v_xor_b32_e32 v64, v73, v64
	v_addc_co_u32_e32 v71, vcc, v69, v71, vcc
	global_store_dwordx2 v[70:71], v[64:65], off
	s_or_b64 exec, exec, s[52:53]
	v_cmp_lt_u32_e64 s[50:51], v16, v183
	s_and_saveexec_b64 s[54:55], s[50:51]
	s_cbranch_execnz .LBB1251_498
.LBB1251_483:                           ;   in Loop: Header=BB1251_397 Depth=2
	s_or_b64 exec, exec, s[54:55]
	v_cmp_lt_u32_e64 s[52:53], v18, v183
	s_and_saveexec_b64 s[56:57], s[52:53]
	s_cbranch_execz .LBB1251_499
.LBB1251_484:                           ;   in Loop: Header=BB1251_397 Depth=2
	ds_read_b64 v[64:65], v104 offset:16384
	v_mov_b32_e32 v71, v4
	s_waitcnt lgkmcnt(0)
	v_cmp_ne_u64_e32 vcc, s[78:79], v[64:65]
	v_cndmask_b32_e32 v89, v133, v65, vcc
	v_cndmask_b32_e32 v88, 0, v64, vcc
	v_lshrrev_b64 v[88:89], s33, v[88:89]
	v_and_b32_e32 v70, s69, v88
	v_lshlrev_b32_e32 v70, 2, v70
	ds_read_b32 v70, v70
	v_cmp_lt_i64_e64 s[54:55], -1, v[64:65]
	v_cndmask_b32_e64 v69, v133, -1, s[54:55]
	v_ashrrev_i32_e32 v73, 31, v65
	v_not_b32_e32 v73, v73
	s_waitcnt lgkmcnt(0)
	v_add_u32_e32 v70, v70, v18
	v_lshlrev_b64 v[70:71], 3, v[70:71]
	v_xor_b32_e32 v65, v69, v65
	v_mov_b32_e32 v69, s77
	v_add_co_u32_e32 v70, vcc, s76, v70
	v_xor_b32_e32 v64, v73, v64
	v_addc_co_u32_e32 v71, vcc, v69, v71, vcc
	global_store_dwordx2 v[70:71], v[64:65], off
	s_or_b64 exec, exec, s[56:57]
	v_cmp_lt_u32_e64 s[54:55], v20, v183
	s_and_saveexec_b64 s[58:59], s[54:55]
	s_cbranch_execnz .LBB1251_500
.LBB1251_485:                           ;   in Loop: Header=BB1251_397 Depth=2
	s_or_b64 exec, exec, s[58:59]
	v_cmp_lt_u32_e64 s[56:57], v22, v183
	s_and_saveexec_b64 s[60:61], s[56:57]
	s_cbranch_execz .LBB1251_501
.LBB1251_486:                           ;   in Loop: Header=BB1251_397 Depth=2
	ds_read_b64 v[64:65], v104 offset:20480
	v_mov_b32_e32 v71, v4
	s_waitcnt lgkmcnt(0)
	v_cmp_ne_u64_e32 vcc, s[78:79], v[64:65]
	v_cndmask_b32_e32 v89, v133, v65, vcc
	v_cndmask_b32_e32 v88, 0, v64, vcc
	v_lshrrev_b64 v[88:89], s33, v[88:89]
	v_and_b32_e32 v70, s69, v88
	v_lshlrev_b32_e32 v70, 2, v70
	ds_read_b32 v70, v70
	v_cmp_lt_i64_e64 s[58:59], -1, v[64:65]
	v_cndmask_b32_e64 v69, v133, -1, s[58:59]
	v_ashrrev_i32_e32 v73, 31, v65
	v_not_b32_e32 v73, v73
	s_waitcnt lgkmcnt(0)
	v_add_u32_e32 v70, v70, v22
	v_lshlrev_b64 v[70:71], 3, v[70:71]
	v_xor_b32_e32 v65, v69, v65
	v_mov_b32_e32 v69, s77
	v_add_co_u32_e32 v70, vcc, s76, v70
	v_xor_b32_e32 v64, v73, v64
	v_addc_co_u32_e32 v71, vcc, v69, v71, vcc
	global_store_dwordx2 v[70:71], v[64:65], off
	s_or_b64 exec, exec, s[60:61]
	v_cmp_lt_u32_e64 s[58:59], v24, v183
	s_and_saveexec_b64 s[62:63], s[58:59]
	s_cbranch_execnz .LBB1251_502
.LBB1251_487:                           ;   in Loop: Header=BB1251_397 Depth=2
	s_or_b64 exec, exec, s[62:63]
	v_cmp_lt_u32_e64 s[60:61], v26, v183
	s_and_saveexec_b64 s[64:65], s[60:61]
	s_cbranch_execz .LBB1251_503
.LBB1251_488:                           ;   in Loop: Header=BB1251_397 Depth=2
	ds_read_b64 v[64:65], v104 offset:24576
	v_mov_b32_e32 v71, v4
	s_waitcnt lgkmcnt(0)
	v_cmp_ne_u64_e32 vcc, s[78:79], v[64:65]
	v_cndmask_b32_e32 v89, v133, v65, vcc
	v_cndmask_b32_e32 v88, 0, v64, vcc
	v_lshrrev_b64 v[88:89], s33, v[88:89]
	v_and_b32_e32 v70, s69, v88
	v_lshlrev_b32_e32 v70, 2, v70
	ds_read_b32 v70, v70
	v_cmp_lt_i64_e64 s[62:63], -1, v[64:65]
	v_cndmask_b32_e64 v69, v133, -1, s[62:63]
	v_ashrrev_i32_e32 v73, 31, v65
	v_not_b32_e32 v73, v73
	s_waitcnt lgkmcnt(0)
	v_add_u32_e32 v70, v70, v26
	v_lshlrev_b64 v[70:71], 3, v[70:71]
	v_xor_b32_e32 v65, v69, v65
	v_mov_b32_e32 v69, s77
	v_add_co_u32_e32 v70, vcc, s76, v70
	v_xor_b32_e32 v64, v73, v64
	v_addc_co_u32_e32 v71, vcc, v69, v71, vcc
	global_store_dwordx2 v[70:71], v[64:65], off
	s_or_b64 exec, exec, s[64:65]
	v_cmp_lt_u32_e64 s[62:63], v28, v183
	s_and_saveexec_b64 s[66:67], s[62:63]
	s_cbranch_execnz .LBB1251_504
.LBB1251_489:                           ;   in Loop: Header=BB1251_397 Depth=2
	s_or_b64 exec, exec, s[66:67]
	v_cmp_lt_u32_e64 s[64:65], v30, v183
	s_and_saveexec_b64 s[92:93], s[64:65]
	s_cbranch_execz .LBB1251_505
.LBB1251_490:                           ;   in Loop: Header=BB1251_397 Depth=2
	ds_read_b64 v[64:65], v104 offset:28672
	v_mov_b32_e32 v71, v4
	s_waitcnt lgkmcnt(0)
	v_cmp_ne_u64_e32 vcc, s[78:79], v[64:65]
	v_cndmask_b32_e32 v89, v133, v65, vcc
	v_cndmask_b32_e32 v88, 0, v64, vcc
	v_lshrrev_b64 v[88:89], s33, v[88:89]
	v_and_b32_e32 v70, s69, v88
	v_lshlrev_b32_e32 v70, 2, v70
	ds_read_b32 v70, v70
	v_cmp_lt_i64_e64 s[66:67], -1, v[64:65]
	v_cndmask_b32_e64 v69, v133, -1, s[66:67]
	v_ashrrev_i32_e32 v73, 31, v65
	v_not_b32_e32 v73, v73
	s_waitcnt lgkmcnt(0)
	v_add_u32_e32 v70, v70, v30
	v_lshlrev_b64 v[70:71], 3, v[70:71]
	v_xor_b32_e32 v65, v69, v65
	v_mov_b32_e32 v69, s77
	v_add_co_u32_e32 v70, vcc, s76, v70
	v_xor_b32_e32 v64, v73, v64
	v_addc_co_u32_e32 v71, vcc, v69, v71, vcc
	global_store_dwordx2 v[70:71], v[64:65], off
	s_or_b64 exec, exec, s[92:93]
	v_cmp_lt_u32_e64 s[66:67], v32, v183
	s_and_saveexec_b64 s[92:93], s[66:67]
	s_cbranch_execnz .LBB1251_506
	s_branch .LBB1251_507
.LBB1251_491:                           ;   in Loop: Header=BB1251_397 Depth=2
	s_or_b64 exec, exec, s[40:41]
	v_cmp_lt_u32_e64 s[38:39], v7, v183
	s_and_saveexec_b64 s[42:43], s[38:39]
	s_cbranch_execz .LBB1251_477
.LBB1251_492:                           ;   in Loop: Header=BB1251_397 Depth=2
	ds_read_b64 v[64:65], v104 offset:2048
	v_mov_b32_e32 v71, v4
	s_waitcnt lgkmcnt(0)
	v_cmp_ne_u64_e32 vcc, s[78:79], v[64:65]
	v_cndmask_b32_e32 v89, v133, v65, vcc
	v_cndmask_b32_e32 v88, 0, v64, vcc
	v_lshrrev_b64 v[88:89], s33, v[88:89]
	v_and_b32_e32 v70, s69, v88
	v_lshlrev_b32_e32 v70, 2, v70
	ds_read_b32 v70, v70
	v_cmp_lt_i64_e64 s[40:41], -1, v[64:65]
	v_cndmask_b32_e64 v69, v133, -1, s[40:41]
	v_ashrrev_i32_e32 v73, 31, v65
	v_not_b32_e32 v73, v73
	s_waitcnt lgkmcnt(0)
	v_add_u32_e32 v70, v70, v7
	v_lshlrev_b64 v[70:71], 3, v[70:71]
	v_xor_b32_e32 v65, v69, v65
	v_mov_b32_e32 v69, s77
	v_add_co_u32_e32 v70, vcc, s76, v70
	v_xor_b32_e32 v64, v73, v64
	v_addc_co_u32_e32 v71, vcc, v69, v71, vcc
	global_store_dwordx2 v[70:71], v[64:65], off
	s_or_b64 exec, exec, s[42:43]
	v_cmp_lt_u32_e64 s[40:41], v6, v183
	s_and_saveexec_b64 s[44:45], s[40:41]
	s_cbranch_execnz .LBB1251_478
.LBB1251_493:                           ;   in Loop: Header=BB1251_397 Depth=2
	s_or_b64 exec, exec, s[44:45]
	v_cmp_lt_u32_e64 s[42:43], v8, v183
	s_and_saveexec_b64 s[46:47], s[42:43]
	s_cbranch_execz .LBB1251_479
.LBB1251_494:                           ;   in Loop: Header=BB1251_397 Depth=2
	ds_read_b64 v[64:65], v104 offset:6144
	v_mov_b32_e32 v71, v4
	s_waitcnt lgkmcnt(0)
	v_cmp_ne_u64_e32 vcc, s[78:79], v[64:65]
	v_cndmask_b32_e32 v89, v133, v65, vcc
	v_cndmask_b32_e32 v88, 0, v64, vcc
	v_lshrrev_b64 v[88:89], s33, v[88:89]
	v_and_b32_e32 v70, s69, v88
	v_lshlrev_b32_e32 v70, 2, v70
	ds_read_b32 v70, v70
	v_cmp_lt_i64_e64 s[44:45], -1, v[64:65]
	v_cndmask_b32_e64 v69, v133, -1, s[44:45]
	v_ashrrev_i32_e32 v73, 31, v65
	v_not_b32_e32 v73, v73
	s_waitcnt lgkmcnt(0)
	v_add_u32_e32 v70, v70, v8
	v_lshlrev_b64 v[70:71], 3, v[70:71]
	v_xor_b32_e32 v65, v69, v65
	v_mov_b32_e32 v69, s77
	v_add_co_u32_e32 v70, vcc, s76, v70
	v_xor_b32_e32 v64, v73, v64
	v_addc_co_u32_e32 v71, vcc, v69, v71, vcc
	global_store_dwordx2 v[70:71], v[64:65], off
	s_or_b64 exec, exec, s[46:47]
	v_cmp_lt_u32_e64 s[44:45], v10, v183
	s_and_saveexec_b64 s[48:49], s[44:45]
	s_cbranch_execnz .LBB1251_480
.LBB1251_495:                           ;   in Loop: Header=BB1251_397 Depth=2
	s_or_b64 exec, exec, s[48:49]
	v_cmp_lt_u32_e64 s[46:47], v12, v183
	s_and_saveexec_b64 s[50:51], s[46:47]
	s_cbranch_execz .LBB1251_481
.LBB1251_496:                           ;   in Loop: Header=BB1251_397 Depth=2
	ds_read_b64 v[64:65], v104 offset:10240
	v_mov_b32_e32 v71, v4
	s_waitcnt lgkmcnt(0)
	v_cmp_ne_u64_e32 vcc, s[78:79], v[64:65]
	v_cndmask_b32_e32 v89, v133, v65, vcc
	v_cndmask_b32_e32 v88, 0, v64, vcc
	v_lshrrev_b64 v[88:89], s33, v[88:89]
	v_and_b32_e32 v70, s69, v88
	v_lshlrev_b32_e32 v70, 2, v70
	ds_read_b32 v70, v70
	v_cmp_lt_i64_e64 s[48:49], -1, v[64:65]
	v_cndmask_b32_e64 v69, v133, -1, s[48:49]
	v_ashrrev_i32_e32 v73, 31, v65
	v_not_b32_e32 v73, v73
	s_waitcnt lgkmcnt(0)
	v_add_u32_e32 v70, v70, v12
	v_lshlrev_b64 v[70:71], 3, v[70:71]
	v_xor_b32_e32 v65, v69, v65
	v_mov_b32_e32 v69, s77
	v_add_co_u32_e32 v70, vcc, s76, v70
	v_xor_b32_e32 v64, v73, v64
	v_addc_co_u32_e32 v71, vcc, v69, v71, vcc
	global_store_dwordx2 v[70:71], v[64:65], off
	s_or_b64 exec, exec, s[50:51]
	v_cmp_lt_u32_e64 s[48:49], v14, v183
	s_and_saveexec_b64 s[52:53], s[48:49]
	s_cbranch_execnz .LBB1251_482
.LBB1251_497:                           ;   in Loop: Header=BB1251_397 Depth=2
	s_or_b64 exec, exec, s[52:53]
	v_cmp_lt_u32_e64 s[50:51], v16, v183
	s_and_saveexec_b64 s[54:55], s[50:51]
	s_cbranch_execz .LBB1251_483
.LBB1251_498:                           ;   in Loop: Header=BB1251_397 Depth=2
	ds_read_b64 v[64:65], v104 offset:14336
	v_mov_b32_e32 v71, v4
	s_waitcnt lgkmcnt(0)
	v_cmp_ne_u64_e32 vcc, s[78:79], v[64:65]
	v_cndmask_b32_e32 v89, v133, v65, vcc
	v_cndmask_b32_e32 v88, 0, v64, vcc
	v_lshrrev_b64 v[88:89], s33, v[88:89]
	v_and_b32_e32 v70, s69, v88
	v_lshlrev_b32_e32 v70, 2, v70
	ds_read_b32 v70, v70
	v_cmp_lt_i64_e64 s[52:53], -1, v[64:65]
	v_cndmask_b32_e64 v69, v133, -1, s[52:53]
	v_ashrrev_i32_e32 v73, 31, v65
	v_not_b32_e32 v73, v73
	s_waitcnt lgkmcnt(0)
	v_add_u32_e32 v70, v70, v16
	v_lshlrev_b64 v[70:71], 3, v[70:71]
	v_xor_b32_e32 v65, v69, v65
	v_mov_b32_e32 v69, s77
	v_add_co_u32_e32 v70, vcc, s76, v70
	v_xor_b32_e32 v64, v73, v64
	v_addc_co_u32_e32 v71, vcc, v69, v71, vcc
	global_store_dwordx2 v[70:71], v[64:65], off
	s_or_b64 exec, exec, s[54:55]
	v_cmp_lt_u32_e64 s[52:53], v18, v183
	s_and_saveexec_b64 s[56:57], s[52:53]
	s_cbranch_execnz .LBB1251_484
.LBB1251_499:                           ;   in Loop: Header=BB1251_397 Depth=2
	s_or_b64 exec, exec, s[56:57]
	v_cmp_lt_u32_e64 s[54:55], v20, v183
	s_and_saveexec_b64 s[58:59], s[54:55]
	s_cbranch_execz .LBB1251_485
.LBB1251_500:                           ;   in Loop: Header=BB1251_397 Depth=2
	ds_read_b64 v[64:65], v104 offset:18432
	v_mov_b32_e32 v71, v4
	s_waitcnt lgkmcnt(0)
	v_cmp_ne_u64_e32 vcc, s[78:79], v[64:65]
	v_cndmask_b32_e32 v89, v133, v65, vcc
	v_cndmask_b32_e32 v88, 0, v64, vcc
	v_lshrrev_b64 v[88:89], s33, v[88:89]
	v_and_b32_e32 v70, s69, v88
	v_lshlrev_b32_e32 v70, 2, v70
	ds_read_b32 v70, v70
	v_cmp_lt_i64_e64 s[56:57], -1, v[64:65]
	v_cndmask_b32_e64 v69, v133, -1, s[56:57]
	v_ashrrev_i32_e32 v73, 31, v65
	v_not_b32_e32 v73, v73
	s_waitcnt lgkmcnt(0)
	v_add_u32_e32 v70, v70, v20
	v_lshlrev_b64 v[70:71], 3, v[70:71]
	v_xor_b32_e32 v65, v69, v65
	v_mov_b32_e32 v69, s77
	v_add_co_u32_e32 v70, vcc, s76, v70
	v_xor_b32_e32 v64, v73, v64
	v_addc_co_u32_e32 v71, vcc, v69, v71, vcc
	global_store_dwordx2 v[70:71], v[64:65], off
	s_or_b64 exec, exec, s[58:59]
	v_cmp_lt_u32_e64 s[56:57], v22, v183
	s_and_saveexec_b64 s[60:61], s[56:57]
	s_cbranch_execnz .LBB1251_486
.LBB1251_501:                           ;   in Loop: Header=BB1251_397 Depth=2
	s_or_b64 exec, exec, s[60:61]
	v_cmp_lt_u32_e64 s[58:59], v24, v183
	s_and_saveexec_b64 s[62:63], s[58:59]
	s_cbranch_execz .LBB1251_487
.LBB1251_502:                           ;   in Loop: Header=BB1251_397 Depth=2
	ds_read_b64 v[64:65], v104 offset:22528
	v_mov_b32_e32 v71, v4
	s_waitcnt lgkmcnt(0)
	v_cmp_ne_u64_e32 vcc, s[78:79], v[64:65]
	v_cndmask_b32_e32 v89, v133, v65, vcc
	v_cndmask_b32_e32 v88, 0, v64, vcc
	v_lshrrev_b64 v[88:89], s33, v[88:89]
	v_and_b32_e32 v70, s69, v88
	v_lshlrev_b32_e32 v70, 2, v70
	ds_read_b32 v70, v70
	v_cmp_lt_i64_e64 s[60:61], -1, v[64:65]
	v_cndmask_b32_e64 v69, v133, -1, s[60:61]
	v_ashrrev_i32_e32 v73, 31, v65
	v_not_b32_e32 v73, v73
	s_waitcnt lgkmcnt(0)
	v_add_u32_e32 v70, v70, v24
	v_lshlrev_b64 v[70:71], 3, v[70:71]
	v_xor_b32_e32 v65, v69, v65
	v_mov_b32_e32 v69, s77
	v_add_co_u32_e32 v70, vcc, s76, v70
	v_xor_b32_e32 v64, v73, v64
	v_addc_co_u32_e32 v71, vcc, v69, v71, vcc
	global_store_dwordx2 v[70:71], v[64:65], off
	s_or_b64 exec, exec, s[62:63]
	v_cmp_lt_u32_e64 s[60:61], v26, v183
	s_and_saveexec_b64 s[64:65], s[60:61]
	s_cbranch_execnz .LBB1251_488
.LBB1251_503:                           ;   in Loop: Header=BB1251_397 Depth=2
	s_or_b64 exec, exec, s[64:65]
	v_cmp_lt_u32_e64 s[62:63], v28, v183
	s_and_saveexec_b64 s[66:67], s[62:63]
	s_cbranch_execz .LBB1251_489
.LBB1251_504:                           ;   in Loop: Header=BB1251_397 Depth=2
	ds_read_b64 v[64:65], v104 offset:26624
	v_mov_b32_e32 v71, v4
	s_waitcnt lgkmcnt(0)
	v_cmp_ne_u64_e32 vcc, s[78:79], v[64:65]
	v_cndmask_b32_e32 v89, v133, v65, vcc
	v_cndmask_b32_e32 v88, 0, v64, vcc
	v_lshrrev_b64 v[88:89], s33, v[88:89]
	v_and_b32_e32 v70, s69, v88
	v_lshlrev_b32_e32 v70, 2, v70
	ds_read_b32 v70, v70
	v_cmp_lt_i64_e64 s[64:65], -1, v[64:65]
	v_cndmask_b32_e64 v69, v133, -1, s[64:65]
	v_ashrrev_i32_e32 v73, 31, v65
	v_not_b32_e32 v73, v73
	s_waitcnt lgkmcnt(0)
	v_add_u32_e32 v70, v70, v28
	v_lshlrev_b64 v[70:71], 3, v[70:71]
	v_xor_b32_e32 v65, v69, v65
	v_mov_b32_e32 v69, s77
	v_add_co_u32_e32 v70, vcc, s76, v70
	v_xor_b32_e32 v64, v73, v64
	v_addc_co_u32_e32 v71, vcc, v69, v71, vcc
	global_store_dwordx2 v[70:71], v[64:65], off
	s_or_b64 exec, exec, s[66:67]
	v_cmp_lt_u32_e64 s[64:65], v30, v183
	s_and_saveexec_b64 s[92:93], s[64:65]
	s_cbranch_execnz .LBB1251_490
.LBB1251_505:                           ;   in Loop: Header=BB1251_397 Depth=2
	s_or_b64 exec, exec, s[92:93]
	v_cmp_lt_u32_e64 s[66:67], v32, v183
	s_and_saveexec_b64 s[92:93], s[66:67]
	s_cbranch_execz .LBB1251_507
.LBB1251_506:                           ;   in Loop: Header=BB1251_397 Depth=2
	ds_read_b64 v[64:65], v104 offset:30720
	s_waitcnt lgkmcnt(0)
	v_cmp_ne_u64_e32 vcc, s[78:79], v[64:65]
	v_cndmask_b32_e32 v71, v133, v65, vcc
	v_cndmask_b32_e32 v70, 0, v64, vcc
	v_lshrrev_b64 v[70:71], s33, v[70:71]
	v_and_b32_e32 v69, s69, v70
	v_lshlrev_b32_e32 v69, 2, v69
	ds_read_b32 v69, v69
	v_cmp_lt_i64_e32 vcc, -1, v[64:65]
	v_ashrrev_i32_e32 v71, 31, v65
	v_cndmask_b32_e64 v70, v133, -1, vcc
	v_not_b32_e32 v71, v71
	v_xor_b32_e32 v65, v70, v65
	v_xor_b32_e32 v64, v71, v64
	s_waitcnt lgkmcnt(0)
	v_add_u32_e32 v70, v69, v32
	v_mov_b32_e32 v71, v4
	v_lshlrev_b64 v[70:71], 3, v[70:71]
	v_add_co_u32_e32 v70, vcc, s76, v70
	v_mov_b32_e32 v69, s77
	v_addc_co_u32_e32 v71, vcc, v69, v71, vcc
	global_store_dwordx2 v[70:71], v[64:65], off
.LBB1251_507:                           ;   in Loop: Header=BB1251_397 Depth=2
	s_or_b64 exec, exec, s[92:93]
	s_lshl_b64 s[92:93], s[88:89], 3
	v_mov_b32_e32 v65, s93
	v_add_co_u32_e32 v64, vcc, s92, v160
	v_addc_co_u32_e32 v65, vcc, v161, v65, vcc
	v_cmp_lt_u32_e32 vcc, v143, v183
	s_and_saveexec_b64 s[92:93], vcc
	s_xor_b64 s[92:93], exec, s[92:93]
	s_cbranch_execz .LBB1251_539
; %bb.508:                              ;   in Loop: Header=BB1251_397 Depth=2
	global_load_dwordx2 v[62:63], v[64:65], off
	s_or_b64 exec, exec, s[92:93]
	v_cmp_lt_u32_e32 vcc, v144, v183
	s_and_saveexec_b64 s[92:93], vcc
	s_cbranch_execnz .LBB1251_540
.LBB1251_509:                           ;   in Loop: Header=BB1251_397 Depth=2
	s_or_b64 exec, exec, s[92:93]
	v_cmp_lt_u32_e32 vcc, v145, v183
	s_and_saveexec_b64 s[92:93], vcc
	s_cbranch_execz .LBB1251_541
.LBB1251_510:                           ;   in Loop: Header=BB1251_397 Depth=2
	global_load_dwordx2 v[56:57], v[64:65], off offset:1024
	s_or_b64 exec, exec, s[92:93]
	v_cmp_lt_u32_e32 vcc, v146, v183
	s_and_saveexec_b64 s[92:93], vcc
	s_cbranch_execnz .LBB1251_542
.LBB1251_511:                           ;   in Loop: Header=BB1251_397 Depth=2
	s_or_b64 exec, exec, s[92:93]
	v_cmp_lt_u32_e32 vcc, v147, v183
	s_and_saveexec_b64 s[92:93], vcc
	s_cbranch_execz .LBB1251_543
.LBB1251_512:                           ;   in Loop: Header=BB1251_397 Depth=2
	global_load_dwordx2 v[48:49], v[64:65], off offset:2048
	s_or_b64 exec, exec, s[92:93]
	v_cmp_lt_u32_e32 vcc, v148, v183
	s_and_saveexec_b64 s[92:93], vcc
	s_cbranch_execnz .LBB1251_544
.LBB1251_513:                           ;   in Loop: Header=BB1251_397 Depth=2
	s_or_b64 exec, exec, s[92:93]
	v_cmp_lt_u32_e32 vcc, v149, v183
	s_and_saveexec_b64 s[92:93], vcc
	s_cbranch_execz .LBB1251_545
.LBB1251_514:                           ;   in Loop: Header=BB1251_397 Depth=2
	global_load_dwordx2 v[40:41], v[64:65], off offset:3072
	s_or_b64 exec, exec, s[92:93]
	v_cmp_lt_u32_e32 vcc, v150, v183
	s_and_saveexec_b64 s[92:93], vcc
	s_cbranch_execnz .LBB1251_546
.LBB1251_515:                           ;   in Loop: Header=BB1251_397 Depth=2
	s_or_b64 exec, exec, s[92:93]
	v_cmp_lt_u32_e32 vcc, v151, v183
	s_and_saveexec_b64 s[92:93], vcc
	s_cbranch_execz .LBB1251_547
.LBB1251_516:                           ;   in Loop: Header=BB1251_397 Depth=2
	v_add_co_u32_e32 v58, vcc, 0x1000, v64
	v_addc_co_u32_e32 v59, vcc, 0, v65, vcc
	global_load_dwordx2 v[58:59], v[58:59], off
	s_or_b64 exec, exec, s[92:93]
	v_cmp_lt_u32_e32 vcc, v152, v183
	s_and_saveexec_b64 s[92:93], vcc
	s_cbranch_execnz .LBB1251_548
.LBB1251_517:                           ;   in Loop: Header=BB1251_397 Depth=2
	s_or_b64 exec, exec, s[92:93]
	v_cmp_lt_u32_e32 vcc, v153, v183
	s_and_saveexec_b64 s[92:93], vcc
	s_cbranch_execz .LBB1251_549
.LBB1251_518:                           ;   in Loop: Header=BB1251_397 Depth=2
	v_add_co_u32_e32 v50, vcc, 0x1000, v64
	v_addc_co_u32_e32 v51, vcc, 0, v65, vcc
	global_load_dwordx2 v[50:51], v[50:51], off offset:1024
	s_or_b64 exec, exec, s[92:93]
	v_cmp_lt_u32_e32 vcc, v154, v183
	s_and_saveexec_b64 s[92:93], vcc
	s_cbranch_execnz .LBB1251_550
.LBB1251_519:                           ;   in Loop: Header=BB1251_397 Depth=2
	s_or_b64 exec, exec, s[92:93]
	v_cmp_lt_u32_e32 vcc, v155, v183
	s_and_saveexec_b64 s[92:93], vcc
	s_cbranch_execz .LBB1251_551
.LBB1251_520:                           ;   in Loop: Header=BB1251_397 Depth=2
	v_add_co_u32_e32 v42, vcc, 0x1000, v64
	v_addc_co_u32_e32 v43, vcc, 0, v65, vcc
	global_load_dwordx2 v[42:43], v[42:43], off offset:2048
	s_or_b64 exec, exec, s[92:93]
	v_cmp_lt_u32_e32 vcc, v156, v183
	s_and_saveexec_b64 s[92:93], vcc
	s_cbranch_execnz .LBB1251_552
.LBB1251_521:                           ;   in Loop: Header=BB1251_397 Depth=2
	s_or_b64 exec, exec, s[92:93]
	v_cmp_lt_u32_e32 vcc, v157, v183
	s_and_saveexec_b64 s[92:93], vcc
	s_cbranch_execz .LBB1251_553
.LBB1251_522:                           ;   in Loop: Header=BB1251_397 Depth=2
	v_add_co_u32_e32 v34, vcc, 0x1000, v64
	v_addc_co_u32_e32 v35, vcc, 0, v65, vcc
	global_load_dwordx2 v[34:35], v[34:35], off offset:3072
	s_or_b64 exec, exec, s[92:93]
	v_cmp_lt_u32_e32 vcc, v158, v183
	s_and_saveexec_b64 s[92:93], vcc
	s_cbranch_execnz .LBB1251_554
.LBB1251_523:                           ;   in Loop: Header=BB1251_397 Depth=2
	s_or_b64 exec, exec, s[92:93]
	s_and_saveexec_b64 s[92:93], s[36:37]
	s_cbranch_execz .LBB1251_555
.LBB1251_524:                           ;   in Loop: Header=BB1251_397 Depth=2
	v_add_u32_e32 v64, v33, v3
	ds_read_b64 v[64:65], v64 offset:1024
	s_waitcnt lgkmcnt(0)
	v_cmp_ne_u64_e32 vcc, s[78:79], v[64:65]
	v_cndmask_b32_e32 v65, v133, v65, vcc
	v_cndmask_b32_e32 v64, 0, v64, vcc
	v_lshrrev_b64 v[64:65], s33, v[64:65]
	v_and_b32_e32 v182, s69, v64
	s_or_b64 exec, exec, s[92:93]
	s_and_saveexec_b64 s[92:93], s[38:39]
	s_cbranch_execnz .LBB1251_556
.LBB1251_525:                           ;   in Loop: Header=BB1251_397 Depth=2
	s_or_b64 exec, exec, s[92:93]
	s_and_saveexec_b64 s[92:93], s[40:41]
	s_cbranch_execz .LBB1251_557
.LBB1251_526:                           ;   in Loop: Header=BB1251_397 Depth=2
	ds_read_b64 v[64:65], v104 offset:4096
	s_waitcnt lgkmcnt(0)
	v_cmp_ne_u64_e32 vcc, s[78:79], v[64:65]
	v_cndmask_b32_e32 v65, v133, v65, vcc
	v_cndmask_b32_e32 v64, 0, v64, vcc
	v_lshrrev_b64 v[64:65], s33, v[64:65]
	v_and_b32_e32 v180, s69, v64
	s_or_b64 exec, exec, s[92:93]
	s_and_saveexec_b64 s[92:93], s[42:43]
	s_cbranch_execnz .LBB1251_558
.LBB1251_527:                           ;   in Loop: Header=BB1251_397 Depth=2
	s_or_b64 exec, exec, s[92:93]
	s_and_saveexec_b64 s[92:93], s[44:45]
	s_cbranch_execz .LBB1251_559
.LBB1251_528:                           ;   in Loop: Header=BB1251_397 Depth=2
	ds_read_b64 v[64:65], v104 offset:8192
	s_waitcnt lgkmcnt(0)
	v_cmp_ne_u64_e32 vcc, s[78:79], v[64:65]
	v_cndmask_b32_e32 v65, v133, v65, vcc
	v_cndmask_b32_e32 v64, 0, v64, vcc
	v_lshrrev_b64 v[64:65], s33, v[64:65]
	v_and_b32_e32 v178, s69, v64
	s_or_b64 exec, exec, s[92:93]
	s_and_saveexec_b64 s[92:93], s[46:47]
	s_cbranch_execnz .LBB1251_560
.LBB1251_529:                           ;   in Loop: Header=BB1251_397 Depth=2
	s_or_b64 exec, exec, s[92:93]
	s_and_saveexec_b64 s[92:93], s[48:49]
	s_cbranch_execz .LBB1251_561
.LBB1251_530:                           ;   in Loop: Header=BB1251_397 Depth=2
	ds_read_b64 v[64:65], v104 offset:12288
	s_waitcnt lgkmcnt(0)
	v_cmp_ne_u64_e32 vcc, s[78:79], v[64:65]
	v_cndmask_b32_e32 v65, v133, v65, vcc
	v_cndmask_b32_e32 v64, 0, v64, vcc
	v_lshrrev_b64 v[64:65], s33, v[64:65]
	v_and_b32_e32 v175, s69, v64
	s_or_b64 exec, exec, s[92:93]
	s_and_saveexec_b64 s[92:93], s[50:51]
	s_cbranch_execnz .LBB1251_562
.LBB1251_531:                           ;   in Loop: Header=BB1251_397 Depth=2
	s_or_b64 exec, exec, s[92:93]
	s_and_saveexec_b64 s[92:93], s[52:53]
	s_cbranch_execz .LBB1251_563
.LBB1251_532:                           ;   in Loop: Header=BB1251_397 Depth=2
	ds_read_b64 v[64:65], v104 offset:16384
	s_waitcnt lgkmcnt(0)
	v_cmp_ne_u64_e32 vcc, s[78:79], v[64:65]
	v_cndmask_b32_e32 v65, v133, v65, vcc
	v_cndmask_b32_e32 v64, 0, v64, vcc
	v_lshrrev_b64 v[64:65], s33, v[64:65]
	v_and_b32_e32 v172, s69, v64
	s_or_b64 exec, exec, s[92:93]
	s_and_saveexec_b64 s[92:93], s[54:55]
	s_cbranch_execnz .LBB1251_564
.LBB1251_533:                           ;   in Loop: Header=BB1251_397 Depth=2
	s_or_b64 exec, exec, s[92:93]
	s_and_saveexec_b64 s[92:93], s[56:57]
	s_cbranch_execz .LBB1251_565
.LBB1251_534:                           ;   in Loop: Header=BB1251_397 Depth=2
	ds_read_b64 v[64:65], v104 offset:20480
	s_waitcnt lgkmcnt(0)
	v_cmp_ne_u64_e32 vcc, s[78:79], v[64:65]
	v_cndmask_b32_e32 v65, v133, v65, vcc
	v_cndmask_b32_e32 v64, 0, v64, vcc
	v_lshrrev_b64 v[64:65], s33, v[64:65]
	v_and_b32_e32 v169, s69, v64
	s_or_b64 exec, exec, s[92:93]
	s_and_saveexec_b64 s[92:93], s[58:59]
	s_cbranch_execnz .LBB1251_566
.LBB1251_535:                           ;   in Loop: Header=BB1251_397 Depth=2
	s_or_b64 exec, exec, s[92:93]
	s_and_saveexec_b64 s[92:93], s[60:61]
	s_cbranch_execz .LBB1251_567
.LBB1251_536:                           ;   in Loop: Header=BB1251_397 Depth=2
	ds_read_b64 v[64:65], v104 offset:24576
	s_waitcnt lgkmcnt(0)
	v_cmp_ne_u64_e32 vcc, s[78:79], v[64:65]
	v_cndmask_b32_e32 v65, v133, v65, vcc
	v_cndmask_b32_e32 v64, 0, v64, vcc
	v_lshrrev_b64 v[64:65], s33, v[64:65]
	v_and_b32_e32 v167, s69, v64
	s_or_b64 exec, exec, s[92:93]
	s_and_saveexec_b64 s[92:93], s[62:63]
	s_cbranch_execnz .LBB1251_568
.LBB1251_537:                           ;   in Loop: Header=BB1251_397 Depth=2
	s_or_b64 exec, exec, s[92:93]
	s_and_saveexec_b64 s[92:93], s[64:65]
	s_cbranch_execz .LBB1251_569
.LBB1251_538:                           ;   in Loop: Header=BB1251_397 Depth=2
	ds_read_b64 v[64:65], v104 offset:28672
	s_waitcnt lgkmcnt(0)
	v_cmp_ne_u64_e32 vcc, s[78:79], v[64:65]
	v_cndmask_b32_e32 v65, v133, v65, vcc
	v_cndmask_b32_e32 v64, 0, v64, vcc
	v_lshrrev_b64 v[64:65], s33, v[64:65]
	v_and_b32_e32 v165, s69, v64
	s_or_b64 exec, exec, s[92:93]
	s_and_saveexec_b64 s[92:93], s[66:67]
	s_cbranch_execnz .LBB1251_570
	s_branch .LBB1251_571
.LBB1251_539:                           ;   in Loop: Header=BB1251_397 Depth=2
	s_or_b64 exec, exec, s[92:93]
	v_cmp_lt_u32_e32 vcc, v144, v183
	s_and_saveexec_b64 s[92:93], vcc
	s_cbranch_execz .LBB1251_509
.LBB1251_540:                           ;   in Loop: Header=BB1251_397 Depth=2
	global_load_dwordx2 v[60:61], v[64:65], off offset:512
	s_or_b64 exec, exec, s[92:93]
	v_cmp_lt_u32_e32 vcc, v145, v183
	s_and_saveexec_b64 s[92:93], vcc
	s_cbranch_execnz .LBB1251_510
.LBB1251_541:                           ;   in Loop: Header=BB1251_397 Depth=2
	s_or_b64 exec, exec, s[92:93]
	v_cmp_lt_u32_e32 vcc, v146, v183
	s_and_saveexec_b64 s[92:93], vcc
	s_cbranch_execz .LBB1251_511
.LBB1251_542:                           ;   in Loop: Header=BB1251_397 Depth=2
	global_load_dwordx2 v[52:53], v[64:65], off offset:1536
	s_or_b64 exec, exec, s[92:93]
	v_cmp_lt_u32_e32 vcc, v147, v183
	s_and_saveexec_b64 s[92:93], vcc
	s_cbranch_execnz .LBB1251_512
.LBB1251_543:                           ;   in Loop: Header=BB1251_397 Depth=2
	s_or_b64 exec, exec, s[92:93]
	v_cmp_lt_u32_e32 vcc, v148, v183
	s_and_saveexec_b64 s[92:93], vcc
	s_cbranch_execz .LBB1251_513
.LBB1251_544:                           ;   in Loop: Header=BB1251_397 Depth=2
	global_load_dwordx2 v[44:45], v[64:65], off offset:2560
	s_or_b64 exec, exec, s[92:93]
	v_cmp_lt_u32_e32 vcc, v149, v183
	s_and_saveexec_b64 s[92:93], vcc
	s_cbranch_execnz .LBB1251_514
.LBB1251_545:                           ;   in Loop: Header=BB1251_397 Depth=2
	s_or_b64 exec, exec, s[92:93]
	v_cmp_lt_u32_e32 vcc, v150, v183
	s_and_saveexec_b64 s[92:93], vcc
	s_cbranch_execz .LBB1251_515
.LBB1251_546:                           ;   in Loop: Header=BB1251_397 Depth=2
	global_load_dwordx2 v[36:37], v[64:65], off offset:3584
	s_or_b64 exec, exec, s[92:93]
	v_cmp_lt_u32_e32 vcc, v151, v183
	s_and_saveexec_b64 s[92:93], vcc
	s_cbranch_execnz .LBB1251_516
.LBB1251_547:                           ;   in Loop: Header=BB1251_397 Depth=2
	s_or_b64 exec, exec, s[92:93]
	v_cmp_lt_u32_e32 vcc, v152, v183
	s_and_saveexec_b64 s[92:93], vcc
	s_cbranch_execz .LBB1251_517
.LBB1251_548:                           ;   in Loop: Header=BB1251_397 Depth=2
	v_add_co_u32_e32 v54, vcc, 0x1000, v64
	v_addc_co_u32_e32 v55, vcc, 0, v65, vcc
	global_load_dwordx2 v[54:55], v[54:55], off offset:512
	s_or_b64 exec, exec, s[92:93]
	v_cmp_lt_u32_e32 vcc, v153, v183
	s_and_saveexec_b64 s[92:93], vcc
	s_cbranch_execnz .LBB1251_518
.LBB1251_549:                           ;   in Loop: Header=BB1251_397 Depth=2
	s_or_b64 exec, exec, s[92:93]
	v_cmp_lt_u32_e32 vcc, v154, v183
	s_and_saveexec_b64 s[92:93], vcc
	s_cbranch_execz .LBB1251_519
.LBB1251_550:                           ;   in Loop: Header=BB1251_397 Depth=2
	v_add_co_u32_e32 v46, vcc, 0x1000, v64
	v_addc_co_u32_e32 v47, vcc, 0, v65, vcc
	global_load_dwordx2 v[46:47], v[46:47], off offset:1536
	s_or_b64 exec, exec, s[92:93]
	v_cmp_lt_u32_e32 vcc, v155, v183
	s_and_saveexec_b64 s[92:93], vcc
	s_cbranch_execnz .LBB1251_520
.LBB1251_551:                           ;   in Loop: Header=BB1251_397 Depth=2
	s_or_b64 exec, exec, s[92:93]
	v_cmp_lt_u32_e32 vcc, v156, v183
	s_and_saveexec_b64 s[92:93], vcc
	s_cbranch_execz .LBB1251_521
.LBB1251_552:                           ;   in Loop: Header=BB1251_397 Depth=2
	v_add_co_u32_e32 v38, vcc, 0x1000, v64
	v_addc_co_u32_e32 v39, vcc, 0, v65, vcc
	global_load_dwordx2 v[38:39], v[38:39], off offset:2560
	s_or_b64 exec, exec, s[92:93]
	v_cmp_lt_u32_e32 vcc, v157, v183
	s_and_saveexec_b64 s[92:93], vcc
	s_cbranch_execnz .LBB1251_522
.LBB1251_553:                           ;   in Loop: Header=BB1251_397 Depth=2
	s_or_b64 exec, exec, s[92:93]
	v_cmp_lt_u32_e32 vcc, v158, v183
	s_and_saveexec_b64 s[92:93], vcc
	s_cbranch_execz .LBB1251_523
.LBB1251_554:                           ;   in Loop: Header=BB1251_397 Depth=2
	v_add_co_u32_e32 v0, vcc, 0x1000, v64
	v_addc_co_u32_e32 v1, vcc, 0, v65, vcc
	global_load_dwordx2 v[0:1], v[0:1], off offset:3584
	s_or_b64 exec, exec, s[92:93]
	s_and_saveexec_b64 s[92:93], s[36:37]
	s_cbranch_execnz .LBB1251_524
.LBB1251_555:                           ;   in Loop: Header=BB1251_397 Depth=2
	s_or_b64 exec, exec, s[92:93]
	s_and_saveexec_b64 s[92:93], s[38:39]
	s_cbranch_execz .LBB1251_525
.LBB1251_556:                           ;   in Loop: Header=BB1251_397 Depth=2
	ds_read_b64 v[64:65], v104 offset:2048
	s_waitcnt lgkmcnt(0)
	v_cmp_ne_u64_e32 vcc, s[78:79], v[64:65]
	v_cndmask_b32_e32 v65, v133, v65, vcc
	v_cndmask_b32_e32 v64, 0, v64, vcc
	v_lshrrev_b64 v[64:65], s33, v[64:65]
	v_and_b32_e32 v181, s69, v64
	s_or_b64 exec, exec, s[92:93]
	s_and_saveexec_b64 s[92:93], s[40:41]
	s_cbranch_execnz .LBB1251_526
.LBB1251_557:                           ;   in Loop: Header=BB1251_397 Depth=2
	s_or_b64 exec, exec, s[92:93]
	s_and_saveexec_b64 s[92:93], s[42:43]
	s_cbranch_execz .LBB1251_527
.LBB1251_558:                           ;   in Loop: Header=BB1251_397 Depth=2
	ds_read_b64 v[64:65], v104 offset:6144
	s_waitcnt lgkmcnt(0)
	v_cmp_ne_u64_e32 vcc, s[78:79], v[64:65]
	v_cndmask_b32_e32 v65, v133, v65, vcc
	v_cndmask_b32_e32 v64, 0, v64, vcc
	v_lshrrev_b64 v[64:65], s33, v[64:65]
	v_and_b32_e32 v179, s69, v64
	s_or_b64 exec, exec, s[92:93]
	s_and_saveexec_b64 s[92:93], s[44:45]
	s_cbranch_execnz .LBB1251_528
.LBB1251_559:                           ;   in Loop: Header=BB1251_397 Depth=2
	s_or_b64 exec, exec, s[92:93]
	s_and_saveexec_b64 s[92:93], s[46:47]
	s_cbranch_execz .LBB1251_529
.LBB1251_560:                           ;   in Loop: Header=BB1251_397 Depth=2
	ds_read_b64 v[64:65], v104 offset:10240
	s_waitcnt lgkmcnt(0)
	v_cmp_ne_u64_e32 vcc, s[78:79], v[64:65]
	v_cndmask_b32_e32 v65, v133, v65, vcc
	v_cndmask_b32_e32 v64, 0, v64, vcc
	v_lshrrev_b64 v[64:65], s33, v[64:65]
	v_and_b32_e32 v176, s69, v64
	s_or_b64 exec, exec, s[92:93]
	s_and_saveexec_b64 s[92:93], s[48:49]
	s_cbranch_execnz .LBB1251_530
.LBB1251_561:                           ;   in Loop: Header=BB1251_397 Depth=2
	s_or_b64 exec, exec, s[92:93]
	s_and_saveexec_b64 s[92:93], s[50:51]
	s_cbranch_execz .LBB1251_531
.LBB1251_562:                           ;   in Loop: Header=BB1251_397 Depth=2
	ds_read_b64 v[64:65], v104 offset:14336
	s_waitcnt lgkmcnt(0)
	v_cmp_ne_u64_e32 vcc, s[78:79], v[64:65]
	v_cndmask_b32_e32 v65, v133, v65, vcc
	v_cndmask_b32_e32 v64, 0, v64, vcc
	v_lshrrev_b64 v[64:65], s33, v[64:65]
	v_and_b32_e32 v174, s69, v64
	s_or_b64 exec, exec, s[92:93]
	s_and_saveexec_b64 s[92:93], s[52:53]
	s_cbranch_execnz .LBB1251_532
.LBB1251_563:                           ;   in Loop: Header=BB1251_397 Depth=2
	s_or_b64 exec, exec, s[92:93]
	s_and_saveexec_b64 s[92:93], s[54:55]
	s_cbranch_execz .LBB1251_533
.LBB1251_564:                           ;   in Loop: Header=BB1251_397 Depth=2
	ds_read_b64 v[64:65], v104 offset:18432
	s_waitcnt lgkmcnt(0)
	v_cmp_ne_u64_e32 vcc, s[78:79], v[64:65]
	v_cndmask_b32_e32 v65, v133, v65, vcc
	v_cndmask_b32_e32 v64, 0, v64, vcc
	v_lshrrev_b64 v[64:65], s33, v[64:65]
	v_and_b32_e32 v171, s69, v64
	s_or_b64 exec, exec, s[92:93]
	s_and_saveexec_b64 s[92:93], s[56:57]
	s_cbranch_execnz .LBB1251_534
.LBB1251_565:                           ;   in Loop: Header=BB1251_397 Depth=2
	s_or_b64 exec, exec, s[92:93]
	s_and_saveexec_b64 s[92:93], s[58:59]
	s_cbranch_execz .LBB1251_535
.LBB1251_566:                           ;   in Loop: Header=BB1251_397 Depth=2
	ds_read_b64 v[64:65], v104 offset:22528
	s_waitcnt lgkmcnt(0)
	v_cmp_ne_u64_e32 vcc, s[78:79], v[64:65]
	v_cndmask_b32_e32 v65, v133, v65, vcc
	v_cndmask_b32_e32 v64, 0, v64, vcc
	v_lshrrev_b64 v[64:65], s33, v[64:65]
	v_and_b32_e32 v168, s69, v64
	s_or_b64 exec, exec, s[92:93]
	s_and_saveexec_b64 s[92:93], s[60:61]
	s_cbranch_execnz .LBB1251_536
.LBB1251_567:                           ;   in Loop: Header=BB1251_397 Depth=2
	s_or_b64 exec, exec, s[92:93]
	s_and_saveexec_b64 s[92:93], s[62:63]
	s_cbranch_execz .LBB1251_537
.LBB1251_568:                           ;   in Loop: Header=BB1251_397 Depth=2
	ds_read_b64 v[64:65], v104 offset:26624
	s_waitcnt lgkmcnt(0)
	v_cmp_ne_u64_e32 vcc, s[78:79], v[64:65]
	v_cndmask_b32_e32 v65, v133, v65, vcc
	v_cndmask_b32_e32 v64, 0, v64, vcc
	v_lshrrev_b64 v[64:65], s33, v[64:65]
	v_and_b32_e32 v166, s69, v64
	s_or_b64 exec, exec, s[92:93]
	s_and_saveexec_b64 s[92:93], s[64:65]
	s_cbranch_execnz .LBB1251_538
.LBB1251_569:                           ;   in Loop: Header=BB1251_397 Depth=2
	s_or_b64 exec, exec, s[92:93]
	s_and_saveexec_b64 s[92:93], s[66:67]
	s_cbranch_execz .LBB1251_571
.LBB1251_570:                           ;   in Loop: Header=BB1251_397 Depth=2
	ds_read_b64 v[64:65], v104 offset:30720
	s_waitcnt lgkmcnt(0)
	v_cmp_ne_u64_e32 vcc, s[78:79], v[64:65]
	v_cndmask_b32_e32 v65, v133, v65, vcc
	v_cndmask_b32_e32 v64, 0, v64, vcc
	v_lshrrev_b64 v[64:65], s33, v[64:65]
	v_and_b32_e32 v164, s69, v64
.LBB1251_571:                           ;   in Loop: Header=BB1251_397 Depth=2
	s_or_b64 exec, exec, s[92:93]
	v_add_u32_e32 v64, 0x400, v96
	v_add_u32_e32 v65, 0x400, v97
	;; [unrolled: 1-line block ×16, first 2 shown]
	s_barrier
	s_waitcnt vmcnt(0)
	ds_write_b64 v64, v[62:63]
	ds_write_b64 v65, v[60:61]
	;; [unrolled: 1-line block ×16, first 2 shown]
	s_waitcnt lgkmcnt(0)
	s_barrier
	s_and_saveexec_b64 s[92:93], s[36:37]
	s_cbranch_execz .LBB1251_587
; %bb.572:                              ;   in Loop: Header=BB1251_397 Depth=2
	v_lshlrev_b32_e32 v64, 2, v182
	ds_read_b32 v66, v64
	v_add_u32_e32 v64, v33, v3
	ds_read_b64 v[64:65], v64 offset:1024
	v_mov_b32_e32 v67, v4
	v_mov_b32_e32 v68, s83
	s_waitcnt lgkmcnt(1)
	v_add_u32_e32 v66, v66, v2
	v_lshlrev_b64 v[66:67], 3, v[66:67]
	v_add_co_u32_e32 v66, vcc, s82, v66
	v_addc_co_u32_e32 v67, vcc, v68, v67, vcc
	s_waitcnt lgkmcnt(0)
	global_store_dwordx2 v[66:67], v[64:65], off
	s_or_b64 exec, exec, s[92:93]
	s_and_saveexec_b64 s[36:37], s[38:39]
	s_cbranch_execnz .LBB1251_588
.LBB1251_573:                           ;   in Loop: Header=BB1251_397 Depth=2
	s_or_b64 exec, exec, s[36:37]
	s_and_saveexec_b64 s[36:37], s[40:41]
	s_cbranch_execz .LBB1251_589
.LBB1251_574:                           ;   in Loop: Header=BB1251_397 Depth=2
	v_lshlrev_b32_e32 v64, 2, v180
	ds_read_b32 v66, v64
	ds_read_b64 v[64:65], v104 offset:4096
	v_mov_b32_e32 v67, v4
	v_mov_b32_e32 v68, s83
	s_waitcnt lgkmcnt(1)
	v_add_u32_e32 v66, v66, v6
	v_lshlrev_b64 v[66:67], 3, v[66:67]
	v_add_co_u32_e32 v66, vcc, s82, v66
	v_addc_co_u32_e32 v67, vcc, v68, v67, vcc
	s_waitcnt lgkmcnt(0)
	global_store_dwordx2 v[66:67], v[64:65], off
	s_or_b64 exec, exec, s[36:37]
	s_and_saveexec_b64 s[36:37], s[42:43]
	s_cbranch_execnz .LBB1251_590
.LBB1251_575:                           ;   in Loop: Header=BB1251_397 Depth=2
	s_or_b64 exec, exec, s[36:37]
	s_and_saveexec_b64 s[36:37], s[44:45]
	s_cbranch_execz .LBB1251_591
.LBB1251_576:                           ;   in Loop: Header=BB1251_397 Depth=2
	v_lshlrev_b32_e32 v64, 2, v178
	ds_read_b32 v66, v64
	ds_read_b64 v[64:65], v104 offset:8192
	v_mov_b32_e32 v67, v4
	v_mov_b32_e32 v68, s83
	s_waitcnt lgkmcnt(1)
	v_add_u32_e32 v66, v66, v10
	v_lshlrev_b64 v[66:67], 3, v[66:67]
	v_add_co_u32_e32 v66, vcc, s82, v66
	v_addc_co_u32_e32 v67, vcc, v68, v67, vcc
	s_waitcnt lgkmcnt(0)
	global_store_dwordx2 v[66:67], v[64:65], off
	s_or_b64 exec, exec, s[36:37]
	s_and_saveexec_b64 s[36:37], s[46:47]
	s_cbranch_execnz .LBB1251_592
.LBB1251_577:                           ;   in Loop: Header=BB1251_397 Depth=2
	s_or_b64 exec, exec, s[36:37]
	s_and_saveexec_b64 s[36:37], s[48:49]
	s_cbranch_execz .LBB1251_593
.LBB1251_578:                           ;   in Loop: Header=BB1251_397 Depth=2
	v_lshlrev_b32_e32 v64, 2, v175
	ds_read_b32 v66, v64
	ds_read_b64 v[64:65], v104 offset:12288
	v_mov_b32_e32 v67, v4
	v_mov_b32_e32 v68, s83
	s_waitcnt lgkmcnt(1)
	v_add_u32_e32 v66, v66, v14
	v_lshlrev_b64 v[66:67], 3, v[66:67]
	v_add_co_u32_e32 v66, vcc, s82, v66
	v_addc_co_u32_e32 v67, vcc, v68, v67, vcc
	s_waitcnt lgkmcnt(0)
	global_store_dwordx2 v[66:67], v[64:65], off
	s_or_b64 exec, exec, s[36:37]
	s_and_saveexec_b64 s[36:37], s[50:51]
	s_cbranch_execnz .LBB1251_594
.LBB1251_579:                           ;   in Loop: Header=BB1251_397 Depth=2
	s_or_b64 exec, exec, s[36:37]
	s_and_saveexec_b64 s[36:37], s[52:53]
	s_cbranch_execz .LBB1251_595
.LBB1251_580:                           ;   in Loop: Header=BB1251_397 Depth=2
	v_lshlrev_b32_e32 v64, 2, v172
	ds_read_b32 v66, v64
	ds_read_b64 v[64:65], v104 offset:16384
	v_mov_b32_e32 v67, v4
	v_mov_b32_e32 v68, s83
	s_waitcnt lgkmcnt(1)
	v_add_u32_e32 v66, v66, v18
	v_lshlrev_b64 v[66:67], 3, v[66:67]
	v_add_co_u32_e32 v66, vcc, s82, v66
	v_addc_co_u32_e32 v67, vcc, v68, v67, vcc
	s_waitcnt lgkmcnt(0)
	global_store_dwordx2 v[66:67], v[64:65], off
	s_or_b64 exec, exec, s[36:37]
	s_and_saveexec_b64 s[36:37], s[54:55]
	s_cbranch_execnz .LBB1251_596
.LBB1251_581:                           ;   in Loop: Header=BB1251_397 Depth=2
	s_or_b64 exec, exec, s[36:37]
	s_and_saveexec_b64 s[36:37], s[56:57]
	s_cbranch_execz .LBB1251_597
.LBB1251_582:                           ;   in Loop: Header=BB1251_397 Depth=2
	v_lshlrev_b32_e32 v64, 2, v169
	ds_read_b32 v66, v64
	ds_read_b64 v[64:65], v104 offset:20480
	v_mov_b32_e32 v67, v4
	v_mov_b32_e32 v68, s83
	s_waitcnt lgkmcnt(1)
	v_add_u32_e32 v66, v66, v22
	v_lshlrev_b64 v[66:67], 3, v[66:67]
	v_add_co_u32_e32 v66, vcc, s82, v66
	v_addc_co_u32_e32 v67, vcc, v68, v67, vcc
	s_waitcnt lgkmcnt(0)
	global_store_dwordx2 v[66:67], v[64:65], off
	s_or_b64 exec, exec, s[36:37]
	s_and_saveexec_b64 s[36:37], s[58:59]
	s_cbranch_execnz .LBB1251_598
.LBB1251_583:                           ;   in Loop: Header=BB1251_397 Depth=2
	s_or_b64 exec, exec, s[36:37]
	s_and_saveexec_b64 s[36:37], s[60:61]
	s_cbranch_execz .LBB1251_599
.LBB1251_584:                           ;   in Loop: Header=BB1251_397 Depth=2
	v_lshlrev_b32_e32 v64, 2, v167
	ds_read_b32 v66, v64
	ds_read_b64 v[64:65], v104 offset:24576
	v_mov_b32_e32 v67, v4
	v_mov_b32_e32 v68, s83
	s_waitcnt lgkmcnt(1)
	v_add_u32_e32 v66, v66, v26
	v_lshlrev_b64 v[66:67], 3, v[66:67]
	v_add_co_u32_e32 v66, vcc, s82, v66
	v_addc_co_u32_e32 v67, vcc, v68, v67, vcc
	s_waitcnt lgkmcnt(0)
	global_store_dwordx2 v[66:67], v[64:65], off
	s_or_b64 exec, exec, s[36:37]
	s_and_saveexec_b64 s[36:37], s[62:63]
	s_cbranch_execnz .LBB1251_600
.LBB1251_585:                           ;   in Loop: Header=BB1251_397 Depth=2
	s_or_b64 exec, exec, s[36:37]
	s_and_saveexec_b64 s[36:37], s[64:65]
	s_cbranch_execz .LBB1251_601
.LBB1251_586:                           ;   in Loop: Header=BB1251_397 Depth=2
	v_lshlrev_b32_e32 v64, 2, v165
	ds_read_b32 v66, v64
	ds_read_b64 v[64:65], v104 offset:28672
	v_mov_b32_e32 v67, v4
	v_mov_b32_e32 v68, s83
	s_waitcnt lgkmcnt(1)
	v_add_u32_e32 v66, v66, v30
	v_lshlrev_b64 v[66:67], 3, v[66:67]
	v_add_co_u32_e32 v66, vcc, s82, v66
	v_addc_co_u32_e32 v67, vcc, v68, v67, vcc
	s_waitcnt lgkmcnt(0)
	global_store_dwordx2 v[66:67], v[64:65], off
	s_or_b64 exec, exec, s[36:37]
	s_and_saveexec_b64 s[36:37], s[66:67]
	s_cbranch_execnz .LBB1251_602
	s_branch .LBB1251_603
.LBB1251_587:                           ;   in Loop: Header=BB1251_397 Depth=2
	s_or_b64 exec, exec, s[92:93]
	s_and_saveexec_b64 s[36:37], s[38:39]
	s_cbranch_execz .LBB1251_573
.LBB1251_588:                           ;   in Loop: Header=BB1251_397 Depth=2
	v_lshlrev_b32_e32 v64, 2, v181
	ds_read_b32 v66, v64
	ds_read_b64 v[64:65], v104 offset:2048
	v_mov_b32_e32 v67, v4
	v_mov_b32_e32 v68, s83
	s_waitcnt lgkmcnt(1)
	v_add_u32_e32 v66, v66, v7
	v_lshlrev_b64 v[66:67], 3, v[66:67]
	v_add_co_u32_e32 v66, vcc, s82, v66
	v_addc_co_u32_e32 v67, vcc, v68, v67, vcc
	s_waitcnt lgkmcnt(0)
	global_store_dwordx2 v[66:67], v[64:65], off
	s_or_b64 exec, exec, s[36:37]
	s_and_saveexec_b64 s[36:37], s[40:41]
	s_cbranch_execnz .LBB1251_574
.LBB1251_589:                           ;   in Loop: Header=BB1251_397 Depth=2
	s_or_b64 exec, exec, s[36:37]
	s_and_saveexec_b64 s[36:37], s[42:43]
	s_cbranch_execz .LBB1251_575
.LBB1251_590:                           ;   in Loop: Header=BB1251_397 Depth=2
	v_lshlrev_b32_e32 v64, 2, v179
	ds_read_b32 v66, v64
	ds_read_b64 v[64:65], v104 offset:6144
	v_mov_b32_e32 v67, v4
	v_mov_b32_e32 v68, s83
	s_waitcnt lgkmcnt(1)
	v_add_u32_e32 v66, v66, v8
	v_lshlrev_b64 v[66:67], 3, v[66:67]
	v_add_co_u32_e32 v66, vcc, s82, v66
	v_addc_co_u32_e32 v67, vcc, v68, v67, vcc
	s_waitcnt lgkmcnt(0)
	global_store_dwordx2 v[66:67], v[64:65], off
	s_or_b64 exec, exec, s[36:37]
	s_and_saveexec_b64 s[36:37], s[44:45]
	s_cbranch_execnz .LBB1251_576
.LBB1251_591:                           ;   in Loop: Header=BB1251_397 Depth=2
	s_or_b64 exec, exec, s[36:37]
	s_and_saveexec_b64 s[36:37], s[46:47]
	s_cbranch_execz .LBB1251_577
.LBB1251_592:                           ;   in Loop: Header=BB1251_397 Depth=2
	v_lshlrev_b32_e32 v64, 2, v176
	ds_read_b32 v66, v64
	ds_read_b64 v[64:65], v104 offset:10240
	v_mov_b32_e32 v67, v4
	v_mov_b32_e32 v68, s83
	s_waitcnt lgkmcnt(1)
	v_add_u32_e32 v66, v66, v12
	v_lshlrev_b64 v[66:67], 3, v[66:67]
	v_add_co_u32_e32 v66, vcc, s82, v66
	v_addc_co_u32_e32 v67, vcc, v68, v67, vcc
	s_waitcnt lgkmcnt(0)
	global_store_dwordx2 v[66:67], v[64:65], off
	s_or_b64 exec, exec, s[36:37]
	s_and_saveexec_b64 s[36:37], s[48:49]
	s_cbranch_execnz .LBB1251_578
.LBB1251_593:                           ;   in Loop: Header=BB1251_397 Depth=2
	s_or_b64 exec, exec, s[36:37]
	s_and_saveexec_b64 s[36:37], s[50:51]
	s_cbranch_execz .LBB1251_579
.LBB1251_594:                           ;   in Loop: Header=BB1251_397 Depth=2
	v_lshlrev_b32_e32 v64, 2, v174
	ds_read_b32 v66, v64
	ds_read_b64 v[64:65], v104 offset:14336
	v_mov_b32_e32 v67, v4
	v_mov_b32_e32 v68, s83
	s_waitcnt lgkmcnt(1)
	v_add_u32_e32 v66, v66, v16
	v_lshlrev_b64 v[66:67], 3, v[66:67]
	v_add_co_u32_e32 v66, vcc, s82, v66
	v_addc_co_u32_e32 v67, vcc, v68, v67, vcc
	s_waitcnt lgkmcnt(0)
	global_store_dwordx2 v[66:67], v[64:65], off
	s_or_b64 exec, exec, s[36:37]
	s_and_saveexec_b64 s[36:37], s[52:53]
	s_cbranch_execnz .LBB1251_580
.LBB1251_595:                           ;   in Loop: Header=BB1251_397 Depth=2
	s_or_b64 exec, exec, s[36:37]
	s_and_saveexec_b64 s[36:37], s[54:55]
	s_cbranch_execz .LBB1251_581
.LBB1251_596:                           ;   in Loop: Header=BB1251_397 Depth=2
	v_lshlrev_b32_e32 v64, 2, v171
	ds_read_b32 v66, v64
	ds_read_b64 v[64:65], v104 offset:18432
	v_mov_b32_e32 v67, v4
	v_mov_b32_e32 v68, s83
	s_waitcnt lgkmcnt(1)
	v_add_u32_e32 v66, v66, v20
	v_lshlrev_b64 v[66:67], 3, v[66:67]
	v_add_co_u32_e32 v66, vcc, s82, v66
	v_addc_co_u32_e32 v67, vcc, v68, v67, vcc
	s_waitcnt lgkmcnt(0)
	global_store_dwordx2 v[66:67], v[64:65], off
	s_or_b64 exec, exec, s[36:37]
	s_and_saveexec_b64 s[36:37], s[56:57]
	s_cbranch_execnz .LBB1251_582
.LBB1251_597:                           ;   in Loop: Header=BB1251_397 Depth=2
	s_or_b64 exec, exec, s[36:37]
	s_and_saveexec_b64 s[36:37], s[58:59]
	s_cbranch_execz .LBB1251_583
.LBB1251_598:                           ;   in Loop: Header=BB1251_397 Depth=2
	v_lshlrev_b32_e32 v64, 2, v168
	ds_read_b32 v66, v64
	ds_read_b64 v[64:65], v104 offset:22528
	v_mov_b32_e32 v67, v4
	v_mov_b32_e32 v68, s83
	s_waitcnt lgkmcnt(1)
	v_add_u32_e32 v66, v66, v24
	v_lshlrev_b64 v[66:67], 3, v[66:67]
	v_add_co_u32_e32 v66, vcc, s82, v66
	v_addc_co_u32_e32 v67, vcc, v68, v67, vcc
	s_waitcnt lgkmcnt(0)
	global_store_dwordx2 v[66:67], v[64:65], off
	s_or_b64 exec, exec, s[36:37]
	s_and_saveexec_b64 s[36:37], s[60:61]
	s_cbranch_execnz .LBB1251_584
.LBB1251_599:                           ;   in Loop: Header=BB1251_397 Depth=2
	s_or_b64 exec, exec, s[36:37]
	s_and_saveexec_b64 s[36:37], s[62:63]
	s_cbranch_execz .LBB1251_585
.LBB1251_600:                           ;   in Loop: Header=BB1251_397 Depth=2
	v_lshlrev_b32_e32 v64, 2, v166
	ds_read_b32 v66, v64
	ds_read_b64 v[64:65], v104 offset:26624
	v_mov_b32_e32 v67, v4
	v_mov_b32_e32 v68, s83
	s_waitcnt lgkmcnt(1)
	v_add_u32_e32 v66, v66, v28
	v_lshlrev_b64 v[66:67], 3, v[66:67]
	v_add_co_u32_e32 v66, vcc, s82, v66
	v_addc_co_u32_e32 v67, vcc, v68, v67, vcc
	s_waitcnt lgkmcnt(0)
	global_store_dwordx2 v[66:67], v[64:65], off
	s_or_b64 exec, exec, s[36:37]
	s_and_saveexec_b64 s[36:37], s[64:65]
	s_cbranch_execnz .LBB1251_586
.LBB1251_601:                           ;   in Loop: Header=BB1251_397 Depth=2
	s_or_b64 exec, exec, s[36:37]
	s_and_saveexec_b64 s[36:37], s[66:67]
	s_cbranch_execz .LBB1251_603
.LBB1251_602:                           ;   in Loop: Header=BB1251_397 Depth=2
	v_lshlrev_b32_e32 v64, 2, v164
	ds_read_b32 v66, v64
	ds_read_b64 v[64:65], v104 offset:30720
	v_mov_b32_e32 v67, v4
	v_mov_b32_e32 v68, s83
	s_waitcnt lgkmcnt(1)
	v_add_u32_e32 v66, v66, v32
	v_lshlrev_b64 v[66:67], 3, v[66:67]
	v_add_co_u32_e32 v66, vcc, s82, v66
	v_addc_co_u32_e32 v67, vcc, v68, v67, vcc
	s_waitcnt lgkmcnt(0)
	global_store_dwordx2 v[66:67], v[64:65], off
.LBB1251_603:                           ;   in Loop: Header=BB1251_397 Depth=2
	s_or_b64 exec, exec, s[36:37]
	s_barrier
	s_and_saveexec_b64 s[36:37], s[4:5]
	s_cbranch_execz .LBB1251_396
; %bb.604:                              ;   in Loop: Header=BB1251_397 Depth=2
	ds_read_b32 v64, v3
	s_waitcnt lgkmcnt(0)
	v_add_u32_e32 v5, v64, v5
	ds_write_b32 v3, v5
	s_branch .LBB1251_396
.LBB1251_605:                           ;   in Loop: Header=BB1251_17 Depth=1
	v_readlane_b32 s49, v236, 2
	s_waitcnt lgkmcnt(0)
	s_barrier
.LBB1251_606:                           ;   in Loop: Header=BB1251_17 Depth=1
	s_mov_b64 s[16:17], 0
.LBB1251_607:                           ;   in Loop: Header=BB1251_17 Depth=1
	s_andn2_b64 vcc, exec, s[16:17]
	s_cbranch_vccnz .LBB1251_16
; %bb.608:                              ;   in Loop: Header=BB1251_17 Depth=1
	s_lshl_b32 s16, -1, s68
	s_not_b32 s68, s16
	s_mov_b64 s[16:17], -1
	s_and_b64 vcc, exec, s[70:71]
	s_cbranch_vccz .LBB1251_902
; %bb.609:                              ;   in Loop: Header=BB1251_17 Depth=1
	s_mov_b32 s22, s85
	s_mov_b32 s88, s49
	s_barrier
	s_waitcnt lgkmcnt(0)
                                        ; implicit-def: $vgpr62_vgpr63
                                        ; implicit-def: $vgpr0_vgpr1
                                        ; implicit-def: $vgpr34_vgpr35
                                        ; implicit-def: $vgpr36_vgpr37
                                        ; implicit-def: $vgpr38_vgpr39
                                        ; implicit-def: $vgpr40_vgpr41
                                        ; implicit-def: $vgpr42_vgpr43
                                        ; implicit-def: $vgpr44_vgpr45
                                        ; implicit-def: $vgpr46_vgpr47
                                        ; implicit-def: $vgpr48_vgpr49
                                        ; implicit-def: $vgpr50_vgpr51
                                        ; implicit-def: $vgpr52_vgpr53
                                        ; implicit-def: $vgpr54_vgpr55
                                        ; implicit-def: $vgpr56_vgpr57
                                        ; implicit-def: $vgpr58_vgpr59
                                        ; implicit-def: $vgpr60_vgpr61
	s_branch .LBB1251_611
.LBB1251_610:                           ;   in Loop: Header=BB1251_611 Depth=2
	s_or_b64 exec, exec, s[16:17]
	s_addk_i32 s22, 0xf000
	s_cmp_ge_u32 s23, s94
	s_mov_b32 s88, s23
	s_cbranch_scc1 .LBB1251_681
.LBB1251_611:                           ;   Parent Loop BB1251_17 Depth=1
                                        ; =>  This Inner Loop Header: Depth=2
	s_add_i32 s23, s88, 0x1000
	s_cmp_gt_u32 s23, s94
	s_cbranch_scc1 .LBB1251_614
; %bb.612:                              ;   in Loop: Header=BB1251_611 Depth=2
	s_lshl_b64 s[16:17], s[88:89], 3
	v_mov_b32_e32 v5, s17
	v_add_co_u32_e32 v64, vcc, s16, v111
	v_addc_co_u32_e32 v65, vcc, v112, v5, vcc
	s_waitcnt vmcnt(11)
	v_add_co_u32_e32 v72, vcc, 0x1000, v64
	v_addc_co_u32_e32 v73, vcc, 0, v65, vcc
	s_waitcnt vmcnt(5)
	;; [unrolled: 3-line block ×3, first 2 shown]
	v_add_co_u32_e32 v82, vcc, s96, v64
	v_addc_co_u32_e32 v83, vcc, 0, v65, vcc
	v_add_co_u32_e32 v86, vcc, s97, v64
	v_addc_co_u32_e32 v87, vcc, 0, v65, vcc
	v_add_co_u32_e32 v88, vcc, s98, v64
	v_addc_co_u32_e32 v89, vcc, 0, v65, vcc
	v_add_co_u32_e32 v92, vcc, s99, v64
	v_addc_co_u32_e32 v93, vcc, 0, v65, vcc
	global_load_dwordx2 v[66:67], v[64:65], off
	global_load_dwordx2 v[68:69], v[64:65], off offset:2048
	global_load_dwordx2 v[70:71], v[72:73], off
	s_nop 0
	global_load_dwordx2 v[72:73], v[72:73], off offset:2048
	s_nop 0
	global_load_dwordx2 v[74:75], v[82:83], off
	global_load_dwordx2 v[76:77], v[82:83], off offset:2048
	global_load_dwordx2 v[80:81], v[88:89], off offset:-4096
	global_load_dwordx2 v[84:85], v[88:89], off
	s_nop 0
	global_load_dwordx2 v[88:89], v[88:89], off offset:2048
	s_nop 0
	global_load_dwordx2 v[78:79], v[78:79], off offset:2048
	;; [unrolled: 2-line block ×3, first 2 shown]
	s_nop 0
	global_load_dwordx2 v[90:91], v[92:93], off
	s_nop 0
	global_load_dwordx2 v[92:93], v[92:93], off offset:2048
	s_waitcnt vmcnt(13)
	v_add_co_u32_e32 v94, vcc, 0x7000, v64
	v_addc_co_u32_e32 v95, vcc, 0, v65, vcc
	global_load_dwordx2 v[82:83], v[82:83], off offset:-4096
	s_nop 0
	global_load_dwordx2 v[94:95], v[94:95], off
	v_add_co_u32_e32 v64, vcc, 0x7800, v64
	s_movk_i32 s24, 0x1000
	v_addc_co_u32_e32 v65, vcc, 0, v65, vcc
	s_mov_b64 s[16:17], -1
	s_cbranch_execz .LBB1251_615
; %bb.613:                              ;   in Loop: Header=BB1251_611 Depth=2
                                        ; implicit-def: $vgpr60_vgpr61
                                        ; implicit-def: $vgpr58_vgpr59
                                        ; implicit-def: $vgpr56_vgpr57
                                        ; implicit-def: $vgpr54_vgpr55
                                        ; implicit-def: $vgpr52_vgpr53
                                        ; implicit-def: $vgpr50_vgpr51
                                        ; implicit-def: $vgpr48_vgpr49
                                        ; implicit-def: $vgpr46_vgpr47
                                        ; implicit-def: $vgpr44_vgpr45
                                        ; implicit-def: $vgpr42_vgpr43
                                        ; implicit-def: $vgpr40_vgpr41
                                        ; implicit-def: $vgpr38_vgpr39
                                        ; implicit-def: $vgpr36_vgpr37
                                        ; implicit-def: $vgpr34_vgpr35
                                        ; implicit-def: $vgpr0_vgpr1
                                        ; implicit-def: $vgpr62_vgpr63
	v_mov_b32_e32 v5, s22
	s_and_saveexec_b64 s[18:19], s[16:17]
	s_cbranch_execnz .LBB1251_634
	s_branch .LBB1251_635
.LBB1251_614:                           ;   in Loop: Header=BB1251_611 Depth=2
	s_mov_b64 s[16:17], 0
                                        ; implicit-def: $sgpr24
                                        ; implicit-def: $vgpr66_vgpr67
                                        ; implicit-def: $vgpr68_vgpr69
                                        ; implicit-def: $vgpr70_vgpr71
                                        ; implicit-def: $vgpr72_vgpr73
                                        ; implicit-def: $vgpr82_vgpr83
                                        ; implicit-def: $vgpr78_vgpr79
                                        ; implicit-def: $vgpr74_vgpr75
                                        ; implicit-def: $vgpr76_vgpr77
                                        ; implicit-def: $vgpr80_vgpr81
                                        ; implicit-def: $vgpr86_vgpr87
                                        ; implicit-def: $vgpr84_vgpr85
                                        ; implicit-def: $vgpr88_vgpr89
                                        ; implicit-def: $vgpr90_vgpr91
                                        ; implicit-def: $vgpr92_vgpr93
                                        ; implicit-def: $vgpr94_vgpr95
                                        ; implicit-def: $vgpr64_vgpr65
.LBB1251_615:                           ;   in Loop: Header=BB1251_611 Depth=2
	s_lshl_b64 s[18:19], s[88:89], 3
	s_add_u32 s18, s72, s18
	s_addc_u32 s19, s73, s19
	v_cmp_gt_u32_e32 vcc, s22, v2
	s_and_saveexec_b64 s[20:21], vcc
	s_cbranch_execz .LBB1251_667
; %bb.616:                              ;   in Loop: Header=BB1251_611 Depth=2
	global_load_dwordx2 v[60:61], v118, s[18:19]
	s_or_b64 exec, exec, s[20:21]
	v_cmp_gt_u32_e32 vcc, s22, v7
	s_and_saveexec_b64 s[20:21], vcc
	s_cbranch_execnz .LBB1251_668
.LBB1251_617:                           ;   in Loop: Header=BB1251_611 Depth=2
	s_or_b64 exec, exec, s[20:21]
	v_cmp_gt_u32_e32 vcc, s22, v6
	s_and_saveexec_b64 s[20:21], vcc
	s_cbranch_execz .LBB1251_669
.LBB1251_618:                           ;   in Loop: Header=BB1251_611 Depth=2
	global_load_dwordx2 v[56:57], v119, s[18:19]
	s_or_b64 exec, exec, s[20:21]
	v_cmp_gt_u32_e32 vcc, s22, v8
	s_and_saveexec_b64 s[20:21], vcc
	s_cbranch_execnz .LBB1251_670
.LBB1251_619:                           ;   in Loop: Header=BB1251_611 Depth=2
	s_or_b64 exec, exec, s[20:21]
	v_cmp_gt_u32_e32 vcc, s22, v10
	s_and_saveexec_b64 s[20:21], vcc
	s_cbranch_execz .LBB1251_671
.LBB1251_620:                           ;   in Loop: Header=BB1251_611 Depth=2
	global_load_dwordx2 v[52:53], v121, s[18:19]
	s_or_b64 exec, exec, s[20:21]
	v_cmp_gt_u32_e32 vcc, s22, v12
	s_and_saveexec_b64 s[20:21], vcc
	s_cbranch_execnz .LBB1251_672
.LBB1251_621:                           ;   in Loop: Header=BB1251_611 Depth=2
	s_or_b64 exec, exec, s[20:21]
	v_cmp_gt_u32_e32 vcc, s22, v14
	s_and_saveexec_b64 s[20:21], vcc
	s_cbranch_execz .LBB1251_673
.LBB1251_622:                           ;   in Loop: Header=BB1251_611 Depth=2
	global_load_dwordx2 v[48:49], v123, s[18:19]
	s_or_b64 exec, exec, s[20:21]
	v_cmp_gt_u32_e32 vcc, s22, v16
	s_and_saveexec_b64 s[20:21], vcc
	s_cbranch_execnz .LBB1251_674
.LBB1251_623:                           ;   in Loop: Header=BB1251_611 Depth=2
	s_or_b64 exec, exec, s[20:21]
	v_cmp_gt_u32_e32 vcc, s22, v18
	s_and_saveexec_b64 s[20:21], vcc
	s_cbranch_execz .LBB1251_675
.LBB1251_624:                           ;   in Loop: Header=BB1251_611 Depth=2
	global_load_dwordx2 v[44:45], v125, s[18:19]
	s_or_b64 exec, exec, s[20:21]
	v_cmp_gt_u32_e32 vcc, s22, v20
	s_and_saveexec_b64 s[20:21], vcc
	s_cbranch_execnz .LBB1251_676
.LBB1251_625:                           ;   in Loop: Header=BB1251_611 Depth=2
	s_or_b64 exec, exec, s[20:21]
	v_cmp_gt_u32_e32 vcc, s22, v22
	s_and_saveexec_b64 s[20:21], vcc
	s_cbranch_execz .LBB1251_677
.LBB1251_626:                           ;   in Loop: Header=BB1251_611 Depth=2
	global_load_dwordx2 v[40:41], v127, s[18:19]
	s_or_b64 exec, exec, s[20:21]
	v_cmp_gt_u32_e32 vcc, s22, v24
	s_and_saveexec_b64 s[20:21], vcc
	s_cbranch_execnz .LBB1251_678
.LBB1251_627:                           ;   in Loop: Header=BB1251_611 Depth=2
	s_or_b64 exec, exec, s[20:21]
	v_cmp_gt_u32_e32 vcc, s22, v26
	s_and_saveexec_b64 s[20:21], vcc
	s_cbranch_execz .LBB1251_679
.LBB1251_628:                           ;   in Loop: Header=BB1251_611 Depth=2
	global_load_dwordx2 v[36:37], v129, s[18:19]
	s_or_b64 exec, exec, s[20:21]
	v_cmp_gt_u32_e32 vcc, s22, v28
	s_and_saveexec_b64 s[20:21], vcc
	s_cbranch_execnz .LBB1251_680
.LBB1251_629:                           ;   in Loop: Header=BB1251_611 Depth=2
	s_or_b64 exec, exec, s[20:21]
	v_cmp_gt_u32_e32 vcc, s22, v30
	s_and_saveexec_b64 s[20:21], vcc
	s_cbranch_execz .LBB1251_631
.LBB1251_630:                           ;   in Loop: Header=BB1251_611 Depth=2
	global_load_dwordx2 v[0:1], v131, s[18:19]
.LBB1251_631:                           ;   in Loop: Header=BB1251_611 Depth=2
	s_or_b64 exec, exec, s[20:21]
	v_cmp_gt_u32_e32 vcc, s22, v32
                                        ; implicit-def: $sgpr24
                                        ; implicit-def: $vgpr64_vgpr65
	s_and_saveexec_b64 s[20:21], vcc
; %bb.632:                              ;   in Loop: Header=BB1251_611 Depth=2
	v_mov_b32_e32 v5, s19
	v_add_co_u32_e32 v64, vcc, s18, v132
	s_sub_i32 s24, s94, s88
	v_addc_co_u32_e32 v65, vcc, 0, v5, vcc
	s_or_b64 s[16:17], s[16:17], exec
                                        ; implicit-def: $vgpr62_vgpr63
; %bb.633:                              ;   in Loop: Header=BB1251_611 Depth=2
	s_or_b64 exec, exec, s[20:21]
	s_waitcnt vmcnt(0)
	v_pk_mov_b32 v[66:67], v[60:61], v[60:61] op_sel:[0,1]
	v_pk_mov_b32 v[68:69], v[58:59], v[58:59] op_sel:[0,1]
	;; [unrolled: 1-line block ×15, first 2 shown]
	v_mov_b32_e32 v5, s22
	s_and_saveexec_b64 s[18:19], s[16:17]
	s_cbranch_execz .LBB1251_635
.LBB1251_634:                           ;   in Loop: Header=BB1251_611 Depth=2
	global_load_dwordx2 v[62:63], v[64:65], off
	v_mov_b32_e32 v5, s24
	s_waitcnt vmcnt(1)
	v_pk_mov_b32 v[0:1], v[94:95], v[94:95] op_sel:[0,1]
	v_pk_mov_b32 v[34:35], v[92:93], v[92:93] op_sel:[0,1]
	;; [unrolled: 1-line block ×15, first 2 shown]
.LBB1251_635:                           ;   in Loop: Header=BB1251_611 Depth=2
	s_or_b64 exec, exec, s[18:19]
	v_cmp_lt_u32_e32 vcc, v2, v5
	s_and_saveexec_b64 s[16:17], vcc
	s_cbranch_execz .LBB1251_651
; %bb.636:                              ;   in Loop: Header=BB1251_611 Depth=2
	v_cmp_lt_i64_e32 vcc, -1, v[60:61]
	v_cndmask_b32_e32 v64, -1, v133, vcc
	s_waitcnt vmcnt(14)
	v_ashrrev_i32_e32 v66, 31, v61
	v_xor_b32_e32 v65, v64, v61
	v_xor_b32_e32 v64, v66, v60
	v_cmp_ne_u64_e32 vcc, s[78:79], v[64:65]
	v_cndmask_b32_e32 v65, v133, v65, vcc
	v_cndmask_b32_e32 v64, 0, v64, vcc
	v_lshrrev_b64 v[64:65], s84, v[64:65]
	v_and_b32_e32 v64, s68, v64
	v_lshl_or_b32 v64, v64, 4, v134
	ds_add_u32 v64, v117
	s_or_b64 exec, exec, s[16:17]
	v_cmp_lt_u32_e32 vcc, v7, v5
	s_and_saveexec_b64 s[16:17], vcc
	s_cbranch_execnz .LBB1251_652
.LBB1251_637:                           ;   in Loop: Header=BB1251_611 Depth=2
	s_or_b64 exec, exec, s[16:17]
	v_cmp_lt_u32_e32 vcc, v6, v5
	s_and_saveexec_b64 s[16:17], vcc
	s_cbranch_execz .LBB1251_653
.LBB1251_638:                           ;   in Loop: Header=BB1251_611 Depth=2
	v_cmp_lt_i64_e32 vcc, -1, v[56:57]
	v_cndmask_b32_e32 v64, -1, v133, vcc
	s_waitcnt vmcnt(14)
	v_ashrrev_i32_e32 v66, 31, v57
	v_xor_b32_e32 v65, v64, v57
	v_xor_b32_e32 v64, v66, v56
	v_cmp_ne_u64_e32 vcc, s[78:79], v[64:65]
	v_cndmask_b32_e32 v65, v133, v65, vcc
	v_cndmask_b32_e32 v64, 0, v64, vcc
	v_lshrrev_b64 v[64:65], s84, v[64:65]
	v_and_b32_e32 v64, s68, v64
	v_lshl_or_b32 v64, v64, 4, v134
	ds_add_u32 v64, v117
	s_or_b64 exec, exec, s[16:17]
	v_cmp_lt_u32_e32 vcc, v8, v5
	s_and_saveexec_b64 s[16:17], vcc
	s_cbranch_execnz .LBB1251_654
.LBB1251_639:                           ;   in Loop: Header=BB1251_611 Depth=2
	s_or_b64 exec, exec, s[16:17]
	v_cmp_lt_u32_e32 vcc, v10, v5
	s_and_saveexec_b64 s[16:17], vcc
	s_cbranch_execz .LBB1251_655
.LBB1251_640:                           ;   in Loop: Header=BB1251_611 Depth=2
	v_cmp_lt_i64_e32 vcc, -1, v[52:53]
	v_cndmask_b32_e32 v64, -1, v133, vcc
	s_waitcnt vmcnt(14)
	v_ashrrev_i32_e32 v66, 31, v53
	v_xor_b32_e32 v65, v64, v53
	v_xor_b32_e32 v64, v66, v52
	v_cmp_ne_u64_e32 vcc, s[78:79], v[64:65]
	v_cndmask_b32_e32 v65, v133, v65, vcc
	v_cndmask_b32_e32 v64, 0, v64, vcc
	v_lshrrev_b64 v[64:65], s84, v[64:65]
	v_and_b32_e32 v64, s68, v64
	v_lshl_or_b32 v64, v64, 4, v134
	ds_add_u32 v64, v117
	s_or_b64 exec, exec, s[16:17]
	v_cmp_lt_u32_e32 vcc, v12, v5
	s_and_saveexec_b64 s[16:17], vcc
	s_cbranch_execnz .LBB1251_656
.LBB1251_641:                           ;   in Loop: Header=BB1251_611 Depth=2
	s_or_b64 exec, exec, s[16:17]
	v_cmp_lt_u32_e32 vcc, v14, v5
	s_and_saveexec_b64 s[16:17], vcc
	s_cbranch_execz .LBB1251_657
.LBB1251_642:                           ;   in Loop: Header=BB1251_611 Depth=2
	v_cmp_lt_i64_e32 vcc, -1, v[48:49]
	v_cndmask_b32_e32 v64, -1, v133, vcc
	s_waitcnt vmcnt(14)
	v_ashrrev_i32_e32 v66, 31, v49
	v_xor_b32_e32 v65, v64, v49
	v_xor_b32_e32 v64, v66, v48
	v_cmp_ne_u64_e32 vcc, s[78:79], v[64:65]
	v_cndmask_b32_e32 v65, v133, v65, vcc
	v_cndmask_b32_e32 v64, 0, v64, vcc
	v_lshrrev_b64 v[64:65], s84, v[64:65]
	v_and_b32_e32 v64, s68, v64
	v_lshl_or_b32 v64, v64, 4, v134
	ds_add_u32 v64, v117
	s_or_b64 exec, exec, s[16:17]
	v_cmp_lt_u32_e32 vcc, v16, v5
	s_and_saveexec_b64 s[16:17], vcc
	s_cbranch_execnz .LBB1251_658
.LBB1251_643:                           ;   in Loop: Header=BB1251_611 Depth=2
	s_or_b64 exec, exec, s[16:17]
	v_cmp_lt_u32_e32 vcc, v18, v5
	s_and_saveexec_b64 s[16:17], vcc
	s_cbranch_execz .LBB1251_659
.LBB1251_644:                           ;   in Loop: Header=BB1251_611 Depth=2
	v_cmp_lt_i64_e32 vcc, -1, v[44:45]
	v_cndmask_b32_e32 v64, -1, v133, vcc
	s_waitcnt vmcnt(14)
	v_ashrrev_i32_e32 v66, 31, v45
	v_xor_b32_e32 v65, v64, v45
	v_xor_b32_e32 v64, v66, v44
	v_cmp_ne_u64_e32 vcc, s[78:79], v[64:65]
	v_cndmask_b32_e32 v65, v133, v65, vcc
	v_cndmask_b32_e32 v64, 0, v64, vcc
	v_lshrrev_b64 v[64:65], s84, v[64:65]
	v_and_b32_e32 v64, s68, v64
	v_lshl_or_b32 v64, v64, 4, v134
	ds_add_u32 v64, v117
	s_or_b64 exec, exec, s[16:17]
	v_cmp_lt_u32_e32 vcc, v20, v5
	s_and_saveexec_b64 s[16:17], vcc
	s_cbranch_execnz .LBB1251_660
.LBB1251_645:                           ;   in Loop: Header=BB1251_611 Depth=2
	s_or_b64 exec, exec, s[16:17]
	v_cmp_lt_u32_e32 vcc, v22, v5
	s_and_saveexec_b64 s[16:17], vcc
	s_cbranch_execz .LBB1251_661
.LBB1251_646:                           ;   in Loop: Header=BB1251_611 Depth=2
	v_cmp_lt_i64_e32 vcc, -1, v[40:41]
	v_cndmask_b32_e32 v64, -1, v133, vcc
	s_waitcnt vmcnt(14)
	v_ashrrev_i32_e32 v66, 31, v41
	v_xor_b32_e32 v65, v64, v41
	v_xor_b32_e32 v64, v66, v40
	v_cmp_ne_u64_e32 vcc, s[78:79], v[64:65]
	v_cndmask_b32_e32 v65, v133, v65, vcc
	v_cndmask_b32_e32 v64, 0, v64, vcc
	v_lshrrev_b64 v[64:65], s84, v[64:65]
	v_and_b32_e32 v64, s68, v64
	v_lshl_or_b32 v64, v64, 4, v134
	ds_add_u32 v64, v117
	s_or_b64 exec, exec, s[16:17]
	v_cmp_lt_u32_e32 vcc, v24, v5
	s_and_saveexec_b64 s[16:17], vcc
	s_cbranch_execnz .LBB1251_662
.LBB1251_647:                           ;   in Loop: Header=BB1251_611 Depth=2
	s_or_b64 exec, exec, s[16:17]
	v_cmp_lt_u32_e32 vcc, v26, v5
	s_and_saveexec_b64 s[16:17], vcc
	s_cbranch_execz .LBB1251_663
.LBB1251_648:                           ;   in Loop: Header=BB1251_611 Depth=2
	v_cmp_lt_i64_e32 vcc, -1, v[36:37]
	v_cndmask_b32_e32 v64, -1, v133, vcc
	s_waitcnt vmcnt(14)
	v_ashrrev_i32_e32 v66, 31, v37
	v_xor_b32_e32 v65, v64, v37
	v_xor_b32_e32 v64, v66, v36
	v_cmp_ne_u64_e32 vcc, s[78:79], v[64:65]
	v_cndmask_b32_e32 v65, v133, v65, vcc
	v_cndmask_b32_e32 v64, 0, v64, vcc
	v_lshrrev_b64 v[64:65], s84, v[64:65]
	v_and_b32_e32 v64, s68, v64
	v_lshl_or_b32 v64, v64, 4, v134
	ds_add_u32 v64, v117
	s_or_b64 exec, exec, s[16:17]
	v_cmp_lt_u32_e32 vcc, v28, v5
	s_and_saveexec_b64 s[16:17], vcc
	s_cbranch_execnz .LBB1251_664
.LBB1251_649:                           ;   in Loop: Header=BB1251_611 Depth=2
	s_or_b64 exec, exec, s[16:17]
	v_cmp_lt_u32_e32 vcc, v30, v5
	s_and_saveexec_b64 s[16:17], vcc
	s_cbranch_execz .LBB1251_665
.LBB1251_650:                           ;   in Loop: Header=BB1251_611 Depth=2
	v_cmp_lt_i64_e32 vcc, -1, v[0:1]
	v_cndmask_b32_e32 v64, -1, v133, vcc
	s_waitcnt vmcnt(14)
	v_ashrrev_i32_e32 v66, 31, v1
	v_xor_b32_e32 v65, v64, v1
	v_xor_b32_e32 v64, v66, v0
	v_cmp_ne_u64_e32 vcc, s[78:79], v[64:65]
	v_cndmask_b32_e32 v65, v133, v65, vcc
	v_cndmask_b32_e32 v64, 0, v64, vcc
	v_lshrrev_b64 v[64:65], s84, v[64:65]
	v_and_b32_e32 v64, s68, v64
	v_lshl_or_b32 v64, v64, 4, v134
	ds_add_u32 v64, v117
	s_or_b64 exec, exec, s[16:17]
	v_cmp_lt_u32_e32 vcc, v32, v5
	s_and_saveexec_b64 s[16:17], vcc
	s_cbranch_execz .LBB1251_610
	s_branch .LBB1251_666
.LBB1251_651:                           ;   in Loop: Header=BB1251_611 Depth=2
	s_or_b64 exec, exec, s[16:17]
	v_cmp_lt_u32_e32 vcc, v7, v5
	s_and_saveexec_b64 s[16:17], vcc
	s_cbranch_execz .LBB1251_637
.LBB1251_652:                           ;   in Loop: Header=BB1251_611 Depth=2
	v_cmp_lt_i64_e32 vcc, -1, v[58:59]
	v_cndmask_b32_e32 v64, -1, v133, vcc
	s_waitcnt vmcnt(14)
	v_ashrrev_i32_e32 v66, 31, v59
	v_xor_b32_e32 v65, v64, v59
	v_xor_b32_e32 v64, v66, v58
	v_cmp_ne_u64_e32 vcc, s[78:79], v[64:65]
	v_cndmask_b32_e32 v65, v133, v65, vcc
	v_cndmask_b32_e32 v64, 0, v64, vcc
	v_lshrrev_b64 v[64:65], s84, v[64:65]
	v_and_b32_e32 v64, s68, v64
	v_lshl_or_b32 v64, v64, 4, v134
	ds_add_u32 v64, v117
	s_or_b64 exec, exec, s[16:17]
	v_cmp_lt_u32_e32 vcc, v6, v5
	s_and_saveexec_b64 s[16:17], vcc
	s_cbranch_execnz .LBB1251_638
.LBB1251_653:                           ;   in Loop: Header=BB1251_611 Depth=2
	s_or_b64 exec, exec, s[16:17]
	v_cmp_lt_u32_e32 vcc, v8, v5
	s_and_saveexec_b64 s[16:17], vcc
	s_cbranch_execz .LBB1251_639
.LBB1251_654:                           ;   in Loop: Header=BB1251_611 Depth=2
	v_cmp_lt_i64_e32 vcc, -1, v[54:55]
	v_cndmask_b32_e32 v64, -1, v133, vcc
	s_waitcnt vmcnt(14)
	v_ashrrev_i32_e32 v66, 31, v55
	v_xor_b32_e32 v65, v64, v55
	v_xor_b32_e32 v64, v66, v54
	v_cmp_ne_u64_e32 vcc, s[78:79], v[64:65]
	v_cndmask_b32_e32 v65, v133, v65, vcc
	v_cndmask_b32_e32 v64, 0, v64, vcc
	v_lshrrev_b64 v[64:65], s84, v[64:65]
	v_and_b32_e32 v64, s68, v64
	v_lshl_or_b32 v64, v64, 4, v134
	ds_add_u32 v64, v117
	s_or_b64 exec, exec, s[16:17]
	v_cmp_lt_u32_e32 vcc, v10, v5
	s_and_saveexec_b64 s[16:17], vcc
	s_cbranch_execnz .LBB1251_640
.LBB1251_655:                           ;   in Loop: Header=BB1251_611 Depth=2
	s_or_b64 exec, exec, s[16:17]
	v_cmp_lt_u32_e32 vcc, v12, v5
	s_and_saveexec_b64 s[16:17], vcc
	s_cbranch_execz .LBB1251_641
.LBB1251_656:                           ;   in Loop: Header=BB1251_611 Depth=2
	v_cmp_lt_i64_e32 vcc, -1, v[50:51]
	v_cndmask_b32_e32 v64, -1, v133, vcc
	s_waitcnt vmcnt(14)
	v_ashrrev_i32_e32 v66, 31, v51
	v_xor_b32_e32 v65, v64, v51
	v_xor_b32_e32 v64, v66, v50
	v_cmp_ne_u64_e32 vcc, s[78:79], v[64:65]
	v_cndmask_b32_e32 v65, v133, v65, vcc
	v_cndmask_b32_e32 v64, 0, v64, vcc
	v_lshrrev_b64 v[64:65], s84, v[64:65]
	v_and_b32_e32 v64, s68, v64
	v_lshl_or_b32 v64, v64, 4, v134
	ds_add_u32 v64, v117
	s_or_b64 exec, exec, s[16:17]
	v_cmp_lt_u32_e32 vcc, v14, v5
	s_and_saveexec_b64 s[16:17], vcc
	s_cbranch_execnz .LBB1251_642
.LBB1251_657:                           ;   in Loop: Header=BB1251_611 Depth=2
	s_or_b64 exec, exec, s[16:17]
	v_cmp_lt_u32_e32 vcc, v16, v5
	s_and_saveexec_b64 s[16:17], vcc
	s_cbranch_execz .LBB1251_643
.LBB1251_658:                           ;   in Loop: Header=BB1251_611 Depth=2
	v_cmp_lt_i64_e32 vcc, -1, v[46:47]
	v_cndmask_b32_e32 v64, -1, v133, vcc
	s_waitcnt vmcnt(14)
	v_ashrrev_i32_e32 v66, 31, v47
	v_xor_b32_e32 v65, v64, v47
	v_xor_b32_e32 v64, v66, v46
	v_cmp_ne_u64_e32 vcc, s[78:79], v[64:65]
	v_cndmask_b32_e32 v65, v133, v65, vcc
	v_cndmask_b32_e32 v64, 0, v64, vcc
	v_lshrrev_b64 v[64:65], s84, v[64:65]
	v_and_b32_e32 v64, s68, v64
	v_lshl_or_b32 v64, v64, 4, v134
	ds_add_u32 v64, v117
	s_or_b64 exec, exec, s[16:17]
	v_cmp_lt_u32_e32 vcc, v18, v5
	s_and_saveexec_b64 s[16:17], vcc
	s_cbranch_execnz .LBB1251_644
.LBB1251_659:                           ;   in Loop: Header=BB1251_611 Depth=2
	s_or_b64 exec, exec, s[16:17]
	v_cmp_lt_u32_e32 vcc, v20, v5
	s_and_saveexec_b64 s[16:17], vcc
	s_cbranch_execz .LBB1251_645
.LBB1251_660:                           ;   in Loop: Header=BB1251_611 Depth=2
	v_cmp_lt_i64_e32 vcc, -1, v[42:43]
	v_cndmask_b32_e32 v64, -1, v133, vcc
	s_waitcnt vmcnt(14)
	v_ashrrev_i32_e32 v66, 31, v43
	v_xor_b32_e32 v65, v64, v43
	v_xor_b32_e32 v64, v66, v42
	v_cmp_ne_u64_e32 vcc, s[78:79], v[64:65]
	v_cndmask_b32_e32 v65, v133, v65, vcc
	v_cndmask_b32_e32 v64, 0, v64, vcc
	v_lshrrev_b64 v[64:65], s84, v[64:65]
	v_and_b32_e32 v64, s68, v64
	v_lshl_or_b32 v64, v64, 4, v134
	ds_add_u32 v64, v117
	s_or_b64 exec, exec, s[16:17]
	v_cmp_lt_u32_e32 vcc, v22, v5
	s_and_saveexec_b64 s[16:17], vcc
	s_cbranch_execnz .LBB1251_646
.LBB1251_661:                           ;   in Loop: Header=BB1251_611 Depth=2
	s_or_b64 exec, exec, s[16:17]
	v_cmp_lt_u32_e32 vcc, v24, v5
	s_and_saveexec_b64 s[16:17], vcc
	s_cbranch_execz .LBB1251_647
.LBB1251_662:                           ;   in Loop: Header=BB1251_611 Depth=2
	v_cmp_lt_i64_e32 vcc, -1, v[38:39]
	v_cndmask_b32_e32 v64, -1, v133, vcc
	s_waitcnt vmcnt(14)
	v_ashrrev_i32_e32 v66, 31, v39
	v_xor_b32_e32 v65, v64, v39
	v_xor_b32_e32 v64, v66, v38
	v_cmp_ne_u64_e32 vcc, s[78:79], v[64:65]
	v_cndmask_b32_e32 v65, v133, v65, vcc
	v_cndmask_b32_e32 v64, 0, v64, vcc
	v_lshrrev_b64 v[64:65], s84, v[64:65]
	v_and_b32_e32 v64, s68, v64
	v_lshl_or_b32 v64, v64, 4, v134
	ds_add_u32 v64, v117
	s_or_b64 exec, exec, s[16:17]
	v_cmp_lt_u32_e32 vcc, v26, v5
	s_and_saveexec_b64 s[16:17], vcc
	s_cbranch_execnz .LBB1251_648
.LBB1251_663:                           ;   in Loop: Header=BB1251_611 Depth=2
	s_or_b64 exec, exec, s[16:17]
	v_cmp_lt_u32_e32 vcc, v28, v5
	s_and_saveexec_b64 s[16:17], vcc
	s_cbranch_execz .LBB1251_649
.LBB1251_664:                           ;   in Loop: Header=BB1251_611 Depth=2
	v_cmp_lt_i64_e32 vcc, -1, v[34:35]
	v_cndmask_b32_e32 v64, -1, v133, vcc
	s_waitcnt vmcnt(14)
	v_ashrrev_i32_e32 v66, 31, v35
	v_xor_b32_e32 v65, v64, v35
	v_xor_b32_e32 v64, v66, v34
	v_cmp_ne_u64_e32 vcc, s[78:79], v[64:65]
	v_cndmask_b32_e32 v65, v133, v65, vcc
	v_cndmask_b32_e32 v64, 0, v64, vcc
	v_lshrrev_b64 v[64:65], s84, v[64:65]
	v_and_b32_e32 v64, s68, v64
	v_lshl_or_b32 v64, v64, 4, v134
	ds_add_u32 v64, v117
	s_or_b64 exec, exec, s[16:17]
	v_cmp_lt_u32_e32 vcc, v30, v5
	s_and_saveexec_b64 s[16:17], vcc
	s_cbranch_execnz .LBB1251_650
.LBB1251_665:                           ;   in Loop: Header=BB1251_611 Depth=2
	s_or_b64 exec, exec, s[16:17]
	v_cmp_lt_u32_e32 vcc, v32, v5
	s_and_saveexec_b64 s[16:17], vcc
	s_cbranch_execz .LBB1251_610
.LBB1251_666:                           ;   in Loop: Header=BB1251_611 Depth=2
	s_waitcnt vmcnt(0)
	v_cmp_lt_i64_e32 vcc, -1, v[62:63]
	v_cndmask_b32_e32 v5, -1, v133, vcc
	v_ashrrev_i32_e32 v64, 31, v63
	v_xor_b32_e32 v65, v5, v63
	v_xor_b32_e32 v64, v64, v62
	v_cmp_ne_u64_e32 vcc, s[78:79], v[64:65]
	v_cndmask_b32_e32 v65, v133, v65, vcc
	v_cndmask_b32_e32 v64, 0, v64, vcc
	v_lshrrev_b64 v[64:65], s84, v[64:65]
	v_and_b32_e32 v5, s68, v64
	v_lshl_or_b32 v5, v5, 4, v134
	ds_add_u32 v5, v117
	s_branch .LBB1251_610
.LBB1251_667:                           ;   in Loop: Header=BB1251_611 Depth=2
	s_or_b64 exec, exec, s[20:21]
	v_cmp_gt_u32_e32 vcc, s22, v7
	s_and_saveexec_b64 s[20:21], vcc
	s_cbranch_execz .LBB1251_617
.LBB1251_668:                           ;   in Loop: Header=BB1251_611 Depth=2
	global_load_dwordx2 v[58:59], v118, s[18:19] offset:2048
	s_or_b64 exec, exec, s[20:21]
	v_cmp_gt_u32_e32 vcc, s22, v6
	s_and_saveexec_b64 s[20:21], vcc
	s_cbranch_execnz .LBB1251_618
.LBB1251_669:                           ;   in Loop: Header=BB1251_611 Depth=2
	s_or_b64 exec, exec, s[20:21]
	v_cmp_gt_u32_e32 vcc, s22, v8
	s_and_saveexec_b64 s[20:21], vcc
	s_cbranch_execz .LBB1251_619
.LBB1251_670:                           ;   in Loop: Header=BB1251_611 Depth=2
	global_load_dwordx2 v[54:55], v120, s[18:19]
	s_or_b64 exec, exec, s[20:21]
	v_cmp_gt_u32_e32 vcc, s22, v10
	s_and_saveexec_b64 s[20:21], vcc
	s_cbranch_execnz .LBB1251_620
.LBB1251_671:                           ;   in Loop: Header=BB1251_611 Depth=2
	s_or_b64 exec, exec, s[20:21]
	v_cmp_gt_u32_e32 vcc, s22, v12
	s_and_saveexec_b64 s[20:21], vcc
	s_cbranch_execz .LBB1251_621
.LBB1251_672:                           ;   in Loop: Header=BB1251_611 Depth=2
	global_load_dwordx2 v[50:51], v122, s[18:19]
	s_or_b64 exec, exec, s[20:21]
	v_cmp_gt_u32_e32 vcc, s22, v14
	s_and_saveexec_b64 s[20:21], vcc
	s_cbranch_execnz .LBB1251_622
.LBB1251_673:                           ;   in Loop: Header=BB1251_611 Depth=2
	s_or_b64 exec, exec, s[20:21]
	v_cmp_gt_u32_e32 vcc, s22, v16
	s_and_saveexec_b64 s[20:21], vcc
	s_cbranch_execz .LBB1251_623
.LBB1251_674:                           ;   in Loop: Header=BB1251_611 Depth=2
	global_load_dwordx2 v[46:47], v124, s[18:19]
	s_or_b64 exec, exec, s[20:21]
	v_cmp_gt_u32_e32 vcc, s22, v18
	s_and_saveexec_b64 s[20:21], vcc
	s_cbranch_execnz .LBB1251_624
.LBB1251_675:                           ;   in Loop: Header=BB1251_611 Depth=2
	s_or_b64 exec, exec, s[20:21]
	v_cmp_gt_u32_e32 vcc, s22, v20
	s_and_saveexec_b64 s[20:21], vcc
	s_cbranch_execz .LBB1251_625
.LBB1251_676:                           ;   in Loop: Header=BB1251_611 Depth=2
	global_load_dwordx2 v[42:43], v126, s[18:19]
	s_or_b64 exec, exec, s[20:21]
	v_cmp_gt_u32_e32 vcc, s22, v22
	s_and_saveexec_b64 s[20:21], vcc
	s_cbranch_execnz .LBB1251_626
.LBB1251_677:                           ;   in Loop: Header=BB1251_611 Depth=2
	s_or_b64 exec, exec, s[20:21]
	v_cmp_gt_u32_e32 vcc, s22, v24
	s_and_saveexec_b64 s[20:21], vcc
	s_cbranch_execz .LBB1251_627
.LBB1251_678:                           ;   in Loop: Header=BB1251_611 Depth=2
	global_load_dwordx2 v[38:39], v128, s[18:19]
	s_or_b64 exec, exec, s[20:21]
	v_cmp_gt_u32_e32 vcc, s22, v26
	s_and_saveexec_b64 s[20:21], vcc
	s_cbranch_execnz .LBB1251_628
.LBB1251_679:                           ;   in Loop: Header=BB1251_611 Depth=2
	s_or_b64 exec, exec, s[20:21]
	v_cmp_gt_u32_e32 vcc, s22, v28
	s_and_saveexec_b64 s[20:21], vcc
	s_cbranch_execz .LBB1251_629
.LBB1251_680:                           ;   in Loop: Header=BB1251_611 Depth=2
	global_load_dwordx2 v[34:35], v130, s[18:19]
	s_or_b64 exec, exec, s[20:21]
	v_cmp_gt_u32_e32 vcc, s22, v30
	s_and_saveexec_b64 s[20:21], vcc
	s_cbranch_execz .LBB1251_631
	s_branch .LBB1251_630
.LBB1251_681:                           ;   in Loop: Header=BB1251_17 Depth=1
	v_mov_b32_e32 v0, 0
	s_waitcnt lgkmcnt(0)
	s_barrier
	s_and_saveexec_b64 s[16:17], s[4:5]
	s_cbranch_execz .LBB1251_683
; %bb.682:                              ;   in Loop: Header=BB1251_17 Depth=1
	ds_read2_b64 v[34:37], v13 offset1:1
	s_waitcnt lgkmcnt(0)
	v_add_u32_e32 v0, v35, v34
	v_add3_u32 v0, v0, v36, v37
.LBB1251_683:                           ;   in Loop: Header=BB1251_17 Depth=1
	s_or_b64 exec, exec, s[16:17]
	s_nop 0
	v_mov_b32_dpp v1, v0 row_shr:1 row_mask:0xf bank_mask:0xf
	v_cmp_eq_u32_e64 s[16:17], 0, v136
	v_cndmask_b32_e64 v1, v1, 0, s[16:17]
	v_add_u32_e32 v0, v1, v0
	v_cmp_lt_u32_e64 s[18:19], 1, v136
	v_cmp_lt_u32_e64 s[20:21], 3, v136
	v_mov_b32_dpp v1, v0 row_shr:2 row_mask:0xf bank_mask:0xf
	v_cndmask_b32_e64 v1, 0, v1, s[18:19]
	v_add_u32_e32 v0, v0, v1
	v_cmp_lt_u32_e64 s[22:23], 7, v136
	v_cmp_lt_u32_e64 s[26:27], 31, v135
	v_mov_b32_dpp v1, v0 row_shr:4 row_mask:0xf bank_mask:0xf
	v_cndmask_b32_e64 v1, 0, v1, s[20:21]
	v_add_u32_e32 v0, v0, v1
	v_cmp_eq_u32_e64 s[24:25], 0, v138
	s_nop 0
	v_mov_b32_dpp v1, v0 row_shr:8 row_mask:0xf bank_mask:0xf
	v_cndmask_b32_e64 v1, 0, v1, s[22:23]
	v_add_u32_e32 v0, v0, v1
	s_nop 1
	v_mov_b32_dpp v1, v0 row_bcast:15 row_mask:0xf bank_mask:0xf
	v_and_b32_e32 v1, v137, v1
	v_add_u32_e32 v0, v0, v1
	s_nop 1
	v_mov_b32_dpp v1, v0 row_bcast:31 row_mask:0xf bank_mask:0xf
	v_cndmask_b32_e64 v1, 0, v1, s[26:27]
	v_add_u32_e32 v0, v0, v1
	s_and_saveexec_b64 s[28:29], s[6:7]
	v_readlane_b32 s38, v236, 2
	s_cbranch_execz .LBB1251_685
; %bb.684:                              ;   in Loop: Header=BB1251_17 Depth=1
	ds_write_b32 v17, v0
.LBB1251_685:                           ;   in Loop: Header=BB1251_17 Depth=1
	s_or_b64 exec, exec, s[28:29]
	s_waitcnt lgkmcnt(0)
	s_barrier
	s_and_saveexec_b64 s[28:29], s[8:9]
	s_cbranch_execz .LBB1251_687
; %bb.686:                              ;   in Loop: Header=BB1251_17 Depth=1
	ds_read_b32 v1, v19
	v_cmp_ne_u32_e32 vcc, 0, v139
	s_waitcnt lgkmcnt(0)
	v_mov_b32_dpp v5, v1 row_shr:1 row_mask:0xf bank_mask:0xf
	v_cndmask_b32_e32 v5, 0, v5, vcc
	v_add_u32_e32 v1, v5, v1
	v_cmp_lt_u32_e32 vcc, 1, v139
	s_nop 0
	v_mov_b32_dpp v5, v1 row_shr:2 row_mask:0xf bank_mask:0xf
	v_cndmask_b32_e32 v5, 0, v5, vcc
	v_add_u32_e32 v1, v1, v5
	ds_write_b32 v19, v1
.LBB1251_687:                           ;   in Loop: Header=BB1251_17 Depth=1
	s_or_b64 exec, exec, s[28:29]
	v_mov_b32_e32 v1, 0
	s_waitcnt lgkmcnt(0)
	s_barrier
	s_and_saveexec_b64 s[28:29], s[10:11]
	s_cbranch_execz .LBB1251_689
; %bb.688:                              ;   in Loop: Header=BB1251_17 Depth=1
	ds_read_b32 v1, v21
.LBB1251_689:                           ;   in Loop: Header=BB1251_17 Depth=1
	s_or_b64 exec, exec, s[28:29]
	v_cmp_lt_i32_e32 vcc, v140, v141
	v_cndmask_b32_e32 v5, v140, v135, vcc
	s_waitcnt lgkmcnt(0)
	v_add_u32_e32 v0, v1, v0
	v_lshlrev_b32_e32 v159, 2, v5
	ds_bpermute_b32 v0, v159, v0
	v_cmp_eq_u32_e64 s[28:29], 0, v135
	s_waitcnt lgkmcnt(0)
	s_barrier
	s_and_saveexec_b64 s[30:31], s[4:5]
	s_cbranch_execz .LBB1251_691
; %bb.690:                              ;   in Loop: Header=BB1251_17 Depth=1
	v_cndmask_b32_e64 v0, v0, v1, s[28:29]
	v_add_u32_e32 v0, s38, v0
	ds_write_b32 v3, v0
.LBB1251_691:                           ;   in Loop: Header=BB1251_17 Depth=1
	s_or_b64 exec, exec, s[30:31]
	s_load_dwordx2 s[30:31], s[90:91], 0x0
	v_readlane_b32 s34, v236, 1
	v_add_co_u32_e32 v160, vcc, v113, v142
	v_addc_co_u32_e32 v161, vcc, 0, v114, vcc
	s_waitcnt lgkmcnt(0)
	s_cmp_lt_u32 s34, s30
	v_readlane_b32 s30, v236, 0
	s_cselect_b32 s34, 12, 18
	s_cmp_lt_u32 s30, s31
	s_cselect_b32 s30, 14, 20
	s_add_u32 s30, s90, s30
	s_addc_u32 s31, s91, 0
	s_add_u32 s34, s90, s34
	global_load_ushort v5, v4, s[30:31]
	s_addc_u32 s35, s91, 0
	global_load_ushort v64, v4, s[34:35]
	v_add_co_u32_e32 v162, vcc, v115, v142
	v_addc_co_u32_e32 v163, vcc, 0, v116, vcc
	v_add_co_u32_e32 v170, vcc, 0x1e00, v162
	v_cmp_eq_u32_e64 s[30:31], 0, v139
	v_cmp_lt_u32_e64 s[34:35], 1, v139
	s_mov_b32 s69, s85
	v_addc_co_u32_e32 v173, vcc, 0, v163, vcc
	s_mov_b32 s88, s38
                                        ; implicit-def: $vgpr0_vgpr1
                                        ; implicit-def: $vgpr34_vgpr35
                                        ; implicit-def: $vgpr36_vgpr37
                                        ; implicit-def: $vgpr40_vgpr41
                                        ; implicit-def: $vgpr44_vgpr45
                                        ; implicit-def: $vgpr48_vgpr49
                                        ; implicit-def: $vgpr52_vgpr53
                                        ; implicit-def: $vgpr56_vgpr57
                                        ; implicit-def: $vgpr38_vgpr39
                                        ; implicit-def: $vgpr42_vgpr43
                                        ; implicit-def: $vgpr46_vgpr47
                                        ; implicit-def: $vgpr50_vgpr51
                                        ; implicit-def: $vgpr54_vgpr55
                                        ; implicit-def: $vgpr58_vgpr59
                                        ; implicit-def: $vgpr60_vgpr61
                                        ; implicit-def: $vgpr62_vgpr63
                                        ; implicit-def: $vgpr164
                                        ; implicit-def: $vgpr165
                                        ; implicit-def: $vgpr166
                                        ; implicit-def: $vgpr167
                                        ; implicit-def: $vgpr168
                                        ; implicit-def: $vgpr169
                                        ; implicit-def: $vgpr171
                                        ; implicit-def: $vgpr172
                                        ; implicit-def: $vgpr174
                                        ; implicit-def: $vgpr175
                                        ; implicit-def: $vgpr176
                                        ; implicit-def: $vgpr178
                                        ; implicit-def: $vgpr179
                                        ; implicit-def: $vgpr180
                                        ; implicit-def: $vgpr181
                                        ; implicit-def: $vgpr182
	s_waitcnt vmcnt(1)
	v_mad_u32_u24 v5, v23, v5, v25
	s_waitcnt vmcnt(0)
	v_mad_u64_u32 v[64:65], s[36:37], v5, v64, v[2:3]
	v_lshrrev_b32_e32 v177, 6, v64
	s_branch .LBB1251_693
.LBB1251_692:                           ;   in Loop: Header=BB1251_693 Depth=2
	s_or_b64 exec, exec, s[36:37]
	s_addk_i32 s69, 0xf000
	s_cmp_lt_u32 s86, s94
	s_mov_b32 s88, s86
	s_cbranch_scc0 .LBB1251_901
.LBB1251_693:                           ;   Parent Loop BB1251_17 Depth=1
                                        ; =>  This Inner Loop Header: Depth=2
	s_add_i32 s86, s88, 0x1000
	s_cmp_gt_u32 s86, s94
	s_cbranch_scc1 .LBB1251_695
; %bb.694:                              ;   in Loop: Header=BB1251_693 Depth=2
	s_lshl_b64 s[36:37], s[88:89], 3
	v_mov_b32_e32 v5, s37
	v_add_co_u32_e32 v68, vcc, s36, v162
	v_addc_co_u32_e32 v69, vcc, v163, v5, vcc
	global_load_dwordx2 v[64:65], v[68:69], off
	global_load_dwordx2 v[66:67], v[68:69], off offset:512
	global_load_dwordx2 v[74:75], v[68:69], off offset:1024
	;; [unrolled: 1-line block ×7, first 2 shown]
	v_add_co_u32_e32 v68, vcc, 0x1000, v68
	v_addc_co_u32_e32 v69, vcc, 0, v69, vcc
	global_load_dwordx2 v[92:93], v[68:69], off
	global_load_dwordx2 v[88:89], v[68:69], off offset:512
	global_load_dwordx2 v[84:85], v[68:69], off offset:1024
	;; [unrolled: 1-line block ×5, first 2 shown]
	s_nop 0
	global_load_dwordx2 v[68:69], v[68:69], off offset:3072
	s_movk_i32 s40, 0x1000
	s_mov_b64 s[36:37], -1
	s_cbranch_execz .LBB1251_696
	s_branch .LBB1251_727
.LBB1251_695:                           ;   in Loop: Header=BB1251_693 Depth=2
	s_mov_b64 s[36:37], 0
                                        ; implicit-def: $sgpr40
                                        ; implicit-def: $vgpr64_vgpr65
                                        ; implicit-def: $vgpr66_vgpr67
                                        ; implicit-def: $vgpr74_vgpr75
                                        ; implicit-def: $vgpr78_vgpr79
                                        ; implicit-def: $vgpr82_vgpr83
                                        ; implicit-def: $vgpr86_vgpr87
                                        ; implicit-def: $vgpr90_vgpr91
                                        ; implicit-def: $vgpr94_vgpr95
                                        ; implicit-def: $vgpr92_vgpr93
                                        ; implicit-def: $vgpr88_vgpr89
                                        ; implicit-def: $vgpr84_vgpr85
                                        ; implicit-def: $vgpr80_vgpr81
                                        ; implicit-def: $vgpr76_vgpr77
                                        ; implicit-def: $vgpr72_vgpr73
                                        ; implicit-def: $vgpr68_vgpr69
.LBB1251_696:                           ;   in Loop: Header=BB1251_693 Depth=2
	s_lshl_b64 s[36:37], s[88:89], 3
	v_mov_b32_e32 v5, s37
	v_add_co_u32_e32 v70, vcc, s36, v162
	v_addc_co_u32_e32 v71, vcc, v163, v5, vcc
	v_cmp_gt_u32_e32 vcc, s69, v143
	s_waitcnt vmcnt(14)
	v_pk_mov_b32 v[64:65], s[78:79], s[78:79] op_sel:[0,1]
	s_and_saveexec_b64 s[36:37], vcc
	s_cbranch_execz .LBB1251_698
; %bb.697:                              ;   in Loop: Header=BB1251_693 Depth=2
	global_load_dwordx2 v[64:65], v[70:71], off
.LBB1251_698:                           ;   in Loop: Header=BB1251_693 Depth=2
	s_or_b64 exec, exec, s[36:37]
	v_cmp_gt_u32_e32 vcc, s69, v144
	s_waitcnt vmcnt(13)
	v_pk_mov_b32 v[66:67], s[78:79], s[78:79] op_sel:[0,1]
	s_and_saveexec_b64 s[36:37], vcc
	s_cbranch_execz .LBB1251_700
; %bb.699:                              ;   in Loop: Header=BB1251_693 Depth=2
	global_load_dwordx2 v[66:67], v[70:71], off offset:512
.LBB1251_700:                           ;   in Loop: Header=BB1251_693 Depth=2
	s_or_b64 exec, exec, s[36:37]
	v_cmp_gt_u32_e32 vcc, s69, v145
	s_waitcnt vmcnt(12)
	v_pk_mov_b32 v[74:75], s[78:79], s[78:79] op_sel:[0,1]
	s_and_saveexec_b64 s[36:37], vcc
	s_cbranch_execz .LBB1251_702
; %bb.701:                              ;   in Loop: Header=BB1251_693 Depth=2
	global_load_dwordx2 v[74:75], v[70:71], off offset:1024
.LBB1251_702:                           ;   in Loop: Header=BB1251_693 Depth=2
	;; [unrolled: 9-line block ×7, first 2 shown]
	s_or_b64 exec, exec, s[36:37]
	v_cmp_gt_u32_e32 vcc, s69, v151
	s_waitcnt vmcnt(6)
	v_pk_mov_b32 v[92:93], s[78:79], s[78:79] op_sel:[0,1]
	s_and_saveexec_b64 s[36:37], vcc
	s_cbranch_execz .LBB1251_714
; %bb.713:                              ;   in Loop: Header=BB1251_693 Depth=2
	s_waitcnt vmcnt(0)
	v_add_co_u32_e32 v68, vcc, 0x1000, v70
	v_addc_co_u32_e32 v69, vcc, 0, v71, vcc
	global_load_dwordx2 v[92:93], v[68:69], off
.LBB1251_714:                           ;   in Loop: Header=BB1251_693 Depth=2
	s_or_b64 exec, exec, s[36:37]
	v_cmp_gt_u32_e32 vcc, s69, v152
	s_waitcnt vmcnt(5)
	v_pk_mov_b32 v[88:89], s[78:79], s[78:79] op_sel:[0,1]
	s_and_saveexec_b64 s[36:37], vcc
	s_cbranch_execz .LBB1251_716
; %bb.715:                              ;   in Loop: Header=BB1251_693 Depth=2
	s_waitcnt vmcnt(0)
	v_add_co_u32_e32 v68, vcc, 0x1000, v70
	v_addc_co_u32_e32 v69, vcc, 0, v71, vcc
	global_load_dwordx2 v[88:89], v[68:69], off offset:512
.LBB1251_716:                           ;   in Loop: Header=BB1251_693 Depth=2
	s_or_b64 exec, exec, s[36:37]
	v_cmp_gt_u32_e32 vcc, s69, v153
	s_waitcnt vmcnt(4)
	v_pk_mov_b32 v[84:85], s[78:79], s[78:79] op_sel:[0,1]
	s_and_saveexec_b64 s[36:37], vcc
	s_cbranch_execz .LBB1251_718
; %bb.717:                              ;   in Loop: Header=BB1251_693 Depth=2
	s_waitcnt vmcnt(0)
	v_add_co_u32_e32 v68, vcc, 0x1000, v70
	v_addc_co_u32_e32 v69, vcc, 0, v71, vcc
	global_load_dwordx2 v[84:85], v[68:69], off offset:1024
.LBB1251_718:                           ;   in Loop: Header=BB1251_693 Depth=2
	;; [unrolled: 12-line block ×5, first 2 shown]
	s_or_b64 exec, exec, s[36:37]
	v_cmp_gt_u32_e32 vcc, s69, v157
	s_waitcnt vmcnt(0)
	v_pk_mov_b32 v[68:69], s[78:79], s[78:79] op_sel:[0,1]
	s_and_saveexec_b64 s[36:37], vcc
	s_cbranch_execz .LBB1251_726
; %bb.725:                              ;   in Loop: Header=BB1251_693 Depth=2
	v_add_co_u32_e32 v68, vcc, 0x1000, v70
	v_addc_co_u32_e32 v69, vcc, 0, v71, vcc
	global_load_dwordx2 v[68:69], v[68:69], off offset:3072
.LBB1251_726:                           ;   in Loop: Header=BB1251_693 Depth=2
	s_or_b64 exec, exec, s[36:37]
	s_sub_i32 s40, s94, s88
	v_cmp_gt_u32_e64 s[36:37], s69, v158
.LBB1251_727:                           ;   in Loop: Header=BB1251_693 Depth=2
	v_pk_mov_b32 v[70:71], s[78:79], s[78:79] op_sel:[0,1]
	v_mov_b32_e32 v183, s69
	s_and_saveexec_b64 s[38:39], s[36:37]
	s_cbranch_execz .LBB1251_729
; %bb.728:                              ;   in Loop: Header=BB1251_693 Depth=2
	s_lshl_b64 s[36:37], s[88:89], 3
	v_mov_b32_e32 v5, s37
	v_add_co_u32_e32 v70, vcc, s36, v170
	v_addc_co_u32_e32 v71, vcc, v173, v5, vcc
	global_load_dwordx2 v[70:71], v[70:71], off
	v_mov_b32_e32 v183, s40
.LBB1251_729:                           ;   in Loop: Header=BB1251_693 Depth=2
	s_or_b64 exec, exec, s[38:39]
	s_waitcnt vmcnt(14)
	v_cmp_lt_i64_e32 vcc, -1, v[64:65]
	v_cndmask_b32_e32 v5, -1, v133, vcc
	v_ashrrev_i32_e32 v96, 31, v65
	v_xor_b32_e32 v65, v5, v65
	v_xor_b32_e32 v64, v96, v64
	v_cmp_ne_u64_e32 vcc, s[78:79], v[64:65]
	v_cndmask_b32_e32 v97, v133, v65, vcc
	v_cndmask_b32_e32 v96, 0, v64, vcc
	v_lshrrev_b64 v[96:97], s84, v[96:97]
	v_add_u32_e32 v5, 0x410, v27
	v_and_b32_e32 v96, s68, v96
	ds_write2_b32 v5, v4, v4 offset1:1
	ds_write2_b32 v31, v4, v4 offset0:2 offset1:3
	ds_write_b32 v31, v4 offset:16
	v_mad_u32_u24 v5, v96, 5, v177
	v_lshl_add_u32 v184, v5, 2, v29
	v_and_b32_e32 v5, 1, v96
	v_add_co_u32_e32 v97, vcc, -1, v5
	v_addc_co_u32_e64 v98, s[36:37], 0, -1, vcc
	v_cmp_ne_u32_e32 vcc, 0, v5
	v_xor_b32_e32 v5, vcc_hi, v98
	v_and_b32_e32 v98, exec_hi, v5
	v_lshlrev_b32_e32 v5, 30, v96
	v_xor_b32_e32 v97, vcc_lo, v97
	v_cmp_gt_i64_e32 vcc, 0, v[4:5]
	v_not_b32_e32 v5, v5
	v_ashrrev_i32_e32 v5, 31, v5
	v_and_b32_e32 v97, exec_lo, v97
	v_xor_b32_e32 v99, vcc_hi, v5
	v_xor_b32_e32 v5, vcc_lo, v5
	v_and_b32_e32 v97, v97, v5
	v_lshlrev_b32_e32 v5, 29, v96
	v_cmp_gt_i64_e32 vcc, 0, v[4:5]
	v_not_b32_e32 v5, v5
	v_ashrrev_i32_e32 v5, 31, v5
	v_and_b32_e32 v98, v98, v99
	v_xor_b32_e32 v99, vcc_hi, v5
	v_xor_b32_e32 v5, vcc_lo, v5
	v_and_b32_e32 v97, v97, v5
	v_lshlrev_b32_e32 v5, 28, v96
	v_cmp_gt_i64_e32 vcc, 0, v[4:5]
	v_not_b32_e32 v5, v5
	v_ashrrev_i32_e32 v5, 31, v5
	v_and_b32_e32 v98, v98, v99
	;; [unrolled: 8-line block ×5, first 2 shown]
	v_xor_b32_e32 v99, vcc_hi, v5
	v_xor_b32_e32 v5, vcc_lo, v5
	v_and_b32_e32 v98, v98, v99
	v_and_b32_e32 v99, v97, v5
	v_lshlrev_b32_e32 v5, 24, v96
	v_cmp_gt_i64_e32 vcc, 0, v[4:5]
	v_not_b32_e32 v5, v5
	v_ashrrev_i32_e32 v5, 31, v5
	v_xor_b32_e32 v96, vcc_hi, v5
	v_xor_b32_e32 v5, vcc_lo, v5
	v_and_b32_e32 v97, v98, v96
	v_and_b32_e32 v96, v99, v5
	v_mbcnt_lo_u32_b32 v5, v96, 0
	v_mbcnt_hi_u32_b32 v185, v97, v5
	v_cmp_eq_u32_e32 vcc, 0, v185
	v_cmp_ne_u64_e64 s[36:37], 0, v[96:97]
	s_and_b64 s[38:39], s[36:37], vcc
	s_waitcnt lgkmcnt(0)
	s_barrier
	s_waitcnt lgkmcnt(0)
	; wave barrier
	s_and_saveexec_b64 s[36:37], s[38:39]
	s_cbranch_execz .LBB1251_731
; %bb.730:                              ;   in Loop: Header=BB1251_693 Depth=2
	v_bcnt_u32_b32 v5, v96, 0
	v_bcnt_u32_b32 v5, v97, v5
	ds_write_b32 v184, v5
.LBB1251_731:                           ;   in Loop: Header=BB1251_693 Depth=2
	s_or_b64 exec, exec, s[36:37]
	s_waitcnt vmcnt(13)
	v_cmp_lt_i64_e32 vcc, -1, v[66:67]
	v_cndmask_b32_e32 v5, -1, v133, vcc
	v_ashrrev_i32_e32 v96, 31, v67
	v_xor_b32_e32 v67, v5, v67
	v_xor_b32_e32 v66, v96, v66
	v_cmp_ne_u64_e32 vcc, s[78:79], v[66:67]
	v_cndmask_b32_e32 v97, v133, v67, vcc
	v_cndmask_b32_e32 v96, 0, v66, vcc
	v_lshrrev_b64 v[96:97], s84, v[96:97]
	v_and_b32_e32 v96, s68, v96
	v_mul_u32_u24_e32 v5, 5, v96
	v_add_lshl_u32 v5, v5, v177, 2
	; wave barrier
	v_add_u32_e32 v187, 0x410, v5
	ds_read_b32 v186, v5 offset:1040
	v_and_b32_e32 v5, 1, v96
	v_add_co_u32_e32 v97, vcc, -1, v5
	v_addc_co_u32_e64 v98, s[36:37], 0, -1, vcc
	v_cmp_ne_u32_e32 vcc, 0, v5
	v_xor_b32_e32 v5, vcc_hi, v98
	v_and_b32_e32 v98, exec_hi, v5
	v_lshlrev_b32_e32 v5, 30, v96
	v_xor_b32_e32 v97, vcc_lo, v97
	v_cmp_gt_i64_e32 vcc, 0, v[4:5]
	v_not_b32_e32 v5, v5
	v_ashrrev_i32_e32 v5, 31, v5
	v_and_b32_e32 v97, exec_lo, v97
	v_xor_b32_e32 v99, vcc_hi, v5
	v_xor_b32_e32 v5, vcc_lo, v5
	v_and_b32_e32 v97, v97, v5
	v_lshlrev_b32_e32 v5, 29, v96
	v_cmp_gt_i64_e32 vcc, 0, v[4:5]
	v_not_b32_e32 v5, v5
	v_ashrrev_i32_e32 v5, 31, v5
	v_and_b32_e32 v98, v98, v99
	v_xor_b32_e32 v99, vcc_hi, v5
	v_xor_b32_e32 v5, vcc_lo, v5
	v_and_b32_e32 v97, v97, v5
	v_lshlrev_b32_e32 v5, 28, v96
	v_cmp_gt_i64_e32 vcc, 0, v[4:5]
	v_not_b32_e32 v5, v5
	v_ashrrev_i32_e32 v5, 31, v5
	v_and_b32_e32 v98, v98, v99
	;; [unrolled: 8-line block ×5, first 2 shown]
	v_xor_b32_e32 v99, vcc_hi, v5
	v_xor_b32_e32 v5, vcc_lo, v5
	v_and_b32_e32 v98, v98, v99
	v_and_b32_e32 v99, v97, v5
	v_lshlrev_b32_e32 v5, 24, v96
	v_cmp_gt_i64_e32 vcc, 0, v[4:5]
	v_not_b32_e32 v5, v5
	v_ashrrev_i32_e32 v5, 31, v5
	v_xor_b32_e32 v96, vcc_hi, v5
	v_xor_b32_e32 v5, vcc_lo, v5
	v_and_b32_e32 v97, v98, v96
	v_and_b32_e32 v96, v99, v5
	v_mbcnt_lo_u32_b32 v5, v96, 0
	v_mbcnt_hi_u32_b32 v188, v97, v5
	v_cmp_eq_u32_e32 vcc, 0, v188
	v_cmp_ne_u64_e64 s[36:37], 0, v[96:97]
	s_and_b64 s[38:39], s[36:37], vcc
	; wave barrier
	s_and_saveexec_b64 s[36:37], s[38:39]
	s_cbranch_execz .LBB1251_733
; %bb.732:                              ;   in Loop: Header=BB1251_693 Depth=2
	v_bcnt_u32_b32 v5, v96, 0
	v_bcnt_u32_b32 v5, v97, v5
	s_waitcnt lgkmcnt(0)
	v_add_u32_e32 v5, v186, v5
	ds_write_b32 v187, v5
.LBB1251_733:                           ;   in Loop: Header=BB1251_693 Depth=2
	s_or_b64 exec, exec, s[36:37]
	s_waitcnt vmcnt(12)
	v_cmp_lt_i64_e32 vcc, -1, v[74:75]
	v_cndmask_b32_e32 v5, -1, v133, vcc
	v_ashrrev_i32_e32 v96, 31, v75
	v_xor_b32_e32 v75, v5, v75
	v_xor_b32_e32 v74, v96, v74
	v_cmp_ne_u64_e32 vcc, s[78:79], v[74:75]
	v_cndmask_b32_e32 v97, v133, v75, vcc
	v_cndmask_b32_e32 v96, 0, v74, vcc
	v_lshrrev_b64 v[96:97], s84, v[96:97]
	v_and_b32_e32 v96, s68, v96
	v_mul_u32_u24_e32 v5, 5, v96
	v_add_lshl_u32 v5, v5, v177, 2
	; wave barrier
	v_add_u32_e32 v190, 0x410, v5
	ds_read_b32 v189, v5 offset:1040
	v_and_b32_e32 v5, 1, v96
	v_add_co_u32_e32 v97, vcc, -1, v5
	v_addc_co_u32_e64 v98, s[36:37], 0, -1, vcc
	v_cmp_ne_u32_e32 vcc, 0, v5
	v_xor_b32_e32 v5, vcc_hi, v98
	v_and_b32_e32 v98, exec_hi, v5
	v_lshlrev_b32_e32 v5, 30, v96
	v_xor_b32_e32 v97, vcc_lo, v97
	v_cmp_gt_i64_e32 vcc, 0, v[4:5]
	v_not_b32_e32 v5, v5
	v_ashrrev_i32_e32 v5, 31, v5
	v_and_b32_e32 v97, exec_lo, v97
	v_xor_b32_e32 v99, vcc_hi, v5
	v_xor_b32_e32 v5, vcc_lo, v5
	v_and_b32_e32 v97, v97, v5
	v_lshlrev_b32_e32 v5, 29, v96
	v_cmp_gt_i64_e32 vcc, 0, v[4:5]
	v_not_b32_e32 v5, v5
	v_ashrrev_i32_e32 v5, 31, v5
	v_and_b32_e32 v98, v98, v99
	v_xor_b32_e32 v99, vcc_hi, v5
	v_xor_b32_e32 v5, vcc_lo, v5
	v_and_b32_e32 v97, v97, v5
	v_lshlrev_b32_e32 v5, 28, v96
	v_cmp_gt_i64_e32 vcc, 0, v[4:5]
	v_not_b32_e32 v5, v5
	v_ashrrev_i32_e32 v5, 31, v5
	v_and_b32_e32 v98, v98, v99
	;; [unrolled: 8-line block ×5, first 2 shown]
	v_xor_b32_e32 v99, vcc_hi, v5
	v_xor_b32_e32 v5, vcc_lo, v5
	v_and_b32_e32 v98, v98, v99
	v_and_b32_e32 v99, v97, v5
	v_lshlrev_b32_e32 v5, 24, v96
	v_cmp_gt_i64_e32 vcc, 0, v[4:5]
	v_not_b32_e32 v5, v5
	v_ashrrev_i32_e32 v5, 31, v5
	v_xor_b32_e32 v96, vcc_hi, v5
	v_xor_b32_e32 v5, vcc_lo, v5
	v_and_b32_e32 v97, v98, v96
	v_and_b32_e32 v96, v99, v5
	v_mbcnt_lo_u32_b32 v5, v96, 0
	v_mbcnt_hi_u32_b32 v191, v97, v5
	v_cmp_eq_u32_e32 vcc, 0, v191
	v_cmp_ne_u64_e64 s[36:37], 0, v[96:97]
	s_and_b64 s[38:39], s[36:37], vcc
	; wave barrier
	s_and_saveexec_b64 s[36:37], s[38:39]
	s_cbranch_execz .LBB1251_735
; %bb.734:                              ;   in Loop: Header=BB1251_693 Depth=2
	v_bcnt_u32_b32 v5, v96, 0
	v_bcnt_u32_b32 v5, v97, v5
	s_waitcnt lgkmcnt(0)
	v_add_u32_e32 v5, v189, v5
	ds_write_b32 v190, v5
.LBB1251_735:                           ;   in Loop: Header=BB1251_693 Depth=2
	s_or_b64 exec, exec, s[36:37]
	s_waitcnt vmcnt(11)
	v_cmp_lt_i64_e32 vcc, -1, v[78:79]
	v_cndmask_b32_e32 v5, -1, v133, vcc
	v_ashrrev_i32_e32 v96, 31, v79
	v_xor_b32_e32 v79, v5, v79
	v_xor_b32_e32 v78, v96, v78
	v_cmp_ne_u64_e32 vcc, s[78:79], v[78:79]
	v_cndmask_b32_e32 v97, v133, v79, vcc
	v_cndmask_b32_e32 v96, 0, v78, vcc
	v_lshrrev_b64 v[96:97], s84, v[96:97]
	v_and_b32_e32 v96, s68, v96
	v_mul_u32_u24_e32 v5, 5, v96
	v_add_lshl_u32 v5, v5, v177, 2
	; wave barrier
	v_add_u32_e32 v193, 0x410, v5
	ds_read_b32 v192, v5 offset:1040
	v_and_b32_e32 v5, 1, v96
	v_add_co_u32_e32 v97, vcc, -1, v5
	v_addc_co_u32_e64 v98, s[36:37], 0, -1, vcc
	v_cmp_ne_u32_e32 vcc, 0, v5
	v_xor_b32_e32 v5, vcc_hi, v98
	v_and_b32_e32 v98, exec_hi, v5
	v_lshlrev_b32_e32 v5, 30, v96
	v_xor_b32_e32 v97, vcc_lo, v97
	v_cmp_gt_i64_e32 vcc, 0, v[4:5]
	v_not_b32_e32 v5, v5
	v_ashrrev_i32_e32 v5, 31, v5
	v_and_b32_e32 v97, exec_lo, v97
	v_xor_b32_e32 v99, vcc_hi, v5
	v_xor_b32_e32 v5, vcc_lo, v5
	v_and_b32_e32 v97, v97, v5
	v_lshlrev_b32_e32 v5, 29, v96
	v_cmp_gt_i64_e32 vcc, 0, v[4:5]
	v_not_b32_e32 v5, v5
	v_ashrrev_i32_e32 v5, 31, v5
	v_and_b32_e32 v98, v98, v99
	v_xor_b32_e32 v99, vcc_hi, v5
	v_xor_b32_e32 v5, vcc_lo, v5
	v_and_b32_e32 v97, v97, v5
	v_lshlrev_b32_e32 v5, 28, v96
	v_cmp_gt_i64_e32 vcc, 0, v[4:5]
	v_not_b32_e32 v5, v5
	v_ashrrev_i32_e32 v5, 31, v5
	v_and_b32_e32 v98, v98, v99
	;; [unrolled: 8-line block ×5, first 2 shown]
	v_xor_b32_e32 v99, vcc_hi, v5
	v_xor_b32_e32 v5, vcc_lo, v5
	v_and_b32_e32 v98, v98, v99
	v_and_b32_e32 v99, v97, v5
	v_lshlrev_b32_e32 v5, 24, v96
	v_cmp_gt_i64_e32 vcc, 0, v[4:5]
	v_not_b32_e32 v5, v5
	v_ashrrev_i32_e32 v5, 31, v5
	v_xor_b32_e32 v96, vcc_hi, v5
	v_xor_b32_e32 v5, vcc_lo, v5
	v_and_b32_e32 v97, v98, v96
	v_and_b32_e32 v96, v99, v5
	v_mbcnt_lo_u32_b32 v5, v96, 0
	v_mbcnt_hi_u32_b32 v194, v97, v5
	v_cmp_eq_u32_e32 vcc, 0, v194
	v_cmp_ne_u64_e64 s[36:37], 0, v[96:97]
	s_and_b64 s[38:39], s[36:37], vcc
	; wave barrier
	s_and_saveexec_b64 s[36:37], s[38:39]
	s_cbranch_execz .LBB1251_737
; %bb.736:                              ;   in Loop: Header=BB1251_693 Depth=2
	v_bcnt_u32_b32 v5, v96, 0
	v_bcnt_u32_b32 v5, v97, v5
	s_waitcnt lgkmcnt(0)
	v_add_u32_e32 v5, v192, v5
	ds_write_b32 v193, v5
.LBB1251_737:                           ;   in Loop: Header=BB1251_693 Depth=2
	s_or_b64 exec, exec, s[36:37]
	s_waitcnt vmcnt(10)
	v_cmp_lt_i64_e32 vcc, -1, v[82:83]
	v_cndmask_b32_e32 v5, -1, v133, vcc
	v_ashrrev_i32_e32 v96, 31, v83
	v_xor_b32_e32 v83, v5, v83
	v_xor_b32_e32 v82, v96, v82
	v_cmp_ne_u64_e32 vcc, s[78:79], v[82:83]
	v_cndmask_b32_e32 v97, v133, v83, vcc
	v_cndmask_b32_e32 v96, 0, v82, vcc
	v_lshrrev_b64 v[96:97], s84, v[96:97]
	v_and_b32_e32 v96, s68, v96
	v_mul_u32_u24_e32 v5, 5, v96
	v_add_lshl_u32 v5, v5, v177, 2
	; wave barrier
	v_add_u32_e32 v196, 0x410, v5
	ds_read_b32 v195, v5 offset:1040
	v_and_b32_e32 v5, 1, v96
	v_add_co_u32_e32 v97, vcc, -1, v5
	v_addc_co_u32_e64 v98, s[36:37], 0, -1, vcc
	v_cmp_ne_u32_e32 vcc, 0, v5
	v_xor_b32_e32 v5, vcc_hi, v98
	v_and_b32_e32 v98, exec_hi, v5
	v_lshlrev_b32_e32 v5, 30, v96
	v_xor_b32_e32 v97, vcc_lo, v97
	v_cmp_gt_i64_e32 vcc, 0, v[4:5]
	v_not_b32_e32 v5, v5
	v_ashrrev_i32_e32 v5, 31, v5
	v_and_b32_e32 v97, exec_lo, v97
	v_xor_b32_e32 v99, vcc_hi, v5
	v_xor_b32_e32 v5, vcc_lo, v5
	v_and_b32_e32 v97, v97, v5
	v_lshlrev_b32_e32 v5, 29, v96
	v_cmp_gt_i64_e32 vcc, 0, v[4:5]
	v_not_b32_e32 v5, v5
	v_ashrrev_i32_e32 v5, 31, v5
	v_and_b32_e32 v98, v98, v99
	v_xor_b32_e32 v99, vcc_hi, v5
	v_xor_b32_e32 v5, vcc_lo, v5
	v_and_b32_e32 v97, v97, v5
	v_lshlrev_b32_e32 v5, 28, v96
	v_cmp_gt_i64_e32 vcc, 0, v[4:5]
	v_not_b32_e32 v5, v5
	v_ashrrev_i32_e32 v5, 31, v5
	v_and_b32_e32 v98, v98, v99
	;; [unrolled: 8-line block ×5, first 2 shown]
	v_xor_b32_e32 v99, vcc_hi, v5
	v_xor_b32_e32 v5, vcc_lo, v5
	v_and_b32_e32 v98, v98, v99
	v_and_b32_e32 v99, v97, v5
	v_lshlrev_b32_e32 v5, 24, v96
	v_cmp_gt_i64_e32 vcc, 0, v[4:5]
	v_not_b32_e32 v5, v5
	v_ashrrev_i32_e32 v5, 31, v5
	v_xor_b32_e32 v96, vcc_hi, v5
	v_xor_b32_e32 v5, vcc_lo, v5
	v_and_b32_e32 v97, v98, v96
	v_and_b32_e32 v96, v99, v5
	v_mbcnt_lo_u32_b32 v5, v96, 0
	v_mbcnt_hi_u32_b32 v197, v97, v5
	v_cmp_eq_u32_e32 vcc, 0, v197
	v_cmp_ne_u64_e64 s[36:37], 0, v[96:97]
	s_and_b64 s[38:39], s[36:37], vcc
	; wave barrier
	s_and_saveexec_b64 s[36:37], s[38:39]
	s_cbranch_execz .LBB1251_739
; %bb.738:                              ;   in Loop: Header=BB1251_693 Depth=2
	v_bcnt_u32_b32 v5, v96, 0
	v_bcnt_u32_b32 v5, v97, v5
	s_waitcnt lgkmcnt(0)
	v_add_u32_e32 v5, v195, v5
	ds_write_b32 v196, v5
.LBB1251_739:                           ;   in Loop: Header=BB1251_693 Depth=2
	s_or_b64 exec, exec, s[36:37]
	s_waitcnt vmcnt(9)
	v_cmp_lt_i64_e32 vcc, -1, v[86:87]
	v_cndmask_b32_e32 v5, -1, v133, vcc
	v_ashrrev_i32_e32 v96, 31, v87
	v_xor_b32_e32 v87, v5, v87
	v_xor_b32_e32 v86, v96, v86
	v_cmp_ne_u64_e32 vcc, s[78:79], v[86:87]
	v_cndmask_b32_e32 v97, v133, v87, vcc
	v_cndmask_b32_e32 v96, 0, v86, vcc
	v_lshrrev_b64 v[96:97], s84, v[96:97]
	v_and_b32_e32 v96, s68, v96
	v_mul_u32_u24_e32 v5, 5, v96
	v_add_lshl_u32 v5, v5, v177, 2
	; wave barrier
	v_add_u32_e32 v199, 0x410, v5
	ds_read_b32 v198, v5 offset:1040
	v_and_b32_e32 v5, 1, v96
	v_add_co_u32_e32 v97, vcc, -1, v5
	v_addc_co_u32_e64 v98, s[36:37], 0, -1, vcc
	v_cmp_ne_u32_e32 vcc, 0, v5
	v_xor_b32_e32 v5, vcc_hi, v98
	v_and_b32_e32 v98, exec_hi, v5
	v_lshlrev_b32_e32 v5, 30, v96
	v_xor_b32_e32 v97, vcc_lo, v97
	v_cmp_gt_i64_e32 vcc, 0, v[4:5]
	v_not_b32_e32 v5, v5
	v_ashrrev_i32_e32 v5, 31, v5
	v_and_b32_e32 v97, exec_lo, v97
	v_xor_b32_e32 v99, vcc_hi, v5
	v_xor_b32_e32 v5, vcc_lo, v5
	v_and_b32_e32 v97, v97, v5
	v_lshlrev_b32_e32 v5, 29, v96
	v_cmp_gt_i64_e32 vcc, 0, v[4:5]
	v_not_b32_e32 v5, v5
	v_ashrrev_i32_e32 v5, 31, v5
	v_and_b32_e32 v98, v98, v99
	v_xor_b32_e32 v99, vcc_hi, v5
	v_xor_b32_e32 v5, vcc_lo, v5
	v_and_b32_e32 v97, v97, v5
	v_lshlrev_b32_e32 v5, 28, v96
	v_cmp_gt_i64_e32 vcc, 0, v[4:5]
	v_not_b32_e32 v5, v5
	v_ashrrev_i32_e32 v5, 31, v5
	v_and_b32_e32 v98, v98, v99
	;; [unrolled: 8-line block ×5, first 2 shown]
	v_xor_b32_e32 v99, vcc_hi, v5
	v_xor_b32_e32 v5, vcc_lo, v5
	v_and_b32_e32 v98, v98, v99
	v_and_b32_e32 v99, v97, v5
	v_lshlrev_b32_e32 v5, 24, v96
	v_cmp_gt_i64_e32 vcc, 0, v[4:5]
	v_not_b32_e32 v5, v5
	v_ashrrev_i32_e32 v5, 31, v5
	v_xor_b32_e32 v96, vcc_hi, v5
	v_xor_b32_e32 v5, vcc_lo, v5
	v_and_b32_e32 v97, v98, v96
	v_and_b32_e32 v96, v99, v5
	v_mbcnt_lo_u32_b32 v5, v96, 0
	v_mbcnt_hi_u32_b32 v200, v97, v5
	v_cmp_eq_u32_e32 vcc, 0, v200
	v_cmp_ne_u64_e64 s[36:37], 0, v[96:97]
	s_and_b64 s[38:39], s[36:37], vcc
	; wave barrier
	s_and_saveexec_b64 s[36:37], s[38:39]
	s_cbranch_execz .LBB1251_741
; %bb.740:                              ;   in Loop: Header=BB1251_693 Depth=2
	v_bcnt_u32_b32 v5, v96, 0
	v_bcnt_u32_b32 v5, v97, v5
	s_waitcnt lgkmcnt(0)
	v_add_u32_e32 v5, v198, v5
	ds_write_b32 v199, v5
.LBB1251_741:                           ;   in Loop: Header=BB1251_693 Depth=2
	s_or_b64 exec, exec, s[36:37]
	s_waitcnt vmcnt(8)
	v_cmp_lt_i64_e32 vcc, -1, v[90:91]
	v_cndmask_b32_e32 v5, -1, v133, vcc
	v_ashrrev_i32_e32 v96, 31, v91
	v_xor_b32_e32 v91, v5, v91
	v_xor_b32_e32 v90, v96, v90
	v_cmp_ne_u64_e32 vcc, s[78:79], v[90:91]
	v_cndmask_b32_e32 v97, v133, v91, vcc
	v_cndmask_b32_e32 v96, 0, v90, vcc
	v_lshrrev_b64 v[96:97], s84, v[96:97]
	v_and_b32_e32 v96, s68, v96
	v_mul_u32_u24_e32 v5, 5, v96
	v_add_lshl_u32 v5, v5, v177, 2
	; wave barrier
	v_add_u32_e32 v202, 0x410, v5
	ds_read_b32 v201, v5 offset:1040
	v_and_b32_e32 v5, 1, v96
	v_add_co_u32_e32 v97, vcc, -1, v5
	v_addc_co_u32_e64 v98, s[36:37], 0, -1, vcc
	v_cmp_ne_u32_e32 vcc, 0, v5
	v_xor_b32_e32 v5, vcc_hi, v98
	v_and_b32_e32 v98, exec_hi, v5
	v_lshlrev_b32_e32 v5, 30, v96
	v_xor_b32_e32 v97, vcc_lo, v97
	v_cmp_gt_i64_e32 vcc, 0, v[4:5]
	v_not_b32_e32 v5, v5
	v_ashrrev_i32_e32 v5, 31, v5
	v_and_b32_e32 v97, exec_lo, v97
	v_xor_b32_e32 v99, vcc_hi, v5
	v_xor_b32_e32 v5, vcc_lo, v5
	v_and_b32_e32 v97, v97, v5
	v_lshlrev_b32_e32 v5, 29, v96
	v_cmp_gt_i64_e32 vcc, 0, v[4:5]
	v_not_b32_e32 v5, v5
	v_ashrrev_i32_e32 v5, 31, v5
	v_and_b32_e32 v98, v98, v99
	v_xor_b32_e32 v99, vcc_hi, v5
	v_xor_b32_e32 v5, vcc_lo, v5
	v_and_b32_e32 v97, v97, v5
	v_lshlrev_b32_e32 v5, 28, v96
	v_cmp_gt_i64_e32 vcc, 0, v[4:5]
	v_not_b32_e32 v5, v5
	v_ashrrev_i32_e32 v5, 31, v5
	v_and_b32_e32 v98, v98, v99
	;; [unrolled: 8-line block ×5, first 2 shown]
	v_xor_b32_e32 v99, vcc_hi, v5
	v_xor_b32_e32 v5, vcc_lo, v5
	v_and_b32_e32 v98, v98, v99
	v_and_b32_e32 v99, v97, v5
	v_lshlrev_b32_e32 v5, 24, v96
	v_cmp_gt_i64_e32 vcc, 0, v[4:5]
	v_not_b32_e32 v5, v5
	v_ashrrev_i32_e32 v5, 31, v5
	v_xor_b32_e32 v96, vcc_hi, v5
	v_xor_b32_e32 v5, vcc_lo, v5
	v_and_b32_e32 v97, v98, v96
	v_and_b32_e32 v96, v99, v5
	v_mbcnt_lo_u32_b32 v5, v96, 0
	v_mbcnt_hi_u32_b32 v203, v97, v5
	v_cmp_eq_u32_e32 vcc, 0, v203
	v_cmp_ne_u64_e64 s[36:37], 0, v[96:97]
	s_and_b64 s[38:39], s[36:37], vcc
	; wave barrier
	s_and_saveexec_b64 s[36:37], s[38:39]
	s_cbranch_execz .LBB1251_743
; %bb.742:                              ;   in Loop: Header=BB1251_693 Depth=2
	v_bcnt_u32_b32 v5, v96, 0
	v_bcnt_u32_b32 v5, v97, v5
	s_waitcnt lgkmcnt(0)
	v_add_u32_e32 v5, v201, v5
	ds_write_b32 v202, v5
.LBB1251_743:                           ;   in Loop: Header=BB1251_693 Depth=2
	s_or_b64 exec, exec, s[36:37]
	s_waitcnt vmcnt(7)
	v_cmp_lt_i64_e32 vcc, -1, v[94:95]
	v_cndmask_b32_e32 v5, -1, v133, vcc
	v_ashrrev_i32_e32 v96, 31, v95
	v_xor_b32_e32 v95, v5, v95
	v_xor_b32_e32 v94, v96, v94
	v_cmp_ne_u64_e32 vcc, s[78:79], v[94:95]
	v_cndmask_b32_e32 v97, v133, v95, vcc
	v_cndmask_b32_e32 v96, 0, v94, vcc
	v_lshrrev_b64 v[96:97], s84, v[96:97]
	v_and_b32_e32 v96, s68, v96
	v_mul_u32_u24_e32 v5, 5, v96
	v_add_lshl_u32 v5, v5, v177, 2
	; wave barrier
	v_add_u32_e32 v205, 0x410, v5
	ds_read_b32 v204, v5 offset:1040
	v_and_b32_e32 v5, 1, v96
	v_add_co_u32_e32 v97, vcc, -1, v5
	v_addc_co_u32_e64 v98, s[36:37], 0, -1, vcc
	v_cmp_ne_u32_e32 vcc, 0, v5
	v_xor_b32_e32 v5, vcc_hi, v98
	v_and_b32_e32 v98, exec_hi, v5
	v_lshlrev_b32_e32 v5, 30, v96
	v_xor_b32_e32 v97, vcc_lo, v97
	v_cmp_gt_i64_e32 vcc, 0, v[4:5]
	v_not_b32_e32 v5, v5
	v_ashrrev_i32_e32 v5, 31, v5
	v_and_b32_e32 v97, exec_lo, v97
	v_xor_b32_e32 v99, vcc_hi, v5
	v_xor_b32_e32 v5, vcc_lo, v5
	v_and_b32_e32 v97, v97, v5
	v_lshlrev_b32_e32 v5, 29, v96
	v_cmp_gt_i64_e32 vcc, 0, v[4:5]
	v_not_b32_e32 v5, v5
	v_ashrrev_i32_e32 v5, 31, v5
	v_and_b32_e32 v98, v98, v99
	v_xor_b32_e32 v99, vcc_hi, v5
	v_xor_b32_e32 v5, vcc_lo, v5
	v_and_b32_e32 v97, v97, v5
	v_lshlrev_b32_e32 v5, 28, v96
	v_cmp_gt_i64_e32 vcc, 0, v[4:5]
	v_not_b32_e32 v5, v5
	v_ashrrev_i32_e32 v5, 31, v5
	v_and_b32_e32 v98, v98, v99
	;; [unrolled: 8-line block ×5, first 2 shown]
	v_xor_b32_e32 v99, vcc_hi, v5
	v_xor_b32_e32 v5, vcc_lo, v5
	v_and_b32_e32 v98, v98, v99
	v_and_b32_e32 v99, v97, v5
	v_lshlrev_b32_e32 v5, 24, v96
	v_cmp_gt_i64_e32 vcc, 0, v[4:5]
	v_not_b32_e32 v5, v5
	v_ashrrev_i32_e32 v5, 31, v5
	v_xor_b32_e32 v96, vcc_hi, v5
	v_xor_b32_e32 v5, vcc_lo, v5
	v_and_b32_e32 v97, v98, v96
	v_and_b32_e32 v96, v99, v5
	v_mbcnt_lo_u32_b32 v5, v96, 0
	v_mbcnt_hi_u32_b32 v206, v97, v5
	v_cmp_eq_u32_e32 vcc, 0, v206
	v_cmp_ne_u64_e64 s[36:37], 0, v[96:97]
	s_and_b64 s[38:39], s[36:37], vcc
	; wave barrier
	s_and_saveexec_b64 s[36:37], s[38:39]
	s_cbranch_execz .LBB1251_745
; %bb.744:                              ;   in Loop: Header=BB1251_693 Depth=2
	v_bcnt_u32_b32 v5, v96, 0
	v_bcnt_u32_b32 v5, v97, v5
	s_waitcnt lgkmcnt(0)
	v_add_u32_e32 v5, v204, v5
	ds_write_b32 v205, v5
.LBB1251_745:                           ;   in Loop: Header=BB1251_693 Depth=2
	s_or_b64 exec, exec, s[36:37]
	s_waitcnt vmcnt(6)
	v_cmp_lt_i64_e32 vcc, -1, v[92:93]
	v_cndmask_b32_e32 v5, -1, v133, vcc
	v_ashrrev_i32_e32 v96, 31, v93
	v_xor_b32_e32 v93, v5, v93
	v_xor_b32_e32 v92, v96, v92
	v_cmp_ne_u64_e32 vcc, s[78:79], v[92:93]
	v_cndmask_b32_e32 v97, v133, v93, vcc
	v_cndmask_b32_e32 v96, 0, v92, vcc
	v_lshrrev_b64 v[96:97], s84, v[96:97]
	v_and_b32_e32 v96, s68, v96
	v_mul_u32_u24_e32 v5, 5, v96
	v_add_lshl_u32 v5, v5, v177, 2
	; wave barrier
	v_add_u32_e32 v208, 0x410, v5
	ds_read_b32 v207, v5 offset:1040
	v_and_b32_e32 v5, 1, v96
	v_add_co_u32_e32 v97, vcc, -1, v5
	v_addc_co_u32_e64 v98, s[36:37], 0, -1, vcc
	v_cmp_ne_u32_e32 vcc, 0, v5
	v_xor_b32_e32 v5, vcc_hi, v98
	v_and_b32_e32 v98, exec_hi, v5
	v_lshlrev_b32_e32 v5, 30, v96
	v_xor_b32_e32 v97, vcc_lo, v97
	v_cmp_gt_i64_e32 vcc, 0, v[4:5]
	v_not_b32_e32 v5, v5
	v_ashrrev_i32_e32 v5, 31, v5
	v_and_b32_e32 v97, exec_lo, v97
	v_xor_b32_e32 v99, vcc_hi, v5
	v_xor_b32_e32 v5, vcc_lo, v5
	v_and_b32_e32 v97, v97, v5
	v_lshlrev_b32_e32 v5, 29, v96
	v_cmp_gt_i64_e32 vcc, 0, v[4:5]
	v_not_b32_e32 v5, v5
	v_ashrrev_i32_e32 v5, 31, v5
	v_and_b32_e32 v98, v98, v99
	v_xor_b32_e32 v99, vcc_hi, v5
	v_xor_b32_e32 v5, vcc_lo, v5
	v_and_b32_e32 v97, v97, v5
	v_lshlrev_b32_e32 v5, 28, v96
	v_cmp_gt_i64_e32 vcc, 0, v[4:5]
	v_not_b32_e32 v5, v5
	v_ashrrev_i32_e32 v5, 31, v5
	v_and_b32_e32 v98, v98, v99
	;; [unrolled: 8-line block ×5, first 2 shown]
	v_xor_b32_e32 v99, vcc_hi, v5
	v_xor_b32_e32 v5, vcc_lo, v5
	v_and_b32_e32 v98, v98, v99
	v_and_b32_e32 v99, v97, v5
	v_lshlrev_b32_e32 v5, 24, v96
	v_cmp_gt_i64_e32 vcc, 0, v[4:5]
	v_not_b32_e32 v5, v5
	v_ashrrev_i32_e32 v5, 31, v5
	v_xor_b32_e32 v96, vcc_hi, v5
	v_xor_b32_e32 v5, vcc_lo, v5
	v_and_b32_e32 v97, v98, v96
	v_and_b32_e32 v96, v99, v5
	v_mbcnt_lo_u32_b32 v5, v96, 0
	v_mbcnt_hi_u32_b32 v209, v97, v5
	v_cmp_eq_u32_e32 vcc, 0, v209
	v_cmp_ne_u64_e64 s[36:37], 0, v[96:97]
	s_and_b64 s[38:39], s[36:37], vcc
	; wave barrier
	s_and_saveexec_b64 s[36:37], s[38:39]
	s_cbranch_execz .LBB1251_747
; %bb.746:                              ;   in Loop: Header=BB1251_693 Depth=2
	v_bcnt_u32_b32 v5, v96, 0
	v_bcnt_u32_b32 v5, v97, v5
	s_waitcnt lgkmcnt(0)
	v_add_u32_e32 v5, v207, v5
	ds_write_b32 v208, v5
.LBB1251_747:                           ;   in Loop: Header=BB1251_693 Depth=2
	s_or_b64 exec, exec, s[36:37]
	s_waitcnt vmcnt(5)
	v_cmp_lt_i64_e32 vcc, -1, v[88:89]
	v_cndmask_b32_e32 v5, -1, v133, vcc
	v_ashrrev_i32_e32 v96, 31, v89
	v_xor_b32_e32 v89, v5, v89
	v_xor_b32_e32 v88, v96, v88
	v_cmp_ne_u64_e32 vcc, s[78:79], v[88:89]
	v_cndmask_b32_e32 v97, v133, v89, vcc
	v_cndmask_b32_e32 v96, 0, v88, vcc
	v_lshrrev_b64 v[96:97], s84, v[96:97]
	v_and_b32_e32 v96, s68, v96
	v_mul_u32_u24_e32 v5, 5, v96
	v_add_lshl_u32 v5, v5, v177, 2
	; wave barrier
	v_add_u32_e32 v211, 0x410, v5
	ds_read_b32 v210, v5 offset:1040
	v_and_b32_e32 v5, 1, v96
	v_add_co_u32_e32 v97, vcc, -1, v5
	v_addc_co_u32_e64 v98, s[36:37], 0, -1, vcc
	v_cmp_ne_u32_e32 vcc, 0, v5
	v_xor_b32_e32 v5, vcc_hi, v98
	v_and_b32_e32 v98, exec_hi, v5
	v_lshlrev_b32_e32 v5, 30, v96
	v_xor_b32_e32 v97, vcc_lo, v97
	v_cmp_gt_i64_e32 vcc, 0, v[4:5]
	v_not_b32_e32 v5, v5
	v_ashrrev_i32_e32 v5, 31, v5
	v_and_b32_e32 v97, exec_lo, v97
	v_xor_b32_e32 v99, vcc_hi, v5
	v_xor_b32_e32 v5, vcc_lo, v5
	v_and_b32_e32 v97, v97, v5
	v_lshlrev_b32_e32 v5, 29, v96
	v_cmp_gt_i64_e32 vcc, 0, v[4:5]
	v_not_b32_e32 v5, v5
	v_ashrrev_i32_e32 v5, 31, v5
	v_and_b32_e32 v98, v98, v99
	v_xor_b32_e32 v99, vcc_hi, v5
	v_xor_b32_e32 v5, vcc_lo, v5
	v_and_b32_e32 v97, v97, v5
	v_lshlrev_b32_e32 v5, 28, v96
	v_cmp_gt_i64_e32 vcc, 0, v[4:5]
	v_not_b32_e32 v5, v5
	v_ashrrev_i32_e32 v5, 31, v5
	v_and_b32_e32 v98, v98, v99
	;; [unrolled: 8-line block ×5, first 2 shown]
	v_xor_b32_e32 v99, vcc_hi, v5
	v_xor_b32_e32 v5, vcc_lo, v5
	v_and_b32_e32 v98, v98, v99
	v_and_b32_e32 v99, v97, v5
	v_lshlrev_b32_e32 v5, 24, v96
	v_cmp_gt_i64_e32 vcc, 0, v[4:5]
	v_not_b32_e32 v5, v5
	v_ashrrev_i32_e32 v5, 31, v5
	v_xor_b32_e32 v96, vcc_hi, v5
	v_xor_b32_e32 v5, vcc_lo, v5
	v_and_b32_e32 v97, v98, v96
	v_and_b32_e32 v96, v99, v5
	v_mbcnt_lo_u32_b32 v5, v96, 0
	v_mbcnt_hi_u32_b32 v212, v97, v5
	v_cmp_eq_u32_e32 vcc, 0, v212
	v_cmp_ne_u64_e64 s[36:37], 0, v[96:97]
	s_and_b64 s[38:39], s[36:37], vcc
	; wave barrier
	s_and_saveexec_b64 s[36:37], s[38:39]
	s_cbranch_execz .LBB1251_749
; %bb.748:                              ;   in Loop: Header=BB1251_693 Depth=2
	v_bcnt_u32_b32 v5, v96, 0
	v_bcnt_u32_b32 v5, v97, v5
	s_waitcnt lgkmcnt(0)
	v_add_u32_e32 v5, v210, v5
	ds_write_b32 v211, v5
.LBB1251_749:                           ;   in Loop: Header=BB1251_693 Depth=2
	s_or_b64 exec, exec, s[36:37]
	s_waitcnt vmcnt(4)
	v_cmp_lt_i64_e32 vcc, -1, v[84:85]
	v_cndmask_b32_e32 v5, -1, v133, vcc
	v_ashrrev_i32_e32 v96, 31, v85
	v_xor_b32_e32 v85, v5, v85
	v_xor_b32_e32 v84, v96, v84
	v_cmp_ne_u64_e32 vcc, s[78:79], v[84:85]
	v_cndmask_b32_e32 v97, v133, v85, vcc
	v_cndmask_b32_e32 v96, 0, v84, vcc
	v_lshrrev_b64 v[96:97], s84, v[96:97]
	v_and_b32_e32 v96, s68, v96
	v_mul_u32_u24_e32 v5, 5, v96
	v_add_lshl_u32 v5, v5, v177, 2
	; wave barrier
	v_add_u32_e32 v214, 0x410, v5
	ds_read_b32 v213, v5 offset:1040
	v_and_b32_e32 v5, 1, v96
	v_add_co_u32_e32 v97, vcc, -1, v5
	v_addc_co_u32_e64 v98, s[36:37], 0, -1, vcc
	v_cmp_ne_u32_e32 vcc, 0, v5
	v_xor_b32_e32 v5, vcc_hi, v98
	v_and_b32_e32 v98, exec_hi, v5
	v_lshlrev_b32_e32 v5, 30, v96
	v_xor_b32_e32 v97, vcc_lo, v97
	v_cmp_gt_i64_e32 vcc, 0, v[4:5]
	v_not_b32_e32 v5, v5
	v_ashrrev_i32_e32 v5, 31, v5
	v_and_b32_e32 v97, exec_lo, v97
	v_xor_b32_e32 v99, vcc_hi, v5
	v_xor_b32_e32 v5, vcc_lo, v5
	v_and_b32_e32 v97, v97, v5
	v_lshlrev_b32_e32 v5, 29, v96
	v_cmp_gt_i64_e32 vcc, 0, v[4:5]
	v_not_b32_e32 v5, v5
	v_ashrrev_i32_e32 v5, 31, v5
	v_and_b32_e32 v98, v98, v99
	v_xor_b32_e32 v99, vcc_hi, v5
	v_xor_b32_e32 v5, vcc_lo, v5
	v_and_b32_e32 v97, v97, v5
	v_lshlrev_b32_e32 v5, 28, v96
	v_cmp_gt_i64_e32 vcc, 0, v[4:5]
	v_not_b32_e32 v5, v5
	v_ashrrev_i32_e32 v5, 31, v5
	v_and_b32_e32 v98, v98, v99
	v_xor_b32_e32 v99, vcc_hi, v5
	v_xor_b32_e32 v5, vcc_lo, v5
	v_and_b32_e32 v97, v97, v5
	v_lshlrev_b32_e32 v5, 27, v96
	v_cmp_gt_i64_e32 vcc, 0, v[4:5]
	v_not_b32_e32 v5, v5
	v_ashrrev_i32_e32 v5, 31, v5
	v_and_b32_e32 v98, v98, v99
	v_xor_b32_e32 v99, vcc_hi, v5
	v_xor_b32_e32 v5, vcc_lo, v5
	v_and_b32_e32 v97, v97, v5
	v_lshlrev_b32_e32 v5, 26, v96
	v_cmp_gt_i64_e32 vcc, 0, v[4:5]
	v_not_b32_e32 v5, v5
	v_ashrrev_i32_e32 v5, 31, v5
	v_and_b32_e32 v98, v98, v99
	v_xor_b32_e32 v99, vcc_hi, v5
	v_xor_b32_e32 v5, vcc_lo, v5
	v_and_b32_e32 v97, v97, v5
	v_lshlrev_b32_e32 v5, 25, v96
	v_cmp_gt_i64_e32 vcc, 0, v[4:5]
	v_not_b32_e32 v5, v5
	v_ashrrev_i32_e32 v5, 31, v5
	v_and_b32_e32 v98, v98, v99
	v_xor_b32_e32 v99, vcc_hi, v5
	v_xor_b32_e32 v5, vcc_lo, v5
	v_and_b32_e32 v98, v98, v99
	v_and_b32_e32 v99, v97, v5
	v_lshlrev_b32_e32 v5, 24, v96
	v_cmp_gt_i64_e32 vcc, 0, v[4:5]
	v_not_b32_e32 v5, v5
	v_ashrrev_i32_e32 v5, 31, v5
	v_xor_b32_e32 v96, vcc_hi, v5
	v_xor_b32_e32 v5, vcc_lo, v5
	v_and_b32_e32 v97, v98, v96
	v_and_b32_e32 v96, v99, v5
	v_mbcnt_lo_u32_b32 v5, v96, 0
	v_mbcnt_hi_u32_b32 v215, v97, v5
	v_cmp_eq_u32_e32 vcc, 0, v215
	v_cmp_ne_u64_e64 s[36:37], 0, v[96:97]
	s_and_b64 s[38:39], s[36:37], vcc
	; wave barrier
	s_and_saveexec_b64 s[36:37], s[38:39]
	s_cbranch_execz .LBB1251_751
; %bb.750:                              ;   in Loop: Header=BB1251_693 Depth=2
	v_bcnt_u32_b32 v5, v96, 0
	v_bcnt_u32_b32 v5, v97, v5
	s_waitcnt lgkmcnt(0)
	v_add_u32_e32 v5, v213, v5
	ds_write_b32 v214, v5
.LBB1251_751:                           ;   in Loop: Header=BB1251_693 Depth=2
	s_or_b64 exec, exec, s[36:37]
	s_waitcnt vmcnt(3)
	v_cmp_lt_i64_e32 vcc, -1, v[80:81]
	v_cndmask_b32_e32 v5, -1, v133, vcc
	v_ashrrev_i32_e32 v96, 31, v81
	v_xor_b32_e32 v81, v5, v81
	v_xor_b32_e32 v80, v96, v80
	v_cmp_ne_u64_e32 vcc, s[78:79], v[80:81]
	v_cndmask_b32_e32 v97, v133, v81, vcc
	v_cndmask_b32_e32 v96, 0, v80, vcc
	v_lshrrev_b64 v[96:97], s84, v[96:97]
	v_and_b32_e32 v96, s68, v96
	v_mul_u32_u24_e32 v5, 5, v96
	v_add_lshl_u32 v5, v5, v177, 2
	; wave barrier
	v_add_u32_e32 v217, 0x410, v5
	ds_read_b32 v216, v5 offset:1040
	v_and_b32_e32 v5, 1, v96
	v_add_co_u32_e32 v97, vcc, -1, v5
	v_addc_co_u32_e64 v98, s[36:37], 0, -1, vcc
	v_cmp_ne_u32_e32 vcc, 0, v5
	v_xor_b32_e32 v5, vcc_hi, v98
	v_and_b32_e32 v98, exec_hi, v5
	v_lshlrev_b32_e32 v5, 30, v96
	v_xor_b32_e32 v97, vcc_lo, v97
	v_cmp_gt_i64_e32 vcc, 0, v[4:5]
	v_not_b32_e32 v5, v5
	v_ashrrev_i32_e32 v5, 31, v5
	v_and_b32_e32 v97, exec_lo, v97
	v_xor_b32_e32 v99, vcc_hi, v5
	v_xor_b32_e32 v5, vcc_lo, v5
	v_and_b32_e32 v97, v97, v5
	v_lshlrev_b32_e32 v5, 29, v96
	v_cmp_gt_i64_e32 vcc, 0, v[4:5]
	v_not_b32_e32 v5, v5
	v_ashrrev_i32_e32 v5, 31, v5
	v_and_b32_e32 v98, v98, v99
	v_xor_b32_e32 v99, vcc_hi, v5
	v_xor_b32_e32 v5, vcc_lo, v5
	v_and_b32_e32 v97, v97, v5
	v_lshlrev_b32_e32 v5, 28, v96
	v_cmp_gt_i64_e32 vcc, 0, v[4:5]
	v_not_b32_e32 v5, v5
	v_ashrrev_i32_e32 v5, 31, v5
	v_and_b32_e32 v98, v98, v99
	;; [unrolled: 8-line block ×5, first 2 shown]
	v_xor_b32_e32 v99, vcc_hi, v5
	v_xor_b32_e32 v5, vcc_lo, v5
	v_and_b32_e32 v98, v98, v99
	v_and_b32_e32 v99, v97, v5
	v_lshlrev_b32_e32 v5, 24, v96
	v_cmp_gt_i64_e32 vcc, 0, v[4:5]
	v_not_b32_e32 v5, v5
	v_ashrrev_i32_e32 v5, 31, v5
	v_xor_b32_e32 v96, vcc_hi, v5
	v_xor_b32_e32 v5, vcc_lo, v5
	v_and_b32_e32 v97, v98, v96
	v_and_b32_e32 v96, v99, v5
	v_mbcnt_lo_u32_b32 v5, v96, 0
	v_mbcnt_hi_u32_b32 v218, v97, v5
	v_cmp_eq_u32_e32 vcc, 0, v218
	v_cmp_ne_u64_e64 s[36:37], 0, v[96:97]
	s_and_b64 s[38:39], s[36:37], vcc
	; wave barrier
	s_and_saveexec_b64 s[36:37], s[38:39]
	s_cbranch_execz .LBB1251_753
; %bb.752:                              ;   in Loop: Header=BB1251_693 Depth=2
	v_bcnt_u32_b32 v5, v96, 0
	v_bcnt_u32_b32 v5, v97, v5
	s_waitcnt lgkmcnt(0)
	v_add_u32_e32 v5, v216, v5
	ds_write_b32 v217, v5
.LBB1251_753:                           ;   in Loop: Header=BB1251_693 Depth=2
	s_or_b64 exec, exec, s[36:37]
	s_waitcnt vmcnt(2)
	v_cmp_lt_i64_e32 vcc, -1, v[76:77]
	v_cndmask_b32_e32 v5, -1, v133, vcc
	v_ashrrev_i32_e32 v96, 31, v77
	v_xor_b32_e32 v77, v5, v77
	v_xor_b32_e32 v76, v96, v76
	v_cmp_ne_u64_e32 vcc, s[78:79], v[76:77]
	v_cndmask_b32_e32 v97, v133, v77, vcc
	v_cndmask_b32_e32 v96, 0, v76, vcc
	v_lshrrev_b64 v[96:97], s84, v[96:97]
	v_and_b32_e32 v96, s68, v96
	v_mul_u32_u24_e32 v5, 5, v96
	v_add_lshl_u32 v5, v5, v177, 2
	; wave barrier
	v_add_u32_e32 v220, 0x410, v5
	ds_read_b32 v219, v5 offset:1040
	v_and_b32_e32 v5, 1, v96
	v_add_co_u32_e32 v97, vcc, -1, v5
	v_addc_co_u32_e64 v98, s[36:37], 0, -1, vcc
	v_cmp_ne_u32_e32 vcc, 0, v5
	v_xor_b32_e32 v5, vcc_hi, v98
	v_and_b32_e32 v98, exec_hi, v5
	v_lshlrev_b32_e32 v5, 30, v96
	v_xor_b32_e32 v97, vcc_lo, v97
	v_cmp_gt_i64_e32 vcc, 0, v[4:5]
	v_not_b32_e32 v5, v5
	v_ashrrev_i32_e32 v5, 31, v5
	v_and_b32_e32 v97, exec_lo, v97
	v_xor_b32_e32 v99, vcc_hi, v5
	v_xor_b32_e32 v5, vcc_lo, v5
	v_and_b32_e32 v97, v97, v5
	v_lshlrev_b32_e32 v5, 29, v96
	v_cmp_gt_i64_e32 vcc, 0, v[4:5]
	v_not_b32_e32 v5, v5
	v_ashrrev_i32_e32 v5, 31, v5
	v_and_b32_e32 v98, v98, v99
	v_xor_b32_e32 v99, vcc_hi, v5
	v_xor_b32_e32 v5, vcc_lo, v5
	v_and_b32_e32 v97, v97, v5
	v_lshlrev_b32_e32 v5, 28, v96
	v_cmp_gt_i64_e32 vcc, 0, v[4:5]
	v_not_b32_e32 v5, v5
	v_ashrrev_i32_e32 v5, 31, v5
	v_and_b32_e32 v98, v98, v99
	;; [unrolled: 8-line block ×5, first 2 shown]
	v_xor_b32_e32 v99, vcc_hi, v5
	v_xor_b32_e32 v5, vcc_lo, v5
	v_and_b32_e32 v98, v98, v99
	v_and_b32_e32 v99, v97, v5
	v_lshlrev_b32_e32 v5, 24, v96
	v_cmp_gt_i64_e32 vcc, 0, v[4:5]
	v_not_b32_e32 v5, v5
	v_ashrrev_i32_e32 v5, 31, v5
	v_xor_b32_e32 v96, vcc_hi, v5
	v_xor_b32_e32 v5, vcc_lo, v5
	v_and_b32_e32 v97, v98, v96
	v_and_b32_e32 v96, v99, v5
	v_mbcnt_lo_u32_b32 v5, v96, 0
	v_mbcnt_hi_u32_b32 v221, v97, v5
	v_cmp_eq_u32_e32 vcc, 0, v221
	v_cmp_ne_u64_e64 s[36:37], 0, v[96:97]
	s_and_b64 s[38:39], s[36:37], vcc
	; wave barrier
	s_and_saveexec_b64 s[36:37], s[38:39]
	s_cbranch_execz .LBB1251_755
; %bb.754:                              ;   in Loop: Header=BB1251_693 Depth=2
	v_bcnt_u32_b32 v5, v96, 0
	v_bcnt_u32_b32 v5, v97, v5
	s_waitcnt lgkmcnt(0)
	v_add_u32_e32 v5, v219, v5
	ds_write_b32 v220, v5
.LBB1251_755:                           ;   in Loop: Header=BB1251_693 Depth=2
	s_or_b64 exec, exec, s[36:37]
	s_waitcnt vmcnt(1)
	v_cmp_lt_i64_e32 vcc, -1, v[72:73]
	v_cndmask_b32_e32 v5, -1, v133, vcc
	v_ashrrev_i32_e32 v96, 31, v73
	v_xor_b32_e32 v73, v5, v73
	v_xor_b32_e32 v72, v96, v72
	v_cmp_ne_u64_e32 vcc, s[78:79], v[72:73]
	v_cndmask_b32_e32 v97, v133, v73, vcc
	v_cndmask_b32_e32 v96, 0, v72, vcc
	v_lshrrev_b64 v[96:97], s84, v[96:97]
	v_and_b32_e32 v96, s68, v96
	v_mul_u32_u24_e32 v5, 5, v96
	v_add_lshl_u32 v5, v5, v177, 2
	; wave barrier
	v_add_u32_e32 v223, 0x410, v5
	ds_read_b32 v222, v5 offset:1040
	v_and_b32_e32 v5, 1, v96
	v_add_co_u32_e32 v97, vcc, -1, v5
	v_addc_co_u32_e64 v98, s[36:37], 0, -1, vcc
	v_cmp_ne_u32_e32 vcc, 0, v5
	v_xor_b32_e32 v5, vcc_hi, v98
	v_and_b32_e32 v98, exec_hi, v5
	v_lshlrev_b32_e32 v5, 30, v96
	v_xor_b32_e32 v97, vcc_lo, v97
	v_cmp_gt_i64_e32 vcc, 0, v[4:5]
	v_not_b32_e32 v5, v5
	v_ashrrev_i32_e32 v5, 31, v5
	v_and_b32_e32 v97, exec_lo, v97
	v_xor_b32_e32 v99, vcc_hi, v5
	v_xor_b32_e32 v5, vcc_lo, v5
	v_and_b32_e32 v97, v97, v5
	v_lshlrev_b32_e32 v5, 29, v96
	v_cmp_gt_i64_e32 vcc, 0, v[4:5]
	v_not_b32_e32 v5, v5
	v_ashrrev_i32_e32 v5, 31, v5
	v_and_b32_e32 v98, v98, v99
	v_xor_b32_e32 v99, vcc_hi, v5
	v_xor_b32_e32 v5, vcc_lo, v5
	v_and_b32_e32 v97, v97, v5
	v_lshlrev_b32_e32 v5, 28, v96
	v_cmp_gt_i64_e32 vcc, 0, v[4:5]
	v_not_b32_e32 v5, v5
	v_ashrrev_i32_e32 v5, 31, v5
	v_and_b32_e32 v98, v98, v99
	;; [unrolled: 8-line block ×5, first 2 shown]
	v_xor_b32_e32 v99, vcc_hi, v5
	v_xor_b32_e32 v5, vcc_lo, v5
	v_and_b32_e32 v98, v98, v99
	v_and_b32_e32 v99, v97, v5
	v_lshlrev_b32_e32 v5, 24, v96
	v_cmp_gt_i64_e32 vcc, 0, v[4:5]
	v_not_b32_e32 v5, v5
	v_ashrrev_i32_e32 v5, 31, v5
	v_xor_b32_e32 v96, vcc_hi, v5
	v_xor_b32_e32 v5, vcc_lo, v5
	v_and_b32_e32 v97, v98, v96
	v_and_b32_e32 v96, v99, v5
	v_mbcnt_lo_u32_b32 v5, v96, 0
	v_mbcnt_hi_u32_b32 v224, v97, v5
	v_cmp_eq_u32_e32 vcc, 0, v224
	v_cmp_ne_u64_e64 s[36:37], 0, v[96:97]
	s_and_b64 s[38:39], s[36:37], vcc
	; wave barrier
	s_and_saveexec_b64 s[36:37], s[38:39]
	s_cbranch_execz .LBB1251_757
; %bb.756:                              ;   in Loop: Header=BB1251_693 Depth=2
	v_bcnt_u32_b32 v5, v96, 0
	v_bcnt_u32_b32 v5, v97, v5
	s_waitcnt lgkmcnt(0)
	v_add_u32_e32 v5, v222, v5
	ds_write_b32 v223, v5
.LBB1251_757:                           ;   in Loop: Header=BB1251_693 Depth=2
	s_or_b64 exec, exec, s[36:37]
	s_waitcnt vmcnt(0)
	v_cmp_lt_i64_e32 vcc, -1, v[68:69]
	v_cndmask_b32_e32 v5, -1, v133, vcc
	v_ashrrev_i32_e32 v96, 31, v69
	v_xor_b32_e32 v69, v5, v69
	v_xor_b32_e32 v68, v96, v68
	v_cmp_ne_u64_e32 vcc, s[78:79], v[68:69]
	v_cndmask_b32_e32 v97, v133, v69, vcc
	v_cndmask_b32_e32 v96, 0, v68, vcc
	v_lshrrev_b64 v[96:97], s84, v[96:97]
	v_and_b32_e32 v96, s68, v96
	v_mul_u32_u24_e32 v5, 5, v96
	v_add_lshl_u32 v5, v5, v177, 2
	; wave barrier
	v_add_u32_e32 v226, 0x410, v5
	ds_read_b32 v225, v5 offset:1040
	v_and_b32_e32 v5, 1, v96
	v_add_co_u32_e32 v97, vcc, -1, v5
	v_addc_co_u32_e64 v98, s[36:37], 0, -1, vcc
	v_cmp_ne_u32_e32 vcc, 0, v5
	v_xor_b32_e32 v5, vcc_hi, v98
	v_and_b32_e32 v98, exec_hi, v5
	v_lshlrev_b32_e32 v5, 30, v96
	v_xor_b32_e32 v97, vcc_lo, v97
	v_cmp_gt_i64_e32 vcc, 0, v[4:5]
	v_not_b32_e32 v5, v5
	v_ashrrev_i32_e32 v5, 31, v5
	v_and_b32_e32 v97, exec_lo, v97
	v_xor_b32_e32 v99, vcc_hi, v5
	v_xor_b32_e32 v5, vcc_lo, v5
	v_and_b32_e32 v97, v97, v5
	v_lshlrev_b32_e32 v5, 29, v96
	v_cmp_gt_i64_e32 vcc, 0, v[4:5]
	v_not_b32_e32 v5, v5
	v_ashrrev_i32_e32 v5, 31, v5
	v_and_b32_e32 v98, v98, v99
	v_xor_b32_e32 v99, vcc_hi, v5
	v_xor_b32_e32 v5, vcc_lo, v5
	v_and_b32_e32 v97, v97, v5
	v_lshlrev_b32_e32 v5, 28, v96
	v_cmp_gt_i64_e32 vcc, 0, v[4:5]
	v_not_b32_e32 v5, v5
	v_ashrrev_i32_e32 v5, 31, v5
	v_and_b32_e32 v98, v98, v99
	;; [unrolled: 8-line block ×5, first 2 shown]
	v_xor_b32_e32 v99, vcc_hi, v5
	v_xor_b32_e32 v5, vcc_lo, v5
	v_and_b32_e32 v98, v98, v99
	v_and_b32_e32 v99, v97, v5
	v_lshlrev_b32_e32 v5, 24, v96
	v_cmp_gt_i64_e32 vcc, 0, v[4:5]
	v_not_b32_e32 v5, v5
	v_ashrrev_i32_e32 v5, 31, v5
	v_xor_b32_e32 v96, vcc_hi, v5
	v_xor_b32_e32 v5, vcc_lo, v5
	v_and_b32_e32 v97, v98, v96
	v_and_b32_e32 v96, v99, v5
	v_mbcnt_lo_u32_b32 v5, v96, 0
	v_mbcnt_hi_u32_b32 v227, v97, v5
	v_cmp_eq_u32_e32 vcc, 0, v227
	v_cmp_ne_u64_e64 s[36:37], 0, v[96:97]
	s_and_b64 s[38:39], s[36:37], vcc
	; wave barrier
	s_and_saveexec_b64 s[36:37], s[38:39]
	s_cbranch_execz .LBB1251_759
; %bb.758:                              ;   in Loop: Header=BB1251_693 Depth=2
	v_bcnt_u32_b32 v5, v96, 0
	v_bcnt_u32_b32 v5, v97, v5
	s_waitcnt lgkmcnt(0)
	v_add_u32_e32 v5, v225, v5
	ds_write_b32 v226, v5
.LBB1251_759:                           ;   in Loop: Header=BB1251_693 Depth=2
	s_or_b64 exec, exec, s[36:37]
	v_cmp_lt_i64_e32 vcc, -1, v[70:71]
	v_cndmask_b32_e32 v5, -1, v133, vcc
	v_ashrrev_i32_e32 v96, 31, v71
	v_xor_b32_e32 v71, v5, v71
	v_xor_b32_e32 v70, v96, v70
	v_cmp_ne_u64_e32 vcc, s[78:79], v[70:71]
	v_cndmask_b32_e32 v97, v133, v71, vcc
	v_cndmask_b32_e32 v96, 0, v70, vcc
	v_lshrrev_b64 v[96:97], s84, v[96:97]
	v_and_b32_e32 v96, s68, v96
	v_mul_u32_u24_e32 v5, 5, v96
	v_add_lshl_u32 v5, v5, v177, 2
	; wave barrier
	v_add_u32_e32 v229, 0x410, v5
	ds_read_b32 v228, v5 offset:1040
	v_and_b32_e32 v5, 1, v96
	v_add_co_u32_e32 v97, vcc, -1, v5
	v_addc_co_u32_e64 v98, s[36:37], 0, -1, vcc
	v_cmp_ne_u32_e32 vcc, 0, v5
	v_xor_b32_e32 v5, vcc_hi, v98
	v_and_b32_e32 v98, exec_hi, v5
	v_lshlrev_b32_e32 v5, 30, v96
	v_xor_b32_e32 v97, vcc_lo, v97
	v_cmp_gt_i64_e32 vcc, 0, v[4:5]
	v_not_b32_e32 v5, v5
	v_ashrrev_i32_e32 v5, 31, v5
	v_and_b32_e32 v97, exec_lo, v97
	v_xor_b32_e32 v99, vcc_hi, v5
	v_xor_b32_e32 v5, vcc_lo, v5
	v_and_b32_e32 v97, v97, v5
	v_lshlrev_b32_e32 v5, 29, v96
	v_cmp_gt_i64_e32 vcc, 0, v[4:5]
	v_not_b32_e32 v5, v5
	v_ashrrev_i32_e32 v5, 31, v5
	v_and_b32_e32 v98, v98, v99
	v_xor_b32_e32 v99, vcc_hi, v5
	v_xor_b32_e32 v5, vcc_lo, v5
	v_and_b32_e32 v97, v97, v5
	v_lshlrev_b32_e32 v5, 28, v96
	v_cmp_gt_i64_e32 vcc, 0, v[4:5]
	v_not_b32_e32 v5, v5
	v_ashrrev_i32_e32 v5, 31, v5
	v_and_b32_e32 v98, v98, v99
	;; [unrolled: 8-line block ×5, first 2 shown]
	v_xor_b32_e32 v99, vcc_hi, v5
	v_xor_b32_e32 v5, vcc_lo, v5
	v_and_b32_e32 v98, v98, v99
	v_and_b32_e32 v99, v97, v5
	v_lshlrev_b32_e32 v5, 24, v96
	v_cmp_gt_i64_e32 vcc, 0, v[4:5]
	v_not_b32_e32 v5, v5
	v_ashrrev_i32_e32 v5, 31, v5
	v_xor_b32_e32 v96, vcc_hi, v5
	v_xor_b32_e32 v5, vcc_lo, v5
	v_and_b32_e32 v97, v98, v96
	v_and_b32_e32 v96, v99, v5
	v_mbcnt_lo_u32_b32 v5, v96, 0
	v_mbcnt_hi_u32_b32 v230, v97, v5
	v_cmp_eq_u32_e32 vcc, 0, v230
	v_cmp_ne_u64_e64 s[36:37], 0, v[96:97]
	s_and_b64 s[38:39], s[36:37], vcc
	; wave barrier
	s_and_saveexec_b64 s[36:37], s[38:39]
	s_cbranch_execz .LBB1251_761
; %bb.760:                              ;   in Loop: Header=BB1251_693 Depth=2
	v_bcnt_u32_b32 v5, v96, 0
	v_bcnt_u32_b32 v5, v97, v5
	s_waitcnt lgkmcnt(0)
	v_add_u32_e32 v5, v228, v5
	ds_write_b32 v229, v5
.LBB1251_761:                           ;   in Loop: Header=BB1251_693 Depth=2
	s_or_b64 exec, exec, s[36:37]
	; wave barrier
	s_waitcnt lgkmcnt(0)
	s_barrier
	ds_read_b32 v5, v27 offset:1040
	ds_read2_b32 v[98:99], v31 offset0:1 offset1:2
	ds_read2_b32 v[96:97], v31 offset0:3 offset1:4
	s_waitcnt lgkmcnt(1)
	v_add3_u32 v231, v98, v5, v99
	s_waitcnt lgkmcnt(0)
	v_add3_u32 v97, v231, v96, v97
	s_nop 1
	v_mov_b32_dpp v231, v97 row_shr:1 row_mask:0xf bank_mask:0xf
	v_cndmask_b32_e64 v231, v231, 0, s[16:17]
	v_add_u32_e32 v97, v231, v97
	s_nop 1
	v_mov_b32_dpp v231, v97 row_shr:2 row_mask:0xf bank_mask:0xf
	v_cndmask_b32_e64 v231, 0, v231, s[18:19]
	v_add_u32_e32 v97, v97, v231
	;; [unrolled: 4-line block ×4, first 2 shown]
	s_nop 1
	v_mov_b32_dpp v231, v97 row_bcast:15 row_mask:0xf bank_mask:0xf
	v_cndmask_b32_e64 v231, v231, 0, s[24:25]
	v_add_u32_e32 v97, v97, v231
	s_nop 1
	v_mov_b32_dpp v231, v97 row_bcast:31 row_mask:0xf bank_mask:0xf
	v_cndmask_b32_e64 v231, 0, v231, s[26:27]
	v_add_u32_e32 v97, v97, v231
	s_and_saveexec_b64 s[36:37], s[6:7]
	s_cbranch_execz .LBB1251_763
; %bb.762:                              ;   in Loop: Header=BB1251_693 Depth=2
	ds_write_b32 v15, v97 offset:1024
.LBB1251_763:                           ;   in Loop: Header=BB1251_693 Depth=2
	s_or_b64 exec, exec, s[36:37]
	s_waitcnt lgkmcnt(0)
	s_barrier
	s_and_saveexec_b64 s[36:37], s[8:9]
	s_cbranch_execz .LBB1251_765
; %bb.764:                              ;   in Loop: Header=BB1251_693 Depth=2
	ds_read_b32 v231, v33 offset:1024
	s_waitcnt lgkmcnt(0)
	s_nop 0
	v_mov_b32_dpp v232, v231 row_shr:1 row_mask:0xf bank_mask:0xf
	v_cndmask_b32_e64 v232, v232, 0, s[30:31]
	v_add_u32_e32 v231, v232, v231
	s_nop 1
	v_mov_b32_dpp v232, v231 row_shr:2 row_mask:0xf bank_mask:0xf
	v_cndmask_b32_e64 v232, 0, v232, s[34:35]
	v_add_u32_e32 v231, v231, v232
	ds_write_b32 v33, v231 offset:1024
.LBB1251_765:                           ;   in Loop: Header=BB1251_693 Depth=2
	s_or_b64 exec, exec, s[36:37]
	v_mov_b32_e32 v231, 0
	s_waitcnt lgkmcnt(0)
	s_barrier
	s_and_saveexec_b64 s[36:37], s[10:11]
	s_cbranch_execz .LBB1251_767
; %bb.766:                              ;   in Loop: Header=BB1251_693 Depth=2
	ds_read_b32 v231, v15 offset:1020
.LBB1251_767:                           ;   in Loop: Header=BB1251_693 Depth=2
	s_or_b64 exec, exec, s[36:37]
	s_waitcnt lgkmcnt(0)
	v_add_u32_e32 v97, v231, v97
	ds_bpermute_b32 v97, v159, v97
	s_waitcnt lgkmcnt(0)
	v_cndmask_b32_e64 v97, v97, v231, s[28:29]
	v_cndmask_b32_e64 v97, v97, 0, s[12:13]
	v_add_u32_e32 v5, v97, v5
	ds_write_b32 v27, v97 offset:1040
	v_add_u32_e32 v97, v5, v98
	v_add_u32_e32 v98, v97, v99
	ds_write2_b32 v31, v5, v97 offset0:1 offset1:2
	v_add_u32_e32 v5, v98, v96
	ds_write2_b32 v31, v98, v5 offset0:3 offset1:4
	s_waitcnt lgkmcnt(0)
	s_barrier
	ds_read_b32 v97, v187
	ds_read_b32 v235, v190
	;; [unrolled: 1-line block ×16, first 2 shown]
	ds_read_b32 v184, v27 offset:1040
	v_mov_b32_e32 v5, 0x1000
	s_and_saveexec_b64 s[36:37], s[14:15]
	s_cbranch_execz .LBB1251_769
; %bb.768:                              ;   in Loop: Header=BB1251_693 Depth=2
	ds_read_b32 v5, v27 offset:1060
.LBB1251_769:                           ;   in Loop: Header=BB1251_693 Depth=2
	s_or_b64 exec, exec, s[36:37]
	s_waitcnt lgkmcnt(0)
	s_barrier
	s_and_saveexec_b64 s[36:37], s[4:5]
	s_cbranch_execz .LBB1251_771
; %bb.770:                              ;   in Loop: Header=BB1251_693 Depth=2
	ds_read_b32 v208, v3
	s_waitcnt lgkmcnt(0)
	v_sub_u32_e32 v184, v208, v184
	ds_write_b32 v3, v184
.LBB1251_771:                           ;   in Loop: Header=BB1251_693 Depth=2
	s_or_b64 exec, exec, s[36:37]
	v_add_u32_e32 v186, v188, v186
	v_add_u32_e32 v189, v191, v189
	v_add_lshl_u32 v96, v96, v185, 3
	v_add_lshl_u32 v97, v186, v97, 3
	v_add_u32_e32 v198, v200, v198
	v_add_u32_e32 v195, v197, v195
	;; [unrolled: 1-line block ×3, first 2 shown]
	ds_write_b64 v96, v[64:65] offset:1024
	ds_write_b64 v97, v[66:67] offset:1024
	v_add_lshl_u32 v66, v189, v235, 3
	v_add_u32_e32 v213, v215, v213
	v_add_u32_e32 v210, v212, v210
	;; [unrolled: 1-line block ×5, first 2 shown]
	ds_write_b64 v66, v[74:75] offset:1024
	v_add_lshl_u32 v67, v192, v234, 3
	v_add_lshl_u32 v74, v195, v233, 3
	;; [unrolled: 1-line block ×3, first 2 shown]
	v_add_u32_e32 v216, v218, v216
	ds_write_b64 v67, v[78:79] offset:1024
	ds_write_b64 v74, v[82:83] offset:1024
	;; [unrolled: 1-line block ×3, first 2 shown]
	v_add_lshl_u32 v78, v201, v231, 3
	v_add_lshl_u32 v79, v204, v205, 3
	;; [unrolled: 1-line block ×5, first 2 shown]
	v_add_u32_e32 v214, v221, v219
	ds_write_b64 v78, v[90:91] offset:1024
	ds_write_b64 v79, v[94:95] offset:1024
	;; [unrolled: 1-line block ×5, first 2 shown]
	v_add_lshl_u32 v84, v216, v193, 3
	v_add_u32_e32 v211, v224, v222
	ds_write_b64 v84, v[80:81] offset:1024
	v_add_lshl_u32 v80, v214, v190, 3
	v_add_u32_e32 v208, v227, v225
	ds_write_b64 v80, v[76:77] offset:1024
	;; [unrolled: 3-line block ×3, first 2 shown]
	v_add_lshl_u32 v72, v208, v99, 3
	ds_write_b64 v72, v[68:69] offset:1024
	v_add_lshl_u32 v68, v184, v98, 3
	v_cmp_lt_u32_e64 s[36:37], v2, v183
	ds_write_b64 v68, v[70:71] offset:1024
	s_waitcnt lgkmcnt(0)
	s_barrier
	s_and_saveexec_b64 s[40:41], s[36:37]
	s_cbranch_execz .LBB1251_787
; %bb.772:                              ;   in Loop: Header=BB1251_693 Depth=2
	v_add_u32_e32 v64, v33, v3
	ds_read_b64 v[64:65], v64 offset:1024
	v_mov_b32_e32 v71, v4
	s_waitcnt lgkmcnt(0)
	v_cmp_ne_u64_e32 vcc, s[78:79], v[64:65]
	v_cndmask_b32_e32 v89, v133, v65, vcc
	v_cndmask_b32_e32 v88, 0, v64, vcc
	v_lshrrev_b64 v[88:89], s84, v[88:89]
	v_and_b32_e32 v70, s68, v88
	v_lshlrev_b32_e32 v70, 2, v70
	ds_read_b32 v70, v70
	v_cmp_lt_i64_e64 s[38:39], -1, v[64:65]
	v_cndmask_b32_e64 v69, v133, -1, s[38:39]
	v_ashrrev_i32_e32 v73, 31, v65
	v_not_b32_e32 v73, v73
	s_waitcnt lgkmcnt(0)
	v_add_u32_e32 v70, v70, v2
	v_lshlrev_b64 v[70:71], 3, v[70:71]
	v_xor_b32_e32 v65, v69, v65
	v_mov_b32_e32 v69, s75
	v_add_co_u32_e32 v70, vcc, s74, v70
	v_xor_b32_e32 v64, v73, v64
	v_addc_co_u32_e32 v71, vcc, v69, v71, vcc
	global_store_dwordx2 v[70:71], v[64:65], off
	s_or_b64 exec, exec, s[40:41]
	v_cmp_lt_u32_e64 s[38:39], v7, v183
	s_and_saveexec_b64 s[42:43], s[38:39]
	s_cbranch_execnz .LBB1251_788
.LBB1251_773:                           ;   in Loop: Header=BB1251_693 Depth=2
	s_or_b64 exec, exec, s[42:43]
	v_cmp_lt_u32_e64 s[40:41], v6, v183
	s_and_saveexec_b64 s[44:45], s[40:41]
	s_cbranch_execz .LBB1251_789
.LBB1251_774:                           ;   in Loop: Header=BB1251_693 Depth=2
	ds_read_b64 v[64:65], v104 offset:4096
	v_mov_b32_e32 v71, v4
	s_waitcnt lgkmcnt(0)
	v_cmp_ne_u64_e32 vcc, s[78:79], v[64:65]
	v_cndmask_b32_e32 v89, v133, v65, vcc
	v_cndmask_b32_e32 v88, 0, v64, vcc
	v_lshrrev_b64 v[88:89], s84, v[88:89]
	v_and_b32_e32 v70, s68, v88
	v_lshlrev_b32_e32 v70, 2, v70
	ds_read_b32 v70, v70
	v_cmp_lt_i64_e64 s[42:43], -1, v[64:65]
	v_cndmask_b32_e64 v69, v133, -1, s[42:43]
	v_ashrrev_i32_e32 v73, 31, v65
	v_not_b32_e32 v73, v73
	s_waitcnt lgkmcnt(0)
	v_add_u32_e32 v70, v70, v6
	v_lshlrev_b64 v[70:71], 3, v[70:71]
	v_xor_b32_e32 v65, v69, v65
	v_mov_b32_e32 v69, s75
	v_add_co_u32_e32 v70, vcc, s74, v70
	v_xor_b32_e32 v64, v73, v64
	v_addc_co_u32_e32 v71, vcc, v69, v71, vcc
	global_store_dwordx2 v[70:71], v[64:65], off
	s_or_b64 exec, exec, s[44:45]
	v_cmp_lt_u32_e64 s[42:43], v8, v183
	s_and_saveexec_b64 s[46:47], s[42:43]
	s_cbranch_execnz .LBB1251_790
.LBB1251_775:                           ;   in Loop: Header=BB1251_693 Depth=2
	s_or_b64 exec, exec, s[46:47]
	v_cmp_lt_u32_e64 s[44:45], v10, v183
	s_and_saveexec_b64 s[48:49], s[44:45]
	s_cbranch_execz .LBB1251_791
.LBB1251_776:                           ;   in Loop: Header=BB1251_693 Depth=2
	ds_read_b64 v[64:65], v104 offset:8192
	v_mov_b32_e32 v71, v4
	s_waitcnt lgkmcnt(0)
	v_cmp_ne_u64_e32 vcc, s[78:79], v[64:65]
	v_cndmask_b32_e32 v89, v133, v65, vcc
	v_cndmask_b32_e32 v88, 0, v64, vcc
	v_lshrrev_b64 v[88:89], s84, v[88:89]
	v_and_b32_e32 v70, s68, v88
	v_lshlrev_b32_e32 v70, 2, v70
	ds_read_b32 v70, v70
	v_cmp_lt_i64_e64 s[46:47], -1, v[64:65]
	v_cndmask_b32_e64 v69, v133, -1, s[46:47]
	v_ashrrev_i32_e32 v73, 31, v65
	v_not_b32_e32 v73, v73
	s_waitcnt lgkmcnt(0)
	v_add_u32_e32 v70, v70, v10
	v_lshlrev_b64 v[70:71], 3, v[70:71]
	v_xor_b32_e32 v65, v69, v65
	v_mov_b32_e32 v69, s75
	v_add_co_u32_e32 v70, vcc, s74, v70
	v_xor_b32_e32 v64, v73, v64
	v_addc_co_u32_e32 v71, vcc, v69, v71, vcc
	global_store_dwordx2 v[70:71], v[64:65], off
	s_or_b64 exec, exec, s[48:49]
	v_cmp_lt_u32_e64 s[46:47], v12, v183
	s_and_saveexec_b64 s[50:51], s[46:47]
	s_cbranch_execnz .LBB1251_792
.LBB1251_777:                           ;   in Loop: Header=BB1251_693 Depth=2
	s_or_b64 exec, exec, s[50:51]
	v_cmp_lt_u32_e64 s[48:49], v14, v183
	s_and_saveexec_b64 s[52:53], s[48:49]
	s_cbranch_execz .LBB1251_793
.LBB1251_778:                           ;   in Loop: Header=BB1251_693 Depth=2
	ds_read_b64 v[64:65], v104 offset:12288
	v_mov_b32_e32 v71, v4
	s_waitcnt lgkmcnt(0)
	v_cmp_ne_u64_e32 vcc, s[78:79], v[64:65]
	v_cndmask_b32_e32 v89, v133, v65, vcc
	v_cndmask_b32_e32 v88, 0, v64, vcc
	v_lshrrev_b64 v[88:89], s84, v[88:89]
	v_and_b32_e32 v70, s68, v88
	v_lshlrev_b32_e32 v70, 2, v70
	ds_read_b32 v70, v70
	v_cmp_lt_i64_e64 s[50:51], -1, v[64:65]
	v_cndmask_b32_e64 v69, v133, -1, s[50:51]
	v_ashrrev_i32_e32 v73, 31, v65
	v_not_b32_e32 v73, v73
	s_waitcnt lgkmcnt(0)
	v_add_u32_e32 v70, v70, v14
	v_lshlrev_b64 v[70:71], 3, v[70:71]
	v_xor_b32_e32 v65, v69, v65
	v_mov_b32_e32 v69, s75
	v_add_co_u32_e32 v70, vcc, s74, v70
	v_xor_b32_e32 v64, v73, v64
	v_addc_co_u32_e32 v71, vcc, v69, v71, vcc
	global_store_dwordx2 v[70:71], v[64:65], off
	s_or_b64 exec, exec, s[52:53]
	v_cmp_lt_u32_e64 s[50:51], v16, v183
	s_and_saveexec_b64 s[54:55], s[50:51]
	s_cbranch_execnz .LBB1251_794
.LBB1251_779:                           ;   in Loop: Header=BB1251_693 Depth=2
	s_or_b64 exec, exec, s[54:55]
	v_cmp_lt_u32_e64 s[52:53], v18, v183
	s_and_saveexec_b64 s[56:57], s[52:53]
	s_cbranch_execz .LBB1251_795
.LBB1251_780:                           ;   in Loop: Header=BB1251_693 Depth=2
	ds_read_b64 v[64:65], v104 offset:16384
	v_mov_b32_e32 v71, v4
	s_waitcnt lgkmcnt(0)
	v_cmp_ne_u64_e32 vcc, s[78:79], v[64:65]
	v_cndmask_b32_e32 v89, v133, v65, vcc
	v_cndmask_b32_e32 v88, 0, v64, vcc
	v_lshrrev_b64 v[88:89], s84, v[88:89]
	v_and_b32_e32 v70, s68, v88
	v_lshlrev_b32_e32 v70, 2, v70
	ds_read_b32 v70, v70
	v_cmp_lt_i64_e64 s[54:55], -1, v[64:65]
	v_cndmask_b32_e64 v69, v133, -1, s[54:55]
	v_ashrrev_i32_e32 v73, 31, v65
	v_not_b32_e32 v73, v73
	s_waitcnt lgkmcnt(0)
	v_add_u32_e32 v70, v70, v18
	v_lshlrev_b64 v[70:71], 3, v[70:71]
	v_xor_b32_e32 v65, v69, v65
	v_mov_b32_e32 v69, s75
	v_add_co_u32_e32 v70, vcc, s74, v70
	v_xor_b32_e32 v64, v73, v64
	v_addc_co_u32_e32 v71, vcc, v69, v71, vcc
	global_store_dwordx2 v[70:71], v[64:65], off
	s_or_b64 exec, exec, s[56:57]
	v_cmp_lt_u32_e64 s[54:55], v20, v183
	s_and_saveexec_b64 s[58:59], s[54:55]
	s_cbranch_execnz .LBB1251_796
.LBB1251_781:                           ;   in Loop: Header=BB1251_693 Depth=2
	s_or_b64 exec, exec, s[58:59]
	v_cmp_lt_u32_e64 s[56:57], v22, v183
	s_and_saveexec_b64 s[60:61], s[56:57]
	s_cbranch_execz .LBB1251_797
.LBB1251_782:                           ;   in Loop: Header=BB1251_693 Depth=2
	ds_read_b64 v[64:65], v104 offset:20480
	v_mov_b32_e32 v71, v4
	s_waitcnt lgkmcnt(0)
	v_cmp_ne_u64_e32 vcc, s[78:79], v[64:65]
	v_cndmask_b32_e32 v89, v133, v65, vcc
	v_cndmask_b32_e32 v88, 0, v64, vcc
	v_lshrrev_b64 v[88:89], s84, v[88:89]
	v_and_b32_e32 v70, s68, v88
	v_lshlrev_b32_e32 v70, 2, v70
	ds_read_b32 v70, v70
	v_cmp_lt_i64_e64 s[58:59], -1, v[64:65]
	v_cndmask_b32_e64 v69, v133, -1, s[58:59]
	v_ashrrev_i32_e32 v73, 31, v65
	v_not_b32_e32 v73, v73
	s_waitcnt lgkmcnt(0)
	v_add_u32_e32 v70, v70, v22
	v_lshlrev_b64 v[70:71], 3, v[70:71]
	v_xor_b32_e32 v65, v69, v65
	v_mov_b32_e32 v69, s75
	v_add_co_u32_e32 v70, vcc, s74, v70
	v_xor_b32_e32 v64, v73, v64
	v_addc_co_u32_e32 v71, vcc, v69, v71, vcc
	global_store_dwordx2 v[70:71], v[64:65], off
	s_or_b64 exec, exec, s[60:61]
	v_cmp_lt_u32_e64 s[58:59], v24, v183
	s_and_saveexec_b64 s[62:63], s[58:59]
	s_cbranch_execnz .LBB1251_798
.LBB1251_783:                           ;   in Loop: Header=BB1251_693 Depth=2
	s_or_b64 exec, exec, s[62:63]
	v_cmp_lt_u32_e64 s[60:61], v26, v183
	s_and_saveexec_b64 s[64:65], s[60:61]
	s_cbranch_execz .LBB1251_799
.LBB1251_784:                           ;   in Loop: Header=BB1251_693 Depth=2
	ds_read_b64 v[64:65], v104 offset:24576
	v_mov_b32_e32 v71, v4
	s_waitcnt lgkmcnt(0)
	v_cmp_ne_u64_e32 vcc, s[78:79], v[64:65]
	v_cndmask_b32_e32 v89, v133, v65, vcc
	v_cndmask_b32_e32 v88, 0, v64, vcc
	v_lshrrev_b64 v[88:89], s84, v[88:89]
	v_and_b32_e32 v70, s68, v88
	v_lshlrev_b32_e32 v70, 2, v70
	ds_read_b32 v70, v70
	v_cmp_lt_i64_e64 s[62:63], -1, v[64:65]
	v_cndmask_b32_e64 v69, v133, -1, s[62:63]
	v_ashrrev_i32_e32 v73, 31, v65
	v_not_b32_e32 v73, v73
	s_waitcnt lgkmcnt(0)
	v_add_u32_e32 v70, v70, v26
	v_lshlrev_b64 v[70:71], 3, v[70:71]
	v_xor_b32_e32 v65, v69, v65
	v_mov_b32_e32 v69, s75
	v_add_co_u32_e32 v70, vcc, s74, v70
	v_xor_b32_e32 v64, v73, v64
	v_addc_co_u32_e32 v71, vcc, v69, v71, vcc
	global_store_dwordx2 v[70:71], v[64:65], off
	s_or_b64 exec, exec, s[64:65]
	v_cmp_lt_u32_e64 s[62:63], v28, v183
	s_and_saveexec_b64 s[66:67], s[62:63]
	s_cbranch_execnz .LBB1251_800
.LBB1251_785:                           ;   in Loop: Header=BB1251_693 Depth=2
	s_or_b64 exec, exec, s[66:67]
	v_cmp_lt_u32_e64 s[64:65], v30, v183
	s_and_saveexec_b64 s[92:93], s[64:65]
	s_cbranch_execz .LBB1251_801
.LBB1251_786:                           ;   in Loop: Header=BB1251_693 Depth=2
	ds_read_b64 v[64:65], v104 offset:28672
	v_mov_b32_e32 v71, v4
	s_waitcnt lgkmcnt(0)
	v_cmp_ne_u64_e32 vcc, s[78:79], v[64:65]
	v_cndmask_b32_e32 v89, v133, v65, vcc
	v_cndmask_b32_e32 v88, 0, v64, vcc
	v_lshrrev_b64 v[88:89], s84, v[88:89]
	v_and_b32_e32 v70, s68, v88
	v_lshlrev_b32_e32 v70, 2, v70
	ds_read_b32 v70, v70
	v_cmp_lt_i64_e64 s[66:67], -1, v[64:65]
	v_cndmask_b32_e64 v69, v133, -1, s[66:67]
	v_ashrrev_i32_e32 v73, 31, v65
	v_not_b32_e32 v73, v73
	s_waitcnt lgkmcnt(0)
	v_add_u32_e32 v70, v70, v30
	v_lshlrev_b64 v[70:71], 3, v[70:71]
	v_xor_b32_e32 v65, v69, v65
	v_mov_b32_e32 v69, s75
	v_add_co_u32_e32 v70, vcc, s74, v70
	v_xor_b32_e32 v64, v73, v64
	v_addc_co_u32_e32 v71, vcc, v69, v71, vcc
	global_store_dwordx2 v[70:71], v[64:65], off
	s_or_b64 exec, exec, s[92:93]
	v_cmp_lt_u32_e64 s[66:67], v32, v183
	s_and_saveexec_b64 s[92:93], s[66:67]
	s_cbranch_execnz .LBB1251_802
	s_branch .LBB1251_803
.LBB1251_787:                           ;   in Loop: Header=BB1251_693 Depth=2
	s_or_b64 exec, exec, s[40:41]
	v_cmp_lt_u32_e64 s[38:39], v7, v183
	s_and_saveexec_b64 s[42:43], s[38:39]
	s_cbranch_execz .LBB1251_773
.LBB1251_788:                           ;   in Loop: Header=BB1251_693 Depth=2
	ds_read_b64 v[64:65], v104 offset:2048
	v_mov_b32_e32 v71, v4
	s_waitcnt lgkmcnt(0)
	v_cmp_ne_u64_e32 vcc, s[78:79], v[64:65]
	v_cndmask_b32_e32 v89, v133, v65, vcc
	v_cndmask_b32_e32 v88, 0, v64, vcc
	v_lshrrev_b64 v[88:89], s84, v[88:89]
	v_and_b32_e32 v70, s68, v88
	v_lshlrev_b32_e32 v70, 2, v70
	ds_read_b32 v70, v70
	v_cmp_lt_i64_e64 s[40:41], -1, v[64:65]
	v_cndmask_b32_e64 v69, v133, -1, s[40:41]
	v_ashrrev_i32_e32 v73, 31, v65
	v_not_b32_e32 v73, v73
	s_waitcnt lgkmcnt(0)
	v_add_u32_e32 v70, v70, v7
	v_lshlrev_b64 v[70:71], 3, v[70:71]
	v_xor_b32_e32 v65, v69, v65
	v_mov_b32_e32 v69, s75
	v_add_co_u32_e32 v70, vcc, s74, v70
	v_xor_b32_e32 v64, v73, v64
	v_addc_co_u32_e32 v71, vcc, v69, v71, vcc
	global_store_dwordx2 v[70:71], v[64:65], off
	s_or_b64 exec, exec, s[42:43]
	v_cmp_lt_u32_e64 s[40:41], v6, v183
	s_and_saveexec_b64 s[44:45], s[40:41]
	s_cbranch_execnz .LBB1251_774
.LBB1251_789:                           ;   in Loop: Header=BB1251_693 Depth=2
	s_or_b64 exec, exec, s[44:45]
	v_cmp_lt_u32_e64 s[42:43], v8, v183
	s_and_saveexec_b64 s[46:47], s[42:43]
	s_cbranch_execz .LBB1251_775
.LBB1251_790:                           ;   in Loop: Header=BB1251_693 Depth=2
	ds_read_b64 v[64:65], v104 offset:6144
	v_mov_b32_e32 v71, v4
	s_waitcnt lgkmcnt(0)
	v_cmp_ne_u64_e32 vcc, s[78:79], v[64:65]
	v_cndmask_b32_e32 v89, v133, v65, vcc
	v_cndmask_b32_e32 v88, 0, v64, vcc
	v_lshrrev_b64 v[88:89], s84, v[88:89]
	v_and_b32_e32 v70, s68, v88
	v_lshlrev_b32_e32 v70, 2, v70
	ds_read_b32 v70, v70
	v_cmp_lt_i64_e64 s[44:45], -1, v[64:65]
	v_cndmask_b32_e64 v69, v133, -1, s[44:45]
	v_ashrrev_i32_e32 v73, 31, v65
	v_not_b32_e32 v73, v73
	s_waitcnt lgkmcnt(0)
	v_add_u32_e32 v70, v70, v8
	v_lshlrev_b64 v[70:71], 3, v[70:71]
	v_xor_b32_e32 v65, v69, v65
	v_mov_b32_e32 v69, s75
	v_add_co_u32_e32 v70, vcc, s74, v70
	v_xor_b32_e32 v64, v73, v64
	v_addc_co_u32_e32 v71, vcc, v69, v71, vcc
	global_store_dwordx2 v[70:71], v[64:65], off
	s_or_b64 exec, exec, s[46:47]
	v_cmp_lt_u32_e64 s[44:45], v10, v183
	s_and_saveexec_b64 s[48:49], s[44:45]
	s_cbranch_execnz .LBB1251_776
.LBB1251_791:                           ;   in Loop: Header=BB1251_693 Depth=2
	s_or_b64 exec, exec, s[48:49]
	v_cmp_lt_u32_e64 s[46:47], v12, v183
	s_and_saveexec_b64 s[50:51], s[46:47]
	s_cbranch_execz .LBB1251_777
.LBB1251_792:                           ;   in Loop: Header=BB1251_693 Depth=2
	ds_read_b64 v[64:65], v104 offset:10240
	v_mov_b32_e32 v71, v4
	s_waitcnt lgkmcnt(0)
	v_cmp_ne_u64_e32 vcc, s[78:79], v[64:65]
	v_cndmask_b32_e32 v89, v133, v65, vcc
	v_cndmask_b32_e32 v88, 0, v64, vcc
	v_lshrrev_b64 v[88:89], s84, v[88:89]
	v_and_b32_e32 v70, s68, v88
	v_lshlrev_b32_e32 v70, 2, v70
	ds_read_b32 v70, v70
	v_cmp_lt_i64_e64 s[48:49], -1, v[64:65]
	v_cndmask_b32_e64 v69, v133, -1, s[48:49]
	v_ashrrev_i32_e32 v73, 31, v65
	v_not_b32_e32 v73, v73
	s_waitcnt lgkmcnt(0)
	v_add_u32_e32 v70, v70, v12
	v_lshlrev_b64 v[70:71], 3, v[70:71]
	v_xor_b32_e32 v65, v69, v65
	v_mov_b32_e32 v69, s75
	v_add_co_u32_e32 v70, vcc, s74, v70
	v_xor_b32_e32 v64, v73, v64
	v_addc_co_u32_e32 v71, vcc, v69, v71, vcc
	global_store_dwordx2 v[70:71], v[64:65], off
	s_or_b64 exec, exec, s[50:51]
	v_cmp_lt_u32_e64 s[48:49], v14, v183
	s_and_saveexec_b64 s[52:53], s[48:49]
	s_cbranch_execnz .LBB1251_778
.LBB1251_793:                           ;   in Loop: Header=BB1251_693 Depth=2
	s_or_b64 exec, exec, s[52:53]
	v_cmp_lt_u32_e64 s[50:51], v16, v183
	s_and_saveexec_b64 s[54:55], s[50:51]
	s_cbranch_execz .LBB1251_779
.LBB1251_794:                           ;   in Loop: Header=BB1251_693 Depth=2
	ds_read_b64 v[64:65], v104 offset:14336
	v_mov_b32_e32 v71, v4
	s_waitcnt lgkmcnt(0)
	v_cmp_ne_u64_e32 vcc, s[78:79], v[64:65]
	v_cndmask_b32_e32 v89, v133, v65, vcc
	v_cndmask_b32_e32 v88, 0, v64, vcc
	v_lshrrev_b64 v[88:89], s84, v[88:89]
	v_and_b32_e32 v70, s68, v88
	v_lshlrev_b32_e32 v70, 2, v70
	ds_read_b32 v70, v70
	v_cmp_lt_i64_e64 s[52:53], -1, v[64:65]
	v_cndmask_b32_e64 v69, v133, -1, s[52:53]
	v_ashrrev_i32_e32 v73, 31, v65
	v_not_b32_e32 v73, v73
	s_waitcnt lgkmcnt(0)
	v_add_u32_e32 v70, v70, v16
	v_lshlrev_b64 v[70:71], 3, v[70:71]
	v_xor_b32_e32 v65, v69, v65
	v_mov_b32_e32 v69, s75
	v_add_co_u32_e32 v70, vcc, s74, v70
	v_xor_b32_e32 v64, v73, v64
	v_addc_co_u32_e32 v71, vcc, v69, v71, vcc
	global_store_dwordx2 v[70:71], v[64:65], off
	s_or_b64 exec, exec, s[54:55]
	v_cmp_lt_u32_e64 s[52:53], v18, v183
	s_and_saveexec_b64 s[56:57], s[52:53]
	s_cbranch_execnz .LBB1251_780
.LBB1251_795:                           ;   in Loop: Header=BB1251_693 Depth=2
	s_or_b64 exec, exec, s[56:57]
	v_cmp_lt_u32_e64 s[54:55], v20, v183
	s_and_saveexec_b64 s[58:59], s[54:55]
	s_cbranch_execz .LBB1251_781
.LBB1251_796:                           ;   in Loop: Header=BB1251_693 Depth=2
	ds_read_b64 v[64:65], v104 offset:18432
	v_mov_b32_e32 v71, v4
	s_waitcnt lgkmcnt(0)
	v_cmp_ne_u64_e32 vcc, s[78:79], v[64:65]
	v_cndmask_b32_e32 v89, v133, v65, vcc
	v_cndmask_b32_e32 v88, 0, v64, vcc
	v_lshrrev_b64 v[88:89], s84, v[88:89]
	v_and_b32_e32 v70, s68, v88
	v_lshlrev_b32_e32 v70, 2, v70
	ds_read_b32 v70, v70
	v_cmp_lt_i64_e64 s[56:57], -1, v[64:65]
	v_cndmask_b32_e64 v69, v133, -1, s[56:57]
	v_ashrrev_i32_e32 v73, 31, v65
	v_not_b32_e32 v73, v73
	s_waitcnt lgkmcnt(0)
	v_add_u32_e32 v70, v70, v20
	v_lshlrev_b64 v[70:71], 3, v[70:71]
	v_xor_b32_e32 v65, v69, v65
	v_mov_b32_e32 v69, s75
	v_add_co_u32_e32 v70, vcc, s74, v70
	v_xor_b32_e32 v64, v73, v64
	v_addc_co_u32_e32 v71, vcc, v69, v71, vcc
	global_store_dwordx2 v[70:71], v[64:65], off
	s_or_b64 exec, exec, s[58:59]
	v_cmp_lt_u32_e64 s[56:57], v22, v183
	s_and_saveexec_b64 s[60:61], s[56:57]
	s_cbranch_execnz .LBB1251_782
.LBB1251_797:                           ;   in Loop: Header=BB1251_693 Depth=2
	s_or_b64 exec, exec, s[60:61]
	v_cmp_lt_u32_e64 s[58:59], v24, v183
	s_and_saveexec_b64 s[62:63], s[58:59]
	s_cbranch_execz .LBB1251_783
.LBB1251_798:                           ;   in Loop: Header=BB1251_693 Depth=2
	ds_read_b64 v[64:65], v104 offset:22528
	v_mov_b32_e32 v71, v4
	s_waitcnt lgkmcnt(0)
	v_cmp_ne_u64_e32 vcc, s[78:79], v[64:65]
	v_cndmask_b32_e32 v89, v133, v65, vcc
	v_cndmask_b32_e32 v88, 0, v64, vcc
	v_lshrrev_b64 v[88:89], s84, v[88:89]
	v_and_b32_e32 v70, s68, v88
	v_lshlrev_b32_e32 v70, 2, v70
	ds_read_b32 v70, v70
	v_cmp_lt_i64_e64 s[60:61], -1, v[64:65]
	v_cndmask_b32_e64 v69, v133, -1, s[60:61]
	v_ashrrev_i32_e32 v73, 31, v65
	v_not_b32_e32 v73, v73
	s_waitcnt lgkmcnt(0)
	v_add_u32_e32 v70, v70, v24
	v_lshlrev_b64 v[70:71], 3, v[70:71]
	v_xor_b32_e32 v65, v69, v65
	v_mov_b32_e32 v69, s75
	v_add_co_u32_e32 v70, vcc, s74, v70
	v_xor_b32_e32 v64, v73, v64
	v_addc_co_u32_e32 v71, vcc, v69, v71, vcc
	global_store_dwordx2 v[70:71], v[64:65], off
	s_or_b64 exec, exec, s[62:63]
	v_cmp_lt_u32_e64 s[60:61], v26, v183
	s_and_saveexec_b64 s[64:65], s[60:61]
	s_cbranch_execnz .LBB1251_784
.LBB1251_799:                           ;   in Loop: Header=BB1251_693 Depth=2
	s_or_b64 exec, exec, s[64:65]
	v_cmp_lt_u32_e64 s[62:63], v28, v183
	s_and_saveexec_b64 s[66:67], s[62:63]
	s_cbranch_execz .LBB1251_785
.LBB1251_800:                           ;   in Loop: Header=BB1251_693 Depth=2
	ds_read_b64 v[64:65], v104 offset:26624
	v_mov_b32_e32 v71, v4
	s_waitcnt lgkmcnt(0)
	v_cmp_ne_u64_e32 vcc, s[78:79], v[64:65]
	v_cndmask_b32_e32 v89, v133, v65, vcc
	v_cndmask_b32_e32 v88, 0, v64, vcc
	v_lshrrev_b64 v[88:89], s84, v[88:89]
	v_and_b32_e32 v70, s68, v88
	v_lshlrev_b32_e32 v70, 2, v70
	ds_read_b32 v70, v70
	v_cmp_lt_i64_e64 s[64:65], -1, v[64:65]
	v_cndmask_b32_e64 v69, v133, -1, s[64:65]
	v_ashrrev_i32_e32 v73, 31, v65
	v_not_b32_e32 v73, v73
	s_waitcnt lgkmcnt(0)
	v_add_u32_e32 v70, v70, v28
	v_lshlrev_b64 v[70:71], 3, v[70:71]
	v_xor_b32_e32 v65, v69, v65
	v_mov_b32_e32 v69, s75
	v_add_co_u32_e32 v70, vcc, s74, v70
	v_xor_b32_e32 v64, v73, v64
	v_addc_co_u32_e32 v71, vcc, v69, v71, vcc
	global_store_dwordx2 v[70:71], v[64:65], off
	s_or_b64 exec, exec, s[66:67]
	v_cmp_lt_u32_e64 s[64:65], v30, v183
	s_and_saveexec_b64 s[92:93], s[64:65]
	s_cbranch_execnz .LBB1251_786
.LBB1251_801:                           ;   in Loop: Header=BB1251_693 Depth=2
	s_or_b64 exec, exec, s[92:93]
	v_cmp_lt_u32_e64 s[66:67], v32, v183
	s_and_saveexec_b64 s[92:93], s[66:67]
	s_cbranch_execz .LBB1251_803
.LBB1251_802:                           ;   in Loop: Header=BB1251_693 Depth=2
	ds_read_b64 v[64:65], v104 offset:30720
	s_waitcnt lgkmcnt(0)
	v_cmp_ne_u64_e32 vcc, s[78:79], v[64:65]
	v_cndmask_b32_e32 v71, v133, v65, vcc
	v_cndmask_b32_e32 v70, 0, v64, vcc
	v_lshrrev_b64 v[70:71], s84, v[70:71]
	v_and_b32_e32 v69, s68, v70
	v_lshlrev_b32_e32 v69, 2, v69
	ds_read_b32 v69, v69
	v_cmp_lt_i64_e32 vcc, -1, v[64:65]
	v_ashrrev_i32_e32 v71, 31, v65
	v_cndmask_b32_e64 v70, v133, -1, vcc
	v_not_b32_e32 v71, v71
	v_xor_b32_e32 v65, v70, v65
	v_xor_b32_e32 v64, v71, v64
	s_waitcnt lgkmcnt(0)
	v_add_u32_e32 v70, v69, v32
	v_mov_b32_e32 v71, v4
	v_lshlrev_b64 v[70:71], 3, v[70:71]
	v_add_co_u32_e32 v70, vcc, s74, v70
	v_mov_b32_e32 v69, s75
	v_addc_co_u32_e32 v71, vcc, v69, v71, vcc
	global_store_dwordx2 v[70:71], v[64:65], off
.LBB1251_803:                           ;   in Loop: Header=BB1251_693 Depth=2
	s_or_b64 exec, exec, s[92:93]
	s_lshl_b64 s[92:93], s[88:89], 3
	v_mov_b32_e32 v65, s93
	v_add_co_u32_e32 v64, vcc, s92, v160
	v_addc_co_u32_e32 v65, vcc, v161, v65, vcc
	v_cmp_lt_u32_e32 vcc, v143, v183
	s_and_saveexec_b64 s[92:93], vcc
	s_xor_b64 s[92:93], exec, s[92:93]
	s_cbranch_execz .LBB1251_835
; %bb.804:                              ;   in Loop: Header=BB1251_693 Depth=2
	global_load_dwordx2 v[62:63], v[64:65], off
	s_or_b64 exec, exec, s[92:93]
	v_cmp_lt_u32_e32 vcc, v144, v183
	s_and_saveexec_b64 s[92:93], vcc
	s_cbranch_execnz .LBB1251_836
.LBB1251_805:                           ;   in Loop: Header=BB1251_693 Depth=2
	s_or_b64 exec, exec, s[92:93]
	v_cmp_lt_u32_e32 vcc, v145, v183
	s_and_saveexec_b64 s[92:93], vcc
	s_cbranch_execz .LBB1251_837
.LBB1251_806:                           ;   in Loop: Header=BB1251_693 Depth=2
	global_load_dwordx2 v[58:59], v[64:65], off offset:1024
	s_or_b64 exec, exec, s[92:93]
	v_cmp_lt_u32_e32 vcc, v146, v183
	s_and_saveexec_b64 s[92:93], vcc
	s_cbranch_execnz .LBB1251_838
.LBB1251_807:                           ;   in Loop: Header=BB1251_693 Depth=2
	s_or_b64 exec, exec, s[92:93]
	v_cmp_lt_u32_e32 vcc, v147, v183
	s_and_saveexec_b64 s[92:93], vcc
	s_cbranch_execz .LBB1251_839
.LBB1251_808:                           ;   in Loop: Header=BB1251_693 Depth=2
	global_load_dwordx2 v[50:51], v[64:65], off offset:2048
	s_or_b64 exec, exec, s[92:93]
	v_cmp_lt_u32_e32 vcc, v148, v183
	s_and_saveexec_b64 s[92:93], vcc
	s_cbranch_execnz .LBB1251_840
.LBB1251_809:                           ;   in Loop: Header=BB1251_693 Depth=2
	s_or_b64 exec, exec, s[92:93]
	v_cmp_lt_u32_e32 vcc, v149, v183
	s_and_saveexec_b64 s[92:93], vcc
	s_cbranch_execz .LBB1251_841
.LBB1251_810:                           ;   in Loop: Header=BB1251_693 Depth=2
	global_load_dwordx2 v[42:43], v[64:65], off offset:3072
	s_or_b64 exec, exec, s[92:93]
	v_cmp_lt_u32_e32 vcc, v150, v183
	s_and_saveexec_b64 s[92:93], vcc
	s_cbranch_execnz .LBB1251_842
.LBB1251_811:                           ;   in Loop: Header=BB1251_693 Depth=2
	s_or_b64 exec, exec, s[92:93]
	v_cmp_lt_u32_e32 vcc, v151, v183
	s_and_saveexec_b64 s[92:93], vcc
	s_cbranch_execz .LBB1251_843
.LBB1251_812:                           ;   in Loop: Header=BB1251_693 Depth=2
	v_add_co_u32_e32 v56, vcc, 0x1000, v64
	v_addc_co_u32_e32 v57, vcc, 0, v65, vcc
	global_load_dwordx2 v[56:57], v[56:57], off
	s_or_b64 exec, exec, s[92:93]
	v_cmp_lt_u32_e32 vcc, v152, v183
	s_and_saveexec_b64 s[92:93], vcc
	s_cbranch_execnz .LBB1251_844
.LBB1251_813:                           ;   in Loop: Header=BB1251_693 Depth=2
	s_or_b64 exec, exec, s[92:93]
	v_cmp_lt_u32_e32 vcc, v153, v183
	s_and_saveexec_b64 s[92:93], vcc
	s_cbranch_execz .LBB1251_845
.LBB1251_814:                           ;   in Loop: Header=BB1251_693 Depth=2
	v_add_co_u32_e32 v48, vcc, 0x1000, v64
	v_addc_co_u32_e32 v49, vcc, 0, v65, vcc
	global_load_dwordx2 v[48:49], v[48:49], off offset:1024
	s_or_b64 exec, exec, s[92:93]
	v_cmp_lt_u32_e32 vcc, v154, v183
	s_and_saveexec_b64 s[92:93], vcc
	s_cbranch_execnz .LBB1251_846
.LBB1251_815:                           ;   in Loop: Header=BB1251_693 Depth=2
	s_or_b64 exec, exec, s[92:93]
	v_cmp_lt_u32_e32 vcc, v155, v183
	s_and_saveexec_b64 s[92:93], vcc
	s_cbranch_execz .LBB1251_847
.LBB1251_816:                           ;   in Loop: Header=BB1251_693 Depth=2
	v_add_co_u32_e32 v40, vcc, 0x1000, v64
	v_addc_co_u32_e32 v41, vcc, 0, v65, vcc
	global_load_dwordx2 v[40:41], v[40:41], off offset:2048
	s_or_b64 exec, exec, s[92:93]
	v_cmp_lt_u32_e32 vcc, v156, v183
	s_and_saveexec_b64 s[92:93], vcc
	s_cbranch_execnz .LBB1251_848
.LBB1251_817:                           ;   in Loop: Header=BB1251_693 Depth=2
	s_or_b64 exec, exec, s[92:93]
	v_cmp_lt_u32_e32 vcc, v157, v183
	s_and_saveexec_b64 s[92:93], vcc
	s_cbranch_execz .LBB1251_849
.LBB1251_818:                           ;   in Loop: Header=BB1251_693 Depth=2
	v_add_co_u32_e32 v34, vcc, 0x1000, v64
	v_addc_co_u32_e32 v35, vcc, 0, v65, vcc
	global_load_dwordx2 v[34:35], v[34:35], off offset:3072
	s_or_b64 exec, exec, s[92:93]
	v_cmp_lt_u32_e32 vcc, v158, v183
	s_and_saveexec_b64 s[92:93], vcc
	s_cbranch_execnz .LBB1251_850
.LBB1251_819:                           ;   in Loop: Header=BB1251_693 Depth=2
	s_or_b64 exec, exec, s[92:93]
	s_and_saveexec_b64 s[92:93], s[36:37]
	s_cbranch_execz .LBB1251_851
.LBB1251_820:                           ;   in Loop: Header=BB1251_693 Depth=2
	v_add_u32_e32 v64, v33, v3
	ds_read_b64 v[64:65], v64 offset:1024
	s_waitcnt lgkmcnt(0)
	v_cmp_ne_u64_e32 vcc, s[78:79], v[64:65]
	v_cndmask_b32_e32 v65, v133, v65, vcc
	v_cndmask_b32_e32 v64, 0, v64, vcc
	v_lshrrev_b64 v[64:65], s84, v[64:65]
	v_and_b32_e32 v182, s68, v64
	s_or_b64 exec, exec, s[92:93]
	s_and_saveexec_b64 s[92:93], s[38:39]
	s_cbranch_execnz .LBB1251_852
.LBB1251_821:                           ;   in Loop: Header=BB1251_693 Depth=2
	s_or_b64 exec, exec, s[92:93]
	s_and_saveexec_b64 s[92:93], s[40:41]
	s_cbranch_execz .LBB1251_853
.LBB1251_822:                           ;   in Loop: Header=BB1251_693 Depth=2
	ds_read_b64 v[64:65], v104 offset:4096
	s_waitcnt lgkmcnt(0)
	v_cmp_ne_u64_e32 vcc, s[78:79], v[64:65]
	v_cndmask_b32_e32 v65, v133, v65, vcc
	v_cndmask_b32_e32 v64, 0, v64, vcc
	v_lshrrev_b64 v[64:65], s84, v[64:65]
	v_and_b32_e32 v180, s68, v64
	s_or_b64 exec, exec, s[92:93]
	s_and_saveexec_b64 s[92:93], s[42:43]
	s_cbranch_execnz .LBB1251_854
.LBB1251_823:                           ;   in Loop: Header=BB1251_693 Depth=2
	s_or_b64 exec, exec, s[92:93]
	s_and_saveexec_b64 s[92:93], s[44:45]
	s_cbranch_execz .LBB1251_855
.LBB1251_824:                           ;   in Loop: Header=BB1251_693 Depth=2
	ds_read_b64 v[64:65], v104 offset:8192
	s_waitcnt lgkmcnt(0)
	v_cmp_ne_u64_e32 vcc, s[78:79], v[64:65]
	v_cndmask_b32_e32 v65, v133, v65, vcc
	v_cndmask_b32_e32 v64, 0, v64, vcc
	v_lshrrev_b64 v[64:65], s84, v[64:65]
	v_and_b32_e32 v178, s68, v64
	s_or_b64 exec, exec, s[92:93]
	s_and_saveexec_b64 s[92:93], s[46:47]
	s_cbranch_execnz .LBB1251_856
.LBB1251_825:                           ;   in Loop: Header=BB1251_693 Depth=2
	s_or_b64 exec, exec, s[92:93]
	s_and_saveexec_b64 s[92:93], s[48:49]
	s_cbranch_execz .LBB1251_857
.LBB1251_826:                           ;   in Loop: Header=BB1251_693 Depth=2
	ds_read_b64 v[64:65], v104 offset:12288
	s_waitcnt lgkmcnt(0)
	v_cmp_ne_u64_e32 vcc, s[78:79], v[64:65]
	v_cndmask_b32_e32 v65, v133, v65, vcc
	v_cndmask_b32_e32 v64, 0, v64, vcc
	v_lshrrev_b64 v[64:65], s84, v[64:65]
	v_and_b32_e32 v175, s68, v64
	s_or_b64 exec, exec, s[92:93]
	s_and_saveexec_b64 s[92:93], s[50:51]
	s_cbranch_execnz .LBB1251_858
.LBB1251_827:                           ;   in Loop: Header=BB1251_693 Depth=2
	s_or_b64 exec, exec, s[92:93]
	s_and_saveexec_b64 s[92:93], s[52:53]
	s_cbranch_execz .LBB1251_859
.LBB1251_828:                           ;   in Loop: Header=BB1251_693 Depth=2
	ds_read_b64 v[64:65], v104 offset:16384
	s_waitcnt lgkmcnt(0)
	v_cmp_ne_u64_e32 vcc, s[78:79], v[64:65]
	v_cndmask_b32_e32 v65, v133, v65, vcc
	v_cndmask_b32_e32 v64, 0, v64, vcc
	v_lshrrev_b64 v[64:65], s84, v[64:65]
	v_and_b32_e32 v172, s68, v64
	s_or_b64 exec, exec, s[92:93]
	s_and_saveexec_b64 s[92:93], s[54:55]
	s_cbranch_execnz .LBB1251_860
.LBB1251_829:                           ;   in Loop: Header=BB1251_693 Depth=2
	s_or_b64 exec, exec, s[92:93]
	s_and_saveexec_b64 s[92:93], s[56:57]
	s_cbranch_execz .LBB1251_861
.LBB1251_830:                           ;   in Loop: Header=BB1251_693 Depth=2
	ds_read_b64 v[64:65], v104 offset:20480
	s_waitcnt lgkmcnt(0)
	v_cmp_ne_u64_e32 vcc, s[78:79], v[64:65]
	v_cndmask_b32_e32 v65, v133, v65, vcc
	v_cndmask_b32_e32 v64, 0, v64, vcc
	v_lshrrev_b64 v[64:65], s84, v[64:65]
	v_and_b32_e32 v169, s68, v64
	s_or_b64 exec, exec, s[92:93]
	s_and_saveexec_b64 s[92:93], s[58:59]
	s_cbranch_execnz .LBB1251_862
.LBB1251_831:                           ;   in Loop: Header=BB1251_693 Depth=2
	s_or_b64 exec, exec, s[92:93]
	s_and_saveexec_b64 s[92:93], s[60:61]
	s_cbranch_execz .LBB1251_863
.LBB1251_832:                           ;   in Loop: Header=BB1251_693 Depth=2
	ds_read_b64 v[64:65], v104 offset:24576
	s_waitcnt lgkmcnt(0)
	v_cmp_ne_u64_e32 vcc, s[78:79], v[64:65]
	v_cndmask_b32_e32 v65, v133, v65, vcc
	v_cndmask_b32_e32 v64, 0, v64, vcc
	v_lshrrev_b64 v[64:65], s84, v[64:65]
	v_and_b32_e32 v167, s68, v64
	s_or_b64 exec, exec, s[92:93]
	s_and_saveexec_b64 s[92:93], s[62:63]
	s_cbranch_execnz .LBB1251_864
.LBB1251_833:                           ;   in Loop: Header=BB1251_693 Depth=2
	s_or_b64 exec, exec, s[92:93]
	s_and_saveexec_b64 s[92:93], s[64:65]
	s_cbranch_execz .LBB1251_865
.LBB1251_834:                           ;   in Loop: Header=BB1251_693 Depth=2
	ds_read_b64 v[64:65], v104 offset:28672
	s_waitcnt lgkmcnt(0)
	v_cmp_ne_u64_e32 vcc, s[78:79], v[64:65]
	v_cndmask_b32_e32 v65, v133, v65, vcc
	v_cndmask_b32_e32 v64, 0, v64, vcc
	v_lshrrev_b64 v[64:65], s84, v[64:65]
	v_and_b32_e32 v165, s68, v64
	s_or_b64 exec, exec, s[92:93]
	s_and_saveexec_b64 s[92:93], s[66:67]
	s_cbranch_execnz .LBB1251_866
	s_branch .LBB1251_867
.LBB1251_835:                           ;   in Loop: Header=BB1251_693 Depth=2
	s_or_b64 exec, exec, s[92:93]
	v_cmp_lt_u32_e32 vcc, v144, v183
	s_and_saveexec_b64 s[92:93], vcc
	s_cbranch_execz .LBB1251_805
.LBB1251_836:                           ;   in Loop: Header=BB1251_693 Depth=2
	global_load_dwordx2 v[60:61], v[64:65], off offset:512
	s_or_b64 exec, exec, s[92:93]
	v_cmp_lt_u32_e32 vcc, v145, v183
	s_and_saveexec_b64 s[92:93], vcc
	s_cbranch_execnz .LBB1251_806
.LBB1251_837:                           ;   in Loop: Header=BB1251_693 Depth=2
	s_or_b64 exec, exec, s[92:93]
	v_cmp_lt_u32_e32 vcc, v146, v183
	s_and_saveexec_b64 s[92:93], vcc
	s_cbranch_execz .LBB1251_807
.LBB1251_838:                           ;   in Loop: Header=BB1251_693 Depth=2
	global_load_dwordx2 v[54:55], v[64:65], off offset:1536
	s_or_b64 exec, exec, s[92:93]
	v_cmp_lt_u32_e32 vcc, v147, v183
	s_and_saveexec_b64 s[92:93], vcc
	s_cbranch_execnz .LBB1251_808
.LBB1251_839:                           ;   in Loop: Header=BB1251_693 Depth=2
	s_or_b64 exec, exec, s[92:93]
	v_cmp_lt_u32_e32 vcc, v148, v183
	s_and_saveexec_b64 s[92:93], vcc
	s_cbranch_execz .LBB1251_809
.LBB1251_840:                           ;   in Loop: Header=BB1251_693 Depth=2
	global_load_dwordx2 v[46:47], v[64:65], off offset:2560
	s_or_b64 exec, exec, s[92:93]
	v_cmp_lt_u32_e32 vcc, v149, v183
	s_and_saveexec_b64 s[92:93], vcc
	s_cbranch_execnz .LBB1251_810
.LBB1251_841:                           ;   in Loop: Header=BB1251_693 Depth=2
	s_or_b64 exec, exec, s[92:93]
	v_cmp_lt_u32_e32 vcc, v150, v183
	s_and_saveexec_b64 s[92:93], vcc
	s_cbranch_execz .LBB1251_811
.LBB1251_842:                           ;   in Loop: Header=BB1251_693 Depth=2
	global_load_dwordx2 v[38:39], v[64:65], off offset:3584
	s_or_b64 exec, exec, s[92:93]
	v_cmp_lt_u32_e32 vcc, v151, v183
	s_and_saveexec_b64 s[92:93], vcc
	s_cbranch_execnz .LBB1251_812
.LBB1251_843:                           ;   in Loop: Header=BB1251_693 Depth=2
	s_or_b64 exec, exec, s[92:93]
	v_cmp_lt_u32_e32 vcc, v152, v183
	s_and_saveexec_b64 s[92:93], vcc
	s_cbranch_execz .LBB1251_813
.LBB1251_844:                           ;   in Loop: Header=BB1251_693 Depth=2
	v_add_co_u32_e32 v52, vcc, 0x1000, v64
	v_addc_co_u32_e32 v53, vcc, 0, v65, vcc
	global_load_dwordx2 v[52:53], v[52:53], off offset:512
	s_or_b64 exec, exec, s[92:93]
	v_cmp_lt_u32_e32 vcc, v153, v183
	s_and_saveexec_b64 s[92:93], vcc
	s_cbranch_execnz .LBB1251_814
.LBB1251_845:                           ;   in Loop: Header=BB1251_693 Depth=2
	s_or_b64 exec, exec, s[92:93]
	v_cmp_lt_u32_e32 vcc, v154, v183
	s_and_saveexec_b64 s[92:93], vcc
	s_cbranch_execz .LBB1251_815
.LBB1251_846:                           ;   in Loop: Header=BB1251_693 Depth=2
	v_add_co_u32_e32 v44, vcc, 0x1000, v64
	v_addc_co_u32_e32 v45, vcc, 0, v65, vcc
	global_load_dwordx2 v[44:45], v[44:45], off offset:1536
	s_or_b64 exec, exec, s[92:93]
	v_cmp_lt_u32_e32 vcc, v155, v183
	s_and_saveexec_b64 s[92:93], vcc
	s_cbranch_execnz .LBB1251_816
.LBB1251_847:                           ;   in Loop: Header=BB1251_693 Depth=2
	s_or_b64 exec, exec, s[92:93]
	v_cmp_lt_u32_e32 vcc, v156, v183
	s_and_saveexec_b64 s[92:93], vcc
	s_cbranch_execz .LBB1251_817
.LBB1251_848:                           ;   in Loop: Header=BB1251_693 Depth=2
	v_add_co_u32_e32 v36, vcc, 0x1000, v64
	v_addc_co_u32_e32 v37, vcc, 0, v65, vcc
	global_load_dwordx2 v[36:37], v[36:37], off offset:2560
	s_or_b64 exec, exec, s[92:93]
	v_cmp_lt_u32_e32 vcc, v157, v183
	s_and_saveexec_b64 s[92:93], vcc
	s_cbranch_execnz .LBB1251_818
.LBB1251_849:                           ;   in Loop: Header=BB1251_693 Depth=2
	s_or_b64 exec, exec, s[92:93]
	v_cmp_lt_u32_e32 vcc, v158, v183
	s_and_saveexec_b64 s[92:93], vcc
	s_cbranch_execz .LBB1251_819
.LBB1251_850:                           ;   in Loop: Header=BB1251_693 Depth=2
	v_add_co_u32_e32 v0, vcc, 0x1000, v64
	v_addc_co_u32_e32 v1, vcc, 0, v65, vcc
	global_load_dwordx2 v[0:1], v[0:1], off offset:3584
	s_or_b64 exec, exec, s[92:93]
	s_and_saveexec_b64 s[92:93], s[36:37]
	s_cbranch_execnz .LBB1251_820
.LBB1251_851:                           ;   in Loop: Header=BB1251_693 Depth=2
	s_or_b64 exec, exec, s[92:93]
	s_and_saveexec_b64 s[92:93], s[38:39]
	s_cbranch_execz .LBB1251_821
.LBB1251_852:                           ;   in Loop: Header=BB1251_693 Depth=2
	ds_read_b64 v[64:65], v104 offset:2048
	s_waitcnt lgkmcnt(0)
	v_cmp_ne_u64_e32 vcc, s[78:79], v[64:65]
	v_cndmask_b32_e32 v65, v133, v65, vcc
	v_cndmask_b32_e32 v64, 0, v64, vcc
	v_lshrrev_b64 v[64:65], s84, v[64:65]
	v_and_b32_e32 v181, s68, v64
	s_or_b64 exec, exec, s[92:93]
	s_and_saveexec_b64 s[92:93], s[40:41]
	s_cbranch_execnz .LBB1251_822
.LBB1251_853:                           ;   in Loop: Header=BB1251_693 Depth=2
	s_or_b64 exec, exec, s[92:93]
	s_and_saveexec_b64 s[92:93], s[42:43]
	s_cbranch_execz .LBB1251_823
.LBB1251_854:                           ;   in Loop: Header=BB1251_693 Depth=2
	ds_read_b64 v[64:65], v104 offset:6144
	s_waitcnt lgkmcnt(0)
	v_cmp_ne_u64_e32 vcc, s[78:79], v[64:65]
	v_cndmask_b32_e32 v65, v133, v65, vcc
	v_cndmask_b32_e32 v64, 0, v64, vcc
	v_lshrrev_b64 v[64:65], s84, v[64:65]
	v_and_b32_e32 v179, s68, v64
	s_or_b64 exec, exec, s[92:93]
	s_and_saveexec_b64 s[92:93], s[44:45]
	s_cbranch_execnz .LBB1251_824
.LBB1251_855:                           ;   in Loop: Header=BB1251_693 Depth=2
	s_or_b64 exec, exec, s[92:93]
	s_and_saveexec_b64 s[92:93], s[46:47]
	s_cbranch_execz .LBB1251_825
.LBB1251_856:                           ;   in Loop: Header=BB1251_693 Depth=2
	ds_read_b64 v[64:65], v104 offset:10240
	s_waitcnt lgkmcnt(0)
	v_cmp_ne_u64_e32 vcc, s[78:79], v[64:65]
	v_cndmask_b32_e32 v65, v133, v65, vcc
	v_cndmask_b32_e32 v64, 0, v64, vcc
	v_lshrrev_b64 v[64:65], s84, v[64:65]
	v_and_b32_e32 v176, s68, v64
	s_or_b64 exec, exec, s[92:93]
	s_and_saveexec_b64 s[92:93], s[48:49]
	s_cbranch_execnz .LBB1251_826
.LBB1251_857:                           ;   in Loop: Header=BB1251_693 Depth=2
	s_or_b64 exec, exec, s[92:93]
	s_and_saveexec_b64 s[92:93], s[50:51]
	s_cbranch_execz .LBB1251_827
.LBB1251_858:                           ;   in Loop: Header=BB1251_693 Depth=2
	ds_read_b64 v[64:65], v104 offset:14336
	s_waitcnt lgkmcnt(0)
	v_cmp_ne_u64_e32 vcc, s[78:79], v[64:65]
	v_cndmask_b32_e32 v65, v133, v65, vcc
	v_cndmask_b32_e32 v64, 0, v64, vcc
	v_lshrrev_b64 v[64:65], s84, v[64:65]
	v_and_b32_e32 v174, s68, v64
	s_or_b64 exec, exec, s[92:93]
	s_and_saveexec_b64 s[92:93], s[52:53]
	s_cbranch_execnz .LBB1251_828
.LBB1251_859:                           ;   in Loop: Header=BB1251_693 Depth=2
	s_or_b64 exec, exec, s[92:93]
	s_and_saveexec_b64 s[92:93], s[54:55]
	s_cbranch_execz .LBB1251_829
.LBB1251_860:                           ;   in Loop: Header=BB1251_693 Depth=2
	ds_read_b64 v[64:65], v104 offset:18432
	s_waitcnt lgkmcnt(0)
	v_cmp_ne_u64_e32 vcc, s[78:79], v[64:65]
	v_cndmask_b32_e32 v65, v133, v65, vcc
	v_cndmask_b32_e32 v64, 0, v64, vcc
	v_lshrrev_b64 v[64:65], s84, v[64:65]
	v_and_b32_e32 v171, s68, v64
	s_or_b64 exec, exec, s[92:93]
	s_and_saveexec_b64 s[92:93], s[56:57]
	s_cbranch_execnz .LBB1251_830
.LBB1251_861:                           ;   in Loop: Header=BB1251_693 Depth=2
	s_or_b64 exec, exec, s[92:93]
	s_and_saveexec_b64 s[92:93], s[58:59]
	s_cbranch_execz .LBB1251_831
.LBB1251_862:                           ;   in Loop: Header=BB1251_693 Depth=2
	ds_read_b64 v[64:65], v104 offset:22528
	s_waitcnt lgkmcnt(0)
	v_cmp_ne_u64_e32 vcc, s[78:79], v[64:65]
	v_cndmask_b32_e32 v65, v133, v65, vcc
	v_cndmask_b32_e32 v64, 0, v64, vcc
	v_lshrrev_b64 v[64:65], s84, v[64:65]
	v_and_b32_e32 v168, s68, v64
	s_or_b64 exec, exec, s[92:93]
	s_and_saveexec_b64 s[92:93], s[60:61]
	s_cbranch_execnz .LBB1251_832
.LBB1251_863:                           ;   in Loop: Header=BB1251_693 Depth=2
	s_or_b64 exec, exec, s[92:93]
	s_and_saveexec_b64 s[92:93], s[62:63]
	s_cbranch_execz .LBB1251_833
.LBB1251_864:                           ;   in Loop: Header=BB1251_693 Depth=2
	ds_read_b64 v[64:65], v104 offset:26624
	s_waitcnt lgkmcnt(0)
	v_cmp_ne_u64_e32 vcc, s[78:79], v[64:65]
	v_cndmask_b32_e32 v65, v133, v65, vcc
	v_cndmask_b32_e32 v64, 0, v64, vcc
	v_lshrrev_b64 v[64:65], s84, v[64:65]
	v_and_b32_e32 v166, s68, v64
	s_or_b64 exec, exec, s[92:93]
	s_and_saveexec_b64 s[92:93], s[64:65]
	s_cbranch_execnz .LBB1251_834
.LBB1251_865:                           ;   in Loop: Header=BB1251_693 Depth=2
	s_or_b64 exec, exec, s[92:93]
	s_and_saveexec_b64 s[92:93], s[66:67]
	s_cbranch_execz .LBB1251_867
.LBB1251_866:                           ;   in Loop: Header=BB1251_693 Depth=2
	ds_read_b64 v[64:65], v104 offset:30720
	s_waitcnt lgkmcnt(0)
	v_cmp_ne_u64_e32 vcc, s[78:79], v[64:65]
	v_cndmask_b32_e32 v65, v133, v65, vcc
	v_cndmask_b32_e32 v64, 0, v64, vcc
	v_lshrrev_b64 v[64:65], s84, v[64:65]
	v_and_b32_e32 v164, s68, v64
.LBB1251_867:                           ;   in Loop: Header=BB1251_693 Depth=2
	s_or_b64 exec, exec, s[92:93]
	v_add_u32_e32 v64, 0x400, v96
	v_add_u32_e32 v65, 0x400, v97
	;; [unrolled: 1-line block ×16, first 2 shown]
	s_barrier
	s_waitcnt vmcnt(0)
	ds_write_b64 v64, v[62:63]
	ds_write_b64 v65, v[60:61]
	;; [unrolled: 1-line block ×16, first 2 shown]
	s_waitcnt lgkmcnt(0)
	s_barrier
	s_and_saveexec_b64 s[92:93], s[36:37]
	s_cbranch_execz .LBB1251_883
; %bb.868:                              ;   in Loop: Header=BB1251_693 Depth=2
	v_lshlrev_b32_e32 v64, 2, v182
	ds_read_b32 v66, v64
	v_add_u32_e32 v64, v33, v3
	ds_read_b64 v[64:65], v64 offset:1024
	v_mov_b32_e32 v67, v4
	v_mov_b32_e32 v68, s81
	s_waitcnt lgkmcnt(1)
	v_add_u32_e32 v66, v66, v2
	v_lshlrev_b64 v[66:67], 3, v[66:67]
	v_add_co_u32_e32 v66, vcc, s80, v66
	v_addc_co_u32_e32 v67, vcc, v68, v67, vcc
	s_waitcnt lgkmcnt(0)
	global_store_dwordx2 v[66:67], v[64:65], off
	s_or_b64 exec, exec, s[92:93]
	s_and_saveexec_b64 s[36:37], s[38:39]
	s_cbranch_execnz .LBB1251_884
.LBB1251_869:                           ;   in Loop: Header=BB1251_693 Depth=2
	s_or_b64 exec, exec, s[36:37]
	s_and_saveexec_b64 s[36:37], s[40:41]
	s_cbranch_execz .LBB1251_885
.LBB1251_870:                           ;   in Loop: Header=BB1251_693 Depth=2
	v_lshlrev_b32_e32 v64, 2, v180
	ds_read_b32 v66, v64
	ds_read_b64 v[64:65], v104 offset:4096
	v_mov_b32_e32 v67, v4
	v_mov_b32_e32 v68, s81
	s_waitcnt lgkmcnt(1)
	v_add_u32_e32 v66, v66, v6
	v_lshlrev_b64 v[66:67], 3, v[66:67]
	v_add_co_u32_e32 v66, vcc, s80, v66
	v_addc_co_u32_e32 v67, vcc, v68, v67, vcc
	s_waitcnt lgkmcnt(0)
	global_store_dwordx2 v[66:67], v[64:65], off
	s_or_b64 exec, exec, s[36:37]
	s_and_saveexec_b64 s[36:37], s[42:43]
	s_cbranch_execnz .LBB1251_886
.LBB1251_871:                           ;   in Loop: Header=BB1251_693 Depth=2
	s_or_b64 exec, exec, s[36:37]
	s_and_saveexec_b64 s[36:37], s[44:45]
	s_cbranch_execz .LBB1251_887
.LBB1251_872:                           ;   in Loop: Header=BB1251_693 Depth=2
	v_lshlrev_b32_e32 v64, 2, v178
	ds_read_b32 v66, v64
	ds_read_b64 v[64:65], v104 offset:8192
	v_mov_b32_e32 v67, v4
	v_mov_b32_e32 v68, s81
	s_waitcnt lgkmcnt(1)
	v_add_u32_e32 v66, v66, v10
	v_lshlrev_b64 v[66:67], 3, v[66:67]
	v_add_co_u32_e32 v66, vcc, s80, v66
	v_addc_co_u32_e32 v67, vcc, v68, v67, vcc
	s_waitcnt lgkmcnt(0)
	global_store_dwordx2 v[66:67], v[64:65], off
	s_or_b64 exec, exec, s[36:37]
	s_and_saveexec_b64 s[36:37], s[46:47]
	s_cbranch_execnz .LBB1251_888
.LBB1251_873:                           ;   in Loop: Header=BB1251_693 Depth=2
	s_or_b64 exec, exec, s[36:37]
	s_and_saveexec_b64 s[36:37], s[48:49]
	s_cbranch_execz .LBB1251_889
.LBB1251_874:                           ;   in Loop: Header=BB1251_693 Depth=2
	v_lshlrev_b32_e32 v64, 2, v175
	ds_read_b32 v66, v64
	ds_read_b64 v[64:65], v104 offset:12288
	v_mov_b32_e32 v67, v4
	v_mov_b32_e32 v68, s81
	s_waitcnt lgkmcnt(1)
	v_add_u32_e32 v66, v66, v14
	v_lshlrev_b64 v[66:67], 3, v[66:67]
	v_add_co_u32_e32 v66, vcc, s80, v66
	v_addc_co_u32_e32 v67, vcc, v68, v67, vcc
	s_waitcnt lgkmcnt(0)
	global_store_dwordx2 v[66:67], v[64:65], off
	s_or_b64 exec, exec, s[36:37]
	s_and_saveexec_b64 s[36:37], s[50:51]
	s_cbranch_execnz .LBB1251_890
.LBB1251_875:                           ;   in Loop: Header=BB1251_693 Depth=2
	s_or_b64 exec, exec, s[36:37]
	s_and_saveexec_b64 s[36:37], s[52:53]
	s_cbranch_execz .LBB1251_891
.LBB1251_876:                           ;   in Loop: Header=BB1251_693 Depth=2
	v_lshlrev_b32_e32 v64, 2, v172
	ds_read_b32 v66, v64
	ds_read_b64 v[64:65], v104 offset:16384
	v_mov_b32_e32 v67, v4
	v_mov_b32_e32 v68, s81
	s_waitcnt lgkmcnt(1)
	v_add_u32_e32 v66, v66, v18
	v_lshlrev_b64 v[66:67], 3, v[66:67]
	v_add_co_u32_e32 v66, vcc, s80, v66
	v_addc_co_u32_e32 v67, vcc, v68, v67, vcc
	s_waitcnt lgkmcnt(0)
	global_store_dwordx2 v[66:67], v[64:65], off
	s_or_b64 exec, exec, s[36:37]
	s_and_saveexec_b64 s[36:37], s[54:55]
	s_cbranch_execnz .LBB1251_892
.LBB1251_877:                           ;   in Loop: Header=BB1251_693 Depth=2
	s_or_b64 exec, exec, s[36:37]
	s_and_saveexec_b64 s[36:37], s[56:57]
	s_cbranch_execz .LBB1251_893
.LBB1251_878:                           ;   in Loop: Header=BB1251_693 Depth=2
	v_lshlrev_b32_e32 v64, 2, v169
	ds_read_b32 v66, v64
	ds_read_b64 v[64:65], v104 offset:20480
	v_mov_b32_e32 v67, v4
	v_mov_b32_e32 v68, s81
	s_waitcnt lgkmcnt(1)
	v_add_u32_e32 v66, v66, v22
	v_lshlrev_b64 v[66:67], 3, v[66:67]
	v_add_co_u32_e32 v66, vcc, s80, v66
	v_addc_co_u32_e32 v67, vcc, v68, v67, vcc
	s_waitcnt lgkmcnt(0)
	global_store_dwordx2 v[66:67], v[64:65], off
	s_or_b64 exec, exec, s[36:37]
	s_and_saveexec_b64 s[36:37], s[58:59]
	s_cbranch_execnz .LBB1251_894
.LBB1251_879:                           ;   in Loop: Header=BB1251_693 Depth=2
	s_or_b64 exec, exec, s[36:37]
	s_and_saveexec_b64 s[36:37], s[60:61]
	s_cbranch_execz .LBB1251_895
.LBB1251_880:                           ;   in Loop: Header=BB1251_693 Depth=2
	v_lshlrev_b32_e32 v64, 2, v167
	ds_read_b32 v66, v64
	ds_read_b64 v[64:65], v104 offset:24576
	v_mov_b32_e32 v67, v4
	v_mov_b32_e32 v68, s81
	s_waitcnt lgkmcnt(1)
	v_add_u32_e32 v66, v66, v26
	v_lshlrev_b64 v[66:67], 3, v[66:67]
	v_add_co_u32_e32 v66, vcc, s80, v66
	v_addc_co_u32_e32 v67, vcc, v68, v67, vcc
	s_waitcnt lgkmcnt(0)
	global_store_dwordx2 v[66:67], v[64:65], off
	s_or_b64 exec, exec, s[36:37]
	s_and_saveexec_b64 s[36:37], s[62:63]
	s_cbranch_execnz .LBB1251_896
.LBB1251_881:                           ;   in Loop: Header=BB1251_693 Depth=2
	s_or_b64 exec, exec, s[36:37]
	s_and_saveexec_b64 s[36:37], s[64:65]
	s_cbranch_execz .LBB1251_897
.LBB1251_882:                           ;   in Loop: Header=BB1251_693 Depth=2
	v_lshlrev_b32_e32 v64, 2, v165
	ds_read_b32 v66, v64
	ds_read_b64 v[64:65], v104 offset:28672
	v_mov_b32_e32 v67, v4
	v_mov_b32_e32 v68, s81
	s_waitcnt lgkmcnt(1)
	v_add_u32_e32 v66, v66, v30
	v_lshlrev_b64 v[66:67], 3, v[66:67]
	v_add_co_u32_e32 v66, vcc, s80, v66
	v_addc_co_u32_e32 v67, vcc, v68, v67, vcc
	s_waitcnt lgkmcnt(0)
	global_store_dwordx2 v[66:67], v[64:65], off
	s_or_b64 exec, exec, s[36:37]
	s_and_saveexec_b64 s[36:37], s[66:67]
	s_cbranch_execnz .LBB1251_898
	s_branch .LBB1251_899
.LBB1251_883:                           ;   in Loop: Header=BB1251_693 Depth=2
	s_or_b64 exec, exec, s[92:93]
	s_and_saveexec_b64 s[36:37], s[38:39]
	s_cbranch_execz .LBB1251_869
.LBB1251_884:                           ;   in Loop: Header=BB1251_693 Depth=2
	v_lshlrev_b32_e32 v64, 2, v181
	ds_read_b32 v66, v64
	ds_read_b64 v[64:65], v104 offset:2048
	v_mov_b32_e32 v67, v4
	v_mov_b32_e32 v68, s81
	s_waitcnt lgkmcnt(1)
	v_add_u32_e32 v66, v66, v7
	v_lshlrev_b64 v[66:67], 3, v[66:67]
	v_add_co_u32_e32 v66, vcc, s80, v66
	v_addc_co_u32_e32 v67, vcc, v68, v67, vcc
	s_waitcnt lgkmcnt(0)
	global_store_dwordx2 v[66:67], v[64:65], off
	s_or_b64 exec, exec, s[36:37]
	s_and_saveexec_b64 s[36:37], s[40:41]
	s_cbranch_execnz .LBB1251_870
.LBB1251_885:                           ;   in Loop: Header=BB1251_693 Depth=2
	s_or_b64 exec, exec, s[36:37]
	s_and_saveexec_b64 s[36:37], s[42:43]
	s_cbranch_execz .LBB1251_871
.LBB1251_886:                           ;   in Loop: Header=BB1251_693 Depth=2
	v_lshlrev_b32_e32 v64, 2, v179
	ds_read_b32 v66, v64
	ds_read_b64 v[64:65], v104 offset:6144
	v_mov_b32_e32 v67, v4
	v_mov_b32_e32 v68, s81
	s_waitcnt lgkmcnt(1)
	v_add_u32_e32 v66, v66, v8
	v_lshlrev_b64 v[66:67], 3, v[66:67]
	v_add_co_u32_e32 v66, vcc, s80, v66
	v_addc_co_u32_e32 v67, vcc, v68, v67, vcc
	s_waitcnt lgkmcnt(0)
	global_store_dwordx2 v[66:67], v[64:65], off
	s_or_b64 exec, exec, s[36:37]
	s_and_saveexec_b64 s[36:37], s[44:45]
	s_cbranch_execnz .LBB1251_872
.LBB1251_887:                           ;   in Loop: Header=BB1251_693 Depth=2
	s_or_b64 exec, exec, s[36:37]
	s_and_saveexec_b64 s[36:37], s[46:47]
	s_cbranch_execz .LBB1251_873
.LBB1251_888:                           ;   in Loop: Header=BB1251_693 Depth=2
	v_lshlrev_b32_e32 v64, 2, v176
	ds_read_b32 v66, v64
	ds_read_b64 v[64:65], v104 offset:10240
	v_mov_b32_e32 v67, v4
	v_mov_b32_e32 v68, s81
	s_waitcnt lgkmcnt(1)
	v_add_u32_e32 v66, v66, v12
	v_lshlrev_b64 v[66:67], 3, v[66:67]
	v_add_co_u32_e32 v66, vcc, s80, v66
	v_addc_co_u32_e32 v67, vcc, v68, v67, vcc
	s_waitcnt lgkmcnt(0)
	global_store_dwordx2 v[66:67], v[64:65], off
	s_or_b64 exec, exec, s[36:37]
	s_and_saveexec_b64 s[36:37], s[48:49]
	s_cbranch_execnz .LBB1251_874
.LBB1251_889:                           ;   in Loop: Header=BB1251_693 Depth=2
	s_or_b64 exec, exec, s[36:37]
	s_and_saveexec_b64 s[36:37], s[50:51]
	s_cbranch_execz .LBB1251_875
.LBB1251_890:                           ;   in Loop: Header=BB1251_693 Depth=2
	v_lshlrev_b32_e32 v64, 2, v174
	ds_read_b32 v66, v64
	ds_read_b64 v[64:65], v104 offset:14336
	v_mov_b32_e32 v67, v4
	v_mov_b32_e32 v68, s81
	s_waitcnt lgkmcnt(1)
	v_add_u32_e32 v66, v66, v16
	v_lshlrev_b64 v[66:67], 3, v[66:67]
	v_add_co_u32_e32 v66, vcc, s80, v66
	v_addc_co_u32_e32 v67, vcc, v68, v67, vcc
	s_waitcnt lgkmcnt(0)
	global_store_dwordx2 v[66:67], v[64:65], off
	s_or_b64 exec, exec, s[36:37]
	s_and_saveexec_b64 s[36:37], s[52:53]
	s_cbranch_execnz .LBB1251_876
.LBB1251_891:                           ;   in Loop: Header=BB1251_693 Depth=2
	s_or_b64 exec, exec, s[36:37]
	s_and_saveexec_b64 s[36:37], s[54:55]
	s_cbranch_execz .LBB1251_877
.LBB1251_892:                           ;   in Loop: Header=BB1251_693 Depth=2
	v_lshlrev_b32_e32 v64, 2, v171
	ds_read_b32 v66, v64
	ds_read_b64 v[64:65], v104 offset:18432
	v_mov_b32_e32 v67, v4
	v_mov_b32_e32 v68, s81
	s_waitcnt lgkmcnt(1)
	v_add_u32_e32 v66, v66, v20
	v_lshlrev_b64 v[66:67], 3, v[66:67]
	v_add_co_u32_e32 v66, vcc, s80, v66
	v_addc_co_u32_e32 v67, vcc, v68, v67, vcc
	s_waitcnt lgkmcnt(0)
	global_store_dwordx2 v[66:67], v[64:65], off
	s_or_b64 exec, exec, s[36:37]
	s_and_saveexec_b64 s[36:37], s[56:57]
	s_cbranch_execnz .LBB1251_878
.LBB1251_893:                           ;   in Loop: Header=BB1251_693 Depth=2
	s_or_b64 exec, exec, s[36:37]
	s_and_saveexec_b64 s[36:37], s[58:59]
	s_cbranch_execz .LBB1251_879
.LBB1251_894:                           ;   in Loop: Header=BB1251_693 Depth=2
	v_lshlrev_b32_e32 v64, 2, v168
	ds_read_b32 v66, v64
	ds_read_b64 v[64:65], v104 offset:22528
	v_mov_b32_e32 v67, v4
	v_mov_b32_e32 v68, s81
	s_waitcnt lgkmcnt(1)
	v_add_u32_e32 v66, v66, v24
	v_lshlrev_b64 v[66:67], 3, v[66:67]
	v_add_co_u32_e32 v66, vcc, s80, v66
	v_addc_co_u32_e32 v67, vcc, v68, v67, vcc
	s_waitcnt lgkmcnt(0)
	global_store_dwordx2 v[66:67], v[64:65], off
	s_or_b64 exec, exec, s[36:37]
	s_and_saveexec_b64 s[36:37], s[60:61]
	s_cbranch_execnz .LBB1251_880
.LBB1251_895:                           ;   in Loop: Header=BB1251_693 Depth=2
	s_or_b64 exec, exec, s[36:37]
	s_and_saveexec_b64 s[36:37], s[62:63]
	s_cbranch_execz .LBB1251_881
.LBB1251_896:                           ;   in Loop: Header=BB1251_693 Depth=2
	v_lshlrev_b32_e32 v64, 2, v166
	ds_read_b32 v66, v64
	ds_read_b64 v[64:65], v104 offset:26624
	v_mov_b32_e32 v67, v4
	v_mov_b32_e32 v68, s81
	s_waitcnt lgkmcnt(1)
	v_add_u32_e32 v66, v66, v28
	v_lshlrev_b64 v[66:67], 3, v[66:67]
	v_add_co_u32_e32 v66, vcc, s80, v66
	v_addc_co_u32_e32 v67, vcc, v68, v67, vcc
	s_waitcnt lgkmcnt(0)
	global_store_dwordx2 v[66:67], v[64:65], off
	s_or_b64 exec, exec, s[36:37]
	s_and_saveexec_b64 s[36:37], s[64:65]
	s_cbranch_execnz .LBB1251_882
.LBB1251_897:                           ;   in Loop: Header=BB1251_693 Depth=2
	s_or_b64 exec, exec, s[36:37]
	s_and_saveexec_b64 s[36:37], s[66:67]
	s_cbranch_execz .LBB1251_899
.LBB1251_898:                           ;   in Loop: Header=BB1251_693 Depth=2
	v_lshlrev_b32_e32 v64, 2, v164
	ds_read_b32 v66, v64
	ds_read_b64 v[64:65], v104 offset:30720
	v_mov_b32_e32 v67, v4
	v_mov_b32_e32 v68, s81
	s_waitcnt lgkmcnt(1)
	v_add_u32_e32 v66, v66, v32
	v_lshlrev_b64 v[66:67], 3, v[66:67]
	v_add_co_u32_e32 v66, vcc, s80, v66
	v_addc_co_u32_e32 v67, vcc, v68, v67, vcc
	s_waitcnt lgkmcnt(0)
	global_store_dwordx2 v[66:67], v[64:65], off
.LBB1251_899:                           ;   in Loop: Header=BB1251_693 Depth=2
	s_or_b64 exec, exec, s[36:37]
	s_barrier
	s_and_saveexec_b64 s[36:37], s[4:5]
	s_cbranch_execz .LBB1251_692
; %bb.900:                              ;   in Loop: Header=BB1251_693 Depth=2
	ds_read_b32 v64, v3
	s_waitcnt lgkmcnt(0)
	v_add_u32_e32 v5, v64, v5
	ds_write_b32 v3, v5
	s_branch .LBB1251_692
.LBB1251_901:                           ;   in Loop: Header=BB1251_17 Depth=1
	s_waitcnt lgkmcnt(0)
	s_barrier
	s_mov_b64 s[16:17], 0
	v_readlane_b32 s49, v236, 2
.LBB1251_902:                           ;   in Loop: Header=BB1251_17 Depth=1
	s_and_b64 vcc, exec, s[16:17]
	s_cbranch_vccz .LBB1251_16
; %bb.903:                              ;   in Loop: Header=BB1251_17 Depth=1
	s_mov_b32 s22, s85
	s_mov_b32 s88, s49
	s_barrier
	s_waitcnt lgkmcnt(0)
                                        ; implicit-def: $vgpr62_vgpr63
                                        ; implicit-def: $vgpr0_vgpr1
                                        ; implicit-def: $vgpr34_vgpr35
                                        ; implicit-def: $vgpr36_vgpr37
                                        ; implicit-def: $vgpr38_vgpr39
                                        ; implicit-def: $vgpr40_vgpr41
                                        ; implicit-def: $vgpr42_vgpr43
                                        ; implicit-def: $vgpr44_vgpr45
                                        ; implicit-def: $vgpr46_vgpr47
                                        ; implicit-def: $vgpr48_vgpr49
                                        ; implicit-def: $vgpr50_vgpr51
                                        ; implicit-def: $vgpr52_vgpr53
                                        ; implicit-def: $vgpr54_vgpr55
                                        ; implicit-def: $vgpr56_vgpr57
                                        ; implicit-def: $vgpr58_vgpr59
                                        ; implicit-def: $vgpr60_vgpr61
	s_branch .LBB1251_905
.LBB1251_904:                           ;   in Loop: Header=BB1251_905 Depth=2
	s_or_b64 exec, exec, s[16:17]
	s_addk_i32 s22, 0xf000
	s_cmp_ge_u32 s23, s94
	s_mov_b32 s88, s23
	s_cbranch_scc1 .LBB1251_975
.LBB1251_905:                           ;   Parent Loop BB1251_17 Depth=1
                                        ; =>  This Inner Loop Header: Depth=2
	s_add_i32 s23, s88, 0x1000
	s_cmp_gt_u32 s23, s94
	s_cbranch_scc1 .LBB1251_908
; %bb.906:                              ;   in Loop: Header=BB1251_905 Depth=2
	s_lshl_b64 s[16:17], s[88:89], 3
	v_mov_b32_e32 v5, s17
	v_add_co_u32_e32 v64, vcc, s16, v111
	v_addc_co_u32_e32 v65, vcc, v112, v5, vcc
	s_waitcnt vmcnt(11)
	v_add_co_u32_e32 v72, vcc, 0x1000, v64
	v_addc_co_u32_e32 v73, vcc, 0, v65, vcc
	s_waitcnt vmcnt(5)
	;; [unrolled: 3-line block ×3, first 2 shown]
	v_add_co_u32_e32 v82, vcc, s96, v64
	v_addc_co_u32_e32 v83, vcc, 0, v65, vcc
	v_add_co_u32_e32 v86, vcc, s97, v64
	v_addc_co_u32_e32 v87, vcc, 0, v65, vcc
	;; [unrolled: 2-line block ×4, first 2 shown]
	global_load_dwordx2 v[66:67], v[64:65], off
	global_load_dwordx2 v[68:69], v[64:65], off offset:2048
	global_load_dwordx2 v[70:71], v[72:73], off
	s_nop 0
	global_load_dwordx2 v[72:73], v[72:73], off offset:2048
	s_nop 0
	global_load_dwordx2 v[74:75], v[82:83], off
	global_load_dwordx2 v[76:77], v[82:83], off offset:2048
	global_load_dwordx2 v[80:81], v[88:89], off offset:-4096
	global_load_dwordx2 v[84:85], v[88:89], off
	s_nop 0
	global_load_dwordx2 v[88:89], v[88:89], off offset:2048
	s_nop 0
	global_load_dwordx2 v[78:79], v[78:79], off offset:2048
	;; [unrolled: 2-line block ×3, first 2 shown]
	s_nop 0
	global_load_dwordx2 v[90:91], v[92:93], off
	s_nop 0
	global_load_dwordx2 v[92:93], v[92:93], off offset:2048
	s_waitcnt vmcnt(13)
	v_add_co_u32_e32 v94, vcc, 0x7000, v64
	v_addc_co_u32_e32 v95, vcc, 0, v65, vcc
	global_load_dwordx2 v[82:83], v[82:83], off offset:-4096
	s_nop 0
	global_load_dwordx2 v[94:95], v[94:95], off
	v_add_co_u32_e32 v64, vcc, 0x7800, v64
	s_movk_i32 s24, 0x1000
	v_addc_co_u32_e32 v65, vcc, 0, v65, vcc
	s_mov_b64 s[16:17], -1
	s_cbranch_execz .LBB1251_909
; %bb.907:                              ;   in Loop: Header=BB1251_905 Depth=2
                                        ; implicit-def: $vgpr60_vgpr61
                                        ; implicit-def: $vgpr58_vgpr59
                                        ; implicit-def: $vgpr56_vgpr57
                                        ; implicit-def: $vgpr54_vgpr55
                                        ; implicit-def: $vgpr52_vgpr53
                                        ; implicit-def: $vgpr50_vgpr51
                                        ; implicit-def: $vgpr48_vgpr49
                                        ; implicit-def: $vgpr46_vgpr47
                                        ; implicit-def: $vgpr44_vgpr45
                                        ; implicit-def: $vgpr42_vgpr43
                                        ; implicit-def: $vgpr40_vgpr41
                                        ; implicit-def: $vgpr38_vgpr39
                                        ; implicit-def: $vgpr36_vgpr37
                                        ; implicit-def: $vgpr34_vgpr35
                                        ; implicit-def: $vgpr0_vgpr1
                                        ; implicit-def: $vgpr62_vgpr63
	v_mov_b32_e32 v5, s22
	s_and_saveexec_b64 s[18:19], s[16:17]
	s_cbranch_execnz .LBB1251_928
	s_branch .LBB1251_929
.LBB1251_908:                           ;   in Loop: Header=BB1251_905 Depth=2
	s_mov_b64 s[16:17], 0
                                        ; implicit-def: $sgpr24
                                        ; implicit-def: $vgpr66_vgpr67
                                        ; implicit-def: $vgpr68_vgpr69
                                        ; implicit-def: $vgpr70_vgpr71
                                        ; implicit-def: $vgpr72_vgpr73
                                        ; implicit-def: $vgpr82_vgpr83
                                        ; implicit-def: $vgpr78_vgpr79
                                        ; implicit-def: $vgpr74_vgpr75
                                        ; implicit-def: $vgpr76_vgpr77
                                        ; implicit-def: $vgpr80_vgpr81
                                        ; implicit-def: $vgpr86_vgpr87
                                        ; implicit-def: $vgpr84_vgpr85
                                        ; implicit-def: $vgpr88_vgpr89
                                        ; implicit-def: $vgpr90_vgpr91
                                        ; implicit-def: $vgpr92_vgpr93
                                        ; implicit-def: $vgpr94_vgpr95
                                        ; implicit-def: $vgpr64_vgpr65
.LBB1251_909:                           ;   in Loop: Header=BB1251_905 Depth=2
	s_lshl_b64 s[18:19], s[88:89], 3
	s_add_u32 s18, s72, s18
	s_addc_u32 s19, s73, s19
	v_cmp_gt_u32_e32 vcc, s22, v2
	s_and_saveexec_b64 s[20:21], vcc
	s_cbranch_execz .LBB1251_961
; %bb.910:                              ;   in Loop: Header=BB1251_905 Depth=2
	global_load_dwordx2 v[60:61], v118, s[18:19]
	s_or_b64 exec, exec, s[20:21]
	v_cmp_gt_u32_e32 vcc, s22, v7
	s_and_saveexec_b64 s[20:21], vcc
	s_cbranch_execnz .LBB1251_962
.LBB1251_911:                           ;   in Loop: Header=BB1251_905 Depth=2
	s_or_b64 exec, exec, s[20:21]
	v_cmp_gt_u32_e32 vcc, s22, v6
	s_and_saveexec_b64 s[20:21], vcc
	s_cbranch_execz .LBB1251_963
.LBB1251_912:                           ;   in Loop: Header=BB1251_905 Depth=2
	global_load_dwordx2 v[56:57], v119, s[18:19]
	s_or_b64 exec, exec, s[20:21]
	v_cmp_gt_u32_e32 vcc, s22, v8
	s_and_saveexec_b64 s[20:21], vcc
	s_cbranch_execnz .LBB1251_964
.LBB1251_913:                           ;   in Loop: Header=BB1251_905 Depth=2
	s_or_b64 exec, exec, s[20:21]
	v_cmp_gt_u32_e32 vcc, s22, v10
	s_and_saveexec_b64 s[20:21], vcc
	s_cbranch_execz .LBB1251_965
.LBB1251_914:                           ;   in Loop: Header=BB1251_905 Depth=2
	global_load_dwordx2 v[52:53], v121, s[18:19]
	s_or_b64 exec, exec, s[20:21]
	v_cmp_gt_u32_e32 vcc, s22, v12
	s_and_saveexec_b64 s[20:21], vcc
	s_cbranch_execnz .LBB1251_966
.LBB1251_915:                           ;   in Loop: Header=BB1251_905 Depth=2
	s_or_b64 exec, exec, s[20:21]
	v_cmp_gt_u32_e32 vcc, s22, v14
	s_and_saveexec_b64 s[20:21], vcc
	s_cbranch_execz .LBB1251_967
.LBB1251_916:                           ;   in Loop: Header=BB1251_905 Depth=2
	global_load_dwordx2 v[48:49], v123, s[18:19]
	s_or_b64 exec, exec, s[20:21]
	v_cmp_gt_u32_e32 vcc, s22, v16
	s_and_saveexec_b64 s[20:21], vcc
	s_cbranch_execnz .LBB1251_968
.LBB1251_917:                           ;   in Loop: Header=BB1251_905 Depth=2
	s_or_b64 exec, exec, s[20:21]
	v_cmp_gt_u32_e32 vcc, s22, v18
	s_and_saveexec_b64 s[20:21], vcc
	s_cbranch_execz .LBB1251_969
.LBB1251_918:                           ;   in Loop: Header=BB1251_905 Depth=2
	global_load_dwordx2 v[44:45], v125, s[18:19]
	s_or_b64 exec, exec, s[20:21]
	v_cmp_gt_u32_e32 vcc, s22, v20
	s_and_saveexec_b64 s[20:21], vcc
	s_cbranch_execnz .LBB1251_970
.LBB1251_919:                           ;   in Loop: Header=BB1251_905 Depth=2
	s_or_b64 exec, exec, s[20:21]
	v_cmp_gt_u32_e32 vcc, s22, v22
	s_and_saveexec_b64 s[20:21], vcc
	s_cbranch_execz .LBB1251_971
.LBB1251_920:                           ;   in Loop: Header=BB1251_905 Depth=2
	global_load_dwordx2 v[40:41], v127, s[18:19]
	s_or_b64 exec, exec, s[20:21]
	v_cmp_gt_u32_e32 vcc, s22, v24
	s_and_saveexec_b64 s[20:21], vcc
	s_cbranch_execnz .LBB1251_972
.LBB1251_921:                           ;   in Loop: Header=BB1251_905 Depth=2
	s_or_b64 exec, exec, s[20:21]
	v_cmp_gt_u32_e32 vcc, s22, v26
	s_and_saveexec_b64 s[20:21], vcc
	s_cbranch_execz .LBB1251_973
.LBB1251_922:                           ;   in Loop: Header=BB1251_905 Depth=2
	global_load_dwordx2 v[36:37], v129, s[18:19]
	s_or_b64 exec, exec, s[20:21]
	v_cmp_gt_u32_e32 vcc, s22, v28
	s_and_saveexec_b64 s[20:21], vcc
	s_cbranch_execnz .LBB1251_974
.LBB1251_923:                           ;   in Loop: Header=BB1251_905 Depth=2
	s_or_b64 exec, exec, s[20:21]
	v_cmp_gt_u32_e32 vcc, s22, v30
	s_and_saveexec_b64 s[20:21], vcc
	s_cbranch_execz .LBB1251_925
.LBB1251_924:                           ;   in Loop: Header=BB1251_905 Depth=2
	global_load_dwordx2 v[0:1], v131, s[18:19]
.LBB1251_925:                           ;   in Loop: Header=BB1251_905 Depth=2
	s_or_b64 exec, exec, s[20:21]
	v_cmp_gt_u32_e32 vcc, s22, v32
                                        ; implicit-def: $sgpr24
                                        ; implicit-def: $vgpr64_vgpr65
	s_and_saveexec_b64 s[20:21], vcc
; %bb.926:                              ;   in Loop: Header=BB1251_905 Depth=2
	v_mov_b32_e32 v5, s19
	v_add_co_u32_e32 v64, vcc, s18, v132
	s_sub_i32 s24, s94, s88
	v_addc_co_u32_e32 v65, vcc, 0, v5, vcc
	s_or_b64 s[16:17], s[16:17], exec
                                        ; implicit-def: $vgpr62_vgpr63
; %bb.927:                              ;   in Loop: Header=BB1251_905 Depth=2
	s_or_b64 exec, exec, s[20:21]
	s_waitcnt vmcnt(0)
	v_pk_mov_b32 v[66:67], v[60:61], v[60:61] op_sel:[0,1]
	v_pk_mov_b32 v[68:69], v[58:59], v[58:59] op_sel:[0,1]
	;; [unrolled: 1-line block ×15, first 2 shown]
	v_mov_b32_e32 v5, s22
	s_and_saveexec_b64 s[18:19], s[16:17]
	s_cbranch_execz .LBB1251_929
.LBB1251_928:                           ;   in Loop: Header=BB1251_905 Depth=2
	global_load_dwordx2 v[62:63], v[64:65], off
	v_mov_b32_e32 v5, s24
	s_waitcnt vmcnt(1)
	v_pk_mov_b32 v[0:1], v[94:95], v[94:95] op_sel:[0,1]
	v_pk_mov_b32 v[34:35], v[92:93], v[92:93] op_sel:[0,1]
	;; [unrolled: 1-line block ×15, first 2 shown]
.LBB1251_929:                           ;   in Loop: Header=BB1251_905 Depth=2
	s_or_b64 exec, exec, s[18:19]
	v_cmp_lt_u32_e32 vcc, v2, v5
	s_and_saveexec_b64 s[16:17], vcc
	s_cbranch_execz .LBB1251_945
; %bb.930:                              ;   in Loop: Header=BB1251_905 Depth=2
	v_cmp_lt_i64_e32 vcc, -1, v[60:61]
	v_cndmask_b32_e32 v64, -1, v133, vcc
	s_waitcnt vmcnt(14)
	v_ashrrev_i32_e32 v66, 31, v61
	v_xor_b32_e32 v65, v64, v61
	v_xor_b32_e32 v64, v66, v60
	v_cmp_ne_u64_e32 vcc, s[78:79], v[64:65]
	v_cndmask_b32_e32 v65, v133, v65, vcc
	v_cndmask_b32_e32 v64, 0, v64, vcc
	v_lshrrev_b64 v[64:65], s84, v[64:65]
	v_and_b32_e32 v64, s68, v64
	v_lshl_or_b32 v64, v64, 4, v134
	ds_add_u32 v64, v117
	s_or_b64 exec, exec, s[16:17]
	v_cmp_lt_u32_e32 vcc, v7, v5
	s_and_saveexec_b64 s[16:17], vcc
	s_cbranch_execnz .LBB1251_946
.LBB1251_931:                           ;   in Loop: Header=BB1251_905 Depth=2
	s_or_b64 exec, exec, s[16:17]
	v_cmp_lt_u32_e32 vcc, v6, v5
	s_and_saveexec_b64 s[16:17], vcc
	s_cbranch_execz .LBB1251_947
.LBB1251_932:                           ;   in Loop: Header=BB1251_905 Depth=2
	v_cmp_lt_i64_e32 vcc, -1, v[56:57]
	v_cndmask_b32_e32 v64, -1, v133, vcc
	s_waitcnt vmcnt(14)
	v_ashrrev_i32_e32 v66, 31, v57
	v_xor_b32_e32 v65, v64, v57
	v_xor_b32_e32 v64, v66, v56
	v_cmp_ne_u64_e32 vcc, s[78:79], v[64:65]
	v_cndmask_b32_e32 v65, v133, v65, vcc
	v_cndmask_b32_e32 v64, 0, v64, vcc
	v_lshrrev_b64 v[64:65], s84, v[64:65]
	v_and_b32_e32 v64, s68, v64
	v_lshl_or_b32 v64, v64, 4, v134
	ds_add_u32 v64, v117
	s_or_b64 exec, exec, s[16:17]
	v_cmp_lt_u32_e32 vcc, v8, v5
	s_and_saveexec_b64 s[16:17], vcc
	s_cbranch_execnz .LBB1251_948
.LBB1251_933:                           ;   in Loop: Header=BB1251_905 Depth=2
	s_or_b64 exec, exec, s[16:17]
	v_cmp_lt_u32_e32 vcc, v10, v5
	s_and_saveexec_b64 s[16:17], vcc
	s_cbranch_execz .LBB1251_949
.LBB1251_934:                           ;   in Loop: Header=BB1251_905 Depth=2
	v_cmp_lt_i64_e32 vcc, -1, v[52:53]
	v_cndmask_b32_e32 v64, -1, v133, vcc
	s_waitcnt vmcnt(14)
	v_ashrrev_i32_e32 v66, 31, v53
	v_xor_b32_e32 v65, v64, v53
	v_xor_b32_e32 v64, v66, v52
	v_cmp_ne_u64_e32 vcc, s[78:79], v[64:65]
	v_cndmask_b32_e32 v65, v133, v65, vcc
	v_cndmask_b32_e32 v64, 0, v64, vcc
	v_lshrrev_b64 v[64:65], s84, v[64:65]
	v_and_b32_e32 v64, s68, v64
	v_lshl_or_b32 v64, v64, 4, v134
	ds_add_u32 v64, v117
	s_or_b64 exec, exec, s[16:17]
	v_cmp_lt_u32_e32 vcc, v12, v5
	s_and_saveexec_b64 s[16:17], vcc
	s_cbranch_execnz .LBB1251_950
.LBB1251_935:                           ;   in Loop: Header=BB1251_905 Depth=2
	s_or_b64 exec, exec, s[16:17]
	v_cmp_lt_u32_e32 vcc, v14, v5
	s_and_saveexec_b64 s[16:17], vcc
	s_cbranch_execz .LBB1251_951
.LBB1251_936:                           ;   in Loop: Header=BB1251_905 Depth=2
	v_cmp_lt_i64_e32 vcc, -1, v[48:49]
	v_cndmask_b32_e32 v64, -1, v133, vcc
	s_waitcnt vmcnt(14)
	v_ashrrev_i32_e32 v66, 31, v49
	v_xor_b32_e32 v65, v64, v49
	v_xor_b32_e32 v64, v66, v48
	v_cmp_ne_u64_e32 vcc, s[78:79], v[64:65]
	v_cndmask_b32_e32 v65, v133, v65, vcc
	v_cndmask_b32_e32 v64, 0, v64, vcc
	v_lshrrev_b64 v[64:65], s84, v[64:65]
	v_and_b32_e32 v64, s68, v64
	v_lshl_or_b32 v64, v64, 4, v134
	ds_add_u32 v64, v117
	s_or_b64 exec, exec, s[16:17]
	v_cmp_lt_u32_e32 vcc, v16, v5
	s_and_saveexec_b64 s[16:17], vcc
	s_cbranch_execnz .LBB1251_952
.LBB1251_937:                           ;   in Loop: Header=BB1251_905 Depth=2
	s_or_b64 exec, exec, s[16:17]
	v_cmp_lt_u32_e32 vcc, v18, v5
	s_and_saveexec_b64 s[16:17], vcc
	s_cbranch_execz .LBB1251_953
.LBB1251_938:                           ;   in Loop: Header=BB1251_905 Depth=2
	v_cmp_lt_i64_e32 vcc, -1, v[44:45]
	v_cndmask_b32_e32 v64, -1, v133, vcc
	s_waitcnt vmcnt(14)
	v_ashrrev_i32_e32 v66, 31, v45
	v_xor_b32_e32 v65, v64, v45
	v_xor_b32_e32 v64, v66, v44
	v_cmp_ne_u64_e32 vcc, s[78:79], v[64:65]
	v_cndmask_b32_e32 v65, v133, v65, vcc
	v_cndmask_b32_e32 v64, 0, v64, vcc
	v_lshrrev_b64 v[64:65], s84, v[64:65]
	v_and_b32_e32 v64, s68, v64
	v_lshl_or_b32 v64, v64, 4, v134
	ds_add_u32 v64, v117
	s_or_b64 exec, exec, s[16:17]
	v_cmp_lt_u32_e32 vcc, v20, v5
	s_and_saveexec_b64 s[16:17], vcc
	s_cbranch_execnz .LBB1251_954
.LBB1251_939:                           ;   in Loop: Header=BB1251_905 Depth=2
	s_or_b64 exec, exec, s[16:17]
	v_cmp_lt_u32_e32 vcc, v22, v5
	s_and_saveexec_b64 s[16:17], vcc
	s_cbranch_execz .LBB1251_955
.LBB1251_940:                           ;   in Loop: Header=BB1251_905 Depth=2
	v_cmp_lt_i64_e32 vcc, -1, v[40:41]
	v_cndmask_b32_e32 v64, -1, v133, vcc
	s_waitcnt vmcnt(14)
	v_ashrrev_i32_e32 v66, 31, v41
	v_xor_b32_e32 v65, v64, v41
	v_xor_b32_e32 v64, v66, v40
	v_cmp_ne_u64_e32 vcc, s[78:79], v[64:65]
	v_cndmask_b32_e32 v65, v133, v65, vcc
	v_cndmask_b32_e32 v64, 0, v64, vcc
	v_lshrrev_b64 v[64:65], s84, v[64:65]
	v_and_b32_e32 v64, s68, v64
	v_lshl_or_b32 v64, v64, 4, v134
	ds_add_u32 v64, v117
	s_or_b64 exec, exec, s[16:17]
	v_cmp_lt_u32_e32 vcc, v24, v5
	s_and_saveexec_b64 s[16:17], vcc
	s_cbranch_execnz .LBB1251_956
.LBB1251_941:                           ;   in Loop: Header=BB1251_905 Depth=2
	s_or_b64 exec, exec, s[16:17]
	v_cmp_lt_u32_e32 vcc, v26, v5
	s_and_saveexec_b64 s[16:17], vcc
	s_cbranch_execz .LBB1251_957
.LBB1251_942:                           ;   in Loop: Header=BB1251_905 Depth=2
	v_cmp_lt_i64_e32 vcc, -1, v[36:37]
	v_cndmask_b32_e32 v64, -1, v133, vcc
	s_waitcnt vmcnt(14)
	v_ashrrev_i32_e32 v66, 31, v37
	v_xor_b32_e32 v65, v64, v37
	v_xor_b32_e32 v64, v66, v36
	v_cmp_ne_u64_e32 vcc, s[78:79], v[64:65]
	v_cndmask_b32_e32 v65, v133, v65, vcc
	v_cndmask_b32_e32 v64, 0, v64, vcc
	v_lshrrev_b64 v[64:65], s84, v[64:65]
	v_and_b32_e32 v64, s68, v64
	v_lshl_or_b32 v64, v64, 4, v134
	ds_add_u32 v64, v117
	s_or_b64 exec, exec, s[16:17]
	v_cmp_lt_u32_e32 vcc, v28, v5
	s_and_saveexec_b64 s[16:17], vcc
	s_cbranch_execnz .LBB1251_958
.LBB1251_943:                           ;   in Loop: Header=BB1251_905 Depth=2
	s_or_b64 exec, exec, s[16:17]
	v_cmp_lt_u32_e32 vcc, v30, v5
	s_and_saveexec_b64 s[16:17], vcc
	s_cbranch_execz .LBB1251_959
.LBB1251_944:                           ;   in Loop: Header=BB1251_905 Depth=2
	v_cmp_lt_i64_e32 vcc, -1, v[0:1]
	v_cndmask_b32_e32 v64, -1, v133, vcc
	s_waitcnt vmcnt(14)
	v_ashrrev_i32_e32 v66, 31, v1
	v_xor_b32_e32 v65, v64, v1
	v_xor_b32_e32 v64, v66, v0
	v_cmp_ne_u64_e32 vcc, s[78:79], v[64:65]
	v_cndmask_b32_e32 v65, v133, v65, vcc
	v_cndmask_b32_e32 v64, 0, v64, vcc
	v_lshrrev_b64 v[64:65], s84, v[64:65]
	v_and_b32_e32 v64, s68, v64
	v_lshl_or_b32 v64, v64, 4, v134
	ds_add_u32 v64, v117
	s_or_b64 exec, exec, s[16:17]
	v_cmp_lt_u32_e32 vcc, v32, v5
	s_and_saveexec_b64 s[16:17], vcc
	s_cbranch_execz .LBB1251_904
	s_branch .LBB1251_960
.LBB1251_945:                           ;   in Loop: Header=BB1251_905 Depth=2
	s_or_b64 exec, exec, s[16:17]
	v_cmp_lt_u32_e32 vcc, v7, v5
	s_and_saveexec_b64 s[16:17], vcc
	s_cbranch_execz .LBB1251_931
.LBB1251_946:                           ;   in Loop: Header=BB1251_905 Depth=2
	v_cmp_lt_i64_e32 vcc, -1, v[58:59]
	v_cndmask_b32_e32 v64, -1, v133, vcc
	s_waitcnt vmcnt(14)
	v_ashrrev_i32_e32 v66, 31, v59
	v_xor_b32_e32 v65, v64, v59
	v_xor_b32_e32 v64, v66, v58
	v_cmp_ne_u64_e32 vcc, s[78:79], v[64:65]
	v_cndmask_b32_e32 v65, v133, v65, vcc
	v_cndmask_b32_e32 v64, 0, v64, vcc
	v_lshrrev_b64 v[64:65], s84, v[64:65]
	v_and_b32_e32 v64, s68, v64
	v_lshl_or_b32 v64, v64, 4, v134
	ds_add_u32 v64, v117
	s_or_b64 exec, exec, s[16:17]
	v_cmp_lt_u32_e32 vcc, v6, v5
	s_and_saveexec_b64 s[16:17], vcc
	s_cbranch_execnz .LBB1251_932
.LBB1251_947:                           ;   in Loop: Header=BB1251_905 Depth=2
	s_or_b64 exec, exec, s[16:17]
	v_cmp_lt_u32_e32 vcc, v8, v5
	s_and_saveexec_b64 s[16:17], vcc
	s_cbranch_execz .LBB1251_933
.LBB1251_948:                           ;   in Loop: Header=BB1251_905 Depth=2
	v_cmp_lt_i64_e32 vcc, -1, v[54:55]
	v_cndmask_b32_e32 v64, -1, v133, vcc
	s_waitcnt vmcnt(14)
	v_ashrrev_i32_e32 v66, 31, v55
	v_xor_b32_e32 v65, v64, v55
	v_xor_b32_e32 v64, v66, v54
	v_cmp_ne_u64_e32 vcc, s[78:79], v[64:65]
	v_cndmask_b32_e32 v65, v133, v65, vcc
	v_cndmask_b32_e32 v64, 0, v64, vcc
	v_lshrrev_b64 v[64:65], s84, v[64:65]
	v_and_b32_e32 v64, s68, v64
	v_lshl_or_b32 v64, v64, 4, v134
	ds_add_u32 v64, v117
	s_or_b64 exec, exec, s[16:17]
	v_cmp_lt_u32_e32 vcc, v10, v5
	s_and_saveexec_b64 s[16:17], vcc
	s_cbranch_execnz .LBB1251_934
.LBB1251_949:                           ;   in Loop: Header=BB1251_905 Depth=2
	s_or_b64 exec, exec, s[16:17]
	v_cmp_lt_u32_e32 vcc, v12, v5
	s_and_saveexec_b64 s[16:17], vcc
	s_cbranch_execz .LBB1251_935
.LBB1251_950:                           ;   in Loop: Header=BB1251_905 Depth=2
	v_cmp_lt_i64_e32 vcc, -1, v[50:51]
	v_cndmask_b32_e32 v64, -1, v133, vcc
	s_waitcnt vmcnt(14)
	v_ashrrev_i32_e32 v66, 31, v51
	v_xor_b32_e32 v65, v64, v51
	v_xor_b32_e32 v64, v66, v50
	v_cmp_ne_u64_e32 vcc, s[78:79], v[64:65]
	v_cndmask_b32_e32 v65, v133, v65, vcc
	v_cndmask_b32_e32 v64, 0, v64, vcc
	v_lshrrev_b64 v[64:65], s84, v[64:65]
	v_and_b32_e32 v64, s68, v64
	v_lshl_or_b32 v64, v64, 4, v134
	ds_add_u32 v64, v117
	s_or_b64 exec, exec, s[16:17]
	v_cmp_lt_u32_e32 vcc, v14, v5
	s_and_saveexec_b64 s[16:17], vcc
	s_cbranch_execnz .LBB1251_936
.LBB1251_951:                           ;   in Loop: Header=BB1251_905 Depth=2
	s_or_b64 exec, exec, s[16:17]
	v_cmp_lt_u32_e32 vcc, v16, v5
	s_and_saveexec_b64 s[16:17], vcc
	s_cbranch_execz .LBB1251_937
.LBB1251_952:                           ;   in Loop: Header=BB1251_905 Depth=2
	v_cmp_lt_i64_e32 vcc, -1, v[46:47]
	v_cndmask_b32_e32 v64, -1, v133, vcc
	s_waitcnt vmcnt(14)
	v_ashrrev_i32_e32 v66, 31, v47
	v_xor_b32_e32 v65, v64, v47
	v_xor_b32_e32 v64, v66, v46
	v_cmp_ne_u64_e32 vcc, s[78:79], v[64:65]
	v_cndmask_b32_e32 v65, v133, v65, vcc
	v_cndmask_b32_e32 v64, 0, v64, vcc
	v_lshrrev_b64 v[64:65], s84, v[64:65]
	v_and_b32_e32 v64, s68, v64
	v_lshl_or_b32 v64, v64, 4, v134
	ds_add_u32 v64, v117
	s_or_b64 exec, exec, s[16:17]
	v_cmp_lt_u32_e32 vcc, v18, v5
	s_and_saveexec_b64 s[16:17], vcc
	s_cbranch_execnz .LBB1251_938
.LBB1251_953:                           ;   in Loop: Header=BB1251_905 Depth=2
	s_or_b64 exec, exec, s[16:17]
	v_cmp_lt_u32_e32 vcc, v20, v5
	s_and_saveexec_b64 s[16:17], vcc
	s_cbranch_execz .LBB1251_939
.LBB1251_954:                           ;   in Loop: Header=BB1251_905 Depth=2
	v_cmp_lt_i64_e32 vcc, -1, v[42:43]
	v_cndmask_b32_e32 v64, -1, v133, vcc
	s_waitcnt vmcnt(14)
	v_ashrrev_i32_e32 v66, 31, v43
	v_xor_b32_e32 v65, v64, v43
	v_xor_b32_e32 v64, v66, v42
	v_cmp_ne_u64_e32 vcc, s[78:79], v[64:65]
	v_cndmask_b32_e32 v65, v133, v65, vcc
	v_cndmask_b32_e32 v64, 0, v64, vcc
	v_lshrrev_b64 v[64:65], s84, v[64:65]
	v_and_b32_e32 v64, s68, v64
	v_lshl_or_b32 v64, v64, 4, v134
	ds_add_u32 v64, v117
	s_or_b64 exec, exec, s[16:17]
	v_cmp_lt_u32_e32 vcc, v22, v5
	s_and_saveexec_b64 s[16:17], vcc
	s_cbranch_execnz .LBB1251_940
.LBB1251_955:                           ;   in Loop: Header=BB1251_905 Depth=2
	s_or_b64 exec, exec, s[16:17]
	v_cmp_lt_u32_e32 vcc, v24, v5
	s_and_saveexec_b64 s[16:17], vcc
	s_cbranch_execz .LBB1251_941
.LBB1251_956:                           ;   in Loop: Header=BB1251_905 Depth=2
	v_cmp_lt_i64_e32 vcc, -1, v[38:39]
	v_cndmask_b32_e32 v64, -1, v133, vcc
	s_waitcnt vmcnt(14)
	v_ashrrev_i32_e32 v66, 31, v39
	v_xor_b32_e32 v65, v64, v39
	v_xor_b32_e32 v64, v66, v38
	v_cmp_ne_u64_e32 vcc, s[78:79], v[64:65]
	v_cndmask_b32_e32 v65, v133, v65, vcc
	v_cndmask_b32_e32 v64, 0, v64, vcc
	v_lshrrev_b64 v[64:65], s84, v[64:65]
	v_and_b32_e32 v64, s68, v64
	v_lshl_or_b32 v64, v64, 4, v134
	ds_add_u32 v64, v117
	s_or_b64 exec, exec, s[16:17]
	v_cmp_lt_u32_e32 vcc, v26, v5
	s_and_saveexec_b64 s[16:17], vcc
	s_cbranch_execnz .LBB1251_942
.LBB1251_957:                           ;   in Loop: Header=BB1251_905 Depth=2
	s_or_b64 exec, exec, s[16:17]
	v_cmp_lt_u32_e32 vcc, v28, v5
	s_and_saveexec_b64 s[16:17], vcc
	s_cbranch_execz .LBB1251_943
.LBB1251_958:                           ;   in Loop: Header=BB1251_905 Depth=2
	v_cmp_lt_i64_e32 vcc, -1, v[34:35]
	v_cndmask_b32_e32 v64, -1, v133, vcc
	s_waitcnt vmcnt(14)
	v_ashrrev_i32_e32 v66, 31, v35
	v_xor_b32_e32 v65, v64, v35
	v_xor_b32_e32 v64, v66, v34
	v_cmp_ne_u64_e32 vcc, s[78:79], v[64:65]
	v_cndmask_b32_e32 v65, v133, v65, vcc
	v_cndmask_b32_e32 v64, 0, v64, vcc
	v_lshrrev_b64 v[64:65], s84, v[64:65]
	v_and_b32_e32 v64, s68, v64
	v_lshl_or_b32 v64, v64, 4, v134
	ds_add_u32 v64, v117
	s_or_b64 exec, exec, s[16:17]
	v_cmp_lt_u32_e32 vcc, v30, v5
	s_and_saveexec_b64 s[16:17], vcc
	s_cbranch_execnz .LBB1251_944
.LBB1251_959:                           ;   in Loop: Header=BB1251_905 Depth=2
	s_or_b64 exec, exec, s[16:17]
	v_cmp_lt_u32_e32 vcc, v32, v5
	s_and_saveexec_b64 s[16:17], vcc
	s_cbranch_execz .LBB1251_904
.LBB1251_960:                           ;   in Loop: Header=BB1251_905 Depth=2
	s_waitcnt vmcnt(0)
	v_cmp_lt_i64_e32 vcc, -1, v[62:63]
	v_cndmask_b32_e32 v5, -1, v133, vcc
	v_ashrrev_i32_e32 v64, 31, v63
	v_xor_b32_e32 v65, v5, v63
	v_xor_b32_e32 v64, v64, v62
	v_cmp_ne_u64_e32 vcc, s[78:79], v[64:65]
	v_cndmask_b32_e32 v65, v133, v65, vcc
	v_cndmask_b32_e32 v64, 0, v64, vcc
	v_lshrrev_b64 v[64:65], s84, v[64:65]
	v_and_b32_e32 v5, s68, v64
	v_lshl_or_b32 v5, v5, 4, v134
	ds_add_u32 v5, v117
	s_branch .LBB1251_904
.LBB1251_961:                           ;   in Loop: Header=BB1251_905 Depth=2
	s_or_b64 exec, exec, s[20:21]
	v_cmp_gt_u32_e32 vcc, s22, v7
	s_and_saveexec_b64 s[20:21], vcc
	s_cbranch_execz .LBB1251_911
.LBB1251_962:                           ;   in Loop: Header=BB1251_905 Depth=2
	global_load_dwordx2 v[58:59], v118, s[18:19] offset:2048
	s_or_b64 exec, exec, s[20:21]
	v_cmp_gt_u32_e32 vcc, s22, v6
	s_and_saveexec_b64 s[20:21], vcc
	s_cbranch_execnz .LBB1251_912
.LBB1251_963:                           ;   in Loop: Header=BB1251_905 Depth=2
	s_or_b64 exec, exec, s[20:21]
	v_cmp_gt_u32_e32 vcc, s22, v8
	s_and_saveexec_b64 s[20:21], vcc
	s_cbranch_execz .LBB1251_913
.LBB1251_964:                           ;   in Loop: Header=BB1251_905 Depth=2
	global_load_dwordx2 v[54:55], v120, s[18:19]
	s_or_b64 exec, exec, s[20:21]
	v_cmp_gt_u32_e32 vcc, s22, v10
	s_and_saveexec_b64 s[20:21], vcc
	s_cbranch_execnz .LBB1251_914
.LBB1251_965:                           ;   in Loop: Header=BB1251_905 Depth=2
	s_or_b64 exec, exec, s[20:21]
	v_cmp_gt_u32_e32 vcc, s22, v12
	s_and_saveexec_b64 s[20:21], vcc
	s_cbranch_execz .LBB1251_915
.LBB1251_966:                           ;   in Loop: Header=BB1251_905 Depth=2
	global_load_dwordx2 v[50:51], v122, s[18:19]
	s_or_b64 exec, exec, s[20:21]
	v_cmp_gt_u32_e32 vcc, s22, v14
	s_and_saveexec_b64 s[20:21], vcc
	s_cbranch_execnz .LBB1251_916
.LBB1251_967:                           ;   in Loop: Header=BB1251_905 Depth=2
	s_or_b64 exec, exec, s[20:21]
	v_cmp_gt_u32_e32 vcc, s22, v16
	s_and_saveexec_b64 s[20:21], vcc
	s_cbranch_execz .LBB1251_917
.LBB1251_968:                           ;   in Loop: Header=BB1251_905 Depth=2
	global_load_dwordx2 v[46:47], v124, s[18:19]
	s_or_b64 exec, exec, s[20:21]
	v_cmp_gt_u32_e32 vcc, s22, v18
	s_and_saveexec_b64 s[20:21], vcc
	s_cbranch_execnz .LBB1251_918
.LBB1251_969:                           ;   in Loop: Header=BB1251_905 Depth=2
	s_or_b64 exec, exec, s[20:21]
	v_cmp_gt_u32_e32 vcc, s22, v20
	s_and_saveexec_b64 s[20:21], vcc
	s_cbranch_execz .LBB1251_919
.LBB1251_970:                           ;   in Loop: Header=BB1251_905 Depth=2
	global_load_dwordx2 v[42:43], v126, s[18:19]
	s_or_b64 exec, exec, s[20:21]
	v_cmp_gt_u32_e32 vcc, s22, v22
	s_and_saveexec_b64 s[20:21], vcc
	s_cbranch_execnz .LBB1251_920
.LBB1251_971:                           ;   in Loop: Header=BB1251_905 Depth=2
	s_or_b64 exec, exec, s[20:21]
	v_cmp_gt_u32_e32 vcc, s22, v24
	s_and_saveexec_b64 s[20:21], vcc
	s_cbranch_execz .LBB1251_921
.LBB1251_972:                           ;   in Loop: Header=BB1251_905 Depth=2
	global_load_dwordx2 v[38:39], v128, s[18:19]
	s_or_b64 exec, exec, s[20:21]
	v_cmp_gt_u32_e32 vcc, s22, v26
	s_and_saveexec_b64 s[20:21], vcc
	s_cbranch_execnz .LBB1251_922
.LBB1251_973:                           ;   in Loop: Header=BB1251_905 Depth=2
	s_or_b64 exec, exec, s[20:21]
	v_cmp_gt_u32_e32 vcc, s22, v28
	s_and_saveexec_b64 s[20:21], vcc
	s_cbranch_execz .LBB1251_923
.LBB1251_974:                           ;   in Loop: Header=BB1251_905 Depth=2
	global_load_dwordx2 v[34:35], v130, s[18:19]
	s_or_b64 exec, exec, s[20:21]
	v_cmp_gt_u32_e32 vcc, s22, v30
	s_and_saveexec_b64 s[20:21], vcc
	s_cbranch_execz .LBB1251_925
	s_branch .LBB1251_924
.LBB1251_975:                           ;   in Loop: Header=BB1251_17 Depth=1
	v_mov_b32_e32 v0, 0
	s_waitcnt lgkmcnt(0)
	s_barrier
	s_and_saveexec_b64 s[16:17], s[4:5]
	s_cbranch_execz .LBB1251_977
; %bb.976:                              ;   in Loop: Header=BB1251_17 Depth=1
	ds_read2_b64 v[34:37], v13 offset1:1
	s_waitcnt lgkmcnt(0)
	v_add_u32_e32 v0, v35, v34
	v_add3_u32 v0, v0, v36, v37
.LBB1251_977:                           ;   in Loop: Header=BB1251_17 Depth=1
	s_or_b64 exec, exec, s[16:17]
	s_nop 0
	v_mov_b32_dpp v1, v0 row_shr:1 row_mask:0xf bank_mask:0xf
	v_cmp_eq_u32_e64 s[16:17], 0, v136
	v_cndmask_b32_e64 v1, v1, 0, s[16:17]
	v_add_u32_e32 v0, v1, v0
	v_cmp_lt_u32_e64 s[18:19], 1, v136
	v_cmp_lt_u32_e64 s[20:21], 3, v136
	v_mov_b32_dpp v1, v0 row_shr:2 row_mask:0xf bank_mask:0xf
	v_cndmask_b32_e64 v1, 0, v1, s[18:19]
	v_add_u32_e32 v0, v0, v1
	v_cmp_lt_u32_e64 s[22:23], 7, v136
	v_cmp_lt_u32_e64 s[26:27], 31, v135
	v_mov_b32_dpp v1, v0 row_shr:4 row_mask:0xf bank_mask:0xf
	v_cndmask_b32_e64 v1, 0, v1, s[20:21]
	v_add_u32_e32 v0, v0, v1
	v_cmp_eq_u32_e64 s[24:25], 0, v138
	s_nop 0
	v_mov_b32_dpp v1, v0 row_shr:8 row_mask:0xf bank_mask:0xf
	v_cndmask_b32_e64 v1, 0, v1, s[22:23]
	v_add_u32_e32 v0, v0, v1
	s_nop 1
	v_mov_b32_dpp v1, v0 row_bcast:15 row_mask:0xf bank_mask:0xf
	v_and_b32_e32 v1, v137, v1
	v_add_u32_e32 v0, v0, v1
	s_nop 1
	v_mov_b32_dpp v1, v0 row_bcast:31 row_mask:0xf bank_mask:0xf
	v_cndmask_b32_e64 v1, 0, v1, s[26:27]
	v_add_u32_e32 v0, v0, v1
	s_and_saveexec_b64 s[28:29], s[6:7]
	v_readlane_b32 s38, v236, 2
	s_cbranch_execz .LBB1251_979
; %bb.978:                              ;   in Loop: Header=BB1251_17 Depth=1
	ds_write_b32 v17, v0
.LBB1251_979:                           ;   in Loop: Header=BB1251_17 Depth=1
	s_or_b64 exec, exec, s[28:29]
	s_waitcnt lgkmcnt(0)
	s_barrier
	s_and_saveexec_b64 s[28:29], s[8:9]
	s_cbranch_execz .LBB1251_981
; %bb.980:                              ;   in Loop: Header=BB1251_17 Depth=1
	ds_read_b32 v1, v19
	v_cmp_ne_u32_e32 vcc, 0, v139
	s_waitcnt lgkmcnt(0)
	v_mov_b32_dpp v5, v1 row_shr:1 row_mask:0xf bank_mask:0xf
	v_cndmask_b32_e32 v5, 0, v5, vcc
	v_add_u32_e32 v1, v5, v1
	v_cmp_lt_u32_e32 vcc, 1, v139
	s_nop 0
	v_mov_b32_dpp v5, v1 row_shr:2 row_mask:0xf bank_mask:0xf
	v_cndmask_b32_e32 v5, 0, v5, vcc
	v_add_u32_e32 v1, v1, v5
	ds_write_b32 v19, v1
.LBB1251_981:                           ;   in Loop: Header=BB1251_17 Depth=1
	s_or_b64 exec, exec, s[28:29]
	v_mov_b32_e32 v1, 0
	s_waitcnt lgkmcnt(0)
	s_barrier
	s_and_saveexec_b64 s[28:29], s[10:11]
	s_cbranch_execz .LBB1251_983
; %bb.982:                              ;   in Loop: Header=BB1251_17 Depth=1
	ds_read_b32 v1, v21
.LBB1251_983:                           ;   in Loop: Header=BB1251_17 Depth=1
	s_or_b64 exec, exec, s[28:29]
	v_cmp_lt_i32_e32 vcc, v140, v141
	v_cndmask_b32_e32 v5, v140, v135, vcc
	s_waitcnt lgkmcnt(0)
	v_add_u32_e32 v0, v1, v0
	v_lshlrev_b32_e32 v159, 2, v5
	ds_bpermute_b32 v0, v159, v0
	v_cmp_eq_u32_e64 s[28:29], 0, v135
	s_waitcnt lgkmcnt(0)
	s_barrier
	s_and_saveexec_b64 s[30:31], s[4:5]
	s_cbranch_execz .LBB1251_985
; %bb.984:                              ;   in Loop: Header=BB1251_17 Depth=1
	v_cndmask_b32_e64 v0, v0, v1, s[28:29]
	v_add_u32_e32 v0, s38, v0
	ds_write_b32 v3, v0
.LBB1251_985:                           ;   in Loop: Header=BB1251_17 Depth=1
	s_or_b64 exec, exec, s[30:31]
	s_load_dwordx2 s[30:31], s[90:91], 0x0
	v_readlane_b32 s34, v236, 1
	v_add_co_u32_e32 v160, vcc, v113, v142
	v_addc_co_u32_e32 v161, vcc, 0, v114, vcc
	s_waitcnt lgkmcnt(0)
	s_cmp_lt_u32 s34, s30
	v_readlane_b32 s30, v236, 0
	s_cselect_b32 s34, 12, 18
	s_cmp_lt_u32 s30, s31
	s_cselect_b32 s30, 14, 20
	s_add_u32 s30, s90, s30
	s_addc_u32 s31, s91, 0
	s_add_u32 s34, s90, s34
	global_load_ushort v5, v4, s[30:31]
	s_addc_u32 s35, s91, 0
	global_load_ushort v64, v4, s[34:35]
	v_add_co_u32_e32 v162, vcc, v115, v142
	v_addc_co_u32_e32 v163, vcc, 0, v116, vcc
	v_add_co_u32_e32 v170, vcc, 0x1e00, v162
	v_cmp_eq_u32_e64 s[30:31], 0, v139
	v_cmp_lt_u32_e64 s[34:35], 1, v139
	s_mov_b32 s69, s85
	v_addc_co_u32_e32 v173, vcc, 0, v163, vcc
	s_mov_b32 s88, s38
                                        ; implicit-def: $vgpr0_vgpr1
                                        ; implicit-def: $vgpr34_vgpr35
                                        ; implicit-def: $vgpr36_vgpr37
                                        ; implicit-def: $vgpr40_vgpr41
                                        ; implicit-def: $vgpr44_vgpr45
                                        ; implicit-def: $vgpr48_vgpr49
                                        ; implicit-def: $vgpr52_vgpr53
                                        ; implicit-def: $vgpr56_vgpr57
                                        ; implicit-def: $vgpr38_vgpr39
                                        ; implicit-def: $vgpr42_vgpr43
                                        ; implicit-def: $vgpr46_vgpr47
                                        ; implicit-def: $vgpr50_vgpr51
                                        ; implicit-def: $vgpr54_vgpr55
                                        ; implicit-def: $vgpr58_vgpr59
                                        ; implicit-def: $vgpr60_vgpr61
                                        ; implicit-def: $vgpr62_vgpr63
                                        ; implicit-def: $vgpr164
                                        ; implicit-def: $vgpr165
                                        ; implicit-def: $vgpr166
                                        ; implicit-def: $vgpr167
                                        ; implicit-def: $vgpr168
                                        ; implicit-def: $vgpr169
                                        ; implicit-def: $vgpr171
                                        ; implicit-def: $vgpr172
                                        ; implicit-def: $vgpr174
                                        ; implicit-def: $vgpr175
                                        ; implicit-def: $vgpr176
                                        ; implicit-def: $vgpr178
                                        ; implicit-def: $vgpr179
                                        ; implicit-def: $vgpr180
                                        ; implicit-def: $vgpr181
                                        ; implicit-def: $vgpr182
	s_waitcnt vmcnt(1)
	v_mad_u32_u24 v5, v23, v5, v25
	s_waitcnt vmcnt(0)
	v_mad_u64_u32 v[64:65], s[36:37], v5, v64, v[2:3]
	v_lshrrev_b32_e32 v177, 6, v64
	s_branch .LBB1251_987
.LBB1251_986:                           ;   in Loop: Header=BB1251_987 Depth=2
	s_or_b64 exec, exec, s[36:37]
	s_addk_i32 s69, 0xf000
	s_cmp_lt_u32 s86, s94
	s_mov_b32 s88, s86
	s_cbranch_scc0 .LBB1251_15
.LBB1251_987:                           ;   Parent Loop BB1251_17 Depth=1
                                        ; =>  This Inner Loop Header: Depth=2
	s_add_i32 s86, s88, 0x1000
	s_cmp_gt_u32 s86, s94
	s_cbranch_scc1 .LBB1251_989
; %bb.988:                              ;   in Loop: Header=BB1251_987 Depth=2
	s_lshl_b64 s[36:37], s[88:89], 3
	v_mov_b32_e32 v5, s37
	v_add_co_u32_e32 v68, vcc, s36, v162
	v_addc_co_u32_e32 v69, vcc, v163, v5, vcc
	global_load_dwordx2 v[64:65], v[68:69], off
	global_load_dwordx2 v[66:67], v[68:69], off offset:512
	global_load_dwordx2 v[74:75], v[68:69], off offset:1024
	;; [unrolled: 1-line block ×7, first 2 shown]
	v_add_co_u32_e32 v68, vcc, 0x1000, v68
	v_addc_co_u32_e32 v69, vcc, 0, v69, vcc
	global_load_dwordx2 v[92:93], v[68:69], off
	global_load_dwordx2 v[88:89], v[68:69], off offset:512
	global_load_dwordx2 v[84:85], v[68:69], off offset:1024
	;; [unrolled: 1-line block ×5, first 2 shown]
	s_nop 0
	global_load_dwordx2 v[68:69], v[68:69], off offset:3072
	s_movk_i32 s40, 0x1000
	s_mov_b64 s[36:37], -1
	s_cbranch_execz .LBB1251_990
	s_branch .LBB1251_1021
.LBB1251_989:                           ;   in Loop: Header=BB1251_987 Depth=2
	s_mov_b64 s[36:37], 0
                                        ; implicit-def: $sgpr40
                                        ; implicit-def: $vgpr64_vgpr65
                                        ; implicit-def: $vgpr66_vgpr67
                                        ; implicit-def: $vgpr74_vgpr75
                                        ; implicit-def: $vgpr78_vgpr79
                                        ; implicit-def: $vgpr82_vgpr83
                                        ; implicit-def: $vgpr86_vgpr87
                                        ; implicit-def: $vgpr90_vgpr91
                                        ; implicit-def: $vgpr94_vgpr95
                                        ; implicit-def: $vgpr92_vgpr93
                                        ; implicit-def: $vgpr88_vgpr89
                                        ; implicit-def: $vgpr84_vgpr85
                                        ; implicit-def: $vgpr80_vgpr81
                                        ; implicit-def: $vgpr76_vgpr77
                                        ; implicit-def: $vgpr72_vgpr73
                                        ; implicit-def: $vgpr68_vgpr69
.LBB1251_990:                           ;   in Loop: Header=BB1251_987 Depth=2
	s_lshl_b64 s[36:37], s[88:89], 3
	v_mov_b32_e32 v5, s37
	v_add_co_u32_e32 v70, vcc, s36, v162
	v_addc_co_u32_e32 v71, vcc, v163, v5, vcc
	v_cmp_gt_u32_e32 vcc, s69, v143
	s_waitcnt vmcnt(14)
	v_pk_mov_b32 v[64:65], s[78:79], s[78:79] op_sel:[0,1]
	s_and_saveexec_b64 s[36:37], vcc
	s_cbranch_execz .LBB1251_992
; %bb.991:                              ;   in Loop: Header=BB1251_987 Depth=2
	global_load_dwordx2 v[64:65], v[70:71], off
.LBB1251_992:                           ;   in Loop: Header=BB1251_987 Depth=2
	s_or_b64 exec, exec, s[36:37]
	v_cmp_gt_u32_e32 vcc, s69, v144
	s_waitcnt vmcnt(13)
	v_pk_mov_b32 v[66:67], s[78:79], s[78:79] op_sel:[0,1]
	s_and_saveexec_b64 s[36:37], vcc
	s_cbranch_execz .LBB1251_994
; %bb.993:                              ;   in Loop: Header=BB1251_987 Depth=2
	global_load_dwordx2 v[66:67], v[70:71], off offset:512
.LBB1251_994:                           ;   in Loop: Header=BB1251_987 Depth=2
	s_or_b64 exec, exec, s[36:37]
	v_cmp_gt_u32_e32 vcc, s69, v145
	s_waitcnt vmcnt(12)
	v_pk_mov_b32 v[74:75], s[78:79], s[78:79] op_sel:[0,1]
	s_and_saveexec_b64 s[36:37], vcc
	s_cbranch_execz .LBB1251_996
; %bb.995:                              ;   in Loop: Header=BB1251_987 Depth=2
	global_load_dwordx2 v[74:75], v[70:71], off offset:1024
.LBB1251_996:                           ;   in Loop: Header=BB1251_987 Depth=2
	;; [unrolled: 9-line block ×3, first 2 shown]
	s_or_b64 exec, exec, s[36:37]
	v_cmp_gt_u32_e32 vcc, s69, v147
	s_waitcnt vmcnt(10)
	v_pk_mov_b32 v[82:83], s[78:79], s[78:79] op_sel:[0,1]
	s_and_saveexec_b64 s[36:37], vcc
	s_cbranch_execz .LBB1251_1000
; %bb.999:                              ;   in Loop: Header=BB1251_987 Depth=2
	global_load_dwordx2 v[82:83], v[70:71], off offset:2048
.LBB1251_1000:                          ;   in Loop: Header=BB1251_987 Depth=2
	s_or_b64 exec, exec, s[36:37]
	v_cmp_gt_u32_e32 vcc, s69, v148
	s_waitcnt vmcnt(9)
	v_pk_mov_b32 v[86:87], s[78:79], s[78:79] op_sel:[0,1]
	s_and_saveexec_b64 s[36:37], vcc
	s_cbranch_execz .LBB1251_1002
; %bb.1001:                             ;   in Loop: Header=BB1251_987 Depth=2
	global_load_dwordx2 v[86:87], v[70:71], off offset:2560
.LBB1251_1002:                          ;   in Loop: Header=BB1251_987 Depth=2
	s_or_b64 exec, exec, s[36:37]
	v_cmp_gt_u32_e32 vcc, s69, v149
	s_waitcnt vmcnt(8)
	v_pk_mov_b32 v[90:91], s[78:79], s[78:79] op_sel:[0,1]
	s_and_saveexec_b64 s[36:37], vcc
	s_cbranch_execz .LBB1251_1004
; %bb.1003:                             ;   in Loop: Header=BB1251_987 Depth=2
	global_load_dwordx2 v[90:91], v[70:71], off offset:3072
.LBB1251_1004:                          ;   in Loop: Header=BB1251_987 Depth=2
	;; [unrolled: 9-line block ×3, first 2 shown]
	s_or_b64 exec, exec, s[36:37]
	v_cmp_gt_u32_e32 vcc, s69, v151
	s_waitcnt vmcnt(6)
	v_pk_mov_b32 v[92:93], s[78:79], s[78:79] op_sel:[0,1]
	s_and_saveexec_b64 s[36:37], vcc
	s_cbranch_execz .LBB1251_1008
; %bb.1007:                             ;   in Loop: Header=BB1251_987 Depth=2
	s_waitcnt vmcnt(0)
	v_add_co_u32_e32 v68, vcc, 0x1000, v70
	v_addc_co_u32_e32 v69, vcc, 0, v71, vcc
	global_load_dwordx2 v[92:93], v[68:69], off
.LBB1251_1008:                          ;   in Loop: Header=BB1251_987 Depth=2
	s_or_b64 exec, exec, s[36:37]
	v_cmp_gt_u32_e32 vcc, s69, v152
	s_waitcnt vmcnt(5)
	v_pk_mov_b32 v[88:89], s[78:79], s[78:79] op_sel:[0,1]
	s_and_saveexec_b64 s[36:37], vcc
	s_cbranch_execz .LBB1251_1010
; %bb.1009:                             ;   in Loop: Header=BB1251_987 Depth=2
	s_waitcnt vmcnt(0)
	v_add_co_u32_e32 v68, vcc, 0x1000, v70
	v_addc_co_u32_e32 v69, vcc, 0, v71, vcc
	global_load_dwordx2 v[88:89], v[68:69], off offset:512
.LBB1251_1010:                          ;   in Loop: Header=BB1251_987 Depth=2
	s_or_b64 exec, exec, s[36:37]
	v_cmp_gt_u32_e32 vcc, s69, v153
	s_waitcnt vmcnt(4)
	v_pk_mov_b32 v[84:85], s[78:79], s[78:79] op_sel:[0,1]
	s_and_saveexec_b64 s[36:37], vcc
	s_cbranch_execz .LBB1251_1012
; %bb.1011:                             ;   in Loop: Header=BB1251_987 Depth=2
	s_waitcnt vmcnt(0)
	v_add_co_u32_e32 v68, vcc, 0x1000, v70
	v_addc_co_u32_e32 v69, vcc, 0, v71, vcc
	global_load_dwordx2 v[84:85], v[68:69], off offset:1024
.LBB1251_1012:                          ;   in Loop: Header=BB1251_987 Depth=2
	s_or_b64 exec, exec, s[36:37]
	v_cmp_gt_u32_e32 vcc, s69, v154
	s_waitcnt vmcnt(3)
	v_pk_mov_b32 v[80:81], s[78:79], s[78:79] op_sel:[0,1]
	s_and_saveexec_b64 s[36:37], vcc
	s_cbranch_execz .LBB1251_1014
; %bb.1013:                             ;   in Loop: Header=BB1251_987 Depth=2
	s_waitcnt vmcnt(0)
	v_add_co_u32_e32 v68, vcc, 0x1000, v70
	v_addc_co_u32_e32 v69, vcc, 0, v71, vcc
	global_load_dwordx2 v[80:81], v[68:69], off offset:1536
.LBB1251_1014:                          ;   in Loop: Header=BB1251_987 Depth=2
	s_or_b64 exec, exec, s[36:37]
	v_cmp_gt_u32_e32 vcc, s69, v155
	s_waitcnt vmcnt(2)
	v_pk_mov_b32 v[76:77], s[78:79], s[78:79] op_sel:[0,1]
	s_and_saveexec_b64 s[36:37], vcc
	s_cbranch_execz .LBB1251_1016
; %bb.1015:                             ;   in Loop: Header=BB1251_987 Depth=2
	s_waitcnt vmcnt(0)
	v_add_co_u32_e32 v68, vcc, 0x1000, v70
	v_addc_co_u32_e32 v69, vcc, 0, v71, vcc
	global_load_dwordx2 v[76:77], v[68:69], off offset:2048
.LBB1251_1016:                          ;   in Loop: Header=BB1251_987 Depth=2
	s_or_b64 exec, exec, s[36:37]
	v_cmp_gt_u32_e32 vcc, s69, v156
	s_waitcnt vmcnt(1)
	v_pk_mov_b32 v[72:73], s[78:79], s[78:79] op_sel:[0,1]
	s_and_saveexec_b64 s[36:37], vcc
	s_cbranch_execz .LBB1251_1018
; %bb.1017:                             ;   in Loop: Header=BB1251_987 Depth=2
	s_waitcnt vmcnt(0)
	v_add_co_u32_e32 v68, vcc, 0x1000, v70
	v_addc_co_u32_e32 v69, vcc, 0, v71, vcc
	global_load_dwordx2 v[72:73], v[68:69], off offset:2560
.LBB1251_1018:                          ;   in Loop: Header=BB1251_987 Depth=2
	s_or_b64 exec, exec, s[36:37]
	v_cmp_gt_u32_e32 vcc, s69, v157
	s_waitcnt vmcnt(0)
	v_pk_mov_b32 v[68:69], s[78:79], s[78:79] op_sel:[0,1]
	s_and_saveexec_b64 s[36:37], vcc
	s_cbranch_execz .LBB1251_1020
; %bb.1019:                             ;   in Loop: Header=BB1251_987 Depth=2
	v_add_co_u32_e32 v68, vcc, 0x1000, v70
	v_addc_co_u32_e32 v69, vcc, 0, v71, vcc
	global_load_dwordx2 v[68:69], v[68:69], off offset:3072
.LBB1251_1020:                          ;   in Loop: Header=BB1251_987 Depth=2
	s_or_b64 exec, exec, s[36:37]
	s_sub_i32 s40, s94, s88
	v_cmp_gt_u32_e64 s[36:37], s69, v158
.LBB1251_1021:                          ;   in Loop: Header=BB1251_987 Depth=2
	v_pk_mov_b32 v[70:71], s[78:79], s[78:79] op_sel:[0,1]
	v_mov_b32_e32 v183, s69
	s_and_saveexec_b64 s[38:39], s[36:37]
	s_cbranch_execz .LBB1251_1023
; %bb.1022:                             ;   in Loop: Header=BB1251_987 Depth=2
	s_lshl_b64 s[36:37], s[88:89], 3
	v_mov_b32_e32 v5, s37
	v_add_co_u32_e32 v70, vcc, s36, v170
	v_addc_co_u32_e32 v71, vcc, v173, v5, vcc
	global_load_dwordx2 v[70:71], v[70:71], off
	v_mov_b32_e32 v183, s40
.LBB1251_1023:                          ;   in Loop: Header=BB1251_987 Depth=2
	s_or_b64 exec, exec, s[38:39]
	s_waitcnt vmcnt(14)
	v_cmp_lt_i64_e32 vcc, -1, v[64:65]
	v_cndmask_b32_e32 v5, -1, v133, vcc
	v_ashrrev_i32_e32 v96, 31, v65
	v_xor_b32_e32 v65, v5, v65
	v_xor_b32_e32 v64, v96, v64
	v_cmp_ne_u64_e32 vcc, s[78:79], v[64:65]
	v_cndmask_b32_e32 v97, v133, v65, vcc
	v_cndmask_b32_e32 v96, 0, v64, vcc
	v_lshrrev_b64 v[96:97], s84, v[96:97]
	v_add_u32_e32 v5, 0x410, v27
	v_and_b32_e32 v96, s68, v96
	ds_write2_b32 v5, v4, v4 offset1:1
	ds_write2_b32 v31, v4, v4 offset0:2 offset1:3
	ds_write_b32 v31, v4 offset:16
	v_mad_u32_u24 v5, v96, 5, v177
	v_lshl_add_u32 v184, v5, 2, v29
	v_and_b32_e32 v5, 1, v96
	v_add_co_u32_e32 v97, vcc, -1, v5
	v_addc_co_u32_e64 v98, s[36:37], 0, -1, vcc
	v_cmp_ne_u32_e32 vcc, 0, v5
	v_xor_b32_e32 v5, vcc_hi, v98
	v_and_b32_e32 v98, exec_hi, v5
	v_lshlrev_b32_e32 v5, 30, v96
	v_xor_b32_e32 v97, vcc_lo, v97
	v_cmp_gt_i64_e32 vcc, 0, v[4:5]
	v_not_b32_e32 v5, v5
	v_ashrrev_i32_e32 v5, 31, v5
	v_and_b32_e32 v97, exec_lo, v97
	v_xor_b32_e32 v99, vcc_hi, v5
	v_xor_b32_e32 v5, vcc_lo, v5
	v_and_b32_e32 v97, v97, v5
	v_lshlrev_b32_e32 v5, 29, v96
	v_cmp_gt_i64_e32 vcc, 0, v[4:5]
	v_not_b32_e32 v5, v5
	v_ashrrev_i32_e32 v5, 31, v5
	v_and_b32_e32 v98, v98, v99
	v_xor_b32_e32 v99, vcc_hi, v5
	v_xor_b32_e32 v5, vcc_lo, v5
	v_and_b32_e32 v97, v97, v5
	v_lshlrev_b32_e32 v5, 28, v96
	v_cmp_gt_i64_e32 vcc, 0, v[4:5]
	v_not_b32_e32 v5, v5
	v_ashrrev_i32_e32 v5, 31, v5
	v_and_b32_e32 v98, v98, v99
	;; [unrolled: 8-line block ×5, first 2 shown]
	v_xor_b32_e32 v99, vcc_hi, v5
	v_xor_b32_e32 v5, vcc_lo, v5
	v_and_b32_e32 v98, v98, v99
	v_and_b32_e32 v99, v97, v5
	v_lshlrev_b32_e32 v5, 24, v96
	v_cmp_gt_i64_e32 vcc, 0, v[4:5]
	v_not_b32_e32 v5, v5
	v_ashrrev_i32_e32 v5, 31, v5
	v_xor_b32_e32 v96, vcc_hi, v5
	v_xor_b32_e32 v5, vcc_lo, v5
	v_and_b32_e32 v97, v98, v96
	v_and_b32_e32 v96, v99, v5
	v_mbcnt_lo_u32_b32 v5, v96, 0
	v_mbcnt_hi_u32_b32 v185, v97, v5
	v_cmp_eq_u32_e32 vcc, 0, v185
	v_cmp_ne_u64_e64 s[36:37], 0, v[96:97]
	s_and_b64 s[38:39], s[36:37], vcc
	s_waitcnt lgkmcnt(0)
	s_barrier
	s_waitcnt lgkmcnt(0)
	; wave barrier
	s_and_saveexec_b64 s[36:37], s[38:39]
	s_cbranch_execz .LBB1251_1025
; %bb.1024:                             ;   in Loop: Header=BB1251_987 Depth=2
	v_bcnt_u32_b32 v5, v96, 0
	v_bcnt_u32_b32 v5, v97, v5
	ds_write_b32 v184, v5
.LBB1251_1025:                          ;   in Loop: Header=BB1251_987 Depth=2
	s_or_b64 exec, exec, s[36:37]
	s_waitcnt vmcnt(13)
	v_cmp_lt_i64_e32 vcc, -1, v[66:67]
	v_cndmask_b32_e32 v5, -1, v133, vcc
	v_ashrrev_i32_e32 v96, 31, v67
	v_xor_b32_e32 v67, v5, v67
	v_xor_b32_e32 v66, v96, v66
	v_cmp_ne_u64_e32 vcc, s[78:79], v[66:67]
	v_cndmask_b32_e32 v97, v133, v67, vcc
	v_cndmask_b32_e32 v96, 0, v66, vcc
	v_lshrrev_b64 v[96:97], s84, v[96:97]
	v_and_b32_e32 v96, s68, v96
	v_mul_u32_u24_e32 v5, 5, v96
	v_add_lshl_u32 v5, v5, v177, 2
	; wave barrier
	v_add_u32_e32 v187, 0x410, v5
	ds_read_b32 v186, v5 offset:1040
	v_and_b32_e32 v5, 1, v96
	v_add_co_u32_e32 v97, vcc, -1, v5
	v_addc_co_u32_e64 v98, s[36:37], 0, -1, vcc
	v_cmp_ne_u32_e32 vcc, 0, v5
	v_xor_b32_e32 v5, vcc_hi, v98
	v_and_b32_e32 v98, exec_hi, v5
	v_lshlrev_b32_e32 v5, 30, v96
	v_xor_b32_e32 v97, vcc_lo, v97
	v_cmp_gt_i64_e32 vcc, 0, v[4:5]
	v_not_b32_e32 v5, v5
	v_ashrrev_i32_e32 v5, 31, v5
	v_and_b32_e32 v97, exec_lo, v97
	v_xor_b32_e32 v99, vcc_hi, v5
	v_xor_b32_e32 v5, vcc_lo, v5
	v_and_b32_e32 v97, v97, v5
	v_lshlrev_b32_e32 v5, 29, v96
	v_cmp_gt_i64_e32 vcc, 0, v[4:5]
	v_not_b32_e32 v5, v5
	v_ashrrev_i32_e32 v5, 31, v5
	v_and_b32_e32 v98, v98, v99
	v_xor_b32_e32 v99, vcc_hi, v5
	v_xor_b32_e32 v5, vcc_lo, v5
	v_and_b32_e32 v97, v97, v5
	v_lshlrev_b32_e32 v5, 28, v96
	v_cmp_gt_i64_e32 vcc, 0, v[4:5]
	v_not_b32_e32 v5, v5
	v_ashrrev_i32_e32 v5, 31, v5
	v_and_b32_e32 v98, v98, v99
	;; [unrolled: 8-line block ×5, first 2 shown]
	v_xor_b32_e32 v99, vcc_hi, v5
	v_xor_b32_e32 v5, vcc_lo, v5
	v_and_b32_e32 v98, v98, v99
	v_and_b32_e32 v99, v97, v5
	v_lshlrev_b32_e32 v5, 24, v96
	v_cmp_gt_i64_e32 vcc, 0, v[4:5]
	v_not_b32_e32 v5, v5
	v_ashrrev_i32_e32 v5, 31, v5
	v_xor_b32_e32 v96, vcc_hi, v5
	v_xor_b32_e32 v5, vcc_lo, v5
	v_and_b32_e32 v97, v98, v96
	v_and_b32_e32 v96, v99, v5
	v_mbcnt_lo_u32_b32 v5, v96, 0
	v_mbcnt_hi_u32_b32 v188, v97, v5
	v_cmp_eq_u32_e32 vcc, 0, v188
	v_cmp_ne_u64_e64 s[36:37], 0, v[96:97]
	s_and_b64 s[38:39], s[36:37], vcc
	; wave barrier
	s_and_saveexec_b64 s[36:37], s[38:39]
	s_cbranch_execz .LBB1251_1027
; %bb.1026:                             ;   in Loop: Header=BB1251_987 Depth=2
	v_bcnt_u32_b32 v5, v96, 0
	v_bcnt_u32_b32 v5, v97, v5
	s_waitcnt lgkmcnt(0)
	v_add_u32_e32 v5, v186, v5
	ds_write_b32 v187, v5
.LBB1251_1027:                          ;   in Loop: Header=BB1251_987 Depth=2
	s_or_b64 exec, exec, s[36:37]
	s_waitcnt vmcnt(12)
	v_cmp_lt_i64_e32 vcc, -1, v[74:75]
	v_cndmask_b32_e32 v5, -1, v133, vcc
	v_ashrrev_i32_e32 v96, 31, v75
	v_xor_b32_e32 v75, v5, v75
	v_xor_b32_e32 v74, v96, v74
	v_cmp_ne_u64_e32 vcc, s[78:79], v[74:75]
	v_cndmask_b32_e32 v97, v133, v75, vcc
	v_cndmask_b32_e32 v96, 0, v74, vcc
	v_lshrrev_b64 v[96:97], s84, v[96:97]
	v_and_b32_e32 v96, s68, v96
	v_mul_u32_u24_e32 v5, 5, v96
	v_add_lshl_u32 v5, v5, v177, 2
	; wave barrier
	v_add_u32_e32 v190, 0x410, v5
	ds_read_b32 v189, v5 offset:1040
	v_and_b32_e32 v5, 1, v96
	v_add_co_u32_e32 v97, vcc, -1, v5
	v_addc_co_u32_e64 v98, s[36:37], 0, -1, vcc
	v_cmp_ne_u32_e32 vcc, 0, v5
	v_xor_b32_e32 v5, vcc_hi, v98
	v_and_b32_e32 v98, exec_hi, v5
	v_lshlrev_b32_e32 v5, 30, v96
	v_xor_b32_e32 v97, vcc_lo, v97
	v_cmp_gt_i64_e32 vcc, 0, v[4:5]
	v_not_b32_e32 v5, v5
	v_ashrrev_i32_e32 v5, 31, v5
	v_and_b32_e32 v97, exec_lo, v97
	v_xor_b32_e32 v99, vcc_hi, v5
	v_xor_b32_e32 v5, vcc_lo, v5
	v_and_b32_e32 v97, v97, v5
	v_lshlrev_b32_e32 v5, 29, v96
	v_cmp_gt_i64_e32 vcc, 0, v[4:5]
	v_not_b32_e32 v5, v5
	v_ashrrev_i32_e32 v5, 31, v5
	v_and_b32_e32 v98, v98, v99
	v_xor_b32_e32 v99, vcc_hi, v5
	v_xor_b32_e32 v5, vcc_lo, v5
	v_and_b32_e32 v97, v97, v5
	v_lshlrev_b32_e32 v5, 28, v96
	v_cmp_gt_i64_e32 vcc, 0, v[4:5]
	v_not_b32_e32 v5, v5
	v_ashrrev_i32_e32 v5, 31, v5
	v_and_b32_e32 v98, v98, v99
	;; [unrolled: 8-line block ×5, first 2 shown]
	v_xor_b32_e32 v99, vcc_hi, v5
	v_xor_b32_e32 v5, vcc_lo, v5
	v_and_b32_e32 v98, v98, v99
	v_and_b32_e32 v99, v97, v5
	v_lshlrev_b32_e32 v5, 24, v96
	v_cmp_gt_i64_e32 vcc, 0, v[4:5]
	v_not_b32_e32 v5, v5
	v_ashrrev_i32_e32 v5, 31, v5
	v_xor_b32_e32 v96, vcc_hi, v5
	v_xor_b32_e32 v5, vcc_lo, v5
	v_and_b32_e32 v97, v98, v96
	v_and_b32_e32 v96, v99, v5
	v_mbcnt_lo_u32_b32 v5, v96, 0
	v_mbcnt_hi_u32_b32 v191, v97, v5
	v_cmp_eq_u32_e32 vcc, 0, v191
	v_cmp_ne_u64_e64 s[36:37], 0, v[96:97]
	s_and_b64 s[38:39], s[36:37], vcc
	; wave barrier
	s_and_saveexec_b64 s[36:37], s[38:39]
	s_cbranch_execz .LBB1251_1029
; %bb.1028:                             ;   in Loop: Header=BB1251_987 Depth=2
	v_bcnt_u32_b32 v5, v96, 0
	v_bcnt_u32_b32 v5, v97, v5
	s_waitcnt lgkmcnt(0)
	v_add_u32_e32 v5, v189, v5
	ds_write_b32 v190, v5
.LBB1251_1029:                          ;   in Loop: Header=BB1251_987 Depth=2
	s_or_b64 exec, exec, s[36:37]
	s_waitcnt vmcnt(11)
	v_cmp_lt_i64_e32 vcc, -1, v[78:79]
	v_cndmask_b32_e32 v5, -1, v133, vcc
	v_ashrrev_i32_e32 v96, 31, v79
	v_xor_b32_e32 v79, v5, v79
	v_xor_b32_e32 v78, v96, v78
	v_cmp_ne_u64_e32 vcc, s[78:79], v[78:79]
	v_cndmask_b32_e32 v97, v133, v79, vcc
	v_cndmask_b32_e32 v96, 0, v78, vcc
	v_lshrrev_b64 v[96:97], s84, v[96:97]
	v_and_b32_e32 v96, s68, v96
	v_mul_u32_u24_e32 v5, 5, v96
	v_add_lshl_u32 v5, v5, v177, 2
	; wave barrier
	v_add_u32_e32 v193, 0x410, v5
	ds_read_b32 v192, v5 offset:1040
	v_and_b32_e32 v5, 1, v96
	v_add_co_u32_e32 v97, vcc, -1, v5
	v_addc_co_u32_e64 v98, s[36:37], 0, -1, vcc
	v_cmp_ne_u32_e32 vcc, 0, v5
	v_xor_b32_e32 v5, vcc_hi, v98
	v_and_b32_e32 v98, exec_hi, v5
	v_lshlrev_b32_e32 v5, 30, v96
	v_xor_b32_e32 v97, vcc_lo, v97
	v_cmp_gt_i64_e32 vcc, 0, v[4:5]
	v_not_b32_e32 v5, v5
	v_ashrrev_i32_e32 v5, 31, v5
	v_and_b32_e32 v97, exec_lo, v97
	v_xor_b32_e32 v99, vcc_hi, v5
	v_xor_b32_e32 v5, vcc_lo, v5
	v_and_b32_e32 v97, v97, v5
	v_lshlrev_b32_e32 v5, 29, v96
	v_cmp_gt_i64_e32 vcc, 0, v[4:5]
	v_not_b32_e32 v5, v5
	v_ashrrev_i32_e32 v5, 31, v5
	v_and_b32_e32 v98, v98, v99
	v_xor_b32_e32 v99, vcc_hi, v5
	v_xor_b32_e32 v5, vcc_lo, v5
	v_and_b32_e32 v97, v97, v5
	v_lshlrev_b32_e32 v5, 28, v96
	v_cmp_gt_i64_e32 vcc, 0, v[4:5]
	v_not_b32_e32 v5, v5
	v_ashrrev_i32_e32 v5, 31, v5
	v_and_b32_e32 v98, v98, v99
	;; [unrolled: 8-line block ×5, first 2 shown]
	v_xor_b32_e32 v99, vcc_hi, v5
	v_xor_b32_e32 v5, vcc_lo, v5
	v_and_b32_e32 v98, v98, v99
	v_and_b32_e32 v99, v97, v5
	v_lshlrev_b32_e32 v5, 24, v96
	v_cmp_gt_i64_e32 vcc, 0, v[4:5]
	v_not_b32_e32 v5, v5
	v_ashrrev_i32_e32 v5, 31, v5
	v_xor_b32_e32 v96, vcc_hi, v5
	v_xor_b32_e32 v5, vcc_lo, v5
	v_and_b32_e32 v97, v98, v96
	v_and_b32_e32 v96, v99, v5
	v_mbcnt_lo_u32_b32 v5, v96, 0
	v_mbcnt_hi_u32_b32 v194, v97, v5
	v_cmp_eq_u32_e32 vcc, 0, v194
	v_cmp_ne_u64_e64 s[36:37], 0, v[96:97]
	s_and_b64 s[38:39], s[36:37], vcc
	; wave barrier
	s_and_saveexec_b64 s[36:37], s[38:39]
	s_cbranch_execz .LBB1251_1031
; %bb.1030:                             ;   in Loop: Header=BB1251_987 Depth=2
	v_bcnt_u32_b32 v5, v96, 0
	v_bcnt_u32_b32 v5, v97, v5
	s_waitcnt lgkmcnt(0)
	v_add_u32_e32 v5, v192, v5
	ds_write_b32 v193, v5
.LBB1251_1031:                          ;   in Loop: Header=BB1251_987 Depth=2
	s_or_b64 exec, exec, s[36:37]
	s_waitcnt vmcnt(10)
	v_cmp_lt_i64_e32 vcc, -1, v[82:83]
	v_cndmask_b32_e32 v5, -1, v133, vcc
	v_ashrrev_i32_e32 v96, 31, v83
	v_xor_b32_e32 v83, v5, v83
	v_xor_b32_e32 v82, v96, v82
	v_cmp_ne_u64_e32 vcc, s[78:79], v[82:83]
	v_cndmask_b32_e32 v97, v133, v83, vcc
	v_cndmask_b32_e32 v96, 0, v82, vcc
	v_lshrrev_b64 v[96:97], s84, v[96:97]
	v_and_b32_e32 v96, s68, v96
	v_mul_u32_u24_e32 v5, 5, v96
	v_add_lshl_u32 v5, v5, v177, 2
	; wave barrier
	v_add_u32_e32 v196, 0x410, v5
	ds_read_b32 v195, v5 offset:1040
	v_and_b32_e32 v5, 1, v96
	v_add_co_u32_e32 v97, vcc, -1, v5
	v_addc_co_u32_e64 v98, s[36:37], 0, -1, vcc
	v_cmp_ne_u32_e32 vcc, 0, v5
	v_xor_b32_e32 v5, vcc_hi, v98
	v_and_b32_e32 v98, exec_hi, v5
	v_lshlrev_b32_e32 v5, 30, v96
	v_xor_b32_e32 v97, vcc_lo, v97
	v_cmp_gt_i64_e32 vcc, 0, v[4:5]
	v_not_b32_e32 v5, v5
	v_ashrrev_i32_e32 v5, 31, v5
	v_and_b32_e32 v97, exec_lo, v97
	v_xor_b32_e32 v99, vcc_hi, v5
	v_xor_b32_e32 v5, vcc_lo, v5
	v_and_b32_e32 v97, v97, v5
	v_lshlrev_b32_e32 v5, 29, v96
	v_cmp_gt_i64_e32 vcc, 0, v[4:5]
	v_not_b32_e32 v5, v5
	v_ashrrev_i32_e32 v5, 31, v5
	v_and_b32_e32 v98, v98, v99
	v_xor_b32_e32 v99, vcc_hi, v5
	v_xor_b32_e32 v5, vcc_lo, v5
	v_and_b32_e32 v97, v97, v5
	v_lshlrev_b32_e32 v5, 28, v96
	v_cmp_gt_i64_e32 vcc, 0, v[4:5]
	v_not_b32_e32 v5, v5
	v_ashrrev_i32_e32 v5, 31, v5
	v_and_b32_e32 v98, v98, v99
	;; [unrolled: 8-line block ×5, first 2 shown]
	v_xor_b32_e32 v99, vcc_hi, v5
	v_xor_b32_e32 v5, vcc_lo, v5
	v_and_b32_e32 v98, v98, v99
	v_and_b32_e32 v99, v97, v5
	v_lshlrev_b32_e32 v5, 24, v96
	v_cmp_gt_i64_e32 vcc, 0, v[4:5]
	v_not_b32_e32 v5, v5
	v_ashrrev_i32_e32 v5, 31, v5
	v_xor_b32_e32 v96, vcc_hi, v5
	v_xor_b32_e32 v5, vcc_lo, v5
	v_and_b32_e32 v97, v98, v96
	v_and_b32_e32 v96, v99, v5
	v_mbcnt_lo_u32_b32 v5, v96, 0
	v_mbcnt_hi_u32_b32 v197, v97, v5
	v_cmp_eq_u32_e32 vcc, 0, v197
	v_cmp_ne_u64_e64 s[36:37], 0, v[96:97]
	s_and_b64 s[38:39], s[36:37], vcc
	; wave barrier
	s_and_saveexec_b64 s[36:37], s[38:39]
	s_cbranch_execz .LBB1251_1033
; %bb.1032:                             ;   in Loop: Header=BB1251_987 Depth=2
	v_bcnt_u32_b32 v5, v96, 0
	v_bcnt_u32_b32 v5, v97, v5
	s_waitcnt lgkmcnt(0)
	v_add_u32_e32 v5, v195, v5
	ds_write_b32 v196, v5
.LBB1251_1033:                          ;   in Loop: Header=BB1251_987 Depth=2
	s_or_b64 exec, exec, s[36:37]
	s_waitcnt vmcnt(9)
	v_cmp_lt_i64_e32 vcc, -1, v[86:87]
	v_cndmask_b32_e32 v5, -1, v133, vcc
	v_ashrrev_i32_e32 v96, 31, v87
	v_xor_b32_e32 v87, v5, v87
	v_xor_b32_e32 v86, v96, v86
	v_cmp_ne_u64_e32 vcc, s[78:79], v[86:87]
	v_cndmask_b32_e32 v97, v133, v87, vcc
	v_cndmask_b32_e32 v96, 0, v86, vcc
	v_lshrrev_b64 v[96:97], s84, v[96:97]
	v_and_b32_e32 v96, s68, v96
	v_mul_u32_u24_e32 v5, 5, v96
	v_add_lshl_u32 v5, v5, v177, 2
	; wave barrier
	v_add_u32_e32 v199, 0x410, v5
	ds_read_b32 v198, v5 offset:1040
	v_and_b32_e32 v5, 1, v96
	v_add_co_u32_e32 v97, vcc, -1, v5
	v_addc_co_u32_e64 v98, s[36:37], 0, -1, vcc
	v_cmp_ne_u32_e32 vcc, 0, v5
	v_xor_b32_e32 v5, vcc_hi, v98
	v_and_b32_e32 v98, exec_hi, v5
	v_lshlrev_b32_e32 v5, 30, v96
	v_xor_b32_e32 v97, vcc_lo, v97
	v_cmp_gt_i64_e32 vcc, 0, v[4:5]
	v_not_b32_e32 v5, v5
	v_ashrrev_i32_e32 v5, 31, v5
	v_and_b32_e32 v97, exec_lo, v97
	v_xor_b32_e32 v99, vcc_hi, v5
	v_xor_b32_e32 v5, vcc_lo, v5
	v_and_b32_e32 v97, v97, v5
	v_lshlrev_b32_e32 v5, 29, v96
	v_cmp_gt_i64_e32 vcc, 0, v[4:5]
	v_not_b32_e32 v5, v5
	v_ashrrev_i32_e32 v5, 31, v5
	v_and_b32_e32 v98, v98, v99
	v_xor_b32_e32 v99, vcc_hi, v5
	v_xor_b32_e32 v5, vcc_lo, v5
	v_and_b32_e32 v97, v97, v5
	v_lshlrev_b32_e32 v5, 28, v96
	v_cmp_gt_i64_e32 vcc, 0, v[4:5]
	v_not_b32_e32 v5, v5
	v_ashrrev_i32_e32 v5, 31, v5
	v_and_b32_e32 v98, v98, v99
	v_xor_b32_e32 v99, vcc_hi, v5
	v_xor_b32_e32 v5, vcc_lo, v5
	v_and_b32_e32 v97, v97, v5
	v_lshlrev_b32_e32 v5, 27, v96
	v_cmp_gt_i64_e32 vcc, 0, v[4:5]
	v_not_b32_e32 v5, v5
	v_ashrrev_i32_e32 v5, 31, v5
	v_and_b32_e32 v98, v98, v99
	v_xor_b32_e32 v99, vcc_hi, v5
	v_xor_b32_e32 v5, vcc_lo, v5
	v_and_b32_e32 v97, v97, v5
	v_lshlrev_b32_e32 v5, 26, v96
	v_cmp_gt_i64_e32 vcc, 0, v[4:5]
	v_not_b32_e32 v5, v5
	v_ashrrev_i32_e32 v5, 31, v5
	v_and_b32_e32 v98, v98, v99
	v_xor_b32_e32 v99, vcc_hi, v5
	v_xor_b32_e32 v5, vcc_lo, v5
	v_and_b32_e32 v97, v97, v5
	v_lshlrev_b32_e32 v5, 25, v96
	v_cmp_gt_i64_e32 vcc, 0, v[4:5]
	v_not_b32_e32 v5, v5
	v_ashrrev_i32_e32 v5, 31, v5
	v_and_b32_e32 v98, v98, v99
	v_xor_b32_e32 v99, vcc_hi, v5
	v_xor_b32_e32 v5, vcc_lo, v5
	v_and_b32_e32 v98, v98, v99
	v_and_b32_e32 v99, v97, v5
	v_lshlrev_b32_e32 v5, 24, v96
	v_cmp_gt_i64_e32 vcc, 0, v[4:5]
	v_not_b32_e32 v5, v5
	v_ashrrev_i32_e32 v5, 31, v5
	v_xor_b32_e32 v96, vcc_hi, v5
	v_xor_b32_e32 v5, vcc_lo, v5
	v_and_b32_e32 v97, v98, v96
	v_and_b32_e32 v96, v99, v5
	v_mbcnt_lo_u32_b32 v5, v96, 0
	v_mbcnt_hi_u32_b32 v200, v97, v5
	v_cmp_eq_u32_e32 vcc, 0, v200
	v_cmp_ne_u64_e64 s[36:37], 0, v[96:97]
	s_and_b64 s[38:39], s[36:37], vcc
	; wave barrier
	s_and_saveexec_b64 s[36:37], s[38:39]
	s_cbranch_execz .LBB1251_1035
; %bb.1034:                             ;   in Loop: Header=BB1251_987 Depth=2
	v_bcnt_u32_b32 v5, v96, 0
	v_bcnt_u32_b32 v5, v97, v5
	s_waitcnt lgkmcnt(0)
	v_add_u32_e32 v5, v198, v5
	ds_write_b32 v199, v5
.LBB1251_1035:                          ;   in Loop: Header=BB1251_987 Depth=2
	s_or_b64 exec, exec, s[36:37]
	s_waitcnt vmcnt(8)
	v_cmp_lt_i64_e32 vcc, -1, v[90:91]
	v_cndmask_b32_e32 v5, -1, v133, vcc
	v_ashrrev_i32_e32 v96, 31, v91
	v_xor_b32_e32 v91, v5, v91
	v_xor_b32_e32 v90, v96, v90
	v_cmp_ne_u64_e32 vcc, s[78:79], v[90:91]
	v_cndmask_b32_e32 v97, v133, v91, vcc
	v_cndmask_b32_e32 v96, 0, v90, vcc
	v_lshrrev_b64 v[96:97], s84, v[96:97]
	v_and_b32_e32 v96, s68, v96
	v_mul_u32_u24_e32 v5, 5, v96
	v_add_lshl_u32 v5, v5, v177, 2
	; wave barrier
	v_add_u32_e32 v202, 0x410, v5
	ds_read_b32 v201, v5 offset:1040
	v_and_b32_e32 v5, 1, v96
	v_add_co_u32_e32 v97, vcc, -1, v5
	v_addc_co_u32_e64 v98, s[36:37], 0, -1, vcc
	v_cmp_ne_u32_e32 vcc, 0, v5
	v_xor_b32_e32 v5, vcc_hi, v98
	v_and_b32_e32 v98, exec_hi, v5
	v_lshlrev_b32_e32 v5, 30, v96
	v_xor_b32_e32 v97, vcc_lo, v97
	v_cmp_gt_i64_e32 vcc, 0, v[4:5]
	v_not_b32_e32 v5, v5
	v_ashrrev_i32_e32 v5, 31, v5
	v_and_b32_e32 v97, exec_lo, v97
	v_xor_b32_e32 v99, vcc_hi, v5
	v_xor_b32_e32 v5, vcc_lo, v5
	v_and_b32_e32 v97, v97, v5
	v_lshlrev_b32_e32 v5, 29, v96
	v_cmp_gt_i64_e32 vcc, 0, v[4:5]
	v_not_b32_e32 v5, v5
	v_ashrrev_i32_e32 v5, 31, v5
	v_and_b32_e32 v98, v98, v99
	v_xor_b32_e32 v99, vcc_hi, v5
	v_xor_b32_e32 v5, vcc_lo, v5
	v_and_b32_e32 v97, v97, v5
	v_lshlrev_b32_e32 v5, 28, v96
	v_cmp_gt_i64_e32 vcc, 0, v[4:5]
	v_not_b32_e32 v5, v5
	v_ashrrev_i32_e32 v5, 31, v5
	v_and_b32_e32 v98, v98, v99
	;; [unrolled: 8-line block ×5, first 2 shown]
	v_xor_b32_e32 v99, vcc_hi, v5
	v_xor_b32_e32 v5, vcc_lo, v5
	v_and_b32_e32 v98, v98, v99
	v_and_b32_e32 v99, v97, v5
	v_lshlrev_b32_e32 v5, 24, v96
	v_cmp_gt_i64_e32 vcc, 0, v[4:5]
	v_not_b32_e32 v5, v5
	v_ashrrev_i32_e32 v5, 31, v5
	v_xor_b32_e32 v96, vcc_hi, v5
	v_xor_b32_e32 v5, vcc_lo, v5
	v_and_b32_e32 v97, v98, v96
	v_and_b32_e32 v96, v99, v5
	v_mbcnt_lo_u32_b32 v5, v96, 0
	v_mbcnt_hi_u32_b32 v203, v97, v5
	v_cmp_eq_u32_e32 vcc, 0, v203
	v_cmp_ne_u64_e64 s[36:37], 0, v[96:97]
	s_and_b64 s[38:39], s[36:37], vcc
	; wave barrier
	s_and_saveexec_b64 s[36:37], s[38:39]
	s_cbranch_execz .LBB1251_1037
; %bb.1036:                             ;   in Loop: Header=BB1251_987 Depth=2
	v_bcnt_u32_b32 v5, v96, 0
	v_bcnt_u32_b32 v5, v97, v5
	s_waitcnt lgkmcnt(0)
	v_add_u32_e32 v5, v201, v5
	ds_write_b32 v202, v5
.LBB1251_1037:                          ;   in Loop: Header=BB1251_987 Depth=2
	s_or_b64 exec, exec, s[36:37]
	s_waitcnt vmcnt(7)
	v_cmp_lt_i64_e32 vcc, -1, v[94:95]
	v_cndmask_b32_e32 v5, -1, v133, vcc
	v_ashrrev_i32_e32 v96, 31, v95
	v_xor_b32_e32 v95, v5, v95
	v_xor_b32_e32 v94, v96, v94
	v_cmp_ne_u64_e32 vcc, s[78:79], v[94:95]
	v_cndmask_b32_e32 v97, v133, v95, vcc
	v_cndmask_b32_e32 v96, 0, v94, vcc
	v_lshrrev_b64 v[96:97], s84, v[96:97]
	v_and_b32_e32 v96, s68, v96
	v_mul_u32_u24_e32 v5, 5, v96
	v_add_lshl_u32 v5, v5, v177, 2
	; wave barrier
	v_add_u32_e32 v205, 0x410, v5
	ds_read_b32 v204, v5 offset:1040
	v_and_b32_e32 v5, 1, v96
	v_add_co_u32_e32 v97, vcc, -1, v5
	v_addc_co_u32_e64 v98, s[36:37], 0, -1, vcc
	v_cmp_ne_u32_e32 vcc, 0, v5
	v_xor_b32_e32 v5, vcc_hi, v98
	v_and_b32_e32 v98, exec_hi, v5
	v_lshlrev_b32_e32 v5, 30, v96
	v_xor_b32_e32 v97, vcc_lo, v97
	v_cmp_gt_i64_e32 vcc, 0, v[4:5]
	v_not_b32_e32 v5, v5
	v_ashrrev_i32_e32 v5, 31, v5
	v_and_b32_e32 v97, exec_lo, v97
	v_xor_b32_e32 v99, vcc_hi, v5
	v_xor_b32_e32 v5, vcc_lo, v5
	v_and_b32_e32 v97, v97, v5
	v_lshlrev_b32_e32 v5, 29, v96
	v_cmp_gt_i64_e32 vcc, 0, v[4:5]
	v_not_b32_e32 v5, v5
	v_ashrrev_i32_e32 v5, 31, v5
	v_and_b32_e32 v98, v98, v99
	v_xor_b32_e32 v99, vcc_hi, v5
	v_xor_b32_e32 v5, vcc_lo, v5
	v_and_b32_e32 v97, v97, v5
	v_lshlrev_b32_e32 v5, 28, v96
	v_cmp_gt_i64_e32 vcc, 0, v[4:5]
	v_not_b32_e32 v5, v5
	v_ashrrev_i32_e32 v5, 31, v5
	v_and_b32_e32 v98, v98, v99
	;; [unrolled: 8-line block ×5, first 2 shown]
	v_xor_b32_e32 v99, vcc_hi, v5
	v_xor_b32_e32 v5, vcc_lo, v5
	v_and_b32_e32 v98, v98, v99
	v_and_b32_e32 v99, v97, v5
	v_lshlrev_b32_e32 v5, 24, v96
	v_cmp_gt_i64_e32 vcc, 0, v[4:5]
	v_not_b32_e32 v5, v5
	v_ashrrev_i32_e32 v5, 31, v5
	v_xor_b32_e32 v96, vcc_hi, v5
	v_xor_b32_e32 v5, vcc_lo, v5
	v_and_b32_e32 v97, v98, v96
	v_and_b32_e32 v96, v99, v5
	v_mbcnt_lo_u32_b32 v5, v96, 0
	v_mbcnt_hi_u32_b32 v206, v97, v5
	v_cmp_eq_u32_e32 vcc, 0, v206
	v_cmp_ne_u64_e64 s[36:37], 0, v[96:97]
	s_and_b64 s[38:39], s[36:37], vcc
	; wave barrier
	s_and_saveexec_b64 s[36:37], s[38:39]
	s_cbranch_execz .LBB1251_1039
; %bb.1038:                             ;   in Loop: Header=BB1251_987 Depth=2
	v_bcnt_u32_b32 v5, v96, 0
	v_bcnt_u32_b32 v5, v97, v5
	s_waitcnt lgkmcnt(0)
	v_add_u32_e32 v5, v204, v5
	ds_write_b32 v205, v5
.LBB1251_1039:                          ;   in Loop: Header=BB1251_987 Depth=2
	s_or_b64 exec, exec, s[36:37]
	s_waitcnt vmcnt(6)
	v_cmp_lt_i64_e32 vcc, -1, v[92:93]
	v_cndmask_b32_e32 v5, -1, v133, vcc
	v_ashrrev_i32_e32 v96, 31, v93
	v_xor_b32_e32 v93, v5, v93
	v_xor_b32_e32 v92, v96, v92
	v_cmp_ne_u64_e32 vcc, s[78:79], v[92:93]
	v_cndmask_b32_e32 v97, v133, v93, vcc
	v_cndmask_b32_e32 v96, 0, v92, vcc
	v_lshrrev_b64 v[96:97], s84, v[96:97]
	v_and_b32_e32 v96, s68, v96
	v_mul_u32_u24_e32 v5, 5, v96
	v_add_lshl_u32 v5, v5, v177, 2
	; wave barrier
	v_add_u32_e32 v208, 0x410, v5
	ds_read_b32 v207, v5 offset:1040
	v_and_b32_e32 v5, 1, v96
	v_add_co_u32_e32 v97, vcc, -1, v5
	v_addc_co_u32_e64 v98, s[36:37], 0, -1, vcc
	v_cmp_ne_u32_e32 vcc, 0, v5
	v_xor_b32_e32 v5, vcc_hi, v98
	v_and_b32_e32 v98, exec_hi, v5
	v_lshlrev_b32_e32 v5, 30, v96
	v_xor_b32_e32 v97, vcc_lo, v97
	v_cmp_gt_i64_e32 vcc, 0, v[4:5]
	v_not_b32_e32 v5, v5
	v_ashrrev_i32_e32 v5, 31, v5
	v_and_b32_e32 v97, exec_lo, v97
	v_xor_b32_e32 v99, vcc_hi, v5
	v_xor_b32_e32 v5, vcc_lo, v5
	v_and_b32_e32 v97, v97, v5
	v_lshlrev_b32_e32 v5, 29, v96
	v_cmp_gt_i64_e32 vcc, 0, v[4:5]
	v_not_b32_e32 v5, v5
	v_ashrrev_i32_e32 v5, 31, v5
	v_and_b32_e32 v98, v98, v99
	v_xor_b32_e32 v99, vcc_hi, v5
	v_xor_b32_e32 v5, vcc_lo, v5
	v_and_b32_e32 v97, v97, v5
	v_lshlrev_b32_e32 v5, 28, v96
	v_cmp_gt_i64_e32 vcc, 0, v[4:5]
	v_not_b32_e32 v5, v5
	v_ashrrev_i32_e32 v5, 31, v5
	v_and_b32_e32 v98, v98, v99
	v_xor_b32_e32 v99, vcc_hi, v5
	v_xor_b32_e32 v5, vcc_lo, v5
	v_and_b32_e32 v97, v97, v5
	v_lshlrev_b32_e32 v5, 27, v96
	v_cmp_gt_i64_e32 vcc, 0, v[4:5]
	v_not_b32_e32 v5, v5
	v_ashrrev_i32_e32 v5, 31, v5
	v_and_b32_e32 v98, v98, v99
	v_xor_b32_e32 v99, vcc_hi, v5
	v_xor_b32_e32 v5, vcc_lo, v5
	v_and_b32_e32 v97, v97, v5
	v_lshlrev_b32_e32 v5, 26, v96
	v_cmp_gt_i64_e32 vcc, 0, v[4:5]
	v_not_b32_e32 v5, v5
	v_ashrrev_i32_e32 v5, 31, v5
	v_and_b32_e32 v98, v98, v99
	v_xor_b32_e32 v99, vcc_hi, v5
	v_xor_b32_e32 v5, vcc_lo, v5
	v_and_b32_e32 v97, v97, v5
	v_lshlrev_b32_e32 v5, 25, v96
	v_cmp_gt_i64_e32 vcc, 0, v[4:5]
	v_not_b32_e32 v5, v5
	v_ashrrev_i32_e32 v5, 31, v5
	v_and_b32_e32 v98, v98, v99
	v_xor_b32_e32 v99, vcc_hi, v5
	v_xor_b32_e32 v5, vcc_lo, v5
	v_and_b32_e32 v98, v98, v99
	v_and_b32_e32 v99, v97, v5
	v_lshlrev_b32_e32 v5, 24, v96
	v_cmp_gt_i64_e32 vcc, 0, v[4:5]
	v_not_b32_e32 v5, v5
	v_ashrrev_i32_e32 v5, 31, v5
	v_xor_b32_e32 v96, vcc_hi, v5
	v_xor_b32_e32 v5, vcc_lo, v5
	v_and_b32_e32 v97, v98, v96
	v_and_b32_e32 v96, v99, v5
	v_mbcnt_lo_u32_b32 v5, v96, 0
	v_mbcnt_hi_u32_b32 v209, v97, v5
	v_cmp_eq_u32_e32 vcc, 0, v209
	v_cmp_ne_u64_e64 s[36:37], 0, v[96:97]
	s_and_b64 s[38:39], s[36:37], vcc
	; wave barrier
	s_and_saveexec_b64 s[36:37], s[38:39]
	s_cbranch_execz .LBB1251_1041
; %bb.1040:                             ;   in Loop: Header=BB1251_987 Depth=2
	v_bcnt_u32_b32 v5, v96, 0
	v_bcnt_u32_b32 v5, v97, v5
	s_waitcnt lgkmcnt(0)
	v_add_u32_e32 v5, v207, v5
	ds_write_b32 v208, v5
.LBB1251_1041:                          ;   in Loop: Header=BB1251_987 Depth=2
	s_or_b64 exec, exec, s[36:37]
	s_waitcnt vmcnt(5)
	v_cmp_lt_i64_e32 vcc, -1, v[88:89]
	v_cndmask_b32_e32 v5, -1, v133, vcc
	v_ashrrev_i32_e32 v96, 31, v89
	v_xor_b32_e32 v89, v5, v89
	v_xor_b32_e32 v88, v96, v88
	v_cmp_ne_u64_e32 vcc, s[78:79], v[88:89]
	v_cndmask_b32_e32 v97, v133, v89, vcc
	v_cndmask_b32_e32 v96, 0, v88, vcc
	v_lshrrev_b64 v[96:97], s84, v[96:97]
	v_and_b32_e32 v96, s68, v96
	v_mul_u32_u24_e32 v5, 5, v96
	v_add_lshl_u32 v5, v5, v177, 2
	; wave barrier
	v_add_u32_e32 v211, 0x410, v5
	ds_read_b32 v210, v5 offset:1040
	v_and_b32_e32 v5, 1, v96
	v_add_co_u32_e32 v97, vcc, -1, v5
	v_addc_co_u32_e64 v98, s[36:37], 0, -1, vcc
	v_cmp_ne_u32_e32 vcc, 0, v5
	v_xor_b32_e32 v5, vcc_hi, v98
	v_and_b32_e32 v98, exec_hi, v5
	v_lshlrev_b32_e32 v5, 30, v96
	v_xor_b32_e32 v97, vcc_lo, v97
	v_cmp_gt_i64_e32 vcc, 0, v[4:5]
	v_not_b32_e32 v5, v5
	v_ashrrev_i32_e32 v5, 31, v5
	v_and_b32_e32 v97, exec_lo, v97
	v_xor_b32_e32 v99, vcc_hi, v5
	v_xor_b32_e32 v5, vcc_lo, v5
	v_and_b32_e32 v97, v97, v5
	v_lshlrev_b32_e32 v5, 29, v96
	v_cmp_gt_i64_e32 vcc, 0, v[4:5]
	v_not_b32_e32 v5, v5
	v_ashrrev_i32_e32 v5, 31, v5
	v_and_b32_e32 v98, v98, v99
	v_xor_b32_e32 v99, vcc_hi, v5
	v_xor_b32_e32 v5, vcc_lo, v5
	v_and_b32_e32 v97, v97, v5
	v_lshlrev_b32_e32 v5, 28, v96
	v_cmp_gt_i64_e32 vcc, 0, v[4:5]
	v_not_b32_e32 v5, v5
	v_ashrrev_i32_e32 v5, 31, v5
	v_and_b32_e32 v98, v98, v99
	;; [unrolled: 8-line block ×5, first 2 shown]
	v_xor_b32_e32 v99, vcc_hi, v5
	v_xor_b32_e32 v5, vcc_lo, v5
	v_and_b32_e32 v98, v98, v99
	v_and_b32_e32 v99, v97, v5
	v_lshlrev_b32_e32 v5, 24, v96
	v_cmp_gt_i64_e32 vcc, 0, v[4:5]
	v_not_b32_e32 v5, v5
	v_ashrrev_i32_e32 v5, 31, v5
	v_xor_b32_e32 v96, vcc_hi, v5
	v_xor_b32_e32 v5, vcc_lo, v5
	v_and_b32_e32 v97, v98, v96
	v_and_b32_e32 v96, v99, v5
	v_mbcnt_lo_u32_b32 v5, v96, 0
	v_mbcnt_hi_u32_b32 v212, v97, v5
	v_cmp_eq_u32_e32 vcc, 0, v212
	v_cmp_ne_u64_e64 s[36:37], 0, v[96:97]
	s_and_b64 s[38:39], s[36:37], vcc
	; wave barrier
	s_and_saveexec_b64 s[36:37], s[38:39]
	s_cbranch_execz .LBB1251_1043
; %bb.1042:                             ;   in Loop: Header=BB1251_987 Depth=2
	v_bcnt_u32_b32 v5, v96, 0
	v_bcnt_u32_b32 v5, v97, v5
	s_waitcnt lgkmcnt(0)
	v_add_u32_e32 v5, v210, v5
	ds_write_b32 v211, v5
.LBB1251_1043:                          ;   in Loop: Header=BB1251_987 Depth=2
	s_or_b64 exec, exec, s[36:37]
	s_waitcnt vmcnt(4)
	v_cmp_lt_i64_e32 vcc, -1, v[84:85]
	v_cndmask_b32_e32 v5, -1, v133, vcc
	v_ashrrev_i32_e32 v96, 31, v85
	v_xor_b32_e32 v85, v5, v85
	v_xor_b32_e32 v84, v96, v84
	v_cmp_ne_u64_e32 vcc, s[78:79], v[84:85]
	v_cndmask_b32_e32 v97, v133, v85, vcc
	v_cndmask_b32_e32 v96, 0, v84, vcc
	v_lshrrev_b64 v[96:97], s84, v[96:97]
	v_and_b32_e32 v96, s68, v96
	v_mul_u32_u24_e32 v5, 5, v96
	v_add_lshl_u32 v5, v5, v177, 2
	; wave barrier
	v_add_u32_e32 v214, 0x410, v5
	ds_read_b32 v213, v5 offset:1040
	v_and_b32_e32 v5, 1, v96
	v_add_co_u32_e32 v97, vcc, -1, v5
	v_addc_co_u32_e64 v98, s[36:37], 0, -1, vcc
	v_cmp_ne_u32_e32 vcc, 0, v5
	v_xor_b32_e32 v5, vcc_hi, v98
	v_and_b32_e32 v98, exec_hi, v5
	v_lshlrev_b32_e32 v5, 30, v96
	v_xor_b32_e32 v97, vcc_lo, v97
	v_cmp_gt_i64_e32 vcc, 0, v[4:5]
	v_not_b32_e32 v5, v5
	v_ashrrev_i32_e32 v5, 31, v5
	v_and_b32_e32 v97, exec_lo, v97
	v_xor_b32_e32 v99, vcc_hi, v5
	v_xor_b32_e32 v5, vcc_lo, v5
	v_and_b32_e32 v97, v97, v5
	v_lshlrev_b32_e32 v5, 29, v96
	v_cmp_gt_i64_e32 vcc, 0, v[4:5]
	v_not_b32_e32 v5, v5
	v_ashrrev_i32_e32 v5, 31, v5
	v_and_b32_e32 v98, v98, v99
	v_xor_b32_e32 v99, vcc_hi, v5
	v_xor_b32_e32 v5, vcc_lo, v5
	v_and_b32_e32 v97, v97, v5
	v_lshlrev_b32_e32 v5, 28, v96
	v_cmp_gt_i64_e32 vcc, 0, v[4:5]
	v_not_b32_e32 v5, v5
	v_ashrrev_i32_e32 v5, 31, v5
	v_and_b32_e32 v98, v98, v99
	;; [unrolled: 8-line block ×5, first 2 shown]
	v_xor_b32_e32 v99, vcc_hi, v5
	v_xor_b32_e32 v5, vcc_lo, v5
	v_and_b32_e32 v98, v98, v99
	v_and_b32_e32 v99, v97, v5
	v_lshlrev_b32_e32 v5, 24, v96
	v_cmp_gt_i64_e32 vcc, 0, v[4:5]
	v_not_b32_e32 v5, v5
	v_ashrrev_i32_e32 v5, 31, v5
	v_xor_b32_e32 v96, vcc_hi, v5
	v_xor_b32_e32 v5, vcc_lo, v5
	v_and_b32_e32 v97, v98, v96
	v_and_b32_e32 v96, v99, v5
	v_mbcnt_lo_u32_b32 v5, v96, 0
	v_mbcnt_hi_u32_b32 v215, v97, v5
	v_cmp_eq_u32_e32 vcc, 0, v215
	v_cmp_ne_u64_e64 s[36:37], 0, v[96:97]
	s_and_b64 s[38:39], s[36:37], vcc
	; wave barrier
	s_and_saveexec_b64 s[36:37], s[38:39]
	s_cbranch_execz .LBB1251_1045
; %bb.1044:                             ;   in Loop: Header=BB1251_987 Depth=2
	v_bcnt_u32_b32 v5, v96, 0
	v_bcnt_u32_b32 v5, v97, v5
	s_waitcnt lgkmcnt(0)
	v_add_u32_e32 v5, v213, v5
	ds_write_b32 v214, v5
.LBB1251_1045:                          ;   in Loop: Header=BB1251_987 Depth=2
	s_or_b64 exec, exec, s[36:37]
	s_waitcnt vmcnt(3)
	v_cmp_lt_i64_e32 vcc, -1, v[80:81]
	v_cndmask_b32_e32 v5, -1, v133, vcc
	v_ashrrev_i32_e32 v96, 31, v81
	v_xor_b32_e32 v81, v5, v81
	v_xor_b32_e32 v80, v96, v80
	v_cmp_ne_u64_e32 vcc, s[78:79], v[80:81]
	v_cndmask_b32_e32 v97, v133, v81, vcc
	v_cndmask_b32_e32 v96, 0, v80, vcc
	v_lshrrev_b64 v[96:97], s84, v[96:97]
	v_and_b32_e32 v96, s68, v96
	v_mul_u32_u24_e32 v5, 5, v96
	v_add_lshl_u32 v5, v5, v177, 2
	; wave barrier
	v_add_u32_e32 v217, 0x410, v5
	ds_read_b32 v216, v5 offset:1040
	v_and_b32_e32 v5, 1, v96
	v_add_co_u32_e32 v97, vcc, -1, v5
	v_addc_co_u32_e64 v98, s[36:37], 0, -1, vcc
	v_cmp_ne_u32_e32 vcc, 0, v5
	v_xor_b32_e32 v5, vcc_hi, v98
	v_and_b32_e32 v98, exec_hi, v5
	v_lshlrev_b32_e32 v5, 30, v96
	v_xor_b32_e32 v97, vcc_lo, v97
	v_cmp_gt_i64_e32 vcc, 0, v[4:5]
	v_not_b32_e32 v5, v5
	v_ashrrev_i32_e32 v5, 31, v5
	v_and_b32_e32 v97, exec_lo, v97
	v_xor_b32_e32 v99, vcc_hi, v5
	v_xor_b32_e32 v5, vcc_lo, v5
	v_and_b32_e32 v97, v97, v5
	v_lshlrev_b32_e32 v5, 29, v96
	v_cmp_gt_i64_e32 vcc, 0, v[4:5]
	v_not_b32_e32 v5, v5
	v_ashrrev_i32_e32 v5, 31, v5
	v_and_b32_e32 v98, v98, v99
	v_xor_b32_e32 v99, vcc_hi, v5
	v_xor_b32_e32 v5, vcc_lo, v5
	v_and_b32_e32 v97, v97, v5
	v_lshlrev_b32_e32 v5, 28, v96
	v_cmp_gt_i64_e32 vcc, 0, v[4:5]
	v_not_b32_e32 v5, v5
	v_ashrrev_i32_e32 v5, 31, v5
	v_and_b32_e32 v98, v98, v99
	;; [unrolled: 8-line block ×5, first 2 shown]
	v_xor_b32_e32 v99, vcc_hi, v5
	v_xor_b32_e32 v5, vcc_lo, v5
	v_and_b32_e32 v98, v98, v99
	v_and_b32_e32 v99, v97, v5
	v_lshlrev_b32_e32 v5, 24, v96
	v_cmp_gt_i64_e32 vcc, 0, v[4:5]
	v_not_b32_e32 v5, v5
	v_ashrrev_i32_e32 v5, 31, v5
	v_xor_b32_e32 v96, vcc_hi, v5
	v_xor_b32_e32 v5, vcc_lo, v5
	v_and_b32_e32 v97, v98, v96
	v_and_b32_e32 v96, v99, v5
	v_mbcnt_lo_u32_b32 v5, v96, 0
	v_mbcnt_hi_u32_b32 v218, v97, v5
	v_cmp_eq_u32_e32 vcc, 0, v218
	v_cmp_ne_u64_e64 s[36:37], 0, v[96:97]
	s_and_b64 s[38:39], s[36:37], vcc
	; wave barrier
	s_and_saveexec_b64 s[36:37], s[38:39]
	s_cbranch_execz .LBB1251_1047
; %bb.1046:                             ;   in Loop: Header=BB1251_987 Depth=2
	v_bcnt_u32_b32 v5, v96, 0
	v_bcnt_u32_b32 v5, v97, v5
	s_waitcnt lgkmcnt(0)
	v_add_u32_e32 v5, v216, v5
	ds_write_b32 v217, v5
.LBB1251_1047:                          ;   in Loop: Header=BB1251_987 Depth=2
	s_or_b64 exec, exec, s[36:37]
	s_waitcnt vmcnt(2)
	v_cmp_lt_i64_e32 vcc, -1, v[76:77]
	v_cndmask_b32_e32 v5, -1, v133, vcc
	v_ashrrev_i32_e32 v96, 31, v77
	v_xor_b32_e32 v77, v5, v77
	v_xor_b32_e32 v76, v96, v76
	v_cmp_ne_u64_e32 vcc, s[78:79], v[76:77]
	v_cndmask_b32_e32 v97, v133, v77, vcc
	v_cndmask_b32_e32 v96, 0, v76, vcc
	v_lshrrev_b64 v[96:97], s84, v[96:97]
	v_and_b32_e32 v96, s68, v96
	v_mul_u32_u24_e32 v5, 5, v96
	v_add_lshl_u32 v5, v5, v177, 2
	; wave barrier
	v_add_u32_e32 v220, 0x410, v5
	ds_read_b32 v219, v5 offset:1040
	v_and_b32_e32 v5, 1, v96
	v_add_co_u32_e32 v97, vcc, -1, v5
	v_addc_co_u32_e64 v98, s[36:37], 0, -1, vcc
	v_cmp_ne_u32_e32 vcc, 0, v5
	v_xor_b32_e32 v5, vcc_hi, v98
	v_and_b32_e32 v98, exec_hi, v5
	v_lshlrev_b32_e32 v5, 30, v96
	v_xor_b32_e32 v97, vcc_lo, v97
	v_cmp_gt_i64_e32 vcc, 0, v[4:5]
	v_not_b32_e32 v5, v5
	v_ashrrev_i32_e32 v5, 31, v5
	v_and_b32_e32 v97, exec_lo, v97
	v_xor_b32_e32 v99, vcc_hi, v5
	v_xor_b32_e32 v5, vcc_lo, v5
	v_and_b32_e32 v97, v97, v5
	v_lshlrev_b32_e32 v5, 29, v96
	v_cmp_gt_i64_e32 vcc, 0, v[4:5]
	v_not_b32_e32 v5, v5
	v_ashrrev_i32_e32 v5, 31, v5
	v_and_b32_e32 v98, v98, v99
	v_xor_b32_e32 v99, vcc_hi, v5
	v_xor_b32_e32 v5, vcc_lo, v5
	v_and_b32_e32 v97, v97, v5
	v_lshlrev_b32_e32 v5, 28, v96
	v_cmp_gt_i64_e32 vcc, 0, v[4:5]
	v_not_b32_e32 v5, v5
	v_ashrrev_i32_e32 v5, 31, v5
	v_and_b32_e32 v98, v98, v99
	;; [unrolled: 8-line block ×5, first 2 shown]
	v_xor_b32_e32 v99, vcc_hi, v5
	v_xor_b32_e32 v5, vcc_lo, v5
	v_and_b32_e32 v98, v98, v99
	v_and_b32_e32 v99, v97, v5
	v_lshlrev_b32_e32 v5, 24, v96
	v_cmp_gt_i64_e32 vcc, 0, v[4:5]
	v_not_b32_e32 v5, v5
	v_ashrrev_i32_e32 v5, 31, v5
	v_xor_b32_e32 v96, vcc_hi, v5
	v_xor_b32_e32 v5, vcc_lo, v5
	v_and_b32_e32 v97, v98, v96
	v_and_b32_e32 v96, v99, v5
	v_mbcnt_lo_u32_b32 v5, v96, 0
	v_mbcnt_hi_u32_b32 v221, v97, v5
	v_cmp_eq_u32_e32 vcc, 0, v221
	v_cmp_ne_u64_e64 s[36:37], 0, v[96:97]
	s_and_b64 s[38:39], s[36:37], vcc
	; wave barrier
	s_and_saveexec_b64 s[36:37], s[38:39]
	s_cbranch_execz .LBB1251_1049
; %bb.1048:                             ;   in Loop: Header=BB1251_987 Depth=2
	v_bcnt_u32_b32 v5, v96, 0
	v_bcnt_u32_b32 v5, v97, v5
	s_waitcnt lgkmcnt(0)
	v_add_u32_e32 v5, v219, v5
	ds_write_b32 v220, v5
.LBB1251_1049:                          ;   in Loop: Header=BB1251_987 Depth=2
	s_or_b64 exec, exec, s[36:37]
	s_waitcnt vmcnt(1)
	v_cmp_lt_i64_e32 vcc, -1, v[72:73]
	v_cndmask_b32_e32 v5, -1, v133, vcc
	v_ashrrev_i32_e32 v96, 31, v73
	v_xor_b32_e32 v73, v5, v73
	v_xor_b32_e32 v72, v96, v72
	v_cmp_ne_u64_e32 vcc, s[78:79], v[72:73]
	v_cndmask_b32_e32 v97, v133, v73, vcc
	v_cndmask_b32_e32 v96, 0, v72, vcc
	v_lshrrev_b64 v[96:97], s84, v[96:97]
	v_and_b32_e32 v96, s68, v96
	v_mul_u32_u24_e32 v5, 5, v96
	v_add_lshl_u32 v5, v5, v177, 2
	; wave barrier
	v_add_u32_e32 v223, 0x410, v5
	ds_read_b32 v222, v5 offset:1040
	v_and_b32_e32 v5, 1, v96
	v_add_co_u32_e32 v97, vcc, -1, v5
	v_addc_co_u32_e64 v98, s[36:37], 0, -1, vcc
	v_cmp_ne_u32_e32 vcc, 0, v5
	v_xor_b32_e32 v5, vcc_hi, v98
	v_and_b32_e32 v98, exec_hi, v5
	v_lshlrev_b32_e32 v5, 30, v96
	v_xor_b32_e32 v97, vcc_lo, v97
	v_cmp_gt_i64_e32 vcc, 0, v[4:5]
	v_not_b32_e32 v5, v5
	v_ashrrev_i32_e32 v5, 31, v5
	v_and_b32_e32 v97, exec_lo, v97
	v_xor_b32_e32 v99, vcc_hi, v5
	v_xor_b32_e32 v5, vcc_lo, v5
	v_and_b32_e32 v97, v97, v5
	v_lshlrev_b32_e32 v5, 29, v96
	v_cmp_gt_i64_e32 vcc, 0, v[4:5]
	v_not_b32_e32 v5, v5
	v_ashrrev_i32_e32 v5, 31, v5
	v_and_b32_e32 v98, v98, v99
	v_xor_b32_e32 v99, vcc_hi, v5
	v_xor_b32_e32 v5, vcc_lo, v5
	v_and_b32_e32 v97, v97, v5
	v_lshlrev_b32_e32 v5, 28, v96
	v_cmp_gt_i64_e32 vcc, 0, v[4:5]
	v_not_b32_e32 v5, v5
	v_ashrrev_i32_e32 v5, 31, v5
	v_and_b32_e32 v98, v98, v99
	;; [unrolled: 8-line block ×5, first 2 shown]
	v_xor_b32_e32 v99, vcc_hi, v5
	v_xor_b32_e32 v5, vcc_lo, v5
	v_and_b32_e32 v98, v98, v99
	v_and_b32_e32 v99, v97, v5
	v_lshlrev_b32_e32 v5, 24, v96
	v_cmp_gt_i64_e32 vcc, 0, v[4:5]
	v_not_b32_e32 v5, v5
	v_ashrrev_i32_e32 v5, 31, v5
	v_xor_b32_e32 v96, vcc_hi, v5
	v_xor_b32_e32 v5, vcc_lo, v5
	v_and_b32_e32 v97, v98, v96
	v_and_b32_e32 v96, v99, v5
	v_mbcnt_lo_u32_b32 v5, v96, 0
	v_mbcnt_hi_u32_b32 v224, v97, v5
	v_cmp_eq_u32_e32 vcc, 0, v224
	v_cmp_ne_u64_e64 s[36:37], 0, v[96:97]
	s_and_b64 s[38:39], s[36:37], vcc
	; wave barrier
	s_and_saveexec_b64 s[36:37], s[38:39]
	s_cbranch_execz .LBB1251_1051
; %bb.1050:                             ;   in Loop: Header=BB1251_987 Depth=2
	v_bcnt_u32_b32 v5, v96, 0
	v_bcnt_u32_b32 v5, v97, v5
	s_waitcnt lgkmcnt(0)
	v_add_u32_e32 v5, v222, v5
	ds_write_b32 v223, v5
.LBB1251_1051:                          ;   in Loop: Header=BB1251_987 Depth=2
	s_or_b64 exec, exec, s[36:37]
	s_waitcnt vmcnt(0)
	v_cmp_lt_i64_e32 vcc, -1, v[68:69]
	v_cndmask_b32_e32 v5, -1, v133, vcc
	v_ashrrev_i32_e32 v96, 31, v69
	v_xor_b32_e32 v69, v5, v69
	v_xor_b32_e32 v68, v96, v68
	v_cmp_ne_u64_e32 vcc, s[78:79], v[68:69]
	v_cndmask_b32_e32 v97, v133, v69, vcc
	v_cndmask_b32_e32 v96, 0, v68, vcc
	v_lshrrev_b64 v[96:97], s84, v[96:97]
	v_and_b32_e32 v96, s68, v96
	v_mul_u32_u24_e32 v5, 5, v96
	v_add_lshl_u32 v5, v5, v177, 2
	; wave barrier
	v_add_u32_e32 v226, 0x410, v5
	ds_read_b32 v225, v5 offset:1040
	v_and_b32_e32 v5, 1, v96
	v_add_co_u32_e32 v97, vcc, -1, v5
	v_addc_co_u32_e64 v98, s[36:37], 0, -1, vcc
	v_cmp_ne_u32_e32 vcc, 0, v5
	v_xor_b32_e32 v5, vcc_hi, v98
	v_and_b32_e32 v98, exec_hi, v5
	v_lshlrev_b32_e32 v5, 30, v96
	v_xor_b32_e32 v97, vcc_lo, v97
	v_cmp_gt_i64_e32 vcc, 0, v[4:5]
	v_not_b32_e32 v5, v5
	v_ashrrev_i32_e32 v5, 31, v5
	v_and_b32_e32 v97, exec_lo, v97
	v_xor_b32_e32 v99, vcc_hi, v5
	v_xor_b32_e32 v5, vcc_lo, v5
	v_and_b32_e32 v97, v97, v5
	v_lshlrev_b32_e32 v5, 29, v96
	v_cmp_gt_i64_e32 vcc, 0, v[4:5]
	v_not_b32_e32 v5, v5
	v_ashrrev_i32_e32 v5, 31, v5
	v_and_b32_e32 v98, v98, v99
	v_xor_b32_e32 v99, vcc_hi, v5
	v_xor_b32_e32 v5, vcc_lo, v5
	v_and_b32_e32 v97, v97, v5
	v_lshlrev_b32_e32 v5, 28, v96
	v_cmp_gt_i64_e32 vcc, 0, v[4:5]
	v_not_b32_e32 v5, v5
	v_ashrrev_i32_e32 v5, 31, v5
	v_and_b32_e32 v98, v98, v99
	;; [unrolled: 8-line block ×5, first 2 shown]
	v_xor_b32_e32 v99, vcc_hi, v5
	v_xor_b32_e32 v5, vcc_lo, v5
	v_and_b32_e32 v98, v98, v99
	v_and_b32_e32 v99, v97, v5
	v_lshlrev_b32_e32 v5, 24, v96
	v_cmp_gt_i64_e32 vcc, 0, v[4:5]
	v_not_b32_e32 v5, v5
	v_ashrrev_i32_e32 v5, 31, v5
	v_xor_b32_e32 v96, vcc_hi, v5
	v_xor_b32_e32 v5, vcc_lo, v5
	v_and_b32_e32 v97, v98, v96
	v_and_b32_e32 v96, v99, v5
	v_mbcnt_lo_u32_b32 v5, v96, 0
	v_mbcnt_hi_u32_b32 v227, v97, v5
	v_cmp_eq_u32_e32 vcc, 0, v227
	v_cmp_ne_u64_e64 s[36:37], 0, v[96:97]
	s_and_b64 s[38:39], s[36:37], vcc
	; wave barrier
	s_and_saveexec_b64 s[36:37], s[38:39]
	s_cbranch_execz .LBB1251_1053
; %bb.1052:                             ;   in Loop: Header=BB1251_987 Depth=2
	v_bcnt_u32_b32 v5, v96, 0
	v_bcnt_u32_b32 v5, v97, v5
	s_waitcnt lgkmcnt(0)
	v_add_u32_e32 v5, v225, v5
	ds_write_b32 v226, v5
.LBB1251_1053:                          ;   in Loop: Header=BB1251_987 Depth=2
	s_or_b64 exec, exec, s[36:37]
	v_cmp_lt_i64_e32 vcc, -1, v[70:71]
	v_cndmask_b32_e32 v5, -1, v133, vcc
	v_ashrrev_i32_e32 v96, 31, v71
	v_xor_b32_e32 v71, v5, v71
	v_xor_b32_e32 v70, v96, v70
	v_cmp_ne_u64_e32 vcc, s[78:79], v[70:71]
	v_cndmask_b32_e32 v97, v133, v71, vcc
	v_cndmask_b32_e32 v96, 0, v70, vcc
	v_lshrrev_b64 v[96:97], s84, v[96:97]
	v_and_b32_e32 v96, s68, v96
	v_mul_u32_u24_e32 v5, 5, v96
	v_add_lshl_u32 v5, v5, v177, 2
	; wave barrier
	v_add_u32_e32 v229, 0x410, v5
	ds_read_b32 v228, v5 offset:1040
	v_and_b32_e32 v5, 1, v96
	v_add_co_u32_e32 v97, vcc, -1, v5
	v_addc_co_u32_e64 v98, s[36:37], 0, -1, vcc
	v_cmp_ne_u32_e32 vcc, 0, v5
	v_xor_b32_e32 v5, vcc_hi, v98
	v_and_b32_e32 v98, exec_hi, v5
	v_lshlrev_b32_e32 v5, 30, v96
	v_xor_b32_e32 v97, vcc_lo, v97
	v_cmp_gt_i64_e32 vcc, 0, v[4:5]
	v_not_b32_e32 v5, v5
	v_ashrrev_i32_e32 v5, 31, v5
	v_and_b32_e32 v97, exec_lo, v97
	v_xor_b32_e32 v99, vcc_hi, v5
	v_xor_b32_e32 v5, vcc_lo, v5
	v_and_b32_e32 v97, v97, v5
	v_lshlrev_b32_e32 v5, 29, v96
	v_cmp_gt_i64_e32 vcc, 0, v[4:5]
	v_not_b32_e32 v5, v5
	v_ashrrev_i32_e32 v5, 31, v5
	v_and_b32_e32 v98, v98, v99
	v_xor_b32_e32 v99, vcc_hi, v5
	v_xor_b32_e32 v5, vcc_lo, v5
	v_and_b32_e32 v97, v97, v5
	v_lshlrev_b32_e32 v5, 28, v96
	v_cmp_gt_i64_e32 vcc, 0, v[4:5]
	v_not_b32_e32 v5, v5
	v_ashrrev_i32_e32 v5, 31, v5
	v_and_b32_e32 v98, v98, v99
	;; [unrolled: 8-line block ×5, first 2 shown]
	v_xor_b32_e32 v99, vcc_hi, v5
	v_xor_b32_e32 v5, vcc_lo, v5
	v_and_b32_e32 v98, v98, v99
	v_and_b32_e32 v99, v97, v5
	v_lshlrev_b32_e32 v5, 24, v96
	v_cmp_gt_i64_e32 vcc, 0, v[4:5]
	v_not_b32_e32 v5, v5
	v_ashrrev_i32_e32 v5, 31, v5
	v_xor_b32_e32 v96, vcc_hi, v5
	v_xor_b32_e32 v5, vcc_lo, v5
	v_and_b32_e32 v97, v98, v96
	v_and_b32_e32 v96, v99, v5
	v_mbcnt_lo_u32_b32 v5, v96, 0
	v_mbcnt_hi_u32_b32 v230, v97, v5
	v_cmp_eq_u32_e32 vcc, 0, v230
	v_cmp_ne_u64_e64 s[36:37], 0, v[96:97]
	s_and_b64 s[38:39], s[36:37], vcc
	; wave barrier
	s_and_saveexec_b64 s[36:37], s[38:39]
	s_cbranch_execz .LBB1251_1055
; %bb.1054:                             ;   in Loop: Header=BB1251_987 Depth=2
	v_bcnt_u32_b32 v5, v96, 0
	v_bcnt_u32_b32 v5, v97, v5
	s_waitcnt lgkmcnt(0)
	v_add_u32_e32 v5, v228, v5
	ds_write_b32 v229, v5
.LBB1251_1055:                          ;   in Loop: Header=BB1251_987 Depth=2
	s_or_b64 exec, exec, s[36:37]
	; wave barrier
	s_waitcnt lgkmcnt(0)
	s_barrier
	ds_read_b32 v5, v27 offset:1040
	ds_read2_b32 v[98:99], v31 offset0:1 offset1:2
	ds_read2_b32 v[96:97], v31 offset0:3 offset1:4
	s_waitcnt lgkmcnt(1)
	v_add3_u32 v231, v98, v5, v99
	s_waitcnt lgkmcnt(0)
	v_add3_u32 v97, v231, v96, v97
	s_nop 1
	v_mov_b32_dpp v231, v97 row_shr:1 row_mask:0xf bank_mask:0xf
	v_cndmask_b32_e64 v231, v231, 0, s[16:17]
	v_add_u32_e32 v97, v231, v97
	s_nop 1
	v_mov_b32_dpp v231, v97 row_shr:2 row_mask:0xf bank_mask:0xf
	v_cndmask_b32_e64 v231, 0, v231, s[18:19]
	v_add_u32_e32 v97, v97, v231
	;; [unrolled: 4-line block ×4, first 2 shown]
	s_nop 1
	v_mov_b32_dpp v231, v97 row_bcast:15 row_mask:0xf bank_mask:0xf
	v_cndmask_b32_e64 v231, v231, 0, s[24:25]
	v_add_u32_e32 v97, v97, v231
	s_nop 1
	v_mov_b32_dpp v231, v97 row_bcast:31 row_mask:0xf bank_mask:0xf
	v_cndmask_b32_e64 v231, 0, v231, s[26:27]
	v_add_u32_e32 v97, v97, v231
	s_and_saveexec_b64 s[36:37], s[6:7]
	s_cbranch_execz .LBB1251_1057
; %bb.1056:                             ;   in Loop: Header=BB1251_987 Depth=2
	ds_write_b32 v15, v97 offset:1024
.LBB1251_1057:                          ;   in Loop: Header=BB1251_987 Depth=2
	s_or_b64 exec, exec, s[36:37]
	s_waitcnt lgkmcnt(0)
	s_barrier
	s_and_saveexec_b64 s[36:37], s[8:9]
	s_cbranch_execz .LBB1251_1059
; %bb.1058:                             ;   in Loop: Header=BB1251_987 Depth=2
	ds_read_b32 v231, v33 offset:1024
	s_waitcnt lgkmcnt(0)
	s_nop 0
	v_mov_b32_dpp v232, v231 row_shr:1 row_mask:0xf bank_mask:0xf
	v_cndmask_b32_e64 v232, v232, 0, s[30:31]
	v_add_u32_e32 v231, v232, v231
	s_nop 1
	v_mov_b32_dpp v232, v231 row_shr:2 row_mask:0xf bank_mask:0xf
	v_cndmask_b32_e64 v232, 0, v232, s[34:35]
	v_add_u32_e32 v231, v231, v232
	ds_write_b32 v33, v231 offset:1024
.LBB1251_1059:                          ;   in Loop: Header=BB1251_987 Depth=2
	s_or_b64 exec, exec, s[36:37]
	v_mov_b32_e32 v231, 0
	s_waitcnt lgkmcnt(0)
	s_barrier
	s_and_saveexec_b64 s[36:37], s[10:11]
	s_cbranch_execz .LBB1251_1061
; %bb.1060:                             ;   in Loop: Header=BB1251_987 Depth=2
	ds_read_b32 v231, v15 offset:1020
.LBB1251_1061:                          ;   in Loop: Header=BB1251_987 Depth=2
	s_or_b64 exec, exec, s[36:37]
	s_waitcnt lgkmcnt(0)
	v_add_u32_e32 v97, v231, v97
	ds_bpermute_b32 v97, v159, v97
	s_waitcnt lgkmcnt(0)
	v_cndmask_b32_e64 v97, v97, v231, s[28:29]
	v_cndmask_b32_e64 v97, v97, 0, s[12:13]
	v_add_u32_e32 v5, v97, v5
	ds_write_b32 v27, v97 offset:1040
	v_add_u32_e32 v97, v5, v98
	v_add_u32_e32 v98, v97, v99
	ds_write2_b32 v31, v5, v97 offset0:1 offset1:2
	v_add_u32_e32 v5, v98, v96
	ds_write2_b32 v31, v98, v5 offset0:3 offset1:4
	s_waitcnt lgkmcnt(0)
	s_barrier
	ds_read_b32 v97, v187
	ds_read_b32 v235, v190
	;; [unrolled: 1-line block ×16, first 2 shown]
	ds_read_b32 v184, v27 offset:1040
	v_mov_b32_e32 v5, 0x1000
	s_and_saveexec_b64 s[36:37], s[14:15]
	s_cbranch_execz .LBB1251_1063
; %bb.1062:                             ;   in Loop: Header=BB1251_987 Depth=2
	ds_read_b32 v5, v27 offset:1060
.LBB1251_1063:                          ;   in Loop: Header=BB1251_987 Depth=2
	s_or_b64 exec, exec, s[36:37]
	s_waitcnt lgkmcnt(0)
	s_barrier
	s_and_saveexec_b64 s[36:37], s[4:5]
	s_cbranch_execz .LBB1251_1065
; %bb.1064:                             ;   in Loop: Header=BB1251_987 Depth=2
	ds_read_b32 v208, v3
	s_waitcnt lgkmcnt(0)
	v_sub_u32_e32 v184, v208, v184
	ds_write_b32 v3, v184
.LBB1251_1065:                          ;   in Loop: Header=BB1251_987 Depth=2
	s_or_b64 exec, exec, s[36:37]
	v_add_u32_e32 v186, v188, v186
	v_add_u32_e32 v189, v191, v189
	v_add_lshl_u32 v96, v96, v185, 3
	v_add_lshl_u32 v97, v186, v97, 3
	v_add_u32_e32 v192, v194, v192
	ds_write_b64 v96, v[64:65] offset:1024
	ds_write_b64 v97, v[66:67] offset:1024
	v_add_lshl_u32 v67, v189, v235, 3
	v_add_u32_e32 v198, v200, v198
	v_add_u32_e32 v195, v197, v195
	ds_write_b64 v67, v[74:75] offset:1024
	v_add_lshl_u32 v74, v192, v234, 3
	v_add_u32_e32 v213, v215, v213
	v_add_u32_e32 v210, v212, v210
	v_add_u32_e32 v207, v209, v207
	v_add_u32_e32 v204, v206, v204
	v_add_u32_e32 v201, v203, v201
	ds_write_b64 v74, v[78:79] offset:1024
	v_add_lshl_u32 v75, v195, v233, 3
	v_add_lshl_u32 v78, v198, v232, 3
	v_add_u32_e32 v216, v218, v216
	ds_write_b64 v75, v[82:83] offset:1024
	ds_write_b64 v78, v[86:87] offset:1024
	v_add_lshl_u32 v79, v201, v231, 3
	v_add_lshl_u32 v82, v204, v205, 3
	;; [unrolled: 1-line block ×5, first 2 shown]
	v_add_u32_e32 v214, v221, v219
	ds_write_b64 v79, v[90:91] offset:1024
	ds_write_b64 v82, v[94:95] offset:1024
	;; [unrolled: 1-line block ×5, first 2 shown]
	v_add_lshl_u32 v84, v216, v193, 3
	v_add_u32_e32 v211, v224, v222
	ds_write_b64 v84, v[80:81] offset:1024
	v_add_lshl_u32 v80, v214, v190, 3
	v_add_u32_e32 v208, v227, v225
	ds_write_b64 v80, v[76:77] offset:1024
	;; [unrolled: 3-line block ×3, first 2 shown]
	v_add_lshl_u32 v72, v208, v99, 3
	ds_write_b64 v72, v[68:69] offset:1024
	v_add_lshl_u32 v68, v184, v98, 3
	v_cmp_lt_u32_e64 s[36:37], v2, v183
	v_add_u32_e32 v66, v33, v3
	ds_write_b64 v68, v[70:71] offset:1024
	s_waitcnt lgkmcnt(0)
	s_barrier
	s_and_saveexec_b64 s[40:41], s[36:37]
	s_cbranch_execz .LBB1251_1081
; %bb.1066:                             ;   in Loop: Header=BB1251_987 Depth=2
	ds_read_b64 v[64:65], v66 offset:1024
	v_mov_b32_e32 v71, v4
	s_waitcnt lgkmcnt(0)
	v_cmp_ne_u64_e32 vcc, s[78:79], v[64:65]
	v_cndmask_b32_e32 v89, v133, v65, vcc
	v_cndmask_b32_e32 v88, 0, v64, vcc
	v_lshrrev_b64 v[88:89], s84, v[88:89]
	v_and_b32_e32 v70, s68, v88
	v_lshlrev_b32_e32 v70, 2, v70
	ds_read_b32 v70, v70
	v_cmp_lt_i64_e64 s[38:39], -1, v[64:65]
	v_cndmask_b32_e64 v69, v133, -1, s[38:39]
	v_ashrrev_i32_e32 v73, 31, v65
	v_not_b32_e32 v73, v73
	s_waitcnt lgkmcnt(0)
	v_add_u32_e32 v70, v70, v2
	v_lshlrev_b64 v[70:71], 3, v[70:71]
	v_xor_b32_e32 v65, v69, v65
	v_mov_b32_e32 v69, s77
	v_add_co_u32_e32 v70, vcc, s76, v70
	v_xor_b32_e32 v64, v73, v64
	v_addc_co_u32_e32 v71, vcc, v69, v71, vcc
	global_store_dwordx2 v[70:71], v[64:65], off
	s_or_b64 exec, exec, s[40:41]
	v_cmp_lt_u32_e64 s[38:39], v7, v183
	s_and_saveexec_b64 s[42:43], s[38:39]
	s_cbranch_execnz .LBB1251_1082
.LBB1251_1067:                          ;   in Loop: Header=BB1251_987 Depth=2
	s_or_b64 exec, exec, s[42:43]
	v_cmp_lt_u32_e64 s[40:41], v6, v183
	s_and_saveexec_b64 s[44:45], s[40:41]
	s_cbranch_execz .LBB1251_1083
.LBB1251_1068:                          ;   in Loop: Header=BB1251_987 Depth=2
	ds_read_b64 v[64:65], v104 offset:4096
	v_mov_b32_e32 v71, v4
	s_waitcnt lgkmcnt(0)
	v_cmp_ne_u64_e32 vcc, s[78:79], v[64:65]
	v_cndmask_b32_e32 v89, v133, v65, vcc
	v_cndmask_b32_e32 v88, 0, v64, vcc
	v_lshrrev_b64 v[88:89], s84, v[88:89]
	v_and_b32_e32 v70, s68, v88
	v_lshlrev_b32_e32 v70, 2, v70
	ds_read_b32 v70, v70
	v_cmp_lt_i64_e64 s[42:43], -1, v[64:65]
	v_cndmask_b32_e64 v69, v133, -1, s[42:43]
	v_ashrrev_i32_e32 v73, 31, v65
	v_not_b32_e32 v73, v73
	s_waitcnt lgkmcnt(0)
	v_add_u32_e32 v70, v70, v6
	v_lshlrev_b64 v[70:71], 3, v[70:71]
	v_xor_b32_e32 v65, v69, v65
	v_mov_b32_e32 v69, s77
	v_add_co_u32_e32 v70, vcc, s76, v70
	v_xor_b32_e32 v64, v73, v64
	v_addc_co_u32_e32 v71, vcc, v69, v71, vcc
	global_store_dwordx2 v[70:71], v[64:65], off
	s_or_b64 exec, exec, s[44:45]
	v_cmp_lt_u32_e64 s[42:43], v8, v183
	s_and_saveexec_b64 s[46:47], s[42:43]
	s_cbranch_execnz .LBB1251_1084
.LBB1251_1069:                          ;   in Loop: Header=BB1251_987 Depth=2
	s_or_b64 exec, exec, s[46:47]
	v_cmp_lt_u32_e64 s[44:45], v10, v183
	s_and_saveexec_b64 s[48:49], s[44:45]
	s_cbranch_execz .LBB1251_1085
.LBB1251_1070:                          ;   in Loop: Header=BB1251_987 Depth=2
	ds_read_b64 v[64:65], v104 offset:8192
	v_mov_b32_e32 v71, v4
	s_waitcnt lgkmcnt(0)
	v_cmp_ne_u64_e32 vcc, s[78:79], v[64:65]
	v_cndmask_b32_e32 v89, v133, v65, vcc
	v_cndmask_b32_e32 v88, 0, v64, vcc
	v_lshrrev_b64 v[88:89], s84, v[88:89]
	v_and_b32_e32 v70, s68, v88
	v_lshlrev_b32_e32 v70, 2, v70
	ds_read_b32 v70, v70
	v_cmp_lt_i64_e64 s[46:47], -1, v[64:65]
	v_cndmask_b32_e64 v69, v133, -1, s[46:47]
	v_ashrrev_i32_e32 v73, 31, v65
	v_not_b32_e32 v73, v73
	s_waitcnt lgkmcnt(0)
	v_add_u32_e32 v70, v70, v10
	v_lshlrev_b64 v[70:71], 3, v[70:71]
	v_xor_b32_e32 v65, v69, v65
	v_mov_b32_e32 v69, s77
	v_add_co_u32_e32 v70, vcc, s76, v70
	v_xor_b32_e32 v64, v73, v64
	v_addc_co_u32_e32 v71, vcc, v69, v71, vcc
	global_store_dwordx2 v[70:71], v[64:65], off
	s_or_b64 exec, exec, s[48:49]
	v_cmp_lt_u32_e64 s[46:47], v12, v183
	s_and_saveexec_b64 s[50:51], s[46:47]
	s_cbranch_execnz .LBB1251_1086
.LBB1251_1071:                          ;   in Loop: Header=BB1251_987 Depth=2
	s_or_b64 exec, exec, s[50:51]
	v_cmp_lt_u32_e64 s[48:49], v14, v183
	s_and_saveexec_b64 s[52:53], s[48:49]
	s_cbranch_execz .LBB1251_1087
.LBB1251_1072:                          ;   in Loop: Header=BB1251_987 Depth=2
	ds_read_b64 v[64:65], v104 offset:12288
	v_mov_b32_e32 v71, v4
	s_waitcnt lgkmcnt(0)
	v_cmp_ne_u64_e32 vcc, s[78:79], v[64:65]
	v_cndmask_b32_e32 v89, v133, v65, vcc
	v_cndmask_b32_e32 v88, 0, v64, vcc
	v_lshrrev_b64 v[88:89], s84, v[88:89]
	v_and_b32_e32 v70, s68, v88
	v_lshlrev_b32_e32 v70, 2, v70
	ds_read_b32 v70, v70
	v_cmp_lt_i64_e64 s[50:51], -1, v[64:65]
	v_cndmask_b32_e64 v69, v133, -1, s[50:51]
	v_ashrrev_i32_e32 v73, 31, v65
	v_not_b32_e32 v73, v73
	s_waitcnt lgkmcnt(0)
	v_add_u32_e32 v70, v70, v14
	v_lshlrev_b64 v[70:71], 3, v[70:71]
	v_xor_b32_e32 v65, v69, v65
	v_mov_b32_e32 v69, s77
	v_add_co_u32_e32 v70, vcc, s76, v70
	v_xor_b32_e32 v64, v73, v64
	v_addc_co_u32_e32 v71, vcc, v69, v71, vcc
	global_store_dwordx2 v[70:71], v[64:65], off
	s_or_b64 exec, exec, s[52:53]
	v_cmp_lt_u32_e64 s[50:51], v16, v183
	s_and_saveexec_b64 s[54:55], s[50:51]
	s_cbranch_execnz .LBB1251_1088
.LBB1251_1073:                          ;   in Loop: Header=BB1251_987 Depth=2
	s_or_b64 exec, exec, s[54:55]
	v_cmp_lt_u32_e64 s[52:53], v18, v183
	s_and_saveexec_b64 s[56:57], s[52:53]
	s_cbranch_execz .LBB1251_1089
.LBB1251_1074:                          ;   in Loop: Header=BB1251_987 Depth=2
	ds_read_b64 v[64:65], v104 offset:16384
	v_mov_b32_e32 v71, v4
	s_waitcnt lgkmcnt(0)
	v_cmp_ne_u64_e32 vcc, s[78:79], v[64:65]
	v_cndmask_b32_e32 v89, v133, v65, vcc
	v_cndmask_b32_e32 v88, 0, v64, vcc
	v_lshrrev_b64 v[88:89], s84, v[88:89]
	v_and_b32_e32 v70, s68, v88
	v_lshlrev_b32_e32 v70, 2, v70
	ds_read_b32 v70, v70
	v_cmp_lt_i64_e64 s[54:55], -1, v[64:65]
	v_cndmask_b32_e64 v69, v133, -1, s[54:55]
	v_ashrrev_i32_e32 v73, 31, v65
	v_not_b32_e32 v73, v73
	s_waitcnt lgkmcnt(0)
	v_add_u32_e32 v70, v70, v18
	v_lshlrev_b64 v[70:71], 3, v[70:71]
	v_xor_b32_e32 v65, v69, v65
	v_mov_b32_e32 v69, s77
	v_add_co_u32_e32 v70, vcc, s76, v70
	v_xor_b32_e32 v64, v73, v64
	v_addc_co_u32_e32 v71, vcc, v69, v71, vcc
	global_store_dwordx2 v[70:71], v[64:65], off
	s_or_b64 exec, exec, s[56:57]
	v_cmp_lt_u32_e64 s[54:55], v20, v183
	s_and_saveexec_b64 s[58:59], s[54:55]
	s_cbranch_execnz .LBB1251_1090
.LBB1251_1075:                          ;   in Loop: Header=BB1251_987 Depth=2
	s_or_b64 exec, exec, s[58:59]
	v_cmp_lt_u32_e64 s[56:57], v22, v183
	s_and_saveexec_b64 s[60:61], s[56:57]
	s_cbranch_execz .LBB1251_1091
.LBB1251_1076:                          ;   in Loop: Header=BB1251_987 Depth=2
	ds_read_b64 v[64:65], v104 offset:20480
	v_mov_b32_e32 v71, v4
	s_waitcnt lgkmcnt(0)
	v_cmp_ne_u64_e32 vcc, s[78:79], v[64:65]
	v_cndmask_b32_e32 v89, v133, v65, vcc
	v_cndmask_b32_e32 v88, 0, v64, vcc
	v_lshrrev_b64 v[88:89], s84, v[88:89]
	v_and_b32_e32 v70, s68, v88
	v_lshlrev_b32_e32 v70, 2, v70
	ds_read_b32 v70, v70
	v_cmp_lt_i64_e64 s[58:59], -1, v[64:65]
	v_cndmask_b32_e64 v69, v133, -1, s[58:59]
	v_ashrrev_i32_e32 v73, 31, v65
	v_not_b32_e32 v73, v73
	s_waitcnt lgkmcnt(0)
	v_add_u32_e32 v70, v70, v22
	v_lshlrev_b64 v[70:71], 3, v[70:71]
	v_xor_b32_e32 v65, v69, v65
	v_mov_b32_e32 v69, s77
	v_add_co_u32_e32 v70, vcc, s76, v70
	v_xor_b32_e32 v64, v73, v64
	v_addc_co_u32_e32 v71, vcc, v69, v71, vcc
	global_store_dwordx2 v[70:71], v[64:65], off
	s_or_b64 exec, exec, s[60:61]
	v_cmp_lt_u32_e64 s[58:59], v24, v183
	s_and_saveexec_b64 s[62:63], s[58:59]
	s_cbranch_execnz .LBB1251_1092
.LBB1251_1077:                          ;   in Loop: Header=BB1251_987 Depth=2
	s_or_b64 exec, exec, s[62:63]
	v_cmp_lt_u32_e64 s[60:61], v26, v183
	s_and_saveexec_b64 s[64:65], s[60:61]
	s_cbranch_execz .LBB1251_1093
.LBB1251_1078:                          ;   in Loop: Header=BB1251_987 Depth=2
	ds_read_b64 v[64:65], v104 offset:24576
	v_mov_b32_e32 v71, v4
	s_waitcnt lgkmcnt(0)
	v_cmp_ne_u64_e32 vcc, s[78:79], v[64:65]
	v_cndmask_b32_e32 v89, v133, v65, vcc
	v_cndmask_b32_e32 v88, 0, v64, vcc
	v_lshrrev_b64 v[88:89], s84, v[88:89]
	v_and_b32_e32 v70, s68, v88
	v_lshlrev_b32_e32 v70, 2, v70
	ds_read_b32 v70, v70
	v_cmp_lt_i64_e64 s[62:63], -1, v[64:65]
	v_cndmask_b32_e64 v69, v133, -1, s[62:63]
	v_ashrrev_i32_e32 v73, 31, v65
	v_not_b32_e32 v73, v73
	s_waitcnt lgkmcnt(0)
	v_add_u32_e32 v70, v70, v26
	v_lshlrev_b64 v[70:71], 3, v[70:71]
	v_xor_b32_e32 v65, v69, v65
	v_mov_b32_e32 v69, s77
	v_add_co_u32_e32 v70, vcc, s76, v70
	v_xor_b32_e32 v64, v73, v64
	v_addc_co_u32_e32 v71, vcc, v69, v71, vcc
	global_store_dwordx2 v[70:71], v[64:65], off
	s_or_b64 exec, exec, s[64:65]
	v_cmp_lt_u32_e64 s[62:63], v28, v183
	s_and_saveexec_b64 s[66:67], s[62:63]
	s_cbranch_execnz .LBB1251_1094
.LBB1251_1079:                          ;   in Loop: Header=BB1251_987 Depth=2
	s_or_b64 exec, exec, s[66:67]
	v_cmp_lt_u32_e64 s[64:65], v30, v183
	s_and_saveexec_b64 s[92:93], s[64:65]
	s_cbranch_execz .LBB1251_1095
.LBB1251_1080:                          ;   in Loop: Header=BB1251_987 Depth=2
	ds_read_b64 v[64:65], v104 offset:28672
	v_mov_b32_e32 v71, v4
	s_waitcnt lgkmcnt(0)
	v_cmp_ne_u64_e32 vcc, s[78:79], v[64:65]
	v_cndmask_b32_e32 v89, v133, v65, vcc
	v_cndmask_b32_e32 v88, 0, v64, vcc
	v_lshrrev_b64 v[88:89], s84, v[88:89]
	v_and_b32_e32 v70, s68, v88
	v_lshlrev_b32_e32 v70, 2, v70
	ds_read_b32 v70, v70
	v_cmp_lt_i64_e64 s[66:67], -1, v[64:65]
	v_cndmask_b32_e64 v69, v133, -1, s[66:67]
	v_ashrrev_i32_e32 v73, 31, v65
	v_not_b32_e32 v73, v73
	s_waitcnt lgkmcnt(0)
	v_add_u32_e32 v70, v70, v30
	v_lshlrev_b64 v[70:71], 3, v[70:71]
	v_xor_b32_e32 v65, v69, v65
	v_mov_b32_e32 v69, s77
	v_add_co_u32_e32 v70, vcc, s76, v70
	v_xor_b32_e32 v64, v73, v64
	v_addc_co_u32_e32 v71, vcc, v69, v71, vcc
	global_store_dwordx2 v[70:71], v[64:65], off
	s_or_b64 exec, exec, s[92:93]
	v_cmp_lt_u32_e64 s[66:67], v32, v183
	s_and_saveexec_b64 s[92:93], s[66:67]
	s_cbranch_execnz .LBB1251_1096
	s_branch .LBB1251_1097
.LBB1251_1081:                          ;   in Loop: Header=BB1251_987 Depth=2
	s_or_b64 exec, exec, s[40:41]
	v_cmp_lt_u32_e64 s[38:39], v7, v183
	s_and_saveexec_b64 s[42:43], s[38:39]
	s_cbranch_execz .LBB1251_1067
.LBB1251_1082:                          ;   in Loop: Header=BB1251_987 Depth=2
	ds_read_b64 v[64:65], v104 offset:2048
	v_mov_b32_e32 v71, v4
	s_waitcnt lgkmcnt(0)
	v_cmp_ne_u64_e32 vcc, s[78:79], v[64:65]
	v_cndmask_b32_e32 v89, v133, v65, vcc
	v_cndmask_b32_e32 v88, 0, v64, vcc
	v_lshrrev_b64 v[88:89], s84, v[88:89]
	v_and_b32_e32 v70, s68, v88
	v_lshlrev_b32_e32 v70, 2, v70
	ds_read_b32 v70, v70
	v_cmp_lt_i64_e64 s[40:41], -1, v[64:65]
	v_cndmask_b32_e64 v69, v133, -1, s[40:41]
	v_ashrrev_i32_e32 v73, 31, v65
	v_not_b32_e32 v73, v73
	s_waitcnt lgkmcnt(0)
	v_add_u32_e32 v70, v70, v7
	v_lshlrev_b64 v[70:71], 3, v[70:71]
	v_xor_b32_e32 v65, v69, v65
	v_mov_b32_e32 v69, s77
	v_add_co_u32_e32 v70, vcc, s76, v70
	v_xor_b32_e32 v64, v73, v64
	v_addc_co_u32_e32 v71, vcc, v69, v71, vcc
	global_store_dwordx2 v[70:71], v[64:65], off
	s_or_b64 exec, exec, s[42:43]
	v_cmp_lt_u32_e64 s[40:41], v6, v183
	s_and_saveexec_b64 s[44:45], s[40:41]
	s_cbranch_execnz .LBB1251_1068
.LBB1251_1083:                          ;   in Loop: Header=BB1251_987 Depth=2
	s_or_b64 exec, exec, s[44:45]
	v_cmp_lt_u32_e64 s[42:43], v8, v183
	s_and_saveexec_b64 s[46:47], s[42:43]
	s_cbranch_execz .LBB1251_1069
.LBB1251_1084:                          ;   in Loop: Header=BB1251_987 Depth=2
	ds_read_b64 v[64:65], v104 offset:6144
	v_mov_b32_e32 v71, v4
	s_waitcnt lgkmcnt(0)
	v_cmp_ne_u64_e32 vcc, s[78:79], v[64:65]
	v_cndmask_b32_e32 v89, v133, v65, vcc
	v_cndmask_b32_e32 v88, 0, v64, vcc
	v_lshrrev_b64 v[88:89], s84, v[88:89]
	v_and_b32_e32 v70, s68, v88
	v_lshlrev_b32_e32 v70, 2, v70
	ds_read_b32 v70, v70
	v_cmp_lt_i64_e64 s[44:45], -1, v[64:65]
	v_cndmask_b32_e64 v69, v133, -1, s[44:45]
	v_ashrrev_i32_e32 v73, 31, v65
	v_not_b32_e32 v73, v73
	s_waitcnt lgkmcnt(0)
	v_add_u32_e32 v70, v70, v8
	v_lshlrev_b64 v[70:71], 3, v[70:71]
	v_xor_b32_e32 v65, v69, v65
	v_mov_b32_e32 v69, s77
	v_add_co_u32_e32 v70, vcc, s76, v70
	v_xor_b32_e32 v64, v73, v64
	v_addc_co_u32_e32 v71, vcc, v69, v71, vcc
	global_store_dwordx2 v[70:71], v[64:65], off
	s_or_b64 exec, exec, s[46:47]
	v_cmp_lt_u32_e64 s[44:45], v10, v183
	s_and_saveexec_b64 s[48:49], s[44:45]
	s_cbranch_execnz .LBB1251_1070
.LBB1251_1085:                          ;   in Loop: Header=BB1251_987 Depth=2
	s_or_b64 exec, exec, s[48:49]
	v_cmp_lt_u32_e64 s[46:47], v12, v183
	s_and_saveexec_b64 s[50:51], s[46:47]
	s_cbranch_execz .LBB1251_1071
.LBB1251_1086:                          ;   in Loop: Header=BB1251_987 Depth=2
	ds_read_b64 v[64:65], v104 offset:10240
	v_mov_b32_e32 v71, v4
	s_waitcnt lgkmcnt(0)
	v_cmp_ne_u64_e32 vcc, s[78:79], v[64:65]
	v_cndmask_b32_e32 v89, v133, v65, vcc
	v_cndmask_b32_e32 v88, 0, v64, vcc
	v_lshrrev_b64 v[88:89], s84, v[88:89]
	v_and_b32_e32 v70, s68, v88
	v_lshlrev_b32_e32 v70, 2, v70
	ds_read_b32 v70, v70
	v_cmp_lt_i64_e64 s[48:49], -1, v[64:65]
	v_cndmask_b32_e64 v69, v133, -1, s[48:49]
	v_ashrrev_i32_e32 v73, 31, v65
	v_not_b32_e32 v73, v73
	s_waitcnt lgkmcnt(0)
	v_add_u32_e32 v70, v70, v12
	v_lshlrev_b64 v[70:71], 3, v[70:71]
	v_xor_b32_e32 v65, v69, v65
	v_mov_b32_e32 v69, s77
	v_add_co_u32_e32 v70, vcc, s76, v70
	v_xor_b32_e32 v64, v73, v64
	v_addc_co_u32_e32 v71, vcc, v69, v71, vcc
	global_store_dwordx2 v[70:71], v[64:65], off
	s_or_b64 exec, exec, s[50:51]
	v_cmp_lt_u32_e64 s[48:49], v14, v183
	s_and_saveexec_b64 s[52:53], s[48:49]
	s_cbranch_execnz .LBB1251_1072
.LBB1251_1087:                          ;   in Loop: Header=BB1251_987 Depth=2
	s_or_b64 exec, exec, s[52:53]
	v_cmp_lt_u32_e64 s[50:51], v16, v183
	s_and_saveexec_b64 s[54:55], s[50:51]
	s_cbranch_execz .LBB1251_1073
.LBB1251_1088:                          ;   in Loop: Header=BB1251_987 Depth=2
	ds_read_b64 v[64:65], v104 offset:14336
	v_mov_b32_e32 v71, v4
	s_waitcnt lgkmcnt(0)
	v_cmp_ne_u64_e32 vcc, s[78:79], v[64:65]
	v_cndmask_b32_e32 v89, v133, v65, vcc
	v_cndmask_b32_e32 v88, 0, v64, vcc
	v_lshrrev_b64 v[88:89], s84, v[88:89]
	v_and_b32_e32 v70, s68, v88
	v_lshlrev_b32_e32 v70, 2, v70
	ds_read_b32 v70, v70
	v_cmp_lt_i64_e64 s[52:53], -1, v[64:65]
	v_cndmask_b32_e64 v69, v133, -1, s[52:53]
	v_ashrrev_i32_e32 v73, 31, v65
	v_not_b32_e32 v73, v73
	s_waitcnt lgkmcnt(0)
	v_add_u32_e32 v70, v70, v16
	v_lshlrev_b64 v[70:71], 3, v[70:71]
	v_xor_b32_e32 v65, v69, v65
	v_mov_b32_e32 v69, s77
	v_add_co_u32_e32 v70, vcc, s76, v70
	v_xor_b32_e32 v64, v73, v64
	v_addc_co_u32_e32 v71, vcc, v69, v71, vcc
	global_store_dwordx2 v[70:71], v[64:65], off
	s_or_b64 exec, exec, s[54:55]
	v_cmp_lt_u32_e64 s[52:53], v18, v183
	s_and_saveexec_b64 s[56:57], s[52:53]
	s_cbranch_execnz .LBB1251_1074
.LBB1251_1089:                          ;   in Loop: Header=BB1251_987 Depth=2
	s_or_b64 exec, exec, s[56:57]
	v_cmp_lt_u32_e64 s[54:55], v20, v183
	s_and_saveexec_b64 s[58:59], s[54:55]
	s_cbranch_execz .LBB1251_1075
.LBB1251_1090:                          ;   in Loop: Header=BB1251_987 Depth=2
	ds_read_b64 v[64:65], v104 offset:18432
	v_mov_b32_e32 v71, v4
	s_waitcnt lgkmcnt(0)
	v_cmp_ne_u64_e32 vcc, s[78:79], v[64:65]
	v_cndmask_b32_e32 v89, v133, v65, vcc
	v_cndmask_b32_e32 v88, 0, v64, vcc
	v_lshrrev_b64 v[88:89], s84, v[88:89]
	v_and_b32_e32 v70, s68, v88
	v_lshlrev_b32_e32 v70, 2, v70
	ds_read_b32 v70, v70
	v_cmp_lt_i64_e64 s[56:57], -1, v[64:65]
	v_cndmask_b32_e64 v69, v133, -1, s[56:57]
	v_ashrrev_i32_e32 v73, 31, v65
	v_not_b32_e32 v73, v73
	s_waitcnt lgkmcnt(0)
	v_add_u32_e32 v70, v70, v20
	v_lshlrev_b64 v[70:71], 3, v[70:71]
	v_xor_b32_e32 v65, v69, v65
	v_mov_b32_e32 v69, s77
	v_add_co_u32_e32 v70, vcc, s76, v70
	v_xor_b32_e32 v64, v73, v64
	v_addc_co_u32_e32 v71, vcc, v69, v71, vcc
	global_store_dwordx2 v[70:71], v[64:65], off
	s_or_b64 exec, exec, s[58:59]
	v_cmp_lt_u32_e64 s[56:57], v22, v183
	s_and_saveexec_b64 s[60:61], s[56:57]
	s_cbranch_execnz .LBB1251_1076
.LBB1251_1091:                          ;   in Loop: Header=BB1251_987 Depth=2
	s_or_b64 exec, exec, s[60:61]
	v_cmp_lt_u32_e64 s[58:59], v24, v183
	s_and_saveexec_b64 s[62:63], s[58:59]
	s_cbranch_execz .LBB1251_1077
.LBB1251_1092:                          ;   in Loop: Header=BB1251_987 Depth=2
	ds_read_b64 v[64:65], v104 offset:22528
	v_mov_b32_e32 v71, v4
	s_waitcnt lgkmcnt(0)
	v_cmp_ne_u64_e32 vcc, s[78:79], v[64:65]
	v_cndmask_b32_e32 v89, v133, v65, vcc
	v_cndmask_b32_e32 v88, 0, v64, vcc
	v_lshrrev_b64 v[88:89], s84, v[88:89]
	v_and_b32_e32 v70, s68, v88
	v_lshlrev_b32_e32 v70, 2, v70
	ds_read_b32 v70, v70
	v_cmp_lt_i64_e64 s[60:61], -1, v[64:65]
	v_cndmask_b32_e64 v69, v133, -1, s[60:61]
	v_ashrrev_i32_e32 v73, 31, v65
	v_not_b32_e32 v73, v73
	s_waitcnt lgkmcnt(0)
	v_add_u32_e32 v70, v70, v24
	v_lshlrev_b64 v[70:71], 3, v[70:71]
	v_xor_b32_e32 v65, v69, v65
	v_mov_b32_e32 v69, s77
	v_add_co_u32_e32 v70, vcc, s76, v70
	v_xor_b32_e32 v64, v73, v64
	v_addc_co_u32_e32 v71, vcc, v69, v71, vcc
	global_store_dwordx2 v[70:71], v[64:65], off
	s_or_b64 exec, exec, s[62:63]
	v_cmp_lt_u32_e64 s[60:61], v26, v183
	s_and_saveexec_b64 s[64:65], s[60:61]
	s_cbranch_execnz .LBB1251_1078
.LBB1251_1093:                          ;   in Loop: Header=BB1251_987 Depth=2
	s_or_b64 exec, exec, s[64:65]
	v_cmp_lt_u32_e64 s[62:63], v28, v183
	s_and_saveexec_b64 s[66:67], s[62:63]
	s_cbranch_execz .LBB1251_1079
.LBB1251_1094:                          ;   in Loop: Header=BB1251_987 Depth=2
	ds_read_b64 v[64:65], v104 offset:26624
	v_mov_b32_e32 v71, v4
	s_waitcnt lgkmcnt(0)
	v_cmp_ne_u64_e32 vcc, s[78:79], v[64:65]
	v_cndmask_b32_e32 v89, v133, v65, vcc
	v_cndmask_b32_e32 v88, 0, v64, vcc
	v_lshrrev_b64 v[88:89], s84, v[88:89]
	v_and_b32_e32 v70, s68, v88
	v_lshlrev_b32_e32 v70, 2, v70
	ds_read_b32 v70, v70
	v_cmp_lt_i64_e64 s[64:65], -1, v[64:65]
	v_cndmask_b32_e64 v69, v133, -1, s[64:65]
	v_ashrrev_i32_e32 v73, 31, v65
	v_not_b32_e32 v73, v73
	s_waitcnt lgkmcnt(0)
	v_add_u32_e32 v70, v70, v28
	v_lshlrev_b64 v[70:71], 3, v[70:71]
	v_xor_b32_e32 v65, v69, v65
	v_mov_b32_e32 v69, s77
	v_add_co_u32_e32 v70, vcc, s76, v70
	v_xor_b32_e32 v64, v73, v64
	v_addc_co_u32_e32 v71, vcc, v69, v71, vcc
	global_store_dwordx2 v[70:71], v[64:65], off
	s_or_b64 exec, exec, s[66:67]
	v_cmp_lt_u32_e64 s[64:65], v30, v183
	s_and_saveexec_b64 s[92:93], s[64:65]
	s_cbranch_execnz .LBB1251_1080
.LBB1251_1095:                          ;   in Loop: Header=BB1251_987 Depth=2
	s_or_b64 exec, exec, s[92:93]
	v_cmp_lt_u32_e64 s[66:67], v32, v183
	s_and_saveexec_b64 s[92:93], s[66:67]
	s_cbranch_execz .LBB1251_1097
.LBB1251_1096:                          ;   in Loop: Header=BB1251_987 Depth=2
	ds_read_b64 v[64:65], v104 offset:30720
	s_waitcnt lgkmcnt(0)
	v_cmp_ne_u64_e32 vcc, s[78:79], v[64:65]
	v_cndmask_b32_e32 v71, v133, v65, vcc
	v_cndmask_b32_e32 v70, 0, v64, vcc
	v_lshrrev_b64 v[70:71], s84, v[70:71]
	v_and_b32_e32 v69, s68, v70
	v_lshlrev_b32_e32 v69, 2, v69
	ds_read_b32 v69, v69
	v_cmp_lt_i64_e32 vcc, -1, v[64:65]
	v_ashrrev_i32_e32 v71, 31, v65
	v_cndmask_b32_e64 v70, v133, -1, vcc
	v_not_b32_e32 v71, v71
	v_xor_b32_e32 v65, v70, v65
	v_xor_b32_e32 v64, v71, v64
	s_waitcnt lgkmcnt(0)
	v_add_u32_e32 v70, v69, v32
	v_mov_b32_e32 v71, v4
	v_lshlrev_b64 v[70:71], 3, v[70:71]
	v_add_co_u32_e32 v70, vcc, s76, v70
	v_mov_b32_e32 v69, s77
	v_addc_co_u32_e32 v71, vcc, v69, v71, vcc
	global_store_dwordx2 v[70:71], v[64:65], off
.LBB1251_1097:                          ;   in Loop: Header=BB1251_987 Depth=2
	s_or_b64 exec, exec, s[92:93]
	s_lshl_b64 s[92:93], s[88:89], 3
	v_mov_b32_e32 v65, s93
	v_add_co_u32_e32 v64, vcc, s92, v160
	v_addc_co_u32_e32 v65, vcc, v161, v65, vcc
	v_cmp_lt_u32_e32 vcc, v143, v183
	s_and_saveexec_b64 s[92:93], vcc
	s_xor_b64 s[92:93], exec, s[92:93]
	s_cbranch_execz .LBB1251_1129
; %bb.1098:                             ;   in Loop: Header=BB1251_987 Depth=2
	global_load_dwordx2 v[62:63], v[64:65], off
	s_or_b64 exec, exec, s[92:93]
	v_cmp_lt_u32_e32 vcc, v144, v183
	s_and_saveexec_b64 s[92:93], vcc
	s_cbranch_execnz .LBB1251_1130
.LBB1251_1099:                          ;   in Loop: Header=BB1251_987 Depth=2
	s_or_b64 exec, exec, s[92:93]
	v_cmp_lt_u32_e32 vcc, v145, v183
	s_and_saveexec_b64 s[92:93], vcc
	s_cbranch_execz .LBB1251_1131
.LBB1251_1100:                          ;   in Loop: Header=BB1251_987 Depth=2
	global_load_dwordx2 v[58:59], v[64:65], off offset:1024
	s_or_b64 exec, exec, s[92:93]
	v_cmp_lt_u32_e32 vcc, v146, v183
	s_and_saveexec_b64 s[92:93], vcc
	s_cbranch_execnz .LBB1251_1132
.LBB1251_1101:                          ;   in Loop: Header=BB1251_987 Depth=2
	s_or_b64 exec, exec, s[92:93]
	v_cmp_lt_u32_e32 vcc, v147, v183
	s_and_saveexec_b64 s[92:93], vcc
	s_cbranch_execz .LBB1251_1133
.LBB1251_1102:                          ;   in Loop: Header=BB1251_987 Depth=2
	global_load_dwordx2 v[50:51], v[64:65], off offset:2048
	s_or_b64 exec, exec, s[92:93]
	v_cmp_lt_u32_e32 vcc, v148, v183
	s_and_saveexec_b64 s[92:93], vcc
	s_cbranch_execnz .LBB1251_1134
.LBB1251_1103:                          ;   in Loop: Header=BB1251_987 Depth=2
	s_or_b64 exec, exec, s[92:93]
	v_cmp_lt_u32_e32 vcc, v149, v183
	s_and_saveexec_b64 s[92:93], vcc
	s_cbranch_execz .LBB1251_1135
.LBB1251_1104:                          ;   in Loop: Header=BB1251_987 Depth=2
	global_load_dwordx2 v[42:43], v[64:65], off offset:3072
	s_or_b64 exec, exec, s[92:93]
	v_cmp_lt_u32_e32 vcc, v150, v183
	s_and_saveexec_b64 s[92:93], vcc
	s_cbranch_execnz .LBB1251_1136
.LBB1251_1105:                          ;   in Loop: Header=BB1251_987 Depth=2
	s_or_b64 exec, exec, s[92:93]
	v_cmp_lt_u32_e32 vcc, v151, v183
	s_and_saveexec_b64 s[92:93], vcc
	s_cbranch_execz .LBB1251_1137
.LBB1251_1106:                          ;   in Loop: Header=BB1251_987 Depth=2
	v_add_co_u32_e32 v56, vcc, 0x1000, v64
	v_addc_co_u32_e32 v57, vcc, 0, v65, vcc
	global_load_dwordx2 v[56:57], v[56:57], off
	s_or_b64 exec, exec, s[92:93]
	v_cmp_lt_u32_e32 vcc, v152, v183
	s_and_saveexec_b64 s[92:93], vcc
	s_cbranch_execnz .LBB1251_1138
.LBB1251_1107:                          ;   in Loop: Header=BB1251_987 Depth=2
	s_or_b64 exec, exec, s[92:93]
	v_cmp_lt_u32_e32 vcc, v153, v183
	s_and_saveexec_b64 s[92:93], vcc
	s_cbranch_execz .LBB1251_1139
.LBB1251_1108:                          ;   in Loop: Header=BB1251_987 Depth=2
	v_add_co_u32_e32 v48, vcc, 0x1000, v64
	v_addc_co_u32_e32 v49, vcc, 0, v65, vcc
	global_load_dwordx2 v[48:49], v[48:49], off offset:1024
	s_or_b64 exec, exec, s[92:93]
	v_cmp_lt_u32_e32 vcc, v154, v183
	s_and_saveexec_b64 s[92:93], vcc
	s_cbranch_execnz .LBB1251_1140
.LBB1251_1109:                          ;   in Loop: Header=BB1251_987 Depth=2
	s_or_b64 exec, exec, s[92:93]
	v_cmp_lt_u32_e32 vcc, v155, v183
	s_and_saveexec_b64 s[92:93], vcc
	s_cbranch_execz .LBB1251_1141
.LBB1251_1110:                          ;   in Loop: Header=BB1251_987 Depth=2
	v_add_co_u32_e32 v40, vcc, 0x1000, v64
	v_addc_co_u32_e32 v41, vcc, 0, v65, vcc
	global_load_dwordx2 v[40:41], v[40:41], off offset:2048
	s_or_b64 exec, exec, s[92:93]
	v_cmp_lt_u32_e32 vcc, v156, v183
	s_and_saveexec_b64 s[92:93], vcc
	s_cbranch_execnz .LBB1251_1142
.LBB1251_1111:                          ;   in Loop: Header=BB1251_987 Depth=2
	s_or_b64 exec, exec, s[92:93]
	v_cmp_lt_u32_e32 vcc, v157, v183
	s_and_saveexec_b64 s[92:93], vcc
	s_cbranch_execz .LBB1251_1143
.LBB1251_1112:                          ;   in Loop: Header=BB1251_987 Depth=2
	v_add_co_u32_e32 v34, vcc, 0x1000, v64
	v_addc_co_u32_e32 v35, vcc, 0, v65, vcc
	global_load_dwordx2 v[34:35], v[34:35], off offset:3072
	s_or_b64 exec, exec, s[92:93]
	v_cmp_lt_u32_e32 vcc, v158, v183
	s_and_saveexec_b64 s[92:93], vcc
	s_cbranch_execnz .LBB1251_1144
.LBB1251_1113:                          ;   in Loop: Header=BB1251_987 Depth=2
	s_or_b64 exec, exec, s[92:93]
	s_and_saveexec_b64 s[92:93], s[36:37]
	s_cbranch_execz .LBB1251_1145
.LBB1251_1114:                          ;   in Loop: Header=BB1251_987 Depth=2
	ds_read_b64 v[64:65], v66 offset:1024
	s_waitcnt lgkmcnt(0)
	v_cmp_ne_u64_e32 vcc, s[78:79], v[64:65]
	v_cndmask_b32_e32 v65, v133, v65, vcc
	v_cndmask_b32_e32 v64, 0, v64, vcc
	v_lshrrev_b64 v[64:65], s84, v[64:65]
	v_and_b32_e32 v182, s68, v64
	s_or_b64 exec, exec, s[92:93]
	s_and_saveexec_b64 s[92:93], s[38:39]
	s_cbranch_execnz .LBB1251_1146
.LBB1251_1115:                          ;   in Loop: Header=BB1251_987 Depth=2
	s_or_b64 exec, exec, s[92:93]
	s_and_saveexec_b64 s[92:93], s[40:41]
	s_cbranch_execz .LBB1251_1147
.LBB1251_1116:                          ;   in Loop: Header=BB1251_987 Depth=2
	ds_read_b64 v[64:65], v104 offset:4096
	s_waitcnt lgkmcnt(0)
	v_cmp_ne_u64_e32 vcc, s[78:79], v[64:65]
	v_cndmask_b32_e32 v65, v133, v65, vcc
	v_cndmask_b32_e32 v64, 0, v64, vcc
	v_lshrrev_b64 v[64:65], s84, v[64:65]
	v_and_b32_e32 v180, s68, v64
	s_or_b64 exec, exec, s[92:93]
	s_and_saveexec_b64 s[92:93], s[42:43]
	s_cbranch_execnz .LBB1251_1148
.LBB1251_1117:                          ;   in Loop: Header=BB1251_987 Depth=2
	s_or_b64 exec, exec, s[92:93]
	s_and_saveexec_b64 s[92:93], s[44:45]
	s_cbranch_execz .LBB1251_1149
.LBB1251_1118:                          ;   in Loop: Header=BB1251_987 Depth=2
	ds_read_b64 v[64:65], v104 offset:8192
	s_waitcnt lgkmcnt(0)
	v_cmp_ne_u64_e32 vcc, s[78:79], v[64:65]
	v_cndmask_b32_e32 v65, v133, v65, vcc
	v_cndmask_b32_e32 v64, 0, v64, vcc
	v_lshrrev_b64 v[64:65], s84, v[64:65]
	v_and_b32_e32 v178, s68, v64
	s_or_b64 exec, exec, s[92:93]
	s_and_saveexec_b64 s[92:93], s[46:47]
	s_cbranch_execnz .LBB1251_1150
.LBB1251_1119:                          ;   in Loop: Header=BB1251_987 Depth=2
	s_or_b64 exec, exec, s[92:93]
	s_and_saveexec_b64 s[92:93], s[48:49]
	s_cbranch_execz .LBB1251_1151
.LBB1251_1120:                          ;   in Loop: Header=BB1251_987 Depth=2
	ds_read_b64 v[64:65], v104 offset:12288
	s_waitcnt lgkmcnt(0)
	v_cmp_ne_u64_e32 vcc, s[78:79], v[64:65]
	v_cndmask_b32_e32 v65, v133, v65, vcc
	v_cndmask_b32_e32 v64, 0, v64, vcc
	v_lshrrev_b64 v[64:65], s84, v[64:65]
	v_and_b32_e32 v175, s68, v64
	s_or_b64 exec, exec, s[92:93]
	s_and_saveexec_b64 s[92:93], s[50:51]
	s_cbranch_execnz .LBB1251_1152
.LBB1251_1121:                          ;   in Loop: Header=BB1251_987 Depth=2
	s_or_b64 exec, exec, s[92:93]
	s_and_saveexec_b64 s[92:93], s[52:53]
	s_cbranch_execz .LBB1251_1153
.LBB1251_1122:                          ;   in Loop: Header=BB1251_987 Depth=2
	ds_read_b64 v[64:65], v104 offset:16384
	s_waitcnt lgkmcnt(0)
	v_cmp_ne_u64_e32 vcc, s[78:79], v[64:65]
	v_cndmask_b32_e32 v65, v133, v65, vcc
	v_cndmask_b32_e32 v64, 0, v64, vcc
	v_lshrrev_b64 v[64:65], s84, v[64:65]
	v_and_b32_e32 v172, s68, v64
	s_or_b64 exec, exec, s[92:93]
	s_and_saveexec_b64 s[92:93], s[54:55]
	s_cbranch_execnz .LBB1251_1154
.LBB1251_1123:                          ;   in Loop: Header=BB1251_987 Depth=2
	s_or_b64 exec, exec, s[92:93]
	s_and_saveexec_b64 s[92:93], s[56:57]
	s_cbranch_execz .LBB1251_1155
.LBB1251_1124:                          ;   in Loop: Header=BB1251_987 Depth=2
	ds_read_b64 v[64:65], v104 offset:20480
	s_waitcnt lgkmcnt(0)
	v_cmp_ne_u64_e32 vcc, s[78:79], v[64:65]
	v_cndmask_b32_e32 v65, v133, v65, vcc
	v_cndmask_b32_e32 v64, 0, v64, vcc
	v_lshrrev_b64 v[64:65], s84, v[64:65]
	v_and_b32_e32 v169, s68, v64
	s_or_b64 exec, exec, s[92:93]
	s_and_saveexec_b64 s[92:93], s[58:59]
	s_cbranch_execnz .LBB1251_1156
.LBB1251_1125:                          ;   in Loop: Header=BB1251_987 Depth=2
	s_or_b64 exec, exec, s[92:93]
	s_and_saveexec_b64 s[92:93], s[60:61]
	s_cbranch_execz .LBB1251_1157
.LBB1251_1126:                          ;   in Loop: Header=BB1251_987 Depth=2
	ds_read_b64 v[64:65], v104 offset:24576
	s_waitcnt lgkmcnt(0)
	v_cmp_ne_u64_e32 vcc, s[78:79], v[64:65]
	v_cndmask_b32_e32 v65, v133, v65, vcc
	v_cndmask_b32_e32 v64, 0, v64, vcc
	v_lshrrev_b64 v[64:65], s84, v[64:65]
	v_and_b32_e32 v167, s68, v64
	s_or_b64 exec, exec, s[92:93]
	s_and_saveexec_b64 s[92:93], s[62:63]
	s_cbranch_execnz .LBB1251_1158
.LBB1251_1127:                          ;   in Loop: Header=BB1251_987 Depth=2
	s_or_b64 exec, exec, s[92:93]
	s_and_saveexec_b64 s[92:93], s[64:65]
	s_cbranch_execz .LBB1251_1159
.LBB1251_1128:                          ;   in Loop: Header=BB1251_987 Depth=2
	ds_read_b64 v[64:65], v104 offset:28672
	s_waitcnt lgkmcnt(0)
	v_cmp_ne_u64_e32 vcc, s[78:79], v[64:65]
	v_cndmask_b32_e32 v65, v133, v65, vcc
	v_cndmask_b32_e32 v64, 0, v64, vcc
	v_lshrrev_b64 v[64:65], s84, v[64:65]
	v_and_b32_e32 v165, s68, v64
	s_or_b64 exec, exec, s[92:93]
	s_and_saveexec_b64 s[92:93], s[66:67]
	s_cbranch_execnz .LBB1251_1160
	s_branch .LBB1251_1161
.LBB1251_1129:                          ;   in Loop: Header=BB1251_987 Depth=2
	s_or_b64 exec, exec, s[92:93]
	v_cmp_lt_u32_e32 vcc, v144, v183
	s_and_saveexec_b64 s[92:93], vcc
	s_cbranch_execz .LBB1251_1099
.LBB1251_1130:                          ;   in Loop: Header=BB1251_987 Depth=2
	global_load_dwordx2 v[60:61], v[64:65], off offset:512
	s_or_b64 exec, exec, s[92:93]
	v_cmp_lt_u32_e32 vcc, v145, v183
	s_and_saveexec_b64 s[92:93], vcc
	s_cbranch_execnz .LBB1251_1100
.LBB1251_1131:                          ;   in Loop: Header=BB1251_987 Depth=2
	s_or_b64 exec, exec, s[92:93]
	v_cmp_lt_u32_e32 vcc, v146, v183
	s_and_saveexec_b64 s[92:93], vcc
	s_cbranch_execz .LBB1251_1101
.LBB1251_1132:                          ;   in Loop: Header=BB1251_987 Depth=2
	global_load_dwordx2 v[54:55], v[64:65], off offset:1536
	s_or_b64 exec, exec, s[92:93]
	v_cmp_lt_u32_e32 vcc, v147, v183
	s_and_saveexec_b64 s[92:93], vcc
	s_cbranch_execnz .LBB1251_1102
.LBB1251_1133:                          ;   in Loop: Header=BB1251_987 Depth=2
	s_or_b64 exec, exec, s[92:93]
	v_cmp_lt_u32_e32 vcc, v148, v183
	s_and_saveexec_b64 s[92:93], vcc
	s_cbranch_execz .LBB1251_1103
.LBB1251_1134:                          ;   in Loop: Header=BB1251_987 Depth=2
	global_load_dwordx2 v[46:47], v[64:65], off offset:2560
	s_or_b64 exec, exec, s[92:93]
	v_cmp_lt_u32_e32 vcc, v149, v183
	s_and_saveexec_b64 s[92:93], vcc
	s_cbranch_execnz .LBB1251_1104
.LBB1251_1135:                          ;   in Loop: Header=BB1251_987 Depth=2
	s_or_b64 exec, exec, s[92:93]
	v_cmp_lt_u32_e32 vcc, v150, v183
	s_and_saveexec_b64 s[92:93], vcc
	s_cbranch_execz .LBB1251_1105
.LBB1251_1136:                          ;   in Loop: Header=BB1251_987 Depth=2
	global_load_dwordx2 v[38:39], v[64:65], off offset:3584
	s_or_b64 exec, exec, s[92:93]
	v_cmp_lt_u32_e32 vcc, v151, v183
	s_and_saveexec_b64 s[92:93], vcc
	s_cbranch_execnz .LBB1251_1106
.LBB1251_1137:                          ;   in Loop: Header=BB1251_987 Depth=2
	s_or_b64 exec, exec, s[92:93]
	v_cmp_lt_u32_e32 vcc, v152, v183
	s_and_saveexec_b64 s[92:93], vcc
	s_cbranch_execz .LBB1251_1107
.LBB1251_1138:                          ;   in Loop: Header=BB1251_987 Depth=2
	v_add_co_u32_e32 v52, vcc, 0x1000, v64
	v_addc_co_u32_e32 v53, vcc, 0, v65, vcc
	global_load_dwordx2 v[52:53], v[52:53], off offset:512
	s_or_b64 exec, exec, s[92:93]
	v_cmp_lt_u32_e32 vcc, v153, v183
	s_and_saveexec_b64 s[92:93], vcc
	s_cbranch_execnz .LBB1251_1108
.LBB1251_1139:                          ;   in Loop: Header=BB1251_987 Depth=2
	s_or_b64 exec, exec, s[92:93]
	v_cmp_lt_u32_e32 vcc, v154, v183
	s_and_saveexec_b64 s[92:93], vcc
	s_cbranch_execz .LBB1251_1109
.LBB1251_1140:                          ;   in Loop: Header=BB1251_987 Depth=2
	v_add_co_u32_e32 v44, vcc, 0x1000, v64
	v_addc_co_u32_e32 v45, vcc, 0, v65, vcc
	global_load_dwordx2 v[44:45], v[44:45], off offset:1536
	s_or_b64 exec, exec, s[92:93]
	v_cmp_lt_u32_e32 vcc, v155, v183
	s_and_saveexec_b64 s[92:93], vcc
	s_cbranch_execnz .LBB1251_1110
.LBB1251_1141:                          ;   in Loop: Header=BB1251_987 Depth=2
	s_or_b64 exec, exec, s[92:93]
	v_cmp_lt_u32_e32 vcc, v156, v183
	s_and_saveexec_b64 s[92:93], vcc
	s_cbranch_execz .LBB1251_1111
.LBB1251_1142:                          ;   in Loop: Header=BB1251_987 Depth=2
	v_add_co_u32_e32 v36, vcc, 0x1000, v64
	v_addc_co_u32_e32 v37, vcc, 0, v65, vcc
	global_load_dwordx2 v[36:37], v[36:37], off offset:2560
	s_or_b64 exec, exec, s[92:93]
	v_cmp_lt_u32_e32 vcc, v157, v183
	s_and_saveexec_b64 s[92:93], vcc
	s_cbranch_execnz .LBB1251_1112
.LBB1251_1143:                          ;   in Loop: Header=BB1251_987 Depth=2
	s_or_b64 exec, exec, s[92:93]
	v_cmp_lt_u32_e32 vcc, v158, v183
	s_and_saveexec_b64 s[92:93], vcc
	s_cbranch_execz .LBB1251_1113
.LBB1251_1144:                          ;   in Loop: Header=BB1251_987 Depth=2
	v_add_co_u32_e32 v0, vcc, 0x1000, v64
	v_addc_co_u32_e32 v1, vcc, 0, v65, vcc
	global_load_dwordx2 v[0:1], v[0:1], off offset:3584
	s_or_b64 exec, exec, s[92:93]
	s_and_saveexec_b64 s[92:93], s[36:37]
	s_cbranch_execnz .LBB1251_1114
.LBB1251_1145:                          ;   in Loop: Header=BB1251_987 Depth=2
	s_or_b64 exec, exec, s[92:93]
	s_and_saveexec_b64 s[92:93], s[38:39]
	s_cbranch_execz .LBB1251_1115
.LBB1251_1146:                          ;   in Loop: Header=BB1251_987 Depth=2
	ds_read_b64 v[64:65], v104 offset:2048
	s_waitcnt lgkmcnt(0)
	v_cmp_ne_u64_e32 vcc, s[78:79], v[64:65]
	v_cndmask_b32_e32 v65, v133, v65, vcc
	v_cndmask_b32_e32 v64, 0, v64, vcc
	v_lshrrev_b64 v[64:65], s84, v[64:65]
	v_and_b32_e32 v181, s68, v64
	s_or_b64 exec, exec, s[92:93]
	s_and_saveexec_b64 s[92:93], s[40:41]
	s_cbranch_execnz .LBB1251_1116
.LBB1251_1147:                          ;   in Loop: Header=BB1251_987 Depth=2
	s_or_b64 exec, exec, s[92:93]
	s_and_saveexec_b64 s[92:93], s[42:43]
	s_cbranch_execz .LBB1251_1117
.LBB1251_1148:                          ;   in Loop: Header=BB1251_987 Depth=2
	ds_read_b64 v[64:65], v104 offset:6144
	s_waitcnt lgkmcnt(0)
	v_cmp_ne_u64_e32 vcc, s[78:79], v[64:65]
	v_cndmask_b32_e32 v65, v133, v65, vcc
	v_cndmask_b32_e32 v64, 0, v64, vcc
	v_lshrrev_b64 v[64:65], s84, v[64:65]
	v_and_b32_e32 v179, s68, v64
	s_or_b64 exec, exec, s[92:93]
	s_and_saveexec_b64 s[92:93], s[44:45]
	s_cbranch_execnz .LBB1251_1118
.LBB1251_1149:                          ;   in Loop: Header=BB1251_987 Depth=2
	s_or_b64 exec, exec, s[92:93]
	s_and_saveexec_b64 s[92:93], s[46:47]
	s_cbranch_execz .LBB1251_1119
.LBB1251_1150:                          ;   in Loop: Header=BB1251_987 Depth=2
	ds_read_b64 v[64:65], v104 offset:10240
	s_waitcnt lgkmcnt(0)
	v_cmp_ne_u64_e32 vcc, s[78:79], v[64:65]
	v_cndmask_b32_e32 v65, v133, v65, vcc
	v_cndmask_b32_e32 v64, 0, v64, vcc
	v_lshrrev_b64 v[64:65], s84, v[64:65]
	v_and_b32_e32 v176, s68, v64
	s_or_b64 exec, exec, s[92:93]
	s_and_saveexec_b64 s[92:93], s[48:49]
	s_cbranch_execnz .LBB1251_1120
.LBB1251_1151:                          ;   in Loop: Header=BB1251_987 Depth=2
	s_or_b64 exec, exec, s[92:93]
	s_and_saveexec_b64 s[92:93], s[50:51]
	s_cbranch_execz .LBB1251_1121
.LBB1251_1152:                          ;   in Loop: Header=BB1251_987 Depth=2
	ds_read_b64 v[64:65], v104 offset:14336
	s_waitcnt lgkmcnt(0)
	v_cmp_ne_u64_e32 vcc, s[78:79], v[64:65]
	v_cndmask_b32_e32 v65, v133, v65, vcc
	v_cndmask_b32_e32 v64, 0, v64, vcc
	v_lshrrev_b64 v[64:65], s84, v[64:65]
	v_and_b32_e32 v174, s68, v64
	s_or_b64 exec, exec, s[92:93]
	s_and_saveexec_b64 s[92:93], s[52:53]
	s_cbranch_execnz .LBB1251_1122
.LBB1251_1153:                          ;   in Loop: Header=BB1251_987 Depth=2
	s_or_b64 exec, exec, s[92:93]
	s_and_saveexec_b64 s[92:93], s[54:55]
	s_cbranch_execz .LBB1251_1123
.LBB1251_1154:                          ;   in Loop: Header=BB1251_987 Depth=2
	ds_read_b64 v[64:65], v104 offset:18432
	s_waitcnt lgkmcnt(0)
	v_cmp_ne_u64_e32 vcc, s[78:79], v[64:65]
	v_cndmask_b32_e32 v65, v133, v65, vcc
	v_cndmask_b32_e32 v64, 0, v64, vcc
	v_lshrrev_b64 v[64:65], s84, v[64:65]
	v_and_b32_e32 v171, s68, v64
	s_or_b64 exec, exec, s[92:93]
	s_and_saveexec_b64 s[92:93], s[56:57]
	s_cbranch_execnz .LBB1251_1124
.LBB1251_1155:                          ;   in Loop: Header=BB1251_987 Depth=2
	s_or_b64 exec, exec, s[92:93]
	s_and_saveexec_b64 s[92:93], s[58:59]
	s_cbranch_execz .LBB1251_1125
.LBB1251_1156:                          ;   in Loop: Header=BB1251_987 Depth=2
	ds_read_b64 v[64:65], v104 offset:22528
	s_waitcnt lgkmcnt(0)
	v_cmp_ne_u64_e32 vcc, s[78:79], v[64:65]
	v_cndmask_b32_e32 v65, v133, v65, vcc
	v_cndmask_b32_e32 v64, 0, v64, vcc
	v_lshrrev_b64 v[64:65], s84, v[64:65]
	v_and_b32_e32 v168, s68, v64
	s_or_b64 exec, exec, s[92:93]
	s_and_saveexec_b64 s[92:93], s[60:61]
	s_cbranch_execnz .LBB1251_1126
.LBB1251_1157:                          ;   in Loop: Header=BB1251_987 Depth=2
	s_or_b64 exec, exec, s[92:93]
	s_and_saveexec_b64 s[92:93], s[62:63]
	s_cbranch_execz .LBB1251_1127
.LBB1251_1158:                          ;   in Loop: Header=BB1251_987 Depth=2
	ds_read_b64 v[64:65], v104 offset:26624
	s_waitcnt lgkmcnt(0)
	v_cmp_ne_u64_e32 vcc, s[78:79], v[64:65]
	v_cndmask_b32_e32 v65, v133, v65, vcc
	v_cndmask_b32_e32 v64, 0, v64, vcc
	v_lshrrev_b64 v[64:65], s84, v[64:65]
	v_and_b32_e32 v166, s68, v64
	s_or_b64 exec, exec, s[92:93]
	s_and_saveexec_b64 s[92:93], s[64:65]
	s_cbranch_execnz .LBB1251_1128
.LBB1251_1159:                          ;   in Loop: Header=BB1251_987 Depth=2
	s_or_b64 exec, exec, s[92:93]
	s_and_saveexec_b64 s[92:93], s[66:67]
	s_cbranch_execz .LBB1251_1161
.LBB1251_1160:                          ;   in Loop: Header=BB1251_987 Depth=2
	ds_read_b64 v[64:65], v104 offset:30720
	s_waitcnt lgkmcnt(0)
	v_cmp_ne_u64_e32 vcc, s[78:79], v[64:65]
	v_cndmask_b32_e32 v65, v133, v65, vcc
	v_cndmask_b32_e32 v64, 0, v64, vcc
	v_lshrrev_b64 v[64:65], s84, v[64:65]
	v_and_b32_e32 v164, s68, v64
.LBB1251_1161:                          ;   in Loop: Header=BB1251_987 Depth=2
	s_or_b64 exec, exec, s[92:93]
	v_add_u32_e32 v64, 0x400, v96
	v_add_u32_e32 v65, 0x400, v97
	;; [unrolled: 1-line block ×16, first 2 shown]
	s_barrier
	s_waitcnt vmcnt(0)
	ds_write_b64 v64, v[62:63]
	ds_write_b64 v65, v[60:61]
	;; [unrolled: 1-line block ×16, first 2 shown]
	s_waitcnt lgkmcnt(0)
	s_barrier
	s_and_saveexec_b64 s[92:93], s[36:37]
	s_cbranch_execz .LBB1251_1177
; %bb.1162:                             ;   in Loop: Header=BB1251_987 Depth=2
	v_lshlrev_b32_e32 v64, 2, v182
	ds_read_b32 v68, v64
	ds_read_b64 v[64:65], v66 offset:1024
	v_mov_b32_e32 v67, v4
	v_mov_b32_e32 v69, s83
	s_waitcnt lgkmcnt(1)
	v_add_u32_e32 v66, v68, v2
	v_lshlrev_b64 v[66:67], 3, v[66:67]
	v_add_co_u32_e32 v66, vcc, s82, v66
	v_addc_co_u32_e32 v67, vcc, v69, v67, vcc
	s_waitcnt lgkmcnt(0)
	global_store_dwordx2 v[66:67], v[64:65], off
	s_or_b64 exec, exec, s[92:93]
	s_and_saveexec_b64 s[36:37], s[38:39]
	s_cbranch_execnz .LBB1251_1178
.LBB1251_1163:                          ;   in Loop: Header=BB1251_987 Depth=2
	s_or_b64 exec, exec, s[36:37]
	s_and_saveexec_b64 s[36:37], s[40:41]
	s_cbranch_execz .LBB1251_1179
.LBB1251_1164:                          ;   in Loop: Header=BB1251_987 Depth=2
	v_lshlrev_b32_e32 v64, 2, v180
	ds_read_b32 v66, v64
	ds_read_b64 v[64:65], v104 offset:4096
	v_mov_b32_e32 v67, v4
	v_mov_b32_e32 v68, s83
	s_waitcnt lgkmcnt(1)
	v_add_u32_e32 v66, v66, v6
	v_lshlrev_b64 v[66:67], 3, v[66:67]
	v_add_co_u32_e32 v66, vcc, s82, v66
	v_addc_co_u32_e32 v67, vcc, v68, v67, vcc
	s_waitcnt lgkmcnt(0)
	global_store_dwordx2 v[66:67], v[64:65], off
	s_or_b64 exec, exec, s[36:37]
	s_and_saveexec_b64 s[36:37], s[42:43]
	s_cbranch_execnz .LBB1251_1180
.LBB1251_1165:                          ;   in Loop: Header=BB1251_987 Depth=2
	s_or_b64 exec, exec, s[36:37]
	s_and_saveexec_b64 s[36:37], s[44:45]
	s_cbranch_execz .LBB1251_1181
.LBB1251_1166:                          ;   in Loop: Header=BB1251_987 Depth=2
	v_lshlrev_b32_e32 v64, 2, v178
	ds_read_b32 v66, v64
	ds_read_b64 v[64:65], v104 offset:8192
	v_mov_b32_e32 v67, v4
	v_mov_b32_e32 v68, s83
	s_waitcnt lgkmcnt(1)
	v_add_u32_e32 v66, v66, v10
	v_lshlrev_b64 v[66:67], 3, v[66:67]
	v_add_co_u32_e32 v66, vcc, s82, v66
	v_addc_co_u32_e32 v67, vcc, v68, v67, vcc
	s_waitcnt lgkmcnt(0)
	global_store_dwordx2 v[66:67], v[64:65], off
	s_or_b64 exec, exec, s[36:37]
	s_and_saveexec_b64 s[36:37], s[46:47]
	s_cbranch_execnz .LBB1251_1182
.LBB1251_1167:                          ;   in Loop: Header=BB1251_987 Depth=2
	s_or_b64 exec, exec, s[36:37]
	s_and_saveexec_b64 s[36:37], s[48:49]
	s_cbranch_execz .LBB1251_1183
.LBB1251_1168:                          ;   in Loop: Header=BB1251_987 Depth=2
	v_lshlrev_b32_e32 v64, 2, v175
	ds_read_b32 v66, v64
	ds_read_b64 v[64:65], v104 offset:12288
	v_mov_b32_e32 v67, v4
	v_mov_b32_e32 v68, s83
	s_waitcnt lgkmcnt(1)
	v_add_u32_e32 v66, v66, v14
	v_lshlrev_b64 v[66:67], 3, v[66:67]
	v_add_co_u32_e32 v66, vcc, s82, v66
	v_addc_co_u32_e32 v67, vcc, v68, v67, vcc
	s_waitcnt lgkmcnt(0)
	global_store_dwordx2 v[66:67], v[64:65], off
	s_or_b64 exec, exec, s[36:37]
	s_and_saveexec_b64 s[36:37], s[50:51]
	s_cbranch_execnz .LBB1251_1184
.LBB1251_1169:                          ;   in Loop: Header=BB1251_987 Depth=2
	s_or_b64 exec, exec, s[36:37]
	s_and_saveexec_b64 s[36:37], s[52:53]
	s_cbranch_execz .LBB1251_1185
.LBB1251_1170:                          ;   in Loop: Header=BB1251_987 Depth=2
	v_lshlrev_b32_e32 v64, 2, v172
	ds_read_b32 v66, v64
	ds_read_b64 v[64:65], v104 offset:16384
	v_mov_b32_e32 v67, v4
	v_mov_b32_e32 v68, s83
	s_waitcnt lgkmcnt(1)
	v_add_u32_e32 v66, v66, v18
	v_lshlrev_b64 v[66:67], 3, v[66:67]
	v_add_co_u32_e32 v66, vcc, s82, v66
	v_addc_co_u32_e32 v67, vcc, v68, v67, vcc
	s_waitcnt lgkmcnt(0)
	global_store_dwordx2 v[66:67], v[64:65], off
	s_or_b64 exec, exec, s[36:37]
	s_and_saveexec_b64 s[36:37], s[54:55]
	s_cbranch_execnz .LBB1251_1186
.LBB1251_1171:                          ;   in Loop: Header=BB1251_987 Depth=2
	s_or_b64 exec, exec, s[36:37]
	s_and_saveexec_b64 s[36:37], s[56:57]
	s_cbranch_execz .LBB1251_1187
.LBB1251_1172:                          ;   in Loop: Header=BB1251_987 Depth=2
	v_lshlrev_b32_e32 v64, 2, v169
	ds_read_b32 v66, v64
	ds_read_b64 v[64:65], v104 offset:20480
	v_mov_b32_e32 v67, v4
	v_mov_b32_e32 v68, s83
	s_waitcnt lgkmcnt(1)
	v_add_u32_e32 v66, v66, v22
	v_lshlrev_b64 v[66:67], 3, v[66:67]
	v_add_co_u32_e32 v66, vcc, s82, v66
	v_addc_co_u32_e32 v67, vcc, v68, v67, vcc
	s_waitcnt lgkmcnt(0)
	global_store_dwordx2 v[66:67], v[64:65], off
	s_or_b64 exec, exec, s[36:37]
	s_and_saveexec_b64 s[36:37], s[58:59]
	s_cbranch_execnz .LBB1251_1188
.LBB1251_1173:                          ;   in Loop: Header=BB1251_987 Depth=2
	s_or_b64 exec, exec, s[36:37]
	s_and_saveexec_b64 s[36:37], s[60:61]
	s_cbranch_execz .LBB1251_1189
.LBB1251_1174:                          ;   in Loop: Header=BB1251_987 Depth=2
	v_lshlrev_b32_e32 v64, 2, v167
	ds_read_b32 v66, v64
	ds_read_b64 v[64:65], v104 offset:24576
	v_mov_b32_e32 v67, v4
	v_mov_b32_e32 v68, s83
	s_waitcnt lgkmcnt(1)
	v_add_u32_e32 v66, v66, v26
	v_lshlrev_b64 v[66:67], 3, v[66:67]
	v_add_co_u32_e32 v66, vcc, s82, v66
	v_addc_co_u32_e32 v67, vcc, v68, v67, vcc
	s_waitcnt lgkmcnt(0)
	global_store_dwordx2 v[66:67], v[64:65], off
	s_or_b64 exec, exec, s[36:37]
	s_and_saveexec_b64 s[36:37], s[62:63]
	s_cbranch_execnz .LBB1251_1190
.LBB1251_1175:                          ;   in Loop: Header=BB1251_987 Depth=2
	s_or_b64 exec, exec, s[36:37]
	s_and_saveexec_b64 s[36:37], s[64:65]
	s_cbranch_execz .LBB1251_1191
.LBB1251_1176:                          ;   in Loop: Header=BB1251_987 Depth=2
	v_lshlrev_b32_e32 v64, 2, v165
	ds_read_b32 v66, v64
	ds_read_b64 v[64:65], v104 offset:28672
	v_mov_b32_e32 v67, v4
	v_mov_b32_e32 v68, s83
	s_waitcnt lgkmcnt(1)
	v_add_u32_e32 v66, v66, v30
	v_lshlrev_b64 v[66:67], 3, v[66:67]
	v_add_co_u32_e32 v66, vcc, s82, v66
	v_addc_co_u32_e32 v67, vcc, v68, v67, vcc
	s_waitcnt lgkmcnt(0)
	global_store_dwordx2 v[66:67], v[64:65], off
	s_or_b64 exec, exec, s[36:37]
	s_and_saveexec_b64 s[36:37], s[66:67]
	s_cbranch_execnz .LBB1251_1192
	s_branch .LBB1251_1193
.LBB1251_1177:                          ;   in Loop: Header=BB1251_987 Depth=2
	s_or_b64 exec, exec, s[92:93]
	s_and_saveexec_b64 s[36:37], s[38:39]
	s_cbranch_execz .LBB1251_1163
.LBB1251_1178:                          ;   in Loop: Header=BB1251_987 Depth=2
	v_lshlrev_b32_e32 v64, 2, v181
	ds_read_b32 v66, v64
	ds_read_b64 v[64:65], v104 offset:2048
	v_mov_b32_e32 v67, v4
	v_mov_b32_e32 v68, s83
	s_waitcnt lgkmcnt(1)
	v_add_u32_e32 v66, v66, v7
	v_lshlrev_b64 v[66:67], 3, v[66:67]
	v_add_co_u32_e32 v66, vcc, s82, v66
	v_addc_co_u32_e32 v67, vcc, v68, v67, vcc
	s_waitcnt lgkmcnt(0)
	global_store_dwordx2 v[66:67], v[64:65], off
	s_or_b64 exec, exec, s[36:37]
	s_and_saveexec_b64 s[36:37], s[40:41]
	s_cbranch_execnz .LBB1251_1164
.LBB1251_1179:                          ;   in Loop: Header=BB1251_987 Depth=2
	s_or_b64 exec, exec, s[36:37]
	s_and_saveexec_b64 s[36:37], s[42:43]
	s_cbranch_execz .LBB1251_1165
.LBB1251_1180:                          ;   in Loop: Header=BB1251_987 Depth=2
	v_lshlrev_b32_e32 v64, 2, v179
	ds_read_b32 v66, v64
	ds_read_b64 v[64:65], v104 offset:6144
	v_mov_b32_e32 v67, v4
	v_mov_b32_e32 v68, s83
	s_waitcnt lgkmcnt(1)
	v_add_u32_e32 v66, v66, v8
	v_lshlrev_b64 v[66:67], 3, v[66:67]
	v_add_co_u32_e32 v66, vcc, s82, v66
	v_addc_co_u32_e32 v67, vcc, v68, v67, vcc
	s_waitcnt lgkmcnt(0)
	global_store_dwordx2 v[66:67], v[64:65], off
	s_or_b64 exec, exec, s[36:37]
	s_and_saveexec_b64 s[36:37], s[44:45]
	s_cbranch_execnz .LBB1251_1166
.LBB1251_1181:                          ;   in Loop: Header=BB1251_987 Depth=2
	s_or_b64 exec, exec, s[36:37]
	s_and_saveexec_b64 s[36:37], s[46:47]
	s_cbranch_execz .LBB1251_1167
.LBB1251_1182:                          ;   in Loop: Header=BB1251_987 Depth=2
	v_lshlrev_b32_e32 v64, 2, v176
	ds_read_b32 v66, v64
	ds_read_b64 v[64:65], v104 offset:10240
	v_mov_b32_e32 v67, v4
	v_mov_b32_e32 v68, s83
	s_waitcnt lgkmcnt(1)
	v_add_u32_e32 v66, v66, v12
	v_lshlrev_b64 v[66:67], 3, v[66:67]
	v_add_co_u32_e32 v66, vcc, s82, v66
	v_addc_co_u32_e32 v67, vcc, v68, v67, vcc
	s_waitcnt lgkmcnt(0)
	global_store_dwordx2 v[66:67], v[64:65], off
	s_or_b64 exec, exec, s[36:37]
	s_and_saveexec_b64 s[36:37], s[48:49]
	s_cbranch_execnz .LBB1251_1168
.LBB1251_1183:                          ;   in Loop: Header=BB1251_987 Depth=2
	s_or_b64 exec, exec, s[36:37]
	s_and_saveexec_b64 s[36:37], s[50:51]
	s_cbranch_execz .LBB1251_1169
.LBB1251_1184:                          ;   in Loop: Header=BB1251_987 Depth=2
	v_lshlrev_b32_e32 v64, 2, v174
	ds_read_b32 v66, v64
	ds_read_b64 v[64:65], v104 offset:14336
	v_mov_b32_e32 v67, v4
	v_mov_b32_e32 v68, s83
	s_waitcnt lgkmcnt(1)
	v_add_u32_e32 v66, v66, v16
	v_lshlrev_b64 v[66:67], 3, v[66:67]
	v_add_co_u32_e32 v66, vcc, s82, v66
	v_addc_co_u32_e32 v67, vcc, v68, v67, vcc
	s_waitcnt lgkmcnt(0)
	global_store_dwordx2 v[66:67], v[64:65], off
	s_or_b64 exec, exec, s[36:37]
	s_and_saveexec_b64 s[36:37], s[52:53]
	s_cbranch_execnz .LBB1251_1170
.LBB1251_1185:                          ;   in Loop: Header=BB1251_987 Depth=2
	s_or_b64 exec, exec, s[36:37]
	s_and_saveexec_b64 s[36:37], s[54:55]
	s_cbranch_execz .LBB1251_1171
.LBB1251_1186:                          ;   in Loop: Header=BB1251_987 Depth=2
	v_lshlrev_b32_e32 v64, 2, v171
	ds_read_b32 v66, v64
	ds_read_b64 v[64:65], v104 offset:18432
	v_mov_b32_e32 v67, v4
	v_mov_b32_e32 v68, s83
	s_waitcnt lgkmcnt(1)
	v_add_u32_e32 v66, v66, v20
	v_lshlrev_b64 v[66:67], 3, v[66:67]
	v_add_co_u32_e32 v66, vcc, s82, v66
	v_addc_co_u32_e32 v67, vcc, v68, v67, vcc
	s_waitcnt lgkmcnt(0)
	global_store_dwordx2 v[66:67], v[64:65], off
	s_or_b64 exec, exec, s[36:37]
	s_and_saveexec_b64 s[36:37], s[56:57]
	s_cbranch_execnz .LBB1251_1172
.LBB1251_1187:                          ;   in Loop: Header=BB1251_987 Depth=2
	s_or_b64 exec, exec, s[36:37]
	s_and_saveexec_b64 s[36:37], s[58:59]
	s_cbranch_execz .LBB1251_1173
.LBB1251_1188:                          ;   in Loop: Header=BB1251_987 Depth=2
	v_lshlrev_b32_e32 v64, 2, v168
	ds_read_b32 v66, v64
	ds_read_b64 v[64:65], v104 offset:22528
	v_mov_b32_e32 v67, v4
	v_mov_b32_e32 v68, s83
	s_waitcnt lgkmcnt(1)
	v_add_u32_e32 v66, v66, v24
	v_lshlrev_b64 v[66:67], 3, v[66:67]
	v_add_co_u32_e32 v66, vcc, s82, v66
	v_addc_co_u32_e32 v67, vcc, v68, v67, vcc
	s_waitcnt lgkmcnt(0)
	global_store_dwordx2 v[66:67], v[64:65], off
	s_or_b64 exec, exec, s[36:37]
	s_and_saveexec_b64 s[36:37], s[60:61]
	s_cbranch_execnz .LBB1251_1174
.LBB1251_1189:                          ;   in Loop: Header=BB1251_987 Depth=2
	s_or_b64 exec, exec, s[36:37]
	s_and_saveexec_b64 s[36:37], s[62:63]
	s_cbranch_execz .LBB1251_1175
.LBB1251_1190:                          ;   in Loop: Header=BB1251_987 Depth=2
	v_lshlrev_b32_e32 v64, 2, v166
	ds_read_b32 v66, v64
	ds_read_b64 v[64:65], v104 offset:26624
	v_mov_b32_e32 v67, v4
	v_mov_b32_e32 v68, s83
	s_waitcnt lgkmcnt(1)
	v_add_u32_e32 v66, v66, v28
	v_lshlrev_b64 v[66:67], 3, v[66:67]
	v_add_co_u32_e32 v66, vcc, s82, v66
	v_addc_co_u32_e32 v67, vcc, v68, v67, vcc
	s_waitcnt lgkmcnt(0)
	global_store_dwordx2 v[66:67], v[64:65], off
	s_or_b64 exec, exec, s[36:37]
	s_and_saveexec_b64 s[36:37], s[64:65]
	s_cbranch_execnz .LBB1251_1176
.LBB1251_1191:                          ;   in Loop: Header=BB1251_987 Depth=2
	s_or_b64 exec, exec, s[36:37]
	s_and_saveexec_b64 s[36:37], s[66:67]
	s_cbranch_execz .LBB1251_1193
.LBB1251_1192:                          ;   in Loop: Header=BB1251_987 Depth=2
	v_lshlrev_b32_e32 v64, 2, v164
	ds_read_b32 v66, v64
	ds_read_b64 v[64:65], v104 offset:30720
	v_mov_b32_e32 v67, v4
	v_mov_b32_e32 v68, s83
	s_waitcnt lgkmcnt(1)
	v_add_u32_e32 v66, v66, v32
	v_lshlrev_b64 v[66:67], 3, v[66:67]
	v_add_co_u32_e32 v66, vcc, s82, v66
	v_addc_co_u32_e32 v67, vcc, v68, v67, vcc
	s_waitcnt lgkmcnt(0)
	global_store_dwordx2 v[66:67], v[64:65], off
.LBB1251_1193:                          ;   in Loop: Header=BB1251_987 Depth=2
	s_or_b64 exec, exec, s[36:37]
	s_barrier
	s_and_saveexec_b64 s[36:37], s[4:5]
	s_cbranch_execz .LBB1251_986
; %bb.1194:                             ;   in Loop: Header=BB1251_987 Depth=2
	ds_read_b32 v64, v3
	s_waitcnt lgkmcnt(0)
	v_add_u32_e32 v5, v64, v5
	ds_write_b32 v3, v5
	s_branch .LBB1251_986
.LBB1251_1195:
	s_endpgm
	.section	.rodata,"a",@progbits
	.p2align	6, 0x0
	.amdhsa_kernel _ZN7rocprim17ROCPRIM_400000_NS6detail17trampoline_kernelINS0_14default_configENS1_36segmented_radix_sort_config_selectorIdlEEZNS1_25segmented_radix_sort_implIS3_Lb0EPKdPdPKlPlN2at6native12_GLOBAL__N_18offset_tEEE10hipError_tPvRmT1_PNSt15iterator_traitsISK_E10value_typeET2_T3_PNSL_ISQ_E10value_typeET4_jRbjT5_SW_jjP12ihipStream_tbEUlT_E2_NS1_11comp_targetILNS1_3genE4ELNS1_11target_archE910ELNS1_3gpuE8ELNS1_3repE0EEENS1_30default_config_static_selectorELNS0_4arch9wavefront6targetE1EEEvSK_
		.amdhsa_group_segment_fixed_size 33808
		.amdhsa_private_segment_fixed_size 132
		.amdhsa_kernarg_size 336
		.amdhsa_user_sgpr_count 8
		.amdhsa_user_sgpr_private_segment_buffer 1
		.amdhsa_user_sgpr_dispatch_ptr 0
		.amdhsa_user_sgpr_queue_ptr 0
		.amdhsa_user_sgpr_kernarg_segment_ptr 1
		.amdhsa_user_sgpr_dispatch_id 0
		.amdhsa_user_sgpr_flat_scratch_init 1
		.amdhsa_user_sgpr_kernarg_preload_length 0
		.amdhsa_user_sgpr_kernarg_preload_offset 0
		.amdhsa_user_sgpr_private_segment_size 0
		.amdhsa_uses_dynamic_stack 0
		.amdhsa_system_sgpr_private_segment_wavefront_offset 1
		.amdhsa_system_sgpr_workgroup_id_x 1
		.amdhsa_system_sgpr_workgroup_id_y 1
		.amdhsa_system_sgpr_workgroup_id_z 0
		.amdhsa_system_sgpr_workgroup_info 0
		.amdhsa_system_vgpr_workitem_id 2
		.amdhsa_next_free_vgpr 280
		.amdhsa_next_free_sgpr 100
		.amdhsa_accum_offset 248
		.amdhsa_reserve_vcc 1
		.amdhsa_reserve_flat_scratch 1
		.amdhsa_float_round_mode_32 0
		.amdhsa_float_round_mode_16_64 0
		.amdhsa_float_denorm_mode_32 3
		.amdhsa_float_denorm_mode_16_64 3
		.amdhsa_dx10_clamp 1
		.amdhsa_ieee_mode 1
		.amdhsa_fp16_overflow 0
		.amdhsa_tg_split 0
		.amdhsa_exception_fp_ieee_invalid_op 0
		.amdhsa_exception_fp_denorm_src 0
		.amdhsa_exception_fp_ieee_div_zero 0
		.amdhsa_exception_fp_ieee_overflow 0
		.amdhsa_exception_fp_ieee_underflow 0
		.amdhsa_exception_fp_ieee_inexact 0
		.amdhsa_exception_int_div_zero 0
	.end_amdhsa_kernel
	.section	.text._ZN7rocprim17ROCPRIM_400000_NS6detail17trampoline_kernelINS0_14default_configENS1_36segmented_radix_sort_config_selectorIdlEEZNS1_25segmented_radix_sort_implIS3_Lb0EPKdPdPKlPlN2at6native12_GLOBAL__N_18offset_tEEE10hipError_tPvRmT1_PNSt15iterator_traitsISK_E10value_typeET2_T3_PNSL_ISQ_E10value_typeET4_jRbjT5_SW_jjP12ihipStream_tbEUlT_E2_NS1_11comp_targetILNS1_3genE4ELNS1_11target_archE910ELNS1_3gpuE8ELNS1_3repE0EEENS1_30default_config_static_selectorELNS0_4arch9wavefront6targetE1EEEvSK_,"axG",@progbits,_ZN7rocprim17ROCPRIM_400000_NS6detail17trampoline_kernelINS0_14default_configENS1_36segmented_radix_sort_config_selectorIdlEEZNS1_25segmented_radix_sort_implIS3_Lb0EPKdPdPKlPlN2at6native12_GLOBAL__N_18offset_tEEE10hipError_tPvRmT1_PNSt15iterator_traitsISK_E10value_typeET2_T3_PNSL_ISQ_E10value_typeET4_jRbjT5_SW_jjP12ihipStream_tbEUlT_E2_NS1_11comp_targetILNS1_3genE4ELNS1_11target_archE910ELNS1_3gpuE8ELNS1_3repE0EEENS1_30default_config_static_selectorELNS0_4arch9wavefront6targetE1EEEvSK_,comdat
.Lfunc_end1251:
	.size	_ZN7rocprim17ROCPRIM_400000_NS6detail17trampoline_kernelINS0_14default_configENS1_36segmented_radix_sort_config_selectorIdlEEZNS1_25segmented_radix_sort_implIS3_Lb0EPKdPdPKlPlN2at6native12_GLOBAL__N_18offset_tEEE10hipError_tPvRmT1_PNSt15iterator_traitsISK_E10value_typeET2_T3_PNSL_ISQ_E10value_typeET4_jRbjT5_SW_jjP12ihipStream_tbEUlT_E2_NS1_11comp_targetILNS1_3genE4ELNS1_11target_archE910ELNS1_3gpuE8ELNS1_3repE0EEENS1_30default_config_static_selectorELNS0_4arch9wavefront6targetE1EEEvSK_, .Lfunc_end1251-_ZN7rocprim17ROCPRIM_400000_NS6detail17trampoline_kernelINS0_14default_configENS1_36segmented_radix_sort_config_selectorIdlEEZNS1_25segmented_radix_sort_implIS3_Lb0EPKdPdPKlPlN2at6native12_GLOBAL__N_18offset_tEEE10hipError_tPvRmT1_PNSt15iterator_traitsISK_E10value_typeET2_T3_PNSL_ISQ_E10value_typeET4_jRbjT5_SW_jjP12ihipStream_tbEUlT_E2_NS1_11comp_targetILNS1_3genE4ELNS1_11target_archE910ELNS1_3gpuE8ELNS1_3repE0EEENS1_30default_config_static_selectorELNS0_4arch9wavefront6targetE1EEEvSK_
                                        ; -- End function
	.section	.AMDGPU.csdata,"",@progbits
; Kernel info:
; codeLenInByte = 73124
; NumSgprs: 106
; NumVgprs: 248
; NumAgprs: 32
; TotalNumVgprs: 280
; ScratchSize: 132
; MemoryBound: 0
; FloatMode: 240
; IeeeMode: 1
; LDSByteSize: 33808 bytes/workgroup (compile time only)
; SGPRBlocks: 13
; VGPRBlocks: 34
; NumSGPRsForWavesPerEU: 106
; NumVGPRsForWavesPerEU: 280
; AccumOffset: 248
; Occupancy: 1
; WaveLimiterHint : 1
; COMPUTE_PGM_RSRC2:SCRATCH_EN: 1
; COMPUTE_PGM_RSRC2:USER_SGPR: 8
; COMPUTE_PGM_RSRC2:TRAP_HANDLER: 0
; COMPUTE_PGM_RSRC2:TGID_X_EN: 1
; COMPUTE_PGM_RSRC2:TGID_Y_EN: 1
; COMPUTE_PGM_RSRC2:TGID_Z_EN: 0
; COMPUTE_PGM_RSRC2:TIDIG_COMP_CNT: 2
; COMPUTE_PGM_RSRC3_GFX90A:ACCUM_OFFSET: 61
; COMPUTE_PGM_RSRC3_GFX90A:TG_SPLIT: 0
	.section	.text._ZN7rocprim17ROCPRIM_400000_NS6detail17trampoline_kernelINS0_14default_configENS1_36segmented_radix_sort_config_selectorIdlEEZNS1_25segmented_radix_sort_implIS3_Lb0EPKdPdPKlPlN2at6native12_GLOBAL__N_18offset_tEEE10hipError_tPvRmT1_PNSt15iterator_traitsISK_E10value_typeET2_T3_PNSL_ISQ_E10value_typeET4_jRbjT5_SW_jjP12ihipStream_tbEUlT_E2_NS1_11comp_targetILNS1_3genE3ELNS1_11target_archE908ELNS1_3gpuE7ELNS1_3repE0EEENS1_30default_config_static_selectorELNS0_4arch9wavefront6targetE1EEEvSK_,"axG",@progbits,_ZN7rocprim17ROCPRIM_400000_NS6detail17trampoline_kernelINS0_14default_configENS1_36segmented_radix_sort_config_selectorIdlEEZNS1_25segmented_radix_sort_implIS3_Lb0EPKdPdPKlPlN2at6native12_GLOBAL__N_18offset_tEEE10hipError_tPvRmT1_PNSt15iterator_traitsISK_E10value_typeET2_T3_PNSL_ISQ_E10value_typeET4_jRbjT5_SW_jjP12ihipStream_tbEUlT_E2_NS1_11comp_targetILNS1_3genE3ELNS1_11target_archE908ELNS1_3gpuE7ELNS1_3repE0EEENS1_30default_config_static_selectorELNS0_4arch9wavefront6targetE1EEEvSK_,comdat
	.globl	_ZN7rocprim17ROCPRIM_400000_NS6detail17trampoline_kernelINS0_14default_configENS1_36segmented_radix_sort_config_selectorIdlEEZNS1_25segmented_radix_sort_implIS3_Lb0EPKdPdPKlPlN2at6native12_GLOBAL__N_18offset_tEEE10hipError_tPvRmT1_PNSt15iterator_traitsISK_E10value_typeET2_T3_PNSL_ISQ_E10value_typeET4_jRbjT5_SW_jjP12ihipStream_tbEUlT_E2_NS1_11comp_targetILNS1_3genE3ELNS1_11target_archE908ELNS1_3gpuE7ELNS1_3repE0EEENS1_30default_config_static_selectorELNS0_4arch9wavefront6targetE1EEEvSK_ ; -- Begin function _ZN7rocprim17ROCPRIM_400000_NS6detail17trampoline_kernelINS0_14default_configENS1_36segmented_radix_sort_config_selectorIdlEEZNS1_25segmented_radix_sort_implIS3_Lb0EPKdPdPKlPlN2at6native12_GLOBAL__N_18offset_tEEE10hipError_tPvRmT1_PNSt15iterator_traitsISK_E10value_typeET2_T3_PNSL_ISQ_E10value_typeET4_jRbjT5_SW_jjP12ihipStream_tbEUlT_E2_NS1_11comp_targetILNS1_3genE3ELNS1_11target_archE908ELNS1_3gpuE7ELNS1_3repE0EEENS1_30default_config_static_selectorELNS0_4arch9wavefront6targetE1EEEvSK_
	.p2align	8
	.type	_ZN7rocprim17ROCPRIM_400000_NS6detail17trampoline_kernelINS0_14default_configENS1_36segmented_radix_sort_config_selectorIdlEEZNS1_25segmented_radix_sort_implIS3_Lb0EPKdPdPKlPlN2at6native12_GLOBAL__N_18offset_tEEE10hipError_tPvRmT1_PNSt15iterator_traitsISK_E10value_typeET2_T3_PNSL_ISQ_E10value_typeET4_jRbjT5_SW_jjP12ihipStream_tbEUlT_E2_NS1_11comp_targetILNS1_3genE3ELNS1_11target_archE908ELNS1_3gpuE7ELNS1_3repE0EEENS1_30default_config_static_selectorELNS0_4arch9wavefront6targetE1EEEvSK_,@function
_ZN7rocprim17ROCPRIM_400000_NS6detail17trampoline_kernelINS0_14default_configENS1_36segmented_radix_sort_config_selectorIdlEEZNS1_25segmented_radix_sort_implIS3_Lb0EPKdPdPKlPlN2at6native12_GLOBAL__N_18offset_tEEE10hipError_tPvRmT1_PNSt15iterator_traitsISK_E10value_typeET2_T3_PNSL_ISQ_E10value_typeET4_jRbjT5_SW_jjP12ihipStream_tbEUlT_E2_NS1_11comp_targetILNS1_3genE3ELNS1_11target_archE908ELNS1_3gpuE7ELNS1_3repE0EEENS1_30default_config_static_selectorELNS0_4arch9wavefront6targetE1EEEvSK_: ; @_ZN7rocprim17ROCPRIM_400000_NS6detail17trampoline_kernelINS0_14default_configENS1_36segmented_radix_sort_config_selectorIdlEEZNS1_25segmented_radix_sort_implIS3_Lb0EPKdPdPKlPlN2at6native12_GLOBAL__N_18offset_tEEE10hipError_tPvRmT1_PNSt15iterator_traitsISK_E10value_typeET2_T3_PNSL_ISQ_E10value_typeET4_jRbjT5_SW_jjP12ihipStream_tbEUlT_E2_NS1_11comp_targetILNS1_3genE3ELNS1_11target_archE908ELNS1_3gpuE7ELNS1_3repE0EEENS1_30default_config_static_selectorELNS0_4arch9wavefront6targetE1EEEvSK_
; %bb.0:
	.section	.rodata,"a",@progbits
	.p2align	6, 0x0
	.amdhsa_kernel _ZN7rocprim17ROCPRIM_400000_NS6detail17trampoline_kernelINS0_14default_configENS1_36segmented_radix_sort_config_selectorIdlEEZNS1_25segmented_radix_sort_implIS3_Lb0EPKdPdPKlPlN2at6native12_GLOBAL__N_18offset_tEEE10hipError_tPvRmT1_PNSt15iterator_traitsISK_E10value_typeET2_T3_PNSL_ISQ_E10value_typeET4_jRbjT5_SW_jjP12ihipStream_tbEUlT_E2_NS1_11comp_targetILNS1_3genE3ELNS1_11target_archE908ELNS1_3gpuE7ELNS1_3repE0EEENS1_30default_config_static_selectorELNS0_4arch9wavefront6targetE1EEEvSK_
		.amdhsa_group_segment_fixed_size 0
		.amdhsa_private_segment_fixed_size 0
		.amdhsa_kernarg_size 80
		.amdhsa_user_sgpr_count 6
		.amdhsa_user_sgpr_private_segment_buffer 1
		.amdhsa_user_sgpr_dispatch_ptr 0
		.amdhsa_user_sgpr_queue_ptr 0
		.amdhsa_user_sgpr_kernarg_segment_ptr 1
		.amdhsa_user_sgpr_dispatch_id 0
		.amdhsa_user_sgpr_flat_scratch_init 0
		.amdhsa_user_sgpr_kernarg_preload_length 0
		.amdhsa_user_sgpr_kernarg_preload_offset 0
		.amdhsa_user_sgpr_private_segment_size 0
		.amdhsa_uses_dynamic_stack 0
		.amdhsa_system_sgpr_private_segment_wavefront_offset 0
		.amdhsa_system_sgpr_workgroup_id_x 1
		.amdhsa_system_sgpr_workgroup_id_y 0
		.amdhsa_system_sgpr_workgroup_id_z 0
		.amdhsa_system_sgpr_workgroup_info 0
		.amdhsa_system_vgpr_workitem_id 0
		.amdhsa_next_free_vgpr 1
		.amdhsa_next_free_sgpr 0
		.amdhsa_accum_offset 4
		.amdhsa_reserve_vcc 0
		.amdhsa_reserve_flat_scratch 0
		.amdhsa_float_round_mode_32 0
		.amdhsa_float_round_mode_16_64 0
		.amdhsa_float_denorm_mode_32 3
		.amdhsa_float_denorm_mode_16_64 3
		.amdhsa_dx10_clamp 1
		.amdhsa_ieee_mode 1
		.amdhsa_fp16_overflow 0
		.amdhsa_tg_split 0
		.amdhsa_exception_fp_ieee_invalid_op 0
		.amdhsa_exception_fp_denorm_src 0
		.amdhsa_exception_fp_ieee_div_zero 0
		.amdhsa_exception_fp_ieee_overflow 0
		.amdhsa_exception_fp_ieee_underflow 0
		.amdhsa_exception_fp_ieee_inexact 0
		.amdhsa_exception_int_div_zero 0
	.end_amdhsa_kernel
	.section	.text._ZN7rocprim17ROCPRIM_400000_NS6detail17trampoline_kernelINS0_14default_configENS1_36segmented_radix_sort_config_selectorIdlEEZNS1_25segmented_radix_sort_implIS3_Lb0EPKdPdPKlPlN2at6native12_GLOBAL__N_18offset_tEEE10hipError_tPvRmT1_PNSt15iterator_traitsISK_E10value_typeET2_T3_PNSL_ISQ_E10value_typeET4_jRbjT5_SW_jjP12ihipStream_tbEUlT_E2_NS1_11comp_targetILNS1_3genE3ELNS1_11target_archE908ELNS1_3gpuE7ELNS1_3repE0EEENS1_30default_config_static_selectorELNS0_4arch9wavefront6targetE1EEEvSK_,"axG",@progbits,_ZN7rocprim17ROCPRIM_400000_NS6detail17trampoline_kernelINS0_14default_configENS1_36segmented_radix_sort_config_selectorIdlEEZNS1_25segmented_radix_sort_implIS3_Lb0EPKdPdPKlPlN2at6native12_GLOBAL__N_18offset_tEEE10hipError_tPvRmT1_PNSt15iterator_traitsISK_E10value_typeET2_T3_PNSL_ISQ_E10value_typeET4_jRbjT5_SW_jjP12ihipStream_tbEUlT_E2_NS1_11comp_targetILNS1_3genE3ELNS1_11target_archE908ELNS1_3gpuE7ELNS1_3repE0EEENS1_30default_config_static_selectorELNS0_4arch9wavefront6targetE1EEEvSK_,comdat
.Lfunc_end1252:
	.size	_ZN7rocprim17ROCPRIM_400000_NS6detail17trampoline_kernelINS0_14default_configENS1_36segmented_radix_sort_config_selectorIdlEEZNS1_25segmented_radix_sort_implIS3_Lb0EPKdPdPKlPlN2at6native12_GLOBAL__N_18offset_tEEE10hipError_tPvRmT1_PNSt15iterator_traitsISK_E10value_typeET2_T3_PNSL_ISQ_E10value_typeET4_jRbjT5_SW_jjP12ihipStream_tbEUlT_E2_NS1_11comp_targetILNS1_3genE3ELNS1_11target_archE908ELNS1_3gpuE7ELNS1_3repE0EEENS1_30default_config_static_selectorELNS0_4arch9wavefront6targetE1EEEvSK_, .Lfunc_end1252-_ZN7rocprim17ROCPRIM_400000_NS6detail17trampoline_kernelINS0_14default_configENS1_36segmented_radix_sort_config_selectorIdlEEZNS1_25segmented_radix_sort_implIS3_Lb0EPKdPdPKlPlN2at6native12_GLOBAL__N_18offset_tEEE10hipError_tPvRmT1_PNSt15iterator_traitsISK_E10value_typeET2_T3_PNSL_ISQ_E10value_typeET4_jRbjT5_SW_jjP12ihipStream_tbEUlT_E2_NS1_11comp_targetILNS1_3genE3ELNS1_11target_archE908ELNS1_3gpuE7ELNS1_3repE0EEENS1_30default_config_static_selectorELNS0_4arch9wavefront6targetE1EEEvSK_
                                        ; -- End function
	.section	.AMDGPU.csdata,"",@progbits
; Kernel info:
; codeLenInByte = 0
; NumSgprs: 4
; NumVgprs: 0
; NumAgprs: 0
; TotalNumVgprs: 0
; ScratchSize: 0
; MemoryBound: 0
; FloatMode: 240
; IeeeMode: 1
; LDSByteSize: 0 bytes/workgroup (compile time only)
; SGPRBlocks: 0
; VGPRBlocks: 0
; NumSGPRsForWavesPerEU: 4
; NumVGPRsForWavesPerEU: 1
; AccumOffset: 4
; Occupancy: 8
; WaveLimiterHint : 0
; COMPUTE_PGM_RSRC2:SCRATCH_EN: 0
; COMPUTE_PGM_RSRC2:USER_SGPR: 6
; COMPUTE_PGM_RSRC2:TRAP_HANDLER: 0
; COMPUTE_PGM_RSRC2:TGID_X_EN: 1
; COMPUTE_PGM_RSRC2:TGID_Y_EN: 0
; COMPUTE_PGM_RSRC2:TGID_Z_EN: 0
; COMPUTE_PGM_RSRC2:TIDIG_COMP_CNT: 0
; COMPUTE_PGM_RSRC3_GFX90A:ACCUM_OFFSET: 0
; COMPUTE_PGM_RSRC3_GFX90A:TG_SPLIT: 0
	.section	.text._ZN7rocprim17ROCPRIM_400000_NS6detail17trampoline_kernelINS0_14default_configENS1_36segmented_radix_sort_config_selectorIdlEEZNS1_25segmented_radix_sort_implIS3_Lb0EPKdPdPKlPlN2at6native12_GLOBAL__N_18offset_tEEE10hipError_tPvRmT1_PNSt15iterator_traitsISK_E10value_typeET2_T3_PNSL_ISQ_E10value_typeET4_jRbjT5_SW_jjP12ihipStream_tbEUlT_E2_NS1_11comp_targetILNS1_3genE2ELNS1_11target_archE906ELNS1_3gpuE6ELNS1_3repE0EEENS1_30default_config_static_selectorELNS0_4arch9wavefront6targetE1EEEvSK_,"axG",@progbits,_ZN7rocprim17ROCPRIM_400000_NS6detail17trampoline_kernelINS0_14default_configENS1_36segmented_radix_sort_config_selectorIdlEEZNS1_25segmented_radix_sort_implIS3_Lb0EPKdPdPKlPlN2at6native12_GLOBAL__N_18offset_tEEE10hipError_tPvRmT1_PNSt15iterator_traitsISK_E10value_typeET2_T3_PNSL_ISQ_E10value_typeET4_jRbjT5_SW_jjP12ihipStream_tbEUlT_E2_NS1_11comp_targetILNS1_3genE2ELNS1_11target_archE906ELNS1_3gpuE6ELNS1_3repE0EEENS1_30default_config_static_selectorELNS0_4arch9wavefront6targetE1EEEvSK_,comdat
	.globl	_ZN7rocprim17ROCPRIM_400000_NS6detail17trampoline_kernelINS0_14default_configENS1_36segmented_radix_sort_config_selectorIdlEEZNS1_25segmented_radix_sort_implIS3_Lb0EPKdPdPKlPlN2at6native12_GLOBAL__N_18offset_tEEE10hipError_tPvRmT1_PNSt15iterator_traitsISK_E10value_typeET2_T3_PNSL_ISQ_E10value_typeET4_jRbjT5_SW_jjP12ihipStream_tbEUlT_E2_NS1_11comp_targetILNS1_3genE2ELNS1_11target_archE906ELNS1_3gpuE6ELNS1_3repE0EEENS1_30default_config_static_selectorELNS0_4arch9wavefront6targetE1EEEvSK_ ; -- Begin function _ZN7rocprim17ROCPRIM_400000_NS6detail17trampoline_kernelINS0_14default_configENS1_36segmented_radix_sort_config_selectorIdlEEZNS1_25segmented_radix_sort_implIS3_Lb0EPKdPdPKlPlN2at6native12_GLOBAL__N_18offset_tEEE10hipError_tPvRmT1_PNSt15iterator_traitsISK_E10value_typeET2_T3_PNSL_ISQ_E10value_typeET4_jRbjT5_SW_jjP12ihipStream_tbEUlT_E2_NS1_11comp_targetILNS1_3genE2ELNS1_11target_archE906ELNS1_3gpuE6ELNS1_3repE0EEENS1_30default_config_static_selectorELNS0_4arch9wavefront6targetE1EEEvSK_
	.p2align	8
	.type	_ZN7rocprim17ROCPRIM_400000_NS6detail17trampoline_kernelINS0_14default_configENS1_36segmented_radix_sort_config_selectorIdlEEZNS1_25segmented_radix_sort_implIS3_Lb0EPKdPdPKlPlN2at6native12_GLOBAL__N_18offset_tEEE10hipError_tPvRmT1_PNSt15iterator_traitsISK_E10value_typeET2_T3_PNSL_ISQ_E10value_typeET4_jRbjT5_SW_jjP12ihipStream_tbEUlT_E2_NS1_11comp_targetILNS1_3genE2ELNS1_11target_archE906ELNS1_3gpuE6ELNS1_3repE0EEENS1_30default_config_static_selectorELNS0_4arch9wavefront6targetE1EEEvSK_,@function
_ZN7rocprim17ROCPRIM_400000_NS6detail17trampoline_kernelINS0_14default_configENS1_36segmented_radix_sort_config_selectorIdlEEZNS1_25segmented_radix_sort_implIS3_Lb0EPKdPdPKlPlN2at6native12_GLOBAL__N_18offset_tEEE10hipError_tPvRmT1_PNSt15iterator_traitsISK_E10value_typeET2_T3_PNSL_ISQ_E10value_typeET4_jRbjT5_SW_jjP12ihipStream_tbEUlT_E2_NS1_11comp_targetILNS1_3genE2ELNS1_11target_archE906ELNS1_3gpuE6ELNS1_3repE0EEENS1_30default_config_static_selectorELNS0_4arch9wavefront6targetE1EEEvSK_: ; @_ZN7rocprim17ROCPRIM_400000_NS6detail17trampoline_kernelINS0_14default_configENS1_36segmented_radix_sort_config_selectorIdlEEZNS1_25segmented_radix_sort_implIS3_Lb0EPKdPdPKlPlN2at6native12_GLOBAL__N_18offset_tEEE10hipError_tPvRmT1_PNSt15iterator_traitsISK_E10value_typeET2_T3_PNSL_ISQ_E10value_typeET4_jRbjT5_SW_jjP12ihipStream_tbEUlT_E2_NS1_11comp_targetILNS1_3genE2ELNS1_11target_archE906ELNS1_3gpuE6ELNS1_3repE0EEENS1_30default_config_static_selectorELNS0_4arch9wavefront6targetE1EEEvSK_
; %bb.0:
	.section	.rodata,"a",@progbits
	.p2align	6, 0x0
	.amdhsa_kernel _ZN7rocprim17ROCPRIM_400000_NS6detail17trampoline_kernelINS0_14default_configENS1_36segmented_radix_sort_config_selectorIdlEEZNS1_25segmented_radix_sort_implIS3_Lb0EPKdPdPKlPlN2at6native12_GLOBAL__N_18offset_tEEE10hipError_tPvRmT1_PNSt15iterator_traitsISK_E10value_typeET2_T3_PNSL_ISQ_E10value_typeET4_jRbjT5_SW_jjP12ihipStream_tbEUlT_E2_NS1_11comp_targetILNS1_3genE2ELNS1_11target_archE906ELNS1_3gpuE6ELNS1_3repE0EEENS1_30default_config_static_selectorELNS0_4arch9wavefront6targetE1EEEvSK_
		.amdhsa_group_segment_fixed_size 0
		.amdhsa_private_segment_fixed_size 0
		.amdhsa_kernarg_size 80
		.amdhsa_user_sgpr_count 6
		.amdhsa_user_sgpr_private_segment_buffer 1
		.amdhsa_user_sgpr_dispatch_ptr 0
		.amdhsa_user_sgpr_queue_ptr 0
		.amdhsa_user_sgpr_kernarg_segment_ptr 1
		.amdhsa_user_sgpr_dispatch_id 0
		.amdhsa_user_sgpr_flat_scratch_init 0
		.amdhsa_user_sgpr_kernarg_preload_length 0
		.amdhsa_user_sgpr_kernarg_preload_offset 0
		.amdhsa_user_sgpr_private_segment_size 0
		.amdhsa_uses_dynamic_stack 0
		.amdhsa_system_sgpr_private_segment_wavefront_offset 0
		.amdhsa_system_sgpr_workgroup_id_x 1
		.amdhsa_system_sgpr_workgroup_id_y 0
		.amdhsa_system_sgpr_workgroup_id_z 0
		.amdhsa_system_sgpr_workgroup_info 0
		.amdhsa_system_vgpr_workitem_id 0
		.amdhsa_next_free_vgpr 1
		.amdhsa_next_free_sgpr 0
		.amdhsa_accum_offset 4
		.amdhsa_reserve_vcc 0
		.amdhsa_reserve_flat_scratch 0
		.amdhsa_float_round_mode_32 0
		.amdhsa_float_round_mode_16_64 0
		.amdhsa_float_denorm_mode_32 3
		.amdhsa_float_denorm_mode_16_64 3
		.amdhsa_dx10_clamp 1
		.amdhsa_ieee_mode 1
		.amdhsa_fp16_overflow 0
		.amdhsa_tg_split 0
		.amdhsa_exception_fp_ieee_invalid_op 0
		.amdhsa_exception_fp_denorm_src 0
		.amdhsa_exception_fp_ieee_div_zero 0
		.amdhsa_exception_fp_ieee_overflow 0
		.amdhsa_exception_fp_ieee_underflow 0
		.amdhsa_exception_fp_ieee_inexact 0
		.amdhsa_exception_int_div_zero 0
	.end_amdhsa_kernel
	.section	.text._ZN7rocprim17ROCPRIM_400000_NS6detail17trampoline_kernelINS0_14default_configENS1_36segmented_radix_sort_config_selectorIdlEEZNS1_25segmented_radix_sort_implIS3_Lb0EPKdPdPKlPlN2at6native12_GLOBAL__N_18offset_tEEE10hipError_tPvRmT1_PNSt15iterator_traitsISK_E10value_typeET2_T3_PNSL_ISQ_E10value_typeET4_jRbjT5_SW_jjP12ihipStream_tbEUlT_E2_NS1_11comp_targetILNS1_3genE2ELNS1_11target_archE906ELNS1_3gpuE6ELNS1_3repE0EEENS1_30default_config_static_selectorELNS0_4arch9wavefront6targetE1EEEvSK_,"axG",@progbits,_ZN7rocprim17ROCPRIM_400000_NS6detail17trampoline_kernelINS0_14default_configENS1_36segmented_radix_sort_config_selectorIdlEEZNS1_25segmented_radix_sort_implIS3_Lb0EPKdPdPKlPlN2at6native12_GLOBAL__N_18offset_tEEE10hipError_tPvRmT1_PNSt15iterator_traitsISK_E10value_typeET2_T3_PNSL_ISQ_E10value_typeET4_jRbjT5_SW_jjP12ihipStream_tbEUlT_E2_NS1_11comp_targetILNS1_3genE2ELNS1_11target_archE906ELNS1_3gpuE6ELNS1_3repE0EEENS1_30default_config_static_selectorELNS0_4arch9wavefront6targetE1EEEvSK_,comdat
.Lfunc_end1253:
	.size	_ZN7rocprim17ROCPRIM_400000_NS6detail17trampoline_kernelINS0_14default_configENS1_36segmented_radix_sort_config_selectorIdlEEZNS1_25segmented_radix_sort_implIS3_Lb0EPKdPdPKlPlN2at6native12_GLOBAL__N_18offset_tEEE10hipError_tPvRmT1_PNSt15iterator_traitsISK_E10value_typeET2_T3_PNSL_ISQ_E10value_typeET4_jRbjT5_SW_jjP12ihipStream_tbEUlT_E2_NS1_11comp_targetILNS1_3genE2ELNS1_11target_archE906ELNS1_3gpuE6ELNS1_3repE0EEENS1_30default_config_static_selectorELNS0_4arch9wavefront6targetE1EEEvSK_, .Lfunc_end1253-_ZN7rocprim17ROCPRIM_400000_NS6detail17trampoline_kernelINS0_14default_configENS1_36segmented_radix_sort_config_selectorIdlEEZNS1_25segmented_radix_sort_implIS3_Lb0EPKdPdPKlPlN2at6native12_GLOBAL__N_18offset_tEEE10hipError_tPvRmT1_PNSt15iterator_traitsISK_E10value_typeET2_T3_PNSL_ISQ_E10value_typeET4_jRbjT5_SW_jjP12ihipStream_tbEUlT_E2_NS1_11comp_targetILNS1_3genE2ELNS1_11target_archE906ELNS1_3gpuE6ELNS1_3repE0EEENS1_30default_config_static_selectorELNS0_4arch9wavefront6targetE1EEEvSK_
                                        ; -- End function
	.section	.AMDGPU.csdata,"",@progbits
; Kernel info:
; codeLenInByte = 0
; NumSgprs: 4
; NumVgprs: 0
; NumAgprs: 0
; TotalNumVgprs: 0
; ScratchSize: 0
; MemoryBound: 0
; FloatMode: 240
; IeeeMode: 1
; LDSByteSize: 0 bytes/workgroup (compile time only)
; SGPRBlocks: 0
; VGPRBlocks: 0
; NumSGPRsForWavesPerEU: 4
; NumVGPRsForWavesPerEU: 1
; AccumOffset: 4
; Occupancy: 8
; WaveLimiterHint : 0
; COMPUTE_PGM_RSRC2:SCRATCH_EN: 0
; COMPUTE_PGM_RSRC2:USER_SGPR: 6
; COMPUTE_PGM_RSRC2:TRAP_HANDLER: 0
; COMPUTE_PGM_RSRC2:TGID_X_EN: 1
; COMPUTE_PGM_RSRC2:TGID_Y_EN: 0
; COMPUTE_PGM_RSRC2:TGID_Z_EN: 0
; COMPUTE_PGM_RSRC2:TIDIG_COMP_CNT: 0
; COMPUTE_PGM_RSRC3_GFX90A:ACCUM_OFFSET: 0
; COMPUTE_PGM_RSRC3_GFX90A:TG_SPLIT: 0
	.section	.text._ZN7rocprim17ROCPRIM_400000_NS6detail17trampoline_kernelINS0_14default_configENS1_36segmented_radix_sort_config_selectorIdlEEZNS1_25segmented_radix_sort_implIS3_Lb0EPKdPdPKlPlN2at6native12_GLOBAL__N_18offset_tEEE10hipError_tPvRmT1_PNSt15iterator_traitsISK_E10value_typeET2_T3_PNSL_ISQ_E10value_typeET4_jRbjT5_SW_jjP12ihipStream_tbEUlT_E2_NS1_11comp_targetILNS1_3genE10ELNS1_11target_archE1201ELNS1_3gpuE5ELNS1_3repE0EEENS1_30default_config_static_selectorELNS0_4arch9wavefront6targetE1EEEvSK_,"axG",@progbits,_ZN7rocprim17ROCPRIM_400000_NS6detail17trampoline_kernelINS0_14default_configENS1_36segmented_radix_sort_config_selectorIdlEEZNS1_25segmented_radix_sort_implIS3_Lb0EPKdPdPKlPlN2at6native12_GLOBAL__N_18offset_tEEE10hipError_tPvRmT1_PNSt15iterator_traitsISK_E10value_typeET2_T3_PNSL_ISQ_E10value_typeET4_jRbjT5_SW_jjP12ihipStream_tbEUlT_E2_NS1_11comp_targetILNS1_3genE10ELNS1_11target_archE1201ELNS1_3gpuE5ELNS1_3repE0EEENS1_30default_config_static_selectorELNS0_4arch9wavefront6targetE1EEEvSK_,comdat
	.globl	_ZN7rocprim17ROCPRIM_400000_NS6detail17trampoline_kernelINS0_14default_configENS1_36segmented_radix_sort_config_selectorIdlEEZNS1_25segmented_radix_sort_implIS3_Lb0EPKdPdPKlPlN2at6native12_GLOBAL__N_18offset_tEEE10hipError_tPvRmT1_PNSt15iterator_traitsISK_E10value_typeET2_T3_PNSL_ISQ_E10value_typeET4_jRbjT5_SW_jjP12ihipStream_tbEUlT_E2_NS1_11comp_targetILNS1_3genE10ELNS1_11target_archE1201ELNS1_3gpuE5ELNS1_3repE0EEENS1_30default_config_static_selectorELNS0_4arch9wavefront6targetE1EEEvSK_ ; -- Begin function _ZN7rocprim17ROCPRIM_400000_NS6detail17trampoline_kernelINS0_14default_configENS1_36segmented_radix_sort_config_selectorIdlEEZNS1_25segmented_radix_sort_implIS3_Lb0EPKdPdPKlPlN2at6native12_GLOBAL__N_18offset_tEEE10hipError_tPvRmT1_PNSt15iterator_traitsISK_E10value_typeET2_T3_PNSL_ISQ_E10value_typeET4_jRbjT5_SW_jjP12ihipStream_tbEUlT_E2_NS1_11comp_targetILNS1_3genE10ELNS1_11target_archE1201ELNS1_3gpuE5ELNS1_3repE0EEENS1_30default_config_static_selectorELNS0_4arch9wavefront6targetE1EEEvSK_
	.p2align	8
	.type	_ZN7rocprim17ROCPRIM_400000_NS6detail17trampoline_kernelINS0_14default_configENS1_36segmented_radix_sort_config_selectorIdlEEZNS1_25segmented_radix_sort_implIS3_Lb0EPKdPdPKlPlN2at6native12_GLOBAL__N_18offset_tEEE10hipError_tPvRmT1_PNSt15iterator_traitsISK_E10value_typeET2_T3_PNSL_ISQ_E10value_typeET4_jRbjT5_SW_jjP12ihipStream_tbEUlT_E2_NS1_11comp_targetILNS1_3genE10ELNS1_11target_archE1201ELNS1_3gpuE5ELNS1_3repE0EEENS1_30default_config_static_selectorELNS0_4arch9wavefront6targetE1EEEvSK_,@function
_ZN7rocprim17ROCPRIM_400000_NS6detail17trampoline_kernelINS0_14default_configENS1_36segmented_radix_sort_config_selectorIdlEEZNS1_25segmented_radix_sort_implIS3_Lb0EPKdPdPKlPlN2at6native12_GLOBAL__N_18offset_tEEE10hipError_tPvRmT1_PNSt15iterator_traitsISK_E10value_typeET2_T3_PNSL_ISQ_E10value_typeET4_jRbjT5_SW_jjP12ihipStream_tbEUlT_E2_NS1_11comp_targetILNS1_3genE10ELNS1_11target_archE1201ELNS1_3gpuE5ELNS1_3repE0EEENS1_30default_config_static_selectorELNS0_4arch9wavefront6targetE1EEEvSK_: ; @_ZN7rocprim17ROCPRIM_400000_NS6detail17trampoline_kernelINS0_14default_configENS1_36segmented_radix_sort_config_selectorIdlEEZNS1_25segmented_radix_sort_implIS3_Lb0EPKdPdPKlPlN2at6native12_GLOBAL__N_18offset_tEEE10hipError_tPvRmT1_PNSt15iterator_traitsISK_E10value_typeET2_T3_PNSL_ISQ_E10value_typeET4_jRbjT5_SW_jjP12ihipStream_tbEUlT_E2_NS1_11comp_targetILNS1_3genE10ELNS1_11target_archE1201ELNS1_3gpuE5ELNS1_3repE0EEENS1_30default_config_static_selectorELNS0_4arch9wavefront6targetE1EEEvSK_
; %bb.0:
	.section	.rodata,"a",@progbits
	.p2align	6, 0x0
	.amdhsa_kernel _ZN7rocprim17ROCPRIM_400000_NS6detail17trampoline_kernelINS0_14default_configENS1_36segmented_radix_sort_config_selectorIdlEEZNS1_25segmented_radix_sort_implIS3_Lb0EPKdPdPKlPlN2at6native12_GLOBAL__N_18offset_tEEE10hipError_tPvRmT1_PNSt15iterator_traitsISK_E10value_typeET2_T3_PNSL_ISQ_E10value_typeET4_jRbjT5_SW_jjP12ihipStream_tbEUlT_E2_NS1_11comp_targetILNS1_3genE10ELNS1_11target_archE1201ELNS1_3gpuE5ELNS1_3repE0EEENS1_30default_config_static_selectorELNS0_4arch9wavefront6targetE1EEEvSK_
		.amdhsa_group_segment_fixed_size 0
		.amdhsa_private_segment_fixed_size 0
		.amdhsa_kernarg_size 80
		.amdhsa_user_sgpr_count 6
		.amdhsa_user_sgpr_private_segment_buffer 1
		.amdhsa_user_sgpr_dispatch_ptr 0
		.amdhsa_user_sgpr_queue_ptr 0
		.amdhsa_user_sgpr_kernarg_segment_ptr 1
		.amdhsa_user_sgpr_dispatch_id 0
		.amdhsa_user_sgpr_flat_scratch_init 0
		.amdhsa_user_sgpr_kernarg_preload_length 0
		.amdhsa_user_sgpr_kernarg_preload_offset 0
		.amdhsa_user_sgpr_private_segment_size 0
		.amdhsa_uses_dynamic_stack 0
		.amdhsa_system_sgpr_private_segment_wavefront_offset 0
		.amdhsa_system_sgpr_workgroup_id_x 1
		.amdhsa_system_sgpr_workgroup_id_y 0
		.amdhsa_system_sgpr_workgroup_id_z 0
		.amdhsa_system_sgpr_workgroup_info 0
		.amdhsa_system_vgpr_workitem_id 0
		.amdhsa_next_free_vgpr 1
		.amdhsa_next_free_sgpr 0
		.amdhsa_accum_offset 4
		.amdhsa_reserve_vcc 0
		.amdhsa_reserve_flat_scratch 0
		.amdhsa_float_round_mode_32 0
		.amdhsa_float_round_mode_16_64 0
		.amdhsa_float_denorm_mode_32 3
		.amdhsa_float_denorm_mode_16_64 3
		.amdhsa_dx10_clamp 1
		.amdhsa_ieee_mode 1
		.amdhsa_fp16_overflow 0
		.amdhsa_tg_split 0
		.amdhsa_exception_fp_ieee_invalid_op 0
		.amdhsa_exception_fp_denorm_src 0
		.amdhsa_exception_fp_ieee_div_zero 0
		.amdhsa_exception_fp_ieee_overflow 0
		.amdhsa_exception_fp_ieee_underflow 0
		.amdhsa_exception_fp_ieee_inexact 0
		.amdhsa_exception_int_div_zero 0
	.end_amdhsa_kernel
	.section	.text._ZN7rocprim17ROCPRIM_400000_NS6detail17trampoline_kernelINS0_14default_configENS1_36segmented_radix_sort_config_selectorIdlEEZNS1_25segmented_radix_sort_implIS3_Lb0EPKdPdPKlPlN2at6native12_GLOBAL__N_18offset_tEEE10hipError_tPvRmT1_PNSt15iterator_traitsISK_E10value_typeET2_T3_PNSL_ISQ_E10value_typeET4_jRbjT5_SW_jjP12ihipStream_tbEUlT_E2_NS1_11comp_targetILNS1_3genE10ELNS1_11target_archE1201ELNS1_3gpuE5ELNS1_3repE0EEENS1_30default_config_static_selectorELNS0_4arch9wavefront6targetE1EEEvSK_,"axG",@progbits,_ZN7rocprim17ROCPRIM_400000_NS6detail17trampoline_kernelINS0_14default_configENS1_36segmented_radix_sort_config_selectorIdlEEZNS1_25segmented_radix_sort_implIS3_Lb0EPKdPdPKlPlN2at6native12_GLOBAL__N_18offset_tEEE10hipError_tPvRmT1_PNSt15iterator_traitsISK_E10value_typeET2_T3_PNSL_ISQ_E10value_typeET4_jRbjT5_SW_jjP12ihipStream_tbEUlT_E2_NS1_11comp_targetILNS1_3genE10ELNS1_11target_archE1201ELNS1_3gpuE5ELNS1_3repE0EEENS1_30default_config_static_selectorELNS0_4arch9wavefront6targetE1EEEvSK_,comdat
.Lfunc_end1254:
	.size	_ZN7rocprim17ROCPRIM_400000_NS6detail17trampoline_kernelINS0_14default_configENS1_36segmented_radix_sort_config_selectorIdlEEZNS1_25segmented_radix_sort_implIS3_Lb0EPKdPdPKlPlN2at6native12_GLOBAL__N_18offset_tEEE10hipError_tPvRmT1_PNSt15iterator_traitsISK_E10value_typeET2_T3_PNSL_ISQ_E10value_typeET4_jRbjT5_SW_jjP12ihipStream_tbEUlT_E2_NS1_11comp_targetILNS1_3genE10ELNS1_11target_archE1201ELNS1_3gpuE5ELNS1_3repE0EEENS1_30default_config_static_selectorELNS0_4arch9wavefront6targetE1EEEvSK_, .Lfunc_end1254-_ZN7rocprim17ROCPRIM_400000_NS6detail17trampoline_kernelINS0_14default_configENS1_36segmented_radix_sort_config_selectorIdlEEZNS1_25segmented_radix_sort_implIS3_Lb0EPKdPdPKlPlN2at6native12_GLOBAL__N_18offset_tEEE10hipError_tPvRmT1_PNSt15iterator_traitsISK_E10value_typeET2_T3_PNSL_ISQ_E10value_typeET4_jRbjT5_SW_jjP12ihipStream_tbEUlT_E2_NS1_11comp_targetILNS1_3genE10ELNS1_11target_archE1201ELNS1_3gpuE5ELNS1_3repE0EEENS1_30default_config_static_selectorELNS0_4arch9wavefront6targetE1EEEvSK_
                                        ; -- End function
	.section	.AMDGPU.csdata,"",@progbits
; Kernel info:
; codeLenInByte = 0
; NumSgprs: 4
; NumVgprs: 0
; NumAgprs: 0
; TotalNumVgprs: 0
; ScratchSize: 0
; MemoryBound: 0
; FloatMode: 240
; IeeeMode: 1
; LDSByteSize: 0 bytes/workgroup (compile time only)
; SGPRBlocks: 0
; VGPRBlocks: 0
; NumSGPRsForWavesPerEU: 4
; NumVGPRsForWavesPerEU: 1
; AccumOffset: 4
; Occupancy: 8
; WaveLimiterHint : 0
; COMPUTE_PGM_RSRC2:SCRATCH_EN: 0
; COMPUTE_PGM_RSRC2:USER_SGPR: 6
; COMPUTE_PGM_RSRC2:TRAP_HANDLER: 0
; COMPUTE_PGM_RSRC2:TGID_X_EN: 1
; COMPUTE_PGM_RSRC2:TGID_Y_EN: 0
; COMPUTE_PGM_RSRC2:TGID_Z_EN: 0
; COMPUTE_PGM_RSRC2:TIDIG_COMP_CNT: 0
; COMPUTE_PGM_RSRC3_GFX90A:ACCUM_OFFSET: 0
; COMPUTE_PGM_RSRC3_GFX90A:TG_SPLIT: 0
	.section	.text._ZN7rocprim17ROCPRIM_400000_NS6detail17trampoline_kernelINS0_14default_configENS1_36segmented_radix_sort_config_selectorIdlEEZNS1_25segmented_radix_sort_implIS3_Lb0EPKdPdPKlPlN2at6native12_GLOBAL__N_18offset_tEEE10hipError_tPvRmT1_PNSt15iterator_traitsISK_E10value_typeET2_T3_PNSL_ISQ_E10value_typeET4_jRbjT5_SW_jjP12ihipStream_tbEUlT_E2_NS1_11comp_targetILNS1_3genE10ELNS1_11target_archE1200ELNS1_3gpuE4ELNS1_3repE0EEENS1_30default_config_static_selectorELNS0_4arch9wavefront6targetE1EEEvSK_,"axG",@progbits,_ZN7rocprim17ROCPRIM_400000_NS6detail17trampoline_kernelINS0_14default_configENS1_36segmented_radix_sort_config_selectorIdlEEZNS1_25segmented_radix_sort_implIS3_Lb0EPKdPdPKlPlN2at6native12_GLOBAL__N_18offset_tEEE10hipError_tPvRmT1_PNSt15iterator_traitsISK_E10value_typeET2_T3_PNSL_ISQ_E10value_typeET4_jRbjT5_SW_jjP12ihipStream_tbEUlT_E2_NS1_11comp_targetILNS1_3genE10ELNS1_11target_archE1200ELNS1_3gpuE4ELNS1_3repE0EEENS1_30default_config_static_selectorELNS0_4arch9wavefront6targetE1EEEvSK_,comdat
	.globl	_ZN7rocprim17ROCPRIM_400000_NS6detail17trampoline_kernelINS0_14default_configENS1_36segmented_radix_sort_config_selectorIdlEEZNS1_25segmented_radix_sort_implIS3_Lb0EPKdPdPKlPlN2at6native12_GLOBAL__N_18offset_tEEE10hipError_tPvRmT1_PNSt15iterator_traitsISK_E10value_typeET2_T3_PNSL_ISQ_E10value_typeET4_jRbjT5_SW_jjP12ihipStream_tbEUlT_E2_NS1_11comp_targetILNS1_3genE10ELNS1_11target_archE1200ELNS1_3gpuE4ELNS1_3repE0EEENS1_30default_config_static_selectorELNS0_4arch9wavefront6targetE1EEEvSK_ ; -- Begin function _ZN7rocprim17ROCPRIM_400000_NS6detail17trampoline_kernelINS0_14default_configENS1_36segmented_radix_sort_config_selectorIdlEEZNS1_25segmented_radix_sort_implIS3_Lb0EPKdPdPKlPlN2at6native12_GLOBAL__N_18offset_tEEE10hipError_tPvRmT1_PNSt15iterator_traitsISK_E10value_typeET2_T3_PNSL_ISQ_E10value_typeET4_jRbjT5_SW_jjP12ihipStream_tbEUlT_E2_NS1_11comp_targetILNS1_3genE10ELNS1_11target_archE1200ELNS1_3gpuE4ELNS1_3repE0EEENS1_30default_config_static_selectorELNS0_4arch9wavefront6targetE1EEEvSK_
	.p2align	8
	.type	_ZN7rocprim17ROCPRIM_400000_NS6detail17trampoline_kernelINS0_14default_configENS1_36segmented_radix_sort_config_selectorIdlEEZNS1_25segmented_radix_sort_implIS3_Lb0EPKdPdPKlPlN2at6native12_GLOBAL__N_18offset_tEEE10hipError_tPvRmT1_PNSt15iterator_traitsISK_E10value_typeET2_T3_PNSL_ISQ_E10value_typeET4_jRbjT5_SW_jjP12ihipStream_tbEUlT_E2_NS1_11comp_targetILNS1_3genE10ELNS1_11target_archE1200ELNS1_3gpuE4ELNS1_3repE0EEENS1_30default_config_static_selectorELNS0_4arch9wavefront6targetE1EEEvSK_,@function
_ZN7rocprim17ROCPRIM_400000_NS6detail17trampoline_kernelINS0_14default_configENS1_36segmented_radix_sort_config_selectorIdlEEZNS1_25segmented_radix_sort_implIS3_Lb0EPKdPdPKlPlN2at6native12_GLOBAL__N_18offset_tEEE10hipError_tPvRmT1_PNSt15iterator_traitsISK_E10value_typeET2_T3_PNSL_ISQ_E10value_typeET4_jRbjT5_SW_jjP12ihipStream_tbEUlT_E2_NS1_11comp_targetILNS1_3genE10ELNS1_11target_archE1200ELNS1_3gpuE4ELNS1_3repE0EEENS1_30default_config_static_selectorELNS0_4arch9wavefront6targetE1EEEvSK_: ; @_ZN7rocprim17ROCPRIM_400000_NS6detail17trampoline_kernelINS0_14default_configENS1_36segmented_radix_sort_config_selectorIdlEEZNS1_25segmented_radix_sort_implIS3_Lb0EPKdPdPKlPlN2at6native12_GLOBAL__N_18offset_tEEE10hipError_tPvRmT1_PNSt15iterator_traitsISK_E10value_typeET2_T3_PNSL_ISQ_E10value_typeET4_jRbjT5_SW_jjP12ihipStream_tbEUlT_E2_NS1_11comp_targetILNS1_3genE10ELNS1_11target_archE1200ELNS1_3gpuE4ELNS1_3repE0EEENS1_30default_config_static_selectorELNS0_4arch9wavefront6targetE1EEEvSK_
; %bb.0:
	.section	.rodata,"a",@progbits
	.p2align	6, 0x0
	.amdhsa_kernel _ZN7rocprim17ROCPRIM_400000_NS6detail17trampoline_kernelINS0_14default_configENS1_36segmented_radix_sort_config_selectorIdlEEZNS1_25segmented_radix_sort_implIS3_Lb0EPKdPdPKlPlN2at6native12_GLOBAL__N_18offset_tEEE10hipError_tPvRmT1_PNSt15iterator_traitsISK_E10value_typeET2_T3_PNSL_ISQ_E10value_typeET4_jRbjT5_SW_jjP12ihipStream_tbEUlT_E2_NS1_11comp_targetILNS1_3genE10ELNS1_11target_archE1200ELNS1_3gpuE4ELNS1_3repE0EEENS1_30default_config_static_selectorELNS0_4arch9wavefront6targetE1EEEvSK_
		.amdhsa_group_segment_fixed_size 0
		.amdhsa_private_segment_fixed_size 0
		.amdhsa_kernarg_size 80
		.amdhsa_user_sgpr_count 6
		.amdhsa_user_sgpr_private_segment_buffer 1
		.amdhsa_user_sgpr_dispatch_ptr 0
		.amdhsa_user_sgpr_queue_ptr 0
		.amdhsa_user_sgpr_kernarg_segment_ptr 1
		.amdhsa_user_sgpr_dispatch_id 0
		.amdhsa_user_sgpr_flat_scratch_init 0
		.amdhsa_user_sgpr_kernarg_preload_length 0
		.amdhsa_user_sgpr_kernarg_preload_offset 0
		.amdhsa_user_sgpr_private_segment_size 0
		.amdhsa_uses_dynamic_stack 0
		.amdhsa_system_sgpr_private_segment_wavefront_offset 0
		.amdhsa_system_sgpr_workgroup_id_x 1
		.amdhsa_system_sgpr_workgroup_id_y 0
		.amdhsa_system_sgpr_workgroup_id_z 0
		.amdhsa_system_sgpr_workgroup_info 0
		.amdhsa_system_vgpr_workitem_id 0
		.amdhsa_next_free_vgpr 1
		.amdhsa_next_free_sgpr 0
		.amdhsa_accum_offset 4
		.amdhsa_reserve_vcc 0
		.amdhsa_reserve_flat_scratch 0
		.amdhsa_float_round_mode_32 0
		.amdhsa_float_round_mode_16_64 0
		.amdhsa_float_denorm_mode_32 3
		.amdhsa_float_denorm_mode_16_64 3
		.amdhsa_dx10_clamp 1
		.amdhsa_ieee_mode 1
		.amdhsa_fp16_overflow 0
		.amdhsa_tg_split 0
		.amdhsa_exception_fp_ieee_invalid_op 0
		.amdhsa_exception_fp_denorm_src 0
		.amdhsa_exception_fp_ieee_div_zero 0
		.amdhsa_exception_fp_ieee_overflow 0
		.amdhsa_exception_fp_ieee_underflow 0
		.amdhsa_exception_fp_ieee_inexact 0
		.amdhsa_exception_int_div_zero 0
	.end_amdhsa_kernel
	.section	.text._ZN7rocprim17ROCPRIM_400000_NS6detail17trampoline_kernelINS0_14default_configENS1_36segmented_radix_sort_config_selectorIdlEEZNS1_25segmented_radix_sort_implIS3_Lb0EPKdPdPKlPlN2at6native12_GLOBAL__N_18offset_tEEE10hipError_tPvRmT1_PNSt15iterator_traitsISK_E10value_typeET2_T3_PNSL_ISQ_E10value_typeET4_jRbjT5_SW_jjP12ihipStream_tbEUlT_E2_NS1_11comp_targetILNS1_3genE10ELNS1_11target_archE1200ELNS1_3gpuE4ELNS1_3repE0EEENS1_30default_config_static_selectorELNS0_4arch9wavefront6targetE1EEEvSK_,"axG",@progbits,_ZN7rocprim17ROCPRIM_400000_NS6detail17trampoline_kernelINS0_14default_configENS1_36segmented_radix_sort_config_selectorIdlEEZNS1_25segmented_radix_sort_implIS3_Lb0EPKdPdPKlPlN2at6native12_GLOBAL__N_18offset_tEEE10hipError_tPvRmT1_PNSt15iterator_traitsISK_E10value_typeET2_T3_PNSL_ISQ_E10value_typeET4_jRbjT5_SW_jjP12ihipStream_tbEUlT_E2_NS1_11comp_targetILNS1_3genE10ELNS1_11target_archE1200ELNS1_3gpuE4ELNS1_3repE0EEENS1_30default_config_static_selectorELNS0_4arch9wavefront6targetE1EEEvSK_,comdat
.Lfunc_end1255:
	.size	_ZN7rocprim17ROCPRIM_400000_NS6detail17trampoline_kernelINS0_14default_configENS1_36segmented_radix_sort_config_selectorIdlEEZNS1_25segmented_radix_sort_implIS3_Lb0EPKdPdPKlPlN2at6native12_GLOBAL__N_18offset_tEEE10hipError_tPvRmT1_PNSt15iterator_traitsISK_E10value_typeET2_T3_PNSL_ISQ_E10value_typeET4_jRbjT5_SW_jjP12ihipStream_tbEUlT_E2_NS1_11comp_targetILNS1_3genE10ELNS1_11target_archE1200ELNS1_3gpuE4ELNS1_3repE0EEENS1_30default_config_static_selectorELNS0_4arch9wavefront6targetE1EEEvSK_, .Lfunc_end1255-_ZN7rocprim17ROCPRIM_400000_NS6detail17trampoline_kernelINS0_14default_configENS1_36segmented_radix_sort_config_selectorIdlEEZNS1_25segmented_radix_sort_implIS3_Lb0EPKdPdPKlPlN2at6native12_GLOBAL__N_18offset_tEEE10hipError_tPvRmT1_PNSt15iterator_traitsISK_E10value_typeET2_T3_PNSL_ISQ_E10value_typeET4_jRbjT5_SW_jjP12ihipStream_tbEUlT_E2_NS1_11comp_targetILNS1_3genE10ELNS1_11target_archE1200ELNS1_3gpuE4ELNS1_3repE0EEENS1_30default_config_static_selectorELNS0_4arch9wavefront6targetE1EEEvSK_
                                        ; -- End function
	.section	.AMDGPU.csdata,"",@progbits
; Kernel info:
; codeLenInByte = 0
; NumSgprs: 4
; NumVgprs: 0
; NumAgprs: 0
; TotalNumVgprs: 0
; ScratchSize: 0
; MemoryBound: 0
; FloatMode: 240
; IeeeMode: 1
; LDSByteSize: 0 bytes/workgroup (compile time only)
; SGPRBlocks: 0
; VGPRBlocks: 0
; NumSGPRsForWavesPerEU: 4
; NumVGPRsForWavesPerEU: 1
; AccumOffset: 4
; Occupancy: 8
; WaveLimiterHint : 0
; COMPUTE_PGM_RSRC2:SCRATCH_EN: 0
; COMPUTE_PGM_RSRC2:USER_SGPR: 6
; COMPUTE_PGM_RSRC2:TRAP_HANDLER: 0
; COMPUTE_PGM_RSRC2:TGID_X_EN: 1
; COMPUTE_PGM_RSRC2:TGID_Y_EN: 0
; COMPUTE_PGM_RSRC2:TGID_Z_EN: 0
; COMPUTE_PGM_RSRC2:TIDIG_COMP_CNT: 0
; COMPUTE_PGM_RSRC3_GFX90A:ACCUM_OFFSET: 0
; COMPUTE_PGM_RSRC3_GFX90A:TG_SPLIT: 0
	.section	.text._ZN7rocprim17ROCPRIM_400000_NS6detail17trampoline_kernelINS0_14default_configENS1_36segmented_radix_sort_config_selectorIdlEEZNS1_25segmented_radix_sort_implIS3_Lb0EPKdPdPKlPlN2at6native12_GLOBAL__N_18offset_tEEE10hipError_tPvRmT1_PNSt15iterator_traitsISK_E10value_typeET2_T3_PNSL_ISQ_E10value_typeET4_jRbjT5_SW_jjP12ihipStream_tbEUlT_E2_NS1_11comp_targetILNS1_3genE9ELNS1_11target_archE1100ELNS1_3gpuE3ELNS1_3repE0EEENS1_30default_config_static_selectorELNS0_4arch9wavefront6targetE1EEEvSK_,"axG",@progbits,_ZN7rocprim17ROCPRIM_400000_NS6detail17trampoline_kernelINS0_14default_configENS1_36segmented_radix_sort_config_selectorIdlEEZNS1_25segmented_radix_sort_implIS3_Lb0EPKdPdPKlPlN2at6native12_GLOBAL__N_18offset_tEEE10hipError_tPvRmT1_PNSt15iterator_traitsISK_E10value_typeET2_T3_PNSL_ISQ_E10value_typeET4_jRbjT5_SW_jjP12ihipStream_tbEUlT_E2_NS1_11comp_targetILNS1_3genE9ELNS1_11target_archE1100ELNS1_3gpuE3ELNS1_3repE0EEENS1_30default_config_static_selectorELNS0_4arch9wavefront6targetE1EEEvSK_,comdat
	.globl	_ZN7rocprim17ROCPRIM_400000_NS6detail17trampoline_kernelINS0_14default_configENS1_36segmented_radix_sort_config_selectorIdlEEZNS1_25segmented_radix_sort_implIS3_Lb0EPKdPdPKlPlN2at6native12_GLOBAL__N_18offset_tEEE10hipError_tPvRmT1_PNSt15iterator_traitsISK_E10value_typeET2_T3_PNSL_ISQ_E10value_typeET4_jRbjT5_SW_jjP12ihipStream_tbEUlT_E2_NS1_11comp_targetILNS1_3genE9ELNS1_11target_archE1100ELNS1_3gpuE3ELNS1_3repE0EEENS1_30default_config_static_selectorELNS0_4arch9wavefront6targetE1EEEvSK_ ; -- Begin function _ZN7rocprim17ROCPRIM_400000_NS6detail17trampoline_kernelINS0_14default_configENS1_36segmented_radix_sort_config_selectorIdlEEZNS1_25segmented_radix_sort_implIS3_Lb0EPKdPdPKlPlN2at6native12_GLOBAL__N_18offset_tEEE10hipError_tPvRmT1_PNSt15iterator_traitsISK_E10value_typeET2_T3_PNSL_ISQ_E10value_typeET4_jRbjT5_SW_jjP12ihipStream_tbEUlT_E2_NS1_11comp_targetILNS1_3genE9ELNS1_11target_archE1100ELNS1_3gpuE3ELNS1_3repE0EEENS1_30default_config_static_selectorELNS0_4arch9wavefront6targetE1EEEvSK_
	.p2align	8
	.type	_ZN7rocprim17ROCPRIM_400000_NS6detail17trampoline_kernelINS0_14default_configENS1_36segmented_radix_sort_config_selectorIdlEEZNS1_25segmented_radix_sort_implIS3_Lb0EPKdPdPKlPlN2at6native12_GLOBAL__N_18offset_tEEE10hipError_tPvRmT1_PNSt15iterator_traitsISK_E10value_typeET2_T3_PNSL_ISQ_E10value_typeET4_jRbjT5_SW_jjP12ihipStream_tbEUlT_E2_NS1_11comp_targetILNS1_3genE9ELNS1_11target_archE1100ELNS1_3gpuE3ELNS1_3repE0EEENS1_30default_config_static_selectorELNS0_4arch9wavefront6targetE1EEEvSK_,@function
_ZN7rocprim17ROCPRIM_400000_NS6detail17trampoline_kernelINS0_14default_configENS1_36segmented_radix_sort_config_selectorIdlEEZNS1_25segmented_radix_sort_implIS3_Lb0EPKdPdPKlPlN2at6native12_GLOBAL__N_18offset_tEEE10hipError_tPvRmT1_PNSt15iterator_traitsISK_E10value_typeET2_T3_PNSL_ISQ_E10value_typeET4_jRbjT5_SW_jjP12ihipStream_tbEUlT_E2_NS1_11comp_targetILNS1_3genE9ELNS1_11target_archE1100ELNS1_3gpuE3ELNS1_3repE0EEENS1_30default_config_static_selectorELNS0_4arch9wavefront6targetE1EEEvSK_: ; @_ZN7rocprim17ROCPRIM_400000_NS6detail17trampoline_kernelINS0_14default_configENS1_36segmented_radix_sort_config_selectorIdlEEZNS1_25segmented_radix_sort_implIS3_Lb0EPKdPdPKlPlN2at6native12_GLOBAL__N_18offset_tEEE10hipError_tPvRmT1_PNSt15iterator_traitsISK_E10value_typeET2_T3_PNSL_ISQ_E10value_typeET4_jRbjT5_SW_jjP12ihipStream_tbEUlT_E2_NS1_11comp_targetILNS1_3genE9ELNS1_11target_archE1100ELNS1_3gpuE3ELNS1_3repE0EEENS1_30default_config_static_selectorELNS0_4arch9wavefront6targetE1EEEvSK_
; %bb.0:
	.section	.rodata,"a",@progbits
	.p2align	6, 0x0
	.amdhsa_kernel _ZN7rocprim17ROCPRIM_400000_NS6detail17trampoline_kernelINS0_14default_configENS1_36segmented_radix_sort_config_selectorIdlEEZNS1_25segmented_radix_sort_implIS3_Lb0EPKdPdPKlPlN2at6native12_GLOBAL__N_18offset_tEEE10hipError_tPvRmT1_PNSt15iterator_traitsISK_E10value_typeET2_T3_PNSL_ISQ_E10value_typeET4_jRbjT5_SW_jjP12ihipStream_tbEUlT_E2_NS1_11comp_targetILNS1_3genE9ELNS1_11target_archE1100ELNS1_3gpuE3ELNS1_3repE0EEENS1_30default_config_static_selectorELNS0_4arch9wavefront6targetE1EEEvSK_
		.amdhsa_group_segment_fixed_size 0
		.amdhsa_private_segment_fixed_size 0
		.amdhsa_kernarg_size 80
		.amdhsa_user_sgpr_count 6
		.amdhsa_user_sgpr_private_segment_buffer 1
		.amdhsa_user_sgpr_dispatch_ptr 0
		.amdhsa_user_sgpr_queue_ptr 0
		.amdhsa_user_sgpr_kernarg_segment_ptr 1
		.amdhsa_user_sgpr_dispatch_id 0
		.amdhsa_user_sgpr_flat_scratch_init 0
		.amdhsa_user_sgpr_kernarg_preload_length 0
		.amdhsa_user_sgpr_kernarg_preload_offset 0
		.amdhsa_user_sgpr_private_segment_size 0
		.amdhsa_uses_dynamic_stack 0
		.amdhsa_system_sgpr_private_segment_wavefront_offset 0
		.amdhsa_system_sgpr_workgroup_id_x 1
		.amdhsa_system_sgpr_workgroup_id_y 0
		.amdhsa_system_sgpr_workgroup_id_z 0
		.amdhsa_system_sgpr_workgroup_info 0
		.amdhsa_system_vgpr_workitem_id 0
		.amdhsa_next_free_vgpr 1
		.amdhsa_next_free_sgpr 0
		.amdhsa_accum_offset 4
		.amdhsa_reserve_vcc 0
		.amdhsa_reserve_flat_scratch 0
		.amdhsa_float_round_mode_32 0
		.amdhsa_float_round_mode_16_64 0
		.amdhsa_float_denorm_mode_32 3
		.amdhsa_float_denorm_mode_16_64 3
		.amdhsa_dx10_clamp 1
		.amdhsa_ieee_mode 1
		.amdhsa_fp16_overflow 0
		.amdhsa_tg_split 0
		.amdhsa_exception_fp_ieee_invalid_op 0
		.amdhsa_exception_fp_denorm_src 0
		.amdhsa_exception_fp_ieee_div_zero 0
		.amdhsa_exception_fp_ieee_overflow 0
		.amdhsa_exception_fp_ieee_underflow 0
		.amdhsa_exception_fp_ieee_inexact 0
		.amdhsa_exception_int_div_zero 0
	.end_amdhsa_kernel
	.section	.text._ZN7rocprim17ROCPRIM_400000_NS6detail17trampoline_kernelINS0_14default_configENS1_36segmented_radix_sort_config_selectorIdlEEZNS1_25segmented_radix_sort_implIS3_Lb0EPKdPdPKlPlN2at6native12_GLOBAL__N_18offset_tEEE10hipError_tPvRmT1_PNSt15iterator_traitsISK_E10value_typeET2_T3_PNSL_ISQ_E10value_typeET4_jRbjT5_SW_jjP12ihipStream_tbEUlT_E2_NS1_11comp_targetILNS1_3genE9ELNS1_11target_archE1100ELNS1_3gpuE3ELNS1_3repE0EEENS1_30default_config_static_selectorELNS0_4arch9wavefront6targetE1EEEvSK_,"axG",@progbits,_ZN7rocprim17ROCPRIM_400000_NS6detail17trampoline_kernelINS0_14default_configENS1_36segmented_radix_sort_config_selectorIdlEEZNS1_25segmented_radix_sort_implIS3_Lb0EPKdPdPKlPlN2at6native12_GLOBAL__N_18offset_tEEE10hipError_tPvRmT1_PNSt15iterator_traitsISK_E10value_typeET2_T3_PNSL_ISQ_E10value_typeET4_jRbjT5_SW_jjP12ihipStream_tbEUlT_E2_NS1_11comp_targetILNS1_3genE9ELNS1_11target_archE1100ELNS1_3gpuE3ELNS1_3repE0EEENS1_30default_config_static_selectorELNS0_4arch9wavefront6targetE1EEEvSK_,comdat
.Lfunc_end1256:
	.size	_ZN7rocprim17ROCPRIM_400000_NS6detail17trampoline_kernelINS0_14default_configENS1_36segmented_radix_sort_config_selectorIdlEEZNS1_25segmented_radix_sort_implIS3_Lb0EPKdPdPKlPlN2at6native12_GLOBAL__N_18offset_tEEE10hipError_tPvRmT1_PNSt15iterator_traitsISK_E10value_typeET2_T3_PNSL_ISQ_E10value_typeET4_jRbjT5_SW_jjP12ihipStream_tbEUlT_E2_NS1_11comp_targetILNS1_3genE9ELNS1_11target_archE1100ELNS1_3gpuE3ELNS1_3repE0EEENS1_30default_config_static_selectorELNS0_4arch9wavefront6targetE1EEEvSK_, .Lfunc_end1256-_ZN7rocprim17ROCPRIM_400000_NS6detail17trampoline_kernelINS0_14default_configENS1_36segmented_radix_sort_config_selectorIdlEEZNS1_25segmented_radix_sort_implIS3_Lb0EPKdPdPKlPlN2at6native12_GLOBAL__N_18offset_tEEE10hipError_tPvRmT1_PNSt15iterator_traitsISK_E10value_typeET2_T3_PNSL_ISQ_E10value_typeET4_jRbjT5_SW_jjP12ihipStream_tbEUlT_E2_NS1_11comp_targetILNS1_3genE9ELNS1_11target_archE1100ELNS1_3gpuE3ELNS1_3repE0EEENS1_30default_config_static_selectorELNS0_4arch9wavefront6targetE1EEEvSK_
                                        ; -- End function
	.section	.AMDGPU.csdata,"",@progbits
; Kernel info:
; codeLenInByte = 0
; NumSgprs: 4
; NumVgprs: 0
; NumAgprs: 0
; TotalNumVgprs: 0
; ScratchSize: 0
; MemoryBound: 0
; FloatMode: 240
; IeeeMode: 1
; LDSByteSize: 0 bytes/workgroup (compile time only)
; SGPRBlocks: 0
; VGPRBlocks: 0
; NumSGPRsForWavesPerEU: 4
; NumVGPRsForWavesPerEU: 1
; AccumOffset: 4
; Occupancy: 8
; WaveLimiterHint : 0
; COMPUTE_PGM_RSRC2:SCRATCH_EN: 0
; COMPUTE_PGM_RSRC2:USER_SGPR: 6
; COMPUTE_PGM_RSRC2:TRAP_HANDLER: 0
; COMPUTE_PGM_RSRC2:TGID_X_EN: 1
; COMPUTE_PGM_RSRC2:TGID_Y_EN: 0
; COMPUTE_PGM_RSRC2:TGID_Z_EN: 0
; COMPUTE_PGM_RSRC2:TIDIG_COMP_CNT: 0
; COMPUTE_PGM_RSRC3_GFX90A:ACCUM_OFFSET: 0
; COMPUTE_PGM_RSRC3_GFX90A:TG_SPLIT: 0
	.section	.text._ZN7rocprim17ROCPRIM_400000_NS6detail17trampoline_kernelINS0_14default_configENS1_36segmented_radix_sort_config_selectorIdlEEZNS1_25segmented_radix_sort_implIS3_Lb0EPKdPdPKlPlN2at6native12_GLOBAL__N_18offset_tEEE10hipError_tPvRmT1_PNSt15iterator_traitsISK_E10value_typeET2_T3_PNSL_ISQ_E10value_typeET4_jRbjT5_SW_jjP12ihipStream_tbEUlT_E2_NS1_11comp_targetILNS1_3genE8ELNS1_11target_archE1030ELNS1_3gpuE2ELNS1_3repE0EEENS1_30default_config_static_selectorELNS0_4arch9wavefront6targetE1EEEvSK_,"axG",@progbits,_ZN7rocprim17ROCPRIM_400000_NS6detail17trampoline_kernelINS0_14default_configENS1_36segmented_radix_sort_config_selectorIdlEEZNS1_25segmented_radix_sort_implIS3_Lb0EPKdPdPKlPlN2at6native12_GLOBAL__N_18offset_tEEE10hipError_tPvRmT1_PNSt15iterator_traitsISK_E10value_typeET2_T3_PNSL_ISQ_E10value_typeET4_jRbjT5_SW_jjP12ihipStream_tbEUlT_E2_NS1_11comp_targetILNS1_3genE8ELNS1_11target_archE1030ELNS1_3gpuE2ELNS1_3repE0EEENS1_30default_config_static_selectorELNS0_4arch9wavefront6targetE1EEEvSK_,comdat
	.globl	_ZN7rocprim17ROCPRIM_400000_NS6detail17trampoline_kernelINS0_14default_configENS1_36segmented_radix_sort_config_selectorIdlEEZNS1_25segmented_radix_sort_implIS3_Lb0EPKdPdPKlPlN2at6native12_GLOBAL__N_18offset_tEEE10hipError_tPvRmT1_PNSt15iterator_traitsISK_E10value_typeET2_T3_PNSL_ISQ_E10value_typeET4_jRbjT5_SW_jjP12ihipStream_tbEUlT_E2_NS1_11comp_targetILNS1_3genE8ELNS1_11target_archE1030ELNS1_3gpuE2ELNS1_3repE0EEENS1_30default_config_static_selectorELNS0_4arch9wavefront6targetE1EEEvSK_ ; -- Begin function _ZN7rocprim17ROCPRIM_400000_NS6detail17trampoline_kernelINS0_14default_configENS1_36segmented_radix_sort_config_selectorIdlEEZNS1_25segmented_radix_sort_implIS3_Lb0EPKdPdPKlPlN2at6native12_GLOBAL__N_18offset_tEEE10hipError_tPvRmT1_PNSt15iterator_traitsISK_E10value_typeET2_T3_PNSL_ISQ_E10value_typeET4_jRbjT5_SW_jjP12ihipStream_tbEUlT_E2_NS1_11comp_targetILNS1_3genE8ELNS1_11target_archE1030ELNS1_3gpuE2ELNS1_3repE0EEENS1_30default_config_static_selectorELNS0_4arch9wavefront6targetE1EEEvSK_
	.p2align	8
	.type	_ZN7rocprim17ROCPRIM_400000_NS6detail17trampoline_kernelINS0_14default_configENS1_36segmented_radix_sort_config_selectorIdlEEZNS1_25segmented_radix_sort_implIS3_Lb0EPKdPdPKlPlN2at6native12_GLOBAL__N_18offset_tEEE10hipError_tPvRmT1_PNSt15iterator_traitsISK_E10value_typeET2_T3_PNSL_ISQ_E10value_typeET4_jRbjT5_SW_jjP12ihipStream_tbEUlT_E2_NS1_11comp_targetILNS1_3genE8ELNS1_11target_archE1030ELNS1_3gpuE2ELNS1_3repE0EEENS1_30default_config_static_selectorELNS0_4arch9wavefront6targetE1EEEvSK_,@function
_ZN7rocprim17ROCPRIM_400000_NS6detail17trampoline_kernelINS0_14default_configENS1_36segmented_radix_sort_config_selectorIdlEEZNS1_25segmented_radix_sort_implIS3_Lb0EPKdPdPKlPlN2at6native12_GLOBAL__N_18offset_tEEE10hipError_tPvRmT1_PNSt15iterator_traitsISK_E10value_typeET2_T3_PNSL_ISQ_E10value_typeET4_jRbjT5_SW_jjP12ihipStream_tbEUlT_E2_NS1_11comp_targetILNS1_3genE8ELNS1_11target_archE1030ELNS1_3gpuE2ELNS1_3repE0EEENS1_30default_config_static_selectorELNS0_4arch9wavefront6targetE1EEEvSK_: ; @_ZN7rocprim17ROCPRIM_400000_NS6detail17trampoline_kernelINS0_14default_configENS1_36segmented_radix_sort_config_selectorIdlEEZNS1_25segmented_radix_sort_implIS3_Lb0EPKdPdPKlPlN2at6native12_GLOBAL__N_18offset_tEEE10hipError_tPvRmT1_PNSt15iterator_traitsISK_E10value_typeET2_T3_PNSL_ISQ_E10value_typeET4_jRbjT5_SW_jjP12ihipStream_tbEUlT_E2_NS1_11comp_targetILNS1_3genE8ELNS1_11target_archE1030ELNS1_3gpuE2ELNS1_3repE0EEENS1_30default_config_static_selectorELNS0_4arch9wavefront6targetE1EEEvSK_
; %bb.0:
	.section	.rodata,"a",@progbits
	.p2align	6, 0x0
	.amdhsa_kernel _ZN7rocprim17ROCPRIM_400000_NS6detail17trampoline_kernelINS0_14default_configENS1_36segmented_radix_sort_config_selectorIdlEEZNS1_25segmented_radix_sort_implIS3_Lb0EPKdPdPKlPlN2at6native12_GLOBAL__N_18offset_tEEE10hipError_tPvRmT1_PNSt15iterator_traitsISK_E10value_typeET2_T3_PNSL_ISQ_E10value_typeET4_jRbjT5_SW_jjP12ihipStream_tbEUlT_E2_NS1_11comp_targetILNS1_3genE8ELNS1_11target_archE1030ELNS1_3gpuE2ELNS1_3repE0EEENS1_30default_config_static_selectorELNS0_4arch9wavefront6targetE1EEEvSK_
		.amdhsa_group_segment_fixed_size 0
		.amdhsa_private_segment_fixed_size 0
		.amdhsa_kernarg_size 80
		.amdhsa_user_sgpr_count 6
		.amdhsa_user_sgpr_private_segment_buffer 1
		.amdhsa_user_sgpr_dispatch_ptr 0
		.amdhsa_user_sgpr_queue_ptr 0
		.amdhsa_user_sgpr_kernarg_segment_ptr 1
		.amdhsa_user_sgpr_dispatch_id 0
		.amdhsa_user_sgpr_flat_scratch_init 0
		.amdhsa_user_sgpr_kernarg_preload_length 0
		.amdhsa_user_sgpr_kernarg_preload_offset 0
		.amdhsa_user_sgpr_private_segment_size 0
		.amdhsa_uses_dynamic_stack 0
		.amdhsa_system_sgpr_private_segment_wavefront_offset 0
		.amdhsa_system_sgpr_workgroup_id_x 1
		.amdhsa_system_sgpr_workgroup_id_y 0
		.amdhsa_system_sgpr_workgroup_id_z 0
		.amdhsa_system_sgpr_workgroup_info 0
		.amdhsa_system_vgpr_workitem_id 0
		.amdhsa_next_free_vgpr 1
		.amdhsa_next_free_sgpr 0
		.amdhsa_accum_offset 4
		.amdhsa_reserve_vcc 0
		.amdhsa_reserve_flat_scratch 0
		.amdhsa_float_round_mode_32 0
		.amdhsa_float_round_mode_16_64 0
		.amdhsa_float_denorm_mode_32 3
		.amdhsa_float_denorm_mode_16_64 3
		.amdhsa_dx10_clamp 1
		.amdhsa_ieee_mode 1
		.amdhsa_fp16_overflow 0
		.amdhsa_tg_split 0
		.amdhsa_exception_fp_ieee_invalid_op 0
		.amdhsa_exception_fp_denorm_src 0
		.amdhsa_exception_fp_ieee_div_zero 0
		.amdhsa_exception_fp_ieee_overflow 0
		.amdhsa_exception_fp_ieee_underflow 0
		.amdhsa_exception_fp_ieee_inexact 0
		.amdhsa_exception_int_div_zero 0
	.end_amdhsa_kernel
	.section	.text._ZN7rocprim17ROCPRIM_400000_NS6detail17trampoline_kernelINS0_14default_configENS1_36segmented_radix_sort_config_selectorIdlEEZNS1_25segmented_radix_sort_implIS3_Lb0EPKdPdPKlPlN2at6native12_GLOBAL__N_18offset_tEEE10hipError_tPvRmT1_PNSt15iterator_traitsISK_E10value_typeET2_T3_PNSL_ISQ_E10value_typeET4_jRbjT5_SW_jjP12ihipStream_tbEUlT_E2_NS1_11comp_targetILNS1_3genE8ELNS1_11target_archE1030ELNS1_3gpuE2ELNS1_3repE0EEENS1_30default_config_static_selectorELNS0_4arch9wavefront6targetE1EEEvSK_,"axG",@progbits,_ZN7rocprim17ROCPRIM_400000_NS6detail17trampoline_kernelINS0_14default_configENS1_36segmented_radix_sort_config_selectorIdlEEZNS1_25segmented_radix_sort_implIS3_Lb0EPKdPdPKlPlN2at6native12_GLOBAL__N_18offset_tEEE10hipError_tPvRmT1_PNSt15iterator_traitsISK_E10value_typeET2_T3_PNSL_ISQ_E10value_typeET4_jRbjT5_SW_jjP12ihipStream_tbEUlT_E2_NS1_11comp_targetILNS1_3genE8ELNS1_11target_archE1030ELNS1_3gpuE2ELNS1_3repE0EEENS1_30default_config_static_selectorELNS0_4arch9wavefront6targetE1EEEvSK_,comdat
.Lfunc_end1257:
	.size	_ZN7rocprim17ROCPRIM_400000_NS6detail17trampoline_kernelINS0_14default_configENS1_36segmented_radix_sort_config_selectorIdlEEZNS1_25segmented_radix_sort_implIS3_Lb0EPKdPdPKlPlN2at6native12_GLOBAL__N_18offset_tEEE10hipError_tPvRmT1_PNSt15iterator_traitsISK_E10value_typeET2_T3_PNSL_ISQ_E10value_typeET4_jRbjT5_SW_jjP12ihipStream_tbEUlT_E2_NS1_11comp_targetILNS1_3genE8ELNS1_11target_archE1030ELNS1_3gpuE2ELNS1_3repE0EEENS1_30default_config_static_selectorELNS0_4arch9wavefront6targetE1EEEvSK_, .Lfunc_end1257-_ZN7rocprim17ROCPRIM_400000_NS6detail17trampoline_kernelINS0_14default_configENS1_36segmented_radix_sort_config_selectorIdlEEZNS1_25segmented_radix_sort_implIS3_Lb0EPKdPdPKlPlN2at6native12_GLOBAL__N_18offset_tEEE10hipError_tPvRmT1_PNSt15iterator_traitsISK_E10value_typeET2_T3_PNSL_ISQ_E10value_typeET4_jRbjT5_SW_jjP12ihipStream_tbEUlT_E2_NS1_11comp_targetILNS1_3genE8ELNS1_11target_archE1030ELNS1_3gpuE2ELNS1_3repE0EEENS1_30default_config_static_selectorELNS0_4arch9wavefront6targetE1EEEvSK_
                                        ; -- End function
	.section	.AMDGPU.csdata,"",@progbits
; Kernel info:
; codeLenInByte = 0
; NumSgprs: 4
; NumVgprs: 0
; NumAgprs: 0
; TotalNumVgprs: 0
; ScratchSize: 0
; MemoryBound: 0
; FloatMode: 240
; IeeeMode: 1
; LDSByteSize: 0 bytes/workgroup (compile time only)
; SGPRBlocks: 0
; VGPRBlocks: 0
; NumSGPRsForWavesPerEU: 4
; NumVGPRsForWavesPerEU: 1
; AccumOffset: 4
; Occupancy: 8
; WaveLimiterHint : 0
; COMPUTE_PGM_RSRC2:SCRATCH_EN: 0
; COMPUTE_PGM_RSRC2:USER_SGPR: 6
; COMPUTE_PGM_RSRC2:TRAP_HANDLER: 0
; COMPUTE_PGM_RSRC2:TGID_X_EN: 1
; COMPUTE_PGM_RSRC2:TGID_Y_EN: 0
; COMPUTE_PGM_RSRC2:TGID_Z_EN: 0
; COMPUTE_PGM_RSRC2:TIDIG_COMP_CNT: 0
; COMPUTE_PGM_RSRC3_GFX90A:ACCUM_OFFSET: 0
; COMPUTE_PGM_RSRC3_GFX90A:TG_SPLIT: 0
	.section	.text._ZN2at6native12_GLOBAL__N_123sort_postprocess_kernelIfEEvPKT_PS3_PlPK15HIP_vector_typeIiLj2EEii,"axG",@progbits,_ZN2at6native12_GLOBAL__N_123sort_postprocess_kernelIfEEvPKT_PS3_PlPK15HIP_vector_typeIiLj2EEii,comdat
	.globl	_ZN2at6native12_GLOBAL__N_123sort_postprocess_kernelIfEEvPKT_PS3_PlPK15HIP_vector_typeIiLj2EEii ; -- Begin function _ZN2at6native12_GLOBAL__N_123sort_postprocess_kernelIfEEvPKT_PS3_PlPK15HIP_vector_typeIiLj2EEii
	.p2align	8
	.type	_ZN2at6native12_GLOBAL__N_123sort_postprocess_kernelIfEEvPKT_PS3_PlPK15HIP_vector_typeIiLj2EEii,@function
_ZN2at6native12_GLOBAL__N_123sort_postprocess_kernelIfEEvPKT_PS3_PlPK15HIP_vector_typeIiLj2EEii: ; @_ZN2at6native12_GLOBAL__N_123sort_postprocess_kernelIfEEvPKT_PS3_PlPK15HIP_vector_typeIiLj2EEii
; %bb.0:
	s_load_dword s0, s[4:5], 0x34
	s_load_dwordx2 s[8:9], s[4:5], 0x20
	s_add_u32 s2, s4, 40
	s_addc_u32 s3, s5, 0
	v_mov_b32_e32 v1, 0
	s_waitcnt lgkmcnt(0)
	s_and_b32 s7, s0, 0xffff
	v_mov_b32_e32 v2, s6
	v_mad_u64_u32 v[0:1], s[0:1], s7, v2, v[0:1]
	s_mul_i32 s0, s9, s8
	s_ashr_i32 s1, s0, 31
	v_cmp_gt_i64_e32 vcc, s[0:1], v[0:1]
	s_and_saveexec_b64 s[10:11], vcc
	s_cbranch_execz .LBB1258_3
; %bb.1:
	s_abs_i32 s6, s9
	v_cvt_f32_u32_e32 v2, s6
	s_load_dwordx8 s[8:15], s[4:5], 0x0
	s_load_dword s16, s[2:3], 0x0
	s_sub_i32 s17, 0, s6
	s_mov_b32 s5, 0
	v_rcp_iflag_f32_e32 v2, v2
	s_mov_b64 s[2:3], 0
	s_waitcnt lgkmcnt(0)
	s_mul_i32 s4, s16, s7
	v_mov_b32_e32 v3, s11
	v_mul_f32_e32 v2, 0x4f7ffffe, v2
	v_cvt_u32_f32_e32 v5, v2
	v_mov_b32_e32 v2, s9
	v_mov_b32_e32 v4, s13
	;; [unrolled: 1-line block ×3, first 2 shown]
	v_mul_lo_u32 v6, s17, v5
	v_mul_hi_u32 v6, v5, v6
	v_add_u32_e32 v5, v5, v6
	v_mov_b32_e32 v6, s15
.LBB1258_2:                             ; =>This Inner Loop Header: Depth=1
	v_sub_u32_e32 v9, 0, v0
	v_max_i32_e32 v9, v0, v9
	v_mul_hi_u32 v11, v9, v5
	v_mul_lo_u32 v11, v11, s6
	v_sub_u32_e32 v9, v9, v11
	v_subrev_u32_e32 v11, s6, v9
	v_cmp_le_u32_e32 vcc, s6, v9
	v_cndmask_b32_e32 v9, v9, v11, vcc
	v_subrev_u32_e32 v11, s6, v9
	v_cmp_le_u32_e32 vcc, s6, v9
	v_ashrrev_i32_e32 v8, 31, v0
	v_cndmask_b32_e32 v9, v9, v11, vcc
	v_add_u32_e32 v10, v0, v8
	v_xor_b32_e32 v9, v9, v8
	v_sub_u32_e32 v10, v10, v9
	v_ashrrev_i32_e32 v11, 31, v10
	v_sub_u32_e32 v8, v9, v8
	v_lshlrev_b64 v[12:13], 3, v[10:11]
	v_ashrrev_i32_e32 v9, 31, v8
	v_add_co_u32_e32 v16, vcc, s14, v12
	v_lshlrev_b64 v[14:15], 3, v[8:9]
	v_addc_co_u32_e32 v17, vcc, v6, v13, vcc
	v_add_co_u32_e32 v16, vcc, v16, v14
	v_addc_co_u32_e32 v17, vcc, v17, v15, vcc
	global_load_dword v16, v[16:17], off offset:4
	v_lshlrev_b64 v[10:11], 2, v[10:11]
	v_add_co_u32_e32 v20, vcc, s8, v10
	v_addc_co_u32_e32 v21, vcc, v2, v11, vcc
	v_lshlrev_b64 v[8:9], 2, v[8:9]
	s_waitcnt vmcnt(0)
	v_ashrrev_i32_e32 v17, 31, v16
	v_lshlrev_b64 v[18:19], 2, v[16:17]
	v_add_co_u32_e32 v18, vcc, v20, v18
	v_addc_co_u32_e32 v19, vcc, v21, v19, vcc
	global_load_dword v18, v[18:19], off
	v_add_co_u32_e32 v0, vcc, s4, v0
	v_addc_co_u32_e32 v1, vcc, v1, v7, vcc
	v_cmp_le_i64_e32 vcc, s[0:1], v[0:1]
	s_or_b64 s[2:3], vcc, s[2:3]
	v_add_co_u32_e32 v19, vcc, s10, v10
	v_addc_co_u32_e32 v20, vcc, v3, v11, vcc
	v_add_co_u32_e32 v10, vcc, s12, v12
	v_addc_co_u32_e32 v11, vcc, v4, v13, vcc
	;; [unrolled: 2-line block ×4, first 2 shown]
	global_store_dwordx2 v[10:11], v[16:17], off
	s_waitcnt vmcnt(1)
	global_store_dword v[8:9], v18, off
	s_andn2_b64 exec, exec, s[2:3]
	s_cbranch_execnz .LBB1258_2
.LBB1258_3:
	s_endpgm
	.section	.rodata,"a",@progbits
	.p2align	6, 0x0
	.amdhsa_kernel _ZN2at6native12_GLOBAL__N_123sort_postprocess_kernelIfEEvPKT_PS3_PlPK15HIP_vector_typeIiLj2EEii
		.amdhsa_group_segment_fixed_size 0
		.amdhsa_private_segment_fixed_size 0
		.amdhsa_kernarg_size 296
		.amdhsa_user_sgpr_count 6
		.amdhsa_user_sgpr_private_segment_buffer 1
		.amdhsa_user_sgpr_dispatch_ptr 0
		.amdhsa_user_sgpr_queue_ptr 0
		.amdhsa_user_sgpr_kernarg_segment_ptr 1
		.amdhsa_user_sgpr_dispatch_id 0
		.amdhsa_user_sgpr_flat_scratch_init 0
		.amdhsa_user_sgpr_kernarg_preload_length 0
		.amdhsa_user_sgpr_kernarg_preload_offset 0
		.amdhsa_user_sgpr_private_segment_size 0
		.amdhsa_uses_dynamic_stack 0
		.amdhsa_system_sgpr_private_segment_wavefront_offset 0
		.amdhsa_system_sgpr_workgroup_id_x 1
		.amdhsa_system_sgpr_workgroup_id_y 0
		.amdhsa_system_sgpr_workgroup_id_z 0
		.amdhsa_system_sgpr_workgroup_info 0
		.amdhsa_system_vgpr_workitem_id 0
		.amdhsa_next_free_vgpr 22
		.amdhsa_next_free_sgpr 18
		.amdhsa_accum_offset 24
		.amdhsa_reserve_vcc 1
		.amdhsa_reserve_flat_scratch 0
		.amdhsa_float_round_mode_32 0
		.amdhsa_float_round_mode_16_64 0
		.amdhsa_float_denorm_mode_32 3
		.amdhsa_float_denorm_mode_16_64 3
		.amdhsa_dx10_clamp 1
		.amdhsa_ieee_mode 1
		.amdhsa_fp16_overflow 0
		.amdhsa_tg_split 0
		.amdhsa_exception_fp_ieee_invalid_op 0
		.amdhsa_exception_fp_denorm_src 0
		.amdhsa_exception_fp_ieee_div_zero 0
		.amdhsa_exception_fp_ieee_overflow 0
		.amdhsa_exception_fp_ieee_underflow 0
		.amdhsa_exception_fp_ieee_inexact 0
		.amdhsa_exception_int_div_zero 0
	.end_amdhsa_kernel
	.section	.text._ZN2at6native12_GLOBAL__N_123sort_postprocess_kernelIfEEvPKT_PS3_PlPK15HIP_vector_typeIiLj2EEii,"axG",@progbits,_ZN2at6native12_GLOBAL__N_123sort_postprocess_kernelIfEEvPKT_PS3_PlPK15HIP_vector_typeIiLj2EEii,comdat
.Lfunc_end1258:
	.size	_ZN2at6native12_GLOBAL__N_123sort_postprocess_kernelIfEEvPKT_PS3_PlPK15HIP_vector_typeIiLj2EEii, .Lfunc_end1258-_ZN2at6native12_GLOBAL__N_123sort_postprocess_kernelIfEEvPKT_PS3_PlPK15HIP_vector_typeIiLj2EEii
                                        ; -- End function
	.section	.AMDGPU.csdata,"",@progbits
; Kernel info:
; codeLenInByte = 428
; NumSgprs: 22
; NumVgprs: 22
; NumAgprs: 0
; TotalNumVgprs: 22
; ScratchSize: 0
; MemoryBound: 0
; FloatMode: 240
; IeeeMode: 1
; LDSByteSize: 0 bytes/workgroup (compile time only)
; SGPRBlocks: 2
; VGPRBlocks: 2
; NumSGPRsForWavesPerEU: 22
; NumVGPRsForWavesPerEU: 22
; AccumOffset: 24
; Occupancy: 8
; WaveLimiterHint : 1
; COMPUTE_PGM_RSRC2:SCRATCH_EN: 0
; COMPUTE_PGM_RSRC2:USER_SGPR: 6
; COMPUTE_PGM_RSRC2:TRAP_HANDLER: 0
; COMPUTE_PGM_RSRC2:TGID_X_EN: 1
; COMPUTE_PGM_RSRC2:TGID_Y_EN: 0
; COMPUTE_PGM_RSRC2:TGID_Z_EN: 0
; COMPUTE_PGM_RSRC2:TIDIG_COMP_CNT: 0
; COMPUTE_PGM_RSRC3_GFX90A:ACCUM_OFFSET: 5
; COMPUTE_PGM_RSRC3_GFX90A:TG_SPLIT: 0
	.section	.text._ZN7rocprim17ROCPRIM_400000_NS6detail17trampoline_kernelINS0_13select_configILj256ELj13ELNS0_17block_load_methodE3ELS4_3ELS4_3ELNS0_20block_scan_algorithmE0ELj4294967295EEENS1_25partition_config_selectorILNS1_17partition_subalgoE4EjNS0_10empty_typeEbEEZZNS1_14partition_implILS8_4ELb0ES6_15HIP_vector_typeIjLj2EENS0_17counting_iteratorIjlEEPS9_SG_NS0_5tupleIJPjSI_NS0_16reverse_iteratorISI_EEEEENSH_IJSG_SG_SG_EEES9_SI_JZNS1_25segmented_radix_sort_implINS0_14default_configELb1EPKfPfPKlPlN2at6native12_GLOBAL__N_18offset_tEEE10hipError_tPvRmT1_PNSt15iterator_traitsIS12_E10value_typeET2_T3_PNS13_IS18_E10value_typeET4_jRbjT5_S1E_jjP12ihipStream_tbEUljE_ZNSN_ISO_Lb1ESQ_SR_ST_SU_SY_EESZ_S10_S11_S12_S16_S17_S18_S1B_S1C_jS1D_jS1E_S1E_jjS1G_bEUljE0_EEESZ_S10_S11_S18_S1C_S1E_T6_T7_T9_mT8_S1G_bDpT10_ENKUlT_T0_E_clISt17integral_constantIbLb0EES1U_EEDaS1P_S1Q_EUlS1P_E_NS1_11comp_targetILNS1_3genE0ELNS1_11target_archE4294967295ELNS1_3gpuE0ELNS1_3repE0EEENS1_30default_config_static_selectorELNS0_4arch9wavefront6targetE1EEEvS12_,"axG",@progbits,_ZN7rocprim17ROCPRIM_400000_NS6detail17trampoline_kernelINS0_13select_configILj256ELj13ELNS0_17block_load_methodE3ELS4_3ELS4_3ELNS0_20block_scan_algorithmE0ELj4294967295EEENS1_25partition_config_selectorILNS1_17partition_subalgoE4EjNS0_10empty_typeEbEEZZNS1_14partition_implILS8_4ELb0ES6_15HIP_vector_typeIjLj2EENS0_17counting_iteratorIjlEEPS9_SG_NS0_5tupleIJPjSI_NS0_16reverse_iteratorISI_EEEEENSH_IJSG_SG_SG_EEES9_SI_JZNS1_25segmented_radix_sort_implINS0_14default_configELb1EPKfPfPKlPlN2at6native12_GLOBAL__N_18offset_tEEE10hipError_tPvRmT1_PNSt15iterator_traitsIS12_E10value_typeET2_T3_PNS13_IS18_E10value_typeET4_jRbjT5_S1E_jjP12ihipStream_tbEUljE_ZNSN_ISO_Lb1ESQ_SR_ST_SU_SY_EESZ_S10_S11_S12_S16_S17_S18_S1B_S1C_jS1D_jS1E_S1E_jjS1G_bEUljE0_EEESZ_S10_S11_S18_S1C_S1E_T6_T7_T9_mT8_S1G_bDpT10_ENKUlT_T0_E_clISt17integral_constantIbLb0EES1U_EEDaS1P_S1Q_EUlS1P_E_NS1_11comp_targetILNS1_3genE0ELNS1_11target_archE4294967295ELNS1_3gpuE0ELNS1_3repE0EEENS1_30default_config_static_selectorELNS0_4arch9wavefront6targetE1EEEvS12_,comdat
	.globl	_ZN7rocprim17ROCPRIM_400000_NS6detail17trampoline_kernelINS0_13select_configILj256ELj13ELNS0_17block_load_methodE3ELS4_3ELS4_3ELNS0_20block_scan_algorithmE0ELj4294967295EEENS1_25partition_config_selectorILNS1_17partition_subalgoE4EjNS0_10empty_typeEbEEZZNS1_14partition_implILS8_4ELb0ES6_15HIP_vector_typeIjLj2EENS0_17counting_iteratorIjlEEPS9_SG_NS0_5tupleIJPjSI_NS0_16reverse_iteratorISI_EEEEENSH_IJSG_SG_SG_EEES9_SI_JZNS1_25segmented_radix_sort_implINS0_14default_configELb1EPKfPfPKlPlN2at6native12_GLOBAL__N_18offset_tEEE10hipError_tPvRmT1_PNSt15iterator_traitsIS12_E10value_typeET2_T3_PNS13_IS18_E10value_typeET4_jRbjT5_S1E_jjP12ihipStream_tbEUljE_ZNSN_ISO_Lb1ESQ_SR_ST_SU_SY_EESZ_S10_S11_S12_S16_S17_S18_S1B_S1C_jS1D_jS1E_S1E_jjS1G_bEUljE0_EEESZ_S10_S11_S18_S1C_S1E_T6_T7_T9_mT8_S1G_bDpT10_ENKUlT_T0_E_clISt17integral_constantIbLb0EES1U_EEDaS1P_S1Q_EUlS1P_E_NS1_11comp_targetILNS1_3genE0ELNS1_11target_archE4294967295ELNS1_3gpuE0ELNS1_3repE0EEENS1_30default_config_static_selectorELNS0_4arch9wavefront6targetE1EEEvS12_ ; -- Begin function _ZN7rocprim17ROCPRIM_400000_NS6detail17trampoline_kernelINS0_13select_configILj256ELj13ELNS0_17block_load_methodE3ELS4_3ELS4_3ELNS0_20block_scan_algorithmE0ELj4294967295EEENS1_25partition_config_selectorILNS1_17partition_subalgoE4EjNS0_10empty_typeEbEEZZNS1_14partition_implILS8_4ELb0ES6_15HIP_vector_typeIjLj2EENS0_17counting_iteratorIjlEEPS9_SG_NS0_5tupleIJPjSI_NS0_16reverse_iteratorISI_EEEEENSH_IJSG_SG_SG_EEES9_SI_JZNS1_25segmented_radix_sort_implINS0_14default_configELb1EPKfPfPKlPlN2at6native12_GLOBAL__N_18offset_tEEE10hipError_tPvRmT1_PNSt15iterator_traitsIS12_E10value_typeET2_T3_PNS13_IS18_E10value_typeET4_jRbjT5_S1E_jjP12ihipStream_tbEUljE_ZNSN_ISO_Lb1ESQ_SR_ST_SU_SY_EESZ_S10_S11_S12_S16_S17_S18_S1B_S1C_jS1D_jS1E_S1E_jjS1G_bEUljE0_EEESZ_S10_S11_S18_S1C_S1E_T6_T7_T9_mT8_S1G_bDpT10_ENKUlT_T0_E_clISt17integral_constantIbLb0EES1U_EEDaS1P_S1Q_EUlS1P_E_NS1_11comp_targetILNS1_3genE0ELNS1_11target_archE4294967295ELNS1_3gpuE0ELNS1_3repE0EEENS1_30default_config_static_selectorELNS0_4arch9wavefront6targetE1EEEvS12_
	.p2align	8
	.type	_ZN7rocprim17ROCPRIM_400000_NS6detail17trampoline_kernelINS0_13select_configILj256ELj13ELNS0_17block_load_methodE3ELS4_3ELS4_3ELNS0_20block_scan_algorithmE0ELj4294967295EEENS1_25partition_config_selectorILNS1_17partition_subalgoE4EjNS0_10empty_typeEbEEZZNS1_14partition_implILS8_4ELb0ES6_15HIP_vector_typeIjLj2EENS0_17counting_iteratorIjlEEPS9_SG_NS0_5tupleIJPjSI_NS0_16reverse_iteratorISI_EEEEENSH_IJSG_SG_SG_EEES9_SI_JZNS1_25segmented_radix_sort_implINS0_14default_configELb1EPKfPfPKlPlN2at6native12_GLOBAL__N_18offset_tEEE10hipError_tPvRmT1_PNSt15iterator_traitsIS12_E10value_typeET2_T3_PNS13_IS18_E10value_typeET4_jRbjT5_S1E_jjP12ihipStream_tbEUljE_ZNSN_ISO_Lb1ESQ_SR_ST_SU_SY_EESZ_S10_S11_S12_S16_S17_S18_S1B_S1C_jS1D_jS1E_S1E_jjS1G_bEUljE0_EEESZ_S10_S11_S18_S1C_S1E_T6_T7_T9_mT8_S1G_bDpT10_ENKUlT_T0_E_clISt17integral_constantIbLb0EES1U_EEDaS1P_S1Q_EUlS1P_E_NS1_11comp_targetILNS1_3genE0ELNS1_11target_archE4294967295ELNS1_3gpuE0ELNS1_3repE0EEENS1_30default_config_static_selectorELNS0_4arch9wavefront6targetE1EEEvS12_,@function
_ZN7rocprim17ROCPRIM_400000_NS6detail17trampoline_kernelINS0_13select_configILj256ELj13ELNS0_17block_load_methodE3ELS4_3ELS4_3ELNS0_20block_scan_algorithmE0ELj4294967295EEENS1_25partition_config_selectorILNS1_17partition_subalgoE4EjNS0_10empty_typeEbEEZZNS1_14partition_implILS8_4ELb0ES6_15HIP_vector_typeIjLj2EENS0_17counting_iteratorIjlEEPS9_SG_NS0_5tupleIJPjSI_NS0_16reverse_iteratorISI_EEEEENSH_IJSG_SG_SG_EEES9_SI_JZNS1_25segmented_radix_sort_implINS0_14default_configELb1EPKfPfPKlPlN2at6native12_GLOBAL__N_18offset_tEEE10hipError_tPvRmT1_PNSt15iterator_traitsIS12_E10value_typeET2_T3_PNS13_IS18_E10value_typeET4_jRbjT5_S1E_jjP12ihipStream_tbEUljE_ZNSN_ISO_Lb1ESQ_SR_ST_SU_SY_EESZ_S10_S11_S12_S16_S17_S18_S1B_S1C_jS1D_jS1E_S1E_jjS1G_bEUljE0_EEESZ_S10_S11_S18_S1C_S1E_T6_T7_T9_mT8_S1G_bDpT10_ENKUlT_T0_E_clISt17integral_constantIbLb0EES1U_EEDaS1P_S1Q_EUlS1P_E_NS1_11comp_targetILNS1_3genE0ELNS1_11target_archE4294967295ELNS1_3gpuE0ELNS1_3repE0EEENS1_30default_config_static_selectorELNS0_4arch9wavefront6targetE1EEEvS12_: ; @_ZN7rocprim17ROCPRIM_400000_NS6detail17trampoline_kernelINS0_13select_configILj256ELj13ELNS0_17block_load_methodE3ELS4_3ELS4_3ELNS0_20block_scan_algorithmE0ELj4294967295EEENS1_25partition_config_selectorILNS1_17partition_subalgoE4EjNS0_10empty_typeEbEEZZNS1_14partition_implILS8_4ELb0ES6_15HIP_vector_typeIjLj2EENS0_17counting_iteratorIjlEEPS9_SG_NS0_5tupleIJPjSI_NS0_16reverse_iteratorISI_EEEEENSH_IJSG_SG_SG_EEES9_SI_JZNS1_25segmented_radix_sort_implINS0_14default_configELb1EPKfPfPKlPlN2at6native12_GLOBAL__N_18offset_tEEE10hipError_tPvRmT1_PNSt15iterator_traitsIS12_E10value_typeET2_T3_PNS13_IS18_E10value_typeET4_jRbjT5_S1E_jjP12ihipStream_tbEUljE_ZNSN_ISO_Lb1ESQ_SR_ST_SU_SY_EESZ_S10_S11_S12_S16_S17_S18_S1B_S1C_jS1D_jS1E_S1E_jjS1G_bEUljE0_EEESZ_S10_S11_S18_S1C_S1E_T6_T7_T9_mT8_S1G_bDpT10_ENKUlT_T0_E_clISt17integral_constantIbLb0EES1U_EEDaS1P_S1Q_EUlS1P_E_NS1_11comp_targetILNS1_3genE0ELNS1_11target_archE4294967295ELNS1_3gpuE0ELNS1_3repE0EEENS1_30default_config_static_selectorELNS0_4arch9wavefront6targetE1EEEvS12_
; %bb.0:
	.section	.rodata,"a",@progbits
	.p2align	6, 0x0
	.amdhsa_kernel _ZN7rocprim17ROCPRIM_400000_NS6detail17trampoline_kernelINS0_13select_configILj256ELj13ELNS0_17block_load_methodE3ELS4_3ELS4_3ELNS0_20block_scan_algorithmE0ELj4294967295EEENS1_25partition_config_selectorILNS1_17partition_subalgoE4EjNS0_10empty_typeEbEEZZNS1_14partition_implILS8_4ELb0ES6_15HIP_vector_typeIjLj2EENS0_17counting_iteratorIjlEEPS9_SG_NS0_5tupleIJPjSI_NS0_16reverse_iteratorISI_EEEEENSH_IJSG_SG_SG_EEES9_SI_JZNS1_25segmented_radix_sort_implINS0_14default_configELb1EPKfPfPKlPlN2at6native12_GLOBAL__N_18offset_tEEE10hipError_tPvRmT1_PNSt15iterator_traitsIS12_E10value_typeET2_T3_PNS13_IS18_E10value_typeET4_jRbjT5_S1E_jjP12ihipStream_tbEUljE_ZNSN_ISO_Lb1ESQ_SR_ST_SU_SY_EESZ_S10_S11_S12_S16_S17_S18_S1B_S1C_jS1D_jS1E_S1E_jjS1G_bEUljE0_EEESZ_S10_S11_S18_S1C_S1E_T6_T7_T9_mT8_S1G_bDpT10_ENKUlT_T0_E_clISt17integral_constantIbLb0EES1U_EEDaS1P_S1Q_EUlS1P_E_NS1_11comp_targetILNS1_3genE0ELNS1_11target_archE4294967295ELNS1_3gpuE0ELNS1_3repE0EEENS1_30default_config_static_selectorELNS0_4arch9wavefront6targetE1EEEvS12_
		.amdhsa_group_segment_fixed_size 0
		.amdhsa_private_segment_fixed_size 0
		.amdhsa_kernarg_size 176
		.amdhsa_user_sgpr_count 6
		.amdhsa_user_sgpr_private_segment_buffer 1
		.amdhsa_user_sgpr_dispatch_ptr 0
		.amdhsa_user_sgpr_queue_ptr 0
		.amdhsa_user_sgpr_kernarg_segment_ptr 1
		.amdhsa_user_sgpr_dispatch_id 0
		.amdhsa_user_sgpr_flat_scratch_init 0
		.amdhsa_user_sgpr_kernarg_preload_length 0
		.amdhsa_user_sgpr_kernarg_preload_offset 0
		.amdhsa_user_sgpr_private_segment_size 0
		.amdhsa_uses_dynamic_stack 0
		.amdhsa_system_sgpr_private_segment_wavefront_offset 0
		.amdhsa_system_sgpr_workgroup_id_x 1
		.amdhsa_system_sgpr_workgroup_id_y 0
		.amdhsa_system_sgpr_workgroup_id_z 0
		.amdhsa_system_sgpr_workgroup_info 0
		.amdhsa_system_vgpr_workitem_id 0
		.amdhsa_next_free_vgpr 1
		.amdhsa_next_free_sgpr 0
		.amdhsa_accum_offset 4
		.amdhsa_reserve_vcc 0
		.amdhsa_reserve_flat_scratch 0
		.amdhsa_float_round_mode_32 0
		.amdhsa_float_round_mode_16_64 0
		.amdhsa_float_denorm_mode_32 3
		.amdhsa_float_denorm_mode_16_64 3
		.amdhsa_dx10_clamp 1
		.amdhsa_ieee_mode 1
		.amdhsa_fp16_overflow 0
		.amdhsa_tg_split 0
		.amdhsa_exception_fp_ieee_invalid_op 0
		.amdhsa_exception_fp_denorm_src 0
		.amdhsa_exception_fp_ieee_div_zero 0
		.amdhsa_exception_fp_ieee_overflow 0
		.amdhsa_exception_fp_ieee_underflow 0
		.amdhsa_exception_fp_ieee_inexact 0
		.amdhsa_exception_int_div_zero 0
	.end_amdhsa_kernel
	.section	.text._ZN7rocprim17ROCPRIM_400000_NS6detail17trampoline_kernelINS0_13select_configILj256ELj13ELNS0_17block_load_methodE3ELS4_3ELS4_3ELNS0_20block_scan_algorithmE0ELj4294967295EEENS1_25partition_config_selectorILNS1_17partition_subalgoE4EjNS0_10empty_typeEbEEZZNS1_14partition_implILS8_4ELb0ES6_15HIP_vector_typeIjLj2EENS0_17counting_iteratorIjlEEPS9_SG_NS0_5tupleIJPjSI_NS0_16reverse_iteratorISI_EEEEENSH_IJSG_SG_SG_EEES9_SI_JZNS1_25segmented_radix_sort_implINS0_14default_configELb1EPKfPfPKlPlN2at6native12_GLOBAL__N_18offset_tEEE10hipError_tPvRmT1_PNSt15iterator_traitsIS12_E10value_typeET2_T3_PNS13_IS18_E10value_typeET4_jRbjT5_S1E_jjP12ihipStream_tbEUljE_ZNSN_ISO_Lb1ESQ_SR_ST_SU_SY_EESZ_S10_S11_S12_S16_S17_S18_S1B_S1C_jS1D_jS1E_S1E_jjS1G_bEUljE0_EEESZ_S10_S11_S18_S1C_S1E_T6_T7_T9_mT8_S1G_bDpT10_ENKUlT_T0_E_clISt17integral_constantIbLb0EES1U_EEDaS1P_S1Q_EUlS1P_E_NS1_11comp_targetILNS1_3genE0ELNS1_11target_archE4294967295ELNS1_3gpuE0ELNS1_3repE0EEENS1_30default_config_static_selectorELNS0_4arch9wavefront6targetE1EEEvS12_,"axG",@progbits,_ZN7rocprim17ROCPRIM_400000_NS6detail17trampoline_kernelINS0_13select_configILj256ELj13ELNS0_17block_load_methodE3ELS4_3ELS4_3ELNS0_20block_scan_algorithmE0ELj4294967295EEENS1_25partition_config_selectorILNS1_17partition_subalgoE4EjNS0_10empty_typeEbEEZZNS1_14partition_implILS8_4ELb0ES6_15HIP_vector_typeIjLj2EENS0_17counting_iteratorIjlEEPS9_SG_NS0_5tupleIJPjSI_NS0_16reverse_iteratorISI_EEEEENSH_IJSG_SG_SG_EEES9_SI_JZNS1_25segmented_radix_sort_implINS0_14default_configELb1EPKfPfPKlPlN2at6native12_GLOBAL__N_18offset_tEEE10hipError_tPvRmT1_PNSt15iterator_traitsIS12_E10value_typeET2_T3_PNS13_IS18_E10value_typeET4_jRbjT5_S1E_jjP12ihipStream_tbEUljE_ZNSN_ISO_Lb1ESQ_SR_ST_SU_SY_EESZ_S10_S11_S12_S16_S17_S18_S1B_S1C_jS1D_jS1E_S1E_jjS1G_bEUljE0_EEESZ_S10_S11_S18_S1C_S1E_T6_T7_T9_mT8_S1G_bDpT10_ENKUlT_T0_E_clISt17integral_constantIbLb0EES1U_EEDaS1P_S1Q_EUlS1P_E_NS1_11comp_targetILNS1_3genE0ELNS1_11target_archE4294967295ELNS1_3gpuE0ELNS1_3repE0EEENS1_30default_config_static_selectorELNS0_4arch9wavefront6targetE1EEEvS12_,comdat
.Lfunc_end1259:
	.size	_ZN7rocprim17ROCPRIM_400000_NS6detail17trampoline_kernelINS0_13select_configILj256ELj13ELNS0_17block_load_methodE3ELS4_3ELS4_3ELNS0_20block_scan_algorithmE0ELj4294967295EEENS1_25partition_config_selectorILNS1_17partition_subalgoE4EjNS0_10empty_typeEbEEZZNS1_14partition_implILS8_4ELb0ES6_15HIP_vector_typeIjLj2EENS0_17counting_iteratorIjlEEPS9_SG_NS0_5tupleIJPjSI_NS0_16reverse_iteratorISI_EEEEENSH_IJSG_SG_SG_EEES9_SI_JZNS1_25segmented_radix_sort_implINS0_14default_configELb1EPKfPfPKlPlN2at6native12_GLOBAL__N_18offset_tEEE10hipError_tPvRmT1_PNSt15iterator_traitsIS12_E10value_typeET2_T3_PNS13_IS18_E10value_typeET4_jRbjT5_S1E_jjP12ihipStream_tbEUljE_ZNSN_ISO_Lb1ESQ_SR_ST_SU_SY_EESZ_S10_S11_S12_S16_S17_S18_S1B_S1C_jS1D_jS1E_S1E_jjS1G_bEUljE0_EEESZ_S10_S11_S18_S1C_S1E_T6_T7_T9_mT8_S1G_bDpT10_ENKUlT_T0_E_clISt17integral_constantIbLb0EES1U_EEDaS1P_S1Q_EUlS1P_E_NS1_11comp_targetILNS1_3genE0ELNS1_11target_archE4294967295ELNS1_3gpuE0ELNS1_3repE0EEENS1_30default_config_static_selectorELNS0_4arch9wavefront6targetE1EEEvS12_, .Lfunc_end1259-_ZN7rocprim17ROCPRIM_400000_NS6detail17trampoline_kernelINS0_13select_configILj256ELj13ELNS0_17block_load_methodE3ELS4_3ELS4_3ELNS0_20block_scan_algorithmE0ELj4294967295EEENS1_25partition_config_selectorILNS1_17partition_subalgoE4EjNS0_10empty_typeEbEEZZNS1_14partition_implILS8_4ELb0ES6_15HIP_vector_typeIjLj2EENS0_17counting_iteratorIjlEEPS9_SG_NS0_5tupleIJPjSI_NS0_16reverse_iteratorISI_EEEEENSH_IJSG_SG_SG_EEES9_SI_JZNS1_25segmented_radix_sort_implINS0_14default_configELb1EPKfPfPKlPlN2at6native12_GLOBAL__N_18offset_tEEE10hipError_tPvRmT1_PNSt15iterator_traitsIS12_E10value_typeET2_T3_PNS13_IS18_E10value_typeET4_jRbjT5_S1E_jjP12ihipStream_tbEUljE_ZNSN_ISO_Lb1ESQ_SR_ST_SU_SY_EESZ_S10_S11_S12_S16_S17_S18_S1B_S1C_jS1D_jS1E_S1E_jjS1G_bEUljE0_EEESZ_S10_S11_S18_S1C_S1E_T6_T7_T9_mT8_S1G_bDpT10_ENKUlT_T0_E_clISt17integral_constantIbLb0EES1U_EEDaS1P_S1Q_EUlS1P_E_NS1_11comp_targetILNS1_3genE0ELNS1_11target_archE4294967295ELNS1_3gpuE0ELNS1_3repE0EEENS1_30default_config_static_selectorELNS0_4arch9wavefront6targetE1EEEvS12_
                                        ; -- End function
	.section	.AMDGPU.csdata,"",@progbits
; Kernel info:
; codeLenInByte = 0
; NumSgprs: 4
; NumVgprs: 0
; NumAgprs: 0
; TotalNumVgprs: 0
; ScratchSize: 0
; MemoryBound: 0
; FloatMode: 240
; IeeeMode: 1
; LDSByteSize: 0 bytes/workgroup (compile time only)
; SGPRBlocks: 0
; VGPRBlocks: 0
; NumSGPRsForWavesPerEU: 4
; NumVGPRsForWavesPerEU: 1
; AccumOffset: 4
; Occupancy: 8
; WaveLimiterHint : 0
; COMPUTE_PGM_RSRC2:SCRATCH_EN: 0
; COMPUTE_PGM_RSRC2:USER_SGPR: 6
; COMPUTE_PGM_RSRC2:TRAP_HANDLER: 0
; COMPUTE_PGM_RSRC2:TGID_X_EN: 1
; COMPUTE_PGM_RSRC2:TGID_Y_EN: 0
; COMPUTE_PGM_RSRC2:TGID_Z_EN: 0
; COMPUTE_PGM_RSRC2:TIDIG_COMP_CNT: 0
; COMPUTE_PGM_RSRC3_GFX90A:ACCUM_OFFSET: 0
; COMPUTE_PGM_RSRC3_GFX90A:TG_SPLIT: 0
	.section	.text._ZN7rocprim17ROCPRIM_400000_NS6detail17trampoline_kernelINS0_13select_configILj256ELj13ELNS0_17block_load_methodE3ELS4_3ELS4_3ELNS0_20block_scan_algorithmE0ELj4294967295EEENS1_25partition_config_selectorILNS1_17partition_subalgoE4EjNS0_10empty_typeEbEEZZNS1_14partition_implILS8_4ELb0ES6_15HIP_vector_typeIjLj2EENS0_17counting_iteratorIjlEEPS9_SG_NS0_5tupleIJPjSI_NS0_16reverse_iteratorISI_EEEEENSH_IJSG_SG_SG_EEES9_SI_JZNS1_25segmented_radix_sort_implINS0_14default_configELb1EPKfPfPKlPlN2at6native12_GLOBAL__N_18offset_tEEE10hipError_tPvRmT1_PNSt15iterator_traitsIS12_E10value_typeET2_T3_PNS13_IS18_E10value_typeET4_jRbjT5_S1E_jjP12ihipStream_tbEUljE_ZNSN_ISO_Lb1ESQ_SR_ST_SU_SY_EESZ_S10_S11_S12_S16_S17_S18_S1B_S1C_jS1D_jS1E_S1E_jjS1G_bEUljE0_EEESZ_S10_S11_S18_S1C_S1E_T6_T7_T9_mT8_S1G_bDpT10_ENKUlT_T0_E_clISt17integral_constantIbLb0EES1U_EEDaS1P_S1Q_EUlS1P_E_NS1_11comp_targetILNS1_3genE5ELNS1_11target_archE942ELNS1_3gpuE9ELNS1_3repE0EEENS1_30default_config_static_selectorELNS0_4arch9wavefront6targetE1EEEvS12_,"axG",@progbits,_ZN7rocprim17ROCPRIM_400000_NS6detail17trampoline_kernelINS0_13select_configILj256ELj13ELNS0_17block_load_methodE3ELS4_3ELS4_3ELNS0_20block_scan_algorithmE0ELj4294967295EEENS1_25partition_config_selectorILNS1_17partition_subalgoE4EjNS0_10empty_typeEbEEZZNS1_14partition_implILS8_4ELb0ES6_15HIP_vector_typeIjLj2EENS0_17counting_iteratorIjlEEPS9_SG_NS0_5tupleIJPjSI_NS0_16reverse_iteratorISI_EEEEENSH_IJSG_SG_SG_EEES9_SI_JZNS1_25segmented_radix_sort_implINS0_14default_configELb1EPKfPfPKlPlN2at6native12_GLOBAL__N_18offset_tEEE10hipError_tPvRmT1_PNSt15iterator_traitsIS12_E10value_typeET2_T3_PNS13_IS18_E10value_typeET4_jRbjT5_S1E_jjP12ihipStream_tbEUljE_ZNSN_ISO_Lb1ESQ_SR_ST_SU_SY_EESZ_S10_S11_S12_S16_S17_S18_S1B_S1C_jS1D_jS1E_S1E_jjS1G_bEUljE0_EEESZ_S10_S11_S18_S1C_S1E_T6_T7_T9_mT8_S1G_bDpT10_ENKUlT_T0_E_clISt17integral_constantIbLb0EES1U_EEDaS1P_S1Q_EUlS1P_E_NS1_11comp_targetILNS1_3genE5ELNS1_11target_archE942ELNS1_3gpuE9ELNS1_3repE0EEENS1_30default_config_static_selectorELNS0_4arch9wavefront6targetE1EEEvS12_,comdat
	.globl	_ZN7rocprim17ROCPRIM_400000_NS6detail17trampoline_kernelINS0_13select_configILj256ELj13ELNS0_17block_load_methodE3ELS4_3ELS4_3ELNS0_20block_scan_algorithmE0ELj4294967295EEENS1_25partition_config_selectorILNS1_17partition_subalgoE4EjNS0_10empty_typeEbEEZZNS1_14partition_implILS8_4ELb0ES6_15HIP_vector_typeIjLj2EENS0_17counting_iteratorIjlEEPS9_SG_NS0_5tupleIJPjSI_NS0_16reverse_iteratorISI_EEEEENSH_IJSG_SG_SG_EEES9_SI_JZNS1_25segmented_radix_sort_implINS0_14default_configELb1EPKfPfPKlPlN2at6native12_GLOBAL__N_18offset_tEEE10hipError_tPvRmT1_PNSt15iterator_traitsIS12_E10value_typeET2_T3_PNS13_IS18_E10value_typeET4_jRbjT5_S1E_jjP12ihipStream_tbEUljE_ZNSN_ISO_Lb1ESQ_SR_ST_SU_SY_EESZ_S10_S11_S12_S16_S17_S18_S1B_S1C_jS1D_jS1E_S1E_jjS1G_bEUljE0_EEESZ_S10_S11_S18_S1C_S1E_T6_T7_T9_mT8_S1G_bDpT10_ENKUlT_T0_E_clISt17integral_constantIbLb0EES1U_EEDaS1P_S1Q_EUlS1P_E_NS1_11comp_targetILNS1_3genE5ELNS1_11target_archE942ELNS1_3gpuE9ELNS1_3repE0EEENS1_30default_config_static_selectorELNS0_4arch9wavefront6targetE1EEEvS12_ ; -- Begin function _ZN7rocprim17ROCPRIM_400000_NS6detail17trampoline_kernelINS0_13select_configILj256ELj13ELNS0_17block_load_methodE3ELS4_3ELS4_3ELNS0_20block_scan_algorithmE0ELj4294967295EEENS1_25partition_config_selectorILNS1_17partition_subalgoE4EjNS0_10empty_typeEbEEZZNS1_14partition_implILS8_4ELb0ES6_15HIP_vector_typeIjLj2EENS0_17counting_iteratorIjlEEPS9_SG_NS0_5tupleIJPjSI_NS0_16reverse_iteratorISI_EEEEENSH_IJSG_SG_SG_EEES9_SI_JZNS1_25segmented_radix_sort_implINS0_14default_configELb1EPKfPfPKlPlN2at6native12_GLOBAL__N_18offset_tEEE10hipError_tPvRmT1_PNSt15iterator_traitsIS12_E10value_typeET2_T3_PNS13_IS18_E10value_typeET4_jRbjT5_S1E_jjP12ihipStream_tbEUljE_ZNSN_ISO_Lb1ESQ_SR_ST_SU_SY_EESZ_S10_S11_S12_S16_S17_S18_S1B_S1C_jS1D_jS1E_S1E_jjS1G_bEUljE0_EEESZ_S10_S11_S18_S1C_S1E_T6_T7_T9_mT8_S1G_bDpT10_ENKUlT_T0_E_clISt17integral_constantIbLb0EES1U_EEDaS1P_S1Q_EUlS1P_E_NS1_11comp_targetILNS1_3genE5ELNS1_11target_archE942ELNS1_3gpuE9ELNS1_3repE0EEENS1_30default_config_static_selectorELNS0_4arch9wavefront6targetE1EEEvS12_
	.p2align	8
	.type	_ZN7rocprim17ROCPRIM_400000_NS6detail17trampoline_kernelINS0_13select_configILj256ELj13ELNS0_17block_load_methodE3ELS4_3ELS4_3ELNS0_20block_scan_algorithmE0ELj4294967295EEENS1_25partition_config_selectorILNS1_17partition_subalgoE4EjNS0_10empty_typeEbEEZZNS1_14partition_implILS8_4ELb0ES6_15HIP_vector_typeIjLj2EENS0_17counting_iteratorIjlEEPS9_SG_NS0_5tupleIJPjSI_NS0_16reverse_iteratorISI_EEEEENSH_IJSG_SG_SG_EEES9_SI_JZNS1_25segmented_radix_sort_implINS0_14default_configELb1EPKfPfPKlPlN2at6native12_GLOBAL__N_18offset_tEEE10hipError_tPvRmT1_PNSt15iterator_traitsIS12_E10value_typeET2_T3_PNS13_IS18_E10value_typeET4_jRbjT5_S1E_jjP12ihipStream_tbEUljE_ZNSN_ISO_Lb1ESQ_SR_ST_SU_SY_EESZ_S10_S11_S12_S16_S17_S18_S1B_S1C_jS1D_jS1E_S1E_jjS1G_bEUljE0_EEESZ_S10_S11_S18_S1C_S1E_T6_T7_T9_mT8_S1G_bDpT10_ENKUlT_T0_E_clISt17integral_constantIbLb0EES1U_EEDaS1P_S1Q_EUlS1P_E_NS1_11comp_targetILNS1_3genE5ELNS1_11target_archE942ELNS1_3gpuE9ELNS1_3repE0EEENS1_30default_config_static_selectorELNS0_4arch9wavefront6targetE1EEEvS12_,@function
_ZN7rocprim17ROCPRIM_400000_NS6detail17trampoline_kernelINS0_13select_configILj256ELj13ELNS0_17block_load_methodE3ELS4_3ELS4_3ELNS0_20block_scan_algorithmE0ELj4294967295EEENS1_25partition_config_selectorILNS1_17partition_subalgoE4EjNS0_10empty_typeEbEEZZNS1_14partition_implILS8_4ELb0ES6_15HIP_vector_typeIjLj2EENS0_17counting_iteratorIjlEEPS9_SG_NS0_5tupleIJPjSI_NS0_16reverse_iteratorISI_EEEEENSH_IJSG_SG_SG_EEES9_SI_JZNS1_25segmented_radix_sort_implINS0_14default_configELb1EPKfPfPKlPlN2at6native12_GLOBAL__N_18offset_tEEE10hipError_tPvRmT1_PNSt15iterator_traitsIS12_E10value_typeET2_T3_PNS13_IS18_E10value_typeET4_jRbjT5_S1E_jjP12ihipStream_tbEUljE_ZNSN_ISO_Lb1ESQ_SR_ST_SU_SY_EESZ_S10_S11_S12_S16_S17_S18_S1B_S1C_jS1D_jS1E_S1E_jjS1G_bEUljE0_EEESZ_S10_S11_S18_S1C_S1E_T6_T7_T9_mT8_S1G_bDpT10_ENKUlT_T0_E_clISt17integral_constantIbLb0EES1U_EEDaS1P_S1Q_EUlS1P_E_NS1_11comp_targetILNS1_3genE5ELNS1_11target_archE942ELNS1_3gpuE9ELNS1_3repE0EEENS1_30default_config_static_selectorELNS0_4arch9wavefront6targetE1EEEvS12_: ; @_ZN7rocprim17ROCPRIM_400000_NS6detail17trampoline_kernelINS0_13select_configILj256ELj13ELNS0_17block_load_methodE3ELS4_3ELS4_3ELNS0_20block_scan_algorithmE0ELj4294967295EEENS1_25partition_config_selectorILNS1_17partition_subalgoE4EjNS0_10empty_typeEbEEZZNS1_14partition_implILS8_4ELb0ES6_15HIP_vector_typeIjLj2EENS0_17counting_iteratorIjlEEPS9_SG_NS0_5tupleIJPjSI_NS0_16reverse_iteratorISI_EEEEENSH_IJSG_SG_SG_EEES9_SI_JZNS1_25segmented_radix_sort_implINS0_14default_configELb1EPKfPfPKlPlN2at6native12_GLOBAL__N_18offset_tEEE10hipError_tPvRmT1_PNSt15iterator_traitsIS12_E10value_typeET2_T3_PNS13_IS18_E10value_typeET4_jRbjT5_S1E_jjP12ihipStream_tbEUljE_ZNSN_ISO_Lb1ESQ_SR_ST_SU_SY_EESZ_S10_S11_S12_S16_S17_S18_S1B_S1C_jS1D_jS1E_S1E_jjS1G_bEUljE0_EEESZ_S10_S11_S18_S1C_S1E_T6_T7_T9_mT8_S1G_bDpT10_ENKUlT_T0_E_clISt17integral_constantIbLb0EES1U_EEDaS1P_S1Q_EUlS1P_E_NS1_11comp_targetILNS1_3genE5ELNS1_11target_archE942ELNS1_3gpuE9ELNS1_3repE0EEENS1_30default_config_static_selectorELNS0_4arch9wavefront6targetE1EEEvS12_
; %bb.0:
	.section	.rodata,"a",@progbits
	.p2align	6, 0x0
	.amdhsa_kernel _ZN7rocprim17ROCPRIM_400000_NS6detail17trampoline_kernelINS0_13select_configILj256ELj13ELNS0_17block_load_methodE3ELS4_3ELS4_3ELNS0_20block_scan_algorithmE0ELj4294967295EEENS1_25partition_config_selectorILNS1_17partition_subalgoE4EjNS0_10empty_typeEbEEZZNS1_14partition_implILS8_4ELb0ES6_15HIP_vector_typeIjLj2EENS0_17counting_iteratorIjlEEPS9_SG_NS0_5tupleIJPjSI_NS0_16reverse_iteratorISI_EEEEENSH_IJSG_SG_SG_EEES9_SI_JZNS1_25segmented_radix_sort_implINS0_14default_configELb1EPKfPfPKlPlN2at6native12_GLOBAL__N_18offset_tEEE10hipError_tPvRmT1_PNSt15iterator_traitsIS12_E10value_typeET2_T3_PNS13_IS18_E10value_typeET4_jRbjT5_S1E_jjP12ihipStream_tbEUljE_ZNSN_ISO_Lb1ESQ_SR_ST_SU_SY_EESZ_S10_S11_S12_S16_S17_S18_S1B_S1C_jS1D_jS1E_S1E_jjS1G_bEUljE0_EEESZ_S10_S11_S18_S1C_S1E_T6_T7_T9_mT8_S1G_bDpT10_ENKUlT_T0_E_clISt17integral_constantIbLb0EES1U_EEDaS1P_S1Q_EUlS1P_E_NS1_11comp_targetILNS1_3genE5ELNS1_11target_archE942ELNS1_3gpuE9ELNS1_3repE0EEENS1_30default_config_static_selectorELNS0_4arch9wavefront6targetE1EEEvS12_
		.amdhsa_group_segment_fixed_size 0
		.amdhsa_private_segment_fixed_size 0
		.amdhsa_kernarg_size 176
		.amdhsa_user_sgpr_count 6
		.amdhsa_user_sgpr_private_segment_buffer 1
		.amdhsa_user_sgpr_dispatch_ptr 0
		.amdhsa_user_sgpr_queue_ptr 0
		.amdhsa_user_sgpr_kernarg_segment_ptr 1
		.amdhsa_user_sgpr_dispatch_id 0
		.amdhsa_user_sgpr_flat_scratch_init 0
		.amdhsa_user_sgpr_kernarg_preload_length 0
		.amdhsa_user_sgpr_kernarg_preload_offset 0
		.amdhsa_user_sgpr_private_segment_size 0
		.amdhsa_uses_dynamic_stack 0
		.amdhsa_system_sgpr_private_segment_wavefront_offset 0
		.amdhsa_system_sgpr_workgroup_id_x 1
		.amdhsa_system_sgpr_workgroup_id_y 0
		.amdhsa_system_sgpr_workgroup_id_z 0
		.amdhsa_system_sgpr_workgroup_info 0
		.amdhsa_system_vgpr_workitem_id 0
		.amdhsa_next_free_vgpr 1
		.amdhsa_next_free_sgpr 0
		.amdhsa_accum_offset 4
		.amdhsa_reserve_vcc 0
		.amdhsa_reserve_flat_scratch 0
		.amdhsa_float_round_mode_32 0
		.amdhsa_float_round_mode_16_64 0
		.amdhsa_float_denorm_mode_32 3
		.amdhsa_float_denorm_mode_16_64 3
		.amdhsa_dx10_clamp 1
		.amdhsa_ieee_mode 1
		.amdhsa_fp16_overflow 0
		.amdhsa_tg_split 0
		.amdhsa_exception_fp_ieee_invalid_op 0
		.amdhsa_exception_fp_denorm_src 0
		.amdhsa_exception_fp_ieee_div_zero 0
		.amdhsa_exception_fp_ieee_overflow 0
		.amdhsa_exception_fp_ieee_underflow 0
		.amdhsa_exception_fp_ieee_inexact 0
		.amdhsa_exception_int_div_zero 0
	.end_amdhsa_kernel
	.section	.text._ZN7rocprim17ROCPRIM_400000_NS6detail17trampoline_kernelINS0_13select_configILj256ELj13ELNS0_17block_load_methodE3ELS4_3ELS4_3ELNS0_20block_scan_algorithmE0ELj4294967295EEENS1_25partition_config_selectorILNS1_17partition_subalgoE4EjNS0_10empty_typeEbEEZZNS1_14partition_implILS8_4ELb0ES6_15HIP_vector_typeIjLj2EENS0_17counting_iteratorIjlEEPS9_SG_NS0_5tupleIJPjSI_NS0_16reverse_iteratorISI_EEEEENSH_IJSG_SG_SG_EEES9_SI_JZNS1_25segmented_radix_sort_implINS0_14default_configELb1EPKfPfPKlPlN2at6native12_GLOBAL__N_18offset_tEEE10hipError_tPvRmT1_PNSt15iterator_traitsIS12_E10value_typeET2_T3_PNS13_IS18_E10value_typeET4_jRbjT5_S1E_jjP12ihipStream_tbEUljE_ZNSN_ISO_Lb1ESQ_SR_ST_SU_SY_EESZ_S10_S11_S12_S16_S17_S18_S1B_S1C_jS1D_jS1E_S1E_jjS1G_bEUljE0_EEESZ_S10_S11_S18_S1C_S1E_T6_T7_T9_mT8_S1G_bDpT10_ENKUlT_T0_E_clISt17integral_constantIbLb0EES1U_EEDaS1P_S1Q_EUlS1P_E_NS1_11comp_targetILNS1_3genE5ELNS1_11target_archE942ELNS1_3gpuE9ELNS1_3repE0EEENS1_30default_config_static_selectorELNS0_4arch9wavefront6targetE1EEEvS12_,"axG",@progbits,_ZN7rocprim17ROCPRIM_400000_NS6detail17trampoline_kernelINS0_13select_configILj256ELj13ELNS0_17block_load_methodE3ELS4_3ELS4_3ELNS0_20block_scan_algorithmE0ELj4294967295EEENS1_25partition_config_selectorILNS1_17partition_subalgoE4EjNS0_10empty_typeEbEEZZNS1_14partition_implILS8_4ELb0ES6_15HIP_vector_typeIjLj2EENS0_17counting_iteratorIjlEEPS9_SG_NS0_5tupleIJPjSI_NS0_16reverse_iteratorISI_EEEEENSH_IJSG_SG_SG_EEES9_SI_JZNS1_25segmented_radix_sort_implINS0_14default_configELb1EPKfPfPKlPlN2at6native12_GLOBAL__N_18offset_tEEE10hipError_tPvRmT1_PNSt15iterator_traitsIS12_E10value_typeET2_T3_PNS13_IS18_E10value_typeET4_jRbjT5_S1E_jjP12ihipStream_tbEUljE_ZNSN_ISO_Lb1ESQ_SR_ST_SU_SY_EESZ_S10_S11_S12_S16_S17_S18_S1B_S1C_jS1D_jS1E_S1E_jjS1G_bEUljE0_EEESZ_S10_S11_S18_S1C_S1E_T6_T7_T9_mT8_S1G_bDpT10_ENKUlT_T0_E_clISt17integral_constantIbLb0EES1U_EEDaS1P_S1Q_EUlS1P_E_NS1_11comp_targetILNS1_3genE5ELNS1_11target_archE942ELNS1_3gpuE9ELNS1_3repE0EEENS1_30default_config_static_selectorELNS0_4arch9wavefront6targetE1EEEvS12_,comdat
.Lfunc_end1260:
	.size	_ZN7rocprim17ROCPRIM_400000_NS6detail17trampoline_kernelINS0_13select_configILj256ELj13ELNS0_17block_load_methodE3ELS4_3ELS4_3ELNS0_20block_scan_algorithmE0ELj4294967295EEENS1_25partition_config_selectorILNS1_17partition_subalgoE4EjNS0_10empty_typeEbEEZZNS1_14partition_implILS8_4ELb0ES6_15HIP_vector_typeIjLj2EENS0_17counting_iteratorIjlEEPS9_SG_NS0_5tupleIJPjSI_NS0_16reverse_iteratorISI_EEEEENSH_IJSG_SG_SG_EEES9_SI_JZNS1_25segmented_radix_sort_implINS0_14default_configELb1EPKfPfPKlPlN2at6native12_GLOBAL__N_18offset_tEEE10hipError_tPvRmT1_PNSt15iterator_traitsIS12_E10value_typeET2_T3_PNS13_IS18_E10value_typeET4_jRbjT5_S1E_jjP12ihipStream_tbEUljE_ZNSN_ISO_Lb1ESQ_SR_ST_SU_SY_EESZ_S10_S11_S12_S16_S17_S18_S1B_S1C_jS1D_jS1E_S1E_jjS1G_bEUljE0_EEESZ_S10_S11_S18_S1C_S1E_T6_T7_T9_mT8_S1G_bDpT10_ENKUlT_T0_E_clISt17integral_constantIbLb0EES1U_EEDaS1P_S1Q_EUlS1P_E_NS1_11comp_targetILNS1_3genE5ELNS1_11target_archE942ELNS1_3gpuE9ELNS1_3repE0EEENS1_30default_config_static_selectorELNS0_4arch9wavefront6targetE1EEEvS12_, .Lfunc_end1260-_ZN7rocprim17ROCPRIM_400000_NS6detail17trampoline_kernelINS0_13select_configILj256ELj13ELNS0_17block_load_methodE3ELS4_3ELS4_3ELNS0_20block_scan_algorithmE0ELj4294967295EEENS1_25partition_config_selectorILNS1_17partition_subalgoE4EjNS0_10empty_typeEbEEZZNS1_14partition_implILS8_4ELb0ES6_15HIP_vector_typeIjLj2EENS0_17counting_iteratorIjlEEPS9_SG_NS0_5tupleIJPjSI_NS0_16reverse_iteratorISI_EEEEENSH_IJSG_SG_SG_EEES9_SI_JZNS1_25segmented_radix_sort_implINS0_14default_configELb1EPKfPfPKlPlN2at6native12_GLOBAL__N_18offset_tEEE10hipError_tPvRmT1_PNSt15iterator_traitsIS12_E10value_typeET2_T3_PNS13_IS18_E10value_typeET4_jRbjT5_S1E_jjP12ihipStream_tbEUljE_ZNSN_ISO_Lb1ESQ_SR_ST_SU_SY_EESZ_S10_S11_S12_S16_S17_S18_S1B_S1C_jS1D_jS1E_S1E_jjS1G_bEUljE0_EEESZ_S10_S11_S18_S1C_S1E_T6_T7_T9_mT8_S1G_bDpT10_ENKUlT_T0_E_clISt17integral_constantIbLb0EES1U_EEDaS1P_S1Q_EUlS1P_E_NS1_11comp_targetILNS1_3genE5ELNS1_11target_archE942ELNS1_3gpuE9ELNS1_3repE0EEENS1_30default_config_static_selectorELNS0_4arch9wavefront6targetE1EEEvS12_
                                        ; -- End function
	.section	.AMDGPU.csdata,"",@progbits
; Kernel info:
; codeLenInByte = 0
; NumSgprs: 4
; NumVgprs: 0
; NumAgprs: 0
; TotalNumVgprs: 0
; ScratchSize: 0
; MemoryBound: 0
; FloatMode: 240
; IeeeMode: 1
; LDSByteSize: 0 bytes/workgroup (compile time only)
; SGPRBlocks: 0
; VGPRBlocks: 0
; NumSGPRsForWavesPerEU: 4
; NumVGPRsForWavesPerEU: 1
; AccumOffset: 4
; Occupancy: 8
; WaveLimiterHint : 0
; COMPUTE_PGM_RSRC2:SCRATCH_EN: 0
; COMPUTE_PGM_RSRC2:USER_SGPR: 6
; COMPUTE_PGM_RSRC2:TRAP_HANDLER: 0
; COMPUTE_PGM_RSRC2:TGID_X_EN: 1
; COMPUTE_PGM_RSRC2:TGID_Y_EN: 0
; COMPUTE_PGM_RSRC2:TGID_Z_EN: 0
; COMPUTE_PGM_RSRC2:TIDIG_COMP_CNT: 0
; COMPUTE_PGM_RSRC3_GFX90A:ACCUM_OFFSET: 0
; COMPUTE_PGM_RSRC3_GFX90A:TG_SPLIT: 0
	.section	.text._ZN7rocprim17ROCPRIM_400000_NS6detail17trampoline_kernelINS0_13select_configILj256ELj13ELNS0_17block_load_methodE3ELS4_3ELS4_3ELNS0_20block_scan_algorithmE0ELj4294967295EEENS1_25partition_config_selectorILNS1_17partition_subalgoE4EjNS0_10empty_typeEbEEZZNS1_14partition_implILS8_4ELb0ES6_15HIP_vector_typeIjLj2EENS0_17counting_iteratorIjlEEPS9_SG_NS0_5tupleIJPjSI_NS0_16reverse_iteratorISI_EEEEENSH_IJSG_SG_SG_EEES9_SI_JZNS1_25segmented_radix_sort_implINS0_14default_configELb1EPKfPfPKlPlN2at6native12_GLOBAL__N_18offset_tEEE10hipError_tPvRmT1_PNSt15iterator_traitsIS12_E10value_typeET2_T3_PNS13_IS18_E10value_typeET4_jRbjT5_S1E_jjP12ihipStream_tbEUljE_ZNSN_ISO_Lb1ESQ_SR_ST_SU_SY_EESZ_S10_S11_S12_S16_S17_S18_S1B_S1C_jS1D_jS1E_S1E_jjS1G_bEUljE0_EEESZ_S10_S11_S18_S1C_S1E_T6_T7_T9_mT8_S1G_bDpT10_ENKUlT_T0_E_clISt17integral_constantIbLb0EES1U_EEDaS1P_S1Q_EUlS1P_E_NS1_11comp_targetILNS1_3genE4ELNS1_11target_archE910ELNS1_3gpuE8ELNS1_3repE0EEENS1_30default_config_static_selectorELNS0_4arch9wavefront6targetE1EEEvS12_,"axG",@progbits,_ZN7rocprim17ROCPRIM_400000_NS6detail17trampoline_kernelINS0_13select_configILj256ELj13ELNS0_17block_load_methodE3ELS4_3ELS4_3ELNS0_20block_scan_algorithmE0ELj4294967295EEENS1_25partition_config_selectorILNS1_17partition_subalgoE4EjNS0_10empty_typeEbEEZZNS1_14partition_implILS8_4ELb0ES6_15HIP_vector_typeIjLj2EENS0_17counting_iteratorIjlEEPS9_SG_NS0_5tupleIJPjSI_NS0_16reverse_iteratorISI_EEEEENSH_IJSG_SG_SG_EEES9_SI_JZNS1_25segmented_radix_sort_implINS0_14default_configELb1EPKfPfPKlPlN2at6native12_GLOBAL__N_18offset_tEEE10hipError_tPvRmT1_PNSt15iterator_traitsIS12_E10value_typeET2_T3_PNS13_IS18_E10value_typeET4_jRbjT5_S1E_jjP12ihipStream_tbEUljE_ZNSN_ISO_Lb1ESQ_SR_ST_SU_SY_EESZ_S10_S11_S12_S16_S17_S18_S1B_S1C_jS1D_jS1E_S1E_jjS1G_bEUljE0_EEESZ_S10_S11_S18_S1C_S1E_T6_T7_T9_mT8_S1G_bDpT10_ENKUlT_T0_E_clISt17integral_constantIbLb0EES1U_EEDaS1P_S1Q_EUlS1P_E_NS1_11comp_targetILNS1_3genE4ELNS1_11target_archE910ELNS1_3gpuE8ELNS1_3repE0EEENS1_30default_config_static_selectorELNS0_4arch9wavefront6targetE1EEEvS12_,comdat
	.globl	_ZN7rocprim17ROCPRIM_400000_NS6detail17trampoline_kernelINS0_13select_configILj256ELj13ELNS0_17block_load_methodE3ELS4_3ELS4_3ELNS0_20block_scan_algorithmE0ELj4294967295EEENS1_25partition_config_selectorILNS1_17partition_subalgoE4EjNS0_10empty_typeEbEEZZNS1_14partition_implILS8_4ELb0ES6_15HIP_vector_typeIjLj2EENS0_17counting_iteratorIjlEEPS9_SG_NS0_5tupleIJPjSI_NS0_16reverse_iteratorISI_EEEEENSH_IJSG_SG_SG_EEES9_SI_JZNS1_25segmented_radix_sort_implINS0_14default_configELb1EPKfPfPKlPlN2at6native12_GLOBAL__N_18offset_tEEE10hipError_tPvRmT1_PNSt15iterator_traitsIS12_E10value_typeET2_T3_PNS13_IS18_E10value_typeET4_jRbjT5_S1E_jjP12ihipStream_tbEUljE_ZNSN_ISO_Lb1ESQ_SR_ST_SU_SY_EESZ_S10_S11_S12_S16_S17_S18_S1B_S1C_jS1D_jS1E_S1E_jjS1G_bEUljE0_EEESZ_S10_S11_S18_S1C_S1E_T6_T7_T9_mT8_S1G_bDpT10_ENKUlT_T0_E_clISt17integral_constantIbLb0EES1U_EEDaS1P_S1Q_EUlS1P_E_NS1_11comp_targetILNS1_3genE4ELNS1_11target_archE910ELNS1_3gpuE8ELNS1_3repE0EEENS1_30default_config_static_selectorELNS0_4arch9wavefront6targetE1EEEvS12_ ; -- Begin function _ZN7rocprim17ROCPRIM_400000_NS6detail17trampoline_kernelINS0_13select_configILj256ELj13ELNS0_17block_load_methodE3ELS4_3ELS4_3ELNS0_20block_scan_algorithmE0ELj4294967295EEENS1_25partition_config_selectorILNS1_17partition_subalgoE4EjNS0_10empty_typeEbEEZZNS1_14partition_implILS8_4ELb0ES6_15HIP_vector_typeIjLj2EENS0_17counting_iteratorIjlEEPS9_SG_NS0_5tupleIJPjSI_NS0_16reverse_iteratorISI_EEEEENSH_IJSG_SG_SG_EEES9_SI_JZNS1_25segmented_radix_sort_implINS0_14default_configELb1EPKfPfPKlPlN2at6native12_GLOBAL__N_18offset_tEEE10hipError_tPvRmT1_PNSt15iterator_traitsIS12_E10value_typeET2_T3_PNS13_IS18_E10value_typeET4_jRbjT5_S1E_jjP12ihipStream_tbEUljE_ZNSN_ISO_Lb1ESQ_SR_ST_SU_SY_EESZ_S10_S11_S12_S16_S17_S18_S1B_S1C_jS1D_jS1E_S1E_jjS1G_bEUljE0_EEESZ_S10_S11_S18_S1C_S1E_T6_T7_T9_mT8_S1G_bDpT10_ENKUlT_T0_E_clISt17integral_constantIbLb0EES1U_EEDaS1P_S1Q_EUlS1P_E_NS1_11comp_targetILNS1_3genE4ELNS1_11target_archE910ELNS1_3gpuE8ELNS1_3repE0EEENS1_30default_config_static_selectorELNS0_4arch9wavefront6targetE1EEEvS12_
	.p2align	8
	.type	_ZN7rocprim17ROCPRIM_400000_NS6detail17trampoline_kernelINS0_13select_configILj256ELj13ELNS0_17block_load_methodE3ELS4_3ELS4_3ELNS0_20block_scan_algorithmE0ELj4294967295EEENS1_25partition_config_selectorILNS1_17partition_subalgoE4EjNS0_10empty_typeEbEEZZNS1_14partition_implILS8_4ELb0ES6_15HIP_vector_typeIjLj2EENS0_17counting_iteratorIjlEEPS9_SG_NS0_5tupleIJPjSI_NS0_16reverse_iteratorISI_EEEEENSH_IJSG_SG_SG_EEES9_SI_JZNS1_25segmented_radix_sort_implINS0_14default_configELb1EPKfPfPKlPlN2at6native12_GLOBAL__N_18offset_tEEE10hipError_tPvRmT1_PNSt15iterator_traitsIS12_E10value_typeET2_T3_PNS13_IS18_E10value_typeET4_jRbjT5_S1E_jjP12ihipStream_tbEUljE_ZNSN_ISO_Lb1ESQ_SR_ST_SU_SY_EESZ_S10_S11_S12_S16_S17_S18_S1B_S1C_jS1D_jS1E_S1E_jjS1G_bEUljE0_EEESZ_S10_S11_S18_S1C_S1E_T6_T7_T9_mT8_S1G_bDpT10_ENKUlT_T0_E_clISt17integral_constantIbLb0EES1U_EEDaS1P_S1Q_EUlS1P_E_NS1_11comp_targetILNS1_3genE4ELNS1_11target_archE910ELNS1_3gpuE8ELNS1_3repE0EEENS1_30default_config_static_selectorELNS0_4arch9wavefront6targetE1EEEvS12_,@function
_ZN7rocprim17ROCPRIM_400000_NS6detail17trampoline_kernelINS0_13select_configILj256ELj13ELNS0_17block_load_methodE3ELS4_3ELS4_3ELNS0_20block_scan_algorithmE0ELj4294967295EEENS1_25partition_config_selectorILNS1_17partition_subalgoE4EjNS0_10empty_typeEbEEZZNS1_14partition_implILS8_4ELb0ES6_15HIP_vector_typeIjLj2EENS0_17counting_iteratorIjlEEPS9_SG_NS0_5tupleIJPjSI_NS0_16reverse_iteratorISI_EEEEENSH_IJSG_SG_SG_EEES9_SI_JZNS1_25segmented_radix_sort_implINS0_14default_configELb1EPKfPfPKlPlN2at6native12_GLOBAL__N_18offset_tEEE10hipError_tPvRmT1_PNSt15iterator_traitsIS12_E10value_typeET2_T3_PNS13_IS18_E10value_typeET4_jRbjT5_S1E_jjP12ihipStream_tbEUljE_ZNSN_ISO_Lb1ESQ_SR_ST_SU_SY_EESZ_S10_S11_S12_S16_S17_S18_S1B_S1C_jS1D_jS1E_S1E_jjS1G_bEUljE0_EEESZ_S10_S11_S18_S1C_S1E_T6_T7_T9_mT8_S1G_bDpT10_ENKUlT_T0_E_clISt17integral_constantIbLb0EES1U_EEDaS1P_S1Q_EUlS1P_E_NS1_11comp_targetILNS1_3genE4ELNS1_11target_archE910ELNS1_3gpuE8ELNS1_3repE0EEENS1_30default_config_static_selectorELNS0_4arch9wavefront6targetE1EEEvS12_: ; @_ZN7rocprim17ROCPRIM_400000_NS6detail17trampoline_kernelINS0_13select_configILj256ELj13ELNS0_17block_load_methodE3ELS4_3ELS4_3ELNS0_20block_scan_algorithmE0ELj4294967295EEENS1_25partition_config_selectorILNS1_17partition_subalgoE4EjNS0_10empty_typeEbEEZZNS1_14partition_implILS8_4ELb0ES6_15HIP_vector_typeIjLj2EENS0_17counting_iteratorIjlEEPS9_SG_NS0_5tupleIJPjSI_NS0_16reverse_iteratorISI_EEEEENSH_IJSG_SG_SG_EEES9_SI_JZNS1_25segmented_radix_sort_implINS0_14default_configELb1EPKfPfPKlPlN2at6native12_GLOBAL__N_18offset_tEEE10hipError_tPvRmT1_PNSt15iterator_traitsIS12_E10value_typeET2_T3_PNS13_IS18_E10value_typeET4_jRbjT5_S1E_jjP12ihipStream_tbEUljE_ZNSN_ISO_Lb1ESQ_SR_ST_SU_SY_EESZ_S10_S11_S12_S16_S17_S18_S1B_S1C_jS1D_jS1E_S1E_jjS1G_bEUljE0_EEESZ_S10_S11_S18_S1C_S1E_T6_T7_T9_mT8_S1G_bDpT10_ENKUlT_T0_E_clISt17integral_constantIbLb0EES1U_EEDaS1P_S1Q_EUlS1P_E_NS1_11comp_targetILNS1_3genE4ELNS1_11target_archE910ELNS1_3gpuE8ELNS1_3repE0EEENS1_30default_config_static_selectorELNS0_4arch9wavefront6targetE1EEEvS12_
; %bb.0:
	s_load_dwordx2 s[0:1], s[4:5], 0x68
	s_load_dword s7, s[4:5], 0x8
	s_load_dwordx2 s[56:57], s[4:5], 0x10
	s_load_dwordx4 s[44:47], s[4:5], 0x58
	s_mul_i32 s33, s6, 0xd00
	s_waitcnt lgkmcnt(0)
	v_mov_b32_e32 v3, s1
	v_mov_b32_e32 v2, s0
	s_load_dword s1, s[4:5], 0x80
	s_load_dwordx2 s[60:61], s[4:5], 0xa8
	s_load_dwordx8 s[36:43], s[4:5], 0x88
	s_load_dwordx4 s[48:51], s[46:47], 0x0
	s_waitcnt lgkmcnt(0)
	s_add_i32 s8, s1, -1
	s_mulk_i32 s1, 0xd00
	s_add_u32 s2, s56, s1
	s_addc_u32 s3, s57, 0
	s_cmp_eq_u32 s6, s8
	s_cselect_b64 s[30:31], -1, 0
	s_cmp_lg_u32 s6, s8
	v_cmp_lt_u64_e32 vcc, s[2:3], v[2:3]
	s_cselect_b64 s[2:3], -1, 0
	s_add_i32 s7, s7, s33
	s_or_b64 s[2:3], s[2:3], vcc
	s_add_i32 s7, s7, s56
	v_add_u32_e32 v1, s7, v0
	s_mov_b64 s[8:9], -1
	s_and_b64 vcc, exec, s[2:3]
	s_cbranch_vccz .LBB1261_2
; %bb.1:
	v_add_u32_e32 v2, 0x100, v1
	v_lshlrev_b32_e32 v14, 2, v0
	v_add_u32_e32 v3, 0x200, v1
	v_add_u32_e32 v4, 0x300, v1
	;; [unrolled: 1-line block ×11, first 2 shown]
	ds_write2st64_b32 v14, v1, v2 offset1:4
	ds_write2st64_b32 v14, v3, v4 offset0:8 offset1:12
	ds_write2st64_b32 v14, v5, v6 offset0:16 offset1:20
	;; [unrolled: 1-line block ×5, first 2 shown]
	ds_write_b32 v14, v13 offset:12288
	s_waitcnt lgkmcnt(0)
	s_barrier
	s_mov_b64 s[8:9], 0
.LBB1261_2:
	s_andn2_b64 vcc, exec, s[8:9]
	s_add_i32 s1, s1, s56
	s_cbranch_vccnz .LBB1261_4
; %bb.3:
	v_add_u32_e32 v2, 0x100, v1
	v_lshlrev_b32_e32 v14, 2, v0
	v_add_u32_e32 v3, 0x200, v1
	v_add_u32_e32 v4, 0x300, v1
	;; [unrolled: 1-line block ×11, first 2 shown]
	ds_write2st64_b32 v14, v1, v2 offset1:4
	ds_write2st64_b32 v14, v3, v4 offset0:8 offset1:12
	ds_write2st64_b32 v14, v5, v6 offset0:16 offset1:20
	;; [unrolled: 1-line block ×5, first 2 shown]
	ds_write_b32 v14, v13 offset:12288
	s_waitcnt lgkmcnt(0)
	s_barrier
.LBB1261_4:
	v_mul_u32_u24_e32 v31, 13, v0
	v_lshlrev_b32_e32 v1, 2, v31
	s_load_dwordx4 s[52:55], s[4:5], 0x28
	s_load_dwordx2 s[34:35], s[4:5], 0x38
	s_waitcnt lgkmcnt(0)
	ds_read2_b32 v[18:19], v1 offset1:1
	ds_read2_b32 v[16:17], v1 offset0:2 offset1:3
	ds_read2_b32 v[14:15], v1 offset0:4 offset1:5
	;; [unrolled: 1-line block ×5, first 2 shown]
	ds_read_b32 v30, v1 offset:48
	v_cndmask_b32_e64 v1, 0, 1, s[2:3]
	s_sub_i32 s7, s0, s1
	v_cmp_ne_u32_e64 s[0:1], 1, v1
	s_andn2_b64 vcc, exec, s[2:3]
	s_waitcnt lgkmcnt(0)
	s_barrier
	s_cbranch_vccnz .LBB1261_32
; %bb.5:
	v_add_u32_e32 v1, s37, v18
	v_add_u32_e32 v2, s39, v18
	v_mul_lo_u32 v1, v1, s36
	v_mul_lo_u32 v2, v2, s38
	v_sub_u32_e32 v1, v1, v2
	v_cmp_lt_u32_e32 vcc, s40, v1
	v_cmp_ge_u32_e64 s[2:3], s40, v1
	s_mov_b64 s[64:65], 0
	s_mov_b64 s[62:63], 0
	s_and_saveexec_b64 s[8:9], s[2:3]
; %bb.6:
	v_add_u32_e32 v1, s42, v18
	v_add_u32_e32 v2, s60, v18
	v_mul_lo_u32 v1, v1, s41
	v_mul_lo_u32 v2, v2, s43
	v_sub_u32_e32 v1, v1, v2
	v_cmp_lt_u32_e64 s[2:3], s61, v1
	s_and_b64 s[62:63], s[2:3], exec
; %bb.7:
	s_or_b64 exec, exec, s[8:9]
	v_add_u32_e32 v1, s37, v19
	v_add_u32_e32 v2, s39, v19
	v_mul_lo_u32 v1, v1, s36
	v_mul_lo_u32 v2, v2, s38
	v_sub_u32_e32 v1, v1, v2
	v_cmp_lt_u32_e64 s[2:3], s40, v1
	v_cmp_ge_u32_e64 s[8:9], s40, v1
	s_and_saveexec_b64 s[10:11], s[8:9]
; %bb.8:
	v_add_u32_e32 v1, s42, v19
	v_add_u32_e32 v2, s60, v19
	v_mul_lo_u32 v1, v1, s41
	v_mul_lo_u32 v2, v2, s43
	v_sub_u32_e32 v1, v1, v2
	v_cmp_lt_u32_e64 s[8:9], s61, v1
	s_and_b64 s[64:65], s[8:9], exec
; %bb.9:
	s_or_b64 exec, exec, s[10:11]
	v_add_u32_e32 v1, s37, v16
	v_add_u32_e32 v2, s39, v16
	v_mul_lo_u32 v1, v1, s36
	v_mul_lo_u32 v2, v2, s38
	v_sub_u32_e32 v1, v1, v2
	v_cmp_lt_u32_e64 s[26:27], s40, v1
	v_cmp_ge_u32_e64 s[8:9], s40, v1
	s_mov_b64 s[68:69], 0
	s_mov_b64 s[66:67], 0
	s_and_saveexec_b64 s[10:11], s[8:9]
; %bb.10:
	v_add_u32_e32 v1, s42, v16
	v_add_u32_e32 v2, s60, v16
	v_mul_lo_u32 v1, v1, s41
	v_mul_lo_u32 v2, v2, s43
	v_sub_u32_e32 v1, v1, v2
	v_cmp_lt_u32_e64 s[8:9], s61, v1
	s_and_b64 s[66:67], s[8:9], exec
; %bb.11:
	s_or_b64 exec, exec, s[10:11]
	v_add_u32_e32 v1, s37, v17
	v_add_u32_e32 v2, s39, v17
	v_mul_lo_u32 v1, v1, s36
	v_mul_lo_u32 v2, v2, s38
	v_sub_u32_e32 v1, v1, v2
	v_cmp_lt_u32_e64 s[8:9], s40, v1
	v_cmp_ge_u32_e64 s[10:11], s40, v1
	s_and_saveexec_b64 s[12:13], s[10:11]
; %bb.12:
	v_add_u32_e32 v1, s42, v17
	v_add_u32_e32 v2, s60, v17
	v_mul_lo_u32 v1, v1, s41
	v_mul_lo_u32 v2, v2, s43
	v_sub_u32_e32 v1, v1, v2
	v_cmp_lt_u32_e64 s[10:11], s61, v1
	s_and_b64 s[68:69], s[10:11], exec
; %bb.13:
	s_or_b64 exec, exec, s[12:13]
	v_add_u32_e32 v1, s37, v14
	v_add_u32_e32 v2, s39, v14
	v_mul_lo_u32 v1, v1, s36
	v_mul_lo_u32 v2, v2, s38
	v_sub_u32_e32 v1, v1, v2
	v_cmp_lt_u32_e64 s[10:11], s40, v1
	;; [unrolled: 38-line block ×5, first 2 shown]
	v_cmp_ge_u32_e64 s[24:25], s40, v1
	s_mov_b64 s[84:85], 0
	s_mov_b64 s[86:87], 0
	s_and_saveexec_b64 s[28:29], s[24:25]
; %bb.26:
	v_add_u32_e32 v1, s42, v8
	v_add_u32_e32 v2, s60, v8
	v_mul_lo_u32 v1, v1, s41
	v_mul_lo_u32 v2, v2, s43
	v_sub_u32_e32 v1, v1, v2
	v_cmp_lt_u32_e64 s[24:25], s61, v1
	s_and_b64 s[86:87], s[24:25], exec
; %bb.27:
	s_or_b64 exec, exec, s[28:29]
	v_add_u32_e32 v1, s37, v9
	v_add_u32_e32 v2, s39, v9
	v_mul_lo_u32 v1, v1, s36
	v_mul_lo_u32 v2, v2, s38
	v_sub_u32_e32 v1, v1, v2
	v_cmp_lt_u32_e64 s[24:25], s40, v1
	v_cmp_ge_u32_e64 s[28:29], s40, v1
	s_and_saveexec_b64 s[46:47], s[28:29]
; %bb.28:
	v_add_u32_e32 v1, s42, v9
	v_add_u32_e32 v2, s60, v9
	v_mul_lo_u32 v1, v1, s41
	v_mul_lo_u32 v2, v2, s43
	v_sub_u32_e32 v1, v1, v2
	v_cmp_lt_u32_e64 s[28:29], s61, v1
	s_and_b64 s[84:85], s[28:29], exec
; %bb.29:
	s_or_b64 exec, exec, s[46:47]
	v_add_u32_e32 v1, s37, v30
	v_add_u32_e32 v2, s39, v30
	v_mul_lo_u32 v1, v1, s36
	v_mul_lo_u32 v2, v2, s38
	v_sub_u32_e32 v1, v1, v2
	v_cmp_ge_u32_e64 s[28:29], s40, v1
	s_mov_b64 s[46:47], -1
	s_mov_b64 s[78:79], 0
	s_mov_b64 s[58:59], 0
	s_and_saveexec_b64 s[88:89], s[28:29]
; %bb.30:
	v_add_u32_e32 v1, s42, v30
	v_add_u32_e32 v2, s60, v30
	v_mul_lo_u32 v1, v1, s41
	v_mul_lo_u32 v2, v2, s43
	v_sub_u32_e32 v1, v1, v2
	v_cmp_lt_u32_e64 s[28:29], s61, v1
	s_and_b64 s[58:59], s[28:29], exec
	s_xor_b64 s[46:47], exec, -1
; %bb.31:
	s_or_b64 exec, exec, s[88:89]
	v_cndmask_b32_e64 v52, 0, 1, s[86:87]
	v_cndmask_b32_e64 v55, 0, 1, s[24:25]
	;; [unrolled: 1-line block ×22, first 2 shown]
	v_cndmask_b32_e64 v32, 0, 1, vcc
	v_cndmask_b32_e64 v54, 0, 1, s[84:85]
	s_load_dwordx2 s[12:13], s[4:5], 0x78
	s_add_i32 s18, s7, 0xd00
	s_and_b64 vcc, exec, s[78:79]
	s_cbranch_vccnz .LBB1261_33
	s_branch .LBB1261_86
.LBB1261_32:
                                        ; implicit-def: $sgpr46_sgpr47
                                        ; implicit-def: $sgpr58_sgpr59
                                        ; implicit-def: $vgpr54
                                        ; implicit-def: $vgpr52
                                        ; implicit-def: $vgpr50
                                        ; implicit-def: $vgpr48
                                        ; implicit-def: $vgpr46
                                        ; implicit-def: $vgpr44
                                        ; implicit-def: $vgpr42
                                        ; implicit-def: $vgpr40
                                        ; implicit-def: $vgpr38
                                        ; implicit-def: $vgpr32
                                        ; implicit-def: $vgpr34
                                        ; implicit-def: $vgpr36
                                        ; implicit-def: $vgpr39
                                        ; implicit-def: $vgpr41
                                        ; implicit-def: $vgpr43
                                        ; implicit-def: $vgpr45
                                        ; implicit-def: $vgpr47
                                        ; implicit-def: $vgpr49
                                        ; implicit-def: $vgpr51
                                        ; implicit-def: $vgpr53
                                        ; implicit-def: $vgpr55
                                        ; implicit-def: $vgpr33
                                        ; implicit-def: $vgpr35
                                        ; implicit-def: $vgpr37
	s_load_dwordx2 s[12:13], s[4:5], 0x78
	s_add_i32 s18, s7, 0xd00
	s_cbranch_execz .LBB1261_86
.LBB1261_33:
	v_cmp_gt_u32_e32 vcc, s18, v31
	v_mov_b32_e32 v33, 0
	v_mov_b32_e32 v32, 0
	s_and_saveexec_b64 s[4:5], vcc
	s_cbranch_execz .LBB1261_37
; %bb.34:
	v_add_u32_e32 v1, s37, v18
	v_add_u32_e32 v2, s39, v18
	v_mul_lo_u32 v1, v1, s36
	v_mul_lo_u32 v2, v2, s38
	v_sub_u32_e32 v1, v1, v2
	v_cmp_lt_u32_e32 vcc, s40, v1
	v_cmp_ge_u32_e64 s[2:3], s40, v1
	s_mov_b64 s[10:11], 0
	s_and_saveexec_b64 s[8:9], s[2:3]
; %bb.35:
	v_add_u32_e32 v1, s42, v18
	v_add_u32_e32 v2, s60, v18
	v_mul_lo_u32 v1, v1, s41
	v_mul_lo_u32 v2, v2, s43
	v_sub_u32_e32 v1, v1, v2
	v_cmp_lt_u32_e64 s[2:3], s61, v1
	s_and_b64 s[10:11], s[2:3], exec
; %bb.36:
	s_or_b64 exec, exec, s[8:9]
	v_cndmask_b32_e64 v32, 0, 1, vcc
	v_cndmask_b32_e64 v33, 0, 1, s[10:11]
.LBB1261_37:
	s_or_b64 exec, exec, s[4:5]
	v_add_u32_e32 v1, 1, v31
	v_cmp_gt_u32_e32 vcc, s18, v1
	v_mov_b32_e32 v34, 0
	v_mov_b32_e32 v35, 0
	s_and_saveexec_b64 s[4:5], vcc
	s_cbranch_execz .LBB1261_41
; %bb.38:
	v_add_u32_e32 v1, s37, v19
	v_add_u32_e32 v2, s39, v19
	v_mul_lo_u32 v1, v1, s36
	v_mul_lo_u32 v2, v2, s38
	v_sub_u32_e32 v1, v1, v2
	v_cmp_lt_u32_e32 vcc, s40, v1
	v_cmp_ge_u32_e64 s[2:3], s40, v1
	s_mov_b64 s[10:11], 0
	s_and_saveexec_b64 s[8:9], s[2:3]
; %bb.39:
	v_add_u32_e32 v1, s42, v19
	v_add_u32_e32 v2, s60, v19
	v_mul_lo_u32 v1, v1, s41
	v_mul_lo_u32 v2, v2, s43
	v_sub_u32_e32 v1, v1, v2
	v_cmp_lt_u32_e64 s[2:3], s61, v1
	s_and_b64 s[10:11], s[2:3], exec
; %bb.40:
	s_or_b64 exec, exec, s[8:9]
	v_cndmask_b32_e64 v34, 0, 1, vcc
	v_cndmask_b32_e64 v35, 0, 1, s[10:11]
.LBB1261_41:
	s_or_b64 exec, exec, s[4:5]
	v_add_u32_e32 v1, 2, v31
	v_cmp_gt_u32_e32 vcc, s18, v1
	v_mov_b32_e32 v36, 0
	v_mov_b32_e32 v37, 0
	s_and_saveexec_b64 s[4:5], vcc
	s_cbranch_execz .LBB1261_45
; %bb.42:
	v_add_u32_e32 v1, s37, v16
	v_add_u32_e32 v2, s39, v16
	v_mul_lo_u32 v1, v1, s36
	v_mul_lo_u32 v2, v2, s38
	v_sub_u32_e32 v1, v1, v2
	v_cmp_lt_u32_e32 vcc, s40, v1
	v_cmp_ge_u32_e64 s[2:3], s40, v1
	s_mov_b64 s[10:11], 0
	s_and_saveexec_b64 s[8:9], s[2:3]
; %bb.43:
	v_add_u32_e32 v1, s42, v16
	v_add_u32_e32 v2, s60, v16
	v_mul_lo_u32 v1, v1, s41
	v_mul_lo_u32 v2, v2, s43
	v_sub_u32_e32 v1, v1, v2
	v_cmp_lt_u32_e64 s[2:3], s61, v1
	s_and_b64 s[10:11], s[2:3], exec
; %bb.44:
	s_or_b64 exec, exec, s[8:9]
	v_cndmask_b32_e64 v36, 0, 1, vcc
	v_cndmask_b32_e64 v37, 0, 1, s[10:11]
.LBB1261_45:
	s_or_b64 exec, exec, s[4:5]
	v_add_u32_e32 v1, 3, v31
	v_cmp_gt_u32_e32 vcc, s18, v1
	v_mov_b32_e32 v38, 0
	v_mov_b32_e32 v39, 0
	s_and_saveexec_b64 s[4:5], vcc
	s_cbranch_execz .LBB1261_49
; %bb.46:
	v_add_u32_e32 v1, s37, v17
	v_add_u32_e32 v2, s39, v17
	v_mul_lo_u32 v1, v1, s36
	v_mul_lo_u32 v2, v2, s38
	v_sub_u32_e32 v1, v1, v2
	v_cmp_lt_u32_e32 vcc, s40, v1
	v_cmp_ge_u32_e64 s[2:3], s40, v1
	s_mov_b64 s[10:11], 0
	s_and_saveexec_b64 s[8:9], s[2:3]
; %bb.47:
	v_add_u32_e32 v1, s42, v17
	v_add_u32_e32 v2, s60, v17
	v_mul_lo_u32 v1, v1, s41
	v_mul_lo_u32 v2, v2, s43
	v_sub_u32_e32 v1, v1, v2
	v_cmp_lt_u32_e64 s[2:3], s61, v1
	s_and_b64 s[10:11], s[2:3], exec
; %bb.48:
	s_or_b64 exec, exec, s[8:9]
	v_cndmask_b32_e64 v39, 0, 1, vcc
	v_cndmask_b32_e64 v38, 0, 1, s[10:11]
.LBB1261_49:
	s_or_b64 exec, exec, s[4:5]
	v_add_u32_e32 v1, 4, v31
	v_cmp_gt_u32_e32 vcc, s18, v1
	v_mov_b32_e32 v40, 0
	v_mov_b32_e32 v41, 0
	s_and_saveexec_b64 s[4:5], vcc
	s_cbranch_execz .LBB1261_53
; %bb.50:
	v_add_u32_e32 v1, s37, v14
	v_add_u32_e32 v2, s39, v14
	v_mul_lo_u32 v1, v1, s36
	v_mul_lo_u32 v2, v2, s38
	v_sub_u32_e32 v1, v1, v2
	v_cmp_lt_u32_e32 vcc, s40, v1
	v_cmp_ge_u32_e64 s[2:3], s40, v1
	s_mov_b64 s[10:11], 0
	s_and_saveexec_b64 s[8:9], s[2:3]
; %bb.51:
	v_add_u32_e32 v1, s42, v14
	v_add_u32_e32 v2, s60, v14
	v_mul_lo_u32 v1, v1, s41
	v_mul_lo_u32 v2, v2, s43
	v_sub_u32_e32 v1, v1, v2
	v_cmp_lt_u32_e64 s[2:3], s61, v1
	s_and_b64 s[10:11], s[2:3], exec
; %bb.52:
	s_or_b64 exec, exec, s[8:9]
	v_cndmask_b32_e64 v41, 0, 1, vcc
	v_cndmask_b32_e64 v40, 0, 1, s[10:11]
.LBB1261_53:
	s_or_b64 exec, exec, s[4:5]
	v_add_u32_e32 v1, 5, v31
	v_cmp_gt_u32_e32 vcc, s18, v1
	v_mov_b32_e32 v42, 0
	v_mov_b32_e32 v43, 0
	s_and_saveexec_b64 s[4:5], vcc
	s_cbranch_execz .LBB1261_57
; %bb.54:
	v_add_u32_e32 v1, s37, v15
	v_add_u32_e32 v2, s39, v15
	v_mul_lo_u32 v1, v1, s36
	v_mul_lo_u32 v2, v2, s38
	v_sub_u32_e32 v1, v1, v2
	v_cmp_lt_u32_e32 vcc, s40, v1
	v_cmp_ge_u32_e64 s[2:3], s40, v1
	s_mov_b64 s[10:11], 0
	s_and_saveexec_b64 s[8:9], s[2:3]
; %bb.55:
	v_add_u32_e32 v1, s42, v15
	v_add_u32_e32 v2, s60, v15
	v_mul_lo_u32 v1, v1, s41
	v_mul_lo_u32 v2, v2, s43
	v_sub_u32_e32 v1, v1, v2
	v_cmp_lt_u32_e64 s[2:3], s61, v1
	s_and_b64 s[10:11], s[2:3], exec
; %bb.56:
	s_or_b64 exec, exec, s[8:9]
	v_cndmask_b32_e64 v43, 0, 1, vcc
	v_cndmask_b32_e64 v42, 0, 1, s[10:11]
.LBB1261_57:
	s_or_b64 exec, exec, s[4:5]
	v_add_u32_e32 v1, 6, v31
	v_cmp_gt_u32_e32 vcc, s18, v1
	v_mov_b32_e32 v44, 0
	v_mov_b32_e32 v45, 0
	s_and_saveexec_b64 s[4:5], vcc
	s_cbranch_execz .LBB1261_61
; %bb.58:
	v_add_u32_e32 v1, s37, v12
	v_add_u32_e32 v2, s39, v12
	v_mul_lo_u32 v1, v1, s36
	v_mul_lo_u32 v2, v2, s38
	v_sub_u32_e32 v1, v1, v2
	v_cmp_lt_u32_e32 vcc, s40, v1
	v_cmp_ge_u32_e64 s[2:3], s40, v1
	s_mov_b64 s[10:11], 0
	s_and_saveexec_b64 s[8:9], s[2:3]
; %bb.59:
	v_add_u32_e32 v1, s42, v12
	v_add_u32_e32 v2, s60, v12
	v_mul_lo_u32 v1, v1, s41
	v_mul_lo_u32 v2, v2, s43
	v_sub_u32_e32 v1, v1, v2
	v_cmp_lt_u32_e64 s[2:3], s61, v1
	s_and_b64 s[10:11], s[2:3], exec
; %bb.60:
	s_or_b64 exec, exec, s[8:9]
	v_cndmask_b32_e64 v45, 0, 1, vcc
	v_cndmask_b32_e64 v44, 0, 1, s[10:11]
.LBB1261_61:
	s_or_b64 exec, exec, s[4:5]
	v_add_u32_e32 v1, 7, v31
	v_cmp_gt_u32_e32 vcc, s18, v1
	v_mov_b32_e32 v46, 0
	v_mov_b32_e32 v47, 0
	s_and_saveexec_b64 s[4:5], vcc
	s_cbranch_execz .LBB1261_65
; %bb.62:
	v_add_u32_e32 v1, s37, v13
	v_add_u32_e32 v2, s39, v13
	v_mul_lo_u32 v1, v1, s36
	v_mul_lo_u32 v2, v2, s38
	v_sub_u32_e32 v1, v1, v2
	v_cmp_lt_u32_e32 vcc, s40, v1
	v_cmp_ge_u32_e64 s[2:3], s40, v1
	s_mov_b64 s[10:11], 0
	s_and_saveexec_b64 s[8:9], s[2:3]
; %bb.63:
	v_add_u32_e32 v1, s42, v13
	v_add_u32_e32 v2, s60, v13
	v_mul_lo_u32 v1, v1, s41
	v_mul_lo_u32 v2, v2, s43
	v_sub_u32_e32 v1, v1, v2
	v_cmp_lt_u32_e64 s[2:3], s61, v1
	s_and_b64 s[10:11], s[2:3], exec
; %bb.64:
	s_or_b64 exec, exec, s[8:9]
	v_cndmask_b32_e64 v47, 0, 1, vcc
	v_cndmask_b32_e64 v46, 0, 1, s[10:11]
.LBB1261_65:
	s_or_b64 exec, exec, s[4:5]
	v_add_u32_e32 v1, 8, v31
	v_cmp_gt_u32_e32 vcc, s18, v1
	v_mov_b32_e32 v48, 0
	v_mov_b32_e32 v49, 0
	s_and_saveexec_b64 s[4:5], vcc
	s_cbranch_execz .LBB1261_69
; %bb.66:
	v_add_u32_e32 v1, s37, v10
	v_add_u32_e32 v2, s39, v10
	v_mul_lo_u32 v1, v1, s36
	v_mul_lo_u32 v2, v2, s38
	v_sub_u32_e32 v1, v1, v2
	v_cmp_lt_u32_e32 vcc, s40, v1
	v_cmp_ge_u32_e64 s[2:3], s40, v1
	s_mov_b64 s[10:11], 0
	s_and_saveexec_b64 s[8:9], s[2:3]
; %bb.67:
	v_add_u32_e32 v1, s42, v10
	v_add_u32_e32 v2, s60, v10
	v_mul_lo_u32 v1, v1, s41
	v_mul_lo_u32 v2, v2, s43
	v_sub_u32_e32 v1, v1, v2
	v_cmp_lt_u32_e64 s[2:3], s61, v1
	s_and_b64 s[10:11], s[2:3], exec
; %bb.68:
	s_or_b64 exec, exec, s[8:9]
	v_cndmask_b32_e64 v49, 0, 1, vcc
	v_cndmask_b32_e64 v48, 0, 1, s[10:11]
.LBB1261_69:
	s_or_b64 exec, exec, s[4:5]
	v_add_u32_e32 v1, 9, v31
	v_cmp_gt_u32_e32 vcc, s18, v1
	v_mov_b32_e32 v50, 0
	v_mov_b32_e32 v51, 0
	s_and_saveexec_b64 s[4:5], vcc
	s_cbranch_execz .LBB1261_73
; %bb.70:
	v_add_u32_e32 v1, s37, v11
	v_add_u32_e32 v2, s39, v11
	v_mul_lo_u32 v1, v1, s36
	v_mul_lo_u32 v2, v2, s38
	v_sub_u32_e32 v1, v1, v2
	v_cmp_lt_u32_e32 vcc, s40, v1
	v_cmp_ge_u32_e64 s[2:3], s40, v1
	s_mov_b64 s[10:11], 0
	s_and_saveexec_b64 s[8:9], s[2:3]
; %bb.71:
	v_add_u32_e32 v1, s42, v11
	v_add_u32_e32 v2, s60, v11
	v_mul_lo_u32 v1, v1, s41
	v_mul_lo_u32 v2, v2, s43
	v_sub_u32_e32 v1, v1, v2
	v_cmp_lt_u32_e64 s[2:3], s61, v1
	s_and_b64 s[10:11], s[2:3], exec
; %bb.72:
	s_or_b64 exec, exec, s[8:9]
	v_cndmask_b32_e64 v51, 0, 1, vcc
	v_cndmask_b32_e64 v50, 0, 1, s[10:11]
.LBB1261_73:
	s_or_b64 exec, exec, s[4:5]
	v_add_u32_e32 v1, 10, v31
	v_cmp_gt_u32_e32 vcc, s18, v1
	v_mov_b32_e32 v52, 0
	v_mov_b32_e32 v53, 0
	s_and_saveexec_b64 s[4:5], vcc
	s_cbranch_execz .LBB1261_77
; %bb.74:
	v_add_u32_e32 v1, s37, v8
	v_add_u32_e32 v2, s39, v8
	v_mul_lo_u32 v1, v1, s36
	v_mul_lo_u32 v2, v2, s38
	v_sub_u32_e32 v1, v1, v2
	v_cmp_lt_u32_e32 vcc, s40, v1
	v_cmp_ge_u32_e64 s[2:3], s40, v1
	s_mov_b64 s[10:11], 0
	s_and_saveexec_b64 s[8:9], s[2:3]
; %bb.75:
	v_add_u32_e32 v1, s42, v8
	v_add_u32_e32 v2, s60, v8
	v_mul_lo_u32 v1, v1, s41
	v_mul_lo_u32 v2, v2, s43
	v_sub_u32_e32 v1, v1, v2
	v_cmp_lt_u32_e64 s[2:3], s61, v1
	s_and_b64 s[10:11], s[2:3], exec
; %bb.76:
	s_or_b64 exec, exec, s[8:9]
	v_cndmask_b32_e64 v53, 0, 1, vcc
	v_cndmask_b32_e64 v52, 0, 1, s[10:11]
.LBB1261_77:
	s_or_b64 exec, exec, s[4:5]
	v_add_u32_e32 v1, 11, v31
	v_cmp_gt_u32_e32 vcc, s18, v1
	v_mov_b32_e32 v54, 0
	v_mov_b32_e32 v55, 0
	s_and_saveexec_b64 s[4:5], vcc
	s_cbranch_execz .LBB1261_81
; %bb.78:
	v_add_u32_e32 v1, s37, v9
	v_add_u32_e32 v2, s39, v9
	v_mul_lo_u32 v1, v1, s36
	v_mul_lo_u32 v2, v2, s38
	v_sub_u32_e32 v1, v1, v2
	v_cmp_lt_u32_e32 vcc, s40, v1
	v_cmp_ge_u32_e64 s[2:3], s40, v1
	s_mov_b64 s[10:11], 0
	s_and_saveexec_b64 s[8:9], s[2:3]
; %bb.79:
	v_add_u32_e32 v1, s42, v9
	v_add_u32_e32 v2, s60, v9
	v_mul_lo_u32 v1, v1, s41
	v_mul_lo_u32 v2, v2, s43
	v_sub_u32_e32 v1, v1, v2
	v_cmp_lt_u32_e64 s[2:3], s61, v1
	s_and_b64 s[10:11], s[2:3], exec
; %bb.80:
	s_or_b64 exec, exec, s[8:9]
	v_cndmask_b32_e64 v55, 0, 1, vcc
	v_cndmask_b32_e64 v54, 0, 1, s[10:11]
.LBB1261_81:
	s_or_b64 exec, exec, s[4:5]
	v_add_u32_e32 v1, 12, v31
	v_cmp_gt_u32_e32 vcc, s18, v1
	s_mov_b64 s[46:47], 0
	s_mov_b64 s[58:59], 0
	s_and_saveexec_b64 s[2:3], vcc
	s_cbranch_execz .LBB1261_85
; %bb.82:
	v_add_u32_e32 v1, s37, v30
	v_add_u32_e32 v2, s39, v30
	v_mul_lo_u32 v1, v1, s36
	v_mul_lo_u32 v2, v2, s38
	v_sub_u32_e32 v1, v1, v2
	v_cmp_ge_u32_e32 vcc, s40, v1
	s_mov_b64 s[8:9], -1
	s_mov_b64 s[10:11], 0
	s_and_saveexec_b64 s[4:5], vcc
; %bb.83:
	v_add_u32_e32 v1, s42, v30
	v_add_u32_e32 v2, s60, v30
	v_mul_lo_u32 v1, v1, s41
	v_mul_lo_u32 v2, v2, s43
	v_sub_u32_e32 v1, v1, v2
	v_cmp_lt_u32_e32 vcc, s61, v1
	s_and_b64 s[10:11], vcc, exec
	s_xor_b64 s[8:9], exec, -1
; %bb.84:
	s_or_b64 exec, exec, s[4:5]
	s_and_b64 s[58:59], s[10:11], exec
	s_and_b64 s[46:47], s[8:9], exec
.LBB1261_85:
	s_or_b64 exec, exec, s[2:3]
.LBB1261_86:
	v_and_b32_e32 v63, 0xff, v33
	v_and_b32_e32 v74, 0xff, v35
	v_and_b32_e32 v65, 0xff, v37
	v_and_b32_e32 v75, 0xff, v38
	v_and_b32_e32 v67, 0xff, v40
	v_add3_u32 v2, v74, v65, v63
	v_and_b32_e32 v76, 0xff, v42
	v_and_b32_e32 v69, 0xff, v44
	v_add3_u32 v2, v2, v75, v67
	v_and_b32_e32 v62, 0xff, v32
	v_and_b32_e32 v56, 0xff, v34
	;; [unrolled: 1-line block ×5, first 2 shown]
	v_add3_u32 v2, v2, v76, v69
	v_and_b32_e32 v57, 0xff, v39
	v_and_b32_e32 v66, 0xff, v41
	;; [unrolled: 1-line block ×4, first 2 shown]
	v_add3_u32 v3, v56, v64, v62
	v_add3_u32 v2, v2, v77, v71
	v_and_b32_e32 v58, 0xff, v43
	v_and_b32_e32 v68, 0xff, v45
	;; [unrolled: 1-line block ×3, first 2 shown]
	v_cndmask_b32_e64 v1, 0, 1, s[58:59]
	v_add3_u32 v3, v3, v57, v66
	v_add3_u32 v2, v2, v78, v73
	v_and_b32_e32 v59, 0xff, v47
	v_and_b32_e32 v70, 0xff, v49
	v_add3_u32 v3, v3, v58, v68
	v_add3_u32 v86, v2, v79, v1
	v_mbcnt_lo_u32_b32 v1, -1, 0
	v_and_b32_e32 v60, 0xff, v51
	v_and_b32_e32 v72, 0xff, v53
	v_add3_u32 v3, v3, v59, v70
	v_mbcnt_hi_u32_b32 v80, -1, v1
	v_and_b32_e32 v61, 0xff, v55
	v_add3_u32 v3, v3, v60, v72
	v_cndmask_b32_e64 v4, 0, 1, s[46:47]
	v_and_b32_e32 v84, 15, v80
	s_cmp_lg_u32 s6, 0
	v_add3_u32 v85, v3, v61, v4
	v_cmp_eq_u32_e64 s[4:5], 0, v84
	v_cmp_lt_u32_e64 s[2:3], 1, v84
	v_cmp_lt_u32_e64 s[8:9], 3, v84
	;; [unrolled: 1-line block ×3, first 2 shown]
	v_and_b32_e32 v83, 16, v80
	v_cmp_lt_u32_e32 vcc, 31, v80
	v_lshrrev_b32_e32 v81, 6, v0
	v_or_b32_e32 v82, 63, v0
	s_cbranch_scc0 .LBB1261_115
; %bb.87:
	v_mov_b32_dpp v1, v85 row_shr:1 row_mask:0xf bank_mask:0xf
	v_mov_b32_dpp v2, v86 row_shr:1 row_mask:0xf bank_mask:0xf
	v_add_u32_e32 v1, v1, v85
	v_add_u32_e32 v2, v2, v86
	v_cndmask_b32_e64 v2, v2, v86, s[4:5]
	v_cndmask_b32_e64 v1, v1, v85, s[4:5]
	s_nop 0
	v_mov_b32_dpp v4, v2 row_shr:2 row_mask:0xf bank_mask:0xf
	v_mov_b32_dpp v3, v1 row_shr:2 row_mask:0xf bank_mask:0xf
	v_add_u32_e32 v3, v1, v3
	v_add_u32_e32 v4, v2, v4
	v_cndmask_b32_e64 v2, v2, v4, s[2:3]
	v_cndmask_b32_e64 v1, v1, v3, s[2:3]
	s_nop 0
	v_mov_b32_dpp v4, v2 row_shr:4 row_mask:0xf bank_mask:0xf
	v_mov_b32_dpp v3, v1 row_shr:4 row_mask:0xf bank_mask:0xf
	v_add_u32_e32 v3, v1, v3
	v_add_u32_e32 v4, v2, v4
	v_cndmask_b32_e64 v2, v2, v4, s[8:9]
	v_cndmask_b32_e64 v1, v1, v3, s[8:9]
	v_cmp_eq_u32_e64 s[8:9], 0, v83
	v_mov_b32_dpp v4, v2 row_shr:8 row_mask:0xf bank_mask:0xf
	v_mov_b32_dpp v3, v1 row_shr:8 row_mask:0xf bank_mask:0xf
	v_add_u32_e32 v3, v1, v3
	v_add_u32_e32 v4, v2, v4
	v_cndmask_b32_e64 v2, v2, v4, s[10:11]
	v_cndmask_b32_e64 v1, v1, v3, s[10:11]
	s_nop 0
	v_mov_b32_dpp v4, v2 row_bcast:15 row_mask:0xf bank_mask:0xf
	v_mov_b32_dpp v3, v1 row_bcast:15 row_mask:0xf bank_mask:0xf
	v_add_u32_e32 v3, v1, v3
	v_add_u32_e32 v4, v2, v4
	v_cndmask_b32_e64 v2, v4, v2, s[8:9]
	v_cndmask_b32_e64 v1, v3, v1, s[8:9]
	s_nop 0
	v_mov_b32_dpp v4, v2 row_bcast:31 row_mask:0xf bank_mask:0xf
	v_mov_b32_dpp v3, v1 row_bcast:31 row_mask:0xf bank_mask:0xf
	v_add_u32_e32 v4, v2, v4
	v_add_u32_e32 v5, v1, v3
	v_cndmask_b32_e32 v3, v2, v4, vcc
	v_cndmask_b32_e32 v2, v1, v5, vcc
	v_cmp_eq_u32_e32 vcc, v82, v0
	s_and_saveexec_b64 s[8:9], vcc
	s_cbranch_execz .LBB1261_89
; %bb.88:
	v_lshlrev_b32_e32 v1, 3, v81
	ds_write_b64 v1, v[2:3]
.LBB1261_89:
	s_or_b64 exec, exec, s[8:9]
	v_cmp_gt_u32_e32 vcc, 4, v0
	s_waitcnt lgkmcnt(0)
	s_barrier
	s_and_saveexec_b64 s[8:9], vcc
	s_cbranch_execz .LBB1261_91
; %bb.90:
	v_lshlrev_b32_e32 v1, 3, v0
	ds_read_b64 v[4:5], v1
	v_and_b32_e32 v6, 3, v80
	v_cmp_eq_u32_e32 vcc, 0, v6
	s_waitcnt lgkmcnt(0)
	v_mov_b32_dpp v7, v4 row_shr:1 row_mask:0xf bank_mask:0xf
	v_mov_b32_dpp v20, v5 row_shr:1 row_mask:0xf bank_mask:0xf
	v_add_u32_e32 v7, v7, v4
	v_add_u32_e32 v20, v20, v5
	v_cndmask_b32_e32 v5, v20, v5, vcc
	v_cndmask_b32_e32 v4, v7, v4, vcc
	v_cmp_lt_u32_e32 vcc, 1, v6
	v_mov_b32_dpp v20, v5 row_shr:2 row_mask:0xf bank_mask:0xf
	v_mov_b32_dpp v7, v4 row_shr:2 row_mask:0xf bank_mask:0xf
	v_cndmask_b32_e32 v6, 0, v7, vcc
	v_cndmask_b32_e32 v7, 0, v20, vcc
	v_add_u32_e32 v5, v7, v5
	v_add_u32_e32 v4, v6, v4
	ds_write_b64 v1, v[4:5]
.LBB1261_91:
	s_or_b64 exec, exec, s[8:9]
	v_cmp_gt_u32_e32 vcc, 64, v0
	v_cmp_lt_u32_e64 s[8:9], 63, v0
	s_waitcnt lgkmcnt(0)
	s_barrier
	s_waitcnt lgkmcnt(0)
                                        ; implicit-def: $vgpr21
	s_and_saveexec_b64 s[10:11], s[8:9]
	s_xor_b64 s[8:9], exec, s[10:11]
	s_cbranch_execz .LBB1261_93
; %bb.92:
	v_lshl_add_u32 v1, v81, 3, -8
	ds_read_b64 v[20:21], v1
	s_waitcnt lgkmcnt(0)
	v_add_u32_e32 v3, v21, v3
	v_add_u32_e32 v2, v20, v2
.LBB1261_93:
	s_andn2_saveexec_b64 s[8:9], s[8:9]
; %bb.94:
                                        ; implicit-def: $vgpr20
; %bb.95:
	s_or_b64 exec, exec, s[8:9]
	v_add_u32_e32 v1, -1, v80
	v_and_b32_e32 v4, 64, v80
	v_cmp_lt_i32_e64 s[8:9], v1, v4
	v_cndmask_b32_e64 v1, v1, v80, s[8:9]
	v_lshlrev_b32_e32 v4, 2, v1
	ds_bpermute_b32 v1, v4, v2
	ds_bpermute_b32 v87, v4, v3
	v_cmp_eq_u32_e64 s[8:9], 0, v80
	s_and_saveexec_b64 s[10:11], vcc
	s_cbranch_execz .LBB1261_114
; %bb.96:
	v_mov_b32_e32 v7, 0
	ds_read_b64 v[22:23], v7 offset:24
	s_and_saveexec_b64 s[14:15], s[8:9]
	s_cbranch_execz .LBB1261_98
; %bb.97:
	s_add_i32 s16, s6, 64
	s_mov_b32 s17, 0
	s_lshl_b64 s[16:17], s[16:17], 4
	s_waitcnt lgkmcnt(0)
	v_and_b32_e32 v2, 0xff000000, v23
	v_and_b32_e32 v3, 0xff0000, v23
	s_add_u32 s16, s12, s16
	v_or_b32_e32 v2, v3, v2
	v_and_b32_e32 v3, 0xff00, v23
	s_addc_u32 s17, s13, s17
	v_or_b32_e32 v2, v2, v3
	v_or_b32_sdwa v5, v2, v23 dst_sel:DWORD dst_unused:UNUSED_PAD src0_sel:DWORD src1_sel:BYTE_0
	v_mov_b32_e32 v6, 1
	v_mov_b32_e32 v4, v22
	v_pk_mov_b32 v[2:3], s[16:17], s[16:17] op_sel:[0,1]
	;;#ASMSTART
	global_store_dwordx4 v[2:3], v[4:7] off	
s_waitcnt vmcnt(0)
	;;#ASMEND
.LBB1261_98:
	s_or_b64 exec, exec, s[14:15]
	v_xad_u32 v24, v80, -1, s6
	v_add_u32_e32 v6, 64, v24
	v_lshlrev_b64 v[2:3], 4, v[6:7]
	v_mov_b32_e32 v4, s13
	v_add_co_u32_e32 v26, vcc, s12, v2
	v_addc_co_u32_e32 v27, vcc, v4, v3, vcc
	;;#ASMSTART
	global_load_dwordx4 v[2:5], v[26:27] off glc	
s_waitcnt vmcnt(0)
	;;#ASMEND
	v_and_b32_e32 v5, 0xff, v3
	v_and_b32_e32 v6, 0xff00, v3
	v_or3_b32 v5, 0, v5, v6
	v_or3_b32 v2, v2, 0, 0
	v_and_b32_e32 v6, 0xff000000, v3
	v_and_b32_e32 v3, 0xff0000, v3
	v_or3_b32 v3, v5, v3, v6
	v_or3_b32 v2, v2, 0, 0
	v_cmp_eq_u16_sdwa s[16:17], v4, v7 src0_sel:BYTE_0 src1_sel:DWORD
	s_and_saveexec_b64 s[14:15], s[16:17]
	s_cbranch_execz .LBB1261_102
; %bb.99:
	s_mov_b64 s[16:17], 0
	v_mov_b32_e32 v6, 0
.LBB1261_100:                           ; =>This Inner Loop Header: Depth=1
	;;#ASMSTART
	global_load_dwordx4 v[2:5], v[26:27] off glc	
s_waitcnt vmcnt(0)
	;;#ASMEND
	v_cmp_ne_u16_sdwa s[20:21], v4, v6 src0_sel:BYTE_0 src1_sel:DWORD
	s_or_b64 s[16:17], s[20:21], s[16:17]
	s_andn2_b64 exec, exec, s[16:17]
	s_cbranch_execnz .LBB1261_100
; %bb.101:
	s_or_b64 exec, exec, s[16:17]
.LBB1261_102:
	s_or_b64 exec, exec, s[14:15]
	v_and_b32_e32 v89, 63, v80
	v_cmp_ne_u32_e32 vcc, 63, v89
	v_mov_b32_e32 v88, 2
	v_addc_co_u32_e32 v26, vcc, 0, v80, vcc
	v_cmp_eq_u16_sdwa s[14:15], v4, v88 src0_sel:BYTE_0 src1_sel:DWORD
	v_lshlrev_b64 v[6:7], v80, -1
	v_lshlrev_b32_e32 v90, 2, v26
	v_and_b32_e32 v5, s15, v7
	ds_bpermute_b32 v26, v90, v2
	ds_bpermute_b32 v27, v90, v3
	v_or_b32_e32 v5, 0x80000000, v5
	v_and_b32_e32 v25, s14, v6
	v_ffbl_b32_e32 v5, v5
	v_add_u32_e32 v5, 32, v5
	v_ffbl_b32_e32 v25, v25
	v_min_u32_e32 v5, v25, v5
	s_waitcnt lgkmcnt(1)
	v_add_u32_e32 v25, v26, v2
	s_waitcnt lgkmcnt(0)
	v_add_u32_e32 v26, v27, v3
	v_cmp_lt_u32_e32 vcc, v89, v5
	v_cndmask_b32_e32 v3, v3, v26, vcc
	v_cndmask_b32_e32 v2, v2, v25, vcc
	v_cmp_gt_u32_e32 vcc, 62, v89
	v_cndmask_b32_e64 v25, 0, 1, vcc
	v_lshlrev_b32_e32 v25, 1, v25
	v_add_lshl_u32 v91, v25, v80, 2
	ds_bpermute_b32 v25, v91, v2
	ds_bpermute_b32 v26, v91, v3
	v_add_u32_e32 v92, 2, v89
	v_cmp_gt_u32_e32 vcc, v92, v5
	v_add_u32_e32 v94, 4, v89
	s_waitcnt lgkmcnt(1)
	v_add_u32_e32 v25, v2, v25
	s_waitcnt lgkmcnt(0)
	v_add_u32_e32 v26, v3, v26
	v_cndmask_b32_e32 v3, v26, v3, vcc
	v_cndmask_b32_e32 v2, v25, v2, vcc
	v_cmp_gt_u32_e32 vcc, 60, v89
	v_cndmask_b32_e64 v25, 0, 1, vcc
	v_lshlrev_b32_e32 v25, 2, v25
	v_add_lshl_u32 v93, v25, v80, 2
	ds_bpermute_b32 v25, v93, v2
	ds_bpermute_b32 v26, v93, v3
	v_cmp_gt_u32_e32 vcc, v94, v5
	v_add_u32_e32 v96, 8, v89
	v_add_u32_e32 v98, 16, v89
	s_waitcnt lgkmcnt(1)
	v_add_u32_e32 v25, v2, v25
	s_waitcnt lgkmcnt(0)
	v_add_u32_e32 v26, v3, v26
	v_cndmask_b32_e32 v3, v26, v3, vcc
	v_cndmask_b32_e32 v2, v25, v2, vcc
	v_cmp_gt_u32_e32 vcc, 56, v89
	v_cndmask_b32_e64 v25, 0, 1, vcc
	v_lshlrev_b32_e32 v25, 3, v25
	v_add_lshl_u32 v95, v25, v80, 2
	ds_bpermute_b32 v25, v95, v2
	ds_bpermute_b32 v26, v95, v3
	v_cmp_gt_u32_e32 vcc, v96, v5
	v_add_u32_e32 v100, 32, v89
	s_waitcnt lgkmcnt(1)
	v_add_u32_e32 v25, v2, v25
	s_waitcnt lgkmcnt(0)
	v_add_u32_e32 v26, v3, v26
	v_cndmask_b32_e32 v3, v26, v3, vcc
	v_cndmask_b32_e32 v2, v25, v2, vcc
	v_cmp_gt_u32_e32 vcc, 48, v89
	v_cndmask_b32_e64 v25, 0, 1, vcc
	v_lshlrev_b32_e32 v25, 4, v25
	v_add_lshl_u32 v97, v25, v80, 2
	ds_bpermute_b32 v25, v97, v2
	ds_bpermute_b32 v26, v97, v3
	v_cmp_gt_u32_e32 vcc, v98, v5
	s_waitcnt lgkmcnt(1)
	v_add_u32_e32 v25, v2, v25
	s_waitcnt lgkmcnt(0)
	v_add_u32_e32 v26, v3, v26
	v_cndmask_b32_e32 v3, v26, v3, vcc
	v_cndmask_b32_e32 v2, v25, v2, vcc
	v_cmp_gt_u32_e32 vcc, 32, v89
	v_cndmask_b32_e64 v25, 0, 1, vcc
	v_lshlrev_b32_e32 v25, 5, v25
	v_add_lshl_u32 v99, v25, v80, 2
	ds_bpermute_b32 v25, v99, v2
	ds_bpermute_b32 v26, v99, v3
	v_cmp_le_u32_e32 vcc, v100, v5
	s_waitcnt lgkmcnt(1)
	v_cndmask_b32_e32 v5, 0, v25, vcc
	s_waitcnt lgkmcnt(0)
	v_cndmask_b32_e32 v25, 0, v26, vcc
	v_add_u32_e32 v3, v3, v25
	v_add_u32_e32 v2, v2, v5
	v_mov_b32_e32 v25, 0
	s_branch .LBB1261_104
.LBB1261_103:                           ;   in Loop: Header=BB1261_104 Depth=1
	s_or_b64 exec, exec, s[14:15]
	v_cmp_eq_u16_sdwa s[14:15], v4, v88 src0_sel:BYTE_0 src1_sel:DWORD
	v_and_b32_e32 v5, s15, v7
	ds_bpermute_b32 v29, v90, v2
	ds_bpermute_b32 v101, v90, v3
	v_or_b32_e32 v5, 0x80000000, v5
	v_and_b32_e32 v28, s14, v6
	v_ffbl_b32_e32 v5, v5
	v_add_u32_e32 v5, 32, v5
	v_ffbl_b32_e32 v28, v28
	v_min_u32_e32 v5, v28, v5
	s_waitcnt lgkmcnt(1)
	v_add_u32_e32 v28, v29, v2
	s_waitcnt lgkmcnt(0)
	v_add_u32_e32 v29, v101, v3
	v_cmp_lt_u32_e32 vcc, v89, v5
	v_cndmask_b32_e32 v3, v3, v29, vcc
	v_cndmask_b32_e32 v2, v2, v28, vcc
	ds_bpermute_b32 v28, v91, v2
	ds_bpermute_b32 v29, v91, v3
	v_cmp_gt_u32_e32 vcc, v92, v5
	v_subrev_u32_e32 v24, 64, v24
	s_waitcnt lgkmcnt(1)
	v_add_u32_e32 v28, v2, v28
	s_waitcnt lgkmcnt(0)
	v_add_u32_e32 v29, v3, v29
	v_cndmask_b32_e32 v3, v29, v3, vcc
	v_cndmask_b32_e32 v2, v28, v2, vcc
	ds_bpermute_b32 v28, v93, v2
	ds_bpermute_b32 v29, v93, v3
	v_cmp_gt_u32_e32 vcc, v94, v5
	s_waitcnt lgkmcnt(1)
	v_add_u32_e32 v28, v2, v28
	s_waitcnt lgkmcnt(0)
	v_add_u32_e32 v29, v3, v29
	v_cndmask_b32_e32 v3, v29, v3, vcc
	v_cndmask_b32_e32 v2, v28, v2, vcc
	ds_bpermute_b32 v28, v95, v2
	ds_bpermute_b32 v29, v95, v3
	v_cmp_gt_u32_e32 vcc, v96, v5
	;; [unrolled: 9-line block ×3, first 2 shown]
	s_waitcnt lgkmcnt(1)
	v_add_u32_e32 v28, v2, v28
	s_waitcnt lgkmcnt(0)
	v_add_u32_e32 v29, v3, v29
	v_cndmask_b32_e32 v3, v29, v3, vcc
	v_cndmask_b32_e32 v2, v28, v2, vcc
	ds_bpermute_b32 v28, v99, v2
	ds_bpermute_b32 v29, v99, v3
	v_cmp_le_u32_e32 vcc, v100, v5
	s_waitcnt lgkmcnt(1)
	v_cndmask_b32_e32 v5, 0, v28, vcc
	s_waitcnt lgkmcnt(0)
	v_cndmask_b32_e32 v28, 0, v29, vcc
	v_add3_u32 v3, v28, v27, v3
	v_add3_u32 v2, v5, v26, v2
.LBB1261_104:                           ; =>This Loop Header: Depth=1
                                        ;     Child Loop BB1261_107 Depth 2
	v_cmp_ne_u16_sdwa s[14:15], v4, v88 src0_sel:BYTE_0 src1_sel:DWORD
	v_cndmask_b32_e64 v4, 0, 1, s[14:15]
	;;#ASMSTART
	;;#ASMEND
	v_cmp_ne_u32_e32 vcc, 0, v4
	s_cmp_lg_u64 vcc, exec
	v_pk_mov_b32 v[26:27], v[2:3], v[2:3] op_sel:[0,1]
	s_cbranch_scc1 .LBB1261_109
; %bb.105:                              ;   in Loop: Header=BB1261_104 Depth=1
	v_lshlrev_b64 v[2:3], 4, v[24:25]
	v_mov_b32_e32 v4, s13
	v_add_co_u32_e32 v28, vcc, s12, v2
	v_addc_co_u32_e32 v29, vcc, v4, v3, vcc
	;;#ASMSTART
	global_load_dwordx4 v[2:5], v[28:29] off glc	
s_waitcnt vmcnt(0)
	;;#ASMEND
	v_and_b32_e32 v5, 0xff, v3
	v_and_b32_e32 v101, 0xff00, v3
	v_or3_b32 v5, 0, v5, v101
	v_or3_b32 v2, v2, 0, 0
	v_and_b32_e32 v101, 0xff000000, v3
	v_and_b32_e32 v3, 0xff0000, v3
	v_or3_b32 v3, v5, v3, v101
	v_or3_b32 v2, v2, 0, 0
	v_cmp_eq_u16_sdwa s[16:17], v4, v25 src0_sel:BYTE_0 src1_sel:DWORD
	s_and_saveexec_b64 s[14:15], s[16:17]
	s_cbranch_execz .LBB1261_103
; %bb.106:                              ;   in Loop: Header=BB1261_104 Depth=1
	s_mov_b64 s[16:17], 0
.LBB1261_107:                           ;   Parent Loop BB1261_104 Depth=1
                                        ; =>  This Inner Loop Header: Depth=2
	;;#ASMSTART
	global_load_dwordx4 v[2:5], v[28:29] off glc	
s_waitcnt vmcnt(0)
	;;#ASMEND
	v_cmp_ne_u16_sdwa s[20:21], v4, v25 src0_sel:BYTE_0 src1_sel:DWORD
	s_or_b64 s[16:17], s[20:21], s[16:17]
	s_andn2_b64 exec, exec, s[16:17]
	s_cbranch_execnz .LBB1261_107
; %bb.108:                              ;   in Loop: Header=BB1261_104 Depth=1
	s_or_b64 exec, exec, s[16:17]
	s_branch .LBB1261_103
.LBB1261_109:                           ;   in Loop: Header=BB1261_104 Depth=1
                                        ; implicit-def: $vgpr4
                                        ; implicit-def: $vgpr2_vgpr3
	s_cbranch_execz .LBB1261_104
; %bb.110:
	s_and_saveexec_b64 s[14:15], s[8:9]
	s_cbranch_execz .LBB1261_112
; %bb.111:
	s_add_i32 s6, s6, 64
	s_mov_b32 s7, 0
	v_add_u32_e32 v3, v27, v23
	s_lshl_b64 s[6:7], s[6:7], 4
	s_add_u32 s6, s12, s6
	v_and_b32_e32 v4, 0xff000000, v3
	v_and_b32_e32 v6, 0xff0000, v3
	s_addc_u32 s7, s13, s7
	v_or_b32_e32 v4, v6, v4
	v_and_b32_e32 v6, 0xff00, v3
	v_and_b32_e32 v3, 0xff, v3
	v_add_u32_e32 v2, v26, v22
	v_mov_b32_e32 v5, 0
	v_or3_b32 v3, v4, v6, v3
	v_mov_b32_e32 v4, 2
	v_pk_mov_b32 v[6:7], s[6:7], s[6:7] op_sel:[0,1]
	;;#ASMSTART
	global_store_dwordx4 v[6:7], v[2:5] off	
s_waitcnt vmcnt(0)
	;;#ASMEND
	s_movk_i32 s6, 0x3400
	v_add_u32_e64 v2, s6, 0
	ds_write2_b32 v2, v22, v23 offset1:2
	ds_write2_b32 v2, v26, v27 offset0:4 offset1:6
.LBB1261_112:
	s_or_b64 exec, exec, s[14:15]
	v_cmp_eq_u32_e32 vcc, 0, v0
	s_and_b64 exec, exec, vcc
	s_cbranch_execz .LBB1261_114
; %bb.113:
	v_mov_b32_e32 v2, 0
	ds_write_b64 v2, v[26:27] offset:24
.LBB1261_114:
	s_or_b64 exec, exec, s[10:11]
	v_mov_b32_e32 v2, 0
	s_waitcnt lgkmcnt(0)
	s_barrier
	ds_read_b64 v[6:7], v2 offset:24
	s_movk_i32 s6, 0x3400
	v_cndmask_b32_e64 v2, v87, v21, s[8:9]
	v_cndmask_b32_e64 v1, v1, v20, s[8:9]
	v_add_u32_e64 v4, s6, 0
	s_waitcnt lgkmcnt(0)
	v_add_u32_e32 v20, v6, v1
	v_add_u32_e32 v1, v7, v2
	s_barrier
	ds_read2_b32 v[2:3], v4 offset1:2
	ds_read2_b32 v[4:5], v4 offset0:4 offset1:6
	v_cmp_eq_u32_e32 vcc, 0, v0
	v_cndmask_b32_e32 v1, v1, v7, vcc
	v_cndmask_b32_e32 v20, v20, v6, vcc
	s_branch .LBB1261_125
.LBB1261_115:
                                        ; implicit-def: $vgpr1
                                        ; implicit-def: $vgpr4
                                        ; implicit-def: $vgpr2
                                        ; implicit-def: $vgpr20_vgpr21
	s_cbranch_execz .LBB1261_125
; %bb.116:
	s_nop 0
	v_mov_b32_dpp v1, v85 row_shr:1 row_mask:0xf bank_mask:0xf
	s_waitcnt lgkmcnt(0)
	v_mov_b32_dpp v2, v86 row_shr:1 row_mask:0xf bank_mask:0xf
	v_add_u32_e32 v1, v1, v85
	v_add_u32_e32 v2, v2, v86
	v_cndmask_b32_e64 v2, v2, v86, s[4:5]
	v_cndmask_b32_e64 v1, v1, v85, s[4:5]
	v_cmp_lt_u32_e32 vcc, 3, v84
	v_mov_b32_dpp v4, v2 row_shr:2 row_mask:0xf bank_mask:0xf
	v_mov_b32_dpp v3, v1 row_shr:2 row_mask:0xf bank_mask:0xf
	v_add_u32_e32 v3, v1, v3
	v_add_u32_e32 v4, v2, v4
	v_cndmask_b32_e64 v2, v2, v4, s[2:3]
	v_cndmask_b32_e64 v1, v1, v3, s[2:3]
	s_nop 0
	v_mov_b32_dpp v4, v2 row_shr:4 row_mask:0xf bank_mask:0xf
	v_mov_b32_dpp v3, v1 row_shr:4 row_mask:0xf bank_mask:0xf
	v_add_u32_e32 v3, v1, v3
	v_add_u32_e32 v4, v2, v4
	v_cndmask_b32_e32 v2, v2, v4, vcc
	v_cndmask_b32_e32 v1, v1, v3, vcc
	v_cmp_lt_u32_e32 vcc, 7, v84
	v_mov_b32_dpp v4, v2 row_shr:8 row_mask:0xf bank_mask:0xf
	v_mov_b32_dpp v3, v1 row_shr:8 row_mask:0xf bank_mask:0xf
	v_add_u32_e32 v3, v1, v3
	v_add_u32_e32 v4, v2, v4
	v_cndmask_b32_e32 v2, v2, v4, vcc
	v_cndmask_b32_e32 v1, v1, v3, vcc
	v_cmp_eq_u32_e32 vcc, 0, v83
	v_mov_b32_dpp v4, v2 row_bcast:15 row_mask:0xf bank_mask:0xf
	v_mov_b32_dpp v3, v1 row_bcast:15 row_mask:0xf bank_mask:0xf
	v_add_u32_e32 v3, v1, v3
	v_add_u32_e32 v4, v2, v4
	v_cndmask_b32_e32 v2, v4, v2, vcc
	v_cndmask_b32_e32 v1, v3, v1, vcc
	v_cmp_lt_u32_e32 vcc, 31, v80
	v_mov_b32_dpp v4, v2 row_bcast:31 row_mask:0xf bank_mask:0xf
	v_mov_b32_dpp v3, v1 row_bcast:31 row_mask:0xf bank_mask:0xf
	v_add_u32_e32 v4, v2, v4
	v_add_u32_e32 v5, v1, v3
	v_cndmask_b32_e32 v3, v2, v4, vcc
	v_cndmask_b32_e32 v2, v1, v5, vcc
	v_cmp_eq_u32_e32 vcc, v82, v0
	s_and_saveexec_b64 s[2:3], vcc
	s_cbranch_execz .LBB1261_118
; %bb.117:
	v_lshlrev_b32_e32 v1, 3, v81
	ds_write_b64 v1, v[2:3]
.LBB1261_118:
	s_or_b64 exec, exec, s[2:3]
	v_cmp_gt_u32_e32 vcc, 4, v0
	s_waitcnt lgkmcnt(0)
	s_barrier
	s_and_saveexec_b64 s[2:3], vcc
	s_cbranch_execz .LBB1261_120
; %bb.119:
	v_lshlrev_b32_e32 v1, 3, v0
	ds_read_b64 v[4:5], v1
	v_and_b32_e32 v6, 3, v80
	v_cmp_eq_u32_e32 vcc, 0, v6
	s_waitcnt lgkmcnt(0)
	v_mov_b32_dpp v7, v4 row_shr:1 row_mask:0xf bank_mask:0xf
	v_mov_b32_dpp v20, v5 row_shr:1 row_mask:0xf bank_mask:0xf
	v_add_u32_e32 v7, v7, v4
	v_add_u32_e32 v20, v20, v5
	v_cndmask_b32_e32 v5, v20, v5, vcc
	v_cndmask_b32_e32 v4, v7, v4, vcc
	v_cmp_lt_u32_e32 vcc, 1, v6
	v_mov_b32_dpp v20, v5 row_shr:2 row_mask:0xf bank_mask:0xf
	v_mov_b32_dpp v7, v4 row_shr:2 row_mask:0xf bank_mask:0xf
	v_cndmask_b32_e32 v6, 0, v7, vcc
	v_cndmask_b32_e32 v7, 0, v20, vcc
	v_add_u32_e32 v5, v7, v5
	v_add_u32_e32 v4, v6, v4
	ds_write_b64 v1, v[4:5]
.LBB1261_120:
	s_or_b64 exec, exec, s[2:3]
	v_cmp_lt_u32_e32 vcc, 63, v0
	v_mov_b32_e32 v4, 0
	v_mov_b32_e32 v6, 0
	;; [unrolled: 1-line block ×3, first 2 shown]
	s_waitcnt lgkmcnt(0)
	s_barrier
	s_and_saveexec_b64 s[2:3], vcc
	s_cbranch_execz .LBB1261_122
; %bb.121:
	v_lshl_add_u32 v1, v81, 3, -8
	ds_read_b64 v[6:7], v1
.LBB1261_122:
	s_or_b64 exec, exec, s[2:3]
	s_waitcnt lgkmcnt(0)
	v_add_u32_e32 v5, v7, v3
	v_add_u32_e32 v1, v6, v2
	v_add_u32_e32 v2, -1, v80
	v_and_b32_e32 v3, 64, v80
	v_cmp_lt_i32_e32 vcc, v2, v3
	v_cndmask_b32_e32 v2, v2, v80, vcc
	v_lshlrev_b32_e32 v20, 2, v2
	ds_read_b64 v[2:3], v4 offset:24
	ds_bpermute_b32 v1, v20, v1
	ds_bpermute_b32 v20, v20, v5
	v_cmp_eq_u32_e32 vcc, 0, v0
	s_waitcnt lgkmcnt(2)
	v_readfirstlane_b32 s4, v3
	s_and_saveexec_b64 s[2:3], vcc
	s_cbranch_execz .LBB1261_124
; %bb.123:
	s_add_u32 s6, s12, 0x400
	s_mov_b32 s8, 0
	s_addc_u32 s7, s13, 0
	s_and_b32 s9, s4, 0xff000000
	s_and_b32 s11, s4, 0xff0000
	s_mov_b32 s10, s8
	s_or_b64 s[10:11], s[10:11], s[8:9]
	s_and_b32 s9, s4, 0xff00
	s_or_b64 s[10:11], s[10:11], s[8:9]
	s_and_b32 s9, s4, 0xff
	s_or_b64 s[8:9], s[10:11], s[8:9]
	v_mov_b32_e32 v3, s9
	v_mov_b32_e32 v4, 2
	;; [unrolled: 1-line block ×3, first 2 shown]
	v_pk_mov_b32 v[22:23], s[6:7], s[6:7] op_sel:[0,1]
	;;#ASMSTART
	global_store_dwordx4 v[22:23], v[2:5] off	
s_waitcnt vmcnt(0)
	;;#ASMEND
.LBB1261_124:
	s_or_b64 exec, exec, s[2:3]
	v_cmp_eq_u32_e64 s[2:3], 0, v80
	s_waitcnt lgkmcnt(1)
	v_cndmask_b32_e64 v3, v1, v6, s[2:3]
	s_waitcnt lgkmcnt(0)
	v_cndmask_b32_e64 v1, v20, v7, s[2:3]
	v_mov_b32_e32 v4, 0
	v_cndmask_b32_e64 v1, v1, 0, vcc
	v_cndmask_b32_e64 v20, v3, 0, vcc
	s_barrier
	v_mov_b32_e32 v3, s4
	v_mov_b32_e32 v5, 0
.LBB1261_125:
	v_add_u32_e32 v24, v1, v63
	v_add_u32_e32 v25, v24, v74
	;; [unrolled: 1-line block ×14, first 2 shown]
	v_mov_b32_e32 v7, s49
	s_waitcnt lgkmcnt(0)
	v_add_co_u32_e32 v6, vcc, s48, v4
	v_add_u32_e32 v64, v58, v68
	v_add_u32_e32 v68, v66, v71
	v_addc_co_u32_e32 v7, vcc, 0, v7, vcc
	v_add_u32_e32 v69, v68, v78
	v_mov_b32_e32 v22, s51
	v_sub_co_u32_e32 v23, vcc, s50, v2
	v_add_u32_e32 v71, v69, v73
	v_subbrev_co_u32_e32 v73, vcc, 0, v22, vcc
	v_add_co_u32_e32 v22, vcc, v23, v5
	v_addc_co_u32_e32 v23, vcc, 0, v73, vcc
	v_lshlrev_b32_e32 v73, 1, v2
	v_sub_u32_e32 v1, v1, v5
	v_add_u32_e32 v74, v73, v3
	v_sub_u32_e32 v20, v20, v4
	v_add_u32_e32 v1, v1, v2
	v_add_u32_e32 v31, v74, v31
	v_and_b32_e32 v33, 1, v33
	v_add_u32_e32 v74, v20, v1
	v_and_b32_e32 v32, 1, v32
	v_sub_u32_e32 v74, v31, v74
	v_cmp_eq_u32_e32 vcc, 1, v33
	v_cndmask_b32_e32 v1, v74, v1, vcc
	v_cmp_eq_u32_e32 vcc, 1, v32
	v_cndmask_b32_e32 v1, v1, v20, vcc
	v_lshlrev_b32_e32 v1, 2, v1
	v_sub_u32_e32 v20, v24, v5
	ds_write_b32 v1, v18
	v_sub_u32_e32 v1, v21, v4
	v_add_u32_e32 v20, v20, v2
	v_add_u32_e32 v24, v20, v1
	v_and_b32_e32 v21, 1, v35
	v_sub_u32_e32 v24, v31, v24
	v_and_b32_e32 v18, 1, v34
	v_add_u32_e32 v24, 1, v24
	v_cmp_eq_u32_e32 vcc, 1, v21
	v_cndmask_b32_e32 v20, v24, v20, vcc
	v_cmp_eq_u32_e32 vcc, 1, v18
	v_cndmask_b32_e32 v1, v20, v1, vcc
	v_lshlrev_b32_e32 v1, 2, v1
	ds_write_b32 v1, v19
	v_sub_u32_e32 v19, v25, v5
	v_sub_u32_e32 v1, v26, v4
	v_add_u32_e32 v19, v19, v2
	v_add_u32_e32 v21, v19, v1
	v_and_b32_e32 v20, 1, v37
	v_sub_u32_e32 v21, v31, v21
	v_and_b32_e32 v18, 1, v36
	v_add_u32_e32 v21, 2, v21
	v_cmp_eq_u32_e32 vcc, 1, v20
	v_cndmask_b32_e32 v19, v21, v19, vcc
	v_cmp_eq_u32_e32 vcc, 1, v18
	v_cndmask_b32_e32 v1, v19, v1, vcc
	v_lshlrev_b32_e32 v1, 2, v1
	v_sub_u32_e32 v18, v28, v5
	ds_write_b32 v1, v16
	v_sub_u32_e32 v1, v27, v4
	v_add_u32_e32 v18, v18, v2
	v_add_u32_e32 v20, v1, v18
	v_and_b32_e32 v19, 1, v38
	v_sub_u32_e32 v20, v31, v20
	v_and_b32_e32 v16, 1, v39
	v_add_u32_e32 v20, 3, v20
	v_cmp_eq_u32_e32 vcc, 1, v19
	v_cndmask_b32_e32 v18, v20, v18, vcc
	v_cmp_eq_u32_e32 vcc, 1, v16
	v_cndmask_b32_e32 v1, v18, v1, vcc
	v_lshlrev_b32_e32 v1, 2, v1
	ds_write_b32 v1, v17
	v_sub_u32_e32 v17, v29, v5
	v_sub_u32_e32 v1, v56, v4
	v_add_u32_e32 v17, v17, v2
	v_add_u32_e32 v19, v1, v17
	v_and_b32_e32 v18, 1, v40
	v_sub_u32_e32 v19, v31, v19
	v_and_b32_e32 v16, 1, v41
	v_add_u32_e32 v19, 4, v19
	;; [unrolled: 28-line block ×3, first 2 shown]
	v_cmp_eq_u32_e32 vcc, 1, v16
	v_cndmask_b32_e32 v15, v17, v15, vcc
	v_cmp_eq_u32_e32 vcc, 1, v14
	v_cndmask_b32_e32 v1, v15, v1, vcc
	v_lshlrev_b32_e32 v1, 2, v1
	v_sub_u32_e32 v14, v65, v5
	ds_write_b32 v1, v12
	v_sub_u32_e32 v1, v64, v4
	v_add_u32_e32 v14, v14, v2
	v_add_u32_e32 v16, v1, v14
	v_and_b32_e32 v15, 1, v46
	v_sub_u32_e32 v16, v31, v16
	v_and_b32_e32 v12, 1, v47
	v_add_u32_e32 v16, 7, v16
	v_cmp_eq_u32_e32 vcc, 1, v15
	v_cndmask_b32_e32 v14, v16, v14, vcc
	v_cmp_eq_u32_e32 vcc, 1, v12
	v_cndmask_b32_e32 v1, v14, v1, vcc
	v_lshlrev_b32_e32 v1, 2, v1
	v_add_u32_e32 v59, v64, v59
	ds_write_b32 v1, v13
	v_sub_u32_e32 v13, v66, v5
	v_sub_u32_e32 v1, v59, v4
	v_add_u32_e32 v13, v13, v2
	v_add_u32_e32 v15, v1, v13
	v_and_b32_e32 v14, 1, v48
	v_sub_u32_e32 v15, v31, v15
	v_and_b32_e32 v12, 1, v49
	v_add_u32_e32 v15, 8, v15
	v_cmp_eq_u32_e32 vcc, 1, v14
	v_cndmask_b32_e32 v13, v15, v13, vcc
	v_cmp_eq_u32_e32 vcc, 1, v12
	v_cndmask_b32_e32 v1, v13, v1, vcc
	v_add_u32_e32 v67, v59, v70
	v_lshlrev_b32_e32 v1, 2, v1
	v_sub_u32_e32 v12, v68, v5
	ds_write_b32 v1, v10
	v_sub_u32_e32 v1, v67, v4
	v_add_u32_e32 v12, v12, v2
	v_add_u32_e32 v14, v1, v12
	v_and_b32_e32 v13, 1, v50
	v_sub_u32_e32 v14, v31, v14
	v_and_b32_e32 v10, 1, v51
	v_add_u32_e32 v14, 9, v14
	v_cmp_eq_u32_e32 vcc, 1, v13
	v_cndmask_b32_e32 v12, v14, v12, vcc
	v_cmp_eq_u32_e32 vcc, 1, v10
	v_cndmask_b32_e32 v1, v12, v1, vcc
	v_lshlrev_b32_e32 v1, 2, v1
	v_add_u32_e32 v60, v67, v60
	ds_write_b32 v1, v11
	v_sub_u32_e32 v11, v69, v5
	v_sub_u32_e32 v1, v60, v4
	v_add_u32_e32 v11, v11, v2
	v_add_u32_e32 v13, v1, v11
	v_and_b32_e32 v12, 1, v52
	v_sub_u32_e32 v13, v31, v13
	v_and_b32_e32 v10, 1, v53
	v_add_u32_e32 v13, 10, v13
	v_cmp_eq_u32_e32 vcc, 1, v12
	v_cndmask_b32_e32 v11, v13, v11, vcc
	v_cmp_eq_u32_e32 vcc, 1, v10
	v_cndmask_b32_e32 v1, v11, v1, vcc
	v_add_u32_e32 v70, v60, v72
	v_lshlrev_b32_e32 v1, 2, v1
	v_sub_u32_e32 v10, v71, v5
	ds_write_b32 v1, v8
	v_sub_u32_e32 v1, v70, v4
	v_add_u32_e32 v10, v10, v2
	v_add_u32_e32 v12, v1, v10
	v_and_b32_e32 v11, 1, v54
	v_sub_u32_e32 v12, v31, v12
	v_and_b32_e32 v8, 1, v55
	v_add_u32_e32 v12, 11, v12
	v_cmp_eq_u32_e32 vcc, 1, v11
	v_cndmask_b32_e32 v10, v12, v10, vcc
	v_cmp_eq_u32_e32 vcc, 1, v8
	v_cndmask_b32_e32 v1, v10, v1, vcc
	v_add_u32_e32 v72, v71, v79
	v_add_u32_e32 v61, v70, v61
	v_lshlrev_b32_e32 v1, 2, v1
	ds_write_b32 v1, v9
	v_sub_u32_e32 v1, v61, v4
	v_sub_u32_e32 v4, v72, v5
	v_add_u32_e32 v4, v4, v2
	v_add_u32_e32 v8, v1, v4
	v_sub_u32_e32 v8, v31, v8
	v_add_u32_e32 v8, 12, v8
	v_cndmask_b32_e64 v4, v8, v4, s[58:59]
	v_cndmask_b32_e64 v1, v4, v1, s[46:47]
	v_lshlrev_b32_e32 v1, 2, v1
	ds_write_b32 v1, v30
	v_add_co_u32_e32 v1, vcc, v3, v73
	v_addc_co_u32_e64 v4, s[2:3], 0, 0, vcc
	v_add_co_u32_e32 v1, vcc, v1, v22
	v_addc_co_u32_e32 v4, vcc, v4, v23, vcc
	s_add_u32 s4, s56, s33
	v_add_co_u32_e32 v1, vcc, v1, v6
	s_addc_u32 s5, s57, 0
	v_addc_co_u32_e32 v4, vcc, v4, v7, vcc
	v_mov_b32_e32 v8, s5
	v_sub_co_u32_e32 v1, vcc, s4, v1
	v_subb_co_u32_e32 v4, vcc, v8, v4, vcc
	v_lshlrev_b64 v[8:9], 2, v[22:23]
	v_mov_b32_e32 v10, s55
	v_add_co_u32_e32 v8, vcc, s54, v8
	v_addc_co_u32_e32 v9, vcc, v10, v9, vcc
	v_lshlrev_b64 v[10:11], 2, v[6:7]
	v_mov_b32_e32 v13, s53
	v_add_co_u32_e32 v10, vcc, s52, v10
	s_add_u32 s6, s34, -4
	v_addc_co_u32_e32 v11, vcc, v13, v11, vcc
	s_addc_u32 s7, s35, -1
	v_add_u32_e32 v12, v2, v3
	s_and_b64 vcc, exec, s[0:1]
	s_mov_b64 s[0:1], -1
	s_waitcnt lgkmcnt(0)
	s_barrier
	s_cbranch_vccz .LBB1261_129
; %bb.126:
	s_and_b64 vcc, exec, s[0:1]
	s_cbranch_vccnz .LBB1261_234
.LBB1261_127:
	v_cmp_eq_u32_e32 vcc, 0, v0
	s_and_b64 s[0:1], vcc, s[30:31]
	s_and_saveexec_b64 s[2:3], s[0:1]
	s_cbranch_execnz .LBB1261_352
.LBB1261_128:
	s_endpgm
.LBB1261_129:
	v_cmp_le_u32_e32 vcc, v2, v0
	s_and_saveexec_b64 s[0:1], vcc
	s_xor_b64 s[0:1], exec, s[0:1]
	s_cbranch_execz .LBB1261_135
; %bb.130:
	v_cmp_le_u32_e32 vcc, v12, v0
	s_and_saveexec_b64 s[2:3], vcc
	s_xor_b64 s[2:3], exec, s[2:3]
	s_cbranch_execz .LBB1261_132
; %bb.131:
	v_lshlrev_b32_e32 v13, 2, v0
	v_add_co_u32_e32 v14, vcc, v1, v0
	ds_read_b32 v13, v13
	v_addc_co_u32_e32 v15, vcc, 0, v4, vcc
	v_lshlrev_b64 v[14:15], 2, v[14:15]
	v_mov_b32_e32 v16, s35
	v_sub_co_u32_e32 v14, vcc, s34, v14
	v_subb_co_u32_e32 v15, vcc, v16, v15, vcc
	s_waitcnt lgkmcnt(0)
	global_store_dword v[14:15], v13, off offset:-4
.LBB1261_132:
	s_andn2_saveexec_b64 s[2:3], s[2:3]
	s_cbranch_execz .LBB1261_134
; %bb.133:
	v_lshlrev_b32_e32 v13, 2, v0
	ds_read_b32 v14, v13
	v_readfirstlane_b32 s4, v8
	v_readfirstlane_b32 s5, v9
	s_waitcnt lgkmcnt(0)
	s_nop 3
	global_store_dword v13, v14, s[4:5]
.LBB1261_134:
	s_or_b64 exec, exec, s[2:3]
.LBB1261_135:
	s_andn2_saveexec_b64 s[0:1], s[0:1]
	s_cbranch_execz .LBB1261_137
; %bb.136:
	v_lshlrev_b32_e32 v13, 2, v0
	ds_read_b32 v14, v13
	v_readfirstlane_b32 s2, v10
	v_readfirstlane_b32 s3, v11
	s_waitcnt lgkmcnt(0)
	s_nop 3
	global_store_dword v13, v14, s[2:3]
.LBB1261_137:
	s_or_b64 exec, exec, s[0:1]
	v_or_b32_e32 v13, 0x100, v0
	v_cmp_le_u32_e32 vcc, v2, v13
	s_and_saveexec_b64 s[0:1], vcc
	s_xor_b64 s[0:1], exec, s[0:1]
	s_cbranch_execz .LBB1261_143
; %bb.138:
	v_cmp_le_u32_e32 vcc, v12, v13
	s_and_saveexec_b64 s[2:3], vcc
	s_xor_b64 s[2:3], exec, s[2:3]
	s_cbranch_execz .LBB1261_140
; %bb.139:
	v_lshlrev_b32_e32 v13, 2, v0
	ds_read_b32 v13, v13 offset:1024
	v_add_co_u32_e32 v14, vcc, v1, v0
	v_addc_co_u32_e32 v15, vcc, 0, v4, vcc
	v_lshlrev_b64 v[14:15], 2, v[14:15]
	v_mov_b32_e32 v16, s7
	v_sub_co_u32_e32 v14, vcc, s6, v14
	v_subb_co_u32_e32 v15, vcc, v16, v15, vcc
	s_waitcnt lgkmcnt(0)
	global_store_dword v[14:15], v13, off offset:-1024
.LBB1261_140:
	s_andn2_saveexec_b64 s[2:3], s[2:3]
	s_cbranch_execz .LBB1261_142
; %bb.141:
	v_lshlrev_b32_e32 v13, 2, v0
	ds_read_b32 v14, v13 offset:1024
	v_readfirstlane_b32 s4, v8
	v_readfirstlane_b32 s5, v9
	s_waitcnt lgkmcnt(0)
	s_nop 3
	global_store_dword v13, v14, s[4:5] offset:1024
.LBB1261_142:
	s_or_b64 exec, exec, s[2:3]
.LBB1261_143:
	s_andn2_saveexec_b64 s[0:1], s[0:1]
	s_cbranch_execz .LBB1261_145
; %bb.144:
	v_lshlrev_b32_e32 v13, 2, v0
	ds_read_b32 v14, v13 offset:1024
	v_readfirstlane_b32 s2, v10
	v_readfirstlane_b32 s3, v11
	s_waitcnt lgkmcnt(0)
	s_nop 3
	global_store_dword v13, v14, s[2:3] offset:1024
.LBB1261_145:
	s_or_b64 exec, exec, s[0:1]
	v_or_b32_e32 v13, 0x200, v0
	v_cmp_le_u32_e32 vcc, v2, v13
	s_and_saveexec_b64 s[0:1], vcc
	s_xor_b64 s[0:1], exec, s[0:1]
	s_cbranch_execz .LBB1261_151
; %bb.146:
	v_cmp_le_u32_e32 vcc, v12, v13
	s_and_saveexec_b64 s[2:3], vcc
	s_xor_b64 s[2:3], exec, s[2:3]
	s_cbranch_execz .LBB1261_148
; %bb.147:
	v_lshlrev_b32_e32 v13, 2, v0
	ds_read_b32 v13, v13 offset:2048
	v_add_co_u32_e32 v14, vcc, v1, v0
	v_addc_co_u32_e32 v15, vcc, 0, v4, vcc
	v_lshlrev_b64 v[14:15], 2, v[14:15]
	v_mov_b32_e32 v16, s7
	v_sub_co_u32_e32 v14, vcc, s6, v14
	v_subb_co_u32_e32 v15, vcc, v16, v15, vcc
	s_waitcnt lgkmcnt(0)
	global_store_dword v[14:15], v13, off offset:-2048
.LBB1261_148:
	s_andn2_saveexec_b64 s[2:3], s[2:3]
	s_cbranch_execz .LBB1261_150
; %bb.149:
	v_lshlrev_b32_e32 v13, 2, v0
	ds_read_b32 v14, v13 offset:2048
	v_readfirstlane_b32 s4, v8
	v_readfirstlane_b32 s5, v9
	s_waitcnt lgkmcnt(0)
	s_nop 3
	global_store_dword v13, v14, s[4:5] offset:2048
.LBB1261_150:
	s_or_b64 exec, exec, s[2:3]
.LBB1261_151:
	s_andn2_saveexec_b64 s[0:1], s[0:1]
	s_cbranch_execz .LBB1261_153
; %bb.152:
	v_lshlrev_b32_e32 v13, 2, v0
	ds_read_b32 v14, v13 offset:2048
	v_readfirstlane_b32 s2, v10
	v_readfirstlane_b32 s3, v11
	s_waitcnt lgkmcnt(0)
	s_nop 3
	global_store_dword v13, v14, s[2:3] offset:2048
.LBB1261_153:
	;; [unrolled: 47-line block ×3, first 2 shown]
	s_or_b64 exec, exec, s[0:1]
	v_or_b32_e32 v13, 0x400, v0
	v_cmp_le_u32_e32 vcc, v2, v13
	s_and_saveexec_b64 s[0:1], vcc
	s_xor_b64 s[0:1], exec, s[0:1]
	s_cbranch_execz .LBB1261_167
; %bb.162:
	v_cmp_le_u32_e32 vcc, v12, v13
	s_and_saveexec_b64 s[2:3], vcc
	s_xor_b64 s[2:3], exec, s[2:3]
	s_cbranch_execz .LBB1261_164
; %bb.163:
	v_lshlrev_b32_e32 v13, 2, v0
	ds_read_b32 v13, v13 offset:4096
	v_add_co_u32_e32 v14, vcc, v1, v0
	v_addc_co_u32_e32 v15, vcc, 0, v4, vcc
	v_lshlrev_b64 v[14:15], 2, v[14:15]
	v_mov_b32_e32 v16, s7
	v_sub_co_u32_e32 v14, vcc, s6, v14
	v_subb_co_u32_e32 v15, vcc, v16, v15, vcc
	s_waitcnt lgkmcnt(0)
	global_store_dword v[14:15], v13, off offset:-4096
                                        ; implicit-def: $vgpr13
.LBB1261_164:
	s_andn2_saveexec_b64 s[2:3], s[2:3]
	s_cbranch_execz .LBB1261_166
; %bb.165:
	v_lshlrev_b32_e32 v14, 2, v0
	ds_read_b32 v14, v14 offset:4096
	v_lshlrev_b32_e32 v13, 2, v13
	v_readfirstlane_b32 s4, v8
	v_readfirstlane_b32 s5, v9
	s_waitcnt lgkmcnt(0)
	s_nop 3
	global_store_dword v13, v14, s[4:5]
.LBB1261_166:
	s_or_b64 exec, exec, s[2:3]
                                        ; implicit-def: $vgpr13
.LBB1261_167:
	s_andn2_saveexec_b64 s[0:1], s[0:1]
	s_cbranch_execz .LBB1261_169
; %bb.168:
	v_lshlrev_b32_e32 v14, 2, v0
	ds_read_b32 v14, v14 offset:4096
	v_lshlrev_b32_e32 v13, 2, v13
	v_readfirstlane_b32 s2, v10
	v_readfirstlane_b32 s3, v11
	s_waitcnt lgkmcnt(0)
	s_nop 3
	global_store_dword v13, v14, s[2:3]
.LBB1261_169:
	s_or_b64 exec, exec, s[0:1]
	v_or_b32_e32 v13, 0x500, v0
	v_cmp_le_u32_e32 vcc, v2, v13
	s_and_saveexec_b64 s[0:1], vcc
	s_xor_b64 s[0:1], exec, s[0:1]
	s_cbranch_execz .LBB1261_175
; %bb.170:
	v_cmp_le_u32_e32 vcc, v12, v13
	s_and_saveexec_b64 s[2:3], vcc
	s_xor_b64 s[2:3], exec, s[2:3]
	s_cbranch_execz .LBB1261_172
; %bb.171:
	v_add_co_u32_e32 v14, vcc, v1, v13
	v_lshlrev_b32_e32 v13, 2, v0
	ds_read_b32 v13, v13 offset:5120
	v_addc_co_u32_e32 v15, vcc, 0, v4, vcc
	v_lshlrev_b64 v[14:15], 2, v[14:15]
	v_mov_b32_e32 v16, s7
	v_sub_co_u32_e32 v14, vcc, s6, v14
	v_subb_co_u32_e32 v15, vcc, v16, v15, vcc
	s_waitcnt lgkmcnt(0)
	global_store_dword v[14:15], v13, off
                                        ; implicit-def: $vgpr13
.LBB1261_172:
	s_andn2_saveexec_b64 s[2:3], s[2:3]
	s_cbranch_execz .LBB1261_174
; %bb.173:
	v_lshlrev_b32_e32 v14, 2, v0
	ds_read_b32 v14, v14 offset:5120
	v_lshlrev_b32_e32 v13, 2, v13
	v_readfirstlane_b32 s4, v8
	v_readfirstlane_b32 s5, v9
	s_waitcnt lgkmcnt(0)
	s_nop 3
	global_store_dword v13, v14, s[4:5]
.LBB1261_174:
	s_or_b64 exec, exec, s[2:3]
                                        ; implicit-def: $vgpr13
.LBB1261_175:
	s_andn2_saveexec_b64 s[0:1], s[0:1]
	s_cbranch_execz .LBB1261_177
; %bb.176:
	v_lshlrev_b32_e32 v14, 2, v0
	ds_read_b32 v14, v14 offset:5120
	v_lshlrev_b32_e32 v13, 2, v13
	v_readfirstlane_b32 s2, v10
	v_readfirstlane_b32 s3, v11
	s_waitcnt lgkmcnt(0)
	s_nop 3
	global_store_dword v13, v14, s[2:3]
.LBB1261_177:
	s_or_b64 exec, exec, s[0:1]
	v_or_b32_e32 v13, 0x600, v0
	v_cmp_le_u32_e32 vcc, v2, v13
	s_and_saveexec_b64 s[0:1], vcc
	s_xor_b64 s[0:1], exec, s[0:1]
	s_cbranch_execz .LBB1261_183
; %bb.178:
	v_cmp_le_u32_e32 vcc, v12, v13
	s_and_saveexec_b64 s[2:3], vcc
	s_xor_b64 s[2:3], exec, s[2:3]
	s_cbranch_execz .LBB1261_180
; %bb.179:
	v_add_co_u32_e32 v14, vcc, v1, v13
	v_lshlrev_b32_e32 v13, 2, v0
	ds_read_b32 v13, v13 offset:6144
	v_addc_co_u32_e32 v15, vcc, 0, v4, vcc
	v_lshlrev_b64 v[14:15], 2, v[14:15]
	v_mov_b32_e32 v16, s7
	v_sub_co_u32_e32 v14, vcc, s6, v14
	v_subb_co_u32_e32 v15, vcc, v16, v15, vcc
	s_waitcnt lgkmcnt(0)
	global_store_dword v[14:15], v13, off
                                        ; implicit-def: $vgpr13
.LBB1261_180:
	s_andn2_saveexec_b64 s[2:3], s[2:3]
	s_cbranch_execz .LBB1261_182
; %bb.181:
	v_lshlrev_b32_e32 v14, 2, v0
	ds_read_b32 v14, v14 offset:6144
	v_lshlrev_b32_e32 v13, 2, v13
	v_readfirstlane_b32 s4, v8
	v_readfirstlane_b32 s5, v9
	s_waitcnt lgkmcnt(0)
	s_nop 3
	global_store_dword v13, v14, s[4:5]
.LBB1261_182:
	s_or_b64 exec, exec, s[2:3]
                                        ; implicit-def: $vgpr13
.LBB1261_183:
	;; [unrolled: 51-line block ×8, first 2 shown]
	s_andn2_saveexec_b64 s[0:1], s[0:1]
	s_cbranch_execz .LBB1261_233
; %bb.232:
	v_lshlrev_b32_e32 v14, 2, v0
	ds_read_b32 v14, v14 offset:12288
	v_lshlrev_b32_e32 v13, 2, v13
	v_readfirstlane_b32 s2, v10
	v_readfirstlane_b32 s3, v11
	s_waitcnt lgkmcnt(0)
	s_nop 3
	global_store_dword v13, v14, s[2:3]
.LBB1261_233:
	s_or_b64 exec, exec, s[0:1]
	s_branch .LBB1261_127
.LBB1261_234:
	v_cmp_gt_u32_e32 vcc, s18, v0
	s_and_saveexec_b64 s[0:1], vcc
	s_cbranch_execz .LBB1261_243
; %bb.235:
	v_cmp_le_u32_e32 vcc, v2, v0
	s_and_saveexec_b64 s[2:3], vcc
	s_xor_b64 s[2:3], exec, s[2:3]
	s_cbranch_execz .LBB1261_241
; %bb.236:
	v_cmp_le_u32_e32 vcc, v12, v0
	s_and_saveexec_b64 s[4:5], vcc
	s_xor_b64 s[4:5], exec, s[4:5]
	s_cbranch_execz .LBB1261_238
; %bb.237:
	v_lshlrev_b32_e32 v13, 2, v0
	v_add_co_u32_e32 v14, vcc, v1, v0
	ds_read_b32 v13, v13
	v_addc_co_u32_e32 v15, vcc, 0, v4, vcc
	v_lshlrev_b64 v[14:15], 2, v[14:15]
	v_mov_b32_e32 v16, s35
	v_sub_co_u32_e32 v14, vcc, s34, v14
	v_subb_co_u32_e32 v15, vcc, v16, v15, vcc
	s_waitcnt lgkmcnt(0)
	global_store_dword v[14:15], v13, off offset:-4
.LBB1261_238:
	s_andn2_saveexec_b64 s[4:5], s[4:5]
	s_cbranch_execz .LBB1261_240
; %bb.239:
	v_lshlrev_b32_e32 v13, 2, v0
	ds_read_b32 v14, v13
	v_readfirstlane_b32 s8, v8
	v_readfirstlane_b32 s9, v9
	s_waitcnt lgkmcnt(0)
	s_nop 3
	global_store_dword v13, v14, s[8:9]
.LBB1261_240:
	s_or_b64 exec, exec, s[4:5]
.LBB1261_241:
	s_andn2_saveexec_b64 s[2:3], s[2:3]
	s_cbranch_execz .LBB1261_243
; %bb.242:
	v_lshlrev_b32_e32 v13, 2, v0
	ds_read_b32 v14, v13
	v_readfirstlane_b32 s2, v10
	v_readfirstlane_b32 s3, v11
	s_waitcnt lgkmcnt(0)
	s_nop 3
	global_store_dword v13, v14, s[2:3]
.LBB1261_243:
	s_or_b64 exec, exec, s[0:1]
	v_or_b32_e32 v13, 0x100, v0
	v_cmp_gt_u32_e32 vcc, s18, v13
	s_and_saveexec_b64 s[0:1], vcc
	s_cbranch_execz .LBB1261_252
; %bb.244:
	v_cmp_le_u32_e32 vcc, v2, v13
	s_and_saveexec_b64 s[2:3], vcc
	s_xor_b64 s[2:3], exec, s[2:3]
	s_cbranch_execz .LBB1261_250
; %bb.245:
	v_cmp_le_u32_e32 vcc, v12, v13
	s_and_saveexec_b64 s[4:5], vcc
	s_xor_b64 s[4:5], exec, s[4:5]
	s_cbranch_execz .LBB1261_247
; %bb.246:
	v_lshlrev_b32_e32 v13, 2, v0
	ds_read_b32 v13, v13 offset:1024
	v_add_co_u32_e32 v14, vcc, v1, v0
	v_addc_co_u32_e32 v15, vcc, 0, v4, vcc
	v_lshlrev_b64 v[14:15], 2, v[14:15]
	v_mov_b32_e32 v16, s7
	v_sub_co_u32_e32 v14, vcc, s6, v14
	v_subb_co_u32_e32 v15, vcc, v16, v15, vcc
	s_waitcnt lgkmcnt(0)
	global_store_dword v[14:15], v13, off offset:-1024
.LBB1261_247:
	s_andn2_saveexec_b64 s[4:5], s[4:5]
	s_cbranch_execz .LBB1261_249
; %bb.248:
	v_lshlrev_b32_e32 v13, 2, v0
	ds_read_b32 v14, v13 offset:1024
	v_readfirstlane_b32 s8, v8
	v_readfirstlane_b32 s9, v9
	s_waitcnt lgkmcnt(0)
	s_nop 3
	global_store_dword v13, v14, s[8:9] offset:1024
.LBB1261_249:
	s_or_b64 exec, exec, s[4:5]
.LBB1261_250:
	s_andn2_saveexec_b64 s[2:3], s[2:3]
	s_cbranch_execz .LBB1261_252
; %bb.251:
	v_lshlrev_b32_e32 v13, 2, v0
	ds_read_b32 v14, v13 offset:1024
	v_readfirstlane_b32 s2, v10
	v_readfirstlane_b32 s3, v11
	s_waitcnt lgkmcnt(0)
	s_nop 3
	global_store_dword v13, v14, s[2:3] offset:1024
.LBB1261_252:
	s_or_b64 exec, exec, s[0:1]
	v_or_b32_e32 v13, 0x200, v0
	v_cmp_gt_u32_e32 vcc, s18, v13
	s_and_saveexec_b64 s[0:1], vcc
	s_cbranch_execz .LBB1261_261
; %bb.253:
	v_cmp_le_u32_e32 vcc, v2, v13
	s_and_saveexec_b64 s[2:3], vcc
	s_xor_b64 s[2:3], exec, s[2:3]
	s_cbranch_execz .LBB1261_259
; %bb.254:
	v_cmp_le_u32_e32 vcc, v12, v13
	s_and_saveexec_b64 s[4:5], vcc
	s_xor_b64 s[4:5], exec, s[4:5]
	s_cbranch_execz .LBB1261_256
; %bb.255:
	v_lshlrev_b32_e32 v13, 2, v0
	ds_read_b32 v13, v13 offset:2048
	v_add_co_u32_e32 v14, vcc, v1, v0
	v_addc_co_u32_e32 v15, vcc, 0, v4, vcc
	v_lshlrev_b64 v[14:15], 2, v[14:15]
	v_mov_b32_e32 v16, s7
	v_sub_co_u32_e32 v14, vcc, s6, v14
	v_subb_co_u32_e32 v15, vcc, v16, v15, vcc
	s_waitcnt lgkmcnt(0)
	global_store_dword v[14:15], v13, off offset:-2048
.LBB1261_256:
	s_andn2_saveexec_b64 s[4:5], s[4:5]
	s_cbranch_execz .LBB1261_258
; %bb.257:
	v_lshlrev_b32_e32 v13, 2, v0
	ds_read_b32 v14, v13 offset:2048
	v_readfirstlane_b32 s8, v8
	v_readfirstlane_b32 s9, v9
	s_waitcnt lgkmcnt(0)
	s_nop 3
	global_store_dword v13, v14, s[8:9] offset:2048
.LBB1261_258:
	s_or_b64 exec, exec, s[4:5]
.LBB1261_259:
	s_andn2_saveexec_b64 s[2:3], s[2:3]
	s_cbranch_execz .LBB1261_261
; %bb.260:
	v_lshlrev_b32_e32 v13, 2, v0
	ds_read_b32 v14, v13 offset:2048
	v_readfirstlane_b32 s2, v10
	v_readfirstlane_b32 s3, v11
	s_waitcnt lgkmcnt(0)
	s_nop 3
	global_store_dword v13, v14, s[2:3] offset:2048
.LBB1261_261:
	;; [unrolled: 51-line block ×3, first 2 shown]
	s_or_b64 exec, exec, s[0:1]
	v_or_b32_e32 v13, 0x400, v0
	v_cmp_gt_u32_e32 vcc, s18, v13
	s_and_saveexec_b64 s[0:1], vcc
	s_cbranch_execz .LBB1261_279
; %bb.271:
	v_cmp_le_u32_e32 vcc, v2, v13
	s_and_saveexec_b64 s[2:3], vcc
	s_xor_b64 s[2:3], exec, s[2:3]
	s_cbranch_execz .LBB1261_277
; %bb.272:
	v_cmp_le_u32_e32 vcc, v12, v13
	s_and_saveexec_b64 s[4:5], vcc
	s_xor_b64 s[4:5], exec, s[4:5]
	s_cbranch_execz .LBB1261_274
; %bb.273:
	v_lshlrev_b32_e32 v13, 2, v0
	ds_read_b32 v13, v13 offset:4096
	v_add_co_u32_e32 v14, vcc, v1, v0
	v_addc_co_u32_e32 v15, vcc, 0, v4, vcc
	v_lshlrev_b64 v[14:15], 2, v[14:15]
	v_mov_b32_e32 v16, s7
	v_sub_co_u32_e32 v14, vcc, s6, v14
	v_subb_co_u32_e32 v15, vcc, v16, v15, vcc
	s_waitcnt lgkmcnt(0)
	global_store_dword v[14:15], v13, off offset:-4096
                                        ; implicit-def: $vgpr13
.LBB1261_274:
	s_andn2_saveexec_b64 s[4:5], s[4:5]
	s_cbranch_execz .LBB1261_276
; %bb.275:
	v_lshlrev_b32_e32 v14, 2, v0
	ds_read_b32 v14, v14 offset:4096
	v_lshlrev_b32_e32 v13, 2, v13
	v_readfirstlane_b32 s8, v8
	v_readfirstlane_b32 s9, v9
	s_waitcnt lgkmcnt(0)
	s_nop 3
	global_store_dword v13, v14, s[8:9]
.LBB1261_276:
	s_or_b64 exec, exec, s[4:5]
                                        ; implicit-def: $vgpr13
.LBB1261_277:
	s_andn2_saveexec_b64 s[2:3], s[2:3]
	s_cbranch_execz .LBB1261_279
; %bb.278:
	v_lshlrev_b32_e32 v14, 2, v0
	ds_read_b32 v14, v14 offset:4096
	v_lshlrev_b32_e32 v13, 2, v13
	v_readfirstlane_b32 s2, v10
	v_readfirstlane_b32 s3, v11
	s_waitcnt lgkmcnt(0)
	s_nop 3
	global_store_dword v13, v14, s[2:3]
.LBB1261_279:
	s_or_b64 exec, exec, s[0:1]
	v_or_b32_e32 v13, 0x500, v0
	v_cmp_gt_u32_e32 vcc, s18, v13
	s_and_saveexec_b64 s[0:1], vcc
	s_cbranch_execz .LBB1261_288
; %bb.280:
	v_cmp_le_u32_e32 vcc, v2, v13
	s_and_saveexec_b64 s[2:3], vcc
	s_xor_b64 s[2:3], exec, s[2:3]
	s_cbranch_execz .LBB1261_286
; %bb.281:
	v_cmp_le_u32_e32 vcc, v12, v13
	s_and_saveexec_b64 s[4:5], vcc
	s_xor_b64 s[4:5], exec, s[4:5]
	s_cbranch_execz .LBB1261_283
; %bb.282:
	v_add_co_u32_e32 v14, vcc, v1, v13
	v_lshlrev_b32_e32 v13, 2, v0
	ds_read_b32 v13, v13 offset:5120
	v_addc_co_u32_e32 v15, vcc, 0, v4, vcc
	v_lshlrev_b64 v[14:15], 2, v[14:15]
	v_mov_b32_e32 v16, s7
	v_sub_co_u32_e32 v14, vcc, s6, v14
	v_subb_co_u32_e32 v15, vcc, v16, v15, vcc
	s_waitcnt lgkmcnt(0)
	global_store_dword v[14:15], v13, off
                                        ; implicit-def: $vgpr13
.LBB1261_283:
	s_andn2_saveexec_b64 s[4:5], s[4:5]
	s_cbranch_execz .LBB1261_285
; %bb.284:
	v_lshlrev_b32_e32 v14, 2, v0
	ds_read_b32 v14, v14 offset:5120
	v_lshlrev_b32_e32 v13, 2, v13
	v_readfirstlane_b32 s8, v8
	v_readfirstlane_b32 s9, v9
	s_waitcnt lgkmcnt(0)
	s_nop 3
	global_store_dword v13, v14, s[8:9]
.LBB1261_285:
	s_or_b64 exec, exec, s[4:5]
                                        ; implicit-def: $vgpr13
.LBB1261_286:
	s_andn2_saveexec_b64 s[2:3], s[2:3]
	s_cbranch_execz .LBB1261_288
; %bb.287:
	v_lshlrev_b32_e32 v14, 2, v0
	ds_read_b32 v14, v14 offset:5120
	v_lshlrev_b32_e32 v13, 2, v13
	v_readfirstlane_b32 s2, v10
	v_readfirstlane_b32 s3, v11
	s_waitcnt lgkmcnt(0)
	s_nop 3
	global_store_dword v13, v14, s[2:3]
.LBB1261_288:
	s_or_b64 exec, exec, s[0:1]
	v_or_b32_e32 v13, 0x600, v0
	v_cmp_gt_u32_e32 vcc, s18, v13
	s_and_saveexec_b64 s[0:1], vcc
	s_cbranch_execz .LBB1261_297
; %bb.289:
	v_cmp_le_u32_e32 vcc, v2, v13
	s_and_saveexec_b64 s[2:3], vcc
	s_xor_b64 s[2:3], exec, s[2:3]
	s_cbranch_execz .LBB1261_295
; %bb.290:
	v_cmp_le_u32_e32 vcc, v12, v13
	s_and_saveexec_b64 s[4:5], vcc
	s_xor_b64 s[4:5], exec, s[4:5]
	s_cbranch_execz .LBB1261_292
; %bb.291:
	v_add_co_u32_e32 v14, vcc, v1, v13
	v_lshlrev_b32_e32 v13, 2, v0
	ds_read_b32 v13, v13 offset:6144
	v_addc_co_u32_e32 v15, vcc, 0, v4, vcc
	v_lshlrev_b64 v[14:15], 2, v[14:15]
	v_mov_b32_e32 v16, s7
	v_sub_co_u32_e32 v14, vcc, s6, v14
	v_subb_co_u32_e32 v15, vcc, v16, v15, vcc
	s_waitcnt lgkmcnt(0)
	global_store_dword v[14:15], v13, off
                                        ; implicit-def: $vgpr13
.LBB1261_292:
	s_andn2_saveexec_b64 s[4:5], s[4:5]
	s_cbranch_execz .LBB1261_294
; %bb.293:
	v_lshlrev_b32_e32 v14, 2, v0
	ds_read_b32 v14, v14 offset:6144
	v_lshlrev_b32_e32 v13, 2, v13
	v_readfirstlane_b32 s8, v8
	v_readfirstlane_b32 s9, v9
	s_waitcnt lgkmcnt(0)
	s_nop 3
	global_store_dword v13, v14, s[8:9]
.LBB1261_294:
	s_or_b64 exec, exec, s[4:5]
                                        ; implicit-def: $vgpr13
.LBB1261_295:
	s_andn2_saveexec_b64 s[2:3], s[2:3]
	s_cbranch_execz .LBB1261_297
; %bb.296:
	v_lshlrev_b32_e32 v14, 2, v0
	ds_read_b32 v14, v14 offset:6144
	v_lshlrev_b32_e32 v13, 2, v13
	v_readfirstlane_b32 s2, v10
	v_readfirstlane_b32 s3, v11
	s_waitcnt lgkmcnt(0)
	s_nop 3
	global_store_dword v13, v14, s[2:3]
.LBB1261_297:
	s_or_b64 exec, exec, s[0:1]
	v_or_b32_e32 v13, 0x700, v0
	v_cmp_gt_u32_e32 vcc, s18, v13
	s_and_saveexec_b64 s[0:1], vcc
	s_cbranch_execz .LBB1261_306
; %bb.298:
	v_cmp_le_u32_e32 vcc, v2, v13
	s_and_saveexec_b64 s[2:3], vcc
	s_xor_b64 s[2:3], exec, s[2:3]
	s_cbranch_execz .LBB1261_304
; %bb.299:
	v_cmp_le_u32_e32 vcc, v12, v13
	s_and_saveexec_b64 s[4:5], vcc
	s_xor_b64 s[4:5], exec, s[4:5]
	s_cbranch_execz .LBB1261_301
; %bb.300:
	v_add_co_u32_e32 v14, vcc, v1, v13
	v_lshlrev_b32_e32 v13, 2, v0
	ds_read_b32 v13, v13 offset:7168
	v_addc_co_u32_e32 v15, vcc, 0, v4, vcc
	v_lshlrev_b64 v[14:15], 2, v[14:15]
	v_mov_b32_e32 v16, s7
	v_sub_co_u32_e32 v14, vcc, s6, v14
	v_subb_co_u32_e32 v15, vcc, v16, v15, vcc
	s_waitcnt lgkmcnt(0)
	global_store_dword v[14:15], v13, off
                                        ; implicit-def: $vgpr13
.LBB1261_301:
	s_andn2_saveexec_b64 s[4:5], s[4:5]
	s_cbranch_execz .LBB1261_303
; %bb.302:
	v_lshlrev_b32_e32 v14, 2, v0
	ds_read_b32 v14, v14 offset:7168
	v_lshlrev_b32_e32 v13, 2, v13
	v_readfirstlane_b32 s8, v8
	v_readfirstlane_b32 s9, v9
	s_waitcnt lgkmcnt(0)
	s_nop 3
	global_store_dword v13, v14, s[8:9]
.LBB1261_303:
	s_or_b64 exec, exec, s[4:5]
                                        ; implicit-def: $vgpr13
.LBB1261_304:
	s_andn2_saveexec_b64 s[2:3], s[2:3]
	s_cbranch_execz .LBB1261_306
; %bb.305:
	v_lshlrev_b32_e32 v14, 2, v0
	ds_read_b32 v14, v14 offset:7168
	v_lshlrev_b32_e32 v13, 2, v13
	v_readfirstlane_b32 s2, v10
	v_readfirstlane_b32 s3, v11
	s_waitcnt lgkmcnt(0)
	s_nop 3
	global_store_dword v13, v14, s[2:3]
.LBB1261_306:
	s_or_b64 exec, exec, s[0:1]
	v_or_b32_e32 v13, 0x800, v0
	v_cmp_gt_u32_e32 vcc, s18, v13
	s_and_saveexec_b64 s[0:1], vcc
	s_cbranch_execz .LBB1261_315
; %bb.307:
	v_cmp_le_u32_e32 vcc, v2, v13
	s_and_saveexec_b64 s[2:3], vcc
	s_xor_b64 s[2:3], exec, s[2:3]
	s_cbranch_execz .LBB1261_313
; %bb.308:
	v_cmp_le_u32_e32 vcc, v12, v13
	s_and_saveexec_b64 s[4:5], vcc
	s_xor_b64 s[4:5], exec, s[4:5]
	s_cbranch_execz .LBB1261_310
; %bb.309:
	v_add_co_u32_e32 v14, vcc, v1, v13
	v_lshlrev_b32_e32 v13, 2, v0
	ds_read_b32 v13, v13 offset:8192
	v_addc_co_u32_e32 v15, vcc, 0, v4, vcc
	v_lshlrev_b64 v[14:15], 2, v[14:15]
	v_mov_b32_e32 v16, s7
	v_sub_co_u32_e32 v14, vcc, s6, v14
	v_subb_co_u32_e32 v15, vcc, v16, v15, vcc
	s_waitcnt lgkmcnt(0)
	global_store_dword v[14:15], v13, off
                                        ; implicit-def: $vgpr13
.LBB1261_310:
	s_andn2_saveexec_b64 s[4:5], s[4:5]
	s_cbranch_execz .LBB1261_312
; %bb.311:
	v_lshlrev_b32_e32 v14, 2, v0
	ds_read_b32 v14, v14 offset:8192
	v_lshlrev_b32_e32 v13, 2, v13
	v_readfirstlane_b32 s8, v8
	v_readfirstlane_b32 s9, v9
	s_waitcnt lgkmcnt(0)
	s_nop 3
	global_store_dword v13, v14, s[8:9]
.LBB1261_312:
	s_or_b64 exec, exec, s[4:5]
                                        ; implicit-def: $vgpr13
.LBB1261_313:
	s_andn2_saveexec_b64 s[2:3], s[2:3]
	s_cbranch_execz .LBB1261_315
; %bb.314:
	v_lshlrev_b32_e32 v14, 2, v0
	ds_read_b32 v14, v14 offset:8192
	v_lshlrev_b32_e32 v13, 2, v13
	v_readfirstlane_b32 s2, v10
	v_readfirstlane_b32 s3, v11
	s_waitcnt lgkmcnt(0)
	s_nop 3
	global_store_dword v13, v14, s[2:3]
.LBB1261_315:
	s_or_b64 exec, exec, s[0:1]
	v_or_b32_e32 v13, 0x900, v0
	v_cmp_gt_u32_e32 vcc, s18, v13
	s_and_saveexec_b64 s[0:1], vcc
	s_cbranch_execz .LBB1261_324
; %bb.316:
	v_cmp_le_u32_e32 vcc, v2, v13
	s_and_saveexec_b64 s[2:3], vcc
	s_xor_b64 s[2:3], exec, s[2:3]
	s_cbranch_execz .LBB1261_322
; %bb.317:
	v_cmp_le_u32_e32 vcc, v12, v13
	s_and_saveexec_b64 s[4:5], vcc
	s_xor_b64 s[4:5], exec, s[4:5]
	s_cbranch_execz .LBB1261_319
; %bb.318:
	v_add_co_u32_e32 v14, vcc, v1, v13
	v_lshlrev_b32_e32 v13, 2, v0
	ds_read_b32 v13, v13 offset:9216
	v_addc_co_u32_e32 v15, vcc, 0, v4, vcc
	v_lshlrev_b64 v[14:15], 2, v[14:15]
	v_mov_b32_e32 v16, s7
	v_sub_co_u32_e32 v14, vcc, s6, v14
	v_subb_co_u32_e32 v15, vcc, v16, v15, vcc
	s_waitcnt lgkmcnt(0)
	global_store_dword v[14:15], v13, off
                                        ; implicit-def: $vgpr13
.LBB1261_319:
	s_andn2_saveexec_b64 s[4:5], s[4:5]
	s_cbranch_execz .LBB1261_321
; %bb.320:
	v_lshlrev_b32_e32 v14, 2, v0
	ds_read_b32 v14, v14 offset:9216
	v_lshlrev_b32_e32 v13, 2, v13
	v_readfirstlane_b32 s8, v8
	v_readfirstlane_b32 s9, v9
	s_waitcnt lgkmcnt(0)
	s_nop 3
	global_store_dword v13, v14, s[8:9]
.LBB1261_321:
	s_or_b64 exec, exec, s[4:5]
                                        ; implicit-def: $vgpr13
.LBB1261_322:
	s_andn2_saveexec_b64 s[2:3], s[2:3]
	s_cbranch_execz .LBB1261_324
; %bb.323:
	v_lshlrev_b32_e32 v14, 2, v0
	ds_read_b32 v14, v14 offset:9216
	v_lshlrev_b32_e32 v13, 2, v13
	v_readfirstlane_b32 s2, v10
	v_readfirstlane_b32 s3, v11
	s_waitcnt lgkmcnt(0)
	s_nop 3
	global_store_dword v13, v14, s[2:3]
.LBB1261_324:
	s_or_b64 exec, exec, s[0:1]
	v_or_b32_e32 v13, 0xa00, v0
	v_cmp_gt_u32_e32 vcc, s18, v13
	s_and_saveexec_b64 s[0:1], vcc
	s_cbranch_execz .LBB1261_333
; %bb.325:
	v_cmp_le_u32_e32 vcc, v2, v13
	s_and_saveexec_b64 s[2:3], vcc
	s_xor_b64 s[2:3], exec, s[2:3]
	s_cbranch_execz .LBB1261_331
; %bb.326:
	v_cmp_le_u32_e32 vcc, v12, v13
	s_and_saveexec_b64 s[4:5], vcc
	s_xor_b64 s[4:5], exec, s[4:5]
	s_cbranch_execz .LBB1261_328
; %bb.327:
	v_add_co_u32_e32 v14, vcc, v1, v13
	v_lshlrev_b32_e32 v13, 2, v0
	ds_read_b32 v13, v13 offset:10240
	v_addc_co_u32_e32 v15, vcc, 0, v4, vcc
	v_lshlrev_b64 v[14:15], 2, v[14:15]
	v_mov_b32_e32 v16, s7
	v_sub_co_u32_e32 v14, vcc, s6, v14
	v_subb_co_u32_e32 v15, vcc, v16, v15, vcc
	s_waitcnt lgkmcnt(0)
	global_store_dword v[14:15], v13, off
                                        ; implicit-def: $vgpr13
.LBB1261_328:
	s_andn2_saveexec_b64 s[4:5], s[4:5]
	s_cbranch_execz .LBB1261_330
; %bb.329:
	v_lshlrev_b32_e32 v14, 2, v0
	ds_read_b32 v14, v14 offset:10240
	v_lshlrev_b32_e32 v13, 2, v13
	v_readfirstlane_b32 s8, v8
	v_readfirstlane_b32 s9, v9
	s_waitcnt lgkmcnt(0)
	s_nop 3
	global_store_dword v13, v14, s[8:9]
.LBB1261_330:
	s_or_b64 exec, exec, s[4:5]
                                        ; implicit-def: $vgpr13
.LBB1261_331:
	s_andn2_saveexec_b64 s[2:3], s[2:3]
	s_cbranch_execz .LBB1261_333
; %bb.332:
	v_lshlrev_b32_e32 v14, 2, v0
	ds_read_b32 v14, v14 offset:10240
	v_lshlrev_b32_e32 v13, 2, v13
	v_readfirstlane_b32 s2, v10
	v_readfirstlane_b32 s3, v11
	s_waitcnt lgkmcnt(0)
	s_nop 3
	global_store_dword v13, v14, s[2:3]
.LBB1261_333:
	s_or_b64 exec, exec, s[0:1]
	v_or_b32_e32 v13, 0xb00, v0
	v_cmp_gt_u32_e32 vcc, s18, v13
	s_and_saveexec_b64 s[0:1], vcc
	s_cbranch_execz .LBB1261_342
; %bb.334:
	v_cmp_le_u32_e32 vcc, v2, v13
	s_and_saveexec_b64 s[2:3], vcc
	s_xor_b64 s[2:3], exec, s[2:3]
	s_cbranch_execz .LBB1261_340
; %bb.335:
	v_cmp_le_u32_e32 vcc, v12, v13
	s_and_saveexec_b64 s[4:5], vcc
	s_xor_b64 s[4:5], exec, s[4:5]
	s_cbranch_execz .LBB1261_337
; %bb.336:
	v_add_co_u32_e32 v14, vcc, v1, v13
	v_lshlrev_b32_e32 v13, 2, v0
	ds_read_b32 v13, v13 offset:11264
	v_addc_co_u32_e32 v15, vcc, 0, v4, vcc
	v_lshlrev_b64 v[14:15], 2, v[14:15]
	v_mov_b32_e32 v16, s7
	v_sub_co_u32_e32 v14, vcc, s6, v14
	v_subb_co_u32_e32 v15, vcc, v16, v15, vcc
	s_waitcnt lgkmcnt(0)
	global_store_dword v[14:15], v13, off
                                        ; implicit-def: $vgpr13
.LBB1261_337:
	s_andn2_saveexec_b64 s[4:5], s[4:5]
	s_cbranch_execz .LBB1261_339
; %bb.338:
	v_lshlrev_b32_e32 v14, 2, v0
	ds_read_b32 v14, v14 offset:11264
	v_lshlrev_b32_e32 v13, 2, v13
	v_readfirstlane_b32 s8, v8
	v_readfirstlane_b32 s9, v9
	s_waitcnt lgkmcnt(0)
	s_nop 3
	global_store_dword v13, v14, s[8:9]
.LBB1261_339:
	s_or_b64 exec, exec, s[4:5]
                                        ; implicit-def: $vgpr13
.LBB1261_340:
	s_andn2_saveexec_b64 s[2:3], s[2:3]
	s_cbranch_execz .LBB1261_342
; %bb.341:
	v_lshlrev_b32_e32 v14, 2, v0
	ds_read_b32 v14, v14 offset:11264
	v_lshlrev_b32_e32 v13, 2, v13
	v_readfirstlane_b32 s2, v10
	v_readfirstlane_b32 s3, v11
	s_waitcnt lgkmcnt(0)
	s_nop 3
	global_store_dword v13, v14, s[2:3]
.LBB1261_342:
	s_or_b64 exec, exec, s[0:1]
	v_or_b32_e32 v13, 0xc00, v0
	v_cmp_gt_u32_e32 vcc, s18, v13
	s_and_saveexec_b64 s[0:1], vcc
	s_cbranch_execz .LBB1261_351
; %bb.343:
	v_cmp_le_u32_e32 vcc, v2, v13
	s_and_saveexec_b64 s[2:3], vcc
	s_xor_b64 s[2:3], exec, s[2:3]
	s_cbranch_execz .LBB1261_349
; %bb.344:
	v_cmp_le_u32_e32 vcc, v12, v13
	s_and_saveexec_b64 s[4:5], vcc
	s_xor_b64 s[4:5], exec, s[4:5]
	s_cbranch_execz .LBB1261_346
; %bb.345:
	v_add_co_u32_e32 v8, vcc, v1, v13
	v_lshlrev_b32_e32 v1, 2, v0
	ds_read_b32 v1, v1 offset:12288
	v_addc_co_u32_e32 v9, vcc, 0, v4, vcc
	v_lshlrev_b64 v[8:9], 2, v[8:9]
	v_mov_b32_e32 v4, s7
	v_sub_co_u32_e32 v8, vcc, s6, v8
	v_subb_co_u32_e32 v9, vcc, v4, v9, vcc
	s_waitcnt lgkmcnt(0)
	global_store_dword v[8:9], v1, off
                                        ; implicit-def: $vgpr13
                                        ; implicit-def: $vgpr8_vgpr9
.LBB1261_346:
	s_andn2_saveexec_b64 s[4:5], s[4:5]
	s_cbranch_execz .LBB1261_348
; %bb.347:
	v_lshlrev_b32_e32 v1, 2, v0
	ds_read_b32 v1, v1 offset:12288
	v_lshlrev_b32_e32 v4, 2, v13
	v_readfirstlane_b32 s6, v8
	v_readfirstlane_b32 s7, v9
	s_waitcnt lgkmcnt(0)
	s_nop 3
	global_store_dword v4, v1, s[6:7]
.LBB1261_348:
	s_or_b64 exec, exec, s[4:5]
                                        ; implicit-def: $vgpr13
                                        ; implicit-def: $vgpr10_vgpr11
.LBB1261_349:
	s_andn2_saveexec_b64 s[2:3], s[2:3]
	s_cbranch_execz .LBB1261_351
; %bb.350:
	v_lshlrev_b32_e32 v1, 2, v0
	ds_read_b32 v1, v1 offset:12288
	v_lshlrev_b32_e32 v4, 2, v13
	v_readfirstlane_b32 s2, v10
	v_readfirstlane_b32 s3, v11
	s_waitcnt lgkmcnt(0)
	s_nop 3
	global_store_dword v4, v1, s[2:3]
.LBB1261_351:
	s_or_b64 exec, exec, s[0:1]
	v_cmp_eq_u32_e32 vcc, 0, v0
	s_and_b64 s[0:1], vcc, s[30:31]
	s_and_saveexec_b64 s[2:3], s[0:1]
	s_cbranch_execz .LBB1261_128
.LBB1261_352:
	v_add_co_u32_e32 v0, vcc, v6, v2
	v_addc_co_u32_e32 v1, vcc, 0, v7, vcc
	v_mov_b32_e32 v2, s51
	v_add_co_u32_e32 v3, vcc, s50, v3
	v_addc_co_u32_e32 v6, vcc, 0, v2, vcc
	v_add_co_u32_e32 v2, vcc, v3, v5
	v_mov_b32_e32 v4, 0
	v_addc_co_u32_e32 v3, vcc, 0, v6, vcc
	global_store_dwordx4 v4, v[0:3], s[44:45]
	s_endpgm
	.section	.rodata,"a",@progbits
	.p2align	6, 0x0
	.amdhsa_kernel _ZN7rocprim17ROCPRIM_400000_NS6detail17trampoline_kernelINS0_13select_configILj256ELj13ELNS0_17block_load_methodE3ELS4_3ELS4_3ELNS0_20block_scan_algorithmE0ELj4294967295EEENS1_25partition_config_selectorILNS1_17partition_subalgoE4EjNS0_10empty_typeEbEEZZNS1_14partition_implILS8_4ELb0ES6_15HIP_vector_typeIjLj2EENS0_17counting_iteratorIjlEEPS9_SG_NS0_5tupleIJPjSI_NS0_16reverse_iteratorISI_EEEEENSH_IJSG_SG_SG_EEES9_SI_JZNS1_25segmented_radix_sort_implINS0_14default_configELb1EPKfPfPKlPlN2at6native12_GLOBAL__N_18offset_tEEE10hipError_tPvRmT1_PNSt15iterator_traitsIS12_E10value_typeET2_T3_PNS13_IS18_E10value_typeET4_jRbjT5_S1E_jjP12ihipStream_tbEUljE_ZNSN_ISO_Lb1ESQ_SR_ST_SU_SY_EESZ_S10_S11_S12_S16_S17_S18_S1B_S1C_jS1D_jS1E_S1E_jjS1G_bEUljE0_EEESZ_S10_S11_S18_S1C_S1E_T6_T7_T9_mT8_S1G_bDpT10_ENKUlT_T0_E_clISt17integral_constantIbLb0EES1U_EEDaS1P_S1Q_EUlS1P_E_NS1_11comp_targetILNS1_3genE4ELNS1_11target_archE910ELNS1_3gpuE8ELNS1_3repE0EEENS1_30default_config_static_selectorELNS0_4arch9wavefront6targetE1EEEvS12_
		.amdhsa_group_segment_fixed_size 13340
		.amdhsa_private_segment_fixed_size 0
		.amdhsa_kernarg_size 176
		.amdhsa_user_sgpr_count 6
		.amdhsa_user_sgpr_private_segment_buffer 1
		.amdhsa_user_sgpr_dispatch_ptr 0
		.amdhsa_user_sgpr_queue_ptr 0
		.amdhsa_user_sgpr_kernarg_segment_ptr 1
		.amdhsa_user_sgpr_dispatch_id 0
		.amdhsa_user_sgpr_flat_scratch_init 0
		.amdhsa_user_sgpr_kernarg_preload_length 0
		.amdhsa_user_sgpr_kernarg_preload_offset 0
		.amdhsa_user_sgpr_private_segment_size 0
		.amdhsa_uses_dynamic_stack 0
		.amdhsa_system_sgpr_private_segment_wavefront_offset 0
		.amdhsa_system_sgpr_workgroup_id_x 1
		.amdhsa_system_sgpr_workgroup_id_y 0
		.amdhsa_system_sgpr_workgroup_id_z 0
		.amdhsa_system_sgpr_workgroup_info 0
		.amdhsa_system_vgpr_workitem_id 0
		.amdhsa_next_free_vgpr 102
		.amdhsa_next_free_sgpr 90
		.amdhsa_accum_offset 104
		.amdhsa_reserve_vcc 1
		.amdhsa_reserve_flat_scratch 0
		.amdhsa_float_round_mode_32 0
		.amdhsa_float_round_mode_16_64 0
		.amdhsa_float_denorm_mode_32 3
		.amdhsa_float_denorm_mode_16_64 3
		.amdhsa_dx10_clamp 1
		.amdhsa_ieee_mode 1
		.amdhsa_fp16_overflow 0
		.amdhsa_tg_split 0
		.amdhsa_exception_fp_ieee_invalid_op 0
		.amdhsa_exception_fp_denorm_src 0
		.amdhsa_exception_fp_ieee_div_zero 0
		.amdhsa_exception_fp_ieee_overflow 0
		.amdhsa_exception_fp_ieee_underflow 0
		.amdhsa_exception_fp_ieee_inexact 0
		.amdhsa_exception_int_div_zero 0
	.end_amdhsa_kernel
	.section	.text._ZN7rocprim17ROCPRIM_400000_NS6detail17trampoline_kernelINS0_13select_configILj256ELj13ELNS0_17block_load_methodE3ELS4_3ELS4_3ELNS0_20block_scan_algorithmE0ELj4294967295EEENS1_25partition_config_selectorILNS1_17partition_subalgoE4EjNS0_10empty_typeEbEEZZNS1_14partition_implILS8_4ELb0ES6_15HIP_vector_typeIjLj2EENS0_17counting_iteratorIjlEEPS9_SG_NS0_5tupleIJPjSI_NS0_16reverse_iteratorISI_EEEEENSH_IJSG_SG_SG_EEES9_SI_JZNS1_25segmented_radix_sort_implINS0_14default_configELb1EPKfPfPKlPlN2at6native12_GLOBAL__N_18offset_tEEE10hipError_tPvRmT1_PNSt15iterator_traitsIS12_E10value_typeET2_T3_PNS13_IS18_E10value_typeET4_jRbjT5_S1E_jjP12ihipStream_tbEUljE_ZNSN_ISO_Lb1ESQ_SR_ST_SU_SY_EESZ_S10_S11_S12_S16_S17_S18_S1B_S1C_jS1D_jS1E_S1E_jjS1G_bEUljE0_EEESZ_S10_S11_S18_S1C_S1E_T6_T7_T9_mT8_S1G_bDpT10_ENKUlT_T0_E_clISt17integral_constantIbLb0EES1U_EEDaS1P_S1Q_EUlS1P_E_NS1_11comp_targetILNS1_3genE4ELNS1_11target_archE910ELNS1_3gpuE8ELNS1_3repE0EEENS1_30default_config_static_selectorELNS0_4arch9wavefront6targetE1EEEvS12_,"axG",@progbits,_ZN7rocprim17ROCPRIM_400000_NS6detail17trampoline_kernelINS0_13select_configILj256ELj13ELNS0_17block_load_methodE3ELS4_3ELS4_3ELNS0_20block_scan_algorithmE0ELj4294967295EEENS1_25partition_config_selectorILNS1_17partition_subalgoE4EjNS0_10empty_typeEbEEZZNS1_14partition_implILS8_4ELb0ES6_15HIP_vector_typeIjLj2EENS0_17counting_iteratorIjlEEPS9_SG_NS0_5tupleIJPjSI_NS0_16reverse_iteratorISI_EEEEENSH_IJSG_SG_SG_EEES9_SI_JZNS1_25segmented_radix_sort_implINS0_14default_configELb1EPKfPfPKlPlN2at6native12_GLOBAL__N_18offset_tEEE10hipError_tPvRmT1_PNSt15iterator_traitsIS12_E10value_typeET2_T3_PNS13_IS18_E10value_typeET4_jRbjT5_S1E_jjP12ihipStream_tbEUljE_ZNSN_ISO_Lb1ESQ_SR_ST_SU_SY_EESZ_S10_S11_S12_S16_S17_S18_S1B_S1C_jS1D_jS1E_S1E_jjS1G_bEUljE0_EEESZ_S10_S11_S18_S1C_S1E_T6_T7_T9_mT8_S1G_bDpT10_ENKUlT_T0_E_clISt17integral_constantIbLb0EES1U_EEDaS1P_S1Q_EUlS1P_E_NS1_11comp_targetILNS1_3genE4ELNS1_11target_archE910ELNS1_3gpuE8ELNS1_3repE0EEENS1_30default_config_static_selectorELNS0_4arch9wavefront6targetE1EEEvS12_,comdat
.Lfunc_end1261:
	.size	_ZN7rocprim17ROCPRIM_400000_NS6detail17trampoline_kernelINS0_13select_configILj256ELj13ELNS0_17block_load_methodE3ELS4_3ELS4_3ELNS0_20block_scan_algorithmE0ELj4294967295EEENS1_25partition_config_selectorILNS1_17partition_subalgoE4EjNS0_10empty_typeEbEEZZNS1_14partition_implILS8_4ELb0ES6_15HIP_vector_typeIjLj2EENS0_17counting_iteratorIjlEEPS9_SG_NS0_5tupleIJPjSI_NS0_16reverse_iteratorISI_EEEEENSH_IJSG_SG_SG_EEES9_SI_JZNS1_25segmented_radix_sort_implINS0_14default_configELb1EPKfPfPKlPlN2at6native12_GLOBAL__N_18offset_tEEE10hipError_tPvRmT1_PNSt15iterator_traitsIS12_E10value_typeET2_T3_PNS13_IS18_E10value_typeET4_jRbjT5_S1E_jjP12ihipStream_tbEUljE_ZNSN_ISO_Lb1ESQ_SR_ST_SU_SY_EESZ_S10_S11_S12_S16_S17_S18_S1B_S1C_jS1D_jS1E_S1E_jjS1G_bEUljE0_EEESZ_S10_S11_S18_S1C_S1E_T6_T7_T9_mT8_S1G_bDpT10_ENKUlT_T0_E_clISt17integral_constantIbLb0EES1U_EEDaS1P_S1Q_EUlS1P_E_NS1_11comp_targetILNS1_3genE4ELNS1_11target_archE910ELNS1_3gpuE8ELNS1_3repE0EEENS1_30default_config_static_selectorELNS0_4arch9wavefront6targetE1EEEvS12_, .Lfunc_end1261-_ZN7rocprim17ROCPRIM_400000_NS6detail17trampoline_kernelINS0_13select_configILj256ELj13ELNS0_17block_load_methodE3ELS4_3ELS4_3ELNS0_20block_scan_algorithmE0ELj4294967295EEENS1_25partition_config_selectorILNS1_17partition_subalgoE4EjNS0_10empty_typeEbEEZZNS1_14partition_implILS8_4ELb0ES6_15HIP_vector_typeIjLj2EENS0_17counting_iteratorIjlEEPS9_SG_NS0_5tupleIJPjSI_NS0_16reverse_iteratorISI_EEEEENSH_IJSG_SG_SG_EEES9_SI_JZNS1_25segmented_radix_sort_implINS0_14default_configELb1EPKfPfPKlPlN2at6native12_GLOBAL__N_18offset_tEEE10hipError_tPvRmT1_PNSt15iterator_traitsIS12_E10value_typeET2_T3_PNS13_IS18_E10value_typeET4_jRbjT5_S1E_jjP12ihipStream_tbEUljE_ZNSN_ISO_Lb1ESQ_SR_ST_SU_SY_EESZ_S10_S11_S12_S16_S17_S18_S1B_S1C_jS1D_jS1E_S1E_jjS1G_bEUljE0_EEESZ_S10_S11_S18_S1C_S1E_T6_T7_T9_mT8_S1G_bDpT10_ENKUlT_T0_E_clISt17integral_constantIbLb0EES1U_EEDaS1P_S1Q_EUlS1P_E_NS1_11comp_targetILNS1_3genE4ELNS1_11target_archE910ELNS1_3gpuE8ELNS1_3repE0EEENS1_30default_config_static_selectorELNS0_4arch9wavefront6targetE1EEEvS12_
                                        ; -- End function
	.section	.AMDGPU.csdata,"",@progbits
; Kernel info:
; codeLenInByte = 13332
; NumSgprs: 94
; NumVgprs: 102
; NumAgprs: 0
; TotalNumVgprs: 102
; ScratchSize: 0
; MemoryBound: 0
; FloatMode: 240
; IeeeMode: 1
; LDSByteSize: 13340 bytes/workgroup (compile time only)
; SGPRBlocks: 11
; VGPRBlocks: 12
; NumSGPRsForWavesPerEU: 94
; NumVGPRsForWavesPerEU: 102
; AccumOffset: 104
; Occupancy: 4
; WaveLimiterHint : 1
; COMPUTE_PGM_RSRC2:SCRATCH_EN: 0
; COMPUTE_PGM_RSRC2:USER_SGPR: 6
; COMPUTE_PGM_RSRC2:TRAP_HANDLER: 0
; COMPUTE_PGM_RSRC2:TGID_X_EN: 1
; COMPUTE_PGM_RSRC2:TGID_Y_EN: 0
; COMPUTE_PGM_RSRC2:TGID_Z_EN: 0
; COMPUTE_PGM_RSRC2:TIDIG_COMP_CNT: 0
; COMPUTE_PGM_RSRC3_GFX90A:ACCUM_OFFSET: 25
; COMPUTE_PGM_RSRC3_GFX90A:TG_SPLIT: 0
	.section	.text._ZN7rocprim17ROCPRIM_400000_NS6detail17trampoline_kernelINS0_13select_configILj256ELj13ELNS0_17block_load_methodE3ELS4_3ELS4_3ELNS0_20block_scan_algorithmE0ELj4294967295EEENS1_25partition_config_selectorILNS1_17partition_subalgoE4EjNS0_10empty_typeEbEEZZNS1_14partition_implILS8_4ELb0ES6_15HIP_vector_typeIjLj2EENS0_17counting_iteratorIjlEEPS9_SG_NS0_5tupleIJPjSI_NS0_16reverse_iteratorISI_EEEEENSH_IJSG_SG_SG_EEES9_SI_JZNS1_25segmented_radix_sort_implINS0_14default_configELb1EPKfPfPKlPlN2at6native12_GLOBAL__N_18offset_tEEE10hipError_tPvRmT1_PNSt15iterator_traitsIS12_E10value_typeET2_T3_PNS13_IS18_E10value_typeET4_jRbjT5_S1E_jjP12ihipStream_tbEUljE_ZNSN_ISO_Lb1ESQ_SR_ST_SU_SY_EESZ_S10_S11_S12_S16_S17_S18_S1B_S1C_jS1D_jS1E_S1E_jjS1G_bEUljE0_EEESZ_S10_S11_S18_S1C_S1E_T6_T7_T9_mT8_S1G_bDpT10_ENKUlT_T0_E_clISt17integral_constantIbLb0EES1U_EEDaS1P_S1Q_EUlS1P_E_NS1_11comp_targetILNS1_3genE3ELNS1_11target_archE908ELNS1_3gpuE7ELNS1_3repE0EEENS1_30default_config_static_selectorELNS0_4arch9wavefront6targetE1EEEvS12_,"axG",@progbits,_ZN7rocprim17ROCPRIM_400000_NS6detail17trampoline_kernelINS0_13select_configILj256ELj13ELNS0_17block_load_methodE3ELS4_3ELS4_3ELNS0_20block_scan_algorithmE0ELj4294967295EEENS1_25partition_config_selectorILNS1_17partition_subalgoE4EjNS0_10empty_typeEbEEZZNS1_14partition_implILS8_4ELb0ES6_15HIP_vector_typeIjLj2EENS0_17counting_iteratorIjlEEPS9_SG_NS0_5tupleIJPjSI_NS0_16reverse_iteratorISI_EEEEENSH_IJSG_SG_SG_EEES9_SI_JZNS1_25segmented_radix_sort_implINS0_14default_configELb1EPKfPfPKlPlN2at6native12_GLOBAL__N_18offset_tEEE10hipError_tPvRmT1_PNSt15iterator_traitsIS12_E10value_typeET2_T3_PNS13_IS18_E10value_typeET4_jRbjT5_S1E_jjP12ihipStream_tbEUljE_ZNSN_ISO_Lb1ESQ_SR_ST_SU_SY_EESZ_S10_S11_S12_S16_S17_S18_S1B_S1C_jS1D_jS1E_S1E_jjS1G_bEUljE0_EEESZ_S10_S11_S18_S1C_S1E_T6_T7_T9_mT8_S1G_bDpT10_ENKUlT_T0_E_clISt17integral_constantIbLb0EES1U_EEDaS1P_S1Q_EUlS1P_E_NS1_11comp_targetILNS1_3genE3ELNS1_11target_archE908ELNS1_3gpuE7ELNS1_3repE0EEENS1_30default_config_static_selectorELNS0_4arch9wavefront6targetE1EEEvS12_,comdat
	.globl	_ZN7rocprim17ROCPRIM_400000_NS6detail17trampoline_kernelINS0_13select_configILj256ELj13ELNS0_17block_load_methodE3ELS4_3ELS4_3ELNS0_20block_scan_algorithmE0ELj4294967295EEENS1_25partition_config_selectorILNS1_17partition_subalgoE4EjNS0_10empty_typeEbEEZZNS1_14partition_implILS8_4ELb0ES6_15HIP_vector_typeIjLj2EENS0_17counting_iteratorIjlEEPS9_SG_NS0_5tupleIJPjSI_NS0_16reverse_iteratorISI_EEEEENSH_IJSG_SG_SG_EEES9_SI_JZNS1_25segmented_radix_sort_implINS0_14default_configELb1EPKfPfPKlPlN2at6native12_GLOBAL__N_18offset_tEEE10hipError_tPvRmT1_PNSt15iterator_traitsIS12_E10value_typeET2_T3_PNS13_IS18_E10value_typeET4_jRbjT5_S1E_jjP12ihipStream_tbEUljE_ZNSN_ISO_Lb1ESQ_SR_ST_SU_SY_EESZ_S10_S11_S12_S16_S17_S18_S1B_S1C_jS1D_jS1E_S1E_jjS1G_bEUljE0_EEESZ_S10_S11_S18_S1C_S1E_T6_T7_T9_mT8_S1G_bDpT10_ENKUlT_T0_E_clISt17integral_constantIbLb0EES1U_EEDaS1P_S1Q_EUlS1P_E_NS1_11comp_targetILNS1_3genE3ELNS1_11target_archE908ELNS1_3gpuE7ELNS1_3repE0EEENS1_30default_config_static_selectorELNS0_4arch9wavefront6targetE1EEEvS12_ ; -- Begin function _ZN7rocprim17ROCPRIM_400000_NS6detail17trampoline_kernelINS0_13select_configILj256ELj13ELNS0_17block_load_methodE3ELS4_3ELS4_3ELNS0_20block_scan_algorithmE0ELj4294967295EEENS1_25partition_config_selectorILNS1_17partition_subalgoE4EjNS0_10empty_typeEbEEZZNS1_14partition_implILS8_4ELb0ES6_15HIP_vector_typeIjLj2EENS0_17counting_iteratorIjlEEPS9_SG_NS0_5tupleIJPjSI_NS0_16reverse_iteratorISI_EEEEENSH_IJSG_SG_SG_EEES9_SI_JZNS1_25segmented_radix_sort_implINS0_14default_configELb1EPKfPfPKlPlN2at6native12_GLOBAL__N_18offset_tEEE10hipError_tPvRmT1_PNSt15iterator_traitsIS12_E10value_typeET2_T3_PNS13_IS18_E10value_typeET4_jRbjT5_S1E_jjP12ihipStream_tbEUljE_ZNSN_ISO_Lb1ESQ_SR_ST_SU_SY_EESZ_S10_S11_S12_S16_S17_S18_S1B_S1C_jS1D_jS1E_S1E_jjS1G_bEUljE0_EEESZ_S10_S11_S18_S1C_S1E_T6_T7_T9_mT8_S1G_bDpT10_ENKUlT_T0_E_clISt17integral_constantIbLb0EES1U_EEDaS1P_S1Q_EUlS1P_E_NS1_11comp_targetILNS1_3genE3ELNS1_11target_archE908ELNS1_3gpuE7ELNS1_3repE0EEENS1_30default_config_static_selectorELNS0_4arch9wavefront6targetE1EEEvS12_
	.p2align	8
	.type	_ZN7rocprim17ROCPRIM_400000_NS6detail17trampoline_kernelINS0_13select_configILj256ELj13ELNS0_17block_load_methodE3ELS4_3ELS4_3ELNS0_20block_scan_algorithmE0ELj4294967295EEENS1_25partition_config_selectorILNS1_17partition_subalgoE4EjNS0_10empty_typeEbEEZZNS1_14partition_implILS8_4ELb0ES6_15HIP_vector_typeIjLj2EENS0_17counting_iteratorIjlEEPS9_SG_NS0_5tupleIJPjSI_NS0_16reverse_iteratorISI_EEEEENSH_IJSG_SG_SG_EEES9_SI_JZNS1_25segmented_radix_sort_implINS0_14default_configELb1EPKfPfPKlPlN2at6native12_GLOBAL__N_18offset_tEEE10hipError_tPvRmT1_PNSt15iterator_traitsIS12_E10value_typeET2_T3_PNS13_IS18_E10value_typeET4_jRbjT5_S1E_jjP12ihipStream_tbEUljE_ZNSN_ISO_Lb1ESQ_SR_ST_SU_SY_EESZ_S10_S11_S12_S16_S17_S18_S1B_S1C_jS1D_jS1E_S1E_jjS1G_bEUljE0_EEESZ_S10_S11_S18_S1C_S1E_T6_T7_T9_mT8_S1G_bDpT10_ENKUlT_T0_E_clISt17integral_constantIbLb0EES1U_EEDaS1P_S1Q_EUlS1P_E_NS1_11comp_targetILNS1_3genE3ELNS1_11target_archE908ELNS1_3gpuE7ELNS1_3repE0EEENS1_30default_config_static_selectorELNS0_4arch9wavefront6targetE1EEEvS12_,@function
_ZN7rocprim17ROCPRIM_400000_NS6detail17trampoline_kernelINS0_13select_configILj256ELj13ELNS0_17block_load_methodE3ELS4_3ELS4_3ELNS0_20block_scan_algorithmE0ELj4294967295EEENS1_25partition_config_selectorILNS1_17partition_subalgoE4EjNS0_10empty_typeEbEEZZNS1_14partition_implILS8_4ELb0ES6_15HIP_vector_typeIjLj2EENS0_17counting_iteratorIjlEEPS9_SG_NS0_5tupleIJPjSI_NS0_16reverse_iteratorISI_EEEEENSH_IJSG_SG_SG_EEES9_SI_JZNS1_25segmented_radix_sort_implINS0_14default_configELb1EPKfPfPKlPlN2at6native12_GLOBAL__N_18offset_tEEE10hipError_tPvRmT1_PNSt15iterator_traitsIS12_E10value_typeET2_T3_PNS13_IS18_E10value_typeET4_jRbjT5_S1E_jjP12ihipStream_tbEUljE_ZNSN_ISO_Lb1ESQ_SR_ST_SU_SY_EESZ_S10_S11_S12_S16_S17_S18_S1B_S1C_jS1D_jS1E_S1E_jjS1G_bEUljE0_EEESZ_S10_S11_S18_S1C_S1E_T6_T7_T9_mT8_S1G_bDpT10_ENKUlT_T0_E_clISt17integral_constantIbLb0EES1U_EEDaS1P_S1Q_EUlS1P_E_NS1_11comp_targetILNS1_3genE3ELNS1_11target_archE908ELNS1_3gpuE7ELNS1_3repE0EEENS1_30default_config_static_selectorELNS0_4arch9wavefront6targetE1EEEvS12_: ; @_ZN7rocprim17ROCPRIM_400000_NS6detail17trampoline_kernelINS0_13select_configILj256ELj13ELNS0_17block_load_methodE3ELS4_3ELS4_3ELNS0_20block_scan_algorithmE0ELj4294967295EEENS1_25partition_config_selectorILNS1_17partition_subalgoE4EjNS0_10empty_typeEbEEZZNS1_14partition_implILS8_4ELb0ES6_15HIP_vector_typeIjLj2EENS0_17counting_iteratorIjlEEPS9_SG_NS0_5tupleIJPjSI_NS0_16reverse_iteratorISI_EEEEENSH_IJSG_SG_SG_EEES9_SI_JZNS1_25segmented_radix_sort_implINS0_14default_configELb1EPKfPfPKlPlN2at6native12_GLOBAL__N_18offset_tEEE10hipError_tPvRmT1_PNSt15iterator_traitsIS12_E10value_typeET2_T3_PNS13_IS18_E10value_typeET4_jRbjT5_S1E_jjP12ihipStream_tbEUljE_ZNSN_ISO_Lb1ESQ_SR_ST_SU_SY_EESZ_S10_S11_S12_S16_S17_S18_S1B_S1C_jS1D_jS1E_S1E_jjS1G_bEUljE0_EEESZ_S10_S11_S18_S1C_S1E_T6_T7_T9_mT8_S1G_bDpT10_ENKUlT_T0_E_clISt17integral_constantIbLb0EES1U_EEDaS1P_S1Q_EUlS1P_E_NS1_11comp_targetILNS1_3genE3ELNS1_11target_archE908ELNS1_3gpuE7ELNS1_3repE0EEENS1_30default_config_static_selectorELNS0_4arch9wavefront6targetE1EEEvS12_
; %bb.0:
	.section	.rodata,"a",@progbits
	.p2align	6, 0x0
	.amdhsa_kernel _ZN7rocprim17ROCPRIM_400000_NS6detail17trampoline_kernelINS0_13select_configILj256ELj13ELNS0_17block_load_methodE3ELS4_3ELS4_3ELNS0_20block_scan_algorithmE0ELj4294967295EEENS1_25partition_config_selectorILNS1_17partition_subalgoE4EjNS0_10empty_typeEbEEZZNS1_14partition_implILS8_4ELb0ES6_15HIP_vector_typeIjLj2EENS0_17counting_iteratorIjlEEPS9_SG_NS0_5tupleIJPjSI_NS0_16reverse_iteratorISI_EEEEENSH_IJSG_SG_SG_EEES9_SI_JZNS1_25segmented_radix_sort_implINS0_14default_configELb1EPKfPfPKlPlN2at6native12_GLOBAL__N_18offset_tEEE10hipError_tPvRmT1_PNSt15iterator_traitsIS12_E10value_typeET2_T3_PNS13_IS18_E10value_typeET4_jRbjT5_S1E_jjP12ihipStream_tbEUljE_ZNSN_ISO_Lb1ESQ_SR_ST_SU_SY_EESZ_S10_S11_S12_S16_S17_S18_S1B_S1C_jS1D_jS1E_S1E_jjS1G_bEUljE0_EEESZ_S10_S11_S18_S1C_S1E_T6_T7_T9_mT8_S1G_bDpT10_ENKUlT_T0_E_clISt17integral_constantIbLb0EES1U_EEDaS1P_S1Q_EUlS1P_E_NS1_11comp_targetILNS1_3genE3ELNS1_11target_archE908ELNS1_3gpuE7ELNS1_3repE0EEENS1_30default_config_static_selectorELNS0_4arch9wavefront6targetE1EEEvS12_
		.amdhsa_group_segment_fixed_size 0
		.amdhsa_private_segment_fixed_size 0
		.amdhsa_kernarg_size 176
		.amdhsa_user_sgpr_count 6
		.amdhsa_user_sgpr_private_segment_buffer 1
		.amdhsa_user_sgpr_dispatch_ptr 0
		.amdhsa_user_sgpr_queue_ptr 0
		.amdhsa_user_sgpr_kernarg_segment_ptr 1
		.amdhsa_user_sgpr_dispatch_id 0
		.amdhsa_user_sgpr_flat_scratch_init 0
		.amdhsa_user_sgpr_kernarg_preload_length 0
		.amdhsa_user_sgpr_kernarg_preload_offset 0
		.amdhsa_user_sgpr_private_segment_size 0
		.amdhsa_uses_dynamic_stack 0
		.amdhsa_system_sgpr_private_segment_wavefront_offset 0
		.amdhsa_system_sgpr_workgroup_id_x 1
		.amdhsa_system_sgpr_workgroup_id_y 0
		.amdhsa_system_sgpr_workgroup_id_z 0
		.amdhsa_system_sgpr_workgroup_info 0
		.amdhsa_system_vgpr_workitem_id 0
		.amdhsa_next_free_vgpr 1
		.amdhsa_next_free_sgpr 0
		.amdhsa_accum_offset 4
		.amdhsa_reserve_vcc 0
		.amdhsa_reserve_flat_scratch 0
		.amdhsa_float_round_mode_32 0
		.amdhsa_float_round_mode_16_64 0
		.amdhsa_float_denorm_mode_32 3
		.amdhsa_float_denorm_mode_16_64 3
		.amdhsa_dx10_clamp 1
		.amdhsa_ieee_mode 1
		.amdhsa_fp16_overflow 0
		.amdhsa_tg_split 0
		.amdhsa_exception_fp_ieee_invalid_op 0
		.amdhsa_exception_fp_denorm_src 0
		.amdhsa_exception_fp_ieee_div_zero 0
		.amdhsa_exception_fp_ieee_overflow 0
		.amdhsa_exception_fp_ieee_underflow 0
		.amdhsa_exception_fp_ieee_inexact 0
		.amdhsa_exception_int_div_zero 0
	.end_amdhsa_kernel
	.section	.text._ZN7rocprim17ROCPRIM_400000_NS6detail17trampoline_kernelINS0_13select_configILj256ELj13ELNS0_17block_load_methodE3ELS4_3ELS4_3ELNS0_20block_scan_algorithmE0ELj4294967295EEENS1_25partition_config_selectorILNS1_17partition_subalgoE4EjNS0_10empty_typeEbEEZZNS1_14partition_implILS8_4ELb0ES6_15HIP_vector_typeIjLj2EENS0_17counting_iteratorIjlEEPS9_SG_NS0_5tupleIJPjSI_NS0_16reverse_iteratorISI_EEEEENSH_IJSG_SG_SG_EEES9_SI_JZNS1_25segmented_radix_sort_implINS0_14default_configELb1EPKfPfPKlPlN2at6native12_GLOBAL__N_18offset_tEEE10hipError_tPvRmT1_PNSt15iterator_traitsIS12_E10value_typeET2_T3_PNS13_IS18_E10value_typeET4_jRbjT5_S1E_jjP12ihipStream_tbEUljE_ZNSN_ISO_Lb1ESQ_SR_ST_SU_SY_EESZ_S10_S11_S12_S16_S17_S18_S1B_S1C_jS1D_jS1E_S1E_jjS1G_bEUljE0_EEESZ_S10_S11_S18_S1C_S1E_T6_T7_T9_mT8_S1G_bDpT10_ENKUlT_T0_E_clISt17integral_constantIbLb0EES1U_EEDaS1P_S1Q_EUlS1P_E_NS1_11comp_targetILNS1_3genE3ELNS1_11target_archE908ELNS1_3gpuE7ELNS1_3repE0EEENS1_30default_config_static_selectorELNS0_4arch9wavefront6targetE1EEEvS12_,"axG",@progbits,_ZN7rocprim17ROCPRIM_400000_NS6detail17trampoline_kernelINS0_13select_configILj256ELj13ELNS0_17block_load_methodE3ELS4_3ELS4_3ELNS0_20block_scan_algorithmE0ELj4294967295EEENS1_25partition_config_selectorILNS1_17partition_subalgoE4EjNS0_10empty_typeEbEEZZNS1_14partition_implILS8_4ELb0ES6_15HIP_vector_typeIjLj2EENS0_17counting_iteratorIjlEEPS9_SG_NS0_5tupleIJPjSI_NS0_16reverse_iteratorISI_EEEEENSH_IJSG_SG_SG_EEES9_SI_JZNS1_25segmented_radix_sort_implINS0_14default_configELb1EPKfPfPKlPlN2at6native12_GLOBAL__N_18offset_tEEE10hipError_tPvRmT1_PNSt15iterator_traitsIS12_E10value_typeET2_T3_PNS13_IS18_E10value_typeET4_jRbjT5_S1E_jjP12ihipStream_tbEUljE_ZNSN_ISO_Lb1ESQ_SR_ST_SU_SY_EESZ_S10_S11_S12_S16_S17_S18_S1B_S1C_jS1D_jS1E_S1E_jjS1G_bEUljE0_EEESZ_S10_S11_S18_S1C_S1E_T6_T7_T9_mT8_S1G_bDpT10_ENKUlT_T0_E_clISt17integral_constantIbLb0EES1U_EEDaS1P_S1Q_EUlS1P_E_NS1_11comp_targetILNS1_3genE3ELNS1_11target_archE908ELNS1_3gpuE7ELNS1_3repE0EEENS1_30default_config_static_selectorELNS0_4arch9wavefront6targetE1EEEvS12_,comdat
.Lfunc_end1262:
	.size	_ZN7rocprim17ROCPRIM_400000_NS6detail17trampoline_kernelINS0_13select_configILj256ELj13ELNS0_17block_load_methodE3ELS4_3ELS4_3ELNS0_20block_scan_algorithmE0ELj4294967295EEENS1_25partition_config_selectorILNS1_17partition_subalgoE4EjNS0_10empty_typeEbEEZZNS1_14partition_implILS8_4ELb0ES6_15HIP_vector_typeIjLj2EENS0_17counting_iteratorIjlEEPS9_SG_NS0_5tupleIJPjSI_NS0_16reverse_iteratorISI_EEEEENSH_IJSG_SG_SG_EEES9_SI_JZNS1_25segmented_radix_sort_implINS0_14default_configELb1EPKfPfPKlPlN2at6native12_GLOBAL__N_18offset_tEEE10hipError_tPvRmT1_PNSt15iterator_traitsIS12_E10value_typeET2_T3_PNS13_IS18_E10value_typeET4_jRbjT5_S1E_jjP12ihipStream_tbEUljE_ZNSN_ISO_Lb1ESQ_SR_ST_SU_SY_EESZ_S10_S11_S12_S16_S17_S18_S1B_S1C_jS1D_jS1E_S1E_jjS1G_bEUljE0_EEESZ_S10_S11_S18_S1C_S1E_T6_T7_T9_mT8_S1G_bDpT10_ENKUlT_T0_E_clISt17integral_constantIbLb0EES1U_EEDaS1P_S1Q_EUlS1P_E_NS1_11comp_targetILNS1_3genE3ELNS1_11target_archE908ELNS1_3gpuE7ELNS1_3repE0EEENS1_30default_config_static_selectorELNS0_4arch9wavefront6targetE1EEEvS12_, .Lfunc_end1262-_ZN7rocprim17ROCPRIM_400000_NS6detail17trampoline_kernelINS0_13select_configILj256ELj13ELNS0_17block_load_methodE3ELS4_3ELS4_3ELNS0_20block_scan_algorithmE0ELj4294967295EEENS1_25partition_config_selectorILNS1_17partition_subalgoE4EjNS0_10empty_typeEbEEZZNS1_14partition_implILS8_4ELb0ES6_15HIP_vector_typeIjLj2EENS0_17counting_iteratorIjlEEPS9_SG_NS0_5tupleIJPjSI_NS0_16reverse_iteratorISI_EEEEENSH_IJSG_SG_SG_EEES9_SI_JZNS1_25segmented_radix_sort_implINS0_14default_configELb1EPKfPfPKlPlN2at6native12_GLOBAL__N_18offset_tEEE10hipError_tPvRmT1_PNSt15iterator_traitsIS12_E10value_typeET2_T3_PNS13_IS18_E10value_typeET4_jRbjT5_S1E_jjP12ihipStream_tbEUljE_ZNSN_ISO_Lb1ESQ_SR_ST_SU_SY_EESZ_S10_S11_S12_S16_S17_S18_S1B_S1C_jS1D_jS1E_S1E_jjS1G_bEUljE0_EEESZ_S10_S11_S18_S1C_S1E_T6_T7_T9_mT8_S1G_bDpT10_ENKUlT_T0_E_clISt17integral_constantIbLb0EES1U_EEDaS1P_S1Q_EUlS1P_E_NS1_11comp_targetILNS1_3genE3ELNS1_11target_archE908ELNS1_3gpuE7ELNS1_3repE0EEENS1_30default_config_static_selectorELNS0_4arch9wavefront6targetE1EEEvS12_
                                        ; -- End function
	.section	.AMDGPU.csdata,"",@progbits
; Kernel info:
; codeLenInByte = 0
; NumSgprs: 4
; NumVgprs: 0
; NumAgprs: 0
; TotalNumVgprs: 0
; ScratchSize: 0
; MemoryBound: 0
; FloatMode: 240
; IeeeMode: 1
; LDSByteSize: 0 bytes/workgroup (compile time only)
; SGPRBlocks: 0
; VGPRBlocks: 0
; NumSGPRsForWavesPerEU: 4
; NumVGPRsForWavesPerEU: 1
; AccumOffset: 4
; Occupancy: 8
; WaveLimiterHint : 0
; COMPUTE_PGM_RSRC2:SCRATCH_EN: 0
; COMPUTE_PGM_RSRC2:USER_SGPR: 6
; COMPUTE_PGM_RSRC2:TRAP_HANDLER: 0
; COMPUTE_PGM_RSRC2:TGID_X_EN: 1
; COMPUTE_PGM_RSRC2:TGID_Y_EN: 0
; COMPUTE_PGM_RSRC2:TGID_Z_EN: 0
; COMPUTE_PGM_RSRC2:TIDIG_COMP_CNT: 0
; COMPUTE_PGM_RSRC3_GFX90A:ACCUM_OFFSET: 0
; COMPUTE_PGM_RSRC3_GFX90A:TG_SPLIT: 0
	.section	.text._ZN7rocprim17ROCPRIM_400000_NS6detail17trampoline_kernelINS0_13select_configILj256ELj13ELNS0_17block_load_methodE3ELS4_3ELS4_3ELNS0_20block_scan_algorithmE0ELj4294967295EEENS1_25partition_config_selectorILNS1_17partition_subalgoE4EjNS0_10empty_typeEbEEZZNS1_14partition_implILS8_4ELb0ES6_15HIP_vector_typeIjLj2EENS0_17counting_iteratorIjlEEPS9_SG_NS0_5tupleIJPjSI_NS0_16reverse_iteratorISI_EEEEENSH_IJSG_SG_SG_EEES9_SI_JZNS1_25segmented_radix_sort_implINS0_14default_configELb1EPKfPfPKlPlN2at6native12_GLOBAL__N_18offset_tEEE10hipError_tPvRmT1_PNSt15iterator_traitsIS12_E10value_typeET2_T3_PNS13_IS18_E10value_typeET4_jRbjT5_S1E_jjP12ihipStream_tbEUljE_ZNSN_ISO_Lb1ESQ_SR_ST_SU_SY_EESZ_S10_S11_S12_S16_S17_S18_S1B_S1C_jS1D_jS1E_S1E_jjS1G_bEUljE0_EEESZ_S10_S11_S18_S1C_S1E_T6_T7_T9_mT8_S1G_bDpT10_ENKUlT_T0_E_clISt17integral_constantIbLb0EES1U_EEDaS1P_S1Q_EUlS1P_E_NS1_11comp_targetILNS1_3genE2ELNS1_11target_archE906ELNS1_3gpuE6ELNS1_3repE0EEENS1_30default_config_static_selectorELNS0_4arch9wavefront6targetE1EEEvS12_,"axG",@progbits,_ZN7rocprim17ROCPRIM_400000_NS6detail17trampoline_kernelINS0_13select_configILj256ELj13ELNS0_17block_load_methodE3ELS4_3ELS4_3ELNS0_20block_scan_algorithmE0ELj4294967295EEENS1_25partition_config_selectorILNS1_17partition_subalgoE4EjNS0_10empty_typeEbEEZZNS1_14partition_implILS8_4ELb0ES6_15HIP_vector_typeIjLj2EENS0_17counting_iteratorIjlEEPS9_SG_NS0_5tupleIJPjSI_NS0_16reverse_iteratorISI_EEEEENSH_IJSG_SG_SG_EEES9_SI_JZNS1_25segmented_radix_sort_implINS0_14default_configELb1EPKfPfPKlPlN2at6native12_GLOBAL__N_18offset_tEEE10hipError_tPvRmT1_PNSt15iterator_traitsIS12_E10value_typeET2_T3_PNS13_IS18_E10value_typeET4_jRbjT5_S1E_jjP12ihipStream_tbEUljE_ZNSN_ISO_Lb1ESQ_SR_ST_SU_SY_EESZ_S10_S11_S12_S16_S17_S18_S1B_S1C_jS1D_jS1E_S1E_jjS1G_bEUljE0_EEESZ_S10_S11_S18_S1C_S1E_T6_T7_T9_mT8_S1G_bDpT10_ENKUlT_T0_E_clISt17integral_constantIbLb0EES1U_EEDaS1P_S1Q_EUlS1P_E_NS1_11comp_targetILNS1_3genE2ELNS1_11target_archE906ELNS1_3gpuE6ELNS1_3repE0EEENS1_30default_config_static_selectorELNS0_4arch9wavefront6targetE1EEEvS12_,comdat
	.globl	_ZN7rocprim17ROCPRIM_400000_NS6detail17trampoline_kernelINS0_13select_configILj256ELj13ELNS0_17block_load_methodE3ELS4_3ELS4_3ELNS0_20block_scan_algorithmE0ELj4294967295EEENS1_25partition_config_selectorILNS1_17partition_subalgoE4EjNS0_10empty_typeEbEEZZNS1_14partition_implILS8_4ELb0ES6_15HIP_vector_typeIjLj2EENS0_17counting_iteratorIjlEEPS9_SG_NS0_5tupleIJPjSI_NS0_16reverse_iteratorISI_EEEEENSH_IJSG_SG_SG_EEES9_SI_JZNS1_25segmented_radix_sort_implINS0_14default_configELb1EPKfPfPKlPlN2at6native12_GLOBAL__N_18offset_tEEE10hipError_tPvRmT1_PNSt15iterator_traitsIS12_E10value_typeET2_T3_PNS13_IS18_E10value_typeET4_jRbjT5_S1E_jjP12ihipStream_tbEUljE_ZNSN_ISO_Lb1ESQ_SR_ST_SU_SY_EESZ_S10_S11_S12_S16_S17_S18_S1B_S1C_jS1D_jS1E_S1E_jjS1G_bEUljE0_EEESZ_S10_S11_S18_S1C_S1E_T6_T7_T9_mT8_S1G_bDpT10_ENKUlT_T0_E_clISt17integral_constantIbLb0EES1U_EEDaS1P_S1Q_EUlS1P_E_NS1_11comp_targetILNS1_3genE2ELNS1_11target_archE906ELNS1_3gpuE6ELNS1_3repE0EEENS1_30default_config_static_selectorELNS0_4arch9wavefront6targetE1EEEvS12_ ; -- Begin function _ZN7rocprim17ROCPRIM_400000_NS6detail17trampoline_kernelINS0_13select_configILj256ELj13ELNS0_17block_load_methodE3ELS4_3ELS4_3ELNS0_20block_scan_algorithmE0ELj4294967295EEENS1_25partition_config_selectorILNS1_17partition_subalgoE4EjNS0_10empty_typeEbEEZZNS1_14partition_implILS8_4ELb0ES6_15HIP_vector_typeIjLj2EENS0_17counting_iteratorIjlEEPS9_SG_NS0_5tupleIJPjSI_NS0_16reverse_iteratorISI_EEEEENSH_IJSG_SG_SG_EEES9_SI_JZNS1_25segmented_radix_sort_implINS0_14default_configELb1EPKfPfPKlPlN2at6native12_GLOBAL__N_18offset_tEEE10hipError_tPvRmT1_PNSt15iterator_traitsIS12_E10value_typeET2_T3_PNS13_IS18_E10value_typeET4_jRbjT5_S1E_jjP12ihipStream_tbEUljE_ZNSN_ISO_Lb1ESQ_SR_ST_SU_SY_EESZ_S10_S11_S12_S16_S17_S18_S1B_S1C_jS1D_jS1E_S1E_jjS1G_bEUljE0_EEESZ_S10_S11_S18_S1C_S1E_T6_T7_T9_mT8_S1G_bDpT10_ENKUlT_T0_E_clISt17integral_constantIbLb0EES1U_EEDaS1P_S1Q_EUlS1P_E_NS1_11comp_targetILNS1_3genE2ELNS1_11target_archE906ELNS1_3gpuE6ELNS1_3repE0EEENS1_30default_config_static_selectorELNS0_4arch9wavefront6targetE1EEEvS12_
	.p2align	8
	.type	_ZN7rocprim17ROCPRIM_400000_NS6detail17trampoline_kernelINS0_13select_configILj256ELj13ELNS0_17block_load_methodE3ELS4_3ELS4_3ELNS0_20block_scan_algorithmE0ELj4294967295EEENS1_25partition_config_selectorILNS1_17partition_subalgoE4EjNS0_10empty_typeEbEEZZNS1_14partition_implILS8_4ELb0ES6_15HIP_vector_typeIjLj2EENS0_17counting_iteratorIjlEEPS9_SG_NS0_5tupleIJPjSI_NS0_16reverse_iteratorISI_EEEEENSH_IJSG_SG_SG_EEES9_SI_JZNS1_25segmented_radix_sort_implINS0_14default_configELb1EPKfPfPKlPlN2at6native12_GLOBAL__N_18offset_tEEE10hipError_tPvRmT1_PNSt15iterator_traitsIS12_E10value_typeET2_T3_PNS13_IS18_E10value_typeET4_jRbjT5_S1E_jjP12ihipStream_tbEUljE_ZNSN_ISO_Lb1ESQ_SR_ST_SU_SY_EESZ_S10_S11_S12_S16_S17_S18_S1B_S1C_jS1D_jS1E_S1E_jjS1G_bEUljE0_EEESZ_S10_S11_S18_S1C_S1E_T6_T7_T9_mT8_S1G_bDpT10_ENKUlT_T0_E_clISt17integral_constantIbLb0EES1U_EEDaS1P_S1Q_EUlS1P_E_NS1_11comp_targetILNS1_3genE2ELNS1_11target_archE906ELNS1_3gpuE6ELNS1_3repE0EEENS1_30default_config_static_selectorELNS0_4arch9wavefront6targetE1EEEvS12_,@function
_ZN7rocprim17ROCPRIM_400000_NS6detail17trampoline_kernelINS0_13select_configILj256ELj13ELNS0_17block_load_methodE3ELS4_3ELS4_3ELNS0_20block_scan_algorithmE0ELj4294967295EEENS1_25partition_config_selectorILNS1_17partition_subalgoE4EjNS0_10empty_typeEbEEZZNS1_14partition_implILS8_4ELb0ES6_15HIP_vector_typeIjLj2EENS0_17counting_iteratorIjlEEPS9_SG_NS0_5tupleIJPjSI_NS0_16reverse_iteratorISI_EEEEENSH_IJSG_SG_SG_EEES9_SI_JZNS1_25segmented_radix_sort_implINS0_14default_configELb1EPKfPfPKlPlN2at6native12_GLOBAL__N_18offset_tEEE10hipError_tPvRmT1_PNSt15iterator_traitsIS12_E10value_typeET2_T3_PNS13_IS18_E10value_typeET4_jRbjT5_S1E_jjP12ihipStream_tbEUljE_ZNSN_ISO_Lb1ESQ_SR_ST_SU_SY_EESZ_S10_S11_S12_S16_S17_S18_S1B_S1C_jS1D_jS1E_S1E_jjS1G_bEUljE0_EEESZ_S10_S11_S18_S1C_S1E_T6_T7_T9_mT8_S1G_bDpT10_ENKUlT_T0_E_clISt17integral_constantIbLb0EES1U_EEDaS1P_S1Q_EUlS1P_E_NS1_11comp_targetILNS1_3genE2ELNS1_11target_archE906ELNS1_3gpuE6ELNS1_3repE0EEENS1_30default_config_static_selectorELNS0_4arch9wavefront6targetE1EEEvS12_: ; @_ZN7rocprim17ROCPRIM_400000_NS6detail17trampoline_kernelINS0_13select_configILj256ELj13ELNS0_17block_load_methodE3ELS4_3ELS4_3ELNS0_20block_scan_algorithmE0ELj4294967295EEENS1_25partition_config_selectorILNS1_17partition_subalgoE4EjNS0_10empty_typeEbEEZZNS1_14partition_implILS8_4ELb0ES6_15HIP_vector_typeIjLj2EENS0_17counting_iteratorIjlEEPS9_SG_NS0_5tupleIJPjSI_NS0_16reverse_iteratorISI_EEEEENSH_IJSG_SG_SG_EEES9_SI_JZNS1_25segmented_radix_sort_implINS0_14default_configELb1EPKfPfPKlPlN2at6native12_GLOBAL__N_18offset_tEEE10hipError_tPvRmT1_PNSt15iterator_traitsIS12_E10value_typeET2_T3_PNS13_IS18_E10value_typeET4_jRbjT5_S1E_jjP12ihipStream_tbEUljE_ZNSN_ISO_Lb1ESQ_SR_ST_SU_SY_EESZ_S10_S11_S12_S16_S17_S18_S1B_S1C_jS1D_jS1E_S1E_jjS1G_bEUljE0_EEESZ_S10_S11_S18_S1C_S1E_T6_T7_T9_mT8_S1G_bDpT10_ENKUlT_T0_E_clISt17integral_constantIbLb0EES1U_EEDaS1P_S1Q_EUlS1P_E_NS1_11comp_targetILNS1_3genE2ELNS1_11target_archE906ELNS1_3gpuE6ELNS1_3repE0EEENS1_30default_config_static_selectorELNS0_4arch9wavefront6targetE1EEEvS12_
; %bb.0:
	.section	.rodata,"a",@progbits
	.p2align	6, 0x0
	.amdhsa_kernel _ZN7rocprim17ROCPRIM_400000_NS6detail17trampoline_kernelINS0_13select_configILj256ELj13ELNS0_17block_load_methodE3ELS4_3ELS4_3ELNS0_20block_scan_algorithmE0ELj4294967295EEENS1_25partition_config_selectorILNS1_17partition_subalgoE4EjNS0_10empty_typeEbEEZZNS1_14partition_implILS8_4ELb0ES6_15HIP_vector_typeIjLj2EENS0_17counting_iteratorIjlEEPS9_SG_NS0_5tupleIJPjSI_NS0_16reverse_iteratorISI_EEEEENSH_IJSG_SG_SG_EEES9_SI_JZNS1_25segmented_radix_sort_implINS0_14default_configELb1EPKfPfPKlPlN2at6native12_GLOBAL__N_18offset_tEEE10hipError_tPvRmT1_PNSt15iterator_traitsIS12_E10value_typeET2_T3_PNS13_IS18_E10value_typeET4_jRbjT5_S1E_jjP12ihipStream_tbEUljE_ZNSN_ISO_Lb1ESQ_SR_ST_SU_SY_EESZ_S10_S11_S12_S16_S17_S18_S1B_S1C_jS1D_jS1E_S1E_jjS1G_bEUljE0_EEESZ_S10_S11_S18_S1C_S1E_T6_T7_T9_mT8_S1G_bDpT10_ENKUlT_T0_E_clISt17integral_constantIbLb0EES1U_EEDaS1P_S1Q_EUlS1P_E_NS1_11comp_targetILNS1_3genE2ELNS1_11target_archE906ELNS1_3gpuE6ELNS1_3repE0EEENS1_30default_config_static_selectorELNS0_4arch9wavefront6targetE1EEEvS12_
		.amdhsa_group_segment_fixed_size 0
		.amdhsa_private_segment_fixed_size 0
		.amdhsa_kernarg_size 176
		.amdhsa_user_sgpr_count 6
		.amdhsa_user_sgpr_private_segment_buffer 1
		.amdhsa_user_sgpr_dispatch_ptr 0
		.amdhsa_user_sgpr_queue_ptr 0
		.amdhsa_user_sgpr_kernarg_segment_ptr 1
		.amdhsa_user_sgpr_dispatch_id 0
		.amdhsa_user_sgpr_flat_scratch_init 0
		.amdhsa_user_sgpr_kernarg_preload_length 0
		.amdhsa_user_sgpr_kernarg_preload_offset 0
		.amdhsa_user_sgpr_private_segment_size 0
		.amdhsa_uses_dynamic_stack 0
		.amdhsa_system_sgpr_private_segment_wavefront_offset 0
		.amdhsa_system_sgpr_workgroup_id_x 1
		.amdhsa_system_sgpr_workgroup_id_y 0
		.amdhsa_system_sgpr_workgroup_id_z 0
		.amdhsa_system_sgpr_workgroup_info 0
		.amdhsa_system_vgpr_workitem_id 0
		.amdhsa_next_free_vgpr 1
		.amdhsa_next_free_sgpr 0
		.amdhsa_accum_offset 4
		.amdhsa_reserve_vcc 0
		.amdhsa_reserve_flat_scratch 0
		.amdhsa_float_round_mode_32 0
		.amdhsa_float_round_mode_16_64 0
		.amdhsa_float_denorm_mode_32 3
		.amdhsa_float_denorm_mode_16_64 3
		.amdhsa_dx10_clamp 1
		.amdhsa_ieee_mode 1
		.amdhsa_fp16_overflow 0
		.amdhsa_tg_split 0
		.amdhsa_exception_fp_ieee_invalid_op 0
		.amdhsa_exception_fp_denorm_src 0
		.amdhsa_exception_fp_ieee_div_zero 0
		.amdhsa_exception_fp_ieee_overflow 0
		.amdhsa_exception_fp_ieee_underflow 0
		.amdhsa_exception_fp_ieee_inexact 0
		.amdhsa_exception_int_div_zero 0
	.end_amdhsa_kernel
	.section	.text._ZN7rocprim17ROCPRIM_400000_NS6detail17trampoline_kernelINS0_13select_configILj256ELj13ELNS0_17block_load_methodE3ELS4_3ELS4_3ELNS0_20block_scan_algorithmE0ELj4294967295EEENS1_25partition_config_selectorILNS1_17partition_subalgoE4EjNS0_10empty_typeEbEEZZNS1_14partition_implILS8_4ELb0ES6_15HIP_vector_typeIjLj2EENS0_17counting_iteratorIjlEEPS9_SG_NS0_5tupleIJPjSI_NS0_16reverse_iteratorISI_EEEEENSH_IJSG_SG_SG_EEES9_SI_JZNS1_25segmented_radix_sort_implINS0_14default_configELb1EPKfPfPKlPlN2at6native12_GLOBAL__N_18offset_tEEE10hipError_tPvRmT1_PNSt15iterator_traitsIS12_E10value_typeET2_T3_PNS13_IS18_E10value_typeET4_jRbjT5_S1E_jjP12ihipStream_tbEUljE_ZNSN_ISO_Lb1ESQ_SR_ST_SU_SY_EESZ_S10_S11_S12_S16_S17_S18_S1B_S1C_jS1D_jS1E_S1E_jjS1G_bEUljE0_EEESZ_S10_S11_S18_S1C_S1E_T6_T7_T9_mT8_S1G_bDpT10_ENKUlT_T0_E_clISt17integral_constantIbLb0EES1U_EEDaS1P_S1Q_EUlS1P_E_NS1_11comp_targetILNS1_3genE2ELNS1_11target_archE906ELNS1_3gpuE6ELNS1_3repE0EEENS1_30default_config_static_selectorELNS0_4arch9wavefront6targetE1EEEvS12_,"axG",@progbits,_ZN7rocprim17ROCPRIM_400000_NS6detail17trampoline_kernelINS0_13select_configILj256ELj13ELNS0_17block_load_methodE3ELS4_3ELS4_3ELNS0_20block_scan_algorithmE0ELj4294967295EEENS1_25partition_config_selectorILNS1_17partition_subalgoE4EjNS0_10empty_typeEbEEZZNS1_14partition_implILS8_4ELb0ES6_15HIP_vector_typeIjLj2EENS0_17counting_iteratorIjlEEPS9_SG_NS0_5tupleIJPjSI_NS0_16reverse_iteratorISI_EEEEENSH_IJSG_SG_SG_EEES9_SI_JZNS1_25segmented_radix_sort_implINS0_14default_configELb1EPKfPfPKlPlN2at6native12_GLOBAL__N_18offset_tEEE10hipError_tPvRmT1_PNSt15iterator_traitsIS12_E10value_typeET2_T3_PNS13_IS18_E10value_typeET4_jRbjT5_S1E_jjP12ihipStream_tbEUljE_ZNSN_ISO_Lb1ESQ_SR_ST_SU_SY_EESZ_S10_S11_S12_S16_S17_S18_S1B_S1C_jS1D_jS1E_S1E_jjS1G_bEUljE0_EEESZ_S10_S11_S18_S1C_S1E_T6_T7_T9_mT8_S1G_bDpT10_ENKUlT_T0_E_clISt17integral_constantIbLb0EES1U_EEDaS1P_S1Q_EUlS1P_E_NS1_11comp_targetILNS1_3genE2ELNS1_11target_archE906ELNS1_3gpuE6ELNS1_3repE0EEENS1_30default_config_static_selectorELNS0_4arch9wavefront6targetE1EEEvS12_,comdat
.Lfunc_end1263:
	.size	_ZN7rocprim17ROCPRIM_400000_NS6detail17trampoline_kernelINS0_13select_configILj256ELj13ELNS0_17block_load_methodE3ELS4_3ELS4_3ELNS0_20block_scan_algorithmE0ELj4294967295EEENS1_25partition_config_selectorILNS1_17partition_subalgoE4EjNS0_10empty_typeEbEEZZNS1_14partition_implILS8_4ELb0ES6_15HIP_vector_typeIjLj2EENS0_17counting_iteratorIjlEEPS9_SG_NS0_5tupleIJPjSI_NS0_16reverse_iteratorISI_EEEEENSH_IJSG_SG_SG_EEES9_SI_JZNS1_25segmented_radix_sort_implINS0_14default_configELb1EPKfPfPKlPlN2at6native12_GLOBAL__N_18offset_tEEE10hipError_tPvRmT1_PNSt15iterator_traitsIS12_E10value_typeET2_T3_PNS13_IS18_E10value_typeET4_jRbjT5_S1E_jjP12ihipStream_tbEUljE_ZNSN_ISO_Lb1ESQ_SR_ST_SU_SY_EESZ_S10_S11_S12_S16_S17_S18_S1B_S1C_jS1D_jS1E_S1E_jjS1G_bEUljE0_EEESZ_S10_S11_S18_S1C_S1E_T6_T7_T9_mT8_S1G_bDpT10_ENKUlT_T0_E_clISt17integral_constantIbLb0EES1U_EEDaS1P_S1Q_EUlS1P_E_NS1_11comp_targetILNS1_3genE2ELNS1_11target_archE906ELNS1_3gpuE6ELNS1_3repE0EEENS1_30default_config_static_selectorELNS0_4arch9wavefront6targetE1EEEvS12_, .Lfunc_end1263-_ZN7rocprim17ROCPRIM_400000_NS6detail17trampoline_kernelINS0_13select_configILj256ELj13ELNS0_17block_load_methodE3ELS4_3ELS4_3ELNS0_20block_scan_algorithmE0ELj4294967295EEENS1_25partition_config_selectorILNS1_17partition_subalgoE4EjNS0_10empty_typeEbEEZZNS1_14partition_implILS8_4ELb0ES6_15HIP_vector_typeIjLj2EENS0_17counting_iteratorIjlEEPS9_SG_NS0_5tupleIJPjSI_NS0_16reverse_iteratorISI_EEEEENSH_IJSG_SG_SG_EEES9_SI_JZNS1_25segmented_radix_sort_implINS0_14default_configELb1EPKfPfPKlPlN2at6native12_GLOBAL__N_18offset_tEEE10hipError_tPvRmT1_PNSt15iterator_traitsIS12_E10value_typeET2_T3_PNS13_IS18_E10value_typeET4_jRbjT5_S1E_jjP12ihipStream_tbEUljE_ZNSN_ISO_Lb1ESQ_SR_ST_SU_SY_EESZ_S10_S11_S12_S16_S17_S18_S1B_S1C_jS1D_jS1E_S1E_jjS1G_bEUljE0_EEESZ_S10_S11_S18_S1C_S1E_T6_T7_T9_mT8_S1G_bDpT10_ENKUlT_T0_E_clISt17integral_constantIbLb0EES1U_EEDaS1P_S1Q_EUlS1P_E_NS1_11comp_targetILNS1_3genE2ELNS1_11target_archE906ELNS1_3gpuE6ELNS1_3repE0EEENS1_30default_config_static_selectorELNS0_4arch9wavefront6targetE1EEEvS12_
                                        ; -- End function
	.section	.AMDGPU.csdata,"",@progbits
; Kernel info:
; codeLenInByte = 0
; NumSgprs: 4
; NumVgprs: 0
; NumAgprs: 0
; TotalNumVgprs: 0
; ScratchSize: 0
; MemoryBound: 0
; FloatMode: 240
; IeeeMode: 1
; LDSByteSize: 0 bytes/workgroup (compile time only)
; SGPRBlocks: 0
; VGPRBlocks: 0
; NumSGPRsForWavesPerEU: 4
; NumVGPRsForWavesPerEU: 1
; AccumOffset: 4
; Occupancy: 8
; WaveLimiterHint : 0
; COMPUTE_PGM_RSRC2:SCRATCH_EN: 0
; COMPUTE_PGM_RSRC2:USER_SGPR: 6
; COMPUTE_PGM_RSRC2:TRAP_HANDLER: 0
; COMPUTE_PGM_RSRC2:TGID_X_EN: 1
; COMPUTE_PGM_RSRC2:TGID_Y_EN: 0
; COMPUTE_PGM_RSRC2:TGID_Z_EN: 0
; COMPUTE_PGM_RSRC2:TIDIG_COMP_CNT: 0
; COMPUTE_PGM_RSRC3_GFX90A:ACCUM_OFFSET: 0
; COMPUTE_PGM_RSRC3_GFX90A:TG_SPLIT: 0
	.section	.text._ZN7rocprim17ROCPRIM_400000_NS6detail17trampoline_kernelINS0_13select_configILj256ELj13ELNS0_17block_load_methodE3ELS4_3ELS4_3ELNS0_20block_scan_algorithmE0ELj4294967295EEENS1_25partition_config_selectorILNS1_17partition_subalgoE4EjNS0_10empty_typeEbEEZZNS1_14partition_implILS8_4ELb0ES6_15HIP_vector_typeIjLj2EENS0_17counting_iteratorIjlEEPS9_SG_NS0_5tupleIJPjSI_NS0_16reverse_iteratorISI_EEEEENSH_IJSG_SG_SG_EEES9_SI_JZNS1_25segmented_radix_sort_implINS0_14default_configELb1EPKfPfPKlPlN2at6native12_GLOBAL__N_18offset_tEEE10hipError_tPvRmT1_PNSt15iterator_traitsIS12_E10value_typeET2_T3_PNS13_IS18_E10value_typeET4_jRbjT5_S1E_jjP12ihipStream_tbEUljE_ZNSN_ISO_Lb1ESQ_SR_ST_SU_SY_EESZ_S10_S11_S12_S16_S17_S18_S1B_S1C_jS1D_jS1E_S1E_jjS1G_bEUljE0_EEESZ_S10_S11_S18_S1C_S1E_T6_T7_T9_mT8_S1G_bDpT10_ENKUlT_T0_E_clISt17integral_constantIbLb0EES1U_EEDaS1P_S1Q_EUlS1P_E_NS1_11comp_targetILNS1_3genE10ELNS1_11target_archE1200ELNS1_3gpuE4ELNS1_3repE0EEENS1_30default_config_static_selectorELNS0_4arch9wavefront6targetE1EEEvS12_,"axG",@progbits,_ZN7rocprim17ROCPRIM_400000_NS6detail17trampoline_kernelINS0_13select_configILj256ELj13ELNS0_17block_load_methodE3ELS4_3ELS4_3ELNS0_20block_scan_algorithmE0ELj4294967295EEENS1_25partition_config_selectorILNS1_17partition_subalgoE4EjNS0_10empty_typeEbEEZZNS1_14partition_implILS8_4ELb0ES6_15HIP_vector_typeIjLj2EENS0_17counting_iteratorIjlEEPS9_SG_NS0_5tupleIJPjSI_NS0_16reverse_iteratorISI_EEEEENSH_IJSG_SG_SG_EEES9_SI_JZNS1_25segmented_radix_sort_implINS0_14default_configELb1EPKfPfPKlPlN2at6native12_GLOBAL__N_18offset_tEEE10hipError_tPvRmT1_PNSt15iterator_traitsIS12_E10value_typeET2_T3_PNS13_IS18_E10value_typeET4_jRbjT5_S1E_jjP12ihipStream_tbEUljE_ZNSN_ISO_Lb1ESQ_SR_ST_SU_SY_EESZ_S10_S11_S12_S16_S17_S18_S1B_S1C_jS1D_jS1E_S1E_jjS1G_bEUljE0_EEESZ_S10_S11_S18_S1C_S1E_T6_T7_T9_mT8_S1G_bDpT10_ENKUlT_T0_E_clISt17integral_constantIbLb0EES1U_EEDaS1P_S1Q_EUlS1P_E_NS1_11comp_targetILNS1_3genE10ELNS1_11target_archE1200ELNS1_3gpuE4ELNS1_3repE0EEENS1_30default_config_static_selectorELNS0_4arch9wavefront6targetE1EEEvS12_,comdat
	.globl	_ZN7rocprim17ROCPRIM_400000_NS6detail17trampoline_kernelINS0_13select_configILj256ELj13ELNS0_17block_load_methodE3ELS4_3ELS4_3ELNS0_20block_scan_algorithmE0ELj4294967295EEENS1_25partition_config_selectorILNS1_17partition_subalgoE4EjNS0_10empty_typeEbEEZZNS1_14partition_implILS8_4ELb0ES6_15HIP_vector_typeIjLj2EENS0_17counting_iteratorIjlEEPS9_SG_NS0_5tupleIJPjSI_NS0_16reverse_iteratorISI_EEEEENSH_IJSG_SG_SG_EEES9_SI_JZNS1_25segmented_radix_sort_implINS0_14default_configELb1EPKfPfPKlPlN2at6native12_GLOBAL__N_18offset_tEEE10hipError_tPvRmT1_PNSt15iterator_traitsIS12_E10value_typeET2_T3_PNS13_IS18_E10value_typeET4_jRbjT5_S1E_jjP12ihipStream_tbEUljE_ZNSN_ISO_Lb1ESQ_SR_ST_SU_SY_EESZ_S10_S11_S12_S16_S17_S18_S1B_S1C_jS1D_jS1E_S1E_jjS1G_bEUljE0_EEESZ_S10_S11_S18_S1C_S1E_T6_T7_T9_mT8_S1G_bDpT10_ENKUlT_T0_E_clISt17integral_constantIbLb0EES1U_EEDaS1P_S1Q_EUlS1P_E_NS1_11comp_targetILNS1_3genE10ELNS1_11target_archE1200ELNS1_3gpuE4ELNS1_3repE0EEENS1_30default_config_static_selectorELNS0_4arch9wavefront6targetE1EEEvS12_ ; -- Begin function _ZN7rocprim17ROCPRIM_400000_NS6detail17trampoline_kernelINS0_13select_configILj256ELj13ELNS0_17block_load_methodE3ELS4_3ELS4_3ELNS0_20block_scan_algorithmE0ELj4294967295EEENS1_25partition_config_selectorILNS1_17partition_subalgoE4EjNS0_10empty_typeEbEEZZNS1_14partition_implILS8_4ELb0ES6_15HIP_vector_typeIjLj2EENS0_17counting_iteratorIjlEEPS9_SG_NS0_5tupleIJPjSI_NS0_16reverse_iteratorISI_EEEEENSH_IJSG_SG_SG_EEES9_SI_JZNS1_25segmented_radix_sort_implINS0_14default_configELb1EPKfPfPKlPlN2at6native12_GLOBAL__N_18offset_tEEE10hipError_tPvRmT1_PNSt15iterator_traitsIS12_E10value_typeET2_T3_PNS13_IS18_E10value_typeET4_jRbjT5_S1E_jjP12ihipStream_tbEUljE_ZNSN_ISO_Lb1ESQ_SR_ST_SU_SY_EESZ_S10_S11_S12_S16_S17_S18_S1B_S1C_jS1D_jS1E_S1E_jjS1G_bEUljE0_EEESZ_S10_S11_S18_S1C_S1E_T6_T7_T9_mT8_S1G_bDpT10_ENKUlT_T0_E_clISt17integral_constantIbLb0EES1U_EEDaS1P_S1Q_EUlS1P_E_NS1_11comp_targetILNS1_3genE10ELNS1_11target_archE1200ELNS1_3gpuE4ELNS1_3repE0EEENS1_30default_config_static_selectorELNS0_4arch9wavefront6targetE1EEEvS12_
	.p2align	8
	.type	_ZN7rocprim17ROCPRIM_400000_NS6detail17trampoline_kernelINS0_13select_configILj256ELj13ELNS0_17block_load_methodE3ELS4_3ELS4_3ELNS0_20block_scan_algorithmE0ELj4294967295EEENS1_25partition_config_selectorILNS1_17partition_subalgoE4EjNS0_10empty_typeEbEEZZNS1_14partition_implILS8_4ELb0ES6_15HIP_vector_typeIjLj2EENS0_17counting_iteratorIjlEEPS9_SG_NS0_5tupleIJPjSI_NS0_16reverse_iteratorISI_EEEEENSH_IJSG_SG_SG_EEES9_SI_JZNS1_25segmented_radix_sort_implINS0_14default_configELb1EPKfPfPKlPlN2at6native12_GLOBAL__N_18offset_tEEE10hipError_tPvRmT1_PNSt15iterator_traitsIS12_E10value_typeET2_T3_PNS13_IS18_E10value_typeET4_jRbjT5_S1E_jjP12ihipStream_tbEUljE_ZNSN_ISO_Lb1ESQ_SR_ST_SU_SY_EESZ_S10_S11_S12_S16_S17_S18_S1B_S1C_jS1D_jS1E_S1E_jjS1G_bEUljE0_EEESZ_S10_S11_S18_S1C_S1E_T6_T7_T9_mT8_S1G_bDpT10_ENKUlT_T0_E_clISt17integral_constantIbLb0EES1U_EEDaS1P_S1Q_EUlS1P_E_NS1_11comp_targetILNS1_3genE10ELNS1_11target_archE1200ELNS1_3gpuE4ELNS1_3repE0EEENS1_30default_config_static_selectorELNS0_4arch9wavefront6targetE1EEEvS12_,@function
_ZN7rocprim17ROCPRIM_400000_NS6detail17trampoline_kernelINS0_13select_configILj256ELj13ELNS0_17block_load_methodE3ELS4_3ELS4_3ELNS0_20block_scan_algorithmE0ELj4294967295EEENS1_25partition_config_selectorILNS1_17partition_subalgoE4EjNS0_10empty_typeEbEEZZNS1_14partition_implILS8_4ELb0ES6_15HIP_vector_typeIjLj2EENS0_17counting_iteratorIjlEEPS9_SG_NS0_5tupleIJPjSI_NS0_16reverse_iteratorISI_EEEEENSH_IJSG_SG_SG_EEES9_SI_JZNS1_25segmented_radix_sort_implINS0_14default_configELb1EPKfPfPKlPlN2at6native12_GLOBAL__N_18offset_tEEE10hipError_tPvRmT1_PNSt15iterator_traitsIS12_E10value_typeET2_T3_PNS13_IS18_E10value_typeET4_jRbjT5_S1E_jjP12ihipStream_tbEUljE_ZNSN_ISO_Lb1ESQ_SR_ST_SU_SY_EESZ_S10_S11_S12_S16_S17_S18_S1B_S1C_jS1D_jS1E_S1E_jjS1G_bEUljE0_EEESZ_S10_S11_S18_S1C_S1E_T6_T7_T9_mT8_S1G_bDpT10_ENKUlT_T0_E_clISt17integral_constantIbLb0EES1U_EEDaS1P_S1Q_EUlS1P_E_NS1_11comp_targetILNS1_3genE10ELNS1_11target_archE1200ELNS1_3gpuE4ELNS1_3repE0EEENS1_30default_config_static_selectorELNS0_4arch9wavefront6targetE1EEEvS12_: ; @_ZN7rocprim17ROCPRIM_400000_NS6detail17trampoline_kernelINS0_13select_configILj256ELj13ELNS0_17block_load_methodE3ELS4_3ELS4_3ELNS0_20block_scan_algorithmE0ELj4294967295EEENS1_25partition_config_selectorILNS1_17partition_subalgoE4EjNS0_10empty_typeEbEEZZNS1_14partition_implILS8_4ELb0ES6_15HIP_vector_typeIjLj2EENS0_17counting_iteratorIjlEEPS9_SG_NS0_5tupleIJPjSI_NS0_16reverse_iteratorISI_EEEEENSH_IJSG_SG_SG_EEES9_SI_JZNS1_25segmented_radix_sort_implINS0_14default_configELb1EPKfPfPKlPlN2at6native12_GLOBAL__N_18offset_tEEE10hipError_tPvRmT1_PNSt15iterator_traitsIS12_E10value_typeET2_T3_PNS13_IS18_E10value_typeET4_jRbjT5_S1E_jjP12ihipStream_tbEUljE_ZNSN_ISO_Lb1ESQ_SR_ST_SU_SY_EESZ_S10_S11_S12_S16_S17_S18_S1B_S1C_jS1D_jS1E_S1E_jjS1G_bEUljE0_EEESZ_S10_S11_S18_S1C_S1E_T6_T7_T9_mT8_S1G_bDpT10_ENKUlT_T0_E_clISt17integral_constantIbLb0EES1U_EEDaS1P_S1Q_EUlS1P_E_NS1_11comp_targetILNS1_3genE10ELNS1_11target_archE1200ELNS1_3gpuE4ELNS1_3repE0EEENS1_30default_config_static_selectorELNS0_4arch9wavefront6targetE1EEEvS12_
; %bb.0:
	.section	.rodata,"a",@progbits
	.p2align	6, 0x0
	.amdhsa_kernel _ZN7rocprim17ROCPRIM_400000_NS6detail17trampoline_kernelINS0_13select_configILj256ELj13ELNS0_17block_load_methodE3ELS4_3ELS4_3ELNS0_20block_scan_algorithmE0ELj4294967295EEENS1_25partition_config_selectorILNS1_17partition_subalgoE4EjNS0_10empty_typeEbEEZZNS1_14partition_implILS8_4ELb0ES6_15HIP_vector_typeIjLj2EENS0_17counting_iteratorIjlEEPS9_SG_NS0_5tupleIJPjSI_NS0_16reverse_iteratorISI_EEEEENSH_IJSG_SG_SG_EEES9_SI_JZNS1_25segmented_radix_sort_implINS0_14default_configELb1EPKfPfPKlPlN2at6native12_GLOBAL__N_18offset_tEEE10hipError_tPvRmT1_PNSt15iterator_traitsIS12_E10value_typeET2_T3_PNS13_IS18_E10value_typeET4_jRbjT5_S1E_jjP12ihipStream_tbEUljE_ZNSN_ISO_Lb1ESQ_SR_ST_SU_SY_EESZ_S10_S11_S12_S16_S17_S18_S1B_S1C_jS1D_jS1E_S1E_jjS1G_bEUljE0_EEESZ_S10_S11_S18_S1C_S1E_T6_T7_T9_mT8_S1G_bDpT10_ENKUlT_T0_E_clISt17integral_constantIbLb0EES1U_EEDaS1P_S1Q_EUlS1P_E_NS1_11comp_targetILNS1_3genE10ELNS1_11target_archE1200ELNS1_3gpuE4ELNS1_3repE0EEENS1_30default_config_static_selectorELNS0_4arch9wavefront6targetE1EEEvS12_
		.amdhsa_group_segment_fixed_size 0
		.amdhsa_private_segment_fixed_size 0
		.amdhsa_kernarg_size 176
		.amdhsa_user_sgpr_count 6
		.amdhsa_user_sgpr_private_segment_buffer 1
		.amdhsa_user_sgpr_dispatch_ptr 0
		.amdhsa_user_sgpr_queue_ptr 0
		.amdhsa_user_sgpr_kernarg_segment_ptr 1
		.amdhsa_user_sgpr_dispatch_id 0
		.amdhsa_user_sgpr_flat_scratch_init 0
		.amdhsa_user_sgpr_kernarg_preload_length 0
		.amdhsa_user_sgpr_kernarg_preload_offset 0
		.amdhsa_user_sgpr_private_segment_size 0
		.amdhsa_uses_dynamic_stack 0
		.amdhsa_system_sgpr_private_segment_wavefront_offset 0
		.amdhsa_system_sgpr_workgroup_id_x 1
		.amdhsa_system_sgpr_workgroup_id_y 0
		.amdhsa_system_sgpr_workgroup_id_z 0
		.amdhsa_system_sgpr_workgroup_info 0
		.amdhsa_system_vgpr_workitem_id 0
		.amdhsa_next_free_vgpr 1
		.amdhsa_next_free_sgpr 0
		.amdhsa_accum_offset 4
		.amdhsa_reserve_vcc 0
		.amdhsa_reserve_flat_scratch 0
		.amdhsa_float_round_mode_32 0
		.amdhsa_float_round_mode_16_64 0
		.amdhsa_float_denorm_mode_32 3
		.amdhsa_float_denorm_mode_16_64 3
		.amdhsa_dx10_clamp 1
		.amdhsa_ieee_mode 1
		.amdhsa_fp16_overflow 0
		.amdhsa_tg_split 0
		.amdhsa_exception_fp_ieee_invalid_op 0
		.amdhsa_exception_fp_denorm_src 0
		.amdhsa_exception_fp_ieee_div_zero 0
		.amdhsa_exception_fp_ieee_overflow 0
		.amdhsa_exception_fp_ieee_underflow 0
		.amdhsa_exception_fp_ieee_inexact 0
		.amdhsa_exception_int_div_zero 0
	.end_amdhsa_kernel
	.section	.text._ZN7rocprim17ROCPRIM_400000_NS6detail17trampoline_kernelINS0_13select_configILj256ELj13ELNS0_17block_load_methodE3ELS4_3ELS4_3ELNS0_20block_scan_algorithmE0ELj4294967295EEENS1_25partition_config_selectorILNS1_17partition_subalgoE4EjNS0_10empty_typeEbEEZZNS1_14partition_implILS8_4ELb0ES6_15HIP_vector_typeIjLj2EENS0_17counting_iteratorIjlEEPS9_SG_NS0_5tupleIJPjSI_NS0_16reverse_iteratorISI_EEEEENSH_IJSG_SG_SG_EEES9_SI_JZNS1_25segmented_radix_sort_implINS0_14default_configELb1EPKfPfPKlPlN2at6native12_GLOBAL__N_18offset_tEEE10hipError_tPvRmT1_PNSt15iterator_traitsIS12_E10value_typeET2_T3_PNS13_IS18_E10value_typeET4_jRbjT5_S1E_jjP12ihipStream_tbEUljE_ZNSN_ISO_Lb1ESQ_SR_ST_SU_SY_EESZ_S10_S11_S12_S16_S17_S18_S1B_S1C_jS1D_jS1E_S1E_jjS1G_bEUljE0_EEESZ_S10_S11_S18_S1C_S1E_T6_T7_T9_mT8_S1G_bDpT10_ENKUlT_T0_E_clISt17integral_constantIbLb0EES1U_EEDaS1P_S1Q_EUlS1P_E_NS1_11comp_targetILNS1_3genE10ELNS1_11target_archE1200ELNS1_3gpuE4ELNS1_3repE0EEENS1_30default_config_static_selectorELNS0_4arch9wavefront6targetE1EEEvS12_,"axG",@progbits,_ZN7rocprim17ROCPRIM_400000_NS6detail17trampoline_kernelINS0_13select_configILj256ELj13ELNS0_17block_load_methodE3ELS4_3ELS4_3ELNS0_20block_scan_algorithmE0ELj4294967295EEENS1_25partition_config_selectorILNS1_17partition_subalgoE4EjNS0_10empty_typeEbEEZZNS1_14partition_implILS8_4ELb0ES6_15HIP_vector_typeIjLj2EENS0_17counting_iteratorIjlEEPS9_SG_NS0_5tupleIJPjSI_NS0_16reverse_iteratorISI_EEEEENSH_IJSG_SG_SG_EEES9_SI_JZNS1_25segmented_radix_sort_implINS0_14default_configELb1EPKfPfPKlPlN2at6native12_GLOBAL__N_18offset_tEEE10hipError_tPvRmT1_PNSt15iterator_traitsIS12_E10value_typeET2_T3_PNS13_IS18_E10value_typeET4_jRbjT5_S1E_jjP12ihipStream_tbEUljE_ZNSN_ISO_Lb1ESQ_SR_ST_SU_SY_EESZ_S10_S11_S12_S16_S17_S18_S1B_S1C_jS1D_jS1E_S1E_jjS1G_bEUljE0_EEESZ_S10_S11_S18_S1C_S1E_T6_T7_T9_mT8_S1G_bDpT10_ENKUlT_T0_E_clISt17integral_constantIbLb0EES1U_EEDaS1P_S1Q_EUlS1P_E_NS1_11comp_targetILNS1_3genE10ELNS1_11target_archE1200ELNS1_3gpuE4ELNS1_3repE0EEENS1_30default_config_static_selectorELNS0_4arch9wavefront6targetE1EEEvS12_,comdat
.Lfunc_end1264:
	.size	_ZN7rocprim17ROCPRIM_400000_NS6detail17trampoline_kernelINS0_13select_configILj256ELj13ELNS0_17block_load_methodE3ELS4_3ELS4_3ELNS0_20block_scan_algorithmE0ELj4294967295EEENS1_25partition_config_selectorILNS1_17partition_subalgoE4EjNS0_10empty_typeEbEEZZNS1_14partition_implILS8_4ELb0ES6_15HIP_vector_typeIjLj2EENS0_17counting_iteratorIjlEEPS9_SG_NS0_5tupleIJPjSI_NS0_16reverse_iteratorISI_EEEEENSH_IJSG_SG_SG_EEES9_SI_JZNS1_25segmented_radix_sort_implINS0_14default_configELb1EPKfPfPKlPlN2at6native12_GLOBAL__N_18offset_tEEE10hipError_tPvRmT1_PNSt15iterator_traitsIS12_E10value_typeET2_T3_PNS13_IS18_E10value_typeET4_jRbjT5_S1E_jjP12ihipStream_tbEUljE_ZNSN_ISO_Lb1ESQ_SR_ST_SU_SY_EESZ_S10_S11_S12_S16_S17_S18_S1B_S1C_jS1D_jS1E_S1E_jjS1G_bEUljE0_EEESZ_S10_S11_S18_S1C_S1E_T6_T7_T9_mT8_S1G_bDpT10_ENKUlT_T0_E_clISt17integral_constantIbLb0EES1U_EEDaS1P_S1Q_EUlS1P_E_NS1_11comp_targetILNS1_3genE10ELNS1_11target_archE1200ELNS1_3gpuE4ELNS1_3repE0EEENS1_30default_config_static_selectorELNS0_4arch9wavefront6targetE1EEEvS12_, .Lfunc_end1264-_ZN7rocprim17ROCPRIM_400000_NS6detail17trampoline_kernelINS0_13select_configILj256ELj13ELNS0_17block_load_methodE3ELS4_3ELS4_3ELNS0_20block_scan_algorithmE0ELj4294967295EEENS1_25partition_config_selectorILNS1_17partition_subalgoE4EjNS0_10empty_typeEbEEZZNS1_14partition_implILS8_4ELb0ES6_15HIP_vector_typeIjLj2EENS0_17counting_iteratorIjlEEPS9_SG_NS0_5tupleIJPjSI_NS0_16reverse_iteratorISI_EEEEENSH_IJSG_SG_SG_EEES9_SI_JZNS1_25segmented_radix_sort_implINS0_14default_configELb1EPKfPfPKlPlN2at6native12_GLOBAL__N_18offset_tEEE10hipError_tPvRmT1_PNSt15iterator_traitsIS12_E10value_typeET2_T3_PNS13_IS18_E10value_typeET4_jRbjT5_S1E_jjP12ihipStream_tbEUljE_ZNSN_ISO_Lb1ESQ_SR_ST_SU_SY_EESZ_S10_S11_S12_S16_S17_S18_S1B_S1C_jS1D_jS1E_S1E_jjS1G_bEUljE0_EEESZ_S10_S11_S18_S1C_S1E_T6_T7_T9_mT8_S1G_bDpT10_ENKUlT_T0_E_clISt17integral_constantIbLb0EES1U_EEDaS1P_S1Q_EUlS1P_E_NS1_11comp_targetILNS1_3genE10ELNS1_11target_archE1200ELNS1_3gpuE4ELNS1_3repE0EEENS1_30default_config_static_selectorELNS0_4arch9wavefront6targetE1EEEvS12_
                                        ; -- End function
	.section	.AMDGPU.csdata,"",@progbits
; Kernel info:
; codeLenInByte = 0
; NumSgprs: 4
; NumVgprs: 0
; NumAgprs: 0
; TotalNumVgprs: 0
; ScratchSize: 0
; MemoryBound: 0
; FloatMode: 240
; IeeeMode: 1
; LDSByteSize: 0 bytes/workgroup (compile time only)
; SGPRBlocks: 0
; VGPRBlocks: 0
; NumSGPRsForWavesPerEU: 4
; NumVGPRsForWavesPerEU: 1
; AccumOffset: 4
; Occupancy: 8
; WaveLimiterHint : 0
; COMPUTE_PGM_RSRC2:SCRATCH_EN: 0
; COMPUTE_PGM_RSRC2:USER_SGPR: 6
; COMPUTE_PGM_RSRC2:TRAP_HANDLER: 0
; COMPUTE_PGM_RSRC2:TGID_X_EN: 1
; COMPUTE_PGM_RSRC2:TGID_Y_EN: 0
; COMPUTE_PGM_RSRC2:TGID_Z_EN: 0
; COMPUTE_PGM_RSRC2:TIDIG_COMP_CNT: 0
; COMPUTE_PGM_RSRC3_GFX90A:ACCUM_OFFSET: 0
; COMPUTE_PGM_RSRC3_GFX90A:TG_SPLIT: 0
	.section	.text._ZN7rocprim17ROCPRIM_400000_NS6detail17trampoline_kernelINS0_13select_configILj256ELj13ELNS0_17block_load_methodE3ELS4_3ELS4_3ELNS0_20block_scan_algorithmE0ELj4294967295EEENS1_25partition_config_selectorILNS1_17partition_subalgoE4EjNS0_10empty_typeEbEEZZNS1_14partition_implILS8_4ELb0ES6_15HIP_vector_typeIjLj2EENS0_17counting_iteratorIjlEEPS9_SG_NS0_5tupleIJPjSI_NS0_16reverse_iteratorISI_EEEEENSH_IJSG_SG_SG_EEES9_SI_JZNS1_25segmented_radix_sort_implINS0_14default_configELb1EPKfPfPKlPlN2at6native12_GLOBAL__N_18offset_tEEE10hipError_tPvRmT1_PNSt15iterator_traitsIS12_E10value_typeET2_T3_PNS13_IS18_E10value_typeET4_jRbjT5_S1E_jjP12ihipStream_tbEUljE_ZNSN_ISO_Lb1ESQ_SR_ST_SU_SY_EESZ_S10_S11_S12_S16_S17_S18_S1B_S1C_jS1D_jS1E_S1E_jjS1G_bEUljE0_EEESZ_S10_S11_S18_S1C_S1E_T6_T7_T9_mT8_S1G_bDpT10_ENKUlT_T0_E_clISt17integral_constantIbLb0EES1U_EEDaS1P_S1Q_EUlS1P_E_NS1_11comp_targetILNS1_3genE9ELNS1_11target_archE1100ELNS1_3gpuE3ELNS1_3repE0EEENS1_30default_config_static_selectorELNS0_4arch9wavefront6targetE1EEEvS12_,"axG",@progbits,_ZN7rocprim17ROCPRIM_400000_NS6detail17trampoline_kernelINS0_13select_configILj256ELj13ELNS0_17block_load_methodE3ELS4_3ELS4_3ELNS0_20block_scan_algorithmE0ELj4294967295EEENS1_25partition_config_selectorILNS1_17partition_subalgoE4EjNS0_10empty_typeEbEEZZNS1_14partition_implILS8_4ELb0ES6_15HIP_vector_typeIjLj2EENS0_17counting_iteratorIjlEEPS9_SG_NS0_5tupleIJPjSI_NS0_16reverse_iteratorISI_EEEEENSH_IJSG_SG_SG_EEES9_SI_JZNS1_25segmented_radix_sort_implINS0_14default_configELb1EPKfPfPKlPlN2at6native12_GLOBAL__N_18offset_tEEE10hipError_tPvRmT1_PNSt15iterator_traitsIS12_E10value_typeET2_T3_PNS13_IS18_E10value_typeET4_jRbjT5_S1E_jjP12ihipStream_tbEUljE_ZNSN_ISO_Lb1ESQ_SR_ST_SU_SY_EESZ_S10_S11_S12_S16_S17_S18_S1B_S1C_jS1D_jS1E_S1E_jjS1G_bEUljE0_EEESZ_S10_S11_S18_S1C_S1E_T6_T7_T9_mT8_S1G_bDpT10_ENKUlT_T0_E_clISt17integral_constantIbLb0EES1U_EEDaS1P_S1Q_EUlS1P_E_NS1_11comp_targetILNS1_3genE9ELNS1_11target_archE1100ELNS1_3gpuE3ELNS1_3repE0EEENS1_30default_config_static_selectorELNS0_4arch9wavefront6targetE1EEEvS12_,comdat
	.globl	_ZN7rocprim17ROCPRIM_400000_NS6detail17trampoline_kernelINS0_13select_configILj256ELj13ELNS0_17block_load_methodE3ELS4_3ELS4_3ELNS0_20block_scan_algorithmE0ELj4294967295EEENS1_25partition_config_selectorILNS1_17partition_subalgoE4EjNS0_10empty_typeEbEEZZNS1_14partition_implILS8_4ELb0ES6_15HIP_vector_typeIjLj2EENS0_17counting_iteratorIjlEEPS9_SG_NS0_5tupleIJPjSI_NS0_16reverse_iteratorISI_EEEEENSH_IJSG_SG_SG_EEES9_SI_JZNS1_25segmented_radix_sort_implINS0_14default_configELb1EPKfPfPKlPlN2at6native12_GLOBAL__N_18offset_tEEE10hipError_tPvRmT1_PNSt15iterator_traitsIS12_E10value_typeET2_T3_PNS13_IS18_E10value_typeET4_jRbjT5_S1E_jjP12ihipStream_tbEUljE_ZNSN_ISO_Lb1ESQ_SR_ST_SU_SY_EESZ_S10_S11_S12_S16_S17_S18_S1B_S1C_jS1D_jS1E_S1E_jjS1G_bEUljE0_EEESZ_S10_S11_S18_S1C_S1E_T6_T7_T9_mT8_S1G_bDpT10_ENKUlT_T0_E_clISt17integral_constantIbLb0EES1U_EEDaS1P_S1Q_EUlS1P_E_NS1_11comp_targetILNS1_3genE9ELNS1_11target_archE1100ELNS1_3gpuE3ELNS1_3repE0EEENS1_30default_config_static_selectorELNS0_4arch9wavefront6targetE1EEEvS12_ ; -- Begin function _ZN7rocprim17ROCPRIM_400000_NS6detail17trampoline_kernelINS0_13select_configILj256ELj13ELNS0_17block_load_methodE3ELS4_3ELS4_3ELNS0_20block_scan_algorithmE0ELj4294967295EEENS1_25partition_config_selectorILNS1_17partition_subalgoE4EjNS0_10empty_typeEbEEZZNS1_14partition_implILS8_4ELb0ES6_15HIP_vector_typeIjLj2EENS0_17counting_iteratorIjlEEPS9_SG_NS0_5tupleIJPjSI_NS0_16reverse_iteratorISI_EEEEENSH_IJSG_SG_SG_EEES9_SI_JZNS1_25segmented_radix_sort_implINS0_14default_configELb1EPKfPfPKlPlN2at6native12_GLOBAL__N_18offset_tEEE10hipError_tPvRmT1_PNSt15iterator_traitsIS12_E10value_typeET2_T3_PNS13_IS18_E10value_typeET4_jRbjT5_S1E_jjP12ihipStream_tbEUljE_ZNSN_ISO_Lb1ESQ_SR_ST_SU_SY_EESZ_S10_S11_S12_S16_S17_S18_S1B_S1C_jS1D_jS1E_S1E_jjS1G_bEUljE0_EEESZ_S10_S11_S18_S1C_S1E_T6_T7_T9_mT8_S1G_bDpT10_ENKUlT_T0_E_clISt17integral_constantIbLb0EES1U_EEDaS1P_S1Q_EUlS1P_E_NS1_11comp_targetILNS1_3genE9ELNS1_11target_archE1100ELNS1_3gpuE3ELNS1_3repE0EEENS1_30default_config_static_selectorELNS0_4arch9wavefront6targetE1EEEvS12_
	.p2align	8
	.type	_ZN7rocprim17ROCPRIM_400000_NS6detail17trampoline_kernelINS0_13select_configILj256ELj13ELNS0_17block_load_methodE3ELS4_3ELS4_3ELNS0_20block_scan_algorithmE0ELj4294967295EEENS1_25partition_config_selectorILNS1_17partition_subalgoE4EjNS0_10empty_typeEbEEZZNS1_14partition_implILS8_4ELb0ES6_15HIP_vector_typeIjLj2EENS0_17counting_iteratorIjlEEPS9_SG_NS0_5tupleIJPjSI_NS0_16reverse_iteratorISI_EEEEENSH_IJSG_SG_SG_EEES9_SI_JZNS1_25segmented_radix_sort_implINS0_14default_configELb1EPKfPfPKlPlN2at6native12_GLOBAL__N_18offset_tEEE10hipError_tPvRmT1_PNSt15iterator_traitsIS12_E10value_typeET2_T3_PNS13_IS18_E10value_typeET4_jRbjT5_S1E_jjP12ihipStream_tbEUljE_ZNSN_ISO_Lb1ESQ_SR_ST_SU_SY_EESZ_S10_S11_S12_S16_S17_S18_S1B_S1C_jS1D_jS1E_S1E_jjS1G_bEUljE0_EEESZ_S10_S11_S18_S1C_S1E_T6_T7_T9_mT8_S1G_bDpT10_ENKUlT_T0_E_clISt17integral_constantIbLb0EES1U_EEDaS1P_S1Q_EUlS1P_E_NS1_11comp_targetILNS1_3genE9ELNS1_11target_archE1100ELNS1_3gpuE3ELNS1_3repE0EEENS1_30default_config_static_selectorELNS0_4arch9wavefront6targetE1EEEvS12_,@function
_ZN7rocprim17ROCPRIM_400000_NS6detail17trampoline_kernelINS0_13select_configILj256ELj13ELNS0_17block_load_methodE3ELS4_3ELS4_3ELNS0_20block_scan_algorithmE0ELj4294967295EEENS1_25partition_config_selectorILNS1_17partition_subalgoE4EjNS0_10empty_typeEbEEZZNS1_14partition_implILS8_4ELb0ES6_15HIP_vector_typeIjLj2EENS0_17counting_iteratorIjlEEPS9_SG_NS0_5tupleIJPjSI_NS0_16reverse_iteratorISI_EEEEENSH_IJSG_SG_SG_EEES9_SI_JZNS1_25segmented_radix_sort_implINS0_14default_configELb1EPKfPfPKlPlN2at6native12_GLOBAL__N_18offset_tEEE10hipError_tPvRmT1_PNSt15iterator_traitsIS12_E10value_typeET2_T3_PNS13_IS18_E10value_typeET4_jRbjT5_S1E_jjP12ihipStream_tbEUljE_ZNSN_ISO_Lb1ESQ_SR_ST_SU_SY_EESZ_S10_S11_S12_S16_S17_S18_S1B_S1C_jS1D_jS1E_S1E_jjS1G_bEUljE0_EEESZ_S10_S11_S18_S1C_S1E_T6_T7_T9_mT8_S1G_bDpT10_ENKUlT_T0_E_clISt17integral_constantIbLb0EES1U_EEDaS1P_S1Q_EUlS1P_E_NS1_11comp_targetILNS1_3genE9ELNS1_11target_archE1100ELNS1_3gpuE3ELNS1_3repE0EEENS1_30default_config_static_selectorELNS0_4arch9wavefront6targetE1EEEvS12_: ; @_ZN7rocprim17ROCPRIM_400000_NS6detail17trampoline_kernelINS0_13select_configILj256ELj13ELNS0_17block_load_methodE3ELS4_3ELS4_3ELNS0_20block_scan_algorithmE0ELj4294967295EEENS1_25partition_config_selectorILNS1_17partition_subalgoE4EjNS0_10empty_typeEbEEZZNS1_14partition_implILS8_4ELb0ES6_15HIP_vector_typeIjLj2EENS0_17counting_iteratorIjlEEPS9_SG_NS0_5tupleIJPjSI_NS0_16reverse_iteratorISI_EEEEENSH_IJSG_SG_SG_EEES9_SI_JZNS1_25segmented_radix_sort_implINS0_14default_configELb1EPKfPfPKlPlN2at6native12_GLOBAL__N_18offset_tEEE10hipError_tPvRmT1_PNSt15iterator_traitsIS12_E10value_typeET2_T3_PNS13_IS18_E10value_typeET4_jRbjT5_S1E_jjP12ihipStream_tbEUljE_ZNSN_ISO_Lb1ESQ_SR_ST_SU_SY_EESZ_S10_S11_S12_S16_S17_S18_S1B_S1C_jS1D_jS1E_S1E_jjS1G_bEUljE0_EEESZ_S10_S11_S18_S1C_S1E_T6_T7_T9_mT8_S1G_bDpT10_ENKUlT_T0_E_clISt17integral_constantIbLb0EES1U_EEDaS1P_S1Q_EUlS1P_E_NS1_11comp_targetILNS1_3genE9ELNS1_11target_archE1100ELNS1_3gpuE3ELNS1_3repE0EEENS1_30default_config_static_selectorELNS0_4arch9wavefront6targetE1EEEvS12_
; %bb.0:
	.section	.rodata,"a",@progbits
	.p2align	6, 0x0
	.amdhsa_kernel _ZN7rocprim17ROCPRIM_400000_NS6detail17trampoline_kernelINS0_13select_configILj256ELj13ELNS0_17block_load_methodE3ELS4_3ELS4_3ELNS0_20block_scan_algorithmE0ELj4294967295EEENS1_25partition_config_selectorILNS1_17partition_subalgoE4EjNS0_10empty_typeEbEEZZNS1_14partition_implILS8_4ELb0ES6_15HIP_vector_typeIjLj2EENS0_17counting_iteratorIjlEEPS9_SG_NS0_5tupleIJPjSI_NS0_16reverse_iteratorISI_EEEEENSH_IJSG_SG_SG_EEES9_SI_JZNS1_25segmented_radix_sort_implINS0_14default_configELb1EPKfPfPKlPlN2at6native12_GLOBAL__N_18offset_tEEE10hipError_tPvRmT1_PNSt15iterator_traitsIS12_E10value_typeET2_T3_PNS13_IS18_E10value_typeET4_jRbjT5_S1E_jjP12ihipStream_tbEUljE_ZNSN_ISO_Lb1ESQ_SR_ST_SU_SY_EESZ_S10_S11_S12_S16_S17_S18_S1B_S1C_jS1D_jS1E_S1E_jjS1G_bEUljE0_EEESZ_S10_S11_S18_S1C_S1E_T6_T7_T9_mT8_S1G_bDpT10_ENKUlT_T0_E_clISt17integral_constantIbLb0EES1U_EEDaS1P_S1Q_EUlS1P_E_NS1_11comp_targetILNS1_3genE9ELNS1_11target_archE1100ELNS1_3gpuE3ELNS1_3repE0EEENS1_30default_config_static_selectorELNS0_4arch9wavefront6targetE1EEEvS12_
		.amdhsa_group_segment_fixed_size 0
		.amdhsa_private_segment_fixed_size 0
		.amdhsa_kernarg_size 176
		.amdhsa_user_sgpr_count 6
		.amdhsa_user_sgpr_private_segment_buffer 1
		.amdhsa_user_sgpr_dispatch_ptr 0
		.amdhsa_user_sgpr_queue_ptr 0
		.amdhsa_user_sgpr_kernarg_segment_ptr 1
		.amdhsa_user_sgpr_dispatch_id 0
		.amdhsa_user_sgpr_flat_scratch_init 0
		.amdhsa_user_sgpr_kernarg_preload_length 0
		.amdhsa_user_sgpr_kernarg_preload_offset 0
		.amdhsa_user_sgpr_private_segment_size 0
		.amdhsa_uses_dynamic_stack 0
		.amdhsa_system_sgpr_private_segment_wavefront_offset 0
		.amdhsa_system_sgpr_workgroup_id_x 1
		.amdhsa_system_sgpr_workgroup_id_y 0
		.amdhsa_system_sgpr_workgroup_id_z 0
		.amdhsa_system_sgpr_workgroup_info 0
		.amdhsa_system_vgpr_workitem_id 0
		.amdhsa_next_free_vgpr 1
		.amdhsa_next_free_sgpr 0
		.amdhsa_accum_offset 4
		.amdhsa_reserve_vcc 0
		.amdhsa_reserve_flat_scratch 0
		.amdhsa_float_round_mode_32 0
		.amdhsa_float_round_mode_16_64 0
		.amdhsa_float_denorm_mode_32 3
		.amdhsa_float_denorm_mode_16_64 3
		.amdhsa_dx10_clamp 1
		.amdhsa_ieee_mode 1
		.amdhsa_fp16_overflow 0
		.amdhsa_tg_split 0
		.amdhsa_exception_fp_ieee_invalid_op 0
		.amdhsa_exception_fp_denorm_src 0
		.amdhsa_exception_fp_ieee_div_zero 0
		.amdhsa_exception_fp_ieee_overflow 0
		.amdhsa_exception_fp_ieee_underflow 0
		.amdhsa_exception_fp_ieee_inexact 0
		.amdhsa_exception_int_div_zero 0
	.end_amdhsa_kernel
	.section	.text._ZN7rocprim17ROCPRIM_400000_NS6detail17trampoline_kernelINS0_13select_configILj256ELj13ELNS0_17block_load_methodE3ELS4_3ELS4_3ELNS0_20block_scan_algorithmE0ELj4294967295EEENS1_25partition_config_selectorILNS1_17partition_subalgoE4EjNS0_10empty_typeEbEEZZNS1_14partition_implILS8_4ELb0ES6_15HIP_vector_typeIjLj2EENS0_17counting_iteratorIjlEEPS9_SG_NS0_5tupleIJPjSI_NS0_16reverse_iteratorISI_EEEEENSH_IJSG_SG_SG_EEES9_SI_JZNS1_25segmented_radix_sort_implINS0_14default_configELb1EPKfPfPKlPlN2at6native12_GLOBAL__N_18offset_tEEE10hipError_tPvRmT1_PNSt15iterator_traitsIS12_E10value_typeET2_T3_PNS13_IS18_E10value_typeET4_jRbjT5_S1E_jjP12ihipStream_tbEUljE_ZNSN_ISO_Lb1ESQ_SR_ST_SU_SY_EESZ_S10_S11_S12_S16_S17_S18_S1B_S1C_jS1D_jS1E_S1E_jjS1G_bEUljE0_EEESZ_S10_S11_S18_S1C_S1E_T6_T7_T9_mT8_S1G_bDpT10_ENKUlT_T0_E_clISt17integral_constantIbLb0EES1U_EEDaS1P_S1Q_EUlS1P_E_NS1_11comp_targetILNS1_3genE9ELNS1_11target_archE1100ELNS1_3gpuE3ELNS1_3repE0EEENS1_30default_config_static_selectorELNS0_4arch9wavefront6targetE1EEEvS12_,"axG",@progbits,_ZN7rocprim17ROCPRIM_400000_NS6detail17trampoline_kernelINS0_13select_configILj256ELj13ELNS0_17block_load_methodE3ELS4_3ELS4_3ELNS0_20block_scan_algorithmE0ELj4294967295EEENS1_25partition_config_selectorILNS1_17partition_subalgoE4EjNS0_10empty_typeEbEEZZNS1_14partition_implILS8_4ELb0ES6_15HIP_vector_typeIjLj2EENS0_17counting_iteratorIjlEEPS9_SG_NS0_5tupleIJPjSI_NS0_16reverse_iteratorISI_EEEEENSH_IJSG_SG_SG_EEES9_SI_JZNS1_25segmented_radix_sort_implINS0_14default_configELb1EPKfPfPKlPlN2at6native12_GLOBAL__N_18offset_tEEE10hipError_tPvRmT1_PNSt15iterator_traitsIS12_E10value_typeET2_T3_PNS13_IS18_E10value_typeET4_jRbjT5_S1E_jjP12ihipStream_tbEUljE_ZNSN_ISO_Lb1ESQ_SR_ST_SU_SY_EESZ_S10_S11_S12_S16_S17_S18_S1B_S1C_jS1D_jS1E_S1E_jjS1G_bEUljE0_EEESZ_S10_S11_S18_S1C_S1E_T6_T7_T9_mT8_S1G_bDpT10_ENKUlT_T0_E_clISt17integral_constantIbLb0EES1U_EEDaS1P_S1Q_EUlS1P_E_NS1_11comp_targetILNS1_3genE9ELNS1_11target_archE1100ELNS1_3gpuE3ELNS1_3repE0EEENS1_30default_config_static_selectorELNS0_4arch9wavefront6targetE1EEEvS12_,comdat
.Lfunc_end1265:
	.size	_ZN7rocprim17ROCPRIM_400000_NS6detail17trampoline_kernelINS0_13select_configILj256ELj13ELNS0_17block_load_methodE3ELS4_3ELS4_3ELNS0_20block_scan_algorithmE0ELj4294967295EEENS1_25partition_config_selectorILNS1_17partition_subalgoE4EjNS0_10empty_typeEbEEZZNS1_14partition_implILS8_4ELb0ES6_15HIP_vector_typeIjLj2EENS0_17counting_iteratorIjlEEPS9_SG_NS0_5tupleIJPjSI_NS0_16reverse_iteratorISI_EEEEENSH_IJSG_SG_SG_EEES9_SI_JZNS1_25segmented_radix_sort_implINS0_14default_configELb1EPKfPfPKlPlN2at6native12_GLOBAL__N_18offset_tEEE10hipError_tPvRmT1_PNSt15iterator_traitsIS12_E10value_typeET2_T3_PNS13_IS18_E10value_typeET4_jRbjT5_S1E_jjP12ihipStream_tbEUljE_ZNSN_ISO_Lb1ESQ_SR_ST_SU_SY_EESZ_S10_S11_S12_S16_S17_S18_S1B_S1C_jS1D_jS1E_S1E_jjS1G_bEUljE0_EEESZ_S10_S11_S18_S1C_S1E_T6_T7_T9_mT8_S1G_bDpT10_ENKUlT_T0_E_clISt17integral_constantIbLb0EES1U_EEDaS1P_S1Q_EUlS1P_E_NS1_11comp_targetILNS1_3genE9ELNS1_11target_archE1100ELNS1_3gpuE3ELNS1_3repE0EEENS1_30default_config_static_selectorELNS0_4arch9wavefront6targetE1EEEvS12_, .Lfunc_end1265-_ZN7rocprim17ROCPRIM_400000_NS6detail17trampoline_kernelINS0_13select_configILj256ELj13ELNS0_17block_load_methodE3ELS4_3ELS4_3ELNS0_20block_scan_algorithmE0ELj4294967295EEENS1_25partition_config_selectorILNS1_17partition_subalgoE4EjNS0_10empty_typeEbEEZZNS1_14partition_implILS8_4ELb0ES6_15HIP_vector_typeIjLj2EENS0_17counting_iteratorIjlEEPS9_SG_NS0_5tupleIJPjSI_NS0_16reverse_iteratorISI_EEEEENSH_IJSG_SG_SG_EEES9_SI_JZNS1_25segmented_radix_sort_implINS0_14default_configELb1EPKfPfPKlPlN2at6native12_GLOBAL__N_18offset_tEEE10hipError_tPvRmT1_PNSt15iterator_traitsIS12_E10value_typeET2_T3_PNS13_IS18_E10value_typeET4_jRbjT5_S1E_jjP12ihipStream_tbEUljE_ZNSN_ISO_Lb1ESQ_SR_ST_SU_SY_EESZ_S10_S11_S12_S16_S17_S18_S1B_S1C_jS1D_jS1E_S1E_jjS1G_bEUljE0_EEESZ_S10_S11_S18_S1C_S1E_T6_T7_T9_mT8_S1G_bDpT10_ENKUlT_T0_E_clISt17integral_constantIbLb0EES1U_EEDaS1P_S1Q_EUlS1P_E_NS1_11comp_targetILNS1_3genE9ELNS1_11target_archE1100ELNS1_3gpuE3ELNS1_3repE0EEENS1_30default_config_static_selectorELNS0_4arch9wavefront6targetE1EEEvS12_
                                        ; -- End function
	.section	.AMDGPU.csdata,"",@progbits
; Kernel info:
; codeLenInByte = 0
; NumSgprs: 4
; NumVgprs: 0
; NumAgprs: 0
; TotalNumVgprs: 0
; ScratchSize: 0
; MemoryBound: 0
; FloatMode: 240
; IeeeMode: 1
; LDSByteSize: 0 bytes/workgroup (compile time only)
; SGPRBlocks: 0
; VGPRBlocks: 0
; NumSGPRsForWavesPerEU: 4
; NumVGPRsForWavesPerEU: 1
; AccumOffset: 4
; Occupancy: 8
; WaveLimiterHint : 0
; COMPUTE_PGM_RSRC2:SCRATCH_EN: 0
; COMPUTE_PGM_RSRC2:USER_SGPR: 6
; COMPUTE_PGM_RSRC2:TRAP_HANDLER: 0
; COMPUTE_PGM_RSRC2:TGID_X_EN: 1
; COMPUTE_PGM_RSRC2:TGID_Y_EN: 0
; COMPUTE_PGM_RSRC2:TGID_Z_EN: 0
; COMPUTE_PGM_RSRC2:TIDIG_COMP_CNT: 0
; COMPUTE_PGM_RSRC3_GFX90A:ACCUM_OFFSET: 0
; COMPUTE_PGM_RSRC3_GFX90A:TG_SPLIT: 0
	.section	.text._ZN7rocprim17ROCPRIM_400000_NS6detail17trampoline_kernelINS0_13select_configILj256ELj13ELNS0_17block_load_methodE3ELS4_3ELS4_3ELNS0_20block_scan_algorithmE0ELj4294967295EEENS1_25partition_config_selectorILNS1_17partition_subalgoE4EjNS0_10empty_typeEbEEZZNS1_14partition_implILS8_4ELb0ES6_15HIP_vector_typeIjLj2EENS0_17counting_iteratorIjlEEPS9_SG_NS0_5tupleIJPjSI_NS0_16reverse_iteratorISI_EEEEENSH_IJSG_SG_SG_EEES9_SI_JZNS1_25segmented_radix_sort_implINS0_14default_configELb1EPKfPfPKlPlN2at6native12_GLOBAL__N_18offset_tEEE10hipError_tPvRmT1_PNSt15iterator_traitsIS12_E10value_typeET2_T3_PNS13_IS18_E10value_typeET4_jRbjT5_S1E_jjP12ihipStream_tbEUljE_ZNSN_ISO_Lb1ESQ_SR_ST_SU_SY_EESZ_S10_S11_S12_S16_S17_S18_S1B_S1C_jS1D_jS1E_S1E_jjS1G_bEUljE0_EEESZ_S10_S11_S18_S1C_S1E_T6_T7_T9_mT8_S1G_bDpT10_ENKUlT_T0_E_clISt17integral_constantIbLb0EES1U_EEDaS1P_S1Q_EUlS1P_E_NS1_11comp_targetILNS1_3genE8ELNS1_11target_archE1030ELNS1_3gpuE2ELNS1_3repE0EEENS1_30default_config_static_selectorELNS0_4arch9wavefront6targetE1EEEvS12_,"axG",@progbits,_ZN7rocprim17ROCPRIM_400000_NS6detail17trampoline_kernelINS0_13select_configILj256ELj13ELNS0_17block_load_methodE3ELS4_3ELS4_3ELNS0_20block_scan_algorithmE0ELj4294967295EEENS1_25partition_config_selectorILNS1_17partition_subalgoE4EjNS0_10empty_typeEbEEZZNS1_14partition_implILS8_4ELb0ES6_15HIP_vector_typeIjLj2EENS0_17counting_iteratorIjlEEPS9_SG_NS0_5tupleIJPjSI_NS0_16reverse_iteratorISI_EEEEENSH_IJSG_SG_SG_EEES9_SI_JZNS1_25segmented_radix_sort_implINS0_14default_configELb1EPKfPfPKlPlN2at6native12_GLOBAL__N_18offset_tEEE10hipError_tPvRmT1_PNSt15iterator_traitsIS12_E10value_typeET2_T3_PNS13_IS18_E10value_typeET4_jRbjT5_S1E_jjP12ihipStream_tbEUljE_ZNSN_ISO_Lb1ESQ_SR_ST_SU_SY_EESZ_S10_S11_S12_S16_S17_S18_S1B_S1C_jS1D_jS1E_S1E_jjS1G_bEUljE0_EEESZ_S10_S11_S18_S1C_S1E_T6_T7_T9_mT8_S1G_bDpT10_ENKUlT_T0_E_clISt17integral_constantIbLb0EES1U_EEDaS1P_S1Q_EUlS1P_E_NS1_11comp_targetILNS1_3genE8ELNS1_11target_archE1030ELNS1_3gpuE2ELNS1_3repE0EEENS1_30default_config_static_selectorELNS0_4arch9wavefront6targetE1EEEvS12_,comdat
	.globl	_ZN7rocprim17ROCPRIM_400000_NS6detail17trampoline_kernelINS0_13select_configILj256ELj13ELNS0_17block_load_methodE3ELS4_3ELS4_3ELNS0_20block_scan_algorithmE0ELj4294967295EEENS1_25partition_config_selectorILNS1_17partition_subalgoE4EjNS0_10empty_typeEbEEZZNS1_14partition_implILS8_4ELb0ES6_15HIP_vector_typeIjLj2EENS0_17counting_iteratorIjlEEPS9_SG_NS0_5tupleIJPjSI_NS0_16reverse_iteratorISI_EEEEENSH_IJSG_SG_SG_EEES9_SI_JZNS1_25segmented_radix_sort_implINS0_14default_configELb1EPKfPfPKlPlN2at6native12_GLOBAL__N_18offset_tEEE10hipError_tPvRmT1_PNSt15iterator_traitsIS12_E10value_typeET2_T3_PNS13_IS18_E10value_typeET4_jRbjT5_S1E_jjP12ihipStream_tbEUljE_ZNSN_ISO_Lb1ESQ_SR_ST_SU_SY_EESZ_S10_S11_S12_S16_S17_S18_S1B_S1C_jS1D_jS1E_S1E_jjS1G_bEUljE0_EEESZ_S10_S11_S18_S1C_S1E_T6_T7_T9_mT8_S1G_bDpT10_ENKUlT_T0_E_clISt17integral_constantIbLb0EES1U_EEDaS1P_S1Q_EUlS1P_E_NS1_11comp_targetILNS1_3genE8ELNS1_11target_archE1030ELNS1_3gpuE2ELNS1_3repE0EEENS1_30default_config_static_selectorELNS0_4arch9wavefront6targetE1EEEvS12_ ; -- Begin function _ZN7rocprim17ROCPRIM_400000_NS6detail17trampoline_kernelINS0_13select_configILj256ELj13ELNS0_17block_load_methodE3ELS4_3ELS4_3ELNS0_20block_scan_algorithmE0ELj4294967295EEENS1_25partition_config_selectorILNS1_17partition_subalgoE4EjNS0_10empty_typeEbEEZZNS1_14partition_implILS8_4ELb0ES6_15HIP_vector_typeIjLj2EENS0_17counting_iteratorIjlEEPS9_SG_NS0_5tupleIJPjSI_NS0_16reverse_iteratorISI_EEEEENSH_IJSG_SG_SG_EEES9_SI_JZNS1_25segmented_radix_sort_implINS0_14default_configELb1EPKfPfPKlPlN2at6native12_GLOBAL__N_18offset_tEEE10hipError_tPvRmT1_PNSt15iterator_traitsIS12_E10value_typeET2_T3_PNS13_IS18_E10value_typeET4_jRbjT5_S1E_jjP12ihipStream_tbEUljE_ZNSN_ISO_Lb1ESQ_SR_ST_SU_SY_EESZ_S10_S11_S12_S16_S17_S18_S1B_S1C_jS1D_jS1E_S1E_jjS1G_bEUljE0_EEESZ_S10_S11_S18_S1C_S1E_T6_T7_T9_mT8_S1G_bDpT10_ENKUlT_T0_E_clISt17integral_constantIbLb0EES1U_EEDaS1P_S1Q_EUlS1P_E_NS1_11comp_targetILNS1_3genE8ELNS1_11target_archE1030ELNS1_3gpuE2ELNS1_3repE0EEENS1_30default_config_static_selectorELNS0_4arch9wavefront6targetE1EEEvS12_
	.p2align	8
	.type	_ZN7rocprim17ROCPRIM_400000_NS6detail17trampoline_kernelINS0_13select_configILj256ELj13ELNS0_17block_load_methodE3ELS4_3ELS4_3ELNS0_20block_scan_algorithmE0ELj4294967295EEENS1_25partition_config_selectorILNS1_17partition_subalgoE4EjNS0_10empty_typeEbEEZZNS1_14partition_implILS8_4ELb0ES6_15HIP_vector_typeIjLj2EENS0_17counting_iteratorIjlEEPS9_SG_NS0_5tupleIJPjSI_NS0_16reverse_iteratorISI_EEEEENSH_IJSG_SG_SG_EEES9_SI_JZNS1_25segmented_radix_sort_implINS0_14default_configELb1EPKfPfPKlPlN2at6native12_GLOBAL__N_18offset_tEEE10hipError_tPvRmT1_PNSt15iterator_traitsIS12_E10value_typeET2_T3_PNS13_IS18_E10value_typeET4_jRbjT5_S1E_jjP12ihipStream_tbEUljE_ZNSN_ISO_Lb1ESQ_SR_ST_SU_SY_EESZ_S10_S11_S12_S16_S17_S18_S1B_S1C_jS1D_jS1E_S1E_jjS1G_bEUljE0_EEESZ_S10_S11_S18_S1C_S1E_T6_T7_T9_mT8_S1G_bDpT10_ENKUlT_T0_E_clISt17integral_constantIbLb0EES1U_EEDaS1P_S1Q_EUlS1P_E_NS1_11comp_targetILNS1_3genE8ELNS1_11target_archE1030ELNS1_3gpuE2ELNS1_3repE0EEENS1_30default_config_static_selectorELNS0_4arch9wavefront6targetE1EEEvS12_,@function
_ZN7rocprim17ROCPRIM_400000_NS6detail17trampoline_kernelINS0_13select_configILj256ELj13ELNS0_17block_load_methodE3ELS4_3ELS4_3ELNS0_20block_scan_algorithmE0ELj4294967295EEENS1_25partition_config_selectorILNS1_17partition_subalgoE4EjNS0_10empty_typeEbEEZZNS1_14partition_implILS8_4ELb0ES6_15HIP_vector_typeIjLj2EENS0_17counting_iteratorIjlEEPS9_SG_NS0_5tupleIJPjSI_NS0_16reverse_iteratorISI_EEEEENSH_IJSG_SG_SG_EEES9_SI_JZNS1_25segmented_radix_sort_implINS0_14default_configELb1EPKfPfPKlPlN2at6native12_GLOBAL__N_18offset_tEEE10hipError_tPvRmT1_PNSt15iterator_traitsIS12_E10value_typeET2_T3_PNS13_IS18_E10value_typeET4_jRbjT5_S1E_jjP12ihipStream_tbEUljE_ZNSN_ISO_Lb1ESQ_SR_ST_SU_SY_EESZ_S10_S11_S12_S16_S17_S18_S1B_S1C_jS1D_jS1E_S1E_jjS1G_bEUljE0_EEESZ_S10_S11_S18_S1C_S1E_T6_T7_T9_mT8_S1G_bDpT10_ENKUlT_T0_E_clISt17integral_constantIbLb0EES1U_EEDaS1P_S1Q_EUlS1P_E_NS1_11comp_targetILNS1_3genE8ELNS1_11target_archE1030ELNS1_3gpuE2ELNS1_3repE0EEENS1_30default_config_static_selectorELNS0_4arch9wavefront6targetE1EEEvS12_: ; @_ZN7rocprim17ROCPRIM_400000_NS6detail17trampoline_kernelINS0_13select_configILj256ELj13ELNS0_17block_load_methodE3ELS4_3ELS4_3ELNS0_20block_scan_algorithmE0ELj4294967295EEENS1_25partition_config_selectorILNS1_17partition_subalgoE4EjNS0_10empty_typeEbEEZZNS1_14partition_implILS8_4ELb0ES6_15HIP_vector_typeIjLj2EENS0_17counting_iteratorIjlEEPS9_SG_NS0_5tupleIJPjSI_NS0_16reverse_iteratorISI_EEEEENSH_IJSG_SG_SG_EEES9_SI_JZNS1_25segmented_radix_sort_implINS0_14default_configELb1EPKfPfPKlPlN2at6native12_GLOBAL__N_18offset_tEEE10hipError_tPvRmT1_PNSt15iterator_traitsIS12_E10value_typeET2_T3_PNS13_IS18_E10value_typeET4_jRbjT5_S1E_jjP12ihipStream_tbEUljE_ZNSN_ISO_Lb1ESQ_SR_ST_SU_SY_EESZ_S10_S11_S12_S16_S17_S18_S1B_S1C_jS1D_jS1E_S1E_jjS1G_bEUljE0_EEESZ_S10_S11_S18_S1C_S1E_T6_T7_T9_mT8_S1G_bDpT10_ENKUlT_T0_E_clISt17integral_constantIbLb0EES1U_EEDaS1P_S1Q_EUlS1P_E_NS1_11comp_targetILNS1_3genE8ELNS1_11target_archE1030ELNS1_3gpuE2ELNS1_3repE0EEENS1_30default_config_static_selectorELNS0_4arch9wavefront6targetE1EEEvS12_
; %bb.0:
	.section	.rodata,"a",@progbits
	.p2align	6, 0x0
	.amdhsa_kernel _ZN7rocprim17ROCPRIM_400000_NS6detail17trampoline_kernelINS0_13select_configILj256ELj13ELNS0_17block_load_methodE3ELS4_3ELS4_3ELNS0_20block_scan_algorithmE0ELj4294967295EEENS1_25partition_config_selectorILNS1_17partition_subalgoE4EjNS0_10empty_typeEbEEZZNS1_14partition_implILS8_4ELb0ES6_15HIP_vector_typeIjLj2EENS0_17counting_iteratorIjlEEPS9_SG_NS0_5tupleIJPjSI_NS0_16reverse_iteratorISI_EEEEENSH_IJSG_SG_SG_EEES9_SI_JZNS1_25segmented_radix_sort_implINS0_14default_configELb1EPKfPfPKlPlN2at6native12_GLOBAL__N_18offset_tEEE10hipError_tPvRmT1_PNSt15iterator_traitsIS12_E10value_typeET2_T3_PNS13_IS18_E10value_typeET4_jRbjT5_S1E_jjP12ihipStream_tbEUljE_ZNSN_ISO_Lb1ESQ_SR_ST_SU_SY_EESZ_S10_S11_S12_S16_S17_S18_S1B_S1C_jS1D_jS1E_S1E_jjS1G_bEUljE0_EEESZ_S10_S11_S18_S1C_S1E_T6_T7_T9_mT8_S1G_bDpT10_ENKUlT_T0_E_clISt17integral_constantIbLb0EES1U_EEDaS1P_S1Q_EUlS1P_E_NS1_11comp_targetILNS1_3genE8ELNS1_11target_archE1030ELNS1_3gpuE2ELNS1_3repE0EEENS1_30default_config_static_selectorELNS0_4arch9wavefront6targetE1EEEvS12_
		.amdhsa_group_segment_fixed_size 0
		.amdhsa_private_segment_fixed_size 0
		.amdhsa_kernarg_size 176
		.amdhsa_user_sgpr_count 6
		.amdhsa_user_sgpr_private_segment_buffer 1
		.amdhsa_user_sgpr_dispatch_ptr 0
		.amdhsa_user_sgpr_queue_ptr 0
		.amdhsa_user_sgpr_kernarg_segment_ptr 1
		.amdhsa_user_sgpr_dispatch_id 0
		.amdhsa_user_sgpr_flat_scratch_init 0
		.amdhsa_user_sgpr_kernarg_preload_length 0
		.amdhsa_user_sgpr_kernarg_preload_offset 0
		.amdhsa_user_sgpr_private_segment_size 0
		.amdhsa_uses_dynamic_stack 0
		.amdhsa_system_sgpr_private_segment_wavefront_offset 0
		.amdhsa_system_sgpr_workgroup_id_x 1
		.amdhsa_system_sgpr_workgroup_id_y 0
		.amdhsa_system_sgpr_workgroup_id_z 0
		.amdhsa_system_sgpr_workgroup_info 0
		.amdhsa_system_vgpr_workitem_id 0
		.amdhsa_next_free_vgpr 1
		.amdhsa_next_free_sgpr 0
		.amdhsa_accum_offset 4
		.amdhsa_reserve_vcc 0
		.amdhsa_reserve_flat_scratch 0
		.amdhsa_float_round_mode_32 0
		.amdhsa_float_round_mode_16_64 0
		.amdhsa_float_denorm_mode_32 3
		.amdhsa_float_denorm_mode_16_64 3
		.amdhsa_dx10_clamp 1
		.amdhsa_ieee_mode 1
		.amdhsa_fp16_overflow 0
		.amdhsa_tg_split 0
		.amdhsa_exception_fp_ieee_invalid_op 0
		.amdhsa_exception_fp_denorm_src 0
		.amdhsa_exception_fp_ieee_div_zero 0
		.amdhsa_exception_fp_ieee_overflow 0
		.amdhsa_exception_fp_ieee_underflow 0
		.amdhsa_exception_fp_ieee_inexact 0
		.amdhsa_exception_int_div_zero 0
	.end_amdhsa_kernel
	.section	.text._ZN7rocprim17ROCPRIM_400000_NS6detail17trampoline_kernelINS0_13select_configILj256ELj13ELNS0_17block_load_methodE3ELS4_3ELS4_3ELNS0_20block_scan_algorithmE0ELj4294967295EEENS1_25partition_config_selectorILNS1_17partition_subalgoE4EjNS0_10empty_typeEbEEZZNS1_14partition_implILS8_4ELb0ES6_15HIP_vector_typeIjLj2EENS0_17counting_iteratorIjlEEPS9_SG_NS0_5tupleIJPjSI_NS0_16reverse_iteratorISI_EEEEENSH_IJSG_SG_SG_EEES9_SI_JZNS1_25segmented_radix_sort_implINS0_14default_configELb1EPKfPfPKlPlN2at6native12_GLOBAL__N_18offset_tEEE10hipError_tPvRmT1_PNSt15iterator_traitsIS12_E10value_typeET2_T3_PNS13_IS18_E10value_typeET4_jRbjT5_S1E_jjP12ihipStream_tbEUljE_ZNSN_ISO_Lb1ESQ_SR_ST_SU_SY_EESZ_S10_S11_S12_S16_S17_S18_S1B_S1C_jS1D_jS1E_S1E_jjS1G_bEUljE0_EEESZ_S10_S11_S18_S1C_S1E_T6_T7_T9_mT8_S1G_bDpT10_ENKUlT_T0_E_clISt17integral_constantIbLb0EES1U_EEDaS1P_S1Q_EUlS1P_E_NS1_11comp_targetILNS1_3genE8ELNS1_11target_archE1030ELNS1_3gpuE2ELNS1_3repE0EEENS1_30default_config_static_selectorELNS0_4arch9wavefront6targetE1EEEvS12_,"axG",@progbits,_ZN7rocprim17ROCPRIM_400000_NS6detail17trampoline_kernelINS0_13select_configILj256ELj13ELNS0_17block_load_methodE3ELS4_3ELS4_3ELNS0_20block_scan_algorithmE0ELj4294967295EEENS1_25partition_config_selectorILNS1_17partition_subalgoE4EjNS0_10empty_typeEbEEZZNS1_14partition_implILS8_4ELb0ES6_15HIP_vector_typeIjLj2EENS0_17counting_iteratorIjlEEPS9_SG_NS0_5tupleIJPjSI_NS0_16reverse_iteratorISI_EEEEENSH_IJSG_SG_SG_EEES9_SI_JZNS1_25segmented_radix_sort_implINS0_14default_configELb1EPKfPfPKlPlN2at6native12_GLOBAL__N_18offset_tEEE10hipError_tPvRmT1_PNSt15iterator_traitsIS12_E10value_typeET2_T3_PNS13_IS18_E10value_typeET4_jRbjT5_S1E_jjP12ihipStream_tbEUljE_ZNSN_ISO_Lb1ESQ_SR_ST_SU_SY_EESZ_S10_S11_S12_S16_S17_S18_S1B_S1C_jS1D_jS1E_S1E_jjS1G_bEUljE0_EEESZ_S10_S11_S18_S1C_S1E_T6_T7_T9_mT8_S1G_bDpT10_ENKUlT_T0_E_clISt17integral_constantIbLb0EES1U_EEDaS1P_S1Q_EUlS1P_E_NS1_11comp_targetILNS1_3genE8ELNS1_11target_archE1030ELNS1_3gpuE2ELNS1_3repE0EEENS1_30default_config_static_selectorELNS0_4arch9wavefront6targetE1EEEvS12_,comdat
.Lfunc_end1266:
	.size	_ZN7rocprim17ROCPRIM_400000_NS6detail17trampoline_kernelINS0_13select_configILj256ELj13ELNS0_17block_load_methodE3ELS4_3ELS4_3ELNS0_20block_scan_algorithmE0ELj4294967295EEENS1_25partition_config_selectorILNS1_17partition_subalgoE4EjNS0_10empty_typeEbEEZZNS1_14partition_implILS8_4ELb0ES6_15HIP_vector_typeIjLj2EENS0_17counting_iteratorIjlEEPS9_SG_NS0_5tupleIJPjSI_NS0_16reverse_iteratorISI_EEEEENSH_IJSG_SG_SG_EEES9_SI_JZNS1_25segmented_radix_sort_implINS0_14default_configELb1EPKfPfPKlPlN2at6native12_GLOBAL__N_18offset_tEEE10hipError_tPvRmT1_PNSt15iterator_traitsIS12_E10value_typeET2_T3_PNS13_IS18_E10value_typeET4_jRbjT5_S1E_jjP12ihipStream_tbEUljE_ZNSN_ISO_Lb1ESQ_SR_ST_SU_SY_EESZ_S10_S11_S12_S16_S17_S18_S1B_S1C_jS1D_jS1E_S1E_jjS1G_bEUljE0_EEESZ_S10_S11_S18_S1C_S1E_T6_T7_T9_mT8_S1G_bDpT10_ENKUlT_T0_E_clISt17integral_constantIbLb0EES1U_EEDaS1P_S1Q_EUlS1P_E_NS1_11comp_targetILNS1_3genE8ELNS1_11target_archE1030ELNS1_3gpuE2ELNS1_3repE0EEENS1_30default_config_static_selectorELNS0_4arch9wavefront6targetE1EEEvS12_, .Lfunc_end1266-_ZN7rocprim17ROCPRIM_400000_NS6detail17trampoline_kernelINS0_13select_configILj256ELj13ELNS0_17block_load_methodE3ELS4_3ELS4_3ELNS0_20block_scan_algorithmE0ELj4294967295EEENS1_25partition_config_selectorILNS1_17partition_subalgoE4EjNS0_10empty_typeEbEEZZNS1_14partition_implILS8_4ELb0ES6_15HIP_vector_typeIjLj2EENS0_17counting_iteratorIjlEEPS9_SG_NS0_5tupleIJPjSI_NS0_16reverse_iteratorISI_EEEEENSH_IJSG_SG_SG_EEES9_SI_JZNS1_25segmented_radix_sort_implINS0_14default_configELb1EPKfPfPKlPlN2at6native12_GLOBAL__N_18offset_tEEE10hipError_tPvRmT1_PNSt15iterator_traitsIS12_E10value_typeET2_T3_PNS13_IS18_E10value_typeET4_jRbjT5_S1E_jjP12ihipStream_tbEUljE_ZNSN_ISO_Lb1ESQ_SR_ST_SU_SY_EESZ_S10_S11_S12_S16_S17_S18_S1B_S1C_jS1D_jS1E_S1E_jjS1G_bEUljE0_EEESZ_S10_S11_S18_S1C_S1E_T6_T7_T9_mT8_S1G_bDpT10_ENKUlT_T0_E_clISt17integral_constantIbLb0EES1U_EEDaS1P_S1Q_EUlS1P_E_NS1_11comp_targetILNS1_3genE8ELNS1_11target_archE1030ELNS1_3gpuE2ELNS1_3repE0EEENS1_30default_config_static_selectorELNS0_4arch9wavefront6targetE1EEEvS12_
                                        ; -- End function
	.section	.AMDGPU.csdata,"",@progbits
; Kernel info:
; codeLenInByte = 0
; NumSgprs: 4
; NumVgprs: 0
; NumAgprs: 0
; TotalNumVgprs: 0
; ScratchSize: 0
; MemoryBound: 0
; FloatMode: 240
; IeeeMode: 1
; LDSByteSize: 0 bytes/workgroup (compile time only)
; SGPRBlocks: 0
; VGPRBlocks: 0
; NumSGPRsForWavesPerEU: 4
; NumVGPRsForWavesPerEU: 1
; AccumOffset: 4
; Occupancy: 8
; WaveLimiterHint : 0
; COMPUTE_PGM_RSRC2:SCRATCH_EN: 0
; COMPUTE_PGM_RSRC2:USER_SGPR: 6
; COMPUTE_PGM_RSRC2:TRAP_HANDLER: 0
; COMPUTE_PGM_RSRC2:TGID_X_EN: 1
; COMPUTE_PGM_RSRC2:TGID_Y_EN: 0
; COMPUTE_PGM_RSRC2:TGID_Z_EN: 0
; COMPUTE_PGM_RSRC2:TIDIG_COMP_CNT: 0
; COMPUTE_PGM_RSRC3_GFX90A:ACCUM_OFFSET: 0
; COMPUTE_PGM_RSRC3_GFX90A:TG_SPLIT: 0
	.section	.text._ZN7rocprim17ROCPRIM_400000_NS6detail17trampoline_kernelINS0_13select_configILj256ELj13ELNS0_17block_load_methodE3ELS4_3ELS4_3ELNS0_20block_scan_algorithmE0ELj4294967295EEENS1_25partition_config_selectorILNS1_17partition_subalgoE4EjNS0_10empty_typeEbEEZZNS1_14partition_implILS8_4ELb0ES6_15HIP_vector_typeIjLj2EENS0_17counting_iteratorIjlEEPS9_SG_NS0_5tupleIJPjSI_NS0_16reverse_iteratorISI_EEEEENSH_IJSG_SG_SG_EEES9_SI_JZNS1_25segmented_radix_sort_implINS0_14default_configELb1EPKfPfPKlPlN2at6native12_GLOBAL__N_18offset_tEEE10hipError_tPvRmT1_PNSt15iterator_traitsIS12_E10value_typeET2_T3_PNS13_IS18_E10value_typeET4_jRbjT5_S1E_jjP12ihipStream_tbEUljE_ZNSN_ISO_Lb1ESQ_SR_ST_SU_SY_EESZ_S10_S11_S12_S16_S17_S18_S1B_S1C_jS1D_jS1E_S1E_jjS1G_bEUljE0_EEESZ_S10_S11_S18_S1C_S1E_T6_T7_T9_mT8_S1G_bDpT10_ENKUlT_T0_E_clISt17integral_constantIbLb1EES1U_EEDaS1P_S1Q_EUlS1P_E_NS1_11comp_targetILNS1_3genE0ELNS1_11target_archE4294967295ELNS1_3gpuE0ELNS1_3repE0EEENS1_30default_config_static_selectorELNS0_4arch9wavefront6targetE1EEEvS12_,"axG",@progbits,_ZN7rocprim17ROCPRIM_400000_NS6detail17trampoline_kernelINS0_13select_configILj256ELj13ELNS0_17block_load_methodE3ELS4_3ELS4_3ELNS0_20block_scan_algorithmE0ELj4294967295EEENS1_25partition_config_selectorILNS1_17partition_subalgoE4EjNS0_10empty_typeEbEEZZNS1_14partition_implILS8_4ELb0ES6_15HIP_vector_typeIjLj2EENS0_17counting_iteratorIjlEEPS9_SG_NS0_5tupleIJPjSI_NS0_16reverse_iteratorISI_EEEEENSH_IJSG_SG_SG_EEES9_SI_JZNS1_25segmented_radix_sort_implINS0_14default_configELb1EPKfPfPKlPlN2at6native12_GLOBAL__N_18offset_tEEE10hipError_tPvRmT1_PNSt15iterator_traitsIS12_E10value_typeET2_T3_PNS13_IS18_E10value_typeET4_jRbjT5_S1E_jjP12ihipStream_tbEUljE_ZNSN_ISO_Lb1ESQ_SR_ST_SU_SY_EESZ_S10_S11_S12_S16_S17_S18_S1B_S1C_jS1D_jS1E_S1E_jjS1G_bEUljE0_EEESZ_S10_S11_S18_S1C_S1E_T6_T7_T9_mT8_S1G_bDpT10_ENKUlT_T0_E_clISt17integral_constantIbLb1EES1U_EEDaS1P_S1Q_EUlS1P_E_NS1_11comp_targetILNS1_3genE0ELNS1_11target_archE4294967295ELNS1_3gpuE0ELNS1_3repE0EEENS1_30default_config_static_selectorELNS0_4arch9wavefront6targetE1EEEvS12_,comdat
	.globl	_ZN7rocprim17ROCPRIM_400000_NS6detail17trampoline_kernelINS0_13select_configILj256ELj13ELNS0_17block_load_methodE3ELS4_3ELS4_3ELNS0_20block_scan_algorithmE0ELj4294967295EEENS1_25partition_config_selectorILNS1_17partition_subalgoE4EjNS0_10empty_typeEbEEZZNS1_14partition_implILS8_4ELb0ES6_15HIP_vector_typeIjLj2EENS0_17counting_iteratorIjlEEPS9_SG_NS0_5tupleIJPjSI_NS0_16reverse_iteratorISI_EEEEENSH_IJSG_SG_SG_EEES9_SI_JZNS1_25segmented_radix_sort_implINS0_14default_configELb1EPKfPfPKlPlN2at6native12_GLOBAL__N_18offset_tEEE10hipError_tPvRmT1_PNSt15iterator_traitsIS12_E10value_typeET2_T3_PNS13_IS18_E10value_typeET4_jRbjT5_S1E_jjP12ihipStream_tbEUljE_ZNSN_ISO_Lb1ESQ_SR_ST_SU_SY_EESZ_S10_S11_S12_S16_S17_S18_S1B_S1C_jS1D_jS1E_S1E_jjS1G_bEUljE0_EEESZ_S10_S11_S18_S1C_S1E_T6_T7_T9_mT8_S1G_bDpT10_ENKUlT_T0_E_clISt17integral_constantIbLb1EES1U_EEDaS1P_S1Q_EUlS1P_E_NS1_11comp_targetILNS1_3genE0ELNS1_11target_archE4294967295ELNS1_3gpuE0ELNS1_3repE0EEENS1_30default_config_static_selectorELNS0_4arch9wavefront6targetE1EEEvS12_ ; -- Begin function _ZN7rocprim17ROCPRIM_400000_NS6detail17trampoline_kernelINS0_13select_configILj256ELj13ELNS0_17block_load_methodE3ELS4_3ELS4_3ELNS0_20block_scan_algorithmE0ELj4294967295EEENS1_25partition_config_selectorILNS1_17partition_subalgoE4EjNS0_10empty_typeEbEEZZNS1_14partition_implILS8_4ELb0ES6_15HIP_vector_typeIjLj2EENS0_17counting_iteratorIjlEEPS9_SG_NS0_5tupleIJPjSI_NS0_16reverse_iteratorISI_EEEEENSH_IJSG_SG_SG_EEES9_SI_JZNS1_25segmented_radix_sort_implINS0_14default_configELb1EPKfPfPKlPlN2at6native12_GLOBAL__N_18offset_tEEE10hipError_tPvRmT1_PNSt15iterator_traitsIS12_E10value_typeET2_T3_PNS13_IS18_E10value_typeET4_jRbjT5_S1E_jjP12ihipStream_tbEUljE_ZNSN_ISO_Lb1ESQ_SR_ST_SU_SY_EESZ_S10_S11_S12_S16_S17_S18_S1B_S1C_jS1D_jS1E_S1E_jjS1G_bEUljE0_EEESZ_S10_S11_S18_S1C_S1E_T6_T7_T9_mT8_S1G_bDpT10_ENKUlT_T0_E_clISt17integral_constantIbLb1EES1U_EEDaS1P_S1Q_EUlS1P_E_NS1_11comp_targetILNS1_3genE0ELNS1_11target_archE4294967295ELNS1_3gpuE0ELNS1_3repE0EEENS1_30default_config_static_selectorELNS0_4arch9wavefront6targetE1EEEvS12_
	.p2align	8
	.type	_ZN7rocprim17ROCPRIM_400000_NS6detail17trampoline_kernelINS0_13select_configILj256ELj13ELNS0_17block_load_methodE3ELS4_3ELS4_3ELNS0_20block_scan_algorithmE0ELj4294967295EEENS1_25partition_config_selectorILNS1_17partition_subalgoE4EjNS0_10empty_typeEbEEZZNS1_14partition_implILS8_4ELb0ES6_15HIP_vector_typeIjLj2EENS0_17counting_iteratorIjlEEPS9_SG_NS0_5tupleIJPjSI_NS0_16reverse_iteratorISI_EEEEENSH_IJSG_SG_SG_EEES9_SI_JZNS1_25segmented_radix_sort_implINS0_14default_configELb1EPKfPfPKlPlN2at6native12_GLOBAL__N_18offset_tEEE10hipError_tPvRmT1_PNSt15iterator_traitsIS12_E10value_typeET2_T3_PNS13_IS18_E10value_typeET4_jRbjT5_S1E_jjP12ihipStream_tbEUljE_ZNSN_ISO_Lb1ESQ_SR_ST_SU_SY_EESZ_S10_S11_S12_S16_S17_S18_S1B_S1C_jS1D_jS1E_S1E_jjS1G_bEUljE0_EEESZ_S10_S11_S18_S1C_S1E_T6_T7_T9_mT8_S1G_bDpT10_ENKUlT_T0_E_clISt17integral_constantIbLb1EES1U_EEDaS1P_S1Q_EUlS1P_E_NS1_11comp_targetILNS1_3genE0ELNS1_11target_archE4294967295ELNS1_3gpuE0ELNS1_3repE0EEENS1_30default_config_static_selectorELNS0_4arch9wavefront6targetE1EEEvS12_,@function
_ZN7rocprim17ROCPRIM_400000_NS6detail17trampoline_kernelINS0_13select_configILj256ELj13ELNS0_17block_load_methodE3ELS4_3ELS4_3ELNS0_20block_scan_algorithmE0ELj4294967295EEENS1_25partition_config_selectorILNS1_17partition_subalgoE4EjNS0_10empty_typeEbEEZZNS1_14partition_implILS8_4ELb0ES6_15HIP_vector_typeIjLj2EENS0_17counting_iteratorIjlEEPS9_SG_NS0_5tupleIJPjSI_NS0_16reverse_iteratorISI_EEEEENSH_IJSG_SG_SG_EEES9_SI_JZNS1_25segmented_radix_sort_implINS0_14default_configELb1EPKfPfPKlPlN2at6native12_GLOBAL__N_18offset_tEEE10hipError_tPvRmT1_PNSt15iterator_traitsIS12_E10value_typeET2_T3_PNS13_IS18_E10value_typeET4_jRbjT5_S1E_jjP12ihipStream_tbEUljE_ZNSN_ISO_Lb1ESQ_SR_ST_SU_SY_EESZ_S10_S11_S12_S16_S17_S18_S1B_S1C_jS1D_jS1E_S1E_jjS1G_bEUljE0_EEESZ_S10_S11_S18_S1C_S1E_T6_T7_T9_mT8_S1G_bDpT10_ENKUlT_T0_E_clISt17integral_constantIbLb1EES1U_EEDaS1P_S1Q_EUlS1P_E_NS1_11comp_targetILNS1_3genE0ELNS1_11target_archE4294967295ELNS1_3gpuE0ELNS1_3repE0EEENS1_30default_config_static_selectorELNS0_4arch9wavefront6targetE1EEEvS12_: ; @_ZN7rocprim17ROCPRIM_400000_NS6detail17trampoline_kernelINS0_13select_configILj256ELj13ELNS0_17block_load_methodE3ELS4_3ELS4_3ELNS0_20block_scan_algorithmE0ELj4294967295EEENS1_25partition_config_selectorILNS1_17partition_subalgoE4EjNS0_10empty_typeEbEEZZNS1_14partition_implILS8_4ELb0ES6_15HIP_vector_typeIjLj2EENS0_17counting_iteratorIjlEEPS9_SG_NS0_5tupleIJPjSI_NS0_16reverse_iteratorISI_EEEEENSH_IJSG_SG_SG_EEES9_SI_JZNS1_25segmented_radix_sort_implINS0_14default_configELb1EPKfPfPKlPlN2at6native12_GLOBAL__N_18offset_tEEE10hipError_tPvRmT1_PNSt15iterator_traitsIS12_E10value_typeET2_T3_PNS13_IS18_E10value_typeET4_jRbjT5_S1E_jjP12ihipStream_tbEUljE_ZNSN_ISO_Lb1ESQ_SR_ST_SU_SY_EESZ_S10_S11_S12_S16_S17_S18_S1B_S1C_jS1D_jS1E_S1E_jjS1G_bEUljE0_EEESZ_S10_S11_S18_S1C_S1E_T6_T7_T9_mT8_S1G_bDpT10_ENKUlT_T0_E_clISt17integral_constantIbLb1EES1U_EEDaS1P_S1Q_EUlS1P_E_NS1_11comp_targetILNS1_3genE0ELNS1_11target_archE4294967295ELNS1_3gpuE0ELNS1_3repE0EEENS1_30default_config_static_selectorELNS0_4arch9wavefront6targetE1EEEvS12_
; %bb.0:
	.section	.rodata,"a",@progbits
	.p2align	6, 0x0
	.amdhsa_kernel _ZN7rocprim17ROCPRIM_400000_NS6detail17trampoline_kernelINS0_13select_configILj256ELj13ELNS0_17block_load_methodE3ELS4_3ELS4_3ELNS0_20block_scan_algorithmE0ELj4294967295EEENS1_25partition_config_selectorILNS1_17partition_subalgoE4EjNS0_10empty_typeEbEEZZNS1_14partition_implILS8_4ELb0ES6_15HIP_vector_typeIjLj2EENS0_17counting_iteratorIjlEEPS9_SG_NS0_5tupleIJPjSI_NS0_16reverse_iteratorISI_EEEEENSH_IJSG_SG_SG_EEES9_SI_JZNS1_25segmented_radix_sort_implINS0_14default_configELb1EPKfPfPKlPlN2at6native12_GLOBAL__N_18offset_tEEE10hipError_tPvRmT1_PNSt15iterator_traitsIS12_E10value_typeET2_T3_PNS13_IS18_E10value_typeET4_jRbjT5_S1E_jjP12ihipStream_tbEUljE_ZNSN_ISO_Lb1ESQ_SR_ST_SU_SY_EESZ_S10_S11_S12_S16_S17_S18_S1B_S1C_jS1D_jS1E_S1E_jjS1G_bEUljE0_EEESZ_S10_S11_S18_S1C_S1E_T6_T7_T9_mT8_S1G_bDpT10_ENKUlT_T0_E_clISt17integral_constantIbLb1EES1U_EEDaS1P_S1Q_EUlS1P_E_NS1_11comp_targetILNS1_3genE0ELNS1_11target_archE4294967295ELNS1_3gpuE0ELNS1_3repE0EEENS1_30default_config_static_selectorELNS0_4arch9wavefront6targetE1EEEvS12_
		.amdhsa_group_segment_fixed_size 0
		.amdhsa_private_segment_fixed_size 0
		.amdhsa_kernarg_size 184
		.amdhsa_user_sgpr_count 6
		.amdhsa_user_sgpr_private_segment_buffer 1
		.amdhsa_user_sgpr_dispatch_ptr 0
		.amdhsa_user_sgpr_queue_ptr 0
		.amdhsa_user_sgpr_kernarg_segment_ptr 1
		.amdhsa_user_sgpr_dispatch_id 0
		.amdhsa_user_sgpr_flat_scratch_init 0
		.amdhsa_user_sgpr_kernarg_preload_length 0
		.amdhsa_user_sgpr_kernarg_preload_offset 0
		.amdhsa_user_sgpr_private_segment_size 0
		.amdhsa_uses_dynamic_stack 0
		.amdhsa_system_sgpr_private_segment_wavefront_offset 0
		.amdhsa_system_sgpr_workgroup_id_x 1
		.amdhsa_system_sgpr_workgroup_id_y 0
		.amdhsa_system_sgpr_workgroup_id_z 0
		.amdhsa_system_sgpr_workgroup_info 0
		.amdhsa_system_vgpr_workitem_id 0
		.amdhsa_next_free_vgpr 1
		.amdhsa_next_free_sgpr 0
		.amdhsa_accum_offset 4
		.amdhsa_reserve_vcc 0
		.amdhsa_reserve_flat_scratch 0
		.amdhsa_float_round_mode_32 0
		.amdhsa_float_round_mode_16_64 0
		.amdhsa_float_denorm_mode_32 3
		.amdhsa_float_denorm_mode_16_64 3
		.amdhsa_dx10_clamp 1
		.amdhsa_ieee_mode 1
		.amdhsa_fp16_overflow 0
		.amdhsa_tg_split 0
		.amdhsa_exception_fp_ieee_invalid_op 0
		.amdhsa_exception_fp_denorm_src 0
		.amdhsa_exception_fp_ieee_div_zero 0
		.amdhsa_exception_fp_ieee_overflow 0
		.amdhsa_exception_fp_ieee_underflow 0
		.amdhsa_exception_fp_ieee_inexact 0
		.amdhsa_exception_int_div_zero 0
	.end_amdhsa_kernel
	.section	.text._ZN7rocprim17ROCPRIM_400000_NS6detail17trampoline_kernelINS0_13select_configILj256ELj13ELNS0_17block_load_methodE3ELS4_3ELS4_3ELNS0_20block_scan_algorithmE0ELj4294967295EEENS1_25partition_config_selectorILNS1_17partition_subalgoE4EjNS0_10empty_typeEbEEZZNS1_14partition_implILS8_4ELb0ES6_15HIP_vector_typeIjLj2EENS0_17counting_iteratorIjlEEPS9_SG_NS0_5tupleIJPjSI_NS0_16reverse_iteratorISI_EEEEENSH_IJSG_SG_SG_EEES9_SI_JZNS1_25segmented_radix_sort_implINS0_14default_configELb1EPKfPfPKlPlN2at6native12_GLOBAL__N_18offset_tEEE10hipError_tPvRmT1_PNSt15iterator_traitsIS12_E10value_typeET2_T3_PNS13_IS18_E10value_typeET4_jRbjT5_S1E_jjP12ihipStream_tbEUljE_ZNSN_ISO_Lb1ESQ_SR_ST_SU_SY_EESZ_S10_S11_S12_S16_S17_S18_S1B_S1C_jS1D_jS1E_S1E_jjS1G_bEUljE0_EEESZ_S10_S11_S18_S1C_S1E_T6_T7_T9_mT8_S1G_bDpT10_ENKUlT_T0_E_clISt17integral_constantIbLb1EES1U_EEDaS1P_S1Q_EUlS1P_E_NS1_11comp_targetILNS1_3genE0ELNS1_11target_archE4294967295ELNS1_3gpuE0ELNS1_3repE0EEENS1_30default_config_static_selectorELNS0_4arch9wavefront6targetE1EEEvS12_,"axG",@progbits,_ZN7rocprim17ROCPRIM_400000_NS6detail17trampoline_kernelINS0_13select_configILj256ELj13ELNS0_17block_load_methodE3ELS4_3ELS4_3ELNS0_20block_scan_algorithmE0ELj4294967295EEENS1_25partition_config_selectorILNS1_17partition_subalgoE4EjNS0_10empty_typeEbEEZZNS1_14partition_implILS8_4ELb0ES6_15HIP_vector_typeIjLj2EENS0_17counting_iteratorIjlEEPS9_SG_NS0_5tupleIJPjSI_NS0_16reverse_iteratorISI_EEEEENSH_IJSG_SG_SG_EEES9_SI_JZNS1_25segmented_radix_sort_implINS0_14default_configELb1EPKfPfPKlPlN2at6native12_GLOBAL__N_18offset_tEEE10hipError_tPvRmT1_PNSt15iterator_traitsIS12_E10value_typeET2_T3_PNS13_IS18_E10value_typeET4_jRbjT5_S1E_jjP12ihipStream_tbEUljE_ZNSN_ISO_Lb1ESQ_SR_ST_SU_SY_EESZ_S10_S11_S12_S16_S17_S18_S1B_S1C_jS1D_jS1E_S1E_jjS1G_bEUljE0_EEESZ_S10_S11_S18_S1C_S1E_T6_T7_T9_mT8_S1G_bDpT10_ENKUlT_T0_E_clISt17integral_constantIbLb1EES1U_EEDaS1P_S1Q_EUlS1P_E_NS1_11comp_targetILNS1_3genE0ELNS1_11target_archE4294967295ELNS1_3gpuE0ELNS1_3repE0EEENS1_30default_config_static_selectorELNS0_4arch9wavefront6targetE1EEEvS12_,comdat
.Lfunc_end1267:
	.size	_ZN7rocprim17ROCPRIM_400000_NS6detail17trampoline_kernelINS0_13select_configILj256ELj13ELNS0_17block_load_methodE3ELS4_3ELS4_3ELNS0_20block_scan_algorithmE0ELj4294967295EEENS1_25partition_config_selectorILNS1_17partition_subalgoE4EjNS0_10empty_typeEbEEZZNS1_14partition_implILS8_4ELb0ES6_15HIP_vector_typeIjLj2EENS0_17counting_iteratorIjlEEPS9_SG_NS0_5tupleIJPjSI_NS0_16reverse_iteratorISI_EEEEENSH_IJSG_SG_SG_EEES9_SI_JZNS1_25segmented_radix_sort_implINS0_14default_configELb1EPKfPfPKlPlN2at6native12_GLOBAL__N_18offset_tEEE10hipError_tPvRmT1_PNSt15iterator_traitsIS12_E10value_typeET2_T3_PNS13_IS18_E10value_typeET4_jRbjT5_S1E_jjP12ihipStream_tbEUljE_ZNSN_ISO_Lb1ESQ_SR_ST_SU_SY_EESZ_S10_S11_S12_S16_S17_S18_S1B_S1C_jS1D_jS1E_S1E_jjS1G_bEUljE0_EEESZ_S10_S11_S18_S1C_S1E_T6_T7_T9_mT8_S1G_bDpT10_ENKUlT_T0_E_clISt17integral_constantIbLb1EES1U_EEDaS1P_S1Q_EUlS1P_E_NS1_11comp_targetILNS1_3genE0ELNS1_11target_archE4294967295ELNS1_3gpuE0ELNS1_3repE0EEENS1_30default_config_static_selectorELNS0_4arch9wavefront6targetE1EEEvS12_, .Lfunc_end1267-_ZN7rocprim17ROCPRIM_400000_NS6detail17trampoline_kernelINS0_13select_configILj256ELj13ELNS0_17block_load_methodE3ELS4_3ELS4_3ELNS0_20block_scan_algorithmE0ELj4294967295EEENS1_25partition_config_selectorILNS1_17partition_subalgoE4EjNS0_10empty_typeEbEEZZNS1_14partition_implILS8_4ELb0ES6_15HIP_vector_typeIjLj2EENS0_17counting_iteratorIjlEEPS9_SG_NS0_5tupleIJPjSI_NS0_16reverse_iteratorISI_EEEEENSH_IJSG_SG_SG_EEES9_SI_JZNS1_25segmented_radix_sort_implINS0_14default_configELb1EPKfPfPKlPlN2at6native12_GLOBAL__N_18offset_tEEE10hipError_tPvRmT1_PNSt15iterator_traitsIS12_E10value_typeET2_T3_PNS13_IS18_E10value_typeET4_jRbjT5_S1E_jjP12ihipStream_tbEUljE_ZNSN_ISO_Lb1ESQ_SR_ST_SU_SY_EESZ_S10_S11_S12_S16_S17_S18_S1B_S1C_jS1D_jS1E_S1E_jjS1G_bEUljE0_EEESZ_S10_S11_S18_S1C_S1E_T6_T7_T9_mT8_S1G_bDpT10_ENKUlT_T0_E_clISt17integral_constantIbLb1EES1U_EEDaS1P_S1Q_EUlS1P_E_NS1_11comp_targetILNS1_3genE0ELNS1_11target_archE4294967295ELNS1_3gpuE0ELNS1_3repE0EEENS1_30default_config_static_selectorELNS0_4arch9wavefront6targetE1EEEvS12_
                                        ; -- End function
	.section	.AMDGPU.csdata,"",@progbits
; Kernel info:
; codeLenInByte = 0
; NumSgprs: 4
; NumVgprs: 0
; NumAgprs: 0
; TotalNumVgprs: 0
; ScratchSize: 0
; MemoryBound: 0
; FloatMode: 240
; IeeeMode: 1
; LDSByteSize: 0 bytes/workgroup (compile time only)
; SGPRBlocks: 0
; VGPRBlocks: 0
; NumSGPRsForWavesPerEU: 4
; NumVGPRsForWavesPerEU: 1
; AccumOffset: 4
; Occupancy: 8
; WaveLimiterHint : 0
; COMPUTE_PGM_RSRC2:SCRATCH_EN: 0
; COMPUTE_PGM_RSRC2:USER_SGPR: 6
; COMPUTE_PGM_RSRC2:TRAP_HANDLER: 0
; COMPUTE_PGM_RSRC2:TGID_X_EN: 1
; COMPUTE_PGM_RSRC2:TGID_Y_EN: 0
; COMPUTE_PGM_RSRC2:TGID_Z_EN: 0
; COMPUTE_PGM_RSRC2:TIDIG_COMP_CNT: 0
; COMPUTE_PGM_RSRC3_GFX90A:ACCUM_OFFSET: 0
; COMPUTE_PGM_RSRC3_GFX90A:TG_SPLIT: 0
	.section	.text._ZN7rocprim17ROCPRIM_400000_NS6detail17trampoline_kernelINS0_13select_configILj256ELj13ELNS0_17block_load_methodE3ELS4_3ELS4_3ELNS0_20block_scan_algorithmE0ELj4294967295EEENS1_25partition_config_selectorILNS1_17partition_subalgoE4EjNS0_10empty_typeEbEEZZNS1_14partition_implILS8_4ELb0ES6_15HIP_vector_typeIjLj2EENS0_17counting_iteratorIjlEEPS9_SG_NS0_5tupleIJPjSI_NS0_16reverse_iteratorISI_EEEEENSH_IJSG_SG_SG_EEES9_SI_JZNS1_25segmented_radix_sort_implINS0_14default_configELb1EPKfPfPKlPlN2at6native12_GLOBAL__N_18offset_tEEE10hipError_tPvRmT1_PNSt15iterator_traitsIS12_E10value_typeET2_T3_PNS13_IS18_E10value_typeET4_jRbjT5_S1E_jjP12ihipStream_tbEUljE_ZNSN_ISO_Lb1ESQ_SR_ST_SU_SY_EESZ_S10_S11_S12_S16_S17_S18_S1B_S1C_jS1D_jS1E_S1E_jjS1G_bEUljE0_EEESZ_S10_S11_S18_S1C_S1E_T6_T7_T9_mT8_S1G_bDpT10_ENKUlT_T0_E_clISt17integral_constantIbLb1EES1U_EEDaS1P_S1Q_EUlS1P_E_NS1_11comp_targetILNS1_3genE5ELNS1_11target_archE942ELNS1_3gpuE9ELNS1_3repE0EEENS1_30default_config_static_selectorELNS0_4arch9wavefront6targetE1EEEvS12_,"axG",@progbits,_ZN7rocprim17ROCPRIM_400000_NS6detail17trampoline_kernelINS0_13select_configILj256ELj13ELNS0_17block_load_methodE3ELS4_3ELS4_3ELNS0_20block_scan_algorithmE0ELj4294967295EEENS1_25partition_config_selectorILNS1_17partition_subalgoE4EjNS0_10empty_typeEbEEZZNS1_14partition_implILS8_4ELb0ES6_15HIP_vector_typeIjLj2EENS0_17counting_iteratorIjlEEPS9_SG_NS0_5tupleIJPjSI_NS0_16reverse_iteratorISI_EEEEENSH_IJSG_SG_SG_EEES9_SI_JZNS1_25segmented_radix_sort_implINS0_14default_configELb1EPKfPfPKlPlN2at6native12_GLOBAL__N_18offset_tEEE10hipError_tPvRmT1_PNSt15iterator_traitsIS12_E10value_typeET2_T3_PNS13_IS18_E10value_typeET4_jRbjT5_S1E_jjP12ihipStream_tbEUljE_ZNSN_ISO_Lb1ESQ_SR_ST_SU_SY_EESZ_S10_S11_S12_S16_S17_S18_S1B_S1C_jS1D_jS1E_S1E_jjS1G_bEUljE0_EEESZ_S10_S11_S18_S1C_S1E_T6_T7_T9_mT8_S1G_bDpT10_ENKUlT_T0_E_clISt17integral_constantIbLb1EES1U_EEDaS1P_S1Q_EUlS1P_E_NS1_11comp_targetILNS1_3genE5ELNS1_11target_archE942ELNS1_3gpuE9ELNS1_3repE0EEENS1_30default_config_static_selectorELNS0_4arch9wavefront6targetE1EEEvS12_,comdat
	.globl	_ZN7rocprim17ROCPRIM_400000_NS6detail17trampoline_kernelINS0_13select_configILj256ELj13ELNS0_17block_load_methodE3ELS4_3ELS4_3ELNS0_20block_scan_algorithmE0ELj4294967295EEENS1_25partition_config_selectorILNS1_17partition_subalgoE4EjNS0_10empty_typeEbEEZZNS1_14partition_implILS8_4ELb0ES6_15HIP_vector_typeIjLj2EENS0_17counting_iteratorIjlEEPS9_SG_NS0_5tupleIJPjSI_NS0_16reverse_iteratorISI_EEEEENSH_IJSG_SG_SG_EEES9_SI_JZNS1_25segmented_radix_sort_implINS0_14default_configELb1EPKfPfPKlPlN2at6native12_GLOBAL__N_18offset_tEEE10hipError_tPvRmT1_PNSt15iterator_traitsIS12_E10value_typeET2_T3_PNS13_IS18_E10value_typeET4_jRbjT5_S1E_jjP12ihipStream_tbEUljE_ZNSN_ISO_Lb1ESQ_SR_ST_SU_SY_EESZ_S10_S11_S12_S16_S17_S18_S1B_S1C_jS1D_jS1E_S1E_jjS1G_bEUljE0_EEESZ_S10_S11_S18_S1C_S1E_T6_T7_T9_mT8_S1G_bDpT10_ENKUlT_T0_E_clISt17integral_constantIbLb1EES1U_EEDaS1P_S1Q_EUlS1P_E_NS1_11comp_targetILNS1_3genE5ELNS1_11target_archE942ELNS1_3gpuE9ELNS1_3repE0EEENS1_30default_config_static_selectorELNS0_4arch9wavefront6targetE1EEEvS12_ ; -- Begin function _ZN7rocprim17ROCPRIM_400000_NS6detail17trampoline_kernelINS0_13select_configILj256ELj13ELNS0_17block_load_methodE3ELS4_3ELS4_3ELNS0_20block_scan_algorithmE0ELj4294967295EEENS1_25partition_config_selectorILNS1_17partition_subalgoE4EjNS0_10empty_typeEbEEZZNS1_14partition_implILS8_4ELb0ES6_15HIP_vector_typeIjLj2EENS0_17counting_iteratorIjlEEPS9_SG_NS0_5tupleIJPjSI_NS0_16reverse_iteratorISI_EEEEENSH_IJSG_SG_SG_EEES9_SI_JZNS1_25segmented_radix_sort_implINS0_14default_configELb1EPKfPfPKlPlN2at6native12_GLOBAL__N_18offset_tEEE10hipError_tPvRmT1_PNSt15iterator_traitsIS12_E10value_typeET2_T3_PNS13_IS18_E10value_typeET4_jRbjT5_S1E_jjP12ihipStream_tbEUljE_ZNSN_ISO_Lb1ESQ_SR_ST_SU_SY_EESZ_S10_S11_S12_S16_S17_S18_S1B_S1C_jS1D_jS1E_S1E_jjS1G_bEUljE0_EEESZ_S10_S11_S18_S1C_S1E_T6_T7_T9_mT8_S1G_bDpT10_ENKUlT_T0_E_clISt17integral_constantIbLb1EES1U_EEDaS1P_S1Q_EUlS1P_E_NS1_11comp_targetILNS1_3genE5ELNS1_11target_archE942ELNS1_3gpuE9ELNS1_3repE0EEENS1_30default_config_static_selectorELNS0_4arch9wavefront6targetE1EEEvS12_
	.p2align	8
	.type	_ZN7rocprim17ROCPRIM_400000_NS6detail17trampoline_kernelINS0_13select_configILj256ELj13ELNS0_17block_load_methodE3ELS4_3ELS4_3ELNS0_20block_scan_algorithmE0ELj4294967295EEENS1_25partition_config_selectorILNS1_17partition_subalgoE4EjNS0_10empty_typeEbEEZZNS1_14partition_implILS8_4ELb0ES6_15HIP_vector_typeIjLj2EENS0_17counting_iteratorIjlEEPS9_SG_NS0_5tupleIJPjSI_NS0_16reverse_iteratorISI_EEEEENSH_IJSG_SG_SG_EEES9_SI_JZNS1_25segmented_radix_sort_implINS0_14default_configELb1EPKfPfPKlPlN2at6native12_GLOBAL__N_18offset_tEEE10hipError_tPvRmT1_PNSt15iterator_traitsIS12_E10value_typeET2_T3_PNS13_IS18_E10value_typeET4_jRbjT5_S1E_jjP12ihipStream_tbEUljE_ZNSN_ISO_Lb1ESQ_SR_ST_SU_SY_EESZ_S10_S11_S12_S16_S17_S18_S1B_S1C_jS1D_jS1E_S1E_jjS1G_bEUljE0_EEESZ_S10_S11_S18_S1C_S1E_T6_T7_T9_mT8_S1G_bDpT10_ENKUlT_T0_E_clISt17integral_constantIbLb1EES1U_EEDaS1P_S1Q_EUlS1P_E_NS1_11comp_targetILNS1_3genE5ELNS1_11target_archE942ELNS1_3gpuE9ELNS1_3repE0EEENS1_30default_config_static_selectorELNS0_4arch9wavefront6targetE1EEEvS12_,@function
_ZN7rocprim17ROCPRIM_400000_NS6detail17trampoline_kernelINS0_13select_configILj256ELj13ELNS0_17block_load_methodE3ELS4_3ELS4_3ELNS0_20block_scan_algorithmE0ELj4294967295EEENS1_25partition_config_selectorILNS1_17partition_subalgoE4EjNS0_10empty_typeEbEEZZNS1_14partition_implILS8_4ELb0ES6_15HIP_vector_typeIjLj2EENS0_17counting_iteratorIjlEEPS9_SG_NS0_5tupleIJPjSI_NS0_16reverse_iteratorISI_EEEEENSH_IJSG_SG_SG_EEES9_SI_JZNS1_25segmented_radix_sort_implINS0_14default_configELb1EPKfPfPKlPlN2at6native12_GLOBAL__N_18offset_tEEE10hipError_tPvRmT1_PNSt15iterator_traitsIS12_E10value_typeET2_T3_PNS13_IS18_E10value_typeET4_jRbjT5_S1E_jjP12ihipStream_tbEUljE_ZNSN_ISO_Lb1ESQ_SR_ST_SU_SY_EESZ_S10_S11_S12_S16_S17_S18_S1B_S1C_jS1D_jS1E_S1E_jjS1G_bEUljE0_EEESZ_S10_S11_S18_S1C_S1E_T6_T7_T9_mT8_S1G_bDpT10_ENKUlT_T0_E_clISt17integral_constantIbLb1EES1U_EEDaS1P_S1Q_EUlS1P_E_NS1_11comp_targetILNS1_3genE5ELNS1_11target_archE942ELNS1_3gpuE9ELNS1_3repE0EEENS1_30default_config_static_selectorELNS0_4arch9wavefront6targetE1EEEvS12_: ; @_ZN7rocprim17ROCPRIM_400000_NS6detail17trampoline_kernelINS0_13select_configILj256ELj13ELNS0_17block_load_methodE3ELS4_3ELS4_3ELNS0_20block_scan_algorithmE0ELj4294967295EEENS1_25partition_config_selectorILNS1_17partition_subalgoE4EjNS0_10empty_typeEbEEZZNS1_14partition_implILS8_4ELb0ES6_15HIP_vector_typeIjLj2EENS0_17counting_iteratorIjlEEPS9_SG_NS0_5tupleIJPjSI_NS0_16reverse_iteratorISI_EEEEENSH_IJSG_SG_SG_EEES9_SI_JZNS1_25segmented_radix_sort_implINS0_14default_configELb1EPKfPfPKlPlN2at6native12_GLOBAL__N_18offset_tEEE10hipError_tPvRmT1_PNSt15iterator_traitsIS12_E10value_typeET2_T3_PNS13_IS18_E10value_typeET4_jRbjT5_S1E_jjP12ihipStream_tbEUljE_ZNSN_ISO_Lb1ESQ_SR_ST_SU_SY_EESZ_S10_S11_S12_S16_S17_S18_S1B_S1C_jS1D_jS1E_S1E_jjS1G_bEUljE0_EEESZ_S10_S11_S18_S1C_S1E_T6_T7_T9_mT8_S1G_bDpT10_ENKUlT_T0_E_clISt17integral_constantIbLb1EES1U_EEDaS1P_S1Q_EUlS1P_E_NS1_11comp_targetILNS1_3genE5ELNS1_11target_archE942ELNS1_3gpuE9ELNS1_3repE0EEENS1_30default_config_static_selectorELNS0_4arch9wavefront6targetE1EEEvS12_
; %bb.0:
	.section	.rodata,"a",@progbits
	.p2align	6, 0x0
	.amdhsa_kernel _ZN7rocprim17ROCPRIM_400000_NS6detail17trampoline_kernelINS0_13select_configILj256ELj13ELNS0_17block_load_methodE3ELS4_3ELS4_3ELNS0_20block_scan_algorithmE0ELj4294967295EEENS1_25partition_config_selectorILNS1_17partition_subalgoE4EjNS0_10empty_typeEbEEZZNS1_14partition_implILS8_4ELb0ES6_15HIP_vector_typeIjLj2EENS0_17counting_iteratorIjlEEPS9_SG_NS0_5tupleIJPjSI_NS0_16reverse_iteratorISI_EEEEENSH_IJSG_SG_SG_EEES9_SI_JZNS1_25segmented_radix_sort_implINS0_14default_configELb1EPKfPfPKlPlN2at6native12_GLOBAL__N_18offset_tEEE10hipError_tPvRmT1_PNSt15iterator_traitsIS12_E10value_typeET2_T3_PNS13_IS18_E10value_typeET4_jRbjT5_S1E_jjP12ihipStream_tbEUljE_ZNSN_ISO_Lb1ESQ_SR_ST_SU_SY_EESZ_S10_S11_S12_S16_S17_S18_S1B_S1C_jS1D_jS1E_S1E_jjS1G_bEUljE0_EEESZ_S10_S11_S18_S1C_S1E_T6_T7_T9_mT8_S1G_bDpT10_ENKUlT_T0_E_clISt17integral_constantIbLb1EES1U_EEDaS1P_S1Q_EUlS1P_E_NS1_11comp_targetILNS1_3genE5ELNS1_11target_archE942ELNS1_3gpuE9ELNS1_3repE0EEENS1_30default_config_static_selectorELNS0_4arch9wavefront6targetE1EEEvS12_
		.amdhsa_group_segment_fixed_size 0
		.amdhsa_private_segment_fixed_size 0
		.amdhsa_kernarg_size 184
		.amdhsa_user_sgpr_count 6
		.amdhsa_user_sgpr_private_segment_buffer 1
		.amdhsa_user_sgpr_dispatch_ptr 0
		.amdhsa_user_sgpr_queue_ptr 0
		.amdhsa_user_sgpr_kernarg_segment_ptr 1
		.amdhsa_user_sgpr_dispatch_id 0
		.amdhsa_user_sgpr_flat_scratch_init 0
		.amdhsa_user_sgpr_kernarg_preload_length 0
		.amdhsa_user_sgpr_kernarg_preload_offset 0
		.amdhsa_user_sgpr_private_segment_size 0
		.amdhsa_uses_dynamic_stack 0
		.amdhsa_system_sgpr_private_segment_wavefront_offset 0
		.amdhsa_system_sgpr_workgroup_id_x 1
		.amdhsa_system_sgpr_workgroup_id_y 0
		.amdhsa_system_sgpr_workgroup_id_z 0
		.amdhsa_system_sgpr_workgroup_info 0
		.amdhsa_system_vgpr_workitem_id 0
		.amdhsa_next_free_vgpr 1
		.amdhsa_next_free_sgpr 0
		.amdhsa_accum_offset 4
		.amdhsa_reserve_vcc 0
		.amdhsa_reserve_flat_scratch 0
		.amdhsa_float_round_mode_32 0
		.amdhsa_float_round_mode_16_64 0
		.amdhsa_float_denorm_mode_32 3
		.amdhsa_float_denorm_mode_16_64 3
		.amdhsa_dx10_clamp 1
		.amdhsa_ieee_mode 1
		.amdhsa_fp16_overflow 0
		.amdhsa_tg_split 0
		.amdhsa_exception_fp_ieee_invalid_op 0
		.amdhsa_exception_fp_denorm_src 0
		.amdhsa_exception_fp_ieee_div_zero 0
		.amdhsa_exception_fp_ieee_overflow 0
		.amdhsa_exception_fp_ieee_underflow 0
		.amdhsa_exception_fp_ieee_inexact 0
		.amdhsa_exception_int_div_zero 0
	.end_amdhsa_kernel
	.section	.text._ZN7rocprim17ROCPRIM_400000_NS6detail17trampoline_kernelINS0_13select_configILj256ELj13ELNS0_17block_load_methodE3ELS4_3ELS4_3ELNS0_20block_scan_algorithmE0ELj4294967295EEENS1_25partition_config_selectorILNS1_17partition_subalgoE4EjNS0_10empty_typeEbEEZZNS1_14partition_implILS8_4ELb0ES6_15HIP_vector_typeIjLj2EENS0_17counting_iteratorIjlEEPS9_SG_NS0_5tupleIJPjSI_NS0_16reverse_iteratorISI_EEEEENSH_IJSG_SG_SG_EEES9_SI_JZNS1_25segmented_radix_sort_implINS0_14default_configELb1EPKfPfPKlPlN2at6native12_GLOBAL__N_18offset_tEEE10hipError_tPvRmT1_PNSt15iterator_traitsIS12_E10value_typeET2_T3_PNS13_IS18_E10value_typeET4_jRbjT5_S1E_jjP12ihipStream_tbEUljE_ZNSN_ISO_Lb1ESQ_SR_ST_SU_SY_EESZ_S10_S11_S12_S16_S17_S18_S1B_S1C_jS1D_jS1E_S1E_jjS1G_bEUljE0_EEESZ_S10_S11_S18_S1C_S1E_T6_T7_T9_mT8_S1G_bDpT10_ENKUlT_T0_E_clISt17integral_constantIbLb1EES1U_EEDaS1P_S1Q_EUlS1P_E_NS1_11comp_targetILNS1_3genE5ELNS1_11target_archE942ELNS1_3gpuE9ELNS1_3repE0EEENS1_30default_config_static_selectorELNS0_4arch9wavefront6targetE1EEEvS12_,"axG",@progbits,_ZN7rocprim17ROCPRIM_400000_NS6detail17trampoline_kernelINS0_13select_configILj256ELj13ELNS0_17block_load_methodE3ELS4_3ELS4_3ELNS0_20block_scan_algorithmE0ELj4294967295EEENS1_25partition_config_selectorILNS1_17partition_subalgoE4EjNS0_10empty_typeEbEEZZNS1_14partition_implILS8_4ELb0ES6_15HIP_vector_typeIjLj2EENS0_17counting_iteratorIjlEEPS9_SG_NS0_5tupleIJPjSI_NS0_16reverse_iteratorISI_EEEEENSH_IJSG_SG_SG_EEES9_SI_JZNS1_25segmented_radix_sort_implINS0_14default_configELb1EPKfPfPKlPlN2at6native12_GLOBAL__N_18offset_tEEE10hipError_tPvRmT1_PNSt15iterator_traitsIS12_E10value_typeET2_T3_PNS13_IS18_E10value_typeET4_jRbjT5_S1E_jjP12ihipStream_tbEUljE_ZNSN_ISO_Lb1ESQ_SR_ST_SU_SY_EESZ_S10_S11_S12_S16_S17_S18_S1B_S1C_jS1D_jS1E_S1E_jjS1G_bEUljE0_EEESZ_S10_S11_S18_S1C_S1E_T6_T7_T9_mT8_S1G_bDpT10_ENKUlT_T0_E_clISt17integral_constantIbLb1EES1U_EEDaS1P_S1Q_EUlS1P_E_NS1_11comp_targetILNS1_3genE5ELNS1_11target_archE942ELNS1_3gpuE9ELNS1_3repE0EEENS1_30default_config_static_selectorELNS0_4arch9wavefront6targetE1EEEvS12_,comdat
.Lfunc_end1268:
	.size	_ZN7rocprim17ROCPRIM_400000_NS6detail17trampoline_kernelINS0_13select_configILj256ELj13ELNS0_17block_load_methodE3ELS4_3ELS4_3ELNS0_20block_scan_algorithmE0ELj4294967295EEENS1_25partition_config_selectorILNS1_17partition_subalgoE4EjNS0_10empty_typeEbEEZZNS1_14partition_implILS8_4ELb0ES6_15HIP_vector_typeIjLj2EENS0_17counting_iteratorIjlEEPS9_SG_NS0_5tupleIJPjSI_NS0_16reverse_iteratorISI_EEEEENSH_IJSG_SG_SG_EEES9_SI_JZNS1_25segmented_radix_sort_implINS0_14default_configELb1EPKfPfPKlPlN2at6native12_GLOBAL__N_18offset_tEEE10hipError_tPvRmT1_PNSt15iterator_traitsIS12_E10value_typeET2_T3_PNS13_IS18_E10value_typeET4_jRbjT5_S1E_jjP12ihipStream_tbEUljE_ZNSN_ISO_Lb1ESQ_SR_ST_SU_SY_EESZ_S10_S11_S12_S16_S17_S18_S1B_S1C_jS1D_jS1E_S1E_jjS1G_bEUljE0_EEESZ_S10_S11_S18_S1C_S1E_T6_T7_T9_mT8_S1G_bDpT10_ENKUlT_T0_E_clISt17integral_constantIbLb1EES1U_EEDaS1P_S1Q_EUlS1P_E_NS1_11comp_targetILNS1_3genE5ELNS1_11target_archE942ELNS1_3gpuE9ELNS1_3repE0EEENS1_30default_config_static_selectorELNS0_4arch9wavefront6targetE1EEEvS12_, .Lfunc_end1268-_ZN7rocprim17ROCPRIM_400000_NS6detail17trampoline_kernelINS0_13select_configILj256ELj13ELNS0_17block_load_methodE3ELS4_3ELS4_3ELNS0_20block_scan_algorithmE0ELj4294967295EEENS1_25partition_config_selectorILNS1_17partition_subalgoE4EjNS0_10empty_typeEbEEZZNS1_14partition_implILS8_4ELb0ES6_15HIP_vector_typeIjLj2EENS0_17counting_iteratorIjlEEPS9_SG_NS0_5tupleIJPjSI_NS0_16reverse_iteratorISI_EEEEENSH_IJSG_SG_SG_EEES9_SI_JZNS1_25segmented_radix_sort_implINS0_14default_configELb1EPKfPfPKlPlN2at6native12_GLOBAL__N_18offset_tEEE10hipError_tPvRmT1_PNSt15iterator_traitsIS12_E10value_typeET2_T3_PNS13_IS18_E10value_typeET4_jRbjT5_S1E_jjP12ihipStream_tbEUljE_ZNSN_ISO_Lb1ESQ_SR_ST_SU_SY_EESZ_S10_S11_S12_S16_S17_S18_S1B_S1C_jS1D_jS1E_S1E_jjS1G_bEUljE0_EEESZ_S10_S11_S18_S1C_S1E_T6_T7_T9_mT8_S1G_bDpT10_ENKUlT_T0_E_clISt17integral_constantIbLb1EES1U_EEDaS1P_S1Q_EUlS1P_E_NS1_11comp_targetILNS1_3genE5ELNS1_11target_archE942ELNS1_3gpuE9ELNS1_3repE0EEENS1_30default_config_static_selectorELNS0_4arch9wavefront6targetE1EEEvS12_
                                        ; -- End function
	.section	.AMDGPU.csdata,"",@progbits
; Kernel info:
; codeLenInByte = 0
; NumSgprs: 4
; NumVgprs: 0
; NumAgprs: 0
; TotalNumVgprs: 0
; ScratchSize: 0
; MemoryBound: 0
; FloatMode: 240
; IeeeMode: 1
; LDSByteSize: 0 bytes/workgroup (compile time only)
; SGPRBlocks: 0
; VGPRBlocks: 0
; NumSGPRsForWavesPerEU: 4
; NumVGPRsForWavesPerEU: 1
; AccumOffset: 4
; Occupancy: 8
; WaveLimiterHint : 0
; COMPUTE_PGM_RSRC2:SCRATCH_EN: 0
; COMPUTE_PGM_RSRC2:USER_SGPR: 6
; COMPUTE_PGM_RSRC2:TRAP_HANDLER: 0
; COMPUTE_PGM_RSRC2:TGID_X_EN: 1
; COMPUTE_PGM_RSRC2:TGID_Y_EN: 0
; COMPUTE_PGM_RSRC2:TGID_Z_EN: 0
; COMPUTE_PGM_RSRC2:TIDIG_COMP_CNT: 0
; COMPUTE_PGM_RSRC3_GFX90A:ACCUM_OFFSET: 0
; COMPUTE_PGM_RSRC3_GFX90A:TG_SPLIT: 0
	.section	.text._ZN7rocprim17ROCPRIM_400000_NS6detail17trampoline_kernelINS0_13select_configILj256ELj13ELNS0_17block_load_methodE3ELS4_3ELS4_3ELNS0_20block_scan_algorithmE0ELj4294967295EEENS1_25partition_config_selectorILNS1_17partition_subalgoE4EjNS0_10empty_typeEbEEZZNS1_14partition_implILS8_4ELb0ES6_15HIP_vector_typeIjLj2EENS0_17counting_iteratorIjlEEPS9_SG_NS0_5tupleIJPjSI_NS0_16reverse_iteratorISI_EEEEENSH_IJSG_SG_SG_EEES9_SI_JZNS1_25segmented_radix_sort_implINS0_14default_configELb1EPKfPfPKlPlN2at6native12_GLOBAL__N_18offset_tEEE10hipError_tPvRmT1_PNSt15iterator_traitsIS12_E10value_typeET2_T3_PNS13_IS18_E10value_typeET4_jRbjT5_S1E_jjP12ihipStream_tbEUljE_ZNSN_ISO_Lb1ESQ_SR_ST_SU_SY_EESZ_S10_S11_S12_S16_S17_S18_S1B_S1C_jS1D_jS1E_S1E_jjS1G_bEUljE0_EEESZ_S10_S11_S18_S1C_S1E_T6_T7_T9_mT8_S1G_bDpT10_ENKUlT_T0_E_clISt17integral_constantIbLb1EES1U_EEDaS1P_S1Q_EUlS1P_E_NS1_11comp_targetILNS1_3genE4ELNS1_11target_archE910ELNS1_3gpuE8ELNS1_3repE0EEENS1_30default_config_static_selectorELNS0_4arch9wavefront6targetE1EEEvS12_,"axG",@progbits,_ZN7rocprim17ROCPRIM_400000_NS6detail17trampoline_kernelINS0_13select_configILj256ELj13ELNS0_17block_load_methodE3ELS4_3ELS4_3ELNS0_20block_scan_algorithmE0ELj4294967295EEENS1_25partition_config_selectorILNS1_17partition_subalgoE4EjNS0_10empty_typeEbEEZZNS1_14partition_implILS8_4ELb0ES6_15HIP_vector_typeIjLj2EENS0_17counting_iteratorIjlEEPS9_SG_NS0_5tupleIJPjSI_NS0_16reverse_iteratorISI_EEEEENSH_IJSG_SG_SG_EEES9_SI_JZNS1_25segmented_radix_sort_implINS0_14default_configELb1EPKfPfPKlPlN2at6native12_GLOBAL__N_18offset_tEEE10hipError_tPvRmT1_PNSt15iterator_traitsIS12_E10value_typeET2_T3_PNS13_IS18_E10value_typeET4_jRbjT5_S1E_jjP12ihipStream_tbEUljE_ZNSN_ISO_Lb1ESQ_SR_ST_SU_SY_EESZ_S10_S11_S12_S16_S17_S18_S1B_S1C_jS1D_jS1E_S1E_jjS1G_bEUljE0_EEESZ_S10_S11_S18_S1C_S1E_T6_T7_T9_mT8_S1G_bDpT10_ENKUlT_T0_E_clISt17integral_constantIbLb1EES1U_EEDaS1P_S1Q_EUlS1P_E_NS1_11comp_targetILNS1_3genE4ELNS1_11target_archE910ELNS1_3gpuE8ELNS1_3repE0EEENS1_30default_config_static_selectorELNS0_4arch9wavefront6targetE1EEEvS12_,comdat
	.globl	_ZN7rocprim17ROCPRIM_400000_NS6detail17trampoline_kernelINS0_13select_configILj256ELj13ELNS0_17block_load_methodE3ELS4_3ELS4_3ELNS0_20block_scan_algorithmE0ELj4294967295EEENS1_25partition_config_selectorILNS1_17partition_subalgoE4EjNS0_10empty_typeEbEEZZNS1_14partition_implILS8_4ELb0ES6_15HIP_vector_typeIjLj2EENS0_17counting_iteratorIjlEEPS9_SG_NS0_5tupleIJPjSI_NS0_16reverse_iteratorISI_EEEEENSH_IJSG_SG_SG_EEES9_SI_JZNS1_25segmented_radix_sort_implINS0_14default_configELb1EPKfPfPKlPlN2at6native12_GLOBAL__N_18offset_tEEE10hipError_tPvRmT1_PNSt15iterator_traitsIS12_E10value_typeET2_T3_PNS13_IS18_E10value_typeET4_jRbjT5_S1E_jjP12ihipStream_tbEUljE_ZNSN_ISO_Lb1ESQ_SR_ST_SU_SY_EESZ_S10_S11_S12_S16_S17_S18_S1B_S1C_jS1D_jS1E_S1E_jjS1G_bEUljE0_EEESZ_S10_S11_S18_S1C_S1E_T6_T7_T9_mT8_S1G_bDpT10_ENKUlT_T0_E_clISt17integral_constantIbLb1EES1U_EEDaS1P_S1Q_EUlS1P_E_NS1_11comp_targetILNS1_3genE4ELNS1_11target_archE910ELNS1_3gpuE8ELNS1_3repE0EEENS1_30default_config_static_selectorELNS0_4arch9wavefront6targetE1EEEvS12_ ; -- Begin function _ZN7rocprim17ROCPRIM_400000_NS6detail17trampoline_kernelINS0_13select_configILj256ELj13ELNS0_17block_load_methodE3ELS4_3ELS4_3ELNS0_20block_scan_algorithmE0ELj4294967295EEENS1_25partition_config_selectorILNS1_17partition_subalgoE4EjNS0_10empty_typeEbEEZZNS1_14partition_implILS8_4ELb0ES6_15HIP_vector_typeIjLj2EENS0_17counting_iteratorIjlEEPS9_SG_NS0_5tupleIJPjSI_NS0_16reverse_iteratorISI_EEEEENSH_IJSG_SG_SG_EEES9_SI_JZNS1_25segmented_radix_sort_implINS0_14default_configELb1EPKfPfPKlPlN2at6native12_GLOBAL__N_18offset_tEEE10hipError_tPvRmT1_PNSt15iterator_traitsIS12_E10value_typeET2_T3_PNS13_IS18_E10value_typeET4_jRbjT5_S1E_jjP12ihipStream_tbEUljE_ZNSN_ISO_Lb1ESQ_SR_ST_SU_SY_EESZ_S10_S11_S12_S16_S17_S18_S1B_S1C_jS1D_jS1E_S1E_jjS1G_bEUljE0_EEESZ_S10_S11_S18_S1C_S1E_T6_T7_T9_mT8_S1G_bDpT10_ENKUlT_T0_E_clISt17integral_constantIbLb1EES1U_EEDaS1P_S1Q_EUlS1P_E_NS1_11comp_targetILNS1_3genE4ELNS1_11target_archE910ELNS1_3gpuE8ELNS1_3repE0EEENS1_30default_config_static_selectorELNS0_4arch9wavefront6targetE1EEEvS12_
	.p2align	8
	.type	_ZN7rocprim17ROCPRIM_400000_NS6detail17trampoline_kernelINS0_13select_configILj256ELj13ELNS0_17block_load_methodE3ELS4_3ELS4_3ELNS0_20block_scan_algorithmE0ELj4294967295EEENS1_25partition_config_selectorILNS1_17partition_subalgoE4EjNS0_10empty_typeEbEEZZNS1_14partition_implILS8_4ELb0ES6_15HIP_vector_typeIjLj2EENS0_17counting_iteratorIjlEEPS9_SG_NS0_5tupleIJPjSI_NS0_16reverse_iteratorISI_EEEEENSH_IJSG_SG_SG_EEES9_SI_JZNS1_25segmented_radix_sort_implINS0_14default_configELb1EPKfPfPKlPlN2at6native12_GLOBAL__N_18offset_tEEE10hipError_tPvRmT1_PNSt15iterator_traitsIS12_E10value_typeET2_T3_PNS13_IS18_E10value_typeET4_jRbjT5_S1E_jjP12ihipStream_tbEUljE_ZNSN_ISO_Lb1ESQ_SR_ST_SU_SY_EESZ_S10_S11_S12_S16_S17_S18_S1B_S1C_jS1D_jS1E_S1E_jjS1G_bEUljE0_EEESZ_S10_S11_S18_S1C_S1E_T6_T7_T9_mT8_S1G_bDpT10_ENKUlT_T0_E_clISt17integral_constantIbLb1EES1U_EEDaS1P_S1Q_EUlS1P_E_NS1_11comp_targetILNS1_3genE4ELNS1_11target_archE910ELNS1_3gpuE8ELNS1_3repE0EEENS1_30default_config_static_selectorELNS0_4arch9wavefront6targetE1EEEvS12_,@function
_ZN7rocprim17ROCPRIM_400000_NS6detail17trampoline_kernelINS0_13select_configILj256ELj13ELNS0_17block_load_methodE3ELS4_3ELS4_3ELNS0_20block_scan_algorithmE0ELj4294967295EEENS1_25partition_config_selectorILNS1_17partition_subalgoE4EjNS0_10empty_typeEbEEZZNS1_14partition_implILS8_4ELb0ES6_15HIP_vector_typeIjLj2EENS0_17counting_iteratorIjlEEPS9_SG_NS0_5tupleIJPjSI_NS0_16reverse_iteratorISI_EEEEENSH_IJSG_SG_SG_EEES9_SI_JZNS1_25segmented_radix_sort_implINS0_14default_configELb1EPKfPfPKlPlN2at6native12_GLOBAL__N_18offset_tEEE10hipError_tPvRmT1_PNSt15iterator_traitsIS12_E10value_typeET2_T3_PNS13_IS18_E10value_typeET4_jRbjT5_S1E_jjP12ihipStream_tbEUljE_ZNSN_ISO_Lb1ESQ_SR_ST_SU_SY_EESZ_S10_S11_S12_S16_S17_S18_S1B_S1C_jS1D_jS1E_S1E_jjS1G_bEUljE0_EEESZ_S10_S11_S18_S1C_S1E_T6_T7_T9_mT8_S1G_bDpT10_ENKUlT_T0_E_clISt17integral_constantIbLb1EES1U_EEDaS1P_S1Q_EUlS1P_E_NS1_11comp_targetILNS1_3genE4ELNS1_11target_archE910ELNS1_3gpuE8ELNS1_3repE0EEENS1_30default_config_static_selectorELNS0_4arch9wavefront6targetE1EEEvS12_: ; @_ZN7rocprim17ROCPRIM_400000_NS6detail17trampoline_kernelINS0_13select_configILj256ELj13ELNS0_17block_load_methodE3ELS4_3ELS4_3ELNS0_20block_scan_algorithmE0ELj4294967295EEENS1_25partition_config_selectorILNS1_17partition_subalgoE4EjNS0_10empty_typeEbEEZZNS1_14partition_implILS8_4ELb0ES6_15HIP_vector_typeIjLj2EENS0_17counting_iteratorIjlEEPS9_SG_NS0_5tupleIJPjSI_NS0_16reverse_iteratorISI_EEEEENSH_IJSG_SG_SG_EEES9_SI_JZNS1_25segmented_radix_sort_implINS0_14default_configELb1EPKfPfPKlPlN2at6native12_GLOBAL__N_18offset_tEEE10hipError_tPvRmT1_PNSt15iterator_traitsIS12_E10value_typeET2_T3_PNS13_IS18_E10value_typeET4_jRbjT5_S1E_jjP12ihipStream_tbEUljE_ZNSN_ISO_Lb1ESQ_SR_ST_SU_SY_EESZ_S10_S11_S12_S16_S17_S18_S1B_S1C_jS1D_jS1E_S1E_jjS1G_bEUljE0_EEESZ_S10_S11_S18_S1C_S1E_T6_T7_T9_mT8_S1G_bDpT10_ENKUlT_T0_E_clISt17integral_constantIbLb1EES1U_EEDaS1P_S1Q_EUlS1P_E_NS1_11comp_targetILNS1_3genE4ELNS1_11target_archE910ELNS1_3gpuE8ELNS1_3repE0EEENS1_30default_config_static_selectorELNS0_4arch9wavefront6targetE1EEEvS12_
; %bb.0:
	s_load_dwordx2 s[48:49], s[4:5], 0x10
	s_load_dwordx4 s[44:47], s[4:5], 0x28
	s_load_dwordx2 s[34:35], s[4:5], 0x38
	s_load_dwordx4 s[28:31], s[4:5], 0x58
	s_load_dwordx2 s[2:3], s[4:5], 0x68
	s_load_dwordx2 s[50:51], s[4:5], 0x78
	s_load_dwordx2 s[56:57], s[4:5], 0xb0
	s_load_dwordx8 s[36:43], s[4:5], 0x90
	v_cmp_eq_u32_e64 s[0:1], 0, v0
	s_and_saveexec_b64 s[6:7], s[0:1]
	s_cbranch_execz .LBB1269_4
; %bb.1:
	s_mov_b64 s[10:11], exec
	v_mbcnt_lo_u32_b32 v1, s10, 0
	v_mbcnt_hi_u32_b32 v1, s11, v1
	v_cmp_eq_u32_e32 vcc, 0, v1
                                        ; implicit-def: $vgpr2
	s_and_saveexec_b64 s[8:9], vcc
	s_cbranch_execz .LBB1269_3
; %bb.2:
	s_load_dwordx2 s[12:13], s[4:5], 0x88
	s_bcnt1_i32_b64 s10, s[10:11]
	v_mov_b32_e32 v2, 0
	v_mov_b32_e32 v3, s10
	s_waitcnt lgkmcnt(0)
	global_atomic_add v2, v2, v3, s[12:13] glc
.LBB1269_3:
	s_or_b64 exec, exec, s[8:9]
	s_waitcnt vmcnt(0)
	v_readfirstlane_b32 s8, v2
	v_add_u32_e32 v1, s8, v1
	v_mov_b32_e32 v2, 0
	ds_write_b32 v2, v1
.LBB1269_4:
	s_or_b64 exec, exec, s[6:7]
	v_mov_b32_e32 v1, 0
	s_load_dword s7, s[4:5], 0x8
	s_load_dword s6, s[4:5], 0x80
	s_waitcnt lgkmcnt(0)
	s_barrier
	ds_read_b32 v8, v1
	s_waitcnt lgkmcnt(0)
	s_barrier
	global_load_dwordx4 v[2:5], v1, s[30:31]
	v_mov_b32_e32 v7, s3
	s_movk_i32 s3, 0xd00
	s_add_i32 s8, s7, s48
	v_mul_lo_u32 v34, v8, s3
	s_add_i32 s7, s6, -1
	s_mul_i32 s3, s6, 0xd00
	s_add_u32 s4, s48, s3
	v_readfirstlane_b32 s33, v8
	s_addc_u32 s5, s49, 0
	s_cmp_eq_u32 s33, s7
	v_mov_b32_e32 v6, s2
	s_cselect_b64 s[30:31], -1, 0
	s_cmp_lg_u32 s33, s7
	v_cmp_lt_u64_e32 vcc, s[4:5], v[6:7]
	s_cselect_b64 s[4:5], -1, 0
	s_or_b64 s[4:5], vcc, s[4:5]
	v_add_u32_e32 v1, s8, v34
	s_mov_b64 s[6:7], -1
	s_and_b64 vcc, exec, s[4:5]
	v_add_u32_e32 v1, v1, v0
	s_cbranch_vccz .LBB1269_6
; %bb.5:
	v_add_u32_e32 v6, 0x100, v1
	v_lshlrev_b32_e32 v18, 2, v0
	v_add_u32_e32 v7, 0x200, v1
	v_add_u32_e32 v8, 0x300, v1
	;; [unrolled: 1-line block ×11, first 2 shown]
	ds_write2st64_b32 v18, v1, v6 offset1:4
	ds_write2st64_b32 v18, v7, v8 offset0:8 offset1:12
	ds_write2st64_b32 v18, v9, v10 offset0:16 offset1:20
	;; [unrolled: 1-line block ×5, first 2 shown]
	ds_write_b32 v18, v17 offset:12288
	s_waitcnt lgkmcnt(0)
	s_barrier
	s_mov_b64 s[6:7], 0
.LBB1269_6:
	s_andn2_b64 vcc, exec, s[6:7]
	s_add_i32 s3, s3, s48
	s_cbranch_vccnz .LBB1269_8
; %bb.7:
	v_add_u32_e32 v6, 0x100, v1
	v_lshlrev_b32_e32 v18, 2, v0
	v_add_u32_e32 v7, 0x200, v1
	v_add_u32_e32 v8, 0x300, v1
	;; [unrolled: 1-line block ×11, first 2 shown]
	ds_write2st64_b32 v18, v1, v6 offset1:4
	ds_write2st64_b32 v18, v7, v8 offset0:8 offset1:12
	ds_write2st64_b32 v18, v9, v10 offset0:16 offset1:20
	;; [unrolled: 1-line block ×5, first 2 shown]
	ds_write_b32 v18, v17 offset:12288
	s_waitcnt lgkmcnt(0)
	s_barrier
.LBB1269_8:
	v_mul_u32_u24_e32 v36, 13, v0
	v_lshlrev_b32_e32 v1, 2, v36
	ds_read2_b32 v[22:23], v1 offset1:1
	ds_read2_b32 v[20:21], v1 offset0:2 offset1:3
	ds_read2_b32 v[18:19], v1 offset0:4 offset1:5
	;; [unrolled: 1-line block ×5, first 2 shown]
	ds_read_b32 v35, v1 offset:48
	v_cndmask_b32_e64 v1, 0, 1, s[4:5]
	s_sub_i32 s86, s2, s3
	v_cmp_ne_u32_e64 s[2:3], 1, v1
	s_andn2_b64 vcc, exec, s[4:5]
	s_waitcnt lgkmcnt(0)
	s_barrier
	s_cbranch_vccnz .LBB1269_36
; %bb.9:
	v_add_u32_e32 v1, s37, v22
	v_add_u32_e32 v6, s39, v22
	v_mul_lo_u32 v1, v1, s36
	v_mul_lo_u32 v6, v6, s38
	v_sub_u32_e32 v1, v1, v6
	v_cmp_lt_u32_e32 vcc, s40, v1
	v_cmp_ge_u32_e64 s[4:5], s40, v1
	s_mov_b64 s[60:61], 0
	s_mov_b64 s[58:59], 0
	s_and_saveexec_b64 s[6:7], s[4:5]
; %bb.10:
	v_add_u32_e32 v1, s42, v22
	v_add_u32_e32 v6, s56, v22
	v_mul_lo_u32 v1, v1, s41
	v_mul_lo_u32 v6, v6, s43
	v_sub_u32_e32 v1, v1, v6
	v_cmp_lt_u32_e64 s[4:5], s57, v1
	s_and_b64 s[58:59], s[4:5], exec
; %bb.11:
	s_or_b64 exec, exec, s[6:7]
	v_add_u32_e32 v1, s37, v23
	v_add_u32_e32 v6, s39, v23
	v_mul_lo_u32 v1, v1, s36
	v_mul_lo_u32 v6, v6, s38
	v_sub_u32_e32 v1, v1, v6
	v_cmp_lt_u32_e64 s[4:5], s40, v1
	v_cmp_ge_u32_e64 s[6:7], s40, v1
	s_and_saveexec_b64 s[8:9], s[6:7]
; %bb.12:
	v_add_u32_e32 v1, s42, v23
	v_add_u32_e32 v6, s56, v23
	v_mul_lo_u32 v1, v1, s41
	v_mul_lo_u32 v6, v6, s43
	v_sub_u32_e32 v1, v1, v6
	v_cmp_lt_u32_e64 s[6:7], s57, v1
	s_and_b64 s[60:61], s[6:7], exec
; %bb.13:
	s_or_b64 exec, exec, s[8:9]
	v_add_u32_e32 v1, s37, v20
	v_add_u32_e32 v6, s39, v20
	v_mul_lo_u32 v1, v1, s36
	v_mul_lo_u32 v6, v6, s38
	v_sub_u32_e32 v1, v1, v6
	v_cmp_lt_u32_e64 s[6:7], s40, v1
	v_cmp_ge_u32_e64 s[8:9], s40, v1
	s_mov_b64 s[64:65], 0
	s_mov_b64 s[62:63], 0
	s_and_saveexec_b64 s[10:11], s[8:9]
; %bb.14:
	v_add_u32_e32 v1, s42, v20
	v_add_u32_e32 v6, s56, v20
	v_mul_lo_u32 v1, v1, s41
	v_mul_lo_u32 v6, v6, s43
	v_sub_u32_e32 v1, v1, v6
	v_cmp_lt_u32_e64 s[8:9], s57, v1
	s_and_b64 s[62:63], s[8:9], exec
; %bb.15:
	s_or_b64 exec, exec, s[10:11]
	v_add_u32_e32 v1, s37, v21
	v_add_u32_e32 v6, s39, v21
	v_mul_lo_u32 v1, v1, s36
	v_mul_lo_u32 v6, v6, s38
	v_sub_u32_e32 v1, v1, v6
	v_cmp_lt_u32_e64 s[8:9], s40, v1
	v_cmp_ge_u32_e64 s[10:11], s40, v1
	s_and_saveexec_b64 s[12:13], s[10:11]
; %bb.16:
	v_add_u32_e32 v1, s42, v21
	v_add_u32_e32 v6, s56, v21
	v_mul_lo_u32 v1, v1, s41
	v_mul_lo_u32 v6, v6, s43
	v_sub_u32_e32 v1, v1, v6
	v_cmp_lt_u32_e64 s[10:11], s57, v1
	s_and_b64 s[64:65], s[10:11], exec
; %bb.17:
	s_or_b64 exec, exec, s[12:13]
	v_add_u32_e32 v1, s37, v18
	v_add_u32_e32 v6, s39, v18
	v_mul_lo_u32 v1, v1, s36
	v_mul_lo_u32 v6, v6, s38
	v_sub_u32_e32 v1, v1, v6
	v_cmp_lt_u32_e64 s[10:11], s40, v1
	;; [unrolled: 38-line block ×5, first 2 shown]
	v_cmp_ge_u32_e64 s[24:25], s40, v1
	s_mov_b64 s[80:81], 0
	s_mov_b64 s[82:83], 0
	s_and_saveexec_b64 s[26:27], s[24:25]
; %bb.30:
	v_add_u32_e32 v1, s42, v12
	v_add_u32_e32 v6, s56, v12
	v_mul_lo_u32 v1, v1, s41
	v_mul_lo_u32 v6, v6, s43
	v_sub_u32_e32 v1, v1, v6
	v_cmp_lt_u32_e64 s[24:25], s57, v1
	s_and_b64 s[82:83], s[24:25], exec
; %bb.31:
	s_or_b64 exec, exec, s[26:27]
	v_add_u32_e32 v1, s37, v13
	v_add_u32_e32 v6, s39, v13
	v_mul_lo_u32 v1, v1, s36
	v_mul_lo_u32 v6, v6, s38
	v_sub_u32_e32 v1, v1, v6
	v_cmp_lt_u32_e64 s[24:25], s40, v1
	v_cmp_ge_u32_e64 s[26:27], s40, v1
	s_and_saveexec_b64 s[52:53], s[26:27]
; %bb.32:
	v_add_u32_e32 v1, s42, v13
	v_add_u32_e32 v6, s56, v13
	v_mul_lo_u32 v1, v1, s41
	v_mul_lo_u32 v6, v6, s43
	v_sub_u32_e32 v1, v1, v6
	v_cmp_lt_u32_e64 s[26:27], s57, v1
	s_and_b64 s[80:81], s[26:27], exec
; %bb.33:
	s_or_b64 exec, exec, s[52:53]
	v_add_u32_e32 v1, s37, v35
	v_add_u32_e32 v6, s39, v35
	v_mul_lo_u32 v1, v1, s36
	v_mul_lo_u32 v6, v6, s38
	v_sub_u32_e32 v1, v1, v6
	v_cmp_ge_u32_e64 s[26:27], s40, v1
	s_mov_b64 s[52:53], -1
	s_mov_b64 s[74:75], 0
	s_mov_b64 s[54:55], 0
	s_and_saveexec_b64 s[84:85], s[26:27]
; %bb.34:
	v_add_u32_e32 v1, s42, v35
	v_add_u32_e32 v6, s56, v35
	v_mul_lo_u32 v1, v1, s41
	v_mul_lo_u32 v6, v6, s43
	v_sub_u32_e32 v1, v1, v6
	v_cmp_lt_u32_e64 s[26:27], s57, v1
	s_and_b64 s[54:55], s[26:27], exec
	s_xor_b64 s[52:53], exec, -1
; %bb.35:
	s_or_b64 exec, exec, s[84:85]
	v_cndmask_b32_e64 v57, 0, 1, s[82:83]
	v_cndmask_b32_e64 v60, 0, 1, s[24:25]
	;; [unrolled: 1-line block ×22, first 2 shown]
	v_cndmask_b32_e64 v37, 0, 1, vcc
	v_cndmask_b32_e64 v59, 0, 1, s[80:81]
	s_add_i32 s16, s86, 0xd00
	s_and_b64 vcc, exec, s[74:75]
	s_cbranch_vccnz .LBB1269_37
	s_branch .LBB1269_90
.LBB1269_36:
                                        ; implicit-def: $sgpr52_sgpr53
                                        ; implicit-def: $sgpr54_sgpr55
                                        ; implicit-def: $vgpr59
                                        ; implicit-def: $vgpr57
                                        ; implicit-def: $vgpr55
                                        ; implicit-def: $vgpr53
                                        ; implicit-def: $vgpr51
                                        ; implicit-def: $vgpr49
                                        ; implicit-def: $vgpr47
                                        ; implicit-def: $vgpr45
                                        ; implicit-def: $vgpr43
                                        ; implicit-def: $vgpr37
                                        ; implicit-def: $vgpr39
                                        ; implicit-def: $vgpr41
                                        ; implicit-def: $vgpr44
                                        ; implicit-def: $vgpr46
                                        ; implicit-def: $vgpr48
                                        ; implicit-def: $vgpr50
                                        ; implicit-def: $vgpr52
                                        ; implicit-def: $vgpr54
                                        ; implicit-def: $vgpr56
                                        ; implicit-def: $vgpr58
                                        ; implicit-def: $vgpr60
                                        ; implicit-def: $vgpr38
                                        ; implicit-def: $vgpr40
                                        ; implicit-def: $vgpr42
	s_add_i32 s16, s86, 0xd00
	s_cbranch_execz .LBB1269_90
.LBB1269_37:
	v_cmp_gt_u32_e32 vcc, s16, v36
	v_mov_b32_e32 v38, 0
	v_mov_b32_e32 v37, 0
	s_and_saveexec_b64 s[6:7], vcc
	s_cbranch_execz .LBB1269_41
; %bb.38:
	v_add_u32_e32 v1, s37, v22
	v_add_u32_e32 v6, s39, v22
	v_mul_lo_u32 v1, v1, s36
	v_mul_lo_u32 v6, v6, s38
	v_sub_u32_e32 v1, v1, v6
	v_cmp_lt_u32_e32 vcc, s40, v1
	v_cmp_ge_u32_e64 s[4:5], s40, v1
	s_mov_b64 s[10:11], 0
	s_and_saveexec_b64 s[8:9], s[4:5]
; %bb.39:
	v_add_u32_e32 v1, s42, v22
	v_add_u32_e32 v6, s56, v22
	v_mul_lo_u32 v1, v1, s41
	v_mul_lo_u32 v6, v6, s43
	v_sub_u32_e32 v1, v1, v6
	v_cmp_lt_u32_e64 s[4:5], s57, v1
	s_and_b64 s[10:11], s[4:5], exec
; %bb.40:
	s_or_b64 exec, exec, s[8:9]
	v_cndmask_b32_e64 v37, 0, 1, vcc
	v_cndmask_b32_e64 v38, 0, 1, s[10:11]
.LBB1269_41:
	s_or_b64 exec, exec, s[6:7]
	v_add_u32_e32 v1, 1, v36
	v_cmp_gt_u32_e32 vcc, s16, v1
	v_mov_b32_e32 v39, 0
	v_mov_b32_e32 v40, 0
	s_and_saveexec_b64 s[6:7], vcc
	s_cbranch_execz .LBB1269_45
; %bb.42:
	v_add_u32_e32 v1, s37, v23
	v_add_u32_e32 v6, s39, v23
	v_mul_lo_u32 v1, v1, s36
	v_mul_lo_u32 v6, v6, s38
	v_sub_u32_e32 v1, v1, v6
	v_cmp_lt_u32_e32 vcc, s40, v1
	v_cmp_ge_u32_e64 s[4:5], s40, v1
	s_mov_b64 s[10:11], 0
	s_and_saveexec_b64 s[8:9], s[4:5]
; %bb.43:
	v_add_u32_e32 v1, s42, v23
	v_add_u32_e32 v6, s56, v23
	v_mul_lo_u32 v1, v1, s41
	v_mul_lo_u32 v6, v6, s43
	v_sub_u32_e32 v1, v1, v6
	v_cmp_lt_u32_e64 s[4:5], s57, v1
	s_and_b64 s[10:11], s[4:5], exec
; %bb.44:
	s_or_b64 exec, exec, s[8:9]
	v_cndmask_b32_e64 v39, 0, 1, vcc
	v_cndmask_b32_e64 v40, 0, 1, s[10:11]
.LBB1269_45:
	s_or_b64 exec, exec, s[6:7]
	v_add_u32_e32 v1, 2, v36
	;; [unrolled: 30-line block ×12, first 2 shown]
	v_cmp_gt_u32_e32 vcc, s16, v1
	s_mov_b64 s[52:53], 0
	s_mov_b64 s[54:55], 0
	s_and_saveexec_b64 s[4:5], vcc
	s_cbranch_execz .LBB1269_89
; %bb.86:
	v_add_u32_e32 v1, s37, v35
	v_add_u32_e32 v6, s39, v35
	v_mul_lo_u32 v1, v1, s36
	v_mul_lo_u32 v6, v6, s38
	v_sub_u32_e32 v1, v1, v6
	v_cmp_ge_u32_e32 vcc, s40, v1
	s_mov_b64 s[8:9], -1
	s_mov_b64 s[10:11], 0
	s_and_saveexec_b64 s[6:7], vcc
; %bb.87:
	v_add_u32_e32 v1, s42, v35
	v_add_u32_e32 v6, s56, v35
	v_mul_lo_u32 v1, v1, s41
	v_mul_lo_u32 v6, v6, s43
	v_sub_u32_e32 v1, v1, v6
	v_cmp_lt_u32_e32 vcc, s57, v1
	s_and_b64 s[10:11], vcc, exec
	s_xor_b64 s[8:9], exec, -1
; %bb.88:
	s_or_b64 exec, exec, s[6:7]
	s_and_b64 s[54:55], s[10:11], exec
	s_and_b64 s[52:53], s[8:9], exec
.LBB1269_89:
	s_or_b64 exec, exec, s[4:5]
.LBB1269_90:
	v_and_b32_e32 v68, 0xff, v38
	v_and_b32_e32 v79, 0xff, v40
	;; [unrolled: 1-line block ×5, first 2 shown]
	v_add3_u32 v6, v79, v70, v68
	v_and_b32_e32 v81, 0xff, v47
	v_and_b32_e32 v74, 0xff, v49
	v_add3_u32 v6, v6, v80, v72
	v_and_b32_e32 v67, 0xff, v37
	v_and_b32_e32 v61, 0xff, v39
	;; [unrolled: 1-line block ×5, first 2 shown]
	v_add3_u32 v6, v6, v81, v74
	v_and_b32_e32 v62, 0xff, v44
	v_and_b32_e32 v71, 0xff, v46
	v_and_b32_e32 v83, 0xff, v55
	v_and_b32_e32 v78, 0xff, v57
	v_add3_u32 v7, v61, v69, v67
	v_add3_u32 v6, v6, v82, v76
	v_and_b32_e32 v63, 0xff, v48
	v_and_b32_e32 v73, 0xff, v50
	;; [unrolled: 1-line block ×3, first 2 shown]
	v_cndmask_b32_e64 v1, 0, 1, s[54:55]
	v_add3_u32 v7, v7, v62, v71
	v_add3_u32 v6, v6, v83, v78
	v_and_b32_e32 v64, 0xff, v52
	v_and_b32_e32 v75, 0xff, v54
	v_add3_u32 v7, v7, v63, v73
	v_add3_u32 v91, v6, v84, v1
	v_mbcnt_lo_u32_b32 v1, -1, 0
	v_and_b32_e32 v65, 0xff, v56
	v_and_b32_e32 v77, 0xff, v58
	v_add3_u32 v7, v7, v64, v75
	v_mbcnt_hi_u32_b32 v85, -1, v1
	v_and_b32_e32 v66, 0xff, v60
	v_add3_u32 v7, v7, v65, v77
	v_cndmask_b32_e64 v8, 0, 1, s[52:53]
	v_and_b32_e32 v89, 15, v85
	s_cmp_lg_u32 s33, 0
	v_add3_u32 v90, v7, v66, v8
	v_cmp_eq_u32_e64 s[6:7], 0, v89
	v_cmp_lt_u32_e64 s[4:5], 1, v89
	v_cmp_lt_u32_e64 s[10:11], 3, v89
	;; [unrolled: 1-line block ×3, first 2 shown]
	v_and_b32_e32 v88, 16, v85
	v_cmp_lt_u32_e32 vcc, 31, v85
	v_lshrrev_b32_e32 v86, 6, v0
	v_or_b32_e32 v87, 63, v0
	s_cbranch_scc0 .LBB1269_123
; %bb.91:
	v_mov_b32_dpp v1, v90 row_shr:1 row_mask:0xf bank_mask:0xf
	v_mov_b32_dpp v6, v91 row_shr:1 row_mask:0xf bank_mask:0xf
	v_add_u32_e32 v1, v1, v90
	v_add_u32_e32 v6, v6, v91
	v_cndmask_b32_e64 v6, v6, v91, s[6:7]
	v_cndmask_b32_e64 v1, v1, v90, s[6:7]
	s_nop 0
	v_mov_b32_dpp v8, v6 row_shr:2 row_mask:0xf bank_mask:0xf
	v_mov_b32_dpp v7, v1 row_shr:2 row_mask:0xf bank_mask:0xf
	v_add_u32_e32 v7, v1, v7
	v_add_u32_e32 v8, v6, v8
	v_cndmask_b32_e64 v6, v6, v8, s[4:5]
	v_cndmask_b32_e64 v1, v1, v7, s[4:5]
	s_nop 0
	;; [unrolled: 7-line block ×3, first 2 shown]
	v_mov_b32_dpp v8, v6 row_shr:8 row_mask:0xf bank_mask:0xf
	v_mov_b32_dpp v7, v1 row_shr:8 row_mask:0xf bank_mask:0xf
	v_add_u32_e32 v7, v1, v7
	v_add_u32_e32 v8, v6, v8
	v_cndmask_b32_e64 v6, v6, v8, s[8:9]
	v_cndmask_b32_e64 v1, v1, v7, s[8:9]
	v_cmp_eq_u32_e64 s[8:9], 0, v88
	v_mov_b32_dpp v8, v6 row_bcast:15 row_mask:0xf bank_mask:0xf
	v_mov_b32_dpp v7, v1 row_bcast:15 row_mask:0xf bank_mask:0xf
	v_add_u32_e32 v7, v1, v7
	v_add_u32_e32 v8, v6, v8
	v_cndmask_b32_e64 v6, v8, v6, s[8:9]
	v_cndmask_b32_e64 v1, v7, v1, s[8:9]
	s_nop 0
	v_mov_b32_dpp v8, v6 row_bcast:31 row_mask:0xf bank_mask:0xf
	v_mov_b32_dpp v7, v1 row_bcast:31 row_mask:0xf bank_mask:0xf
	v_add_u32_e32 v8, v6, v8
	v_add_u32_e32 v9, v1, v7
	v_cndmask_b32_e32 v7, v6, v8, vcc
	v_cndmask_b32_e32 v6, v1, v9, vcc
	v_cmp_eq_u32_e32 vcc, v87, v0
	s_and_saveexec_b64 s[8:9], vcc
	s_cbranch_execz .LBB1269_93
; %bb.92:
	v_lshlrev_b32_e32 v1, 3, v86
	ds_write_b64 v1, v[6:7]
.LBB1269_93:
	s_or_b64 exec, exec, s[8:9]
	v_cmp_gt_u32_e32 vcc, 4, v0
	s_waitcnt lgkmcnt(0)
	s_barrier
	s_and_saveexec_b64 s[8:9], vcc
	s_cbranch_execz .LBB1269_95
; %bb.94:
	v_lshlrev_b32_e32 v1, 3, v0
	ds_read_b64 v[8:9], v1
	v_and_b32_e32 v10, 3, v85
	v_cmp_eq_u32_e32 vcc, 0, v10
	s_waitcnt lgkmcnt(0)
	v_mov_b32_dpp v11, v8 row_shr:1 row_mask:0xf bank_mask:0xf
	v_mov_b32_dpp v24, v9 row_shr:1 row_mask:0xf bank_mask:0xf
	v_add_u32_e32 v11, v11, v8
	v_add_u32_e32 v24, v24, v9
	v_cndmask_b32_e32 v9, v24, v9, vcc
	v_cndmask_b32_e32 v8, v11, v8, vcc
	v_cmp_lt_u32_e32 vcc, 1, v10
	v_mov_b32_dpp v24, v9 row_shr:2 row_mask:0xf bank_mask:0xf
	v_mov_b32_dpp v11, v8 row_shr:2 row_mask:0xf bank_mask:0xf
	v_cndmask_b32_e32 v10, 0, v11, vcc
	v_cndmask_b32_e32 v11, 0, v24, vcc
	v_add_u32_e32 v9, v11, v9
	v_add_u32_e32 v8, v10, v8
	ds_write_b64 v1, v[8:9]
.LBB1269_95:
	s_or_b64 exec, exec, s[8:9]
	v_cmp_gt_u32_e32 vcc, 64, v0
	v_cmp_lt_u32_e64 s[8:9], 63, v0
	s_waitcnt lgkmcnt(0)
	s_barrier
	s_waitcnt lgkmcnt(0)
                                        ; implicit-def: $vgpr25
	s_and_saveexec_b64 s[10:11], s[8:9]
	s_xor_b64 s[8:9], exec, s[10:11]
	s_cbranch_execz .LBB1269_97
; %bb.96:
	v_lshl_add_u32 v1, v86, 3, -8
	ds_read_b64 v[24:25], v1
	s_waitcnt lgkmcnt(0)
	v_add_u32_e32 v7, v25, v7
	v_add_u32_e32 v6, v24, v6
.LBB1269_97:
	s_andn2_saveexec_b64 s[8:9], s[8:9]
; %bb.98:
                                        ; implicit-def: $vgpr24
; %bb.99:
	s_or_b64 exec, exec, s[8:9]
	v_add_u32_e32 v1, -1, v85
	v_and_b32_e32 v8, 64, v85
	v_cmp_lt_i32_e64 s[8:9], v1, v8
	v_cndmask_b32_e64 v1, v1, v85, s[8:9]
	v_lshlrev_b32_e32 v8, 2, v1
	ds_bpermute_b32 v1, v8, v6
	ds_bpermute_b32 v92, v8, v7
	v_cmp_eq_u32_e64 s[8:9], 0, v85
	s_and_saveexec_b64 s[10:11], vcc
	s_cbranch_execz .LBB1269_122
; %bb.100:
	v_mov_b32_e32 v11, 0
	ds_read_b64 v[26:27], v11 offset:24
	s_and_saveexec_b64 s[12:13], s[8:9]
	s_cbranch_execz .LBB1269_102
; %bb.101:
	s_add_i32 s14, s33, 64
	s_mov_b32 s15, 0
	s_lshl_b64 s[14:15], s[14:15], 4
	s_waitcnt lgkmcnt(0)
	v_and_b32_e32 v6, 0xff000000, v27
	v_and_b32_e32 v7, 0xff0000, v27
	s_add_u32 s14, s50, s14
	v_or_b32_e32 v6, v7, v6
	v_and_b32_e32 v7, 0xff00, v27
	s_addc_u32 s15, s51, s15
	v_or_b32_e32 v6, v6, v7
	v_or_b32_sdwa v9, v6, v27 dst_sel:DWORD dst_unused:UNUSED_PAD src0_sel:DWORD src1_sel:BYTE_0
	v_mov_b32_e32 v10, 1
	v_mov_b32_e32 v8, v26
	v_pk_mov_b32 v[6:7], s[14:15], s[14:15] op_sel:[0,1]
	;;#ASMSTART
	global_store_dwordx4 v[6:7], v[8:11] off	
s_waitcnt vmcnt(0)
	;;#ASMEND
.LBB1269_102:
	s_or_b64 exec, exec, s[12:13]
	v_xad_u32 v28, v85, -1, s33
	v_add_u32_e32 v10, 64, v28
	v_lshlrev_b64 v[6:7], 4, v[10:11]
	v_mov_b32_e32 v8, s51
	v_add_co_u32_e32 v30, vcc, s50, v6
	v_addc_co_u32_e32 v31, vcc, v8, v7, vcc
	;;#ASMSTART
	global_load_dwordx4 v[6:9], v[30:31] off glc	
s_waitcnt vmcnt(0)
	;;#ASMEND
	v_and_b32_e32 v9, 0xff, v7
	v_and_b32_e32 v10, 0xff00, v7
	v_or3_b32 v9, 0, v9, v10
	v_or3_b32 v6, v6, 0, 0
	v_and_b32_e32 v10, 0xff000000, v7
	v_and_b32_e32 v7, 0xff0000, v7
	v_or3_b32 v7, v9, v7, v10
	v_or3_b32 v6, v6, 0, 0
	v_cmp_eq_u16_sdwa s[14:15], v8, v11 src0_sel:BYTE_0 src1_sel:DWORD
	s_and_saveexec_b64 s[12:13], s[14:15]
	s_cbranch_execz .LBB1269_108
; %bb.103:
	s_mov_b32 s17, 1
	s_mov_b64 s[14:15], 0
	v_mov_b32_e32 v10, 0
.LBB1269_104:                           ; =>This Loop Header: Depth=1
                                        ;     Child Loop BB1269_105 Depth 2
	s_max_u32 s18, s17, 1
.LBB1269_105:                           ;   Parent Loop BB1269_104 Depth=1
                                        ; =>  This Inner Loop Header: Depth=2
	s_add_i32 s18, s18, -1
	s_cmp_eq_u32 s18, 0
	s_sleep 1
	s_cbranch_scc0 .LBB1269_105
; %bb.106:                              ;   in Loop: Header=BB1269_104 Depth=1
	s_cmp_lt_u32 s17, 32
	s_cselect_b64 s[18:19], -1, 0
	s_cmp_lg_u64 s[18:19], 0
	s_addc_u32 s17, s17, 0
	;;#ASMSTART
	global_load_dwordx4 v[6:9], v[30:31] off glc	
s_waitcnt vmcnt(0)
	;;#ASMEND
	v_cmp_ne_u16_sdwa s[18:19], v8, v10 src0_sel:BYTE_0 src1_sel:DWORD
	s_or_b64 s[14:15], s[18:19], s[14:15]
	s_andn2_b64 exec, exec, s[14:15]
	s_cbranch_execnz .LBB1269_104
; %bb.107:
	s_or_b64 exec, exec, s[14:15]
.LBB1269_108:
	s_or_b64 exec, exec, s[12:13]
	v_and_b32_e32 v94, 63, v85
	v_cmp_ne_u32_e32 vcc, 63, v94
	v_mov_b32_e32 v93, 2
	v_addc_co_u32_e32 v30, vcc, 0, v85, vcc
	v_cmp_eq_u16_sdwa s[12:13], v8, v93 src0_sel:BYTE_0 src1_sel:DWORD
	v_lshlrev_b64 v[10:11], v85, -1
	v_lshlrev_b32_e32 v95, 2, v30
	v_and_b32_e32 v9, s13, v11
	ds_bpermute_b32 v30, v95, v6
	ds_bpermute_b32 v31, v95, v7
	v_or_b32_e32 v9, 0x80000000, v9
	v_and_b32_e32 v29, s12, v10
	v_ffbl_b32_e32 v9, v9
	v_add_u32_e32 v9, 32, v9
	v_ffbl_b32_e32 v29, v29
	v_min_u32_e32 v9, v29, v9
	s_waitcnt lgkmcnt(1)
	v_add_u32_e32 v29, v30, v6
	s_waitcnt lgkmcnt(0)
	v_add_u32_e32 v30, v31, v7
	v_cmp_lt_u32_e32 vcc, v94, v9
	v_cndmask_b32_e32 v7, v7, v30, vcc
	v_cndmask_b32_e32 v6, v6, v29, vcc
	v_cmp_gt_u32_e32 vcc, 62, v94
	v_cndmask_b32_e64 v29, 0, 1, vcc
	v_lshlrev_b32_e32 v29, 1, v29
	v_add_lshl_u32 v96, v29, v85, 2
	ds_bpermute_b32 v29, v96, v6
	ds_bpermute_b32 v30, v96, v7
	v_add_u32_e32 v97, 2, v94
	v_cmp_gt_u32_e32 vcc, v97, v9
	v_add_u32_e32 v99, 4, v94
	s_waitcnt lgkmcnt(1)
	v_add_u32_e32 v29, v6, v29
	s_waitcnt lgkmcnt(0)
	v_add_u32_e32 v30, v7, v30
	v_cndmask_b32_e32 v7, v30, v7, vcc
	v_cndmask_b32_e32 v6, v29, v6, vcc
	v_cmp_gt_u32_e32 vcc, 60, v94
	v_cndmask_b32_e64 v29, 0, 1, vcc
	v_lshlrev_b32_e32 v29, 2, v29
	v_add_lshl_u32 v98, v29, v85, 2
	ds_bpermute_b32 v29, v98, v6
	ds_bpermute_b32 v30, v98, v7
	v_cmp_gt_u32_e32 vcc, v99, v9
	v_add_u32_e32 v101, 8, v94
	v_add_u32_e32 v103, 16, v94
	s_waitcnt lgkmcnt(1)
	v_add_u32_e32 v29, v6, v29
	s_waitcnt lgkmcnt(0)
	v_add_u32_e32 v30, v7, v30
	v_cndmask_b32_e32 v7, v30, v7, vcc
	v_cndmask_b32_e32 v6, v29, v6, vcc
	v_cmp_gt_u32_e32 vcc, 56, v94
	v_cndmask_b32_e64 v29, 0, 1, vcc
	v_lshlrev_b32_e32 v29, 3, v29
	v_add_lshl_u32 v100, v29, v85, 2
	ds_bpermute_b32 v29, v100, v6
	ds_bpermute_b32 v30, v100, v7
	v_cmp_gt_u32_e32 vcc, v101, v9
	v_add_u32_e32 v105, 32, v94
	s_waitcnt lgkmcnt(1)
	v_add_u32_e32 v29, v6, v29
	s_waitcnt lgkmcnt(0)
	v_add_u32_e32 v30, v7, v30
	v_cndmask_b32_e32 v7, v30, v7, vcc
	v_cndmask_b32_e32 v6, v29, v6, vcc
	v_cmp_gt_u32_e32 vcc, 48, v94
	v_cndmask_b32_e64 v29, 0, 1, vcc
	v_lshlrev_b32_e32 v29, 4, v29
	v_add_lshl_u32 v102, v29, v85, 2
	ds_bpermute_b32 v29, v102, v6
	ds_bpermute_b32 v30, v102, v7
	v_cmp_gt_u32_e32 vcc, v103, v9
	s_waitcnt lgkmcnt(1)
	v_add_u32_e32 v29, v6, v29
	s_waitcnt lgkmcnt(0)
	v_add_u32_e32 v30, v7, v30
	v_cndmask_b32_e32 v7, v30, v7, vcc
	v_cndmask_b32_e32 v6, v29, v6, vcc
	v_cmp_gt_u32_e32 vcc, 32, v94
	v_cndmask_b32_e64 v29, 0, 1, vcc
	v_lshlrev_b32_e32 v29, 5, v29
	v_add_lshl_u32 v104, v29, v85, 2
	ds_bpermute_b32 v29, v104, v6
	ds_bpermute_b32 v30, v104, v7
	v_cmp_le_u32_e32 vcc, v105, v9
	s_waitcnt lgkmcnt(1)
	v_cndmask_b32_e32 v9, 0, v29, vcc
	s_waitcnt lgkmcnt(0)
	v_cndmask_b32_e32 v29, 0, v30, vcc
	v_add_u32_e32 v7, v7, v29
	v_add_u32_e32 v6, v6, v9
	v_mov_b32_e32 v29, 0
	s_branch .LBB1269_110
.LBB1269_109:                           ;   in Loop: Header=BB1269_110 Depth=1
	s_or_b64 exec, exec, s[12:13]
	v_cmp_eq_u16_sdwa s[12:13], v8, v93 src0_sel:BYTE_0 src1_sel:DWORD
	v_and_b32_e32 v9, s13, v11
	ds_bpermute_b32 v33, v95, v6
	ds_bpermute_b32 v106, v95, v7
	v_or_b32_e32 v9, 0x80000000, v9
	v_and_b32_e32 v32, s12, v10
	v_ffbl_b32_e32 v9, v9
	v_add_u32_e32 v9, 32, v9
	v_ffbl_b32_e32 v32, v32
	v_min_u32_e32 v9, v32, v9
	s_waitcnt lgkmcnt(1)
	v_add_u32_e32 v32, v33, v6
	s_waitcnt lgkmcnt(0)
	v_add_u32_e32 v33, v106, v7
	v_cmp_lt_u32_e32 vcc, v94, v9
	v_cndmask_b32_e32 v7, v7, v33, vcc
	v_cndmask_b32_e32 v6, v6, v32, vcc
	ds_bpermute_b32 v32, v96, v6
	ds_bpermute_b32 v33, v96, v7
	v_cmp_gt_u32_e32 vcc, v97, v9
	v_subrev_u32_e32 v28, 64, v28
	s_waitcnt lgkmcnt(1)
	v_add_u32_e32 v32, v6, v32
	s_waitcnt lgkmcnt(0)
	v_add_u32_e32 v33, v7, v33
	v_cndmask_b32_e32 v7, v33, v7, vcc
	v_cndmask_b32_e32 v6, v32, v6, vcc
	ds_bpermute_b32 v32, v98, v6
	ds_bpermute_b32 v33, v98, v7
	v_cmp_gt_u32_e32 vcc, v99, v9
	s_waitcnt lgkmcnt(1)
	v_add_u32_e32 v32, v6, v32
	s_waitcnt lgkmcnt(0)
	v_add_u32_e32 v33, v7, v33
	v_cndmask_b32_e32 v7, v33, v7, vcc
	v_cndmask_b32_e32 v6, v32, v6, vcc
	ds_bpermute_b32 v32, v100, v6
	ds_bpermute_b32 v33, v100, v7
	v_cmp_gt_u32_e32 vcc, v101, v9
	s_waitcnt lgkmcnt(1)
	v_add_u32_e32 v32, v6, v32
	s_waitcnt lgkmcnt(0)
	v_add_u32_e32 v33, v7, v33
	v_cndmask_b32_e32 v7, v33, v7, vcc
	v_cndmask_b32_e32 v6, v32, v6, vcc
	ds_bpermute_b32 v32, v102, v6
	ds_bpermute_b32 v33, v102, v7
	v_cmp_gt_u32_e32 vcc, v103, v9
	s_waitcnt lgkmcnt(1)
	v_add_u32_e32 v32, v6, v32
	s_waitcnt lgkmcnt(0)
	v_add_u32_e32 v33, v7, v33
	v_cndmask_b32_e32 v7, v33, v7, vcc
	v_cndmask_b32_e32 v6, v32, v6, vcc
	ds_bpermute_b32 v32, v104, v6
	ds_bpermute_b32 v33, v104, v7
	v_cmp_le_u32_e32 vcc, v105, v9
	s_waitcnt lgkmcnt(1)
	v_cndmask_b32_e32 v9, 0, v32, vcc
	s_waitcnt lgkmcnt(0)
	v_cndmask_b32_e32 v32, 0, v33, vcc
	v_add3_u32 v7, v32, v31, v7
	v_add3_u32 v6, v9, v30, v6
.LBB1269_110:                           ; =>This Loop Header: Depth=1
                                        ;     Child Loop BB1269_113 Depth 2
                                        ;       Child Loop BB1269_114 Depth 3
	v_cmp_ne_u16_sdwa s[12:13], v8, v93 src0_sel:BYTE_0 src1_sel:DWORD
	v_cndmask_b32_e64 v8, 0, 1, s[12:13]
	;;#ASMSTART
	;;#ASMEND
	v_cmp_ne_u32_e32 vcc, 0, v8
	s_cmp_lg_u64 vcc, exec
	v_pk_mov_b32 v[30:31], v[6:7], v[6:7] op_sel:[0,1]
	s_cbranch_scc1 .LBB1269_117
; %bb.111:                              ;   in Loop: Header=BB1269_110 Depth=1
	v_lshlrev_b64 v[6:7], 4, v[28:29]
	v_mov_b32_e32 v8, s51
	v_add_co_u32_e32 v32, vcc, s50, v6
	v_addc_co_u32_e32 v33, vcc, v8, v7, vcc
	;;#ASMSTART
	global_load_dwordx4 v[6:9], v[32:33] off glc	
s_waitcnt vmcnt(0)
	;;#ASMEND
	v_and_b32_e32 v9, 0xff, v7
	v_and_b32_e32 v106, 0xff00, v7
	v_or3_b32 v9, 0, v9, v106
	v_or3_b32 v6, v6, 0, 0
	v_and_b32_e32 v106, 0xff000000, v7
	v_and_b32_e32 v7, 0xff0000, v7
	v_or3_b32 v7, v9, v7, v106
	v_or3_b32 v6, v6, 0, 0
	v_cmp_eq_u16_sdwa s[14:15], v8, v29 src0_sel:BYTE_0 src1_sel:DWORD
	s_and_saveexec_b64 s[12:13], s[14:15]
	s_cbranch_execz .LBB1269_109
; %bb.112:                              ;   in Loop: Header=BB1269_110 Depth=1
	s_mov_b32 s17, 1
	s_mov_b64 s[14:15], 0
.LBB1269_113:                           ;   Parent Loop BB1269_110 Depth=1
                                        ; =>  This Loop Header: Depth=2
                                        ;       Child Loop BB1269_114 Depth 3
	s_max_u32 s18, s17, 1
.LBB1269_114:                           ;   Parent Loop BB1269_110 Depth=1
                                        ;     Parent Loop BB1269_113 Depth=2
                                        ; =>    This Inner Loop Header: Depth=3
	s_add_i32 s18, s18, -1
	s_cmp_eq_u32 s18, 0
	s_sleep 1
	s_cbranch_scc0 .LBB1269_114
; %bb.115:                              ;   in Loop: Header=BB1269_113 Depth=2
	s_cmp_lt_u32 s17, 32
	s_cselect_b64 s[18:19], -1, 0
	s_cmp_lg_u64 s[18:19], 0
	s_addc_u32 s17, s17, 0
	;;#ASMSTART
	global_load_dwordx4 v[6:9], v[32:33] off glc	
s_waitcnt vmcnt(0)
	;;#ASMEND
	v_cmp_ne_u16_sdwa s[18:19], v8, v29 src0_sel:BYTE_0 src1_sel:DWORD
	s_or_b64 s[14:15], s[18:19], s[14:15]
	s_andn2_b64 exec, exec, s[14:15]
	s_cbranch_execnz .LBB1269_113
; %bb.116:                              ;   in Loop: Header=BB1269_110 Depth=1
	s_or_b64 exec, exec, s[14:15]
	s_branch .LBB1269_109
.LBB1269_117:                           ;   in Loop: Header=BB1269_110 Depth=1
                                        ; implicit-def: $vgpr8
                                        ; implicit-def: $vgpr6_vgpr7
	s_cbranch_execz .LBB1269_110
; %bb.118:
	s_and_saveexec_b64 s[12:13], s[8:9]
	s_cbranch_execz .LBB1269_120
; %bb.119:
	s_add_i32 s14, s33, 64
	s_mov_b32 s15, 0
	v_add_u32_e32 v7, v31, v27
	s_lshl_b64 s[14:15], s[14:15], 4
	s_add_u32 s14, s50, s14
	v_and_b32_e32 v8, 0xff000000, v7
	v_and_b32_e32 v10, 0xff0000, v7
	s_addc_u32 s15, s51, s15
	v_or_b32_e32 v8, v10, v8
	v_and_b32_e32 v10, 0xff00, v7
	v_and_b32_e32 v7, 0xff, v7
	v_add_u32_e32 v6, v30, v26
	v_mov_b32_e32 v9, 0
	v_or3_b32 v7, v8, v10, v7
	v_mov_b32_e32 v8, 2
	v_pk_mov_b32 v[10:11], s[14:15], s[14:15] op_sel:[0,1]
	;;#ASMSTART
	global_store_dwordx4 v[10:11], v[6:9] off	
s_waitcnt vmcnt(0)
	;;#ASMEND
	s_movk_i32 s14, 0x3400
	v_add_u32_e64 v6, s14, 0
	ds_write2_b32 v6, v26, v27 offset1:2
	ds_write2_b32 v6, v30, v31 offset0:4 offset1:6
.LBB1269_120:
	s_or_b64 exec, exec, s[12:13]
	s_and_b64 exec, exec, s[0:1]
	s_cbranch_execz .LBB1269_122
; %bb.121:
	v_mov_b32_e32 v6, 0
	ds_write_b64 v6, v[30:31] offset:24
.LBB1269_122:
	s_or_b64 exec, exec, s[10:11]
	v_mov_b32_e32 v6, 0
	s_waitcnt lgkmcnt(0)
	s_barrier
	ds_read_b64 v[10:11], v6 offset:24
	v_cndmask_b32_e64 v25, v92, v25, s[8:9]
	v_cndmask_b32_e64 v1, v1, v24, s[8:9]
	s_movk_i32 s8, 0x3400
	s_waitcnt lgkmcnt(0)
	v_add_u32_e32 v24, v10, v1
	v_add_u32_e64 v1, s8, 0
	s_barrier
	ds_read2_b32 v[6:7], v1 offset1:2
	ds_read2_b32 v[8:9], v1 offset0:4 offset1:6
	v_add_u32_e32 v1, v11, v25
	v_cndmask_b32_e64 v1, v1, v11, s[0:1]
	v_cndmask_b32_e64 v10, v24, v10, s[0:1]
	s_branch .LBB1269_133
.LBB1269_123:
                                        ; implicit-def: $vgpr1
                                        ; implicit-def: $vgpr8
                                        ; implicit-def: $vgpr6
                                        ; implicit-def: $vgpr10_vgpr11
	s_cbranch_execz .LBB1269_133
; %bb.124:
	s_nop 0
	v_mov_b32_dpp v1, v90 row_shr:1 row_mask:0xf bank_mask:0xf
	s_waitcnt lgkmcnt(1)
	v_mov_b32_dpp v6, v91 row_shr:1 row_mask:0xf bank_mask:0xf
	v_add_u32_e32 v1, v1, v90
	v_add_u32_e32 v6, v6, v91
	v_cndmask_b32_e64 v6, v6, v91, s[6:7]
	v_cndmask_b32_e64 v1, v1, v90, s[6:7]
	v_cmp_lt_u32_e32 vcc, 3, v89
	s_waitcnt lgkmcnt(0)
	v_mov_b32_dpp v8, v6 row_shr:2 row_mask:0xf bank_mask:0xf
	v_mov_b32_dpp v7, v1 row_shr:2 row_mask:0xf bank_mask:0xf
	v_add_u32_e32 v7, v1, v7
	v_add_u32_e32 v8, v6, v8
	v_cndmask_b32_e64 v6, v6, v8, s[4:5]
	v_cndmask_b32_e64 v1, v1, v7, s[4:5]
	s_nop 0
	v_mov_b32_dpp v8, v6 row_shr:4 row_mask:0xf bank_mask:0xf
	v_mov_b32_dpp v7, v1 row_shr:4 row_mask:0xf bank_mask:0xf
	v_add_u32_e32 v7, v1, v7
	v_add_u32_e32 v8, v6, v8
	v_cndmask_b32_e32 v6, v6, v8, vcc
	v_cndmask_b32_e32 v1, v1, v7, vcc
	v_cmp_lt_u32_e32 vcc, 7, v89
	v_mov_b32_dpp v8, v6 row_shr:8 row_mask:0xf bank_mask:0xf
	v_mov_b32_dpp v7, v1 row_shr:8 row_mask:0xf bank_mask:0xf
	v_add_u32_e32 v7, v1, v7
	v_add_u32_e32 v8, v6, v8
	v_cndmask_b32_e32 v6, v6, v8, vcc
	v_cndmask_b32_e32 v1, v1, v7, vcc
	v_cmp_eq_u32_e32 vcc, 0, v88
	v_mov_b32_dpp v8, v6 row_bcast:15 row_mask:0xf bank_mask:0xf
	v_mov_b32_dpp v7, v1 row_bcast:15 row_mask:0xf bank_mask:0xf
	v_add_u32_e32 v7, v1, v7
	v_add_u32_e32 v8, v6, v8
	v_cndmask_b32_e32 v6, v8, v6, vcc
	v_cndmask_b32_e32 v1, v7, v1, vcc
	v_cmp_lt_u32_e32 vcc, 31, v85
	v_mov_b32_dpp v8, v6 row_bcast:31 row_mask:0xf bank_mask:0xf
	v_mov_b32_dpp v7, v1 row_bcast:31 row_mask:0xf bank_mask:0xf
	v_add_u32_e32 v8, v6, v8
	v_add_u32_e32 v9, v1, v7
	v_cndmask_b32_e32 v7, v6, v8, vcc
	v_cndmask_b32_e32 v6, v1, v9, vcc
	v_cmp_eq_u32_e32 vcc, v87, v0
	s_and_saveexec_b64 s[4:5], vcc
	s_cbranch_execz .LBB1269_126
; %bb.125:
	v_lshlrev_b32_e32 v1, 3, v86
	ds_write_b64 v1, v[6:7]
.LBB1269_126:
	s_or_b64 exec, exec, s[4:5]
	v_cmp_gt_u32_e32 vcc, 4, v0
	s_waitcnt lgkmcnt(0)
	s_barrier
	s_and_saveexec_b64 s[4:5], vcc
	s_cbranch_execz .LBB1269_128
; %bb.127:
	v_lshlrev_b32_e32 v1, 3, v0
	ds_read_b64 v[8:9], v1
	v_and_b32_e32 v10, 3, v85
	v_cmp_eq_u32_e32 vcc, 0, v10
	s_waitcnt lgkmcnt(0)
	v_mov_b32_dpp v11, v8 row_shr:1 row_mask:0xf bank_mask:0xf
	v_mov_b32_dpp v24, v9 row_shr:1 row_mask:0xf bank_mask:0xf
	v_add_u32_e32 v11, v11, v8
	v_add_u32_e32 v24, v24, v9
	v_cndmask_b32_e32 v9, v24, v9, vcc
	v_cndmask_b32_e32 v8, v11, v8, vcc
	v_cmp_lt_u32_e32 vcc, 1, v10
	v_mov_b32_dpp v24, v9 row_shr:2 row_mask:0xf bank_mask:0xf
	v_mov_b32_dpp v11, v8 row_shr:2 row_mask:0xf bank_mask:0xf
	v_cndmask_b32_e32 v10, 0, v11, vcc
	v_cndmask_b32_e32 v11, 0, v24, vcc
	v_add_u32_e32 v9, v11, v9
	v_add_u32_e32 v8, v10, v8
	ds_write_b64 v1, v[8:9]
.LBB1269_128:
	s_or_b64 exec, exec, s[4:5]
	v_cmp_lt_u32_e32 vcc, 63, v0
	v_mov_b32_e32 v8, 0
	v_mov_b32_e32 v10, 0
	;; [unrolled: 1-line block ×3, first 2 shown]
	s_waitcnt lgkmcnt(0)
	s_barrier
	s_and_saveexec_b64 s[4:5], vcc
	s_cbranch_execz .LBB1269_130
; %bb.129:
	v_lshl_add_u32 v1, v86, 3, -8
	ds_read_b64 v[10:11], v1
.LBB1269_130:
	s_or_b64 exec, exec, s[4:5]
	s_waitcnt lgkmcnt(0)
	v_add_u32_e32 v9, v11, v7
	v_add_u32_e32 v1, v10, v6
	v_add_u32_e32 v6, -1, v85
	v_and_b32_e32 v7, 64, v85
	v_cmp_lt_i32_e32 vcc, v6, v7
	v_cndmask_b32_e32 v6, v6, v85, vcc
	v_lshlrev_b32_e32 v24, 2, v6
	ds_read_b64 v[6:7], v8 offset:24
	ds_bpermute_b32 v1, v24, v1
	ds_bpermute_b32 v24, v24, v9
	s_waitcnt lgkmcnt(2)
	v_readfirstlane_b32 s6, v7
	s_and_saveexec_b64 s[4:5], s[0:1]
	s_cbranch_execz .LBB1269_132
; %bb.131:
	s_add_u32 s8, s50, 0x400
	s_mov_b32 s10, 0
	s_addc_u32 s9, s51, 0
	s_and_b32 s11, s6, 0xff000000
	s_and_b32 s13, s6, 0xff0000
	s_mov_b32 s12, s10
	s_or_b64 s[12:13], s[12:13], s[10:11]
	s_and_b32 s11, s6, 0xff00
	s_or_b64 s[12:13], s[12:13], s[10:11]
	s_and_b32 s11, s6, 0xff
	s_or_b64 s[10:11], s[12:13], s[10:11]
	v_mov_b32_e32 v7, s11
	v_mov_b32_e32 v8, 2
	;; [unrolled: 1-line block ×3, first 2 shown]
	v_pk_mov_b32 v[26:27], s[8:9], s[8:9] op_sel:[0,1]
	;;#ASMSTART
	global_store_dwordx4 v[26:27], v[6:9] off	
s_waitcnt vmcnt(0)
	;;#ASMEND
.LBB1269_132:
	s_or_b64 exec, exec, s[4:5]
	v_cmp_eq_u32_e32 vcc, 0, v85
	s_waitcnt lgkmcnt(1)
	v_cndmask_b32_e32 v7, v1, v10, vcc
	s_waitcnt lgkmcnt(0)
	v_cndmask_b32_e32 v1, v24, v11, vcc
	v_mov_b32_e32 v8, 0
	v_cndmask_b32_e64 v1, v1, 0, s[0:1]
	v_cndmask_b32_e64 v10, v7, 0, s[0:1]
	s_barrier
	v_mov_b32_e32 v7, s6
	v_mov_b32_e32 v9, 0
.LBB1269_133:
	v_add_u32_e32 v11, v10, v67
	v_add_u32_e32 v26, v1, v68
	;; [unrolled: 1-line block ×13, first 2 shown]
	s_waitcnt vmcnt(0) lgkmcnt(0)
	v_add_co_u32_e32 v2, vcc, v2, v8
	v_add_u32_e32 v68, v62, v74
	v_add_u32_e32 v64, v67, v64
	v_addc_co_u32_e32 v3, vcc, 0, v3, vcc
	v_add_u32_e32 v69, v68, v82
	v_add_u32_e32 v70, v64, v75
	v_sub_co_u32_e32 v24, vcc, v4, v6
	v_add_u32_e32 v71, v69, v76
	v_add_u32_e32 v65, v70, v65
	v_subbrev_co_u32_e32 v25, vcc, 0, v5, vcc
	v_lshlrev_b32_e32 v76, 1, v6
	v_sub_u32_e32 v1, v1, v9
	v_add_u32_e32 v73, v65, v77
	v_add_co_u32_e32 v24, vcc, v24, v9
	v_add_u32_e32 v77, v76, v7
	v_sub_u32_e32 v10, v10, v8
	v_add_u32_e32 v1, v1, v6
	v_addc_co_u32_e32 v25, vcc, 0, v25, vcc
	v_add_u32_e32 v36, v77, v36
	v_and_b32_e32 v38, 1, v38
	v_add_u32_e32 v77, v10, v1
	v_and_b32_e32 v37, 1, v37
	v_sub_u32_e32 v77, v36, v77
	v_cmp_eq_u32_e32 vcc, 1, v38
	v_cndmask_b32_e32 v1, v77, v1, vcc
	v_cmp_eq_u32_e32 vcc, 1, v37
	v_cndmask_b32_e32 v1, v1, v10, vcc
	v_lshlrev_b32_e32 v1, 2, v1
	ds_write_b32 v1, v22
	v_sub_u32_e32 v1, v11, v8
	v_sub_u32_e32 v11, v26, v9
	v_add_u32_e32 v11, v11, v6
	v_add_u32_e32 v26, v11, v1
	v_and_b32_e32 v22, 1, v40
	v_sub_u32_e32 v26, v36, v26
	v_and_b32_e32 v10, 1, v39
	v_add_u32_e32 v26, 1, v26
	v_cmp_eq_u32_e32 vcc, 1, v22
	v_cndmask_b32_e32 v11, v26, v11, vcc
	v_cmp_eq_u32_e32 vcc, 1, v10
	v_cndmask_b32_e32 v1, v11, v1, vcc
	v_lshlrev_b32_e32 v1, 2, v1
	v_sub_u32_e32 v11, v27, v9
	ds_write_b32 v1, v23
	v_sub_u32_e32 v1, v28, v8
	v_add_u32_e32 v11, v11, v6
	v_add_u32_e32 v23, v11, v1
	v_and_b32_e32 v22, 1, v42
	v_sub_u32_e32 v23, v36, v23
	v_and_b32_e32 v10, 1, v41
	v_add_u32_e32 v23, 2, v23
	v_cmp_eq_u32_e32 vcc, 1, v22
	v_cndmask_b32_e32 v11, v23, v11, vcc
	v_cmp_eq_u32_e32 vcc, 1, v10
	v_cndmask_b32_e32 v1, v11, v1, vcc
	v_lshlrev_b32_e32 v1, 2, v1
	v_sub_u32_e32 v11, v30, v9
	ds_write_b32 v1, v20
	;; [unrolled: 14-line block ×8, first 2 shown]
	v_sub_u32_e32 v1, v70, v8
	v_add_u32_e32 v11, v11, v6
	v_add_u32_e32 v16, v1, v11
	v_and_b32_e32 v14, 1, v55
	v_sub_u32_e32 v16, v36, v16
	v_and_b32_e32 v10, 1, v56
	v_add_u32_e32 v16, 9, v16
	v_cmp_eq_u32_e32 vcc, 1, v14
	v_cndmask_b32_e32 v11, v16, v11, vcc
	v_cmp_eq_u32_e32 vcc, 1, v10
	v_add_u32_e32 v72, v71, v83
	v_cndmask_b32_e32 v1, v11, v1, vcc
	v_lshlrev_b32_e32 v1, 2, v1
	v_sub_u32_e32 v11, v72, v9
	ds_write_b32 v1, v15
	v_sub_u32_e32 v1, v65, v8
	v_add_u32_e32 v11, v11, v6
	v_add_u32_e32 v15, v1, v11
	v_and_b32_e32 v14, 1, v57
	v_sub_u32_e32 v15, v36, v15
	v_and_b32_e32 v10, 1, v58
	v_add_u32_e32 v15, 10, v15
	v_cmp_eq_u32_e32 vcc, 1, v14
	v_cndmask_b32_e32 v11, v15, v11, vcc
	v_cmp_eq_u32_e32 vcc, 1, v10
	v_add_u32_e32 v74, v72, v78
	v_cndmask_b32_e32 v1, v11, v1, vcc
	v_lshlrev_b32_e32 v1, 2, v1
	v_sub_u32_e32 v11, v74, v9
	ds_write_b32 v1, v12
	v_sub_u32_e32 v1, v73, v8
	v_add_u32_e32 v11, v11, v6
	v_add_u32_e32 v14, v1, v11
	v_and_b32_e32 v12, 1, v59
	v_sub_u32_e32 v14, v36, v14
	v_and_b32_e32 v10, 1, v60
	v_add_u32_e32 v14, 11, v14
	v_cmp_eq_u32_e32 vcc, 1, v12
	v_cndmask_b32_e32 v11, v14, v11, vcc
	v_cmp_eq_u32_e32 vcc, 1, v10
	v_cndmask_b32_e32 v1, v11, v1, vcc
	v_add_u32_e32 v75, v74, v84
	v_add_u32_e32 v66, v73, v66
	v_lshlrev_b32_e32 v1, 2, v1
	ds_write_b32 v1, v13
	v_sub_u32_e32 v1, v66, v8
	v_sub_u32_e32 v8, v75, v9
	v_add_u32_e32 v8, v8, v6
	v_add_u32_e32 v10, v1, v8
	v_sub_u32_e32 v10, v36, v10
	v_add_u32_e32 v10, 12, v10
	v_cndmask_b32_e64 v8, v10, v8, s[54:55]
	v_cndmask_b32_e64 v1, v8, v1, s[52:53]
	v_lshlrev_b32_e32 v1, 2, v1
	ds_write_b32 v1, v35
	v_mov_b32_e32 v1, s49
	v_add_co_u32_e32 v8, vcc, s48, v34
	v_addc_co_u32_e32 v10, vcc, 0, v1, vcc
	v_add_co_u32_e32 v1, vcc, v7, v76
	v_addc_co_u32_e64 v11, s[4:5], 0, 0, vcc
	v_add_co_u32_e32 v1, vcc, v1, v24
	v_addc_co_u32_e32 v11, vcc, v11, v25, vcc
	v_add_co_u32_e32 v1, vcc, v1, v2
	v_addc_co_u32_e32 v11, vcc, v11, v3, vcc
	v_sub_co_u32_e32 v1, vcc, v8, v1
	v_subb_co_u32_e32 v8, vcc, v10, v11, vcc
	v_lshlrev_b64 v[10:11], 2, v[24:25]
	v_mov_b32_e32 v12, s47
	v_add_co_u32_e32 v10, vcc, s46, v10
	v_addc_co_u32_e32 v11, vcc, v12, v11, vcc
	v_lshlrev_b64 v[12:13], 2, v[2:3]
	v_mov_b32_e32 v15, s45
	v_add_co_u32_e32 v12, vcc, s44, v12
	s_add_u32 s8, s34, -4
	v_addc_co_u32_e32 v13, vcc, v15, v13, vcc
	s_addc_u32 s9, s35, -1
	v_add_u32_e32 v14, v6, v7
	s_and_b64 vcc, exec, s[2:3]
	s_mov_b64 s[2:3], -1
	s_waitcnt lgkmcnt(0)
	s_barrier
	s_cbranch_vccz .LBB1269_137
; %bb.134:
	s_and_b64 vcc, exec, s[2:3]
	s_cbranch_vccnz .LBB1269_242
.LBB1269_135:
	s_and_b64 s[0:1], s[0:1], s[30:31]
	s_and_saveexec_b64 s[2:3], s[0:1]
	s_cbranch_execnz .LBB1269_360
.LBB1269_136:
	s_endpgm
.LBB1269_137:
	v_cmp_le_u32_e32 vcc, v6, v0
	s_and_saveexec_b64 s[2:3], vcc
	s_xor_b64 s[2:3], exec, s[2:3]
	s_cbranch_execz .LBB1269_143
; %bb.138:
	v_cmp_le_u32_e32 vcc, v14, v0
	s_and_saveexec_b64 s[4:5], vcc
	s_xor_b64 s[4:5], exec, s[4:5]
	s_cbranch_execz .LBB1269_140
; %bb.139:
	v_lshlrev_b32_e32 v15, 2, v0
	v_add_co_u32_e32 v16, vcc, v1, v0
	ds_read_b32 v15, v15
	v_addc_co_u32_e32 v17, vcc, 0, v8, vcc
	v_lshlrev_b64 v[16:17], 2, v[16:17]
	v_mov_b32_e32 v18, s35
	v_sub_co_u32_e32 v16, vcc, s34, v16
	v_subb_co_u32_e32 v17, vcc, v18, v17, vcc
	s_waitcnt lgkmcnt(0)
	global_store_dword v[16:17], v15, off offset:-4
.LBB1269_140:
	s_andn2_saveexec_b64 s[4:5], s[4:5]
	s_cbranch_execz .LBB1269_142
; %bb.141:
	v_lshlrev_b32_e32 v15, 2, v0
	ds_read_b32 v16, v15
	v_readfirstlane_b32 s6, v10
	v_readfirstlane_b32 s7, v11
	s_waitcnt lgkmcnt(0)
	s_nop 3
	global_store_dword v15, v16, s[6:7]
.LBB1269_142:
	s_or_b64 exec, exec, s[4:5]
.LBB1269_143:
	s_andn2_saveexec_b64 s[2:3], s[2:3]
	s_cbranch_execz .LBB1269_145
; %bb.144:
	v_lshlrev_b32_e32 v15, 2, v0
	ds_read_b32 v16, v15
	v_readfirstlane_b32 s4, v12
	v_readfirstlane_b32 s5, v13
	s_waitcnt lgkmcnt(0)
	s_nop 3
	global_store_dword v15, v16, s[4:5]
.LBB1269_145:
	s_or_b64 exec, exec, s[2:3]
	v_or_b32_e32 v15, 0x100, v0
	v_cmp_le_u32_e32 vcc, v6, v15
	s_and_saveexec_b64 s[2:3], vcc
	s_xor_b64 s[2:3], exec, s[2:3]
	s_cbranch_execz .LBB1269_151
; %bb.146:
	v_cmp_le_u32_e32 vcc, v14, v15
	s_and_saveexec_b64 s[4:5], vcc
	s_xor_b64 s[4:5], exec, s[4:5]
	s_cbranch_execz .LBB1269_148
; %bb.147:
	v_lshlrev_b32_e32 v15, 2, v0
	ds_read_b32 v15, v15 offset:1024
	v_add_co_u32_e32 v16, vcc, v1, v0
	v_addc_co_u32_e32 v17, vcc, 0, v8, vcc
	v_lshlrev_b64 v[16:17], 2, v[16:17]
	v_mov_b32_e32 v18, s9
	v_sub_co_u32_e32 v16, vcc, s8, v16
	v_subb_co_u32_e32 v17, vcc, v18, v17, vcc
	s_waitcnt lgkmcnt(0)
	global_store_dword v[16:17], v15, off offset:-1024
.LBB1269_148:
	s_andn2_saveexec_b64 s[4:5], s[4:5]
	s_cbranch_execz .LBB1269_150
; %bb.149:
	v_lshlrev_b32_e32 v15, 2, v0
	ds_read_b32 v16, v15 offset:1024
	v_readfirstlane_b32 s6, v10
	v_readfirstlane_b32 s7, v11
	s_waitcnt lgkmcnt(0)
	s_nop 3
	global_store_dword v15, v16, s[6:7] offset:1024
.LBB1269_150:
	s_or_b64 exec, exec, s[4:5]
.LBB1269_151:
	s_andn2_saveexec_b64 s[2:3], s[2:3]
	s_cbranch_execz .LBB1269_153
; %bb.152:
	v_lshlrev_b32_e32 v15, 2, v0
	ds_read_b32 v16, v15 offset:1024
	v_readfirstlane_b32 s4, v12
	v_readfirstlane_b32 s5, v13
	s_waitcnt lgkmcnt(0)
	s_nop 3
	global_store_dword v15, v16, s[4:5] offset:1024
.LBB1269_153:
	s_or_b64 exec, exec, s[2:3]
	v_or_b32_e32 v15, 0x200, v0
	v_cmp_le_u32_e32 vcc, v6, v15
	s_and_saveexec_b64 s[2:3], vcc
	s_xor_b64 s[2:3], exec, s[2:3]
	s_cbranch_execz .LBB1269_159
; %bb.154:
	v_cmp_le_u32_e32 vcc, v14, v15
	s_and_saveexec_b64 s[4:5], vcc
	s_xor_b64 s[4:5], exec, s[4:5]
	s_cbranch_execz .LBB1269_156
; %bb.155:
	v_lshlrev_b32_e32 v15, 2, v0
	ds_read_b32 v15, v15 offset:2048
	v_add_co_u32_e32 v16, vcc, v1, v0
	v_addc_co_u32_e32 v17, vcc, 0, v8, vcc
	v_lshlrev_b64 v[16:17], 2, v[16:17]
	v_mov_b32_e32 v18, s9
	v_sub_co_u32_e32 v16, vcc, s8, v16
	v_subb_co_u32_e32 v17, vcc, v18, v17, vcc
	s_waitcnt lgkmcnt(0)
	global_store_dword v[16:17], v15, off offset:-2048
.LBB1269_156:
	s_andn2_saveexec_b64 s[4:5], s[4:5]
	s_cbranch_execz .LBB1269_158
; %bb.157:
	v_lshlrev_b32_e32 v15, 2, v0
	ds_read_b32 v16, v15 offset:2048
	v_readfirstlane_b32 s6, v10
	v_readfirstlane_b32 s7, v11
	s_waitcnt lgkmcnt(0)
	s_nop 3
	global_store_dword v15, v16, s[6:7] offset:2048
.LBB1269_158:
	s_or_b64 exec, exec, s[4:5]
.LBB1269_159:
	s_andn2_saveexec_b64 s[2:3], s[2:3]
	s_cbranch_execz .LBB1269_161
; %bb.160:
	v_lshlrev_b32_e32 v15, 2, v0
	ds_read_b32 v16, v15 offset:2048
	v_readfirstlane_b32 s4, v12
	v_readfirstlane_b32 s5, v13
	s_waitcnt lgkmcnt(0)
	s_nop 3
	global_store_dword v15, v16, s[4:5] offset:2048
.LBB1269_161:
	;; [unrolled: 47-line block ×3, first 2 shown]
	s_or_b64 exec, exec, s[2:3]
	v_or_b32_e32 v15, 0x400, v0
	v_cmp_le_u32_e32 vcc, v6, v15
	s_and_saveexec_b64 s[2:3], vcc
	s_xor_b64 s[2:3], exec, s[2:3]
	s_cbranch_execz .LBB1269_175
; %bb.170:
	v_cmp_le_u32_e32 vcc, v14, v15
	s_and_saveexec_b64 s[4:5], vcc
	s_xor_b64 s[4:5], exec, s[4:5]
	s_cbranch_execz .LBB1269_172
; %bb.171:
	v_lshlrev_b32_e32 v15, 2, v0
	ds_read_b32 v15, v15 offset:4096
	v_add_co_u32_e32 v16, vcc, v1, v0
	v_addc_co_u32_e32 v17, vcc, 0, v8, vcc
	v_lshlrev_b64 v[16:17], 2, v[16:17]
	v_mov_b32_e32 v18, s9
	v_sub_co_u32_e32 v16, vcc, s8, v16
	v_subb_co_u32_e32 v17, vcc, v18, v17, vcc
	s_waitcnt lgkmcnt(0)
	global_store_dword v[16:17], v15, off offset:-4096
                                        ; implicit-def: $vgpr15
.LBB1269_172:
	s_andn2_saveexec_b64 s[4:5], s[4:5]
	s_cbranch_execz .LBB1269_174
; %bb.173:
	v_lshlrev_b32_e32 v16, 2, v0
	ds_read_b32 v16, v16 offset:4096
	v_lshlrev_b32_e32 v15, 2, v15
	v_readfirstlane_b32 s6, v10
	v_readfirstlane_b32 s7, v11
	s_waitcnt lgkmcnt(0)
	s_nop 3
	global_store_dword v15, v16, s[6:7]
.LBB1269_174:
	s_or_b64 exec, exec, s[4:5]
                                        ; implicit-def: $vgpr15
.LBB1269_175:
	s_andn2_saveexec_b64 s[2:3], s[2:3]
	s_cbranch_execz .LBB1269_177
; %bb.176:
	v_lshlrev_b32_e32 v16, 2, v0
	ds_read_b32 v16, v16 offset:4096
	v_lshlrev_b32_e32 v15, 2, v15
	v_readfirstlane_b32 s4, v12
	v_readfirstlane_b32 s5, v13
	s_waitcnt lgkmcnt(0)
	s_nop 3
	global_store_dword v15, v16, s[4:5]
.LBB1269_177:
	s_or_b64 exec, exec, s[2:3]
	v_or_b32_e32 v15, 0x500, v0
	v_cmp_le_u32_e32 vcc, v6, v15
	s_and_saveexec_b64 s[2:3], vcc
	s_xor_b64 s[2:3], exec, s[2:3]
	s_cbranch_execz .LBB1269_183
; %bb.178:
	v_cmp_le_u32_e32 vcc, v14, v15
	s_and_saveexec_b64 s[4:5], vcc
	s_xor_b64 s[4:5], exec, s[4:5]
	s_cbranch_execz .LBB1269_180
; %bb.179:
	v_add_co_u32_e32 v16, vcc, v1, v15
	v_lshlrev_b32_e32 v15, 2, v0
	ds_read_b32 v15, v15 offset:5120
	v_addc_co_u32_e32 v17, vcc, 0, v8, vcc
	v_lshlrev_b64 v[16:17], 2, v[16:17]
	v_mov_b32_e32 v18, s9
	v_sub_co_u32_e32 v16, vcc, s8, v16
	v_subb_co_u32_e32 v17, vcc, v18, v17, vcc
	s_waitcnt lgkmcnt(0)
	global_store_dword v[16:17], v15, off
                                        ; implicit-def: $vgpr15
.LBB1269_180:
	s_andn2_saveexec_b64 s[4:5], s[4:5]
	s_cbranch_execz .LBB1269_182
; %bb.181:
	v_lshlrev_b32_e32 v16, 2, v0
	ds_read_b32 v16, v16 offset:5120
	v_lshlrev_b32_e32 v15, 2, v15
	v_readfirstlane_b32 s6, v10
	v_readfirstlane_b32 s7, v11
	s_waitcnt lgkmcnt(0)
	s_nop 3
	global_store_dword v15, v16, s[6:7]
.LBB1269_182:
	s_or_b64 exec, exec, s[4:5]
                                        ; implicit-def: $vgpr15
.LBB1269_183:
	s_andn2_saveexec_b64 s[2:3], s[2:3]
	s_cbranch_execz .LBB1269_185
; %bb.184:
	v_lshlrev_b32_e32 v16, 2, v0
	ds_read_b32 v16, v16 offset:5120
	v_lshlrev_b32_e32 v15, 2, v15
	v_readfirstlane_b32 s4, v12
	v_readfirstlane_b32 s5, v13
	s_waitcnt lgkmcnt(0)
	s_nop 3
	global_store_dword v15, v16, s[4:5]
.LBB1269_185:
	s_or_b64 exec, exec, s[2:3]
	v_or_b32_e32 v15, 0x600, v0
	v_cmp_le_u32_e32 vcc, v6, v15
	s_and_saveexec_b64 s[2:3], vcc
	s_xor_b64 s[2:3], exec, s[2:3]
	s_cbranch_execz .LBB1269_191
; %bb.186:
	v_cmp_le_u32_e32 vcc, v14, v15
	s_and_saveexec_b64 s[4:5], vcc
	s_xor_b64 s[4:5], exec, s[4:5]
	s_cbranch_execz .LBB1269_188
; %bb.187:
	v_add_co_u32_e32 v16, vcc, v1, v15
	v_lshlrev_b32_e32 v15, 2, v0
	ds_read_b32 v15, v15 offset:6144
	v_addc_co_u32_e32 v17, vcc, 0, v8, vcc
	v_lshlrev_b64 v[16:17], 2, v[16:17]
	v_mov_b32_e32 v18, s9
	v_sub_co_u32_e32 v16, vcc, s8, v16
	v_subb_co_u32_e32 v17, vcc, v18, v17, vcc
	s_waitcnt lgkmcnt(0)
	global_store_dword v[16:17], v15, off
                                        ; implicit-def: $vgpr15
.LBB1269_188:
	s_andn2_saveexec_b64 s[4:5], s[4:5]
	s_cbranch_execz .LBB1269_190
; %bb.189:
	v_lshlrev_b32_e32 v16, 2, v0
	ds_read_b32 v16, v16 offset:6144
	v_lshlrev_b32_e32 v15, 2, v15
	v_readfirstlane_b32 s6, v10
	v_readfirstlane_b32 s7, v11
	s_waitcnt lgkmcnt(0)
	s_nop 3
	global_store_dword v15, v16, s[6:7]
.LBB1269_190:
	s_or_b64 exec, exec, s[4:5]
                                        ; implicit-def: $vgpr15
.LBB1269_191:
	;; [unrolled: 51-line block ×8, first 2 shown]
	s_andn2_saveexec_b64 s[2:3], s[2:3]
	s_cbranch_execz .LBB1269_241
; %bb.240:
	v_lshlrev_b32_e32 v16, 2, v0
	ds_read_b32 v16, v16 offset:12288
	v_lshlrev_b32_e32 v15, 2, v15
	v_readfirstlane_b32 s4, v12
	v_readfirstlane_b32 s5, v13
	s_waitcnt lgkmcnt(0)
	s_nop 3
	global_store_dword v15, v16, s[4:5]
.LBB1269_241:
	s_or_b64 exec, exec, s[2:3]
	s_branch .LBB1269_135
.LBB1269_242:
	v_cmp_gt_u32_e32 vcc, s16, v0
	s_and_saveexec_b64 s[2:3], vcc
	s_cbranch_execz .LBB1269_251
; %bb.243:
	v_cmp_le_u32_e32 vcc, v6, v0
	s_and_saveexec_b64 s[4:5], vcc
	s_xor_b64 s[4:5], exec, s[4:5]
	s_cbranch_execz .LBB1269_249
; %bb.244:
	v_cmp_le_u32_e32 vcc, v14, v0
	s_and_saveexec_b64 s[6:7], vcc
	s_xor_b64 s[6:7], exec, s[6:7]
	s_cbranch_execz .LBB1269_246
; %bb.245:
	v_lshlrev_b32_e32 v15, 2, v0
	v_add_co_u32_e32 v16, vcc, v1, v0
	ds_read_b32 v15, v15
	v_addc_co_u32_e32 v17, vcc, 0, v8, vcc
	v_lshlrev_b64 v[16:17], 2, v[16:17]
	v_mov_b32_e32 v18, s35
	v_sub_co_u32_e32 v16, vcc, s34, v16
	v_subb_co_u32_e32 v17, vcc, v18, v17, vcc
	s_waitcnt lgkmcnt(0)
	global_store_dword v[16:17], v15, off offset:-4
.LBB1269_246:
	s_andn2_saveexec_b64 s[6:7], s[6:7]
	s_cbranch_execz .LBB1269_248
; %bb.247:
	v_lshlrev_b32_e32 v15, 2, v0
	ds_read_b32 v16, v15
	v_readfirstlane_b32 s10, v10
	v_readfirstlane_b32 s11, v11
	s_waitcnt lgkmcnt(0)
	s_nop 3
	global_store_dword v15, v16, s[10:11]
.LBB1269_248:
	s_or_b64 exec, exec, s[6:7]
.LBB1269_249:
	s_andn2_saveexec_b64 s[4:5], s[4:5]
	s_cbranch_execz .LBB1269_251
; %bb.250:
	v_lshlrev_b32_e32 v15, 2, v0
	ds_read_b32 v16, v15
	v_readfirstlane_b32 s4, v12
	v_readfirstlane_b32 s5, v13
	s_waitcnt lgkmcnt(0)
	s_nop 3
	global_store_dword v15, v16, s[4:5]
.LBB1269_251:
	s_or_b64 exec, exec, s[2:3]
	v_or_b32_e32 v15, 0x100, v0
	v_cmp_gt_u32_e32 vcc, s16, v15
	s_and_saveexec_b64 s[2:3], vcc
	s_cbranch_execz .LBB1269_260
; %bb.252:
	v_cmp_le_u32_e32 vcc, v6, v15
	s_and_saveexec_b64 s[4:5], vcc
	s_xor_b64 s[4:5], exec, s[4:5]
	s_cbranch_execz .LBB1269_258
; %bb.253:
	v_cmp_le_u32_e32 vcc, v14, v15
	s_and_saveexec_b64 s[6:7], vcc
	s_xor_b64 s[6:7], exec, s[6:7]
	s_cbranch_execz .LBB1269_255
; %bb.254:
	v_lshlrev_b32_e32 v15, 2, v0
	ds_read_b32 v15, v15 offset:1024
	v_add_co_u32_e32 v16, vcc, v1, v0
	v_addc_co_u32_e32 v17, vcc, 0, v8, vcc
	v_lshlrev_b64 v[16:17], 2, v[16:17]
	v_mov_b32_e32 v18, s9
	v_sub_co_u32_e32 v16, vcc, s8, v16
	v_subb_co_u32_e32 v17, vcc, v18, v17, vcc
	s_waitcnt lgkmcnt(0)
	global_store_dword v[16:17], v15, off offset:-1024
.LBB1269_255:
	s_andn2_saveexec_b64 s[6:7], s[6:7]
	s_cbranch_execz .LBB1269_257
; %bb.256:
	v_lshlrev_b32_e32 v15, 2, v0
	ds_read_b32 v16, v15 offset:1024
	v_readfirstlane_b32 s10, v10
	v_readfirstlane_b32 s11, v11
	s_waitcnt lgkmcnt(0)
	s_nop 3
	global_store_dword v15, v16, s[10:11] offset:1024
.LBB1269_257:
	s_or_b64 exec, exec, s[6:7]
.LBB1269_258:
	s_andn2_saveexec_b64 s[4:5], s[4:5]
	s_cbranch_execz .LBB1269_260
; %bb.259:
	v_lshlrev_b32_e32 v15, 2, v0
	ds_read_b32 v16, v15 offset:1024
	v_readfirstlane_b32 s4, v12
	v_readfirstlane_b32 s5, v13
	s_waitcnt lgkmcnt(0)
	s_nop 3
	global_store_dword v15, v16, s[4:5] offset:1024
.LBB1269_260:
	s_or_b64 exec, exec, s[2:3]
	v_or_b32_e32 v15, 0x200, v0
	v_cmp_gt_u32_e32 vcc, s16, v15
	s_and_saveexec_b64 s[2:3], vcc
	s_cbranch_execz .LBB1269_269
; %bb.261:
	v_cmp_le_u32_e32 vcc, v6, v15
	s_and_saveexec_b64 s[4:5], vcc
	s_xor_b64 s[4:5], exec, s[4:5]
	s_cbranch_execz .LBB1269_267
; %bb.262:
	v_cmp_le_u32_e32 vcc, v14, v15
	s_and_saveexec_b64 s[6:7], vcc
	s_xor_b64 s[6:7], exec, s[6:7]
	s_cbranch_execz .LBB1269_264
; %bb.263:
	v_lshlrev_b32_e32 v15, 2, v0
	ds_read_b32 v15, v15 offset:2048
	v_add_co_u32_e32 v16, vcc, v1, v0
	v_addc_co_u32_e32 v17, vcc, 0, v8, vcc
	v_lshlrev_b64 v[16:17], 2, v[16:17]
	v_mov_b32_e32 v18, s9
	v_sub_co_u32_e32 v16, vcc, s8, v16
	v_subb_co_u32_e32 v17, vcc, v18, v17, vcc
	s_waitcnt lgkmcnt(0)
	global_store_dword v[16:17], v15, off offset:-2048
.LBB1269_264:
	s_andn2_saveexec_b64 s[6:7], s[6:7]
	s_cbranch_execz .LBB1269_266
; %bb.265:
	v_lshlrev_b32_e32 v15, 2, v0
	ds_read_b32 v16, v15 offset:2048
	v_readfirstlane_b32 s10, v10
	v_readfirstlane_b32 s11, v11
	s_waitcnt lgkmcnt(0)
	s_nop 3
	global_store_dword v15, v16, s[10:11] offset:2048
.LBB1269_266:
	s_or_b64 exec, exec, s[6:7]
.LBB1269_267:
	s_andn2_saveexec_b64 s[4:5], s[4:5]
	s_cbranch_execz .LBB1269_269
; %bb.268:
	v_lshlrev_b32_e32 v15, 2, v0
	ds_read_b32 v16, v15 offset:2048
	v_readfirstlane_b32 s4, v12
	v_readfirstlane_b32 s5, v13
	s_waitcnt lgkmcnt(0)
	s_nop 3
	global_store_dword v15, v16, s[4:5] offset:2048
.LBB1269_269:
	;; [unrolled: 51-line block ×3, first 2 shown]
	s_or_b64 exec, exec, s[2:3]
	v_or_b32_e32 v15, 0x400, v0
	v_cmp_gt_u32_e32 vcc, s16, v15
	s_and_saveexec_b64 s[2:3], vcc
	s_cbranch_execz .LBB1269_287
; %bb.279:
	v_cmp_le_u32_e32 vcc, v6, v15
	s_and_saveexec_b64 s[4:5], vcc
	s_xor_b64 s[4:5], exec, s[4:5]
	s_cbranch_execz .LBB1269_285
; %bb.280:
	v_cmp_le_u32_e32 vcc, v14, v15
	s_and_saveexec_b64 s[6:7], vcc
	s_xor_b64 s[6:7], exec, s[6:7]
	s_cbranch_execz .LBB1269_282
; %bb.281:
	v_lshlrev_b32_e32 v15, 2, v0
	ds_read_b32 v15, v15 offset:4096
	v_add_co_u32_e32 v16, vcc, v1, v0
	v_addc_co_u32_e32 v17, vcc, 0, v8, vcc
	v_lshlrev_b64 v[16:17], 2, v[16:17]
	v_mov_b32_e32 v18, s9
	v_sub_co_u32_e32 v16, vcc, s8, v16
	v_subb_co_u32_e32 v17, vcc, v18, v17, vcc
	s_waitcnt lgkmcnt(0)
	global_store_dword v[16:17], v15, off offset:-4096
                                        ; implicit-def: $vgpr15
.LBB1269_282:
	s_andn2_saveexec_b64 s[6:7], s[6:7]
	s_cbranch_execz .LBB1269_284
; %bb.283:
	v_lshlrev_b32_e32 v16, 2, v0
	ds_read_b32 v16, v16 offset:4096
	v_lshlrev_b32_e32 v15, 2, v15
	v_readfirstlane_b32 s10, v10
	v_readfirstlane_b32 s11, v11
	s_waitcnt lgkmcnt(0)
	s_nop 3
	global_store_dword v15, v16, s[10:11]
.LBB1269_284:
	s_or_b64 exec, exec, s[6:7]
                                        ; implicit-def: $vgpr15
.LBB1269_285:
	s_andn2_saveexec_b64 s[4:5], s[4:5]
	s_cbranch_execz .LBB1269_287
; %bb.286:
	v_lshlrev_b32_e32 v16, 2, v0
	ds_read_b32 v16, v16 offset:4096
	v_lshlrev_b32_e32 v15, 2, v15
	v_readfirstlane_b32 s4, v12
	v_readfirstlane_b32 s5, v13
	s_waitcnt lgkmcnt(0)
	s_nop 3
	global_store_dword v15, v16, s[4:5]
.LBB1269_287:
	s_or_b64 exec, exec, s[2:3]
	v_or_b32_e32 v15, 0x500, v0
	v_cmp_gt_u32_e32 vcc, s16, v15
	s_and_saveexec_b64 s[2:3], vcc
	s_cbranch_execz .LBB1269_296
; %bb.288:
	v_cmp_le_u32_e32 vcc, v6, v15
	s_and_saveexec_b64 s[4:5], vcc
	s_xor_b64 s[4:5], exec, s[4:5]
	s_cbranch_execz .LBB1269_294
; %bb.289:
	v_cmp_le_u32_e32 vcc, v14, v15
	s_and_saveexec_b64 s[6:7], vcc
	s_xor_b64 s[6:7], exec, s[6:7]
	s_cbranch_execz .LBB1269_291
; %bb.290:
	v_add_co_u32_e32 v16, vcc, v1, v15
	v_lshlrev_b32_e32 v15, 2, v0
	ds_read_b32 v15, v15 offset:5120
	v_addc_co_u32_e32 v17, vcc, 0, v8, vcc
	v_lshlrev_b64 v[16:17], 2, v[16:17]
	v_mov_b32_e32 v18, s9
	v_sub_co_u32_e32 v16, vcc, s8, v16
	v_subb_co_u32_e32 v17, vcc, v18, v17, vcc
	s_waitcnt lgkmcnt(0)
	global_store_dword v[16:17], v15, off
                                        ; implicit-def: $vgpr15
.LBB1269_291:
	s_andn2_saveexec_b64 s[6:7], s[6:7]
	s_cbranch_execz .LBB1269_293
; %bb.292:
	v_lshlrev_b32_e32 v16, 2, v0
	ds_read_b32 v16, v16 offset:5120
	v_lshlrev_b32_e32 v15, 2, v15
	v_readfirstlane_b32 s10, v10
	v_readfirstlane_b32 s11, v11
	s_waitcnt lgkmcnt(0)
	s_nop 3
	global_store_dword v15, v16, s[10:11]
.LBB1269_293:
	s_or_b64 exec, exec, s[6:7]
                                        ; implicit-def: $vgpr15
.LBB1269_294:
	s_andn2_saveexec_b64 s[4:5], s[4:5]
	s_cbranch_execz .LBB1269_296
; %bb.295:
	v_lshlrev_b32_e32 v16, 2, v0
	ds_read_b32 v16, v16 offset:5120
	v_lshlrev_b32_e32 v15, 2, v15
	v_readfirstlane_b32 s4, v12
	v_readfirstlane_b32 s5, v13
	s_waitcnt lgkmcnt(0)
	s_nop 3
	global_store_dword v15, v16, s[4:5]
.LBB1269_296:
	s_or_b64 exec, exec, s[2:3]
	v_or_b32_e32 v15, 0x600, v0
	v_cmp_gt_u32_e32 vcc, s16, v15
	s_and_saveexec_b64 s[2:3], vcc
	s_cbranch_execz .LBB1269_305
; %bb.297:
	v_cmp_le_u32_e32 vcc, v6, v15
	s_and_saveexec_b64 s[4:5], vcc
	s_xor_b64 s[4:5], exec, s[4:5]
	s_cbranch_execz .LBB1269_303
; %bb.298:
	v_cmp_le_u32_e32 vcc, v14, v15
	s_and_saveexec_b64 s[6:7], vcc
	s_xor_b64 s[6:7], exec, s[6:7]
	s_cbranch_execz .LBB1269_300
; %bb.299:
	v_add_co_u32_e32 v16, vcc, v1, v15
	v_lshlrev_b32_e32 v15, 2, v0
	ds_read_b32 v15, v15 offset:6144
	v_addc_co_u32_e32 v17, vcc, 0, v8, vcc
	v_lshlrev_b64 v[16:17], 2, v[16:17]
	v_mov_b32_e32 v18, s9
	v_sub_co_u32_e32 v16, vcc, s8, v16
	v_subb_co_u32_e32 v17, vcc, v18, v17, vcc
	s_waitcnt lgkmcnt(0)
	global_store_dword v[16:17], v15, off
                                        ; implicit-def: $vgpr15
.LBB1269_300:
	s_andn2_saveexec_b64 s[6:7], s[6:7]
	s_cbranch_execz .LBB1269_302
; %bb.301:
	v_lshlrev_b32_e32 v16, 2, v0
	ds_read_b32 v16, v16 offset:6144
	v_lshlrev_b32_e32 v15, 2, v15
	v_readfirstlane_b32 s10, v10
	v_readfirstlane_b32 s11, v11
	s_waitcnt lgkmcnt(0)
	s_nop 3
	global_store_dword v15, v16, s[10:11]
.LBB1269_302:
	s_or_b64 exec, exec, s[6:7]
                                        ; implicit-def: $vgpr15
.LBB1269_303:
	s_andn2_saveexec_b64 s[4:5], s[4:5]
	s_cbranch_execz .LBB1269_305
; %bb.304:
	v_lshlrev_b32_e32 v16, 2, v0
	ds_read_b32 v16, v16 offset:6144
	v_lshlrev_b32_e32 v15, 2, v15
	v_readfirstlane_b32 s4, v12
	v_readfirstlane_b32 s5, v13
	s_waitcnt lgkmcnt(0)
	s_nop 3
	global_store_dword v15, v16, s[4:5]
.LBB1269_305:
	;; [unrolled: 55-line block ×7, first 2 shown]
	s_or_b64 exec, exec, s[2:3]
	v_or_b32_e32 v15, 0xc00, v0
	v_cmp_gt_u32_e32 vcc, s16, v15
	s_and_saveexec_b64 s[2:3], vcc
	s_cbranch_execz .LBB1269_359
; %bb.351:
	v_cmp_le_u32_e32 vcc, v6, v15
	s_and_saveexec_b64 s[4:5], vcc
	s_xor_b64 s[4:5], exec, s[4:5]
	s_cbranch_execz .LBB1269_357
; %bb.352:
	v_cmp_le_u32_e32 vcc, v14, v15
	s_and_saveexec_b64 s[6:7], vcc
	s_xor_b64 s[6:7], exec, s[6:7]
	s_cbranch_execz .LBB1269_354
; %bb.353:
	v_add_co_u32_e32 v10, vcc, v1, v15
	v_lshlrev_b32_e32 v0, 2, v0
	v_addc_co_u32_e32 v11, vcc, 0, v8, vcc
	ds_read_b32 v8, v0 offset:12288
	v_lshlrev_b64 v[0:1], 2, v[10:11]
	v_mov_b32_e32 v10, s9
	v_sub_co_u32_e32 v0, vcc, s8, v0
	v_subb_co_u32_e32 v1, vcc, v10, v1, vcc
	s_waitcnt lgkmcnt(0)
	global_store_dword v[0:1], v8, off
                                        ; implicit-def: $vgpr0
                                        ; implicit-def: $vgpr15
                                        ; implicit-def: $vgpr10_vgpr11
.LBB1269_354:
	s_andn2_saveexec_b64 s[6:7], s[6:7]
	s_cbranch_execz .LBB1269_356
; %bb.355:
	v_lshlrev_b32_e32 v0, 2, v0
	ds_read_b32 v0, v0 offset:12288
	v_lshlrev_b32_e32 v1, 2, v15
	v_readfirstlane_b32 s8, v10
	v_readfirstlane_b32 s9, v11
	s_waitcnt lgkmcnt(0)
	s_nop 3
	global_store_dword v1, v0, s[8:9]
.LBB1269_356:
	s_or_b64 exec, exec, s[6:7]
                                        ; implicit-def: $vgpr0
                                        ; implicit-def: $vgpr15
                                        ; implicit-def: $vgpr12_vgpr13
.LBB1269_357:
	s_andn2_saveexec_b64 s[4:5], s[4:5]
	s_cbranch_execz .LBB1269_359
; %bb.358:
	v_lshlrev_b32_e32 v0, 2, v0
	ds_read_b32 v0, v0 offset:12288
	v_lshlrev_b32_e32 v1, 2, v15
	v_readfirstlane_b32 s4, v12
	v_readfirstlane_b32 s5, v13
	s_waitcnt lgkmcnt(0)
	s_nop 3
	global_store_dword v1, v0, s[4:5]
.LBB1269_359:
	s_or_b64 exec, exec, s[2:3]
	s_and_b64 s[0:1], s[0:1], s[30:31]
	s_and_saveexec_b64 s[2:3], s[0:1]
	s_cbranch_execz .LBB1269_136
.LBB1269_360:
	v_add_co_u32_e32 v0, vcc, v2, v6
	v_addc_co_u32_e32 v1, vcc, 0, v3, vcc
	v_add_co_u32_e32 v2, vcc, v4, v7
	v_addc_co_u32_e32 v3, vcc, 0, v5, vcc
	v_add_co_u32_e32 v2, vcc, v2, v9
	v_mov_b32_e32 v8, 0
	v_addc_co_u32_e32 v3, vcc, 0, v3, vcc
	global_store_dwordx4 v8, v[0:3], s[28:29]
	s_endpgm
	.section	.rodata,"a",@progbits
	.p2align	6, 0x0
	.amdhsa_kernel _ZN7rocprim17ROCPRIM_400000_NS6detail17trampoline_kernelINS0_13select_configILj256ELj13ELNS0_17block_load_methodE3ELS4_3ELS4_3ELNS0_20block_scan_algorithmE0ELj4294967295EEENS1_25partition_config_selectorILNS1_17partition_subalgoE4EjNS0_10empty_typeEbEEZZNS1_14partition_implILS8_4ELb0ES6_15HIP_vector_typeIjLj2EENS0_17counting_iteratorIjlEEPS9_SG_NS0_5tupleIJPjSI_NS0_16reverse_iteratorISI_EEEEENSH_IJSG_SG_SG_EEES9_SI_JZNS1_25segmented_radix_sort_implINS0_14default_configELb1EPKfPfPKlPlN2at6native12_GLOBAL__N_18offset_tEEE10hipError_tPvRmT1_PNSt15iterator_traitsIS12_E10value_typeET2_T3_PNS13_IS18_E10value_typeET4_jRbjT5_S1E_jjP12ihipStream_tbEUljE_ZNSN_ISO_Lb1ESQ_SR_ST_SU_SY_EESZ_S10_S11_S12_S16_S17_S18_S1B_S1C_jS1D_jS1E_S1E_jjS1G_bEUljE0_EEESZ_S10_S11_S18_S1C_S1E_T6_T7_T9_mT8_S1G_bDpT10_ENKUlT_T0_E_clISt17integral_constantIbLb1EES1U_EEDaS1P_S1Q_EUlS1P_E_NS1_11comp_targetILNS1_3genE4ELNS1_11target_archE910ELNS1_3gpuE8ELNS1_3repE0EEENS1_30default_config_static_selectorELNS0_4arch9wavefront6targetE1EEEvS12_
		.amdhsa_group_segment_fixed_size 13340
		.amdhsa_private_segment_fixed_size 0
		.amdhsa_kernarg_size 184
		.amdhsa_user_sgpr_count 6
		.amdhsa_user_sgpr_private_segment_buffer 1
		.amdhsa_user_sgpr_dispatch_ptr 0
		.amdhsa_user_sgpr_queue_ptr 0
		.amdhsa_user_sgpr_kernarg_segment_ptr 1
		.amdhsa_user_sgpr_dispatch_id 0
		.amdhsa_user_sgpr_flat_scratch_init 0
		.amdhsa_user_sgpr_kernarg_preload_length 0
		.amdhsa_user_sgpr_kernarg_preload_offset 0
		.amdhsa_user_sgpr_private_segment_size 0
		.amdhsa_uses_dynamic_stack 0
		.amdhsa_system_sgpr_private_segment_wavefront_offset 0
		.amdhsa_system_sgpr_workgroup_id_x 1
		.amdhsa_system_sgpr_workgroup_id_y 0
		.amdhsa_system_sgpr_workgroup_id_z 0
		.amdhsa_system_sgpr_workgroup_info 0
		.amdhsa_system_vgpr_workitem_id 0
		.amdhsa_next_free_vgpr 107
		.amdhsa_next_free_sgpr 87
		.amdhsa_accum_offset 108
		.amdhsa_reserve_vcc 1
		.amdhsa_reserve_flat_scratch 0
		.amdhsa_float_round_mode_32 0
		.amdhsa_float_round_mode_16_64 0
		.amdhsa_float_denorm_mode_32 3
		.amdhsa_float_denorm_mode_16_64 3
		.amdhsa_dx10_clamp 1
		.amdhsa_ieee_mode 1
		.amdhsa_fp16_overflow 0
		.amdhsa_tg_split 0
		.amdhsa_exception_fp_ieee_invalid_op 0
		.amdhsa_exception_fp_denorm_src 0
		.amdhsa_exception_fp_ieee_div_zero 0
		.amdhsa_exception_fp_ieee_overflow 0
		.amdhsa_exception_fp_ieee_underflow 0
		.amdhsa_exception_fp_ieee_inexact 0
		.amdhsa_exception_int_div_zero 0
	.end_amdhsa_kernel
	.section	.text._ZN7rocprim17ROCPRIM_400000_NS6detail17trampoline_kernelINS0_13select_configILj256ELj13ELNS0_17block_load_methodE3ELS4_3ELS4_3ELNS0_20block_scan_algorithmE0ELj4294967295EEENS1_25partition_config_selectorILNS1_17partition_subalgoE4EjNS0_10empty_typeEbEEZZNS1_14partition_implILS8_4ELb0ES6_15HIP_vector_typeIjLj2EENS0_17counting_iteratorIjlEEPS9_SG_NS0_5tupleIJPjSI_NS0_16reverse_iteratorISI_EEEEENSH_IJSG_SG_SG_EEES9_SI_JZNS1_25segmented_radix_sort_implINS0_14default_configELb1EPKfPfPKlPlN2at6native12_GLOBAL__N_18offset_tEEE10hipError_tPvRmT1_PNSt15iterator_traitsIS12_E10value_typeET2_T3_PNS13_IS18_E10value_typeET4_jRbjT5_S1E_jjP12ihipStream_tbEUljE_ZNSN_ISO_Lb1ESQ_SR_ST_SU_SY_EESZ_S10_S11_S12_S16_S17_S18_S1B_S1C_jS1D_jS1E_S1E_jjS1G_bEUljE0_EEESZ_S10_S11_S18_S1C_S1E_T6_T7_T9_mT8_S1G_bDpT10_ENKUlT_T0_E_clISt17integral_constantIbLb1EES1U_EEDaS1P_S1Q_EUlS1P_E_NS1_11comp_targetILNS1_3genE4ELNS1_11target_archE910ELNS1_3gpuE8ELNS1_3repE0EEENS1_30default_config_static_selectorELNS0_4arch9wavefront6targetE1EEEvS12_,"axG",@progbits,_ZN7rocprim17ROCPRIM_400000_NS6detail17trampoline_kernelINS0_13select_configILj256ELj13ELNS0_17block_load_methodE3ELS4_3ELS4_3ELNS0_20block_scan_algorithmE0ELj4294967295EEENS1_25partition_config_selectorILNS1_17partition_subalgoE4EjNS0_10empty_typeEbEEZZNS1_14partition_implILS8_4ELb0ES6_15HIP_vector_typeIjLj2EENS0_17counting_iteratorIjlEEPS9_SG_NS0_5tupleIJPjSI_NS0_16reverse_iteratorISI_EEEEENSH_IJSG_SG_SG_EEES9_SI_JZNS1_25segmented_radix_sort_implINS0_14default_configELb1EPKfPfPKlPlN2at6native12_GLOBAL__N_18offset_tEEE10hipError_tPvRmT1_PNSt15iterator_traitsIS12_E10value_typeET2_T3_PNS13_IS18_E10value_typeET4_jRbjT5_S1E_jjP12ihipStream_tbEUljE_ZNSN_ISO_Lb1ESQ_SR_ST_SU_SY_EESZ_S10_S11_S12_S16_S17_S18_S1B_S1C_jS1D_jS1E_S1E_jjS1G_bEUljE0_EEESZ_S10_S11_S18_S1C_S1E_T6_T7_T9_mT8_S1G_bDpT10_ENKUlT_T0_E_clISt17integral_constantIbLb1EES1U_EEDaS1P_S1Q_EUlS1P_E_NS1_11comp_targetILNS1_3genE4ELNS1_11target_archE910ELNS1_3gpuE8ELNS1_3repE0EEENS1_30default_config_static_selectorELNS0_4arch9wavefront6targetE1EEEvS12_,comdat
.Lfunc_end1269:
	.size	_ZN7rocprim17ROCPRIM_400000_NS6detail17trampoline_kernelINS0_13select_configILj256ELj13ELNS0_17block_load_methodE3ELS4_3ELS4_3ELNS0_20block_scan_algorithmE0ELj4294967295EEENS1_25partition_config_selectorILNS1_17partition_subalgoE4EjNS0_10empty_typeEbEEZZNS1_14partition_implILS8_4ELb0ES6_15HIP_vector_typeIjLj2EENS0_17counting_iteratorIjlEEPS9_SG_NS0_5tupleIJPjSI_NS0_16reverse_iteratorISI_EEEEENSH_IJSG_SG_SG_EEES9_SI_JZNS1_25segmented_radix_sort_implINS0_14default_configELb1EPKfPfPKlPlN2at6native12_GLOBAL__N_18offset_tEEE10hipError_tPvRmT1_PNSt15iterator_traitsIS12_E10value_typeET2_T3_PNS13_IS18_E10value_typeET4_jRbjT5_S1E_jjP12ihipStream_tbEUljE_ZNSN_ISO_Lb1ESQ_SR_ST_SU_SY_EESZ_S10_S11_S12_S16_S17_S18_S1B_S1C_jS1D_jS1E_S1E_jjS1G_bEUljE0_EEESZ_S10_S11_S18_S1C_S1E_T6_T7_T9_mT8_S1G_bDpT10_ENKUlT_T0_E_clISt17integral_constantIbLb1EES1U_EEDaS1P_S1Q_EUlS1P_E_NS1_11comp_targetILNS1_3genE4ELNS1_11target_archE910ELNS1_3gpuE8ELNS1_3repE0EEENS1_30default_config_static_selectorELNS0_4arch9wavefront6targetE1EEEvS12_, .Lfunc_end1269-_ZN7rocprim17ROCPRIM_400000_NS6detail17trampoline_kernelINS0_13select_configILj256ELj13ELNS0_17block_load_methodE3ELS4_3ELS4_3ELNS0_20block_scan_algorithmE0ELj4294967295EEENS1_25partition_config_selectorILNS1_17partition_subalgoE4EjNS0_10empty_typeEbEEZZNS1_14partition_implILS8_4ELb0ES6_15HIP_vector_typeIjLj2EENS0_17counting_iteratorIjlEEPS9_SG_NS0_5tupleIJPjSI_NS0_16reverse_iteratorISI_EEEEENSH_IJSG_SG_SG_EEES9_SI_JZNS1_25segmented_radix_sort_implINS0_14default_configELb1EPKfPfPKlPlN2at6native12_GLOBAL__N_18offset_tEEE10hipError_tPvRmT1_PNSt15iterator_traitsIS12_E10value_typeET2_T3_PNS13_IS18_E10value_typeET4_jRbjT5_S1E_jjP12ihipStream_tbEUljE_ZNSN_ISO_Lb1ESQ_SR_ST_SU_SY_EESZ_S10_S11_S12_S16_S17_S18_S1B_S1C_jS1D_jS1E_S1E_jjS1G_bEUljE0_EEESZ_S10_S11_S18_S1C_S1E_T6_T7_T9_mT8_S1G_bDpT10_ENKUlT_T0_E_clISt17integral_constantIbLb1EES1U_EEDaS1P_S1Q_EUlS1P_E_NS1_11comp_targetILNS1_3genE4ELNS1_11target_archE910ELNS1_3gpuE8ELNS1_3repE0EEENS1_30default_config_static_selectorELNS0_4arch9wavefront6targetE1EEEvS12_
                                        ; -- End function
	.section	.AMDGPU.csdata,"",@progbits
; Kernel info:
; codeLenInByte = 13512
; NumSgprs: 91
; NumVgprs: 107
; NumAgprs: 0
; TotalNumVgprs: 107
; ScratchSize: 0
; MemoryBound: 0
; FloatMode: 240
; IeeeMode: 1
; LDSByteSize: 13340 bytes/workgroup (compile time only)
; SGPRBlocks: 11
; VGPRBlocks: 13
; NumSGPRsForWavesPerEU: 91
; NumVGPRsForWavesPerEU: 107
; AccumOffset: 108
; Occupancy: 4
; WaveLimiterHint : 1
; COMPUTE_PGM_RSRC2:SCRATCH_EN: 0
; COMPUTE_PGM_RSRC2:USER_SGPR: 6
; COMPUTE_PGM_RSRC2:TRAP_HANDLER: 0
; COMPUTE_PGM_RSRC2:TGID_X_EN: 1
; COMPUTE_PGM_RSRC2:TGID_Y_EN: 0
; COMPUTE_PGM_RSRC2:TGID_Z_EN: 0
; COMPUTE_PGM_RSRC2:TIDIG_COMP_CNT: 0
; COMPUTE_PGM_RSRC3_GFX90A:ACCUM_OFFSET: 26
; COMPUTE_PGM_RSRC3_GFX90A:TG_SPLIT: 0
	.section	.text._ZN7rocprim17ROCPRIM_400000_NS6detail17trampoline_kernelINS0_13select_configILj256ELj13ELNS0_17block_load_methodE3ELS4_3ELS4_3ELNS0_20block_scan_algorithmE0ELj4294967295EEENS1_25partition_config_selectorILNS1_17partition_subalgoE4EjNS0_10empty_typeEbEEZZNS1_14partition_implILS8_4ELb0ES6_15HIP_vector_typeIjLj2EENS0_17counting_iteratorIjlEEPS9_SG_NS0_5tupleIJPjSI_NS0_16reverse_iteratorISI_EEEEENSH_IJSG_SG_SG_EEES9_SI_JZNS1_25segmented_radix_sort_implINS0_14default_configELb1EPKfPfPKlPlN2at6native12_GLOBAL__N_18offset_tEEE10hipError_tPvRmT1_PNSt15iterator_traitsIS12_E10value_typeET2_T3_PNS13_IS18_E10value_typeET4_jRbjT5_S1E_jjP12ihipStream_tbEUljE_ZNSN_ISO_Lb1ESQ_SR_ST_SU_SY_EESZ_S10_S11_S12_S16_S17_S18_S1B_S1C_jS1D_jS1E_S1E_jjS1G_bEUljE0_EEESZ_S10_S11_S18_S1C_S1E_T6_T7_T9_mT8_S1G_bDpT10_ENKUlT_T0_E_clISt17integral_constantIbLb1EES1U_EEDaS1P_S1Q_EUlS1P_E_NS1_11comp_targetILNS1_3genE3ELNS1_11target_archE908ELNS1_3gpuE7ELNS1_3repE0EEENS1_30default_config_static_selectorELNS0_4arch9wavefront6targetE1EEEvS12_,"axG",@progbits,_ZN7rocprim17ROCPRIM_400000_NS6detail17trampoline_kernelINS0_13select_configILj256ELj13ELNS0_17block_load_methodE3ELS4_3ELS4_3ELNS0_20block_scan_algorithmE0ELj4294967295EEENS1_25partition_config_selectorILNS1_17partition_subalgoE4EjNS0_10empty_typeEbEEZZNS1_14partition_implILS8_4ELb0ES6_15HIP_vector_typeIjLj2EENS0_17counting_iteratorIjlEEPS9_SG_NS0_5tupleIJPjSI_NS0_16reverse_iteratorISI_EEEEENSH_IJSG_SG_SG_EEES9_SI_JZNS1_25segmented_radix_sort_implINS0_14default_configELb1EPKfPfPKlPlN2at6native12_GLOBAL__N_18offset_tEEE10hipError_tPvRmT1_PNSt15iterator_traitsIS12_E10value_typeET2_T3_PNS13_IS18_E10value_typeET4_jRbjT5_S1E_jjP12ihipStream_tbEUljE_ZNSN_ISO_Lb1ESQ_SR_ST_SU_SY_EESZ_S10_S11_S12_S16_S17_S18_S1B_S1C_jS1D_jS1E_S1E_jjS1G_bEUljE0_EEESZ_S10_S11_S18_S1C_S1E_T6_T7_T9_mT8_S1G_bDpT10_ENKUlT_T0_E_clISt17integral_constantIbLb1EES1U_EEDaS1P_S1Q_EUlS1P_E_NS1_11comp_targetILNS1_3genE3ELNS1_11target_archE908ELNS1_3gpuE7ELNS1_3repE0EEENS1_30default_config_static_selectorELNS0_4arch9wavefront6targetE1EEEvS12_,comdat
	.globl	_ZN7rocprim17ROCPRIM_400000_NS6detail17trampoline_kernelINS0_13select_configILj256ELj13ELNS0_17block_load_methodE3ELS4_3ELS4_3ELNS0_20block_scan_algorithmE0ELj4294967295EEENS1_25partition_config_selectorILNS1_17partition_subalgoE4EjNS0_10empty_typeEbEEZZNS1_14partition_implILS8_4ELb0ES6_15HIP_vector_typeIjLj2EENS0_17counting_iteratorIjlEEPS9_SG_NS0_5tupleIJPjSI_NS0_16reverse_iteratorISI_EEEEENSH_IJSG_SG_SG_EEES9_SI_JZNS1_25segmented_radix_sort_implINS0_14default_configELb1EPKfPfPKlPlN2at6native12_GLOBAL__N_18offset_tEEE10hipError_tPvRmT1_PNSt15iterator_traitsIS12_E10value_typeET2_T3_PNS13_IS18_E10value_typeET4_jRbjT5_S1E_jjP12ihipStream_tbEUljE_ZNSN_ISO_Lb1ESQ_SR_ST_SU_SY_EESZ_S10_S11_S12_S16_S17_S18_S1B_S1C_jS1D_jS1E_S1E_jjS1G_bEUljE0_EEESZ_S10_S11_S18_S1C_S1E_T6_T7_T9_mT8_S1G_bDpT10_ENKUlT_T0_E_clISt17integral_constantIbLb1EES1U_EEDaS1P_S1Q_EUlS1P_E_NS1_11comp_targetILNS1_3genE3ELNS1_11target_archE908ELNS1_3gpuE7ELNS1_3repE0EEENS1_30default_config_static_selectorELNS0_4arch9wavefront6targetE1EEEvS12_ ; -- Begin function _ZN7rocprim17ROCPRIM_400000_NS6detail17trampoline_kernelINS0_13select_configILj256ELj13ELNS0_17block_load_methodE3ELS4_3ELS4_3ELNS0_20block_scan_algorithmE0ELj4294967295EEENS1_25partition_config_selectorILNS1_17partition_subalgoE4EjNS0_10empty_typeEbEEZZNS1_14partition_implILS8_4ELb0ES6_15HIP_vector_typeIjLj2EENS0_17counting_iteratorIjlEEPS9_SG_NS0_5tupleIJPjSI_NS0_16reverse_iteratorISI_EEEEENSH_IJSG_SG_SG_EEES9_SI_JZNS1_25segmented_radix_sort_implINS0_14default_configELb1EPKfPfPKlPlN2at6native12_GLOBAL__N_18offset_tEEE10hipError_tPvRmT1_PNSt15iterator_traitsIS12_E10value_typeET2_T3_PNS13_IS18_E10value_typeET4_jRbjT5_S1E_jjP12ihipStream_tbEUljE_ZNSN_ISO_Lb1ESQ_SR_ST_SU_SY_EESZ_S10_S11_S12_S16_S17_S18_S1B_S1C_jS1D_jS1E_S1E_jjS1G_bEUljE0_EEESZ_S10_S11_S18_S1C_S1E_T6_T7_T9_mT8_S1G_bDpT10_ENKUlT_T0_E_clISt17integral_constantIbLb1EES1U_EEDaS1P_S1Q_EUlS1P_E_NS1_11comp_targetILNS1_3genE3ELNS1_11target_archE908ELNS1_3gpuE7ELNS1_3repE0EEENS1_30default_config_static_selectorELNS0_4arch9wavefront6targetE1EEEvS12_
	.p2align	8
	.type	_ZN7rocprim17ROCPRIM_400000_NS6detail17trampoline_kernelINS0_13select_configILj256ELj13ELNS0_17block_load_methodE3ELS4_3ELS4_3ELNS0_20block_scan_algorithmE0ELj4294967295EEENS1_25partition_config_selectorILNS1_17partition_subalgoE4EjNS0_10empty_typeEbEEZZNS1_14partition_implILS8_4ELb0ES6_15HIP_vector_typeIjLj2EENS0_17counting_iteratorIjlEEPS9_SG_NS0_5tupleIJPjSI_NS0_16reverse_iteratorISI_EEEEENSH_IJSG_SG_SG_EEES9_SI_JZNS1_25segmented_radix_sort_implINS0_14default_configELb1EPKfPfPKlPlN2at6native12_GLOBAL__N_18offset_tEEE10hipError_tPvRmT1_PNSt15iterator_traitsIS12_E10value_typeET2_T3_PNS13_IS18_E10value_typeET4_jRbjT5_S1E_jjP12ihipStream_tbEUljE_ZNSN_ISO_Lb1ESQ_SR_ST_SU_SY_EESZ_S10_S11_S12_S16_S17_S18_S1B_S1C_jS1D_jS1E_S1E_jjS1G_bEUljE0_EEESZ_S10_S11_S18_S1C_S1E_T6_T7_T9_mT8_S1G_bDpT10_ENKUlT_T0_E_clISt17integral_constantIbLb1EES1U_EEDaS1P_S1Q_EUlS1P_E_NS1_11comp_targetILNS1_3genE3ELNS1_11target_archE908ELNS1_3gpuE7ELNS1_3repE0EEENS1_30default_config_static_selectorELNS0_4arch9wavefront6targetE1EEEvS12_,@function
_ZN7rocprim17ROCPRIM_400000_NS6detail17trampoline_kernelINS0_13select_configILj256ELj13ELNS0_17block_load_methodE3ELS4_3ELS4_3ELNS0_20block_scan_algorithmE0ELj4294967295EEENS1_25partition_config_selectorILNS1_17partition_subalgoE4EjNS0_10empty_typeEbEEZZNS1_14partition_implILS8_4ELb0ES6_15HIP_vector_typeIjLj2EENS0_17counting_iteratorIjlEEPS9_SG_NS0_5tupleIJPjSI_NS0_16reverse_iteratorISI_EEEEENSH_IJSG_SG_SG_EEES9_SI_JZNS1_25segmented_radix_sort_implINS0_14default_configELb1EPKfPfPKlPlN2at6native12_GLOBAL__N_18offset_tEEE10hipError_tPvRmT1_PNSt15iterator_traitsIS12_E10value_typeET2_T3_PNS13_IS18_E10value_typeET4_jRbjT5_S1E_jjP12ihipStream_tbEUljE_ZNSN_ISO_Lb1ESQ_SR_ST_SU_SY_EESZ_S10_S11_S12_S16_S17_S18_S1B_S1C_jS1D_jS1E_S1E_jjS1G_bEUljE0_EEESZ_S10_S11_S18_S1C_S1E_T6_T7_T9_mT8_S1G_bDpT10_ENKUlT_T0_E_clISt17integral_constantIbLb1EES1U_EEDaS1P_S1Q_EUlS1P_E_NS1_11comp_targetILNS1_3genE3ELNS1_11target_archE908ELNS1_3gpuE7ELNS1_3repE0EEENS1_30default_config_static_selectorELNS0_4arch9wavefront6targetE1EEEvS12_: ; @_ZN7rocprim17ROCPRIM_400000_NS6detail17trampoline_kernelINS0_13select_configILj256ELj13ELNS0_17block_load_methodE3ELS4_3ELS4_3ELNS0_20block_scan_algorithmE0ELj4294967295EEENS1_25partition_config_selectorILNS1_17partition_subalgoE4EjNS0_10empty_typeEbEEZZNS1_14partition_implILS8_4ELb0ES6_15HIP_vector_typeIjLj2EENS0_17counting_iteratorIjlEEPS9_SG_NS0_5tupleIJPjSI_NS0_16reverse_iteratorISI_EEEEENSH_IJSG_SG_SG_EEES9_SI_JZNS1_25segmented_radix_sort_implINS0_14default_configELb1EPKfPfPKlPlN2at6native12_GLOBAL__N_18offset_tEEE10hipError_tPvRmT1_PNSt15iterator_traitsIS12_E10value_typeET2_T3_PNS13_IS18_E10value_typeET4_jRbjT5_S1E_jjP12ihipStream_tbEUljE_ZNSN_ISO_Lb1ESQ_SR_ST_SU_SY_EESZ_S10_S11_S12_S16_S17_S18_S1B_S1C_jS1D_jS1E_S1E_jjS1G_bEUljE0_EEESZ_S10_S11_S18_S1C_S1E_T6_T7_T9_mT8_S1G_bDpT10_ENKUlT_T0_E_clISt17integral_constantIbLb1EES1U_EEDaS1P_S1Q_EUlS1P_E_NS1_11comp_targetILNS1_3genE3ELNS1_11target_archE908ELNS1_3gpuE7ELNS1_3repE0EEENS1_30default_config_static_selectorELNS0_4arch9wavefront6targetE1EEEvS12_
; %bb.0:
	.section	.rodata,"a",@progbits
	.p2align	6, 0x0
	.amdhsa_kernel _ZN7rocprim17ROCPRIM_400000_NS6detail17trampoline_kernelINS0_13select_configILj256ELj13ELNS0_17block_load_methodE3ELS4_3ELS4_3ELNS0_20block_scan_algorithmE0ELj4294967295EEENS1_25partition_config_selectorILNS1_17partition_subalgoE4EjNS0_10empty_typeEbEEZZNS1_14partition_implILS8_4ELb0ES6_15HIP_vector_typeIjLj2EENS0_17counting_iteratorIjlEEPS9_SG_NS0_5tupleIJPjSI_NS0_16reverse_iteratorISI_EEEEENSH_IJSG_SG_SG_EEES9_SI_JZNS1_25segmented_radix_sort_implINS0_14default_configELb1EPKfPfPKlPlN2at6native12_GLOBAL__N_18offset_tEEE10hipError_tPvRmT1_PNSt15iterator_traitsIS12_E10value_typeET2_T3_PNS13_IS18_E10value_typeET4_jRbjT5_S1E_jjP12ihipStream_tbEUljE_ZNSN_ISO_Lb1ESQ_SR_ST_SU_SY_EESZ_S10_S11_S12_S16_S17_S18_S1B_S1C_jS1D_jS1E_S1E_jjS1G_bEUljE0_EEESZ_S10_S11_S18_S1C_S1E_T6_T7_T9_mT8_S1G_bDpT10_ENKUlT_T0_E_clISt17integral_constantIbLb1EES1U_EEDaS1P_S1Q_EUlS1P_E_NS1_11comp_targetILNS1_3genE3ELNS1_11target_archE908ELNS1_3gpuE7ELNS1_3repE0EEENS1_30default_config_static_selectorELNS0_4arch9wavefront6targetE1EEEvS12_
		.amdhsa_group_segment_fixed_size 0
		.amdhsa_private_segment_fixed_size 0
		.amdhsa_kernarg_size 184
		.amdhsa_user_sgpr_count 6
		.amdhsa_user_sgpr_private_segment_buffer 1
		.amdhsa_user_sgpr_dispatch_ptr 0
		.amdhsa_user_sgpr_queue_ptr 0
		.amdhsa_user_sgpr_kernarg_segment_ptr 1
		.amdhsa_user_sgpr_dispatch_id 0
		.amdhsa_user_sgpr_flat_scratch_init 0
		.amdhsa_user_sgpr_kernarg_preload_length 0
		.amdhsa_user_sgpr_kernarg_preload_offset 0
		.amdhsa_user_sgpr_private_segment_size 0
		.amdhsa_uses_dynamic_stack 0
		.amdhsa_system_sgpr_private_segment_wavefront_offset 0
		.amdhsa_system_sgpr_workgroup_id_x 1
		.amdhsa_system_sgpr_workgroup_id_y 0
		.amdhsa_system_sgpr_workgroup_id_z 0
		.amdhsa_system_sgpr_workgroup_info 0
		.amdhsa_system_vgpr_workitem_id 0
		.amdhsa_next_free_vgpr 1
		.amdhsa_next_free_sgpr 0
		.amdhsa_accum_offset 4
		.amdhsa_reserve_vcc 0
		.amdhsa_reserve_flat_scratch 0
		.amdhsa_float_round_mode_32 0
		.amdhsa_float_round_mode_16_64 0
		.amdhsa_float_denorm_mode_32 3
		.amdhsa_float_denorm_mode_16_64 3
		.amdhsa_dx10_clamp 1
		.amdhsa_ieee_mode 1
		.amdhsa_fp16_overflow 0
		.amdhsa_tg_split 0
		.amdhsa_exception_fp_ieee_invalid_op 0
		.amdhsa_exception_fp_denorm_src 0
		.amdhsa_exception_fp_ieee_div_zero 0
		.amdhsa_exception_fp_ieee_overflow 0
		.amdhsa_exception_fp_ieee_underflow 0
		.amdhsa_exception_fp_ieee_inexact 0
		.amdhsa_exception_int_div_zero 0
	.end_amdhsa_kernel
	.section	.text._ZN7rocprim17ROCPRIM_400000_NS6detail17trampoline_kernelINS0_13select_configILj256ELj13ELNS0_17block_load_methodE3ELS4_3ELS4_3ELNS0_20block_scan_algorithmE0ELj4294967295EEENS1_25partition_config_selectorILNS1_17partition_subalgoE4EjNS0_10empty_typeEbEEZZNS1_14partition_implILS8_4ELb0ES6_15HIP_vector_typeIjLj2EENS0_17counting_iteratorIjlEEPS9_SG_NS0_5tupleIJPjSI_NS0_16reverse_iteratorISI_EEEEENSH_IJSG_SG_SG_EEES9_SI_JZNS1_25segmented_radix_sort_implINS0_14default_configELb1EPKfPfPKlPlN2at6native12_GLOBAL__N_18offset_tEEE10hipError_tPvRmT1_PNSt15iterator_traitsIS12_E10value_typeET2_T3_PNS13_IS18_E10value_typeET4_jRbjT5_S1E_jjP12ihipStream_tbEUljE_ZNSN_ISO_Lb1ESQ_SR_ST_SU_SY_EESZ_S10_S11_S12_S16_S17_S18_S1B_S1C_jS1D_jS1E_S1E_jjS1G_bEUljE0_EEESZ_S10_S11_S18_S1C_S1E_T6_T7_T9_mT8_S1G_bDpT10_ENKUlT_T0_E_clISt17integral_constantIbLb1EES1U_EEDaS1P_S1Q_EUlS1P_E_NS1_11comp_targetILNS1_3genE3ELNS1_11target_archE908ELNS1_3gpuE7ELNS1_3repE0EEENS1_30default_config_static_selectorELNS0_4arch9wavefront6targetE1EEEvS12_,"axG",@progbits,_ZN7rocprim17ROCPRIM_400000_NS6detail17trampoline_kernelINS0_13select_configILj256ELj13ELNS0_17block_load_methodE3ELS4_3ELS4_3ELNS0_20block_scan_algorithmE0ELj4294967295EEENS1_25partition_config_selectorILNS1_17partition_subalgoE4EjNS0_10empty_typeEbEEZZNS1_14partition_implILS8_4ELb0ES6_15HIP_vector_typeIjLj2EENS0_17counting_iteratorIjlEEPS9_SG_NS0_5tupleIJPjSI_NS0_16reverse_iteratorISI_EEEEENSH_IJSG_SG_SG_EEES9_SI_JZNS1_25segmented_radix_sort_implINS0_14default_configELb1EPKfPfPKlPlN2at6native12_GLOBAL__N_18offset_tEEE10hipError_tPvRmT1_PNSt15iterator_traitsIS12_E10value_typeET2_T3_PNS13_IS18_E10value_typeET4_jRbjT5_S1E_jjP12ihipStream_tbEUljE_ZNSN_ISO_Lb1ESQ_SR_ST_SU_SY_EESZ_S10_S11_S12_S16_S17_S18_S1B_S1C_jS1D_jS1E_S1E_jjS1G_bEUljE0_EEESZ_S10_S11_S18_S1C_S1E_T6_T7_T9_mT8_S1G_bDpT10_ENKUlT_T0_E_clISt17integral_constantIbLb1EES1U_EEDaS1P_S1Q_EUlS1P_E_NS1_11comp_targetILNS1_3genE3ELNS1_11target_archE908ELNS1_3gpuE7ELNS1_3repE0EEENS1_30default_config_static_selectorELNS0_4arch9wavefront6targetE1EEEvS12_,comdat
.Lfunc_end1270:
	.size	_ZN7rocprim17ROCPRIM_400000_NS6detail17trampoline_kernelINS0_13select_configILj256ELj13ELNS0_17block_load_methodE3ELS4_3ELS4_3ELNS0_20block_scan_algorithmE0ELj4294967295EEENS1_25partition_config_selectorILNS1_17partition_subalgoE4EjNS0_10empty_typeEbEEZZNS1_14partition_implILS8_4ELb0ES6_15HIP_vector_typeIjLj2EENS0_17counting_iteratorIjlEEPS9_SG_NS0_5tupleIJPjSI_NS0_16reverse_iteratorISI_EEEEENSH_IJSG_SG_SG_EEES9_SI_JZNS1_25segmented_radix_sort_implINS0_14default_configELb1EPKfPfPKlPlN2at6native12_GLOBAL__N_18offset_tEEE10hipError_tPvRmT1_PNSt15iterator_traitsIS12_E10value_typeET2_T3_PNS13_IS18_E10value_typeET4_jRbjT5_S1E_jjP12ihipStream_tbEUljE_ZNSN_ISO_Lb1ESQ_SR_ST_SU_SY_EESZ_S10_S11_S12_S16_S17_S18_S1B_S1C_jS1D_jS1E_S1E_jjS1G_bEUljE0_EEESZ_S10_S11_S18_S1C_S1E_T6_T7_T9_mT8_S1G_bDpT10_ENKUlT_T0_E_clISt17integral_constantIbLb1EES1U_EEDaS1P_S1Q_EUlS1P_E_NS1_11comp_targetILNS1_3genE3ELNS1_11target_archE908ELNS1_3gpuE7ELNS1_3repE0EEENS1_30default_config_static_selectorELNS0_4arch9wavefront6targetE1EEEvS12_, .Lfunc_end1270-_ZN7rocprim17ROCPRIM_400000_NS6detail17trampoline_kernelINS0_13select_configILj256ELj13ELNS0_17block_load_methodE3ELS4_3ELS4_3ELNS0_20block_scan_algorithmE0ELj4294967295EEENS1_25partition_config_selectorILNS1_17partition_subalgoE4EjNS0_10empty_typeEbEEZZNS1_14partition_implILS8_4ELb0ES6_15HIP_vector_typeIjLj2EENS0_17counting_iteratorIjlEEPS9_SG_NS0_5tupleIJPjSI_NS0_16reverse_iteratorISI_EEEEENSH_IJSG_SG_SG_EEES9_SI_JZNS1_25segmented_radix_sort_implINS0_14default_configELb1EPKfPfPKlPlN2at6native12_GLOBAL__N_18offset_tEEE10hipError_tPvRmT1_PNSt15iterator_traitsIS12_E10value_typeET2_T3_PNS13_IS18_E10value_typeET4_jRbjT5_S1E_jjP12ihipStream_tbEUljE_ZNSN_ISO_Lb1ESQ_SR_ST_SU_SY_EESZ_S10_S11_S12_S16_S17_S18_S1B_S1C_jS1D_jS1E_S1E_jjS1G_bEUljE0_EEESZ_S10_S11_S18_S1C_S1E_T6_T7_T9_mT8_S1G_bDpT10_ENKUlT_T0_E_clISt17integral_constantIbLb1EES1U_EEDaS1P_S1Q_EUlS1P_E_NS1_11comp_targetILNS1_3genE3ELNS1_11target_archE908ELNS1_3gpuE7ELNS1_3repE0EEENS1_30default_config_static_selectorELNS0_4arch9wavefront6targetE1EEEvS12_
                                        ; -- End function
	.section	.AMDGPU.csdata,"",@progbits
; Kernel info:
; codeLenInByte = 0
; NumSgprs: 4
; NumVgprs: 0
; NumAgprs: 0
; TotalNumVgprs: 0
; ScratchSize: 0
; MemoryBound: 0
; FloatMode: 240
; IeeeMode: 1
; LDSByteSize: 0 bytes/workgroup (compile time only)
; SGPRBlocks: 0
; VGPRBlocks: 0
; NumSGPRsForWavesPerEU: 4
; NumVGPRsForWavesPerEU: 1
; AccumOffset: 4
; Occupancy: 8
; WaveLimiterHint : 0
; COMPUTE_PGM_RSRC2:SCRATCH_EN: 0
; COMPUTE_PGM_RSRC2:USER_SGPR: 6
; COMPUTE_PGM_RSRC2:TRAP_HANDLER: 0
; COMPUTE_PGM_RSRC2:TGID_X_EN: 1
; COMPUTE_PGM_RSRC2:TGID_Y_EN: 0
; COMPUTE_PGM_RSRC2:TGID_Z_EN: 0
; COMPUTE_PGM_RSRC2:TIDIG_COMP_CNT: 0
; COMPUTE_PGM_RSRC3_GFX90A:ACCUM_OFFSET: 0
; COMPUTE_PGM_RSRC3_GFX90A:TG_SPLIT: 0
	.section	.text._ZN7rocprim17ROCPRIM_400000_NS6detail17trampoline_kernelINS0_13select_configILj256ELj13ELNS0_17block_load_methodE3ELS4_3ELS4_3ELNS0_20block_scan_algorithmE0ELj4294967295EEENS1_25partition_config_selectorILNS1_17partition_subalgoE4EjNS0_10empty_typeEbEEZZNS1_14partition_implILS8_4ELb0ES6_15HIP_vector_typeIjLj2EENS0_17counting_iteratorIjlEEPS9_SG_NS0_5tupleIJPjSI_NS0_16reverse_iteratorISI_EEEEENSH_IJSG_SG_SG_EEES9_SI_JZNS1_25segmented_radix_sort_implINS0_14default_configELb1EPKfPfPKlPlN2at6native12_GLOBAL__N_18offset_tEEE10hipError_tPvRmT1_PNSt15iterator_traitsIS12_E10value_typeET2_T3_PNS13_IS18_E10value_typeET4_jRbjT5_S1E_jjP12ihipStream_tbEUljE_ZNSN_ISO_Lb1ESQ_SR_ST_SU_SY_EESZ_S10_S11_S12_S16_S17_S18_S1B_S1C_jS1D_jS1E_S1E_jjS1G_bEUljE0_EEESZ_S10_S11_S18_S1C_S1E_T6_T7_T9_mT8_S1G_bDpT10_ENKUlT_T0_E_clISt17integral_constantIbLb1EES1U_EEDaS1P_S1Q_EUlS1P_E_NS1_11comp_targetILNS1_3genE2ELNS1_11target_archE906ELNS1_3gpuE6ELNS1_3repE0EEENS1_30default_config_static_selectorELNS0_4arch9wavefront6targetE1EEEvS12_,"axG",@progbits,_ZN7rocprim17ROCPRIM_400000_NS6detail17trampoline_kernelINS0_13select_configILj256ELj13ELNS0_17block_load_methodE3ELS4_3ELS4_3ELNS0_20block_scan_algorithmE0ELj4294967295EEENS1_25partition_config_selectorILNS1_17partition_subalgoE4EjNS0_10empty_typeEbEEZZNS1_14partition_implILS8_4ELb0ES6_15HIP_vector_typeIjLj2EENS0_17counting_iteratorIjlEEPS9_SG_NS0_5tupleIJPjSI_NS0_16reverse_iteratorISI_EEEEENSH_IJSG_SG_SG_EEES9_SI_JZNS1_25segmented_radix_sort_implINS0_14default_configELb1EPKfPfPKlPlN2at6native12_GLOBAL__N_18offset_tEEE10hipError_tPvRmT1_PNSt15iterator_traitsIS12_E10value_typeET2_T3_PNS13_IS18_E10value_typeET4_jRbjT5_S1E_jjP12ihipStream_tbEUljE_ZNSN_ISO_Lb1ESQ_SR_ST_SU_SY_EESZ_S10_S11_S12_S16_S17_S18_S1B_S1C_jS1D_jS1E_S1E_jjS1G_bEUljE0_EEESZ_S10_S11_S18_S1C_S1E_T6_T7_T9_mT8_S1G_bDpT10_ENKUlT_T0_E_clISt17integral_constantIbLb1EES1U_EEDaS1P_S1Q_EUlS1P_E_NS1_11comp_targetILNS1_3genE2ELNS1_11target_archE906ELNS1_3gpuE6ELNS1_3repE0EEENS1_30default_config_static_selectorELNS0_4arch9wavefront6targetE1EEEvS12_,comdat
	.globl	_ZN7rocprim17ROCPRIM_400000_NS6detail17trampoline_kernelINS0_13select_configILj256ELj13ELNS0_17block_load_methodE3ELS4_3ELS4_3ELNS0_20block_scan_algorithmE0ELj4294967295EEENS1_25partition_config_selectorILNS1_17partition_subalgoE4EjNS0_10empty_typeEbEEZZNS1_14partition_implILS8_4ELb0ES6_15HIP_vector_typeIjLj2EENS0_17counting_iteratorIjlEEPS9_SG_NS0_5tupleIJPjSI_NS0_16reverse_iteratorISI_EEEEENSH_IJSG_SG_SG_EEES9_SI_JZNS1_25segmented_radix_sort_implINS0_14default_configELb1EPKfPfPKlPlN2at6native12_GLOBAL__N_18offset_tEEE10hipError_tPvRmT1_PNSt15iterator_traitsIS12_E10value_typeET2_T3_PNS13_IS18_E10value_typeET4_jRbjT5_S1E_jjP12ihipStream_tbEUljE_ZNSN_ISO_Lb1ESQ_SR_ST_SU_SY_EESZ_S10_S11_S12_S16_S17_S18_S1B_S1C_jS1D_jS1E_S1E_jjS1G_bEUljE0_EEESZ_S10_S11_S18_S1C_S1E_T6_T7_T9_mT8_S1G_bDpT10_ENKUlT_T0_E_clISt17integral_constantIbLb1EES1U_EEDaS1P_S1Q_EUlS1P_E_NS1_11comp_targetILNS1_3genE2ELNS1_11target_archE906ELNS1_3gpuE6ELNS1_3repE0EEENS1_30default_config_static_selectorELNS0_4arch9wavefront6targetE1EEEvS12_ ; -- Begin function _ZN7rocprim17ROCPRIM_400000_NS6detail17trampoline_kernelINS0_13select_configILj256ELj13ELNS0_17block_load_methodE3ELS4_3ELS4_3ELNS0_20block_scan_algorithmE0ELj4294967295EEENS1_25partition_config_selectorILNS1_17partition_subalgoE4EjNS0_10empty_typeEbEEZZNS1_14partition_implILS8_4ELb0ES6_15HIP_vector_typeIjLj2EENS0_17counting_iteratorIjlEEPS9_SG_NS0_5tupleIJPjSI_NS0_16reverse_iteratorISI_EEEEENSH_IJSG_SG_SG_EEES9_SI_JZNS1_25segmented_radix_sort_implINS0_14default_configELb1EPKfPfPKlPlN2at6native12_GLOBAL__N_18offset_tEEE10hipError_tPvRmT1_PNSt15iterator_traitsIS12_E10value_typeET2_T3_PNS13_IS18_E10value_typeET4_jRbjT5_S1E_jjP12ihipStream_tbEUljE_ZNSN_ISO_Lb1ESQ_SR_ST_SU_SY_EESZ_S10_S11_S12_S16_S17_S18_S1B_S1C_jS1D_jS1E_S1E_jjS1G_bEUljE0_EEESZ_S10_S11_S18_S1C_S1E_T6_T7_T9_mT8_S1G_bDpT10_ENKUlT_T0_E_clISt17integral_constantIbLb1EES1U_EEDaS1P_S1Q_EUlS1P_E_NS1_11comp_targetILNS1_3genE2ELNS1_11target_archE906ELNS1_3gpuE6ELNS1_3repE0EEENS1_30default_config_static_selectorELNS0_4arch9wavefront6targetE1EEEvS12_
	.p2align	8
	.type	_ZN7rocprim17ROCPRIM_400000_NS6detail17trampoline_kernelINS0_13select_configILj256ELj13ELNS0_17block_load_methodE3ELS4_3ELS4_3ELNS0_20block_scan_algorithmE0ELj4294967295EEENS1_25partition_config_selectorILNS1_17partition_subalgoE4EjNS0_10empty_typeEbEEZZNS1_14partition_implILS8_4ELb0ES6_15HIP_vector_typeIjLj2EENS0_17counting_iteratorIjlEEPS9_SG_NS0_5tupleIJPjSI_NS0_16reverse_iteratorISI_EEEEENSH_IJSG_SG_SG_EEES9_SI_JZNS1_25segmented_radix_sort_implINS0_14default_configELb1EPKfPfPKlPlN2at6native12_GLOBAL__N_18offset_tEEE10hipError_tPvRmT1_PNSt15iterator_traitsIS12_E10value_typeET2_T3_PNS13_IS18_E10value_typeET4_jRbjT5_S1E_jjP12ihipStream_tbEUljE_ZNSN_ISO_Lb1ESQ_SR_ST_SU_SY_EESZ_S10_S11_S12_S16_S17_S18_S1B_S1C_jS1D_jS1E_S1E_jjS1G_bEUljE0_EEESZ_S10_S11_S18_S1C_S1E_T6_T7_T9_mT8_S1G_bDpT10_ENKUlT_T0_E_clISt17integral_constantIbLb1EES1U_EEDaS1P_S1Q_EUlS1P_E_NS1_11comp_targetILNS1_3genE2ELNS1_11target_archE906ELNS1_3gpuE6ELNS1_3repE0EEENS1_30default_config_static_selectorELNS0_4arch9wavefront6targetE1EEEvS12_,@function
_ZN7rocprim17ROCPRIM_400000_NS6detail17trampoline_kernelINS0_13select_configILj256ELj13ELNS0_17block_load_methodE3ELS4_3ELS4_3ELNS0_20block_scan_algorithmE0ELj4294967295EEENS1_25partition_config_selectorILNS1_17partition_subalgoE4EjNS0_10empty_typeEbEEZZNS1_14partition_implILS8_4ELb0ES6_15HIP_vector_typeIjLj2EENS0_17counting_iteratorIjlEEPS9_SG_NS0_5tupleIJPjSI_NS0_16reverse_iteratorISI_EEEEENSH_IJSG_SG_SG_EEES9_SI_JZNS1_25segmented_radix_sort_implINS0_14default_configELb1EPKfPfPKlPlN2at6native12_GLOBAL__N_18offset_tEEE10hipError_tPvRmT1_PNSt15iterator_traitsIS12_E10value_typeET2_T3_PNS13_IS18_E10value_typeET4_jRbjT5_S1E_jjP12ihipStream_tbEUljE_ZNSN_ISO_Lb1ESQ_SR_ST_SU_SY_EESZ_S10_S11_S12_S16_S17_S18_S1B_S1C_jS1D_jS1E_S1E_jjS1G_bEUljE0_EEESZ_S10_S11_S18_S1C_S1E_T6_T7_T9_mT8_S1G_bDpT10_ENKUlT_T0_E_clISt17integral_constantIbLb1EES1U_EEDaS1P_S1Q_EUlS1P_E_NS1_11comp_targetILNS1_3genE2ELNS1_11target_archE906ELNS1_3gpuE6ELNS1_3repE0EEENS1_30default_config_static_selectorELNS0_4arch9wavefront6targetE1EEEvS12_: ; @_ZN7rocprim17ROCPRIM_400000_NS6detail17trampoline_kernelINS0_13select_configILj256ELj13ELNS0_17block_load_methodE3ELS4_3ELS4_3ELNS0_20block_scan_algorithmE0ELj4294967295EEENS1_25partition_config_selectorILNS1_17partition_subalgoE4EjNS0_10empty_typeEbEEZZNS1_14partition_implILS8_4ELb0ES6_15HIP_vector_typeIjLj2EENS0_17counting_iteratorIjlEEPS9_SG_NS0_5tupleIJPjSI_NS0_16reverse_iteratorISI_EEEEENSH_IJSG_SG_SG_EEES9_SI_JZNS1_25segmented_radix_sort_implINS0_14default_configELb1EPKfPfPKlPlN2at6native12_GLOBAL__N_18offset_tEEE10hipError_tPvRmT1_PNSt15iterator_traitsIS12_E10value_typeET2_T3_PNS13_IS18_E10value_typeET4_jRbjT5_S1E_jjP12ihipStream_tbEUljE_ZNSN_ISO_Lb1ESQ_SR_ST_SU_SY_EESZ_S10_S11_S12_S16_S17_S18_S1B_S1C_jS1D_jS1E_S1E_jjS1G_bEUljE0_EEESZ_S10_S11_S18_S1C_S1E_T6_T7_T9_mT8_S1G_bDpT10_ENKUlT_T0_E_clISt17integral_constantIbLb1EES1U_EEDaS1P_S1Q_EUlS1P_E_NS1_11comp_targetILNS1_3genE2ELNS1_11target_archE906ELNS1_3gpuE6ELNS1_3repE0EEENS1_30default_config_static_selectorELNS0_4arch9wavefront6targetE1EEEvS12_
; %bb.0:
	.section	.rodata,"a",@progbits
	.p2align	6, 0x0
	.amdhsa_kernel _ZN7rocprim17ROCPRIM_400000_NS6detail17trampoline_kernelINS0_13select_configILj256ELj13ELNS0_17block_load_methodE3ELS4_3ELS4_3ELNS0_20block_scan_algorithmE0ELj4294967295EEENS1_25partition_config_selectorILNS1_17partition_subalgoE4EjNS0_10empty_typeEbEEZZNS1_14partition_implILS8_4ELb0ES6_15HIP_vector_typeIjLj2EENS0_17counting_iteratorIjlEEPS9_SG_NS0_5tupleIJPjSI_NS0_16reverse_iteratorISI_EEEEENSH_IJSG_SG_SG_EEES9_SI_JZNS1_25segmented_radix_sort_implINS0_14default_configELb1EPKfPfPKlPlN2at6native12_GLOBAL__N_18offset_tEEE10hipError_tPvRmT1_PNSt15iterator_traitsIS12_E10value_typeET2_T3_PNS13_IS18_E10value_typeET4_jRbjT5_S1E_jjP12ihipStream_tbEUljE_ZNSN_ISO_Lb1ESQ_SR_ST_SU_SY_EESZ_S10_S11_S12_S16_S17_S18_S1B_S1C_jS1D_jS1E_S1E_jjS1G_bEUljE0_EEESZ_S10_S11_S18_S1C_S1E_T6_T7_T9_mT8_S1G_bDpT10_ENKUlT_T0_E_clISt17integral_constantIbLb1EES1U_EEDaS1P_S1Q_EUlS1P_E_NS1_11comp_targetILNS1_3genE2ELNS1_11target_archE906ELNS1_3gpuE6ELNS1_3repE0EEENS1_30default_config_static_selectorELNS0_4arch9wavefront6targetE1EEEvS12_
		.amdhsa_group_segment_fixed_size 0
		.amdhsa_private_segment_fixed_size 0
		.amdhsa_kernarg_size 184
		.amdhsa_user_sgpr_count 6
		.amdhsa_user_sgpr_private_segment_buffer 1
		.amdhsa_user_sgpr_dispatch_ptr 0
		.amdhsa_user_sgpr_queue_ptr 0
		.amdhsa_user_sgpr_kernarg_segment_ptr 1
		.amdhsa_user_sgpr_dispatch_id 0
		.amdhsa_user_sgpr_flat_scratch_init 0
		.amdhsa_user_sgpr_kernarg_preload_length 0
		.amdhsa_user_sgpr_kernarg_preload_offset 0
		.amdhsa_user_sgpr_private_segment_size 0
		.amdhsa_uses_dynamic_stack 0
		.amdhsa_system_sgpr_private_segment_wavefront_offset 0
		.amdhsa_system_sgpr_workgroup_id_x 1
		.amdhsa_system_sgpr_workgroup_id_y 0
		.amdhsa_system_sgpr_workgroup_id_z 0
		.amdhsa_system_sgpr_workgroup_info 0
		.amdhsa_system_vgpr_workitem_id 0
		.amdhsa_next_free_vgpr 1
		.amdhsa_next_free_sgpr 0
		.amdhsa_accum_offset 4
		.amdhsa_reserve_vcc 0
		.amdhsa_reserve_flat_scratch 0
		.amdhsa_float_round_mode_32 0
		.amdhsa_float_round_mode_16_64 0
		.amdhsa_float_denorm_mode_32 3
		.amdhsa_float_denorm_mode_16_64 3
		.amdhsa_dx10_clamp 1
		.amdhsa_ieee_mode 1
		.amdhsa_fp16_overflow 0
		.amdhsa_tg_split 0
		.amdhsa_exception_fp_ieee_invalid_op 0
		.amdhsa_exception_fp_denorm_src 0
		.amdhsa_exception_fp_ieee_div_zero 0
		.amdhsa_exception_fp_ieee_overflow 0
		.amdhsa_exception_fp_ieee_underflow 0
		.amdhsa_exception_fp_ieee_inexact 0
		.amdhsa_exception_int_div_zero 0
	.end_amdhsa_kernel
	.section	.text._ZN7rocprim17ROCPRIM_400000_NS6detail17trampoline_kernelINS0_13select_configILj256ELj13ELNS0_17block_load_methodE3ELS4_3ELS4_3ELNS0_20block_scan_algorithmE0ELj4294967295EEENS1_25partition_config_selectorILNS1_17partition_subalgoE4EjNS0_10empty_typeEbEEZZNS1_14partition_implILS8_4ELb0ES6_15HIP_vector_typeIjLj2EENS0_17counting_iteratorIjlEEPS9_SG_NS0_5tupleIJPjSI_NS0_16reverse_iteratorISI_EEEEENSH_IJSG_SG_SG_EEES9_SI_JZNS1_25segmented_radix_sort_implINS0_14default_configELb1EPKfPfPKlPlN2at6native12_GLOBAL__N_18offset_tEEE10hipError_tPvRmT1_PNSt15iterator_traitsIS12_E10value_typeET2_T3_PNS13_IS18_E10value_typeET4_jRbjT5_S1E_jjP12ihipStream_tbEUljE_ZNSN_ISO_Lb1ESQ_SR_ST_SU_SY_EESZ_S10_S11_S12_S16_S17_S18_S1B_S1C_jS1D_jS1E_S1E_jjS1G_bEUljE0_EEESZ_S10_S11_S18_S1C_S1E_T6_T7_T9_mT8_S1G_bDpT10_ENKUlT_T0_E_clISt17integral_constantIbLb1EES1U_EEDaS1P_S1Q_EUlS1P_E_NS1_11comp_targetILNS1_3genE2ELNS1_11target_archE906ELNS1_3gpuE6ELNS1_3repE0EEENS1_30default_config_static_selectorELNS0_4arch9wavefront6targetE1EEEvS12_,"axG",@progbits,_ZN7rocprim17ROCPRIM_400000_NS6detail17trampoline_kernelINS0_13select_configILj256ELj13ELNS0_17block_load_methodE3ELS4_3ELS4_3ELNS0_20block_scan_algorithmE0ELj4294967295EEENS1_25partition_config_selectorILNS1_17partition_subalgoE4EjNS0_10empty_typeEbEEZZNS1_14partition_implILS8_4ELb0ES6_15HIP_vector_typeIjLj2EENS0_17counting_iteratorIjlEEPS9_SG_NS0_5tupleIJPjSI_NS0_16reverse_iteratorISI_EEEEENSH_IJSG_SG_SG_EEES9_SI_JZNS1_25segmented_radix_sort_implINS0_14default_configELb1EPKfPfPKlPlN2at6native12_GLOBAL__N_18offset_tEEE10hipError_tPvRmT1_PNSt15iterator_traitsIS12_E10value_typeET2_T3_PNS13_IS18_E10value_typeET4_jRbjT5_S1E_jjP12ihipStream_tbEUljE_ZNSN_ISO_Lb1ESQ_SR_ST_SU_SY_EESZ_S10_S11_S12_S16_S17_S18_S1B_S1C_jS1D_jS1E_S1E_jjS1G_bEUljE0_EEESZ_S10_S11_S18_S1C_S1E_T6_T7_T9_mT8_S1G_bDpT10_ENKUlT_T0_E_clISt17integral_constantIbLb1EES1U_EEDaS1P_S1Q_EUlS1P_E_NS1_11comp_targetILNS1_3genE2ELNS1_11target_archE906ELNS1_3gpuE6ELNS1_3repE0EEENS1_30default_config_static_selectorELNS0_4arch9wavefront6targetE1EEEvS12_,comdat
.Lfunc_end1271:
	.size	_ZN7rocprim17ROCPRIM_400000_NS6detail17trampoline_kernelINS0_13select_configILj256ELj13ELNS0_17block_load_methodE3ELS4_3ELS4_3ELNS0_20block_scan_algorithmE0ELj4294967295EEENS1_25partition_config_selectorILNS1_17partition_subalgoE4EjNS0_10empty_typeEbEEZZNS1_14partition_implILS8_4ELb0ES6_15HIP_vector_typeIjLj2EENS0_17counting_iteratorIjlEEPS9_SG_NS0_5tupleIJPjSI_NS0_16reverse_iteratorISI_EEEEENSH_IJSG_SG_SG_EEES9_SI_JZNS1_25segmented_radix_sort_implINS0_14default_configELb1EPKfPfPKlPlN2at6native12_GLOBAL__N_18offset_tEEE10hipError_tPvRmT1_PNSt15iterator_traitsIS12_E10value_typeET2_T3_PNS13_IS18_E10value_typeET4_jRbjT5_S1E_jjP12ihipStream_tbEUljE_ZNSN_ISO_Lb1ESQ_SR_ST_SU_SY_EESZ_S10_S11_S12_S16_S17_S18_S1B_S1C_jS1D_jS1E_S1E_jjS1G_bEUljE0_EEESZ_S10_S11_S18_S1C_S1E_T6_T7_T9_mT8_S1G_bDpT10_ENKUlT_T0_E_clISt17integral_constantIbLb1EES1U_EEDaS1P_S1Q_EUlS1P_E_NS1_11comp_targetILNS1_3genE2ELNS1_11target_archE906ELNS1_3gpuE6ELNS1_3repE0EEENS1_30default_config_static_selectorELNS0_4arch9wavefront6targetE1EEEvS12_, .Lfunc_end1271-_ZN7rocprim17ROCPRIM_400000_NS6detail17trampoline_kernelINS0_13select_configILj256ELj13ELNS0_17block_load_methodE3ELS4_3ELS4_3ELNS0_20block_scan_algorithmE0ELj4294967295EEENS1_25partition_config_selectorILNS1_17partition_subalgoE4EjNS0_10empty_typeEbEEZZNS1_14partition_implILS8_4ELb0ES6_15HIP_vector_typeIjLj2EENS0_17counting_iteratorIjlEEPS9_SG_NS0_5tupleIJPjSI_NS0_16reverse_iteratorISI_EEEEENSH_IJSG_SG_SG_EEES9_SI_JZNS1_25segmented_radix_sort_implINS0_14default_configELb1EPKfPfPKlPlN2at6native12_GLOBAL__N_18offset_tEEE10hipError_tPvRmT1_PNSt15iterator_traitsIS12_E10value_typeET2_T3_PNS13_IS18_E10value_typeET4_jRbjT5_S1E_jjP12ihipStream_tbEUljE_ZNSN_ISO_Lb1ESQ_SR_ST_SU_SY_EESZ_S10_S11_S12_S16_S17_S18_S1B_S1C_jS1D_jS1E_S1E_jjS1G_bEUljE0_EEESZ_S10_S11_S18_S1C_S1E_T6_T7_T9_mT8_S1G_bDpT10_ENKUlT_T0_E_clISt17integral_constantIbLb1EES1U_EEDaS1P_S1Q_EUlS1P_E_NS1_11comp_targetILNS1_3genE2ELNS1_11target_archE906ELNS1_3gpuE6ELNS1_3repE0EEENS1_30default_config_static_selectorELNS0_4arch9wavefront6targetE1EEEvS12_
                                        ; -- End function
	.section	.AMDGPU.csdata,"",@progbits
; Kernel info:
; codeLenInByte = 0
; NumSgprs: 4
; NumVgprs: 0
; NumAgprs: 0
; TotalNumVgprs: 0
; ScratchSize: 0
; MemoryBound: 0
; FloatMode: 240
; IeeeMode: 1
; LDSByteSize: 0 bytes/workgroup (compile time only)
; SGPRBlocks: 0
; VGPRBlocks: 0
; NumSGPRsForWavesPerEU: 4
; NumVGPRsForWavesPerEU: 1
; AccumOffset: 4
; Occupancy: 8
; WaveLimiterHint : 0
; COMPUTE_PGM_RSRC2:SCRATCH_EN: 0
; COMPUTE_PGM_RSRC2:USER_SGPR: 6
; COMPUTE_PGM_RSRC2:TRAP_HANDLER: 0
; COMPUTE_PGM_RSRC2:TGID_X_EN: 1
; COMPUTE_PGM_RSRC2:TGID_Y_EN: 0
; COMPUTE_PGM_RSRC2:TGID_Z_EN: 0
; COMPUTE_PGM_RSRC2:TIDIG_COMP_CNT: 0
; COMPUTE_PGM_RSRC3_GFX90A:ACCUM_OFFSET: 0
; COMPUTE_PGM_RSRC3_GFX90A:TG_SPLIT: 0
	.section	.text._ZN7rocprim17ROCPRIM_400000_NS6detail17trampoline_kernelINS0_13select_configILj256ELj13ELNS0_17block_load_methodE3ELS4_3ELS4_3ELNS0_20block_scan_algorithmE0ELj4294967295EEENS1_25partition_config_selectorILNS1_17partition_subalgoE4EjNS0_10empty_typeEbEEZZNS1_14partition_implILS8_4ELb0ES6_15HIP_vector_typeIjLj2EENS0_17counting_iteratorIjlEEPS9_SG_NS0_5tupleIJPjSI_NS0_16reverse_iteratorISI_EEEEENSH_IJSG_SG_SG_EEES9_SI_JZNS1_25segmented_radix_sort_implINS0_14default_configELb1EPKfPfPKlPlN2at6native12_GLOBAL__N_18offset_tEEE10hipError_tPvRmT1_PNSt15iterator_traitsIS12_E10value_typeET2_T3_PNS13_IS18_E10value_typeET4_jRbjT5_S1E_jjP12ihipStream_tbEUljE_ZNSN_ISO_Lb1ESQ_SR_ST_SU_SY_EESZ_S10_S11_S12_S16_S17_S18_S1B_S1C_jS1D_jS1E_S1E_jjS1G_bEUljE0_EEESZ_S10_S11_S18_S1C_S1E_T6_T7_T9_mT8_S1G_bDpT10_ENKUlT_T0_E_clISt17integral_constantIbLb1EES1U_EEDaS1P_S1Q_EUlS1P_E_NS1_11comp_targetILNS1_3genE10ELNS1_11target_archE1200ELNS1_3gpuE4ELNS1_3repE0EEENS1_30default_config_static_selectorELNS0_4arch9wavefront6targetE1EEEvS12_,"axG",@progbits,_ZN7rocprim17ROCPRIM_400000_NS6detail17trampoline_kernelINS0_13select_configILj256ELj13ELNS0_17block_load_methodE3ELS4_3ELS4_3ELNS0_20block_scan_algorithmE0ELj4294967295EEENS1_25partition_config_selectorILNS1_17partition_subalgoE4EjNS0_10empty_typeEbEEZZNS1_14partition_implILS8_4ELb0ES6_15HIP_vector_typeIjLj2EENS0_17counting_iteratorIjlEEPS9_SG_NS0_5tupleIJPjSI_NS0_16reverse_iteratorISI_EEEEENSH_IJSG_SG_SG_EEES9_SI_JZNS1_25segmented_radix_sort_implINS0_14default_configELb1EPKfPfPKlPlN2at6native12_GLOBAL__N_18offset_tEEE10hipError_tPvRmT1_PNSt15iterator_traitsIS12_E10value_typeET2_T3_PNS13_IS18_E10value_typeET4_jRbjT5_S1E_jjP12ihipStream_tbEUljE_ZNSN_ISO_Lb1ESQ_SR_ST_SU_SY_EESZ_S10_S11_S12_S16_S17_S18_S1B_S1C_jS1D_jS1E_S1E_jjS1G_bEUljE0_EEESZ_S10_S11_S18_S1C_S1E_T6_T7_T9_mT8_S1G_bDpT10_ENKUlT_T0_E_clISt17integral_constantIbLb1EES1U_EEDaS1P_S1Q_EUlS1P_E_NS1_11comp_targetILNS1_3genE10ELNS1_11target_archE1200ELNS1_3gpuE4ELNS1_3repE0EEENS1_30default_config_static_selectorELNS0_4arch9wavefront6targetE1EEEvS12_,comdat
	.globl	_ZN7rocprim17ROCPRIM_400000_NS6detail17trampoline_kernelINS0_13select_configILj256ELj13ELNS0_17block_load_methodE3ELS4_3ELS4_3ELNS0_20block_scan_algorithmE0ELj4294967295EEENS1_25partition_config_selectorILNS1_17partition_subalgoE4EjNS0_10empty_typeEbEEZZNS1_14partition_implILS8_4ELb0ES6_15HIP_vector_typeIjLj2EENS0_17counting_iteratorIjlEEPS9_SG_NS0_5tupleIJPjSI_NS0_16reverse_iteratorISI_EEEEENSH_IJSG_SG_SG_EEES9_SI_JZNS1_25segmented_radix_sort_implINS0_14default_configELb1EPKfPfPKlPlN2at6native12_GLOBAL__N_18offset_tEEE10hipError_tPvRmT1_PNSt15iterator_traitsIS12_E10value_typeET2_T3_PNS13_IS18_E10value_typeET4_jRbjT5_S1E_jjP12ihipStream_tbEUljE_ZNSN_ISO_Lb1ESQ_SR_ST_SU_SY_EESZ_S10_S11_S12_S16_S17_S18_S1B_S1C_jS1D_jS1E_S1E_jjS1G_bEUljE0_EEESZ_S10_S11_S18_S1C_S1E_T6_T7_T9_mT8_S1G_bDpT10_ENKUlT_T0_E_clISt17integral_constantIbLb1EES1U_EEDaS1P_S1Q_EUlS1P_E_NS1_11comp_targetILNS1_3genE10ELNS1_11target_archE1200ELNS1_3gpuE4ELNS1_3repE0EEENS1_30default_config_static_selectorELNS0_4arch9wavefront6targetE1EEEvS12_ ; -- Begin function _ZN7rocprim17ROCPRIM_400000_NS6detail17trampoline_kernelINS0_13select_configILj256ELj13ELNS0_17block_load_methodE3ELS4_3ELS4_3ELNS0_20block_scan_algorithmE0ELj4294967295EEENS1_25partition_config_selectorILNS1_17partition_subalgoE4EjNS0_10empty_typeEbEEZZNS1_14partition_implILS8_4ELb0ES6_15HIP_vector_typeIjLj2EENS0_17counting_iteratorIjlEEPS9_SG_NS0_5tupleIJPjSI_NS0_16reverse_iteratorISI_EEEEENSH_IJSG_SG_SG_EEES9_SI_JZNS1_25segmented_radix_sort_implINS0_14default_configELb1EPKfPfPKlPlN2at6native12_GLOBAL__N_18offset_tEEE10hipError_tPvRmT1_PNSt15iterator_traitsIS12_E10value_typeET2_T3_PNS13_IS18_E10value_typeET4_jRbjT5_S1E_jjP12ihipStream_tbEUljE_ZNSN_ISO_Lb1ESQ_SR_ST_SU_SY_EESZ_S10_S11_S12_S16_S17_S18_S1B_S1C_jS1D_jS1E_S1E_jjS1G_bEUljE0_EEESZ_S10_S11_S18_S1C_S1E_T6_T7_T9_mT8_S1G_bDpT10_ENKUlT_T0_E_clISt17integral_constantIbLb1EES1U_EEDaS1P_S1Q_EUlS1P_E_NS1_11comp_targetILNS1_3genE10ELNS1_11target_archE1200ELNS1_3gpuE4ELNS1_3repE0EEENS1_30default_config_static_selectorELNS0_4arch9wavefront6targetE1EEEvS12_
	.p2align	8
	.type	_ZN7rocprim17ROCPRIM_400000_NS6detail17trampoline_kernelINS0_13select_configILj256ELj13ELNS0_17block_load_methodE3ELS4_3ELS4_3ELNS0_20block_scan_algorithmE0ELj4294967295EEENS1_25partition_config_selectorILNS1_17partition_subalgoE4EjNS0_10empty_typeEbEEZZNS1_14partition_implILS8_4ELb0ES6_15HIP_vector_typeIjLj2EENS0_17counting_iteratorIjlEEPS9_SG_NS0_5tupleIJPjSI_NS0_16reverse_iteratorISI_EEEEENSH_IJSG_SG_SG_EEES9_SI_JZNS1_25segmented_radix_sort_implINS0_14default_configELb1EPKfPfPKlPlN2at6native12_GLOBAL__N_18offset_tEEE10hipError_tPvRmT1_PNSt15iterator_traitsIS12_E10value_typeET2_T3_PNS13_IS18_E10value_typeET4_jRbjT5_S1E_jjP12ihipStream_tbEUljE_ZNSN_ISO_Lb1ESQ_SR_ST_SU_SY_EESZ_S10_S11_S12_S16_S17_S18_S1B_S1C_jS1D_jS1E_S1E_jjS1G_bEUljE0_EEESZ_S10_S11_S18_S1C_S1E_T6_T7_T9_mT8_S1G_bDpT10_ENKUlT_T0_E_clISt17integral_constantIbLb1EES1U_EEDaS1P_S1Q_EUlS1P_E_NS1_11comp_targetILNS1_3genE10ELNS1_11target_archE1200ELNS1_3gpuE4ELNS1_3repE0EEENS1_30default_config_static_selectorELNS0_4arch9wavefront6targetE1EEEvS12_,@function
_ZN7rocprim17ROCPRIM_400000_NS6detail17trampoline_kernelINS0_13select_configILj256ELj13ELNS0_17block_load_methodE3ELS4_3ELS4_3ELNS0_20block_scan_algorithmE0ELj4294967295EEENS1_25partition_config_selectorILNS1_17partition_subalgoE4EjNS0_10empty_typeEbEEZZNS1_14partition_implILS8_4ELb0ES6_15HIP_vector_typeIjLj2EENS0_17counting_iteratorIjlEEPS9_SG_NS0_5tupleIJPjSI_NS0_16reverse_iteratorISI_EEEEENSH_IJSG_SG_SG_EEES9_SI_JZNS1_25segmented_radix_sort_implINS0_14default_configELb1EPKfPfPKlPlN2at6native12_GLOBAL__N_18offset_tEEE10hipError_tPvRmT1_PNSt15iterator_traitsIS12_E10value_typeET2_T3_PNS13_IS18_E10value_typeET4_jRbjT5_S1E_jjP12ihipStream_tbEUljE_ZNSN_ISO_Lb1ESQ_SR_ST_SU_SY_EESZ_S10_S11_S12_S16_S17_S18_S1B_S1C_jS1D_jS1E_S1E_jjS1G_bEUljE0_EEESZ_S10_S11_S18_S1C_S1E_T6_T7_T9_mT8_S1G_bDpT10_ENKUlT_T0_E_clISt17integral_constantIbLb1EES1U_EEDaS1P_S1Q_EUlS1P_E_NS1_11comp_targetILNS1_3genE10ELNS1_11target_archE1200ELNS1_3gpuE4ELNS1_3repE0EEENS1_30default_config_static_selectorELNS0_4arch9wavefront6targetE1EEEvS12_: ; @_ZN7rocprim17ROCPRIM_400000_NS6detail17trampoline_kernelINS0_13select_configILj256ELj13ELNS0_17block_load_methodE3ELS4_3ELS4_3ELNS0_20block_scan_algorithmE0ELj4294967295EEENS1_25partition_config_selectorILNS1_17partition_subalgoE4EjNS0_10empty_typeEbEEZZNS1_14partition_implILS8_4ELb0ES6_15HIP_vector_typeIjLj2EENS0_17counting_iteratorIjlEEPS9_SG_NS0_5tupleIJPjSI_NS0_16reverse_iteratorISI_EEEEENSH_IJSG_SG_SG_EEES9_SI_JZNS1_25segmented_radix_sort_implINS0_14default_configELb1EPKfPfPKlPlN2at6native12_GLOBAL__N_18offset_tEEE10hipError_tPvRmT1_PNSt15iterator_traitsIS12_E10value_typeET2_T3_PNS13_IS18_E10value_typeET4_jRbjT5_S1E_jjP12ihipStream_tbEUljE_ZNSN_ISO_Lb1ESQ_SR_ST_SU_SY_EESZ_S10_S11_S12_S16_S17_S18_S1B_S1C_jS1D_jS1E_S1E_jjS1G_bEUljE0_EEESZ_S10_S11_S18_S1C_S1E_T6_T7_T9_mT8_S1G_bDpT10_ENKUlT_T0_E_clISt17integral_constantIbLb1EES1U_EEDaS1P_S1Q_EUlS1P_E_NS1_11comp_targetILNS1_3genE10ELNS1_11target_archE1200ELNS1_3gpuE4ELNS1_3repE0EEENS1_30default_config_static_selectorELNS0_4arch9wavefront6targetE1EEEvS12_
; %bb.0:
	.section	.rodata,"a",@progbits
	.p2align	6, 0x0
	.amdhsa_kernel _ZN7rocprim17ROCPRIM_400000_NS6detail17trampoline_kernelINS0_13select_configILj256ELj13ELNS0_17block_load_methodE3ELS4_3ELS4_3ELNS0_20block_scan_algorithmE0ELj4294967295EEENS1_25partition_config_selectorILNS1_17partition_subalgoE4EjNS0_10empty_typeEbEEZZNS1_14partition_implILS8_4ELb0ES6_15HIP_vector_typeIjLj2EENS0_17counting_iteratorIjlEEPS9_SG_NS0_5tupleIJPjSI_NS0_16reverse_iteratorISI_EEEEENSH_IJSG_SG_SG_EEES9_SI_JZNS1_25segmented_radix_sort_implINS0_14default_configELb1EPKfPfPKlPlN2at6native12_GLOBAL__N_18offset_tEEE10hipError_tPvRmT1_PNSt15iterator_traitsIS12_E10value_typeET2_T3_PNS13_IS18_E10value_typeET4_jRbjT5_S1E_jjP12ihipStream_tbEUljE_ZNSN_ISO_Lb1ESQ_SR_ST_SU_SY_EESZ_S10_S11_S12_S16_S17_S18_S1B_S1C_jS1D_jS1E_S1E_jjS1G_bEUljE0_EEESZ_S10_S11_S18_S1C_S1E_T6_T7_T9_mT8_S1G_bDpT10_ENKUlT_T0_E_clISt17integral_constantIbLb1EES1U_EEDaS1P_S1Q_EUlS1P_E_NS1_11comp_targetILNS1_3genE10ELNS1_11target_archE1200ELNS1_3gpuE4ELNS1_3repE0EEENS1_30default_config_static_selectorELNS0_4arch9wavefront6targetE1EEEvS12_
		.amdhsa_group_segment_fixed_size 0
		.amdhsa_private_segment_fixed_size 0
		.amdhsa_kernarg_size 184
		.amdhsa_user_sgpr_count 6
		.amdhsa_user_sgpr_private_segment_buffer 1
		.amdhsa_user_sgpr_dispatch_ptr 0
		.amdhsa_user_sgpr_queue_ptr 0
		.amdhsa_user_sgpr_kernarg_segment_ptr 1
		.amdhsa_user_sgpr_dispatch_id 0
		.amdhsa_user_sgpr_flat_scratch_init 0
		.amdhsa_user_sgpr_kernarg_preload_length 0
		.amdhsa_user_sgpr_kernarg_preload_offset 0
		.amdhsa_user_sgpr_private_segment_size 0
		.amdhsa_uses_dynamic_stack 0
		.amdhsa_system_sgpr_private_segment_wavefront_offset 0
		.amdhsa_system_sgpr_workgroup_id_x 1
		.amdhsa_system_sgpr_workgroup_id_y 0
		.amdhsa_system_sgpr_workgroup_id_z 0
		.amdhsa_system_sgpr_workgroup_info 0
		.amdhsa_system_vgpr_workitem_id 0
		.amdhsa_next_free_vgpr 1
		.amdhsa_next_free_sgpr 0
		.amdhsa_accum_offset 4
		.amdhsa_reserve_vcc 0
		.amdhsa_reserve_flat_scratch 0
		.amdhsa_float_round_mode_32 0
		.amdhsa_float_round_mode_16_64 0
		.amdhsa_float_denorm_mode_32 3
		.amdhsa_float_denorm_mode_16_64 3
		.amdhsa_dx10_clamp 1
		.amdhsa_ieee_mode 1
		.amdhsa_fp16_overflow 0
		.amdhsa_tg_split 0
		.amdhsa_exception_fp_ieee_invalid_op 0
		.amdhsa_exception_fp_denorm_src 0
		.amdhsa_exception_fp_ieee_div_zero 0
		.amdhsa_exception_fp_ieee_overflow 0
		.amdhsa_exception_fp_ieee_underflow 0
		.amdhsa_exception_fp_ieee_inexact 0
		.amdhsa_exception_int_div_zero 0
	.end_amdhsa_kernel
	.section	.text._ZN7rocprim17ROCPRIM_400000_NS6detail17trampoline_kernelINS0_13select_configILj256ELj13ELNS0_17block_load_methodE3ELS4_3ELS4_3ELNS0_20block_scan_algorithmE0ELj4294967295EEENS1_25partition_config_selectorILNS1_17partition_subalgoE4EjNS0_10empty_typeEbEEZZNS1_14partition_implILS8_4ELb0ES6_15HIP_vector_typeIjLj2EENS0_17counting_iteratorIjlEEPS9_SG_NS0_5tupleIJPjSI_NS0_16reverse_iteratorISI_EEEEENSH_IJSG_SG_SG_EEES9_SI_JZNS1_25segmented_radix_sort_implINS0_14default_configELb1EPKfPfPKlPlN2at6native12_GLOBAL__N_18offset_tEEE10hipError_tPvRmT1_PNSt15iterator_traitsIS12_E10value_typeET2_T3_PNS13_IS18_E10value_typeET4_jRbjT5_S1E_jjP12ihipStream_tbEUljE_ZNSN_ISO_Lb1ESQ_SR_ST_SU_SY_EESZ_S10_S11_S12_S16_S17_S18_S1B_S1C_jS1D_jS1E_S1E_jjS1G_bEUljE0_EEESZ_S10_S11_S18_S1C_S1E_T6_T7_T9_mT8_S1G_bDpT10_ENKUlT_T0_E_clISt17integral_constantIbLb1EES1U_EEDaS1P_S1Q_EUlS1P_E_NS1_11comp_targetILNS1_3genE10ELNS1_11target_archE1200ELNS1_3gpuE4ELNS1_3repE0EEENS1_30default_config_static_selectorELNS0_4arch9wavefront6targetE1EEEvS12_,"axG",@progbits,_ZN7rocprim17ROCPRIM_400000_NS6detail17trampoline_kernelINS0_13select_configILj256ELj13ELNS0_17block_load_methodE3ELS4_3ELS4_3ELNS0_20block_scan_algorithmE0ELj4294967295EEENS1_25partition_config_selectorILNS1_17partition_subalgoE4EjNS0_10empty_typeEbEEZZNS1_14partition_implILS8_4ELb0ES6_15HIP_vector_typeIjLj2EENS0_17counting_iteratorIjlEEPS9_SG_NS0_5tupleIJPjSI_NS0_16reverse_iteratorISI_EEEEENSH_IJSG_SG_SG_EEES9_SI_JZNS1_25segmented_radix_sort_implINS0_14default_configELb1EPKfPfPKlPlN2at6native12_GLOBAL__N_18offset_tEEE10hipError_tPvRmT1_PNSt15iterator_traitsIS12_E10value_typeET2_T3_PNS13_IS18_E10value_typeET4_jRbjT5_S1E_jjP12ihipStream_tbEUljE_ZNSN_ISO_Lb1ESQ_SR_ST_SU_SY_EESZ_S10_S11_S12_S16_S17_S18_S1B_S1C_jS1D_jS1E_S1E_jjS1G_bEUljE0_EEESZ_S10_S11_S18_S1C_S1E_T6_T7_T9_mT8_S1G_bDpT10_ENKUlT_T0_E_clISt17integral_constantIbLb1EES1U_EEDaS1P_S1Q_EUlS1P_E_NS1_11comp_targetILNS1_3genE10ELNS1_11target_archE1200ELNS1_3gpuE4ELNS1_3repE0EEENS1_30default_config_static_selectorELNS0_4arch9wavefront6targetE1EEEvS12_,comdat
.Lfunc_end1272:
	.size	_ZN7rocprim17ROCPRIM_400000_NS6detail17trampoline_kernelINS0_13select_configILj256ELj13ELNS0_17block_load_methodE3ELS4_3ELS4_3ELNS0_20block_scan_algorithmE0ELj4294967295EEENS1_25partition_config_selectorILNS1_17partition_subalgoE4EjNS0_10empty_typeEbEEZZNS1_14partition_implILS8_4ELb0ES6_15HIP_vector_typeIjLj2EENS0_17counting_iteratorIjlEEPS9_SG_NS0_5tupleIJPjSI_NS0_16reverse_iteratorISI_EEEEENSH_IJSG_SG_SG_EEES9_SI_JZNS1_25segmented_radix_sort_implINS0_14default_configELb1EPKfPfPKlPlN2at6native12_GLOBAL__N_18offset_tEEE10hipError_tPvRmT1_PNSt15iterator_traitsIS12_E10value_typeET2_T3_PNS13_IS18_E10value_typeET4_jRbjT5_S1E_jjP12ihipStream_tbEUljE_ZNSN_ISO_Lb1ESQ_SR_ST_SU_SY_EESZ_S10_S11_S12_S16_S17_S18_S1B_S1C_jS1D_jS1E_S1E_jjS1G_bEUljE0_EEESZ_S10_S11_S18_S1C_S1E_T6_T7_T9_mT8_S1G_bDpT10_ENKUlT_T0_E_clISt17integral_constantIbLb1EES1U_EEDaS1P_S1Q_EUlS1P_E_NS1_11comp_targetILNS1_3genE10ELNS1_11target_archE1200ELNS1_3gpuE4ELNS1_3repE0EEENS1_30default_config_static_selectorELNS0_4arch9wavefront6targetE1EEEvS12_, .Lfunc_end1272-_ZN7rocprim17ROCPRIM_400000_NS6detail17trampoline_kernelINS0_13select_configILj256ELj13ELNS0_17block_load_methodE3ELS4_3ELS4_3ELNS0_20block_scan_algorithmE0ELj4294967295EEENS1_25partition_config_selectorILNS1_17partition_subalgoE4EjNS0_10empty_typeEbEEZZNS1_14partition_implILS8_4ELb0ES6_15HIP_vector_typeIjLj2EENS0_17counting_iteratorIjlEEPS9_SG_NS0_5tupleIJPjSI_NS0_16reverse_iteratorISI_EEEEENSH_IJSG_SG_SG_EEES9_SI_JZNS1_25segmented_radix_sort_implINS0_14default_configELb1EPKfPfPKlPlN2at6native12_GLOBAL__N_18offset_tEEE10hipError_tPvRmT1_PNSt15iterator_traitsIS12_E10value_typeET2_T3_PNS13_IS18_E10value_typeET4_jRbjT5_S1E_jjP12ihipStream_tbEUljE_ZNSN_ISO_Lb1ESQ_SR_ST_SU_SY_EESZ_S10_S11_S12_S16_S17_S18_S1B_S1C_jS1D_jS1E_S1E_jjS1G_bEUljE0_EEESZ_S10_S11_S18_S1C_S1E_T6_T7_T9_mT8_S1G_bDpT10_ENKUlT_T0_E_clISt17integral_constantIbLb1EES1U_EEDaS1P_S1Q_EUlS1P_E_NS1_11comp_targetILNS1_3genE10ELNS1_11target_archE1200ELNS1_3gpuE4ELNS1_3repE0EEENS1_30default_config_static_selectorELNS0_4arch9wavefront6targetE1EEEvS12_
                                        ; -- End function
	.section	.AMDGPU.csdata,"",@progbits
; Kernel info:
; codeLenInByte = 0
; NumSgprs: 4
; NumVgprs: 0
; NumAgprs: 0
; TotalNumVgprs: 0
; ScratchSize: 0
; MemoryBound: 0
; FloatMode: 240
; IeeeMode: 1
; LDSByteSize: 0 bytes/workgroup (compile time only)
; SGPRBlocks: 0
; VGPRBlocks: 0
; NumSGPRsForWavesPerEU: 4
; NumVGPRsForWavesPerEU: 1
; AccumOffset: 4
; Occupancy: 8
; WaveLimiterHint : 0
; COMPUTE_PGM_RSRC2:SCRATCH_EN: 0
; COMPUTE_PGM_RSRC2:USER_SGPR: 6
; COMPUTE_PGM_RSRC2:TRAP_HANDLER: 0
; COMPUTE_PGM_RSRC2:TGID_X_EN: 1
; COMPUTE_PGM_RSRC2:TGID_Y_EN: 0
; COMPUTE_PGM_RSRC2:TGID_Z_EN: 0
; COMPUTE_PGM_RSRC2:TIDIG_COMP_CNT: 0
; COMPUTE_PGM_RSRC3_GFX90A:ACCUM_OFFSET: 0
; COMPUTE_PGM_RSRC3_GFX90A:TG_SPLIT: 0
	.section	.text._ZN7rocprim17ROCPRIM_400000_NS6detail17trampoline_kernelINS0_13select_configILj256ELj13ELNS0_17block_load_methodE3ELS4_3ELS4_3ELNS0_20block_scan_algorithmE0ELj4294967295EEENS1_25partition_config_selectorILNS1_17partition_subalgoE4EjNS0_10empty_typeEbEEZZNS1_14partition_implILS8_4ELb0ES6_15HIP_vector_typeIjLj2EENS0_17counting_iteratorIjlEEPS9_SG_NS0_5tupleIJPjSI_NS0_16reverse_iteratorISI_EEEEENSH_IJSG_SG_SG_EEES9_SI_JZNS1_25segmented_radix_sort_implINS0_14default_configELb1EPKfPfPKlPlN2at6native12_GLOBAL__N_18offset_tEEE10hipError_tPvRmT1_PNSt15iterator_traitsIS12_E10value_typeET2_T3_PNS13_IS18_E10value_typeET4_jRbjT5_S1E_jjP12ihipStream_tbEUljE_ZNSN_ISO_Lb1ESQ_SR_ST_SU_SY_EESZ_S10_S11_S12_S16_S17_S18_S1B_S1C_jS1D_jS1E_S1E_jjS1G_bEUljE0_EEESZ_S10_S11_S18_S1C_S1E_T6_T7_T9_mT8_S1G_bDpT10_ENKUlT_T0_E_clISt17integral_constantIbLb1EES1U_EEDaS1P_S1Q_EUlS1P_E_NS1_11comp_targetILNS1_3genE9ELNS1_11target_archE1100ELNS1_3gpuE3ELNS1_3repE0EEENS1_30default_config_static_selectorELNS0_4arch9wavefront6targetE1EEEvS12_,"axG",@progbits,_ZN7rocprim17ROCPRIM_400000_NS6detail17trampoline_kernelINS0_13select_configILj256ELj13ELNS0_17block_load_methodE3ELS4_3ELS4_3ELNS0_20block_scan_algorithmE0ELj4294967295EEENS1_25partition_config_selectorILNS1_17partition_subalgoE4EjNS0_10empty_typeEbEEZZNS1_14partition_implILS8_4ELb0ES6_15HIP_vector_typeIjLj2EENS0_17counting_iteratorIjlEEPS9_SG_NS0_5tupleIJPjSI_NS0_16reverse_iteratorISI_EEEEENSH_IJSG_SG_SG_EEES9_SI_JZNS1_25segmented_radix_sort_implINS0_14default_configELb1EPKfPfPKlPlN2at6native12_GLOBAL__N_18offset_tEEE10hipError_tPvRmT1_PNSt15iterator_traitsIS12_E10value_typeET2_T3_PNS13_IS18_E10value_typeET4_jRbjT5_S1E_jjP12ihipStream_tbEUljE_ZNSN_ISO_Lb1ESQ_SR_ST_SU_SY_EESZ_S10_S11_S12_S16_S17_S18_S1B_S1C_jS1D_jS1E_S1E_jjS1G_bEUljE0_EEESZ_S10_S11_S18_S1C_S1E_T6_T7_T9_mT8_S1G_bDpT10_ENKUlT_T0_E_clISt17integral_constantIbLb1EES1U_EEDaS1P_S1Q_EUlS1P_E_NS1_11comp_targetILNS1_3genE9ELNS1_11target_archE1100ELNS1_3gpuE3ELNS1_3repE0EEENS1_30default_config_static_selectorELNS0_4arch9wavefront6targetE1EEEvS12_,comdat
	.globl	_ZN7rocprim17ROCPRIM_400000_NS6detail17trampoline_kernelINS0_13select_configILj256ELj13ELNS0_17block_load_methodE3ELS4_3ELS4_3ELNS0_20block_scan_algorithmE0ELj4294967295EEENS1_25partition_config_selectorILNS1_17partition_subalgoE4EjNS0_10empty_typeEbEEZZNS1_14partition_implILS8_4ELb0ES6_15HIP_vector_typeIjLj2EENS0_17counting_iteratorIjlEEPS9_SG_NS0_5tupleIJPjSI_NS0_16reverse_iteratorISI_EEEEENSH_IJSG_SG_SG_EEES9_SI_JZNS1_25segmented_radix_sort_implINS0_14default_configELb1EPKfPfPKlPlN2at6native12_GLOBAL__N_18offset_tEEE10hipError_tPvRmT1_PNSt15iterator_traitsIS12_E10value_typeET2_T3_PNS13_IS18_E10value_typeET4_jRbjT5_S1E_jjP12ihipStream_tbEUljE_ZNSN_ISO_Lb1ESQ_SR_ST_SU_SY_EESZ_S10_S11_S12_S16_S17_S18_S1B_S1C_jS1D_jS1E_S1E_jjS1G_bEUljE0_EEESZ_S10_S11_S18_S1C_S1E_T6_T7_T9_mT8_S1G_bDpT10_ENKUlT_T0_E_clISt17integral_constantIbLb1EES1U_EEDaS1P_S1Q_EUlS1P_E_NS1_11comp_targetILNS1_3genE9ELNS1_11target_archE1100ELNS1_3gpuE3ELNS1_3repE0EEENS1_30default_config_static_selectorELNS0_4arch9wavefront6targetE1EEEvS12_ ; -- Begin function _ZN7rocprim17ROCPRIM_400000_NS6detail17trampoline_kernelINS0_13select_configILj256ELj13ELNS0_17block_load_methodE3ELS4_3ELS4_3ELNS0_20block_scan_algorithmE0ELj4294967295EEENS1_25partition_config_selectorILNS1_17partition_subalgoE4EjNS0_10empty_typeEbEEZZNS1_14partition_implILS8_4ELb0ES6_15HIP_vector_typeIjLj2EENS0_17counting_iteratorIjlEEPS9_SG_NS0_5tupleIJPjSI_NS0_16reverse_iteratorISI_EEEEENSH_IJSG_SG_SG_EEES9_SI_JZNS1_25segmented_radix_sort_implINS0_14default_configELb1EPKfPfPKlPlN2at6native12_GLOBAL__N_18offset_tEEE10hipError_tPvRmT1_PNSt15iterator_traitsIS12_E10value_typeET2_T3_PNS13_IS18_E10value_typeET4_jRbjT5_S1E_jjP12ihipStream_tbEUljE_ZNSN_ISO_Lb1ESQ_SR_ST_SU_SY_EESZ_S10_S11_S12_S16_S17_S18_S1B_S1C_jS1D_jS1E_S1E_jjS1G_bEUljE0_EEESZ_S10_S11_S18_S1C_S1E_T6_T7_T9_mT8_S1G_bDpT10_ENKUlT_T0_E_clISt17integral_constantIbLb1EES1U_EEDaS1P_S1Q_EUlS1P_E_NS1_11comp_targetILNS1_3genE9ELNS1_11target_archE1100ELNS1_3gpuE3ELNS1_3repE0EEENS1_30default_config_static_selectorELNS0_4arch9wavefront6targetE1EEEvS12_
	.p2align	8
	.type	_ZN7rocprim17ROCPRIM_400000_NS6detail17trampoline_kernelINS0_13select_configILj256ELj13ELNS0_17block_load_methodE3ELS4_3ELS4_3ELNS0_20block_scan_algorithmE0ELj4294967295EEENS1_25partition_config_selectorILNS1_17partition_subalgoE4EjNS0_10empty_typeEbEEZZNS1_14partition_implILS8_4ELb0ES6_15HIP_vector_typeIjLj2EENS0_17counting_iteratorIjlEEPS9_SG_NS0_5tupleIJPjSI_NS0_16reverse_iteratorISI_EEEEENSH_IJSG_SG_SG_EEES9_SI_JZNS1_25segmented_radix_sort_implINS0_14default_configELb1EPKfPfPKlPlN2at6native12_GLOBAL__N_18offset_tEEE10hipError_tPvRmT1_PNSt15iterator_traitsIS12_E10value_typeET2_T3_PNS13_IS18_E10value_typeET4_jRbjT5_S1E_jjP12ihipStream_tbEUljE_ZNSN_ISO_Lb1ESQ_SR_ST_SU_SY_EESZ_S10_S11_S12_S16_S17_S18_S1B_S1C_jS1D_jS1E_S1E_jjS1G_bEUljE0_EEESZ_S10_S11_S18_S1C_S1E_T6_T7_T9_mT8_S1G_bDpT10_ENKUlT_T0_E_clISt17integral_constantIbLb1EES1U_EEDaS1P_S1Q_EUlS1P_E_NS1_11comp_targetILNS1_3genE9ELNS1_11target_archE1100ELNS1_3gpuE3ELNS1_3repE0EEENS1_30default_config_static_selectorELNS0_4arch9wavefront6targetE1EEEvS12_,@function
_ZN7rocprim17ROCPRIM_400000_NS6detail17trampoline_kernelINS0_13select_configILj256ELj13ELNS0_17block_load_methodE3ELS4_3ELS4_3ELNS0_20block_scan_algorithmE0ELj4294967295EEENS1_25partition_config_selectorILNS1_17partition_subalgoE4EjNS0_10empty_typeEbEEZZNS1_14partition_implILS8_4ELb0ES6_15HIP_vector_typeIjLj2EENS0_17counting_iteratorIjlEEPS9_SG_NS0_5tupleIJPjSI_NS0_16reverse_iteratorISI_EEEEENSH_IJSG_SG_SG_EEES9_SI_JZNS1_25segmented_radix_sort_implINS0_14default_configELb1EPKfPfPKlPlN2at6native12_GLOBAL__N_18offset_tEEE10hipError_tPvRmT1_PNSt15iterator_traitsIS12_E10value_typeET2_T3_PNS13_IS18_E10value_typeET4_jRbjT5_S1E_jjP12ihipStream_tbEUljE_ZNSN_ISO_Lb1ESQ_SR_ST_SU_SY_EESZ_S10_S11_S12_S16_S17_S18_S1B_S1C_jS1D_jS1E_S1E_jjS1G_bEUljE0_EEESZ_S10_S11_S18_S1C_S1E_T6_T7_T9_mT8_S1G_bDpT10_ENKUlT_T0_E_clISt17integral_constantIbLb1EES1U_EEDaS1P_S1Q_EUlS1P_E_NS1_11comp_targetILNS1_3genE9ELNS1_11target_archE1100ELNS1_3gpuE3ELNS1_3repE0EEENS1_30default_config_static_selectorELNS0_4arch9wavefront6targetE1EEEvS12_: ; @_ZN7rocprim17ROCPRIM_400000_NS6detail17trampoline_kernelINS0_13select_configILj256ELj13ELNS0_17block_load_methodE3ELS4_3ELS4_3ELNS0_20block_scan_algorithmE0ELj4294967295EEENS1_25partition_config_selectorILNS1_17partition_subalgoE4EjNS0_10empty_typeEbEEZZNS1_14partition_implILS8_4ELb0ES6_15HIP_vector_typeIjLj2EENS0_17counting_iteratorIjlEEPS9_SG_NS0_5tupleIJPjSI_NS0_16reverse_iteratorISI_EEEEENSH_IJSG_SG_SG_EEES9_SI_JZNS1_25segmented_radix_sort_implINS0_14default_configELb1EPKfPfPKlPlN2at6native12_GLOBAL__N_18offset_tEEE10hipError_tPvRmT1_PNSt15iterator_traitsIS12_E10value_typeET2_T3_PNS13_IS18_E10value_typeET4_jRbjT5_S1E_jjP12ihipStream_tbEUljE_ZNSN_ISO_Lb1ESQ_SR_ST_SU_SY_EESZ_S10_S11_S12_S16_S17_S18_S1B_S1C_jS1D_jS1E_S1E_jjS1G_bEUljE0_EEESZ_S10_S11_S18_S1C_S1E_T6_T7_T9_mT8_S1G_bDpT10_ENKUlT_T0_E_clISt17integral_constantIbLb1EES1U_EEDaS1P_S1Q_EUlS1P_E_NS1_11comp_targetILNS1_3genE9ELNS1_11target_archE1100ELNS1_3gpuE3ELNS1_3repE0EEENS1_30default_config_static_selectorELNS0_4arch9wavefront6targetE1EEEvS12_
; %bb.0:
	.section	.rodata,"a",@progbits
	.p2align	6, 0x0
	.amdhsa_kernel _ZN7rocprim17ROCPRIM_400000_NS6detail17trampoline_kernelINS0_13select_configILj256ELj13ELNS0_17block_load_methodE3ELS4_3ELS4_3ELNS0_20block_scan_algorithmE0ELj4294967295EEENS1_25partition_config_selectorILNS1_17partition_subalgoE4EjNS0_10empty_typeEbEEZZNS1_14partition_implILS8_4ELb0ES6_15HIP_vector_typeIjLj2EENS0_17counting_iteratorIjlEEPS9_SG_NS0_5tupleIJPjSI_NS0_16reverse_iteratorISI_EEEEENSH_IJSG_SG_SG_EEES9_SI_JZNS1_25segmented_radix_sort_implINS0_14default_configELb1EPKfPfPKlPlN2at6native12_GLOBAL__N_18offset_tEEE10hipError_tPvRmT1_PNSt15iterator_traitsIS12_E10value_typeET2_T3_PNS13_IS18_E10value_typeET4_jRbjT5_S1E_jjP12ihipStream_tbEUljE_ZNSN_ISO_Lb1ESQ_SR_ST_SU_SY_EESZ_S10_S11_S12_S16_S17_S18_S1B_S1C_jS1D_jS1E_S1E_jjS1G_bEUljE0_EEESZ_S10_S11_S18_S1C_S1E_T6_T7_T9_mT8_S1G_bDpT10_ENKUlT_T0_E_clISt17integral_constantIbLb1EES1U_EEDaS1P_S1Q_EUlS1P_E_NS1_11comp_targetILNS1_3genE9ELNS1_11target_archE1100ELNS1_3gpuE3ELNS1_3repE0EEENS1_30default_config_static_selectorELNS0_4arch9wavefront6targetE1EEEvS12_
		.amdhsa_group_segment_fixed_size 0
		.amdhsa_private_segment_fixed_size 0
		.amdhsa_kernarg_size 184
		.amdhsa_user_sgpr_count 6
		.amdhsa_user_sgpr_private_segment_buffer 1
		.amdhsa_user_sgpr_dispatch_ptr 0
		.amdhsa_user_sgpr_queue_ptr 0
		.amdhsa_user_sgpr_kernarg_segment_ptr 1
		.amdhsa_user_sgpr_dispatch_id 0
		.amdhsa_user_sgpr_flat_scratch_init 0
		.amdhsa_user_sgpr_kernarg_preload_length 0
		.amdhsa_user_sgpr_kernarg_preload_offset 0
		.amdhsa_user_sgpr_private_segment_size 0
		.amdhsa_uses_dynamic_stack 0
		.amdhsa_system_sgpr_private_segment_wavefront_offset 0
		.amdhsa_system_sgpr_workgroup_id_x 1
		.amdhsa_system_sgpr_workgroup_id_y 0
		.amdhsa_system_sgpr_workgroup_id_z 0
		.amdhsa_system_sgpr_workgroup_info 0
		.amdhsa_system_vgpr_workitem_id 0
		.amdhsa_next_free_vgpr 1
		.amdhsa_next_free_sgpr 0
		.amdhsa_accum_offset 4
		.amdhsa_reserve_vcc 0
		.amdhsa_reserve_flat_scratch 0
		.amdhsa_float_round_mode_32 0
		.amdhsa_float_round_mode_16_64 0
		.amdhsa_float_denorm_mode_32 3
		.amdhsa_float_denorm_mode_16_64 3
		.amdhsa_dx10_clamp 1
		.amdhsa_ieee_mode 1
		.amdhsa_fp16_overflow 0
		.amdhsa_tg_split 0
		.amdhsa_exception_fp_ieee_invalid_op 0
		.amdhsa_exception_fp_denorm_src 0
		.amdhsa_exception_fp_ieee_div_zero 0
		.amdhsa_exception_fp_ieee_overflow 0
		.amdhsa_exception_fp_ieee_underflow 0
		.amdhsa_exception_fp_ieee_inexact 0
		.amdhsa_exception_int_div_zero 0
	.end_amdhsa_kernel
	.section	.text._ZN7rocprim17ROCPRIM_400000_NS6detail17trampoline_kernelINS0_13select_configILj256ELj13ELNS0_17block_load_methodE3ELS4_3ELS4_3ELNS0_20block_scan_algorithmE0ELj4294967295EEENS1_25partition_config_selectorILNS1_17partition_subalgoE4EjNS0_10empty_typeEbEEZZNS1_14partition_implILS8_4ELb0ES6_15HIP_vector_typeIjLj2EENS0_17counting_iteratorIjlEEPS9_SG_NS0_5tupleIJPjSI_NS0_16reverse_iteratorISI_EEEEENSH_IJSG_SG_SG_EEES9_SI_JZNS1_25segmented_radix_sort_implINS0_14default_configELb1EPKfPfPKlPlN2at6native12_GLOBAL__N_18offset_tEEE10hipError_tPvRmT1_PNSt15iterator_traitsIS12_E10value_typeET2_T3_PNS13_IS18_E10value_typeET4_jRbjT5_S1E_jjP12ihipStream_tbEUljE_ZNSN_ISO_Lb1ESQ_SR_ST_SU_SY_EESZ_S10_S11_S12_S16_S17_S18_S1B_S1C_jS1D_jS1E_S1E_jjS1G_bEUljE0_EEESZ_S10_S11_S18_S1C_S1E_T6_T7_T9_mT8_S1G_bDpT10_ENKUlT_T0_E_clISt17integral_constantIbLb1EES1U_EEDaS1P_S1Q_EUlS1P_E_NS1_11comp_targetILNS1_3genE9ELNS1_11target_archE1100ELNS1_3gpuE3ELNS1_3repE0EEENS1_30default_config_static_selectorELNS0_4arch9wavefront6targetE1EEEvS12_,"axG",@progbits,_ZN7rocprim17ROCPRIM_400000_NS6detail17trampoline_kernelINS0_13select_configILj256ELj13ELNS0_17block_load_methodE3ELS4_3ELS4_3ELNS0_20block_scan_algorithmE0ELj4294967295EEENS1_25partition_config_selectorILNS1_17partition_subalgoE4EjNS0_10empty_typeEbEEZZNS1_14partition_implILS8_4ELb0ES6_15HIP_vector_typeIjLj2EENS0_17counting_iteratorIjlEEPS9_SG_NS0_5tupleIJPjSI_NS0_16reverse_iteratorISI_EEEEENSH_IJSG_SG_SG_EEES9_SI_JZNS1_25segmented_radix_sort_implINS0_14default_configELb1EPKfPfPKlPlN2at6native12_GLOBAL__N_18offset_tEEE10hipError_tPvRmT1_PNSt15iterator_traitsIS12_E10value_typeET2_T3_PNS13_IS18_E10value_typeET4_jRbjT5_S1E_jjP12ihipStream_tbEUljE_ZNSN_ISO_Lb1ESQ_SR_ST_SU_SY_EESZ_S10_S11_S12_S16_S17_S18_S1B_S1C_jS1D_jS1E_S1E_jjS1G_bEUljE0_EEESZ_S10_S11_S18_S1C_S1E_T6_T7_T9_mT8_S1G_bDpT10_ENKUlT_T0_E_clISt17integral_constantIbLb1EES1U_EEDaS1P_S1Q_EUlS1P_E_NS1_11comp_targetILNS1_3genE9ELNS1_11target_archE1100ELNS1_3gpuE3ELNS1_3repE0EEENS1_30default_config_static_selectorELNS0_4arch9wavefront6targetE1EEEvS12_,comdat
.Lfunc_end1273:
	.size	_ZN7rocprim17ROCPRIM_400000_NS6detail17trampoline_kernelINS0_13select_configILj256ELj13ELNS0_17block_load_methodE3ELS4_3ELS4_3ELNS0_20block_scan_algorithmE0ELj4294967295EEENS1_25partition_config_selectorILNS1_17partition_subalgoE4EjNS0_10empty_typeEbEEZZNS1_14partition_implILS8_4ELb0ES6_15HIP_vector_typeIjLj2EENS0_17counting_iteratorIjlEEPS9_SG_NS0_5tupleIJPjSI_NS0_16reverse_iteratorISI_EEEEENSH_IJSG_SG_SG_EEES9_SI_JZNS1_25segmented_radix_sort_implINS0_14default_configELb1EPKfPfPKlPlN2at6native12_GLOBAL__N_18offset_tEEE10hipError_tPvRmT1_PNSt15iterator_traitsIS12_E10value_typeET2_T3_PNS13_IS18_E10value_typeET4_jRbjT5_S1E_jjP12ihipStream_tbEUljE_ZNSN_ISO_Lb1ESQ_SR_ST_SU_SY_EESZ_S10_S11_S12_S16_S17_S18_S1B_S1C_jS1D_jS1E_S1E_jjS1G_bEUljE0_EEESZ_S10_S11_S18_S1C_S1E_T6_T7_T9_mT8_S1G_bDpT10_ENKUlT_T0_E_clISt17integral_constantIbLb1EES1U_EEDaS1P_S1Q_EUlS1P_E_NS1_11comp_targetILNS1_3genE9ELNS1_11target_archE1100ELNS1_3gpuE3ELNS1_3repE0EEENS1_30default_config_static_selectorELNS0_4arch9wavefront6targetE1EEEvS12_, .Lfunc_end1273-_ZN7rocprim17ROCPRIM_400000_NS6detail17trampoline_kernelINS0_13select_configILj256ELj13ELNS0_17block_load_methodE3ELS4_3ELS4_3ELNS0_20block_scan_algorithmE0ELj4294967295EEENS1_25partition_config_selectorILNS1_17partition_subalgoE4EjNS0_10empty_typeEbEEZZNS1_14partition_implILS8_4ELb0ES6_15HIP_vector_typeIjLj2EENS0_17counting_iteratorIjlEEPS9_SG_NS0_5tupleIJPjSI_NS0_16reverse_iteratorISI_EEEEENSH_IJSG_SG_SG_EEES9_SI_JZNS1_25segmented_radix_sort_implINS0_14default_configELb1EPKfPfPKlPlN2at6native12_GLOBAL__N_18offset_tEEE10hipError_tPvRmT1_PNSt15iterator_traitsIS12_E10value_typeET2_T3_PNS13_IS18_E10value_typeET4_jRbjT5_S1E_jjP12ihipStream_tbEUljE_ZNSN_ISO_Lb1ESQ_SR_ST_SU_SY_EESZ_S10_S11_S12_S16_S17_S18_S1B_S1C_jS1D_jS1E_S1E_jjS1G_bEUljE0_EEESZ_S10_S11_S18_S1C_S1E_T6_T7_T9_mT8_S1G_bDpT10_ENKUlT_T0_E_clISt17integral_constantIbLb1EES1U_EEDaS1P_S1Q_EUlS1P_E_NS1_11comp_targetILNS1_3genE9ELNS1_11target_archE1100ELNS1_3gpuE3ELNS1_3repE0EEENS1_30default_config_static_selectorELNS0_4arch9wavefront6targetE1EEEvS12_
                                        ; -- End function
	.section	.AMDGPU.csdata,"",@progbits
; Kernel info:
; codeLenInByte = 0
; NumSgprs: 4
; NumVgprs: 0
; NumAgprs: 0
; TotalNumVgprs: 0
; ScratchSize: 0
; MemoryBound: 0
; FloatMode: 240
; IeeeMode: 1
; LDSByteSize: 0 bytes/workgroup (compile time only)
; SGPRBlocks: 0
; VGPRBlocks: 0
; NumSGPRsForWavesPerEU: 4
; NumVGPRsForWavesPerEU: 1
; AccumOffset: 4
; Occupancy: 8
; WaveLimiterHint : 0
; COMPUTE_PGM_RSRC2:SCRATCH_EN: 0
; COMPUTE_PGM_RSRC2:USER_SGPR: 6
; COMPUTE_PGM_RSRC2:TRAP_HANDLER: 0
; COMPUTE_PGM_RSRC2:TGID_X_EN: 1
; COMPUTE_PGM_RSRC2:TGID_Y_EN: 0
; COMPUTE_PGM_RSRC2:TGID_Z_EN: 0
; COMPUTE_PGM_RSRC2:TIDIG_COMP_CNT: 0
; COMPUTE_PGM_RSRC3_GFX90A:ACCUM_OFFSET: 0
; COMPUTE_PGM_RSRC3_GFX90A:TG_SPLIT: 0
	.section	.text._ZN7rocprim17ROCPRIM_400000_NS6detail17trampoline_kernelINS0_13select_configILj256ELj13ELNS0_17block_load_methodE3ELS4_3ELS4_3ELNS0_20block_scan_algorithmE0ELj4294967295EEENS1_25partition_config_selectorILNS1_17partition_subalgoE4EjNS0_10empty_typeEbEEZZNS1_14partition_implILS8_4ELb0ES6_15HIP_vector_typeIjLj2EENS0_17counting_iteratorIjlEEPS9_SG_NS0_5tupleIJPjSI_NS0_16reverse_iteratorISI_EEEEENSH_IJSG_SG_SG_EEES9_SI_JZNS1_25segmented_radix_sort_implINS0_14default_configELb1EPKfPfPKlPlN2at6native12_GLOBAL__N_18offset_tEEE10hipError_tPvRmT1_PNSt15iterator_traitsIS12_E10value_typeET2_T3_PNS13_IS18_E10value_typeET4_jRbjT5_S1E_jjP12ihipStream_tbEUljE_ZNSN_ISO_Lb1ESQ_SR_ST_SU_SY_EESZ_S10_S11_S12_S16_S17_S18_S1B_S1C_jS1D_jS1E_S1E_jjS1G_bEUljE0_EEESZ_S10_S11_S18_S1C_S1E_T6_T7_T9_mT8_S1G_bDpT10_ENKUlT_T0_E_clISt17integral_constantIbLb1EES1U_EEDaS1P_S1Q_EUlS1P_E_NS1_11comp_targetILNS1_3genE8ELNS1_11target_archE1030ELNS1_3gpuE2ELNS1_3repE0EEENS1_30default_config_static_selectorELNS0_4arch9wavefront6targetE1EEEvS12_,"axG",@progbits,_ZN7rocprim17ROCPRIM_400000_NS6detail17trampoline_kernelINS0_13select_configILj256ELj13ELNS0_17block_load_methodE3ELS4_3ELS4_3ELNS0_20block_scan_algorithmE0ELj4294967295EEENS1_25partition_config_selectorILNS1_17partition_subalgoE4EjNS0_10empty_typeEbEEZZNS1_14partition_implILS8_4ELb0ES6_15HIP_vector_typeIjLj2EENS0_17counting_iteratorIjlEEPS9_SG_NS0_5tupleIJPjSI_NS0_16reverse_iteratorISI_EEEEENSH_IJSG_SG_SG_EEES9_SI_JZNS1_25segmented_radix_sort_implINS0_14default_configELb1EPKfPfPKlPlN2at6native12_GLOBAL__N_18offset_tEEE10hipError_tPvRmT1_PNSt15iterator_traitsIS12_E10value_typeET2_T3_PNS13_IS18_E10value_typeET4_jRbjT5_S1E_jjP12ihipStream_tbEUljE_ZNSN_ISO_Lb1ESQ_SR_ST_SU_SY_EESZ_S10_S11_S12_S16_S17_S18_S1B_S1C_jS1D_jS1E_S1E_jjS1G_bEUljE0_EEESZ_S10_S11_S18_S1C_S1E_T6_T7_T9_mT8_S1G_bDpT10_ENKUlT_T0_E_clISt17integral_constantIbLb1EES1U_EEDaS1P_S1Q_EUlS1P_E_NS1_11comp_targetILNS1_3genE8ELNS1_11target_archE1030ELNS1_3gpuE2ELNS1_3repE0EEENS1_30default_config_static_selectorELNS0_4arch9wavefront6targetE1EEEvS12_,comdat
	.globl	_ZN7rocprim17ROCPRIM_400000_NS6detail17trampoline_kernelINS0_13select_configILj256ELj13ELNS0_17block_load_methodE3ELS4_3ELS4_3ELNS0_20block_scan_algorithmE0ELj4294967295EEENS1_25partition_config_selectorILNS1_17partition_subalgoE4EjNS0_10empty_typeEbEEZZNS1_14partition_implILS8_4ELb0ES6_15HIP_vector_typeIjLj2EENS0_17counting_iteratorIjlEEPS9_SG_NS0_5tupleIJPjSI_NS0_16reverse_iteratorISI_EEEEENSH_IJSG_SG_SG_EEES9_SI_JZNS1_25segmented_radix_sort_implINS0_14default_configELb1EPKfPfPKlPlN2at6native12_GLOBAL__N_18offset_tEEE10hipError_tPvRmT1_PNSt15iterator_traitsIS12_E10value_typeET2_T3_PNS13_IS18_E10value_typeET4_jRbjT5_S1E_jjP12ihipStream_tbEUljE_ZNSN_ISO_Lb1ESQ_SR_ST_SU_SY_EESZ_S10_S11_S12_S16_S17_S18_S1B_S1C_jS1D_jS1E_S1E_jjS1G_bEUljE0_EEESZ_S10_S11_S18_S1C_S1E_T6_T7_T9_mT8_S1G_bDpT10_ENKUlT_T0_E_clISt17integral_constantIbLb1EES1U_EEDaS1P_S1Q_EUlS1P_E_NS1_11comp_targetILNS1_3genE8ELNS1_11target_archE1030ELNS1_3gpuE2ELNS1_3repE0EEENS1_30default_config_static_selectorELNS0_4arch9wavefront6targetE1EEEvS12_ ; -- Begin function _ZN7rocprim17ROCPRIM_400000_NS6detail17trampoline_kernelINS0_13select_configILj256ELj13ELNS0_17block_load_methodE3ELS4_3ELS4_3ELNS0_20block_scan_algorithmE0ELj4294967295EEENS1_25partition_config_selectorILNS1_17partition_subalgoE4EjNS0_10empty_typeEbEEZZNS1_14partition_implILS8_4ELb0ES6_15HIP_vector_typeIjLj2EENS0_17counting_iteratorIjlEEPS9_SG_NS0_5tupleIJPjSI_NS0_16reverse_iteratorISI_EEEEENSH_IJSG_SG_SG_EEES9_SI_JZNS1_25segmented_radix_sort_implINS0_14default_configELb1EPKfPfPKlPlN2at6native12_GLOBAL__N_18offset_tEEE10hipError_tPvRmT1_PNSt15iterator_traitsIS12_E10value_typeET2_T3_PNS13_IS18_E10value_typeET4_jRbjT5_S1E_jjP12ihipStream_tbEUljE_ZNSN_ISO_Lb1ESQ_SR_ST_SU_SY_EESZ_S10_S11_S12_S16_S17_S18_S1B_S1C_jS1D_jS1E_S1E_jjS1G_bEUljE0_EEESZ_S10_S11_S18_S1C_S1E_T6_T7_T9_mT8_S1G_bDpT10_ENKUlT_T0_E_clISt17integral_constantIbLb1EES1U_EEDaS1P_S1Q_EUlS1P_E_NS1_11comp_targetILNS1_3genE8ELNS1_11target_archE1030ELNS1_3gpuE2ELNS1_3repE0EEENS1_30default_config_static_selectorELNS0_4arch9wavefront6targetE1EEEvS12_
	.p2align	8
	.type	_ZN7rocprim17ROCPRIM_400000_NS6detail17trampoline_kernelINS0_13select_configILj256ELj13ELNS0_17block_load_methodE3ELS4_3ELS4_3ELNS0_20block_scan_algorithmE0ELj4294967295EEENS1_25partition_config_selectorILNS1_17partition_subalgoE4EjNS0_10empty_typeEbEEZZNS1_14partition_implILS8_4ELb0ES6_15HIP_vector_typeIjLj2EENS0_17counting_iteratorIjlEEPS9_SG_NS0_5tupleIJPjSI_NS0_16reverse_iteratorISI_EEEEENSH_IJSG_SG_SG_EEES9_SI_JZNS1_25segmented_radix_sort_implINS0_14default_configELb1EPKfPfPKlPlN2at6native12_GLOBAL__N_18offset_tEEE10hipError_tPvRmT1_PNSt15iterator_traitsIS12_E10value_typeET2_T3_PNS13_IS18_E10value_typeET4_jRbjT5_S1E_jjP12ihipStream_tbEUljE_ZNSN_ISO_Lb1ESQ_SR_ST_SU_SY_EESZ_S10_S11_S12_S16_S17_S18_S1B_S1C_jS1D_jS1E_S1E_jjS1G_bEUljE0_EEESZ_S10_S11_S18_S1C_S1E_T6_T7_T9_mT8_S1G_bDpT10_ENKUlT_T0_E_clISt17integral_constantIbLb1EES1U_EEDaS1P_S1Q_EUlS1P_E_NS1_11comp_targetILNS1_3genE8ELNS1_11target_archE1030ELNS1_3gpuE2ELNS1_3repE0EEENS1_30default_config_static_selectorELNS0_4arch9wavefront6targetE1EEEvS12_,@function
_ZN7rocprim17ROCPRIM_400000_NS6detail17trampoline_kernelINS0_13select_configILj256ELj13ELNS0_17block_load_methodE3ELS4_3ELS4_3ELNS0_20block_scan_algorithmE0ELj4294967295EEENS1_25partition_config_selectorILNS1_17partition_subalgoE4EjNS0_10empty_typeEbEEZZNS1_14partition_implILS8_4ELb0ES6_15HIP_vector_typeIjLj2EENS0_17counting_iteratorIjlEEPS9_SG_NS0_5tupleIJPjSI_NS0_16reverse_iteratorISI_EEEEENSH_IJSG_SG_SG_EEES9_SI_JZNS1_25segmented_radix_sort_implINS0_14default_configELb1EPKfPfPKlPlN2at6native12_GLOBAL__N_18offset_tEEE10hipError_tPvRmT1_PNSt15iterator_traitsIS12_E10value_typeET2_T3_PNS13_IS18_E10value_typeET4_jRbjT5_S1E_jjP12ihipStream_tbEUljE_ZNSN_ISO_Lb1ESQ_SR_ST_SU_SY_EESZ_S10_S11_S12_S16_S17_S18_S1B_S1C_jS1D_jS1E_S1E_jjS1G_bEUljE0_EEESZ_S10_S11_S18_S1C_S1E_T6_T7_T9_mT8_S1G_bDpT10_ENKUlT_T0_E_clISt17integral_constantIbLb1EES1U_EEDaS1P_S1Q_EUlS1P_E_NS1_11comp_targetILNS1_3genE8ELNS1_11target_archE1030ELNS1_3gpuE2ELNS1_3repE0EEENS1_30default_config_static_selectorELNS0_4arch9wavefront6targetE1EEEvS12_: ; @_ZN7rocprim17ROCPRIM_400000_NS6detail17trampoline_kernelINS0_13select_configILj256ELj13ELNS0_17block_load_methodE3ELS4_3ELS4_3ELNS0_20block_scan_algorithmE0ELj4294967295EEENS1_25partition_config_selectorILNS1_17partition_subalgoE4EjNS0_10empty_typeEbEEZZNS1_14partition_implILS8_4ELb0ES6_15HIP_vector_typeIjLj2EENS0_17counting_iteratorIjlEEPS9_SG_NS0_5tupleIJPjSI_NS0_16reverse_iteratorISI_EEEEENSH_IJSG_SG_SG_EEES9_SI_JZNS1_25segmented_radix_sort_implINS0_14default_configELb1EPKfPfPKlPlN2at6native12_GLOBAL__N_18offset_tEEE10hipError_tPvRmT1_PNSt15iterator_traitsIS12_E10value_typeET2_T3_PNS13_IS18_E10value_typeET4_jRbjT5_S1E_jjP12ihipStream_tbEUljE_ZNSN_ISO_Lb1ESQ_SR_ST_SU_SY_EESZ_S10_S11_S12_S16_S17_S18_S1B_S1C_jS1D_jS1E_S1E_jjS1G_bEUljE0_EEESZ_S10_S11_S18_S1C_S1E_T6_T7_T9_mT8_S1G_bDpT10_ENKUlT_T0_E_clISt17integral_constantIbLb1EES1U_EEDaS1P_S1Q_EUlS1P_E_NS1_11comp_targetILNS1_3genE8ELNS1_11target_archE1030ELNS1_3gpuE2ELNS1_3repE0EEENS1_30default_config_static_selectorELNS0_4arch9wavefront6targetE1EEEvS12_
; %bb.0:
	.section	.rodata,"a",@progbits
	.p2align	6, 0x0
	.amdhsa_kernel _ZN7rocprim17ROCPRIM_400000_NS6detail17trampoline_kernelINS0_13select_configILj256ELj13ELNS0_17block_load_methodE3ELS4_3ELS4_3ELNS0_20block_scan_algorithmE0ELj4294967295EEENS1_25partition_config_selectorILNS1_17partition_subalgoE4EjNS0_10empty_typeEbEEZZNS1_14partition_implILS8_4ELb0ES6_15HIP_vector_typeIjLj2EENS0_17counting_iteratorIjlEEPS9_SG_NS0_5tupleIJPjSI_NS0_16reverse_iteratorISI_EEEEENSH_IJSG_SG_SG_EEES9_SI_JZNS1_25segmented_radix_sort_implINS0_14default_configELb1EPKfPfPKlPlN2at6native12_GLOBAL__N_18offset_tEEE10hipError_tPvRmT1_PNSt15iterator_traitsIS12_E10value_typeET2_T3_PNS13_IS18_E10value_typeET4_jRbjT5_S1E_jjP12ihipStream_tbEUljE_ZNSN_ISO_Lb1ESQ_SR_ST_SU_SY_EESZ_S10_S11_S12_S16_S17_S18_S1B_S1C_jS1D_jS1E_S1E_jjS1G_bEUljE0_EEESZ_S10_S11_S18_S1C_S1E_T6_T7_T9_mT8_S1G_bDpT10_ENKUlT_T0_E_clISt17integral_constantIbLb1EES1U_EEDaS1P_S1Q_EUlS1P_E_NS1_11comp_targetILNS1_3genE8ELNS1_11target_archE1030ELNS1_3gpuE2ELNS1_3repE0EEENS1_30default_config_static_selectorELNS0_4arch9wavefront6targetE1EEEvS12_
		.amdhsa_group_segment_fixed_size 0
		.amdhsa_private_segment_fixed_size 0
		.amdhsa_kernarg_size 184
		.amdhsa_user_sgpr_count 6
		.amdhsa_user_sgpr_private_segment_buffer 1
		.amdhsa_user_sgpr_dispatch_ptr 0
		.amdhsa_user_sgpr_queue_ptr 0
		.amdhsa_user_sgpr_kernarg_segment_ptr 1
		.amdhsa_user_sgpr_dispatch_id 0
		.amdhsa_user_sgpr_flat_scratch_init 0
		.amdhsa_user_sgpr_kernarg_preload_length 0
		.amdhsa_user_sgpr_kernarg_preload_offset 0
		.amdhsa_user_sgpr_private_segment_size 0
		.amdhsa_uses_dynamic_stack 0
		.amdhsa_system_sgpr_private_segment_wavefront_offset 0
		.amdhsa_system_sgpr_workgroup_id_x 1
		.amdhsa_system_sgpr_workgroup_id_y 0
		.amdhsa_system_sgpr_workgroup_id_z 0
		.amdhsa_system_sgpr_workgroup_info 0
		.amdhsa_system_vgpr_workitem_id 0
		.amdhsa_next_free_vgpr 1
		.amdhsa_next_free_sgpr 0
		.amdhsa_accum_offset 4
		.amdhsa_reserve_vcc 0
		.amdhsa_reserve_flat_scratch 0
		.amdhsa_float_round_mode_32 0
		.amdhsa_float_round_mode_16_64 0
		.amdhsa_float_denorm_mode_32 3
		.amdhsa_float_denorm_mode_16_64 3
		.amdhsa_dx10_clamp 1
		.amdhsa_ieee_mode 1
		.amdhsa_fp16_overflow 0
		.amdhsa_tg_split 0
		.amdhsa_exception_fp_ieee_invalid_op 0
		.amdhsa_exception_fp_denorm_src 0
		.amdhsa_exception_fp_ieee_div_zero 0
		.amdhsa_exception_fp_ieee_overflow 0
		.amdhsa_exception_fp_ieee_underflow 0
		.amdhsa_exception_fp_ieee_inexact 0
		.amdhsa_exception_int_div_zero 0
	.end_amdhsa_kernel
	.section	.text._ZN7rocprim17ROCPRIM_400000_NS6detail17trampoline_kernelINS0_13select_configILj256ELj13ELNS0_17block_load_methodE3ELS4_3ELS4_3ELNS0_20block_scan_algorithmE0ELj4294967295EEENS1_25partition_config_selectorILNS1_17partition_subalgoE4EjNS0_10empty_typeEbEEZZNS1_14partition_implILS8_4ELb0ES6_15HIP_vector_typeIjLj2EENS0_17counting_iteratorIjlEEPS9_SG_NS0_5tupleIJPjSI_NS0_16reverse_iteratorISI_EEEEENSH_IJSG_SG_SG_EEES9_SI_JZNS1_25segmented_radix_sort_implINS0_14default_configELb1EPKfPfPKlPlN2at6native12_GLOBAL__N_18offset_tEEE10hipError_tPvRmT1_PNSt15iterator_traitsIS12_E10value_typeET2_T3_PNS13_IS18_E10value_typeET4_jRbjT5_S1E_jjP12ihipStream_tbEUljE_ZNSN_ISO_Lb1ESQ_SR_ST_SU_SY_EESZ_S10_S11_S12_S16_S17_S18_S1B_S1C_jS1D_jS1E_S1E_jjS1G_bEUljE0_EEESZ_S10_S11_S18_S1C_S1E_T6_T7_T9_mT8_S1G_bDpT10_ENKUlT_T0_E_clISt17integral_constantIbLb1EES1U_EEDaS1P_S1Q_EUlS1P_E_NS1_11comp_targetILNS1_3genE8ELNS1_11target_archE1030ELNS1_3gpuE2ELNS1_3repE0EEENS1_30default_config_static_selectorELNS0_4arch9wavefront6targetE1EEEvS12_,"axG",@progbits,_ZN7rocprim17ROCPRIM_400000_NS6detail17trampoline_kernelINS0_13select_configILj256ELj13ELNS0_17block_load_methodE3ELS4_3ELS4_3ELNS0_20block_scan_algorithmE0ELj4294967295EEENS1_25partition_config_selectorILNS1_17partition_subalgoE4EjNS0_10empty_typeEbEEZZNS1_14partition_implILS8_4ELb0ES6_15HIP_vector_typeIjLj2EENS0_17counting_iteratorIjlEEPS9_SG_NS0_5tupleIJPjSI_NS0_16reverse_iteratorISI_EEEEENSH_IJSG_SG_SG_EEES9_SI_JZNS1_25segmented_radix_sort_implINS0_14default_configELb1EPKfPfPKlPlN2at6native12_GLOBAL__N_18offset_tEEE10hipError_tPvRmT1_PNSt15iterator_traitsIS12_E10value_typeET2_T3_PNS13_IS18_E10value_typeET4_jRbjT5_S1E_jjP12ihipStream_tbEUljE_ZNSN_ISO_Lb1ESQ_SR_ST_SU_SY_EESZ_S10_S11_S12_S16_S17_S18_S1B_S1C_jS1D_jS1E_S1E_jjS1G_bEUljE0_EEESZ_S10_S11_S18_S1C_S1E_T6_T7_T9_mT8_S1G_bDpT10_ENKUlT_T0_E_clISt17integral_constantIbLb1EES1U_EEDaS1P_S1Q_EUlS1P_E_NS1_11comp_targetILNS1_3genE8ELNS1_11target_archE1030ELNS1_3gpuE2ELNS1_3repE0EEENS1_30default_config_static_selectorELNS0_4arch9wavefront6targetE1EEEvS12_,comdat
.Lfunc_end1274:
	.size	_ZN7rocprim17ROCPRIM_400000_NS6detail17trampoline_kernelINS0_13select_configILj256ELj13ELNS0_17block_load_methodE3ELS4_3ELS4_3ELNS0_20block_scan_algorithmE0ELj4294967295EEENS1_25partition_config_selectorILNS1_17partition_subalgoE4EjNS0_10empty_typeEbEEZZNS1_14partition_implILS8_4ELb0ES6_15HIP_vector_typeIjLj2EENS0_17counting_iteratorIjlEEPS9_SG_NS0_5tupleIJPjSI_NS0_16reverse_iteratorISI_EEEEENSH_IJSG_SG_SG_EEES9_SI_JZNS1_25segmented_radix_sort_implINS0_14default_configELb1EPKfPfPKlPlN2at6native12_GLOBAL__N_18offset_tEEE10hipError_tPvRmT1_PNSt15iterator_traitsIS12_E10value_typeET2_T3_PNS13_IS18_E10value_typeET4_jRbjT5_S1E_jjP12ihipStream_tbEUljE_ZNSN_ISO_Lb1ESQ_SR_ST_SU_SY_EESZ_S10_S11_S12_S16_S17_S18_S1B_S1C_jS1D_jS1E_S1E_jjS1G_bEUljE0_EEESZ_S10_S11_S18_S1C_S1E_T6_T7_T9_mT8_S1G_bDpT10_ENKUlT_T0_E_clISt17integral_constantIbLb1EES1U_EEDaS1P_S1Q_EUlS1P_E_NS1_11comp_targetILNS1_3genE8ELNS1_11target_archE1030ELNS1_3gpuE2ELNS1_3repE0EEENS1_30default_config_static_selectorELNS0_4arch9wavefront6targetE1EEEvS12_, .Lfunc_end1274-_ZN7rocprim17ROCPRIM_400000_NS6detail17trampoline_kernelINS0_13select_configILj256ELj13ELNS0_17block_load_methodE3ELS4_3ELS4_3ELNS0_20block_scan_algorithmE0ELj4294967295EEENS1_25partition_config_selectorILNS1_17partition_subalgoE4EjNS0_10empty_typeEbEEZZNS1_14partition_implILS8_4ELb0ES6_15HIP_vector_typeIjLj2EENS0_17counting_iteratorIjlEEPS9_SG_NS0_5tupleIJPjSI_NS0_16reverse_iteratorISI_EEEEENSH_IJSG_SG_SG_EEES9_SI_JZNS1_25segmented_radix_sort_implINS0_14default_configELb1EPKfPfPKlPlN2at6native12_GLOBAL__N_18offset_tEEE10hipError_tPvRmT1_PNSt15iterator_traitsIS12_E10value_typeET2_T3_PNS13_IS18_E10value_typeET4_jRbjT5_S1E_jjP12ihipStream_tbEUljE_ZNSN_ISO_Lb1ESQ_SR_ST_SU_SY_EESZ_S10_S11_S12_S16_S17_S18_S1B_S1C_jS1D_jS1E_S1E_jjS1G_bEUljE0_EEESZ_S10_S11_S18_S1C_S1E_T6_T7_T9_mT8_S1G_bDpT10_ENKUlT_T0_E_clISt17integral_constantIbLb1EES1U_EEDaS1P_S1Q_EUlS1P_E_NS1_11comp_targetILNS1_3genE8ELNS1_11target_archE1030ELNS1_3gpuE2ELNS1_3repE0EEENS1_30default_config_static_selectorELNS0_4arch9wavefront6targetE1EEEvS12_
                                        ; -- End function
	.section	.AMDGPU.csdata,"",@progbits
; Kernel info:
; codeLenInByte = 0
; NumSgprs: 4
; NumVgprs: 0
; NumAgprs: 0
; TotalNumVgprs: 0
; ScratchSize: 0
; MemoryBound: 0
; FloatMode: 240
; IeeeMode: 1
; LDSByteSize: 0 bytes/workgroup (compile time only)
; SGPRBlocks: 0
; VGPRBlocks: 0
; NumSGPRsForWavesPerEU: 4
; NumVGPRsForWavesPerEU: 1
; AccumOffset: 4
; Occupancy: 8
; WaveLimiterHint : 0
; COMPUTE_PGM_RSRC2:SCRATCH_EN: 0
; COMPUTE_PGM_RSRC2:USER_SGPR: 6
; COMPUTE_PGM_RSRC2:TRAP_HANDLER: 0
; COMPUTE_PGM_RSRC2:TGID_X_EN: 1
; COMPUTE_PGM_RSRC2:TGID_Y_EN: 0
; COMPUTE_PGM_RSRC2:TGID_Z_EN: 0
; COMPUTE_PGM_RSRC2:TIDIG_COMP_CNT: 0
; COMPUTE_PGM_RSRC3_GFX90A:ACCUM_OFFSET: 0
; COMPUTE_PGM_RSRC3_GFX90A:TG_SPLIT: 0
	.section	.text._ZN7rocprim17ROCPRIM_400000_NS6detail17trampoline_kernelINS0_13select_configILj256ELj13ELNS0_17block_load_methodE3ELS4_3ELS4_3ELNS0_20block_scan_algorithmE0ELj4294967295EEENS1_25partition_config_selectorILNS1_17partition_subalgoE4EjNS0_10empty_typeEbEEZZNS1_14partition_implILS8_4ELb0ES6_15HIP_vector_typeIjLj2EENS0_17counting_iteratorIjlEEPS9_SG_NS0_5tupleIJPjSI_NS0_16reverse_iteratorISI_EEEEENSH_IJSG_SG_SG_EEES9_SI_JZNS1_25segmented_radix_sort_implINS0_14default_configELb1EPKfPfPKlPlN2at6native12_GLOBAL__N_18offset_tEEE10hipError_tPvRmT1_PNSt15iterator_traitsIS12_E10value_typeET2_T3_PNS13_IS18_E10value_typeET4_jRbjT5_S1E_jjP12ihipStream_tbEUljE_ZNSN_ISO_Lb1ESQ_SR_ST_SU_SY_EESZ_S10_S11_S12_S16_S17_S18_S1B_S1C_jS1D_jS1E_S1E_jjS1G_bEUljE0_EEESZ_S10_S11_S18_S1C_S1E_T6_T7_T9_mT8_S1G_bDpT10_ENKUlT_T0_E_clISt17integral_constantIbLb1EES1T_IbLb0EEEEDaS1P_S1Q_EUlS1P_E_NS1_11comp_targetILNS1_3genE0ELNS1_11target_archE4294967295ELNS1_3gpuE0ELNS1_3repE0EEENS1_30default_config_static_selectorELNS0_4arch9wavefront6targetE1EEEvS12_,"axG",@progbits,_ZN7rocprim17ROCPRIM_400000_NS6detail17trampoline_kernelINS0_13select_configILj256ELj13ELNS0_17block_load_methodE3ELS4_3ELS4_3ELNS0_20block_scan_algorithmE0ELj4294967295EEENS1_25partition_config_selectorILNS1_17partition_subalgoE4EjNS0_10empty_typeEbEEZZNS1_14partition_implILS8_4ELb0ES6_15HIP_vector_typeIjLj2EENS0_17counting_iteratorIjlEEPS9_SG_NS0_5tupleIJPjSI_NS0_16reverse_iteratorISI_EEEEENSH_IJSG_SG_SG_EEES9_SI_JZNS1_25segmented_radix_sort_implINS0_14default_configELb1EPKfPfPKlPlN2at6native12_GLOBAL__N_18offset_tEEE10hipError_tPvRmT1_PNSt15iterator_traitsIS12_E10value_typeET2_T3_PNS13_IS18_E10value_typeET4_jRbjT5_S1E_jjP12ihipStream_tbEUljE_ZNSN_ISO_Lb1ESQ_SR_ST_SU_SY_EESZ_S10_S11_S12_S16_S17_S18_S1B_S1C_jS1D_jS1E_S1E_jjS1G_bEUljE0_EEESZ_S10_S11_S18_S1C_S1E_T6_T7_T9_mT8_S1G_bDpT10_ENKUlT_T0_E_clISt17integral_constantIbLb1EES1T_IbLb0EEEEDaS1P_S1Q_EUlS1P_E_NS1_11comp_targetILNS1_3genE0ELNS1_11target_archE4294967295ELNS1_3gpuE0ELNS1_3repE0EEENS1_30default_config_static_selectorELNS0_4arch9wavefront6targetE1EEEvS12_,comdat
	.globl	_ZN7rocprim17ROCPRIM_400000_NS6detail17trampoline_kernelINS0_13select_configILj256ELj13ELNS0_17block_load_methodE3ELS4_3ELS4_3ELNS0_20block_scan_algorithmE0ELj4294967295EEENS1_25partition_config_selectorILNS1_17partition_subalgoE4EjNS0_10empty_typeEbEEZZNS1_14partition_implILS8_4ELb0ES6_15HIP_vector_typeIjLj2EENS0_17counting_iteratorIjlEEPS9_SG_NS0_5tupleIJPjSI_NS0_16reverse_iteratorISI_EEEEENSH_IJSG_SG_SG_EEES9_SI_JZNS1_25segmented_radix_sort_implINS0_14default_configELb1EPKfPfPKlPlN2at6native12_GLOBAL__N_18offset_tEEE10hipError_tPvRmT1_PNSt15iterator_traitsIS12_E10value_typeET2_T3_PNS13_IS18_E10value_typeET4_jRbjT5_S1E_jjP12ihipStream_tbEUljE_ZNSN_ISO_Lb1ESQ_SR_ST_SU_SY_EESZ_S10_S11_S12_S16_S17_S18_S1B_S1C_jS1D_jS1E_S1E_jjS1G_bEUljE0_EEESZ_S10_S11_S18_S1C_S1E_T6_T7_T9_mT8_S1G_bDpT10_ENKUlT_T0_E_clISt17integral_constantIbLb1EES1T_IbLb0EEEEDaS1P_S1Q_EUlS1P_E_NS1_11comp_targetILNS1_3genE0ELNS1_11target_archE4294967295ELNS1_3gpuE0ELNS1_3repE0EEENS1_30default_config_static_selectorELNS0_4arch9wavefront6targetE1EEEvS12_ ; -- Begin function _ZN7rocprim17ROCPRIM_400000_NS6detail17trampoline_kernelINS0_13select_configILj256ELj13ELNS0_17block_load_methodE3ELS4_3ELS4_3ELNS0_20block_scan_algorithmE0ELj4294967295EEENS1_25partition_config_selectorILNS1_17partition_subalgoE4EjNS0_10empty_typeEbEEZZNS1_14partition_implILS8_4ELb0ES6_15HIP_vector_typeIjLj2EENS0_17counting_iteratorIjlEEPS9_SG_NS0_5tupleIJPjSI_NS0_16reverse_iteratorISI_EEEEENSH_IJSG_SG_SG_EEES9_SI_JZNS1_25segmented_radix_sort_implINS0_14default_configELb1EPKfPfPKlPlN2at6native12_GLOBAL__N_18offset_tEEE10hipError_tPvRmT1_PNSt15iterator_traitsIS12_E10value_typeET2_T3_PNS13_IS18_E10value_typeET4_jRbjT5_S1E_jjP12ihipStream_tbEUljE_ZNSN_ISO_Lb1ESQ_SR_ST_SU_SY_EESZ_S10_S11_S12_S16_S17_S18_S1B_S1C_jS1D_jS1E_S1E_jjS1G_bEUljE0_EEESZ_S10_S11_S18_S1C_S1E_T6_T7_T9_mT8_S1G_bDpT10_ENKUlT_T0_E_clISt17integral_constantIbLb1EES1T_IbLb0EEEEDaS1P_S1Q_EUlS1P_E_NS1_11comp_targetILNS1_3genE0ELNS1_11target_archE4294967295ELNS1_3gpuE0ELNS1_3repE0EEENS1_30default_config_static_selectorELNS0_4arch9wavefront6targetE1EEEvS12_
	.p2align	8
	.type	_ZN7rocprim17ROCPRIM_400000_NS6detail17trampoline_kernelINS0_13select_configILj256ELj13ELNS0_17block_load_methodE3ELS4_3ELS4_3ELNS0_20block_scan_algorithmE0ELj4294967295EEENS1_25partition_config_selectorILNS1_17partition_subalgoE4EjNS0_10empty_typeEbEEZZNS1_14partition_implILS8_4ELb0ES6_15HIP_vector_typeIjLj2EENS0_17counting_iteratorIjlEEPS9_SG_NS0_5tupleIJPjSI_NS0_16reverse_iteratorISI_EEEEENSH_IJSG_SG_SG_EEES9_SI_JZNS1_25segmented_radix_sort_implINS0_14default_configELb1EPKfPfPKlPlN2at6native12_GLOBAL__N_18offset_tEEE10hipError_tPvRmT1_PNSt15iterator_traitsIS12_E10value_typeET2_T3_PNS13_IS18_E10value_typeET4_jRbjT5_S1E_jjP12ihipStream_tbEUljE_ZNSN_ISO_Lb1ESQ_SR_ST_SU_SY_EESZ_S10_S11_S12_S16_S17_S18_S1B_S1C_jS1D_jS1E_S1E_jjS1G_bEUljE0_EEESZ_S10_S11_S18_S1C_S1E_T6_T7_T9_mT8_S1G_bDpT10_ENKUlT_T0_E_clISt17integral_constantIbLb1EES1T_IbLb0EEEEDaS1P_S1Q_EUlS1P_E_NS1_11comp_targetILNS1_3genE0ELNS1_11target_archE4294967295ELNS1_3gpuE0ELNS1_3repE0EEENS1_30default_config_static_selectorELNS0_4arch9wavefront6targetE1EEEvS12_,@function
_ZN7rocprim17ROCPRIM_400000_NS6detail17trampoline_kernelINS0_13select_configILj256ELj13ELNS0_17block_load_methodE3ELS4_3ELS4_3ELNS0_20block_scan_algorithmE0ELj4294967295EEENS1_25partition_config_selectorILNS1_17partition_subalgoE4EjNS0_10empty_typeEbEEZZNS1_14partition_implILS8_4ELb0ES6_15HIP_vector_typeIjLj2EENS0_17counting_iteratorIjlEEPS9_SG_NS0_5tupleIJPjSI_NS0_16reverse_iteratorISI_EEEEENSH_IJSG_SG_SG_EEES9_SI_JZNS1_25segmented_radix_sort_implINS0_14default_configELb1EPKfPfPKlPlN2at6native12_GLOBAL__N_18offset_tEEE10hipError_tPvRmT1_PNSt15iterator_traitsIS12_E10value_typeET2_T3_PNS13_IS18_E10value_typeET4_jRbjT5_S1E_jjP12ihipStream_tbEUljE_ZNSN_ISO_Lb1ESQ_SR_ST_SU_SY_EESZ_S10_S11_S12_S16_S17_S18_S1B_S1C_jS1D_jS1E_S1E_jjS1G_bEUljE0_EEESZ_S10_S11_S18_S1C_S1E_T6_T7_T9_mT8_S1G_bDpT10_ENKUlT_T0_E_clISt17integral_constantIbLb1EES1T_IbLb0EEEEDaS1P_S1Q_EUlS1P_E_NS1_11comp_targetILNS1_3genE0ELNS1_11target_archE4294967295ELNS1_3gpuE0ELNS1_3repE0EEENS1_30default_config_static_selectorELNS0_4arch9wavefront6targetE1EEEvS12_: ; @_ZN7rocprim17ROCPRIM_400000_NS6detail17trampoline_kernelINS0_13select_configILj256ELj13ELNS0_17block_load_methodE3ELS4_3ELS4_3ELNS0_20block_scan_algorithmE0ELj4294967295EEENS1_25partition_config_selectorILNS1_17partition_subalgoE4EjNS0_10empty_typeEbEEZZNS1_14partition_implILS8_4ELb0ES6_15HIP_vector_typeIjLj2EENS0_17counting_iteratorIjlEEPS9_SG_NS0_5tupleIJPjSI_NS0_16reverse_iteratorISI_EEEEENSH_IJSG_SG_SG_EEES9_SI_JZNS1_25segmented_radix_sort_implINS0_14default_configELb1EPKfPfPKlPlN2at6native12_GLOBAL__N_18offset_tEEE10hipError_tPvRmT1_PNSt15iterator_traitsIS12_E10value_typeET2_T3_PNS13_IS18_E10value_typeET4_jRbjT5_S1E_jjP12ihipStream_tbEUljE_ZNSN_ISO_Lb1ESQ_SR_ST_SU_SY_EESZ_S10_S11_S12_S16_S17_S18_S1B_S1C_jS1D_jS1E_S1E_jjS1G_bEUljE0_EEESZ_S10_S11_S18_S1C_S1E_T6_T7_T9_mT8_S1G_bDpT10_ENKUlT_T0_E_clISt17integral_constantIbLb1EES1T_IbLb0EEEEDaS1P_S1Q_EUlS1P_E_NS1_11comp_targetILNS1_3genE0ELNS1_11target_archE4294967295ELNS1_3gpuE0ELNS1_3repE0EEENS1_30default_config_static_selectorELNS0_4arch9wavefront6targetE1EEEvS12_
; %bb.0:
	.section	.rodata,"a",@progbits
	.p2align	6, 0x0
	.amdhsa_kernel _ZN7rocprim17ROCPRIM_400000_NS6detail17trampoline_kernelINS0_13select_configILj256ELj13ELNS0_17block_load_methodE3ELS4_3ELS4_3ELNS0_20block_scan_algorithmE0ELj4294967295EEENS1_25partition_config_selectorILNS1_17partition_subalgoE4EjNS0_10empty_typeEbEEZZNS1_14partition_implILS8_4ELb0ES6_15HIP_vector_typeIjLj2EENS0_17counting_iteratorIjlEEPS9_SG_NS0_5tupleIJPjSI_NS0_16reverse_iteratorISI_EEEEENSH_IJSG_SG_SG_EEES9_SI_JZNS1_25segmented_radix_sort_implINS0_14default_configELb1EPKfPfPKlPlN2at6native12_GLOBAL__N_18offset_tEEE10hipError_tPvRmT1_PNSt15iterator_traitsIS12_E10value_typeET2_T3_PNS13_IS18_E10value_typeET4_jRbjT5_S1E_jjP12ihipStream_tbEUljE_ZNSN_ISO_Lb1ESQ_SR_ST_SU_SY_EESZ_S10_S11_S12_S16_S17_S18_S1B_S1C_jS1D_jS1E_S1E_jjS1G_bEUljE0_EEESZ_S10_S11_S18_S1C_S1E_T6_T7_T9_mT8_S1G_bDpT10_ENKUlT_T0_E_clISt17integral_constantIbLb1EES1T_IbLb0EEEEDaS1P_S1Q_EUlS1P_E_NS1_11comp_targetILNS1_3genE0ELNS1_11target_archE4294967295ELNS1_3gpuE0ELNS1_3repE0EEENS1_30default_config_static_selectorELNS0_4arch9wavefront6targetE1EEEvS12_
		.amdhsa_group_segment_fixed_size 0
		.amdhsa_private_segment_fixed_size 0
		.amdhsa_kernarg_size 176
		.amdhsa_user_sgpr_count 6
		.amdhsa_user_sgpr_private_segment_buffer 1
		.amdhsa_user_sgpr_dispatch_ptr 0
		.amdhsa_user_sgpr_queue_ptr 0
		.amdhsa_user_sgpr_kernarg_segment_ptr 1
		.amdhsa_user_sgpr_dispatch_id 0
		.amdhsa_user_sgpr_flat_scratch_init 0
		.amdhsa_user_sgpr_kernarg_preload_length 0
		.amdhsa_user_sgpr_kernarg_preload_offset 0
		.amdhsa_user_sgpr_private_segment_size 0
		.amdhsa_uses_dynamic_stack 0
		.amdhsa_system_sgpr_private_segment_wavefront_offset 0
		.amdhsa_system_sgpr_workgroup_id_x 1
		.amdhsa_system_sgpr_workgroup_id_y 0
		.amdhsa_system_sgpr_workgroup_id_z 0
		.amdhsa_system_sgpr_workgroup_info 0
		.amdhsa_system_vgpr_workitem_id 0
		.amdhsa_next_free_vgpr 1
		.amdhsa_next_free_sgpr 0
		.amdhsa_accum_offset 4
		.amdhsa_reserve_vcc 0
		.amdhsa_reserve_flat_scratch 0
		.amdhsa_float_round_mode_32 0
		.amdhsa_float_round_mode_16_64 0
		.amdhsa_float_denorm_mode_32 3
		.amdhsa_float_denorm_mode_16_64 3
		.amdhsa_dx10_clamp 1
		.amdhsa_ieee_mode 1
		.amdhsa_fp16_overflow 0
		.amdhsa_tg_split 0
		.amdhsa_exception_fp_ieee_invalid_op 0
		.amdhsa_exception_fp_denorm_src 0
		.amdhsa_exception_fp_ieee_div_zero 0
		.amdhsa_exception_fp_ieee_overflow 0
		.amdhsa_exception_fp_ieee_underflow 0
		.amdhsa_exception_fp_ieee_inexact 0
		.amdhsa_exception_int_div_zero 0
	.end_amdhsa_kernel
	.section	.text._ZN7rocprim17ROCPRIM_400000_NS6detail17trampoline_kernelINS0_13select_configILj256ELj13ELNS0_17block_load_methodE3ELS4_3ELS4_3ELNS0_20block_scan_algorithmE0ELj4294967295EEENS1_25partition_config_selectorILNS1_17partition_subalgoE4EjNS0_10empty_typeEbEEZZNS1_14partition_implILS8_4ELb0ES6_15HIP_vector_typeIjLj2EENS0_17counting_iteratorIjlEEPS9_SG_NS0_5tupleIJPjSI_NS0_16reverse_iteratorISI_EEEEENSH_IJSG_SG_SG_EEES9_SI_JZNS1_25segmented_radix_sort_implINS0_14default_configELb1EPKfPfPKlPlN2at6native12_GLOBAL__N_18offset_tEEE10hipError_tPvRmT1_PNSt15iterator_traitsIS12_E10value_typeET2_T3_PNS13_IS18_E10value_typeET4_jRbjT5_S1E_jjP12ihipStream_tbEUljE_ZNSN_ISO_Lb1ESQ_SR_ST_SU_SY_EESZ_S10_S11_S12_S16_S17_S18_S1B_S1C_jS1D_jS1E_S1E_jjS1G_bEUljE0_EEESZ_S10_S11_S18_S1C_S1E_T6_T7_T9_mT8_S1G_bDpT10_ENKUlT_T0_E_clISt17integral_constantIbLb1EES1T_IbLb0EEEEDaS1P_S1Q_EUlS1P_E_NS1_11comp_targetILNS1_3genE0ELNS1_11target_archE4294967295ELNS1_3gpuE0ELNS1_3repE0EEENS1_30default_config_static_selectorELNS0_4arch9wavefront6targetE1EEEvS12_,"axG",@progbits,_ZN7rocprim17ROCPRIM_400000_NS6detail17trampoline_kernelINS0_13select_configILj256ELj13ELNS0_17block_load_methodE3ELS4_3ELS4_3ELNS0_20block_scan_algorithmE0ELj4294967295EEENS1_25partition_config_selectorILNS1_17partition_subalgoE4EjNS0_10empty_typeEbEEZZNS1_14partition_implILS8_4ELb0ES6_15HIP_vector_typeIjLj2EENS0_17counting_iteratorIjlEEPS9_SG_NS0_5tupleIJPjSI_NS0_16reverse_iteratorISI_EEEEENSH_IJSG_SG_SG_EEES9_SI_JZNS1_25segmented_radix_sort_implINS0_14default_configELb1EPKfPfPKlPlN2at6native12_GLOBAL__N_18offset_tEEE10hipError_tPvRmT1_PNSt15iterator_traitsIS12_E10value_typeET2_T3_PNS13_IS18_E10value_typeET4_jRbjT5_S1E_jjP12ihipStream_tbEUljE_ZNSN_ISO_Lb1ESQ_SR_ST_SU_SY_EESZ_S10_S11_S12_S16_S17_S18_S1B_S1C_jS1D_jS1E_S1E_jjS1G_bEUljE0_EEESZ_S10_S11_S18_S1C_S1E_T6_T7_T9_mT8_S1G_bDpT10_ENKUlT_T0_E_clISt17integral_constantIbLb1EES1T_IbLb0EEEEDaS1P_S1Q_EUlS1P_E_NS1_11comp_targetILNS1_3genE0ELNS1_11target_archE4294967295ELNS1_3gpuE0ELNS1_3repE0EEENS1_30default_config_static_selectorELNS0_4arch9wavefront6targetE1EEEvS12_,comdat
.Lfunc_end1275:
	.size	_ZN7rocprim17ROCPRIM_400000_NS6detail17trampoline_kernelINS0_13select_configILj256ELj13ELNS0_17block_load_methodE3ELS4_3ELS4_3ELNS0_20block_scan_algorithmE0ELj4294967295EEENS1_25partition_config_selectorILNS1_17partition_subalgoE4EjNS0_10empty_typeEbEEZZNS1_14partition_implILS8_4ELb0ES6_15HIP_vector_typeIjLj2EENS0_17counting_iteratorIjlEEPS9_SG_NS0_5tupleIJPjSI_NS0_16reverse_iteratorISI_EEEEENSH_IJSG_SG_SG_EEES9_SI_JZNS1_25segmented_radix_sort_implINS0_14default_configELb1EPKfPfPKlPlN2at6native12_GLOBAL__N_18offset_tEEE10hipError_tPvRmT1_PNSt15iterator_traitsIS12_E10value_typeET2_T3_PNS13_IS18_E10value_typeET4_jRbjT5_S1E_jjP12ihipStream_tbEUljE_ZNSN_ISO_Lb1ESQ_SR_ST_SU_SY_EESZ_S10_S11_S12_S16_S17_S18_S1B_S1C_jS1D_jS1E_S1E_jjS1G_bEUljE0_EEESZ_S10_S11_S18_S1C_S1E_T6_T7_T9_mT8_S1G_bDpT10_ENKUlT_T0_E_clISt17integral_constantIbLb1EES1T_IbLb0EEEEDaS1P_S1Q_EUlS1P_E_NS1_11comp_targetILNS1_3genE0ELNS1_11target_archE4294967295ELNS1_3gpuE0ELNS1_3repE0EEENS1_30default_config_static_selectorELNS0_4arch9wavefront6targetE1EEEvS12_, .Lfunc_end1275-_ZN7rocprim17ROCPRIM_400000_NS6detail17trampoline_kernelINS0_13select_configILj256ELj13ELNS0_17block_load_methodE3ELS4_3ELS4_3ELNS0_20block_scan_algorithmE0ELj4294967295EEENS1_25partition_config_selectorILNS1_17partition_subalgoE4EjNS0_10empty_typeEbEEZZNS1_14partition_implILS8_4ELb0ES6_15HIP_vector_typeIjLj2EENS0_17counting_iteratorIjlEEPS9_SG_NS0_5tupleIJPjSI_NS0_16reverse_iteratorISI_EEEEENSH_IJSG_SG_SG_EEES9_SI_JZNS1_25segmented_radix_sort_implINS0_14default_configELb1EPKfPfPKlPlN2at6native12_GLOBAL__N_18offset_tEEE10hipError_tPvRmT1_PNSt15iterator_traitsIS12_E10value_typeET2_T3_PNS13_IS18_E10value_typeET4_jRbjT5_S1E_jjP12ihipStream_tbEUljE_ZNSN_ISO_Lb1ESQ_SR_ST_SU_SY_EESZ_S10_S11_S12_S16_S17_S18_S1B_S1C_jS1D_jS1E_S1E_jjS1G_bEUljE0_EEESZ_S10_S11_S18_S1C_S1E_T6_T7_T9_mT8_S1G_bDpT10_ENKUlT_T0_E_clISt17integral_constantIbLb1EES1T_IbLb0EEEEDaS1P_S1Q_EUlS1P_E_NS1_11comp_targetILNS1_3genE0ELNS1_11target_archE4294967295ELNS1_3gpuE0ELNS1_3repE0EEENS1_30default_config_static_selectorELNS0_4arch9wavefront6targetE1EEEvS12_
                                        ; -- End function
	.section	.AMDGPU.csdata,"",@progbits
; Kernel info:
; codeLenInByte = 0
; NumSgprs: 4
; NumVgprs: 0
; NumAgprs: 0
; TotalNumVgprs: 0
; ScratchSize: 0
; MemoryBound: 0
; FloatMode: 240
; IeeeMode: 1
; LDSByteSize: 0 bytes/workgroup (compile time only)
; SGPRBlocks: 0
; VGPRBlocks: 0
; NumSGPRsForWavesPerEU: 4
; NumVGPRsForWavesPerEU: 1
; AccumOffset: 4
; Occupancy: 8
; WaveLimiterHint : 0
; COMPUTE_PGM_RSRC2:SCRATCH_EN: 0
; COMPUTE_PGM_RSRC2:USER_SGPR: 6
; COMPUTE_PGM_RSRC2:TRAP_HANDLER: 0
; COMPUTE_PGM_RSRC2:TGID_X_EN: 1
; COMPUTE_PGM_RSRC2:TGID_Y_EN: 0
; COMPUTE_PGM_RSRC2:TGID_Z_EN: 0
; COMPUTE_PGM_RSRC2:TIDIG_COMP_CNT: 0
; COMPUTE_PGM_RSRC3_GFX90A:ACCUM_OFFSET: 0
; COMPUTE_PGM_RSRC3_GFX90A:TG_SPLIT: 0
	.section	.text._ZN7rocprim17ROCPRIM_400000_NS6detail17trampoline_kernelINS0_13select_configILj256ELj13ELNS0_17block_load_methodE3ELS4_3ELS4_3ELNS0_20block_scan_algorithmE0ELj4294967295EEENS1_25partition_config_selectorILNS1_17partition_subalgoE4EjNS0_10empty_typeEbEEZZNS1_14partition_implILS8_4ELb0ES6_15HIP_vector_typeIjLj2EENS0_17counting_iteratorIjlEEPS9_SG_NS0_5tupleIJPjSI_NS0_16reverse_iteratorISI_EEEEENSH_IJSG_SG_SG_EEES9_SI_JZNS1_25segmented_radix_sort_implINS0_14default_configELb1EPKfPfPKlPlN2at6native12_GLOBAL__N_18offset_tEEE10hipError_tPvRmT1_PNSt15iterator_traitsIS12_E10value_typeET2_T3_PNS13_IS18_E10value_typeET4_jRbjT5_S1E_jjP12ihipStream_tbEUljE_ZNSN_ISO_Lb1ESQ_SR_ST_SU_SY_EESZ_S10_S11_S12_S16_S17_S18_S1B_S1C_jS1D_jS1E_S1E_jjS1G_bEUljE0_EEESZ_S10_S11_S18_S1C_S1E_T6_T7_T9_mT8_S1G_bDpT10_ENKUlT_T0_E_clISt17integral_constantIbLb1EES1T_IbLb0EEEEDaS1P_S1Q_EUlS1P_E_NS1_11comp_targetILNS1_3genE5ELNS1_11target_archE942ELNS1_3gpuE9ELNS1_3repE0EEENS1_30default_config_static_selectorELNS0_4arch9wavefront6targetE1EEEvS12_,"axG",@progbits,_ZN7rocprim17ROCPRIM_400000_NS6detail17trampoline_kernelINS0_13select_configILj256ELj13ELNS0_17block_load_methodE3ELS4_3ELS4_3ELNS0_20block_scan_algorithmE0ELj4294967295EEENS1_25partition_config_selectorILNS1_17partition_subalgoE4EjNS0_10empty_typeEbEEZZNS1_14partition_implILS8_4ELb0ES6_15HIP_vector_typeIjLj2EENS0_17counting_iteratorIjlEEPS9_SG_NS0_5tupleIJPjSI_NS0_16reverse_iteratorISI_EEEEENSH_IJSG_SG_SG_EEES9_SI_JZNS1_25segmented_radix_sort_implINS0_14default_configELb1EPKfPfPKlPlN2at6native12_GLOBAL__N_18offset_tEEE10hipError_tPvRmT1_PNSt15iterator_traitsIS12_E10value_typeET2_T3_PNS13_IS18_E10value_typeET4_jRbjT5_S1E_jjP12ihipStream_tbEUljE_ZNSN_ISO_Lb1ESQ_SR_ST_SU_SY_EESZ_S10_S11_S12_S16_S17_S18_S1B_S1C_jS1D_jS1E_S1E_jjS1G_bEUljE0_EEESZ_S10_S11_S18_S1C_S1E_T6_T7_T9_mT8_S1G_bDpT10_ENKUlT_T0_E_clISt17integral_constantIbLb1EES1T_IbLb0EEEEDaS1P_S1Q_EUlS1P_E_NS1_11comp_targetILNS1_3genE5ELNS1_11target_archE942ELNS1_3gpuE9ELNS1_3repE0EEENS1_30default_config_static_selectorELNS0_4arch9wavefront6targetE1EEEvS12_,comdat
	.globl	_ZN7rocprim17ROCPRIM_400000_NS6detail17trampoline_kernelINS0_13select_configILj256ELj13ELNS0_17block_load_methodE3ELS4_3ELS4_3ELNS0_20block_scan_algorithmE0ELj4294967295EEENS1_25partition_config_selectorILNS1_17partition_subalgoE4EjNS0_10empty_typeEbEEZZNS1_14partition_implILS8_4ELb0ES6_15HIP_vector_typeIjLj2EENS0_17counting_iteratorIjlEEPS9_SG_NS0_5tupleIJPjSI_NS0_16reverse_iteratorISI_EEEEENSH_IJSG_SG_SG_EEES9_SI_JZNS1_25segmented_radix_sort_implINS0_14default_configELb1EPKfPfPKlPlN2at6native12_GLOBAL__N_18offset_tEEE10hipError_tPvRmT1_PNSt15iterator_traitsIS12_E10value_typeET2_T3_PNS13_IS18_E10value_typeET4_jRbjT5_S1E_jjP12ihipStream_tbEUljE_ZNSN_ISO_Lb1ESQ_SR_ST_SU_SY_EESZ_S10_S11_S12_S16_S17_S18_S1B_S1C_jS1D_jS1E_S1E_jjS1G_bEUljE0_EEESZ_S10_S11_S18_S1C_S1E_T6_T7_T9_mT8_S1G_bDpT10_ENKUlT_T0_E_clISt17integral_constantIbLb1EES1T_IbLb0EEEEDaS1P_S1Q_EUlS1P_E_NS1_11comp_targetILNS1_3genE5ELNS1_11target_archE942ELNS1_3gpuE9ELNS1_3repE0EEENS1_30default_config_static_selectorELNS0_4arch9wavefront6targetE1EEEvS12_ ; -- Begin function _ZN7rocprim17ROCPRIM_400000_NS6detail17trampoline_kernelINS0_13select_configILj256ELj13ELNS0_17block_load_methodE3ELS4_3ELS4_3ELNS0_20block_scan_algorithmE0ELj4294967295EEENS1_25partition_config_selectorILNS1_17partition_subalgoE4EjNS0_10empty_typeEbEEZZNS1_14partition_implILS8_4ELb0ES6_15HIP_vector_typeIjLj2EENS0_17counting_iteratorIjlEEPS9_SG_NS0_5tupleIJPjSI_NS0_16reverse_iteratorISI_EEEEENSH_IJSG_SG_SG_EEES9_SI_JZNS1_25segmented_radix_sort_implINS0_14default_configELb1EPKfPfPKlPlN2at6native12_GLOBAL__N_18offset_tEEE10hipError_tPvRmT1_PNSt15iterator_traitsIS12_E10value_typeET2_T3_PNS13_IS18_E10value_typeET4_jRbjT5_S1E_jjP12ihipStream_tbEUljE_ZNSN_ISO_Lb1ESQ_SR_ST_SU_SY_EESZ_S10_S11_S12_S16_S17_S18_S1B_S1C_jS1D_jS1E_S1E_jjS1G_bEUljE0_EEESZ_S10_S11_S18_S1C_S1E_T6_T7_T9_mT8_S1G_bDpT10_ENKUlT_T0_E_clISt17integral_constantIbLb1EES1T_IbLb0EEEEDaS1P_S1Q_EUlS1P_E_NS1_11comp_targetILNS1_3genE5ELNS1_11target_archE942ELNS1_3gpuE9ELNS1_3repE0EEENS1_30default_config_static_selectorELNS0_4arch9wavefront6targetE1EEEvS12_
	.p2align	8
	.type	_ZN7rocprim17ROCPRIM_400000_NS6detail17trampoline_kernelINS0_13select_configILj256ELj13ELNS0_17block_load_methodE3ELS4_3ELS4_3ELNS0_20block_scan_algorithmE0ELj4294967295EEENS1_25partition_config_selectorILNS1_17partition_subalgoE4EjNS0_10empty_typeEbEEZZNS1_14partition_implILS8_4ELb0ES6_15HIP_vector_typeIjLj2EENS0_17counting_iteratorIjlEEPS9_SG_NS0_5tupleIJPjSI_NS0_16reverse_iteratorISI_EEEEENSH_IJSG_SG_SG_EEES9_SI_JZNS1_25segmented_radix_sort_implINS0_14default_configELb1EPKfPfPKlPlN2at6native12_GLOBAL__N_18offset_tEEE10hipError_tPvRmT1_PNSt15iterator_traitsIS12_E10value_typeET2_T3_PNS13_IS18_E10value_typeET4_jRbjT5_S1E_jjP12ihipStream_tbEUljE_ZNSN_ISO_Lb1ESQ_SR_ST_SU_SY_EESZ_S10_S11_S12_S16_S17_S18_S1B_S1C_jS1D_jS1E_S1E_jjS1G_bEUljE0_EEESZ_S10_S11_S18_S1C_S1E_T6_T7_T9_mT8_S1G_bDpT10_ENKUlT_T0_E_clISt17integral_constantIbLb1EES1T_IbLb0EEEEDaS1P_S1Q_EUlS1P_E_NS1_11comp_targetILNS1_3genE5ELNS1_11target_archE942ELNS1_3gpuE9ELNS1_3repE0EEENS1_30default_config_static_selectorELNS0_4arch9wavefront6targetE1EEEvS12_,@function
_ZN7rocprim17ROCPRIM_400000_NS6detail17trampoline_kernelINS0_13select_configILj256ELj13ELNS0_17block_load_methodE3ELS4_3ELS4_3ELNS0_20block_scan_algorithmE0ELj4294967295EEENS1_25partition_config_selectorILNS1_17partition_subalgoE4EjNS0_10empty_typeEbEEZZNS1_14partition_implILS8_4ELb0ES6_15HIP_vector_typeIjLj2EENS0_17counting_iteratorIjlEEPS9_SG_NS0_5tupleIJPjSI_NS0_16reverse_iteratorISI_EEEEENSH_IJSG_SG_SG_EEES9_SI_JZNS1_25segmented_radix_sort_implINS0_14default_configELb1EPKfPfPKlPlN2at6native12_GLOBAL__N_18offset_tEEE10hipError_tPvRmT1_PNSt15iterator_traitsIS12_E10value_typeET2_T3_PNS13_IS18_E10value_typeET4_jRbjT5_S1E_jjP12ihipStream_tbEUljE_ZNSN_ISO_Lb1ESQ_SR_ST_SU_SY_EESZ_S10_S11_S12_S16_S17_S18_S1B_S1C_jS1D_jS1E_S1E_jjS1G_bEUljE0_EEESZ_S10_S11_S18_S1C_S1E_T6_T7_T9_mT8_S1G_bDpT10_ENKUlT_T0_E_clISt17integral_constantIbLb1EES1T_IbLb0EEEEDaS1P_S1Q_EUlS1P_E_NS1_11comp_targetILNS1_3genE5ELNS1_11target_archE942ELNS1_3gpuE9ELNS1_3repE0EEENS1_30default_config_static_selectorELNS0_4arch9wavefront6targetE1EEEvS12_: ; @_ZN7rocprim17ROCPRIM_400000_NS6detail17trampoline_kernelINS0_13select_configILj256ELj13ELNS0_17block_load_methodE3ELS4_3ELS4_3ELNS0_20block_scan_algorithmE0ELj4294967295EEENS1_25partition_config_selectorILNS1_17partition_subalgoE4EjNS0_10empty_typeEbEEZZNS1_14partition_implILS8_4ELb0ES6_15HIP_vector_typeIjLj2EENS0_17counting_iteratorIjlEEPS9_SG_NS0_5tupleIJPjSI_NS0_16reverse_iteratorISI_EEEEENSH_IJSG_SG_SG_EEES9_SI_JZNS1_25segmented_radix_sort_implINS0_14default_configELb1EPKfPfPKlPlN2at6native12_GLOBAL__N_18offset_tEEE10hipError_tPvRmT1_PNSt15iterator_traitsIS12_E10value_typeET2_T3_PNS13_IS18_E10value_typeET4_jRbjT5_S1E_jjP12ihipStream_tbEUljE_ZNSN_ISO_Lb1ESQ_SR_ST_SU_SY_EESZ_S10_S11_S12_S16_S17_S18_S1B_S1C_jS1D_jS1E_S1E_jjS1G_bEUljE0_EEESZ_S10_S11_S18_S1C_S1E_T6_T7_T9_mT8_S1G_bDpT10_ENKUlT_T0_E_clISt17integral_constantIbLb1EES1T_IbLb0EEEEDaS1P_S1Q_EUlS1P_E_NS1_11comp_targetILNS1_3genE5ELNS1_11target_archE942ELNS1_3gpuE9ELNS1_3repE0EEENS1_30default_config_static_selectorELNS0_4arch9wavefront6targetE1EEEvS12_
; %bb.0:
	.section	.rodata,"a",@progbits
	.p2align	6, 0x0
	.amdhsa_kernel _ZN7rocprim17ROCPRIM_400000_NS6detail17trampoline_kernelINS0_13select_configILj256ELj13ELNS0_17block_load_methodE3ELS4_3ELS4_3ELNS0_20block_scan_algorithmE0ELj4294967295EEENS1_25partition_config_selectorILNS1_17partition_subalgoE4EjNS0_10empty_typeEbEEZZNS1_14partition_implILS8_4ELb0ES6_15HIP_vector_typeIjLj2EENS0_17counting_iteratorIjlEEPS9_SG_NS0_5tupleIJPjSI_NS0_16reverse_iteratorISI_EEEEENSH_IJSG_SG_SG_EEES9_SI_JZNS1_25segmented_radix_sort_implINS0_14default_configELb1EPKfPfPKlPlN2at6native12_GLOBAL__N_18offset_tEEE10hipError_tPvRmT1_PNSt15iterator_traitsIS12_E10value_typeET2_T3_PNS13_IS18_E10value_typeET4_jRbjT5_S1E_jjP12ihipStream_tbEUljE_ZNSN_ISO_Lb1ESQ_SR_ST_SU_SY_EESZ_S10_S11_S12_S16_S17_S18_S1B_S1C_jS1D_jS1E_S1E_jjS1G_bEUljE0_EEESZ_S10_S11_S18_S1C_S1E_T6_T7_T9_mT8_S1G_bDpT10_ENKUlT_T0_E_clISt17integral_constantIbLb1EES1T_IbLb0EEEEDaS1P_S1Q_EUlS1P_E_NS1_11comp_targetILNS1_3genE5ELNS1_11target_archE942ELNS1_3gpuE9ELNS1_3repE0EEENS1_30default_config_static_selectorELNS0_4arch9wavefront6targetE1EEEvS12_
		.amdhsa_group_segment_fixed_size 0
		.amdhsa_private_segment_fixed_size 0
		.amdhsa_kernarg_size 176
		.amdhsa_user_sgpr_count 6
		.amdhsa_user_sgpr_private_segment_buffer 1
		.amdhsa_user_sgpr_dispatch_ptr 0
		.amdhsa_user_sgpr_queue_ptr 0
		.amdhsa_user_sgpr_kernarg_segment_ptr 1
		.amdhsa_user_sgpr_dispatch_id 0
		.amdhsa_user_sgpr_flat_scratch_init 0
		.amdhsa_user_sgpr_kernarg_preload_length 0
		.amdhsa_user_sgpr_kernarg_preload_offset 0
		.amdhsa_user_sgpr_private_segment_size 0
		.amdhsa_uses_dynamic_stack 0
		.amdhsa_system_sgpr_private_segment_wavefront_offset 0
		.amdhsa_system_sgpr_workgroup_id_x 1
		.amdhsa_system_sgpr_workgroup_id_y 0
		.amdhsa_system_sgpr_workgroup_id_z 0
		.amdhsa_system_sgpr_workgroup_info 0
		.amdhsa_system_vgpr_workitem_id 0
		.amdhsa_next_free_vgpr 1
		.amdhsa_next_free_sgpr 0
		.amdhsa_accum_offset 4
		.amdhsa_reserve_vcc 0
		.amdhsa_reserve_flat_scratch 0
		.amdhsa_float_round_mode_32 0
		.amdhsa_float_round_mode_16_64 0
		.amdhsa_float_denorm_mode_32 3
		.amdhsa_float_denorm_mode_16_64 3
		.amdhsa_dx10_clamp 1
		.amdhsa_ieee_mode 1
		.amdhsa_fp16_overflow 0
		.amdhsa_tg_split 0
		.amdhsa_exception_fp_ieee_invalid_op 0
		.amdhsa_exception_fp_denorm_src 0
		.amdhsa_exception_fp_ieee_div_zero 0
		.amdhsa_exception_fp_ieee_overflow 0
		.amdhsa_exception_fp_ieee_underflow 0
		.amdhsa_exception_fp_ieee_inexact 0
		.amdhsa_exception_int_div_zero 0
	.end_amdhsa_kernel
	.section	.text._ZN7rocprim17ROCPRIM_400000_NS6detail17trampoline_kernelINS0_13select_configILj256ELj13ELNS0_17block_load_methodE3ELS4_3ELS4_3ELNS0_20block_scan_algorithmE0ELj4294967295EEENS1_25partition_config_selectorILNS1_17partition_subalgoE4EjNS0_10empty_typeEbEEZZNS1_14partition_implILS8_4ELb0ES6_15HIP_vector_typeIjLj2EENS0_17counting_iteratorIjlEEPS9_SG_NS0_5tupleIJPjSI_NS0_16reverse_iteratorISI_EEEEENSH_IJSG_SG_SG_EEES9_SI_JZNS1_25segmented_radix_sort_implINS0_14default_configELb1EPKfPfPKlPlN2at6native12_GLOBAL__N_18offset_tEEE10hipError_tPvRmT1_PNSt15iterator_traitsIS12_E10value_typeET2_T3_PNS13_IS18_E10value_typeET4_jRbjT5_S1E_jjP12ihipStream_tbEUljE_ZNSN_ISO_Lb1ESQ_SR_ST_SU_SY_EESZ_S10_S11_S12_S16_S17_S18_S1B_S1C_jS1D_jS1E_S1E_jjS1G_bEUljE0_EEESZ_S10_S11_S18_S1C_S1E_T6_T7_T9_mT8_S1G_bDpT10_ENKUlT_T0_E_clISt17integral_constantIbLb1EES1T_IbLb0EEEEDaS1P_S1Q_EUlS1P_E_NS1_11comp_targetILNS1_3genE5ELNS1_11target_archE942ELNS1_3gpuE9ELNS1_3repE0EEENS1_30default_config_static_selectorELNS0_4arch9wavefront6targetE1EEEvS12_,"axG",@progbits,_ZN7rocprim17ROCPRIM_400000_NS6detail17trampoline_kernelINS0_13select_configILj256ELj13ELNS0_17block_load_methodE3ELS4_3ELS4_3ELNS0_20block_scan_algorithmE0ELj4294967295EEENS1_25partition_config_selectorILNS1_17partition_subalgoE4EjNS0_10empty_typeEbEEZZNS1_14partition_implILS8_4ELb0ES6_15HIP_vector_typeIjLj2EENS0_17counting_iteratorIjlEEPS9_SG_NS0_5tupleIJPjSI_NS0_16reverse_iteratorISI_EEEEENSH_IJSG_SG_SG_EEES9_SI_JZNS1_25segmented_radix_sort_implINS0_14default_configELb1EPKfPfPKlPlN2at6native12_GLOBAL__N_18offset_tEEE10hipError_tPvRmT1_PNSt15iterator_traitsIS12_E10value_typeET2_T3_PNS13_IS18_E10value_typeET4_jRbjT5_S1E_jjP12ihipStream_tbEUljE_ZNSN_ISO_Lb1ESQ_SR_ST_SU_SY_EESZ_S10_S11_S12_S16_S17_S18_S1B_S1C_jS1D_jS1E_S1E_jjS1G_bEUljE0_EEESZ_S10_S11_S18_S1C_S1E_T6_T7_T9_mT8_S1G_bDpT10_ENKUlT_T0_E_clISt17integral_constantIbLb1EES1T_IbLb0EEEEDaS1P_S1Q_EUlS1P_E_NS1_11comp_targetILNS1_3genE5ELNS1_11target_archE942ELNS1_3gpuE9ELNS1_3repE0EEENS1_30default_config_static_selectorELNS0_4arch9wavefront6targetE1EEEvS12_,comdat
.Lfunc_end1276:
	.size	_ZN7rocprim17ROCPRIM_400000_NS6detail17trampoline_kernelINS0_13select_configILj256ELj13ELNS0_17block_load_methodE3ELS4_3ELS4_3ELNS0_20block_scan_algorithmE0ELj4294967295EEENS1_25partition_config_selectorILNS1_17partition_subalgoE4EjNS0_10empty_typeEbEEZZNS1_14partition_implILS8_4ELb0ES6_15HIP_vector_typeIjLj2EENS0_17counting_iteratorIjlEEPS9_SG_NS0_5tupleIJPjSI_NS0_16reverse_iteratorISI_EEEEENSH_IJSG_SG_SG_EEES9_SI_JZNS1_25segmented_radix_sort_implINS0_14default_configELb1EPKfPfPKlPlN2at6native12_GLOBAL__N_18offset_tEEE10hipError_tPvRmT1_PNSt15iterator_traitsIS12_E10value_typeET2_T3_PNS13_IS18_E10value_typeET4_jRbjT5_S1E_jjP12ihipStream_tbEUljE_ZNSN_ISO_Lb1ESQ_SR_ST_SU_SY_EESZ_S10_S11_S12_S16_S17_S18_S1B_S1C_jS1D_jS1E_S1E_jjS1G_bEUljE0_EEESZ_S10_S11_S18_S1C_S1E_T6_T7_T9_mT8_S1G_bDpT10_ENKUlT_T0_E_clISt17integral_constantIbLb1EES1T_IbLb0EEEEDaS1P_S1Q_EUlS1P_E_NS1_11comp_targetILNS1_3genE5ELNS1_11target_archE942ELNS1_3gpuE9ELNS1_3repE0EEENS1_30default_config_static_selectorELNS0_4arch9wavefront6targetE1EEEvS12_, .Lfunc_end1276-_ZN7rocprim17ROCPRIM_400000_NS6detail17trampoline_kernelINS0_13select_configILj256ELj13ELNS0_17block_load_methodE3ELS4_3ELS4_3ELNS0_20block_scan_algorithmE0ELj4294967295EEENS1_25partition_config_selectorILNS1_17partition_subalgoE4EjNS0_10empty_typeEbEEZZNS1_14partition_implILS8_4ELb0ES6_15HIP_vector_typeIjLj2EENS0_17counting_iteratorIjlEEPS9_SG_NS0_5tupleIJPjSI_NS0_16reverse_iteratorISI_EEEEENSH_IJSG_SG_SG_EEES9_SI_JZNS1_25segmented_radix_sort_implINS0_14default_configELb1EPKfPfPKlPlN2at6native12_GLOBAL__N_18offset_tEEE10hipError_tPvRmT1_PNSt15iterator_traitsIS12_E10value_typeET2_T3_PNS13_IS18_E10value_typeET4_jRbjT5_S1E_jjP12ihipStream_tbEUljE_ZNSN_ISO_Lb1ESQ_SR_ST_SU_SY_EESZ_S10_S11_S12_S16_S17_S18_S1B_S1C_jS1D_jS1E_S1E_jjS1G_bEUljE0_EEESZ_S10_S11_S18_S1C_S1E_T6_T7_T9_mT8_S1G_bDpT10_ENKUlT_T0_E_clISt17integral_constantIbLb1EES1T_IbLb0EEEEDaS1P_S1Q_EUlS1P_E_NS1_11comp_targetILNS1_3genE5ELNS1_11target_archE942ELNS1_3gpuE9ELNS1_3repE0EEENS1_30default_config_static_selectorELNS0_4arch9wavefront6targetE1EEEvS12_
                                        ; -- End function
	.section	.AMDGPU.csdata,"",@progbits
; Kernel info:
; codeLenInByte = 0
; NumSgprs: 4
; NumVgprs: 0
; NumAgprs: 0
; TotalNumVgprs: 0
; ScratchSize: 0
; MemoryBound: 0
; FloatMode: 240
; IeeeMode: 1
; LDSByteSize: 0 bytes/workgroup (compile time only)
; SGPRBlocks: 0
; VGPRBlocks: 0
; NumSGPRsForWavesPerEU: 4
; NumVGPRsForWavesPerEU: 1
; AccumOffset: 4
; Occupancy: 8
; WaveLimiterHint : 0
; COMPUTE_PGM_RSRC2:SCRATCH_EN: 0
; COMPUTE_PGM_RSRC2:USER_SGPR: 6
; COMPUTE_PGM_RSRC2:TRAP_HANDLER: 0
; COMPUTE_PGM_RSRC2:TGID_X_EN: 1
; COMPUTE_PGM_RSRC2:TGID_Y_EN: 0
; COMPUTE_PGM_RSRC2:TGID_Z_EN: 0
; COMPUTE_PGM_RSRC2:TIDIG_COMP_CNT: 0
; COMPUTE_PGM_RSRC3_GFX90A:ACCUM_OFFSET: 0
; COMPUTE_PGM_RSRC3_GFX90A:TG_SPLIT: 0
	.section	.text._ZN7rocprim17ROCPRIM_400000_NS6detail17trampoline_kernelINS0_13select_configILj256ELj13ELNS0_17block_load_methodE3ELS4_3ELS4_3ELNS0_20block_scan_algorithmE0ELj4294967295EEENS1_25partition_config_selectorILNS1_17partition_subalgoE4EjNS0_10empty_typeEbEEZZNS1_14partition_implILS8_4ELb0ES6_15HIP_vector_typeIjLj2EENS0_17counting_iteratorIjlEEPS9_SG_NS0_5tupleIJPjSI_NS0_16reverse_iteratorISI_EEEEENSH_IJSG_SG_SG_EEES9_SI_JZNS1_25segmented_radix_sort_implINS0_14default_configELb1EPKfPfPKlPlN2at6native12_GLOBAL__N_18offset_tEEE10hipError_tPvRmT1_PNSt15iterator_traitsIS12_E10value_typeET2_T3_PNS13_IS18_E10value_typeET4_jRbjT5_S1E_jjP12ihipStream_tbEUljE_ZNSN_ISO_Lb1ESQ_SR_ST_SU_SY_EESZ_S10_S11_S12_S16_S17_S18_S1B_S1C_jS1D_jS1E_S1E_jjS1G_bEUljE0_EEESZ_S10_S11_S18_S1C_S1E_T6_T7_T9_mT8_S1G_bDpT10_ENKUlT_T0_E_clISt17integral_constantIbLb1EES1T_IbLb0EEEEDaS1P_S1Q_EUlS1P_E_NS1_11comp_targetILNS1_3genE4ELNS1_11target_archE910ELNS1_3gpuE8ELNS1_3repE0EEENS1_30default_config_static_selectorELNS0_4arch9wavefront6targetE1EEEvS12_,"axG",@progbits,_ZN7rocprim17ROCPRIM_400000_NS6detail17trampoline_kernelINS0_13select_configILj256ELj13ELNS0_17block_load_methodE3ELS4_3ELS4_3ELNS0_20block_scan_algorithmE0ELj4294967295EEENS1_25partition_config_selectorILNS1_17partition_subalgoE4EjNS0_10empty_typeEbEEZZNS1_14partition_implILS8_4ELb0ES6_15HIP_vector_typeIjLj2EENS0_17counting_iteratorIjlEEPS9_SG_NS0_5tupleIJPjSI_NS0_16reverse_iteratorISI_EEEEENSH_IJSG_SG_SG_EEES9_SI_JZNS1_25segmented_radix_sort_implINS0_14default_configELb1EPKfPfPKlPlN2at6native12_GLOBAL__N_18offset_tEEE10hipError_tPvRmT1_PNSt15iterator_traitsIS12_E10value_typeET2_T3_PNS13_IS18_E10value_typeET4_jRbjT5_S1E_jjP12ihipStream_tbEUljE_ZNSN_ISO_Lb1ESQ_SR_ST_SU_SY_EESZ_S10_S11_S12_S16_S17_S18_S1B_S1C_jS1D_jS1E_S1E_jjS1G_bEUljE0_EEESZ_S10_S11_S18_S1C_S1E_T6_T7_T9_mT8_S1G_bDpT10_ENKUlT_T0_E_clISt17integral_constantIbLb1EES1T_IbLb0EEEEDaS1P_S1Q_EUlS1P_E_NS1_11comp_targetILNS1_3genE4ELNS1_11target_archE910ELNS1_3gpuE8ELNS1_3repE0EEENS1_30default_config_static_selectorELNS0_4arch9wavefront6targetE1EEEvS12_,comdat
	.globl	_ZN7rocprim17ROCPRIM_400000_NS6detail17trampoline_kernelINS0_13select_configILj256ELj13ELNS0_17block_load_methodE3ELS4_3ELS4_3ELNS0_20block_scan_algorithmE0ELj4294967295EEENS1_25partition_config_selectorILNS1_17partition_subalgoE4EjNS0_10empty_typeEbEEZZNS1_14partition_implILS8_4ELb0ES6_15HIP_vector_typeIjLj2EENS0_17counting_iteratorIjlEEPS9_SG_NS0_5tupleIJPjSI_NS0_16reverse_iteratorISI_EEEEENSH_IJSG_SG_SG_EEES9_SI_JZNS1_25segmented_radix_sort_implINS0_14default_configELb1EPKfPfPKlPlN2at6native12_GLOBAL__N_18offset_tEEE10hipError_tPvRmT1_PNSt15iterator_traitsIS12_E10value_typeET2_T3_PNS13_IS18_E10value_typeET4_jRbjT5_S1E_jjP12ihipStream_tbEUljE_ZNSN_ISO_Lb1ESQ_SR_ST_SU_SY_EESZ_S10_S11_S12_S16_S17_S18_S1B_S1C_jS1D_jS1E_S1E_jjS1G_bEUljE0_EEESZ_S10_S11_S18_S1C_S1E_T6_T7_T9_mT8_S1G_bDpT10_ENKUlT_T0_E_clISt17integral_constantIbLb1EES1T_IbLb0EEEEDaS1P_S1Q_EUlS1P_E_NS1_11comp_targetILNS1_3genE4ELNS1_11target_archE910ELNS1_3gpuE8ELNS1_3repE0EEENS1_30default_config_static_selectorELNS0_4arch9wavefront6targetE1EEEvS12_ ; -- Begin function _ZN7rocprim17ROCPRIM_400000_NS6detail17trampoline_kernelINS0_13select_configILj256ELj13ELNS0_17block_load_methodE3ELS4_3ELS4_3ELNS0_20block_scan_algorithmE0ELj4294967295EEENS1_25partition_config_selectorILNS1_17partition_subalgoE4EjNS0_10empty_typeEbEEZZNS1_14partition_implILS8_4ELb0ES6_15HIP_vector_typeIjLj2EENS0_17counting_iteratorIjlEEPS9_SG_NS0_5tupleIJPjSI_NS0_16reverse_iteratorISI_EEEEENSH_IJSG_SG_SG_EEES9_SI_JZNS1_25segmented_radix_sort_implINS0_14default_configELb1EPKfPfPKlPlN2at6native12_GLOBAL__N_18offset_tEEE10hipError_tPvRmT1_PNSt15iterator_traitsIS12_E10value_typeET2_T3_PNS13_IS18_E10value_typeET4_jRbjT5_S1E_jjP12ihipStream_tbEUljE_ZNSN_ISO_Lb1ESQ_SR_ST_SU_SY_EESZ_S10_S11_S12_S16_S17_S18_S1B_S1C_jS1D_jS1E_S1E_jjS1G_bEUljE0_EEESZ_S10_S11_S18_S1C_S1E_T6_T7_T9_mT8_S1G_bDpT10_ENKUlT_T0_E_clISt17integral_constantIbLb1EES1T_IbLb0EEEEDaS1P_S1Q_EUlS1P_E_NS1_11comp_targetILNS1_3genE4ELNS1_11target_archE910ELNS1_3gpuE8ELNS1_3repE0EEENS1_30default_config_static_selectorELNS0_4arch9wavefront6targetE1EEEvS12_
	.p2align	8
	.type	_ZN7rocprim17ROCPRIM_400000_NS6detail17trampoline_kernelINS0_13select_configILj256ELj13ELNS0_17block_load_methodE3ELS4_3ELS4_3ELNS0_20block_scan_algorithmE0ELj4294967295EEENS1_25partition_config_selectorILNS1_17partition_subalgoE4EjNS0_10empty_typeEbEEZZNS1_14partition_implILS8_4ELb0ES6_15HIP_vector_typeIjLj2EENS0_17counting_iteratorIjlEEPS9_SG_NS0_5tupleIJPjSI_NS0_16reverse_iteratorISI_EEEEENSH_IJSG_SG_SG_EEES9_SI_JZNS1_25segmented_radix_sort_implINS0_14default_configELb1EPKfPfPKlPlN2at6native12_GLOBAL__N_18offset_tEEE10hipError_tPvRmT1_PNSt15iterator_traitsIS12_E10value_typeET2_T3_PNS13_IS18_E10value_typeET4_jRbjT5_S1E_jjP12ihipStream_tbEUljE_ZNSN_ISO_Lb1ESQ_SR_ST_SU_SY_EESZ_S10_S11_S12_S16_S17_S18_S1B_S1C_jS1D_jS1E_S1E_jjS1G_bEUljE0_EEESZ_S10_S11_S18_S1C_S1E_T6_T7_T9_mT8_S1G_bDpT10_ENKUlT_T0_E_clISt17integral_constantIbLb1EES1T_IbLb0EEEEDaS1P_S1Q_EUlS1P_E_NS1_11comp_targetILNS1_3genE4ELNS1_11target_archE910ELNS1_3gpuE8ELNS1_3repE0EEENS1_30default_config_static_selectorELNS0_4arch9wavefront6targetE1EEEvS12_,@function
_ZN7rocprim17ROCPRIM_400000_NS6detail17trampoline_kernelINS0_13select_configILj256ELj13ELNS0_17block_load_methodE3ELS4_3ELS4_3ELNS0_20block_scan_algorithmE0ELj4294967295EEENS1_25partition_config_selectorILNS1_17partition_subalgoE4EjNS0_10empty_typeEbEEZZNS1_14partition_implILS8_4ELb0ES6_15HIP_vector_typeIjLj2EENS0_17counting_iteratorIjlEEPS9_SG_NS0_5tupleIJPjSI_NS0_16reverse_iteratorISI_EEEEENSH_IJSG_SG_SG_EEES9_SI_JZNS1_25segmented_radix_sort_implINS0_14default_configELb1EPKfPfPKlPlN2at6native12_GLOBAL__N_18offset_tEEE10hipError_tPvRmT1_PNSt15iterator_traitsIS12_E10value_typeET2_T3_PNS13_IS18_E10value_typeET4_jRbjT5_S1E_jjP12ihipStream_tbEUljE_ZNSN_ISO_Lb1ESQ_SR_ST_SU_SY_EESZ_S10_S11_S12_S16_S17_S18_S1B_S1C_jS1D_jS1E_S1E_jjS1G_bEUljE0_EEESZ_S10_S11_S18_S1C_S1E_T6_T7_T9_mT8_S1G_bDpT10_ENKUlT_T0_E_clISt17integral_constantIbLb1EES1T_IbLb0EEEEDaS1P_S1Q_EUlS1P_E_NS1_11comp_targetILNS1_3genE4ELNS1_11target_archE910ELNS1_3gpuE8ELNS1_3repE0EEENS1_30default_config_static_selectorELNS0_4arch9wavefront6targetE1EEEvS12_: ; @_ZN7rocprim17ROCPRIM_400000_NS6detail17trampoline_kernelINS0_13select_configILj256ELj13ELNS0_17block_load_methodE3ELS4_3ELS4_3ELNS0_20block_scan_algorithmE0ELj4294967295EEENS1_25partition_config_selectorILNS1_17partition_subalgoE4EjNS0_10empty_typeEbEEZZNS1_14partition_implILS8_4ELb0ES6_15HIP_vector_typeIjLj2EENS0_17counting_iteratorIjlEEPS9_SG_NS0_5tupleIJPjSI_NS0_16reverse_iteratorISI_EEEEENSH_IJSG_SG_SG_EEES9_SI_JZNS1_25segmented_radix_sort_implINS0_14default_configELb1EPKfPfPKlPlN2at6native12_GLOBAL__N_18offset_tEEE10hipError_tPvRmT1_PNSt15iterator_traitsIS12_E10value_typeET2_T3_PNS13_IS18_E10value_typeET4_jRbjT5_S1E_jjP12ihipStream_tbEUljE_ZNSN_ISO_Lb1ESQ_SR_ST_SU_SY_EESZ_S10_S11_S12_S16_S17_S18_S1B_S1C_jS1D_jS1E_S1E_jjS1G_bEUljE0_EEESZ_S10_S11_S18_S1C_S1E_T6_T7_T9_mT8_S1G_bDpT10_ENKUlT_T0_E_clISt17integral_constantIbLb1EES1T_IbLb0EEEEDaS1P_S1Q_EUlS1P_E_NS1_11comp_targetILNS1_3genE4ELNS1_11target_archE910ELNS1_3gpuE8ELNS1_3repE0EEENS1_30default_config_static_selectorELNS0_4arch9wavefront6targetE1EEEvS12_
; %bb.0:
	s_load_dwordx2 s[0:1], s[4:5], 0x68
	s_load_dword s7, s[4:5], 0x8
	s_load_dwordx2 s[56:57], s[4:5], 0x10
	s_load_dwordx4 s[44:47], s[4:5], 0x58
	s_mul_i32 s33, s6, 0xd00
	s_waitcnt lgkmcnt(0)
	v_mov_b32_e32 v3, s1
	v_mov_b32_e32 v2, s0
	s_load_dword s1, s[4:5], 0x80
	s_load_dwordx2 s[60:61], s[4:5], 0xa8
	s_load_dwordx8 s[36:43], s[4:5], 0x88
	s_load_dwordx4 s[48:51], s[46:47], 0x0
	s_waitcnt lgkmcnt(0)
	s_add_i32 s8, s1, -1
	s_mulk_i32 s1, 0xd00
	s_add_u32 s2, s56, s1
	s_addc_u32 s3, s57, 0
	s_cmp_eq_u32 s6, s8
	s_cselect_b64 s[30:31], -1, 0
	s_cmp_lg_u32 s6, s8
	v_cmp_lt_u64_e32 vcc, s[2:3], v[2:3]
	s_cselect_b64 s[2:3], -1, 0
	s_add_i32 s7, s7, s33
	s_or_b64 s[2:3], s[2:3], vcc
	s_add_i32 s7, s7, s56
	v_add_u32_e32 v1, s7, v0
	s_mov_b64 s[8:9], -1
	s_and_b64 vcc, exec, s[2:3]
	s_cbranch_vccz .LBB1277_2
; %bb.1:
	v_add_u32_e32 v2, 0x100, v1
	v_lshlrev_b32_e32 v14, 2, v0
	v_add_u32_e32 v3, 0x200, v1
	v_add_u32_e32 v4, 0x300, v1
	;; [unrolled: 1-line block ×11, first 2 shown]
	ds_write2st64_b32 v14, v1, v2 offset1:4
	ds_write2st64_b32 v14, v3, v4 offset0:8 offset1:12
	ds_write2st64_b32 v14, v5, v6 offset0:16 offset1:20
	;; [unrolled: 1-line block ×5, first 2 shown]
	ds_write_b32 v14, v13 offset:12288
	s_waitcnt lgkmcnt(0)
	s_barrier
	s_mov_b64 s[8:9], 0
.LBB1277_2:
	s_andn2_b64 vcc, exec, s[8:9]
	s_add_i32 s1, s1, s56
	s_cbranch_vccnz .LBB1277_4
; %bb.3:
	v_add_u32_e32 v2, 0x100, v1
	v_lshlrev_b32_e32 v14, 2, v0
	v_add_u32_e32 v3, 0x200, v1
	v_add_u32_e32 v4, 0x300, v1
	;; [unrolled: 1-line block ×11, first 2 shown]
	ds_write2st64_b32 v14, v1, v2 offset1:4
	ds_write2st64_b32 v14, v3, v4 offset0:8 offset1:12
	ds_write2st64_b32 v14, v5, v6 offset0:16 offset1:20
	;; [unrolled: 1-line block ×5, first 2 shown]
	ds_write_b32 v14, v13 offset:12288
	s_waitcnt lgkmcnt(0)
	s_barrier
.LBB1277_4:
	v_mul_u32_u24_e32 v31, 13, v0
	v_lshlrev_b32_e32 v1, 2, v31
	s_load_dwordx4 s[52:55], s[4:5], 0x28
	s_load_dwordx2 s[34:35], s[4:5], 0x38
	s_waitcnt lgkmcnt(0)
	ds_read2_b32 v[18:19], v1 offset1:1
	ds_read2_b32 v[16:17], v1 offset0:2 offset1:3
	ds_read2_b32 v[14:15], v1 offset0:4 offset1:5
	;; [unrolled: 1-line block ×5, first 2 shown]
	ds_read_b32 v30, v1 offset:48
	v_cndmask_b32_e64 v1, 0, 1, s[2:3]
	s_sub_i32 s7, s0, s1
	v_cmp_ne_u32_e64 s[0:1], 1, v1
	s_andn2_b64 vcc, exec, s[2:3]
	s_waitcnt lgkmcnt(0)
	s_barrier
	s_cbranch_vccnz .LBB1277_32
; %bb.5:
	v_add_u32_e32 v1, s37, v18
	v_add_u32_e32 v2, s39, v18
	v_mul_lo_u32 v1, v1, s36
	v_mul_lo_u32 v2, v2, s38
	v_sub_u32_e32 v1, v1, v2
	v_cmp_lt_u32_e32 vcc, s40, v1
	v_cmp_ge_u32_e64 s[2:3], s40, v1
	s_mov_b64 s[64:65], 0
	s_mov_b64 s[62:63], 0
	s_and_saveexec_b64 s[8:9], s[2:3]
; %bb.6:
	v_add_u32_e32 v1, s42, v18
	v_add_u32_e32 v2, s60, v18
	v_mul_lo_u32 v1, v1, s41
	v_mul_lo_u32 v2, v2, s43
	v_sub_u32_e32 v1, v1, v2
	v_cmp_lt_u32_e64 s[2:3], s61, v1
	s_and_b64 s[62:63], s[2:3], exec
; %bb.7:
	s_or_b64 exec, exec, s[8:9]
	v_add_u32_e32 v1, s37, v19
	v_add_u32_e32 v2, s39, v19
	v_mul_lo_u32 v1, v1, s36
	v_mul_lo_u32 v2, v2, s38
	v_sub_u32_e32 v1, v1, v2
	v_cmp_lt_u32_e64 s[2:3], s40, v1
	v_cmp_ge_u32_e64 s[8:9], s40, v1
	s_and_saveexec_b64 s[10:11], s[8:9]
; %bb.8:
	v_add_u32_e32 v1, s42, v19
	v_add_u32_e32 v2, s60, v19
	v_mul_lo_u32 v1, v1, s41
	v_mul_lo_u32 v2, v2, s43
	v_sub_u32_e32 v1, v1, v2
	v_cmp_lt_u32_e64 s[8:9], s61, v1
	s_and_b64 s[64:65], s[8:9], exec
; %bb.9:
	s_or_b64 exec, exec, s[10:11]
	v_add_u32_e32 v1, s37, v16
	v_add_u32_e32 v2, s39, v16
	v_mul_lo_u32 v1, v1, s36
	v_mul_lo_u32 v2, v2, s38
	v_sub_u32_e32 v1, v1, v2
	v_cmp_lt_u32_e64 s[26:27], s40, v1
	v_cmp_ge_u32_e64 s[8:9], s40, v1
	s_mov_b64 s[68:69], 0
	s_mov_b64 s[66:67], 0
	s_and_saveexec_b64 s[10:11], s[8:9]
; %bb.10:
	v_add_u32_e32 v1, s42, v16
	v_add_u32_e32 v2, s60, v16
	v_mul_lo_u32 v1, v1, s41
	v_mul_lo_u32 v2, v2, s43
	v_sub_u32_e32 v1, v1, v2
	v_cmp_lt_u32_e64 s[8:9], s61, v1
	s_and_b64 s[66:67], s[8:9], exec
; %bb.11:
	s_or_b64 exec, exec, s[10:11]
	v_add_u32_e32 v1, s37, v17
	v_add_u32_e32 v2, s39, v17
	v_mul_lo_u32 v1, v1, s36
	v_mul_lo_u32 v2, v2, s38
	v_sub_u32_e32 v1, v1, v2
	v_cmp_lt_u32_e64 s[8:9], s40, v1
	v_cmp_ge_u32_e64 s[10:11], s40, v1
	s_and_saveexec_b64 s[12:13], s[10:11]
; %bb.12:
	v_add_u32_e32 v1, s42, v17
	v_add_u32_e32 v2, s60, v17
	v_mul_lo_u32 v1, v1, s41
	v_mul_lo_u32 v2, v2, s43
	v_sub_u32_e32 v1, v1, v2
	v_cmp_lt_u32_e64 s[10:11], s61, v1
	s_and_b64 s[68:69], s[10:11], exec
; %bb.13:
	s_or_b64 exec, exec, s[12:13]
	v_add_u32_e32 v1, s37, v14
	v_add_u32_e32 v2, s39, v14
	v_mul_lo_u32 v1, v1, s36
	v_mul_lo_u32 v2, v2, s38
	v_sub_u32_e32 v1, v1, v2
	v_cmp_lt_u32_e64 s[10:11], s40, v1
	;; [unrolled: 38-line block ×5, first 2 shown]
	v_cmp_ge_u32_e64 s[24:25], s40, v1
	s_mov_b64 s[84:85], 0
	s_mov_b64 s[86:87], 0
	s_and_saveexec_b64 s[28:29], s[24:25]
; %bb.26:
	v_add_u32_e32 v1, s42, v8
	v_add_u32_e32 v2, s60, v8
	v_mul_lo_u32 v1, v1, s41
	v_mul_lo_u32 v2, v2, s43
	v_sub_u32_e32 v1, v1, v2
	v_cmp_lt_u32_e64 s[24:25], s61, v1
	s_and_b64 s[86:87], s[24:25], exec
; %bb.27:
	s_or_b64 exec, exec, s[28:29]
	v_add_u32_e32 v1, s37, v9
	v_add_u32_e32 v2, s39, v9
	v_mul_lo_u32 v1, v1, s36
	v_mul_lo_u32 v2, v2, s38
	v_sub_u32_e32 v1, v1, v2
	v_cmp_lt_u32_e64 s[24:25], s40, v1
	v_cmp_ge_u32_e64 s[28:29], s40, v1
	s_and_saveexec_b64 s[46:47], s[28:29]
; %bb.28:
	v_add_u32_e32 v1, s42, v9
	v_add_u32_e32 v2, s60, v9
	v_mul_lo_u32 v1, v1, s41
	v_mul_lo_u32 v2, v2, s43
	v_sub_u32_e32 v1, v1, v2
	v_cmp_lt_u32_e64 s[28:29], s61, v1
	s_and_b64 s[84:85], s[28:29], exec
; %bb.29:
	s_or_b64 exec, exec, s[46:47]
	v_add_u32_e32 v1, s37, v30
	v_add_u32_e32 v2, s39, v30
	v_mul_lo_u32 v1, v1, s36
	v_mul_lo_u32 v2, v2, s38
	v_sub_u32_e32 v1, v1, v2
	v_cmp_ge_u32_e64 s[28:29], s40, v1
	s_mov_b64 s[46:47], -1
	s_mov_b64 s[78:79], 0
	s_mov_b64 s[58:59], 0
	s_and_saveexec_b64 s[88:89], s[28:29]
; %bb.30:
	v_add_u32_e32 v1, s42, v30
	v_add_u32_e32 v2, s60, v30
	v_mul_lo_u32 v1, v1, s41
	v_mul_lo_u32 v2, v2, s43
	v_sub_u32_e32 v1, v1, v2
	v_cmp_lt_u32_e64 s[28:29], s61, v1
	s_and_b64 s[58:59], s[28:29], exec
	s_xor_b64 s[46:47], exec, -1
; %bb.31:
	s_or_b64 exec, exec, s[88:89]
	v_cndmask_b32_e64 v52, 0, 1, s[86:87]
	v_cndmask_b32_e64 v55, 0, 1, s[24:25]
	;; [unrolled: 1-line block ×22, first 2 shown]
	v_cndmask_b32_e64 v32, 0, 1, vcc
	v_cndmask_b32_e64 v54, 0, 1, s[84:85]
	s_load_dwordx2 s[12:13], s[4:5], 0x78
	s_add_i32 s18, s7, 0xd00
	s_and_b64 vcc, exec, s[78:79]
	s_cbranch_vccnz .LBB1277_33
	s_branch .LBB1277_86
.LBB1277_32:
                                        ; implicit-def: $sgpr46_sgpr47
                                        ; implicit-def: $sgpr58_sgpr59
                                        ; implicit-def: $vgpr54
                                        ; implicit-def: $vgpr52
                                        ; implicit-def: $vgpr50
                                        ; implicit-def: $vgpr48
                                        ; implicit-def: $vgpr46
                                        ; implicit-def: $vgpr44
                                        ; implicit-def: $vgpr42
                                        ; implicit-def: $vgpr40
                                        ; implicit-def: $vgpr38
                                        ; implicit-def: $vgpr32
                                        ; implicit-def: $vgpr34
                                        ; implicit-def: $vgpr36
                                        ; implicit-def: $vgpr39
                                        ; implicit-def: $vgpr41
                                        ; implicit-def: $vgpr43
                                        ; implicit-def: $vgpr45
                                        ; implicit-def: $vgpr47
                                        ; implicit-def: $vgpr49
                                        ; implicit-def: $vgpr51
                                        ; implicit-def: $vgpr53
                                        ; implicit-def: $vgpr55
                                        ; implicit-def: $vgpr33
                                        ; implicit-def: $vgpr35
                                        ; implicit-def: $vgpr37
	s_load_dwordx2 s[12:13], s[4:5], 0x78
	s_add_i32 s18, s7, 0xd00
	s_cbranch_execz .LBB1277_86
.LBB1277_33:
	v_cmp_gt_u32_e32 vcc, s18, v31
	v_mov_b32_e32 v33, 0
	v_mov_b32_e32 v32, 0
	s_and_saveexec_b64 s[4:5], vcc
	s_cbranch_execz .LBB1277_37
; %bb.34:
	v_add_u32_e32 v1, s37, v18
	v_add_u32_e32 v2, s39, v18
	v_mul_lo_u32 v1, v1, s36
	v_mul_lo_u32 v2, v2, s38
	v_sub_u32_e32 v1, v1, v2
	v_cmp_lt_u32_e32 vcc, s40, v1
	v_cmp_ge_u32_e64 s[2:3], s40, v1
	s_mov_b64 s[10:11], 0
	s_and_saveexec_b64 s[8:9], s[2:3]
; %bb.35:
	v_add_u32_e32 v1, s42, v18
	v_add_u32_e32 v2, s60, v18
	v_mul_lo_u32 v1, v1, s41
	v_mul_lo_u32 v2, v2, s43
	v_sub_u32_e32 v1, v1, v2
	v_cmp_lt_u32_e64 s[2:3], s61, v1
	s_and_b64 s[10:11], s[2:3], exec
; %bb.36:
	s_or_b64 exec, exec, s[8:9]
	v_cndmask_b32_e64 v32, 0, 1, vcc
	v_cndmask_b32_e64 v33, 0, 1, s[10:11]
.LBB1277_37:
	s_or_b64 exec, exec, s[4:5]
	v_add_u32_e32 v1, 1, v31
	v_cmp_gt_u32_e32 vcc, s18, v1
	v_mov_b32_e32 v34, 0
	v_mov_b32_e32 v35, 0
	s_and_saveexec_b64 s[4:5], vcc
	s_cbranch_execz .LBB1277_41
; %bb.38:
	v_add_u32_e32 v1, s37, v19
	v_add_u32_e32 v2, s39, v19
	v_mul_lo_u32 v1, v1, s36
	v_mul_lo_u32 v2, v2, s38
	v_sub_u32_e32 v1, v1, v2
	v_cmp_lt_u32_e32 vcc, s40, v1
	v_cmp_ge_u32_e64 s[2:3], s40, v1
	s_mov_b64 s[10:11], 0
	s_and_saveexec_b64 s[8:9], s[2:3]
; %bb.39:
	v_add_u32_e32 v1, s42, v19
	v_add_u32_e32 v2, s60, v19
	v_mul_lo_u32 v1, v1, s41
	v_mul_lo_u32 v2, v2, s43
	v_sub_u32_e32 v1, v1, v2
	v_cmp_lt_u32_e64 s[2:3], s61, v1
	s_and_b64 s[10:11], s[2:3], exec
; %bb.40:
	s_or_b64 exec, exec, s[8:9]
	v_cndmask_b32_e64 v34, 0, 1, vcc
	v_cndmask_b32_e64 v35, 0, 1, s[10:11]
.LBB1277_41:
	s_or_b64 exec, exec, s[4:5]
	v_add_u32_e32 v1, 2, v31
	;; [unrolled: 30-line block ×12, first 2 shown]
	v_cmp_gt_u32_e32 vcc, s18, v1
	s_mov_b64 s[46:47], 0
	s_mov_b64 s[58:59], 0
	s_and_saveexec_b64 s[2:3], vcc
	s_cbranch_execz .LBB1277_85
; %bb.82:
	v_add_u32_e32 v1, s37, v30
	v_add_u32_e32 v2, s39, v30
	v_mul_lo_u32 v1, v1, s36
	v_mul_lo_u32 v2, v2, s38
	v_sub_u32_e32 v1, v1, v2
	v_cmp_ge_u32_e32 vcc, s40, v1
	s_mov_b64 s[8:9], -1
	s_mov_b64 s[10:11], 0
	s_and_saveexec_b64 s[4:5], vcc
; %bb.83:
	v_add_u32_e32 v1, s42, v30
	v_add_u32_e32 v2, s60, v30
	v_mul_lo_u32 v1, v1, s41
	v_mul_lo_u32 v2, v2, s43
	v_sub_u32_e32 v1, v1, v2
	v_cmp_lt_u32_e32 vcc, s61, v1
	s_and_b64 s[10:11], vcc, exec
	s_xor_b64 s[8:9], exec, -1
; %bb.84:
	s_or_b64 exec, exec, s[4:5]
	s_and_b64 s[58:59], s[10:11], exec
	s_and_b64 s[46:47], s[8:9], exec
.LBB1277_85:
	s_or_b64 exec, exec, s[2:3]
.LBB1277_86:
	v_and_b32_e32 v63, 0xff, v33
	v_and_b32_e32 v74, 0xff, v35
	;; [unrolled: 1-line block ×5, first 2 shown]
	v_add3_u32 v2, v74, v65, v63
	v_and_b32_e32 v76, 0xff, v42
	v_and_b32_e32 v69, 0xff, v44
	v_add3_u32 v2, v2, v75, v67
	v_and_b32_e32 v62, 0xff, v32
	v_and_b32_e32 v56, 0xff, v34
	;; [unrolled: 1-line block ×5, first 2 shown]
	v_add3_u32 v2, v2, v76, v69
	v_and_b32_e32 v57, 0xff, v39
	v_and_b32_e32 v66, 0xff, v41
	;; [unrolled: 1-line block ×4, first 2 shown]
	v_add3_u32 v3, v56, v64, v62
	v_add3_u32 v2, v2, v77, v71
	v_and_b32_e32 v58, 0xff, v43
	v_and_b32_e32 v68, 0xff, v45
	v_and_b32_e32 v79, 0xff, v54
	v_cndmask_b32_e64 v1, 0, 1, s[58:59]
	v_add3_u32 v3, v3, v57, v66
	v_add3_u32 v2, v2, v78, v73
	v_and_b32_e32 v59, 0xff, v47
	v_and_b32_e32 v70, 0xff, v49
	v_add3_u32 v3, v3, v58, v68
	v_add3_u32 v86, v2, v79, v1
	v_mbcnt_lo_u32_b32 v1, -1, 0
	v_and_b32_e32 v60, 0xff, v51
	v_and_b32_e32 v72, 0xff, v53
	v_add3_u32 v3, v3, v59, v70
	v_mbcnt_hi_u32_b32 v80, -1, v1
	v_and_b32_e32 v61, 0xff, v55
	v_add3_u32 v3, v3, v60, v72
	v_cndmask_b32_e64 v4, 0, 1, s[46:47]
	v_and_b32_e32 v84, 15, v80
	s_cmp_lg_u32 s6, 0
	v_add3_u32 v85, v3, v61, v4
	v_cmp_eq_u32_e64 s[4:5], 0, v84
	v_cmp_lt_u32_e64 s[2:3], 1, v84
	v_cmp_lt_u32_e64 s[8:9], 3, v84
	;; [unrolled: 1-line block ×3, first 2 shown]
	v_and_b32_e32 v83, 16, v80
	v_cmp_lt_u32_e32 vcc, 31, v80
	v_lshrrev_b32_e32 v81, 6, v0
	v_or_b32_e32 v82, 63, v0
	s_cbranch_scc0 .LBB1277_119
; %bb.87:
	v_mov_b32_dpp v1, v85 row_shr:1 row_mask:0xf bank_mask:0xf
	v_mov_b32_dpp v2, v86 row_shr:1 row_mask:0xf bank_mask:0xf
	v_add_u32_e32 v1, v1, v85
	v_add_u32_e32 v2, v2, v86
	v_cndmask_b32_e64 v2, v2, v86, s[4:5]
	v_cndmask_b32_e64 v1, v1, v85, s[4:5]
	s_nop 0
	v_mov_b32_dpp v4, v2 row_shr:2 row_mask:0xf bank_mask:0xf
	v_mov_b32_dpp v3, v1 row_shr:2 row_mask:0xf bank_mask:0xf
	v_add_u32_e32 v3, v1, v3
	v_add_u32_e32 v4, v2, v4
	v_cndmask_b32_e64 v2, v2, v4, s[2:3]
	v_cndmask_b32_e64 v1, v1, v3, s[2:3]
	s_nop 0
	v_mov_b32_dpp v4, v2 row_shr:4 row_mask:0xf bank_mask:0xf
	v_mov_b32_dpp v3, v1 row_shr:4 row_mask:0xf bank_mask:0xf
	v_add_u32_e32 v3, v1, v3
	v_add_u32_e32 v4, v2, v4
	v_cndmask_b32_e64 v2, v2, v4, s[8:9]
	v_cndmask_b32_e64 v1, v1, v3, s[8:9]
	v_cmp_eq_u32_e64 s[8:9], 0, v83
	v_mov_b32_dpp v4, v2 row_shr:8 row_mask:0xf bank_mask:0xf
	v_mov_b32_dpp v3, v1 row_shr:8 row_mask:0xf bank_mask:0xf
	v_add_u32_e32 v3, v1, v3
	v_add_u32_e32 v4, v2, v4
	v_cndmask_b32_e64 v2, v2, v4, s[10:11]
	v_cndmask_b32_e64 v1, v1, v3, s[10:11]
	s_nop 0
	v_mov_b32_dpp v4, v2 row_bcast:15 row_mask:0xf bank_mask:0xf
	v_mov_b32_dpp v3, v1 row_bcast:15 row_mask:0xf bank_mask:0xf
	v_add_u32_e32 v3, v1, v3
	v_add_u32_e32 v4, v2, v4
	v_cndmask_b32_e64 v2, v4, v2, s[8:9]
	v_cndmask_b32_e64 v1, v3, v1, s[8:9]
	s_nop 0
	v_mov_b32_dpp v4, v2 row_bcast:31 row_mask:0xf bank_mask:0xf
	v_mov_b32_dpp v3, v1 row_bcast:31 row_mask:0xf bank_mask:0xf
	v_add_u32_e32 v4, v2, v4
	v_add_u32_e32 v5, v1, v3
	v_cndmask_b32_e32 v3, v2, v4, vcc
	v_cndmask_b32_e32 v2, v1, v5, vcc
	v_cmp_eq_u32_e32 vcc, v82, v0
	s_and_saveexec_b64 s[8:9], vcc
	s_cbranch_execz .LBB1277_89
; %bb.88:
	v_lshlrev_b32_e32 v1, 3, v81
	ds_write_b64 v1, v[2:3]
.LBB1277_89:
	s_or_b64 exec, exec, s[8:9]
	v_cmp_gt_u32_e32 vcc, 4, v0
	s_waitcnt lgkmcnt(0)
	s_barrier
	s_and_saveexec_b64 s[8:9], vcc
	s_cbranch_execz .LBB1277_91
; %bb.90:
	v_lshlrev_b32_e32 v1, 3, v0
	ds_read_b64 v[4:5], v1
	v_and_b32_e32 v6, 3, v80
	v_cmp_eq_u32_e32 vcc, 0, v6
	s_waitcnt lgkmcnt(0)
	v_mov_b32_dpp v7, v4 row_shr:1 row_mask:0xf bank_mask:0xf
	v_mov_b32_dpp v20, v5 row_shr:1 row_mask:0xf bank_mask:0xf
	v_add_u32_e32 v7, v7, v4
	v_add_u32_e32 v20, v20, v5
	v_cndmask_b32_e32 v5, v20, v5, vcc
	v_cndmask_b32_e32 v4, v7, v4, vcc
	v_cmp_lt_u32_e32 vcc, 1, v6
	v_mov_b32_dpp v20, v5 row_shr:2 row_mask:0xf bank_mask:0xf
	v_mov_b32_dpp v7, v4 row_shr:2 row_mask:0xf bank_mask:0xf
	v_cndmask_b32_e32 v6, 0, v7, vcc
	v_cndmask_b32_e32 v7, 0, v20, vcc
	v_add_u32_e32 v5, v7, v5
	v_add_u32_e32 v4, v6, v4
	ds_write_b64 v1, v[4:5]
.LBB1277_91:
	s_or_b64 exec, exec, s[8:9]
	v_cmp_gt_u32_e32 vcc, 64, v0
	v_cmp_lt_u32_e64 s[8:9], 63, v0
	s_waitcnt lgkmcnt(0)
	s_barrier
	s_waitcnt lgkmcnt(0)
                                        ; implicit-def: $vgpr21
	s_and_saveexec_b64 s[10:11], s[8:9]
	s_xor_b64 s[8:9], exec, s[10:11]
	s_cbranch_execz .LBB1277_93
; %bb.92:
	v_lshl_add_u32 v1, v81, 3, -8
	ds_read_b64 v[20:21], v1
	s_waitcnt lgkmcnt(0)
	v_add_u32_e32 v3, v21, v3
	v_add_u32_e32 v2, v20, v2
.LBB1277_93:
	s_andn2_saveexec_b64 s[8:9], s[8:9]
; %bb.94:
                                        ; implicit-def: $vgpr20
; %bb.95:
	s_or_b64 exec, exec, s[8:9]
	v_add_u32_e32 v1, -1, v80
	v_and_b32_e32 v4, 64, v80
	v_cmp_lt_i32_e64 s[8:9], v1, v4
	v_cndmask_b32_e64 v1, v1, v80, s[8:9]
	v_lshlrev_b32_e32 v4, 2, v1
	ds_bpermute_b32 v1, v4, v2
	ds_bpermute_b32 v87, v4, v3
	v_cmp_eq_u32_e64 s[8:9], 0, v80
	s_and_saveexec_b64 s[10:11], vcc
	s_cbranch_execz .LBB1277_118
; %bb.96:
	v_mov_b32_e32 v7, 0
	ds_read_b64 v[22:23], v7 offset:24
	s_and_saveexec_b64 s[14:15], s[8:9]
	s_cbranch_execz .LBB1277_98
; %bb.97:
	s_add_i32 s16, s6, 64
	s_mov_b32 s17, 0
	s_lshl_b64 s[16:17], s[16:17], 4
	s_waitcnt lgkmcnt(0)
	v_and_b32_e32 v2, 0xff000000, v23
	v_and_b32_e32 v3, 0xff0000, v23
	s_add_u32 s16, s12, s16
	v_or_b32_e32 v2, v3, v2
	v_and_b32_e32 v3, 0xff00, v23
	s_addc_u32 s17, s13, s17
	v_or_b32_e32 v2, v2, v3
	v_or_b32_sdwa v5, v2, v23 dst_sel:DWORD dst_unused:UNUSED_PAD src0_sel:DWORD src1_sel:BYTE_0
	v_mov_b32_e32 v6, 1
	v_mov_b32_e32 v4, v22
	v_pk_mov_b32 v[2:3], s[16:17], s[16:17] op_sel:[0,1]
	;;#ASMSTART
	global_store_dwordx4 v[2:3], v[4:7] off	
s_waitcnt vmcnt(0)
	;;#ASMEND
.LBB1277_98:
	s_or_b64 exec, exec, s[14:15]
	v_xad_u32 v24, v80, -1, s6
	v_add_u32_e32 v6, 64, v24
	v_lshlrev_b64 v[2:3], 4, v[6:7]
	v_mov_b32_e32 v4, s13
	v_add_co_u32_e32 v26, vcc, s12, v2
	v_addc_co_u32_e32 v27, vcc, v4, v3, vcc
	;;#ASMSTART
	global_load_dwordx4 v[2:5], v[26:27] off glc	
s_waitcnt vmcnt(0)
	;;#ASMEND
	v_and_b32_e32 v5, 0xff, v3
	v_and_b32_e32 v6, 0xff00, v3
	v_or3_b32 v5, 0, v5, v6
	v_or3_b32 v2, v2, 0, 0
	v_and_b32_e32 v6, 0xff000000, v3
	v_and_b32_e32 v3, 0xff0000, v3
	v_or3_b32 v3, v5, v3, v6
	v_or3_b32 v2, v2, 0, 0
	v_cmp_eq_u16_sdwa s[16:17], v4, v7 src0_sel:BYTE_0 src1_sel:DWORD
	s_and_saveexec_b64 s[14:15], s[16:17]
	s_cbranch_execz .LBB1277_104
; %bb.99:
	s_mov_b32 s7, 1
	s_mov_b64 s[16:17], 0
	v_mov_b32_e32 v6, 0
.LBB1277_100:                           ; =>This Loop Header: Depth=1
                                        ;     Child Loop BB1277_101 Depth 2
	s_max_u32 s19, s7, 1
.LBB1277_101:                           ;   Parent Loop BB1277_100 Depth=1
                                        ; =>  This Inner Loop Header: Depth=2
	s_add_i32 s19, s19, -1
	s_cmp_eq_u32 s19, 0
	s_sleep 1
	s_cbranch_scc0 .LBB1277_101
; %bb.102:                              ;   in Loop: Header=BB1277_100 Depth=1
	s_cmp_lt_u32 s7, 32
	s_cselect_b64 s[20:21], -1, 0
	s_cmp_lg_u64 s[20:21], 0
	s_addc_u32 s7, s7, 0
	;;#ASMSTART
	global_load_dwordx4 v[2:5], v[26:27] off glc	
s_waitcnt vmcnt(0)
	;;#ASMEND
	v_cmp_ne_u16_sdwa s[20:21], v4, v6 src0_sel:BYTE_0 src1_sel:DWORD
	s_or_b64 s[16:17], s[20:21], s[16:17]
	s_andn2_b64 exec, exec, s[16:17]
	s_cbranch_execnz .LBB1277_100
; %bb.103:
	s_or_b64 exec, exec, s[16:17]
.LBB1277_104:
	s_or_b64 exec, exec, s[14:15]
	v_and_b32_e32 v89, 63, v80
	v_cmp_ne_u32_e32 vcc, 63, v89
	v_mov_b32_e32 v88, 2
	v_addc_co_u32_e32 v26, vcc, 0, v80, vcc
	v_cmp_eq_u16_sdwa s[14:15], v4, v88 src0_sel:BYTE_0 src1_sel:DWORD
	v_lshlrev_b64 v[6:7], v80, -1
	v_lshlrev_b32_e32 v90, 2, v26
	v_and_b32_e32 v5, s15, v7
	ds_bpermute_b32 v26, v90, v2
	ds_bpermute_b32 v27, v90, v3
	v_or_b32_e32 v5, 0x80000000, v5
	v_and_b32_e32 v25, s14, v6
	v_ffbl_b32_e32 v5, v5
	v_add_u32_e32 v5, 32, v5
	v_ffbl_b32_e32 v25, v25
	v_min_u32_e32 v5, v25, v5
	s_waitcnt lgkmcnt(1)
	v_add_u32_e32 v25, v26, v2
	s_waitcnt lgkmcnt(0)
	v_add_u32_e32 v26, v27, v3
	v_cmp_lt_u32_e32 vcc, v89, v5
	v_cndmask_b32_e32 v3, v3, v26, vcc
	v_cndmask_b32_e32 v2, v2, v25, vcc
	v_cmp_gt_u32_e32 vcc, 62, v89
	v_cndmask_b32_e64 v25, 0, 1, vcc
	v_lshlrev_b32_e32 v25, 1, v25
	v_add_lshl_u32 v91, v25, v80, 2
	ds_bpermute_b32 v25, v91, v2
	ds_bpermute_b32 v26, v91, v3
	v_add_u32_e32 v92, 2, v89
	v_cmp_gt_u32_e32 vcc, v92, v5
	v_add_u32_e32 v94, 4, v89
	s_waitcnt lgkmcnt(1)
	v_add_u32_e32 v25, v2, v25
	s_waitcnt lgkmcnt(0)
	v_add_u32_e32 v26, v3, v26
	v_cndmask_b32_e32 v3, v26, v3, vcc
	v_cndmask_b32_e32 v2, v25, v2, vcc
	v_cmp_gt_u32_e32 vcc, 60, v89
	v_cndmask_b32_e64 v25, 0, 1, vcc
	v_lshlrev_b32_e32 v25, 2, v25
	v_add_lshl_u32 v93, v25, v80, 2
	ds_bpermute_b32 v25, v93, v2
	ds_bpermute_b32 v26, v93, v3
	v_cmp_gt_u32_e32 vcc, v94, v5
	v_add_u32_e32 v96, 8, v89
	v_add_u32_e32 v98, 16, v89
	s_waitcnt lgkmcnt(1)
	v_add_u32_e32 v25, v2, v25
	s_waitcnt lgkmcnt(0)
	v_add_u32_e32 v26, v3, v26
	v_cndmask_b32_e32 v3, v26, v3, vcc
	v_cndmask_b32_e32 v2, v25, v2, vcc
	v_cmp_gt_u32_e32 vcc, 56, v89
	v_cndmask_b32_e64 v25, 0, 1, vcc
	v_lshlrev_b32_e32 v25, 3, v25
	v_add_lshl_u32 v95, v25, v80, 2
	ds_bpermute_b32 v25, v95, v2
	ds_bpermute_b32 v26, v95, v3
	v_cmp_gt_u32_e32 vcc, v96, v5
	v_add_u32_e32 v100, 32, v89
	s_waitcnt lgkmcnt(1)
	v_add_u32_e32 v25, v2, v25
	s_waitcnt lgkmcnt(0)
	v_add_u32_e32 v26, v3, v26
	v_cndmask_b32_e32 v3, v26, v3, vcc
	v_cndmask_b32_e32 v2, v25, v2, vcc
	v_cmp_gt_u32_e32 vcc, 48, v89
	v_cndmask_b32_e64 v25, 0, 1, vcc
	v_lshlrev_b32_e32 v25, 4, v25
	v_add_lshl_u32 v97, v25, v80, 2
	ds_bpermute_b32 v25, v97, v2
	ds_bpermute_b32 v26, v97, v3
	v_cmp_gt_u32_e32 vcc, v98, v5
	s_waitcnt lgkmcnt(1)
	v_add_u32_e32 v25, v2, v25
	s_waitcnt lgkmcnt(0)
	v_add_u32_e32 v26, v3, v26
	v_cndmask_b32_e32 v3, v26, v3, vcc
	v_cndmask_b32_e32 v2, v25, v2, vcc
	v_cmp_gt_u32_e32 vcc, 32, v89
	v_cndmask_b32_e64 v25, 0, 1, vcc
	v_lshlrev_b32_e32 v25, 5, v25
	v_add_lshl_u32 v99, v25, v80, 2
	ds_bpermute_b32 v25, v99, v2
	ds_bpermute_b32 v26, v99, v3
	v_cmp_le_u32_e32 vcc, v100, v5
	s_waitcnt lgkmcnt(1)
	v_cndmask_b32_e32 v5, 0, v25, vcc
	s_waitcnt lgkmcnt(0)
	v_cndmask_b32_e32 v25, 0, v26, vcc
	v_add_u32_e32 v3, v3, v25
	v_add_u32_e32 v2, v2, v5
	v_mov_b32_e32 v25, 0
	s_branch .LBB1277_106
.LBB1277_105:                           ;   in Loop: Header=BB1277_106 Depth=1
	s_or_b64 exec, exec, s[14:15]
	v_cmp_eq_u16_sdwa s[14:15], v4, v88 src0_sel:BYTE_0 src1_sel:DWORD
	v_and_b32_e32 v5, s15, v7
	ds_bpermute_b32 v29, v90, v2
	ds_bpermute_b32 v101, v90, v3
	v_or_b32_e32 v5, 0x80000000, v5
	v_and_b32_e32 v28, s14, v6
	v_ffbl_b32_e32 v5, v5
	v_add_u32_e32 v5, 32, v5
	v_ffbl_b32_e32 v28, v28
	v_min_u32_e32 v5, v28, v5
	s_waitcnt lgkmcnt(1)
	v_add_u32_e32 v28, v29, v2
	s_waitcnt lgkmcnt(0)
	v_add_u32_e32 v29, v101, v3
	v_cmp_lt_u32_e32 vcc, v89, v5
	v_cndmask_b32_e32 v3, v3, v29, vcc
	v_cndmask_b32_e32 v2, v2, v28, vcc
	ds_bpermute_b32 v28, v91, v2
	ds_bpermute_b32 v29, v91, v3
	v_cmp_gt_u32_e32 vcc, v92, v5
	v_subrev_u32_e32 v24, 64, v24
	s_waitcnt lgkmcnt(1)
	v_add_u32_e32 v28, v2, v28
	s_waitcnt lgkmcnt(0)
	v_add_u32_e32 v29, v3, v29
	v_cndmask_b32_e32 v3, v29, v3, vcc
	v_cndmask_b32_e32 v2, v28, v2, vcc
	ds_bpermute_b32 v28, v93, v2
	ds_bpermute_b32 v29, v93, v3
	v_cmp_gt_u32_e32 vcc, v94, v5
	s_waitcnt lgkmcnt(1)
	v_add_u32_e32 v28, v2, v28
	s_waitcnt lgkmcnt(0)
	v_add_u32_e32 v29, v3, v29
	v_cndmask_b32_e32 v3, v29, v3, vcc
	v_cndmask_b32_e32 v2, v28, v2, vcc
	ds_bpermute_b32 v28, v95, v2
	ds_bpermute_b32 v29, v95, v3
	v_cmp_gt_u32_e32 vcc, v96, v5
	;; [unrolled: 9-line block ×3, first 2 shown]
	s_waitcnt lgkmcnt(1)
	v_add_u32_e32 v28, v2, v28
	s_waitcnt lgkmcnt(0)
	v_add_u32_e32 v29, v3, v29
	v_cndmask_b32_e32 v3, v29, v3, vcc
	v_cndmask_b32_e32 v2, v28, v2, vcc
	ds_bpermute_b32 v28, v99, v2
	ds_bpermute_b32 v29, v99, v3
	v_cmp_le_u32_e32 vcc, v100, v5
	s_waitcnt lgkmcnt(1)
	v_cndmask_b32_e32 v5, 0, v28, vcc
	s_waitcnt lgkmcnt(0)
	v_cndmask_b32_e32 v28, 0, v29, vcc
	v_add3_u32 v3, v28, v27, v3
	v_add3_u32 v2, v5, v26, v2
.LBB1277_106:                           ; =>This Loop Header: Depth=1
                                        ;     Child Loop BB1277_109 Depth 2
                                        ;       Child Loop BB1277_110 Depth 3
	v_cmp_ne_u16_sdwa s[14:15], v4, v88 src0_sel:BYTE_0 src1_sel:DWORD
	v_cndmask_b32_e64 v4, 0, 1, s[14:15]
	;;#ASMSTART
	;;#ASMEND
	v_cmp_ne_u32_e32 vcc, 0, v4
	s_cmp_lg_u64 vcc, exec
	v_pk_mov_b32 v[26:27], v[2:3], v[2:3] op_sel:[0,1]
	s_cbranch_scc1 .LBB1277_113
; %bb.107:                              ;   in Loop: Header=BB1277_106 Depth=1
	v_lshlrev_b64 v[2:3], 4, v[24:25]
	v_mov_b32_e32 v4, s13
	v_add_co_u32_e32 v28, vcc, s12, v2
	v_addc_co_u32_e32 v29, vcc, v4, v3, vcc
	;;#ASMSTART
	global_load_dwordx4 v[2:5], v[28:29] off glc	
s_waitcnt vmcnt(0)
	;;#ASMEND
	v_and_b32_e32 v5, 0xff, v3
	v_and_b32_e32 v101, 0xff00, v3
	v_or3_b32 v5, 0, v5, v101
	v_or3_b32 v2, v2, 0, 0
	v_and_b32_e32 v101, 0xff000000, v3
	v_and_b32_e32 v3, 0xff0000, v3
	v_or3_b32 v3, v5, v3, v101
	v_or3_b32 v2, v2, 0, 0
	v_cmp_eq_u16_sdwa s[16:17], v4, v25 src0_sel:BYTE_0 src1_sel:DWORD
	s_and_saveexec_b64 s[14:15], s[16:17]
	s_cbranch_execz .LBB1277_105
; %bb.108:                              ;   in Loop: Header=BB1277_106 Depth=1
	s_mov_b32 s7, 1
	s_mov_b64 s[16:17], 0
.LBB1277_109:                           ;   Parent Loop BB1277_106 Depth=1
                                        ; =>  This Loop Header: Depth=2
                                        ;       Child Loop BB1277_110 Depth 3
	s_max_u32 s19, s7, 1
.LBB1277_110:                           ;   Parent Loop BB1277_106 Depth=1
                                        ;     Parent Loop BB1277_109 Depth=2
                                        ; =>    This Inner Loop Header: Depth=3
	s_add_i32 s19, s19, -1
	s_cmp_eq_u32 s19, 0
	s_sleep 1
	s_cbranch_scc0 .LBB1277_110
; %bb.111:                              ;   in Loop: Header=BB1277_109 Depth=2
	s_cmp_lt_u32 s7, 32
	s_cselect_b64 s[20:21], -1, 0
	s_cmp_lg_u64 s[20:21], 0
	s_addc_u32 s7, s7, 0
	;;#ASMSTART
	global_load_dwordx4 v[2:5], v[28:29] off glc	
s_waitcnt vmcnt(0)
	;;#ASMEND
	v_cmp_ne_u16_sdwa s[20:21], v4, v25 src0_sel:BYTE_0 src1_sel:DWORD
	s_or_b64 s[16:17], s[20:21], s[16:17]
	s_andn2_b64 exec, exec, s[16:17]
	s_cbranch_execnz .LBB1277_109
; %bb.112:                              ;   in Loop: Header=BB1277_106 Depth=1
	s_or_b64 exec, exec, s[16:17]
	s_branch .LBB1277_105
.LBB1277_113:                           ;   in Loop: Header=BB1277_106 Depth=1
                                        ; implicit-def: $vgpr4
                                        ; implicit-def: $vgpr2_vgpr3
	s_cbranch_execz .LBB1277_106
; %bb.114:
	s_and_saveexec_b64 s[14:15], s[8:9]
	s_cbranch_execz .LBB1277_116
; %bb.115:
	s_add_i32 s6, s6, 64
	s_mov_b32 s7, 0
	v_add_u32_e32 v3, v27, v23
	s_lshl_b64 s[6:7], s[6:7], 4
	s_add_u32 s6, s12, s6
	v_and_b32_e32 v4, 0xff000000, v3
	v_and_b32_e32 v6, 0xff0000, v3
	s_addc_u32 s7, s13, s7
	v_or_b32_e32 v4, v6, v4
	v_and_b32_e32 v6, 0xff00, v3
	v_and_b32_e32 v3, 0xff, v3
	v_add_u32_e32 v2, v26, v22
	v_mov_b32_e32 v5, 0
	v_or3_b32 v3, v4, v6, v3
	v_mov_b32_e32 v4, 2
	v_pk_mov_b32 v[6:7], s[6:7], s[6:7] op_sel:[0,1]
	;;#ASMSTART
	global_store_dwordx4 v[6:7], v[2:5] off	
s_waitcnt vmcnt(0)
	;;#ASMEND
	s_movk_i32 s6, 0x3400
	v_add_u32_e64 v2, s6, 0
	ds_write2_b32 v2, v22, v23 offset1:2
	ds_write2_b32 v2, v26, v27 offset0:4 offset1:6
.LBB1277_116:
	s_or_b64 exec, exec, s[14:15]
	v_cmp_eq_u32_e32 vcc, 0, v0
	s_and_b64 exec, exec, vcc
	s_cbranch_execz .LBB1277_118
; %bb.117:
	v_mov_b32_e32 v2, 0
	ds_write_b64 v2, v[26:27] offset:24
.LBB1277_118:
	s_or_b64 exec, exec, s[10:11]
	v_mov_b32_e32 v2, 0
	s_waitcnt lgkmcnt(0)
	s_barrier
	ds_read_b64 v[6:7], v2 offset:24
	s_movk_i32 s6, 0x3400
	v_cndmask_b32_e64 v2, v87, v21, s[8:9]
	v_cndmask_b32_e64 v1, v1, v20, s[8:9]
	v_add_u32_e64 v4, s6, 0
	s_waitcnt lgkmcnt(0)
	v_add_u32_e32 v20, v6, v1
	v_add_u32_e32 v1, v7, v2
	s_barrier
	ds_read2_b32 v[2:3], v4 offset1:2
	ds_read2_b32 v[4:5], v4 offset0:4 offset1:6
	v_cmp_eq_u32_e32 vcc, 0, v0
	v_cndmask_b32_e32 v1, v1, v7, vcc
	v_cndmask_b32_e32 v20, v20, v6, vcc
	s_branch .LBB1277_129
.LBB1277_119:
                                        ; implicit-def: $vgpr1
                                        ; implicit-def: $vgpr4
                                        ; implicit-def: $vgpr2
                                        ; implicit-def: $vgpr20_vgpr21
	s_cbranch_execz .LBB1277_129
; %bb.120:
	s_nop 0
	v_mov_b32_dpp v1, v85 row_shr:1 row_mask:0xf bank_mask:0xf
	s_waitcnt lgkmcnt(0)
	v_mov_b32_dpp v2, v86 row_shr:1 row_mask:0xf bank_mask:0xf
	v_add_u32_e32 v1, v1, v85
	v_add_u32_e32 v2, v2, v86
	v_cndmask_b32_e64 v2, v2, v86, s[4:5]
	v_cndmask_b32_e64 v1, v1, v85, s[4:5]
	v_cmp_lt_u32_e32 vcc, 3, v84
	v_mov_b32_dpp v4, v2 row_shr:2 row_mask:0xf bank_mask:0xf
	v_mov_b32_dpp v3, v1 row_shr:2 row_mask:0xf bank_mask:0xf
	v_add_u32_e32 v3, v1, v3
	v_add_u32_e32 v4, v2, v4
	v_cndmask_b32_e64 v2, v2, v4, s[2:3]
	v_cndmask_b32_e64 v1, v1, v3, s[2:3]
	s_nop 0
	v_mov_b32_dpp v4, v2 row_shr:4 row_mask:0xf bank_mask:0xf
	v_mov_b32_dpp v3, v1 row_shr:4 row_mask:0xf bank_mask:0xf
	v_add_u32_e32 v3, v1, v3
	v_add_u32_e32 v4, v2, v4
	v_cndmask_b32_e32 v2, v2, v4, vcc
	v_cndmask_b32_e32 v1, v1, v3, vcc
	v_cmp_lt_u32_e32 vcc, 7, v84
	v_mov_b32_dpp v4, v2 row_shr:8 row_mask:0xf bank_mask:0xf
	v_mov_b32_dpp v3, v1 row_shr:8 row_mask:0xf bank_mask:0xf
	v_add_u32_e32 v3, v1, v3
	v_add_u32_e32 v4, v2, v4
	v_cndmask_b32_e32 v2, v2, v4, vcc
	v_cndmask_b32_e32 v1, v1, v3, vcc
	v_cmp_eq_u32_e32 vcc, 0, v83
	v_mov_b32_dpp v4, v2 row_bcast:15 row_mask:0xf bank_mask:0xf
	v_mov_b32_dpp v3, v1 row_bcast:15 row_mask:0xf bank_mask:0xf
	v_add_u32_e32 v3, v1, v3
	v_add_u32_e32 v4, v2, v4
	v_cndmask_b32_e32 v2, v4, v2, vcc
	v_cndmask_b32_e32 v1, v3, v1, vcc
	v_cmp_lt_u32_e32 vcc, 31, v80
	v_mov_b32_dpp v4, v2 row_bcast:31 row_mask:0xf bank_mask:0xf
	v_mov_b32_dpp v3, v1 row_bcast:31 row_mask:0xf bank_mask:0xf
	v_add_u32_e32 v4, v2, v4
	v_add_u32_e32 v5, v1, v3
	v_cndmask_b32_e32 v3, v2, v4, vcc
	v_cndmask_b32_e32 v2, v1, v5, vcc
	v_cmp_eq_u32_e32 vcc, v82, v0
	s_and_saveexec_b64 s[2:3], vcc
	s_cbranch_execz .LBB1277_122
; %bb.121:
	v_lshlrev_b32_e32 v1, 3, v81
	ds_write_b64 v1, v[2:3]
.LBB1277_122:
	s_or_b64 exec, exec, s[2:3]
	v_cmp_gt_u32_e32 vcc, 4, v0
	s_waitcnt lgkmcnt(0)
	s_barrier
	s_and_saveexec_b64 s[2:3], vcc
	s_cbranch_execz .LBB1277_124
; %bb.123:
	v_lshlrev_b32_e32 v1, 3, v0
	ds_read_b64 v[4:5], v1
	v_and_b32_e32 v6, 3, v80
	v_cmp_eq_u32_e32 vcc, 0, v6
	s_waitcnt lgkmcnt(0)
	v_mov_b32_dpp v7, v4 row_shr:1 row_mask:0xf bank_mask:0xf
	v_mov_b32_dpp v20, v5 row_shr:1 row_mask:0xf bank_mask:0xf
	v_add_u32_e32 v7, v7, v4
	v_add_u32_e32 v20, v20, v5
	v_cndmask_b32_e32 v5, v20, v5, vcc
	v_cndmask_b32_e32 v4, v7, v4, vcc
	v_cmp_lt_u32_e32 vcc, 1, v6
	v_mov_b32_dpp v20, v5 row_shr:2 row_mask:0xf bank_mask:0xf
	v_mov_b32_dpp v7, v4 row_shr:2 row_mask:0xf bank_mask:0xf
	v_cndmask_b32_e32 v6, 0, v7, vcc
	v_cndmask_b32_e32 v7, 0, v20, vcc
	v_add_u32_e32 v5, v7, v5
	v_add_u32_e32 v4, v6, v4
	ds_write_b64 v1, v[4:5]
.LBB1277_124:
	s_or_b64 exec, exec, s[2:3]
	v_cmp_lt_u32_e32 vcc, 63, v0
	v_mov_b32_e32 v4, 0
	v_mov_b32_e32 v6, 0
	;; [unrolled: 1-line block ×3, first 2 shown]
	s_waitcnt lgkmcnt(0)
	s_barrier
	s_and_saveexec_b64 s[2:3], vcc
	s_cbranch_execz .LBB1277_126
; %bb.125:
	v_lshl_add_u32 v1, v81, 3, -8
	ds_read_b64 v[6:7], v1
.LBB1277_126:
	s_or_b64 exec, exec, s[2:3]
	s_waitcnt lgkmcnt(0)
	v_add_u32_e32 v5, v7, v3
	v_add_u32_e32 v1, v6, v2
	v_add_u32_e32 v2, -1, v80
	v_and_b32_e32 v3, 64, v80
	v_cmp_lt_i32_e32 vcc, v2, v3
	v_cndmask_b32_e32 v2, v2, v80, vcc
	v_lshlrev_b32_e32 v20, 2, v2
	ds_read_b64 v[2:3], v4 offset:24
	ds_bpermute_b32 v1, v20, v1
	ds_bpermute_b32 v20, v20, v5
	v_cmp_eq_u32_e32 vcc, 0, v0
	s_waitcnt lgkmcnt(2)
	v_readfirstlane_b32 s4, v3
	s_and_saveexec_b64 s[2:3], vcc
	s_cbranch_execz .LBB1277_128
; %bb.127:
	s_add_u32 s6, s12, 0x400
	s_mov_b32 s8, 0
	s_addc_u32 s7, s13, 0
	s_and_b32 s9, s4, 0xff000000
	s_and_b32 s11, s4, 0xff0000
	s_mov_b32 s10, s8
	s_or_b64 s[10:11], s[10:11], s[8:9]
	s_and_b32 s9, s4, 0xff00
	s_or_b64 s[10:11], s[10:11], s[8:9]
	s_and_b32 s9, s4, 0xff
	s_or_b64 s[8:9], s[10:11], s[8:9]
	v_mov_b32_e32 v3, s9
	v_mov_b32_e32 v4, 2
	;; [unrolled: 1-line block ×3, first 2 shown]
	v_pk_mov_b32 v[22:23], s[6:7], s[6:7] op_sel:[0,1]
	;;#ASMSTART
	global_store_dwordx4 v[22:23], v[2:5] off	
s_waitcnt vmcnt(0)
	;;#ASMEND
.LBB1277_128:
	s_or_b64 exec, exec, s[2:3]
	v_cmp_eq_u32_e64 s[2:3], 0, v80
	s_waitcnt lgkmcnt(1)
	v_cndmask_b32_e64 v3, v1, v6, s[2:3]
	s_waitcnt lgkmcnt(0)
	v_cndmask_b32_e64 v1, v20, v7, s[2:3]
	v_mov_b32_e32 v4, 0
	v_cndmask_b32_e64 v1, v1, 0, vcc
	v_cndmask_b32_e64 v20, v3, 0, vcc
	s_barrier
	v_mov_b32_e32 v3, s4
	v_mov_b32_e32 v5, 0
.LBB1277_129:
	v_add_u32_e32 v24, v1, v63
	v_add_u32_e32 v25, v24, v74
	v_add_u32_e32 v21, v20, v62
	v_add_u32_e32 v28, v25, v65
	v_add_u32_e32 v26, v21, v56
	v_add_u32_e32 v29, v28, v75
	v_add_u32_e32 v27, v26, v64
	v_add_u32_e32 v62, v29, v67
	v_add_u32_e32 v56, v27, v57
	v_add_u32_e32 v63, v62, v76
	v_add_u32_e32 v57, v56, v66
	v_add_u32_e32 v65, v63, v69
	v_add_u32_e32 v58, v57, v58
	v_add_u32_e32 v66, v65, v77
	v_mov_b32_e32 v7, s49
	s_waitcnt lgkmcnt(0)
	v_add_co_u32_e32 v6, vcc, s48, v4
	v_add_u32_e32 v64, v58, v68
	v_add_u32_e32 v68, v66, v71
	v_addc_co_u32_e32 v7, vcc, 0, v7, vcc
	v_add_u32_e32 v69, v68, v78
	v_mov_b32_e32 v22, s51
	v_sub_co_u32_e32 v23, vcc, s50, v2
	v_add_u32_e32 v71, v69, v73
	v_subbrev_co_u32_e32 v73, vcc, 0, v22, vcc
	v_add_co_u32_e32 v22, vcc, v23, v5
	v_addc_co_u32_e32 v23, vcc, 0, v73, vcc
	v_lshlrev_b32_e32 v73, 1, v2
	v_sub_u32_e32 v1, v1, v5
	v_add_u32_e32 v74, v73, v3
	v_sub_u32_e32 v20, v20, v4
	v_add_u32_e32 v1, v1, v2
	v_add_u32_e32 v31, v74, v31
	v_and_b32_e32 v33, 1, v33
	v_add_u32_e32 v74, v20, v1
	v_and_b32_e32 v32, 1, v32
	v_sub_u32_e32 v74, v31, v74
	v_cmp_eq_u32_e32 vcc, 1, v33
	v_cndmask_b32_e32 v1, v74, v1, vcc
	v_cmp_eq_u32_e32 vcc, 1, v32
	v_cndmask_b32_e32 v1, v1, v20, vcc
	v_lshlrev_b32_e32 v1, 2, v1
	v_sub_u32_e32 v20, v24, v5
	ds_write_b32 v1, v18
	v_sub_u32_e32 v1, v21, v4
	v_add_u32_e32 v20, v20, v2
	v_add_u32_e32 v24, v20, v1
	v_and_b32_e32 v21, 1, v35
	v_sub_u32_e32 v24, v31, v24
	v_and_b32_e32 v18, 1, v34
	v_add_u32_e32 v24, 1, v24
	v_cmp_eq_u32_e32 vcc, 1, v21
	v_cndmask_b32_e32 v20, v24, v20, vcc
	v_cmp_eq_u32_e32 vcc, 1, v18
	v_cndmask_b32_e32 v1, v20, v1, vcc
	v_lshlrev_b32_e32 v1, 2, v1
	ds_write_b32 v1, v19
	v_sub_u32_e32 v19, v25, v5
	v_sub_u32_e32 v1, v26, v4
	v_add_u32_e32 v19, v19, v2
	v_add_u32_e32 v21, v19, v1
	v_and_b32_e32 v20, 1, v37
	v_sub_u32_e32 v21, v31, v21
	v_and_b32_e32 v18, 1, v36
	v_add_u32_e32 v21, 2, v21
	v_cmp_eq_u32_e32 vcc, 1, v20
	v_cndmask_b32_e32 v19, v21, v19, vcc
	v_cmp_eq_u32_e32 vcc, 1, v18
	v_cndmask_b32_e32 v1, v19, v1, vcc
	v_lshlrev_b32_e32 v1, 2, v1
	v_sub_u32_e32 v18, v28, v5
	ds_write_b32 v1, v16
	v_sub_u32_e32 v1, v27, v4
	v_add_u32_e32 v18, v18, v2
	v_add_u32_e32 v20, v1, v18
	v_and_b32_e32 v19, 1, v38
	v_sub_u32_e32 v20, v31, v20
	v_and_b32_e32 v16, 1, v39
	v_add_u32_e32 v20, 3, v20
	v_cmp_eq_u32_e32 vcc, 1, v19
	v_cndmask_b32_e32 v18, v20, v18, vcc
	v_cmp_eq_u32_e32 vcc, 1, v16
	v_cndmask_b32_e32 v1, v18, v1, vcc
	v_lshlrev_b32_e32 v1, 2, v1
	ds_write_b32 v1, v17
	v_sub_u32_e32 v17, v29, v5
	v_sub_u32_e32 v1, v56, v4
	v_add_u32_e32 v17, v17, v2
	v_add_u32_e32 v19, v1, v17
	v_and_b32_e32 v18, 1, v40
	v_sub_u32_e32 v19, v31, v19
	v_and_b32_e32 v16, 1, v41
	v_add_u32_e32 v19, 4, v19
	;; [unrolled: 28-line block ×3, first 2 shown]
	v_cmp_eq_u32_e32 vcc, 1, v16
	v_cndmask_b32_e32 v15, v17, v15, vcc
	v_cmp_eq_u32_e32 vcc, 1, v14
	v_cndmask_b32_e32 v1, v15, v1, vcc
	v_lshlrev_b32_e32 v1, 2, v1
	v_sub_u32_e32 v14, v65, v5
	ds_write_b32 v1, v12
	v_sub_u32_e32 v1, v64, v4
	v_add_u32_e32 v14, v14, v2
	v_add_u32_e32 v16, v1, v14
	v_and_b32_e32 v15, 1, v46
	v_sub_u32_e32 v16, v31, v16
	v_and_b32_e32 v12, 1, v47
	v_add_u32_e32 v16, 7, v16
	v_cmp_eq_u32_e32 vcc, 1, v15
	v_cndmask_b32_e32 v14, v16, v14, vcc
	v_cmp_eq_u32_e32 vcc, 1, v12
	v_cndmask_b32_e32 v1, v14, v1, vcc
	v_lshlrev_b32_e32 v1, 2, v1
	v_add_u32_e32 v59, v64, v59
	ds_write_b32 v1, v13
	v_sub_u32_e32 v13, v66, v5
	v_sub_u32_e32 v1, v59, v4
	v_add_u32_e32 v13, v13, v2
	v_add_u32_e32 v15, v1, v13
	v_and_b32_e32 v14, 1, v48
	v_sub_u32_e32 v15, v31, v15
	v_and_b32_e32 v12, 1, v49
	v_add_u32_e32 v15, 8, v15
	v_cmp_eq_u32_e32 vcc, 1, v14
	v_cndmask_b32_e32 v13, v15, v13, vcc
	v_cmp_eq_u32_e32 vcc, 1, v12
	v_cndmask_b32_e32 v1, v13, v1, vcc
	v_add_u32_e32 v67, v59, v70
	v_lshlrev_b32_e32 v1, 2, v1
	v_sub_u32_e32 v12, v68, v5
	ds_write_b32 v1, v10
	v_sub_u32_e32 v1, v67, v4
	v_add_u32_e32 v12, v12, v2
	v_add_u32_e32 v14, v1, v12
	v_and_b32_e32 v13, 1, v50
	v_sub_u32_e32 v14, v31, v14
	v_and_b32_e32 v10, 1, v51
	v_add_u32_e32 v14, 9, v14
	v_cmp_eq_u32_e32 vcc, 1, v13
	v_cndmask_b32_e32 v12, v14, v12, vcc
	v_cmp_eq_u32_e32 vcc, 1, v10
	v_cndmask_b32_e32 v1, v12, v1, vcc
	v_lshlrev_b32_e32 v1, 2, v1
	v_add_u32_e32 v60, v67, v60
	ds_write_b32 v1, v11
	v_sub_u32_e32 v11, v69, v5
	v_sub_u32_e32 v1, v60, v4
	v_add_u32_e32 v11, v11, v2
	v_add_u32_e32 v13, v1, v11
	v_and_b32_e32 v12, 1, v52
	v_sub_u32_e32 v13, v31, v13
	v_and_b32_e32 v10, 1, v53
	v_add_u32_e32 v13, 10, v13
	v_cmp_eq_u32_e32 vcc, 1, v12
	v_cndmask_b32_e32 v11, v13, v11, vcc
	v_cmp_eq_u32_e32 vcc, 1, v10
	v_cndmask_b32_e32 v1, v11, v1, vcc
	v_add_u32_e32 v70, v60, v72
	v_lshlrev_b32_e32 v1, 2, v1
	v_sub_u32_e32 v10, v71, v5
	ds_write_b32 v1, v8
	v_sub_u32_e32 v1, v70, v4
	v_add_u32_e32 v10, v10, v2
	v_add_u32_e32 v12, v1, v10
	v_and_b32_e32 v11, 1, v54
	v_sub_u32_e32 v12, v31, v12
	v_and_b32_e32 v8, 1, v55
	v_add_u32_e32 v12, 11, v12
	v_cmp_eq_u32_e32 vcc, 1, v11
	v_cndmask_b32_e32 v10, v12, v10, vcc
	v_cmp_eq_u32_e32 vcc, 1, v8
	v_cndmask_b32_e32 v1, v10, v1, vcc
	v_add_u32_e32 v72, v71, v79
	v_add_u32_e32 v61, v70, v61
	v_lshlrev_b32_e32 v1, 2, v1
	ds_write_b32 v1, v9
	v_sub_u32_e32 v1, v61, v4
	v_sub_u32_e32 v4, v72, v5
	v_add_u32_e32 v4, v4, v2
	v_add_u32_e32 v8, v1, v4
	v_sub_u32_e32 v8, v31, v8
	v_add_u32_e32 v8, 12, v8
	v_cndmask_b32_e64 v4, v8, v4, s[58:59]
	v_cndmask_b32_e64 v1, v4, v1, s[46:47]
	v_lshlrev_b32_e32 v1, 2, v1
	ds_write_b32 v1, v30
	v_add_co_u32_e32 v1, vcc, v3, v73
	v_addc_co_u32_e64 v4, s[2:3], 0, 0, vcc
	v_add_co_u32_e32 v1, vcc, v1, v22
	v_addc_co_u32_e32 v4, vcc, v4, v23, vcc
	s_add_u32 s4, s56, s33
	v_add_co_u32_e32 v1, vcc, v1, v6
	s_addc_u32 s5, s57, 0
	v_addc_co_u32_e32 v4, vcc, v4, v7, vcc
	v_mov_b32_e32 v8, s5
	v_sub_co_u32_e32 v1, vcc, s4, v1
	v_subb_co_u32_e32 v4, vcc, v8, v4, vcc
	v_lshlrev_b64 v[8:9], 2, v[22:23]
	v_mov_b32_e32 v10, s55
	v_add_co_u32_e32 v8, vcc, s54, v8
	v_addc_co_u32_e32 v9, vcc, v10, v9, vcc
	v_lshlrev_b64 v[10:11], 2, v[6:7]
	v_mov_b32_e32 v13, s53
	v_add_co_u32_e32 v10, vcc, s52, v10
	s_add_u32 s6, s34, -4
	v_addc_co_u32_e32 v11, vcc, v13, v11, vcc
	s_addc_u32 s7, s35, -1
	v_add_u32_e32 v12, v2, v3
	s_and_b64 vcc, exec, s[0:1]
	s_mov_b64 s[0:1], -1
	s_waitcnt lgkmcnt(0)
	s_barrier
	s_cbranch_vccz .LBB1277_133
; %bb.130:
	s_and_b64 vcc, exec, s[0:1]
	s_cbranch_vccnz .LBB1277_238
.LBB1277_131:
	v_cmp_eq_u32_e32 vcc, 0, v0
	s_and_b64 s[0:1], vcc, s[30:31]
	s_and_saveexec_b64 s[2:3], s[0:1]
	s_cbranch_execnz .LBB1277_356
.LBB1277_132:
	s_endpgm
.LBB1277_133:
	v_cmp_le_u32_e32 vcc, v2, v0
	s_and_saveexec_b64 s[0:1], vcc
	s_xor_b64 s[0:1], exec, s[0:1]
	s_cbranch_execz .LBB1277_139
; %bb.134:
	v_cmp_le_u32_e32 vcc, v12, v0
	s_and_saveexec_b64 s[2:3], vcc
	s_xor_b64 s[2:3], exec, s[2:3]
	s_cbranch_execz .LBB1277_136
; %bb.135:
	v_lshlrev_b32_e32 v13, 2, v0
	v_add_co_u32_e32 v14, vcc, v1, v0
	ds_read_b32 v13, v13
	v_addc_co_u32_e32 v15, vcc, 0, v4, vcc
	v_lshlrev_b64 v[14:15], 2, v[14:15]
	v_mov_b32_e32 v16, s35
	v_sub_co_u32_e32 v14, vcc, s34, v14
	v_subb_co_u32_e32 v15, vcc, v16, v15, vcc
	s_waitcnt lgkmcnt(0)
	global_store_dword v[14:15], v13, off offset:-4
.LBB1277_136:
	s_andn2_saveexec_b64 s[2:3], s[2:3]
	s_cbranch_execz .LBB1277_138
; %bb.137:
	v_lshlrev_b32_e32 v13, 2, v0
	ds_read_b32 v14, v13
	v_readfirstlane_b32 s4, v8
	v_readfirstlane_b32 s5, v9
	s_waitcnt lgkmcnt(0)
	s_nop 3
	global_store_dword v13, v14, s[4:5]
.LBB1277_138:
	s_or_b64 exec, exec, s[2:3]
.LBB1277_139:
	s_andn2_saveexec_b64 s[0:1], s[0:1]
	s_cbranch_execz .LBB1277_141
; %bb.140:
	v_lshlrev_b32_e32 v13, 2, v0
	ds_read_b32 v14, v13
	v_readfirstlane_b32 s2, v10
	v_readfirstlane_b32 s3, v11
	s_waitcnt lgkmcnt(0)
	s_nop 3
	global_store_dword v13, v14, s[2:3]
.LBB1277_141:
	s_or_b64 exec, exec, s[0:1]
	v_or_b32_e32 v13, 0x100, v0
	v_cmp_le_u32_e32 vcc, v2, v13
	s_and_saveexec_b64 s[0:1], vcc
	s_xor_b64 s[0:1], exec, s[0:1]
	s_cbranch_execz .LBB1277_147
; %bb.142:
	v_cmp_le_u32_e32 vcc, v12, v13
	s_and_saveexec_b64 s[2:3], vcc
	s_xor_b64 s[2:3], exec, s[2:3]
	s_cbranch_execz .LBB1277_144
; %bb.143:
	v_lshlrev_b32_e32 v13, 2, v0
	ds_read_b32 v13, v13 offset:1024
	v_add_co_u32_e32 v14, vcc, v1, v0
	v_addc_co_u32_e32 v15, vcc, 0, v4, vcc
	v_lshlrev_b64 v[14:15], 2, v[14:15]
	v_mov_b32_e32 v16, s7
	v_sub_co_u32_e32 v14, vcc, s6, v14
	v_subb_co_u32_e32 v15, vcc, v16, v15, vcc
	s_waitcnt lgkmcnt(0)
	global_store_dword v[14:15], v13, off offset:-1024
.LBB1277_144:
	s_andn2_saveexec_b64 s[2:3], s[2:3]
	s_cbranch_execz .LBB1277_146
; %bb.145:
	v_lshlrev_b32_e32 v13, 2, v0
	ds_read_b32 v14, v13 offset:1024
	v_readfirstlane_b32 s4, v8
	v_readfirstlane_b32 s5, v9
	s_waitcnt lgkmcnt(0)
	s_nop 3
	global_store_dword v13, v14, s[4:5] offset:1024
.LBB1277_146:
	s_or_b64 exec, exec, s[2:3]
.LBB1277_147:
	s_andn2_saveexec_b64 s[0:1], s[0:1]
	s_cbranch_execz .LBB1277_149
; %bb.148:
	v_lshlrev_b32_e32 v13, 2, v0
	ds_read_b32 v14, v13 offset:1024
	v_readfirstlane_b32 s2, v10
	v_readfirstlane_b32 s3, v11
	s_waitcnt lgkmcnt(0)
	s_nop 3
	global_store_dword v13, v14, s[2:3] offset:1024
.LBB1277_149:
	s_or_b64 exec, exec, s[0:1]
	v_or_b32_e32 v13, 0x200, v0
	v_cmp_le_u32_e32 vcc, v2, v13
	s_and_saveexec_b64 s[0:1], vcc
	s_xor_b64 s[0:1], exec, s[0:1]
	s_cbranch_execz .LBB1277_155
; %bb.150:
	v_cmp_le_u32_e32 vcc, v12, v13
	s_and_saveexec_b64 s[2:3], vcc
	s_xor_b64 s[2:3], exec, s[2:3]
	s_cbranch_execz .LBB1277_152
; %bb.151:
	v_lshlrev_b32_e32 v13, 2, v0
	ds_read_b32 v13, v13 offset:2048
	v_add_co_u32_e32 v14, vcc, v1, v0
	v_addc_co_u32_e32 v15, vcc, 0, v4, vcc
	v_lshlrev_b64 v[14:15], 2, v[14:15]
	v_mov_b32_e32 v16, s7
	v_sub_co_u32_e32 v14, vcc, s6, v14
	v_subb_co_u32_e32 v15, vcc, v16, v15, vcc
	s_waitcnt lgkmcnt(0)
	global_store_dword v[14:15], v13, off offset:-2048
.LBB1277_152:
	s_andn2_saveexec_b64 s[2:3], s[2:3]
	s_cbranch_execz .LBB1277_154
; %bb.153:
	v_lshlrev_b32_e32 v13, 2, v0
	ds_read_b32 v14, v13 offset:2048
	v_readfirstlane_b32 s4, v8
	v_readfirstlane_b32 s5, v9
	s_waitcnt lgkmcnt(0)
	s_nop 3
	global_store_dword v13, v14, s[4:5] offset:2048
.LBB1277_154:
	s_or_b64 exec, exec, s[2:3]
.LBB1277_155:
	s_andn2_saveexec_b64 s[0:1], s[0:1]
	s_cbranch_execz .LBB1277_157
; %bb.156:
	v_lshlrev_b32_e32 v13, 2, v0
	ds_read_b32 v14, v13 offset:2048
	v_readfirstlane_b32 s2, v10
	v_readfirstlane_b32 s3, v11
	s_waitcnt lgkmcnt(0)
	s_nop 3
	global_store_dword v13, v14, s[2:3] offset:2048
.LBB1277_157:
	;; [unrolled: 47-line block ×3, first 2 shown]
	s_or_b64 exec, exec, s[0:1]
	v_or_b32_e32 v13, 0x400, v0
	v_cmp_le_u32_e32 vcc, v2, v13
	s_and_saveexec_b64 s[0:1], vcc
	s_xor_b64 s[0:1], exec, s[0:1]
	s_cbranch_execz .LBB1277_171
; %bb.166:
	v_cmp_le_u32_e32 vcc, v12, v13
	s_and_saveexec_b64 s[2:3], vcc
	s_xor_b64 s[2:3], exec, s[2:3]
	s_cbranch_execz .LBB1277_168
; %bb.167:
	v_lshlrev_b32_e32 v13, 2, v0
	ds_read_b32 v13, v13 offset:4096
	v_add_co_u32_e32 v14, vcc, v1, v0
	v_addc_co_u32_e32 v15, vcc, 0, v4, vcc
	v_lshlrev_b64 v[14:15], 2, v[14:15]
	v_mov_b32_e32 v16, s7
	v_sub_co_u32_e32 v14, vcc, s6, v14
	v_subb_co_u32_e32 v15, vcc, v16, v15, vcc
	s_waitcnt lgkmcnt(0)
	global_store_dword v[14:15], v13, off offset:-4096
                                        ; implicit-def: $vgpr13
.LBB1277_168:
	s_andn2_saveexec_b64 s[2:3], s[2:3]
	s_cbranch_execz .LBB1277_170
; %bb.169:
	v_lshlrev_b32_e32 v14, 2, v0
	ds_read_b32 v14, v14 offset:4096
	v_lshlrev_b32_e32 v13, 2, v13
	v_readfirstlane_b32 s4, v8
	v_readfirstlane_b32 s5, v9
	s_waitcnt lgkmcnt(0)
	s_nop 3
	global_store_dword v13, v14, s[4:5]
.LBB1277_170:
	s_or_b64 exec, exec, s[2:3]
                                        ; implicit-def: $vgpr13
.LBB1277_171:
	s_andn2_saveexec_b64 s[0:1], s[0:1]
	s_cbranch_execz .LBB1277_173
; %bb.172:
	v_lshlrev_b32_e32 v14, 2, v0
	ds_read_b32 v14, v14 offset:4096
	v_lshlrev_b32_e32 v13, 2, v13
	v_readfirstlane_b32 s2, v10
	v_readfirstlane_b32 s3, v11
	s_waitcnt lgkmcnt(0)
	s_nop 3
	global_store_dword v13, v14, s[2:3]
.LBB1277_173:
	s_or_b64 exec, exec, s[0:1]
	v_or_b32_e32 v13, 0x500, v0
	v_cmp_le_u32_e32 vcc, v2, v13
	s_and_saveexec_b64 s[0:1], vcc
	s_xor_b64 s[0:1], exec, s[0:1]
	s_cbranch_execz .LBB1277_179
; %bb.174:
	v_cmp_le_u32_e32 vcc, v12, v13
	s_and_saveexec_b64 s[2:3], vcc
	s_xor_b64 s[2:3], exec, s[2:3]
	s_cbranch_execz .LBB1277_176
; %bb.175:
	v_add_co_u32_e32 v14, vcc, v1, v13
	v_lshlrev_b32_e32 v13, 2, v0
	ds_read_b32 v13, v13 offset:5120
	v_addc_co_u32_e32 v15, vcc, 0, v4, vcc
	v_lshlrev_b64 v[14:15], 2, v[14:15]
	v_mov_b32_e32 v16, s7
	v_sub_co_u32_e32 v14, vcc, s6, v14
	v_subb_co_u32_e32 v15, vcc, v16, v15, vcc
	s_waitcnt lgkmcnt(0)
	global_store_dword v[14:15], v13, off
                                        ; implicit-def: $vgpr13
.LBB1277_176:
	s_andn2_saveexec_b64 s[2:3], s[2:3]
	s_cbranch_execz .LBB1277_178
; %bb.177:
	v_lshlrev_b32_e32 v14, 2, v0
	ds_read_b32 v14, v14 offset:5120
	v_lshlrev_b32_e32 v13, 2, v13
	v_readfirstlane_b32 s4, v8
	v_readfirstlane_b32 s5, v9
	s_waitcnt lgkmcnt(0)
	s_nop 3
	global_store_dword v13, v14, s[4:5]
.LBB1277_178:
	s_or_b64 exec, exec, s[2:3]
                                        ; implicit-def: $vgpr13
.LBB1277_179:
	s_andn2_saveexec_b64 s[0:1], s[0:1]
	s_cbranch_execz .LBB1277_181
; %bb.180:
	v_lshlrev_b32_e32 v14, 2, v0
	ds_read_b32 v14, v14 offset:5120
	v_lshlrev_b32_e32 v13, 2, v13
	v_readfirstlane_b32 s2, v10
	v_readfirstlane_b32 s3, v11
	s_waitcnt lgkmcnt(0)
	s_nop 3
	global_store_dword v13, v14, s[2:3]
.LBB1277_181:
	s_or_b64 exec, exec, s[0:1]
	v_or_b32_e32 v13, 0x600, v0
	v_cmp_le_u32_e32 vcc, v2, v13
	s_and_saveexec_b64 s[0:1], vcc
	s_xor_b64 s[0:1], exec, s[0:1]
	s_cbranch_execz .LBB1277_187
; %bb.182:
	v_cmp_le_u32_e32 vcc, v12, v13
	s_and_saveexec_b64 s[2:3], vcc
	s_xor_b64 s[2:3], exec, s[2:3]
	s_cbranch_execz .LBB1277_184
; %bb.183:
	v_add_co_u32_e32 v14, vcc, v1, v13
	v_lshlrev_b32_e32 v13, 2, v0
	ds_read_b32 v13, v13 offset:6144
	v_addc_co_u32_e32 v15, vcc, 0, v4, vcc
	v_lshlrev_b64 v[14:15], 2, v[14:15]
	v_mov_b32_e32 v16, s7
	v_sub_co_u32_e32 v14, vcc, s6, v14
	v_subb_co_u32_e32 v15, vcc, v16, v15, vcc
	s_waitcnt lgkmcnt(0)
	global_store_dword v[14:15], v13, off
                                        ; implicit-def: $vgpr13
.LBB1277_184:
	s_andn2_saveexec_b64 s[2:3], s[2:3]
	s_cbranch_execz .LBB1277_186
; %bb.185:
	v_lshlrev_b32_e32 v14, 2, v0
	ds_read_b32 v14, v14 offset:6144
	v_lshlrev_b32_e32 v13, 2, v13
	v_readfirstlane_b32 s4, v8
	v_readfirstlane_b32 s5, v9
	s_waitcnt lgkmcnt(0)
	s_nop 3
	global_store_dword v13, v14, s[4:5]
.LBB1277_186:
	s_or_b64 exec, exec, s[2:3]
                                        ; implicit-def: $vgpr13
.LBB1277_187:
	;; [unrolled: 51-line block ×8, first 2 shown]
	s_andn2_saveexec_b64 s[0:1], s[0:1]
	s_cbranch_execz .LBB1277_237
; %bb.236:
	v_lshlrev_b32_e32 v14, 2, v0
	ds_read_b32 v14, v14 offset:12288
	v_lshlrev_b32_e32 v13, 2, v13
	v_readfirstlane_b32 s2, v10
	v_readfirstlane_b32 s3, v11
	s_waitcnt lgkmcnt(0)
	s_nop 3
	global_store_dword v13, v14, s[2:3]
.LBB1277_237:
	s_or_b64 exec, exec, s[0:1]
	s_branch .LBB1277_131
.LBB1277_238:
	v_cmp_gt_u32_e32 vcc, s18, v0
	s_and_saveexec_b64 s[0:1], vcc
	s_cbranch_execz .LBB1277_247
; %bb.239:
	v_cmp_le_u32_e32 vcc, v2, v0
	s_and_saveexec_b64 s[2:3], vcc
	s_xor_b64 s[2:3], exec, s[2:3]
	s_cbranch_execz .LBB1277_245
; %bb.240:
	v_cmp_le_u32_e32 vcc, v12, v0
	s_and_saveexec_b64 s[4:5], vcc
	s_xor_b64 s[4:5], exec, s[4:5]
	s_cbranch_execz .LBB1277_242
; %bb.241:
	v_lshlrev_b32_e32 v13, 2, v0
	v_add_co_u32_e32 v14, vcc, v1, v0
	ds_read_b32 v13, v13
	v_addc_co_u32_e32 v15, vcc, 0, v4, vcc
	v_lshlrev_b64 v[14:15], 2, v[14:15]
	v_mov_b32_e32 v16, s35
	v_sub_co_u32_e32 v14, vcc, s34, v14
	v_subb_co_u32_e32 v15, vcc, v16, v15, vcc
	s_waitcnt lgkmcnt(0)
	global_store_dword v[14:15], v13, off offset:-4
.LBB1277_242:
	s_andn2_saveexec_b64 s[4:5], s[4:5]
	s_cbranch_execz .LBB1277_244
; %bb.243:
	v_lshlrev_b32_e32 v13, 2, v0
	ds_read_b32 v14, v13
	v_readfirstlane_b32 s8, v8
	v_readfirstlane_b32 s9, v9
	s_waitcnt lgkmcnt(0)
	s_nop 3
	global_store_dword v13, v14, s[8:9]
.LBB1277_244:
	s_or_b64 exec, exec, s[4:5]
.LBB1277_245:
	s_andn2_saveexec_b64 s[2:3], s[2:3]
	s_cbranch_execz .LBB1277_247
; %bb.246:
	v_lshlrev_b32_e32 v13, 2, v0
	ds_read_b32 v14, v13
	v_readfirstlane_b32 s2, v10
	v_readfirstlane_b32 s3, v11
	s_waitcnt lgkmcnt(0)
	s_nop 3
	global_store_dword v13, v14, s[2:3]
.LBB1277_247:
	s_or_b64 exec, exec, s[0:1]
	v_or_b32_e32 v13, 0x100, v0
	v_cmp_gt_u32_e32 vcc, s18, v13
	s_and_saveexec_b64 s[0:1], vcc
	s_cbranch_execz .LBB1277_256
; %bb.248:
	v_cmp_le_u32_e32 vcc, v2, v13
	s_and_saveexec_b64 s[2:3], vcc
	s_xor_b64 s[2:3], exec, s[2:3]
	s_cbranch_execz .LBB1277_254
; %bb.249:
	v_cmp_le_u32_e32 vcc, v12, v13
	s_and_saveexec_b64 s[4:5], vcc
	s_xor_b64 s[4:5], exec, s[4:5]
	s_cbranch_execz .LBB1277_251
; %bb.250:
	v_lshlrev_b32_e32 v13, 2, v0
	ds_read_b32 v13, v13 offset:1024
	v_add_co_u32_e32 v14, vcc, v1, v0
	v_addc_co_u32_e32 v15, vcc, 0, v4, vcc
	v_lshlrev_b64 v[14:15], 2, v[14:15]
	v_mov_b32_e32 v16, s7
	v_sub_co_u32_e32 v14, vcc, s6, v14
	v_subb_co_u32_e32 v15, vcc, v16, v15, vcc
	s_waitcnt lgkmcnt(0)
	global_store_dword v[14:15], v13, off offset:-1024
.LBB1277_251:
	s_andn2_saveexec_b64 s[4:5], s[4:5]
	s_cbranch_execz .LBB1277_253
; %bb.252:
	v_lshlrev_b32_e32 v13, 2, v0
	ds_read_b32 v14, v13 offset:1024
	v_readfirstlane_b32 s8, v8
	v_readfirstlane_b32 s9, v9
	s_waitcnt lgkmcnt(0)
	s_nop 3
	global_store_dword v13, v14, s[8:9] offset:1024
.LBB1277_253:
	s_or_b64 exec, exec, s[4:5]
.LBB1277_254:
	s_andn2_saveexec_b64 s[2:3], s[2:3]
	s_cbranch_execz .LBB1277_256
; %bb.255:
	v_lshlrev_b32_e32 v13, 2, v0
	ds_read_b32 v14, v13 offset:1024
	v_readfirstlane_b32 s2, v10
	v_readfirstlane_b32 s3, v11
	s_waitcnt lgkmcnt(0)
	s_nop 3
	global_store_dword v13, v14, s[2:3] offset:1024
.LBB1277_256:
	s_or_b64 exec, exec, s[0:1]
	v_or_b32_e32 v13, 0x200, v0
	v_cmp_gt_u32_e32 vcc, s18, v13
	s_and_saveexec_b64 s[0:1], vcc
	s_cbranch_execz .LBB1277_265
; %bb.257:
	v_cmp_le_u32_e32 vcc, v2, v13
	s_and_saveexec_b64 s[2:3], vcc
	s_xor_b64 s[2:3], exec, s[2:3]
	s_cbranch_execz .LBB1277_263
; %bb.258:
	v_cmp_le_u32_e32 vcc, v12, v13
	s_and_saveexec_b64 s[4:5], vcc
	s_xor_b64 s[4:5], exec, s[4:5]
	s_cbranch_execz .LBB1277_260
; %bb.259:
	v_lshlrev_b32_e32 v13, 2, v0
	ds_read_b32 v13, v13 offset:2048
	v_add_co_u32_e32 v14, vcc, v1, v0
	v_addc_co_u32_e32 v15, vcc, 0, v4, vcc
	v_lshlrev_b64 v[14:15], 2, v[14:15]
	v_mov_b32_e32 v16, s7
	v_sub_co_u32_e32 v14, vcc, s6, v14
	v_subb_co_u32_e32 v15, vcc, v16, v15, vcc
	s_waitcnt lgkmcnt(0)
	global_store_dword v[14:15], v13, off offset:-2048
.LBB1277_260:
	s_andn2_saveexec_b64 s[4:5], s[4:5]
	s_cbranch_execz .LBB1277_262
; %bb.261:
	v_lshlrev_b32_e32 v13, 2, v0
	ds_read_b32 v14, v13 offset:2048
	v_readfirstlane_b32 s8, v8
	v_readfirstlane_b32 s9, v9
	s_waitcnt lgkmcnt(0)
	s_nop 3
	global_store_dword v13, v14, s[8:9] offset:2048
.LBB1277_262:
	s_or_b64 exec, exec, s[4:5]
.LBB1277_263:
	s_andn2_saveexec_b64 s[2:3], s[2:3]
	s_cbranch_execz .LBB1277_265
; %bb.264:
	v_lshlrev_b32_e32 v13, 2, v0
	ds_read_b32 v14, v13 offset:2048
	v_readfirstlane_b32 s2, v10
	v_readfirstlane_b32 s3, v11
	s_waitcnt lgkmcnt(0)
	s_nop 3
	global_store_dword v13, v14, s[2:3] offset:2048
.LBB1277_265:
	;; [unrolled: 51-line block ×3, first 2 shown]
	s_or_b64 exec, exec, s[0:1]
	v_or_b32_e32 v13, 0x400, v0
	v_cmp_gt_u32_e32 vcc, s18, v13
	s_and_saveexec_b64 s[0:1], vcc
	s_cbranch_execz .LBB1277_283
; %bb.275:
	v_cmp_le_u32_e32 vcc, v2, v13
	s_and_saveexec_b64 s[2:3], vcc
	s_xor_b64 s[2:3], exec, s[2:3]
	s_cbranch_execz .LBB1277_281
; %bb.276:
	v_cmp_le_u32_e32 vcc, v12, v13
	s_and_saveexec_b64 s[4:5], vcc
	s_xor_b64 s[4:5], exec, s[4:5]
	s_cbranch_execz .LBB1277_278
; %bb.277:
	v_lshlrev_b32_e32 v13, 2, v0
	ds_read_b32 v13, v13 offset:4096
	v_add_co_u32_e32 v14, vcc, v1, v0
	v_addc_co_u32_e32 v15, vcc, 0, v4, vcc
	v_lshlrev_b64 v[14:15], 2, v[14:15]
	v_mov_b32_e32 v16, s7
	v_sub_co_u32_e32 v14, vcc, s6, v14
	v_subb_co_u32_e32 v15, vcc, v16, v15, vcc
	s_waitcnt lgkmcnt(0)
	global_store_dword v[14:15], v13, off offset:-4096
                                        ; implicit-def: $vgpr13
.LBB1277_278:
	s_andn2_saveexec_b64 s[4:5], s[4:5]
	s_cbranch_execz .LBB1277_280
; %bb.279:
	v_lshlrev_b32_e32 v14, 2, v0
	ds_read_b32 v14, v14 offset:4096
	v_lshlrev_b32_e32 v13, 2, v13
	v_readfirstlane_b32 s8, v8
	v_readfirstlane_b32 s9, v9
	s_waitcnt lgkmcnt(0)
	s_nop 3
	global_store_dword v13, v14, s[8:9]
.LBB1277_280:
	s_or_b64 exec, exec, s[4:5]
                                        ; implicit-def: $vgpr13
.LBB1277_281:
	s_andn2_saveexec_b64 s[2:3], s[2:3]
	s_cbranch_execz .LBB1277_283
; %bb.282:
	v_lshlrev_b32_e32 v14, 2, v0
	ds_read_b32 v14, v14 offset:4096
	v_lshlrev_b32_e32 v13, 2, v13
	v_readfirstlane_b32 s2, v10
	v_readfirstlane_b32 s3, v11
	s_waitcnt lgkmcnt(0)
	s_nop 3
	global_store_dword v13, v14, s[2:3]
.LBB1277_283:
	s_or_b64 exec, exec, s[0:1]
	v_or_b32_e32 v13, 0x500, v0
	v_cmp_gt_u32_e32 vcc, s18, v13
	s_and_saveexec_b64 s[0:1], vcc
	s_cbranch_execz .LBB1277_292
; %bb.284:
	v_cmp_le_u32_e32 vcc, v2, v13
	s_and_saveexec_b64 s[2:3], vcc
	s_xor_b64 s[2:3], exec, s[2:3]
	s_cbranch_execz .LBB1277_290
; %bb.285:
	v_cmp_le_u32_e32 vcc, v12, v13
	s_and_saveexec_b64 s[4:5], vcc
	s_xor_b64 s[4:5], exec, s[4:5]
	s_cbranch_execz .LBB1277_287
; %bb.286:
	v_add_co_u32_e32 v14, vcc, v1, v13
	v_lshlrev_b32_e32 v13, 2, v0
	ds_read_b32 v13, v13 offset:5120
	v_addc_co_u32_e32 v15, vcc, 0, v4, vcc
	v_lshlrev_b64 v[14:15], 2, v[14:15]
	v_mov_b32_e32 v16, s7
	v_sub_co_u32_e32 v14, vcc, s6, v14
	v_subb_co_u32_e32 v15, vcc, v16, v15, vcc
	s_waitcnt lgkmcnt(0)
	global_store_dword v[14:15], v13, off
                                        ; implicit-def: $vgpr13
.LBB1277_287:
	s_andn2_saveexec_b64 s[4:5], s[4:5]
	s_cbranch_execz .LBB1277_289
; %bb.288:
	v_lshlrev_b32_e32 v14, 2, v0
	ds_read_b32 v14, v14 offset:5120
	v_lshlrev_b32_e32 v13, 2, v13
	v_readfirstlane_b32 s8, v8
	v_readfirstlane_b32 s9, v9
	s_waitcnt lgkmcnt(0)
	s_nop 3
	global_store_dword v13, v14, s[8:9]
.LBB1277_289:
	s_or_b64 exec, exec, s[4:5]
                                        ; implicit-def: $vgpr13
.LBB1277_290:
	s_andn2_saveexec_b64 s[2:3], s[2:3]
	s_cbranch_execz .LBB1277_292
; %bb.291:
	v_lshlrev_b32_e32 v14, 2, v0
	ds_read_b32 v14, v14 offset:5120
	v_lshlrev_b32_e32 v13, 2, v13
	v_readfirstlane_b32 s2, v10
	v_readfirstlane_b32 s3, v11
	s_waitcnt lgkmcnt(0)
	s_nop 3
	global_store_dword v13, v14, s[2:3]
.LBB1277_292:
	s_or_b64 exec, exec, s[0:1]
	v_or_b32_e32 v13, 0x600, v0
	v_cmp_gt_u32_e32 vcc, s18, v13
	s_and_saveexec_b64 s[0:1], vcc
	s_cbranch_execz .LBB1277_301
; %bb.293:
	v_cmp_le_u32_e32 vcc, v2, v13
	s_and_saveexec_b64 s[2:3], vcc
	s_xor_b64 s[2:3], exec, s[2:3]
	s_cbranch_execz .LBB1277_299
; %bb.294:
	v_cmp_le_u32_e32 vcc, v12, v13
	s_and_saveexec_b64 s[4:5], vcc
	s_xor_b64 s[4:5], exec, s[4:5]
	s_cbranch_execz .LBB1277_296
; %bb.295:
	v_add_co_u32_e32 v14, vcc, v1, v13
	v_lshlrev_b32_e32 v13, 2, v0
	ds_read_b32 v13, v13 offset:6144
	v_addc_co_u32_e32 v15, vcc, 0, v4, vcc
	v_lshlrev_b64 v[14:15], 2, v[14:15]
	v_mov_b32_e32 v16, s7
	v_sub_co_u32_e32 v14, vcc, s6, v14
	v_subb_co_u32_e32 v15, vcc, v16, v15, vcc
	s_waitcnt lgkmcnt(0)
	global_store_dword v[14:15], v13, off
                                        ; implicit-def: $vgpr13
.LBB1277_296:
	s_andn2_saveexec_b64 s[4:5], s[4:5]
	s_cbranch_execz .LBB1277_298
; %bb.297:
	v_lshlrev_b32_e32 v14, 2, v0
	ds_read_b32 v14, v14 offset:6144
	v_lshlrev_b32_e32 v13, 2, v13
	v_readfirstlane_b32 s8, v8
	v_readfirstlane_b32 s9, v9
	s_waitcnt lgkmcnt(0)
	s_nop 3
	global_store_dword v13, v14, s[8:9]
.LBB1277_298:
	s_or_b64 exec, exec, s[4:5]
                                        ; implicit-def: $vgpr13
.LBB1277_299:
	s_andn2_saveexec_b64 s[2:3], s[2:3]
	s_cbranch_execz .LBB1277_301
; %bb.300:
	v_lshlrev_b32_e32 v14, 2, v0
	ds_read_b32 v14, v14 offset:6144
	v_lshlrev_b32_e32 v13, 2, v13
	v_readfirstlane_b32 s2, v10
	v_readfirstlane_b32 s3, v11
	s_waitcnt lgkmcnt(0)
	s_nop 3
	global_store_dword v13, v14, s[2:3]
.LBB1277_301:
	s_or_b64 exec, exec, s[0:1]
	v_or_b32_e32 v13, 0x700, v0
	v_cmp_gt_u32_e32 vcc, s18, v13
	s_and_saveexec_b64 s[0:1], vcc
	s_cbranch_execz .LBB1277_310
; %bb.302:
	v_cmp_le_u32_e32 vcc, v2, v13
	s_and_saveexec_b64 s[2:3], vcc
	s_xor_b64 s[2:3], exec, s[2:3]
	s_cbranch_execz .LBB1277_308
; %bb.303:
	v_cmp_le_u32_e32 vcc, v12, v13
	s_and_saveexec_b64 s[4:5], vcc
	s_xor_b64 s[4:5], exec, s[4:5]
	s_cbranch_execz .LBB1277_305
; %bb.304:
	v_add_co_u32_e32 v14, vcc, v1, v13
	v_lshlrev_b32_e32 v13, 2, v0
	ds_read_b32 v13, v13 offset:7168
	v_addc_co_u32_e32 v15, vcc, 0, v4, vcc
	v_lshlrev_b64 v[14:15], 2, v[14:15]
	v_mov_b32_e32 v16, s7
	v_sub_co_u32_e32 v14, vcc, s6, v14
	v_subb_co_u32_e32 v15, vcc, v16, v15, vcc
	s_waitcnt lgkmcnt(0)
	global_store_dword v[14:15], v13, off
                                        ; implicit-def: $vgpr13
.LBB1277_305:
	s_andn2_saveexec_b64 s[4:5], s[4:5]
	s_cbranch_execz .LBB1277_307
; %bb.306:
	v_lshlrev_b32_e32 v14, 2, v0
	ds_read_b32 v14, v14 offset:7168
	v_lshlrev_b32_e32 v13, 2, v13
	v_readfirstlane_b32 s8, v8
	v_readfirstlane_b32 s9, v9
	s_waitcnt lgkmcnt(0)
	s_nop 3
	global_store_dword v13, v14, s[8:9]
.LBB1277_307:
	s_or_b64 exec, exec, s[4:5]
                                        ; implicit-def: $vgpr13
.LBB1277_308:
	s_andn2_saveexec_b64 s[2:3], s[2:3]
	s_cbranch_execz .LBB1277_310
; %bb.309:
	v_lshlrev_b32_e32 v14, 2, v0
	ds_read_b32 v14, v14 offset:7168
	v_lshlrev_b32_e32 v13, 2, v13
	v_readfirstlane_b32 s2, v10
	v_readfirstlane_b32 s3, v11
	s_waitcnt lgkmcnt(0)
	s_nop 3
	global_store_dword v13, v14, s[2:3]
.LBB1277_310:
	s_or_b64 exec, exec, s[0:1]
	v_or_b32_e32 v13, 0x800, v0
	v_cmp_gt_u32_e32 vcc, s18, v13
	s_and_saveexec_b64 s[0:1], vcc
	s_cbranch_execz .LBB1277_319
; %bb.311:
	v_cmp_le_u32_e32 vcc, v2, v13
	s_and_saveexec_b64 s[2:3], vcc
	s_xor_b64 s[2:3], exec, s[2:3]
	s_cbranch_execz .LBB1277_317
; %bb.312:
	v_cmp_le_u32_e32 vcc, v12, v13
	s_and_saveexec_b64 s[4:5], vcc
	s_xor_b64 s[4:5], exec, s[4:5]
	s_cbranch_execz .LBB1277_314
; %bb.313:
	v_add_co_u32_e32 v14, vcc, v1, v13
	v_lshlrev_b32_e32 v13, 2, v0
	ds_read_b32 v13, v13 offset:8192
	v_addc_co_u32_e32 v15, vcc, 0, v4, vcc
	v_lshlrev_b64 v[14:15], 2, v[14:15]
	v_mov_b32_e32 v16, s7
	v_sub_co_u32_e32 v14, vcc, s6, v14
	v_subb_co_u32_e32 v15, vcc, v16, v15, vcc
	s_waitcnt lgkmcnt(0)
	global_store_dword v[14:15], v13, off
                                        ; implicit-def: $vgpr13
.LBB1277_314:
	s_andn2_saveexec_b64 s[4:5], s[4:5]
	s_cbranch_execz .LBB1277_316
; %bb.315:
	v_lshlrev_b32_e32 v14, 2, v0
	ds_read_b32 v14, v14 offset:8192
	v_lshlrev_b32_e32 v13, 2, v13
	v_readfirstlane_b32 s8, v8
	v_readfirstlane_b32 s9, v9
	s_waitcnt lgkmcnt(0)
	s_nop 3
	global_store_dword v13, v14, s[8:9]
.LBB1277_316:
	s_or_b64 exec, exec, s[4:5]
                                        ; implicit-def: $vgpr13
.LBB1277_317:
	s_andn2_saveexec_b64 s[2:3], s[2:3]
	s_cbranch_execz .LBB1277_319
; %bb.318:
	v_lshlrev_b32_e32 v14, 2, v0
	ds_read_b32 v14, v14 offset:8192
	v_lshlrev_b32_e32 v13, 2, v13
	v_readfirstlane_b32 s2, v10
	v_readfirstlane_b32 s3, v11
	s_waitcnt lgkmcnt(0)
	s_nop 3
	global_store_dword v13, v14, s[2:3]
.LBB1277_319:
	s_or_b64 exec, exec, s[0:1]
	v_or_b32_e32 v13, 0x900, v0
	v_cmp_gt_u32_e32 vcc, s18, v13
	s_and_saveexec_b64 s[0:1], vcc
	s_cbranch_execz .LBB1277_328
; %bb.320:
	v_cmp_le_u32_e32 vcc, v2, v13
	s_and_saveexec_b64 s[2:3], vcc
	s_xor_b64 s[2:3], exec, s[2:3]
	s_cbranch_execz .LBB1277_326
; %bb.321:
	v_cmp_le_u32_e32 vcc, v12, v13
	s_and_saveexec_b64 s[4:5], vcc
	s_xor_b64 s[4:5], exec, s[4:5]
	s_cbranch_execz .LBB1277_323
; %bb.322:
	v_add_co_u32_e32 v14, vcc, v1, v13
	v_lshlrev_b32_e32 v13, 2, v0
	ds_read_b32 v13, v13 offset:9216
	v_addc_co_u32_e32 v15, vcc, 0, v4, vcc
	v_lshlrev_b64 v[14:15], 2, v[14:15]
	v_mov_b32_e32 v16, s7
	v_sub_co_u32_e32 v14, vcc, s6, v14
	v_subb_co_u32_e32 v15, vcc, v16, v15, vcc
	s_waitcnt lgkmcnt(0)
	global_store_dword v[14:15], v13, off
                                        ; implicit-def: $vgpr13
.LBB1277_323:
	s_andn2_saveexec_b64 s[4:5], s[4:5]
	s_cbranch_execz .LBB1277_325
; %bb.324:
	v_lshlrev_b32_e32 v14, 2, v0
	ds_read_b32 v14, v14 offset:9216
	v_lshlrev_b32_e32 v13, 2, v13
	v_readfirstlane_b32 s8, v8
	v_readfirstlane_b32 s9, v9
	s_waitcnt lgkmcnt(0)
	s_nop 3
	global_store_dword v13, v14, s[8:9]
.LBB1277_325:
	s_or_b64 exec, exec, s[4:5]
                                        ; implicit-def: $vgpr13
.LBB1277_326:
	s_andn2_saveexec_b64 s[2:3], s[2:3]
	s_cbranch_execz .LBB1277_328
; %bb.327:
	v_lshlrev_b32_e32 v14, 2, v0
	ds_read_b32 v14, v14 offset:9216
	v_lshlrev_b32_e32 v13, 2, v13
	v_readfirstlane_b32 s2, v10
	v_readfirstlane_b32 s3, v11
	s_waitcnt lgkmcnt(0)
	s_nop 3
	global_store_dword v13, v14, s[2:3]
.LBB1277_328:
	s_or_b64 exec, exec, s[0:1]
	v_or_b32_e32 v13, 0xa00, v0
	v_cmp_gt_u32_e32 vcc, s18, v13
	s_and_saveexec_b64 s[0:1], vcc
	s_cbranch_execz .LBB1277_337
; %bb.329:
	v_cmp_le_u32_e32 vcc, v2, v13
	s_and_saveexec_b64 s[2:3], vcc
	s_xor_b64 s[2:3], exec, s[2:3]
	s_cbranch_execz .LBB1277_335
; %bb.330:
	v_cmp_le_u32_e32 vcc, v12, v13
	s_and_saveexec_b64 s[4:5], vcc
	s_xor_b64 s[4:5], exec, s[4:5]
	s_cbranch_execz .LBB1277_332
; %bb.331:
	v_add_co_u32_e32 v14, vcc, v1, v13
	v_lshlrev_b32_e32 v13, 2, v0
	ds_read_b32 v13, v13 offset:10240
	v_addc_co_u32_e32 v15, vcc, 0, v4, vcc
	v_lshlrev_b64 v[14:15], 2, v[14:15]
	v_mov_b32_e32 v16, s7
	v_sub_co_u32_e32 v14, vcc, s6, v14
	v_subb_co_u32_e32 v15, vcc, v16, v15, vcc
	s_waitcnt lgkmcnt(0)
	global_store_dword v[14:15], v13, off
                                        ; implicit-def: $vgpr13
.LBB1277_332:
	s_andn2_saveexec_b64 s[4:5], s[4:5]
	s_cbranch_execz .LBB1277_334
; %bb.333:
	v_lshlrev_b32_e32 v14, 2, v0
	ds_read_b32 v14, v14 offset:10240
	v_lshlrev_b32_e32 v13, 2, v13
	v_readfirstlane_b32 s8, v8
	v_readfirstlane_b32 s9, v9
	s_waitcnt lgkmcnt(0)
	s_nop 3
	global_store_dword v13, v14, s[8:9]
.LBB1277_334:
	s_or_b64 exec, exec, s[4:5]
                                        ; implicit-def: $vgpr13
.LBB1277_335:
	s_andn2_saveexec_b64 s[2:3], s[2:3]
	s_cbranch_execz .LBB1277_337
; %bb.336:
	v_lshlrev_b32_e32 v14, 2, v0
	ds_read_b32 v14, v14 offset:10240
	v_lshlrev_b32_e32 v13, 2, v13
	v_readfirstlane_b32 s2, v10
	v_readfirstlane_b32 s3, v11
	s_waitcnt lgkmcnt(0)
	s_nop 3
	global_store_dword v13, v14, s[2:3]
.LBB1277_337:
	s_or_b64 exec, exec, s[0:1]
	v_or_b32_e32 v13, 0xb00, v0
	v_cmp_gt_u32_e32 vcc, s18, v13
	s_and_saveexec_b64 s[0:1], vcc
	s_cbranch_execz .LBB1277_346
; %bb.338:
	v_cmp_le_u32_e32 vcc, v2, v13
	s_and_saveexec_b64 s[2:3], vcc
	s_xor_b64 s[2:3], exec, s[2:3]
	s_cbranch_execz .LBB1277_344
; %bb.339:
	v_cmp_le_u32_e32 vcc, v12, v13
	s_and_saveexec_b64 s[4:5], vcc
	s_xor_b64 s[4:5], exec, s[4:5]
	s_cbranch_execz .LBB1277_341
; %bb.340:
	v_add_co_u32_e32 v14, vcc, v1, v13
	v_lshlrev_b32_e32 v13, 2, v0
	ds_read_b32 v13, v13 offset:11264
	v_addc_co_u32_e32 v15, vcc, 0, v4, vcc
	v_lshlrev_b64 v[14:15], 2, v[14:15]
	v_mov_b32_e32 v16, s7
	v_sub_co_u32_e32 v14, vcc, s6, v14
	v_subb_co_u32_e32 v15, vcc, v16, v15, vcc
	s_waitcnt lgkmcnt(0)
	global_store_dword v[14:15], v13, off
                                        ; implicit-def: $vgpr13
.LBB1277_341:
	s_andn2_saveexec_b64 s[4:5], s[4:5]
	s_cbranch_execz .LBB1277_343
; %bb.342:
	v_lshlrev_b32_e32 v14, 2, v0
	ds_read_b32 v14, v14 offset:11264
	v_lshlrev_b32_e32 v13, 2, v13
	v_readfirstlane_b32 s8, v8
	v_readfirstlane_b32 s9, v9
	s_waitcnt lgkmcnt(0)
	s_nop 3
	global_store_dword v13, v14, s[8:9]
.LBB1277_343:
	s_or_b64 exec, exec, s[4:5]
                                        ; implicit-def: $vgpr13
.LBB1277_344:
	s_andn2_saveexec_b64 s[2:3], s[2:3]
	s_cbranch_execz .LBB1277_346
; %bb.345:
	v_lshlrev_b32_e32 v14, 2, v0
	ds_read_b32 v14, v14 offset:11264
	v_lshlrev_b32_e32 v13, 2, v13
	v_readfirstlane_b32 s2, v10
	v_readfirstlane_b32 s3, v11
	s_waitcnt lgkmcnt(0)
	s_nop 3
	global_store_dword v13, v14, s[2:3]
.LBB1277_346:
	s_or_b64 exec, exec, s[0:1]
	v_or_b32_e32 v13, 0xc00, v0
	v_cmp_gt_u32_e32 vcc, s18, v13
	s_and_saveexec_b64 s[0:1], vcc
	s_cbranch_execz .LBB1277_355
; %bb.347:
	v_cmp_le_u32_e32 vcc, v2, v13
	s_and_saveexec_b64 s[2:3], vcc
	s_xor_b64 s[2:3], exec, s[2:3]
	s_cbranch_execz .LBB1277_353
; %bb.348:
	v_cmp_le_u32_e32 vcc, v12, v13
	s_and_saveexec_b64 s[4:5], vcc
	s_xor_b64 s[4:5], exec, s[4:5]
	s_cbranch_execz .LBB1277_350
; %bb.349:
	v_add_co_u32_e32 v8, vcc, v1, v13
	v_lshlrev_b32_e32 v1, 2, v0
	ds_read_b32 v1, v1 offset:12288
	v_addc_co_u32_e32 v9, vcc, 0, v4, vcc
	v_lshlrev_b64 v[8:9], 2, v[8:9]
	v_mov_b32_e32 v4, s7
	v_sub_co_u32_e32 v8, vcc, s6, v8
	v_subb_co_u32_e32 v9, vcc, v4, v9, vcc
	s_waitcnt lgkmcnt(0)
	global_store_dword v[8:9], v1, off
                                        ; implicit-def: $vgpr13
                                        ; implicit-def: $vgpr8_vgpr9
.LBB1277_350:
	s_andn2_saveexec_b64 s[4:5], s[4:5]
	s_cbranch_execz .LBB1277_352
; %bb.351:
	v_lshlrev_b32_e32 v1, 2, v0
	ds_read_b32 v1, v1 offset:12288
	v_lshlrev_b32_e32 v4, 2, v13
	v_readfirstlane_b32 s6, v8
	v_readfirstlane_b32 s7, v9
	s_waitcnt lgkmcnt(0)
	s_nop 3
	global_store_dword v4, v1, s[6:7]
.LBB1277_352:
	s_or_b64 exec, exec, s[4:5]
                                        ; implicit-def: $vgpr13
                                        ; implicit-def: $vgpr10_vgpr11
.LBB1277_353:
	s_andn2_saveexec_b64 s[2:3], s[2:3]
	s_cbranch_execz .LBB1277_355
; %bb.354:
	v_lshlrev_b32_e32 v1, 2, v0
	ds_read_b32 v1, v1 offset:12288
	v_lshlrev_b32_e32 v4, 2, v13
	v_readfirstlane_b32 s2, v10
	v_readfirstlane_b32 s3, v11
	s_waitcnt lgkmcnt(0)
	s_nop 3
	global_store_dword v4, v1, s[2:3]
.LBB1277_355:
	s_or_b64 exec, exec, s[0:1]
	v_cmp_eq_u32_e32 vcc, 0, v0
	s_and_b64 s[0:1], vcc, s[30:31]
	s_and_saveexec_b64 s[2:3], s[0:1]
	s_cbranch_execz .LBB1277_132
.LBB1277_356:
	v_add_co_u32_e32 v0, vcc, v6, v2
	v_addc_co_u32_e32 v1, vcc, 0, v7, vcc
	v_mov_b32_e32 v2, s51
	v_add_co_u32_e32 v3, vcc, s50, v3
	v_addc_co_u32_e32 v6, vcc, 0, v2, vcc
	v_add_co_u32_e32 v2, vcc, v3, v5
	v_mov_b32_e32 v4, 0
	v_addc_co_u32_e32 v3, vcc, 0, v6, vcc
	global_store_dwordx4 v4, v[0:3], s[44:45]
	s_endpgm
	.section	.rodata,"a",@progbits
	.p2align	6, 0x0
	.amdhsa_kernel _ZN7rocprim17ROCPRIM_400000_NS6detail17trampoline_kernelINS0_13select_configILj256ELj13ELNS0_17block_load_methodE3ELS4_3ELS4_3ELNS0_20block_scan_algorithmE0ELj4294967295EEENS1_25partition_config_selectorILNS1_17partition_subalgoE4EjNS0_10empty_typeEbEEZZNS1_14partition_implILS8_4ELb0ES6_15HIP_vector_typeIjLj2EENS0_17counting_iteratorIjlEEPS9_SG_NS0_5tupleIJPjSI_NS0_16reverse_iteratorISI_EEEEENSH_IJSG_SG_SG_EEES9_SI_JZNS1_25segmented_radix_sort_implINS0_14default_configELb1EPKfPfPKlPlN2at6native12_GLOBAL__N_18offset_tEEE10hipError_tPvRmT1_PNSt15iterator_traitsIS12_E10value_typeET2_T3_PNS13_IS18_E10value_typeET4_jRbjT5_S1E_jjP12ihipStream_tbEUljE_ZNSN_ISO_Lb1ESQ_SR_ST_SU_SY_EESZ_S10_S11_S12_S16_S17_S18_S1B_S1C_jS1D_jS1E_S1E_jjS1G_bEUljE0_EEESZ_S10_S11_S18_S1C_S1E_T6_T7_T9_mT8_S1G_bDpT10_ENKUlT_T0_E_clISt17integral_constantIbLb1EES1T_IbLb0EEEEDaS1P_S1Q_EUlS1P_E_NS1_11comp_targetILNS1_3genE4ELNS1_11target_archE910ELNS1_3gpuE8ELNS1_3repE0EEENS1_30default_config_static_selectorELNS0_4arch9wavefront6targetE1EEEvS12_
		.amdhsa_group_segment_fixed_size 13340
		.amdhsa_private_segment_fixed_size 0
		.amdhsa_kernarg_size 176
		.amdhsa_user_sgpr_count 6
		.amdhsa_user_sgpr_private_segment_buffer 1
		.amdhsa_user_sgpr_dispatch_ptr 0
		.amdhsa_user_sgpr_queue_ptr 0
		.amdhsa_user_sgpr_kernarg_segment_ptr 1
		.amdhsa_user_sgpr_dispatch_id 0
		.amdhsa_user_sgpr_flat_scratch_init 0
		.amdhsa_user_sgpr_kernarg_preload_length 0
		.amdhsa_user_sgpr_kernarg_preload_offset 0
		.amdhsa_user_sgpr_private_segment_size 0
		.amdhsa_uses_dynamic_stack 0
		.amdhsa_system_sgpr_private_segment_wavefront_offset 0
		.amdhsa_system_sgpr_workgroup_id_x 1
		.amdhsa_system_sgpr_workgroup_id_y 0
		.amdhsa_system_sgpr_workgroup_id_z 0
		.amdhsa_system_sgpr_workgroup_info 0
		.amdhsa_system_vgpr_workitem_id 0
		.amdhsa_next_free_vgpr 102
		.amdhsa_next_free_sgpr 90
		.amdhsa_accum_offset 104
		.amdhsa_reserve_vcc 1
		.amdhsa_reserve_flat_scratch 0
		.amdhsa_float_round_mode_32 0
		.amdhsa_float_round_mode_16_64 0
		.amdhsa_float_denorm_mode_32 3
		.amdhsa_float_denorm_mode_16_64 3
		.amdhsa_dx10_clamp 1
		.amdhsa_ieee_mode 1
		.amdhsa_fp16_overflow 0
		.amdhsa_tg_split 0
		.amdhsa_exception_fp_ieee_invalid_op 0
		.amdhsa_exception_fp_denorm_src 0
		.amdhsa_exception_fp_ieee_div_zero 0
		.amdhsa_exception_fp_ieee_overflow 0
		.amdhsa_exception_fp_ieee_underflow 0
		.amdhsa_exception_fp_ieee_inexact 0
		.amdhsa_exception_int_div_zero 0
	.end_amdhsa_kernel
	.section	.text._ZN7rocprim17ROCPRIM_400000_NS6detail17trampoline_kernelINS0_13select_configILj256ELj13ELNS0_17block_load_methodE3ELS4_3ELS4_3ELNS0_20block_scan_algorithmE0ELj4294967295EEENS1_25partition_config_selectorILNS1_17partition_subalgoE4EjNS0_10empty_typeEbEEZZNS1_14partition_implILS8_4ELb0ES6_15HIP_vector_typeIjLj2EENS0_17counting_iteratorIjlEEPS9_SG_NS0_5tupleIJPjSI_NS0_16reverse_iteratorISI_EEEEENSH_IJSG_SG_SG_EEES9_SI_JZNS1_25segmented_radix_sort_implINS0_14default_configELb1EPKfPfPKlPlN2at6native12_GLOBAL__N_18offset_tEEE10hipError_tPvRmT1_PNSt15iterator_traitsIS12_E10value_typeET2_T3_PNS13_IS18_E10value_typeET4_jRbjT5_S1E_jjP12ihipStream_tbEUljE_ZNSN_ISO_Lb1ESQ_SR_ST_SU_SY_EESZ_S10_S11_S12_S16_S17_S18_S1B_S1C_jS1D_jS1E_S1E_jjS1G_bEUljE0_EEESZ_S10_S11_S18_S1C_S1E_T6_T7_T9_mT8_S1G_bDpT10_ENKUlT_T0_E_clISt17integral_constantIbLb1EES1T_IbLb0EEEEDaS1P_S1Q_EUlS1P_E_NS1_11comp_targetILNS1_3genE4ELNS1_11target_archE910ELNS1_3gpuE8ELNS1_3repE0EEENS1_30default_config_static_selectorELNS0_4arch9wavefront6targetE1EEEvS12_,"axG",@progbits,_ZN7rocprim17ROCPRIM_400000_NS6detail17trampoline_kernelINS0_13select_configILj256ELj13ELNS0_17block_load_methodE3ELS4_3ELS4_3ELNS0_20block_scan_algorithmE0ELj4294967295EEENS1_25partition_config_selectorILNS1_17partition_subalgoE4EjNS0_10empty_typeEbEEZZNS1_14partition_implILS8_4ELb0ES6_15HIP_vector_typeIjLj2EENS0_17counting_iteratorIjlEEPS9_SG_NS0_5tupleIJPjSI_NS0_16reverse_iteratorISI_EEEEENSH_IJSG_SG_SG_EEES9_SI_JZNS1_25segmented_radix_sort_implINS0_14default_configELb1EPKfPfPKlPlN2at6native12_GLOBAL__N_18offset_tEEE10hipError_tPvRmT1_PNSt15iterator_traitsIS12_E10value_typeET2_T3_PNS13_IS18_E10value_typeET4_jRbjT5_S1E_jjP12ihipStream_tbEUljE_ZNSN_ISO_Lb1ESQ_SR_ST_SU_SY_EESZ_S10_S11_S12_S16_S17_S18_S1B_S1C_jS1D_jS1E_S1E_jjS1G_bEUljE0_EEESZ_S10_S11_S18_S1C_S1E_T6_T7_T9_mT8_S1G_bDpT10_ENKUlT_T0_E_clISt17integral_constantIbLb1EES1T_IbLb0EEEEDaS1P_S1Q_EUlS1P_E_NS1_11comp_targetILNS1_3genE4ELNS1_11target_archE910ELNS1_3gpuE8ELNS1_3repE0EEENS1_30default_config_static_selectorELNS0_4arch9wavefront6targetE1EEEvS12_,comdat
.Lfunc_end1277:
	.size	_ZN7rocprim17ROCPRIM_400000_NS6detail17trampoline_kernelINS0_13select_configILj256ELj13ELNS0_17block_load_methodE3ELS4_3ELS4_3ELNS0_20block_scan_algorithmE0ELj4294967295EEENS1_25partition_config_selectorILNS1_17partition_subalgoE4EjNS0_10empty_typeEbEEZZNS1_14partition_implILS8_4ELb0ES6_15HIP_vector_typeIjLj2EENS0_17counting_iteratorIjlEEPS9_SG_NS0_5tupleIJPjSI_NS0_16reverse_iteratorISI_EEEEENSH_IJSG_SG_SG_EEES9_SI_JZNS1_25segmented_radix_sort_implINS0_14default_configELb1EPKfPfPKlPlN2at6native12_GLOBAL__N_18offset_tEEE10hipError_tPvRmT1_PNSt15iterator_traitsIS12_E10value_typeET2_T3_PNS13_IS18_E10value_typeET4_jRbjT5_S1E_jjP12ihipStream_tbEUljE_ZNSN_ISO_Lb1ESQ_SR_ST_SU_SY_EESZ_S10_S11_S12_S16_S17_S18_S1B_S1C_jS1D_jS1E_S1E_jjS1G_bEUljE0_EEESZ_S10_S11_S18_S1C_S1E_T6_T7_T9_mT8_S1G_bDpT10_ENKUlT_T0_E_clISt17integral_constantIbLb1EES1T_IbLb0EEEEDaS1P_S1Q_EUlS1P_E_NS1_11comp_targetILNS1_3genE4ELNS1_11target_archE910ELNS1_3gpuE8ELNS1_3repE0EEENS1_30default_config_static_selectorELNS0_4arch9wavefront6targetE1EEEvS12_, .Lfunc_end1277-_ZN7rocprim17ROCPRIM_400000_NS6detail17trampoline_kernelINS0_13select_configILj256ELj13ELNS0_17block_load_methodE3ELS4_3ELS4_3ELNS0_20block_scan_algorithmE0ELj4294967295EEENS1_25partition_config_selectorILNS1_17partition_subalgoE4EjNS0_10empty_typeEbEEZZNS1_14partition_implILS8_4ELb0ES6_15HIP_vector_typeIjLj2EENS0_17counting_iteratorIjlEEPS9_SG_NS0_5tupleIJPjSI_NS0_16reverse_iteratorISI_EEEEENSH_IJSG_SG_SG_EEES9_SI_JZNS1_25segmented_radix_sort_implINS0_14default_configELb1EPKfPfPKlPlN2at6native12_GLOBAL__N_18offset_tEEE10hipError_tPvRmT1_PNSt15iterator_traitsIS12_E10value_typeET2_T3_PNS13_IS18_E10value_typeET4_jRbjT5_S1E_jjP12ihipStream_tbEUljE_ZNSN_ISO_Lb1ESQ_SR_ST_SU_SY_EESZ_S10_S11_S12_S16_S17_S18_S1B_S1C_jS1D_jS1E_S1E_jjS1G_bEUljE0_EEESZ_S10_S11_S18_S1C_S1E_T6_T7_T9_mT8_S1G_bDpT10_ENKUlT_T0_E_clISt17integral_constantIbLb1EES1T_IbLb0EEEEDaS1P_S1Q_EUlS1P_E_NS1_11comp_targetILNS1_3genE4ELNS1_11target_archE910ELNS1_3gpuE8ELNS1_3repE0EEENS1_30default_config_static_selectorELNS0_4arch9wavefront6targetE1EEEvS12_
                                        ; -- End function
	.section	.AMDGPU.csdata,"",@progbits
; Kernel info:
; codeLenInByte = 13412
; NumSgprs: 94
; NumVgprs: 102
; NumAgprs: 0
; TotalNumVgprs: 102
; ScratchSize: 0
; MemoryBound: 0
; FloatMode: 240
; IeeeMode: 1
; LDSByteSize: 13340 bytes/workgroup (compile time only)
; SGPRBlocks: 11
; VGPRBlocks: 12
; NumSGPRsForWavesPerEU: 94
; NumVGPRsForWavesPerEU: 102
; AccumOffset: 104
; Occupancy: 4
; WaveLimiterHint : 1
; COMPUTE_PGM_RSRC2:SCRATCH_EN: 0
; COMPUTE_PGM_RSRC2:USER_SGPR: 6
; COMPUTE_PGM_RSRC2:TRAP_HANDLER: 0
; COMPUTE_PGM_RSRC2:TGID_X_EN: 1
; COMPUTE_PGM_RSRC2:TGID_Y_EN: 0
; COMPUTE_PGM_RSRC2:TGID_Z_EN: 0
; COMPUTE_PGM_RSRC2:TIDIG_COMP_CNT: 0
; COMPUTE_PGM_RSRC3_GFX90A:ACCUM_OFFSET: 25
; COMPUTE_PGM_RSRC3_GFX90A:TG_SPLIT: 0
	.section	.text._ZN7rocprim17ROCPRIM_400000_NS6detail17trampoline_kernelINS0_13select_configILj256ELj13ELNS0_17block_load_methodE3ELS4_3ELS4_3ELNS0_20block_scan_algorithmE0ELj4294967295EEENS1_25partition_config_selectorILNS1_17partition_subalgoE4EjNS0_10empty_typeEbEEZZNS1_14partition_implILS8_4ELb0ES6_15HIP_vector_typeIjLj2EENS0_17counting_iteratorIjlEEPS9_SG_NS0_5tupleIJPjSI_NS0_16reverse_iteratorISI_EEEEENSH_IJSG_SG_SG_EEES9_SI_JZNS1_25segmented_radix_sort_implINS0_14default_configELb1EPKfPfPKlPlN2at6native12_GLOBAL__N_18offset_tEEE10hipError_tPvRmT1_PNSt15iterator_traitsIS12_E10value_typeET2_T3_PNS13_IS18_E10value_typeET4_jRbjT5_S1E_jjP12ihipStream_tbEUljE_ZNSN_ISO_Lb1ESQ_SR_ST_SU_SY_EESZ_S10_S11_S12_S16_S17_S18_S1B_S1C_jS1D_jS1E_S1E_jjS1G_bEUljE0_EEESZ_S10_S11_S18_S1C_S1E_T6_T7_T9_mT8_S1G_bDpT10_ENKUlT_T0_E_clISt17integral_constantIbLb1EES1T_IbLb0EEEEDaS1P_S1Q_EUlS1P_E_NS1_11comp_targetILNS1_3genE3ELNS1_11target_archE908ELNS1_3gpuE7ELNS1_3repE0EEENS1_30default_config_static_selectorELNS0_4arch9wavefront6targetE1EEEvS12_,"axG",@progbits,_ZN7rocprim17ROCPRIM_400000_NS6detail17trampoline_kernelINS0_13select_configILj256ELj13ELNS0_17block_load_methodE3ELS4_3ELS4_3ELNS0_20block_scan_algorithmE0ELj4294967295EEENS1_25partition_config_selectorILNS1_17partition_subalgoE4EjNS0_10empty_typeEbEEZZNS1_14partition_implILS8_4ELb0ES6_15HIP_vector_typeIjLj2EENS0_17counting_iteratorIjlEEPS9_SG_NS0_5tupleIJPjSI_NS0_16reverse_iteratorISI_EEEEENSH_IJSG_SG_SG_EEES9_SI_JZNS1_25segmented_radix_sort_implINS0_14default_configELb1EPKfPfPKlPlN2at6native12_GLOBAL__N_18offset_tEEE10hipError_tPvRmT1_PNSt15iterator_traitsIS12_E10value_typeET2_T3_PNS13_IS18_E10value_typeET4_jRbjT5_S1E_jjP12ihipStream_tbEUljE_ZNSN_ISO_Lb1ESQ_SR_ST_SU_SY_EESZ_S10_S11_S12_S16_S17_S18_S1B_S1C_jS1D_jS1E_S1E_jjS1G_bEUljE0_EEESZ_S10_S11_S18_S1C_S1E_T6_T7_T9_mT8_S1G_bDpT10_ENKUlT_T0_E_clISt17integral_constantIbLb1EES1T_IbLb0EEEEDaS1P_S1Q_EUlS1P_E_NS1_11comp_targetILNS1_3genE3ELNS1_11target_archE908ELNS1_3gpuE7ELNS1_3repE0EEENS1_30default_config_static_selectorELNS0_4arch9wavefront6targetE1EEEvS12_,comdat
	.globl	_ZN7rocprim17ROCPRIM_400000_NS6detail17trampoline_kernelINS0_13select_configILj256ELj13ELNS0_17block_load_methodE3ELS4_3ELS4_3ELNS0_20block_scan_algorithmE0ELj4294967295EEENS1_25partition_config_selectorILNS1_17partition_subalgoE4EjNS0_10empty_typeEbEEZZNS1_14partition_implILS8_4ELb0ES6_15HIP_vector_typeIjLj2EENS0_17counting_iteratorIjlEEPS9_SG_NS0_5tupleIJPjSI_NS0_16reverse_iteratorISI_EEEEENSH_IJSG_SG_SG_EEES9_SI_JZNS1_25segmented_radix_sort_implINS0_14default_configELb1EPKfPfPKlPlN2at6native12_GLOBAL__N_18offset_tEEE10hipError_tPvRmT1_PNSt15iterator_traitsIS12_E10value_typeET2_T3_PNS13_IS18_E10value_typeET4_jRbjT5_S1E_jjP12ihipStream_tbEUljE_ZNSN_ISO_Lb1ESQ_SR_ST_SU_SY_EESZ_S10_S11_S12_S16_S17_S18_S1B_S1C_jS1D_jS1E_S1E_jjS1G_bEUljE0_EEESZ_S10_S11_S18_S1C_S1E_T6_T7_T9_mT8_S1G_bDpT10_ENKUlT_T0_E_clISt17integral_constantIbLb1EES1T_IbLb0EEEEDaS1P_S1Q_EUlS1P_E_NS1_11comp_targetILNS1_3genE3ELNS1_11target_archE908ELNS1_3gpuE7ELNS1_3repE0EEENS1_30default_config_static_selectorELNS0_4arch9wavefront6targetE1EEEvS12_ ; -- Begin function _ZN7rocprim17ROCPRIM_400000_NS6detail17trampoline_kernelINS0_13select_configILj256ELj13ELNS0_17block_load_methodE3ELS4_3ELS4_3ELNS0_20block_scan_algorithmE0ELj4294967295EEENS1_25partition_config_selectorILNS1_17partition_subalgoE4EjNS0_10empty_typeEbEEZZNS1_14partition_implILS8_4ELb0ES6_15HIP_vector_typeIjLj2EENS0_17counting_iteratorIjlEEPS9_SG_NS0_5tupleIJPjSI_NS0_16reverse_iteratorISI_EEEEENSH_IJSG_SG_SG_EEES9_SI_JZNS1_25segmented_radix_sort_implINS0_14default_configELb1EPKfPfPKlPlN2at6native12_GLOBAL__N_18offset_tEEE10hipError_tPvRmT1_PNSt15iterator_traitsIS12_E10value_typeET2_T3_PNS13_IS18_E10value_typeET4_jRbjT5_S1E_jjP12ihipStream_tbEUljE_ZNSN_ISO_Lb1ESQ_SR_ST_SU_SY_EESZ_S10_S11_S12_S16_S17_S18_S1B_S1C_jS1D_jS1E_S1E_jjS1G_bEUljE0_EEESZ_S10_S11_S18_S1C_S1E_T6_T7_T9_mT8_S1G_bDpT10_ENKUlT_T0_E_clISt17integral_constantIbLb1EES1T_IbLb0EEEEDaS1P_S1Q_EUlS1P_E_NS1_11comp_targetILNS1_3genE3ELNS1_11target_archE908ELNS1_3gpuE7ELNS1_3repE0EEENS1_30default_config_static_selectorELNS0_4arch9wavefront6targetE1EEEvS12_
	.p2align	8
	.type	_ZN7rocprim17ROCPRIM_400000_NS6detail17trampoline_kernelINS0_13select_configILj256ELj13ELNS0_17block_load_methodE3ELS4_3ELS4_3ELNS0_20block_scan_algorithmE0ELj4294967295EEENS1_25partition_config_selectorILNS1_17partition_subalgoE4EjNS0_10empty_typeEbEEZZNS1_14partition_implILS8_4ELb0ES6_15HIP_vector_typeIjLj2EENS0_17counting_iteratorIjlEEPS9_SG_NS0_5tupleIJPjSI_NS0_16reverse_iteratorISI_EEEEENSH_IJSG_SG_SG_EEES9_SI_JZNS1_25segmented_radix_sort_implINS0_14default_configELb1EPKfPfPKlPlN2at6native12_GLOBAL__N_18offset_tEEE10hipError_tPvRmT1_PNSt15iterator_traitsIS12_E10value_typeET2_T3_PNS13_IS18_E10value_typeET4_jRbjT5_S1E_jjP12ihipStream_tbEUljE_ZNSN_ISO_Lb1ESQ_SR_ST_SU_SY_EESZ_S10_S11_S12_S16_S17_S18_S1B_S1C_jS1D_jS1E_S1E_jjS1G_bEUljE0_EEESZ_S10_S11_S18_S1C_S1E_T6_T7_T9_mT8_S1G_bDpT10_ENKUlT_T0_E_clISt17integral_constantIbLb1EES1T_IbLb0EEEEDaS1P_S1Q_EUlS1P_E_NS1_11comp_targetILNS1_3genE3ELNS1_11target_archE908ELNS1_3gpuE7ELNS1_3repE0EEENS1_30default_config_static_selectorELNS0_4arch9wavefront6targetE1EEEvS12_,@function
_ZN7rocprim17ROCPRIM_400000_NS6detail17trampoline_kernelINS0_13select_configILj256ELj13ELNS0_17block_load_methodE3ELS4_3ELS4_3ELNS0_20block_scan_algorithmE0ELj4294967295EEENS1_25partition_config_selectorILNS1_17partition_subalgoE4EjNS0_10empty_typeEbEEZZNS1_14partition_implILS8_4ELb0ES6_15HIP_vector_typeIjLj2EENS0_17counting_iteratorIjlEEPS9_SG_NS0_5tupleIJPjSI_NS0_16reverse_iteratorISI_EEEEENSH_IJSG_SG_SG_EEES9_SI_JZNS1_25segmented_radix_sort_implINS0_14default_configELb1EPKfPfPKlPlN2at6native12_GLOBAL__N_18offset_tEEE10hipError_tPvRmT1_PNSt15iterator_traitsIS12_E10value_typeET2_T3_PNS13_IS18_E10value_typeET4_jRbjT5_S1E_jjP12ihipStream_tbEUljE_ZNSN_ISO_Lb1ESQ_SR_ST_SU_SY_EESZ_S10_S11_S12_S16_S17_S18_S1B_S1C_jS1D_jS1E_S1E_jjS1G_bEUljE0_EEESZ_S10_S11_S18_S1C_S1E_T6_T7_T9_mT8_S1G_bDpT10_ENKUlT_T0_E_clISt17integral_constantIbLb1EES1T_IbLb0EEEEDaS1P_S1Q_EUlS1P_E_NS1_11comp_targetILNS1_3genE3ELNS1_11target_archE908ELNS1_3gpuE7ELNS1_3repE0EEENS1_30default_config_static_selectorELNS0_4arch9wavefront6targetE1EEEvS12_: ; @_ZN7rocprim17ROCPRIM_400000_NS6detail17trampoline_kernelINS0_13select_configILj256ELj13ELNS0_17block_load_methodE3ELS4_3ELS4_3ELNS0_20block_scan_algorithmE0ELj4294967295EEENS1_25partition_config_selectorILNS1_17partition_subalgoE4EjNS0_10empty_typeEbEEZZNS1_14partition_implILS8_4ELb0ES6_15HIP_vector_typeIjLj2EENS0_17counting_iteratorIjlEEPS9_SG_NS0_5tupleIJPjSI_NS0_16reverse_iteratorISI_EEEEENSH_IJSG_SG_SG_EEES9_SI_JZNS1_25segmented_radix_sort_implINS0_14default_configELb1EPKfPfPKlPlN2at6native12_GLOBAL__N_18offset_tEEE10hipError_tPvRmT1_PNSt15iterator_traitsIS12_E10value_typeET2_T3_PNS13_IS18_E10value_typeET4_jRbjT5_S1E_jjP12ihipStream_tbEUljE_ZNSN_ISO_Lb1ESQ_SR_ST_SU_SY_EESZ_S10_S11_S12_S16_S17_S18_S1B_S1C_jS1D_jS1E_S1E_jjS1G_bEUljE0_EEESZ_S10_S11_S18_S1C_S1E_T6_T7_T9_mT8_S1G_bDpT10_ENKUlT_T0_E_clISt17integral_constantIbLb1EES1T_IbLb0EEEEDaS1P_S1Q_EUlS1P_E_NS1_11comp_targetILNS1_3genE3ELNS1_11target_archE908ELNS1_3gpuE7ELNS1_3repE0EEENS1_30default_config_static_selectorELNS0_4arch9wavefront6targetE1EEEvS12_
; %bb.0:
	.section	.rodata,"a",@progbits
	.p2align	6, 0x0
	.amdhsa_kernel _ZN7rocprim17ROCPRIM_400000_NS6detail17trampoline_kernelINS0_13select_configILj256ELj13ELNS0_17block_load_methodE3ELS4_3ELS4_3ELNS0_20block_scan_algorithmE0ELj4294967295EEENS1_25partition_config_selectorILNS1_17partition_subalgoE4EjNS0_10empty_typeEbEEZZNS1_14partition_implILS8_4ELb0ES6_15HIP_vector_typeIjLj2EENS0_17counting_iteratorIjlEEPS9_SG_NS0_5tupleIJPjSI_NS0_16reverse_iteratorISI_EEEEENSH_IJSG_SG_SG_EEES9_SI_JZNS1_25segmented_radix_sort_implINS0_14default_configELb1EPKfPfPKlPlN2at6native12_GLOBAL__N_18offset_tEEE10hipError_tPvRmT1_PNSt15iterator_traitsIS12_E10value_typeET2_T3_PNS13_IS18_E10value_typeET4_jRbjT5_S1E_jjP12ihipStream_tbEUljE_ZNSN_ISO_Lb1ESQ_SR_ST_SU_SY_EESZ_S10_S11_S12_S16_S17_S18_S1B_S1C_jS1D_jS1E_S1E_jjS1G_bEUljE0_EEESZ_S10_S11_S18_S1C_S1E_T6_T7_T9_mT8_S1G_bDpT10_ENKUlT_T0_E_clISt17integral_constantIbLb1EES1T_IbLb0EEEEDaS1P_S1Q_EUlS1P_E_NS1_11comp_targetILNS1_3genE3ELNS1_11target_archE908ELNS1_3gpuE7ELNS1_3repE0EEENS1_30default_config_static_selectorELNS0_4arch9wavefront6targetE1EEEvS12_
		.amdhsa_group_segment_fixed_size 0
		.amdhsa_private_segment_fixed_size 0
		.amdhsa_kernarg_size 176
		.amdhsa_user_sgpr_count 6
		.amdhsa_user_sgpr_private_segment_buffer 1
		.amdhsa_user_sgpr_dispatch_ptr 0
		.amdhsa_user_sgpr_queue_ptr 0
		.amdhsa_user_sgpr_kernarg_segment_ptr 1
		.amdhsa_user_sgpr_dispatch_id 0
		.amdhsa_user_sgpr_flat_scratch_init 0
		.amdhsa_user_sgpr_kernarg_preload_length 0
		.amdhsa_user_sgpr_kernarg_preload_offset 0
		.amdhsa_user_sgpr_private_segment_size 0
		.amdhsa_uses_dynamic_stack 0
		.amdhsa_system_sgpr_private_segment_wavefront_offset 0
		.amdhsa_system_sgpr_workgroup_id_x 1
		.amdhsa_system_sgpr_workgroup_id_y 0
		.amdhsa_system_sgpr_workgroup_id_z 0
		.amdhsa_system_sgpr_workgroup_info 0
		.amdhsa_system_vgpr_workitem_id 0
		.amdhsa_next_free_vgpr 1
		.amdhsa_next_free_sgpr 0
		.amdhsa_accum_offset 4
		.amdhsa_reserve_vcc 0
		.amdhsa_reserve_flat_scratch 0
		.amdhsa_float_round_mode_32 0
		.amdhsa_float_round_mode_16_64 0
		.amdhsa_float_denorm_mode_32 3
		.amdhsa_float_denorm_mode_16_64 3
		.amdhsa_dx10_clamp 1
		.amdhsa_ieee_mode 1
		.amdhsa_fp16_overflow 0
		.amdhsa_tg_split 0
		.amdhsa_exception_fp_ieee_invalid_op 0
		.amdhsa_exception_fp_denorm_src 0
		.amdhsa_exception_fp_ieee_div_zero 0
		.amdhsa_exception_fp_ieee_overflow 0
		.amdhsa_exception_fp_ieee_underflow 0
		.amdhsa_exception_fp_ieee_inexact 0
		.amdhsa_exception_int_div_zero 0
	.end_amdhsa_kernel
	.section	.text._ZN7rocprim17ROCPRIM_400000_NS6detail17trampoline_kernelINS0_13select_configILj256ELj13ELNS0_17block_load_methodE3ELS4_3ELS4_3ELNS0_20block_scan_algorithmE0ELj4294967295EEENS1_25partition_config_selectorILNS1_17partition_subalgoE4EjNS0_10empty_typeEbEEZZNS1_14partition_implILS8_4ELb0ES6_15HIP_vector_typeIjLj2EENS0_17counting_iteratorIjlEEPS9_SG_NS0_5tupleIJPjSI_NS0_16reverse_iteratorISI_EEEEENSH_IJSG_SG_SG_EEES9_SI_JZNS1_25segmented_radix_sort_implINS0_14default_configELb1EPKfPfPKlPlN2at6native12_GLOBAL__N_18offset_tEEE10hipError_tPvRmT1_PNSt15iterator_traitsIS12_E10value_typeET2_T3_PNS13_IS18_E10value_typeET4_jRbjT5_S1E_jjP12ihipStream_tbEUljE_ZNSN_ISO_Lb1ESQ_SR_ST_SU_SY_EESZ_S10_S11_S12_S16_S17_S18_S1B_S1C_jS1D_jS1E_S1E_jjS1G_bEUljE0_EEESZ_S10_S11_S18_S1C_S1E_T6_T7_T9_mT8_S1G_bDpT10_ENKUlT_T0_E_clISt17integral_constantIbLb1EES1T_IbLb0EEEEDaS1P_S1Q_EUlS1P_E_NS1_11comp_targetILNS1_3genE3ELNS1_11target_archE908ELNS1_3gpuE7ELNS1_3repE0EEENS1_30default_config_static_selectorELNS0_4arch9wavefront6targetE1EEEvS12_,"axG",@progbits,_ZN7rocprim17ROCPRIM_400000_NS6detail17trampoline_kernelINS0_13select_configILj256ELj13ELNS0_17block_load_methodE3ELS4_3ELS4_3ELNS0_20block_scan_algorithmE0ELj4294967295EEENS1_25partition_config_selectorILNS1_17partition_subalgoE4EjNS0_10empty_typeEbEEZZNS1_14partition_implILS8_4ELb0ES6_15HIP_vector_typeIjLj2EENS0_17counting_iteratorIjlEEPS9_SG_NS0_5tupleIJPjSI_NS0_16reverse_iteratorISI_EEEEENSH_IJSG_SG_SG_EEES9_SI_JZNS1_25segmented_radix_sort_implINS0_14default_configELb1EPKfPfPKlPlN2at6native12_GLOBAL__N_18offset_tEEE10hipError_tPvRmT1_PNSt15iterator_traitsIS12_E10value_typeET2_T3_PNS13_IS18_E10value_typeET4_jRbjT5_S1E_jjP12ihipStream_tbEUljE_ZNSN_ISO_Lb1ESQ_SR_ST_SU_SY_EESZ_S10_S11_S12_S16_S17_S18_S1B_S1C_jS1D_jS1E_S1E_jjS1G_bEUljE0_EEESZ_S10_S11_S18_S1C_S1E_T6_T7_T9_mT8_S1G_bDpT10_ENKUlT_T0_E_clISt17integral_constantIbLb1EES1T_IbLb0EEEEDaS1P_S1Q_EUlS1P_E_NS1_11comp_targetILNS1_3genE3ELNS1_11target_archE908ELNS1_3gpuE7ELNS1_3repE0EEENS1_30default_config_static_selectorELNS0_4arch9wavefront6targetE1EEEvS12_,comdat
.Lfunc_end1278:
	.size	_ZN7rocprim17ROCPRIM_400000_NS6detail17trampoline_kernelINS0_13select_configILj256ELj13ELNS0_17block_load_methodE3ELS4_3ELS4_3ELNS0_20block_scan_algorithmE0ELj4294967295EEENS1_25partition_config_selectorILNS1_17partition_subalgoE4EjNS0_10empty_typeEbEEZZNS1_14partition_implILS8_4ELb0ES6_15HIP_vector_typeIjLj2EENS0_17counting_iteratorIjlEEPS9_SG_NS0_5tupleIJPjSI_NS0_16reverse_iteratorISI_EEEEENSH_IJSG_SG_SG_EEES9_SI_JZNS1_25segmented_radix_sort_implINS0_14default_configELb1EPKfPfPKlPlN2at6native12_GLOBAL__N_18offset_tEEE10hipError_tPvRmT1_PNSt15iterator_traitsIS12_E10value_typeET2_T3_PNS13_IS18_E10value_typeET4_jRbjT5_S1E_jjP12ihipStream_tbEUljE_ZNSN_ISO_Lb1ESQ_SR_ST_SU_SY_EESZ_S10_S11_S12_S16_S17_S18_S1B_S1C_jS1D_jS1E_S1E_jjS1G_bEUljE0_EEESZ_S10_S11_S18_S1C_S1E_T6_T7_T9_mT8_S1G_bDpT10_ENKUlT_T0_E_clISt17integral_constantIbLb1EES1T_IbLb0EEEEDaS1P_S1Q_EUlS1P_E_NS1_11comp_targetILNS1_3genE3ELNS1_11target_archE908ELNS1_3gpuE7ELNS1_3repE0EEENS1_30default_config_static_selectorELNS0_4arch9wavefront6targetE1EEEvS12_, .Lfunc_end1278-_ZN7rocprim17ROCPRIM_400000_NS6detail17trampoline_kernelINS0_13select_configILj256ELj13ELNS0_17block_load_methodE3ELS4_3ELS4_3ELNS0_20block_scan_algorithmE0ELj4294967295EEENS1_25partition_config_selectorILNS1_17partition_subalgoE4EjNS0_10empty_typeEbEEZZNS1_14partition_implILS8_4ELb0ES6_15HIP_vector_typeIjLj2EENS0_17counting_iteratorIjlEEPS9_SG_NS0_5tupleIJPjSI_NS0_16reverse_iteratorISI_EEEEENSH_IJSG_SG_SG_EEES9_SI_JZNS1_25segmented_radix_sort_implINS0_14default_configELb1EPKfPfPKlPlN2at6native12_GLOBAL__N_18offset_tEEE10hipError_tPvRmT1_PNSt15iterator_traitsIS12_E10value_typeET2_T3_PNS13_IS18_E10value_typeET4_jRbjT5_S1E_jjP12ihipStream_tbEUljE_ZNSN_ISO_Lb1ESQ_SR_ST_SU_SY_EESZ_S10_S11_S12_S16_S17_S18_S1B_S1C_jS1D_jS1E_S1E_jjS1G_bEUljE0_EEESZ_S10_S11_S18_S1C_S1E_T6_T7_T9_mT8_S1G_bDpT10_ENKUlT_T0_E_clISt17integral_constantIbLb1EES1T_IbLb0EEEEDaS1P_S1Q_EUlS1P_E_NS1_11comp_targetILNS1_3genE3ELNS1_11target_archE908ELNS1_3gpuE7ELNS1_3repE0EEENS1_30default_config_static_selectorELNS0_4arch9wavefront6targetE1EEEvS12_
                                        ; -- End function
	.section	.AMDGPU.csdata,"",@progbits
; Kernel info:
; codeLenInByte = 0
; NumSgprs: 4
; NumVgprs: 0
; NumAgprs: 0
; TotalNumVgprs: 0
; ScratchSize: 0
; MemoryBound: 0
; FloatMode: 240
; IeeeMode: 1
; LDSByteSize: 0 bytes/workgroup (compile time only)
; SGPRBlocks: 0
; VGPRBlocks: 0
; NumSGPRsForWavesPerEU: 4
; NumVGPRsForWavesPerEU: 1
; AccumOffset: 4
; Occupancy: 8
; WaveLimiterHint : 0
; COMPUTE_PGM_RSRC2:SCRATCH_EN: 0
; COMPUTE_PGM_RSRC2:USER_SGPR: 6
; COMPUTE_PGM_RSRC2:TRAP_HANDLER: 0
; COMPUTE_PGM_RSRC2:TGID_X_EN: 1
; COMPUTE_PGM_RSRC2:TGID_Y_EN: 0
; COMPUTE_PGM_RSRC2:TGID_Z_EN: 0
; COMPUTE_PGM_RSRC2:TIDIG_COMP_CNT: 0
; COMPUTE_PGM_RSRC3_GFX90A:ACCUM_OFFSET: 0
; COMPUTE_PGM_RSRC3_GFX90A:TG_SPLIT: 0
	.section	.text._ZN7rocprim17ROCPRIM_400000_NS6detail17trampoline_kernelINS0_13select_configILj256ELj13ELNS0_17block_load_methodE3ELS4_3ELS4_3ELNS0_20block_scan_algorithmE0ELj4294967295EEENS1_25partition_config_selectorILNS1_17partition_subalgoE4EjNS0_10empty_typeEbEEZZNS1_14partition_implILS8_4ELb0ES6_15HIP_vector_typeIjLj2EENS0_17counting_iteratorIjlEEPS9_SG_NS0_5tupleIJPjSI_NS0_16reverse_iteratorISI_EEEEENSH_IJSG_SG_SG_EEES9_SI_JZNS1_25segmented_radix_sort_implINS0_14default_configELb1EPKfPfPKlPlN2at6native12_GLOBAL__N_18offset_tEEE10hipError_tPvRmT1_PNSt15iterator_traitsIS12_E10value_typeET2_T3_PNS13_IS18_E10value_typeET4_jRbjT5_S1E_jjP12ihipStream_tbEUljE_ZNSN_ISO_Lb1ESQ_SR_ST_SU_SY_EESZ_S10_S11_S12_S16_S17_S18_S1B_S1C_jS1D_jS1E_S1E_jjS1G_bEUljE0_EEESZ_S10_S11_S18_S1C_S1E_T6_T7_T9_mT8_S1G_bDpT10_ENKUlT_T0_E_clISt17integral_constantIbLb1EES1T_IbLb0EEEEDaS1P_S1Q_EUlS1P_E_NS1_11comp_targetILNS1_3genE2ELNS1_11target_archE906ELNS1_3gpuE6ELNS1_3repE0EEENS1_30default_config_static_selectorELNS0_4arch9wavefront6targetE1EEEvS12_,"axG",@progbits,_ZN7rocprim17ROCPRIM_400000_NS6detail17trampoline_kernelINS0_13select_configILj256ELj13ELNS0_17block_load_methodE3ELS4_3ELS4_3ELNS0_20block_scan_algorithmE0ELj4294967295EEENS1_25partition_config_selectorILNS1_17partition_subalgoE4EjNS0_10empty_typeEbEEZZNS1_14partition_implILS8_4ELb0ES6_15HIP_vector_typeIjLj2EENS0_17counting_iteratorIjlEEPS9_SG_NS0_5tupleIJPjSI_NS0_16reverse_iteratorISI_EEEEENSH_IJSG_SG_SG_EEES9_SI_JZNS1_25segmented_radix_sort_implINS0_14default_configELb1EPKfPfPKlPlN2at6native12_GLOBAL__N_18offset_tEEE10hipError_tPvRmT1_PNSt15iterator_traitsIS12_E10value_typeET2_T3_PNS13_IS18_E10value_typeET4_jRbjT5_S1E_jjP12ihipStream_tbEUljE_ZNSN_ISO_Lb1ESQ_SR_ST_SU_SY_EESZ_S10_S11_S12_S16_S17_S18_S1B_S1C_jS1D_jS1E_S1E_jjS1G_bEUljE0_EEESZ_S10_S11_S18_S1C_S1E_T6_T7_T9_mT8_S1G_bDpT10_ENKUlT_T0_E_clISt17integral_constantIbLb1EES1T_IbLb0EEEEDaS1P_S1Q_EUlS1P_E_NS1_11comp_targetILNS1_3genE2ELNS1_11target_archE906ELNS1_3gpuE6ELNS1_3repE0EEENS1_30default_config_static_selectorELNS0_4arch9wavefront6targetE1EEEvS12_,comdat
	.globl	_ZN7rocprim17ROCPRIM_400000_NS6detail17trampoline_kernelINS0_13select_configILj256ELj13ELNS0_17block_load_methodE3ELS4_3ELS4_3ELNS0_20block_scan_algorithmE0ELj4294967295EEENS1_25partition_config_selectorILNS1_17partition_subalgoE4EjNS0_10empty_typeEbEEZZNS1_14partition_implILS8_4ELb0ES6_15HIP_vector_typeIjLj2EENS0_17counting_iteratorIjlEEPS9_SG_NS0_5tupleIJPjSI_NS0_16reverse_iteratorISI_EEEEENSH_IJSG_SG_SG_EEES9_SI_JZNS1_25segmented_radix_sort_implINS0_14default_configELb1EPKfPfPKlPlN2at6native12_GLOBAL__N_18offset_tEEE10hipError_tPvRmT1_PNSt15iterator_traitsIS12_E10value_typeET2_T3_PNS13_IS18_E10value_typeET4_jRbjT5_S1E_jjP12ihipStream_tbEUljE_ZNSN_ISO_Lb1ESQ_SR_ST_SU_SY_EESZ_S10_S11_S12_S16_S17_S18_S1B_S1C_jS1D_jS1E_S1E_jjS1G_bEUljE0_EEESZ_S10_S11_S18_S1C_S1E_T6_T7_T9_mT8_S1G_bDpT10_ENKUlT_T0_E_clISt17integral_constantIbLb1EES1T_IbLb0EEEEDaS1P_S1Q_EUlS1P_E_NS1_11comp_targetILNS1_3genE2ELNS1_11target_archE906ELNS1_3gpuE6ELNS1_3repE0EEENS1_30default_config_static_selectorELNS0_4arch9wavefront6targetE1EEEvS12_ ; -- Begin function _ZN7rocprim17ROCPRIM_400000_NS6detail17trampoline_kernelINS0_13select_configILj256ELj13ELNS0_17block_load_methodE3ELS4_3ELS4_3ELNS0_20block_scan_algorithmE0ELj4294967295EEENS1_25partition_config_selectorILNS1_17partition_subalgoE4EjNS0_10empty_typeEbEEZZNS1_14partition_implILS8_4ELb0ES6_15HIP_vector_typeIjLj2EENS0_17counting_iteratorIjlEEPS9_SG_NS0_5tupleIJPjSI_NS0_16reverse_iteratorISI_EEEEENSH_IJSG_SG_SG_EEES9_SI_JZNS1_25segmented_radix_sort_implINS0_14default_configELb1EPKfPfPKlPlN2at6native12_GLOBAL__N_18offset_tEEE10hipError_tPvRmT1_PNSt15iterator_traitsIS12_E10value_typeET2_T3_PNS13_IS18_E10value_typeET4_jRbjT5_S1E_jjP12ihipStream_tbEUljE_ZNSN_ISO_Lb1ESQ_SR_ST_SU_SY_EESZ_S10_S11_S12_S16_S17_S18_S1B_S1C_jS1D_jS1E_S1E_jjS1G_bEUljE0_EEESZ_S10_S11_S18_S1C_S1E_T6_T7_T9_mT8_S1G_bDpT10_ENKUlT_T0_E_clISt17integral_constantIbLb1EES1T_IbLb0EEEEDaS1P_S1Q_EUlS1P_E_NS1_11comp_targetILNS1_3genE2ELNS1_11target_archE906ELNS1_3gpuE6ELNS1_3repE0EEENS1_30default_config_static_selectorELNS0_4arch9wavefront6targetE1EEEvS12_
	.p2align	8
	.type	_ZN7rocprim17ROCPRIM_400000_NS6detail17trampoline_kernelINS0_13select_configILj256ELj13ELNS0_17block_load_methodE3ELS4_3ELS4_3ELNS0_20block_scan_algorithmE0ELj4294967295EEENS1_25partition_config_selectorILNS1_17partition_subalgoE4EjNS0_10empty_typeEbEEZZNS1_14partition_implILS8_4ELb0ES6_15HIP_vector_typeIjLj2EENS0_17counting_iteratorIjlEEPS9_SG_NS0_5tupleIJPjSI_NS0_16reverse_iteratorISI_EEEEENSH_IJSG_SG_SG_EEES9_SI_JZNS1_25segmented_radix_sort_implINS0_14default_configELb1EPKfPfPKlPlN2at6native12_GLOBAL__N_18offset_tEEE10hipError_tPvRmT1_PNSt15iterator_traitsIS12_E10value_typeET2_T3_PNS13_IS18_E10value_typeET4_jRbjT5_S1E_jjP12ihipStream_tbEUljE_ZNSN_ISO_Lb1ESQ_SR_ST_SU_SY_EESZ_S10_S11_S12_S16_S17_S18_S1B_S1C_jS1D_jS1E_S1E_jjS1G_bEUljE0_EEESZ_S10_S11_S18_S1C_S1E_T6_T7_T9_mT8_S1G_bDpT10_ENKUlT_T0_E_clISt17integral_constantIbLb1EES1T_IbLb0EEEEDaS1P_S1Q_EUlS1P_E_NS1_11comp_targetILNS1_3genE2ELNS1_11target_archE906ELNS1_3gpuE6ELNS1_3repE0EEENS1_30default_config_static_selectorELNS0_4arch9wavefront6targetE1EEEvS12_,@function
_ZN7rocprim17ROCPRIM_400000_NS6detail17trampoline_kernelINS0_13select_configILj256ELj13ELNS0_17block_load_methodE3ELS4_3ELS4_3ELNS0_20block_scan_algorithmE0ELj4294967295EEENS1_25partition_config_selectorILNS1_17partition_subalgoE4EjNS0_10empty_typeEbEEZZNS1_14partition_implILS8_4ELb0ES6_15HIP_vector_typeIjLj2EENS0_17counting_iteratorIjlEEPS9_SG_NS0_5tupleIJPjSI_NS0_16reverse_iteratorISI_EEEEENSH_IJSG_SG_SG_EEES9_SI_JZNS1_25segmented_radix_sort_implINS0_14default_configELb1EPKfPfPKlPlN2at6native12_GLOBAL__N_18offset_tEEE10hipError_tPvRmT1_PNSt15iterator_traitsIS12_E10value_typeET2_T3_PNS13_IS18_E10value_typeET4_jRbjT5_S1E_jjP12ihipStream_tbEUljE_ZNSN_ISO_Lb1ESQ_SR_ST_SU_SY_EESZ_S10_S11_S12_S16_S17_S18_S1B_S1C_jS1D_jS1E_S1E_jjS1G_bEUljE0_EEESZ_S10_S11_S18_S1C_S1E_T6_T7_T9_mT8_S1G_bDpT10_ENKUlT_T0_E_clISt17integral_constantIbLb1EES1T_IbLb0EEEEDaS1P_S1Q_EUlS1P_E_NS1_11comp_targetILNS1_3genE2ELNS1_11target_archE906ELNS1_3gpuE6ELNS1_3repE0EEENS1_30default_config_static_selectorELNS0_4arch9wavefront6targetE1EEEvS12_: ; @_ZN7rocprim17ROCPRIM_400000_NS6detail17trampoline_kernelINS0_13select_configILj256ELj13ELNS0_17block_load_methodE3ELS4_3ELS4_3ELNS0_20block_scan_algorithmE0ELj4294967295EEENS1_25partition_config_selectorILNS1_17partition_subalgoE4EjNS0_10empty_typeEbEEZZNS1_14partition_implILS8_4ELb0ES6_15HIP_vector_typeIjLj2EENS0_17counting_iteratorIjlEEPS9_SG_NS0_5tupleIJPjSI_NS0_16reverse_iteratorISI_EEEEENSH_IJSG_SG_SG_EEES9_SI_JZNS1_25segmented_radix_sort_implINS0_14default_configELb1EPKfPfPKlPlN2at6native12_GLOBAL__N_18offset_tEEE10hipError_tPvRmT1_PNSt15iterator_traitsIS12_E10value_typeET2_T3_PNS13_IS18_E10value_typeET4_jRbjT5_S1E_jjP12ihipStream_tbEUljE_ZNSN_ISO_Lb1ESQ_SR_ST_SU_SY_EESZ_S10_S11_S12_S16_S17_S18_S1B_S1C_jS1D_jS1E_S1E_jjS1G_bEUljE0_EEESZ_S10_S11_S18_S1C_S1E_T6_T7_T9_mT8_S1G_bDpT10_ENKUlT_T0_E_clISt17integral_constantIbLb1EES1T_IbLb0EEEEDaS1P_S1Q_EUlS1P_E_NS1_11comp_targetILNS1_3genE2ELNS1_11target_archE906ELNS1_3gpuE6ELNS1_3repE0EEENS1_30default_config_static_selectorELNS0_4arch9wavefront6targetE1EEEvS12_
; %bb.0:
	.section	.rodata,"a",@progbits
	.p2align	6, 0x0
	.amdhsa_kernel _ZN7rocprim17ROCPRIM_400000_NS6detail17trampoline_kernelINS0_13select_configILj256ELj13ELNS0_17block_load_methodE3ELS4_3ELS4_3ELNS0_20block_scan_algorithmE0ELj4294967295EEENS1_25partition_config_selectorILNS1_17partition_subalgoE4EjNS0_10empty_typeEbEEZZNS1_14partition_implILS8_4ELb0ES6_15HIP_vector_typeIjLj2EENS0_17counting_iteratorIjlEEPS9_SG_NS0_5tupleIJPjSI_NS0_16reverse_iteratorISI_EEEEENSH_IJSG_SG_SG_EEES9_SI_JZNS1_25segmented_radix_sort_implINS0_14default_configELb1EPKfPfPKlPlN2at6native12_GLOBAL__N_18offset_tEEE10hipError_tPvRmT1_PNSt15iterator_traitsIS12_E10value_typeET2_T3_PNS13_IS18_E10value_typeET4_jRbjT5_S1E_jjP12ihipStream_tbEUljE_ZNSN_ISO_Lb1ESQ_SR_ST_SU_SY_EESZ_S10_S11_S12_S16_S17_S18_S1B_S1C_jS1D_jS1E_S1E_jjS1G_bEUljE0_EEESZ_S10_S11_S18_S1C_S1E_T6_T7_T9_mT8_S1G_bDpT10_ENKUlT_T0_E_clISt17integral_constantIbLb1EES1T_IbLb0EEEEDaS1P_S1Q_EUlS1P_E_NS1_11comp_targetILNS1_3genE2ELNS1_11target_archE906ELNS1_3gpuE6ELNS1_3repE0EEENS1_30default_config_static_selectorELNS0_4arch9wavefront6targetE1EEEvS12_
		.amdhsa_group_segment_fixed_size 0
		.amdhsa_private_segment_fixed_size 0
		.amdhsa_kernarg_size 176
		.amdhsa_user_sgpr_count 6
		.amdhsa_user_sgpr_private_segment_buffer 1
		.amdhsa_user_sgpr_dispatch_ptr 0
		.amdhsa_user_sgpr_queue_ptr 0
		.amdhsa_user_sgpr_kernarg_segment_ptr 1
		.amdhsa_user_sgpr_dispatch_id 0
		.amdhsa_user_sgpr_flat_scratch_init 0
		.amdhsa_user_sgpr_kernarg_preload_length 0
		.amdhsa_user_sgpr_kernarg_preload_offset 0
		.amdhsa_user_sgpr_private_segment_size 0
		.amdhsa_uses_dynamic_stack 0
		.amdhsa_system_sgpr_private_segment_wavefront_offset 0
		.amdhsa_system_sgpr_workgroup_id_x 1
		.amdhsa_system_sgpr_workgroup_id_y 0
		.amdhsa_system_sgpr_workgroup_id_z 0
		.amdhsa_system_sgpr_workgroup_info 0
		.amdhsa_system_vgpr_workitem_id 0
		.amdhsa_next_free_vgpr 1
		.amdhsa_next_free_sgpr 0
		.amdhsa_accum_offset 4
		.amdhsa_reserve_vcc 0
		.amdhsa_reserve_flat_scratch 0
		.amdhsa_float_round_mode_32 0
		.amdhsa_float_round_mode_16_64 0
		.amdhsa_float_denorm_mode_32 3
		.amdhsa_float_denorm_mode_16_64 3
		.amdhsa_dx10_clamp 1
		.amdhsa_ieee_mode 1
		.amdhsa_fp16_overflow 0
		.amdhsa_tg_split 0
		.amdhsa_exception_fp_ieee_invalid_op 0
		.amdhsa_exception_fp_denorm_src 0
		.amdhsa_exception_fp_ieee_div_zero 0
		.amdhsa_exception_fp_ieee_overflow 0
		.amdhsa_exception_fp_ieee_underflow 0
		.amdhsa_exception_fp_ieee_inexact 0
		.amdhsa_exception_int_div_zero 0
	.end_amdhsa_kernel
	.section	.text._ZN7rocprim17ROCPRIM_400000_NS6detail17trampoline_kernelINS0_13select_configILj256ELj13ELNS0_17block_load_methodE3ELS4_3ELS4_3ELNS0_20block_scan_algorithmE0ELj4294967295EEENS1_25partition_config_selectorILNS1_17partition_subalgoE4EjNS0_10empty_typeEbEEZZNS1_14partition_implILS8_4ELb0ES6_15HIP_vector_typeIjLj2EENS0_17counting_iteratorIjlEEPS9_SG_NS0_5tupleIJPjSI_NS0_16reverse_iteratorISI_EEEEENSH_IJSG_SG_SG_EEES9_SI_JZNS1_25segmented_radix_sort_implINS0_14default_configELb1EPKfPfPKlPlN2at6native12_GLOBAL__N_18offset_tEEE10hipError_tPvRmT1_PNSt15iterator_traitsIS12_E10value_typeET2_T3_PNS13_IS18_E10value_typeET4_jRbjT5_S1E_jjP12ihipStream_tbEUljE_ZNSN_ISO_Lb1ESQ_SR_ST_SU_SY_EESZ_S10_S11_S12_S16_S17_S18_S1B_S1C_jS1D_jS1E_S1E_jjS1G_bEUljE0_EEESZ_S10_S11_S18_S1C_S1E_T6_T7_T9_mT8_S1G_bDpT10_ENKUlT_T0_E_clISt17integral_constantIbLb1EES1T_IbLb0EEEEDaS1P_S1Q_EUlS1P_E_NS1_11comp_targetILNS1_3genE2ELNS1_11target_archE906ELNS1_3gpuE6ELNS1_3repE0EEENS1_30default_config_static_selectorELNS0_4arch9wavefront6targetE1EEEvS12_,"axG",@progbits,_ZN7rocprim17ROCPRIM_400000_NS6detail17trampoline_kernelINS0_13select_configILj256ELj13ELNS0_17block_load_methodE3ELS4_3ELS4_3ELNS0_20block_scan_algorithmE0ELj4294967295EEENS1_25partition_config_selectorILNS1_17partition_subalgoE4EjNS0_10empty_typeEbEEZZNS1_14partition_implILS8_4ELb0ES6_15HIP_vector_typeIjLj2EENS0_17counting_iteratorIjlEEPS9_SG_NS0_5tupleIJPjSI_NS0_16reverse_iteratorISI_EEEEENSH_IJSG_SG_SG_EEES9_SI_JZNS1_25segmented_radix_sort_implINS0_14default_configELb1EPKfPfPKlPlN2at6native12_GLOBAL__N_18offset_tEEE10hipError_tPvRmT1_PNSt15iterator_traitsIS12_E10value_typeET2_T3_PNS13_IS18_E10value_typeET4_jRbjT5_S1E_jjP12ihipStream_tbEUljE_ZNSN_ISO_Lb1ESQ_SR_ST_SU_SY_EESZ_S10_S11_S12_S16_S17_S18_S1B_S1C_jS1D_jS1E_S1E_jjS1G_bEUljE0_EEESZ_S10_S11_S18_S1C_S1E_T6_T7_T9_mT8_S1G_bDpT10_ENKUlT_T0_E_clISt17integral_constantIbLb1EES1T_IbLb0EEEEDaS1P_S1Q_EUlS1P_E_NS1_11comp_targetILNS1_3genE2ELNS1_11target_archE906ELNS1_3gpuE6ELNS1_3repE0EEENS1_30default_config_static_selectorELNS0_4arch9wavefront6targetE1EEEvS12_,comdat
.Lfunc_end1279:
	.size	_ZN7rocprim17ROCPRIM_400000_NS6detail17trampoline_kernelINS0_13select_configILj256ELj13ELNS0_17block_load_methodE3ELS4_3ELS4_3ELNS0_20block_scan_algorithmE0ELj4294967295EEENS1_25partition_config_selectorILNS1_17partition_subalgoE4EjNS0_10empty_typeEbEEZZNS1_14partition_implILS8_4ELb0ES6_15HIP_vector_typeIjLj2EENS0_17counting_iteratorIjlEEPS9_SG_NS0_5tupleIJPjSI_NS0_16reverse_iteratorISI_EEEEENSH_IJSG_SG_SG_EEES9_SI_JZNS1_25segmented_radix_sort_implINS0_14default_configELb1EPKfPfPKlPlN2at6native12_GLOBAL__N_18offset_tEEE10hipError_tPvRmT1_PNSt15iterator_traitsIS12_E10value_typeET2_T3_PNS13_IS18_E10value_typeET4_jRbjT5_S1E_jjP12ihipStream_tbEUljE_ZNSN_ISO_Lb1ESQ_SR_ST_SU_SY_EESZ_S10_S11_S12_S16_S17_S18_S1B_S1C_jS1D_jS1E_S1E_jjS1G_bEUljE0_EEESZ_S10_S11_S18_S1C_S1E_T6_T7_T9_mT8_S1G_bDpT10_ENKUlT_T0_E_clISt17integral_constantIbLb1EES1T_IbLb0EEEEDaS1P_S1Q_EUlS1P_E_NS1_11comp_targetILNS1_3genE2ELNS1_11target_archE906ELNS1_3gpuE6ELNS1_3repE0EEENS1_30default_config_static_selectorELNS0_4arch9wavefront6targetE1EEEvS12_, .Lfunc_end1279-_ZN7rocprim17ROCPRIM_400000_NS6detail17trampoline_kernelINS0_13select_configILj256ELj13ELNS0_17block_load_methodE3ELS4_3ELS4_3ELNS0_20block_scan_algorithmE0ELj4294967295EEENS1_25partition_config_selectorILNS1_17partition_subalgoE4EjNS0_10empty_typeEbEEZZNS1_14partition_implILS8_4ELb0ES6_15HIP_vector_typeIjLj2EENS0_17counting_iteratorIjlEEPS9_SG_NS0_5tupleIJPjSI_NS0_16reverse_iteratorISI_EEEEENSH_IJSG_SG_SG_EEES9_SI_JZNS1_25segmented_radix_sort_implINS0_14default_configELb1EPKfPfPKlPlN2at6native12_GLOBAL__N_18offset_tEEE10hipError_tPvRmT1_PNSt15iterator_traitsIS12_E10value_typeET2_T3_PNS13_IS18_E10value_typeET4_jRbjT5_S1E_jjP12ihipStream_tbEUljE_ZNSN_ISO_Lb1ESQ_SR_ST_SU_SY_EESZ_S10_S11_S12_S16_S17_S18_S1B_S1C_jS1D_jS1E_S1E_jjS1G_bEUljE0_EEESZ_S10_S11_S18_S1C_S1E_T6_T7_T9_mT8_S1G_bDpT10_ENKUlT_T0_E_clISt17integral_constantIbLb1EES1T_IbLb0EEEEDaS1P_S1Q_EUlS1P_E_NS1_11comp_targetILNS1_3genE2ELNS1_11target_archE906ELNS1_3gpuE6ELNS1_3repE0EEENS1_30default_config_static_selectorELNS0_4arch9wavefront6targetE1EEEvS12_
                                        ; -- End function
	.section	.AMDGPU.csdata,"",@progbits
; Kernel info:
; codeLenInByte = 0
; NumSgprs: 4
; NumVgprs: 0
; NumAgprs: 0
; TotalNumVgprs: 0
; ScratchSize: 0
; MemoryBound: 0
; FloatMode: 240
; IeeeMode: 1
; LDSByteSize: 0 bytes/workgroup (compile time only)
; SGPRBlocks: 0
; VGPRBlocks: 0
; NumSGPRsForWavesPerEU: 4
; NumVGPRsForWavesPerEU: 1
; AccumOffset: 4
; Occupancy: 8
; WaveLimiterHint : 0
; COMPUTE_PGM_RSRC2:SCRATCH_EN: 0
; COMPUTE_PGM_RSRC2:USER_SGPR: 6
; COMPUTE_PGM_RSRC2:TRAP_HANDLER: 0
; COMPUTE_PGM_RSRC2:TGID_X_EN: 1
; COMPUTE_PGM_RSRC2:TGID_Y_EN: 0
; COMPUTE_PGM_RSRC2:TGID_Z_EN: 0
; COMPUTE_PGM_RSRC2:TIDIG_COMP_CNT: 0
; COMPUTE_PGM_RSRC3_GFX90A:ACCUM_OFFSET: 0
; COMPUTE_PGM_RSRC3_GFX90A:TG_SPLIT: 0
	.section	.text._ZN7rocprim17ROCPRIM_400000_NS6detail17trampoline_kernelINS0_13select_configILj256ELj13ELNS0_17block_load_methodE3ELS4_3ELS4_3ELNS0_20block_scan_algorithmE0ELj4294967295EEENS1_25partition_config_selectorILNS1_17partition_subalgoE4EjNS0_10empty_typeEbEEZZNS1_14partition_implILS8_4ELb0ES6_15HIP_vector_typeIjLj2EENS0_17counting_iteratorIjlEEPS9_SG_NS0_5tupleIJPjSI_NS0_16reverse_iteratorISI_EEEEENSH_IJSG_SG_SG_EEES9_SI_JZNS1_25segmented_radix_sort_implINS0_14default_configELb1EPKfPfPKlPlN2at6native12_GLOBAL__N_18offset_tEEE10hipError_tPvRmT1_PNSt15iterator_traitsIS12_E10value_typeET2_T3_PNS13_IS18_E10value_typeET4_jRbjT5_S1E_jjP12ihipStream_tbEUljE_ZNSN_ISO_Lb1ESQ_SR_ST_SU_SY_EESZ_S10_S11_S12_S16_S17_S18_S1B_S1C_jS1D_jS1E_S1E_jjS1G_bEUljE0_EEESZ_S10_S11_S18_S1C_S1E_T6_T7_T9_mT8_S1G_bDpT10_ENKUlT_T0_E_clISt17integral_constantIbLb1EES1T_IbLb0EEEEDaS1P_S1Q_EUlS1P_E_NS1_11comp_targetILNS1_3genE10ELNS1_11target_archE1200ELNS1_3gpuE4ELNS1_3repE0EEENS1_30default_config_static_selectorELNS0_4arch9wavefront6targetE1EEEvS12_,"axG",@progbits,_ZN7rocprim17ROCPRIM_400000_NS6detail17trampoline_kernelINS0_13select_configILj256ELj13ELNS0_17block_load_methodE3ELS4_3ELS4_3ELNS0_20block_scan_algorithmE0ELj4294967295EEENS1_25partition_config_selectorILNS1_17partition_subalgoE4EjNS0_10empty_typeEbEEZZNS1_14partition_implILS8_4ELb0ES6_15HIP_vector_typeIjLj2EENS0_17counting_iteratorIjlEEPS9_SG_NS0_5tupleIJPjSI_NS0_16reverse_iteratorISI_EEEEENSH_IJSG_SG_SG_EEES9_SI_JZNS1_25segmented_radix_sort_implINS0_14default_configELb1EPKfPfPKlPlN2at6native12_GLOBAL__N_18offset_tEEE10hipError_tPvRmT1_PNSt15iterator_traitsIS12_E10value_typeET2_T3_PNS13_IS18_E10value_typeET4_jRbjT5_S1E_jjP12ihipStream_tbEUljE_ZNSN_ISO_Lb1ESQ_SR_ST_SU_SY_EESZ_S10_S11_S12_S16_S17_S18_S1B_S1C_jS1D_jS1E_S1E_jjS1G_bEUljE0_EEESZ_S10_S11_S18_S1C_S1E_T6_T7_T9_mT8_S1G_bDpT10_ENKUlT_T0_E_clISt17integral_constantIbLb1EES1T_IbLb0EEEEDaS1P_S1Q_EUlS1P_E_NS1_11comp_targetILNS1_3genE10ELNS1_11target_archE1200ELNS1_3gpuE4ELNS1_3repE0EEENS1_30default_config_static_selectorELNS0_4arch9wavefront6targetE1EEEvS12_,comdat
	.globl	_ZN7rocprim17ROCPRIM_400000_NS6detail17trampoline_kernelINS0_13select_configILj256ELj13ELNS0_17block_load_methodE3ELS4_3ELS4_3ELNS0_20block_scan_algorithmE0ELj4294967295EEENS1_25partition_config_selectorILNS1_17partition_subalgoE4EjNS0_10empty_typeEbEEZZNS1_14partition_implILS8_4ELb0ES6_15HIP_vector_typeIjLj2EENS0_17counting_iteratorIjlEEPS9_SG_NS0_5tupleIJPjSI_NS0_16reverse_iteratorISI_EEEEENSH_IJSG_SG_SG_EEES9_SI_JZNS1_25segmented_radix_sort_implINS0_14default_configELb1EPKfPfPKlPlN2at6native12_GLOBAL__N_18offset_tEEE10hipError_tPvRmT1_PNSt15iterator_traitsIS12_E10value_typeET2_T3_PNS13_IS18_E10value_typeET4_jRbjT5_S1E_jjP12ihipStream_tbEUljE_ZNSN_ISO_Lb1ESQ_SR_ST_SU_SY_EESZ_S10_S11_S12_S16_S17_S18_S1B_S1C_jS1D_jS1E_S1E_jjS1G_bEUljE0_EEESZ_S10_S11_S18_S1C_S1E_T6_T7_T9_mT8_S1G_bDpT10_ENKUlT_T0_E_clISt17integral_constantIbLb1EES1T_IbLb0EEEEDaS1P_S1Q_EUlS1P_E_NS1_11comp_targetILNS1_3genE10ELNS1_11target_archE1200ELNS1_3gpuE4ELNS1_3repE0EEENS1_30default_config_static_selectorELNS0_4arch9wavefront6targetE1EEEvS12_ ; -- Begin function _ZN7rocprim17ROCPRIM_400000_NS6detail17trampoline_kernelINS0_13select_configILj256ELj13ELNS0_17block_load_methodE3ELS4_3ELS4_3ELNS0_20block_scan_algorithmE0ELj4294967295EEENS1_25partition_config_selectorILNS1_17partition_subalgoE4EjNS0_10empty_typeEbEEZZNS1_14partition_implILS8_4ELb0ES6_15HIP_vector_typeIjLj2EENS0_17counting_iteratorIjlEEPS9_SG_NS0_5tupleIJPjSI_NS0_16reverse_iteratorISI_EEEEENSH_IJSG_SG_SG_EEES9_SI_JZNS1_25segmented_radix_sort_implINS0_14default_configELb1EPKfPfPKlPlN2at6native12_GLOBAL__N_18offset_tEEE10hipError_tPvRmT1_PNSt15iterator_traitsIS12_E10value_typeET2_T3_PNS13_IS18_E10value_typeET4_jRbjT5_S1E_jjP12ihipStream_tbEUljE_ZNSN_ISO_Lb1ESQ_SR_ST_SU_SY_EESZ_S10_S11_S12_S16_S17_S18_S1B_S1C_jS1D_jS1E_S1E_jjS1G_bEUljE0_EEESZ_S10_S11_S18_S1C_S1E_T6_T7_T9_mT8_S1G_bDpT10_ENKUlT_T0_E_clISt17integral_constantIbLb1EES1T_IbLb0EEEEDaS1P_S1Q_EUlS1P_E_NS1_11comp_targetILNS1_3genE10ELNS1_11target_archE1200ELNS1_3gpuE4ELNS1_3repE0EEENS1_30default_config_static_selectorELNS0_4arch9wavefront6targetE1EEEvS12_
	.p2align	8
	.type	_ZN7rocprim17ROCPRIM_400000_NS6detail17trampoline_kernelINS0_13select_configILj256ELj13ELNS0_17block_load_methodE3ELS4_3ELS4_3ELNS0_20block_scan_algorithmE0ELj4294967295EEENS1_25partition_config_selectorILNS1_17partition_subalgoE4EjNS0_10empty_typeEbEEZZNS1_14partition_implILS8_4ELb0ES6_15HIP_vector_typeIjLj2EENS0_17counting_iteratorIjlEEPS9_SG_NS0_5tupleIJPjSI_NS0_16reverse_iteratorISI_EEEEENSH_IJSG_SG_SG_EEES9_SI_JZNS1_25segmented_radix_sort_implINS0_14default_configELb1EPKfPfPKlPlN2at6native12_GLOBAL__N_18offset_tEEE10hipError_tPvRmT1_PNSt15iterator_traitsIS12_E10value_typeET2_T3_PNS13_IS18_E10value_typeET4_jRbjT5_S1E_jjP12ihipStream_tbEUljE_ZNSN_ISO_Lb1ESQ_SR_ST_SU_SY_EESZ_S10_S11_S12_S16_S17_S18_S1B_S1C_jS1D_jS1E_S1E_jjS1G_bEUljE0_EEESZ_S10_S11_S18_S1C_S1E_T6_T7_T9_mT8_S1G_bDpT10_ENKUlT_T0_E_clISt17integral_constantIbLb1EES1T_IbLb0EEEEDaS1P_S1Q_EUlS1P_E_NS1_11comp_targetILNS1_3genE10ELNS1_11target_archE1200ELNS1_3gpuE4ELNS1_3repE0EEENS1_30default_config_static_selectorELNS0_4arch9wavefront6targetE1EEEvS12_,@function
_ZN7rocprim17ROCPRIM_400000_NS6detail17trampoline_kernelINS0_13select_configILj256ELj13ELNS0_17block_load_methodE3ELS4_3ELS4_3ELNS0_20block_scan_algorithmE0ELj4294967295EEENS1_25partition_config_selectorILNS1_17partition_subalgoE4EjNS0_10empty_typeEbEEZZNS1_14partition_implILS8_4ELb0ES6_15HIP_vector_typeIjLj2EENS0_17counting_iteratorIjlEEPS9_SG_NS0_5tupleIJPjSI_NS0_16reverse_iteratorISI_EEEEENSH_IJSG_SG_SG_EEES9_SI_JZNS1_25segmented_radix_sort_implINS0_14default_configELb1EPKfPfPKlPlN2at6native12_GLOBAL__N_18offset_tEEE10hipError_tPvRmT1_PNSt15iterator_traitsIS12_E10value_typeET2_T3_PNS13_IS18_E10value_typeET4_jRbjT5_S1E_jjP12ihipStream_tbEUljE_ZNSN_ISO_Lb1ESQ_SR_ST_SU_SY_EESZ_S10_S11_S12_S16_S17_S18_S1B_S1C_jS1D_jS1E_S1E_jjS1G_bEUljE0_EEESZ_S10_S11_S18_S1C_S1E_T6_T7_T9_mT8_S1G_bDpT10_ENKUlT_T0_E_clISt17integral_constantIbLb1EES1T_IbLb0EEEEDaS1P_S1Q_EUlS1P_E_NS1_11comp_targetILNS1_3genE10ELNS1_11target_archE1200ELNS1_3gpuE4ELNS1_3repE0EEENS1_30default_config_static_selectorELNS0_4arch9wavefront6targetE1EEEvS12_: ; @_ZN7rocprim17ROCPRIM_400000_NS6detail17trampoline_kernelINS0_13select_configILj256ELj13ELNS0_17block_load_methodE3ELS4_3ELS4_3ELNS0_20block_scan_algorithmE0ELj4294967295EEENS1_25partition_config_selectorILNS1_17partition_subalgoE4EjNS0_10empty_typeEbEEZZNS1_14partition_implILS8_4ELb0ES6_15HIP_vector_typeIjLj2EENS0_17counting_iteratorIjlEEPS9_SG_NS0_5tupleIJPjSI_NS0_16reverse_iteratorISI_EEEEENSH_IJSG_SG_SG_EEES9_SI_JZNS1_25segmented_radix_sort_implINS0_14default_configELb1EPKfPfPKlPlN2at6native12_GLOBAL__N_18offset_tEEE10hipError_tPvRmT1_PNSt15iterator_traitsIS12_E10value_typeET2_T3_PNS13_IS18_E10value_typeET4_jRbjT5_S1E_jjP12ihipStream_tbEUljE_ZNSN_ISO_Lb1ESQ_SR_ST_SU_SY_EESZ_S10_S11_S12_S16_S17_S18_S1B_S1C_jS1D_jS1E_S1E_jjS1G_bEUljE0_EEESZ_S10_S11_S18_S1C_S1E_T6_T7_T9_mT8_S1G_bDpT10_ENKUlT_T0_E_clISt17integral_constantIbLb1EES1T_IbLb0EEEEDaS1P_S1Q_EUlS1P_E_NS1_11comp_targetILNS1_3genE10ELNS1_11target_archE1200ELNS1_3gpuE4ELNS1_3repE0EEENS1_30default_config_static_selectorELNS0_4arch9wavefront6targetE1EEEvS12_
; %bb.0:
	.section	.rodata,"a",@progbits
	.p2align	6, 0x0
	.amdhsa_kernel _ZN7rocprim17ROCPRIM_400000_NS6detail17trampoline_kernelINS0_13select_configILj256ELj13ELNS0_17block_load_methodE3ELS4_3ELS4_3ELNS0_20block_scan_algorithmE0ELj4294967295EEENS1_25partition_config_selectorILNS1_17partition_subalgoE4EjNS0_10empty_typeEbEEZZNS1_14partition_implILS8_4ELb0ES6_15HIP_vector_typeIjLj2EENS0_17counting_iteratorIjlEEPS9_SG_NS0_5tupleIJPjSI_NS0_16reverse_iteratorISI_EEEEENSH_IJSG_SG_SG_EEES9_SI_JZNS1_25segmented_radix_sort_implINS0_14default_configELb1EPKfPfPKlPlN2at6native12_GLOBAL__N_18offset_tEEE10hipError_tPvRmT1_PNSt15iterator_traitsIS12_E10value_typeET2_T3_PNS13_IS18_E10value_typeET4_jRbjT5_S1E_jjP12ihipStream_tbEUljE_ZNSN_ISO_Lb1ESQ_SR_ST_SU_SY_EESZ_S10_S11_S12_S16_S17_S18_S1B_S1C_jS1D_jS1E_S1E_jjS1G_bEUljE0_EEESZ_S10_S11_S18_S1C_S1E_T6_T7_T9_mT8_S1G_bDpT10_ENKUlT_T0_E_clISt17integral_constantIbLb1EES1T_IbLb0EEEEDaS1P_S1Q_EUlS1P_E_NS1_11comp_targetILNS1_3genE10ELNS1_11target_archE1200ELNS1_3gpuE4ELNS1_3repE0EEENS1_30default_config_static_selectorELNS0_4arch9wavefront6targetE1EEEvS12_
		.amdhsa_group_segment_fixed_size 0
		.amdhsa_private_segment_fixed_size 0
		.amdhsa_kernarg_size 176
		.amdhsa_user_sgpr_count 6
		.amdhsa_user_sgpr_private_segment_buffer 1
		.amdhsa_user_sgpr_dispatch_ptr 0
		.amdhsa_user_sgpr_queue_ptr 0
		.amdhsa_user_sgpr_kernarg_segment_ptr 1
		.amdhsa_user_sgpr_dispatch_id 0
		.amdhsa_user_sgpr_flat_scratch_init 0
		.amdhsa_user_sgpr_kernarg_preload_length 0
		.amdhsa_user_sgpr_kernarg_preload_offset 0
		.amdhsa_user_sgpr_private_segment_size 0
		.amdhsa_uses_dynamic_stack 0
		.amdhsa_system_sgpr_private_segment_wavefront_offset 0
		.amdhsa_system_sgpr_workgroup_id_x 1
		.amdhsa_system_sgpr_workgroup_id_y 0
		.amdhsa_system_sgpr_workgroup_id_z 0
		.amdhsa_system_sgpr_workgroup_info 0
		.amdhsa_system_vgpr_workitem_id 0
		.amdhsa_next_free_vgpr 1
		.amdhsa_next_free_sgpr 0
		.amdhsa_accum_offset 4
		.amdhsa_reserve_vcc 0
		.amdhsa_reserve_flat_scratch 0
		.amdhsa_float_round_mode_32 0
		.amdhsa_float_round_mode_16_64 0
		.amdhsa_float_denorm_mode_32 3
		.amdhsa_float_denorm_mode_16_64 3
		.amdhsa_dx10_clamp 1
		.amdhsa_ieee_mode 1
		.amdhsa_fp16_overflow 0
		.amdhsa_tg_split 0
		.amdhsa_exception_fp_ieee_invalid_op 0
		.amdhsa_exception_fp_denorm_src 0
		.amdhsa_exception_fp_ieee_div_zero 0
		.amdhsa_exception_fp_ieee_overflow 0
		.amdhsa_exception_fp_ieee_underflow 0
		.amdhsa_exception_fp_ieee_inexact 0
		.amdhsa_exception_int_div_zero 0
	.end_amdhsa_kernel
	.section	.text._ZN7rocprim17ROCPRIM_400000_NS6detail17trampoline_kernelINS0_13select_configILj256ELj13ELNS0_17block_load_methodE3ELS4_3ELS4_3ELNS0_20block_scan_algorithmE0ELj4294967295EEENS1_25partition_config_selectorILNS1_17partition_subalgoE4EjNS0_10empty_typeEbEEZZNS1_14partition_implILS8_4ELb0ES6_15HIP_vector_typeIjLj2EENS0_17counting_iteratorIjlEEPS9_SG_NS0_5tupleIJPjSI_NS0_16reverse_iteratorISI_EEEEENSH_IJSG_SG_SG_EEES9_SI_JZNS1_25segmented_radix_sort_implINS0_14default_configELb1EPKfPfPKlPlN2at6native12_GLOBAL__N_18offset_tEEE10hipError_tPvRmT1_PNSt15iterator_traitsIS12_E10value_typeET2_T3_PNS13_IS18_E10value_typeET4_jRbjT5_S1E_jjP12ihipStream_tbEUljE_ZNSN_ISO_Lb1ESQ_SR_ST_SU_SY_EESZ_S10_S11_S12_S16_S17_S18_S1B_S1C_jS1D_jS1E_S1E_jjS1G_bEUljE0_EEESZ_S10_S11_S18_S1C_S1E_T6_T7_T9_mT8_S1G_bDpT10_ENKUlT_T0_E_clISt17integral_constantIbLb1EES1T_IbLb0EEEEDaS1P_S1Q_EUlS1P_E_NS1_11comp_targetILNS1_3genE10ELNS1_11target_archE1200ELNS1_3gpuE4ELNS1_3repE0EEENS1_30default_config_static_selectorELNS0_4arch9wavefront6targetE1EEEvS12_,"axG",@progbits,_ZN7rocprim17ROCPRIM_400000_NS6detail17trampoline_kernelINS0_13select_configILj256ELj13ELNS0_17block_load_methodE3ELS4_3ELS4_3ELNS0_20block_scan_algorithmE0ELj4294967295EEENS1_25partition_config_selectorILNS1_17partition_subalgoE4EjNS0_10empty_typeEbEEZZNS1_14partition_implILS8_4ELb0ES6_15HIP_vector_typeIjLj2EENS0_17counting_iteratorIjlEEPS9_SG_NS0_5tupleIJPjSI_NS0_16reverse_iteratorISI_EEEEENSH_IJSG_SG_SG_EEES9_SI_JZNS1_25segmented_radix_sort_implINS0_14default_configELb1EPKfPfPKlPlN2at6native12_GLOBAL__N_18offset_tEEE10hipError_tPvRmT1_PNSt15iterator_traitsIS12_E10value_typeET2_T3_PNS13_IS18_E10value_typeET4_jRbjT5_S1E_jjP12ihipStream_tbEUljE_ZNSN_ISO_Lb1ESQ_SR_ST_SU_SY_EESZ_S10_S11_S12_S16_S17_S18_S1B_S1C_jS1D_jS1E_S1E_jjS1G_bEUljE0_EEESZ_S10_S11_S18_S1C_S1E_T6_T7_T9_mT8_S1G_bDpT10_ENKUlT_T0_E_clISt17integral_constantIbLb1EES1T_IbLb0EEEEDaS1P_S1Q_EUlS1P_E_NS1_11comp_targetILNS1_3genE10ELNS1_11target_archE1200ELNS1_3gpuE4ELNS1_3repE0EEENS1_30default_config_static_selectorELNS0_4arch9wavefront6targetE1EEEvS12_,comdat
.Lfunc_end1280:
	.size	_ZN7rocprim17ROCPRIM_400000_NS6detail17trampoline_kernelINS0_13select_configILj256ELj13ELNS0_17block_load_methodE3ELS4_3ELS4_3ELNS0_20block_scan_algorithmE0ELj4294967295EEENS1_25partition_config_selectorILNS1_17partition_subalgoE4EjNS0_10empty_typeEbEEZZNS1_14partition_implILS8_4ELb0ES6_15HIP_vector_typeIjLj2EENS0_17counting_iteratorIjlEEPS9_SG_NS0_5tupleIJPjSI_NS0_16reverse_iteratorISI_EEEEENSH_IJSG_SG_SG_EEES9_SI_JZNS1_25segmented_radix_sort_implINS0_14default_configELb1EPKfPfPKlPlN2at6native12_GLOBAL__N_18offset_tEEE10hipError_tPvRmT1_PNSt15iterator_traitsIS12_E10value_typeET2_T3_PNS13_IS18_E10value_typeET4_jRbjT5_S1E_jjP12ihipStream_tbEUljE_ZNSN_ISO_Lb1ESQ_SR_ST_SU_SY_EESZ_S10_S11_S12_S16_S17_S18_S1B_S1C_jS1D_jS1E_S1E_jjS1G_bEUljE0_EEESZ_S10_S11_S18_S1C_S1E_T6_T7_T9_mT8_S1G_bDpT10_ENKUlT_T0_E_clISt17integral_constantIbLb1EES1T_IbLb0EEEEDaS1P_S1Q_EUlS1P_E_NS1_11comp_targetILNS1_3genE10ELNS1_11target_archE1200ELNS1_3gpuE4ELNS1_3repE0EEENS1_30default_config_static_selectorELNS0_4arch9wavefront6targetE1EEEvS12_, .Lfunc_end1280-_ZN7rocprim17ROCPRIM_400000_NS6detail17trampoline_kernelINS0_13select_configILj256ELj13ELNS0_17block_load_methodE3ELS4_3ELS4_3ELNS0_20block_scan_algorithmE0ELj4294967295EEENS1_25partition_config_selectorILNS1_17partition_subalgoE4EjNS0_10empty_typeEbEEZZNS1_14partition_implILS8_4ELb0ES6_15HIP_vector_typeIjLj2EENS0_17counting_iteratorIjlEEPS9_SG_NS0_5tupleIJPjSI_NS0_16reverse_iteratorISI_EEEEENSH_IJSG_SG_SG_EEES9_SI_JZNS1_25segmented_radix_sort_implINS0_14default_configELb1EPKfPfPKlPlN2at6native12_GLOBAL__N_18offset_tEEE10hipError_tPvRmT1_PNSt15iterator_traitsIS12_E10value_typeET2_T3_PNS13_IS18_E10value_typeET4_jRbjT5_S1E_jjP12ihipStream_tbEUljE_ZNSN_ISO_Lb1ESQ_SR_ST_SU_SY_EESZ_S10_S11_S12_S16_S17_S18_S1B_S1C_jS1D_jS1E_S1E_jjS1G_bEUljE0_EEESZ_S10_S11_S18_S1C_S1E_T6_T7_T9_mT8_S1G_bDpT10_ENKUlT_T0_E_clISt17integral_constantIbLb1EES1T_IbLb0EEEEDaS1P_S1Q_EUlS1P_E_NS1_11comp_targetILNS1_3genE10ELNS1_11target_archE1200ELNS1_3gpuE4ELNS1_3repE0EEENS1_30default_config_static_selectorELNS0_4arch9wavefront6targetE1EEEvS12_
                                        ; -- End function
	.section	.AMDGPU.csdata,"",@progbits
; Kernel info:
; codeLenInByte = 0
; NumSgprs: 4
; NumVgprs: 0
; NumAgprs: 0
; TotalNumVgprs: 0
; ScratchSize: 0
; MemoryBound: 0
; FloatMode: 240
; IeeeMode: 1
; LDSByteSize: 0 bytes/workgroup (compile time only)
; SGPRBlocks: 0
; VGPRBlocks: 0
; NumSGPRsForWavesPerEU: 4
; NumVGPRsForWavesPerEU: 1
; AccumOffset: 4
; Occupancy: 8
; WaveLimiterHint : 0
; COMPUTE_PGM_RSRC2:SCRATCH_EN: 0
; COMPUTE_PGM_RSRC2:USER_SGPR: 6
; COMPUTE_PGM_RSRC2:TRAP_HANDLER: 0
; COMPUTE_PGM_RSRC2:TGID_X_EN: 1
; COMPUTE_PGM_RSRC2:TGID_Y_EN: 0
; COMPUTE_PGM_RSRC2:TGID_Z_EN: 0
; COMPUTE_PGM_RSRC2:TIDIG_COMP_CNT: 0
; COMPUTE_PGM_RSRC3_GFX90A:ACCUM_OFFSET: 0
; COMPUTE_PGM_RSRC3_GFX90A:TG_SPLIT: 0
	.section	.text._ZN7rocprim17ROCPRIM_400000_NS6detail17trampoline_kernelINS0_13select_configILj256ELj13ELNS0_17block_load_methodE3ELS4_3ELS4_3ELNS0_20block_scan_algorithmE0ELj4294967295EEENS1_25partition_config_selectorILNS1_17partition_subalgoE4EjNS0_10empty_typeEbEEZZNS1_14partition_implILS8_4ELb0ES6_15HIP_vector_typeIjLj2EENS0_17counting_iteratorIjlEEPS9_SG_NS0_5tupleIJPjSI_NS0_16reverse_iteratorISI_EEEEENSH_IJSG_SG_SG_EEES9_SI_JZNS1_25segmented_radix_sort_implINS0_14default_configELb1EPKfPfPKlPlN2at6native12_GLOBAL__N_18offset_tEEE10hipError_tPvRmT1_PNSt15iterator_traitsIS12_E10value_typeET2_T3_PNS13_IS18_E10value_typeET4_jRbjT5_S1E_jjP12ihipStream_tbEUljE_ZNSN_ISO_Lb1ESQ_SR_ST_SU_SY_EESZ_S10_S11_S12_S16_S17_S18_S1B_S1C_jS1D_jS1E_S1E_jjS1G_bEUljE0_EEESZ_S10_S11_S18_S1C_S1E_T6_T7_T9_mT8_S1G_bDpT10_ENKUlT_T0_E_clISt17integral_constantIbLb1EES1T_IbLb0EEEEDaS1P_S1Q_EUlS1P_E_NS1_11comp_targetILNS1_3genE9ELNS1_11target_archE1100ELNS1_3gpuE3ELNS1_3repE0EEENS1_30default_config_static_selectorELNS0_4arch9wavefront6targetE1EEEvS12_,"axG",@progbits,_ZN7rocprim17ROCPRIM_400000_NS6detail17trampoline_kernelINS0_13select_configILj256ELj13ELNS0_17block_load_methodE3ELS4_3ELS4_3ELNS0_20block_scan_algorithmE0ELj4294967295EEENS1_25partition_config_selectorILNS1_17partition_subalgoE4EjNS0_10empty_typeEbEEZZNS1_14partition_implILS8_4ELb0ES6_15HIP_vector_typeIjLj2EENS0_17counting_iteratorIjlEEPS9_SG_NS0_5tupleIJPjSI_NS0_16reverse_iteratorISI_EEEEENSH_IJSG_SG_SG_EEES9_SI_JZNS1_25segmented_radix_sort_implINS0_14default_configELb1EPKfPfPKlPlN2at6native12_GLOBAL__N_18offset_tEEE10hipError_tPvRmT1_PNSt15iterator_traitsIS12_E10value_typeET2_T3_PNS13_IS18_E10value_typeET4_jRbjT5_S1E_jjP12ihipStream_tbEUljE_ZNSN_ISO_Lb1ESQ_SR_ST_SU_SY_EESZ_S10_S11_S12_S16_S17_S18_S1B_S1C_jS1D_jS1E_S1E_jjS1G_bEUljE0_EEESZ_S10_S11_S18_S1C_S1E_T6_T7_T9_mT8_S1G_bDpT10_ENKUlT_T0_E_clISt17integral_constantIbLb1EES1T_IbLb0EEEEDaS1P_S1Q_EUlS1P_E_NS1_11comp_targetILNS1_3genE9ELNS1_11target_archE1100ELNS1_3gpuE3ELNS1_3repE0EEENS1_30default_config_static_selectorELNS0_4arch9wavefront6targetE1EEEvS12_,comdat
	.globl	_ZN7rocprim17ROCPRIM_400000_NS6detail17trampoline_kernelINS0_13select_configILj256ELj13ELNS0_17block_load_methodE3ELS4_3ELS4_3ELNS0_20block_scan_algorithmE0ELj4294967295EEENS1_25partition_config_selectorILNS1_17partition_subalgoE4EjNS0_10empty_typeEbEEZZNS1_14partition_implILS8_4ELb0ES6_15HIP_vector_typeIjLj2EENS0_17counting_iteratorIjlEEPS9_SG_NS0_5tupleIJPjSI_NS0_16reverse_iteratorISI_EEEEENSH_IJSG_SG_SG_EEES9_SI_JZNS1_25segmented_radix_sort_implINS0_14default_configELb1EPKfPfPKlPlN2at6native12_GLOBAL__N_18offset_tEEE10hipError_tPvRmT1_PNSt15iterator_traitsIS12_E10value_typeET2_T3_PNS13_IS18_E10value_typeET4_jRbjT5_S1E_jjP12ihipStream_tbEUljE_ZNSN_ISO_Lb1ESQ_SR_ST_SU_SY_EESZ_S10_S11_S12_S16_S17_S18_S1B_S1C_jS1D_jS1E_S1E_jjS1G_bEUljE0_EEESZ_S10_S11_S18_S1C_S1E_T6_T7_T9_mT8_S1G_bDpT10_ENKUlT_T0_E_clISt17integral_constantIbLb1EES1T_IbLb0EEEEDaS1P_S1Q_EUlS1P_E_NS1_11comp_targetILNS1_3genE9ELNS1_11target_archE1100ELNS1_3gpuE3ELNS1_3repE0EEENS1_30default_config_static_selectorELNS0_4arch9wavefront6targetE1EEEvS12_ ; -- Begin function _ZN7rocprim17ROCPRIM_400000_NS6detail17trampoline_kernelINS0_13select_configILj256ELj13ELNS0_17block_load_methodE3ELS4_3ELS4_3ELNS0_20block_scan_algorithmE0ELj4294967295EEENS1_25partition_config_selectorILNS1_17partition_subalgoE4EjNS0_10empty_typeEbEEZZNS1_14partition_implILS8_4ELb0ES6_15HIP_vector_typeIjLj2EENS0_17counting_iteratorIjlEEPS9_SG_NS0_5tupleIJPjSI_NS0_16reverse_iteratorISI_EEEEENSH_IJSG_SG_SG_EEES9_SI_JZNS1_25segmented_radix_sort_implINS0_14default_configELb1EPKfPfPKlPlN2at6native12_GLOBAL__N_18offset_tEEE10hipError_tPvRmT1_PNSt15iterator_traitsIS12_E10value_typeET2_T3_PNS13_IS18_E10value_typeET4_jRbjT5_S1E_jjP12ihipStream_tbEUljE_ZNSN_ISO_Lb1ESQ_SR_ST_SU_SY_EESZ_S10_S11_S12_S16_S17_S18_S1B_S1C_jS1D_jS1E_S1E_jjS1G_bEUljE0_EEESZ_S10_S11_S18_S1C_S1E_T6_T7_T9_mT8_S1G_bDpT10_ENKUlT_T0_E_clISt17integral_constantIbLb1EES1T_IbLb0EEEEDaS1P_S1Q_EUlS1P_E_NS1_11comp_targetILNS1_3genE9ELNS1_11target_archE1100ELNS1_3gpuE3ELNS1_3repE0EEENS1_30default_config_static_selectorELNS0_4arch9wavefront6targetE1EEEvS12_
	.p2align	8
	.type	_ZN7rocprim17ROCPRIM_400000_NS6detail17trampoline_kernelINS0_13select_configILj256ELj13ELNS0_17block_load_methodE3ELS4_3ELS4_3ELNS0_20block_scan_algorithmE0ELj4294967295EEENS1_25partition_config_selectorILNS1_17partition_subalgoE4EjNS0_10empty_typeEbEEZZNS1_14partition_implILS8_4ELb0ES6_15HIP_vector_typeIjLj2EENS0_17counting_iteratorIjlEEPS9_SG_NS0_5tupleIJPjSI_NS0_16reverse_iteratorISI_EEEEENSH_IJSG_SG_SG_EEES9_SI_JZNS1_25segmented_radix_sort_implINS0_14default_configELb1EPKfPfPKlPlN2at6native12_GLOBAL__N_18offset_tEEE10hipError_tPvRmT1_PNSt15iterator_traitsIS12_E10value_typeET2_T3_PNS13_IS18_E10value_typeET4_jRbjT5_S1E_jjP12ihipStream_tbEUljE_ZNSN_ISO_Lb1ESQ_SR_ST_SU_SY_EESZ_S10_S11_S12_S16_S17_S18_S1B_S1C_jS1D_jS1E_S1E_jjS1G_bEUljE0_EEESZ_S10_S11_S18_S1C_S1E_T6_T7_T9_mT8_S1G_bDpT10_ENKUlT_T0_E_clISt17integral_constantIbLb1EES1T_IbLb0EEEEDaS1P_S1Q_EUlS1P_E_NS1_11comp_targetILNS1_3genE9ELNS1_11target_archE1100ELNS1_3gpuE3ELNS1_3repE0EEENS1_30default_config_static_selectorELNS0_4arch9wavefront6targetE1EEEvS12_,@function
_ZN7rocprim17ROCPRIM_400000_NS6detail17trampoline_kernelINS0_13select_configILj256ELj13ELNS0_17block_load_methodE3ELS4_3ELS4_3ELNS0_20block_scan_algorithmE0ELj4294967295EEENS1_25partition_config_selectorILNS1_17partition_subalgoE4EjNS0_10empty_typeEbEEZZNS1_14partition_implILS8_4ELb0ES6_15HIP_vector_typeIjLj2EENS0_17counting_iteratorIjlEEPS9_SG_NS0_5tupleIJPjSI_NS0_16reverse_iteratorISI_EEEEENSH_IJSG_SG_SG_EEES9_SI_JZNS1_25segmented_radix_sort_implINS0_14default_configELb1EPKfPfPKlPlN2at6native12_GLOBAL__N_18offset_tEEE10hipError_tPvRmT1_PNSt15iterator_traitsIS12_E10value_typeET2_T3_PNS13_IS18_E10value_typeET4_jRbjT5_S1E_jjP12ihipStream_tbEUljE_ZNSN_ISO_Lb1ESQ_SR_ST_SU_SY_EESZ_S10_S11_S12_S16_S17_S18_S1B_S1C_jS1D_jS1E_S1E_jjS1G_bEUljE0_EEESZ_S10_S11_S18_S1C_S1E_T6_T7_T9_mT8_S1G_bDpT10_ENKUlT_T0_E_clISt17integral_constantIbLb1EES1T_IbLb0EEEEDaS1P_S1Q_EUlS1P_E_NS1_11comp_targetILNS1_3genE9ELNS1_11target_archE1100ELNS1_3gpuE3ELNS1_3repE0EEENS1_30default_config_static_selectorELNS0_4arch9wavefront6targetE1EEEvS12_: ; @_ZN7rocprim17ROCPRIM_400000_NS6detail17trampoline_kernelINS0_13select_configILj256ELj13ELNS0_17block_load_methodE3ELS4_3ELS4_3ELNS0_20block_scan_algorithmE0ELj4294967295EEENS1_25partition_config_selectorILNS1_17partition_subalgoE4EjNS0_10empty_typeEbEEZZNS1_14partition_implILS8_4ELb0ES6_15HIP_vector_typeIjLj2EENS0_17counting_iteratorIjlEEPS9_SG_NS0_5tupleIJPjSI_NS0_16reverse_iteratorISI_EEEEENSH_IJSG_SG_SG_EEES9_SI_JZNS1_25segmented_radix_sort_implINS0_14default_configELb1EPKfPfPKlPlN2at6native12_GLOBAL__N_18offset_tEEE10hipError_tPvRmT1_PNSt15iterator_traitsIS12_E10value_typeET2_T3_PNS13_IS18_E10value_typeET4_jRbjT5_S1E_jjP12ihipStream_tbEUljE_ZNSN_ISO_Lb1ESQ_SR_ST_SU_SY_EESZ_S10_S11_S12_S16_S17_S18_S1B_S1C_jS1D_jS1E_S1E_jjS1G_bEUljE0_EEESZ_S10_S11_S18_S1C_S1E_T6_T7_T9_mT8_S1G_bDpT10_ENKUlT_T0_E_clISt17integral_constantIbLb1EES1T_IbLb0EEEEDaS1P_S1Q_EUlS1P_E_NS1_11comp_targetILNS1_3genE9ELNS1_11target_archE1100ELNS1_3gpuE3ELNS1_3repE0EEENS1_30default_config_static_selectorELNS0_4arch9wavefront6targetE1EEEvS12_
; %bb.0:
	.section	.rodata,"a",@progbits
	.p2align	6, 0x0
	.amdhsa_kernel _ZN7rocprim17ROCPRIM_400000_NS6detail17trampoline_kernelINS0_13select_configILj256ELj13ELNS0_17block_load_methodE3ELS4_3ELS4_3ELNS0_20block_scan_algorithmE0ELj4294967295EEENS1_25partition_config_selectorILNS1_17partition_subalgoE4EjNS0_10empty_typeEbEEZZNS1_14partition_implILS8_4ELb0ES6_15HIP_vector_typeIjLj2EENS0_17counting_iteratorIjlEEPS9_SG_NS0_5tupleIJPjSI_NS0_16reverse_iteratorISI_EEEEENSH_IJSG_SG_SG_EEES9_SI_JZNS1_25segmented_radix_sort_implINS0_14default_configELb1EPKfPfPKlPlN2at6native12_GLOBAL__N_18offset_tEEE10hipError_tPvRmT1_PNSt15iterator_traitsIS12_E10value_typeET2_T3_PNS13_IS18_E10value_typeET4_jRbjT5_S1E_jjP12ihipStream_tbEUljE_ZNSN_ISO_Lb1ESQ_SR_ST_SU_SY_EESZ_S10_S11_S12_S16_S17_S18_S1B_S1C_jS1D_jS1E_S1E_jjS1G_bEUljE0_EEESZ_S10_S11_S18_S1C_S1E_T6_T7_T9_mT8_S1G_bDpT10_ENKUlT_T0_E_clISt17integral_constantIbLb1EES1T_IbLb0EEEEDaS1P_S1Q_EUlS1P_E_NS1_11comp_targetILNS1_3genE9ELNS1_11target_archE1100ELNS1_3gpuE3ELNS1_3repE0EEENS1_30default_config_static_selectorELNS0_4arch9wavefront6targetE1EEEvS12_
		.amdhsa_group_segment_fixed_size 0
		.amdhsa_private_segment_fixed_size 0
		.amdhsa_kernarg_size 176
		.amdhsa_user_sgpr_count 6
		.amdhsa_user_sgpr_private_segment_buffer 1
		.amdhsa_user_sgpr_dispatch_ptr 0
		.amdhsa_user_sgpr_queue_ptr 0
		.amdhsa_user_sgpr_kernarg_segment_ptr 1
		.amdhsa_user_sgpr_dispatch_id 0
		.amdhsa_user_sgpr_flat_scratch_init 0
		.amdhsa_user_sgpr_kernarg_preload_length 0
		.amdhsa_user_sgpr_kernarg_preload_offset 0
		.amdhsa_user_sgpr_private_segment_size 0
		.amdhsa_uses_dynamic_stack 0
		.amdhsa_system_sgpr_private_segment_wavefront_offset 0
		.amdhsa_system_sgpr_workgroup_id_x 1
		.amdhsa_system_sgpr_workgroup_id_y 0
		.amdhsa_system_sgpr_workgroup_id_z 0
		.amdhsa_system_sgpr_workgroup_info 0
		.amdhsa_system_vgpr_workitem_id 0
		.amdhsa_next_free_vgpr 1
		.amdhsa_next_free_sgpr 0
		.amdhsa_accum_offset 4
		.amdhsa_reserve_vcc 0
		.amdhsa_reserve_flat_scratch 0
		.amdhsa_float_round_mode_32 0
		.amdhsa_float_round_mode_16_64 0
		.amdhsa_float_denorm_mode_32 3
		.amdhsa_float_denorm_mode_16_64 3
		.amdhsa_dx10_clamp 1
		.amdhsa_ieee_mode 1
		.amdhsa_fp16_overflow 0
		.amdhsa_tg_split 0
		.amdhsa_exception_fp_ieee_invalid_op 0
		.amdhsa_exception_fp_denorm_src 0
		.amdhsa_exception_fp_ieee_div_zero 0
		.amdhsa_exception_fp_ieee_overflow 0
		.amdhsa_exception_fp_ieee_underflow 0
		.amdhsa_exception_fp_ieee_inexact 0
		.amdhsa_exception_int_div_zero 0
	.end_amdhsa_kernel
	.section	.text._ZN7rocprim17ROCPRIM_400000_NS6detail17trampoline_kernelINS0_13select_configILj256ELj13ELNS0_17block_load_methodE3ELS4_3ELS4_3ELNS0_20block_scan_algorithmE0ELj4294967295EEENS1_25partition_config_selectorILNS1_17partition_subalgoE4EjNS0_10empty_typeEbEEZZNS1_14partition_implILS8_4ELb0ES6_15HIP_vector_typeIjLj2EENS0_17counting_iteratorIjlEEPS9_SG_NS0_5tupleIJPjSI_NS0_16reverse_iteratorISI_EEEEENSH_IJSG_SG_SG_EEES9_SI_JZNS1_25segmented_radix_sort_implINS0_14default_configELb1EPKfPfPKlPlN2at6native12_GLOBAL__N_18offset_tEEE10hipError_tPvRmT1_PNSt15iterator_traitsIS12_E10value_typeET2_T3_PNS13_IS18_E10value_typeET4_jRbjT5_S1E_jjP12ihipStream_tbEUljE_ZNSN_ISO_Lb1ESQ_SR_ST_SU_SY_EESZ_S10_S11_S12_S16_S17_S18_S1B_S1C_jS1D_jS1E_S1E_jjS1G_bEUljE0_EEESZ_S10_S11_S18_S1C_S1E_T6_T7_T9_mT8_S1G_bDpT10_ENKUlT_T0_E_clISt17integral_constantIbLb1EES1T_IbLb0EEEEDaS1P_S1Q_EUlS1P_E_NS1_11comp_targetILNS1_3genE9ELNS1_11target_archE1100ELNS1_3gpuE3ELNS1_3repE0EEENS1_30default_config_static_selectorELNS0_4arch9wavefront6targetE1EEEvS12_,"axG",@progbits,_ZN7rocprim17ROCPRIM_400000_NS6detail17trampoline_kernelINS0_13select_configILj256ELj13ELNS0_17block_load_methodE3ELS4_3ELS4_3ELNS0_20block_scan_algorithmE0ELj4294967295EEENS1_25partition_config_selectorILNS1_17partition_subalgoE4EjNS0_10empty_typeEbEEZZNS1_14partition_implILS8_4ELb0ES6_15HIP_vector_typeIjLj2EENS0_17counting_iteratorIjlEEPS9_SG_NS0_5tupleIJPjSI_NS0_16reverse_iteratorISI_EEEEENSH_IJSG_SG_SG_EEES9_SI_JZNS1_25segmented_radix_sort_implINS0_14default_configELb1EPKfPfPKlPlN2at6native12_GLOBAL__N_18offset_tEEE10hipError_tPvRmT1_PNSt15iterator_traitsIS12_E10value_typeET2_T3_PNS13_IS18_E10value_typeET4_jRbjT5_S1E_jjP12ihipStream_tbEUljE_ZNSN_ISO_Lb1ESQ_SR_ST_SU_SY_EESZ_S10_S11_S12_S16_S17_S18_S1B_S1C_jS1D_jS1E_S1E_jjS1G_bEUljE0_EEESZ_S10_S11_S18_S1C_S1E_T6_T7_T9_mT8_S1G_bDpT10_ENKUlT_T0_E_clISt17integral_constantIbLb1EES1T_IbLb0EEEEDaS1P_S1Q_EUlS1P_E_NS1_11comp_targetILNS1_3genE9ELNS1_11target_archE1100ELNS1_3gpuE3ELNS1_3repE0EEENS1_30default_config_static_selectorELNS0_4arch9wavefront6targetE1EEEvS12_,comdat
.Lfunc_end1281:
	.size	_ZN7rocprim17ROCPRIM_400000_NS6detail17trampoline_kernelINS0_13select_configILj256ELj13ELNS0_17block_load_methodE3ELS4_3ELS4_3ELNS0_20block_scan_algorithmE0ELj4294967295EEENS1_25partition_config_selectorILNS1_17partition_subalgoE4EjNS0_10empty_typeEbEEZZNS1_14partition_implILS8_4ELb0ES6_15HIP_vector_typeIjLj2EENS0_17counting_iteratorIjlEEPS9_SG_NS0_5tupleIJPjSI_NS0_16reverse_iteratorISI_EEEEENSH_IJSG_SG_SG_EEES9_SI_JZNS1_25segmented_radix_sort_implINS0_14default_configELb1EPKfPfPKlPlN2at6native12_GLOBAL__N_18offset_tEEE10hipError_tPvRmT1_PNSt15iterator_traitsIS12_E10value_typeET2_T3_PNS13_IS18_E10value_typeET4_jRbjT5_S1E_jjP12ihipStream_tbEUljE_ZNSN_ISO_Lb1ESQ_SR_ST_SU_SY_EESZ_S10_S11_S12_S16_S17_S18_S1B_S1C_jS1D_jS1E_S1E_jjS1G_bEUljE0_EEESZ_S10_S11_S18_S1C_S1E_T6_T7_T9_mT8_S1G_bDpT10_ENKUlT_T0_E_clISt17integral_constantIbLb1EES1T_IbLb0EEEEDaS1P_S1Q_EUlS1P_E_NS1_11comp_targetILNS1_3genE9ELNS1_11target_archE1100ELNS1_3gpuE3ELNS1_3repE0EEENS1_30default_config_static_selectorELNS0_4arch9wavefront6targetE1EEEvS12_, .Lfunc_end1281-_ZN7rocprim17ROCPRIM_400000_NS6detail17trampoline_kernelINS0_13select_configILj256ELj13ELNS0_17block_load_methodE3ELS4_3ELS4_3ELNS0_20block_scan_algorithmE0ELj4294967295EEENS1_25partition_config_selectorILNS1_17partition_subalgoE4EjNS0_10empty_typeEbEEZZNS1_14partition_implILS8_4ELb0ES6_15HIP_vector_typeIjLj2EENS0_17counting_iteratorIjlEEPS9_SG_NS0_5tupleIJPjSI_NS0_16reverse_iteratorISI_EEEEENSH_IJSG_SG_SG_EEES9_SI_JZNS1_25segmented_radix_sort_implINS0_14default_configELb1EPKfPfPKlPlN2at6native12_GLOBAL__N_18offset_tEEE10hipError_tPvRmT1_PNSt15iterator_traitsIS12_E10value_typeET2_T3_PNS13_IS18_E10value_typeET4_jRbjT5_S1E_jjP12ihipStream_tbEUljE_ZNSN_ISO_Lb1ESQ_SR_ST_SU_SY_EESZ_S10_S11_S12_S16_S17_S18_S1B_S1C_jS1D_jS1E_S1E_jjS1G_bEUljE0_EEESZ_S10_S11_S18_S1C_S1E_T6_T7_T9_mT8_S1G_bDpT10_ENKUlT_T0_E_clISt17integral_constantIbLb1EES1T_IbLb0EEEEDaS1P_S1Q_EUlS1P_E_NS1_11comp_targetILNS1_3genE9ELNS1_11target_archE1100ELNS1_3gpuE3ELNS1_3repE0EEENS1_30default_config_static_selectorELNS0_4arch9wavefront6targetE1EEEvS12_
                                        ; -- End function
	.section	.AMDGPU.csdata,"",@progbits
; Kernel info:
; codeLenInByte = 0
; NumSgprs: 4
; NumVgprs: 0
; NumAgprs: 0
; TotalNumVgprs: 0
; ScratchSize: 0
; MemoryBound: 0
; FloatMode: 240
; IeeeMode: 1
; LDSByteSize: 0 bytes/workgroup (compile time only)
; SGPRBlocks: 0
; VGPRBlocks: 0
; NumSGPRsForWavesPerEU: 4
; NumVGPRsForWavesPerEU: 1
; AccumOffset: 4
; Occupancy: 8
; WaveLimiterHint : 0
; COMPUTE_PGM_RSRC2:SCRATCH_EN: 0
; COMPUTE_PGM_RSRC2:USER_SGPR: 6
; COMPUTE_PGM_RSRC2:TRAP_HANDLER: 0
; COMPUTE_PGM_RSRC2:TGID_X_EN: 1
; COMPUTE_PGM_RSRC2:TGID_Y_EN: 0
; COMPUTE_PGM_RSRC2:TGID_Z_EN: 0
; COMPUTE_PGM_RSRC2:TIDIG_COMP_CNT: 0
; COMPUTE_PGM_RSRC3_GFX90A:ACCUM_OFFSET: 0
; COMPUTE_PGM_RSRC3_GFX90A:TG_SPLIT: 0
	.section	.text._ZN7rocprim17ROCPRIM_400000_NS6detail17trampoline_kernelINS0_13select_configILj256ELj13ELNS0_17block_load_methodE3ELS4_3ELS4_3ELNS0_20block_scan_algorithmE0ELj4294967295EEENS1_25partition_config_selectorILNS1_17partition_subalgoE4EjNS0_10empty_typeEbEEZZNS1_14partition_implILS8_4ELb0ES6_15HIP_vector_typeIjLj2EENS0_17counting_iteratorIjlEEPS9_SG_NS0_5tupleIJPjSI_NS0_16reverse_iteratorISI_EEEEENSH_IJSG_SG_SG_EEES9_SI_JZNS1_25segmented_radix_sort_implINS0_14default_configELb1EPKfPfPKlPlN2at6native12_GLOBAL__N_18offset_tEEE10hipError_tPvRmT1_PNSt15iterator_traitsIS12_E10value_typeET2_T3_PNS13_IS18_E10value_typeET4_jRbjT5_S1E_jjP12ihipStream_tbEUljE_ZNSN_ISO_Lb1ESQ_SR_ST_SU_SY_EESZ_S10_S11_S12_S16_S17_S18_S1B_S1C_jS1D_jS1E_S1E_jjS1G_bEUljE0_EEESZ_S10_S11_S18_S1C_S1E_T6_T7_T9_mT8_S1G_bDpT10_ENKUlT_T0_E_clISt17integral_constantIbLb1EES1T_IbLb0EEEEDaS1P_S1Q_EUlS1P_E_NS1_11comp_targetILNS1_3genE8ELNS1_11target_archE1030ELNS1_3gpuE2ELNS1_3repE0EEENS1_30default_config_static_selectorELNS0_4arch9wavefront6targetE1EEEvS12_,"axG",@progbits,_ZN7rocprim17ROCPRIM_400000_NS6detail17trampoline_kernelINS0_13select_configILj256ELj13ELNS0_17block_load_methodE3ELS4_3ELS4_3ELNS0_20block_scan_algorithmE0ELj4294967295EEENS1_25partition_config_selectorILNS1_17partition_subalgoE4EjNS0_10empty_typeEbEEZZNS1_14partition_implILS8_4ELb0ES6_15HIP_vector_typeIjLj2EENS0_17counting_iteratorIjlEEPS9_SG_NS0_5tupleIJPjSI_NS0_16reverse_iteratorISI_EEEEENSH_IJSG_SG_SG_EEES9_SI_JZNS1_25segmented_radix_sort_implINS0_14default_configELb1EPKfPfPKlPlN2at6native12_GLOBAL__N_18offset_tEEE10hipError_tPvRmT1_PNSt15iterator_traitsIS12_E10value_typeET2_T3_PNS13_IS18_E10value_typeET4_jRbjT5_S1E_jjP12ihipStream_tbEUljE_ZNSN_ISO_Lb1ESQ_SR_ST_SU_SY_EESZ_S10_S11_S12_S16_S17_S18_S1B_S1C_jS1D_jS1E_S1E_jjS1G_bEUljE0_EEESZ_S10_S11_S18_S1C_S1E_T6_T7_T9_mT8_S1G_bDpT10_ENKUlT_T0_E_clISt17integral_constantIbLb1EES1T_IbLb0EEEEDaS1P_S1Q_EUlS1P_E_NS1_11comp_targetILNS1_3genE8ELNS1_11target_archE1030ELNS1_3gpuE2ELNS1_3repE0EEENS1_30default_config_static_selectorELNS0_4arch9wavefront6targetE1EEEvS12_,comdat
	.globl	_ZN7rocprim17ROCPRIM_400000_NS6detail17trampoline_kernelINS0_13select_configILj256ELj13ELNS0_17block_load_methodE3ELS4_3ELS4_3ELNS0_20block_scan_algorithmE0ELj4294967295EEENS1_25partition_config_selectorILNS1_17partition_subalgoE4EjNS0_10empty_typeEbEEZZNS1_14partition_implILS8_4ELb0ES6_15HIP_vector_typeIjLj2EENS0_17counting_iteratorIjlEEPS9_SG_NS0_5tupleIJPjSI_NS0_16reverse_iteratorISI_EEEEENSH_IJSG_SG_SG_EEES9_SI_JZNS1_25segmented_radix_sort_implINS0_14default_configELb1EPKfPfPKlPlN2at6native12_GLOBAL__N_18offset_tEEE10hipError_tPvRmT1_PNSt15iterator_traitsIS12_E10value_typeET2_T3_PNS13_IS18_E10value_typeET4_jRbjT5_S1E_jjP12ihipStream_tbEUljE_ZNSN_ISO_Lb1ESQ_SR_ST_SU_SY_EESZ_S10_S11_S12_S16_S17_S18_S1B_S1C_jS1D_jS1E_S1E_jjS1G_bEUljE0_EEESZ_S10_S11_S18_S1C_S1E_T6_T7_T9_mT8_S1G_bDpT10_ENKUlT_T0_E_clISt17integral_constantIbLb1EES1T_IbLb0EEEEDaS1P_S1Q_EUlS1P_E_NS1_11comp_targetILNS1_3genE8ELNS1_11target_archE1030ELNS1_3gpuE2ELNS1_3repE0EEENS1_30default_config_static_selectorELNS0_4arch9wavefront6targetE1EEEvS12_ ; -- Begin function _ZN7rocprim17ROCPRIM_400000_NS6detail17trampoline_kernelINS0_13select_configILj256ELj13ELNS0_17block_load_methodE3ELS4_3ELS4_3ELNS0_20block_scan_algorithmE0ELj4294967295EEENS1_25partition_config_selectorILNS1_17partition_subalgoE4EjNS0_10empty_typeEbEEZZNS1_14partition_implILS8_4ELb0ES6_15HIP_vector_typeIjLj2EENS0_17counting_iteratorIjlEEPS9_SG_NS0_5tupleIJPjSI_NS0_16reverse_iteratorISI_EEEEENSH_IJSG_SG_SG_EEES9_SI_JZNS1_25segmented_radix_sort_implINS0_14default_configELb1EPKfPfPKlPlN2at6native12_GLOBAL__N_18offset_tEEE10hipError_tPvRmT1_PNSt15iterator_traitsIS12_E10value_typeET2_T3_PNS13_IS18_E10value_typeET4_jRbjT5_S1E_jjP12ihipStream_tbEUljE_ZNSN_ISO_Lb1ESQ_SR_ST_SU_SY_EESZ_S10_S11_S12_S16_S17_S18_S1B_S1C_jS1D_jS1E_S1E_jjS1G_bEUljE0_EEESZ_S10_S11_S18_S1C_S1E_T6_T7_T9_mT8_S1G_bDpT10_ENKUlT_T0_E_clISt17integral_constantIbLb1EES1T_IbLb0EEEEDaS1P_S1Q_EUlS1P_E_NS1_11comp_targetILNS1_3genE8ELNS1_11target_archE1030ELNS1_3gpuE2ELNS1_3repE0EEENS1_30default_config_static_selectorELNS0_4arch9wavefront6targetE1EEEvS12_
	.p2align	8
	.type	_ZN7rocprim17ROCPRIM_400000_NS6detail17trampoline_kernelINS0_13select_configILj256ELj13ELNS0_17block_load_methodE3ELS4_3ELS4_3ELNS0_20block_scan_algorithmE0ELj4294967295EEENS1_25partition_config_selectorILNS1_17partition_subalgoE4EjNS0_10empty_typeEbEEZZNS1_14partition_implILS8_4ELb0ES6_15HIP_vector_typeIjLj2EENS0_17counting_iteratorIjlEEPS9_SG_NS0_5tupleIJPjSI_NS0_16reverse_iteratorISI_EEEEENSH_IJSG_SG_SG_EEES9_SI_JZNS1_25segmented_radix_sort_implINS0_14default_configELb1EPKfPfPKlPlN2at6native12_GLOBAL__N_18offset_tEEE10hipError_tPvRmT1_PNSt15iterator_traitsIS12_E10value_typeET2_T3_PNS13_IS18_E10value_typeET4_jRbjT5_S1E_jjP12ihipStream_tbEUljE_ZNSN_ISO_Lb1ESQ_SR_ST_SU_SY_EESZ_S10_S11_S12_S16_S17_S18_S1B_S1C_jS1D_jS1E_S1E_jjS1G_bEUljE0_EEESZ_S10_S11_S18_S1C_S1E_T6_T7_T9_mT8_S1G_bDpT10_ENKUlT_T0_E_clISt17integral_constantIbLb1EES1T_IbLb0EEEEDaS1P_S1Q_EUlS1P_E_NS1_11comp_targetILNS1_3genE8ELNS1_11target_archE1030ELNS1_3gpuE2ELNS1_3repE0EEENS1_30default_config_static_selectorELNS0_4arch9wavefront6targetE1EEEvS12_,@function
_ZN7rocprim17ROCPRIM_400000_NS6detail17trampoline_kernelINS0_13select_configILj256ELj13ELNS0_17block_load_methodE3ELS4_3ELS4_3ELNS0_20block_scan_algorithmE0ELj4294967295EEENS1_25partition_config_selectorILNS1_17partition_subalgoE4EjNS0_10empty_typeEbEEZZNS1_14partition_implILS8_4ELb0ES6_15HIP_vector_typeIjLj2EENS0_17counting_iteratorIjlEEPS9_SG_NS0_5tupleIJPjSI_NS0_16reverse_iteratorISI_EEEEENSH_IJSG_SG_SG_EEES9_SI_JZNS1_25segmented_radix_sort_implINS0_14default_configELb1EPKfPfPKlPlN2at6native12_GLOBAL__N_18offset_tEEE10hipError_tPvRmT1_PNSt15iterator_traitsIS12_E10value_typeET2_T3_PNS13_IS18_E10value_typeET4_jRbjT5_S1E_jjP12ihipStream_tbEUljE_ZNSN_ISO_Lb1ESQ_SR_ST_SU_SY_EESZ_S10_S11_S12_S16_S17_S18_S1B_S1C_jS1D_jS1E_S1E_jjS1G_bEUljE0_EEESZ_S10_S11_S18_S1C_S1E_T6_T7_T9_mT8_S1G_bDpT10_ENKUlT_T0_E_clISt17integral_constantIbLb1EES1T_IbLb0EEEEDaS1P_S1Q_EUlS1P_E_NS1_11comp_targetILNS1_3genE8ELNS1_11target_archE1030ELNS1_3gpuE2ELNS1_3repE0EEENS1_30default_config_static_selectorELNS0_4arch9wavefront6targetE1EEEvS12_: ; @_ZN7rocprim17ROCPRIM_400000_NS6detail17trampoline_kernelINS0_13select_configILj256ELj13ELNS0_17block_load_methodE3ELS4_3ELS4_3ELNS0_20block_scan_algorithmE0ELj4294967295EEENS1_25partition_config_selectorILNS1_17partition_subalgoE4EjNS0_10empty_typeEbEEZZNS1_14partition_implILS8_4ELb0ES6_15HIP_vector_typeIjLj2EENS0_17counting_iteratorIjlEEPS9_SG_NS0_5tupleIJPjSI_NS0_16reverse_iteratorISI_EEEEENSH_IJSG_SG_SG_EEES9_SI_JZNS1_25segmented_radix_sort_implINS0_14default_configELb1EPKfPfPKlPlN2at6native12_GLOBAL__N_18offset_tEEE10hipError_tPvRmT1_PNSt15iterator_traitsIS12_E10value_typeET2_T3_PNS13_IS18_E10value_typeET4_jRbjT5_S1E_jjP12ihipStream_tbEUljE_ZNSN_ISO_Lb1ESQ_SR_ST_SU_SY_EESZ_S10_S11_S12_S16_S17_S18_S1B_S1C_jS1D_jS1E_S1E_jjS1G_bEUljE0_EEESZ_S10_S11_S18_S1C_S1E_T6_T7_T9_mT8_S1G_bDpT10_ENKUlT_T0_E_clISt17integral_constantIbLb1EES1T_IbLb0EEEEDaS1P_S1Q_EUlS1P_E_NS1_11comp_targetILNS1_3genE8ELNS1_11target_archE1030ELNS1_3gpuE2ELNS1_3repE0EEENS1_30default_config_static_selectorELNS0_4arch9wavefront6targetE1EEEvS12_
; %bb.0:
	.section	.rodata,"a",@progbits
	.p2align	6, 0x0
	.amdhsa_kernel _ZN7rocprim17ROCPRIM_400000_NS6detail17trampoline_kernelINS0_13select_configILj256ELj13ELNS0_17block_load_methodE3ELS4_3ELS4_3ELNS0_20block_scan_algorithmE0ELj4294967295EEENS1_25partition_config_selectorILNS1_17partition_subalgoE4EjNS0_10empty_typeEbEEZZNS1_14partition_implILS8_4ELb0ES6_15HIP_vector_typeIjLj2EENS0_17counting_iteratorIjlEEPS9_SG_NS0_5tupleIJPjSI_NS0_16reverse_iteratorISI_EEEEENSH_IJSG_SG_SG_EEES9_SI_JZNS1_25segmented_radix_sort_implINS0_14default_configELb1EPKfPfPKlPlN2at6native12_GLOBAL__N_18offset_tEEE10hipError_tPvRmT1_PNSt15iterator_traitsIS12_E10value_typeET2_T3_PNS13_IS18_E10value_typeET4_jRbjT5_S1E_jjP12ihipStream_tbEUljE_ZNSN_ISO_Lb1ESQ_SR_ST_SU_SY_EESZ_S10_S11_S12_S16_S17_S18_S1B_S1C_jS1D_jS1E_S1E_jjS1G_bEUljE0_EEESZ_S10_S11_S18_S1C_S1E_T6_T7_T9_mT8_S1G_bDpT10_ENKUlT_T0_E_clISt17integral_constantIbLb1EES1T_IbLb0EEEEDaS1P_S1Q_EUlS1P_E_NS1_11comp_targetILNS1_3genE8ELNS1_11target_archE1030ELNS1_3gpuE2ELNS1_3repE0EEENS1_30default_config_static_selectorELNS0_4arch9wavefront6targetE1EEEvS12_
		.amdhsa_group_segment_fixed_size 0
		.amdhsa_private_segment_fixed_size 0
		.amdhsa_kernarg_size 176
		.amdhsa_user_sgpr_count 6
		.amdhsa_user_sgpr_private_segment_buffer 1
		.amdhsa_user_sgpr_dispatch_ptr 0
		.amdhsa_user_sgpr_queue_ptr 0
		.amdhsa_user_sgpr_kernarg_segment_ptr 1
		.amdhsa_user_sgpr_dispatch_id 0
		.amdhsa_user_sgpr_flat_scratch_init 0
		.amdhsa_user_sgpr_kernarg_preload_length 0
		.amdhsa_user_sgpr_kernarg_preload_offset 0
		.amdhsa_user_sgpr_private_segment_size 0
		.amdhsa_uses_dynamic_stack 0
		.amdhsa_system_sgpr_private_segment_wavefront_offset 0
		.amdhsa_system_sgpr_workgroup_id_x 1
		.amdhsa_system_sgpr_workgroup_id_y 0
		.amdhsa_system_sgpr_workgroup_id_z 0
		.amdhsa_system_sgpr_workgroup_info 0
		.amdhsa_system_vgpr_workitem_id 0
		.amdhsa_next_free_vgpr 1
		.amdhsa_next_free_sgpr 0
		.amdhsa_accum_offset 4
		.amdhsa_reserve_vcc 0
		.amdhsa_reserve_flat_scratch 0
		.amdhsa_float_round_mode_32 0
		.amdhsa_float_round_mode_16_64 0
		.amdhsa_float_denorm_mode_32 3
		.amdhsa_float_denorm_mode_16_64 3
		.amdhsa_dx10_clamp 1
		.amdhsa_ieee_mode 1
		.amdhsa_fp16_overflow 0
		.amdhsa_tg_split 0
		.amdhsa_exception_fp_ieee_invalid_op 0
		.amdhsa_exception_fp_denorm_src 0
		.amdhsa_exception_fp_ieee_div_zero 0
		.amdhsa_exception_fp_ieee_overflow 0
		.amdhsa_exception_fp_ieee_underflow 0
		.amdhsa_exception_fp_ieee_inexact 0
		.amdhsa_exception_int_div_zero 0
	.end_amdhsa_kernel
	.section	.text._ZN7rocprim17ROCPRIM_400000_NS6detail17trampoline_kernelINS0_13select_configILj256ELj13ELNS0_17block_load_methodE3ELS4_3ELS4_3ELNS0_20block_scan_algorithmE0ELj4294967295EEENS1_25partition_config_selectorILNS1_17partition_subalgoE4EjNS0_10empty_typeEbEEZZNS1_14partition_implILS8_4ELb0ES6_15HIP_vector_typeIjLj2EENS0_17counting_iteratorIjlEEPS9_SG_NS0_5tupleIJPjSI_NS0_16reverse_iteratorISI_EEEEENSH_IJSG_SG_SG_EEES9_SI_JZNS1_25segmented_radix_sort_implINS0_14default_configELb1EPKfPfPKlPlN2at6native12_GLOBAL__N_18offset_tEEE10hipError_tPvRmT1_PNSt15iterator_traitsIS12_E10value_typeET2_T3_PNS13_IS18_E10value_typeET4_jRbjT5_S1E_jjP12ihipStream_tbEUljE_ZNSN_ISO_Lb1ESQ_SR_ST_SU_SY_EESZ_S10_S11_S12_S16_S17_S18_S1B_S1C_jS1D_jS1E_S1E_jjS1G_bEUljE0_EEESZ_S10_S11_S18_S1C_S1E_T6_T7_T9_mT8_S1G_bDpT10_ENKUlT_T0_E_clISt17integral_constantIbLb1EES1T_IbLb0EEEEDaS1P_S1Q_EUlS1P_E_NS1_11comp_targetILNS1_3genE8ELNS1_11target_archE1030ELNS1_3gpuE2ELNS1_3repE0EEENS1_30default_config_static_selectorELNS0_4arch9wavefront6targetE1EEEvS12_,"axG",@progbits,_ZN7rocprim17ROCPRIM_400000_NS6detail17trampoline_kernelINS0_13select_configILj256ELj13ELNS0_17block_load_methodE3ELS4_3ELS4_3ELNS0_20block_scan_algorithmE0ELj4294967295EEENS1_25partition_config_selectorILNS1_17partition_subalgoE4EjNS0_10empty_typeEbEEZZNS1_14partition_implILS8_4ELb0ES6_15HIP_vector_typeIjLj2EENS0_17counting_iteratorIjlEEPS9_SG_NS0_5tupleIJPjSI_NS0_16reverse_iteratorISI_EEEEENSH_IJSG_SG_SG_EEES9_SI_JZNS1_25segmented_radix_sort_implINS0_14default_configELb1EPKfPfPKlPlN2at6native12_GLOBAL__N_18offset_tEEE10hipError_tPvRmT1_PNSt15iterator_traitsIS12_E10value_typeET2_T3_PNS13_IS18_E10value_typeET4_jRbjT5_S1E_jjP12ihipStream_tbEUljE_ZNSN_ISO_Lb1ESQ_SR_ST_SU_SY_EESZ_S10_S11_S12_S16_S17_S18_S1B_S1C_jS1D_jS1E_S1E_jjS1G_bEUljE0_EEESZ_S10_S11_S18_S1C_S1E_T6_T7_T9_mT8_S1G_bDpT10_ENKUlT_T0_E_clISt17integral_constantIbLb1EES1T_IbLb0EEEEDaS1P_S1Q_EUlS1P_E_NS1_11comp_targetILNS1_3genE8ELNS1_11target_archE1030ELNS1_3gpuE2ELNS1_3repE0EEENS1_30default_config_static_selectorELNS0_4arch9wavefront6targetE1EEEvS12_,comdat
.Lfunc_end1282:
	.size	_ZN7rocprim17ROCPRIM_400000_NS6detail17trampoline_kernelINS0_13select_configILj256ELj13ELNS0_17block_load_methodE3ELS4_3ELS4_3ELNS0_20block_scan_algorithmE0ELj4294967295EEENS1_25partition_config_selectorILNS1_17partition_subalgoE4EjNS0_10empty_typeEbEEZZNS1_14partition_implILS8_4ELb0ES6_15HIP_vector_typeIjLj2EENS0_17counting_iteratorIjlEEPS9_SG_NS0_5tupleIJPjSI_NS0_16reverse_iteratorISI_EEEEENSH_IJSG_SG_SG_EEES9_SI_JZNS1_25segmented_radix_sort_implINS0_14default_configELb1EPKfPfPKlPlN2at6native12_GLOBAL__N_18offset_tEEE10hipError_tPvRmT1_PNSt15iterator_traitsIS12_E10value_typeET2_T3_PNS13_IS18_E10value_typeET4_jRbjT5_S1E_jjP12ihipStream_tbEUljE_ZNSN_ISO_Lb1ESQ_SR_ST_SU_SY_EESZ_S10_S11_S12_S16_S17_S18_S1B_S1C_jS1D_jS1E_S1E_jjS1G_bEUljE0_EEESZ_S10_S11_S18_S1C_S1E_T6_T7_T9_mT8_S1G_bDpT10_ENKUlT_T0_E_clISt17integral_constantIbLb1EES1T_IbLb0EEEEDaS1P_S1Q_EUlS1P_E_NS1_11comp_targetILNS1_3genE8ELNS1_11target_archE1030ELNS1_3gpuE2ELNS1_3repE0EEENS1_30default_config_static_selectorELNS0_4arch9wavefront6targetE1EEEvS12_, .Lfunc_end1282-_ZN7rocprim17ROCPRIM_400000_NS6detail17trampoline_kernelINS0_13select_configILj256ELj13ELNS0_17block_load_methodE3ELS4_3ELS4_3ELNS0_20block_scan_algorithmE0ELj4294967295EEENS1_25partition_config_selectorILNS1_17partition_subalgoE4EjNS0_10empty_typeEbEEZZNS1_14partition_implILS8_4ELb0ES6_15HIP_vector_typeIjLj2EENS0_17counting_iteratorIjlEEPS9_SG_NS0_5tupleIJPjSI_NS0_16reverse_iteratorISI_EEEEENSH_IJSG_SG_SG_EEES9_SI_JZNS1_25segmented_radix_sort_implINS0_14default_configELb1EPKfPfPKlPlN2at6native12_GLOBAL__N_18offset_tEEE10hipError_tPvRmT1_PNSt15iterator_traitsIS12_E10value_typeET2_T3_PNS13_IS18_E10value_typeET4_jRbjT5_S1E_jjP12ihipStream_tbEUljE_ZNSN_ISO_Lb1ESQ_SR_ST_SU_SY_EESZ_S10_S11_S12_S16_S17_S18_S1B_S1C_jS1D_jS1E_S1E_jjS1G_bEUljE0_EEESZ_S10_S11_S18_S1C_S1E_T6_T7_T9_mT8_S1G_bDpT10_ENKUlT_T0_E_clISt17integral_constantIbLb1EES1T_IbLb0EEEEDaS1P_S1Q_EUlS1P_E_NS1_11comp_targetILNS1_3genE8ELNS1_11target_archE1030ELNS1_3gpuE2ELNS1_3repE0EEENS1_30default_config_static_selectorELNS0_4arch9wavefront6targetE1EEEvS12_
                                        ; -- End function
	.section	.AMDGPU.csdata,"",@progbits
; Kernel info:
; codeLenInByte = 0
; NumSgprs: 4
; NumVgprs: 0
; NumAgprs: 0
; TotalNumVgprs: 0
; ScratchSize: 0
; MemoryBound: 0
; FloatMode: 240
; IeeeMode: 1
; LDSByteSize: 0 bytes/workgroup (compile time only)
; SGPRBlocks: 0
; VGPRBlocks: 0
; NumSGPRsForWavesPerEU: 4
; NumVGPRsForWavesPerEU: 1
; AccumOffset: 4
; Occupancy: 8
; WaveLimiterHint : 0
; COMPUTE_PGM_RSRC2:SCRATCH_EN: 0
; COMPUTE_PGM_RSRC2:USER_SGPR: 6
; COMPUTE_PGM_RSRC2:TRAP_HANDLER: 0
; COMPUTE_PGM_RSRC2:TGID_X_EN: 1
; COMPUTE_PGM_RSRC2:TGID_Y_EN: 0
; COMPUTE_PGM_RSRC2:TGID_Z_EN: 0
; COMPUTE_PGM_RSRC2:TIDIG_COMP_CNT: 0
; COMPUTE_PGM_RSRC3_GFX90A:ACCUM_OFFSET: 0
; COMPUTE_PGM_RSRC3_GFX90A:TG_SPLIT: 0
	.section	.text._ZN7rocprim17ROCPRIM_400000_NS6detail17trampoline_kernelINS0_13select_configILj256ELj13ELNS0_17block_load_methodE3ELS4_3ELS4_3ELNS0_20block_scan_algorithmE0ELj4294967295EEENS1_25partition_config_selectorILNS1_17partition_subalgoE4EjNS0_10empty_typeEbEEZZNS1_14partition_implILS8_4ELb0ES6_15HIP_vector_typeIjLj2EENS0_17counting_iteratorIjlEEPS9_SG_NS0_5tupleIJPjSI_NS0_16reverse_iteratorISI_EEEEENSH_IJSG_SG_SG_EEES9_SI_JZNS1_25segmented_radix_sort_implINS0_14default_configELb1EPKfPfPKlPlN2at6native12_GLOBAL__N_18offset_tEEE10hipError_tPvRmT1_PNSt15iterator_traitsIS12_E10value_typeET2_T3_PNS13_IS18_E10value_typeET4_jRbjT5_S1E_jjP12ihipStream_tbEUljE_ZNSN_ISO_Lb1ESQ_SR_ST_SU_SY_EESZ_S10_S11_S12_S16_S17_S18_S1B_S1C_jS1D_jS1E_S1E_jjS1G_bEUljE0_EEESZ_S10_S11_S18_S1C_S1E_T6_T7_T9_mT8_S1G_bDpT10_ENKUlT_T0_E_clISt17integral_constantIbLb0EES1T_IbLb1EEEEDaS1P_S1Q_EUlS1P_E_NS1_11comp_targetILNS1_3genE0ELNS1_11target_archE4294967295ELNS1_3gpuE0ELNS1_3repE0EEENS1_30default_config_static_selectorELNS0_4arch9wavefront6targetE1EEEvS12_,"axG",@progbits,_ZN7rocprim17ROCPRIM_400000_NS6detail17trampoline_kernelINS0_13select_configILj256ELj13ELNS0_17block_load_methodE3ELS4_3ELS4_3ELNS0_20block_scan_algorithmE0ELj4294967295EEENS1_25partition_config_selectorILNS1_17partition_subalgoE4EjNS0_10empty_typeEbEEZZNS1_14partition_implILS8_4ELb0ES6_15HIP_vector_typeIjLj2EENS0_17counting_iteratorIjlEEPS9_SG_NS0_5tupleIJPjSI_NS0_16reverse_iteratorISI_EEEEENSH_IJSG_SG_SG_EEES9_SI_JZNS1_25segmented_radix_sort_implINS0_14default_configELb1EPKfPfPKlPlN2at6native12_GLOBAL__N_18offset_tEEE10hipError_tPvRmT1_PNSt15iterator_traitsIS12_E10value_typeET2_T3_PNS13_IS18_E10value_typeET4_jRbjT5_S1E_jjP12ihipStream_tbEUljE_ZNSN_ISO_Lb1ESQ_SR_ST_SU_SY_EESZ_S10_S11_S12_S16_S17_S18_S1B_S1C_jS1D_jS1E_S1E_jjS1G_bEUljE0_EEESZ_S10_S11_S18_S1C_S1E_T6_T7_T9_mT8_S1G_bDpT10_ENKUlT_T0_E_clISt17integral_constantIbLb0EES1T_IbLb1EEEEDaS1P_S1Q_EUlS1P_E_NS1_11comp_targetILNS1_3genE0ELNS1_11target_archE4294967295ELNS1_3gpuE0ELNS1_3repE0EEENS1_30default_config_static_selectorELNS0_4arch9wavefront6targetE1EEEvS12_,comdat
	.globl	_ZN7rocprim17ROCPRIM_400000_NS6detail17trampoline_kernelINS0_13select_configILj256ELj13ELNS0_17block_load_methodE3ELS4_3ELS4_3ELNS0_20block_scan_algorithmE0ELj4294967295EEENS1_25partition_config_selectorILNS1_17partition_subalgoE4EjNS0_10empty_typeEbEEZZNS1_14partition_implILS8_4ELb0ES6_15HIP_vector_typeIjLj2EENS0_17counting_iteratorIjlEEPS9_SG_NS0_5tupleIJPjSI_NS0_16reverse_iteratorISI_EEEEENSH_IJSG_SG_SG_EEES9_SI_JZNS1_25segmented_radix_sort_implINS0_14default_configELb1EPKfPfPKlPlN2at6native12_GLOBAL__N_18offset_tEEE10hipError_tPvRmT1_PNSt15iterator_traitsIS12_E10value_typeET2_T3_PNS13_IS18_E10value_typeET4_jRbjT5_S1E_jjP12ihipStream_tbEUljE_ZNSN_ISO_Lb1ESQ_SR_ST_SU_SY_EESZ_S10_S11_S12_S16_S17_S18_S1B_S1C_jS1D_jS1E_S1E_jjS1G_bEUljE0_EEESZ_S10_S11_S18_S1C_S1E_T6_T7_T9_mT8_S1G_bDpT10_ENKUlT_T0_E_clISt17integral_constantIbLb0EES1T_IbLb1EEEEDaS1P_S1Q_EUlS1P_E_NS1_11comp_targetILNS1_3genE0ELNS1_11target_archE4294967295ELNS1_3gpuE0ELNS1_3repE0EEENS1_30default_config_static_selectorELNS0_4arch9wavefront6targetE1EEEvS12_ ; -- Begin function _ZN7rocprim17ROCPRIM_400000_NS6detail17trampoline_kernelINS0_13select_configILj256ELj13ELNS0_17block_load_methodE3ELS4_3ELS4_3ELNS0_20block_scan_algorithmE0ELj4294967295EEENS1_25partition_config_selectorILNS1_17partition_subalgoE4EjNS0_10empty_typeEbEEZZNS1_14partition_implILS8_4ELb0ES6_15HIP_vector_typeIjLj2EENS0_17counting_iteratorIjlEEPS9_SG_NS0_5tupleIJPjSI_NS0_16reverse_iteratorISI_EEEEENSH_IJSG_SG_SG_EEES9_SI_JZNS1_25segmented_radix_sort_implINS0_14default_configELb1EPKfPfPKlPlN2at6native12_GLOBAL__N_18offset_tEEE10hipError_tPvRmT1_PNSt15iterator_traitsIS12_E10value_typeET2_T3_PNS13_IS18_E10value_typeET4_jRbjT5_S1E_jjP12ihipStream_tbEUljE_ZNSN_ISO_Lb1ESQ_SR_ST_SU_SY_EESZ_S10_S11_S12_S16_S17_S18_S1B_S1C_jS1D_jS1E_S1E_jjS1G_bEUljE0_EEESZ_S10_S11_S18_S1C_S1E_T6_T7_T9_mT8_S1G_bDpT10_ENKUlT_T0_E_clISt17integral_constantIbLb0EES1T_IbLb1EEEEDaS1P_S1Q_EUlS1P_E_NS1_11comp_targetILNS1_3genE0ELNS1_11target_archE4294967295ELNS1_3gpuE0ELNS1_3repE0EEENS1_30default_config_static_selectorELNS0_4arch9wavefront6targetE1EEEvS12_
	.p2align	8
	.type	_ZN7rocprim17ROCPRIM_400000_NS6detail17trampoline_kernelINS0_13select_configILj256ELj13ELNS0_17block_load_methodE3ELS4_3ELS4_3ELNS0_20block_scan_algorithmE0ELj4294967295EEENS1_25partition_config_selectorILNS1_17partition_subalgoE4EjNS0_10empty_typeEbEEZZNS1_14partition_implILS8_4ELb0ES6_15HIP_vector_typeIjLj2EENS0_17counting_iteratorIjlEEPS9_SG_NS0_5tupleIJPjSI_NS0_16reverse_iteratorISI_EEEEENSH_IJSG_SG_SG_EEES9_SI_JZNS1_25segmented_radix_sort_implINS0_14default_configELb1EPKfPfPKlPlN2at6native12_GLOBAL__N_18offset_tEEE10hipError_tPvRmT1_PNSt15iterator_traitsIS12_E10value_typeET2_T3_PNS13_IS18_E10value_typeET4_jRbjT5_S1E_jjP12ihipStream_tbEUljE_ZNSN_ISO_Lb1ESQ_SR_ST_SU_SY_EESZ_S10_S11_S12_S16_S17_S18_S1B_S1C_jS1D_jS1E_S1E_jjS1G_bEUljE0_EEESZ_S10_S11_S18_S1C_S1E_T6_T7_T9_mT8_S1G_bDpT10_ENKUlT_T0_E_clISt17integral_constantIbLb0EES1T_IbLb1EEEEDaS1P_S1Q_EUlS1P_E_NS1_11comp_targetILNS1_3genE0ELNS1_11target_archE4294967295ELNS1_3gpuE0ELNS1_3repE0EEENS1_30default_config_static_selectorELNS0_4arch9wavefront6targetE1EEEvS12_,@function
_ZN7rocprim17ROCPRIM_400000_NS6detail17trampoline_kernelINS0_13select_configILj256ELj13ELNS0_17block_load_methodE3ELS4_3ELS4_3ELNS0_20block_scan_algorithmE0ELj4294967295EEENS1_25partition_config_selectorILNS1_17partition_subalgoE4EjNS0_10empty_typeEbEEZZNS1_14partition_implILS8_4ELb0ES6_15HIP_vector_typeIjLj2EENS0_17counting_iteratorIjlEEPS9_SG_NS0_5tupleIJPjSI_NS0_16reverse_iteratorISI_EEEEENSH_IJSG_SG_SG_EEES9_SI_JZNS1_25segmented_radix_sort_implINS0_14default_configELb1EPKfPfPKlPlN2at6native12_GLOBAL__N_18offset_tEEE10hipError_tPvRmT1_PNSt15iterator_traitsIS12_E10value_typeET2_T3_PNS13_IS18_E10value_typeET4_jRbjT5_S1E_jjP12ihipStream_tbEUljE_ZNSN_ISO_Lb1ESQ_SR_ST_SU_SY_EESZ_S10_S11_S12_S16_S17_S18_S1B_S1C_jS1D_jS1E_S1E_jjS1G_bEUljE0_EEESZ_S10_S11_S18_S1C_S1E_T6_T7_T9_mT8_S1G_bDpT10_ENKUlT_T0_E_clISt17integral_constantIbLb0EES1T_IbLb1EEEEDaS1P_S1Q_EUlS1P_E_NS1_11comp_targetILNS1_3genE0ELNS1_11target_archE4294967295ELNS1_3gpuE0ELNS1_3repE0EEENS1_30default_config_static_selectorELNS0_4arch9wavefront6targetE1EEEvS12_: ; @_ZN7rocprim17ROCPRIM_400000_NS6detail17trampoline_kernelINS0_13select_configILj256ELj13ELNS0_17block_load_methodE3ELS4_3ELS4_3ELNS0_20block_scan_algorithmE0ELj4294967295EEENS1_25partition_config_selectorILNS1_17partition_subalgoE4EjNS0_10empty_typeEbEEZZNS1_14partition_implILS8_4ELb0ES6_15HIP_vector_typeIjLj2EENS0_17counting_iteratorIjlEEPS9_SG_NS0_5tupleIJPjSI_NS0_16reverse_iteratorISI_EEEEENSH_IJSG_SG_SG_EEES9_SI_JZNS1_25segmented_radix_sort_implINS0_14default_configELb1EPKfPfPKlPlN2at6native12_GLOBAL__N_18offset_tEEE10hipError_tPvRmT1_PNSt15iterator_traitsIS12_E10value_typeET2_T3_PNS13_IS18_E10value_typeET4_jRbjT5_S1E_jjP12ihipStream_tbEUljE_ZNSN_ISO_Lb1ESQ_SR_ST_SU_SY_EESZ_S10_S11_S12_S16_S17_S18_S1B_S1C_jS1D_jS1E_S1E_jjS1G_bEUljE0_EEESZ_S10_S11_S18_S1C_S1E_T6_T7_T9_mT8_S1G_bDpT10_ENKUlT_T0_E_clISt17integral_constantIbLb0EES1T_IbLb1EEEEDaS1P_S1Q_EUlS1P_E_NS1_11comp_targetILNS1_3genE0ELNS1_11target_archE4294967295ELNS1_3gpuE0ELNS1_3repE0EEENS1_30default_config_static_selectorELNS0_4arch9wavefront6targetE1EEEvS12_
; %bb.0:
	.section	.rodata,"a",@progbits
	.p2align	6, 0x0
	.amdhsa_kernel _ZN7rocprim17ROCPRIM_400000_NS6detail17trampoline_kernelINS0_13select_configILj256ELj13ELNS0_17block_load_methodE3ELS4_3ELS4_3ELNS0_20block_scan_algorithmE0ELj4294967295EEENS1_25partition_config_selectorILNS1_17partition_subalgoE4EjNS0_10empty_typeEbEEZZNS1_14partition_implILS8_4ELb0ES6_15HIP_vector_typeIjLj2EENS0_17counting_iteratorIjlEEPS9_SG_NS0_5tupleIJPjSI_NS0_16reverse_iteratorISI_EEEEENSH_IJSG_SG_SG_EEES9_SI_JZNS1_25segmented_radix_sort_implINS0_14default_configELb1EPKfPfPKlPlN2at6native12_GLOBAL__N_18offset_tEEE10hipError_tPvRmT1_PNSt15iterator_traitsIS12_E10value_typeET2_T3_PNS13_IS18_E10value_typeET4_jRbjT5_S1E_jjP12ihipStream_tbEUljE_ZNSN_ISO_Lb1ESQ_SR_ST_SU_SY_EESZ_S10_S11_S12_S16_S17_S18_S1B_S1C_jS1D_jS1E_S1E_jjS1G_bEUljE0_EEESZ_S10_S11_S18_S1C_S1E_T6_T7_T9_mT8_S1G_bDpT10_ENKUlT_T0_E_clISt17integral_constantIbLb0EES1T_IbLb1EEEEDaS1P_S1Q_EUlS1P_E_NS1_11comp_targetILNS1_3genE0ELNS1_11target_archE4294967295ELNS1_3gpuE0ELNS1_3repE0EEENS1_30default_config_static_selectorELNS0_4arch9wavefront6targetE1EEEvS12_
		.amdhsa_group_segment_fixed_size 0
		.amdhsa_private_segment_fixed_size 0
		.amdhsa_kernarg_size 184
		.amdhsa_user_sgpr_count 6
		.amdhsa_user_sgpr_private_segment_buffer 1
		.amdhsa_user_sgpr_dispatch_ptr 0
		.amdhsa_user_sgpr_queue_ptr 0
		.amdhsa_user_sgpr_kernarg_segment_ptr 1
		.amdhsa_user_sgpr_dispatch_id 0
		.amdhsa_user_sgpr_flat_scratch_init 0
		.amdhsa_user_sgpr_kernarg_preload_length 0
		.amdhsa_user_sgpr_kernarg_preload_offset 0
		.amdhsa_user_sgpr_private_segment_size 0
		.amdhsa_uses_dynamic_stack 0
		.amdhsa_system_sgpr_private_segment_wavefront_offset 0
		.amdhsa_system_sgpr_workgroup_id_x 1
		.amdhsa_system_sgpr_workgroup_id_y 0
		.amdhsa_system_sgpr_workgroup_id_z 0
		.amdhsa_system_sgpr_workgroup_info 0
		.amdhsa_system_vgpr_workitem_id 0
		.amdhsa_next_free_vgpr 1
		.amdhsa_next_free_sgpr 0
		.amdhsa_accum_offset 4
		.amdhsa_reserve_vcc 0
		.amdhsa_reserve_flat_scratch 0
		.amdhsa_float_round_mode_32 0
		.amdhsa_float_round_mode_16_64 0
		.amdhsa_float_denorm_mode_32 3
		.amdhsa_float_denorm_mode_16_64 3
		.amdhsa_dx10_clamp 1
		.amdhsa_ieee_mode 1
		.amdhsa_fp16_overflow 0
		.amdhsa_tg_split 0
		.amdhsa_exception_fp_ieee_invalid_op 0
		.amdhsa_exception_fp_denorm_src 0
		.amdhsa_exception_fp_ieee_div_zero 0
		.amdhsa_exception_fp_ieee_overflow 0
		.amdhsa_exception_fp_ieee_underflow 0
		.amdhsa_exception_fp_ieee_inexact 0
		.amdhsa_exception_int_div_zero 0
	.end_amdhsa_kernel
	.section	.text._ZN7rocprim17ROCPRIM_400000_NS6detail17trampoline_kernelINS0_13select_configILj256ELj13ELNS0_17block_load_methodE3ELS4_3ELS4_3ELNS0_20block_scan_algorithmE0ELj4294967295EEENS1_25partition_config_selectorILNS1_17partition_subalgoE4EjNS0_10empty_typeEbEEZZNS1_14partition_implILS8_4ELb0ES6_15HIP_vector_typeIjLj2EENS0_17counting_iteratorIjlEEPS9_SG_NS0_5tupleIJPjSI_NS0_16reverse_iteratorISI_EEEEENSH_IJSG_SG_SG_EEES9_SI_JZNS1_25segmented_radix_sort_implINS0_14default_configELb1EPKfPfPKlPlN2at6native12_GLOBAL__N_18offset_tEEE10hipError_tPvRmT1_PNSt15iterator_traitsIS12_E10value_typeET2_T3_PNS13_IS18_E10value_typeET4_jRbjT5_S1E_jjP12ihipStream_tbEUljE_ZNSN_ISO_Lb1ESQ_SR_ST_SU_SY_EESZ_S10_S11_S12_S16_S17_S18_S1B_S1C_jS1D_jS1E_S1E_jjS1G_bEUljE0_EEESZ_S10_S11_S18_S1C_S1E_T6_T7_T9_mT8_S1G_bDpT10_ENKUlT_T0_E_clISt17integral_constantIbLb0EES1T_IbLb1EEEEDaS1P_S1Q_EUlS1P_E_NS1_11comp_targetILNS1_3genE0ELNS1_11target_archE4294967295ELNS1_3gpuE0ELNS1_3repE0EEENS1_30default_config_static_selectorELNS0_4arch9wavefront6targetE1EEEvS12_,"axG",@progbits,_ZN7rocprim17ROCPRIM_400000_NS6detail17trampoline_kernelINS0_13select_configILj256ELj13ELNS0_17block_load_methodE3ELS4_3ELS4_3ELNS0_20block_scan_algorithmE0ELj4294967295EEENS1_25partition_config_selectorILNS1_17partition_subalgoE4EjNS0_10empty_typeEbEEZZNS1_14partition_implILS8_4ELb0ES6_15HIP_vector_typeIjLj2EENS0_17counting_iteratorIjlEEPS9_SG_NS0_5tupleIJPjSI_NS0_16reverse_iteratorISI_EEEEENSH_IJSG_SG_SG_EEES9_SI_JZNS1_25segmented_radix_sort_implINS0_14default_configELb1EPKfPfPKlPlN2at6native12_GLOBAL__N_18offset_tEEE10hipError_tPvRmT1_PNSt15iterator_traitsIS12_E10value_typeET2_T3_PNS13_IS18_E10value_typeET4_jRbjT5_S1E_jjP12ihipStream_tbEUljE_ZNSN_ISO_Lb1ESQ_SR_ST_SU_SY_EESZ_S10_S11_S12_S16_S17_S18_S1B_S1C_jS1D_jS1E_S1E_jjS1G_bEUljE0_EEESZ_S10_S11_S18_S1C_S1E_T6_T7_T9_mT8_S1G_bDpT10_ENKUlT_T0_E_clISt17integral_constantIbLb0EES1T_IbLb1EEEEDaS1P_S1Q_EUlS1P_E_NS1_11comp_targetILNS1_3genE0ELNS1_11target_archE4294967295ELNS1_3gpuE0ELNS1_3repE0EEENS1_30default_config_static_selectorELNS0_4arch9wavefront6targetE1EEEvS12_,comdat
.Lfunc_end1283:
	.size	_ZN7rocprim17ROCPRIM_400000_NS6detail17trampoline_kernelINS0_13select_configILj256ELj13ELNS0_17block_load_methodE3ELS4_3ELS4_3ELNS0_20block_scan_algorithmE0ELj4294967295EEENS1_25partition_config_selectorILNS1_17partition_subalgoE4EjNS0_10empty_typeEbEEZZNS1_14partition_implILS8_4ELb0ES6_15HIP_vector_typeIjLj2EENS0_17counting_iteratorIjlEEPS9_SG_NS0_5tupleIJPjSI_NS0_16reverse_iteratorISI_EEEEENSH_IJSG_SG_SG_EEES9_SI_JZNS1_25segmented_radix_sort_implINS0_14default_configELb1EPKfPfPKlPlN2at6native12_GLOBAL__N_18offset_tEEE10hipError_tPvRmT1_PNSt15iterator_traitsIS12_E10value_typeET2_T3_PNS13_IS18_E10value_typeET4_jRbjT5_S1E_jjP12ihipStream_tbEUljE_ZNSN_ISO_Lb1ESQ_SR_ST_SU_SY_EESZ_S10_S11_S12_S16_S17_S18_S1B_S1C_jS1D_jS1E_S1E_jjS1G_bEUljE0_EEESZ_S10_S11_S18_S1C_S1E_T6_T7_T9_mT8_S1G_bDpT10_ENKUlT_T0_E_clISt17integral_constantIbLb0EES1T_IbLb1EEEEDaS1P_S1Q_EUlS1P_E_NS1_11comp_targetILNS1_3genE0ELNS1_11target_archE4294967295ELNS1_3gpuE0ELNS1_3repE0EEENS1_30default_config_static_selectorELNS0_4arch9wavefront6targetE1EEEvS12_, .Lfunc_end1283-_ZN7rocprim17ROCPRIM_400000_NS6detail17trampoline_kernelINS0_13select_configILj256ELj13ELNS0_17block_load_methodE3ELS4_3ELS4_3ELNS0_20block_scan_algorithmE0ELj4294967295EEENS1_25partition_config_selectorILNS1_17partition_subalgoE4EjNS0_10empty_typeEbEEZZNS1_14partition_implILS8_4ELb0ES6_15HIP_vector_typeIjLj2EENS0_17counting_iteratorIjlEEPS9_SG_NS0_5tupleIJPjSI_NS0_16reverse_iteratorISI_EEEEENSH_IJSG_SG_SG_EEES9_SI_JZNS1_25segmented_radix_sort_implINS0_14default_configELb1EPKfPfPKlPlN2at6native12_GLOBAL__N_18offset_tEEE10hipError_tPvRmT1_PNSt15iterator_traitsIS12_E10value_typeET2_T3_PNS13_IS18_E10value_typeET4_jRbjT5_S1E_jjP12ihipStream_tbEUljE_ZNSN_ISO_Lb1ESQ_SR_ST_SU_SY_EESZ_S10_S11_S12_S16_S17_S18_S1B_S1C_jS1D_jS1E_S1E_jjS1G_bEUljE0_EEESZ_S10_S11_S18_S1C_S1E_T6_T7_T9_mT8_S1G_bDpT10_ENKUlT_T0_E_clISt17integral_constantIbLb0EES1T_IbLb1EEEEDaS1P_S1Q_EUlS1P_E_NS1_11comp_targetILNS1_3genE0ELNS1_11target_archE4294967295ELNS1_3gpuE0ELNS1_3repE0EEENS1_30default_config_static_selectorELNS0_4arch9wavefront6targetE1EEEvS12_
                                        ; -- End function
	.section	.AMDGPU.csdata,"",@progbits
; Kernel info:
; codeLenInByte = 0
; NumSgprs: 4
; NumVgprs: 0
; NumAgprs: 0
; TotalNumVgprs: 0
; ScratchSize: 0
; MemoryBound: 0
; FloatMode: 240
; IeeeMode: 1
; LDSByteSize: 0 bytes/workgroup (compile time only)
; SGPRBlocks: 0
; VGPRBlocks: 0
; NumSGPRsForWavesPerEU: 4
; NumVGPRsForWavesPerEU: 1
; AccumOffset: 4
; Occupancy: 8
; WaveLimiterHint : 0
; COMPUTE_PGM_RSRC2:SCRATCH_EN: 0
; COMPUTE_PGM_RSRC2:USER_SGPR: 6
; COMPUTE_PGM_RSRC2:TRAP_HANDLER: 0
; COMPUTE_PGM_RSRC2:TGID_X_EN: 1
; COMPUTE_PGM_RSRC2:TGID_Y_EN: 0
; COMPUTE_PGM_RSRC2:TGID_Z_EN: 0
; COMPUTE_PGM_RSRC2:TIDIG_COMP_CNT: 0
; COMPUTE_PGM_RSRC3_GFX90A:ACCUM_OFFSET: 0
; COMPUTE_PGM_RSRC3_GFX90A:TG_SPLIT: 0
	.section	.text._ZN7rocprim17ROCPRIM_400000_NS6detail17trampoline_kernelINS0_13select_configILj256ELj13ELNS0_17block_load_methodE3ELS4_3ELS4_3ELNS0_20block_scan_algorithmE0ELj4294967295EEENS1_25partition_config_selectorILNS1_17partition_subalgoE4EjNS0_10empty_typeEbEEZZNS1_14partition_implILS8_4ELb0ES6_15HIP_vector_typeIjLj2EENS0_17counting_iteratorIjlEEPS9_SG_NS0_5tupleIJPjSI_NS0_16reverse_iteratorISI_EEEEENSH_IJSG_SG_SG_EEES9_SI_JZNS1_25segmented_radix_sort_implINS0_14default_configELb1EPKfPfPKlPlN2at6native12_GLOBAL__N_18offset_tEEE10hipError_tPvRmT1_PNSt15iterator_traitsIS12_E10value_typeET2_T3_PNS13_IS18_E10value_typeET4_jRbjT5_S1E_jjP12ihipStream_tbEUljE_ZNSN_ISO_Lb1ESQ_SR_ST_SU_SY_EESZ_S10_S11_S12_S16_S17_S18_S1B_S1C_jS1D_jS1E_S1E_jjS1G_bEUljE0_EEESZ_S10_S11_S18_S1C_S1E_T6_T7_T9_mT8_S1G_bDpT10_ENKUlT_T0_E_clISt17integral_constantIbLb0EES1T_IbLb1EEEEDaS1P_S1Q_EUlS1P_E_NS1_11comp_targetILNS1_3genE5ELNS1_11target_archE942ELNS1_3gpuE9ELNS1_3repE0EEENS1_30default_config_static_selectorELNS0_4arch9wavefront6targetE1EEEvS12_,"axG",@progbits,_ZN7rocprim17ROCPRIM_400000_NS6detail17trampoline_kernelINS0_13select_configILj256ELj13ELNS0_17block_load_methodE3ELS4_3ELS4_3ELNS0_20block_scan_algorithmE0ELj4294967295EEENS1_25partition_config_selectorILNS1_17partition_subalgoE4EjNS0_10empty_typeEbEEZZNS1_14partition_implILS8_4ELb0ES6_15HIP_vector_typeIjLj2EENS0_17counting_iteratorIjlEEPS9_SG_NS0_5tupleIJPjSI_NS0_16reverse_iteratorISI_EEEEENSH_IJSG_SG_SG_EEES9_SI_JZNS1_25segmented_radix_sort_implINS0_14default_configELb1EPKfPfPKlPlN2at6native12_GLOBAL__N_18offset_tEEE10hipError_tPvRmT1_PNSt15iterator_traitsIS12_E10value_typeET2_T3_PNS13_IS18_E10value_typeET4_jRbjT5_S1E_jjP12ihipStream_tbEUljE_ZNSN_ISO_Lb1ESQ_SR_ST_SU_SY_EESZ_S10_S11_S12_S16_S17_S18_S1B_S1C_jS1D_jS1E_S1E_jjS1G_bEUljE0_EEESZ_S10_S11_S18_S1C_S1E_T6_T7_T9_mT8_S1G_bDpT10_ENKUlT_T0_E_clISt17integral_constantIbLb0EES1T_IbLb1EEEEDaS1P_S1Q_EUlS1P_E_NS1_11comp_targetILNS1_3genE5ELNS1_11target_archE942ELNS1_3gpuE9ELNS1_3repE0EEENS1_30default_config_static_selectorELNS0_4arch9wavefront6targetE1EEEvS12_,comdat
	.globl	_ZN7rocprim17ROCPRIM_400000_NS6detail17trampoline_kernelINS0_13select_configILj256ELj13ELNS0_17block_load_methodE3ELS4_3ELS4_3ELNS0_20block_scan_algorithmE0ELj4294967295EEENS1_25partition_config_selectorILNS1_17partition_subalgoE4EjNS0_10empty_typeEbEEZZNS1_14partition_implILS8_4ELb0ES6_15HIP_vector_typeIjLj2EENS0_17counting_iteratorIjlEEPS9_SG_NS0_5tupleIJPjSI_NS0_16reverse_iteratorISI_EEEEENSH_IJSG_SG_SG_EEES9_SI_JZNS1_25segmented_radix_sort_implINS0_14default_configELb1EPKfPfPKlPlN2at6native12_GLOBAL__N_18offset_tEEE10hipError_tPvRmT1_PNSt15iterator_traitsIS12_E10value_typeET2_T3_PNS13_IS18_E10value_typeET4_jRbjT5_S1E_jjP12ihipStream_tbEUljE_ZNSN_ISO_Lb1ESQ_SR_ST_SU_SY_EESZ_S10_S11_S12_S16_S17_S18_S1B_S1C_jS1D_jS1E_S1E_jjS1G_bEUljE0_EEESZ_S10_S11_S18_S1C_S1E_T6_T7_T9_mT8_S1G_bDpT10_ENKUlT_T0_E_clISt17integral_constantIbLb0EES1T_IbLb1EEEEDaS1P_S1Q_EUlS1P_E_NS1_11comp_targetILNS1_3genE5ELNS1_11target_archE942ELNS1_3gpuE9ELNS1_3repE0EEENS1_30default_config_static_selectorELNS0_4arch9wavefront6targetE1EEEvS12_ ; -- Begin function _ZN7rocprim17ROCPRIM_400000_NS6detail17trampoline_kernelINS0_13select_configILj256ELj13ELNS0_17block_load_methodE3ELS4_3ELS4_3ELNS0_20block_scan_algorithmE0ELj4294967295EEENS1_25partition_config_selectorILNS1_17partition_subalgoE4EjNS0_10empty_typeEbEEZZNS1_14partition_implILS8_4ELb0ES6_15HIP_vector_typeIjLj2EENS0_17counting_iteratorIjlEEPS9_SG_NS0_5tupleIJPjSI_NS0_16reverse_iteratorISI_EEEEENSH_IJSG_SG_SG_EEES9_SI_JZNS1_25segmented_radix_sort_implINS0_14default_configELb1EPKfPfPKlPlN2at6native12_GLOBAL__N_18offset_tEEE10hipError_tPvRmT1_PNSt15iterator_traitsIS12_E10value_typeET2_T3_PNS13_IS18_E10value_typeET4_jRbjT5_S1E_jjP12ihipStream_tbEUljE_ZNSN_ISO_Lb1ESQ_SR_ST_SU_SY_EESZ_S10_S11_S12_S16_S17_S18_S1B_S1C_jS1D_jS1E_S1E_jjS1G_bEUljE0_EEESZ_S10_S11_S18_S1C_S1E_T6_T7_T9_mT8_S1G_bDpT10_ENKUlT_T0_E_clISt17integral_constantIbLb0EES1T_IbLb1EEEEDaS1P_S1Q_EUlS1P_E_NS1_11comp_targetILNS1_3genE5ELNS1_11target_archE942ELNS1_3gpuE9ELNS1_3repE0EEENS1_30default_config_static_selectorELNS0_4arch9wavefront6targetE1EEEvS12_
	.p2align	8
	.type	_ZN7rocprim17ROCPRIM_400000_NS6detail17trampoline_kernelINS0_13select_configILj256ELj13ELNS0_17block_load_methodE3ELS4_3ELS4_3ELNS0_20block_scan_algorithmE0ELj4294967295EEENS1_25partition_config_selectorILNS1_17partition_subalgoE4EjNS0_10empty_typeEbEEZZNS1_14partition_implILS8_4ELb0ES6_15HIP_vector_typeIjLj2EENS0_17counting_iteratorIjlEEPS9_SG_NS0_5tupleIJPjSI_NS0_16reverse_iteratorISI_EEEEENSH_IJSG_SG_SG_EEES9_SI_JZNS1_25segmented_radix_sort_implINS0_14default_configELb1EPKfPfPKlPlN2at6native12_GLOBAL__N_18offset_tEEE10hipError_tPvRmT1_PNSt15iterator_traitsIS12_E10value_typeET2_T3_PNS13_IS18_E10value_typeET4_jRbjT5_S1E_jjP12ihipStream_tbEUljE_ZNSN_ISO_Lb1ESQ_SR_ST_SU_SY_EESZ_S10_S11_S12_S16_S17_S18_S1B_S1C_jS1D_jS1E_S1E_jjS1G_bEUljE0_EEESZ_S10_S11_S18_S1C_S1E_T6_T7_T9_mT8_S1G_bDpT10_ENKUlT_T0_E_clISt17integral_constantIbLb0EES1T_IbLb1EEEEDaS1P_S1Q_EUlS1P_E_NS1_11comp_targetILNS1_3genE5ELNS1_11target_archE942ELNS1_3gpuE9ELNS1_3repE0EEENS1_30default_config_static_selectorELNS0_4arch9wavefront6targetE1EEEvS12_,@function
_ZN7rocprim17ROCPRIM_400000_NS6detail17trampoline_kernelINS0_13select_configILj256ELj13ELNS0_17block_load_methodE3ELS4_3ELS4_3ELNS0_20block_scan_algorithmE0ELj4294967295EEENS1_25partition_config_selectorILNS1_17partition_subalgoE4EjNS0_10empty_typeEbEEZZNS1_14partition_implILS8_4ELb0ES6_15HIP_vector_typeIjLj2EENS0_17counting_iteratorIjlEEPS9_SG_NS0_5tupleIJPjSI_NS0_16reverse_iteratorISI_EEEEENSH_IJSG_SG_SG_EEES9_SI_JZNS1_25segmented_radix_sort_implINS0_14default_configELb1EPKfPfPKlPlN2at6native12_GLOBAL__N_18offset_tEEE10hipError_tPvRmT1_PNSt15iterator_traitsIS12_E10value_typeET2_T3_PNS13_IS18_E10value_typeET4_jRbjT5_S1E_jjP12ihipStream_tbEUljE_ZNSN_ISO_Lb1ESQ_SR_ST_SU_SY_EESZ_S10_S11_S12_S16_S17_S18_S1B_S1C_jS1D_jS1E_S1E_jjS1G_bEUljE0_EEESZ_S10_S11_S18_S1C_S1E_T6_T7_T9_mT8_S1G_bDpT10_ENKUlT_T0_E_clISt17integral_constantIbLb0EES1T_IbLb1EEEEDaS1P_S1Q_EUlS1P_E_NS1_11comp_targetILNS1_3genE5ELNS1_11target_archE942ELNS1_3gpuE9ELNS1_3repE0EEENS1_30default_config_static_selectorELNS0_4arch9wavefront6targetE1EEEvS12_: ; @_ZN7rocprim17ROCPRIM_400000_NS6detail17trampoline_kernelINS0_13select_configILj256ELj13ELNS0_17block_load_methodE3ELS4_3ELS4_3ELNS0_20block_scan_algorithmE0ELj4294967295EEENS1_25partition_config_selectorILNS1_17partition_subalgoE4EjNS0_10empty_typeEbEEZZNS1_14partition_implILS8_4ELb0ES6_15HIP_vector_typeIjLj2EENS0_17counting_iteratorIjlEEPS9_SG_NS0_5tupleIJPjSI_NS0_16reverse_iteratorISI_EEEEENSH_IJSG_SG_SG_EEES9_SI_JZNS1_25segmented_radix_sort_implINS0_14default_configELb1EPKfPfPKlPlN2at6native12_GLOBAL__N_18offset_tEEE10hipError_tPvRmT1_PNSt15iterator_traitsIS12_E10value_typeET2_T3_PNS13_IS18_E10value_typeET4_jRbjT5_S1E_jjP12ihipStream_tbEUljE_ZNSN_ISO_Lb1ESQ_SR_ST_SU_SY_EESZ_S10_S11_S12_S16_S17_S18_S1B_S1C_jS1D_jS1E_S1E_jjS1G_bEUljE0_EEESZ_S10_S11_S18_S1C_S1E_T6_T7_T9_mT8_S1G_bDpT10_ENKUlT_T0_E_clISt17integral_constantIbLb0EES1T_IbLb1EEEEDaS1P_S1Q_EUlS1P_E_NS1_11comp_targetILNS1_3genE5ELNS1_11target_archE942ELNS1_3gpuE9ELNS1_3repE0EEENS1_30default_config_static_selectorELNS0_4arch9wavefront6targetE1EEEvS12_
; %bb.0:
	.section	.rodata,"a",@progbits
	.p2align	6, 0x0
	.amdhsa_kernel _ZN7rocprim17ROCPRIM_400000_NS6detail17trampoline_kernelINS0_13select_configILj256ELj13ELNS0_17block_load_methodE3ELS4_3ELS4_3ELNS0_20block_scan_algorithmE0ELj4294967295EEENS1_25partition_config_selectorILNS1_17partition_subalgoE4EjNS0_10empty_typeEbEEZZNS1_14partition_implILS8_4ELb0ES6_15HIP_vector_typeIjLj2EENS0_17counting_iteratorIjlEEPS9_SG_NS0_5tupleIJPjSI_NS0_16reverse_iteratorISI_EEEEENSH_IJSG_SG_SG_EEES9_SI_JZNS1_25segmented_radix_sort_implINS0_14default_configELb1EPKfPfPKlPlN2at6native12_GLOBAL__N_18offset_tEEE10hipError_tPvRmT1_PNSt15iterator_traitsIS12_E10value_typeET2_T3_PNS13_IS18_E10value_typeET4_jRbjT5_S1E_jjP12ihipStream_tbEUljE_ZNSN_ISO_Lb1ESQ_SR_ST_SU_SY_EESZ_S10_S11_S12_S16_S17_S18_S1B_S1C_jS1D_jS1E_S1E_jjS1G_bEUljE0_EEESZ_S10_S11_S18_S1C_S1E_T6_T7_T9_mT8_S1G_bDpT10_ENKUlT_T0_E_clISt17integral_constantIbLb0EES1T_IbLb1EEEEDaS1P_S1Q_EUlS1P_E_NS1_11comp_targetILNS1_3genE5ELNS1_11target_archE942ELNS1_3gpuE9ELNS1_3repE0EEENS1_30default_config_static_selectorELNS0_4arch9wavefront6targetE1EEEvS12_
		.amdhsa_group_segment_fixed_size 0
		.amdhsa_private_segment_fixed_size 0
		.amdhsa_kernarg_size 184
		.amdhsa_user_sgpr_count 6
		.amdhsa_user_sgpr_private_segment_buffer 1
		.amdhsa_user_sgpr_dispatch_ptr 0
		.amdhsa_user_sgpr_queue_ptr 0
		.amdhsa_user_sgpr_kernarg_segment_ptr 1
		.amdhsa_user_sgpr_dispatch_id 0
		.amdhsa_user_sgpr_flat_scratch_init 0
		.amdhsa_user_sgpr_kernarg_preload_length 0
		.amdhsa_user_sgpr_kernarg_preload_offset 0
		.amdhsa_user_sgpr_private_segment_size 0
		.amdhsa_uses_dynamic_stack 0
		.amdhsa_system_sgpr_private_segment_wavefront_offset 0
		.amdhsa_system_sgpr_workgroup_id_x 1
		.amdhsa_system_sgpr_workgroup_id_y 0
		.amdhsa_system_sgpr_workgroup_id_z 0
		.amdhsa_system_sgpr_workgroup_info 0
		.amdhsa_system_vgpr_workitem_id 0
		.amdhsa_next_free_vgpr 1
		.amdhsa_next_free_sgpr 0
		.amdhsa_accum_offset 4
		.amdhsa_reserve_vcc 0
		.amdhsa_reserve_flat_scratch 0
		.amdhsa_float_round_mode_32 0
		.amdhsa_float_round_mode_16_64 0
		.amdhsa_float_denorm_mode_32 3
		.amdhsa_float_denorm_mode_16_64 3
		.amdhsa_dx10_clamp 1
		.amdhsa_ieee_mode 1
		.amdhsa_fp16_overflow 0
		.amdhsa_tg_split 0
		.amdhsa_exception_fp_ieee_invalid_op 0
		.amdhsa_exception_fp_denorm_src 0
		.amdhsa_exception_fp_ieee_div_zero 0
		.amdhsa_exception_fp_ieee_overflow 0
		.amdhsa_exception_fp_ieee_underflow 0
		.amdhsa_exception_fp_ieee_inexact 0
		.amdhsa_exception_int_div_zero 0
	.end_amdhsa_kernel
	.section	.text._ZN7rocprim17ROCPRIM_400000_NS6detail17trampoline_kernelINS0_13select_configILj256ELj13ELNS0_17block_load_methodE3ELS4_3ELS4_3ELNS0_20block_scan_algorithmE0ELj4294967295EEENS1_25partition_config_selectorILNS1_17partition_subalgoE4EjNS0_10empty_typeEbEEZZNS1_14partition_implILS8_4ELb0ES6_15HIP_vector_typeIjLj2EENS0_17counting_iteratorIjlEEPS9_SG_NS0_5tupleIJPjSI_NS0_16reverse_iteratorISI_EEEEENSH_IJSG_SG_SG_EEES9_SI_JZNS1_25segmented_radix_sort_implINS0_14default_configELb1EPKfPfPKlPlN2at6native12_GLOBAL__N_18offset_tEEE10hipError_tPvRmT1_PNSt15iterator_traitsIS12_E10value_typeET2_T3_PNS13_IS18_E10value_typeET4_jRbjT5_S1E_jjP12ihipStream_tbEUljE_ZNSN_ISO_Lb1ESQ_SR_ST_SU_SY_EESZ_S10_S11_S12_S16_S17_S18_S1B_S1C_jS1D_jS1E_S1E_jjS1G_bEUljE0_EEESZ_S10_S11_S18_S1C_S1E_T6_T7_T9_mT8_S1G_bDpT10_ENKUlT_T0_E_clISt17integral_constantIbLb0EES1T_IbLb1EEEEDaS1P_S1Q_EUlS1P_E_NS1_11comp_targetILNS1_3genE5ELNS1_11target_archE942ELNS1_3gpuE9ELNS1_3repE0EEENS1_30default_config_static_selectorELNS0_4arch9wavefront6targetE1EEEvS12_,"axG",@progbits,_ZN7rocprim17ROCPRIM_400000_NS6detail17trampoline_kernelINS0_13select_configILj256ELj13ELNS0_17block_load_methodE3ELS4_3ELS4_3ELNS0_20block_scan_algorithmE0ELj4294967295EEENS1_25partition_config_selectorILNS1_17partition_subalgoE4EjNS0_10empty_typeEbEEZZNS1_14partition_implILS8_4ELb0ES6_15HIP_vector_typeIjLj2EENS0_17counting_iteratorIjlEEPS9_SG_NS0_5tupleIJPjSI_NS0_16reverse_iteratorISI_EEEEENSH_IJSG_SG_SG_EEES9_SI_JZNS1_25segmented_radix_sort_implINS0_14default_configELb1EPKfPfPKlPlN2at6native12_GLOBAL__N_18offset_tEEE10hipError_tPvRmT1_PNSt15iterator_traitsIS12_E10value_typeET2_T3_PNS13_IS18_E10value_typeET4_jRbjT5_S1E_jjP12ihipStream_tbEUljE_ZNSN_ISO_Lb1ESQ_SR_ST_SU_SY_EESZ_S10_S11_S12_S16_S17_S18_S1B_S1C_jS1D_jS1E_S1E_jjS1G_bEUljE0_EEESZ_S10_S11_S18_S1C_S1E_T6_T7_T9_mT8_S1G_bDpT10_ENKUlT_T0_E_clISt17integral_constantIbLb0EES1T_IbLb1EEEEDaS1P_S1Q_EUlS1P_E_NS1_11comp_targetILNS1_3genE5ELNS1_11target_archE942ELNS1_3gpuE9ELNS1_3repE0EEENS1_30default_config_static_selectorELNS0_4arch9wavefront6targetE1EEEvS12_,comdat
.Lfunc_end1284:
	.size	_ZN7rocprim17ROCPRIM_400000_NS6detail17trampoline_kernelINS0_13select_configILj256ELj13ELNS0_17block_load_methodE3ELS4_3ELS4_3ELNS0_20block_scan_algorithmE0ELj4294967295EEENS1_25partition_config_selectorILNS1_17partition_subalgoE4EjNS0_10empty_typeEbEEZZNS1_14partition_implILS8_4ELb0ES6_15HIP_vector_typeIjLj2EENS0_17counting_iteratorIjlEEPS9_SG_NS0_5tupleIJPjSI_NS0_16reverse_iteratorISI_EEEEENSH_IJSG_SG_SG_EEES9_SI_JZNS1_25segmented_radix_sort_implINS0_14default_configELb1EPKfPfPKlPlN2at6native12_GLOBAL__N_18offset_tEEE10hipError_tPvRmT1_PNSt15iterator_traitsIS12_E10value_typeET2_T3_PNS13_IS18_E10value_typeET4_jRbjT5_S1E_jjP12ihipStream_tbEUljE_ZNSN_ISO_Lb1ESQ_SR_ST_SU_SY_EESZ_S10_S11_S12_S16_S17_S18_S1B_S1C_jS1D_jS1E_S1E_jjS1G_bEUljE0_EEESZ_S10_S11_S18_S1C_S1E_T6_T7_T9_mT8_S1G_bDpT10_ENKUlT_T0_E_clISt17integral_constantIbLb0EES1T_IbLb1EEEEDaS1P_S1Q_EUlS1P_E_NS1_11comp_targetILNS1_3genE5ELNS1_11target_archE942ELNS1_3gpuE9ELNS1_3repE0EEENS1_30default_config_static_selectorELNS0_4arch9wavefront6targetE1EEEvS12_, .Lfunc_end1284-_ZN7rocprim17ROCPRIM_400000_NS6detail17trampoline_kernelINS0_13select_configILj256ELj13ELNS0_17block_load_methodE3ELS4_3ELS4_3ELNS0_20block_scan_algorithmE0ELj4294967295EEENS1_25partition_config_selectorILNS1_17partition_subalgoE4EjNS0_10empty_typeEbEEZZNS1_14partition_implILS8_4ELb0ES6_15HIP_vector_typeIjLj2EENS0_17counting_iteratorIjlEEPS9_SG_NS0_5tupleIJPjSI_NS0_16reverse_iteratorISI_EEEEENSH_IJSG_SG_SG_EEES9_SI_JZNS1_25segmented_radix_sort_implINS0_14default_configELb1EPKfPfPKlPlN2at6native12_GLOBAL__N_18offset_tEEE10hipError_tPvRmT1_PNSt15iterator_traitsIS12_E10value_typeET2_T3_PNS13_IS18_E10value_typeET4_jRbjT5_S1E_jjP12ihipStream_tbEUljE_ZNSN_ISO_Lb1ESQ_SR_ST_SU_SY_EESZ_S10_S11_S12_S16_S17_S18_S1B_S1C_jS1D_jS1E_S1E_jjS1G_bEUljE0_EEESZ_S10_S11_S18_S1C_S1E_T6_T7_T9_mT8_S1G_bDpT10_ENKUlT_T0_E_clISt17integral_constantIbLb0EES1T_IbLb1EEEEDaS1P_S1Q_EUlS1P_E_NS1_11comp_targetILNS1_3genE5ELNS1_11target_archE942ELNS1_3gpuE9ELNS1_3repE0EEENS1_30default_config_static_selectorELNS0_4arch9wavefront6targetE1EEEvS12_
                                        ; -- End function
	.section	.AMDGPU.csdata,"",@progbits
; Kernel info:
; codeLenInByte = 0
; NumSgprs: 4
; NumVgprs: 0
; NumAgprs: 0
; TotalNumVgprs: 0
; ScratchSize: 0
; MemoryBound: 0
; FloatMode: 240
; IeeeMode: 1
; LDSByteSize: 0 bytes/workgroup (compile time only)
; SGPRBlocks: 0
; VGPRBlocks: 0
; NumSGPRsForWavesPerEU: 4
; NumVGPRsForWavesPerEU: 1
; AccumOffset: 4
; Occupancy: 8
; WaveLimiterHint : 0
; COMPUTE_PGM_RSRC2:SCRATCH_EN: 0
; COMPUTE_PGM_RSRC2:USER_SGPR: 6
; COMPUTE_PGM_RSRC2:TRAP_HANDLER: 0
; COMPUTE_PGM_RSRC2:TGID_X_EN: 1
; COMPUTE_PGM_RSRC2:TGID_Y_EN: 0
; COMPUTE_PGM_RSRC2:TGID_Z_EN: 0
; COMPUTE_PGM_RSRC2:TIDIG_COMP_CNT: 0
; COMPUTE_PGM_RSRC3_GFX90A:ACCUM_OFFSET: 0
; COMPUTE_PGM_RSRC3_GFX90A:TG_SPLIT: 0
	.section	.text._ZN7rocprim17ROCPRIM_400000_NS6detail17trampoline_kernelINS0_13select_configILj256ELj13ELNS0_17block_load_methodE3ELS4_3ELS4_3ELNS0_20block_scan_algorithmE0ELj4294967295EEENS1_25partition_config_selectorILNS1_17partition_subalgoE4EjNS0_10empty_typeEbEEZZNS1_14partition_implILS8_4ELb0ES6_15HIP_vector_typeIjLj2EENS0_17counting_iteratorIjlEEPS9_SG_NS0_5tupleIJPjSI_NS0_16reverse_iteratorISI_EEEEENSH_IJSG_SG_SG_EEES9_SI_JZNS1_25segmented_radix_sort_implINS0_14default_configELb1EPKfPfPKlPlN2at6native12_GLOBAL__N_18offset_tEEE10hipError_tPvRmT1_PNSt15iterator_traitsIS12_E10value_typeET2_T3_PNS13_IS18_E10value_typeET4_jRbjT5_S1E_jjP12ihipStream_tbEUljE_ZNSN_ISO_Lb1ESQ_SR_ST_SU_SY_EESZ_S10_S11_S12_S16_S17_S18_S1B_S1C_jS1D_jS1E_S1E_jjS1G_bEUljE0_EEESZ_S10_S11_S18_S1C_S1E_T6_T7_T9_mT8_S1G_bDpT10_ENKUlT_T0_E_clISt17integral_constantIbLb0EES1T_IbLb1EEEEDaS1P_S1Q_EUlS1P_E_NS1_11comp_targetILNS1_3genE4ELNS1_11target_archE910ELNS1_3gpuE8ELNS1_3repE0EEENS1_30default_config_static_selectorELNS0_4arch9wavefront6targetE1EEEvS12_,"axG",@progbits,_ZN7rocprim17ROCPRIM_400000_NS6detail17trampoline_kernelINS0_13select_configILj256ELj13ELNS0_17block_load_methodE3ELS4_3ELS4_3ELNS0_20block_scan_algorithmE0ELj4294967295EEENS1_25partition_config_selectorILNS1_17partition_subalgoE4EjNS0_10empty_typeEbEEZZNS1_14partition_implILS8_4ELb0ES6_15HIP_vector_typeIjLj2EENS0_17counting_iteratorIjlEEPS9_SG_NS0_5tupleIJPjSI_NS0_16reverse_iteratorISI_EEEEENSH_IJSG_SG_SG_EEES9_SI_JZNS1_25segmented_radix_sort_implINS0_14default_configELb1EPKfPfPKlPlN2at6native12_GLOBAL__N_18offset_tEEE10hipError_tPvRmT1_PNSt15iterator_traitsIS12_E10value_typeET2_T3_PNS13_IS18_E10value_typeET4_jRbjT5_S1E_jjP12ihipStream_tbEUljE_ZNSN_ISO_Lb1ESQ_SR_ST_SU_SY_EESZ_S10_S11_S12_S16_S17_S18_S1B_S1C_jS1D_jS1E_S1E_jjS1G_bEUljE0_EEESZ_S10_S11_S18_S1C_S1E_T6_T7_T9_mT8_S1G_bDpT10_ENKUlT_T0_E_clISt17integral_constantIbLb0EES1T_IbLb1EEEEDaS1P_S1Q_EUlS1P_E_NS1_11comp_targetILNS1_3genE4ELNS1_11target_archE910ELNS1_3gpuE8ELNS1_3repE0EEENS1_30default_config_static_selectorELNS0_4arch9wavefront6targetE1EEEvS12_,comdat
	.globl	_ZN7rocprim17ROCPRIM_400000_NS6detail17trampoline_kernelINS0_13select_configILj256ELj13ELNS0_17block_load_methodE3ELS4_3ELS4_3ELNS0_20block_scan_algorithmE0ELj4294967295EEENS1_25partition_config_selectorILNS1_17partition_subalgoE4EjNS0_10empty_typeEbEEZZNS1_14partition_implILS8_4ELb0ES6_15HIP_vector_typeIjLj2EENS0_17counting_iteratorIjlEEPS9_SG_NS0_5tupleIJPjSI_NS0_16reverse_iteratorISI_EEEEENSH_IJSG_SG_SG_EEES9_SI_JZNS1_25segmented_radix_sort_implINS0_14default_configELb1EPKfPfPKlPlN2at6native12_GLOBAL__N_18offset_tEEE10hipError_tPvRmT1_PNSt15iterator_traitsIS12_E10value_typeET2_T3_PNS13_IS18_E10value_typeET4_jRbjT5_S1E_jjP12ihipStream_tbEUljE_ZNSN_ISO_Lb1ESQ_SR_ST_SU_SY_EESZ_S10_S11_S12_S16_S17_S18_S1B_S1C_jS1D_jS1E_S1E_jjS1G_bEUljE0_EEESZ_S10_S11_S18_S1C_S1E_T6_T7_T9_mT8_S1G_bDpT10_ENKUlT_T0_E_clISt17integral_constantIbLb0EES1T_IbLb1EEEEDaS1P_S1Q_EUlS1P_E_NS1_11comp_targetILNS1_3genE4ELNS1_11target_archE910ELNS1_3gpuE8ELNS1_3repE0EEENS1_30default_config_static_selectorELNS0_4arch9wavefront6targetE1EEEvS12_ ; -- Begin function _ZN7rocprim17ROCPRIM_400000_NS6detail17trampoline_kernelINS0_13select_configILj256ELj13ELNS0_17block_load_methodE3ELS4_3ELS4_3ELNS0_20block_scan_algorithmE0ELj4294967295EEENS1_25partition_config_selectorILNS1_17partition_subalgoE4EjNS0_10empty_typeEbEEZZNS1_14partition_implILS8_4ELb0ES6_15HIP_vector_typeIjLj2EENS0_17counting_iteratorIjlEEPS9_SG_NS0_5tupleIJPjSI_NS0_16reverse_iteratorISI_EEEEENSH_IJSG_SG_SG_EEES9_SI_JZNS1_25segmented_radix_sort_implINS0_14default_configELb1EPKfPfPKlPlN2at6native12_GLOBAL__N_18offset_tEEE10hipError_tPvRmT1_PNSt15iterator_traitsIS12_E10value_typeET2_T3_PNS13_IS18_E10value_typeET4_jRbjT5_S1E_jjP12ihipStream_tbEUljE_ZNSN_ISO_Lb1ESQ_SR_ST_SU_SY_EESZ_S10_S11_S12_S16_S17_S18_S1B_S1C_jS1D_jS1E_S1E_jjS1G_bEUljE0_EEESZ_S10_S11_S18_S1C_S1E_T6_T7_T9_mT8_S1G_bDpT10_ENKUlT_T0_E_clISt17integral_constantIbLb0EES1T_IbLb1EEEEDaS1P_S1Q_EUlS1P_E_NS1_11comp_targetILNS1_3genE4ELNS1_11target_archE910ELNS1_3gpuE8ELNS1_3repE0EEENS1_30default_config_static_selectorELNS0_4arch9wavefront6targetE1EEEvS12_
	.p2align	8
	.type	_ZN7rocprim17ROCPRIM_400000_NS6detail17trampoline_kernelINS0_13select_configILj256ELj13ELNS0_17block_load_methodE3ELS4_3ELS4_3ELNS0_20block_scan_algorithmE0ELj4294967295EEENS1_25partition_config_selectorILNS1_17partition_subalgoE4EjNS0_10empty_typeEbEEZZNS1_14partition_implILS8_4ELb0ES6_15HIP_vector_typeIjLj2EENS0_17counting_iteratorIjlEEPS9_SG_NS0_5tupleIJPjSI_NS0_16reverse_iteratorISI_EEEEENSH_IJSG_SG_SG_EEES9_SI_JZNS1_25segmented_radix_sort_implINS0_14default_configELb1EPKfPfPKlPlN2at6native12_GLOBAL__N_18offset_tEEE10hipError_tPvRmT1_PNSt15iterator_traitsIS12_E10value_typeET2_T3_PNS13_IS18_E10value_typeET4_jRbjT5_S1E_jjP12ihipStream_tbEUljE_ZNSN_ISO_Lb1ESQ_SR_ST_SU_SY_EESZ_S10_S11_S12_S16_S17_S18_S1B_S1C_jS1D_jS1E_S1E_jjS1G_bEUljE0_EEESZ_S10_S11_S18_S1C_S1E_T6_T7_T9_mT8_S1G_bDpT10_ENKUlT_T0_E_clISt17integral_constantIbLb0EES1T_IbLb1EEEEDaS1P_S1Q_EUlS1P_E_NS1_11comp_targetILNS1_3genE4ELNS1_11target_archE910ELNS1_3gpuE8ELNS1_3repE0EEENS1_30default_config_static_selectorELNS0_4arch9wavefront6targetE1EEEvS12_,@function
_ZN7rocprim17ROCPRIM_400000_NS6detail17trampoline_kernelINS0_13select_configILj256ELj13ELNS0_17block_load_methodE3ELS4_3ELS4_3ELNS0_20block_scan_algorithmE0ELj4294967295EEENS1_25partition_config_selectorILNS1_17partition_subalgoE4EjNS0_10empty_typeEbEEZZNS1_14partition_implILS8_4ELb0ES6_15HIP_vector_typeIjLj2EENS0_17counting_iteratorIjlEEPS9_SG_NS0_5tupleIJPjSI_NS0_16reverse_iteratorISI_EEEEENSH_IJSG_SG_SG_EEES9_SI_JZNS1_25segmented_radix_sort_implINS0_14default_configELb1EPKfPfPKlPlN2at6native12_GLOBAL__N_18offset_tEEE10hipError_tPvRmT1_PNSt15iterator_traitsIS12_E10value_typeET2_T3_PNS13_IS18_E10value_typeET4_jRbjT5_S1E_jjP12ihipStream_tbEUljE_ZNSN_ISO_Lb1ESQ_SR_ST_SU_SY_EESZ_S10_S11_S12_S16_S17_S18_S1B_S1C_jS1D_jS1E_S1E_jjS1G_bEUljE0_EEESZ_S10_S11_S18_S1C_S1E_T6_T7_T9_mT8_S1G_bDpT10_ENKUlT_T0_E_clISt17integral_constantIbLb0EES1T_IbLb1EEEEDaS1P_S1Q_EUlS1P_E_NS1_11comp_targetILNS1_3genE4ELNS1_11target_archE910ELNS1_3gpuE8ELNS1_3repE0EEENS1_30default_config_static_selectorELNS0_4arch9wavefront6targetE1EEEvS12_: ; @_ZN7rocprim17ROCPRIM_400000_NS6detail17trampoline_kernelINS0_13select_configILj256ELj13ELNS0_17block_load_methodE3ELS4_3ELS4_3ELNS0_20block_scan_algorithmE0ELj4294967295EEENS1_25partition_config_selectorILNS1_17partition_subalgoE4EjNS0_10empty_typeEbEEZZNS1_14partition_implILS8_4ELb0ES6_15HIP_vector_typeIjLj2EENS0_17counting_iteratorIjlEEPS9_SG_NS0_5tupleIJPjSI_NS0_16reverse_iteratorISI_EEEEENSH_IJSG_SG_SG_EEES9_SI_JZNS1_25segmented_radix_sort_implINS0_14default_configELb1EPKfPfPKlPlN2at6native12_GLOBAL__N_18offset_tEEE10hipError_tPvRmT1_PNSt15iterator_traitsIS12_E10value_typeET2_T3_PNS13_IS18_E10value_typeET4_jRbjT5_S1E_jjP12ihipStream_tbEUljE_ZNSN_ISO_Lb1ESQ_SR_ST_SU_SY_EESZ_S10_S11_S12_S16_S17_S18_S1B_S1C_jS1D_jS1E_S1E_jjS1G_bEUljE0_EEESZ_S10_S11_S18_S1C_S1E_T6_T7_T9_mT8_S1G_bDpT10_ENKUlT_T0_E_clISt17integral_constantIbLb0EES1T_IbLb1EEEEDaS1P_S1Q_EUlS1P_E_NS1_11comp_targetILNS1_3genE4ELNS1_11target_archE910ELNS1_3gpuE8ELNS1_3repE0EEENS1_30default_config_static_selectorELNS0_4arch9wavefront6targetE1EEEvS12_
; %bb.0:
	s_load_dwordx2 s[48:49], s[4:5], 0x10
	s_load_dwordx4 s[44:47], s[4:5], 0x28
	s_load_dwordx2 s[34:35], s[4:5], 0x38
	s_load_dwordx4 s[28:31], s[4:5], 0x58
	s_load_dwordx2 s[2:3], s[4:5], 0x68
	s_load_dwordx2 s[50:51], s[4:5], 0x78
	;; [unrolled: 1-line block ×3, first 2 shown]
	s_load_dwordx8 s[36:43], s[4:5], 0x90
	v_cmp_eq_u32_e64 s[0:1], 0, v0
	s_and_saveexec_b64 s[6:7], s[0:1]
	s_cbranch_execz .LBB1285_4
; %bb.1:
	s_mov_b64 s[10:11], exec
	v_mbcnt_lo_u32_b32 v1, s10, 0
	v_mbcnt_hi_u32_b32 v1, s11, v1
	v_cmp_eq_u32_e32 vcc, 0, v1
                                        ; implicit-def: $vgpr2
	s_and_saveexec_b64 s[8:9], vcc
	s_cbranch_execz .LBB1285_3
; %bb.2:
	s_load_dwordx2 s[12:13], s[4:5], 0x88
	s_bcnt1_i32_b64 s10, s[10:11]
	v_mov_b32_e32 v2, 0
	v_mov_b32_e32 v3, s10
	s_waitcnt lgkmcnt(0)
	global_atomic_add v2, v2, v3, s[12:13] glc
.LBB1285_3:
	s_or_b64 exec, exec, s[8:9]
	s_waitcnt vmcnt(0)
	v_readfirstlane_b32 s8, v2
	v_add_u32_e32 v1, s8, v1
	v_mov_b32_e32 v2, 0
	ds_write_b32 v2, v1
.LBB1285_4:
	s_or_b64 exec, exec, s[6:7]
	v_mov_b32_e32 v1, 0
	s_load_dword s7, s[4:5], 0x8
	s_load_dword s6, s[4:5], 0x80
	s_waitcnt lgkmcnt(0)
	s_barrier
	ds_read_b32 v8, v1
	s_waitcnt lgkmcnt(0)
	s_barrier
	global_load_dwordx4 v[2:5], v1, s[30:31]
	v_mov_b32_e32 v7, s3
	s_movk_i32 s3, 0xd00
	s_add_i32 s8, s7, s48
	v_mul_lo_u32 v34, v8, s3
	s_add_i32 s7, s6, -1
	s_mul_i32 s3, s6, 0xd00
	s_add_u32 s4, s48, s3
	v_readfirstlane_b32 s33, v8
	s_addc_u32 s5, s49, 0
	s_cmp_eq_u32 s33, s7
	v_mov_b32_e32 v6, s2
	s_cselect_b64 s[30:31], -1, 0
	s_cmp_lg_u32 s33, s7
	v_cmp_lt_u64_e32 vcc, s[4:5], v[6:7]
	s_cselect_b64 s[4:5], -1, 0
	s_or_b64 s[4:5], vcc, s[4:5]
	v_add_u32_e32 v1, s8, v34
	s_mov_b64 s[6:7], -1
	s_and_b64 vcc, exec, s[4:5]
	v_add_u32_e32 v1, v1, v0
	s_cbranch_vccz .LBB1285_6
; %bb.5:
	v_add_u32_e32 v6, 0x100, v1
	v_lshlrev_b32_e32 v18, 2, v0
	v_add_u32_e32 v7, 0x200, v1
	v_add_u32_e32 v8, 0x300, v1
	;; [unrolled: 1-line block ×11, first 2 shown]
	ds_write2st64_b32 v18, v1, v6 offset1:4
	ds_write2st64_b32 v18, v7, v8 offset0:8 offset1:12
	ds_write2st64_b32 v18, v9, v10 offset0:16 offset1:20
	;; [unrolled: 1-line block ×5, first 2 shown]
	ds_write_b32 v18, v17 offset:12288
	s_waitcnt lgkmcnt(0)
	s_barrier
	s_mov_b64 s[6:7], 0
.LBB1285_6:
	s_andn2_b64 vcc, exec, s[6:7]
	s_add_i32 s3, s3, s48
	s_cbranch_vccnz .LBB1285_8
; %bb.7:
	v_add_u32_e32 v6, 0x100, v1
	v_lshlrev_b32_e32 v18, 2, v0
	v_add_u32_e32 v7, 0x200, v1
	v_add_u32_e32 v8, 0x300, v1
	;; [unrolled: 1-line block ×11, first 2 shown]
	ds_write2st64_b32 v18, v1, v6 offset1:4
	ds_write2st64_b32 v18, v7, v8 offset0:8 offset1:12
	ds_write2st64_b32 v18, v9, v10 offset0:16 offset1:20
	;; [unrolled: 1-line block ×5, first 2 shown]
	ds_write_b32 v18, v17 offset:12288
	s_waitcnt lgkmcnt(0)
	s_barrier
.LBB1285_8:
	v_mul_u32_u24_e32 v36, 13, v0
	v_lshlrev_b32_e32 v1, 2, v36
	ds_read2_b32 v[22:23], v1 offset1:1
	ds_read2_b32 v[20:21], v1 offset0:2 offset1:3
	ds_read2_b32 v[18:19], v1 offset0:4 offset1:5
	;; [unrolled: 1-line block ×5, first 2 shown]
	ds_read_b32 v35, v1 offset:48
	v_cndmask_b32_e64 v1, 0, 1, s[4:5]
	s_sub_i32 s86, s2, s3
	v_cmp_ne_u32_e64 s[2:3], 1, v1
	s_andn2_b64 vcc, exec, s[4:5]
	s_waitcnt lgkmcnt(0)
	s_barrier
	s_cbranch_vccnz .LBB1285_36
; %bb.9:
	v_add_u32_e32 v1, s37, v22
	v_add_u32_e32 v6, s39, v22
	v_mul_lo_u32 v1, v1, s36
	v_mul_lo_u32 v6, v6, s38
	v_sub_u32_e32 v1, v1, v6
	v_cmp_lt_u32_e32 vcc, s40, v1
	v_cmp_ge_u32_e64 s[4:5], s40, v1
	s_mov_b64 s[60:61], 0
	s_mov_b64 s[58:59], 0
	s_and_saveexec_b64 s[6:7], s[4:5]
; %bb.10:
	v_add_u32_e32 v1, s42, v22
	v_add_u32_e32 v6, s56, v22
	v_mul_lo_u32 v1, v1, s41
	v_mul_lo_u32 v6, v6, s43
	v_sub_u32_e32 v1, v1, v6
	v_cmp_lt_u32_e64 s[4:5], s57, v1
	s_and_b64 s[58:59], s[4:5], exec
; %bb.11:
	s_or_b64 exec, exec, s[6:7]
	v_add_u32_e32 v1, s37, v23
	v_add_u32_e32 v6, s39, v23
	v_mul_lo_u32 v1, v1, s36
	v_mul_lo_u32 v6, v6, s38
	v_sub_u32_e32 v1, v1, v6
	v_cmp_lt_u32_e64 s[4:5], s40, v1
	v_cmp_ge_u32_e64 s[6:7], s40, v1
	s_and_saveexec_b64 s[8:9], s[6:7]
; %bb.12:
	v_add_u32_e32 v1, s42, v23
	v_add_u32_e32 v6, s56, v23
	v_mul_lo_u32 v1, v1, s41
	v_mul_lo_u32 v6, v6, s43
	v_sub_u32_e32 v1, v1, v6
	v_cmp_lt_u32_e64 s[6:7], s57, v1
	s_and_b64 s[60:61], s[6:7], exec
; %bb.13:
	s_or_b64 exec, exec, s[8:9]
	v_add_u32_e32 v1, s37, v20
	v_add_u32_e32 v6, s39, v20
	v_mul_lo_u32 v1, v1, s36
	v_mul_lo_u32 v6, v6, s38
	v_sub_u32_e32 v1, v1, v6
	v_cmp_lt_u32_e64 s[6:7], s40, v1
	v_cmp_ge_u32_e64 s[8:9], s40, v1
	s_mov_b64 s[64:65], 0
	s_mov_b64 s[62:63], 0
	s_and_saveexec_b64 s[10:11], s[8:9]
; %bb.14:
	v_add_u32_e32 v1, s42, v20
	v_add_u32_e32 v6, s56, v20
	v_mul_lo_u32 v1, v1, s41
	v_mul_lo_u32 v6, v6, s43
	v_sub_u32_e32 v1, v1, v6
	v_cmp_lt_u32_e64 s[8:9], s57, v1
	s_and_b64 s[62:63], s[8:9], exec
; %bb.15:
	s_or_b64 exec, exec, s[10:11]
	v_add_u32_e32 v1, s37, v21
	v_add_u32_e32 v6, s39, v21
	v_mul_lo_u32 v1, v1, s36
	v_mul_lo_u32 v6, v6, s38
	v_sub_u32_e32 v1, v1, v6
	v_cmp_lt_u32_e64 s[8:9], s40, v1
	v_cmp_ge_u32_e64 s[10:11], s40, v1
	s_and_saveexec_b64 s[12:13], s[10:11]
; %bb.16:
	v_add_u32_e32 v1, s42, v21
	v_add_u32_e32 v6, s56, v21
	v_mul_lo_u32 v1, v1, s41
	v_mul_lo_u32 v6, v6, s43
	v_sub_u32_e32 v1, v1, v6
	v_cmp_lt_u32_e64 s[10:11], s57, v1
	s_and_b64 s[64:65], s[10:11], exec
; %bb.17:
	s_or_b64 exec, exec, s[12:13]
	v_add_u32_e32 v1, s37, v18
	v_add_u32_e32 v6, s39, v18
	v_mul_lo_u32 v1, v1, s36
	v_mul_lo_u32 v6, v6, s38
	v_sub_u32_e32 v1, v1, v6
	v_cmp_lt_u32_e64 s[10:11], s40, v1
	;; [unrolled: 38-line block ×5, first 2 shown]
	v_cmp_ge_u32_e64 s[24:25], s40, v1
	s_mov_b64 s[80:81], 0
	s_mov_b64 s[82:83], 0
	s_and_saveexec_b64 s[26:27], s[24:25]
; %bb.30:
	v_add_u32_e32 v1, s42, v12
	v_add_u32_e32 v6, s56, v12
	v_mul_lo_u32 v1, v1, s41
	v_mul_lo_u32 v6, v6, s43
	v_sub_u32_e32 v1, v1, v6
	v_cmp_lt_u32_e64 s[24:25], s57, v1
	s_and_b64 s[82:83], s[24:25], exec
; %bb.31:
	s_or_b64 exec, exec, s[26:27]
	v_add_u32_e32 v1, s37, v13
	v_add_u32_e32 v6, s39, v13
	v_mul_lo_u32 v1, v1, s36
	v_mul_lo_u32 v6, v6, s38
	v_sub_u32_e32 v1, v1, v6
	v_cmp_lt_u32_e64 s[24:25], s40, v1
	v_cmp_ge_u32_e64 s[26:27], s40, v1
	s_and_saveexec_b64 s[52:53], s[26:27]
; %bb.32:
	v_add_u32_e32 v1, s42, v13
	v_add_u32_e32 v6, s56, v13
	v_mul_lo_u32 v1, v1, s41
	v_mul_lo_u32 v6, v6, s43
	v_sub_u32_e32 v1, v1, v6
	v_cmp_lt_u32_e64 s[26:27], s57, v1
	s_and_b64 s[80:81], s[26:27], exec
; %bb.33:
	s_or_b64 exec, exec, s[52:53]
	v_add_u32_e32 v1, s37, v35
	v_add_u32_e32 v6, s39, v35
	v_mul_lo_u32 v1, v1, s36
	v_mul_lo_u32 v6, v6, s38
	v_sub_u32_e32 v1, v1, v6
	v_cmp_ge_u32_e64 s[26:27], s40, v1
	s_mov_b64 s[52:53], -1
	s_mov_b64 s[74:75], 0
	s_mov_b64 s[54:55], 0
	s_and_saveexec_b64 s[84:85], s[26:27]
; %bb.34:
	v_add_u32_e32 v1, s42, v35
	v_add_u32_e32 v6, s56, v35
	v_mul_lo_u32 v1, v1, s41
	v_mul_lo_u32 v6, v6, s43
	v_sub_u32_e32 v1, v1, v6
	v_cmp_lt_u32_e64 s[26:27], s57, v1
	s_and_b64 s[54:55], s[26:27], exec
	s_xor_b64 s[52:53], exec, -1
; %bb.35:
	s_or_b64 exec, exec, s[84:85]
	v_cndmask_b32_e64 v57, 0, 1, s[82:83]
	v_cndmask_b32_e64 v60, 0, 1, s[24:25]
	;; [unrolled: 1-line block ×22, first 2 shown]
	v_cndmask_b32_e64 v37, 0, 1, vcc
	v_cndmask_b32_e64 v59, 0, 1, s[80:81]
	s_add_i32 s16, s86, 0xd00
	s_and_b64 vcc, exec, s[74:75]
	s_cbranch_vccnz .LBB1285_37
	s_branch .LBB1285_90
.LBB1285_36:
                                        ; implicit-def: $sgpr52_sgpr53
                                        ; implicit-def: $sgpr54_sgpr55
                                        ; implicit-def: $vgpr59
                                        ; implicit-def: $vgpr57
                                        ; implicit-def: $vgpr55
                                        ; implicit-def: $vgpr53
                                        ; implicit-def: $vgpr51
                                        ; implicit-def: $vgpr49
                                        ; implicit-def: $vgpr47
                                        ; implicit-def: $vgpr45
                                        ; implicit-def: $vgpr43
                                        ; implicit-def: $vgpr37
                                        ; implicit-def: $vgpr39
                                        ; implicit-def: $vgpr41
                                        ; implicit-def: $vgpr44
                                        ; implicit-def: $vgpr46
                                        ; implicit-def: $vgpr48
                                        ; implicit-def: $vgpr50
                                        ; implicit-def: $vgpr52
                                        ; implicit-def: $vgpr54
                                        ; implicit-def: $vgpr56
                                        ; implicit-def: $vgpr58
                                        ; implicit-def: $vgpr60
                                        ; implicit-def: $vgpr38
                                        ; implicit-def: $vgpr40
                                        ; implicit-def: $vgpr42
	s_add_i32 s16, s86, 0xd00
	s_cbranch_execz .LBB1285_90
.LBB1285_37:
	v_cmp_gt_u32_e32 vcc, s16, v36
	v_mov_b32_e32 v38, 0
	v_mov_b32_e32 v37, 0
	s_and_saveexec_b64 s[6:7], vcc
	s_cbranch_execz .LBB1285_41
; %bb.38:
	v_add_u32_e32 v1, s37, v22
	v_add_u32_e32 v6, s39, v22
	v_mul_lo_u32 v1, v1, s36
	v_mul_lo_u32 v6, v6, s38
	v_sub_u32_e32 v1, v1, v6
	v_cmp_lt_u32_e32 vcc, s40, v1
	v_cmp_ge_u32_e64 s[4:5], s40, v1
	s_mov_b64 s[10:11], 0
	s_and_saveexec_b64 s[8:9], s[4:5]
; %bb.39:
	v_add_u32_e32 v1, s42, v22
	v_add_u32_e32 v6, s56, v22
	v_mul_lo_u32 v1, v1, s41
	v_mul_lo_u32 v6, v6, s43
	v_sub_u32_e32 v1, v1, v6
	v_cmp_lt_u32_e64 s[4:5], s57, v1
	s_and_b64 s[10:11], s[4:5], exec
; %bb.40:
	s_or_b64 exec, exec, s[8:9]
	v_cndmask_b32_e64 v37, 0, 1, vcc
	v_cndmask_b32_e64 v38, 0, 1, s[10:11]
.LBB1285_41:
	s_or_b64 exec, exec, s[6:7]
	v_add_u32_e32 v1, 1, v36
	v_cmp_gt_u32_e32 vcc, s16, v1
	v_mov_b32_e32 v39, 0
	v_mov_b32_e32 v40, 0
	s_and_saveexec_b64 s[6:7], vcc
	s_cbranch_execz .LBB1285_45
; %bb.42:
	v_add_u32_e32 v1, s37, v23
	v_add_u32_e32 v6, s39, v23
	v_mul_lo_u32 v1, v1, s36
	v_mul_lo_u32 v6, v6, s38
	v_sub_u32_e32 v1, v1, v6
	v_cmp_lt_u32_e32 vcc, s40, v1
	v_cmp_ge_u32_e64 s[4:5], s40, v1
	s_mov_b64 s[10:11], 0
	s_and_saveexec_b64 s[8:9], s[4:5]
; %bb.43:
	v_add_u32_e32 v1, s42, v23
	v_add_u32_e32 v6, s56, v23
	v_mul_lo_u32 v1, v1, s41
	v_mul_lo_u32 v6, v6, s43
	v_sub_u32_e32 v1, v1, v6
	v_cmp_lt_u32_e64 s[4:5], s57, v1
	s_and_b64 s[10:11], s[4:5], exec
; %bb.44:
	s_or_b64 exec, exec, s[8:9]
	v_cndmask_b32_e64 v39, 0, 1, vcc
	v_cndmask_b32_e64 v40, 0, 1, s[10:11]
.LBB1285_45:
	s_or_b64 exec, exec, s[6:7]
	v_add_u32_e32 v1, 2, v36
	;; [unrolled: 30-line block ×12, first 2 shown]
	v_cmp_gt_u32_e32 vcc, s16, v1
	s_mov_b64 s[52:53], 0
	s_mov_b64 s[54:55], 0
	s_and_saveexec_b64 s[4:5], vcc
	s_cbranch_execz .LBB1285_89
; %bb.86:
	v_add_u32_e32 v1, s37, v35
	v_add_u32_e32 v6, s39, v35
	v_mul_lo_u32 v1, v1, s36
	v_mul_lo_u32 v6, v6, s38
	v_sub_u32_e32 v1, v1, v6
	v_cmp_ge_u32_e32 vcc, s40, v1
	s_mov_b64 s[8:9], -1
	s_mov_b64 s[10:11], 0
	s_and_saveexec_b64 s[6:7], vcc
; %bb.87:
	v_add_u32_e32 v1, s42, v35
	v_add_u32_e32 v6, s56, v35
	v_mul_lo_u32 v1, v1, s41
	v_mul_lo_u32 v6, v6, s43
	v_sub_u32_e32 v1, v1, v6
	v_cmp_lt_u32_e32 vcc, s57, v1
	s_and_b64 s[10:11], vcc, exec
	s_xor_b64 s[8:9], exec, -1
; %bb.88:
	s_or_b64 exec, exec, s[6:7]
	s_and_b64 s[54:55], s[10:11], exec
	s_and_b64 s[52:53], s[8:9], exec
.LBB1285_89:
	s_or_b64 exec, exec, s[4:5]
.LBB1285_90:
	v_and_b32_e32 v68, 0xff, v38
	v_and_b32_e32 v79, 0xff, v40
	;; [unrolled: 1-line block ×5, first 2 shown]
	v_add3_u32 v6, v79, v70, v68
	v_and_b32_e32 v81, 0xff, v47
	v_and_b32_e32 v74, 0xff, v49
	v_add3_u32 v6, v6, v80, v72
	v_and_b32_e32 v67, 0xff, v37
	v_and_b32_e32 v61, 0xff, v39
	;; [unrolled: 1-line block ×5, first 2 shown]
	v_add3_u32 v6, v6, v81, v74
	v_and_b32_e32 v62, 0xff, v44
	v_and_b32_e32 v71, 0xff, v46
	;; [unrolled: 1-line block ×4, first 2 shown]
	v_add3_u32 v7, v61, v69, v67
	v_add3_u32 v6, v6, v82, v76
	v_and_b32_e32 v63, 0xff, v48
	v_and_b32_e32 v73, 0xff, v50
	;; [unrolled: 1-line block ×3, first 2 shown]
	v_cndmask_b32_e64 v1, 0, 1, s[54:55]
	v_add3_u32 v7, v7, v62, v71
	v_add3_u32 v6, v6, v83, v78
	v_and_b32_e32 v64, 0xff, v52
	v_and_b32_e32 v75, 0xff, v54
	v_add3_u32 v7, v7, v63, v73
	v_add3_u32 v91, v6, v84, v1
	v_mbcnt_lo_u32_b32 v1, -1, 0
	v_and_b32_e32 v65, 0xff, v56
	v_and_b32_e32 v77, 0xff, v58
	v_add3_u32 v7, v7, v64, v75
	v_mbcnt_hi_u32_b32 v85, -1, v1
	v_and_b32_e32 v66, 0xff, v60
	v_add3_u32 v7, v7, v65, v77
	v_cndmask_b32_e64 v8, 0, 1, s[52:53]
	v_and_b32_e32 v89, 15, v85
	s_cmp_lg_u32 s33, 0
	v_add3_u32 v90, v7, v66, v8
	v_cmp_eq_u32_e64 s[6:7], 0, v89
	v_cmp_lt_u32_e64 s[4:5], 1, v89
	v_cmp_lt_u32_e64 s[10:11], 3, v89
	;; [unrolled: 1-line block ×3, first 2 shown]
	v_and_b32_e32 v88, 16, v85
	v_cmp_lt_u32_e32 vcc, 31, v85
	v_lshrrev_b32_e32 v86, 6, v0
	v_or_b32_e32 v87, 63, v0
	s_cbranch_scc0 .LBB1285_119
; %bb.91:
	v_mov_b32_dpp v1, v90 row_shr:1 row_mask:0xf bank_mask:0xf
	v_mov_b32_dpp v6, v91 row_shr:1 row_mask:0xf bank_mask:0xf
	v_add_u32_e32 v1, v1, v90
	v_add_u32_e32 v6, v6, v91
	v_cndmask_b32_e64 v6, v6, v91, s[6:7]
	v_cndmask_b32_e64 v1, v1, v90, s[6:7]
	s_nop 0
	v_mov_b32_dpp v8, v6 row_shr:2 row_mask:0xf bank_mask:0xf
	v_mov_b32_dpp v7, v1 row_shr:2 row_mask:0xf bank_mask:0xf
	v_add_u32_e32 v7, v1, v7
	v_add_u32_e32 v8, v6, v8
	v_cndmask_b32_e64 v6, v6, v8, s[4:5]
	v_cndmask_b32_e64 v1, v1, v7, s[4:5]
	s_nop 0
	;; [unrolled: 7-line block ×3, first 2 shown]
	v_mov_b32_dpp v8, v6 row_shr:8 row_mask:0xf bank_mask:0xf
	v_mov_b32_dpp v7, v1 row_shr:8 row_mask:0xf bank_mask:0xf
	v_add_u32_e32 v7, v1, v7
	v_add_u32_e32 v8, v6, v8
	v_cndmask_b32_e64 v6, v6, v8, s[8:9]
	v_cndmask_b32_e64 v1, v1, v7, s[8:9]
	v_cmp_eq_u32_e64 s[8:9], 0, v88
	v_mov_b32_dpp v8, v6 row_bcast:15 row_mask:0xf bank_mask:0xf
	v_mov_b32_dpp v7, v1 row_bcast:15 row_mask:0xf bank_mask:0xf
	v_add_u32_e32 v7, v1, v7
	v_add_u32_e32 v8, v6, v8
	v_cndmask_b32_e64 v6, v8, v6, s[8:9]
	v_cndmask_b32_e64 v1, v7, v1, s[8:9]
	s_nop 0
	v_mov_b32_dpp v8, v6 row_bcast:31 row_mask:0xf bank_mask:0xf
	v_mov_b32_dpp v7, v1 row_bcast:31 row_mask:0xf bank_mask:0xf
	v_add_u32_e32 v8, v6, v8
	v_add_u32_e32 v9, v1, v7
	v_cndmask_b32_e32 v7, v6, v8, vcc
	v_cndmask_b32_e32 v6, v1, v9, vcc
	v_cmp_eq_u32_e32 vcc, v87, v0
	s_and_saveexec_b64 s[8:9], vcc
	s_cbranch_execz .LBB1285_93
; %bb.92:
	v_lshlrev_b32_e32 v1, 3, v86
	ds_write_b64 v1, v[6:7]
.LBB1285_93:
	s_or_b64 exec, exec, s[8:9]
	v_cmp_gt_u32_e32 vcc, 4, v0
	s_waitcnt lgkmcnt(0)
	s_barrier
	s_and_saveexec_b64 s[8:9], vcc
	s_cbranch_execz .LBB1285_95
; %bb.94:
	v_lshlrev_b32_e32 v1, 3, v0
	ds_read_b64 v[8:9], v1
	v_and_b32_e32 v10, 3, v85
	v_cmp_eq_u32_e32 vcc, 0, v10
	s_waitcnt lgkmcnt(0)
	v_mov_b32_dpp v11, v8 row_shr:1 row_mask:0xf bank_mask:0xf
	v_mov_b32_dpp v24, v9 row_shr:1 row_mask:0xf bank_mask:0xf
	v_add_u32_e32 v11, v11, v8
	v_add_u32_e32 v24, v24, v9
	v_cndmask_b32_e32 v9, v24, v9, vcc
	v_cndmask_b32_e32 v8, v11, v8, vcc
	v_cmp_lt_u32_e32 vcc, 1, v10
	v_mov_b32_dpp v24, v9 row_shr:2 row_mask:0xf bank_mask:0xf
	v_mov_b32_dpp v11, v8 row_shr:2 row_mask:0xf bank_mask:0xf
	v_cndmask_b32_e32 v10, 0, v11, vcc
	v_cndmask_b32_e32 v11, 0, v24, vcc
	v_add_u32_e32 v9, v11, v9
	v_add_u32_e32 v8, v10, v8
	ds_write_b64 v1, v[8:9]
.LBB1285_95:
	s_or_b64 exec, exec, s[8:9]
	v_cmp_gt_u32_e32 vcc, 64, v0
	v_cmp_lt_u32_e64 s[8:9], 63, v0
	s_waitcnt lgkmcnt(0)
	s_barrier
	s_waitcnt lgkmcnt(0)
                                        ; implicit-def: $vgpr25
	s_and_saveexec_b64 s[10:11], s[8:9]
	s_xor_b64 s[8:9], exec, s[10:11]
	s_cbranch_execz .LBB1285_97
; %bb.96:
	v_lshl_add_u32 v1, v86, 3, -8
	ds_read_b64 v[24:25], v1
	s_waitcnt lgkmcnt(0)
	v_add_u32_e32 v7, v25, v7
	v_add_u32_e32 v6, v24, v6
.LBB1285_97:
	s_andn2_saveexec_b64 s[8:9], s[8:9]
; %bb.98:
                                        ; implicit-def: $vgpr24
; %bb.99:
	s_or_b64 exec, exec, s[8:9]
	v_add_u32_e32 v1, -1, v85
	v_and_b32_e32 v8, 64, v85
	v_cmp_lt_i32_e64 s[8:9], v1, v8
	v_cndmask_b32_e64 v1, v1, v85, s[8:9]
	v_lshlrev_b32_e32 v8, 2, v1
	ds_bpermute_b32 v1, v8, v6
	ds_bpermute_b32 v92, v8, v7
	v_cmp_eq_u32_e64 s[8:9], 0, v85
	s_and_saveexec_b64 s[10:11], vcc
	s_cbranch_execz .LBB1285_118
; %bb.100:
	v_mov_b32_e32 v11, 0
	ds_read_b64 v[26:27], v11 offset:24
	s_and_saveexec_b64 s[12:13], s[8:9]
	s_cbranch_execz .LBB1285_102
; %bb.101:
	s_add_i32 s14, s33, 64
	s_mov_b32 s15, 0
	s_lshl_b64 s[14:15], s[14:15], 4
	s_waitcnt lgkmcnt(0)
	v_and_b32_e32 v6, 0xff000000, v27
	v_and_b32_e32 v7, 0xff0000, v27
	s_add_u32 s14, s50, s14
	v_or_b32_e32 v6, v7, v6
	v_and_b32_e32 v7, 0xff00, v27
	s_addc_u32 s15, s51, s15
	v_or_b32_e32 v6, v6, v7
	v_or_b32_sdwa v9, v6, v27 dst_sel:DWORD dst_unused:UNUSED_PAD src0_sel:DWORD src1_sel:BYTE_0
	v_mov_b32_e32 v10, 1
	v_mov_b32_e32 v8, v26
	v_pk_mov_b32 v[6:7], s[14:15], s[14:15] op_sel:[0,1]
	;;#ASMSTART
	global_store_dwordx4 v[6:7], v[8:11] off	
s_waitcnt vmcnt(0)
	;;#ASMEND
.LBB1285_102:
	s_or_b64 exec, exec, s[12:13]
	v_xad_u32 v28, v85, -1, s33
	v_add_u32_e32 v10, 64, v28
	v_lshlrev_b64 v[6:7], 4, v[10:11]
	v_mov_b32_e32 v8, s51
	v_add_co_u32_e32 v30, vcc, s50, v6
	v_addc_co_u32_e32 v31, vcc, v8, v7, vcc
	;;#ASMSTART
	global_load_dwordx4 v[6:9], v[30:31] off glc	
s_waitcnt vmcnt(0)
	;;#ASMEND
	v_and_b32_e32 v9, 0xff, v7
	v_and_b32_e32 v10, 0xff00, v7
	v_or3_b32 v9, 0, v9, v10
	v_or3_b32 v6, v6, 0, 0
	v_and_b32_e32 v10, 0xff000000, v7
	v_and_b32_e32 v7, 0xff0000, v7
	v_or3_b32 v7, v9, v7, v10
	v_or3_b32 v6, v6, 0, 0
	v_cmp_eq_u16_sdwa s[14:15], v8, v11 src0_sel:BYTE_0 src1_sel:DWORD
	s_and_saveexec_b64 s[12:13], s[14:15]
	s_cbranch_execz .LBB1285_106
; %bb.103:
	s_mov_b64 s[14:15], 0
	v_mov_b32_e32 v10, 0
.LBB1285_104:                           ; =>This Inner Loop Header: Depth=1
	;;#ASMSTART
	global_load_dwordx4 v[6:9], v[30:31] off glc	
s_waitcnt vmcnt(0)
	;;#ASMEND
	v_cmp_ne_u16_sdwa s[18:19], v8, v10 src0_sel:BYTE_0 src1_sel:DWORD
	s_or_b64 s[14:15], s[18:19], s[14:15]
	s_andn2_b64 exec, exec, s[14:15]
	s_cbranch_execnz .LBB1285_104
; %bb.105:
	s_or_b64 exec, exec, s[14:15]
.LBB1285_106:
	s_or_b64 exec, exec, s[12:13]
	v_and_b32_e32 v94, 63, v85
	v_cmp_ne_u32_e32 vcc, 63, v94
	v_mov_b32_e32 v93, 2
	v_addc_co_u32_e32 v30, vcc, 0, v85, vcc
	v_cmp_eq_u16_sdwa s[12:13], v8, v93 src0_sel:BYTE_0 src1_sel:DWORD
	v_lshlrev_b64 v[10:11], v85, -1
	v_lshlrev_b32_e32 v95, 2, v30
	v_and_b32_e32 v9, s13, v11
	ds_bpermute_b32 v30, v95, v6
	ds_bpermute_b32 v31, v95, v7
	v_or_b32_e32 v9, 0x80000000, v9
	v_and_b32_e32 v29, s12, v10
	v_ffbl_b32_e32 v9, v9
	v_add_u32_e32 v9, 32, v9
	v_ffbl_b32_e32 v29, v29
	v_min_u32_e32 v9, v29, v9
	s_waitcnt lgkmcnt(1)
	v_add_u32_e32 v29, v30, v6
	s_waitcnt lgkmcnt(0)
	v_add_u32_e32 v30, v31, v7
	v_cmp_lt_u32_e32 vcc, v94, v9
	v_cndmask_b32_e32 v7, v7, v30, vcc
	v_cndmask_b32_e32 v6, v6, v29, vcc
	v_cmp_gt_u32_e32 vcc, 62, v94
	v_cndmask_b32_e64 v29, 0, 1, vcc
	v_lshlrev_b32_e32 v29, 1, v29
	v_add_lshl_u32 v96, v29, v85, 2
	ds_bpermute_b32 v29, v96, v6
	ds_bpermute_b32 v30, v96, v7
	v_add_u32_e32 v97, 2, v94
	v_cmp_gt_u32_e32 vcc, v97, v9
	v_add_u32_e32 v99, 4, v94
	s_waitcnt lgkmcnt(1)
	v_add_u32_e32 v29, v6, v29
	s_waitcnt lgkmcnt(0)
	v_add_u32_e32 v30, v7, v30
	v_cndmask_b32_e32 v7, v30, v7, vcc
	v_cndmask_b32_e32 v6, v29, v6, vcc
	v_cmp_gt_u32_e32 vcc, 60, v94
	v_cndmask_b32_e64 v29, 0, 1, vcc
	v_lshlrev_b32_e32 v29, 2, v29
	v_add_lshl_u32 v98, v29, v85, 2
	ds_bpermute_b32 v29, v98, v6
	ds_bpermute_b32 v30, v98, v7
	v_cmp_gt_u32_e32 vcc, v99, v9
	v_add_u32_e32 v101, 8, v94
	v_add_u32_e32 v103, 16, v94
	s_waitcnt lgkmcnt(1)
	v_add_u32_e32 v29, v6, v29
	s_waitcnt lgkmcnt(0)
	v_add_u32_e32 v30, v7, v30
	v_cndmask_b32_e32 v7, v30, v7, vcc
	v_cndmask_b32_e32 v6, v29, v6, vcc
	v_cmp_gt_u32_e32 vcc, 56, v94
	v_cndmask_b32_e64 v29, 0, 1, vcc
	v_lshlrev_b32_e32 v29, 3, v29
	v_add_lshl_u32 v100, v29, v85, 2
	ds_bpermute_b32 v29, v100, v6
	ds_bpermute_b32 v30, v100, v7
	v_cmp_gt_u32_e32 vcc, v101, v9
	v_add_u32_e32 v105, 32, v94
	s_waitcnt lgkmcnt(1)
	v_add_u32_e32 v29, v6, v29
	s_waitcnt lgkmcnt(0)
	v_add_u32_e32 v30, v7, v30
	v_cndmask_b32_e32 v7, v30, v7, vcc
	v_cndmask_b32_e32 v6, v29, v6, vcc
	v_cmp_gt_u32_e32 vcc, 48, v94
	v_cndmask_b32_e64 v29, 0, 1, vcc
	v_lshlrev_b32_e32 v29, 4, v29
	v_add_lshl_u32 v102, v29, v85, 2
	ds_bpermute_b32 v29, v102, v6
	ds_bpermute_b32 v30, v102, v7
	v_cmp_gt_u32_e32 vcc, v103, v9
	s_waitcnt lgkmcnt(1)
	v_add_u32_e32 v29, v6, v29
	s_waitcnt lgkmcnt(0)
	v_add_u32_e32 v30, v7, v30
	v_cndmask_b32_e32 v7, v30, v7, vcc
	v_cndmask_b32_e32 v6, v29, v6, vcc
	v_cmp_gt_u32_e32 vcc, 32, v94
	v_cndmask_b32_e64 v29, 0, 1, vcc
	v_lshlrev_b32_e32 v29, 5, v29
	v_add_lshl_u32 v104, v29, v85, 2
	ds_bpermute_b32 v29, v104, v6
	ds_bpermute_b32 v30, v104, v7
	v_cmp_le_u32_e32 vcc, v105, v9
	s_waitcnt lgkmcnt(1)
	v_cndmask_b32_e32 v9, 0, v29, vcc
	s_waitcnt lgkmcnt(0)
	v_cndmask_b32_e32 v29, 0, v30, vcc
	v_add_u32_e32 v7, v7, v29
	v_add_u32_e32 v6, v6, v9
	v_mov_b32_e32 v29, 0
	s_branch .LBB1285_108
.LBB1285_107:                           ;   in Loop: Header=BB1285_108 Depth=1
	s_or_b64 exec, exec, s[12:13]
	v_cmp_eq_u16_sdwa s[12:13], v8, v93 src0_sel:BYTE_0 src1_sel:DWORD
	v_and_b32_e32 v9, s13, v11
	ds_bpermute_b32 v33, v95, v6
	ds_bpermute_b32 v106, v95, v7
	v_or_b32_e32 v9, 0x80000000, v9
	v_and_b32_e32 v32, s12, v10
	v_ffbl_b32_e32 v9, v9
	v_add_u32_e32 v9, 32, v9
	v_ffbl_b32_e32 v32, v32
	v_min_u32_e32 v9, v32, v9
	s_waitcnt lgkmcnt(1)
	v_add_u32_e32 v32, v33, v6
	s_waitcnt lgkmcnt(0)
	v_add_u32_e32 v33, v106, v7
	v_cmp_lt_u32_e32 vcc, v94, v9
	v_cndmask_b32_e32 v7, v7, v33, vcc
	v_cndmask_b32_e32 v6, v6, v32, vcc
	ds_bpermute_b32 v32, v96, v6
	ds_bpermute_b32 v33, v96, v7
	v_cmp_gt_u32_e32 vcc, v97, v9
	v_subrev_u32_e32 v28, 64, v28
	s_waitcnt lgkmcnt(1)
	v_add_u32_e32 v32, v6, v32
	s_waitcnt lgkmcnt(0)
	v_add_u32_e32 v33, v7, v33
	v_cndmask_b32_e32 v7, v33, v7, vcc
	v_cndmask_b32_e32 v6, v32, v6, vcc
	ds_bpermute_b32 v32, v98, v6
	ds_bpermute_b32 v33, v98, v7
	v_cmp_gt_u32_e32 vcc, v99, v9
	s_waitcnt lgkmcnt(1)
	v_add_u32_e32 v32, v6, v32
	s_waitcnt lgkmcnt(0)
	v_add_u32_e32 v33, v7, v33
	v_cndmask_b32_e32 v7, v33, v7, vcc
	v_cndmask_b32_e32 v6, v32, v6, vcc
	ds_bpermute_b32 v32, v100, v6
	ds_bpermute_b32 v33, v100, v7
	v_cmp_gt_u32_e32 vcc, v101, v9
	;; [unrolled: 9-line block ×3, first 2 shown]
	s_waitcnt lgkmcnt(1)
	v_add_u32_e32 v32, v6, v32
	s_waitcnt lgkmcnt(0)
	v_add_u32_e32 v33, v7, v33
	v_cndmask_b32_e32 v7, v33, v7, vcc
	v_cndmask_b32_e32 v6, v32, v6, vcc
	ds_bpermute_b32 v32, v104, v6
	ds_bpermute_b32 v33, v104, v7
	v_cmp_le_u32_e32 vcc, v105, v9
	s_waitcnt lgkmcnt(1)
	v_cndmask_b32_e32 v9, 0, v32, vcc
	s_waitcnt lgkmcnt(0)
	v_cndmask_b32_e32 v32, 0, v33, vcc
	v_add3_u32 v7, v32, v31, v7
	v_add3_u32 v6, v9, v30, v6
.LBB1285_108:                           ; =>This Loop Header: Depth=1
                                        ;     Child Loop BB1285_111 Depth 2
	v_cmp_ne_u16_sdwa s[12:13], v8, v93 src0_sel:BYTE_0 src1_sel:DWORD
	v_cndmask_b32_e64 v8, 0, 1, s[12:13]
	;;#ASMSTART
	;;#ASMEND
	v_cmp_ne_u32_e32 vcc, 0, v8
	s_cmp_lg_u64 vcc, exec
	v_pk_mov_b32 v[30:31], v[6:7], v[6:7] op_sel:[0,1]
	s_cbranch_scc1 .LBB1285_113
; %bb.109:                              ;   in Loop: Header=BB1285_108 Depth=1
	v_lshlrev_b64 v[6:7], 4, v[28:29]
	v_mov_b32_e32 v8, s51
	v_add_co_u32_e32 v32, vcc, s50, v6
	v_addc_co_u32_e32 v33, vcc, v8, v7, vcc
	;;#ASMSTART
	global_load_dwordx4 v[6:9], v[32:33] off glc	
s_waitcnt vmcnt(0)
	;;#ASMEND
	v_and_b32_e32 v9, 0xff, v7
	v_and_b32_e32 v106, 0xff00, v7
	v_or3_b32 v9, 0, v9, v106
	v_or3_b32 v6, v6, 0, 0
	v_and_b32_e32 v106, 0xff000000, v7
	v_and_b32_e32 v7, 0xff0000, v7
	v_or3_b32 v7, v9, v7, v106
	v_or3_b32 v6, v6, 0, 0
	v_cmp_eq_u16_sdwa s[14:15], v8, v29 src0_sel:BYTE_0 src1_sel:DWORD
	s_and_saveexec_b64 s[12:13], s[14:15]
	s_cbranch_execz .LBB1285_107
; %bb.110:                              ;   in Loop: Header=BB1285_108 Depth=1
	s_mov_b64 s[14:15], 0
.LBB1285_111:                           ;   Parent Loop BB1285_108 Depth=1
                                        ; =>  This Inner Loop Header: Depth=2
	;;#ASMSTART
	global_load_dwordx4 v[6:9], v[32:33] off glc	
s_waitcnt vmcnt(0)
	;;#ASMEND
	v_cmp_ne_u16_sdwa s[18:19], v8, v29 src0_sel:BYTE_0 src1_sel:DWORD
	s_or_b64 s[14:15], s[18:19], s[14:15]
	s_andn2_b64 exec, exec, s[14:15]
	s_cbranch_execnz .LBB1285_111
; %bb.112:                              ;   in Loop: Header=BB1285_108 Depth=1
	s_or_b64 exec, exec, s[14:15]
	s_branch .LBB1285_107
.LBB1285_113:                           ;   in Loop: Header=BB1285_108 Depth=1
                                        ; implicit-def: $vgpr8
                                        ; implicit-def: $vgpr6_vgpr7
	s_cbranch_execz .LBB1285_108
; %bb.114:
	s_and_saveexec_b64 s[12:13], s[8:9]
	s_cbranch_execz .LBB1285_116
; %bb.115:
	s_add_i32 s14, s33, 64
	s_mov_b32 s15, 0
	v_add_u32_e32 v7, v31, v27
	s_lshl_b64 s[14:15], s[14:15], 4
	s_add_u32 s14, s50, s14
	v_and_b32_e32 v8, 0xff000000, v7
	v_and_b32_e32 v10, 0xff0000, v7
	s_addc_u32 s15, s51, s15
	v_or_b32_e32 v8, v10, v8
	v_and_b32_e32 v10, 0xff00, v7
	v_and_b32_e32 v7, 0xff, v7
	v_add_u32_e32 v6, v30, v26
	v_mov_b32_e32 v9, 0
	v_or3_b32 v7, v8, v10, v7
	v_mov_b32_e32 v8, 2
	v_pk_mov_b32 v[10:11], s[14:15], s[14:15] op_sel:[0,1]
	;;#ASMSTART
	global_store_dwordx4 v[10:11], v[6:9] off	
s_waitcnt vmcnt(0)
	;;#ASMEND
	s_movk_i32 s14, 0x3400
	v_add_u32_e64 v6, s14, 0
	ds_write2_b32 v6, v26, v27 offset1:2
	ds_write2_b32 v6, v30, v31 offset0:4 offset1:6
.LBB1285_116:
	s_or_b64 exec, exec, s[12:13]
	s_and_b64 exec, exec, s[0:1]
	s_cbranch_execz .LBB1285_118
; %bb.117:
	v_mov_b32_e32 v6, 0
	ds_write_b64 v6, v[30:31] offset:24
.LBB1285_118:
	s_or_b64 exec, exec, s[10:11]
	v_mov_b32_e32 v6, 0
	s_waitcnt lgkmcnt(0)
	s_barrier
	ds_read_b64 v[10:11], v6 offset:24
	v_cndmask_b32_e64 v25, v92, v25, s[8:9]
	v_cndmask_b32_e64 v1, v1, v24, s[8:9]
	s_movk_i32 s8, 0x3400
	s_waitcnt lgkmcnt(0)
	v_add_u32_e32 v24, v10, v1
	v_add_u32_e64 v1, s8, 0
	s_barrier
	ds_read2_b32 v[6:7], v1 offset1:2
	ds_read2_b32 v[8:9], v1 offset0:4 offset1:6
	v_add_u32_e32 v1, v11, v25
	v_cndmask_b32_e64 v1, v1, v11, s[0:1]
	v_cndmask_b32_e64 v10, v24, v10, s[0:1]
	s_branch .LBB1285_129
.LBB1285_119:
                                        ; implicit-def: $vgpr1
                                        ; implicit-def: $vgpr8
                                        ; implicit-def: $vgpr6
                                        ; implicit-def: $vgpr10_vgpr11
	s_cbranch_execz .LBB1285_129
; %bb.120:
	s_nop 0
	v_mov_b32_dpp v1, v90 row_shr:1 row_mask:0xf bank_mask:0xf
	s_waitcnt lgkmcnt(1)
	v_mov_b32_dpp v6, v91 row_shr:1 row_mask:0xf bank_mask:0xf
	v_add_u32_e32 v1, v1, v90
	v_add_u32_e32 v6, v6, v91
	v_cndmask_b32_e64 v6, v6, v91, s[6:7]
	v_cndmask_b32_e64 v1, v1, v90, s[6:7]
	v_cmp_lt_u32_e32 vcc, 3, v89
	s_waitcnt lgkmcnt(0)
	v_mov_b32_dpp v8, v6 row_shr:2 row_mask:0xf bank_mask:0xf
	v_mov_b32_dpp v7, v1 row_shr:2 row_mask:0xf bank_mask:0xf
	v_add_u32_e32 v7, v1, v7
	v_add_u32_e32 v8, v6, v8
	v_cndmask_b32_e64 v6, v6, v8, s[4:5]
	v_cndmask_b32_e64 v1, v1, v7, s[4:5]
	s_nop 0
	v_mov_b32_dpp v8, v6 row_shr:4 row_mask:0xf bank_mask:0xf
	v_mov_b32_dpp v7, v1 row_shr:4 row_mask:0xf bank_mask:0xf
	v_add_u32_e32 v7, v1, v7
	v_add_u32_e32 v8, v6, v8
	v_cndmask_b32_e32 v6, v6, v8, vcc
	v_cndmask_b32_e32 v1, v1, v7, vcc
	v_cmp_lt_u32_e32 vcc, 7, v89
	v_mov_b32_dpp v8, v6 row_shr:8 row_mask:0xf bank_mask:0xf
	v_mov_b32_dpp v7, v1 row_shr:8 row_mask:0xf bank_mask:0xf
	v_add_u32_e32 v7, v1, v7
	v_add_u32_e32 v8, v6, v8
	v_cndmask_b32_e32 v6, v6, v8, vcc
	v_cndmask_b32_e32 v1, v1, v7, vcc
	v_cmp_eq_u32_e32 vcc, 0, v88
	v_mov_b32_dpp v8, v6 row_bcast:15 row_mask:0xf bank_mask:0xf
	v_mov_b32_dpp v7, v1 row_bcast:15 row_mask:0xf bank_mask:0xf
	v_add_u32_e32 v7, v1, v7
	v_add_u32_e32 v8, v6, v8
	v_cndmask_b32_e32 v6, v8, v6, vcc
	v_cndmask_b32_e32 v1, v7, v1, vcc
	v_cmp_lt_u32_e32 vcc, 31, v85
	v_mov_b32_dpp v8, v6 row_bcast:31 row_mask:0xf bank_mask:0xf
	v_mov_b32_dpp v7, v1 row_bcast:31 row_mask:0xf bank_mask:0xf
	v_add_u32_e32 v8, v6, v8
	v_add_u32_e32 v9, v1, v7
	v_cndmask_b32_e32 v7, v6, v8, vcc
	v_cndmask_b32_e32 v6, v1, v9, vcc
	v_cmp_eq_u32_e32 vcc, v87, v0
	s_and_saveexec_b64 s[4:5], vcc
	s_cbranch_execz .LBB1285_122
; %bb.121:
	v_lshlrev_b32_e32 v1, 3, v86
	ds_write_b64 v1, v[6:7]
.LBB1285_122:
	s_or_b64 exec, exec, s[4:5]
	v_cmp_gt_u32_e32 vcc, 4, v0
	s_waitcnt lgkmcnt(0)
	s_barrier
	s_and_saveexec_b64 s[4:5], vcc
	s_cbranch_execz .LBB1285_124
; %bb.123:
	v_lshlrev_b32_e32 v1, 3, v0
	ds_read_b64 v[8:9], v1
	v_and_b32_e32 v10, 3, v85
	v_cmp_eq_u32_e32 vcc, 0, v10
	s_waitcnt lgkmcnt(0)
	v_mov_b32_dpp v11, v8 row_shr:1 row_mask:0xf bank_mask:0xf
	v_mov_b32_dpp v24, v9 row_shr:1 row_mask:0xf bank_mask:0xf
	v_add_u32_e32 v11, v11, v8
	v_add_u32_e32 v24, v24, v9
	v_cndmask_b32_e32 v9, v24, v9, vcc
	v_cndmask_b32_e32 v8, v11, v8, vcc
	v_cmp_lt_u32_e32 vcc, 1, v10
	v_mov_b32_dpp v24, v9 row_shr:2 row_mask:0xf bank_mask:0xf
	v_mov_b32_dpp v11, v8 row_shr:2 row_mask:0xf bank_mask:0xf
	v_cndmask_b32_e32 v10, 0, v11, vcc
	v_cndmask_b32_e32 v11, 0, v24, vcc
	v_add_u32_e32 v9, v11, v9
	v_add_u32_e32 v8, v10, v8
	ds_write_b64 v1, v[8:9]
.LBB1285_124:
	s_or_b64 exec, exec, s[4:5]
	v_cmp_lt_u32_e32 vcc, 63, v0
	v_mov_b32_e32 v8, 0
	v_mov_b32_e32 v10, 0
	;; [unrolled: 1-line block ×3, first 2 shown]
	s_waitcnt lgkmcnt(0)
	s_barrier
	s_and_saveexec_b64 s[4:5], vcc
	s_cbranch_execz .LBB1285_126
; %bb.125:
	v_lshl_add_u32 v1, v86, 3, -8
	ds_read_b64 v[10:11], v1
.LBB1285_126:
	s_or_b64 exec, exec, s[4:5]
	s_waitcnt lgkmcnt(0)
	v_add_u32_e32 v9, v11, v7
	v_add_u32_e32 v1, v10, v6
	v_add_u32_e32 v6, -1, v85
	v_and_b32_e32 v7, 64, v85
	v_cmp_lt_i32_e32 vcc, v6, v7
	v_cndmask_b32_e32 v6, v6, v85, vcc
	v_lshlrev_b32_e32 v24, 2, v6
	ds_read_b64 v[6:7], v8 offset:24
	ds_bpermute_b32 v1, v24, v1
	ds_bpermute_b32 v24, v24, v9
	s_waitcnt lgkmcnt(2)
	v_readfirstlane_b32 s6, v7
	s_and_saveexec_b64 s[4:5], s[0:1]
	s_cbranch_execz .LBB1285_128
; %bb.127:
	s_add_u32 s8, s50, 0x400
	s_mov_b32 s10, 0
	s_addc_u32 s9, s51, 0
	s_and_b32 s11, s6, 0xff000000
	s_and_b32 s13, s6, 0xff0000
	s_mov_b32 s12, s10
	s_or_b64 s[12:13], s[12:13], s[10:11]
	s_and_b32 s11, s6, 0xff00
	s_or_b64 s[12:13], s[12:13], s[10:11]
	s_and_b32 s11, s6, 0xff
	s_or_b64 s[10:11], s[12:13], s[10:11]
	v_mov_b32_e32 v7, s11
	v_mov_b32_e32 v8, 2
	;; [unrolled: 1-line block ×3, first 2 shown]
	v_pk_mov_b32 v[26:27], s[8:9], s[8:9] op_sel:[0,1]
	;;#ASMSTART
	global_store_dwordx4 v[26:27], v[6:9] off	
s_waitcnt vmcnt(0)
	;;#ASMEND
.LBB1285_128:
	s_or_b64 exec, exec, s[4:5]
	v_cmp_eq_u32_e32 vcc, 0, v85
	s_waitcnt lgkmcnt(1)
	v_cndmask_b32_e32 v7, v1, v10, vcc
	s_waitcnt lgkmcnt(0)
	v_cndmask_b32_e32 v1, v24, v11, vcc
	v_mov_b32_e32 v8, 0
	v_cndmask_b32_e64 v1, v1, 0, s[0:1]
	v_cndmask_b32_e64 v10, v7, 0, s[0:1]
	s_barrier
	v_mov_b32_e32 v7, s6
	v_mov_b32_e32 v9, 0
.LBB1285_129:
	v_add_u32_e32 v11, v10, v67
	v_add_u32_e32 v26, v1, v68
	;; [unrolled: 1-line block ×13, first 2 shown]
	s_waitcnt vmcnt(0) lgkmcnt(0)
	v_add_co_u32_e32 v2, vcc, v2, v8
	v_add_u32_e32 v68, v62, v74
	v_add_u32_e32 v64, v67, v64
	v_addc_co_u32_e32 v3, vcc, 0, v3, vcc
	v_add_u32_e32 v69, v68, v82
	v_add_u32_e32 v70, v64, v75
	v_sub_co_u32_e32 v24, vcc, v4, v6
	v_add_u32_e32 v71, v69, v76
	v_add_u32_e32 v65, v70, v65
	v_subbrev_co_u32_e32 v25, vcc, 0, v5, vcc
	v_lshlrev_b32_e32 v76, 1, v6
	v_sub_u32_e32 v1, v1, v9
	v_add_u32_e32 v73, v65, v77
	v_add_co_u32_e32 v24, vcc, v24, v9
	v_add_u32_e32 v77, v76, v7
	v_sub_u32_e32 v10, v10, v8
	v_add_u32_e32 v1, v1, v6
	v_addc_co_u32_e32 v25, vcc, 0, v25, vcc
	v_add_u32_e32 v36, v77, v36
	v_and_b32_e32 v38, 1, v38
	v_add_u32_e32 v77, v10, v1
	v_and_b32_e32 v37, 1, v37
	v_sub_u32_e32 v77, v36, v77
	v_cmp_eq_u32_e32 vcc, 1, v38
	v_cndmask_b32_e32 v1, v77, v1, vcc
	v_cmp_eq_u32_e32 vcc, 1, v37
	v_cndmask_b32_e32 v1, v1, v10, vcc
	v_lshlrev_b32_e32 v1, 2, v1
	ds_write_b32 v1, v22
	v_sub_u32_e32 v1, v11, v8
	v_sub_u32_e32 v11, v26, v9
	v_add_u32_e32 v11, v11, v6
	v_add_u32_e32 v26, v11, v1
	v_and_b32_e32 v22, 1, v40
	v_sub_u32_e32 v26, v36, v26
	v_and_b32_e32 v10, 1, v39
	v_add_u32_e32 v26, 1, v26
	v_cmp_eq_u32_e32 vcc, 1, v22
	v_cndmask_b32_e32 v11, v26, v11, vcc
	v_cmp_eq_u32_e32 vcc, 1, v10
	v_cndmask_b32_e32 v1, v11, v1, vcc
	v_lshlrev_b32_e32 v1, 2, v1
	v_sub_u32_e32 v11, v27, v9
	ds_write_b32 v1, v23
	v_sub_u32_e32 v1, v28, v8
	v_add_u32_e32 v11, v11, v6
	v_add_u32_e32 v23, v11, v1
	v_and_b32_e32 v22, 1, v42
	v_sub_u32_e32 v23, v36, v23
	v_and_b32_e32 v10, 1, v41
	v_add_u32_e32 v23, 2, v23
	v_cmp_eq_u32_e32 vcc, 1, v22
	v_cndmask_b32_e32 v11, v23, v11, vcc
	v_cmp_eq_u32_e32 vcc, 1, v10
	v_cndmask_b32_e32 v1, v11, v1, vcc
	v_lshlrev_b32_e32 v1, 2, v1
	v_sub_u32_e32 v11, v30, v9
	ds_write_b32 v1, v20
	;; [unrolled: 14-line block ×8, first 2 shown]
	v_sub_u32_e32 v1, v70, v8
	v_add_u32_e32 v11, v11, v6
	v_add_u32_e32 v16, v1, v11
	v_and_b32_e32 v14, 1, v55
	v_sub_u32_e32 v16, v36, v16
	v_and_b32_e32 v10, 1, v56
	v_add_u32_e32 v16, 9, v16
	v_cmp_eq_u32_e32 vcc, 1, v14
	v_cndmask_b32_e32 v11, v16, v11, vcc
	v_cmp_eq_u32_e32 vcc, 1, v10
	v_add_u32_e32 v72, v71, v83
	v_cndmask_b32_e32 v1, v11, v1, vcc
	v_lshlrev_b32_e32 v1, 2, v1
	v_sub_u32_e32 v11, v72, v9
	ds_write_b32 v1, v15
	v_sub_u32_e32 v1, v65, v8
	v_add_u32_e32 v11, v11, v6
	v_add_u32_e32 v15, v1, v11
	v_and_b32_e32 v14, 1, v57
	v_sub_u32_e32 v15, v36, v15
	v_and_b32_e32 v10, 1, v58
	v_add_u32_e32 v15, 10, v15
	v_cmp_eq_u32_e32 vcc, 1, v14
	v_cndmask_b32_e32 v11, v15, v11, vcc
	v_cmp_eq_u32_e32 vcc, 1, v10
	v_add_u32_e32 v74, v72, v78
	v_cndmask_b32_e32 v1, v11, v1, vcc
	v_lshlrev_b32_e32 v1, 2, v1
	v_sub_u32_e32 v11, v74, v9
	ds_write_b32 v1, v12
	v_sub_u32_e32 v1, v73, v8
	v_add_u32_e32 v11, v11, v6
	v_add_u32_e32 v14, v1, v11
	v_and_b32_e32 v12, 1, v59
	v_sub_u32_e32 v14, v36, v14
	v_and_b32_e32 v10, 1, v60
	v_add_u32_e32 v14, 11, v14
	v_cmp_eq_u32_e32 vcc, 1, v12
	v_cndmask_b32_e32 v11, v14, v11, vcc
	v_cmp_eq_u32_e32 vcc, 1, v10
	v_cndmask_b32_e32 v1, v11, v1, vcc
	v_add_u32_e32 v75, v74, v84
	v_add_u32_e32 v66, v73, v66
	v_lshlrev_b32_e32 v1, 2, v1
	ds_write_b32 v1, v13
	v_sub_u32_e32 v1, v66, v8
	v_sub_u32_e32 v8, v75, v9
	v_add_u32_e32 v8, v8, v6
	v_add_u32_e32 v10, v1, v8
	v_sub_u32_e32 v10, v36, v10
	v_add_u32_e32 v10, 12, v10
	v_cndmask_b32_e64 v8, v10, v8, s[54:55]
	v_cndmask_b32_e64 v1, v8, v1, s[52:53]
	v_lshlrev_b32_e32 v1, 2, v1
	ds_write_b32 v1, v35
	v_mov_b32_e32 v1, s49
	v_add_co_u32_e32 v8, vcc, s48, v34
	v_addc_co_u32_e32 v10, vcc, 0, v1, vcc
	v_add_co_u32_e32 v1, vcc, v7, v76
	v_addc_co_u32_e64 v11, s[4:5], 0, 0, vcc
	v_add_co_u32_e32 v1, vcc, v1, v24
	v_addc_co_u32_e32 v11, vcc, v11, v25, vcc
	v_add_co_u32_e32 v1, vcc, v1, v2
	v_addc_co_u32_e32 v11, vcc, v11, v3, vcc
	v_sub_co_u32_e32 v1, vcc, v8, v1
	v_subb_co_u32_e32 v8, vcc, v10, v11, vcc
	v_lshlrev_b64 v[10:11], 2, v[24:25]
	v_mov_b32_e32 v12, s47
	v_add_co_u32_e32 v10, vcc, s46, v10
	v_addc_co_u32_e32 v11, vcc, v12, v11, vcc
	v_lshlrev_b64 v[12:13], 2, v[2:3]
	v_mov_b32_e32 v15, s45
	v_add_co_u32_e32 v12, vcc, s44, v12
	s_add_u32 s8, s34, -4
	v_addc_co_u32_e32 v13, vcc, v15, v13, vcc
	s_addc_u32 s9, s35, -1
	v_add_u32_e32 v14, v6, v7
	s_and_b64 vcc, exec, s[2:3]
	s_mov_b64 s[2:3], -1
	s_waitcnt lgkmcnt(0)
	s_barrier
	s_cbranch_vccz .LBB1285_133
; %bb.130:
	s_and_b64 vcc, exec, s[2:3]
	s_cbranch_vccnz .LBB1285_238
.LBB1285_131:
	s_and_b64 s[0:1], s[0:1], s[30:31]
	s_and_saveexec_b64 s[2:3], s[0:1]
	s_cbranch_execnz .LBB1285_356
.LBB1285_132:
	s_endpgm
.LBB1285_133:
	v_cmp_le_u32_e32 vcc, v6, v0
	s_and_saveexec_b64 s[2:3], vcc
	s_xor_b64 s[2:3], exec, s[2:3]
	s_cbranch_execz .LBB1285_139
; %bb.134:
	v_cmp_le_u32_e32 vcc, v14, v0
	s_and_saveexec_b64 s[4:5], vcc
	s_xor_b64 s[4:5], exec, s[4:5]
	s_cbranch_execz .LBB1285_136
; %bb.135:
	v_lshlrev_b32_e32 v15, 2, v0
	v_add_co_u32_e32 v16, vcc, v1, v0
	ds_read_b32 v15, v15
	v_addc_co_u32_e32 v17, vcc, 0, v8, vcc
	v_lshlrev_b64 v[16:17], 2, v[16:17]
	v_mov_b32_e32 v18, s35
	v_sub_co_u32_e32 v16, vcc, s34, v16
	v_subb_co_u32_e32 v17, vcc, v18, v17, vcc
	s_waitcnt lgkmcnt(0)
	global_store_dword v[16:17], v15, off offset:-4
.LBB1285_136:
	s_andn2_saveexec_b64 s[4:5], s[4:5]
	s_cbranch_execz .LBB1285_138
; %bb.137:
	v_lshlrev_b32_e32 v15, 2, v0
	ds_read_b32 v16, v15
	v_readfirstlane_b32 s6, v10
	v_readfirstlane_b32 s7, v11
	s_waitcnt lgkmcnt(0)
	s_nop 3
	global_store_dword v15, v16, s[6:7]
.LBB1285_138:
	s_or_b64 exec, exec, s[4:5]
.LBB1285_139:
	s_andn2_saveexec_b64 s[2:3], s[2:3]
	s_cbranch_execz .LBB1285_141
; %bb.140:
	v_lshlrev_b32_e32 v15, 2, v0
	ds_read_b32 v16, v15
	v_readfirstlane_b32 s4, v12
	v_readfirstlane_b32 s5, v13
	s_waitcnt lgkmcnt(0)
	s_nop 3
	global_store_dword v15, v16, s[4:5]
.LBB1285_141:
	s_or_b64 exec, exec, s[2:3]
	v_or_b32_e32 v15, 0x100, v0
	v_cmp_le_u32_e32 vcc, v6, v15
	s_and_saveexec_b64 s[2:3], vcc
	s_xor_b64 s[2:3], exec, s[2:3]
	s_cbranch_execz .LBB1285_147
; %bb.142:
	v_cmp_le_u32_e32 vcc, v14, v15
	s_and_saveexec_b64 s[4:5], vcc
	s_xor_b64 s[4:5], exec, s[4:5]
	s_cbranch_execz .LBB1285_144
; %bb.143:
	v_lshlrev_b32_e32 v15, 2, v0
	ds_read_b32 v15, v15 offset:1024
	v_add_co_u32_e32 v16, vcc, v1, v0
	v_addc_co_u32_e32 v17, vcc, 0, v8, vcc
	v_lshlrev_b64 v[16:17], 2, v[16:17]
	v_mov_b32_e32 v18, s9
	v_sub_co_u32_e32 v16, vcc, s8, v16
	v_subb_co_u32_e32 v17, vcc, v18, v17, vcc
	s_waitcnt lgkmcnt(0)
	global_store_dword v[16:17], v15, off offset:-1024
.LBB1285_144:
	s_andn2_saveexec_b64 s[4:5], s[4:5]
	s_cbranch_execz .LBB1285_146
; %bb.145:
	v_lshlrev_b32_e32 v15, 2, v0
	ds_read_b32 v16, v15 offset:1024
	v_readfirstlane_b32 s6, v10
	v_readfirstlane_b32 s7, v11
	s_waitcnt lgkmcnt(0)
	s_nop 3
	global_store_dword v15, v16, s[6:7] offset:1024
.LBB1285_146:
	s_or_b64 exec, exec, s[4:5]
.LBB1285_147:
	s_andn2_saveexec_b64 s[2:3], s[2:3]
	s_cbranch_execz .LBB1285_149
; %bb.148:
	v_lshlrev_b32_e32 v15, 2, v0
	ds_read_b32 v16, v15 offset:1024
	v_readfirstlane_b32 s4, v12
	v_readfirstlane_b32 s5, v13
	s_waitcnt lgkmcnt(0)
	s_nop 3
	global_store_dword v15, v16, s[4:5] offset:1024
.LBB1285_149:
	s_or_b64 exec, exec, s[2:3]
	v_or_b32_e32 v15, 0x200, v0
	v_cmp_le_u32_e32 vcc, v6, v15
	s_and_saveexec_b64 s[2:3], vcc
	s_xor_b64 s[2:3], exec, s[2:3]
	s_cbranch_execz .LBB1285_155
; %bb.150:
	v_cmp_le_u32_e32 vcc, v14, v15
	s_and_saveexec_b64 s[4:5], vcc
	s_xor_b64 s[4:5], exec, s[4:5]
	s_cbranch_execz .LBB1285_152
; %bb.151:
	v_lshlrev_b32_e32 v15, 2, v0
	ds_read_b32 v15, v15 offset:2048
	v_add_co_u32_e32 v16, vcc, v1, v0
	v_addc_co_u32_e32 v17, vcc, 0, v8, vcc
	v_lshlrev_b64 v[16:17], 2, v[16:17]
	v_mov_b32_e32 v18, s9
	v_sub_co_u32_e32 v16, vcc, s8, v16
	v_subb_co_u32_e32 v17, vcc, v18, v17, vcc
	s_waitcnt lgkmcnt(0)
	global_store_dword v[16:17], v15, off offset:-2048
.LBB1285_152:
	s_andn2_saveexec_b64 s[4:5], s[4:5]
	s_cbranch_execz .LBB1285_154
; %bb.153:
	v_lshlrev_b32_e32 v15, 2, v0
	ds_read_b32 v16, v15 offset:2048
	v_readfirstlane_b32 s6, v10
	v_readfirstlane_b32 s7, v11
	s_waitcnt lgkmcnt(0)
	s_nop 3
	global_store_dword v15, v16, s[6:7] offset:2048
.LBB1285_154:
	s_or_b64 exec, exec, s[4:5]
.LBB1285_155:
	s_andn2_saveexec_b64 s[2:3], s[2:3]
	s_cbranch_execz .LBB1285_157
; %bb.156:
	v_lshlrev_b32_e32 v15, 2, v0
	ds_read_b32 v16, v15 offset:2048
	v_readfirstlane_b32 s4, v12
	v_readfirstlane_b32 s5, v13
	s_waitcnt lgkmcnt(0)
	s_nop 3
	global_store_dword v15, v16, s[4:5] offset:2048
.LBB1285_157:
	;; [unrolled: 47-line block ×3, first 2 shown]
	s_or_b64 exec, exec, s[2:3]
	v_or_b32_e32 v15, 0x400, v0
	v_cmp_le_u32_e32 vcc, v6, v15
	s_and_saveexec_b64 s[2:3], vcc
	s_xor_b64 s[2:3], exec, s[2:3]
	s_cbranch_execz .LBB1285_171
; %bb.166:
	v_cmp_le_u32_e32 vcc, v14, v15
	s_and_saveexec_b64 s[4:5], vcc
	s_xor_b64 s[4:5], exec, s[4:5]
	s_cbranch_execz .LBB1285_168
; %bb.167:
	v_lshlrev_b32_e32 v15, 2, v0
	ds_read_b32 v15, v15 offset:4096
	v_add_co_u32_e32 v16, vcc, v1, v0
	v_addc_co_u32_e32 v17, vcc, 0, v8, vcc
	v_lshlrev_b64 v[16:17], 2, v[16:17]
	v_mov_b32_e32 v18, s9
	v_sub_co_u32_e32 v16, vcc, s8, v16
	v_subb_co_u32_e32 v17, vcc, v18, v17, vcc
	s_waitcnt lgkmcnt(0)
	global_store_dword v[16:17], v15, off offset:-4096
                                        ; implicit-def: $vgpr15
.LBB1285_168:
	s_andn2_saveexec_b64 s[4:5], s[4:5]
	s_cbranch_execz .LBB1285_170
; %bb.169:
	v_lshlrev_b32_e32 v16, 2, v0
	ds_read_b32 v16, v16 offset:4096
	v_lshlrev_b32_e32 v15, 2, v15
	v_readfirstlane_b32 s6, v10
	v_readfirstlane_b32 s7, v11
	s_waitcnt lgkmcnt(0)
	s_nop 3
	global_store_dword v15, v16, s[6:7]
.LBB1285_170:
	s_or_b64 exec, exec, s[4:5]
                                        ; implicit-def: $vgpr15
.LBB1285_171:
	s_andn2_saveexec_b64 s[2:3], s[2:3]
	s_cbranch_execz .LBB1285_173
; %bb.172:
	v_lshlrev_b32_e32 v16, 2, v0
	ds_read_b32 v16, v16 offset:4096
	v_lshlrev_b32_e32 v15, 2, v15
	v_readfirstlane_b32 s4, v12
	v_readfirstlane_b32 s5, v13
	s_waitcnt lgkmcnt(0)
	s_nop 3
	global_store_dword v15, v16, s[4:5]
.LBB1285_173:
	s_or_b64 exec, exec, s[2:3]
	v_or_b32_e32 v15, 0x500, v0
	v_cmp_le_u32_e32 vcc, v6, v15
	s_and_saveexec_b64 s[2:3], vcc
	s_xor_b64 s[2:3], exec, s[2:3]
	s_cbranch_execz .LBB1285_179
; %bb.174:
	v_cmp_le_u32_e32 vcc, v14, v15
	s_and_saveexec_b64 s[4:5], vcc
	s_xor_b64 s[4:5], exec, s[4:5]
	s_cbranch_execz .LBB1285_176
; %bb.175:
	v_add_co_u32_e32 v16, vcc, v1, v15
	v_lshlrev_b32_e32 v15, 2, v0
	ds_read_b32 v15, v15 offset:5120
	v_addc_co_u32_e32 v17, vcc, 0, v8, vcc
	v_lshlrev_b64 v[16:17], 2, v[16:17]
	v_mov_b32_e32 v18, s9
	v_sub_co_u32_e32 v16, vcc, s8, v16
	v_subb_co_u32_e32 v17, vcc, v18, v17, vcc
	s_waitcnt lgkmcnt(0)
	global_store_dword v[16:17], v15, off
                                        ; implicit-def: $vgpr15
.LBB1285_176:
	s_andn2_saveexec_b64 s[4:5], s[4:5]
	s_cbranch_execz .LBB1285_178
; %bb.177:
	v_lshlrev_b32_e32 v16, 2, v0
	ds_read_b32 v16, v16 offset:5120
	v_lshlrev_b32_e32 v15, 2, v15
	v_readfirstlane_b32 s6, v10
	v_readfirstlane_b32 s7, v11
	s_waitcnt lgkmcnt(0)
	s_nop 3
	global_store_dword v15, v16, s[6:7]
.LBB1285_178:
	s_or_b64 exec, exec, s[4:5]
                                        ; implicit-def: $vgpr15
.LBB1285_179:
	s_andn2_saveexec_b64 s[2:3], s[2:3]
	s_cbranch_execz .LBB1285_181
; %bb.180:
	v_lshlrev_b32_e32 v16, 2, v0
	ds_read_b32 v16, v16 offset:5120
	v_lshlrev_b32_e32 v15, 2, v15
	v_readfirstlane_b32 s4, v12
	v_readfirstlane_b32 s5, v13
	s_waitcnt lgkmcnt(0)
	s_nop 3
	global_store_dword v15, v16, s[4:5]
.LBB1285_181:
	s_or_b64 exec, exec, s[2:3]
	v_or_b32_e32 v15, 0x600, v0
	v_cmp_le_u32_e32 vcc, v6, v15
	s_and_saveexec_b64 s[2:3], vcc
	s_xor_b64 s[2:3], exec, s[2:3]
	s_cbranch_execz .LBB1285_187
; %bb.182:
	v_cmp_le_u32_e32 vcc, v14, v15
	s_and_saveexec_b64 s[4:5], vcc
	s_xor_b64 s[4:5], exec, s[4:5]
	s_cbranch_execz .LBB1285_184
; %bb.183:
	v_add_co_u32_e32 v16, vcc, v1, v15
	v_lshlrev_b32_e32 v15, 2, v0
	ds_read_b32 v15, v15 offset:6144
	v_addc_co_u32_e32 v17, vcc, 0, v8, vcc
	v_lshlrev_b64 v[16:17], 2, v[16:17]
	v_mov_b32_e32 v18, s9
	v_sub_co_u32_e32 v16, vcc, s8, v16
	v_subb_co_u32_e32 v17, vcc, v18, v17, vcc
	s_waitcnt lgkmcnt(0)
	global_store_dword v[16:17], v15, off
                                        ; implicit-def: $vgpr15
.LBB1285_184:
	s_andn2_saveexec_b64 s[4:5], s[4:5]
	s_cbranch_execz .LBB1285_186
; %bb.185:
	v_lshlrev_b32_e32 v16, 2, v0
	ds_read_b32 v16, v16 offset:6144
	v_lshlrev_b32_e32 v15, 2, v15
	v_readfirstlane_b32 s6, v10
	v_readfirstlane_b32 s7, v11
	s_waitcnt lgkmcnt(0)
	s_nop 3
	global_store_dword v15, v16, s[6:7]
.LBB1285_186:
	s_or_b64 exec, exec, s[4:5]
                                        ; implicit-def: $vgpr15
.LBB1285_187:
	;; [unrolled: 51-line block ×8, first 2 shown]
	s_andn2_saveexec_b64 s[2:3], s[2:3]
	s_cbranch_execz .LBB1285_237
; %bb.236:
	v_lshlrev_b32_e32 v16, 2, v0
	ds_read_b32 v16, v16 offset:12288
	v_lshlrev_b32_e32 v15, 2, v15
	v_readfirstlane_b32 s4, v12
	v_readfirstlane_b32 s5, v13
	s_waitcnt lgkmcnt(0)
	s_nop 3
	global_store_dword v15, v16, s[4:5]
.LBB1285_237:
	s_or_b64 exec, exec, s[2:3]
	s_branch .LBB1285_131
.LBB1285_238:
	v_cmp_gt_u32_e32 vcc, s16, v0
	s_and_saveexec_b64 s[2:3], vcc
	s_cbranch_execz .LBB1285_247
; %bb.239:
	v_cmp_le_u32_e32 vcc, v6, v0
	s_and_saveexec_b64 s[4:5], vcc
	s_xor_b64 s[4:5], exec, s[4:5]
	s_cbranch_execz .LBB1285_245
; %bb.240:
	v_cmp_le_u32_e32 vcc, v14, v0
	s_and_saveexec_b64 s[6:7], vcc
	s_xor_b64 s[6:7], exec, s[6:7]
	s_cbranch_execz .LBB1285_242
; %bb.241:
	v_lshlrev_b32_e32 v15, 2, v0
	v_add_co_u32_e32 v16, vcc, v1, v0
	ds_read_b32 v15, v15
	v_addc_co_u32_e32 v17, vcc, 0, v8, vcc
	v_lshlrev_b64 v[16:17], 2, v[16:17]
	v_mov_b32_e32 v18, s35
	v_sub_co_u32_e32 v16, vcc, s34, v16
	v_subb_co_u32_e32 v17, vcc, v18, v17, vcc
	s_waitcnt lgkmcnt(0)
	global_store_dword v[16:17], v15, off offset:-4
.LBB1285_242:
	s_andn2_saveexec_b64 s[6:7], s[6:7]
	s_cbranch_execz .LBB1285_244
; %bb.243:
	v_lshlrev_b32_e32 v15, 2, v0
	ds_read_b32 v16, v15
	v_readfirstlane_b32 s10, v10
	v_readfirstlane_b32 s11, v11
	s_waitcnt lgkmcnt(0)
	s_nop 3
	global_store_dword v15, v16, s[10:11]
.LBB1285_244:
	s_or_b64 exec, exec, s[6:7]
.LBB1285_245:
	s_andn2_saveexec_b64 s[4:5], s[4:5]
	s_cbranch_execz .LBB1285_247
; %bb.246:
	v_lshlrev_b32_e32 v15, 2, v0
	ds_read_b32 v16, v15
	v_readfirstlane_b32 s4, v12
	v_readfirstlane_b32 s5, v13
	s_waitcnt lgkmcnt(0)
	s_nop 3
	global_store_dword v15, v16, s[4:5]
.LBB1285_247:
	s_or_b64 exec, exec, s[2:3]
	v_or_b32_e32 v15, 0x100, v0
	v_cmp_gt_u32_e32 vcc, s16, v15
	s_and_saveexec_b64 s[2:3], vcc
	s_cbranch_execz .LBB1285_256
; %bb.248:
	v_cmp_le_u32_e32 vcc, v6, v15
	s_and_saveexec_b64 s[4:5], vcc
	s_xor_b64 s[4:5], exec, s[4:5]
	s_cbranch_execz .LBB1285_254
; %bb.249:
	v_cmp_le_u32_e32 vcc, v14, v15
	s_and_saveexec_b64 s[6:7], vcc
	s_xor_b64 s[6:7], exec, s[6:7]
	s_cbranch_execz .LBB1285_251
; %bb.250:
	v_lshlrev_b32_e32 v15, 2, v0
	ds_read_b32 v15, v15 offset:1024
	v_add_co_u32_e32 v16, vcc, v1, v0
	v_addc_co_u32_e32 v17, vcc, 0, v8, vcc
	v_lshlrev_b64 v[16:17], 2, v[16:17]
	v_mov_b32_e32 v18, s9
	v_sub_co_u32_e32 v16, vcc, s8, v16
	v_subb_co_u32_e32 v17, vcc, v18, v17, vcc
	s_waitcnt lgkmcnt(0)
	global_store_dword v[16:17], v15, off offset:-1024
.LBB1285_251:
	s_andn2_saveexec_b64 s[6:7], s[6:7]
	s_cbranch_execz .LBB1285_253
; %bb.252:
	v_lshlrev_b32_e32 v15, 2, v0
	ds_read_b32 v16, v15 offset:1024
	v_readfirstlane_b32 s10, v10
	v_readfirstlane_b32 s11, v11
	s_waitcnt lgkmcnt(0)
	s_nop 3
	global_store_dword v15, v16, s[10:11] offset:1024
.LBB1285_253:
	s_or_b64 exec, exec, s[6:7]
.LBB1285_254:
	s_andn2_saveexec_b64 s[4:5], s[4:5]
	s_cbranch_execz .LBB1285_256
; %bb.255:
	v_lshlrev_b32_e32 v15, 2, v0
	ds_read_b32 v16, v15 offset:1024
	v_readfirstlane_b32 s4, v12
	v_readfirstlane_b32 s5, v13
	s_waitcnt lgkmcnt(0)
	s_nop 3
	global_store_dword v15, v16, s[4:5] offset:1024
.LBB1285_256:
	s_or_b64 exec, exec, s[2:3]
	v_or_b32_e32 v15, 0x200, v0
	v_cmp_gt_u32_e32 vcc, s16, v15
	s_and_saveexec_b64 s[2:3], vcc
	s_cbranch_execz .LBB1285_265
; %bb.257:
	v_cmp_le_u32_e32 vcc, v6, v15
	s_and_saveexec_b64 s[4:5], vcc
	s_xor_b64 s[4:5], exec, s[4:5]
	s_cbranch_execz .LBB1285_263
; %bb.258:
	v_cmp_le_u32_e32 vcc, v14, v15
	s_and_saveexec_b64 s[6:7], vcc
	s_xor_b64 s[6:7], exec, s[6:7]
	s_cbranch_execz .LBB1285_260
; %bb.259:
	v_lshlrev_b32_e32 v15, 2, v0
	ds_read_b32 v15, v15 offset:2048
	v_add_co_u32_e32 v16, vcc, v1, v0
	v_addc_co_u32_e32 v17, vcc, 0, v8, vcc
	v_lshlrev_b64 v[16:17], 2, v[16:17]
	v_mov_b32_e32 v18, s9
	v_sub_co_u32_e32 v16, vcc, s8, v16
	v_subb_co_u32_e32 v17, vcc, v18, v17, vcc
	s_waitcnt lgkmcnt(0)
	global_store_dword v[16:17], v15, off offset:-2048
.LBB1285_260:
	s_andn2_saveexec_b64 s[6:7], s[6:7]
	s_cbranch_execz .LBB1285_262
; %bb.261:
	v_lshlrev_b32_e32 v15, 2, v0
	ds_read_b32 v16, v15 offset:2048
	v_readfirstlane_b32 s10, v10
	v_readfirstlane_b32 s11, v11
	s_waitcnt lgkmcnt(0)
	s_nop 3
	global_store_dword v15, v16, s[10:11] offset:2048
.LBB1285_262:
	s_or_b64 exec, exec, s[6:7]
.LBB1285_263:
	s_andn2_saveexec_b64 s[4:5], s[4:5]
	s_cbranch_execz .LBB1285_265
; %bb.264:
	v_lshlrev_b32_e32 v15, 2, v0
	ds_read_b32 v16, v15 offset:2048
	v_readfirstlane_b32 s4, v12
	v_readfirstlane_b32 s5, v13
	s_waitcnt lgkmcnt(0)
	s_nop 3
	global_store_dword v15, v16, s[4:5] offset:2048
.LBB1285_265:
	;; [unrolled: 51-line block ×3, first 2 shown]
	s_or_b64 exec, exec, s[2:3]
	v_or_b32_e32 v15, 0x400, v0
	v_cmp_gt_u32_e32 vcc, s16, v15
	s_and_saveexec_b64 s[2:3], vcc
	s_cbranch_execz .LBB1285_283
; %bb.275:
	v_cmp_le_u32_e32 vcc, v6, v15
	s_and_saveexec_b64 s[4:5], vcc
	s_xor_b64 s[4:5], exec, s[4:5]
	s_cbranch_execz .LBB1285_281
; %bb.276:
	v_cmp_le_u32_e32 vcc, v14, v15
	s_and_saveexec_b64 s[6:7], vcc
	s_xor_b64 s[6:7], exec, s[6:7]
	s_cbranch_execz .LBB1285_278
; %bb.277:
	v_lshlrev_b32_e32 v15, 2, v0
	ds_read_b32 v15, v15 offset:4096
	v_add_co_u32_e32 v16, vcc, v1, v0
	v_addc_co_u32_e32 v17, vcc, 0, v8, vcc
	v_lshlrev_b64 v[16:17], 2, v[16:17]
	v_mov_b32_e32 v18, s9
	v_sub_co_u32_e32 v16, vcc, s8, v16
	v_subb_co_u32_e32 v17, vcc, v18, v17, vcc
	s_waitcnt lgkmcnt(0)
	global_store_dword v[16:17], v15, off offset:-4096
                                        ; implicit-def: $vgpr15
.LBB1285_278:
	s_andn2_saveexec_b64 s[6:7], s[6:7]
	s_cbranch_execz .LBB1285_280
; %bb.279:
	v_lshlrev_b32_e32 v16, 2, v0
	ds_read_b32 v16, v16 offset:4096
	v_lshlrev_b32_e32 v15, 2, v15
	v_readfirstlane_b32 s10, v10
	v_readfirstlane_b32 s11, v11
	s_waitcnt lgkmcnt(0)
	s_nop 3
	global_store_dword v15, v16, s[10:11]
.LBB1285_280:
	s_or_b64 exec, exec, s[6:7]
                                        ; implicit-def: $vgpr15
.LBB1285_281:
	s_andn2_saveexec_b64 s[4:5], s[4:5]
	s_cbranch_execz .LBB1285_283
; %bb.282:
	v_lshlrev_b32_e32 v16, 2, v0
	ds_read_b32 v16, v16 offset:4096
	v_lshlrev_b32_e32 v15, 2, v15
	v_readfirstlane_b32 s4, v12
	v_readfirstlane_b32 s5, v13
	s_waitcnt lgkmcnt(0)
	s_nop 3
	global_store_dword v15, v16, s[4:5]
.LBB1285_283:
	s_or_b64 exec, exec, s[2:3]
	v_or_b32_e32 v15, 0x500, v0
	v_cmp_gt_u32_e32 vcc, s16, v15
	s_and_saveexec_b64 s[2:3], vcc
	s_cbranch_execz .LBB1285_292
; %bb.284:
	v_cmp_le_u32_e32 vcc, v6, v15
	s_and_saveexec_b64 s[4:5], vcc
	s_xor_b64 s[4:5], exec, s[4:5]
	s_cbranch_execz .LBB1285_290
; %bb.285:
	v_cmp_le_u32_e32 vcc, v14, v15
	s_and_saveexec_b64 s[6:7], vcc
	s_xor_b64 s[6:7], exec, s[6:7]
	s_cbranch_execz .LBB1285_287
; %bb.286:
	v_add_co_u32_e32 v16, vcc, v1, v15
	v_lshlrev_b32_e32 v15, 2, v0
	ds_read_b32 v15, v15 offset:5120
	v_addc_co_u32_e32 v17, vcc, 0, v8, vcc
	v_lshlrev_b64 v[16:17], 2, v[16:17]
	v_mov_b32_e32 v18, s9
	v_sub_co_u32_e32 v16, vcc, s8, v16
	v_subb_co_u32_e32 v17, vcc, v18, v17, vcc
	s_waitcnt lgkmcnt(0)
	global_store_dword v[16:17], v15, off
                                        ; implicit-def: $vgpr15
.LBB1285_287:
	s_andn2_saveexec_b64 s[6:7], s[6:7]
	s_cbranch_execz .LBB1285_289
; %bb.288:
	v_lshlrev_b32_e32 v16, 2, v0
	ds_read_b32 v16, v16 offset:5120
	v_lshlrev_b32_e32 v15, 2, v15
	v_readfirstlane_b32 s10, v10
	v_readfirstlane_b32 s11, v11
	s_waitcnt lgkmcnt(0)
	s_nop 3
	global_store_dword v15, v16, s[10:11]
.LBB1285_289:
	s_or_b64 exec, exec, s[6:7]
                                        ; implicit-def: $vgpr15
.LBB1285_290:
	s_andn2_saveexec_b64 s[4:5], s[4:5]
	s_cbranch_execz .LBB1285_292
; %bb.291:
	v_lshlrev_b32_e32 v16, 2, v0
	ds_read_b32 v16, v16 offset:5120
	v_lshlrev_b32_e32 v15, 2, v15
	v_readfirstlane_b32 s4, v12
	v_readfirstlane_b32 s5, v13
	s_waitcnt lgkmcnt(0)
	s_nop 3
	global_store_dword v15, v16, s[4:5]
.LBB1285_292:
	s_or_b64 exec, exec, s[2:3]
	v_or_b32_e32 v15, 0x600, v0
	v_cmp_gt_u32_e32 vcc, s16, v15
	s_and_saveexec_b64 s[2:3], vcc
	s_cbranch_execz .LBB1285_301
; %bb.293:
	v_cmp_le_u32_e32 vcc, v6, v15
	s_and_saveexec_b64 s[4:5], vcc
	s_xor_b64 s[4:5], exec, s[4:5]
	s_cbranch_execz .LBB1285_299
; %bb.294:
	v_cmp_le_u32_e32 vcc, v14, v15
	s_and_saveexec_b64 s[6:7], vcc
	s_xor_b64 s[6:7], exec, s[6:7]
	s_cbranch_execz .LBB1285_296
; %bb.295:
	v_add_co_u32_e32 v16, vcc, v1, v15
	v_lshlrev_b32_e32 v15, 2, v0
	ds_read_b32 v15, v15 offset:6144
	v_addc_co_u32_e32 v17, vcc, 0, v8, vcc
	v_lshlrev_b64 v[16:17], 2, v[16:17]
	v_mov_b32_e32 v18, s9
	v_sub_co_u32_e32 v16, vcc, s8, v16
	v_subb_co_u32_e32 v17, vcc, v18, v17, vcc
	s_waitcnt lgkmcnt(0)
	global_store_dword v[16:17], v15, off
                                        ; implicit-def: $vgpr15
.LBB1285_296:
	s_andn2_saveexec_b64 s[6:7], s[6:7]
	s_cbranch_execz .LBB1285_298
; %bb.297:
	v_lshlrev_b32_e32 v16, 2, v0
	ds_read_b32 v16, v16 offset:6144
	v_lshlrev_b32_e32 v15, 2, v15
	v_readfirstlane_b32 s10, v10
	v_readfirstlane_b32 s11, v11
	s_waitcnt lgkmcnt(0)
	s_nop 3
	global_store_dword v15, v16, s[10:11]
.LBB1285_298:
	s_or_b64 exec, exec, s[6:7]
                                        ; implicit-def: $vgpr15
.LBB1285_299:
	s_andn2_saveexec_b64 s[4:5], s[4:5]
	s_cbranch_execz .LBB1285_301
; %bb.300:
	v_lshlrev_b32_e32 v16, 2, v0
	ds_read_b32 v16, v16 offset:6144
	v_lshlrev_b32_e32 v15, 2, v15
	v_readfirstlane_b32 s4, v12
	v_readfirstlane_b32 s5, v13
	s_waitcnt lgkmcnt(0)
	s_nop 3
	global_store_dword v15, v16, s[4:5]
.LBB1285_301:
	;; [unrolled: 55-line block ×7, first 2 shown]
	s_or_b64 exec, exec, s[2:3]
	v_or_b32_e32 v15, 0xc00, v0
	v_cmp_gt_u32_e32 vcc, s16, v15
	s_and_saveexec_b64 s[2:3], vcc
	s_cbranch_execz .LBB1285_355
; %bb.347:
	v_cmp_le_u32_e32 vcc, v6, v15
	s_and_saveexec_b64 s[4:5], vcc
	s_xor_b64 s[4:5], exec, s[4:5]
	s_cbranch_execz .LBB1285_353
; %bb.348:
	v_cmp_le_u32_e32 vcc, v14, v15
	s_and_saveexec_b64 s[6:7], vcc
	s_xor_b64 s[6:7], exec, s[6:7]
	s_cbranch_execz .LBB1285_350
; %bb.349:
	v_add_co_u32_e32 v10, vcc, v1, v15
	v_lshlrev_b32_e32 v0, 2, v0
	v_addc_co_u32_e32 v11, vcc, 0, v8, vcc
	ds_read_b32 v8, v0 offset:12288
	v_lshlrev_b64 v[0:1], 2, v[10:11]
	v_mov_b32_e32 v10, s9
	v_sub_co_u32_e32 v0, vcc, s8, v0
	v_subb_co_u32_e32 v1, vcc, v10, v1, vcc
	s_waitcnt lgkmcnt(0)
	global_store_dword v[0:1], v8, off
                                        ; implicit-def: $vgpr0
                                        ; implicit-def: $vgpr15
                                        ; implicit-def: $vgpr10_vgpr11
.LBB1285_350:
	s_andn2_saveexec_b64 s[6:7], s[6:7]
	s_cbranch_execz .LBB1285_352
; %bb.351:
	v_lshlrev_b32_e32 v0, 2, v0
	ds_read_b32 v0, v0 offset:12288
	v_lshlrev_b32_e32 v1, 2, v15
	v_readfirstlane_b32 s8, v10
	v_readfirstlane_b32 s9, v11
	s_waitcnt lgkmcnt(0)
	s_nop 3
	global_store_dword v1, v0, s[8:9]
.LBB1285_352:
	s_or_b64 exec, exec, s[6:7]
                                        ; implicit-def: $vgpr0
                                        ; implicit-def: $vgpr15
                                        ; implicit-def: $vgpr12_vgpr13
.LBB1285_353:
	s_andn2_saveexec_b64 s[4:5], s[4:5]
	s_cbranch_execz .LBB1285_355
; %bb.354:
	v_lshlrev_b32_e32 v0, 2, v0
	ds_read_b32 v0, v0 offset:12288
	v_lshlrev_b32_e32 v1, 2, v15
	v_readfirstlane_b32 s4, v12
	v_readfirstlane_b32 s5, v13
	s_waitcnt lgkmcnt(0)
	s_nop 3
	global_store_dword v1, v0, s[4:5]
.LBB1285_355:
	s_or_b64 exec, exec, s[2:3]
	s_and_b64 s[0:1], s[0:1], s[30:31]
	s_and_saveexec_b64 s[2:3], s[0:1]
	s_cbranch_execz .LBB1285_132
.LBB1285_356:
	v_add_co_u32_e32 v0, vcc, v2, v6
	v_addc_co_u32_e32 v1, vcc, 0, v3, vcc
	v_add_co_u32_e32 v2, vcc, v4, v7
	v_addc_co_u32_e32 v3, vcc, 0, v5, vcc
	v_add_co_u32_e32 v2, vcc, v2, v9
	v_mov_b32_e32 v8, 0
	v_addc_co_u32_e32 v3, vcc, 0, v3, vcc
	global_store_dwordx4 v8, v[0:3], s[28:29]
	s_endpgm
	.section	.rodata,"a",@progbits
	.p2align	6, 0x0
	.amdhsa_kernel _ZN7rocprim17ROCPRIM_400000_NS6detail17trampoline_kernelINS0_13select_configILj256ELj13ELNS0_17block_load_methodE3ELS4_3ELS4_3ELNS0_20block_scan_algorithmE0ELj4294967295EEENS1_25partition_config_selectorILNS1_17partition_subalgoE4EjNS0_10empty_typeEbEEZZNS1_14partition_implILS8_4ELb0ES6_15HIP_vector_typeIjLj2EENS0_17counting_iteratorIjlEEPS9_SG_NS0_5tupleIJPjSI_NS0_16reverse_iteratorISI_EEEEENSH_IJSG_SG_SG_EEES9_SI_JZNS1_25segmented_radix_sort_implINS0_14default_configELb1EPKfPfPKlPlN2at6native12_GLOBAL__N_18offset_tEEE10hipError_tPvRmT1_PNSt15iterator_traitsIS12_E10value_typeET2_T3_PNS13_IS18_E10value_typeET4_jRbjT5_S1E_jjP12ihipStream_tbEUljE_ZNSN_ISO_Lb1ESQ_SR_ST_SU_SY_EESZ_S10_S11_S12_S16_S17_S18_S1B_S1C_jS1D_jS1E_S1E_jjS1G_bEUljE0_EEESZ_S10_S11_S18_S1C_S1E_T6_T7_T9_mT8_S1G_bDpT10_ENKUlT_T0_E_clISt17integral_constantIbLb0EES1T_IbLb1EEEEDaS1P_S1Q_EUlS1P_E_NS1_11comp_targetILNS1_3genE4ELNS1_11target_archE910ELNS1_3gpuE8ELNS1_3repE0EEENS1_30default_config_static_selectorELNS0_4arch9wavefront6targetE1EEEvS12_
		.amdhsa_group_segment_fixed_size 13340
		.amdhsa_private_segment_fixed_size 0
		.amdhsa_kernarg_size 184
		.amdhsa_user_sgpr_count 6
		.amdhsa_user_sgpr_private_segment_buffer 1
		.amdhsa_user_sgpr_dispatch_ptr 0
		.amdhsa_user_sgpr_queue_ptr 0
		.amdhsa_user_sgpr_kernarg_segment_ptr 1
		.amdhsa_user_sgpr_dispatch_id 0
		.amdhsa_user_sgpr_flat_scratch_init 0
		.amdhsa_user_sgpr_kernarg_preload_length 0
		.amdhsa_user_sgpr_kernarg_preload_offset 0
		.amdhsa_user_sgpr_private_segment_size 0
		.amdhsa_uses_dynamic_stack 0
		.amdhsa_system_sgpr_private_segment_wavefront_offset 0
		.amdhsa_system_sgpr_workgroup_id_x 1
		.amdhsa_system_sgpr_workgroup_id_y 0
		.amdhsa_system_sgpr_workgroup_id_z 0
		.amdhsa_system_sgpr_workgroup_info 0
		.amdhsa_system_vgpr_workitem_id 0
		.amdhsa_next_free_vgpr 107
		.amdhsa_next_free_sgpr 87
		.amdhsa_accum_offset 108
		.amdhsa_reserve_vcc 1
		.amdhsa_reserve_flat_scratch 0
		.amdhsa_float_round_mode_32 0
		.amdhsa_float_round_mode_16_64 0
		.amdhsa_float_denorm_mode_32 3
		.amdhsa_float_denorm_mode_16_64 3
		.amdhsa_dx10_clamp 1
		.amdhsa_ieee_mode 1
		.amdhsa_fp16_overflow 0
		.amdhsa_tg_split 0
		.amdhsa_exception_fp_ieee_invalid_op 0
		.amdhsa_exception_fp_denorm_src 0
		.amdhsa_exception_fp_ieee_div_zero 0
		.amdhsa_exception_fp_ieee_overflow 0
		.amdhsa_exception_fp_ieee_underflow 0
		.amdhsa_exception_fp_ieee_inexact 0
		.amdhsa_exception_int_div_zero 0
	.end_amdhsa_kernel
	.section	.text._ZN7rocprim17ROCPRIM_400000_NS6detail17trampoline_kernelINS0_13select_configILj256ELj13ELNS0_17block_load_methodE3ELS4_3ELS4_3ELNS0_20block_scan_algorithmE0ELj4294967295EEENS1_25partition_config_selectorILNS1_17partition_subalgoE4EjNS0_10empty_typeEbEEZZNS1_14partition_implILS8_4ELb0ES6_15HIP_vector_typeIjLj2EENS0_17counting_iteratorIjlEEPS9_SG_NS0_5tupleIJPjSI_NS0_16reverse_iteratorISI_EEEEENSH_IJSG_SG_SG_EEES9_SI_JZNS1_25segmented_radix_sort_implINS0_14default_configELb1EPKfPfPKlPlN2at6native12_GLOBAL__N_18offset_tEEE10hipError_tPvRmT1_PNSt15iterator_traitsIS12_E10value_typeET2_T3_PNS13_IS18_E10value_typeET4_jRbjT5_S1E_jjP12ihipStream_tbEUljE_ZNSN_ISO_Lb1ESQ_SR_ST_SU_SY_EESZ_S10_S11_S12_S16_S17_S18_S1B_S1C_jS1D_jS1E_S1E_jjS1G_bEUljE0_EEESZ_S10_S11_S18_S1C_S1E_T6_T7_T9_mT8_S1G_bDpT10_ENKUlT_T0_E_clISt17integral_constantIbLb0EES1T_IbLb1EEEEDaS1P_S1Q_EUlS1P_E_NS1_11comp_targetILNS1_3genE4ELNS1_11target_archE910ELNS1_3gpuE8ELNS1_3repE0EEENS1_30default_config_static_selectorELNS0_4arch9wavefront6targetE1EEEvS12_,"axG",@progbits,_ZN7rocprim17ROCPRIM_400000_NS6detail17trampoline_kernelINS0_13select_configILj256ELj13ELNS0_17block_load_methodE3ELS4_3ELS4_3ELNS0_20block_scan_algorithmE0ELj4294967295EEENS1_25partition_config_selectorILNS1_17partition_subalgoE4EjNS0_10empty_typeEbEEZZNS1_14partition_implILS8_4ELb0ES6_15HIP_vector_typeIjLj2EENS0_17counting_iteratorIjlEEPS9_SG_NS0_5tupleIJPjSI_NS0_16reverse_iteratorISI_EEEEENSH_IJSG_SG_SG_EEES9_SI_JZNS1_25segmented_radix_sort_implINS0_14default_configELb1EPKfPfPKlPlN2at6native12_GLOBAL__N_18offset_tEEE10hipError_tPvRmT1_PNSt15iterator_traitsIS12_E10value_typeET2_T3_PNS13_IS18_E10value_typeET4_jRbjT5_S1E_jjP12ihipStream_tbEUljE_ZNSN_ISO_Lb1ESQ_SR_ST_SU_SY_EESZ_S10_S11_S12_S16_S17_S18_S1B_S1C_jS1D_jS1E_S1E_jjS1G_bEUljE0_EEESZ_S10_S11_S18_S1C_S1E_T6_T7_T9_mT8_S1G_bDpT10_ENKUlT_T0_E_clISt17integral_constantIbLb0EES1T_IbLb1EEEEDaS1P_S1Q_EUlS1P_E_NS1_11comp_targetILNS1_3genE4ELNS1_11target_archE910ELNS1_3gpuE8ELNS1_3repE0EEENS1_30default_config_static_selectorELNS0_4arch9wavefront6targetE1EEEvS12_,comdat
.Lfunc_end1285:
	.size	_ZN7rocprim17ROCPRIM_400000_NS6detail17trampoline_kernelINS0_13select_configILj256ELj13ELNS0_17block_load_methodE3ELS4_3ELS4_3ELNS0_20block_scan_algorithmE0ELj4294967295EEENS1_25partition_config_selectorILNS1_17partition_subalgoE4EjNS0_10empty_typeEbEEZZNS1_14partition_implILS8_4ELb0ES6_15HIP_vector_typeIjLj2EENS0_17counting_iteratorIjlEEPS9_SG_NS0_5tupleIJPjSI_NS0_16reverse_iteratorISI_EEEEENSH_IJSG_SG_SG_EEES9_SI_JZNS1_25segmented_radix_sort_implINS0_14default_configELb1EPKfPfPKlPlN2at6native12_GLOBAL__N_18offset_tEEE10hipError_tPvRmT1_PNSt15iterator_traitsIS12_E10value_typeET2_T3_PNS13_IS18_E10value_typeET4_jRbjT5_S1E_jjP12ihipStream_tbEUljE_ZNSN_ISO_Lb1ESQ_SR_ST_SU_SY_EESZ_S10_S11_S12_S16_S17_S18_S1B_S1C_jS1D_jS1E_S1E_jjS1G_bEUljE0_EEESZ_S10_S11_S18_S1C_S1E_T6_T7_T9_mT8_S1G_bDpT10_ENKUlT_T0_E_clISt17integral_constantIbLb0EES1T_IbLb1EEEEDaS1P_S1Q_EUlS1P_E_NS1_11comp_targetILNS1_3genE4ELNS1_11target_archE910ELNS1_3gpuE8ELNS1_3repE0EEENS1_30default_config_static_selectorELNS0_4arch9wavefront6targetE1EEEvS12_, .Lfunc_end1285-_ZN7rocprim17ROCPRIM_400000_NS6detail17trampoline_kernelINS0_13select_configILj256ELj13ELNS0_17block_load_methodE3ELS4_3ELS4_3ELNS0_20block_scan_algorithmE0ELj4294967295EEENS1_25partition_config_selectorILNS1_17partition_subalgoE4EjNS0_10empty_typeEbEEZZNS1_14partition_implILS8_4ELb0ES6_15HIP_vector_typeIjLj2EENS0_17counting_iteratorIjlEEPS9_SG_NS0_5tupleIJPjSI_NS0_16reverse_iteratorISI_EEEEENSH_IJSG_SG_SG_EEES9_SI_JZNS1_25segmented_radix_sort_implINS0_14default_configELb1EPKfPfPKlPlN2at6native12_GLOBAL__N_18offset_tEEE10hipError_tPvRmT1_PNSt15iterator_traitsIS12_E10value_typeET2_T3_PNS13_IS18_E10value_typeET4_jRbjT5_S1E_jjP12ihipStream_tbEUljE_ZNSN_ISO_Lb1ESQ_SR_ST_SU_SY_EESZ_S10_S11_S12_S16_S17_S18_S1B_S1C_jS1D_jS1E_S1E_jjS1G_bEUljE0_EEESZ_S10_S11_S18_S1C_S1E_T6_T7_T9_mT8_S1G_bDpT10_ENKUlT_T0_E_clISt17integral_constantIbLb0EES1T_IbLb1EEEEDaS1P_S1Q_EUlS1P_E_NS1_11comp_targetILNS1_3genE4ELNS1_11target_archE910ELNS1_3gpuE8ELNS1_3repE0EEENS1_30default_config_static_selectorELNS0_4arch9wavefront6targetE1EEEvS12_
                                        ; -- End function
	.section	.AMDGPU.csdata,"",@progbits
; Kernel info:
; codeLenInByte = 13432
; NumSgprs: 91
; NumVgprs: 107
; NumAgprs: 0
; TotalNumVgprs: 107
; ScratchSize: 0
; MemoryBound: 0
; FloatMode: 240
; IeeeMode: 1
; LDSByteSize: 13340 bytes/workgroup (compile time only)
; SGPRBlocks: 11
; VGPRBlocks: 13
; NumSGPRsForWavesPerEU: 91
; NumVGPRsForWavesPerEU: 107
; AccumOffset: 108
; Occupancy: 4
; WaveLimiterHint : 1
; COMPUTE_PGM_RSRC2:SCRATCH_EN: 0
; COMPUTE_PGM_RSRC2:USER_SGPR: 6
; COMPUTE_PGM_RSRC2:TRAP_HANDLER: 0
; COMPUTE_PGM_RSRC2:TGID_X_EN: 1
; COMPUTE_PGM_RSRC2:TGID_Y_EN: 0
; COMPUTE_PGM_RSRC2:TGID_Z_EN: 0
; COMPUTE_PGM_RSRC2:TIDIG_COMP_CNT: 0
; COMPUTE_PGM_RSRC3_GFX90A:ACCUM_OFFSET: 26
; COMPUTE_PGM_RSRC3_GFX90A:TG_SPLIT: 0
	.section	.text._ZN7rocprim17ROCPRIM_400000_NS6detail17trampoline_kernelINS0_13select_configILj256ELj13ELNS0_17block_load_methodE3ELS4_3ELS4_3ELNS0_20block_scan_algorithmE0ELj4294967295EEENS1_25partition_config_selectorILNS1_17partition_subalgoE4EjNS0_10empty_typeEbEEZZNS1_14partition_implILS8_4ELb0ES6_15HIP_vector_typeIjLj2EENS0_17counting_iteratorIjlEEPS9_SG_NS0_5tupleIJPjSI_NS0_16reverse_iteratorISI_EEEEENSH_IJSG_SG_SG_EEES9_SI_JZNS1_25segmented_radix_sort_implINS0_14default_configELb1EPKfPfPKlPlN2at6native12_GLOBAL__N_18offset_tEEE10hipError_tPvRmT1_PNSt15iterator_traitsIS12_E10value_typeET2_T3_PNS13_IS18_E10value_typeET4_jRbjT5_S1E_jjP12ihipStream_tbEUljE_ZNSN_ISO_Lb1ESQ_SR_ST_SU_SY_EESZ_S10_S11_S12_S16_S17_S18_S1B_S1C_jS1D_jS1E_S1E_jjS1G_bEUljE0_EEESZ_S10_S11_S18_S1C_S1E_T6_T7_T9_mT8_S1G_bDpT10_ENKUlT_T0_E_clISt17integral_constantIbLb0EES1T_IbLb1EEEEDaS1P_S1Q_EUlS1P_E_NS1_11comp_targetILNS1_3genE3ELNS1_11target_archE908ELNS1_3gpuE7ELNS1_3repE0EEENS1_30default_config_static_selectorELNS0_4arch9wavefront6targetE1EEEvS12_,"axG",@progbits,_ZN7rocprim17ROCPRIM_400000_NS6detail17trampoline_kernelINS0_13select_configILj256ELj13ELNS0_17block_load_methodE3ELS4_3ELS4_3ELNS0_20block_scan_algorithmE0ELj4294967295EEENS1_25partition_config_selectorILNS1_17partition_subalgoE4EjNS0_10empty_typeEbEEZZNS1_14partition_implILS8_4ELb0ES6_15HIP_vector_typeIjLj2EENS0_17counting_iteratorIjlEEPS9_SG_NS0_5tupleIJPjSI_NS0_16reverse_iteratorISI_EEEEENSH_IJSG_SG_SG_EEES9_SI_JZNS1_25segmented_radix_sort_implINS0_14default_configELb1EPKfPfPKlPlN2at6native12_GLOBAL__N_18offset_tEEE10hipError_tPvRmT1_PNSt15iterator_traitsIS12_E10value_typeET2_T3_PNS13_IS18_E10value_typeET4_jRbjT5_S1E_jjP12ihipStream_tbEUljE_ZNSN_ISO_Lb1ESQ_SR_ST_SU_SY_EESZ_S10_S11_S12_S16_S17_S18_S1B_S1C_jS1D_jS1E_S1E_jjS1G_bEUljE0_EEESZ_S10_S11_S18_S1C_S1E_T6_T7_T9_mT8_S1G_bDpT10_ENKUlT_T0_E_clISt17integral_constantIbLb0EES1T_IbLb1EEEEDaS1P_S1Q_EUlS1P_E_NS1_11comp_targetILNS1_3genE3ELNS1_11target_archE908ELNS1_3gpuE7ELNS1_3repE0EEENS1_30default_config_static_selectorELNS0_4arch9wavefront6targetE1EEEvS12_,comdat
	.globl	_ZN7rocprim17ROCPRIM_400000_NS6detail17trampoline_kernelINS0_13select_configILj256ELj13ELNS0_17block_load_methodE3ELS4_3ELS4_3ELNS0_20block_scan_algorithmE0ELj4294967295EEENS1_25partition_config_selectorILNS1_17partition_subalgoE4EjNS0_10empty_typeEbEEZZNS1_14partition_implILS8_4ELb0ES6_15HIP_vector_typeIjLj2EENS0_17counting_iteratorIjlEEPS9_SG_NS0_5tupleIJPjSI_NS0_16reverse_iteratorISI_EEEEENSH_IJSG_SG_SG_EEES9_SI_JZNS1_25segmented_radix_sort_implINS0_14default_configELb1EPKfPfPKlPlN2at6native12_GLOBAL__N_18offset_tEEE10hipError_tPvRmT1_PNSt15iterator_traitsIS12_E10value_typeET2_T3_PNS13_IS18_E10value_typeET4_jRbjT5_S1E_jjP12ihipStream_tbEUljE_ZNSN_ISO_Lb1ESQ_SR_ST_SU_SY_EESZ_S10_S11_S12_S16_S17_S18_S1B_S1C_jS1D_jS1E_S1E_jjS1G_bEUljE0_EEESZ_S10_S11_S18_S1C_S1E_T6_T7_T9_mT8_S1G_bDpT10_ENKUlT_T0_E_clISt17integral_constantIbLb0EES1T_IbLb1EEEEDaS1P_S1Q_EUlS1P_E_NS1_11comp_targetILNS1_3genE3ELNS1_11target_archE908ELNS1_3gpuE7ELNS1_3repE0EEENS1_30default_config_static_selectorELNS0_4arch9wavefront6targetE1EEEvS12_ ; -- Begin function _ZN7rocprim17ROCPRIM_400000_NS6detail17trampoline_kernelINS0_13select_configILj256ELj13ELNS0_17block_load_methodE3ELS4_3ELS4_3ELNS0_20block_scan_algorithmE0ELj4294967295EEENS1_25partition_config_selectorILNS1_17partition_subalgoE4EjNS0_10empty_typeEbEEZZNS1_14partition_implILS8_4ELb0ES6_15HIP_vector_typeIjLj2EENS0_17counting_iteratorIjlEEPS9_SG_NS0_5tupleIJPjSI_NS0_16reverse_iteratorISI_EEEEENSH_IJSG_SG_SG_EEES9_SI_JZNS1_25segmented_radix_sort_implINS0_14default_configELb1EPKfPfPKlPlN2at6native12_GLOBAL__N_18offset_tEEE10hipError_tPvRmT1_PNSt15iterator_traitsIS12_E10value_typeET2_T3_PNS13_IS18_E10value_typeET4_jRbjT5_S1E_jjP12ihipStream_tbEUljE_ZNSN_ISO_Lb1ESQ_SR_ST_SU_SY_EESZ_S10_S11_S12_S16_S17_S18_S1B_S1C_jS1D_jS1E_S1E_jjS1G_bEUljE0_EEESZ_S10_S11_S18_S1C_S1E_T6_T7_T9_mT8_S1G_bDpT10_ENKUlT_T0_E_clISt17integral_constantIbLb0EES1T_IbLb1EEEEDaS1P_S1Q_EUlS1P_E_NS1_11comp_targetILNS1_3genE3ELNS1_11target_archE908ELNS1_3gpuE7ELNS1_3repE0EEENS1_30default_config_static_selectorELNS0_4arch9wavefront6targetE1EEEvS12_
	.p2align	8
	.type	_ZN7rocprim17ROCPRIM_400000_NS6detail17trampoline_kernelINS0_13select_configILj256ELj13ELNS0_17block_load_methodE3ELS4_3ELS4_3ELNS0_20block_scan_algorithmE0ELj4294967295EEENS1_25partition_config_selectorILNS1_17partition_subalgoE4EjNS0_10empty_typeEbEEZZNS1_14partition_implILS8_4ELb0ES6_15HIP_vector_typeIjLj2EENS0_17counting_iteratorIjlEEPS9_SG_NS0_5tupleIJPjSI_NS0_16reverse_iteratorISI_EEEEENSH_IJSG_SG_SG_EEES9_SI_JZNS1_25segmented_radix_sort_implINS0_14default_configELb1EPKfPfPKlPlN2at6native12_GLOBAL__N_18offset_tEEE10hipError_tPvRmT1_PNSt15iterator_traitsIS12_E10value_typeET2_T3_PNS13_IS18_E10value_typeET4_jRbjT5_S1E_jjP12ihipStream_tbEUljE_ZNSN_ISO_Lb1ESQ_SR_ST_SU_SY_EESZ_S10_S11_S12_S16_S17_S18_S1B_S1C_jS1D_jS1E_S1E_jjS1G_bEUljE0_EEESZ_S10_S11_S18_S1C_S1E_T6_T7_T9_mT8_S1G_bDpT10_ENKUlT_T0_E_clISt17integral_constantIbLb0EES1T_IbLb1EEEEDaS1P_S1Q_EUlS1P_E_NS1_11comp_targetILNS1_3genE3ELNS1_11target_archE908ELNS1_3gpuE7ELNS1_3repE0EEENS1_30default_config_static_selectorELNS0_4arch9wavefront6targetE1EEEvS12_,@function
_ZN7rocprim17ROCPRIM_400000_NS6detail17trampoline_kernelINS0_13select_configILj256ELj13ELNS0_17block_load_methodE3ELS4_3ELS4_3ELNS0_20block_scan_algorithmE0ELj4294967295EEENS1_25partition_config_selectorILNS1_17partition_subalgoE4EjNS0_10empty_typeEbEEZZNS1_14partition_implILS8_4ELb0ES6_15HIP_vector_typeIjLj2EENS0_17counting_iteratorIjlEEPS9_SG_NS0_5tupleIJPjSI_NS0_16reverse_iteratorISI_EEEEENSH_IJSG_SG_SG_EEES9_SI_JZNS1_25segmented_radix_sort_implINS0_14default_configELb1EPKfPfPKlPlN2at6native12_GLOBAL__N_18offset_tEEE10hipError_tPvRmT1_PNSt15iterator_traitsIS12_E10value_typeET2_T3_PNS13_IS18_E10value_typeET4_jRbjT5_S1E_jjP12ihipStream_tbEUljE_ZNSN_ISO_Lb1ESQ_SR_ST_SU_SY_EESZ_S10_S11_S12_S16_S17_S18_S1B_S1C_jS1D_jS1E_S1E_jjS1G_bEUljE0_EEESZ_S10_S11_S18_S1C_S1E_T6_T7_T9_mT8_S1G_bDpT10_ENKUlT_T0_E_clISt17integral_constantIbLb0EES1T_IbLb1EEEEDaS1P_S1Q_EUlS1P_E_NS1_11comp_targetILNS1_3genE3ELNS1_11target_archE908ELNS1_3gpuE7ELNS1_3repE0EEENS1_30default_config_static_selectorELNS0_4arch9wavefront6targetE1EEEvS12_: ; @_ZN7rocprim17ROCPRIM_400000_NS6detail17trampoline_kernelINS0_13select_configILj256ELj13ELNS0_17block_load_methodE3ELS4_3ELS4_3ELNS0_20block_scan_algorithmE0ELj4294967295EEENS1_25partition_config_selectorILNS1_17partition_subalgoE4EjNS0_10empty_typeEbEEZZNS1_14partition_implILS8_4ELb0ES6_15HIP_vector_typeIjLj2EENS0_17counting_iteratorIjlEEPS9_SG_NS0_5tupleIJPjSI_NS0_16reverse_iteratorISI_EEEEENSH_IJSG_SG_SG_EEES9_SI_JZNS1_25segmented_radix_sort_implINS0_14default_configELb1EPKfPfPKlPlN2at6native12_GLOBAL__N_18offset_tEEE10hipError_tPvRmT1_PNSt15iterator_traitsIS12_E10value_typeET2_T3_PNS13_IS18_E10value_typeET4_jRbjT5_S1E_jjP12ihipStream_tbEUljE_ZNSN_ISO_Lb1ESQ_SR_ST_SU_SY_EESZ_S10_S11_S12_S16_S17_S18_S1B_S1C_jS1D_jS1E_S1E_jjS1G_bEUljE0_EEESZ_S10_S11_S18_S1C_S1E_T6_T7_T9_mT8_S1G_bDpT10_ENKUlT_T0_E_clISt17integral_constantIbLb0EES1T_IbLb1EEEEDaS1P_S1Q_EUlS1P_E_NS1_11comp_targetILNS1_3genE3ELNS1_11target_archE908ELNS1_3gpuE7ELNS1_3repE0EEENS1_30default_config_static_selectorELNS0_4arch9wavefront6targetE1EEEvS12_
; %bb.0:
	.section	.rodata,"a",@progbits
	.p2align	6, 0x0
	.amdhsa_kernel _ZN7rocprim17ROCPRIM_400000_NS6detail17trampoline_kernelINS0_13select_configILj256ELj13ELNS0_17block_load_methodE3ELS4_3ELS4_3ELNS0_20block_scan_algorithmE0ELj4294967295EEENS1_25partition_config_selectorILNS1_17partition_subalgoE4EjNS0_10empty_typeEbEEZZNS1_14partition_implILS8_4ELb0ES6_15HIP_vector_typeIjLj2EENS0_17counting_iteratorIjlEEPS9_SG_NS0_5tupleIJPjSI_NS0_16reverse_iteratorISI_EEEEENSH_IJSG_SG_SG_EEES9_SI_JZNS1_25segmented_radix_sort_implINS0_14default_configELb1EPKfPfPKlPlN2at6native12_GLOBAL__N_18offset_tEEE10hipError_tPvRmT1_PNSt15iterator_traitsIS12_E10value_typeET2_T3_PNS13_IS18_E10value_typeET4_jRbjT5_S1E_jjP12ihipStream_tbEUljE_ZNSN_ISO_Lb1ESQ_SR_ST_SU_SY_EESZ_S10_S11_S12_S16_S17_S18_S1B_S1C_jS1D_jS1E_S1E_jjS1G_bEUljE0_EEESZ_S10_S11_S18_S1C_S1E_T6_T7_T9_mT8_S1G_bDpT10_ENKUlT_T0_E_clISt17integral_constantIbLb0EES1T_IbLb1EEEEDaS1P_S1Q_EUlS1P_E_NS1_11comp_targetILNS1_3genE3ELNS1_11target_archE908ELNS1_3gpuE7ELNS1_3repE0EEENS1_30default_config_static_selectorELNS0_4arch9wavefront6targetE1EEEvS12_
		.amdhsa_group_segment_fixed_size 0
		.amdhsa_private_segment_fixed_size 0
		.amdhsa_kernarg_size 184
		.amdhsa_user_sgpr_count 6
		.amdhsa_user_sgpr_private_segment_buffer 1
		.amdhsa_user_sgpr_dispatch_ptr 0
		.amdhsa_user_sgpr_queue_ptr 0
		.amdhsa_user_sgpr_kernarg_segment_ptr 1
		.amdhsa_user_sgpr_dispatch_id 0
		.amdhsa_user_sgpr_flat_scratch_init 0
		.amdhsa_user_sgpr_kernarg_preload_length 0
		.amdhsa_user_sgpr_kernarg_preload_offset 0
		.amdhsa_user_sgpr_private_segment_size 0
		.amdhsa_uses_dynamic_stack 0
		.amdhsa_system_sgpr_private_segment_wavefront_offset 0
		.amdhsa_system_sgpr_workgroup_id_x 1
		.amdhsa_system_sgpr_workgroup_id_y 0
		.amdhsa_system_sgpr_workgroup_id_z 0
		.amdhsa_system_sgpr_workgroup_info 0
		.amdhsa_system_vgpr_workitem_id 0
		.amdhsa_next_free_vgpr 1
		.amdhsa_next_free_sgpr 0
		.amdhsa_accum_offset 4
		.amdhsa_reserve_vcc 0
		.amdhsa_reserve_flat_scratch 0
		.amdhsa_float_round_mode_32 0
		.amdhsa_float_round_mode_16_64 0
		.amdhsa_float_denorm_mode_32 3
		.amdhsa_float_denorm_mode_16_64 3
		.amdhsa_dx10_clamp 1
		.amdhsa_ieee_mode 1
		.amdhsa_fp16_overflow 0
		.amdhsa_tg_split 0
		.amdhsa_exception_fp_ieee_invalid_op 0
		.amdhsa_exception_fp_denorm_src 0
		.amdhsa_exception_fp_ieee_div_zero 0
		.amdhsa_exception_fp_ieee_overflow 0
		.amdhsa_exception_fp_ieee_underflow 0
		.amdhsa_exception_fp_ieee_inexact 0
		.amdhsa_exception_int_div_zero 0
	.end_amdhsa_kernel
	.section	.text._ZN7rocprim17ROCPRIM_400000_NS6detail17trampoline_kernelINS0_13select_configILj256ELj13ELNS0_17block_load_methodE3ELS4_3ELS4_3ELNS0_20block_scan_algorithmE0ELj4294967295EEENS1_25partition_config_selectorILNS1_17partition_subalgoE4EjNS0_10empty_typeEbEEZZNS1_14partition_implILS8_4ELb0ES6_15HIP_vector_typeIjLj2EENS0_17counting_iteratorIjlEEPS9_SG_NS0_5tupleIJPjSI_NS0_16reverse_iteratorISI_EEEEENSH_IJSG_SG_SG_EEES9_SI_JZNS1_25segmented_radix_sort_implINS0_14default_configELb1EPKfPfPKlPlN2at6native12_GLOBAL__N_18offset_tEEE10hipError_tPvRmT1_PNSt15iterator_traitsIS12_E10value_typeET2_T3_PNS13_IS18_E10value_typeET4_jRbjT5_S1E_jjP12ihipStream_tbEUljE_ZNSN_ISO_Lb1ESQ_SR_ST_SU_SY_EESZ_S10_S11_S12_S16_S17_S18_S1B_S1C_jS1D_jS1E_S1E_jjS1G_bEUljE0_EEESZ_S10_S11_S18_S1C_S1E_T6_T7_T9_mT8_S1G_bDpT10_ENKUlT_T0_E_clISt17integral_constantIbLb0EES1T_IbLb1EEEEDaS1P_S1Q_EUlS1P_E_NS1_11comp_targetILNS1_3genE3ELNS1_11target_archE908ELNS1_3gpuE7ELNS1_3repE0EEENS1_30default_config_static_selectorELNS0_4arch9wavefront6targetE1EEEvS12_,"axG",@progbits,_ZN7rocprim17ROCPRIM_400000_NS6detail17trampoline_kernelINS0_13select_configILj256ELj13ELNS0_17block_load_methodE3ELS4_3ELS4_3ELNS0_20block_scan_algorithmE0ELj4294967295EEENS1_25partition_config_selectorILNS1_17partition_subalgoE4EjNS0_10empty_typeEbEEZZNS1_14partition_implILS8_4ELb0ES6_15HIP_vector_typeIjLj2EENS0_17counting_iteratorIjlEEPS9_SG_NS0_5tupleIJPjSI_NS0_16reverse_iteratorISI_EEEEENSH_IJSG_SG_SG_EEES9_SI_JZNS1_25segmented_radix_sort_implINS0_14default_configELb1EPKfPfPKlPlN2at6native12_GLOBAL__N_18offset_tEEE10hipError_tPvRmT1_PNSt15iterator_traitsIS12_E10value_typeET2_T3_PNS13_IS18_E10value_typeET4_jRbjT5_S1E_jjP12ihipStream_tbEUljE_ZNSN_ISO_Lb1ESQ_SR_ST_SU_SY_EESZ_S10_S11_S12_S16_S17_S18_S1B_S1C_jS1D_jS1E_S1E_jjS1G_bEUljE0_EEESZ_S10_S11_S18_S1C_S1E_T6_T7_T9_mT8_S1G_bDpT10_ENKUlT_T0_E_clISt17integral_constantIbLb0EES1T_IbLb1EEEEDaS1P_S1Q_EUlS1P_E_NS1_11comp_targetILNS1_3genE3ELNS1_11target_archE908ELNS1_3gpuE7ELNS1_3repE0EEENS1_30default_config_static_selectorELNS0_4arch9wavefront6targetE1EEEvS12_,comdat
.Lfunc_end1286:
	.size	_ZN7rocprim17ROCPRIM_400000_NS6detail17trampoline_kernelINS0_13select_configILj256ELj13ELNS0_17block_load_methodE3ELS4_3ELS4_3ELNS0_20block_scan_algorithmE0ELj4294967295EEENS1_25partition_config_selectorILNS1_17partition_subalgoE4EjNS0_10empty_typeEbEEZZNS1_14partition_implILS8_4ELb0ES6_15HIP_vector_typeIjLj2EENS0_17counting_iteratorIjlEEPS9_SG_NS0_5tupleIJPjSI_NS0_16reverse_iteratorISI_EEEEENSH_IJSG_SG_SG_EEES9_SI_JZNS1_25segmented_radix_sort_implINS0_14default_configELb1EPKfPfPKlPlN2at6native12_GLOBAL__N_18offset_tEEE10hipError_tPvRmT1_PNSt15iterator_traitsIS12_E10value_typeET2_T3_PNS13_IS18_E10value_typeET4_jRbjT5_S1E_jjP12ihipStream_tbEUljE_ZNSN_ISO_Lb1ESQ_SR_ST_SU_SY_EESZ_S10_S11_S12_S16_S17_S18_S1B_S1C_jS1D_jS1E_S1E_jjS1G_bEUljE0_EEESZ_S10_S11_S18_S1C_S1E_T6_T7_T9_mT8_S1G_bDpT10_ENKUlT_T0_E_clISt17integral_constantIbLb0EES1T_IbLb1EEEEDaS1P_S1Q_EUlS1P_E_NS1_11comp_targetILNS1_3genE3ELNS1_11target_archE908ELNS1_3gpuE7ELNS1_3repE0EEENS1_30default_config_static_selectorELNS0_4arch9wavefront6targetE1EEEvS12_, .Lfunc_end1286-_ZN7rocprim17ROCPRIM_400000_NS6detail17trampoline_kernelINS0_13select_configILj256ELj13ELNS0_17block_load_methodE3ELS4_3ELS4_3ELNS0_20block_scan_algorithmE0ELj4294967295EEENS1_25partition_config_selectorILNS1_17partition_subalgoE4EjNS0_10empty_typeEbEEZZNS1_14partition_implILS8_4ELb0ES6_15HIP_vector_typeIjLj2EENS0_17counting_iteratorIjlEEPS9_SG_NS0_5tupleIJPjSI_NS0_16reverse_iteratorISI_EEEEENSH_IJSG_SG_SG_EEES9_SI_JZNS1_25segmented_radix_sort_implINS0_14default_configELb1EPKfPfPKlPlN2at6native12_GLOBAL__N_18offset_tEEE10hipError_tPvRmT1_PNSt15iterator_traitsIS12_E10value_typeET2_T3_PNS13_IS18_E10value_typeET4_jRbjT5_S1E_jjP12ihipStream_tbEUljE_ZNSN_ISO_Lb1ESQ_SR_ST_SU_SY_EESZ_S10_S11_S12_S16_S17_S18_S1B_S1C_jS1D_jS1E_S1E_jjS1G_bEUljE0_EEESZ_S10_S11_S18_S1C_S1E_T6_T7_T9_mT8_S1G_bDpT10_ENKUlT_T0_E_clISt17integral_constantIbLb0EES1T_IbLb1EEEEDaS1P_S1Q_EUlS1P_E_NS1_11comp_targetILNS1_3genE3ELNS1_11target_archE908ELNS1_3gpuE7ELNS1_3repE0EEENS1_30default_config_static_selectorELNS0_4arch9wavefront6targetE1EEEvS12_
                                        ; -- End function
	.section	.AMDGPU.csdata,"",@progbits
; Kernel info:
; codeLenInByte = 0
; NumSgprs: 4
; NumVgprs: 0
; NumAgprs: 0
; TotalNumVgprs: 0
; ScratchSize: 0
; MemoryBound: 0
; FloatMode: 240
; IeeeMode: 1
; LDSByteSize: 0 bytes/workgroup (compile time only)
; SGPRBlocks: 0
; VGPRBlocks: 0
; NumSGPRsForWavesPerEU: 4
; NumVGPRsForWavesPerEU: 1
; AccumOffset: 4
; Occupancy: 8
; WaveLimiterHint : 0
; COMPUTE_PGM_RSRC2:SCRATCH_EN: 0
; COMPUTE_PGM_RSRC2:USER_SGPR: 6
; COMPUTE_PGM_RSRC2:TRAP_HANDLER: 0
; COMPUTE_PGM_RSRC2:TGID_X_EN: 1
; COMPUTE_PGM_RSRC2:TGID_Y_EN: 0
; COMPUTE_PGM_RSRC2:TGID_Z_EN: 0
; COMPUTE_PGM_RSRC2:TIDIG_COMP_CNT: 0
; COMPUTE_PGM_RSRC3_GFX90A:ACCUM_OFFSET: 0
; COMPUTE_PGM_RSRC3_GFX90A:TG_SPLIT: 0
	.section	.text._ZN7rocprim17ROCPRIM_400000_NS6detail17trampoline_kernelINS0_13select_configILj256ELj13ELNS0_17block_load_methodE3ELS4_3ELS4_3ELNS0_20block_scan_algorithmE0ELj4294967295EEENS1_25partition_config_selectorILNS1_17partition_subalgoE4EjNS0_10empty_typeEbEEZZNS1_14partition_implILS8_4ELb0ES6_15HIP_vector_typeIjLj2EENS0_17counting_iteratorIjlEEPS9_SG_NS0_5tupleIJPjSI_NS0_16reverse_iteratorISI_EEEEENSH_IJSG_SG_SG_EEES9_SI_JZNS1_25segmented_radix_sort_implINS0_14default_configELb1EPKfPfPKlPlN2at6native12_GLOBAL__N_18offset_tEEE10hipError_tPvRmT1_PNSt15iterator_traitsIS12_E10value_typeET2_T3_PNS13_IS18_E10value_typeET4_jRbjT5_S1E_jjP12ihipStream_tbEUljE_ZNSN_ISO_Lb1ESQ_SR_ST_SU_SY_EESZ_S10_S11_S12_S16_S17_S18_S1B_S1C_jS1D_jS1E_S1E_jjS1G_bEUljE0_EEESZ_S10_S11_S18_S1C_S1E_T6_T7_T9_mT8_S1G_bDpT10_ENKUlT_T0_E_clISt17integral_constantIbLb0EES1T_IbLb1EEEEDaS1P_S1Q_EUlS1P_E_NS1_11comp_targetILNS1_3genE2ELNS1_11target_archE906ELNS1_3gpuE6ELNS1_3repE0EEENS1_30default_config_static_selectorELNS0_4arch9wavefront6targetE1EEEvS12_,"axG",@progbits,_ZN7rocprim17ROCPRIM_400000_NS6detail17trampoline_kernelINS0_13select_configILj256ELj13ELNS0_17block_load_methodE3ELS4_3ELS4_3ELNS0_20block_scan_algorithmE0ELj4294967295EEENS1_25partition_config_selectorILNS1_17partition_subalgoE4EjNS0_10empty_typeEbEEZZNS1_14partition_implILS8_4ELb0ES6_15HIP_vector_typeIjLj2EENS0_17counting_iteratorIjlEEPS9_SG_NS0_5tupleIJPjSI_NS0_16reverse_iteratorISI_EEEEENSH_IJSG_SG_SG_EEES9_SI_JZNS1_25segmented_radix_sort_implINS0_14default_configELb1EPKfPfPKlPlN2at6native12_GLOBAL__N_18offset_tEEE10hipError_tPvRmT1_PNSt15iterator_traitsIS12_E10value_typeET2_T3_PNS13_IS18_E10value_typeET4_jRbjT5_S1E_jjP12ihipStream_tbEUljE_ZNSN_ISO_Lb1ESQ_SR_ST_SU_SY_EESZ_S10_S11_S12_S16_S17_S18_S1B_S1C_jS1D_jS1E_S1E_jjS1G_bEUljE0_EEESZ_S10_S11_S18_S1C_S1E_T6_T7_T9_mT8_S1G_bDpT10_ENKUlT_T0_E_clISt17integral_constantIbLb0EES1T_IbLb1EEEEDaS1P_S1Q_EUlS1P_E_NS1_11comp_targetILNS1_3genE2ELNS1_11target_archE906ELNS1_3gpuE6ELNS1_3repE0EEENS1_30default_config_static_selectorELNS0_4arch9wavefront6targetE1EEEvS12_,comdat
	.globl	_ZN7rocprim17ROCPRIM_400000_NS6detail17trampoline_kernelINS0_13select_configILj256ELj13ELNS0_17block_load_methodE3ELS4_3ELS4_3ELNS0_20block_scan_algorithmE0ELj4294967295EEENS1_25partition_config_selectorILNS1_17partition_subalgoE4EjNS0_10empty_typeEbEEZZNS1_14partition_implILS8_4ELb0ES6_15HIP_vector_typeIjLj2EENS0_17counting_iteratorIjlEEPS9_SG_NS0_5tupleIJPjSI_NS0_16reverse_iteratorISI_EEEEENSH_IJSG_SG_SG_EEES9_SI_JZNS1_25segmented_radix_sort_implINS0_14default_configELb1EPKfPfPKlPlN2at6native12_GLOBAL__N_18offset_tEEE10hipError_tPvRmT1_PNSt15iterator_traitsIS12_E10value_typeET2_T3_PNS13_IS18_E10value_typeET4_jRbjT5_S1E_jjP12ihipStream_tbEUljE_ZNSN_ISO_Lb1ESQ_SR_ST_SU_SY_EESZ_S10_S11_S12_S16_S17_S18_S1B_S1C_jS1D_jS1E_S1E_jjS1G_bEUljE0_EEESZ_S10_S11_S18_S1C_S1E_T6_T7_T9_mT8_S1G_bDpT10_ENKUlT_T0_E_clISt17integral_constantIbLb0EES1T_IbLb1EEEEDaS1P_S1Q_EUlS1P_E_NS1_11comp_targetILNS1_3genE2ELNS1_11target_archE906ELNS1_3gpuE6ELNS1_3repE0EEENS1_30default_config_static_selectorELNS0_4arch9wavefront6targetE1EEEvS12_ ; -- Begin function _ZN7rocprim17ROCPRIM_400000_NS6detail17trampoline_kernelINS0_13select_configILj256ELj13ELNS0_17block_load_methodE3ELS4_3ELS4_3ELNS0_20block_scan_algorithmE0ELj4294967295EEENS1_25partition_config_selectorILNS1_17partition_subalgoE4EjNS0_10empty_typeEbEEZZNS1_14partition_implILS8_4ELb0ES6_15HIP_vector_typeIjLj2EENS0_17counting_iteratorIjlEEPS9_SG_NS0_5tupleIJPjSI_NS0_16reverse_iteratorISI_EEEEENSH_IJSG_SG_SG_EEES9_SI_JZNS1_25segmented_radix_sort_implINS0_14default_configELb1EPKfPfPKlPlN2at6native12_GLOBAL__N_18offset_tEEE10hipError_tPvRmT1_PNSt15iterator_traitsIS12_E10value_typeET2_T3_PNS13_IS18_E10value_typeET4_jRbjT5_S1E_jjP12ihipStream_tbEUljE_ZNSN_ISO_Lb1ESQ_SR_ST_SU_SY_EESZ_S10_S11_S12_S16_S17_S18_S1B_S1C_jS1D_jS1E_S1E_jjS1G_bEUljE0_EEESZ_S10_S11_S18_S1C_S1E_T6_T7_T9_mT8_S1G_bDpT10_ENKUlT_T0_E_clISt17integral_constantIbLb0EES1T_IbLb1EEEEDaS1P_S1Q_EUlS1P_E_NS1_11comp_targetILNS1_3genE2ELNS1_11target_archE906ELNS1_3gpuE6ELNS1_3repE0EEENS1_30default_config_static_selectorELNS0_4arch9wavefront6targetE1EEEvS12_
	.p2align	8
	.type	_ZN7rocprim17ROCPRIM_400000_NS6detail17trampoline_kernelINS0_13select_configILj256ELj13ELNS0_17block_load_methodE3ELS4_3ELS4_3ELNS0_20block_scan_algorithmE0ELj4294967295EEENS1_25partition_config_selectorILNS1_17partition_subalgoE4EjNS0_10empty_typeEbEEZZNS1_14partition_implILS8_4ELb0ES6_15HIP_vector_typeIjLj2EENS0_17counting_iteratorIjlEEPS9_SG_NS0_5tupleIJPjSI_NS0_16reverse_iteratorISI_EEEEENSH_IJSG_SG_SG_EEES9_SI_JZNS1_25segmented_radix_sort_implINS0_14default_configELb1EPKfPfPKlPlN2at6native12_GLOBAL__N_18offset_tEEE10hipError_tPvRmT1_PNSt15iterator_traitsIS12_E10value_typeET2_T3_PNS13_IS18_E10value_typeET4_jRbjT5_S1E_jjP12ihipStream_tbEUljE_ZNSN_ISO_Lb1ESQ_SR_ST_SU_SY_EESZ_S10_S11_S12_S16_S17_S18_S1B_S1C_jS1D_jS1E_S1E_jjS1G_bEUljE0_EEESZ_S10_S11_S18_S1C_S1E_T6_T7_T9_mT8_S1G_bDpT10_ENKUlT_T0_E_clISt17integral_constantIbLb0EES1T_IbLb1EEEEDaS1P_S1Q_EUlS1P_E_NS1_11comp_targetILNS1_3genE2ELNS1_11target_archE906ELNS1_3gpuE6ELNS1_3repE0EEENS1_30default_config_static_selectorELNS0_4arch9wavefront6targetE1EEEvS12_,@function
_ZN7rocprim17ROCPRIM_400000_NS6detail17trampoline_kernelINS0_13select_configILj256ELj13ELNS0_17block_load_methodE3ELS4_3ELS4_3ELNS0_20block_scan_algorithmE0ELj4294967295EEENS1_25partition_config_selectorILNS1_17partition_subalgoE4EjNS0_10empty_typeEbEEZZNS1_14partition_implILS8_4ELb0ES6_15HIP_vector_typeIjLj2EENS0_17counting_iteratorIjlEEPS9_SG_NS0_5tupleIJPjSI_NS0_16reverse_iteratorISI_EEEEENSH_IJSG_SG_SG_EEES9_SI_JZNS1_25segmented_radix_sort_implINS0_14default_configELb1EPKfPfPKlPlN2at6native12_GLOBAL__N_18offset_tEEE10hipError_tPvRmT1_PNSt15iterator_traitsIS12_E10value_typeET2_T3_PNS13_IS18_E10value_typeET4_jRbjT5_S1E_jjP12ihipStream_tbEUljE_ZNSN_ISO_Lb1ESQ_SR_ST_SU_SY_EESZ_S10_S11_S12_S16_S17_S18_S1B_S1C_jS1D_jS1E_S1E_jjS1G_bEUljE0_EEESZ_S10_S11_S18_S1C_S1E_T6_T7_T9_mT8_S1G_bDpT10_ENKUlT_T0_E_clISt17integral_constantIbLb0EES1T_IbLb1EEEEDaS1P_S1Q_EUlS1P_E_NS1_11comp_targetILNS1_3genE2ELNS1_11target_archE906ELNS1_3gpuE6ELNS1_3repE0EEENS1_30default_config_static_selectorELNS0_4arch9wavefront6targetE1EEEvS12_: ; @_ZN7rocprim17ROCPRIM_400000_NS6detail17trampoline_kernelINS0_13select_configILj256ELj13ELNS0_17block_load_methodE3ELS4_3ELS4_3ELNS0_20block_scan_algorithmE0ELj4294967295EEENS1_25partition_config_selectorILNS1_17partition_subalgoE4EjNS0_10empty_typeEbEEZZNS1_14partition_implILS8_4ELb0ES6_15HIP_vector_typeIjLj2EENS0_17counting_iteratorIjlEEPS9_SG_NS0_5tupleIJPjSI_NS0_16reverse_iteratorISI_EEEEENSH_IJSG_SG_SG_EEES9_SI_JZNS1_25segmented_radix_sort_implINS0_14default_configELb1EPKfPfPKlPlN2at6native12_GLOBAL__N_18offset_tEEE10hipError_tPvRmT1_PNSt15iterator_traitsIS12_E10value_typeET2_T3_PNS13_IS18_E10value_typeET4_jRbjT5_S1E_jjP12ihipStream_tbEUljE_ZNSN_ISO_Lb1ESQ_SR_ST_SU_SY_EESZ_S10_S11_S12_S16_S17_S18_S1B_S1C_jS1D_jS1E_S1E_jjS1G_bEUljE0_EEESZ_S10_S11_S18_S1C_S1E_T6_T7_T9_mT8_S1G_bDpT10_ENKUlT_T0_E_clISt17integral_constantIbLb0EES1T_IbLb1EEEEDaS1P_S1Q_EUlS1P_E_NS1_11comp_targetILNS1_3genE2ELNS1_11target_archE906ELNS1_3gpuE6ELNS1_3repE0EEENS1_30default_config_static_selectorELNS0_4arch9wavefront6targetE1EEEvS12_
; %bb.0:
	.section	.rodata,"a",@progbits
	.p2align	6, 0x0
	.amdhsa_kernel _ZN7rocprim17ROCPRIM_400000_NS6detail17trampoline_kernelINS0_13select_configILj256ELj13ELNS0_17block_load_methodE3ELS4_3ELS4_3ELNS0_20block_scan_algorithmE0ELj4294967295EEENS1_25partition_config_selectorILNS1_17partition_subalgoE4EjNS0_10empty_typeEbEEZZNS1_14partition_implILS8_4ELb0ES6_15HIP_vector_typeIjLj2EENS0_17counting_iteratorIjlEEPS9_SG_NS0_5tupleIJPjSI_NS0_16reverse_iteratorISI_EEEEENSH_IJSG_SG_SG_EEES9_SI_JZNS1_25segmented_radix_sort_implINS0_14default_configELb1EPKfPfPKlPlN2at6native12_GLOBAL__N_18offset_tEEE10hipError_tPvRmT1_PNSt15iterator_traitsIS12_E10value_typeET2_T3_PNS13_IS18_E10value_typeET4_jRbjT5_S1E_jjP12ihipStream_tbEUljE_ZNSN_ISO_Lb1ESQ_SR_ST_SU_SY_EESZ_S10_S11_S12_S16_S17_S18_S1B_S1C_jS1D_jS1E_S1E_jjS1G_bEUljE0_EEESZ_S10_S11_S18_S1C_S1E_T6_T7_T9_mT8_S1G_bDpT10_ENKUlT_T0_E_clISt17integral_constantIbLb0EES1T_IbLb1EEEEDaS1P_S1Q_EUlS1P_E_NS1_11comp_targetILNS1_3genE2ELNS1_11target_archE906ELNS1_3gpuE6ELNS1_3repE0EEENS1_30default_config_static_selectorELNS0_4arch9wavefront6targetE1EEEvS12_
		.amdhsa_group_segment_fixed_size 0
		.amdhsa_private_segment_fixed_size 0
		.amdhsa_kernarg_size 184
		.amdhsa_user_sgpr_count 6
		.amdhsa_user_sgpr_private_segment_buffer 1
		.amdhsa_user_sgpr_dispatch_ptr 0
		.amdhsa_user_sgpr_queue_ptr 0
		.amdhsa_user_sgpr_kernarg_segment_ptr 1
		.amdhsa_user_sgpr_dispatch_id 0
		.amdhsa_user_sgpr_flat_scratch_init 0
		.amdhsa_user_sgpr_kernarg_preload_length 0
		.amdhsa_user_sgpr_kernarg_preload_offset 0
		.amdhsa_user_sgpr_private_segment_size 0
		.amdhsa_uses_dynamic_stack 0
		.amdhsa_system_sgpr_private_segment_wavefront_offset 0
		.amdhsa_system_sgpr_workgroup_id_x 1
		.amdhsa_system_sgpr_workgroup_id_y 0
		.amdhsa_system_sgpr_workgroup_id_z 0
		.amdhsa_system_sgpr_workgroup_info 0
		.amdhsa_system_vgpr_workitem_id 0
		.amdhsa_next_free_vgpr 1
		.amdhsa_next_free_sgpr 0
		.amdhsa_accum_offset 4
		.amdhsa_reserve_vcc 0
		.amdhsa_reserve_flat_scratch 0
		.amdhsa_float_round_mode_32 0
		.amdhsa_float_round_mode_16_64 0
		.amdhsa_float_denorm_mode_32 3
		.amdhsa_float_denorm_mode_16_64 3
		.amdhsa_dx10_clamp 1
		.amdhsa_ieee_mode 1
		.amdhsa_fp16_overflow 0
		.amdhsa_tg_split 0
		.amdhsa_exception_fp_ieee_invalid_op 0
		.amdhsa_exception_fp_denorm_src 0
		.amdhsa_exception_fp_ieee_div_zero 0
		.amdhsa_exception_fp_ieee_overflow 0
		.amdhsa_exception_fp_ieee_underflow 0
		.amdhsa_exception_fp_ieee_inexact 0
		.amdhsa_exception_int_div_zero 0
	.end_amdhsa_kernel
	.section	.text._ZN7rocprim17ROCPRIM_400000_NS6detail17trampoline_kernelINS0_13select_configILj256ELj13ELNS0_17block_load_methodE3ELS4_3ELS4_3ELNS0_20block_scan_algorithmE0ELj4294967295EEENS1_25partition_config_selectorILNS1_17partition_subalgoE4EjNS0_10empty_typeEbEEZZNS1_14partition_implILS8_4ELb0ES6_15HIP_vector_typeIjLj2EENS0_17counting_iteratorIjlEEPS9_SG_NS0_5tupleIJPjSI_NS0_16reverse_iteratorISI_EEEEENSH_IJSG_SG_SG_EEES9_SI_JZNS1_25segmented_radix_sort_implINS0_14default_configELb1EPKfPfPKlPlN2at6native12_GLOBAL__N_18offset_tEEE10hipError_tPvRmT1_PNSt15iterator_traitsIS12_E10value_typeET2_T3_PNS13_IS18_E10value_typeET4_jRbjT5_S1E_jjP12ihipStream_tbEUljE_ZNSN_ISO_Lb1ESQ_SR_ST_SU_SY_EESZ_S10_S11_S12_S16_S17_S18_S1B_S1C_jS1D_jS1E_S1E_jjS1G_bEUljE0_EEESZ_S10_S11_S18_S1C_S1E_T6_T7_T9_mT8_S1G_bDpT10_ENKUlT_T0_E_clISt17integral_constantIbLb0EES1T_IbLb1EEEEDaS1P_S1Q_EUlS1P_E_NS1_11comp_targetILNS1_3genE2ELNS1_11target_archE906ELNS1_3gpuE6ELNS1_3repE0EEENS1_30default_config_static_selectorELNS0_4arch9wavefront6targetE1EEEvS12_,"axG",@progbits,_ZN7rocprim17ROCPRIM_400000_NS6detail17trampoline_kernelINS0_13select_configILj256ELj13ELNS0_17block_load_methodE3ELS4_3ELS4_3ELNS0_20block_scan_algorithmE0ELj4294967295EEENS1_25partition_config_selectorILNS1_17partition_subalgoE4EjNS0_10empty_typeEbEEZZNS1_14partition_implILS8_4ELb0ES6_15HIP_vector_typeIjLj2EENS0_17counting_iteratorIjlEEPS9_SG_NS0_5tupleIJPjSI_NS0_16reverse_iteratorISI_EEEEENSH_IJSG_SG_SG_EEES9_SI_JZNS1_25segmented_radix_sort_implINS0_14default_configELb1EPKfPfPKlPlN2at6native12_GLOBAL__N_18offset_tEEE10hipError_tPvRmT1_PNSt15iterator_traitsIS12_E10value_typeET2_T3_PNS13_IS18_E10value_typeET4_jRbjT5_S1E_jjP12ihipStream_tbEUljE_ZNSN_ISO_Lb1ESQ_SR_ST_SU_SY_EESZ_S10_S11_S12_S16_S17_S18_S1B_S1C_jS1D_jS1E_S1E_jjS1G_bEUljE0_EEESZ_S10_S11_S18_S1C_S1E_T6_T7_T9_mT8_S1G_bDpT10_ENKUlT_T0_E_clISt17integral_constantIbLb0EES1T_IbLb1EEEEDaS1P_S1Q_EUlS1P_E_NS1_11comp_targetILNS1_3genE2ELNS1_11target_archE906ELNS1_3gpuE6ELNS1_3repE0EEENS1_30default_config_static_selectorELNS0_4arch9wavefront6targetE1EEEvS12_,comdat
.Lfunc_end1287:
	.size	_ZN7rocprim17ROCPRIM_400000_NS6detail17trampoline_kernelINS0_13select_configILj256ELj13ELNS0_17block_load_methodE3ELS4_3ELS4_3ELNS0_20block_scan_algorithmE0ELj4294967295EEENS1_25partition_config_selectorILNS1_17partition_subalgoE4EjNS0_10empty_typeEbEEZZNS1_14partition_implILS8_4ELb0ES6_15HIP_vector_typeIjLj2EENS0_17counting_iteratorIjlEEPS9_SG_NS0_5tupleIJPjSI_NS0_16reverse_iteratorISI_EEEEENSH_IJSG_SG_SG_EEES9_SI_JZNS1_25segmented_radix_sort_implINS0_14default_configELb1EPKfPfPKlPlN2at6native12_GLOBAL__N_18offset_tEEE10hipError_tPvRmT1_PNSt15iterator_traitsIS12_E10value_typeET2_T3_PNS13_IS18_E10value_typeET4_jRbjT5_S1E_jjP12ihipStream_tbEUljE_ZNSN_ISO_Lb1ESQ_SR_ST_SU_SY_EESZ_S10_S11_S12_S16_S17_S18_S1B_S1C_jS1D_jS1E_S1E_jjS1G_bEUljE0_EEESZ_S10_S11_S18_S1C_S1E_T6_T7_T9_mT8_S1G_bDpT10_ENKUlT_T0_E_clISt17integral_constantIbLb0EES1T_IbLb1EEEEDaS1P_S1Q_EUlS1P_E_NS1_11comp_targetILNS1_3genE2ELNS1_11target_archE906ELNS1_3gpuE6ELNS1_3repE0EEENS1_30default_config_static_selectorELNS0_4arch9wavefront6targetE1EEEvS12_, .Lfunc_end1287-_ZN7rocprim17ROCPRIM_400000_NS6detail17trampoline_kernelINS0_13select_configILj256ELj13ELNS0_17block_load_methodE3ELS4_3ELS4_3ELNS0_20block_scan_algorithmE0ELj4294967295EEENS1_25partition_config_selectorILNS1_17partition_subalgoE4EjNS0_10empty_typeEbEEZZNS1_14partition_implILS8_4ELb0ES6_15HIP_vector_typeIjLj2EENS0_17counting_iteratorIjlEEPS9_SG_NS0_5tupleIJPjSI_NS0_16reverse_iteratorISI_EEEEENSH_IJSG_SG_SG_EEES9_SI_JZNS1_25segmented_radix_sort_implINS0_14default_configELb1EPKfPfPKlPlN2at6native12_GLOBAL__N_18offset_tEEE10hipError_tPvRmT1_PNSt15iterator_traitsIS12_E10value_typeET2_T3_PNS13_IS18_E10value_typeET4_jRbjT5_S1E_jjP12ihipStream_tbEUljE_ZNSN_ISO_Lb1ESQ_SR_ST_SU_SY_EESZ_S10_S11_S12_S16_S17_S18_S1B_S1C_jS1D_jS1E_S1E_jjS1G_bEUljE0_EEESZ_S10_S11_S18_S1C_S1E_T6_T7_T9_mT8_S1G_bDpT10_ENKUlT_T0_E_clISt17integral_constantIbLb0EES1T_IbLb1EEEEDaS1P_S1Q_EUlS1P_E_NS1_11comp_targetILNS1_3genE2ELNS1_11target_archE906ELNS1_3gpuE6ELNS1_3repE0EEENS1_30default_config_static_selectorELNS0_4arch9wavefront6targetE1EEEvS12_
                                        ; -- End function
	.section	.AMDGPU.csdata,"",@progbits
; Kernel info:
; codeLenInByte = 0
; NumSgprs: 4
; NumVgprs: 0
; NumAgprs: 0
; TotalNumVgprs: 0
; ScratchSize: 0
; MemoryBound: 0
; FloatMode: 240
; IeeeMode: 1
; LDSByteSize: 0 bytes/workgroup (compile time only)
; SGPRBlocks: 0
; VGPRBlocks: 0
; NumSGPRsForWavesPerEU: 4
; NumVGPRsForWavesPerEU: 1
; AccumOffset: 4
; Occupancy: 8
; WaveLimiterHint : 0
; COMPUTE_PGM_RSRC2:SCRATCH_EN: 0
; COMPUTE_PGM_RSRC2:USER_SGPR: 6
; COMPUTE_PGM_RSRC2:TRAP_HANDLER: 0
; COMPUTE_PGM_RSRC2:TGID_X_EN: 1
; COMPUTE_PGM_RSRC2:TGID_Y_EN: 0
; COMPUTE_PGM_RSRC2:TGID_Z_EN: 0
; COMPUTE_PGM_RSRC2:TIDIG_COMP_CNT: 0
; COMPUTE_PGM_RSRC3_GFX90A:ACCUM_OFFSET: 0
; COMPUTE_PGM_RSRC3_GFX90A:TG_SPLIT: 0
	.section	.text._ZN7rocprim17ROCPRIM_400000_NS6detail17trampoline_kernelINS0_13select_configILj256ELj13ELNS0_17block_load_methodE3ELS4_3ELS4_3ELNS0_20block_scan_algorithmE0ELj4294967295EEENS1_25partition_config_selectorILNS1_17partition_subalgoE4EjNS0_10empty_typeEbEEZZNS1_14partition_implILS8_4ELb0ES6_15HIP_vector_typeIjLj2EENS0_17counting_iteratorIjlEEPS9_SG_NS0_5tupleIJPjSI_NS0_16reverse_iteratorISI_EEEEENSH_IJSG_SG_SG_EEES9_SI_JZNS1_25segmented_radix_sort_implINS0_14default_configELb1EPKfPfPKlPlN2at6native12_GLOBAL__N_18offset_tEEE10hipError_tPvRmT1_PNSt15iterator_traitsIS12_E10value_typeET2_T3_PNS13_IS18_E10value_typeET4_jRbjT5_S1E_jjP12ihipStream_tbEUljE_ZNSN_ISO_Lb1ESQ_SR_ST_SU_SY_EESZ_S10_S11_S12_S16_S17_S18_S1B_S1C_jS1D_jS1E_S1E_jjS1G_bEUljE0_EEESZ_S10_S11_S18_S1C_S1E_T6_T7_T9_mT8_S1G_bDpT10_ENKUlT_T0_E_clISt17integral_constantIbLb0EES1T_IbLb1EEEEDaS1P_S1Q_EUlS1P_E_NS1_11comp_targetILNS1_3genE10ELNS1_11target_archE1200ELNS1_3gpuE4ELNS1_3repE0EEENS1_30default_config_static_selectorELNS0_4arch9wavefront6targetE1EEEvS12_,"axG",@progbits,_ZN7rocprim17ROCPRIM_400000_NS6detail17trampoline_kernelINS0_13select_configILj256ELj13ELNS0_17block_load_methodE3ELS4_3ELS4_3ELNS0_20block_scan_algorithmE0ELj4294967295EEENS1_25partition_config_selectorILNS1_17partition_subalgoE4EjNS0_10empty_typeEbEEZZNS1_14partition_implILS8_4ELb0ES6_15HIP_vector_typeIjLj2EENS0_17counting_iteratorIjlEEPS9_SG_NS0_5tupleIJPjSI_NS0_16reverse_iteratorISI_EEEEENSH_IJSG_SG_SG_EEES9_SI_JZNS1_25segmented_radix_sort_implINS0_14default_configELb1EPKfPfPKlPlN2at6native12_GLOBAL__N_18offset_tEEE10hipError_tPvRmT1_PNSt15iterator_traitsIS12_E10value_typeET2_T3_PNS13_IS18_E10value_typeET4_jRbjT5_S1E_jjP12ihipStream_tbEUljE_ZNSN_ISO_Lb1ESQ_SR_ST_SU_SY_EESZ_S10_S11_S12_S16_S17_S18_S1B_S1C_jS1D_jS1E_S1E_jjS1G_bEUljE0_EEESZ_S10_S11_S18_S1C_S1E_T6_T7_T9_mT8_S1G_bDpT10_ENKUlT_T0_E_clISt17integral_constantIbLb0EES1T_IbLb1EEEEDaS1P_S1Q_EUlS1P_E_NS1_11comp_targetILNS1_3genE10ELNS1_11target_archE1200ELNS1_3gpuE4ELNS1_3repE0EEENS1_30default_config_static_selectorELNS0_4arch9wavefront6targetE1EEEvS12_,comdat
	.globl	_ZN7rocprim17ROCPRIM_400000_NS6detail17trampoline_kernelINS0_13select_configILj256ELj13ELNS0_17block_load_methodE3ELS4_3ELS4_3ELNS0_20block_scan_algorithmE0ELj4294967295EEENS1_25partition_config_selectorILNS1_17partition_subalgoE4EjNS0_10empty_typeEbEEZZNS1_14partition_implILS8_4ELb0ES6_15HIP_vector_typeIjLj2EENS0_17counting_iteratorIjlEEPS9_SG_NS0_5tupleIJPjSI_NS0_16reverse_iteratorISI_EEEEENSH_IJSG_SG_SG_EEES9_SI_JZNS1_25segmented_radix_sort_implINS0_14default_configELb1EPKfPfPKlPlN2at6native12_GLOBAL__N_18offset_tEEE10hipError_tPvRmT1_PNSt15iterator_traitsIS12_E10value_typeET2_T3_PNS13_IS18_E10value_typeET4_jRbjT5_S1E_jjP12ihipStream_tbEUljE_ZNSN_ISO_Lb1ESQ_SR_ST_SU_SY_EESZ_S10_S11_S12_S16_S17_S18_S1B_S1C_jS1D_jS1E_S1E_jjS1G_bEUljE0_EEESZ_S10_S11_S18_S1C_S1E_T6_T7_T9_mT8_S1G_bDpT10_ENKUlT_T0_E_clISt17integral_constantIbLb0EES1T_IbLb1EEEEDaS1P_S1Q_EUlS1P_E_NS1_11comp_targetILNS1_3genE10ELNS1_11target_archE1200ELNS1_3gpuE4ELNS1_3repE0EEENS1_30default_config_static_selectorELNS0_4arch9wavefront6targetE1EEEvS12_ ; -- Begin function _ZN7rocprim17ROCPRIM_400000_NS6detail17trampoline_kernelINS0_13select_configILj256ELj13ELNS0_17block_load_methodE3ELS4_3ELS4_3ELNS0_20block_scan_algorithmE0ELj4294967295EEENS1_25partition_config_selectorILNS1_17partition_subalgoE4EjNS0_10empty_typeEbEEZZNS1_14partition_implILS8_4ELb0ES6_15HIP_vector_typeIjLj2EENS0_17counting_iteratorIjlEEPS9_SG_NS0_5tupleIJPjSI_NS0_16reverse_iteratorISI_EEEEENSH_IJSG_SG_SG_EEES9_SI_JZNS1_25segmented_radix_sort_implINS0_14default_configELb1EPKfPfPKlPlN2at6native12_GLOBAL__N_18offset_tEEE10hipError_tPvRmT1_PNSt15iterator_traitsIS12_E10value_typeET2_T3_PNS13_IS18_E10value_typeET4_jRbjT5_S1E_jjP12ihipStream_tbEUljE_ZNSN_ISO_Lb1ESQ_SR_ST_SU_SY_EESZ_S10_S11_S12_S16_S17_S18_S1B_S1C_jS1D_jS1E_S1E_jjS1G_bEUljE0_EEESZ_S10_S11_S18_S1C_S1E_T6_T7_T9_mT8_S1G_bDpT10_ENKUlT_T0_E_clISt17integral_constantIbLb0EES1T_IbLb1EEEEDaS1P_S1Q_EUlS1P_E_NS1_11comp_targetILNS1_3genE10ELNS1_11target_archE1200ELNS1_3gpuE4ELNS1_3repE0EEENS1_30default_config_static_selectorELNS0_4arch9wavefront6targetE1EEEvS12_
	.p2align	8
	.type	_ZN7rocprim17ROCPRIM_400000_NS6detail17trampoline_kernelINS0_13select_configILj256ELj13ELNS0_17block_load_methodE3ELS4_3ELS4_3ELNS0_20block_scan_algorithmE0ELj4294967295EEENS1_25partition_config_selectorILNS1_17partition_subalgoE4EjNS0_10empty_typeEbEEZZNS1_14partition_implILS8_4ELb0ES6_15HIP_vector_typeIjLj2EENS0_17counting_iteratorIjlEEPS9_SG_NS0_5tupleIJPjSI_NS0_16reverse_iteratorISI_EEEEENSH_IJSG_SG_SG_EEES9_SI_JZNS1_25segmented_radix_sort_implINS0_14default_configELb1EPKfPfPKlPlN2at6native12_GLOBAL__N_18offset_tEEE10hipError_tPvRmT1_PNSt15iterator_traitsIS12_E10value_typeET2_T3_PNS13_IS18_E10value_typeET4_jRbjT5_S1E_jjP12ihipStream_tbEUljE_ZNSN_ISO_Lb1ESQ_SR_ST_SU_SY_EESZ_S10_S11_S12_S16_S17_S18_S1B_S1C_jS1D_jS1E_S1E_jjS1G_bEUljE0_EEESZ_S10_S11_S18_S1C_S1E_T6_T7_T9_mT8_S1G_bDpT10_ENKUlT_T0_E_clISt17integral_constantIbLb0EES1T_IbLb1EEEEDaS1P_S1Q_EUlS1P_E_NS1_11comp_targetILNS1_3genE10ELNS1_11target_archE1200ELNS1_3gpuE4ELNS1_3repE0EEENS1_30default_config_static_selectorELNS0_4arch9wavefront6targetE1EEEvS12_,@function
_ZN7rocprim17ROCPRIM_400000_NS6detail17trampoline_kernelINS0_13select_configILj256ELj13ELNS0_17block_load_methodE3ELS4_3ELS4_3ELNS0_20block_scan_algorithmE0ELj4294967295EEENS1_25partition_config_selectorILNS1_17partition_subalgoE4EjNS0_10empty_typeEbEEZZNS1_14partition_implILS8_4ELb0ES6_15HIP_vector_typeIjLj2EENS0_17counting_iteratorIjlEEPS9_SG_NS0_5tupleIJPjSI_NS0_16reverse_iteratorISI_EEEEENSH_IJSG_SG_SG_EEES9_SI_JZNS1_25segmented_radix_sort_implINS0_14default_configELb1EPKfPfPKlPlN2at6native12_GLOBAL__N_18offset_tEEE10hipError_tPvRmT1_PNSt15iterator_traitsIS12_E10value_typeET2_T3_PNS13_IS18_E10value_typeET4_jRbjT5_S1E_jjP12ihipStream_tbEUljE_ZNSN_ISO_Lb1ESQ_SR_ST_SU_SY_EESZ_S10_S11_S12_S16_S17_S18_S1B_S1C_jS1D_jS1E_S1E_jjS1G_bEUljE0_EEESZ_S10_S11_S18_S1C_S1E_T6_T7_T9_mT8_S1G_bDpT10_ENKUlT_T0_E_clISt17integral_constantIbLb0EES1T_IbLb1EEEEDaS1P_S1Q_EUlS1P_E_NS1_11comp_targetILNS1_3genE10ELNS1_11target_archE1200ELNS1_3gpuE4ELNS1_3repE0EEENS1_30default_config_static_selectorELNS0_4arch9wavefront6targetE1EEEvS12_: ; @_ZN7rocprim17ROCPRIM_400000_NS6detail17trampoline_kernelINS0_13select_configILj256ELj13ELNS0_17block_load_methodE3ELS4_3ELS4_3ELNS0_20block_scan_algorithmE0ELj4294967295EEENS1_25partition_config_selectorILNS1_17partition_subalgoE4EjNS0_10empty_typeEbEEZZNS1_14partition_implILS8_4ELb0ES6_15HIP_vector_typeIjLj2EENS0_17counting_iteratorIjlEEPS9_SG_NS0_5tupleIJPjSI_NS0_16reverse_iteratorISI_EEEEENSH_IJSG_SG_SG_EEES9_SI_JZNS1_25segmented_radix_sort_implINS0_14default_configELb1EPKfPfPKlPlN2at6native12_GLOBAL__N_18offset_tEEE10hipError_tPvRmT1_PNSt15iterator_traitsIS12_E10value_typeET2_T3_PNS13_IS18_E10value_typeET4_jRbjT5_S1E_jjP12ihipStream_tbEUljE_ZNSN_ISO_Lb1ESQ_SR_ST_SU_SY_EESZ_S10_S11_S12_S16_S17_S18_S1B_S1C_jS1D_jS1E_S1E_jjS1G_bEUljE0_EEESZ_S10_S11_S18_S1C_S1E_T6_T7_T9_mT8_S1G_bDpT10_ENKUlT_T0_E_clISt17integral_constantIbLb0EES1T_IbLb1EEEEDaS1P_S1Q_EUlS1P_E_NS1_11comp_targetILNS1_3genE10ELNS1_11target_archE1200ELNS1_3gpuE4ELNS1_3repE0EEENS1_30default_config_static_selectorELNS0_4arch9wavefront6targetE1EEEvS12_
; %bb.0:
	.section	.rodata,"a",@progbits
	.p2align	6, 0x0
	.amdhsa_kernel _ZN7rocprim17ROCPRIM_400000_NS6detail17trampoline_kernelINS0_13select_configILj256ELj13ELNS0_17block_load_methodE3ELS4_3ELS4_3ELNS0_20block_scan_algorithmE0ELj4294967295EEENS1_25partition_config_selectorILNS1_17partition_subalgoE4EjNS0_10empty_typeEbEEZZNS1_14partition_implILS8_4ELb0ES6_15HIP_vector_typeIjLj2EENS0_17counting_iteratorIjlEEPS9_SG_NS0_5tupleIJPjSI_NS0_16reverse_iteratorISI_EEEEENSH_IJSG_SG_SG_EEES9_SI_JZNS1_25segmented_radix_sort_implINS0_14default_configELb1EPKfPfPKlPlN2at6native12_GLOBAL__N_18offset_tEEE10hipError_tPvRmT1_PNSt15iterator_traitsIS12_E10value_typeET2_T3_PNS13_IS18_E10value_typeET4_jRbjT5_S1E_jjP12ihipStream_tbEUljE_ZNSN_ISO_Lb1ESQ_SR_ST_SU_SY_EESZ_S10_S11_S12_S16_S17_S18_S1B_S1C_jS1D_jS1E_S1E_jjS1G_bEUljE0_EEESZ_S10_S11_S18_S1C_S1E_T6_T7_T9_mT8_S1G_bDpT10_ENKUlT_T0_E_clISt17integral_constantIbLb0EES1T_IbLb1EEEEDaS1P_S1Q_EUlS1P_E_NS1_11comp_targetILNS1_3genE10ELNS1_11target_archE1200ELNS1_3gpuE4ELNS1_3repE0EEENS1_30default_config_static_selectorELNS0_4arch9wavefront6targetE1EEEvS12_
		.amdhsa_group_segment_fixed_size 0
		.amdhsa_private_segment_fixed_size 0
		.amdhsa_kernarg_size 184
		.amdhsa_user_sgpr_count 6
		.amdhsa_user_sgpr_private_segment_buffer 1
		.amdhsa_user_sgpr_dispatch_ptr 0
		.amdhsa_user_sgpr_queue_ptr 0
		.amdhsa_user_sgpr_kernarg_segment_ptr 1
		.amdhsa_user_sgpr_dispatch_id 0
		.amdhsa_user_sgpr_flat_scratch_init 0
		.amdhsa_user_sgpr_kernarg_preload_length 0
		.amdhsa_user_sgpr_kernarg_preload_offset 0
		.amdhsa_user_sgpr_private_segment_size 0
		.amdhsa_uses_dynamic_stack 0
		.amdhsa_system_sgpr_private_segment_wavefront_offset 0
		.amdhsa_system_sgpr_workgroup_id_x 1
		.amdhsa_system_sgpr_workgroup_id_y 0
		.amdhsa_system_sgpr_workgroup_id_z 0
		.amdhsa_system_sgpr_workgroup_info 0
		.amdhsa_system_vgpr_workitem_id 0
		.amdhsa_next_free_vgpr 1
		.amdhsa_next_free_sgpr 0
		.amdhsa_accum_offset 4
		.amdhsa_reserve_vcc 0
		.amdhsa_reserve_flat_scratch 0
		.amdhsa_float_round_mode_32 0
		.amdhsa_float_round_mode_16_64 0
		.amdhsa_float_denorm_mode_32 3
		.amdhsa_float_denorm_mode_16_64 3
		.amdhsa_dx10_clamp 1
		.amdhsa_ieee_mode 1
		.amdhsa_fp16_overflow 0
		.amdhsa_tg_split 0
		.amdhsa_exception_fp_ieee_invalid_op 0
		.amdhsa_exception_fp_denorm_src 0
		.amdhsa_exception_fp_ieee_div_zero 0
		.amdhsa_exception_fp_ieee_overflow 0
		.amdhsa_exception_fp_ieee_underflow 0
		.amdhsa_exception_fp_ieee_inexact 0
		.amdhsa_exception_int_div_zero 0
	.end_amdhsa_kernel
	.section	.text._ZN7rocprim17ROCPRIM_400000_NS6detail17trampoline_kernelINS0_13select_configILj256ELj13ELNS0_17block_load_methodE3ELS4_3ELS4_3ELNS0_20block_scan_algorithmE0ELj4294967295EEENS1_25partition_config_selectorILNS1_17partition_subalgoE4EjNS0_10empty_typeEbEEZZNS1_14partition_implILS8_4ELb0ES6_15HIP_vector_typeIjLj2EENS0_17counting_iteratorIjlEEPS9_SG_NS0_5tupleIJPjSI_NS0_16reverse_iteratorISI_EEEEENSH_IJSG_SG_SG_EEES9_SI_JZNS1_25segmented_radix_sort_implINS0_14default_configELb1EPKfPfPKlPlN2at6native12_GLOBAL__N_18offset_tEEE10hipError_tPvRmT1_PNSt15iterator_traitsIS12_E10value_typeET2_T3_PNS13_IS18_E10value_typeET4_jRbjT5_S1E_jjP12ihipStream_tbEUljE_ZNSN_ISO_Lb1ESQ_SR_ST_SU_SY_EESZ_S10_S11_S12_S16_S17_S18_S1B_S1C_jS1D_jS1E_S1E_jjS1G_bEUljE0_EEESZ_S10_S11_S18_S1C_S1E_T6_T7_T9_mT8_S1G_bDpT10_ENKUlT_T0_E_clISt17integral_constantIbLb0EES1T_IbLb1EEEEDaS1P_S1Q_EUlS1P_E_NS1_11comp_targetILNS1_3genE10ELNS1_11target_archE1200ELNS1_3gpuE4ELNS1_3repE0EEENS1_30default_config_static_selectorELNS0_4arch9wavefront6targetE1EEEvS12_,"axG",@progbits,_ZN7rocprim17ROCPRIM_400000_NS6detail17trampoline_kernelINS0_13select_configILj256ELj13ELNS0_17block_load_methodE3ELS4_3ELS4_3ELNS0_20block_scan_algorithmE0ELj4294967295EEENS1_25partition_config_selectorILNS1_17partition_subalgoE4EjNS0_10empty_typeEbEEZZNS1_14partition_implILS8_4ELb0ES6_15HIP_vector_typeIjLj2EENS0_17counting_iteratorIjlEEPS9_SG_NS0_5tupleIJPjSI_NS0_16reverse_iteratorISI_EEEEENSH_IJSG_SG_SG_EEES9_SI_JZNS1_25segmented_radix_sort_implINS0_14default_configELb1EPKfPfPKlPlN2at6native12_GLOBAL__N_18offset_tEEE10hipError_tPvRmT1_PNSt15iterator_traitsIS12_E10value_typeET2_T3_PNS13_IS18_E10value_typeET4_jRbjT5_S1E_jjP12ihipStream_tbEUljE_ZNSN_ISO_Lb1ESQ_SR_ST_SU_SY_EESZ_S10_S11_S12_S16_S17_S18_S1B_S1C_jS1D_jS1E_S1E_jjS1G_bEUljE0_EEESZ_S10_S11_S18_S1C_S1E_T6_T7_T9_mT8_S1G_bDpT10_ENKUlT_T0_E_clISt17integral_constantIbLb0EES1T_IbLb1EEEEDaS1P_S1Q_EUlS1P_E_NS1_11comp_targetILNS1_3genE10ELNS1_11target_archE1200ELNS1_3gpuE4ELNS1_3repE0EEENS1_30default_config_static_selectorELNS0_4arch9wavefront6targetE1EEEvS12_,comdat
.Lfunc_end1288:
	.size	_ZN7rocprim17ROCPRIM_400000_NS6detail17trampoline_kernelINS0_13select_configILj256ELj13ELNS0_17block_load_methodE3ELS4_3ELS4_3ELNS0_20block_scan_algorithmE0ELj4294967295EEENS1_25partition_config_selectorILNS1_17partition_subalgoE4EjNS0_10empty_typeEbEEZZNS1_14partition_implILS8_4ELb0ES6_15HIP_vector_typeIjLj2EENS0_17counting_iteratorIjlEEPS9_SG_NS0_5tupleIJPjSI_NS0_16reverse_iteratorISI_EEEEENSH_IJSG_SG_SG_EEES9_SI_JZNS1_25segmented_radix_sort_implINS0_14default_configELb1EPKfPfPKlPlN2at6native12_GLOBAL__N_18offset_tEEE10hipError_tPvRmT1_PNSt15iterator_traitsIS12_E10value_typeET2_T3_PNS13_IS18_E10value_typeET4_jRbjT5_S1E_jjP12ihipStream_tbEUljE_ZNSN_ISO_Lb1ESQ_SR_ST_SU_SY_EESZ_S10_S11_S12_S16_S17_S18_S1B_S1C_jS1D_jS1E_S1E_jjS1G_bEUljE0_EEESZ_S10_S11_S18_S1C_S1E_T6_T7_T9_mT8_S1G_bDpT10_ENKUlT_T0_E_clISt17integral_constantIbLb0EES1T_IbLb1EEEEDaS1P_S1Q_EUlS1P_E_NS1_11comp_targetILNS1_3genE10ELNS1_11target_archE1200ELNS1_3gpuE4ELNS1_3repE0EEENS1_30default_config_static_selectorELNS0_4arch9wavefront6targetE1EEEvS12_, .Lfunc_end1288-_ZN7rocprim17ROCPRIM_400000_NS6detail17trampoline_kernelINS0_13select_configILj256ELj13ELNS0_17block_load_methodE3ELS4_3ELS4_3ELNS0_20block_scan_algorithmE0ELj4294967295EEENS1_25partition_config_selectorILNS1_17partition_subalgoE4EjNS0_10empty_typeEbEEZZNS1_14partition_implILS8_4ELb0ES6_15HIP_vector_typeIjLj2EENS0_17counting_iteratorIjlEEPS9_SG_NS0_5tupleIJPjSI_NS0_16reverse_iteratorISI_EEEEENSH_IJSG_SG_SG_EEES9_SI_JZNS1_25segmented_radix_sort_implINS0_14default_configELb1EPKfPfPKlPlN2at6native12_GLOBAL__N_18offset_tEEE10hipError_tPvRmT1_PNSt15iterator_traitsIS12_E10value_typeET2_T3_PNS13_IS18_E10value_typeET4_jRbjT5_S1E_jjP12ihipStream_tbEUljE_ZNSN_ISO_Lb1ESQ_SR_ST_SU_SY_EESZ_S10_S11_S12_S16_S17_S18_S1B_S1C_jS1D_jS1E_S1E_jjS1G_bEUljE0_EEESZ_S10_S11_S18_S1C_S1E_T6_T7_T9_mT8_S1G_bDpT10_ENKUlT_T0_E_clISt17integral_constantIbLb0EES1T_IbLb1EEEEDaS1P_S1Q_EUlS1P_E_NS1_11comp_targetILNS1_3genE10ELNS1_11target_archE1200ELNS1_3gpuE4ELNS1_3repE0EEENS1_30default_config_static_selectorELNS0_4arch9wavefront6targetE1EEEvS12_
                                        ; -- End function
	.section	.AMDGPU.csdata,"",@progbits
; Kernel info:
; codeLenInByte = 0
; NumSgprs: 4
; NumVgprs: 0
; NumAgprs: 0
; TotalNumVgprs: 0
; ScratchSize: 0
; MemoryBound: 0
; FloatMode: 240
; IeeeMode: 1
; LDSByteSize: 0 bytes/workgroup (compile time only)
; SGPRBlocks: 0
; VGPRBlocks: 0
; NumSGPRsForWavesPerEU: 4
; NumVGPRsForWavesPerEU: 1
; AccumOffset: 4
; Occupancy: 8
; WaveLimiterHint : 0
; COMPUTE_PGM_RSRC2:SCRATCH_EN: 0
; COMPUTE_PGM_RSRC2:USER_SGPR: 6
; COMPUTE_PGM_RSRC2:TRAP_HANDLER: 0
; COMPUTE_PGM_RSRC2:TGID_X_EN: 1
; COMPUTE_PGM_RSRC2:TGID_Y_EN: 0
; COMPUTE_PGM_RSRC2:TGID_Z_EN: 0
; COMPUTE_PGM_RSRC2:TIDIG_COMP_CNT: 0
; COMPUTE_PGM_RSRC3_GFX90A:ACCUM_OFFSET: 0
; COMPUTE_PGM_RSRC3_GFX90A:TG_SPLIT: 0
	.section	.text._ZN7rocprim17ROCPRIM_400000_NS6detail17trampoline_kernelINS0_13select_configILj256ELj13ELNS0_17block_load_methodE3ELS4_3ELS4_3ELNS0_20block_scan_algorithmE0ELj4294967295EEENS1_25partition_config_selectorILNS1_17partition_subalgoE4EjNS0_10empty_typeEbEEZZNS1_14partition_implILS8_4ELb0ES6_15HIP_vector_typeIjLj2EENS0_17counting_iteratorIjlEEPS9_SG_NS0_5tupleIJPjSI_NS0_16reverse_iteratorISI_EEEEENSH_IJSG_SG_SG_EEES9_SI_JZNS1_25segmented_radix_sort_implINS0_14default_configELb1EPKfPfPKlPlN2at6native12_GLOBAL__N_18offset_tEEE10hipError_tPvRmT1_PNSt15iterator_traitsIS12_E10value_typeET2_T3_PNS13_IS18_E10value_typeET4_jRbjT5_S1E_jjP12ihipStream_tbEUljE_ZNSN_ISO_Lb1ESQ_SR_ST_SU_SY_EESZ_S10_S11_S12_S16_S17_S18_S1B_S1C_jS1D_jS1E_S1E_jjS1G_bEUljE0_EEESZ_S10_S11_S18_S1C_S1E_T6_T7_T9_mT8_S1G_bDpT10_ENKUlT_T0_E_clISt17integral_constantIbLb0EES1T_IbLb1EEEEDaS1P_S1Q_EUlS1P_E_NS1_11comp_targetILNS1_3genE9ELNS1_11target_archE1100ELNS1_3gpuE3ELNS1_3repE0EEENS1_30default_config_static_selectorELNS0_4arch9wavefront6targetE1EEEvS12_,"axG",@progbits,_ZN7rocprim17ROCPRIM_400000_NS6detail17trampoline_kernelINS0_13select_configILj256ELj13ELNS0_17block_load_methodE3ELS4_3ELS4_3ELNS0_20block_scan_algorithmE0ELj4294967295EEENS1_25partition_config_selectorILNS1_17partition_subalgoE4EjNS0_10empty_typeEbEEZZNS1_14partition_implILS8_4ELb0ES6_15HIP_vector_typeIjLj2EENS0_17counting_iteratorIjlEEPS9_SG_NS0_5tupleIJPjSI_NS0_16reverse_iteratorISI_EEEEENSH_IJSG_SG_SG_EEES9_SI_JZNS1_25segmented_radix_sort_implINS0_14default_configELb1EPKfPfPKlPlN2at6native12_GLOBAL__N_18offset_tEEE10hipError_tPvRmT1_PNSt15iterator_traitsIS12_E10value_typeET2_T3_PNS13_IS18_E10value_typeET4_jRbjT5_S1E_jjP12ihipStream_tbEUljE_ZNSN_ISO_Lb1ESQ_SR_ST_SU_SY_EESZ_S10_S11_S12_S16_S17_S18_S1B_S1C_jS1D_jS1E_S1E_jjS1G_bEUljE0_EEESZ_S10_S11_S18_S1C_S1E_T6_T7_T9_mT8_S1G_bDpT10_ENKUlT_T0_E_clISt17integral_constantIbLb0EES1T_IbLb1EEEEDaS1P_S1Q_EUlS1P_E_NS1_11comp_targetILNS1_3genE9ELNS1_11target_archE1100ELNS1_3gpuE3ELNS1_3repE0EEENS1_30default_config_static_selectorELNS0_4arch9wavefront6targetE1EEEvS12_,comdat
	.globl	_ZN7rocprim17ROCPRIM_400000_NS6detail17trampoline_kernelINS0_13select_configILj256ELj13ELNS0_17block_load_methodE3ELS4_3ELS4_3ELNS0_20block_scan_algorithmE0ELj4294967295EEENS1_25partition_config_selectorILNS1_17partition_subalgoE4EjNS0_10empty_typeEbEEZZNS1_14partition_implILS8_4ELb0ES6_15HIP_vector_typeIjLj2EENS0_17counting_iteratorIjlEEPS9_SG_NS0_5tupleIJPjSI_NS0_16reverse_iteratorISI_EEEEENSH_IJSG_SG_SG_EEES9_SI_JZNS1_25segmented_radix_sort_implINS0_14default_configELb1EPKfPfPKlPlN2at6native12_GLOBAL__N_18offset_tEEE10hipError_tPvRmT1_PNSt15iterator_traitsIS12_E10value_typeET2_T3_PNS13_IS18_E10value_typeET4_jRbjT5_S1E_jjP12ihipStream_tbEUljE_ZNSN_ISO_Lb1ESQ_SR_ST_SU_SY_EESZ_S10_S11_S12_S16_S17_S18_S1B_S1C_jS1D_jS1E_S1E_jjS1G_bEUljE0_EEESZ_S10_S11_S18_S1C_S1E_T6_T7_T9_mT8_S1G_bDpT10_ENKUlT_T0_E_clISt17integral_constantIbLb0EES1T_IbLb1EEEEDaS1P_S1Q_EUlS1P_E_NS1_11comp_targetILNS1_3genE9ELNS1_11target_archE1100ELNS1_3gpuE3ELNS1_3repE0EEENS1_30default_config_static_selectorELNS0_4arch9wavefront6targetE1EEEvS12_ ; -- Begin function _ZN7rocprim17ROCPRIM_400000_NS6detail17trampoline_kernelINS0_13select_configILj256ELj13ELNS0_17block_load_methodE3ELS4_3ELS4_3ELNS0_20block_scan_algorithmE0ELj4294967295EEENS1_25partition_config_selectorILNS1_17partition_subalgoE4EjNS0_10empty_typeEbEEZZNS1_14partition_implILS8_4ELb0ES6_15HIP_vector_typeIjLj2EENS0_17counting_iteratorIjlEEPS9_SG_NS0_5tupleIJPjSI_NS0_16reverse_iteratorISI_EEEEENSH_IJSG_SG_SG_EEES9_SI_JZNS1_25segmented_radix_sort_implINS0_14default_configELb1EPKfPfPKlPlN2at6native12_GLOBAL__N_18offset_tEEE10hipError_tPvRmT1_PNSt15iterator_traitsIS12_E10value_typeET2_T3_PNS13_IS18_E10value_typeET4_jRbjT5_S1E_jjP12ihipStream_tbEUljE_ZNSN_ISO_Lb1ESQ_SR_ST_SU_SY_EESZ_S10_S11_S12_S16_S17_S18_S1B_S1C_jS1D_jS1E_S1E_jjS1G_bEUljE0_EEESZ_S10_S11_S18_S1C_S1E_T6_T7_T9_mT8_S1G_bDpT10_ENKUlT_T0_E_clISt17integral_constantIbLb0EES1T_IbLb1EEEEDaS1P_S1Q_EUlS1P_E_NS1_11comp_targetILNS1_3genE9ELNS1_11target_archE1100ELNS1_3gpuE3ELNS1_3repE0EEENS1_30default_config_static_selectorELNS0_4arch9wavefront6targetE1EEEvS12_
	.p2align	8
	.type	_ZN7rocprim17ROCPRIM_400000_NS6detail17trampoline_kernelINS0_13select_configILj256ELj13ELNS0_17block_load_methodE3ELS4_3ELS4_3ELNS0_20block_scan_algorithmE0ELj4294967295EEENS1_25partition_config_selectorILNS1_17partition_subalgoE4EjNS0_10empty_typeEbEEZZNS1_14partition_implILS8_4ELb0ES6_15HIP_vector_typeIjLj2EENS0_17counting_iteratorIjlEEPS9_SG_NS0_5tupleIJPjSI_NS0_16reverse_iteratorISI_EEEEENSH_IJSG_SG_SG_EEES9_SI_JZNS1_25segmented_radix_sort_implINS0_14default_configELb1EPKfPfPKlPlN2at6native12_GLOBAL__N_18offset_tEEE10hipError_tPvRmT1_PNSt15iterator_traitsIS12_E10value_typeET2_T3_PNS13_IS18_E10value_typeET4_jRbjT5_S1E_jjP12ihipStream_tbEUljE_ZNSN_ISO_Lb1ESQ_SR_ST_SU_SY_EESZ_S10_S11_S12_S16_S17_S18_S1B_S1C_jS1D_jS1E_S1E_jjS1G_bEUljE0_EEESZ_S10_S11_S18_S1C_S1E_T6_T7_T9_mT8_S1G_bDpT10_ENKUlT_T0_E_clISt17integral_constantIbLb0EES1T_IbLb1EEEEDaS1P_S1Q_EUlS1P_E_NS1_11comp_targetILNS1_3genE9ELNS1_11target_archE1100ELNS1_3gpuE3ELNS1_3repE0EEENS1_30default_config_static_selectorELNS0_4arch9wavefront6targetE1EEEvS12_,@function
_ZN7rocprim17ROCPRIM_400000_NS6detail17trampoline_kernelINS0_13select_configILj256ELj13ELNS0_17block_load_methodE3ELS4_3ELS4_3ELNS0_20block_scan_algorithmE0ELj4294967295EEENS1_25partition_config_selectorILNS1_17partition_subalgoE4EjNS0_10empty_typeEbEEZZNS1_14partition_implILS8_4ELb0ES6_15HIP_vector_typeIjLj2EENS0_17counting_iteratorIjlEEPS9_SG_NS0_5tupleIJPjSI_NS0_16reverse_iteratorISI_EEEEENSH_IJSG_SG_SG_EEES9_SI_JZNS1_25segmented_radix_sort_implINS0_14default_configELb1EPKfPfPKlPlN2at6native12_GLOBAL__N_18offset_tEEE10hipError_tPvRmT1_PNSt15iterator_traitsIS12_E10value_typeET2_T3_PNS13_IS18_E10value_typeET4_jRbjT5_S1E_jjP12ihipStream_tbEUljE_ZNSN_ISO_Lb1ESQ_SR_ST_SU_SY_EESZ_S10_S11_S12_S16_S17_S18_S1B_S1C_jS1D_jS1E_S1E_jjS1G_bEUljE0_EEESZ_S10_S11_S18_S1C_S1E_T6_T7_T9_mT8_S1G_bDpT10_ENKUlT_T0_E_clISt17integral_constantIbLb0EES1T_IbLb1EEEEDaS1P_S1Q_EUlS1P_E_NS1_11comp_targetILNS1_3genE9ELNS1_11target_archE1100ELNS1_3gpuE3ELNS1_3repE0EEENS1_30default_config_static_selectorELNS0_4arch9wavefront6targetE1EEEvS12_: ; @_ZN7rocprim17ROCPRIM_400000_NS6detail17trampoline_kernelINS0_13select_configILj256ELj13ELNS0_17block_load_methodE3ELS4_3ELS4_3ELNS0_20block_scan_algorithmE0ELj4294967295EEENS1_25partition_config_selectorILNS1_17partition_subalgoE4EjNS0_10empty_typeEbEEZZNS1_14partition_implILS8_4ELb0ES6_15HIP_vector_typeIjLj2EENS0_17counting_iteratorIjlEEPS9_SG_NS0_5tupleIJPjSI_NS0_16reverse_iteratorISI_EEEEENSH_IJSG_SG_SG_EEES9_SI_JZNS1_25segmented_radix_sort_implINS0_14default_configELb1EPKfPfPKlPlN2at6native12_GLOBAL__N_18offset_tEEE10hipError_tPvRmT1_PNSt15iterator_traitsIS12_E10value_typeET2_T3_PNS13_IS18_E10value_typeET4_jRbjT5_S1E_jjP12ihipStream_tbEUljE_ZNSN_ISO_Lb1ESQ_SR_ST_SU_SY_EESZ_S10_S11_S12_S16_S17_S18_S1B_S1C_jS1D_jS1E_S1E_jjS1G_bEUljE0_EEESZ_S10_S11_S18_S1C_S1E_T6_T7_T9_mT8_S1G_bDpT10_ENKUlT_T0_E_clISt17integral_constantIbLb0EES1T_IbLb1EEEEDaS1P_S1Q_EUlS1P_E_NS1_11comp_targetILNS1_3genE9ELNS1_11target_archE1100ELNS1_3gpuE3ELNS1_3repE0EEENS1_30default_config_static_selectorELNS0_4arch9wavefront6targetE1EEEvS12_
; %bb.0:
	.section	.rodata,"a",@progbits
	.p2align	6, 0x0
	.amdhsa_kernel _ZN7rocprim17ROCPRIM_400000_NS6detail17trampoline_kernelINS0_13select_configILj256ELj13ELNS0_17block_load_methodE3ELS4_3ELS4_3ELNS0_20block_scan_algorithmE0ELj4294967295EEENS1_25partition_config_selectorILNS1_17partition_subalgoE4EjNS0_10empty_typeEbEEZZNS1_14partition_implILS8_4ELb0ES6_15HIP_vector_typeIjLj2EENS0_17counting_iteratorIjlEEPS9_SG_NS0_5tupleIJPjSI_NS0_16reverse_iteratorISI_EEEEENSH_IJSG_SG_SG_EEES9_SI_JZNS1_25segmented_radix_sort_implINS0_14default_configELb1EPKfPfPKlPlN2at6native12_GLOBAL__N_18offset_tEEE10hipError_tPvRmT1_PNSt15iterator_traitsIS12_E10value_typeET2_T3_PNS13_IS18_E10value_typeET4_jRbjT5_S1E_jjP12ihipStream_tbEUljE_ZNSN_ISO_Lb1ESQ_SR_ST_SU_SY_EESZ_S10_S11_S12_S16_S17_S18_S1B_S1C_jS1D_jS1E_S1E_jjS1G_bEUljE0_EEESZ_S10_S11_S18_S1C_S1E_T6_T7_T9_mT8_S1G_bDpT10_ENKUlT_T0_E_clISt17integral_constantIbLb0EES1T_IbLb1EEEEDaS1P_S1Q_EUlS1P_E_NS1_11comp_targetILNS1_3genE9ELNS1_11target_archE1100ELNS1_3gpuE3ELNS1_3repE0EEENS1_30default_config_static_selectorELNS0_4arch9wavefront6targetE1EEEvS12_
		.amdhsa_group_segment_fixed_size 0
		.amdhsa_private_segment_fixed_size 0
		.amdhsa_kernarg_size 184
		.amdhsa_user_sgpr_count 6
		.amdhsa_user_sgpr_private_segment_buffer 1
		.amdhsa_user_sgpr_dispatch_ptr 0
		.amdhsa_user_sgpr_queue_ptr 0
		.amdhsa_user_sgpr_kernarg_segment_ptr 1
		.amdhsa_user_sgpr_dispatch_id 0
		.amdhsa_user_sgpr_flat_scratch_init 0
		.amdhsa_user_sgpr_kernarg_preload_length 0
		.amdhsa_user_sgpr_kernarg_preload_offset 0
		.amdhsa_user_sgpr_private_segment_size 0
		.amdhsa_uses_dynamic_stack 0
		.amdhsa_system_sgpr_private_segment_wavefront_offset 0
		.amdhsa_system_sgpr_workgroup_id_x 1
		.amdhsa_system_sgpr_workgroup_id_y 0
		.amdhsa_system_sgpr_workgroup_id_z 0
		.amdhsa_system_sgpr_workgroup_info 0
		.amdhsa_system_vgpr_workitem_id 0
		.amdhsa_next_free_vgpr 1
		.amdhsa_next_free_sgpr 0
		.amdhsa_accum_offset 4
		.amdhsa_reserve_vcc 0
		.amdhsa_reserve_flat_scratch 0
		.amdhsa_float_round_mode_32 0
		.amdhsa_float_round_mode_16_64 0
		.amdhsa_float_denorm_mode_32 3
		.amdhsa_float_denorm_mode_16_64 3
		.amdhsa_dx10_clamp 1
		.amdhsa_ieee_mode 1
		.amdhsa_fp16_overflow 0
		.amdhsa_tg_split 0
		.amdhsa_exception_fp_ieee_invalid_op 0
		.amdhsa_exception_fp_denorm_src 0
		.amdhsa_exception_fp_ieee_div_zero 0
		.amdhsa_exception_fp_ieee_overflow 0
		.amdhsa_exception_fp_ieee_underflow 0
		.amdhsa_exception_fp_ieee_inexact 0
		.amdhsa_exception_int_div_zero 0
	.end_amdhsa_kernel
	.section	.text._ZN7rocprim17ROCPRIM_400000_NS6detail17trampoline_kernelINS0_13select_configILj256ELj13ELNS0_17block_load_methodE3ELS4_3ELS4_3ELNS0_20block_scan_algorithmE0ELj4294967295EEENS1_25partition_config_selectorILNS1_17partition_subalgoE4EjNS0_10empty_typeEbEEZZNS1_14partition_implILS8_4ELb0ES6_15HIP_vector_typeIjLj2EENS0_17counting_iteratorIjlEEPS9_SG_NS0_5tupleIJPjSI_NS0_16reverse_iteratorISI_EEEEENSH_IJSG_SG_SG_EEES9_SI_JZNS1_25segmented_radix_sort_implINS0_14default_configELb1EPKfPfPKlPlN2at6native12_GLOBAL__N_18offset_tEEE10hipError_tPvRmT1_PNSt15iterator_traitsIS12_E10value_typeET2_T3_PNS13_IS18_E10value_typeET4_jRbjT5_S1E_jjP12ihipStream_tbEUljE_ZNSN_ISO_Lb1ESQ_SR_ST_SU_SY_EESZ_S10_S11_S12_S16_S17_S18_S1B_S1C_jS1D_jS1E_S1E_jjS1G_bEUljE0_EEESZ_S10_S11_S18_S1C_S1E_T6_T7_T9_mT8_S1G_bDpT10_ENKUlT_T0_E_clISt17integral_constantIbLb0EES1T_IbLb1EEEEDaS1P_S1Q_EUlS1P_E_NS1_11comp_targetILNS1_3genE9ELNS1_11target_archE1100ELNS1_3gpuE3ELNS1_3repE0EEENS1_30default_config_static_selectorELNS0_4arch9wavefront6targetE1EEEvS12_,"axG",@progbits,_ZN7rocprim17ROCPRIM_400000_NS6detail17trampoline_kernelINS0_13select_configILj256ELj13ELNS0_17block_load_methodE3ELS4_3ELS4_3ELNS0_20block_scan_algorithmE0ELj4294967295EEENS1_25partition_config_selectorILNS1_17partition_subalgoE4EjNS0_10empty_typeEbEEZZNS1_14partition_implILS8_4ELb0ES6_15HIP_vector_typeIjLj2EENS0_17counting_iteratorIjlEEPS9_SG_NS0_5tupleIJPjSI_NS0_16reverse_iteratorISI_EEEEENSH_IJSG_SG_SG_EEES9_SI_JZNS1_25segmented_radix_sort_implINS0_14default_configELb1EPKfPfPKlPlN2at6native12_GLOBAL__N_18offset_tEEE10hipError_tPvRmT1_PNSt15iterator_traitsIS12_E10value_typeET2_T3_PNS13_IS18_E10value_typeET4_jRbjT5_S1E_jjP12ihipStream_tbEUljE_ZNSN_ISO_Lb1ESQ_SR_ST_SU_SY_EESZ_S10_S11_S12_S16_S17_S18_S1B_S1C_jS1D_jS1E_S1E_jjS1G_bEUljE0_EEESZ_S10_S11_S18_S1C_S1E_T6_T7_T9_mT8_S1G_bDpT10_ENKUlT_T0_E_clISt17integral_constantIbLb0EES1T_IbLb1EEEEDaS1P_S1Q_EUlS1P_E_NS1_11comp_targetILNS1_3genE9ELNS1_11target_archE1100ELNS1_3gpuE3ELNS1_3repE0EEENS1_30default_config_static_selectorELNS0_4arch9wavefront6targetE1EEEvS12_,comdat
.Lfunc_end1289:
	.size	_ZN7rocprim17ROCPRIM_400000_NS6detail17trampoline_kernelINS0_13select_configILj256ELj13ELNS0_17block_load_methodE3ELS4_3ELS4_3ELNS0_20block_scan_algorithmE0ELj4294967295EEENS1_25partition_config_selectorILNS1_17partition_subalgoE4EjNS0_10empty_typeEbEEZZNS1_14partition_implILS8_4ELb0ES6_15HIP_vector_typeIjLj2EENS0_17counting_iteratorIjlEEPS9_SG_NS0_5tupleIJPjSI_NS0_16reverse_iteratorISI_EEEEENSH_IJSG_SG_SG_EEES9_SI_JZNS1_25segmented_radix_sort_implINS0_14default_configELb1EPKfPfPKlPlN2at6native12_GLOBAL__N_18offset_tEEE10hipError_tPvRmT1_PNSt15iterator_traitsIS12_E10value_typeET2_T3_PNS13_IS18_E10value_typeET4_jRbjT5_S1E_jjP12ihipStream_tbEUljE_ZNSN_ISO_Lb1ESQ_SR_ST_SU_SY_EESZ_S10_S11_S12_S16_S17_S18_S1B_S1C_jS1D_jS1E_S1E_jjS1G_bEUljE0_EEESZ_S10_S11_S18_S1C_S1E_T6_T7_T9_mT8_S1G_bDpT10_ENKUlT_T0_E_clISt17integral_constantIbLb0EES1T_IbLb1EEEEDaS1P_S1Q_EUlS1P_E_NS1_11comp_targetILNS1_3genE9ELNS1_11target_archE1100ELNS1_3gpuE3ELNS1_3repE0EEENS1_30default_config_static_selectorELNS0_4arch9wavefront6targetE1EEEvS12_, .Lfunc_end1289-_ZN7rocprim17ROCPRIM_400000_NS6detail17trampoline_kernelINS0_13select_configILj256ELj13ELNS0_17block_load_methodE3ELS4_3ELS4_3ELNS0_20block_scan_algorithmE0ELj4294967295EEENS1_25partition_config_selectorILNS1_17partition_subalgoE4EjNS0_10empty_typeEbEEZZNS1_14partition_implILS8_4ELb0ES6_15HIP_vector_typeIjLj2EENS0_17counting_iteratorIjlEEPS9_SG_NS0_5tupleIJPjSI_NS0_16reverse_iteratorISI_EEEEENSH_IJSG_SG_SG_EEES9_SI_JZNS1_25segmented_radix_sort_implINS0_14default_configELb1EPKfPfPKlPlN2at6native12_GLOBAL__N_18offset_tEEE10hipError_tPvRmT1_PNSt15iterator_traitsIS12_E10value_typeET2_T3_PNS13_IS18_E10value_typeET4_jRbjT5_S1E_jjP12ihipStream_tbEUljE_ZNSN_ISO_Lb1ESQ_SR_ST_SU_SY_EESZ_S10_S11_S12_S16_S17_S18_S1B_S1C_jS1D_jS1E_S1E_jjS1G_bEUljE0_EEESZ_S10_S11_S18_S1C_S1E_T6_T7_T9_mT8_S1G_bDpT10_ENKUlT_T0_E_clISt17integral_constantIbLb0EES1T_IbLb1EEEEDaS1P_S1Q_EUlS1P_E_NS1_11comp_targetILNS1_3genE9ELNS1_11target_archE1100ELNS1_3gpuE3ELNS1_3repE0EEENS1_30default_config_static_selectorELNS0_4arch9wavefront6targetE1EEEvS12_
                                        ; -- End function
	.section	.AMDGPU.csdata,"",@progbits
; Kernel info:
; codeLenInByte = 0
; NumSgprs: 4
; NumVgprs: 0
; NumAgprs: 0
; TotalNumVgprs: 0
; ScratchSize: 0
; MemoryBound: 0
; FloatMode: 240
; IeeeMode: 1
; LDSByteSize: 0 bytes/workgroup (compile time only)
; SGPRBlocks: 0
; VGPRBlocks: 0
; NumSGPRsForWavesPerEU: 4
; NumVGPRsForWavesPerEU: 1
; AccumOffset: 4
; Occupancy: 8
; WaveLimiterHint : 0
; COMPUTE_PGM_RSRC2:SCRATCH_EN: 0
; COMPUTE_PGM_RSRC2:USER_SGPR: 6
; COMPUTE_PGM_RSRC2:TRAP_HANDLER: 0
; COMPUTE_PGM_RSRC2:TGID_X_EN: 1
; COMPUTE_PGM_RSRC2:TGID_Y_EN: 0
; COMPUTE_PGM_RSRC2:TGID_Z_EN: 0
; COMPUTE_PGM_RSRC2:TIDIG_COMP_CNT: 0
; COMPUTE_PGM_RSRC3_GFX90A:ACCUM_OFFSET: 0
; COMPUTE_PGM_RSRC3_GFX90A:TG_SPLIT: 0
	.section	.text._ZN7rocprim17ROCPRIM_400000_NS6detail17trampoline_kernelINS0_13select_configILj256ELj13ELNS0_17block_load_methodE3ELS4_3ELS4_3ELNS0_20block_scan_algorithmE0ELj4294967295EEENS1_25partition_config_selectorILNS1_17partition_subalgoE4EjNS0_10empty_typeEbEEZZNS1_14partition_implILS8_4ELb0ES6_15HIP_vector_typeIjLj2EENS0_17counting_iteratorIjlEEPS9_SG_NS0_5tupleIJPjSI_NS0_16reverse_iteratorISI_EEEEENSH_IJSG_SG_SG_EEES9_SI_JZNS1_25segmented_radix_sort_implINS0_14default_configELb1EPKfPfPKlPlN2at6native12_GLOBAL__N_18offset_tEEE10hipError_tPvRmT1_PNSt15iterator_traitsIS12_E10value_typeET2_T3_PNS13_IS18_E10value_typeET4_jRbjT5_S1E_jjP12ihipStream_tbEUljE_ZNSN_ISO_Lb1ESQ_SR_ST_SU_SY_EESZ_S10_S11_S12_S16_S17_S18_S1B_S1C_jS1D_jS1E_S1E_jjS1G_bEUljE0_EEESZ_S10_S11_S18_S1C_S1E_T6_T7_T9_mT8_S1G_bDpT10_ENKUlT_T0_E_clISt17integral_constantIbLb0EES1T_IbLb1EEEEDaS1P_S1Q_EUlS1P_E_NS1_11comp_targetILNS1_3genE8ELNS1_11target_archE1030ELNS1_3gpuE2ELNS1_3repE0EEENS1_30default_config_static_selectorELNS0_4arch9wavefront6targetE1EEEvS12_,"axG",@progbits,_ZN7rocprim17ROCPRIM_400000_NS6detail17trampoline_kernelINS0_13select_configILj256ELj13ELNS0_17block_load_methodE3ELS4_3ELS4_3ELNS0_20block_scan_algorithmE0ELj4294967295EEENS1_25partition_config_selectorILNS1_17partition_subalgoE4EjNS0_10empty_typeEbEEZZNS1_14partition_implILS8_4ELb0ES6_15HIP_vector_typeIjLj2EENS0_17counting_iteratorIjlEEPS9_SG_NS0_5tupleIJPjSI_NS0_16reverse_iteratorISI_EEEEENSH_IJSG_SG_SG_EEES9_SI_JZNS1_25segmented_radix_sort_implINS0_14default_configELb1EPKfPfPKlPlN2at6native12_GLOBAL__N_18offset_tEEE10hipError_tPvRmT1_PNSt15iterator_traitsIS12_E10value_typeET2_T3_PNS13_IS18_E10value_typeET4_jRbjT5_S1E_jjP12ihipStream_tbEUljE_ZNSN_ISO_Lb1ESQ_SR_ST_SU_SY_EESZ_S10_S11_S12_S16_S17_S18_S1B_S1C_jS1D_jS1E_S1E_jjS1G_bEUljE0_EEESZ_S10_S11_S18_S1C_S1E_T6_T7_T9_mT8_S1G_bDpT10_ENKUlT_T0_E_clISt17integral_constantIbLb0EES1T_IbLb1EEEEDaS1P_S1Q_EUlS1P_E_NS1_11comp_targetILNS1_3genE8ELNS1_11target_archE1030ELNS1_3gpuE2ELNS1_3repE0EEENS1_30default_config_static_selectorELNS0_4arch9wavefront6targetE1EEEvS12_,comdat
	.globl	_ZN7rocprim17ROCPRIM_400000_NS6detail17trampoline_kernelINS0_13select_configILj256ELj13ELNS0_17block_load_methodE3ELS4_3ELS4_3ELNS0_20block_scan_algorithmE0ELj4294967295EEENS1_25partition_config_selectorILNS1_17partition_subalgoE4EjNS0_10empty_typeEbEEZZNS1_14partition_implILS8_4ELb0ES6_15HIP_vector_typeIjLj2EENS0_17counting_iteratorIjlEEPS9_SG_NS0_5tupleIJPjSI_NS0_16reverse_iteratorISI_EEEEENSH_IJSG_SG_SG_EEES9_SI_JZNS1_25segmented_radix_sort_implINS0_14default_configELb1EPKfPfPKlPlN2at6native12_GLOBAL__N_18offset_tEEE10hipError_tPvRmT1_PNSt15iterator_traitsIS12_E10value_typeET2_T3_PNS13_IS18_E10value_typeET4_jRbjT5_S1E_jjP12ihipStream_tbEUljE_ZNSN_ISO_Lb1ESQ_SR_ST_SU_SY_EESZ_S10_S11_S12_S16_S17_S18_S1B_S1C_jS1D_jS1E_S1E_jjS1G_bEUljE0_EEESZ_S10_S11_S18_S1C_S1E_T6_T7_T9_mT8_S1G_bDpT10_ENKUlT_T0_E_clISt17integral_constantIbLb0EES1T_IbLb1EEEEDaS1P_S1Q_EUlS1P_E_NS1_11comp_targetILNS1_3genE8ELNS1_11target_archE1030ELNS1_3gpuE2ELNS1_3repE0EEENS1_30default_config_static_selectorELNS0_4arch9wavefront6targetE1EEEvS12_ ; -- Begin function _ZN7rocprim17ROCPRIM_400000_NS6detail17trampoline_kernelINS0_13select_configILj256ELj13ELNS0_17block_load_methodE3ELS4_3ELS4_3ELNS0_20block_scan_algorithmE0ELj4294967295EEENS1_25partition_config_selectorILNS1_17partition_subalgoE4EjNS0_10empty_typeEbEEZZNS1_14partition_implILS8_4ELb0ES6_15HIP_vector_typeIjLj2EENS0_17counting_iteratorIjlEEPS9_SG_NS0_5tupleIJPjSI_NS0_16reverse_iteratorISI_EEEEENSH_IJSG_SG_SG_EEES9_SI_JZNS1_25segmented_radix_sort_implINS0_14default_configELb1EPKfPfPKlPlN2at6native12_GLOBAL__N_18offset_tEEE10hipError_tPvRmT1_PNSt15iterator_traitsIS12_E10value_typeET2_T3_PNS13_IS18_E10value_typeET4_jRbjT5_S1E_jjP12ihipStream_tbEUljE_ZNSN_ISO_Lb1ESQ_SR_ST_SU_SY_EESZ_S10_S11_S12_S16_S17_S18_S1B_S1C_jS1D_jS1E_S1E_jjS1G_bEUljE0_EEESZ_S10_S11_S18_S1C_S1E_T6_T7_T9_mT8_S1G_bDpT10_ENKUlT_T0_E_clISt17integral_constantIbLb0EES1T_IbLb1EEEEDaS1P_S1Q_EUlS1P_E_NS1_11comp_targetILNS1_3genE8ELNS1_11target_archE1030ELNS1_3gpuE2ELNS1_3repE0EEENS1_30default_config_static_selectorELNS0_4arch9wavefront6targetE1EEEvS12_
	.p2align	8
	.type	_ZN7rocprim17ROCPRIM_400000_NS6detail17trampoline_kernelINS0_13select_configILj256ELj13ELNS0_17block_load_methodE3ELS4_3ELS4_3ELNS0_20block_scan_algorithmE0ELj4294967295EEENS1_25partition_config_selectorILNS1_17partition_subalgoE4EjNS0_10empty_typeEbEEZZNS1_14partition_implILS8_4ELb0ES6_15HIP_vector_typeIjLj2EENS0_17counting_iteratorIjlEEPS9_SG_NS0_5tupleIJPjSI_NS0_16reverse_iteratorISI_EEEEENSH_IJSG_SG_SG_EEES9_SI_JZNS1_25segmented_radix_sort_implINS0_14default_configELb1EPKfPfPKlPlN2at6native12_GLOBAL__N_18offset_tEEE10hipError_tPvRmT1_PNSt15iterator_traitsIS12_E10value_typeET2_T3_PNS13_IS18_E10value_typeET4_jRbjT5_S1E_jjP12ihipStream_tbEUljE_ZNSN_ISO_Lb1ESQ_SR_ST_SU_SY_EESZ_S10_S11_S12_S16_S17_S18_S1B_S1C_jS1D_jS1E_S1E_jjS1G_bEUljE0_EEESZ_S10_S11_S18_S1C_S1E_T6_T7_T9_mT8_S1G_bDpT10_ENKUlT_T0_E_clISt17integral_constantIbLb0EES1T_IbLb1EEEEDaS1P_S1Q_EUlS1P_E_NS1_11comp_targetILNS1_3genE8ELNS1_11target_archE1030ELNS1_3gpuE2ELNS1_3repE0EEENS1_30default_config_static_selectorELNS0_4arch9wavefront6targetE1EEEvS12_,@function
_ZN7rocprim17ROCPRIM_400000_NS6detail17trampoline_kernelINS0_13select_configILj256ELj13ELNS0_17block_load_methodE3ELS4_3ELS4_3ELNS0_20block_scan_algorithmE0ELj4294967295EEENS1_25partition_config_selectorILNS1_17partition_subalgoE4EjNS0_10empty_typeEbEEZZNS1_14partition_implILS8_4ELb0ES6_15HIP_vector_typeIjLj2EENS0_17counting_iteratorIjlEEPS9_SG_NS0_5tupleIJPjSI_NS0_16reverse_iteratorISI_EEEEENSH_IJSG_SG_SG_EEES9_SI_JZNS1_25segmented_radix_sort_implINS0_14default_configELb1EPKfPfPKlPlN2at6native12_GLOBAL__N_18offset_tEEE10hipError_tPvRmT1_PNSt15iterator_traitsIS12_E10value_typeET2_T3_PNS13_IS18_E10value_typeET4_jRbjT5_S1E_jjP12ihipStream_tbEUljE_ZNSN_ISO_Lb1ESQ_SR_ST_SU_SY_EESZ_S10_S11_S12_S16_S17_S18_S1B_S1C_jS1D_jS1E_S1E_jjS1G_bEUljE0_EEESZ_S10_S11_S18_S1C_S1E_T6_T7_T9_mT8_S1G_bDpT10_ENKUlT_T0_E_clISt17integral_constantIbLb0EES1T_IbLb1EEEEDaS1P_S1Q_EUlS1P_E_NS1_11comp_targetILNS1_3genE8ELNS1_11target_archE1030ELNS1_3gpuE2ELNS1_3repE0EEENS1_30default_config_static_selectorELNS0_4arch9wavefront6targetE1EEEvS12_: ; @_ZN7rocprim17ROCPRIM_400000_NS6detail17trampoline_kernelINS0_13select_configILj256ELj13ELNS0_17block_load_methodE3ELS4_3ELS4_3ELNS0_20block_scan_algorithmE0ELj4294967295EEENS1_25partition_config_selectorILNS1_17partition_subalgoE4EjNS0_10empty_typeEbEEZZNS1_14partition_implILS8_4ELb0ES6_15HIP_vector_typeIjLj2EENS0_17counting_iteratorIjlEEPS9_SG_NS0_5tupleIJPjSI_NS0_16reverse_iteratorISI_EEEEENSH_IJSG_SG_SG_EEES9_SI_JZNS1_25segmented_radix_sort_implINS0_14default_configELb1EPKfPfPKlPlN2at6native12_GLOBAL__N_18offset_tEEE10hipError_tPvRmT1_PNSt15iterator_traitsIS12_E10value_typeET2_T3_PNS13_IS18_E10value_typeET4_jRbjT5_S1E_jjP12ihipStream_tbEUljE_ZNSN_ISO_Lb1ESQ_SR_ST_SU_SY_EESZ_S10_S11_S12_S16_S17_S18_S1B_S1C_jS1D_jS1E_S1E_jjS1G_bEUljE0_EEESZ_S10_S11_S18_S1C_S1E_T6_T7_T9_mT8_S1G_bDpT10_ENKUlT_T0_E_clISt17integral_constantIbLb0EES1T_IbLb1EEEEDaS1P_S1Q_EUlS1P_E_NS1_11comp_targetILNS1_3genE8ELNS1_11target_archE1030ELNS1_3gpuE2ELNS1_3repE0EEENS1_30default_config_static_selectorELNS0_4arch9wavefront6targetE1EEEvS12_
; %bb.0:
	.section	.rodata,"a",@progbits
	.p2align	6, 0x0
	.amdhsa_kernel _ZN7rocprim17ROCPRIM_400000_NS6detail17trampoline_kernelINS0_13select_configILj256ELj13ELNS0_17block_load_methodE3ELS4_3ELS4_3ELNS0_20block_scan_algorithmE0ELj4294967295EEENS1_25partition_config_selectorILNS1_17partition_subalgoE4EjNS0_10empty_typeEbEEZZNS1_14partition_implILS8_4ELb0ES6_15HIP_vector_typeIjLj2EENS0_17counting_iteratorIjlEEPS9_SG_NS0_5tupleIJPjSI_NS0_16reverse_iteratorISI_EEEEENSH_IJSG_SG_SG_EEES9_SI_JZNS1_25segmented_radix_sort_implINS0_14default_configELb1EPKfPfPKlPlN2at6native12_GLOBAL__N_18offset_tEEE10hipError_tPvRmT1_PNSt15iterator_traitsIS12_E10value_typeET2_T3_PNS13_IS18_E10value_typeET4_jRbjT5_S1E_jjP12ihipStream_tbEUljE_ZNSN_ISO_Lb1ESQ_SR_ST_SU_SY_EESZ_S10_S11_S12_S16_S17_S18_S1B_S1C_jS1D_jS1E_S1E_jjS1G_bEUljE0_EEESZ_S10_S11_S18_S1C_S1E_T6_T7_T9_mT8_S1G_bDpT10_ENKUlT_T0_E_clISt17integral_constantIbLb0EES1T_IbLb1EEEEDaS1P_S1Q_EUlS1P_E_NS1_11comp_targetILNS1_3genE8ELNS1_11target_archE1030ELNS1_3gpuE2ELNS1_3repE0EEENS1_30default_config_static_selectorELNS0_4arch9wavefront6targetE1EEEvS12_
		.amdhsa_group_segment_fixed_size 0
		.amdhsa_private_segment_fixed_size 0
		.amdhsa_kernarg_size 184
		.amdhsa_user_sgpr_count 6
		.amdhsa_user_sgpr_private_segment_buffer 1
		.amdhsa_user_sgpr_dispatch_ptr 0
		.amdhsa_user_sgpr_queue_ptr 0
		.amdhsa_user_sgpr_kernarg_segment_ptr 1
		.amdhsa_user_sgpr_dispatch_id 0
		.amdhsa_user_sgpr_flat_scratch_init 0
		.amdhsa_user_sgpr_kernarg_preload_length 0
		.amdhsa_user_sgpr_kernarg_preload_offset 0
		.amdhsa_user_sgpr_private_segment_size 0
		.amdhsa_uses_dynamic_stack 0
		.amdhsa_system_sgpr_private_segment_wavefront_offset 0
		.amdhsa_system_sgpr_workgroup_id_x 1
		.amdhsa_system_sgpr_workgroup_id_y 0
		.amdhsa_system_sgpr_workgroup_id_z 0
		.amdhsa_system_sgpr_workgroup_info 0
		.amdhsa_system_vgpr_workitem_id 0
		.amdhsa_next_free_vgpr 1
		.amdhsa_next_free_sgpr 0
		.amdhsa_accum_offset 4
		.amdhsa_reserve_vcc 0
		.amdhsa_reserve_flat_scratch 0
		.amdhsa_float_round_mode_32 0
		.amdhsa_float_round_mode_16_64 0
		.amdhsa_float_denorm_mode_32 3
		.amdhsa_float_denorm_mode_16_64 3
		.amdhsa_dx10_clamp 1
		.amdhsa_ieee_mode 1
		.amdhsa_fp16_overflow 0
		.amdhsa_tg_split 0
		.amdhsa_exception_fp_ieee_invalid_op 0
		.amdhsa_exception_fp_denorm_src 0
		.amdhsa_exception_fp_ieee_div_zero 0
		.amdhsa_exception_fp_ieee_overflow 0
		.amdhsa_exception_fp_ieee_underflow 0
		.amdhsa_exception_fp_ieee_inexact 0
		.amdhsa_exception_int_div_zero 0
	.end_amdhsa_kernel
	.section	.text._ZN7rocprim17ROCPRIM_400000_NS6detail17trampoline_kernelINS0_13select_configILj256ELj13ELNS0_17block_load_methodE3ELS4_3ELS4_3ELNS0_20block_scan_algorithmE0ELj4294967295EEENS1_25partition_config_selectorILNS1_17partition_subalgoE4EjNS0_10empty_typeEbEEZZNS1_14partition_implILS8_4ELb0ES6_15HIP_vector_typeIjLj2EENS0_17counting_iteratorIjlEEPS9_SG_NS0_5tupleIJPjSI_NS0_16reverse_iteratorISI_EEEEENSH_IJSG_SG_SG_EEES9_SI_JZNS1_25segmented_radix_sort_implINS0_14default_configELb1EPKfPfPKlPlN2at6native12_GLOBAL__N_18offset_tEEE10hipError_tPvRmT1_PNSt15iterator_traitsIS12_E10value_typeET2_T3_PNS13_IS18_E10value_typeET4_jRbjT5_S1E_jjP12ihipStream_tbEUljE_ZNSN_ISO_Lb1ESQ_SR_ST_SU_SY_EESZ_S10_S11_S12_S16_S17_S18_S1B_S1C_jS1D_jS1E_S1E_jjS1G_bEUljE0_EEESZ_S10_S11_S18_S1C_S1E_T6_T7_T9_mT8_S1G_bDpT10_ENKUlT_T0_E_clISt17integral_constantIbLb0EES1T_IbLb1EEEEDaS1P_S1Q_EUlS1P_E_NS1_11comp_targetILNS1_3genE8ELNS1_11target_archE1030ELNS1_3gpuE2ELNS1_3repE0EEENS1_30default_config_static_selectorELNS0_4arch9wavefront6targetE1EEEvS12_,"axG",@progbits,_ZN7rocprim17ROCPRIM_400000_NS6detail17trampoline_kernelINS0_13select_configILj256ELj13ELNS0_17block_load_methodE3ELS4_3ELS4_3ELNS0_20block_scan_algorithmE0ELj4294967295EEENS1_25partition_config_selectorILNS1_17partition_subalgoE4EjNS0_10empty_typeEbEEZZNS1_14partition_implILS8_4ELb0ES6_15HIP_vector_typeIjLj2EENS0_17counting_iteratorIjlEEPS9_SG_NS0_5tupleIJPjSI_NS0_16reverse_iteratorISI_EEEEENSH_IJSG_SG_SG_EEES9_SI_JZNS1_25segmented_radix_sort_implINS0_14default_configELb1EPKfPfPKlPlN2at6native12_GLOBAL__N_18offset_tEEE10hipError_tPvRmT1_PNSt15iterator_traitsIS12_E10value_typeET2_T3_PNS13_IS18_E10value_typeET4_jRbjT5_S1E_jjP12ihipStream_tbEUljE_ZNSN_ISO_Lb1ESQ_SR_ST_SU_SY_EESZ_S10_S11_S12_S16_S17_S18_S1B_S1C_jS1D_jS1E_S1E_jjS1G_bEUljE0_EEESZ_S10_S11_S18_S1C_S1E_T6_T7_T9_mT8_S1G_bDpT10_ENKUlT_T0_E_clISt17integral_constantIbLb0EES1T_IbLb1EEEEDaS1P_S1Q_EUlS1P_E_NS1_11comp_targetILNS1_3genE8ELNS1_11target_archE1030ELNS1_3gpuE2ELNS1_3repE0EEENS1_30default_config_static_selectorELNS0_4arch9wavefront6targetE1EEEvS12_,comdat
.Lfunc_end1290:
	.size	_ZN7rocprim17ROCPRIM_400000_NS6detail17trampoline_kernelINS0_13select_configILj256ELj13ELNS0_17block_load_methodE3ELS4_3ELS4_3ELNS0_20block_scan_algorithmE0ELj4294967295EEENS1_25partition_config_selectorILNS1_17partition_subalgoE4EjNS0_10empty_typeEbEEZZNS1_14partition_implILS8_4ELb0ES6_15HIP_vector_typeIjLj2EENS0_17counting_iteratorIjlEEPS9_SG_NS0_5tupleIJPjSI_NS0_16reverse_iteratorISI_EEEEENSH_IJSG_SG_SG_EEES9_SI_JZNS1_25segmented_radix_sort_implINS0_14default_configELb1EPKfPfPKlPlN2at6native12_GLOBAL__N_18offset_tEEE10hipError_tPvRmT1_PNSt15iterator_traitsIS12_E10value_typeET2_T3_PNS13_IS18_E10value_typeET4_jRbjT5_S1E_jjP12ihipStream_tbEUljE_ZNSN_ISO_Lb1ESQ_SR_ST_SU_SY_EESZ_S10_S11_S12_S16_S17_S18_S1B_S1C_jS1D_jS1E_S1E_jjS1G_bEUljE0_EEESZ_S10_S11_S18_S1C_S1E_T6_T7_T9_mT8_S1G_bDpT10_ENKUlT_T0_E_clISt17integral_constantIbLb0EES1T_IbLb1EEEEDaS1P_S1Q_EUlS1P_E_NS1_11comp_targetILNS1_3genE8ELNS1_11target_archE1030ELNS1_3gpuE2ELNS1_3repE0EEENS1_30default_config_static_selectorELNS0_4arch9wavefront6targetE1EEEvS12_, .Lfunc_end1290-_ZN7rocprim17ROCPRIM_400000_NS6detail17trampoline_kernelINS0_13select_configILj256ELj13ELNS0_17block_load_methodE3ELS4_3ELS4_3ELNS0_20block_scan_algorithmE0ELj4294967295EEENS1_25partition_config_selectorILNS1_17partition_subalgoE4EjNS0_10empty_typeEbEEZZNS1_14partition_implILS8_4ELb0ES6_15HIP_vector_typeIjLj2EENS0_17counting_iteratorIjlEEPS9_SG_NS0_5tupleIJPjSI_NS0_16reverse_iteratorISI_EEEEENSH_IJSG_SG_SG_EEES9_SI_JZNS1_25segmented_radix_sort_implINS0_14default_configELb1EPKfPfPKlPlN2at6native12_GLOBAL__N_18offset_tEEE10hipError_tPvRmT1_PNSt15iterator_traitsIS12_E10value_typeET2_T3_PNS13_IS18_E10value_typeET4_jRbjT5_S1E_jjP12ihipStream_tbEUljE_ZNSN_ISO_Lb1ESQ_SR_ST_SU_SY_EESZ_S10_S11_S12_S16_S17_S18_S1B_S1C_jS1D_jS1E_S1E_jjS1G_bEUljE0_EEESZ_S10_S11_S18_S1C_S1E_T6_T7_T9_mT8_S1G_bDpT10_ENKUlT_T0_E_clISt17integral_constantIbLb0EES1T_IbLb1EEEEDaS1P_S1Q_EUlS1P_E_NS1_11comp_targetILNS1_3genE8ELNS1_11target_archE1030ELNS1_3gpuE2ELNS1_3repE0EEENS1_30default_config_static_selectorELNS0_4arch9wavefront6targetE1EEEvS12_
                                        ; -- End function
	.section	.AMDGPU.csdata,"",@progbits
; Kernel info:
; codeLenInByte = 0
; NumSgprs: 4
; NumVgprs: 0
; NumAgprs: 0
; TotalNumVgprs: 0
; ScratchSize: 0
; MemoryBound: 0
; FloatMode: 240
; IeeeMode: 1
; LDSByteSize: 0 bytes/workgroup (compile time only)
; SGPRBlocks: 0
; VGPRBlocks: 0
; NumSGPRsForWavesPerEU: 4
; NumVGPRsForWavesPerEU: 1
; AccumOffset: 4
; Occupancy: 8
; WaveLimiterHint : 0
; COMPUTE_PGM_RSRC2:SCRATCH_EN: 0
; COMPUTE_PGM_RSRC2:USER_SGPR: 6
; COMPUTE_PGM_RSRC2:TRAP_HANDLER: 0
; COMPUTE_PGM_RSRC2:TGID_X_EN: 1
; COMPUTE_PGM_RSRC2:TGID_Y_EN: 0
; COMPUTE_PGM_RSRC2:TGID_Z_EN: 0
; COMPUTE_PGM_RSRC2:TIDIG_COMP_CNT: 0
; COMPUTE_PGM_RSRC3_GFX90A:ACCUM_OFFSET: 0
; COMPUTE_PGM_RSRC3_GFX90A:TG_SPLIT: 0
	.section	.text._ZN7rocprim17ROCPRIM_400000_NS6detail17trampoline_kernelINS0_13select_configILj256ELj13ELNS0_17block_load_methodE3ELS4_3ELS4_3ELNS0_20block_scan_algorithmE0ELj4294967295EEENS1_25partition_config_selectorILNS1_17partition_subalgoE3EjNS0_10empty_typeEbEEZZNS1_14partition_implILS8_3ELb0ES6_jNS0_17counting_iteratorIjlEEPS9_SE_NS0_5tupleIJPjSE_EEENSF_IJSE_SE_EEES9_SG_JZNS1_25segmented_radix_sort_implINS0_14default_configELb1EPKfPfPKlPlN2at6native12_GLOBAL__N_18offset_tEEE10hipError_tPvRmT1_PNSt15iterator_traitsISY_E10value_typeET2_T3_PNSZ_IS14_E10value_typeET4_jRbjT5_S1A_jjP12ihipStream_tbEUljE_EEESV_SW_SX_S14_S18_S1A_T6_T7_T9_mT8_S1C_bDpT10_ENKUlT_T0_E_clISt17integral_constantIbLb0EES1P_EEDaS1K_S1L_EUlS1K_E_NS1_11comp_targetILNS1_3genE0ELNS1_11target_archE4294967295ELNS1_3gpuE0ELNS1_3repE0EEENS1_30default_config_static_selectorELNS0_4arch9wavefront6targetE1EEEvSY_,"axG",@progbits,_ZN7rocprim17ROCPRIM_400000_NS6detail17trampoline_kernelINS0_13select_configILj256ELj13ELNS0_17block_load_methodE3ELS4_3ELS4_3ELNS0_20block_scan_algorithmE0ELj4294967295EEENS1_25partition_config_selectorILNS1_17partition_subalgoE3EjNS0_10empty_typeEbEEZZNS1_14partition_implILS8_3ELb0ES6_jNS0_17counting_iteratorIjlEEPS9_SE_NS0_5tupleIJPjSE_EEENSF_IJSE_SE_EEES9_SG_JZNS1_25segmented_radix_sort_implINS0_14default_configELb1EPKfPfPKlPlN2at6native12_GLOBAL__N_18offset_tEEE10hipError_tPvRmT1_PNSt15iterator_traitsISY_E10value_typeET2_T3_PNSZ_IS14_E10value_typeET4_jRbjT5_S1A_jjP12ihipStream_tbEUljE_EEESV_SW_SX_S14_S18_S1A_T6_T7_T9_mT8_S1C_bDpT10_ENKUlT_T0_E_clISt17integral_constantIbLb0EES1P_EEDaS1K_S1L_EUlS1K_E_NS1_11comp_targetILNS1_3genE0ELNS1_11target_archE4294967295ELNS1_3gpuE0ELNS1_3repE0EEENS1_30default_config_static_selectorELNS0_4arch9wavefront6targetE1EEEvSY_,comdat
	.globl	_ZN7rocprim17ROCPRIM_400000_NS6detail17trampoline_kernelINS0_13select_configILj256ELj13ELNS0_17block_load_methodE3ELS4_3ELS4_3ELNS0_20block_scan_algorithmE0ELj4294967295EEENS1_25partition_config_selectorILNS1_17partition_subalgoE3EjNS0_10empty_typeEbEEZZNS1_14partition_implILS8_3ELb0ES6_jNS0_17counting_iteratorIjlEEPS9_SE_NS0_5tupleIJPjSE_EEENSF_IJSE_SE_EEES9_SG_JZNS1_25segmented_radix_sort_implINS0_14default_configELb1EPKfPfPKlPlN2at6native12_GLOBAL__N_18offset_tEEE10hipError_tPvRmT1_PNSt15iterator_traitsISY_E10value_typeET2_T3_PNSZ_IS14_E10value_typeET4_jRbjT5_S1A_jjP12ihipStream_tbEUljE_EEESV_SW_SX_S14_S18_S1A_T6_T7_T9_mT8_S1C_bDpT10_ENKUlT_T0_E_clISt17integral_constantIbLb0EES1P_EEDaS1K_S1L_EUlS1K_E_NS1_11comp_targetILNS1_3genE0ELNS1_11target_archE4294967295ELNS1_3gpuE0ELNS1_3repE0EEENS1_30default_config_static_selectorELNS0_4arch9wavefront6targetE1EEEvSY_ ; -- Begin function _ZN7rocprim17ROCPRIM_400000_NS6detail17trampoline_kernelINS0_13select_configILj256ELj13ELNS0_17block_load_methodE3ELS4_3ELS4_3ELNS0_20block_scan_algorithmE0ELj4294967295EEENS1_25partition_config_selectorILNS1_17partition_subalgoE3EjNS0_10empty_typeEbEEZZNS1_14partition_implILS8_3ELb0ES6_jNS0_17counting_iteratorIjlEEPS9_SE_NS0_5tupleIJPjSE_EEENSF_IJSE_SE_EEES9_SG_JZNS1_25segmented_radix_sort_implINS0_14default_configELb1EPKfPfPKlPlN2at6native12_GLOBAL__N_18offset_tEEE10hipError_tPvRmT1_PNSt15iterator_traitsISY_E10value_typeET2_T3_PNSZ_IS14_E10value_typeET4_jRbjT5_S1A_jjP12ihipStream_tbEUljE_EEESV_SW_SX_S14_S18_S1A_T6_T7_T9_mT8_S1C_bDpT10_ENKUlT_T0_E_clISt17integral_constantIbLb0EES1P_EEDaS1K_S1L_EUlS1K_E_NS1_11comp_targetILNS1_3genE0ELNS1_11target_archE4294967295ELNS1_3gpuE0ELNS1_3repE0EEENS1_30default_config_static_selectorELNS0_4arch9wavefront6targetE1EEEvSY_
	.p2align	8
	.type	_ZN7rocprim17ROCPRIM_400000_NS6detail17trampoline_kernelINS0_13select_configILj256ELj13ELNS0_17block_load_methodE3ELS4_3ELS4_3ELNS0_20block_scan_algorithmE0ELj4294967295EEENS1_25partition_config_selectorILNS1_17partition_subalgoE3EjNS0_10empty_typeEbEEZZNS1_14partition_implILS8_3ELb0ES6_jNS0_17counting_iteratorIjlEEPS9_SE_NS0_5tupleIJPjSE_EEENSF_IJSE_SE_EEES9_SG_JZNS1_25segmented_radix_sort_implINS0_14default_configELb1EPKfPfPKlPlN2at6native12_GLOBAL__N_18offset_tEEE10hipError_tPvRmT1_PNSt15iterator_traitsISY_E10value_typeET2_T3_PNSZ_IS14_E10value_typeET4_jRbjT5_S1A_jjP12ihipStream_tbEUljE_EEESV_SW_SX_S14_S18_S1A_T6_T7_T9_mT8_S1C_bDpT10_ENKUlT_T0_E_clISt17integral_constantIbLb0EES1P_EEDaS1K_S1L_EUlS1K_E_NS1_11comp_targetILNS1_3genE0ELNS1_11target_archE4294967295ELNS1_3gpuE0ELNS1_3repE0EEENS1_30default_config_static_selectorELNS0_4arch9wavefront6targetE1EEEvSY_,@function
_ZN7rocprim17ROCPRIM_400000_NS6detail17trampoline_kernelINS0_13select_configILj256ELj13ELNS0_17block_load_methodE3ELS4_3ELS4_3ELNS0_20block_scan_algorithmE0ELj4294967295EEENS1_25partition_config_selectorILNS1_17partition_subalgoE3EjNS0_10empty_typeEbEEZZNS1_14partition_implILS8_3ELb0ES6_jNS0_17counting_iteratorIjlEEPS9_SE_NS0_5tupleIJPjSE_EEENSF_IJSE_SE_EEES9_SG_JZNS1_25segmented_radix_sort_implINS0_14default_configELb1EPKfPfPKlPlN2at6native12_GLOBAL__N_18offset_tEEE10hipError_tPvRmT1_PNSt15iterator_traitsISY_E10value_typeET2_T3_PNSZ_IS14_E10value_typeET4_jRbjT5_S1A_jjP12ihipStream_tbEUljE_EEESV_SW_SX_S14_S18_S1A_T6_T7_T9_mT8_S1C_bDpT10_ENKUlT_T0_E_clISt17integral_constantIbLb0EES1P_EEDaS1K_S1L_EUlS1K_E_NS1_11comp_targetILNS1_3genE0ELNS1_11target_archE4294967295ELNS1_3gpuE0ELNS1_3repE0EEENS1_30default_config_static_selectorELNS0_4arch9wavefront6targetE1EEEvSY_: ; @_ZN7rocprim17ROCPRIM_400000_NS6detail17trampoline_kernelINS0_13select_configILj256ELj13ELNS0_17block_load_methodE3ELS4_3ELS4_3ELNS0_20block_scan_algorithmE0ELj4294967295EEENS1_25partition_config_selectorILNS1_17partition_subalgoE3EjNS0_10empty_typeEbEEZZNS1_14partition_implILS8_3ELb0ES6_jNS0_17counting_iteratorIjlEEPS9_SE_NS0_5tupleIJPjSE_EEENSF_IJSE_SE_EEES9_SG_JZNS1_25segmented_radix_sort_implINS0_14default_configELb1EPKfPfPKlPlN2at6native12_GLOBAL__N_18offset_tEEE10hipError_tPvRmT1_PNSt15iterator_traitsISY_E10value_typeET2_T3_PNSZ_IS14_E10value_typeET4_jRbjT5_S1A_jjP12ihipStream_tbEUljE_EEESV_SW_SX_S14_S18_S1A_T6_T7_T9_mT8_S1C_bDpT10_ENKUlT_T0_E_clISt17integral_constantIbLb0EES1P_EEDaS1K_S1L_EUlS1K_E_NS1_11comp_targetILNS1_3genE0ELNS1_11target_archE4294967295ELNS1_3gpuE0ELNS1_3repE0EEENS1_30default_config_static_selectorELNS0_4arch9wavefront6targetE1EEEvSY_
; %bb.0:
	.section	.rodata,"a",@progbits
	.p2align	6, 0x0
	.amdhsa_kernel _ZN7rocprim17ROCPRIM_400000_NS6detail17trampoline_kernelINS0_13select_configILj256ELj13ELNS0_17block_load_methodE3ELS4_3ELS4_3ELNS0_20block_scan_algorithmE0ELj4294967295EEENS1_25partition_config_selectorILNS1_17partition_subalgoE3EjNS0_10empty_typeEbEEZZNS1_14partition_implILS8_3ELb0ES6_jNS0_17counting_iteratorIjlEEPS9_SE_NS0_5tupleIJPjSE_EEENSF_IJSE_SE_EEES9_SG_JZNS1_25segmented_radix_sort_implINS0_14default_configELb1EPKfPfPKlPlN2at6native12_GLOBAL__N_18offset_tEEE10hipError_tPvRmT1_PNSt15iterator_traitsISY_E10value_typeET2_T3_PNSZ_IS14_E10value_typeET4_jRbjT5_S1A_jjP12ihipStream_tbEUljE_EEESV_SW_SX_S14_S18_S1A_T6_T7_T9_mT8_S1C_bDpT10_ENKUlT_T0_E_clISt17integral_constantIbLb0EES1P_EEDaS1K_S1L_EUlS1K_E_NS1_11comp_targetILNS1_3genE0ELNS1_11target_archE4294967295ELNS1_3gpuE0ELNS1_3repE0EEENS1_30default_config_static_selectorELNS0_4arch9wavefront6targetE1EEEvSY_
		.amdhsa_group_segment_fixed_size 0
		.amdhsa_private_segment_fixed_size 0
		.amdhsa_kernarg_size 144
		.amdhsa_user_sgpr_count 6
		.amdhsa_user_sgpr_private_segment_buffer 1
		.amdhsa_user_sgpr_dispatch_ptr 0
		.amdhsa_user_sgpr_queue_ptr 0
		.amdhsa_user_sgpr_kernarg_segment_ptr 1
		.amdhsa_user_sgpr_dispatch_id 0
		.amdhsa_user_sgpr_flat_scratch_init 0
		.amdhsa_user_sgpr_kernarg_preload_length 0
		.amdhsa_user_sgpr_kernarg_preload_offset 0
		.amdhsa_user_sgpr_private_segment_size 0
		.amdhsa_uses_dynamic_stack 0
		.amdhsa_system_sgpr_private_segment_wavefront_offset 0
		.amdhsa_system_sgpr_workgroup_id_x 1
		.amdhsa_system_sgpr_workgroup_id_y 0
		.amdhsa_system_sgpr_workgroup_id_z 0
		.amdhsa_system_sgpr_workgroup_info 0
		.amdhsa_system_vgpr_workitem_id 0
		.amdhsa_next_free_vgpr 1
		.amdhsa_next_free_sgpr 0
		.amdhsa_accum_offset 4
		.amdhsa_reserve_vcc 0
		.amdhsa_reserve_flat_scratch 0
		.amdhsa_float_round_mode_32 0
		.amdhsa_float_round_mode_16_64 0
		.amdhsa_float_denorm_mode_32 3
		.amdhsa_float_denorm_mode_16_64 3
		.amdhsa_dx10_clamp 1
		.amdhsa_ieee_mode 1
		.amdhsa_fp16_overflow 0
		.amdhsa_tg_split 0
		.amdhsa_exception_fp_ieee_invalid_op 0
		.amdhsa_exception_fp_denorm_src 0
		.amdhsa_exception_fp_ieee_div_zero 0
		.amdhsa_exception_fp_ieee_overflow 0
		.amdhsa_exception_fp_ieee_underflow 0
		.amdhsa_exception_fp_ieee_inexact 0
		.amdhsa_exception_int_div_zero 0
	.end_amdhsa_kernel
	.section	.text._ZN7rocprim17ROCPRIM_400000_NS6detail17trampoline_kernelINS0_13select_configILj256ELj13ELNS0_17block_load_methodE3ELS4_3ELS4_3ELNS0_20block_scan_algorithmE0ELj4294967295EEENS1_25partition_config_selectorILNS1_17partition_subalgoE3EjNS0_10empty_typeEbEEZZNS1_14partition_implILS8_3ELb0ES6_jNS0_17counting_iteratorIjlEEPS9_SE_NS0_5tupleIJPjSE_EEENSF_IJSE_SE_EEES9_SG_JZNS1_25segmented_radix_sort_implINS0_14default_configELb1EPKfPfPKlPlN2at6native12_GLOBAL__N_18offset_tEEE10hipError_tPvRmT1_PNSt15iterator_traitsISY_E10value_typeET2_T3_PNSZ_IS14_E10value_typeET4_jRbjT5_S1A_jjP12ihipStream_tbEUljE_EEESV_SW_SX_S14_S18_S1A_T6_T7_T9_mT8_S1C_bDpT10_ENKUlT_T0_E_clISt17integral_constantIbLb0EES1P_EEDaS1K_S1L_EUlS1K_E_NS1_11comp_targetILNS1_3genE0ELNS1_11target_archE4294967295ELNS1_3gpuE0ELNS1_3repE0EEENS1_30default_config_static_selectorELNS0_4arch9wavefront6targetE1EEEvSY_,"axG",@progbits,_ZN7rocprim17ROCPRIM_400000_NS6detail17trampoline_kernelINS0_13select_configILj256ELj13ELNS0_17block_load_methodE3ELS4_3ELS4_3ELNS0_20block_scan_algorithmE0ELj4294967295EEENS1_25partition_config_selectorILNS1_17partition_subalgoE3EjNS0_10empty_typeEbEEZZNS1_14partition_implILS8_3ELb0ES6_jNS0_17counting_iteratorIjlEEPS9_SE_NS0_5tupleIJPjSE_EEENSF_IJSE_SE_EEES9_SG_JZNS1_25segmented_radix_sort_implINS0_14default_configELb1EPKfPfPKlPlN2at6native12_GLOBAL__N_18offset_tEEE10hipError_tPvRmT1_PNSt15iterator_traitsISY_E10value_typeET2_T3_PNSZ_IS14_E10value_typeET4_jRbjT5_S1A_jjP12ihipStream_tbEUljE_EEESV_SW_SX_S14_S18_S1A_T6_T7_T9_mT8_S1C_bDpT10_ENKUlT_T0_E_clISt17integral_constantIbLb0EES1P_EEDaS1K_S1L_EUlS1K_E_NS1_11comp_targetILNS1_3genE0ELNS1_11target_archE4294967295ELNS1_3gpuE0ELNS1_3repE0EEENS1_30default_config_static_selectorELNS0_4arch9wavefront6targetE1EEEvSY_,comdat
.Lfunc_end1291:
	.size	_ZN7rocprim17ROCPRIM_400000_NS6detail17trampoline_kernelINS0_13select_configILj256ELj13ELNS0_17block_load_methodE3ELS4_3ELS4_3ELNS0_20block_scan_algorithmE0ELj4294967295EEENS1_25partition_config_selectorILNS1_17partition_subalgoE3EjNS0_10empty_typeEbEEZZNS1_14partition_implILS8_3ELb0ES6_jNS0_17counting_iteratorIjlEEPS9_SE_NS0_5tupleIJPjSE_EEENSF_IJSE_SE_EEES9_SG_JZNS1_25segmented_radix_sort_implINS0_14default_configELb1EPKfPfPKlPlN2at6native12_GLOBAL__N_18offset_tEEE10hipError_tPvRmT1_PNSt15iterator_traitsISY_E10value_typeET2_T3_PNSZ_IS14_E10value_typeET4_jRbjT5_S1A_jjP12ihipStream_tbEUljE_EEESV_SW_SX_S14_S18_S1A_T6_T7_T9_mT8_S1C_bDpT10_ENKUlT_T0_E_clISt17integral_constantIbLb0EES1P_EEDaS1K_S1L_EUlS1K_E_NS1_11comp_targetILNS1_3genE0ELNS1_11target_archE4294967295ELNS1_3gpuE0ELNS1_3repE0EEENS1_30default_config_static_selectorELNS0_4arch9wavefront6targetE1EEEvSY_, .Lfunc_end1291-_ZN7rocprim17ROCPRIM_400000_NS6detail17trampoline_kernelINS0_13select_configILj256ELj13ELNS0_17block_load_methodE3ELS4_3ELS4_3ELNS0_20block_scan_algorithmE0ELj4294967295EEENS1_25partition_config_selectorILNS1_17partition_subalgoE3EjNS0_10empty_typeEbEEZZNS1_14partition_implILS8_3ELb0ES6_jNS0_17counting_iteratorIjlEEPS9_SE_NS0_5tupleIJPjSE_EEENSF_IJSE_SE_EEES9_SG_JZNS1_25segmented_radix_sort_implINS0_14default_configELb1EPKfPfPKlPlN2at6native12_GLOBAL__N_18offset_tEEE10hipError_tPvRmT1_PNSt15iterator_traitsISY_E10value_typeET2_T3_PNSZ_IS14_E10value_typeET4_jRbjT5_S1A_jjP12ihipStream_tbEUljE_EEESV_SW_SX_S14_S18_S1A_T6_T7_T9_mT8_S1C_bDpT10_ENKUlT_T0_E_clISt17integral_constantIbLb0EES1P_EEDaS1K_S1L_EUlS1K_E_NS1_11comp_targetILNS1_3genE0ELNS1_11target_archE4294967295ELNS1_3gpuE0ELNS1_3repE0EEENS1_30default_config_static_selectorELNS0_4arch9wavefront6targetE1EEEvSY_
                                        ; -- End function
	.section	.AMDGPU.csdata,"",@progbits
; Kernel info:
; codeLenInByte = 0
; NumSgprs: 4
; NumVgprs: 0
; NumAgprs: 0
; TotalNumVgprs: 0
; ScratchSize: 0
; MemoryBound: 0
; FloatMode: 240
; IeeeMode: 1
; LDSByteSize: 0 bytes/workgroup (compile time only)
; SGPRBlocks: 0
; VGPRBlocks: 0
; NumSGPRsForWavesPerEU: 4
; NumVGPRsForWavesPerEU: 1
; AccumOffset: 4
; Occupancy: 8
; WaveLimiterHint : 0
; COMPUTE_PGM_RSRC2:SCRATCH_EN: 0
; COMPUTE_PGM_RSRC2:USER_SGPR: 6
; COMPUTE_PGM_RSRC2:TRAP_HANDLER: 0
; COMPUTE_PGM_RSRC2:TGID_X_EN: 1
; COMPUTE_PGM_RSRC2:TGID_Y_EN: 0
; COMPUTE_PGM_RSRC2:TGID_Z_EN: 0
; COMPUTE_PGM_RSRC2:TIDIG_COMP_CNT: 0
; COMPUTE_PGM_RSRC3_GFX90A:ACCUM_OFFSET: 0
; COMPUTE_PGM_RSRC3_GFX90A:TG_SPLIT: 0
	.section	.text._ZN7rocprim17ROCPRIM_400000_NS6detail17trampoline_kernelINS0_13select_configILj256ELj13ELNS0_17block_load_methodE3ELS4_3ELS4_3ELNS0_20block_scan_algorithmE0ELj4294967295EEENS1_25partition_config_selectorILNS1_17partition_subalgoE3EjNS0_10empty_typeEbEEZZNS1_14partition_implILS8_3ELb0ES6_jNS0_17counting_iteratorIjlEEPS9_SE_NS0_5tupleIJPjSE_EEENSF_IJSE_SE_EEES9_SG_JZNS1_25segmented_radix_sort_implINS0_14default_configELb1EPKfPfPKlPlN2at6native12_GLOBAL__N_18offset_tEEE10hipError_tPvRmT1_PNSt15iterator_traitsISY_E10value_typeET2_T3_PNSZ_IS14_E10value_typeET4_jRbjT5_S1A_jjP12ihipStream_tbEUljE_EEESV_SW_SX_S14_S18_S1A_T6_T7_T9_mT8_S1C_bDpT10_ENKUlT_T0_E_clISt17integral_constantIbLb0EES1P_EEDaS1K_S1L_EUlS1K_E_NS1_11comp_targetILNS1_3genE5ELNS1_11target_archE942ELNS1_3gpuE9ELNS1_3repE0EEENS1_30default_config_static_selectorELNS0_4arch9wavefront6targetE1EEEvSY_,"axG",@progbits,_ZN7rocprim17ROCPRIM_400000_NS6detail17trampoline_kernelINS0_13select_configILj256ELj13ELNS0_17block_load_methodE3ELS4_3ELS4_3ELNS0_20block_scan_algorithmE0ELj4294967295EEENS1_25partition_config_selectorILNS1_17partition_subalgoE3EjNS0_10empty_typeEbEEZZNS1_14partition_implILS8_3ELb0ES6_jNS0_17counting_iteratorIjlEEPS9_SE_NS0_5tupleIJPjSE_EEENSF_IJSE_SE_EEES9_SG_JZNS1_25segmented_radix_sort_implINS0_14default_configELb1EPKfPfPKlPlN2at6native12_GLOBAL__N_18offset_tEEE10hipError_tPvRmT1_PNSt15iterator_traitsISY_E10value_typeET2_T3_PNSZ_IS14_E10value_typeET4_jRbjT5_S1A_jjP12ihipStream_tbEUljE_EEESV_SW_SX_S14_S18_S1A_T6_T7_T9_mT8_S1C_bDpT10_ENKUlT_T0_E_clISt17integral_constantIbLb0EES1P_EEDaS1K_S1L_EUlS1K_E_NS1_11comp_targetILNS1_3genE5ELNS1_11target_archE942ELNS1_3gpuE9ELNS1_3repE0EEENS1_30default_config_static_selectorELNS0_4arch9wavefront6targetE1EEEvSY_,comdat
	.globl	_ZN7rocprim17ROCPRIM_400000_NS6detail17trampoline_kernelINS0_13select_configILj256ELj13ELNS0_17block_load_methodE3ELS4_3ELS4_3ELNS0_20block_scan_algorithmE0ELj4294967295EEENS1_25partition_config_selectorILNS1_17partition_subalgoE3EjNS0_10empty_typeEbEEZZNS1_14partition_implILS8_3ELb0ES6_jNS0_17counting_iteratorIjlEEPS9_SE_NS0_5tupleIJPjSE_EEENSF_IJSE_SE_EEES9_SG_JZNS1_25segmented_radix_sort_implINS0_14default_configELb1EPKfPfPKlPlN2at6native12_GLOBAL__N_18offset_tEEE10hipError_tPvRmT1_PNSt15iterator_traitsISY_E10value_typeET2_T3_PNSZ_IS14_E10value_typeET4_jRbjT5_S1A_jjP12ihipStream_tbEUljE_EEESV_SW_SX_S14_S18_S1A_T6_T7_T9_mT8_S1C_bDpT10_ENKUlT_T0_E_clISt17integral_constantIbLb0EES1P_EEDaS1K_S1L_EUlS1K_E_NS1_11comp_targetILNS1_3genE5ELNS1_11target_archE942ELNS1_3gpuE9ELNS1_3repE0EEENS1_30default_config_static_selectorELNS0_4arch9wavefront6targetE1EEEvSY_ ; -- Begin function _ZN7rocprim17ROCPRIM_400000_NS6detail17trampoline_kernelINS0_13select_configILj256ELj13ELNS0_17block_load_methodE3ELS4_3ELS4_3ELNS0_20block_scan_algorithmE0ELj4294967295EEENS1_25partition_config_selectorILNS1_17partition_subalgoE3EjNS0_10empty_typeEbEEZZNS1_14partition_implILS8_3ELb0ES6_jNS0_17counting_iteratorIjlEEPS9_SE_NS0_5tupleIJPjSE_EEENSF_IJSE_SE_EEES9_SG_JZNS1_25segmented_radix_sort_implINS0_14default_configELb1EPKfPfPKlPlN2at6native12_GLOBAL__N_18offset_tEEE10hipError_tPvRmT1_PNSt15iterator_traitsISY_E10value_typeET2_T3_PNSZ_IS14_E10value_typeET4_jRbjT5_S1A_jjP12ihipStream_tbEUljE_EEESV_SW_SX_S14_S18_S1A_T6_T7_T9_mT8_S1C_bDpT10_ENKUlT_T0_E_clISt17integral_constantIbLb0EES1P_EEDaS1K_S1L_EUlS1K_E_NS1_11comp_targetILNS1_3genE5ELNS1_11target_archE942ELNS1_3gpuE9ELNS1_3repE0EEENS1_30default_config_static_selectorELNS0_4arch9wavefront6targetE1EEEvSY_
	.p2align	8
	.type	_ZN7rocprim17ROCPRIM_400000_NS6detail17trampoline_kernelINS0_13select_configILj256ELj13ELNS0_17block_load_methodE3ELS4_3ELS4_3ELNS0_20block_scan_algorithmE0ELj4294967295EEENS1_25partition_config_selectorILNS1_17partition_subalgoE3EjNS0_10empty_typeEbEEZZNS1_14partition_implILS8_3ELb0ES6_jNS0_17counting_iteratorIjlEEPS9_SE_NS0_5tupleIJPjSE_EEENSF_IJSE_SE_EEES9_SG_JZNS1_25segmented_radix_sort_implINS0_14default_configELb1EPKfPfPKlPlN2at6native12_GLOBAL__N_18offset_tEEE10hipError_tPvRmT1_PNSt15iterator_traitsISY_E10value_typeET2_T3_PNSZ_IS14_E10value_typeET4_jRbjT5_S1A_jjP12ihipStream_tbEUljE_EEESV_SW_SX_S14_S18_S1A_T6_T7_T9_mT8_S1C_bDpT10_ENKUlT_T0_E_clISt17integral_constantIbLb0EES1P_EEDaS1K_S1L_EUlS1K_E_NS1_11comp_targetILNS1_3genE5ELNS1_11target_archE942ELNS1_3gpuE9ELNS1_3repE0EEENS1_30default_config_static_selectorELNS0_4arch9wavefront6targetE1EEEvSY_,@function
_ZN7rocprim17ROCPRIM_400000_NS6detail17trampoline_kernelINS0_13select_configILj256ELj13ELNS0_17block_load_methodE3ELS4_3ELS4_3ELNS0_20block_scan_algorithmE0ELj4294967295EEENS1_25partition_config_selectorILNS1_17partition_subalgoE3EjNS0_10empty_typeEbEEZZNS1_14partition_implILS8_3ELb0ES6_jNS0_17counting_iteratorIjlEEPS9_SE_NS0_5tupleIJPjSE_EEENSF_IJSE_SE_EEES9_SG_JZNS1_25segmented_radix_sort_implINS0_14default_configELb1EPKfPfPKlPlN2at6native12_GLOBAL__N_18offset_tEEE10hipError_tPvRmT1_PNSt15iterator_traitsISY_E10value_typeET2_T3_PNSZ_IS14_E10value_typeET4_jRbjT5_S1A_jjP12ihipStream_tbEUljE_EEESV_SW_SX_S14_S18_S1A_T6_T7_T9_mT8_S1C_bDpT10_ENKUlT_T0_E_clISt17integral_constantIbLb0EES1P_EEDaS1K_S1L_EUlS1K_E_NS1_11comp_targetILNS1_3genE5ELNS1_11target_archE942ELNS1_3gpuE9ELNS1_3repE0EEENS1_30default_config_static_selectorELNS0_4arch9wavefront6targetE1EEEvSY_: ; @_ZN7rocprim17ROCPRIM_400000_NS6detail17trampoline_kernelINS0_13select_configILj256ELj13ELNS0_17block_load_methodE3ELS4_3ELS4_3ELNS0_20block_scan_algorithmE0ELj4294967295EEENS1_25partition_config_selectorILNS1_17partition_subalgoE3EjNS0_10empty_typeEbEEZZNS1_14partition_implILS8_3ELb0ES6_jNS0_17counting_iteratorIjlEEPS9_SE_NS0_5tupleIJPjSE_EEENSF_IJSE_SE_EEES9_SG_JZNS1_25segmented_radix_sort_implINS0_14default_configELb1EPKfPfPKlPlN2at6native12_GLOBAL__N_18offset_tEEE10hipError_tPvRmT1_PNSt15iterator_traitsISY_E10value_typeET2_T3_PNSZ_IS14_E10value_typeET4_jRbjT5_S1A_jjP12ihipStream_tbEUljE_EEESV_SW_SX_S14_S18_S1A_T6_T7_T9_mT8_S1C_bDpT10_ENKUlT_T0_E_clISt17integral_constantIbLb0EES1P_EEDaS1K_S1L_EUlS1K_E_NS1_11comp_targetILNS1_3genE5ELNS1_11target_archE942ELNS1_3gpuE9ELNS1_3repE0EEENS1_30default_config_static_selectorELNS0_4arch9wavefront6targetE1EEEvSY_
; %bb.0:
	.section	.rodata,"a",@progbits
	.p2align	6, 0x0
	.amdhsa_kernel _ZN7rocprim17ROCPRIM_400000_NS6detail17trampoline_kernelINS0_13select_configILj256ELj13ELNS0_17block_load_methodE3ELS4_3ELS4_3ELNS0_20block_scan_algorithmE0ELj4294967295EEENS1_25partition_config_selectorILNS1_17partition_subalgoE3EjNS0_10empty_typeEbEEZZNS1_14partition_implILS8_3ELb0ES6_jNS0_17counting_iteratorIjlEEPS9_SE_NS0_5tupleIJPjSE_EEENSF_IJSE_SE_EEES9_SG_JZNS1_25segmented_radix_sort_implINS0_14default_configELb1EPKfPfPKlPlN2at6native12_GLOBAL__N_18offset_tEEE10hipError_tPvRmT1_PNSt15iterator_traitsISY_E10value_typeET2_T3_PNSZ_IS14_E10value_typeET4_jRbjT5_S1A_jjP12ihipStream_tbEUljE_EEESV_SW_SX_S14_S18_S1A_T6_T7_T9_mT8_S1C_bDpT10_ENKUlT_T0_E_clISt17integral_constantIbLb0EES1P_EEDaS1K_S1L_EUlS1K_E_NS1_11comp_targetILNS1_3genE5ELNS1_11target_archE942ELNS1_3gpuE9ELNS1_3repE0EEENS1_30default_config_static_selectorELNS0_4arch9wavefront6targetE1EEEvSY_
		.amdhsa_group_segment_fixed_size 0
		.amdhsa_private_segment_fixed_size 0
		.amdhsa_kernarg_size 144
		.amdhsa_user_sgpr_count 6
		.amdhsa_user_sgpr_private_segment_buffer 1
		.amdhsa_user_sgpr_dispatch_ptr 0
		.amdhsa_user_sgpr_queue_ptr 0
		.amdhsa_user_sgpr_kernarg_segment_ptr 1
		.amdhsa_user_sgpr_dispatch_id 0
		.amdhsa_user_sgpr_flat_scratch_init 0
		.amdhsa_user_sgpr_kernarg_preload_length 0
		.amdhsa_user_sgpr_kernarg_preload_offset 0
		.amdhsa_user_sgpr_private_segment_size 0
		.amdhsa_uses_dynamic_stack 0
		.amdhsa_system_sgpr_private_segment_wavefront_offset 0
		.amdhsa_system_sgpr_workgroup_id_x 1
		.amdhsa_system_sgpr_workgroup_id_y 0
		.amdhsa_system_sgpr_workgroup_id_z 0
		.amdhsa_system_sgpr_workgroup_info 0
		.amdhsa_system_vgpr_workitem_id 0
		.amdhsa_next_free_vgpr 1
		.amdhsa_next_free_sgpr 0
		.amdhsa_accum_offset 4
		.amdhsa_reserve_vcc 0
		.amdhsa_reserve_flat_scratch 0
		.amdhsa_float_round_mode_32 0
		.amdhsa_float_round_mode_16_64 0
		.amdhsa_float_denorm_mode_32 3
		.amdhsa_float_denorm_mode_16_64 3
		.amdhsa_dx10_clamp 1
		.amdhsa_ieee_mode 1
		.amdhsa_fp16_overflow 0
		.amdhsa_tg_split 0
		.amdhsa_exception_fp_ieee_invalid_op 0
		.amdhsa_exception_fp_denorm_src 0
		.amdhsa_exception_fp_ieee_div_zero 0
		.amdhsa_exception_fp_ieee_overflow 0
		.amdhsa_exception_fp_ieee_underflow 0
		.amdhsa_exception_fp_ieee_inexact 0
		.amdhsa_exception_int_div_zero 0
	.end_amdhsa_kernel
	.section	.text._ZN7rocprim17ROCPRIM_400000_NS6detail17trampoline_kernelINS0_13select_configILj256ELj13ELNS0_17block_load_methodE3ELS4_3ELS4_3ELNS0_20block_scan_algorithmE0ELj4294967295EEENS1_25partition_config_selectorILNS1_17partition_subalgoE3EjNS0_10empty_typeEbEEZZNS1_14partition_implILS8_3ELb0ES6_jNS0_17counting_iteratorIjlEEPS9_SE_NS0_5tupleIJPjSE_EEENSF_IJSE_SE_EEES9_SG_JZNS1_25segmented_radix_sort_implINS0_14default_configELb1EPKfPfPKlPlN2at6native12_GLOBAL__N_18offset_tEEE10hipError_tPvRmT1_PNSt15iterator_traitsISY_E10value_typeET2_T3_PNSZ_IS14_E10value_typeET4_jRbjT5_S1A_jjP12ihipStream_tbEUljE_EEESV_SW_SX_S14_S18_S1A_T6_T7_T9_mT8_S1C_bDpT10_ENKUlT_T0_E_clISt17integral_constantIbLb0EES1P_EEDaS1K_S1L_EUlS1K_E_NS1_11comp_targetILNS1_3genE5ELNS1_11target_archE942ELNS1_3gpuE9ELNS1_3repE0EEENS1_30default_config_static_selectorELNS0_4arch9wavefront6targetE1EEEvSY_,"axG",@progbits,_ZN7rocprim17ROCPRIM_400000_NS6detail17trampoline_kernelINS0_13select_configILj256ELj13ELNS0_17block_load_methodE3ELS4_3ELS4_3ELNS0_20block_scan_algorithmE0ELj4294967295EEENS1_25partition_config_selectorILNS1_17partition_subalgoE3EjNS0_10empty_typeEbEEZZNS1_14partition_implILS8_3ELb0ES6_jNS0_17counting_iteratorIjlEEPS9_SE_NS0_5tupleIJPjSE_EEENSF_IJSE_SE_EEES9_SG_JZNS1_25segmented_radix_sort_implINS0_14default_configELb1EPKfPfPKlPlN2at6native12_GLOBAL__N_18offset_tEEE10hipError_tPvRmT1_PNSt15iterator_traitsISY_E10value_typeET2_T3_PNSZ_IS14_E10value_typeET4_jRbjT5_S1A_jjP12ihipStream_tbEUljE_EEESV_SW_SX_S14_S18_S1A_T6_T7_T9_mT8_S1C_bDpT10_ENKUlT_T0_E_clISt17integral_constantIbLb0EES1P_EEDaS1K_S1L_EUlS1K_E_NS1_11comp_targetILNS1_3genE5ELNS1_11target_archE942ELNS1_3gpuE9ELNS1_3repE0EEENS1_30default_config_static_selectorELNS0_4arch9wavefront6targetE1EEEvSY_,comdat
.Lfunc_end1292:
	.size	_ZN7rocprim17ROCPRIM_400000_NS6detail17trampoline_kernelINS0_13select_configILj256ELj13ELNS0_17block_load_methodE3ELS4_3ELS4_3ELNS0_20block_scan_algorithmE0ELj4294967295EEENS1_25partition_config_selectorILNS1_17partition_subalgoE3EjNS0_10empty_typeEbEEZZNS1_14partition_implILS8_3ELb0ES6_jNS0_17counting_iteratorIjlEEPS9_SE_NS0_5tupleIJPjSE_EEENSF_IJSE_SE_EEES9_SG_JZNS1_25segmented_radix_sort_implINS0_14default_configELb1EPKfPfPKlPlN2at6native12_GLOBAL__N_18offset_tEEE10hipError_tPvRmT1_PNSt15iterator_traitsISY_E10value_typeET2_T3_PNSZ_IS14_E10value_typeET4_jRbjT5_S1A_jjP12ihipStream_tbEUljE_EEESV_SW_SX_S14_S18_S1A_T6_T7_T9_mT8_S1C_bDpT10_ENKUlT_T0_E_clISt17integral_constantIbLb0EES1P_EEDaS1K_S1L_EUlS1K_E_NS1_11comp_targetILNS1_3genE5ELNS1_11target_archE942ELNS1_3gpuE9ELNS1_3repE0EEENS1_30default_config_static_selectorELNS0_4arch9wavefront6targetE1EEEvSY_, .Lfunc_end1292-_ZN7rocprim17ROCPRIM_400000_NS6detail17trampoline_kernelINS0_13select_configILj256ELj13ELNS0_17block_load_methodE3ELS4_3ELS4_3ELNS0_20block_scan_algorithmE0ELj4294967295EEENS1_25partition_config_selectorILNS1_17partition_subalgoE3EjNS0_10empty_typeEbEEZZNS1_14partition_implILS8_3ELb0ES6_jNS0_17counting_iteratorIjlEEPS9_SE_NS0_5tupleIJPjSE_EEENSF_IJSE_SE_EEES9_SG_JZNS1_25segmented_radix_sort_implINS0_14default_configELb1EPKfPfPKlPlN2at6native12_GLOBAL__N_18offset_tEEE10hipError_tPvRmT1_PNSt15iterator_traitsISY_E10value_typeET2_T3_PNSZ_IS14_E10value_typeET4_jRbjT5_S1A_jjP12ihipStream_tbEUljE_EEESV_SW_SX_S14_S18_S1A_T6_T7_T9_mT8_S1C_bDpT10_ENKUlT_T0_E_clISt17integral_constantIbLb0EES1P_EEDaS1K_S1L_EUlS1K_E_NS1_11comp_targetILNS1_3genE5ELNS1_11target_archE942ELNS1_3gpuE9ELNS1_3repE0EEENS1_30default_config_static_selectorELNS0_4arch9wavefront6targetE1EEEvSY_
                                        ; -- End function
	.section	.AMDGPU.csdata,"",@progbits
; Kernel info:
; codeLenInByte = 0
; NumSgprs: 4
; NumVgprs: 0
; NumAgprs: 0
; TotalNumVgprs: 0
; ScratchSize: 0
; MemoryBound: 0
; FloatMode: 240
; IeeeMode: 1
; LDSByteSize: 0 bytes/workgroup (compile time only)
; SGPRBlocks: 0
; VGPRBlocks: 0
; NumSGPRsForWavesPerEU: 4
; NumVGPRsForWavesPerEU: 1
; AccumOffset: 4
; Occupancy: 8
; WaveLimiterHint : 0
; COMPUTE_PGM_RSRC2:SCRATCH_EN: 0
; COMPUTE_PGM_RSRC2:USER_SGPR: 6
; COMPUTE_PGM_RSRC2:TRAP_HANDLER: 0
; COMPUTE_PGM_RSRC2:TGID_X_EN: 1
; COMPUTE_PGM_RSRC2:TGID_Y_EN: 0
; COMPUTE_PGM_RSRC2:TGID_Z_EN: 0
; COMPUTE_PGM_RSRC2:TIDIG_COMP_CNT: 0
; COMPUTE_PGM_RSRC3_GFX90A:ACCUM_OFFSET: 0
; COMPUTE_PGM_RSRC3_GFX90A:TG_SPLIT: 0
	.section	.text._ZN7rocprim17ROCPRIM_400000_NS6detail17trampoline_kernelINS0_13select_configILj256ELj13ELNS0_17block_load_methodE3ELS4_3ELS4_3ELNS0_20block_scan_algorithmE0ELj4294967295EEENS1_25partition_config_selectorILNS1_17partition_subalgoE3EjNS0_10empty_typeEbEEZZNS1_14partition_implILS8_3ELb0ES6_jNS0_17counting_iteratorIjlEEPS9_SE_NS0_5tupleIJPjSE_EEENSF_IJSE_SE_EEES9_SG_JZNS1_25segmented_radix_sort_implINS0_14default_configELb1EPKfPfPKlPlN2at6native12_GLOBAL__N_18offset_tEEE10hipError_tPvRmT1_PNSt15iterator_traitsISY_E10value_typeET2_T3_PNSZ_IS14_E10value_typeET4_jRbjT5_S1A_jjP12ihipStream_tbEUljE_EEESV_SW_SX_S14_S18_S1A_T6_T7_T9_mT8_S1C_bDpT10_ENKUlT_T0_E_clISt17integral_constantIbLb0EES1P_EEDaS1K_S1L_EUlS1K_E_NS1_11comp_targetILNS1_3genE4ELNS1_11target_archE910ELNS1_3gpuE8ELNS1_3repE0EEENS1_30default_config_static_selectorELNS0_4arch9wavefront6targetE1EEEvSY_,"axG",@progbits,_ZN7rocprim17ROCPRIM_400000_NS6detail17trampoline_kernelINS0_13select_configILj256ELj13ELNS0_17block_load_methodE3ELS4_3ELS4_3ELNS0_20block_scan_algorithmE0ELj4294967295EEENS1_25partition_config_selectorILNS1_17partition_subalgoE3EjNS0_10empty_typeEbEEZZNS1_14partition_implILS8_3ELb0ES6_jNS0_17counting_iteratorIjlEEPS9_SE_NS0_5tupleIJPjSE_EEENSF_IJSE_SE_EEES9_SG_JZNS1_25segmented_radix_sort_implINS0_14default_configELb1EPKfPfPKlPlN2at6native12_GLOBAL__N_18offset_tEEE10hipError_tPvRmT1_PNSt15iterator_traitsISY_E10value_typeET2_T3_PNSZ_IS14_E10value_typeET4_jRbjT5_S1A_jjP12ihipStream_tbEUljE_EEESV_SW_SX_S14_S18_S1A_T6_T7_T9_mT8_S1C_bDpT10_ENKUlT_T0_E_clISt17integral_constantIbLb0EES1P_EEDaS1K_S1L_EUlS1K_E_NS1_11comp_targetILNS1_3genE4ELNS1_11target_archE910ELNS1_3gpuE8ELNS1_3repE0EEENS1_30default_config_static_selectorELNS0_4arch9wavefront6targetE1EEEvSY_,comdat
	.globl	_ZN7rocprim17ROCPRIM_400000_NS6detail17trampoline_kernelINS0_13select_configILj256ELj13ELNS0_17block_load_methodE3ELS4_3ELS4_3ELNS0_20block_scan_algorithmE0ELj4294967295EEENS1_25partition_config_selectorILNS1_17partition_subalgoE3EjNS0_10empty_typeEbEEZZNS1_14partition_implILS8_3ELb0ES6_jNS0_17counting_iteratorIjlEEPS9_SE_NS0_5tupleIJPjSE_EEENSF_IJSE_SE_EEES9_SG_JZNS1_25segmented_radix_sort_implINS0_14default_configELb1EPKfPfPKlPlN2at6native12_GLOBAL__N_18offset_tEEE10hipError_tPvRmT1_PNSt15iterator_traitsISY_E10value_typeET2_T3_PNSZ_IS14_E10value_typeET4_jRbjT5_S1A_jjP12ihipStream_tbEUljE_EEESV_SW_SX_S14_S18_S1A_T6_T7_T9_mT8_S1C_bDpT10_ENKUlT_T0_E_clISt17integral_constantIbLb0EES1P_EEDaS1K_S1L_EUlS1K_E_NS1_11comp_targetILNS1_3genE4ELNS1_11target_archE910ELNS1_3gpuE8ELNS1_3repE0EEENS1_30default_config_static_selectorELNS0_4arch9wavefront6targetE1EEEvSY_ ; -- Begin function _ZN7rocprim17ROCPRIM_400000_NS6detail17trampoline_kernelINS0_13select_configILj256ELj13ELNS0_17block_load_methodE3ELS4_3ELS4_3ELNS0_20block_scan_algorithmE0ELj4294967295EEENS1_25partition_config_selectorILNS1_17partition_subalgoE3EjNS0_10empty_typeEbEEZZNS1_14partition_implILS8_3ELb0ES6_jNS0_17counting_iteratorIjlEEPS9_SE_NS0_5tupleIJPjSE_EEENSF_IJSE_SE_EEES9_SG_JZNS1_25segmented_radix_sort_implINS0_14default_configELb1EPKfPfPKlPlN2at6native12_GLOBAL__N_18offset_tEEE10hipError_tPvRmT1_PNSt15iterator_traitsISY_E10value_typeET2_T3_PNSZ_IS14_E10value_typeET4_jRbjT5_S1A_jjP12ihipStream_tbEUljE_EEESV_SW_SX_S14_S18_S1A_T6_T7_T9_mT8_S1C_bDpT10_ENKUlT_T0_E_clISt17integral_constantIbLb0EES1P_EEDaS1K_S1L_EUlS1K_E_NS1_11comp_targetILNS1_3genE4ELNS1_11target_archE910ELNS1_3gpuE8ELNS1_3repE0EEENS1_30default_config_static_selectorELNS0_4arch9wavefront6targetE1EEEvSY_
	.p2align	8
	.type	_ZN7rocprim17ROCPRIM_400000_NS6detail17trampoline_kernelINS0_13select_configILj256ELj13ELNS0_17block_load_methodE3ELS4_3ELS4_3ELNS0_20block_scan_algorithmE0ELj4294967295EEENS1_25partition_config_selectorILNS1_17partition_subalgoE3EjNS0_10empty_typeEbEEZZNS1_14partition_implILS8_3ELb0ES6_jNS0_17counting_iteratorIjlEEPS9_SE_NS0_5tupleIJPjSE_EEENSF_IJSE_SE_EEES9_SG_JZNS1_25segmented_radix_sort_implINS0_14default_configELb1EPKfPfPKlPlN2at6native12_GLOBAL__N_18offset_tEEE10hipError_tPvRmT1_PNSt15iterator_traitsISY_E10value_typeET2_T3_PNSZ_IS14_E10value_typeET4_jRbjT5_S1A_jjP12ihipStream_tbEUljE_EEESV_SW_SX_S14_S18_S1A_T6_T7_T9_mT8_S1C_bDpT10_ENKUlT_T0_E_clISt17integral_constantIbLb0EES1P_EEDaS1K_S1L_EUlS1K_E_NS1_11comp_targetILNS1_3genE4ELNS1_11target_archE910ELNS1_3gpuE8ELNS1_3repE0EEENS1_30default_config_static_selectorELNS0_4arch9wavefront6targetE1EEEvSY_,@function
_ZN7rocprim17ROCPRIM_400000_NS6detail17trampoline_kernelINS0_13select_configILj256ELj13ELNS0_17block_load_methodE3ELS4_3ELS4_3ELNS0_20block_scan_algorithmE0ELj4294967295EEENS1_25partition_config_selectorILNS1_17partition_subalgoE3EjNS0_10empty_typeEbEEZZNS1_14partition_implILS8_3ELb0ES6_jNS0_17counting_iteratorIjlEEPS9_SE_NS0_5tupleIJPjSE_EEENSF_IJSE_SE_EEES9_SG_JZNS1_25segmented_radix_sort_implINS0_14default_configELb1EPKfPfPKlPlN2at6native12_GLOBAL__N_18offset_tEEE10hipError_tPvRmT1_PNSt15iterator_traitsISY_E10value_typeET2_T3_PNSZ_IS14_E10value_typeET4_jRbjT5_S1A_jjP12ihipStream_tbEUljE_EEESV_SW_SX_S14_S18_S1A_T6_T7_T9_mT8_S1C_bDpT10_ENKUlT_T0_E_clISt17integral_constantIbLb0EES1P_EEDaS1K_S1L_EUlS1K_E_NS1_11comp_targetILNS1_3genE4ELNS1_11target_archE910ELNS1_3gpuE8ELNS1_3repE0EEENS1_30default_config_static_selectorELNS0_4arch9wavefront6targetE1EEEvSY_: ; @_ZN7rocprim17ROCPRIM_400000_NS6detail17trampoline_kernelINS0_13select_configILj256ELj13ELNS0_17block_load_methodE3ELS4_3ELS4_3ELNS0_20block_scan_algorithmE0ELj4294967295EEENS1_25partition_config_selectorILNS1_17partition_subalgoE3EjNS0_10empty_typeEbEEZZNS1_14partition_implILS8_3ELb0ES6_jNS0_17counting_iteratorIjlEEPS9_SE_NS0_5tupleIJPjSE_EEENSF_IJSE_SE_EEES9_SG_JZNS1_25segmented_radix_sort_implINS0_14default_configELb1EPKfPfPKlPlN2at6native12_GLOBAL__N_18offset_tEEE10hipError_tPvRmT1_PNSt15iterator_traitsISY_E10value_typeET2_T3_PNSZ_IS14_E10value_typeET4_jRbjT5_S1A_jjP12ihipStream_tbEUljE_EEESV_SW_SX_S14_S18_S1A_T6_T7_T9_mT8_S1C_bDpT10_ENKUlT_T0_E_clISt17integral_constantIbLb0EES1P_EEDaS1K_S1L_EUlS1K_E_NS1_11comp_targetILNS1_3genE4ELNS1_11target_archE910ELNS1_3gpuE8ELNS1_3repE0EEENS1_30default_config_static_selectorELNS0_4arch9wavefront6targetE1EEEvSY_
; %bb.0:
	s_load_dwordx2 s[26:27], s[4:5], 0x58
	s_load_dwordx4 s[20:23], s[4:5], 0x48
	s_load_dword s13, s[4:5], 0x8
	s_load_dwordx2 s[28:29], s[4:5], 0x10
	s_load_dword s12, s[4:5], 0x70
	s_load_dword s7, s[4:5], 0x88
	s_load_dwordx4 s[8:11], s[4:5], 0x78
	s_waitcnt lgkmcnt(0)
	s_load_dwordx2 s[30:31], s[22:23], 0x0
	v_pk_mov_b32 v[2:3], s[26:27], s[26:27] op_sel:[0,1]
	s_add_i32 s2, s12, -1
	s_mulk_i32 s12, 0xd00
	s_add_u32 s0, s28, s12
	s_addc_u32 s1, s29, 0
	s_cmp_eq_u32 s6, s2
	s_cselect_b64 s[22:23], -1, 0
	s_cmp_lg_u32 s6, s2
	s_mul_i32 s42, s6, 0xd00
	v_cmp_lt_u64_e32 vcc, s[0:1], v[2:3]
	s_cselect_b64 s[0:1], -1, 0
	s_or_b64 s[2:3], s[0:1], vcc
	s_add_i32 s0, s13, s42
	s_add_i32 s0, s0, s28
	v_add_u32_e32 v2, s0, v0
	s_mov_b64 s[0:1], -1
	s_and_b64 vcc, exec, s[2:3]
	v_lshlrev_b32_e32 v1, 2, v0
	s_cbranch_vccz .LBB1293_2
; %bb.1:
	v_add_u32_e32 v3, 0x100, v2
	v_add_u32_e32 v4, 0x200, v2
	;; [unrolled: 1-line block ×12, first 2 shown]
	ds_write2st64_b32 v1, v2, v3 offset1:4
	ds_write2st64_b32 v1, v4, v5 offset0:8 offset1:12
	ds_write2st64_b32 v1, v6, v7 offset0:16 offset1:20
	ds_write2st64_b32 v1, v8, v9 offset0:24 offset1:28
	ds_write2st64_b32 v1, v10, v11 offset0:32 offset1:36
	ds_write2st64_b32 v1, v12, v13 offset0:40 offset1:44
	ds_write_b32 v1, v14 offset:12288
	s_waitcnt lgkmcnt(0)
	s_barrier
	s_mov_b64 s[0:1], 0
.LBB1293_2:
	s_andn2_b64 vcc, exec, s[0:1]
	s_add_i32 s12, s12, s28
	s_cbranch_vccnz .LBB1293_4
; %bb.3:
	v_add_u32_e32 v3, 0x100, v2
	v_add_u32_e32 v4, 0x200, v2
	;; [unrolled: 1-line block ×12, first 2 shown]
	ds_write2st64_b32 v1, v2, v3 offset1:4
	ds_write2st64_b32 v1, v4, v5 offset0:8 offset1:12
	ds_write2st64_b32 v1, v6, v7 offset0:16 offset1:20
	;; [unrolled: 1-line block ×5, first 2 shown]
	ds_write_b32 v1, v14 offset:12288
	s_waitcnt lgkmcnt(0)
	s_barrier
.LBB1293_4:
	v_mul_u32_u24_e32 v33, 13, v0
	v_lshlrev_b32_e32 v2, 2, v33
	s_waitcnt lgkmcnt(0)
	ds_read2_b32 v[30:31], v2 offset1:1
	ds_read2_b32 v[28:29], v2 offset0:2 offset1:3
	ds_read2_b32 v[26:27], v2 offset0:4 offset1:5
	;; [unrolled: 1-line block ×5, first 2 shown]
	ds_read_b32 v32, v2 offset:48
	v_cndmask_b32_e64 v2, 0, 1, s[2:3]
	s_sub_i32 s33, s26, s12
	v_cmp_ne_u32_e64 s[0:1], 1, v2
	s_andn2_b64 vcc, exec, s[2:3]
	s_waitcnt lgkmcnt(0)
	s_barrier
	s_cbranch_vccnz .LBB1293_6
; %bb.5:
	v_add_u32_e32 v2, s9, v30
	v_add_u32_e32 v3, s11, v30
	v_mul_lo_u32 v2, v2, s8
	v_mul_lo_u32 v3, v3, s10
	v_sub_u32_e32 v2, v2, v3
	v_add_u32_e32 v3, s9, v31
	v_add_u32_e32 v4, s11, v31
	v_mul_lo_u32 v3, v3, s8
	v_mul_lo_u32 v4, v4, s10
	v_sub_u32_e32 v3, v3, v4
	;; [unrolled: 5-line block ×6, first 2 shown]
	v_add_u32_e32 v8, s9, v24
	v_add_u32_e32 v9, s11, v24
	v_mul_lo_u32 v8, v8, s8
	v_mul_lo_u32 v9, v9, s10
	v_cmp_lt_u32_e32 vcc, s7, v2
	v_sub_u32_e32 v8, v8, v9
	v_add_u32_e32 v9, s9, v25
	v_add_u32_e32 v10, s11, v25
	v_cndmask_b32_e64 v2, 0, 1, vcc
	v_cmp_lt_u32_e32 vcc, s7, v3
	v_mul_lo_u32 v9, v9, s8
	v_mul_lo_u32 v10, v10, s10
	v_cndmask_b32_e64 v3, 0, 1, vcc
	v_cmp_lt_u32_e32 vcc, s7, v4
	v_sub_u32_e32 v9, v9, v10
	v_add_u32_e32 v10, s9, v22
	v_add_u32_e32 v11, s11, v22
	v_cndmask_b32_e64 v4, 0, 1, vcc
	v_cmp_lt_u32_e32 vcc, s7, v5
	v_mul_lo_u32 v10, v10, s8
	v_mul_lo_u32 v11, v11, s10
	v_cndmask_b32_e64 v5, 0, 1, vcc
	;; [unrolled: 9-line block ×4, first 2 shown]
	v_cmp_lt_u32_e32 vcc, s7, v10
	v_sub_u32_e32 v12, v12, v13
	v_add_u32_e32 v13, s9, v21
	v_add_u32_e32 v14, s11, v21
	v_lshlrev_b16_e32 v3, 8, v3
	v_cndmask_b32_e64 v10, 0, 1, vcc
	v_cmp_lt_u32_e32 vcc, s7, v11
	v_mul_lo_u32 v13, v13, s8
	v_mul_lo_u32 v14, v14, s10
	v_or_b32_e32 v2, v2, v3
	v_lshlrev_b16_e32 v3, 8, v5
	v_cndmask_b32_e64 v11, 0, 1, vcc
	v_cmp_lt_u32_e32 vcc, s7, v12
	v_sub_u32_e32 v13, v13, v14
	v_or_b32_sdwa v3, v4, v3 dst_sel:WORD_1 dst_unused:UNUSED_PAD src0_sel:DWORD src1_sel:DWORD
	v_cndmask_b32_e64 v12, 0, 1, vcc
	v_cmp_lt_u32_e32 vcc, s7, v13
	v_add_u32_e32 v14, s9, v32
	v_add_u32_e32 v15, s11, v32
	v_or_b32_sdwa v37, v2, v3 dst_sel:DWORD dst_unused:UNUSED_PAD src0_sel:WORD_0 src1_sel:DWORD
	v_lshlrev_b16_e32 v2, 8, v7
	v_lshlrev_b16_e32 v3, 8, v9
	v_cndmask_b32_e64 v13, 0, 1, vcc
	v_mul_lo_u32 v14, v14, s8
	v_mul_lo_u32 v15, v15, s10
	v_or_b32_e32 v2, v6, v2
	v_or_b32_sdwa v3, v8, v3 dst_sel:WORD_1 dst_unused:UNUSED_PAD src0_sel:DWORD src1_sel:DWORD
	v_sub_u32_e32 v14, v14, v15
	v_or_b32_sdwa v36, v2, v3 dst_sel:DWORD dst_unused:UNUSED_PAD src0_sel:WORD_0 src1_sel:DWORD
	v_lshlrev_b16_e32 v2, 8, v11
	v_lshlrev_b16_e32 v3, 8, v13
	v_cmp_lt_u32_e32 vcc, s7, v14
	v_or_b32_e32 v2, v10, v2
	v_or_b32_sdwa v3, v12, v3 dst_sel:WORD_1 dst_unused:UNUSED_PAD src0_sel:DWORD src1_sel:DWORD
	v_cndmask_b32_e64 v34, 0, 1, vcc
	v_or_b32_sdwa v35, v2, v3 dst_sel:DWORD dst_unused:UNUSED_PAD src0_sel:WORD_0 src1_sel:DWORD
	s_mov_b64 s[2:3], 0
	s_branch .LBB1293_7
.LBB1293_6:
	s_mov_b64 s[2:3], -1
                                        ; implicit-def: $vgpr34
                                        ; implicit-def: $vgpr35
                                        ; implicit-def: $vgpr36
                                        ; implicit-def: $vgpr37
.LBB1293_7:
	s_load_dwordx2 s[24:25], s[4:5], 0x28
	s_load_dwordx2 s[34:35], s[4:5], 0x68
	s_andn2_b64 vcc, exec, s[2:3]
	s_addk_i32 s33, 0xd00
	s_cbranch_vccnz .LBB1293_35
; %bb.8:
	v_cmp_gt_u32_e32 vcc, s33, v33
	v_mov_b32_e32 v3, 0
	v_mov_b32_e32 v2, 0
	s_and_saveexec_b64 s[2:3], vcc
; %bb.9:
	v_add_u32_e32 v2, s9, v30
	v_add_u32_e32 v4, s11, v30
	v_mul_lo_u32 v2, v2, s8
	v_mul_lo_u32 v4, v4, s10
	v_sub_u32_e32 v2, v2, v4
	v_cmp_lt_u32_e32 vcc, s7, v2
	v_cndmask_b32_e64 v2, 0, 1, vcc
; %bb.10:
	s_or_b64 exec, exec, s[2:3]
	v_add_u32_e32 v4, 1, v33
	v_cmp_gt_u32_e32 vcc, s33, v4
	s_and_saveexec_b64 s[2:3], vcc
; %bb.11:
	v_add_u32_e32 v3, s9, v31
	v_add_u32_e32 v4, s11, v31
	v_mul_lo_u32 v3, v3, s8
	v_mul_lo_u32 v4, v4, s10
	v_sub_u32_e32 v3, v3, v4
	v_cmp_lt_u32_e32 vcc, s7, v3
	v_cndmask_b32_e64 v3, 0, 1, vcc
; %bb.12:
	s_or_b64 exec, exec, s[2:3]
	v_add_u32_e32 v4, 2, v33
	v_cmp_gt_u32_e32 vcc, s33, v4
	v_mov_b32_e32 v5, 0
	v_mov_b32_e32 v4, 0
	s_and_saveexec_b64 s[2:3], vcc
; %bb.13:
	v_add_u32_e32 v4, s9, v28
	v_add_u32_e32 v6, s11, v28
	v_mul_lo_u32 v4, v4, s8
	v_mul_lo_u32 v6, v6, s10
	v_sub_u32_e32 v4, v4, v6
	v_cmp_lt_u32_e32 vcc, s7, v4
	v_cndmask_b32_e64 v4, 0, 1, vcc
; %bb.14:
	s_or_b64 exec, exec, s[2:3]
	v_add_u32_e32 v6, 3, v33
	v_cmp_gt_u32_e32 vcc, s33, v6
	s_and_saveexec_b64 s[2:3], vcc
; %bb.15:
	v_add_u32_e32 v5, s9, v29
	v_add_u32_e32 v6, s11, v29
	v_mul_lo_u32 v5, v5, s8
	v_mul_lo_u32 v6, v6, s10
	v_sub_u32_e32 v5, v5, v6
	v_cmp_lt_u32_e32 vcc, s7, v5
	v_cndmask_b32_e64 v5, 0, 1, vcc
; %bb.16:
	s_or_b64 exec, exec, s[2:3]
	v_add_u32_e32 v6, 4, v33
	;; [unrolled: 28-line block ×6, first 2 shown]
	v_cmp_gt_u32_e32 vcc, s33, v14
	v_mov_b32_e32 v34, 0
	s_and_saveexec_b64 s[2:3], vcc
; %bb.33:
	v_add_u32_e32 v14, s9, v32
	v_add_u32_e32 v15, s11, v32
	v_mul_lo_u32 v14, v14, s8
	v_mul_lo_u32 v15, v15, s10
	v_sub_u32_e32 v14, v14, v15
	v_cmp_lt_u32_e32 vcc, s7, v14
	v_cndmask_b32_e64 v34, 0, 1, vcc
; %bb.34:
	s_or_b64 exec, exec, s[2:3]
	v_lshlrev_b16_e32 v3, 8, v3
	v_or_b32_e32 v2, v2, v3
	v_lshlrev_b16_e32 v3, 8, v5
	v_or_b32_sdwa v3, v4, v3 dst_sel:WORD_1 dst_unused:UNUSED_PAD src0_sel:DWORD src1_sel:DWORD
	v_or_b32_sdwa v37, v2, v3 dst_sel:DWORD dst_unused:UNUSED_PAD src0_sel:WORD_0 src1_sel:DWORD
	v_lshlrev_b16_e32 v2, 8, v7
	v_lshlrev_b16_e32 v3, 8, v9
	v_or_b32_e32 v2, v6, v2
	v_or_b32_sdwa v3, v8, v3 dst_sel:WORD_1 dst_unused:UNUSED_PAD src0_sel:DWORD src1_sel:DWORD
	v_or_b32_sdwa v36, v2, v3 dst_sel:DWORD dst_unused:UNUSED_PAD src0_sel:WORD_0 src1_sel:DWORD
	v_lshlrev_b16_e32 v2, 8, v11
	v_lshlrev_b16_e32 v3, 8, v13
	v_or_b32_e32 v2, v10, v2
	v_or_b32_sdwa v3, v12, v3 dst_sel:WORD_1 dst_unused:UNUSED_PAD src0_sel:DWORD src1_sel:DWORD
	v_or_b32_sdwa v35, v2, v3 dst_sel:DWORD dst_unused:UNUSED_PAD src0_sel:WORD_0 src1_sel:DWORD
.LBB1293_35:
	v_and_b32_e32 v41, 0xff, v37
	v_bfe_u32 v42, v37, 8, 8
	v_bfe_u32 v43, v37, 16, 8
	v_lshrrev_b32_e32 v40, 24, v37
	v_and_b32_e32 v44, 0xff, v36
	v_add3_u32 v3, v42, v41, v43
	v_bfe_u32 v45, v36, 8, 8
	v_bfe_u32 v46, v36, 16, 8
	v_add3_u32 v3, v3, v40, v44
	v_lshrrev_b32_e32 v39, 24, v36
	v_and_b32_e32 v47, 0xff, v35
	v_add3_u32 v3, v3, v45, v46
	v_bfe_u32 v48, v35, 8, 8
	v_bfe_u32 v49, v35, 16, 8
	v_add3_u32 v3, v3, v39, v47
	v_lshrrev_b32_e32 v38, 24, v35
	v_and_b32_e32 v2, 0xff, v34
	v_add3_u32 v3, v3, v48, v49
	v_add3_u32 v52, v3, v38, v2
	v_mbcnt_lo_u32_b32 v2, -1, 0
	v_mbcnt_hi_u32_b32 v50, -1, v2
	v_and_b32_e32 v2, 15, v50
	v_cmp_eq_u32_e64 s[14:15], 0, v2
	v_cmp_lt_u32_e64 s[12:13], 1, v2
	v_cmp_lt_u32_e64 s[10:11], 3, v2
	v_cmp_lt_u32_e64 s[8:9], 7, v2
	v_and_b32_e32 v2, 16, v50
	v_cmp_eq_u32_e64 s[18:19], 0, v2
	v_or_b32_e32 v2, 63, v0
	s_cmp_lg_u32 s6, 0
	v_cmp_lt_u32_e64 s[2:3], 31, v50
	v_lshrrev_b32_e32 v51, 6, v0
	v_cmp_eq_u32_e64 s[4:5], v2, v0
	s_cbranch_scc0 .LBB1293_62
; %bb.36:
	v_mov_b32_dpp v2, v52 row_shr:1 row_mask:0xf bank_mask:0xf
	v_cndmask_b32_e64 v2, v2, 0, s[14:15]
	v_add_u32_e32 v2, v2, v52
	s_nop 1
	v_mov_b32_dpp v3, v2 row_shr:2 row_mask:0xf bank_mask:0xf
	v_cndmask_b32_e64 v3, 0, v3, s[12:13]
	v_add_u32_e32 v2, v2, v3
	s_nop 1
	;; [unrolled: 4-line block ×4, first 2 shown]
	v_mov_b32_dpp v3, v2 row_bcast:15 row_mask:0xf bank_mask:0xf
	v_cndmask_b32_e64 v3, v3, 0, s[18:19]
	v_add_u32_e32 v2, v2, v3
	s_nop 1
	v_mov_b32_dpp v3, v2 row_bcast:31 row_mask:0xf bank_mask:0xf
	v_cndmask_b32_e64 v3, 0, v3, s[2:3]
	v_add_u32_e32 v2, v2, v3
	s_and_saveexec_b64 s[16:17], s[4:5]
	s_cbranch_execz .LBB1293_38
; %bb.37:
	v_lshlrev_b32_e32 v3, 2, v51
	ds_write_b32 v3, v2
.LBB1293_38:
	s_or_b64 exec, exec, s[16:17]
	v_cmp_gt_u32_e32 vcc, 4, v0
	s_waitcnt lgkmcnt(0)
	s_barrier
	s_and_saveexec_b64 s[16:17], vcc
	s_cbranch_execz .LBB1293_40
; %bb.39:
	ds_read_b32 v3, v1
	v_and_b32_e32 v4, 3, v50
	v_cmp_ne_u32_e32 vcc, 0, v4
	s_waitcnt lgkmcnt(0)
	v_mov_b32_dpp v5, v3 row_shr:1 row_mask:0xf bank_mask:0xf
	v_cndmask_b32_e32 v5, 0, v5, vcc
	v_add_u32_e32 v3, v5, v3
	v_cmp_lt_u32_e32 vcc, 1, v4
	s_nop 0
	v_mov_b32_dpp v5, v3 row_shr:2 row_mask:0xf bank_mask:0xf
	v_cndmask_b32_e32 v4, 0, v5, vcc
	v_add_u32_e32 v3, v3, v4
	ds_write_b32 v1, v3
.LBB1293_40:
	s_or_b64 exec, exec, s[16:17]
	v_cmp_gt_u32_e32 vcc, 64, v0
	v_cmp_lt_u32_e64 s[16:17], 63, v0
	s_waitcnt lgkmcnt(0)
	s_barrier
	s_waitcnt lgkmcnt(0)
                                        ; implicit-def: $vgpr12
	s_and_saveexec_b64 s[36:37], s[16:17]
	s_cbranch_execz .LBB1293_42
; %bb.41:
	v_lshl_add_u32 v3, v51, 2, -4
	ds_read_b32 v12, v3
	s_waitcnt lgkmcnt(0)
	v_add_u32_e32 v2, v12, v2
.LBB1293_42:
	s_or_b64 exec, exec, s[36:37]
	v_add_u32_e32 v3, -1, v50
	v_and_b32_e32 v4, 64, v50
	v_cmp_lt_i32_e64 s[16:17], v3, v4
	v_cndmask_b32_e64 v3, v3, v50, s[16:17]
	v_lshlrev_b32_e32 v3, 2, v3
	ds_bpermute_b32 v13, v3, v2
	v_cmp_eq_u32_e64 s[16:17], 0, v50
	s_and_saveexec_b64 s[36:37], vcc
	s_cbranch_execz .LBB1293_61
; %bb.43:
	v_mov_b32_e32 v9, 0
	ds_read_b32 v2, v9 offset:12
	s_and_saveexec_b64 s[38:39], s[16:17]
	s_cbranch_execz .LBB1293_45
; %bb.44:
	s_add_i32 s40, s6, 64
	s_mov_b32 s41, 0
	s_lshl_b64 s[40:41], s[40:41], 3
	s_add_u32 s40, s34, s40
	v_mov_b32_e32 v3, 1
	s_addc_u32 s41, s35, s41
	s_waitcnt lgkmcnt(0)
	global_store_dwordx2 v9, v[2:3], s[40:41]
.LBB1293_45:
	s_or_b64 exec, exec, s[38:39]
	v_xad_u32 v4, v50, -1, s6
	v_add_u32_e32 v8, 64, v4
	v_lshlrev_b64 v[6:7], 3, v[8:9]
	v_mov_b32_e32 v3, s35
	v_add_co_u32_e32 v10, vcc, s34, v6
	v_addc_co_u32_e32 v11, vcc, v3, v7, vcc
	global_load_dwordx2 v[6:7], v[10:11], off glc
	s_waitcnt vmcnt(0)
	v_cmp_eq_u16_sdwa s[40:41], v7, v9 src0_sel:BYTE_0 src1_sel:DWORD
	s_and_saveexec_b64 s[38:39], s[40:41]
	s_cbranch_execz .LBB1293_49
; %bb.46:
	s_mov_b64 s[40:41], 0
	v_mov_b32_e32 v3, 0
.LBB1293_47:                            ; =>This Inner Loop Header: Depth=1
	global_load_dwordx2 v[6:7], v[10:11], off glc
	s_waitcnt vmcnt(0)
	v_cmp_ne_u16_sdwa s[44:45], v7, v3 src0_sel:BYTE_0 src1_sel:DWORD
	s_or_b64 s[40:41], s[44:45], s[40:41]
	s_andn2_b64 exec, exec, s[40:41]
	s_cbranch_execnz .LBB1293_47
; %bb.48:
	s_or_b64 exec, exec, s[40:41]
.LBB1293_49:
	s_or_b64 exec, exec, s[38:39]
	v_and_b32_e32 v14, 63, v50
	v_mov_b32_e32 v3, 2
	v_cmp_ne_u32_e32 vcc, 63, v14
	v_cmp_eq_u16_sdwa s[38:39], v7, v3 src0_sel:BYTE_0 src1_sel:DWORD
	v_lshlrev_b64 v[8:9], v50, -1
	v_addc_co_u32_e32 v11, vcc, 0, v50, vcc
	v_and_b32_e32 v5, s39, v9
	v_lshlrev_b32_e32 v15, 2, v11
	v_or_b32_e32 v5, 0x80000000, v5
	ds_bpermute_b32 v11, v15, v6
	v_and_b32_e32 v10, s38, v8
	v_ffbl_b32_e32 v5, v5
	v_add_u32_e32 v5, 32, v5
	v_ffbl_b32_e32 v10, v10
	v_min_u32_e32 v5, v10, v5
	v_cmp_lt_u32_e32 vcc, v14, v5
	s_waitcnt lgkmcnt(0)
	v_cndmask_b32_e32 v10, 0, v11, vcc
	v_cmp_gt_u32_e32 vcc, 62, v14
	v_add_u32_e32 v6, v10, v6
	v_cndmask_b32_e64 v10, 0, 1, vcc
	v_lshlrev_b32_e32 v10, 1, v10
	v_add_lshl_u32 v16, v10, v50, 2
	ds_bpermute_b32 v10, v16, v6
	v_add_u32_e32 v17, 2, v14
	v_cmp_le_u32_e32 vcc, v17, v5
	v_add_u32_e32 v19, 4, v14
	v_add_u32_e32 v54, 8, v14
	s_waitcnt lgkmcnt(0)
	v_cndmask_b32_e32 v10, 0, v10, vcc
	v_cmp_gt_u32_e32 vcc, 60, v14
	v_add_u32_e32 v6, v6, v10
	v_cndmask_b32_e64 v10, 0, 1, vcc
	v_lshlrev_b32_e32 v10, 2, v10
	v_add_lshl_u32 v18, v10, v50, 2
	ds_bpermute_b32 v10, v18, v6
	v_cmp_le_u32_e32 vcc, v19, v5
	v_add_u32_e32 v57, 16, v14
	v_add_u32_e32 v59, 32, v14
	s_waitcnt lgkmcnt(0)
	v_cndmask_b32_e32 v10, 0, v10, vcc
	v_cmp_gt_u32_e32 vcc, 56, v14
	v_add_u32_e32 v6, v6, v10
	v_cndmask_b32_e64 v10, 0, 1, vcc
	v_lshlrev_b32_e32 v10, 3, v10
	v_add_lshl_u32 v53, v10, v50, 2
	ds_bpermute_b32 v10, v53, v6
	v_cmp_le_u32_e32 vcc, v54, v5
	s_waitcnt lgkmcnt(0)
	v_cndmask_b32_e32 v10, 0, v10, vcc
	v_cmp_gt_u32_e32 vcc, 48, v14
	v_add_u32_e32 v6, v6, v10
	v_cndmask_b32_e64 v10, 0, 1, vcc
	v_lshlrev_b32_e32 v10, 4, v10
	v_add_lshl_u32 v56, v10, v50, 2
	ds_bpermute_b32 v10, v56, v6
	v_cmp_le_u32_e32 vcc, v57, v5
	;; [unrolled: 9-line block ×3, first 2 shown]
	s_waitcnt lgkmcnt(0)
	v_cndmask_b32_e32 v5, 0, v10, vcc
	v_add_u32_e32 v6, v6, v5
	v_mov_b32_e32 v5, 0
	s_branch .LBB1293_51
.LBB1293_50:                            ;   in Loop: Header=BB1293_51 Depth=1
	s_or_b64 exec, exec, s[38:39]
	v_cmp_eq_u16_sdwa s[38:39], v7, v3 src0_sel:BYTE_0 src1_sel:DWORD
	v_and_b32_e32 v10, s39, v9
	v_or_b32_e32 v10, 0x80000000, v10
	ds_bpermute_b32 v60, v15, v6
	v_and_b32_e32 v11, s38, v8
	v_ffbl_b32_e32 v10, v10
	v_add_u32_e32 v10, 32, v10
	v_ffbl_b32_e32 v11, v11
	v_min_u32_e32 v10, v11, v10
	v_cmp_lt_u32_e32 vcc, v14, v10
	s_waitcnt lgkmcnt(0)
	v_cndmask_b32_e32 v11, 0, v60, vcc
	v_add_u32_e32 v6, v11, v6
	ds_bpermute_b32 v11, v16, v6
	v_cmp_le_u32_e32 vcc, v17, v10
	v_subrev_u32_e32 v4, 64, v4
	s_waitcnt lgkmcnt(0)
	v_cndmask_b32_e32 v11, 0, v11, vcc
	v_add_u32_e32 v6, v6, v11
	ds_bpermute_b32 v11, v18, v6
	v_cmp_le_u32_e32 vcc, v19, v10
	s_waitcnt lgkmcnt(0)
	v_cndmask_b32_e32 v11, 0, v11, vcc
	v_add_u32_e32 v6, v6, v11
	ds_bpermute_b32 v11, v53, v6
	v_cmp_le_u32_e32 vcc, v54, v10
	;; [unrolled: 5-line block ×4, first 2 shown]
	s_waitcnt lgkmcnt(0)
	v_cndmask_b32_e32 v10, 0, v11, vcc
	v_add3_u32 v6, v10, v55, v6
.LBB1293_51:                            ; =>This Loop Header: Depth=1
                                        ;     Child Loop BB1293_54 Depth 2
	v_cmp_ne_u16_sdwa s[38:39], v7, v3 src0_sel:BYTE_0 src1_sel:DWORD
	v_cndmask_b32_e64 v7, 0, 1, s[38:39]
	;;#ASMSTART
	;;#ASMEND
	v_cmp_ne_u32_e32 vcc, 0, v7
	s_cmp_lg_u64 vcc, exec
	v_mov_b32_e32 v55, v6
	s_cbranch_scc1 .LBB1293_56
; %bb.52:                               ;   in Loop: Header=BB1293_51 Depth=1
	v_lshlrev_b64 v[6:7], 3, v[4:5]
	v_mov_b32_e32 v11, s35
	v_add_co_u32_e32 v10, vcc, s34, v6
	v_addc_co_u32_e32 v11, vcc, v11, v7, vcc
	global_load_dwordx2 v[6:7], v[10:11], off glc
	s_waitcnt vmcnt(0)
	v_cmp_eq_u16_sdwa s[40:41], v7, v5 src0_sel:BYTE_0 src1_sel:DWORD
	s_and_saveexec_b64 s[38:39], s[40:41]
	s_cbranch_execz .LBB1293_50
; %bb.53:                               ;   in Loop: Header=BB1293_51 Depth=1
	s_mov_b64 s[40:41], 0
.LBB1293_54:                            ;   Parent Loop BB1293_51 Depth=1
                                        ; =>  This Inner Loop Header: Depth=2
	global_load_dwordx2 v[6:7], v[10:11], off glc
	s_waitcnt vmcnt(0)
	v_cmp_ne_u16_sdwa s[44:45], v7, v5 src0_sel:BYTE_0 src1_sel:DWORD
	s_or_b64 s[40:41], s[44:45], s[40:41]
	s_andn2_b64 exec, exec, s[40:41]
	s_cbranch_execnz .LBB1293_54
; %bb.55:                               ;   in Loop: Header=BB1293_51 Depth=1
	s_or_b64 exec, exec, s[40:41]
	s_branch .LBB1293_50
.LBB1293_56:                            ;   in Loop: Header=BB1293_51 Depth=1
                                        ; implicit-def: $vgpr6
                                        ; implicit-def: $vgpr7
	s_cbranch_execz .LBB1293_51
; %bb.57:
	s_and_saveexec_b64 s[38:39], s[16:17]
	s_cbranch_execz .LBB1293_59
; %bb.58:
	s_add_i32 s6, s6, 64
	s_mov_b32 s7, 0
	s_lshl_b64 s[6:7], s[6:7], 3
	s_add_u32 s6, s34, s6
	v_add_u32_e32 v4, v55, v2
	v_mov_b32_e32 v5, 2
	s_addc_u32 s7, s35, s7
	v_mov_b32_e32 v3, 0
	global_store_dwordx2 v3, v[4:5], s[6:7]
	s_movk_i32 s6, 0x3400
	v_add_u32_e64 v3, s6, 0
	ds_write2_b32 v3, v2, v55 offset1:2
.LBB1293_59:
	s_or_b64 exec, exec, s[38:39]
	v_cmp_eq_u32_e32 vcc, 0, v0
	s_and_b64 exec, exec, vcc
	s_cbranch_execz .LBB1293_61
; %bb.60:
	v_mov_b32_e32 v2, 0
	ds_write_b32 v2, v55 offset:12
.LBB1293_61:
	s_or_b64 exec, exec, s[36:37]
	v_mov_b32_e32 v2, 0
	s_waitcnt lgkmcnt(0)
	s_barrier
	ds_read_b32 v2, v2 offset:12
	v_cndmask_b32_e64 v3, v13, v12, s[16:17]
	v_cmp_ne_u32_e32 vcc, 0, v0
	v_cndmask_b32_e32 v3, 0, v3, vcc
	s_movk_i32 s6, 0x3400
	s_waitcnt lgkmcnt(0)
	v_add_u32_e32 v2, v2, v3
	v_add_u32_e32 v3, v2, v41
	;; [unrolled: 1-line block ×8, first 2 shown]
	v_add_u32_e64 v12, s6, 0
	v_add_u32_e32 v10, v9, v39
	s_barrier
	ds_read2_b32 v[18:19], v12 offset1:2
	v_add_u32_e32 v11, v10, v47
	v_add_u32_e32 v12, v11, v48
	;; [unrolled: 1-line block ×4, first 2 shown]
	s_branch .LBB1293_72
.LBB1293_62:
                                        ; implicit-def: $vgpr19
                                        ; implicit-def: $vgpr2_vgpr3_vgpr4_vgpr5_vgpr6_vgpr7_vgpr8_vgpr9_vgpr10_vgpr11_vgpr12_vgpr13_vgpr14_vgpr15_vgpr16_vgpr17
	s_cbranch_execz .LBB1293_72
; %bb.63:
	s_nop 0
	v_mov_b32_dpp v2, v52 row_shr:1 row_mask:0xf bank_mask:0xf
	v_cndmask_b32_e64 v2, v2, 0, s[14:15]
	v_add_u32_e32 v2, v2, v52
	s_nop 1
	v_mov_b32_dpp v3, v2 row_shr:2 row_mask:0xf bank_mask:0xf
	v_cndmask_b32_e64 v3, 0, v3, s[12:13]
	v_add_u32_e32 v2, v2, v3
	;; [unrolled: 4-line block ×4, first 2 shown]
	s_nop 1
	v_mov_b32_dpp v3, v2 row_bcast:15 row_mask:0xf bank_mask:0xf
	v_cndmask_b32_e64 v3, v3, 0, s[18:19]
	v_add_u32_e32 v2, v2, v3
	s_nop 1
	v_mov_b32_dpp v3, v2 row_bcast:31 row_mask:0xf bank_mask:0xf
	v_cndmask_b32_e64 v3, 0, v3, s[2:3]
	v_add_u32_e32 v2, v2, v3
	s_and_saveexec_b64 s[2:3], s[4:5]
	s_cbranch_execz .LBB1293_65
; %bb.64:
	v_lshlrev_b32_e32 v3, 2, v51
	ds_write_b32 v3, v2
.LBB1293_65:
	s_or_b64 exec, exec, s[2:3]
	v_cmp_gt_u32_e32 vcc, 4, v0
	s_waitcnt lgkmcnt(0)
	s_barrier
	s_and_saveexec_b64 s[2:3], vcc
	s_cbranch_execz .LBB1293_67
; %bb.66:
	ds_read_b32 v3, v1
	v_and_b32_e32 v4, 3, v50
	v_cmp_ne_u32_e32 vcc, 0, v4
	s_waitcnt lgkmcnt(0)
	v_mov_b32_dpp v5, v3 row_shr:1 row_mask:0xf bank_mask:0xf
	v_cndmask_b32_e32 v5, 0, v5, vcc
	v_add_u32_e32 v3, v5, v3
	v_cmp_lt_u32_e32 vcc, 1, v4
	s_nop 0
	v_mov_b32_dpp v5, v3 row_shr:2 row_mask:0xf bank_mask:0xf
	v_cndmask_b32_e32 v4, 0, v5, vcc
	v_add_u32_e32 v3, v3, v4
	ds_write_b32 v1, v3
.LBB1293_67:
	s_or_b64 exec, exec, s[2:3]
	v_cmp_lt_u32_e32 vcc, 63, v0
	v_mov_b32_e32 v4, 0
	v_mov_b32_e32 v3, 0
	s_waitcnt lgkmcnt(0)
	s_barrier
	s_and_saveexec_b64 s[2:3], vcc
	s_cbranch_execz .LBB1293_69
; %bb.68:
	v_lshl_add_u32 v3, v51, 2, -4
	ds_read_b32 v3, v3
.LBB1293_69:
	s_or_b64 exec, exec, s[2:3]
	v_add_u32_e32 v5, -1, v50
	v_and_b32_e32 v6, 64, v50
	v_cmp_lt_i32_e32 vcc, v5, v6
	v_cndmask_b32_e32 v5, v5, v50, vcc
	s_waitcnt lgkmcnt(0)
	v_add_u32_e32 v2, v3, v2
	v_lshlrev_b32_e32 v5, 2, v5
	ds_bpermute_b32 v2, v5, v2
	ds_read_b32 v18, v4 offset:12
	v_cmp_eq_u32_e32 vcc, 0, v0
	s_and_saveexec_b64 s[2:3], vcc
	s_cbranch_execz .LBB1293_71
; %bb.70:
	v_mov_b32_e32 v4, 0
	v_mov_b32_e32 v19, 2
	s_waitcnt lgkmcnt(0)
	global_store_dwordx2 v4, v[18:19], s[34:35] offset:512
.LBB1293_71:
	s_or_b64 exec, exec, s[2:3]
	v_cmp_eq_u32_e64 s[2:3], 0, v50
	s_waitcnt lgkmcnt(1)
	v_cndmask_b32_e64 v2, v2, v3, s[2:3]
	v_cndmask_b32_e64 v2, v2, 0, vcc
	v_add_u32_e32 v3, v2, v41
	v_add_u32_e32 v4, v3, v42
	;; [unrolled: 1-line block ×11, first 2 shown]
	v_mov_b32_e32 v19, 0
	v_add_u32_e32 v14, v13, v38
	s_waitcnt lgkmcnt(0)
	s_barrier
.LBB1293_72:
	s_waitcnt lgkmcnt(0)
	v_add_u32_e32 v33, v18, v33
	v_sub_u32_e32 v2, v2, v19
	v_and_b32_e32 v42, 1, v37
	v_sub_u32_e32 v41, v33, v2
	v_cmp_eq_u32_e32 vcc, 1, v42
	v_cndmask_b32_e32 v2, v41, v2, vcc
	v_lshlrev_b32_e32 v2, 2, v2
	v_lshrrev_b32_e32 v17, 8, v37
	ds_write_b32 v2, v30
	v_sub_u32_e32 v2, v3, v19
	v_sub_u32_e32 v3, v33, v2
	v_and_b32_e32 v17, 1, v17
	v_add_u32_e32 v3, 1, v3
	v_cmp_eq_u32_e32 vcc, 1, v17
	v_cndmask_b32_e32 v2, v3, v2, vcc
	v_lshlrev_b32_e32 v2, 2, v2
	ds_write_b32 v2, v31
	v_sub_u32_e32 v2, v4, v19
	v_mov_b32_e32 v4, 1
	v_sub_u32_e32 v3, v33, v2
	v_and_b32_sdwa v17, v4, v37 dst_sel:DWORD dst_unused:UNUSED_PAD src0_sel:DWORD src1_sel:WORD_1
	v_add_u32_e32 v3, 2, v3
	v_cmp_eq_u32_e32 vcc, 1, v17
	v_cndmask_b32_e32 v2, v3, v2, vcc
	v_lshlrev_b32_e32 v2, 2, v2
	ds_write_b32 v2, v28
	v_sub_u32_e32 v2, v5, v19
	v_sub_u32_e32 v3, v33, v2
	v_and_b32_e32 v5, 1, v40
	v_add_u32_e32 v3, 3, v3
	v_cmp_eq_u32_e32 vcc, 1, v5
	v_cndmask_b32_e32 v2, v3, v2, vcc
	v_lshlrev_b32_e32 v2, 2, v2
	ds_write_b32 v2, v29
	v_sub_u32_e32 v2, v6, v19
	v_sub_u32_e32 v3, v33, v2
	v_and_b32_e32 v5, 1, v36
	v_add_u32_e32 v3, 4, v3
	v_cmp_eq_u32_e32 vcc, 1, v5
	v_cndmask_b32_e32 v2, v3, v2, vcc
	v_lshlrev_b32_e32 v2, 2, v2
	v_lshrrev_b32_e32 v16, 8, v36
	ds_write_b32 v2, v26
	v_sub_u32_e32 v2, v7, v19
	v_sub_u32_e32 v3, v33, v2
	v_and_b32_e32 v5, 1, v16
	v_add_u32_e32 v3, 5, v3
	v_cmp_eq_u32_e32 vcc, 1, v5
	v_cndmask_b32_e32 v2, v3, v2, vcc
	v_lshlrev_b32_e32 v2, 2, v2
	ds_write_b32 v2, v27
	v_sub_u32_e32 v2, v8, v19
	v_sub_u32_e32 v3, v33, v2
	v_and_b32_sdwa v5, v4, v36 dst_sel:DWORD dst_unused:UNUSED_PAD src0_sel:DWORD src1_sel:WORD_1
	v_add_u32_e32 v3, 6, v3
	v_cmp_eq_u32_e32 vcc, 1, v5
	v_cndmask_b32_e32 v2, v3, v2, vcc
	v_lshlrev_b32_e32 v2, 2, v2
	ds_write_b32 v2, v24
	v_sub_u32_e32 v2, v9, v19
	v_sub_u32_e32 v3, v33, v2
	v_and_b32_e32 v5, 1, v39
	v_add_u32_e32 v3, 7, v3
	v_cmp_eq_u32_e32 vcc, 1, v5
	v_cndmask_b32_e32 v2, v3, v2, vcc
	v_lshlrev_b32_e32 v2, 2, v2
	ds_write_b32 v2, v25
	v_sub_u32_e32 v2, v10, v19
	v_sub_u32_e32 v3, v33, v2
	v_and_b32_e32 v5, 1, v35
	v_add_u32_e32 v3, 8, v3
	v_cmp_eq_u32_e32 vcc, 1, v5
	v_cndmask_b32_e32 v2, v3, v2, vcc
	v_lshlrev_b32_e32 v2, 2, v2
	v_lshrrev_b32_e32 v15, 8, v35
	ds_write_b32 v2, v22
	v_sub_u32_e32 v2, v11, v19
	v_sub_u32_e32 v3, v33, v2
	v_and_b32_e32 v5, 1, v15
	v_add_u32_e32 v3, 9, v3
	v_cmp_eq_u32_e32 vcc, 1, v5
	v_cndmask_b32_e32 v2, v3, v2, vcc
	v_lshlrev_b32_e32 v2, 2, v2
	ds_write_b32 v2, v23
	v_sub_u32_e32 v2, v12, v19
	v_sub_u32_e32 v3, v33, v2
	v_and_b32_sdwa v4, v4, v35 dst_sel:DWORD dst_unused:UNUSED_PAD src0_sel:DWORD src1_sel:WORD_1
	v_add_u32_e32 v3, 10, v3
	v_cmp_eq_u32_e32 vcc, 1, v4
	v_cndmask_b32_e32 v2, v3, v2, vcc
	v_lshlrev_b32_e32 v2, 2, v2
	ds_write_b32 v2, v20
	v_sub_u32_e32 v2, v13, v19
	v_sub_u32_e32 v3, v33, v2
	v_and_b32_e32 v4, 1, v38
	v_add_u32_e32 v3, 11, v3
	v_cmp_eq_u32_e32 vcc, 1, v4
	v_cndmask_b32_e32 v2, v3, v2, vcc
	v_lshlrev_b32_e32 v2, 2, v2
	ds_write_b32 v2, v21
	v_sub_u32_e32 v2, v14, v19
	v_sub_u32_e32 v3, v33, v2
	v_and_b32_e32 v4, 1, v34
	v_add_u32_e32 v3, 12, v3
	v_cmp_eq_u32_e32 vcc, 1, v4
	v_cndmask_b32_e32 v2, v3, v2, vcc
	s_add_u32 s2, s28, s42
	v_lshlrev_b32_e32 v2, 2, v2
	s_addc_u32 s3, s29, 0
	ds_write_b32 v2, v32
	s_waitcnt lgkmcnt(0)
	s_barrier
	ds_read2st64_b32 v[12:13], v1 offset1:4
	ds_read2st64_b32 v[10:11], v1 offset0:8 offset1:12
	ds_read2st64_b32 v[8:9], v1 offset0:16 offset1:20
	;; [unrolled: 1-line block ×5, first 2 shown]
	ds_read_b32 v17, v1 offset:12288
	v_mov_b32_e32 v14, s31
	v_add_co_u32_e32 v1, vcc, s30, v19
	s_sub_u32 s2, s26, s2
	v_addc_co_u32_e32 v16, vcc, 0, v14, vcc
	s_subb_u32 s3, s27, s3
	v_mov_b32_e32 v14, s3
	v_add_co_u32_e32 v15, vcc, s2, v18
	v_addc_co_u32_e32 v14, vcc, 0, v14, vcc
	s_and_b64 vcc, exec, s[0:1]
	v_add_co_u32_e64 v19, s[0:1], v15, v1
	v_or_b32_e32 v32, 0x100, v0
	v_or_b32_e32 v31, 0x200, v0
	v_or_b32_e32 v30, 0x300, v0
	v_or_b32_e32 v29, 0x400, v0
	v_or_b32_e32 v28, 0x500, v0
	v_or_b32_e32 v27, 0x600, v0
	v_or_b32_e32 v26, 0x700, v0
	v_or_b32_e32 v25, 0x800, v0
	v_or_b32_e32 v24, 0x900, v0
	v_or_b32_e32 v23, 0xa00, v0
	v_or_b32_e32 v22, 0xb00, v0
	v_or_b32_e32 v20, 0xc00, v0
	v_addc_co_u32_e64 v21, s[0:1], v14, v16, s[0:1]
	s_cbranch_vccnz .LBB1293_126
; %bb.73:
	v_cmp_ge_u32_e32 vcc, v0, v18
                                        ; implicit-def: $vgpr14_vgpr15
	s_and_saveexec_b64 s[0:1], vcc
	s_xor_b64 s[0:1], exec, s[0:1]
; %bb.74:
	v_not_b32_e32 v14, v0
	v_ashrrev_i32_e32 v15, 31, v14
	v_add_co_u32_e32 v14, vcc, v19, v14
	v_addc_co_u32_e32 v15, vcc, v21, v15, vcc
; %bb.75:
	s_andn2_saveexec_b64 s[0:1], s[0:1]
; %bb.76:
	v_add_co_u32_e32 v14, vcc, v1, v0
	v_addc_co_u32_e32 v15, vcc, 0, v16, vcc
; %bb.77:
	s_or_b64 exec, exec, s[0:1]
	v_lshlrev_b64 v[14:15], 2, v[14:15]
	v_mov_b32_e32 v33, s25
	v_add_co_u32_e32 v14, vcc, s24, v14
	v_addc_co_u32_e32 v15, vcc, v33, v15, vcc
	v_cmp_ge_u32_e32 vcc, v32, v18
	s_waitcnt lgkmcnt(6)
	global_store_dword v[14:15], v12, off
                                        ; implicit-def: $vgpr14_vgpr15
	s_and_saveexec_b64 s[0:1], vcc
	s_xor_b64 s[0:1], exec, s[0:1]
; %bb.78:
	v_xor_b32_e32 v14, 0xfffffeff, v0
	v_ashrrev_i32_e32 v15, 31, v14
	v_add_co_u32_e32 v14, vcc, v19, v14
	v_addc_co_u32_e32 v15, vcc, v21, v15, vcc
; %bb.79:
	s_andn2_saveexec_b64 s[0:1], s[0:1]
; %bb.80:
	v_add_co_u32_e32 v14, vcc, v1, v32
	v_addc_co_u32_e32 v15, vcc, 0, v16, vcc
; %bb.81:
	s_or_b64 exec, exec, s[0:1]
	v_lshlrev_b64 v[14:15], 2, v[14:15]
	v_mov_b32_e32 v33, s25
	v_add_co_u32_e32 v14, vcc, s24, v14
	v_addc_co_u32_e32 v15, vcc, v33, v15, vcc
	v_cmp_ge_u32_e32 vcc, v31, v18
	global_store_dword v[14:15], v13, off
                                        ; implicit-def: $vgpr14_vgpr15
	s_and_saveexec_b64 s[0:1], vcc
	s_xor_b64 s[0:1], exec, s[0:1]
; %bb.82:
	v_xor_b32_e32 v14, 0xfffffdff, v0
	v_ashrrev_i32_e32 v15, 31, v14
	v_add_co_u32_e32 v14, vcc, v19, v14
	v_addc_co_u32_e32 v15, vcc, v21, v15, vcc
; %bb.83:
	s_andn2_saveexec_b64 s[0:1], s[0:1]
; %bb.84:
	v_add_co_u32_e32 v14, vcc, v1, v31
	v_addc_co_u32_e32 v15, vcc, 0, v16, vcc
; %bb.85:
	s_or_b64 exec, exec, s[0:1]
	v_lshlrev_b64 v[14:15], 2, v[14:15]
	v_mov_b32_e32 v33, s25
	v_add_co_u32_e32 v14, vcc, s24, v14
	v_addc_co_u32_e32 v15, vcc, v33, v15, vcc
	v_cmp_ge_u32_e32 vcc, v30, v18
	s_waitcnt lgkmcnt(5)
	global_store_dword v[14:15], v10, off
                                        ; implicit-def: $vgpr14_vgpr15
	s_and_saveexec_b64 s[0:1], vcc
	s_xor_b64 s[0:1], exec, s[0:1]
; %bb.86:
	v_xor_b32_e32 v14, 0xfffffcff, v0
	v_ashrrev_i32_e32 v15, 31, v14
	v_add_co_u32_e32 v14, vcc, v19, v14
	v_addc_co_u32_e32 v15, vcc, v21, v15, vcc
; %bb.87:
	s_andn2_saveexec_b64 s[0:1], s[0:1]
; %bb.88:
	v_add_co_u32_e32 v14, vcc, v1, v30
	v_addc_co_u32_e32 v15, vcc, 0, v16, vcc
; %bb.89:
	s_or_b64 exec, exec, s[0:1]
	v_lshlrev_b64 v[14:15], 2, v[14:15]
	v_mov_b32_e32 v33, s25
	v_add_co_u32_e32 v14, vcc, s24, v14
	v_addc_co_u32_e32 v15, vcc, v33, v15, vcc
	v_cmp_ge_u32_e32 vcc, v29, v18
	global_store_dword v[14:15], v11, off
                                        ; implicit-def: $vgpr14_vgpr15
	s_and_saveexec_b64 s[0:1], vcc
	s_xor_b64 s[0:1], exec, s[0:1]
; %bb.90:
	v_xor_b32_e32 v14, 0xfffffbff, v0
	v_ashrrev_i32_e32 v15, 31, v14
	v_add_co_u32_e32 v14, vcc, v19, v14
	v_addc_co_u32_e32 v15, vcc, v21, v15, vcc
; %bb.91:
	s_andn2_saveexec_b64 s[0:1], s[0:1]
; %bb.92:
	v_add_co_u32_e32 v14, vcc, v1, v29
	v_addc_co_u32_e32 v15, vcc, 0, v16, vcc
; %bb.93:
	s_or_b64 exec, exec, s[0:1]
	v_lshlrev_b64 v[14:15], 2, v[14:15]
	v_mov_b32_e32 v33, s25
	v_add_co_u32_e32 v14, vcc, s24, v14
	v_addc_co_u32_e32 v15, vcc, v33, v15, vcc
	v_cmp_ge_u32_e32 vcc, v28, v18
	s_waitcnt lgkmcnt(4)
	global_store_dword v[14:15], v8, off
                                        ; implicit-def: $vgpr14_vgpr15
	s_and_saveexec_b64 s[0:1], vcc
	s_xor_b64 s[0:1], exec, s[0:1]
; %bb.94:
	v_xor_b32_e32 v14, 0xfffffaff, v0
	v_ashrrev_i32_e32 v15, 31, v14
	v_add_co_u32_e32 v14, vcc, v19, v14
	v_addc_co_u32_e32 v15, vcc, v21, v15, vcc
; %bb.95:
	s_andn2_saveexec_b64 s[0:1], s[0:1]
; %bb.96:
	v_add_co_u32_e32 v14, vcc, v1, v28
	v_addc_co_u32_e32 v15, vcc, 0, v16, vcc
; %bb.97:
	s_or_b64 exec, exec, s[0:1]
	v_lshlrev_b64 v[14:15], 2, v[14:15]
	v_mov_b32_e32 v33, s25
	v_add_co_u32_e32 v14, vcc, s24, v14
	v_addc_co_u32_e32 v15, vcc, v33, v15, vcc
	v_cmp_ge_u32_e32 vcc, v27, v18
	global_store_dword v[14:15], v9, off
                                        ; implicit-def: $vgpr14_vgpr15
	s_and_saveexec_b64 s[0:1], vcc
	s_xor_b64 s[0:1], exec, s[0:1]
; %bb.98:
	v_xor_b32_e32 v14, 0xfffff9ff, v0
	v_ashrrev_i32_e32 v15, 31, v14
	v_add_co_u32_e32 v14, vcc, v19, v14
	v_addc_co_u32_e32 v15, vcc, v21, v15, vcc
; %bb.99:
	s_andn2_saveexec_b64 s[0:1], s[0:1]
; %bb.100:
	v_add_co_u32_e32 v14, vcc, v1, v27
	v_addc_co_u32_e32 v15, vcc, 0, v16, vcc
; %bb.101:
	s_or_b64 exec, exec, s[0:1]
	v_lshlrev_b64 v[14:15], 2, v[14:15]
	v_mov_b32_e32 v33, s25
	v_add_co_u32_e32 v14, vcc, s24, v14
	v_addc_co_u32_e32 v15, vcc, v33, v15, vcc
	v_cmp_ge_u32_e32 vcc, v26, v18
	s_waitcnt lgkmcnt(3)
	global_store_dword v[14:15], v6, off
                                        ; implicit-def: $vgpr14_vgpr15
	s_and_saveexec_b64 s[0:1], vcc
	s_xor_b64 s[0:1], exec, s[0:1]
; %bb.102:
	v_xor_b32_e32 v14, 0xfffff8ff, v0
	v_ashrrev_i32_e32 v15, 31, v14
	v_add_co_u32_e32 v14, vcc, v19, v14
	v_addc_co_u32_e32 v15, vcc, v21, v15, vcc
; %bb.103:
	s_andn2_saveexec_b64 s[0:1], s[0:1]
; %bb.104:
	v_add_co_u32_e32 v14, vcc, v1, v26
	v_addc_co_u32_e32 v15, vcc, 0, v16, vcc
; %bb.105:
	s_or_b64 exec, exec, s[0:1]
	v_lshlrev_b64 v[14:15], 2, v[14:15]
	v_mov_b32_e32 v33, s25
	v_add_co_u32_e32 v14, vcc, s24, v14
	v_addc_co_u32_e32 v15, vcc, v33, v15, vcc
	v_cmp_ge_u32_e32 vcc, v25, v18
	global_store_dword v[14:15], v7, off
                                        ; implicit-def: $vgpr14_vgpr15
	s_and_saveexec_b64 s[0:1], vcc
	s_xor_b64 s[0:1], exec, s[0:1]
; %bb.106:
	v_xor_b32_e32 v14, 0xfffff7ff, v0
	v_ashrrev_i32_e32 v15, 31, v14
	v_add_co_u32_e32 v14, vcc, v19, v14
	v_addc_co_u32_e32 v15, vcc, v21, v15, vcc
; %bb.107:
	s_andn2_saveexec_b64 s[0:1], s[0:1]
; %bb.108:
	v_add_co_u32_e32 v14, vcc, v1, v25
	v_addc_co_u32_e32 v15, vcc, 0, v16, vcc
; %bb.109:
	s_or_b64 exec, exec, s[0:1]
	v_lshlrev_b64 v[14:15], 2, v[14:15]
	v_mov_b32_e32 v33, s25
	v_add_co_u32_e32 v14, vcc, s24, v14
	v_addc_co_u32_e32 v15, vcc, v33, v15, vcc
	v_cmp_ge_u32_e32 vcc, v24, v18
	s_waitcnt lgkmcnt(2)
	global_store_dword v[14:15], v4, off
                                        ; implicit-def: $vgpr14_vgpr15
	s_and_saveexec_b64 s[0:1], vcc
	s_xor_b64 s[0:1], exec, s[0:1]
; %bb.110:
	v_xor_b32_e32 v14, 0xfffff6ff, v0
	v_ashrrev_i32_e32 v15, 31, v14
	v_add_co_u32_e32 v14, vcc, v19, v14
	v_addc_co_u32_e32 v15, vcc, v21, v15, vcc
; %bb.111:
	s_andn2_saveexec_b64 s[0:1], s[0:1]
; %bb.112:
	v_add_co_u32_e32 v14, vcc, v1, v24
	v_addc_co_u32_e32 v15, vcc, 0, v16, vcc
; %bb.113:
	s_or_b64 exec, exec, s[0:1]
	v_lshlrev_b64 v[14:15], 2, v[14:15]
	v_mov_b32_e32 v33, s25
	v_add_co_u32_e32 v14, vcc, s24, v14
	v_addc_co_u32_e32 v15, vcc, v33, v15, vcc
	v_cmp_ge_u32_e32 vcc, v23, v18
	global_store_dword v[14:15], v5, off
                                        ; implicit-def: $vgpr14_vgpr15
	s_and_saveexec_b64 s[0:1], vcc
	s_xor_b64 s[0:1], exec, s[0:1]
; %bb.114:
	v_xor_b32_e32 v14, 0xfffff5ff, v0
	v_ashrrev_i32_e32 v15, 31, v14
	v_add_co_u32_e32 v14, vcc, v19, v14
	v_addc_co_u32_e32 v15, vcc, v21, v15, vcc
; %bb.115:
	s_andn2_saveexec_b64 s[0:1], s[0:1]
; %bb.116:
	v_add_co_u32_e32 v14, vcc, v1, v23
	v_addc_co_u32_e32 v15, vcc, 0, v16, vcc
; %bb.117:
	s_or_b64 exec, exec, s[0:1]
	v_lshlrev_b64 v[14:15], 2, v[14:15]
	v_mov_b32_e32 v33, s25
	v_add_co_u32_e32 v14, vcc, s24, v14
	v_addc_co_u32_e32 v15, vcc, v33, v15, vcc
	v_cmp_ge_u32_e32 vcc, v22, v18
	s_waitcnt lgkmcnt(1)
	global_store_dword v[14:15], v2, off
                                        ; implicit-def: $vgpr14_vgpr15
	s_and_saveexec_b64 s[0:1], vcc
	s_xor_b64 s[0:1], exec, s[0:1]
; %bb.118:
	v_xor_b32_e32 v14, 0xfffff4ff, v0
	v_ashrrev_i32_e32 v15, 31, v14
	v_add_co_u32_e32 v14, vcc, v19, v14
	v_addc_co_u32_e32 v15, vcc, v21, v15, vcc
; %bb.119:
	s_andn2_saveexec_b64 s[0:1], s[0:1]
; %bb.120:
	v_add_co_u32_e32 v14, vcc, v1, v22
	v_addc_co_u32_e32 v15, vcc, 0, v16, vcc
; %bb.121:
	s_or_b64 exec, exec, s[0:1]
	v_lshlrev_b64 v[14:15], 2, v[14:15]
	v_mov_b32_e32 v33, s25
	v_add_co_u32_e32 v14, vcc, s24, v14
	v_addc_co_u32_e32 v15, vcc, v33, v15, vcc
	v_cmp_ge_u32_e32 vcc, v20, v18
	global_store_dword v[14:15], v3, off
                                        ; implicit-def: $vgpr14_vgpr15
	s_and_saveexec_b64 s[0:1], vcc
	s_xor_b64 s[0:1], exec, s[0:1]
; %bb.122:
	v_xor_b32_e32 v14, 0xfffff3ff, v0
	v_ashrrev_i32_e32 v15, 31, v14
	v_add_co_u32_e32 v14, vcc, v19, v14
	v_addc_co_u32_e32 v15, vcc, v21, v15, vcc
; %bb.123:
	s_andn2_saveexec_b64 s[0:1], s[0:1]
; %bb.124:
	v_add_co_u32_e32 v14, vcc, v1, v20
	v_addc_co_u32_e32 v15, vcc, 0, v16, vcc
; %bb.125:
	s_or_b64 exec, exec, s[0:1]
	s_mov_b64 s[0:1], -1
	s_branch .LBB1293_206
.LBB1293_126:
	s_mov_b64 s[0:1], 0
                                        ; implicit-def: $vgpr14_vgpr15
	s_cbranch_execz .LBB1293_206
; %bb.127:
	v_cmp_gt_u32_e32 vcc, s33, v0
	s_and_saveexec_b64 s[2:3], vcc
	s_cbranch_execz .LBB1293_163
; %bb.128:
	v_cmp_ge_u32_e32 vcc, v0, v18
                                        ; implicit-def: $vgpr14_vgpr15
	s_and_saveexec_b64 s[4:5], vcc
	s_xor_b64 s[4:5], exec, s[4:5]
; %bb.129:
	v_not_b32_e32 v14, v0
	v_ashrrev_i32_e32 v15, 31, v14
	v_add_co_u32_e32 v14, vcc, v19, v14
	v_addc_co_u32_e32 v15, vcc, v21, v15, vcc
; %bb.130:
	s_andn2_saveexec_b64 s[4:5], s[4:5]
; %bb.131:
	v_add_co_u32_e32 v14, vcc, v1, v0
	v_addc_co_u32_e32 v15, vcc, 0, v16, vcc
; %bb.132:
	s_or_b64 exec, exec, s[4:5]
	v_lshlrev_b64 v[14:15], 2, v[14:15]
	v_mov_b32_e32 v33, s25
	v_add_co_u32_e32 v14, vcc, s24, v14
	v_addc_co_u32_e32 v15, vcc, v33, v15, vcc
	s_waitcnt lgkmcnt(6)
	global_store_dword v[14:15], v12, off
	s_or_b64 exec, exec, s[2:3]
	v_cmp_gt_u32_e32 vcc, s33, v32
	s_and_saveexec_b64 s[2:3], vcc
	s_cbranch_execnz .LBB1293_164
.LBB1293_133:
	s_or_b64 exec, exec, s[2:3]
	v_cmp_gt_u32_e32 vcc, s33, v31
	s_and_saveexec_b64 s[2:3], vcc
	s_cbranch_execz .LBB1293_169
.LBB1293_134:
	v_cmp_ge_u32_e32 vcc, v31, v18
                                        ; implicit-def: $vgpr12_vgpr13
	s_and_saveexec_b64 s[4:5], vcc
	s_xor_b64 s[4:5], exec, s[4:5]
	s_cbranch_execz .LBB1293_136
; %bb.135:
	s_waitcnt lgkmcnt(6)
	v_xor_b32_e32 v12, 0xfffffdff, v0
	v_ashrrev_i32_e32 v13, 31, v12
	v_add_co_u32_e32 v12, vcc, v19, v12
	v_addc_co_u32_e32 v13, vcc, v21, v13, vcc
                                        ; implicit-def: $vgpr31
.LBB1293_136:
	s_andn2_saveexec_b64 s[4:5], s[4:5]
	s_cbranch_execz .LBB1293_138
; %bb.137:
	s_waitcnt lgkmcnt(6)
	v_add_co_u32_e32 v12, vcc, v1, v31
	v_addc_co_u32_e32 v13, vcc, 0, v16, vcc
.LBB1293_138:
	s_or_b64 exec, exec, s[4:5]
	s_waitcnt lgkmcnt(6)
	v_lshlrev_b64 v[12:13], 2, v[12:13]
	v_mov_b32_e32 v14, s25
	v_add_co_u32_e32 v12, vcc, s24, v12
	v_addc_co_u32_e32 v13, vcc, v14, v13, vcc
	s_waitcnt lgkmcnt(5)
	global_store_dword v[12:13], v10, off
	s_or_b64 exec, exec, s[2:3]
	v_cmp_gt_u32_e32 vcc, s33, v30
	s_and_saveexec_b64 s[2:3], vcc
	s_cbranch_execnz .LBB1293_170
.LBB1293_139:
	s_or_b64 exec, exec, s[2:3]
	v_cmp_gt_u32_e32 vcc, s33, v29
	s_and_saveexec_b64 s[2:3], vcc
	s_cbranch_execz .LBB1293_175
.LBB1293_140:
	v_cmp_ge_u32_e32 vcc, v29, v18
                                        ; implicit-def: $vgpr10_vgpr11
	s_and_saveexec_b64 s[4:5], vcc
	s_xor_b64 s[4:5], exec, s[4:5]
	s_cbranch_execz .LBB1293_142
; %bb.141:
	s_waitcnt lgkmcnt(5)
	v_xor_b32_e32 v10, 0xfffffbff, v0
	v_ashrrev_i32_e32 v11, 31, v10
	v_add_co_u32_e32 v10, vcc, v19, v10
	v_addc_co_u32_e32 v11, vcc, v21, v11, vcc
                                        ; implicit-def: $vgpr29
.LBB1293_142:
	s_andn2_saveexec_b64 s[4:5], s[4:5]
	s_cbranch_execz .LBB1293_144
; %bb.143:
	s_waitcnt lgkmcnt(5)
	v_add_co_u32_e32 v10, vcc, v1, v29
	v_addc_co_u32_e32 v11, vcc, 0, v16, vcc
.LBB1293_144:
	s_or_b64 exec, exec, s[4:5]
	s_waitcnt lgkmcnt(5)
	v_lshlrev_b64 v[10:11], 2, v[10:11]
	v_mov_b32_e32 v12, s25
	v_add_co_u32_e32 v10, vcc, s24, v10
	v_addc_co_u32_e32 v11, vcc, v12, v11, vcc
	s_waitcnt lgkmcnt(4)
	global_store_dword v[10:11], v8, off
	s_or_b64 exec, exec, s[2:3]
	v_cmp_gt_u32_e32 vcc, s33, v28
	s_and_saveexec_b64 s[2:3], vcc
	s_cbranch_execnz .LBB1293_176
.LBB1293_145:
	s_or_b64 exec, exec, s[2:3]
	v_cmp_gt_u32_e32 vcc, s33, v27
	s_and_saveexec_b64 s[2:3], vcc
	s_cbranch_execz .LBB1293_181
.LBB1293_146:
	v_cmp_ge_u32_e32 vcc, v27, v18
                                        ; implicit-def: $vgpr8_vgpr9
	s_and_saveexec_b64 s[4:5], vcc
	s_xor_b64 s[4:5], exec, s[4:5]
	s_cbranch_execz .LBB1293_148
; %bb.147:
	s_waitcnt lgkmcnt(4)
	v_xor_b32_e32 v8, 0xfffff9ff, v0
	v_ashrrev_i32_e32 v9, 31, v8
	v_add_co_u32_e32 v8, vcc, v19, v8
	v_addc_co_u32_e32 v9, vcc, v21, v9, vcc
                                        ; implicit-def: $vgpr27
.LBB1293_148:
	s_andn2_saveexec_b64 s[4:5], s[4:5]
	s_cbranch_execz .LBB1293_150
; %bb.149:
	s_waitcnt lgkmcnt(4)
	v_add_co_u32_e32 v8, vcc, v1, v27
	v_addc_co_u32_e32 v9, vcc, 0, v16, vcc
.LBB1293_150:
	s_or_b64 exec, exec, s[4:5]
	s_waitcnt lgkmcnt(4)
	v_lshlrev_b64 v[8:9], 2, v[8:9]
	v_mov_b32_e32 v10, s25
	v_add_co_u32_e32 v8, vcc, s24, v8
	v_addc_co_u32_e32 v9, vcc, v10, v9, vcc
	s_waitcnt lgkmcnt(3)
	global_store_dword v[8:9], v6, off
	s_or_b64 exec, exec, s[2:3]
	v_cmp_gt_u32_e32 vcc, s33, v26
	s_and_saveexec_b64 s[2:3], vcc
	s_cbranch_execnz .LBB1293_182
.LBB1293_151:
	s_or_b64 exec, exec, s[2:3]
	v_cmp_gt_u32_e32 vcc, s33, v25
	s_and_saveexec_b64 s[2:3], vcc
	s_cbranch_execz .LBB1293_187
.LBB1293_152:
	v_cmp_ge_u32_e32 vcc, v25, v18
                                        ; implicit-def: $vgpr6_vgpr7
	s_and_saveexec_b64 s[4:5], vcc
	s_xor_b64 s[4:5], exec, s[4:5]
	s_cbranch_execz .LBB1293_154
; %bb.153:
	s_waitcnt lgkmcnt(3)
	v_xor_b32_e32 v6, 0xfffff7ff, v0
	v_ashrrev_i32_e32 v7, 31, v6
	v_add_co_u32_e32 v6, vcc, v19, v6
	v_addc_co_u32_e32 v7, vcc, v21, v7, vcc
                                        ; implicit-def: $vgpr25
.LBB1293_154:
	s_andn2_saveexec_b64 s[4:5], s[4:5]
	s_cbranch_execz .LBB1293_156
; %bb.155:
	s_waitcnt lgkmcnt(3)
	v_add_co_u32_e32 v6, vcc, v1, v25
	v_addc_co_u32_e32 v7, vcc, 0, v16, vcc
.LBB1293_156:
	s_or_b64 exec, exec, s[4:5]
	s_waitcnt lgkmcnt(3)
	v_lshlrev_b64 v[6:7], 2, v[6:7]
	v_mov_b32_e32 v8, s25
	v_add_co_u32_e32 v6, vcc, s24, v6
	v_addc_co_u32_e32 v7, vcc, v8, v7, vcc
	s_waitcnt lgkmcnt(2)
	global_store_dword v[6:7], v4, off
	s_or_b64 exec, exec, s[2:3]
	v_cmp_gt_u32_e32 vcc, s33, v24
	s_and_saveexec_b64 s[2:3], vcc
	s_cbranch_execnz .LBB1293_188
.LBB1293_157:
	s_or_b64 exec, exec, s[2:3]
	v_cmp_gt_u32_e32 vcc, s33, v23
	s_and_saveexec_b64 s[2:3], vcc
	s_cbranch_execz .LBB1293_193
.LBB1293_158:
	v_cmp_ge_u32_e32 vcc, v23, v18
                                        ; implicit-def: $vgpr4_vgpr5
	s_and_saveexec_b64 s[4:5], vcc
	s_xor_b64 s[4:5], exec, s[4:5]
	s_cbranch_execz .LBB1293_160
; %bb.159:
	s_waitcnt lgkmcnt(2)
	v_xor_b32_e32 v4, 0xfffff5ff, v0
	v_ashrrev_i32_e32 v5, 31, v4
	v_add_co_u32_e32 v4, vcc, v19, v4
	v_addc_co_u32_e32 v5, vcc, v21, v5, vcc
                                        ; implicit-def: $vgpr23
.LBB1293_160:
	s_andn2_saveexec_b64 s[4:5], s[4:5]
	s_cbranch_execz .LBB1293_162
; %bb.161:
	s_waitcnt lgkmcnt(2)
	v_add_co_u32_e32 v4, vcc, v1, v23
	v_addc_co_u32_e32 v5, vcc, 0, v16, vcc
.LBB1293_162:
	s_or_b64 exec, exec, s[4:5]
	s_waitcnt lgkmcnt(2)
	v_lshlrev_b64 v[4:5], 2, v[4:5]
	v_mov_b32_e32 v6, s25
	v_add_co_u32_e32 v4, vcc, s24, v4
	v_addc_co_u32_e32 v5, vcc, v6, v5, vcc
	s_waitcnt lgkmcnt(1)
	global_store_dword v[4:5], v2, off
	s_or_b64 exec, exec, s[2:3]
	v_cmp_gt_u32_e32 vcc, s33, v22
	s_and_saveexec_b64 s[2:3], vcc
	s_cbranch_execz .LBB1293_199
	s_branch .LBB1293_194
.LBB1293_163:
	s_or_b64 exec, exec, s[2:3]
	v_cmp_gt_u32_e32 vcc, s33, v32
	s_and_saveexec_b64 s[2:3], vcc
	s_cbranch_execz .LBB1293_133
.LBB1293_164:
	v_cmp_ge_u32_e32 vcc, v32, v18
                                        ; implicit-def: $vgpr14_vgpr15
	s_and_saveexec_b64 s[4:5], vcc
	s_xor_b64 s[4:5], exec, s[4:5]
	s_cbranch_execz .LBB1293_166
; %bb.165:
	s_waitcnt lgkmcnt(6)
	v_xor_b32_e32 v12, 0xfffffeff, v0
	v_ashrrev_i32_e32 v15, 31, v12
	v_add_co_u32_e32 v14, vcc, v19, v12
	v_addc_co_u32_e32 v15, vcc, v21, v15, vcc
                                        ; implicit-def: $vgpr32
.LBB1293_166:
	s_andn2_saveexec_b64 s[4:5], s[4:5]
; %bb.167:
	v_add_co_u32_e32 v14, vcc, v1, v32
	v_addc_co_u32_e32 v15, vcc, 0, v16, vcc
; %bb.168:
	s_or_b64 exec, exec, s[4:5]
	v_lshlrev_b64 v[14:15], 2, v[14:15]
	s_waitcnt lgkmcnt(6)
	v_mov_b32_e32 v12, s25
	v_add_co_u32_e32 v14, vcc, s24, v14
	v_addc_co_u32_e32 v15, vcc, v12, v15, vcc
	global_store_dword v[14:15], v13, off
	s_or_b64 exec, exec, s[2:3]
	v_cmp_gt_u32_e32 vcc, s33, v31
	s_and_saveexec_b64 s[2:3], vcc
	s_cbranch_execnz .LBB1293_134
.LBB1293_169:
	s_or_b64 exec, exec, s[2:3]
	v_cmp_gt_u32_e32 vcc, s33, v30
	s_and_saveexec_b64 s[2:3], vcc
	s_cbranch_execz .LBB1293_139
.LBB1293_170:
	v_cmp_ge_u32_e32 vcc, v30, v18
                                        ; implicit-def: $vgpr12_vgpr13
	s_and_saveexec_b64 s[4:5], vcc
	s_xor_b64 s[4:5], exec, s[4:5]
	s_cbranch_execz .LBB1293_172
; %bb.171:
	s_waitcnt lgkmcnt(5)
	v_xor_b32_e32 v10, 0xfffffcff, v0
	v_ashrrev_i32_e32 v13, 31, v10
	v_add_co_u32_e32 v12, vcc, v19, v10
	v_addc_co_u32_e32 v13, vcc, v21, v13, vcc
                                        ; implicit-def: $vgpr30
.LBB1293_172:
	s_andn2_saveexec_b64 s[4:5], s[4:5]
	s_cbranch_execz .LBB1293_174
; %bb.173:
	s_waitcnt lgkmcnt(6)
	v_add_co_u32_e32 v12, vcc, v1, v30
	v_addc_co_u32_e32 v13, vcc, 0, v16, vcc
.LBB1293_174:
	s_or_b64 exec, exec, s[4:5]
	s_waitcnt lgkmcnt(6)
	v_lshlrev_b64 v[12:13], 2, v[12:13]
	s_waitcnt lgkmcnt(5)
	v_mov_b32_e32 v10, s25
	v_add_co_u32_e32 v12, vcc, s24, v12
	v_addc_co_u32_e32 v13, vcc, v10, v13, vcc
	global_store_dword v[12:13], v11, off
	s_or_b64 exec, exec, s[2:3]
	v_cmp_gt_u32_e32 vcc, s33, v29
	s_and_saveexec_b64 s[2:3], vcc
	s_cbranch_execnz .LBB1293_140
.LBB1293_175:
	s_or_b64 exec, exec, s[2:3]
	v_cmp_gt_u32_e32 vcc, s33, v28
	s_and_saveexec_b64 s[2:3], vcc
	s_cbranch_execz .LBB1293_145
.LBB1293_176:
	v_cmp_ge_u32_e32 vcc, v28, v18
                                        ; implicit-def: $vgpr10_vgpr11
	s_and_saveexec_b64 s[4:5], vcc
	s_xor_b64 s[4:5], exec, s[4:5]
	s_cbranch_execz .LBB1293_178
; %bb.177:
	s_waitcnt lgkmcnt(4)
	v_xor_b32_e32 v8, 0xfffffaff, v0
	v_ashrrev_i32_e32 v11, 31, v8
	v_add_co_u32_e32 v10, vcc, v19, v8
	v_addc_co_u32_e32 v11, vcc, v21, v11, vcc
                                        ; implicit-def: $vgpr28
.LBB1293_178:
	s_andn2_saveexec_b64 s[4:5], s[4:5]
	s_cbranch_execz .LBB1293_180
; %bb.179:
	s_waitcnt lgkmcnt(5)
	v_add_co_u32_e32 v10, vcc, v1, v28
	v_addc_co_u32_e32 v11, vcc, 0, v16, vcc
.LBB1293_180:
	s_or_b64 exec, exec, s[4:5]
	s_waitcnt lgkmcnt(5)
	v_lshlrev_b64 v[10:11], 2, v[10:11]
	s_waitcnt lgkmcnt(4)
	v_mov_b32_e32 v8, s25
	v_add_co_u32_e32 v10, vcc, s24, v10
	v_addc_co_u32_e32 v11, vcc, v8, v11, vcc
	global_store_dword v[10:11], v9, off
	s_or_b64 exec, exec, s[2:3]
	v_cmp_gt_u32_e32 vcc, s33, v27
	s_and_saveexec_b64 s[2:3], vcc
	s_cbranch_execnz .LBB1293_146
.LBB1293_181:
	s_or_b64 exec, exec, s[2:3]
	v_cmp_gt_u32_e32 vcc, s33, v26
	s_and_saveexec_b64 s[2:3], vcc
	s_cbranch_execz .LBB1293_151
.LBB1293_182:
	v_cmp_ge_u32_e32 vcc, v26, v18
                                        ; implicit-def: $vgpr8_vgpr9
	s_and_saveexec_b64 s[4:5], vcc
	s_xor_b64 s[4:5], exec, s[4:5]
	s_cbranch_execz .LBB1293_184
; %bb.183:
	s_waitcnt lgkmcnt(3)
	v_xor_b32_e32 v6, 0xfffff8ff, v0
	v_ashrrev_i32_e32 v9, 31, v6
	v_add_co_u32_e32 v8, vcc, v19, v6
	v_addc_co_u32_e32 v9, vcc, v21, v9, vcc
                                        ; implicit-def: $vgpr26
.LBB1293_184:
	s_andn2_saveexec_b64 s[4:5], s[4:5]
	s_cbranch_execz .LBB1293_186
; %bb.185:
	s_waitcnt lgkmcnt(4)
	v_add_co_u32_e32 v8, vcc, v1, v26
	v_addc_co_u32_e32 v9, vcc, 0, v16, vcc
.LBB1293_186:
	s_or_b64 exec, exec, s[4:5]
	s_waitcnt lgkmcnt(4)
	v_lshlrev_b64 v[8:9], 2, v[8:9]
	s_waitcnt lgkmcnt(3)
	v_mov_b32_e32 v6, s25
	v_add_co_u32_e32 v8, vcc, s24, v8
	v_addc_co_u32_e32 v9, vcc, v6, v9, vcc
	global_store_dword v[8:9], v7, off
	s_or_b64 exec, exec, s[2:3]
	v_cmp_gt_u32_e32 vcc, s33, v25
	s_and_saveexec_b64 s[2:3], vcc
	s_cbranch_execnz .LBB1293_152
.LBB1293_187:
	s_or_b64 exec, exec, s[2:3]
	v_cmp_gt_u32_e32 vcc, s33, v24
	s_and_saveexec_b64 s[2:3], vcc
	s_cbranch_execz .LBB1293_157
.LBB1293_188:
	v_cmp_ge_u32_e32 vcc, v24, v18
                                        ; implicit-def: $vgpr6_vgpr7
	s_and_saveexec_b64 s[4:5], vcc
	s_xor_b64 s[4:5], exec, s[4:5]
	s_cbranch_execz .LBB1293_190
; %bb.189:
	s_waitcnt lgkmcnt(2)
	v_xor_b32_e32 v4, 0xfffff6ff, v0
	v_ashrrev_i32_e32 v7, 31, v4
	v_add_co_u32_e32 v6, vcc, v19, v4
	v_addc_co_u32_e32 v7, vcc, v21, v7, vcc
                                        ; implicit-def: $vgpr24
.LBB1293_190:
	s_andn2_saveexec_b64 s[4:5], s[4:5]
	s_cbranch_execz .LBB1293_192
; %bb.191:
	s_waitcnt lgkmcnt(3)
	v_add_co_u32_e32 v6, vcc, v1, v24
	v_addc_co_u32_e32 v7, vcc, 0, v16, vcc
.LBB1293_192:
	s_or_b64 exec, exec, s[4:5]
	s_waitcnt lgkmcnt(3)
	v_lshlrev_b64 v[6:7], 2, v[6:7]
	s_waitcnt lgkmcnt(2)
	v_mov_b32_e32 v4, s25
	v_add_co_u32_e32 v6, vcc, s24, v6
	v_addc_co_u32_e32 v7, vcc, v4, v7, vcc
	global_store_dword v[6:7], v5, off
	s_or_b64 exec, exec, s[2:3]
	v_cmp_gt_u32_e32 vcc, s33, v23
	s_and_saveexec_b64 s[2:3], vcc
	s_cbranch_execnz .LBB1293_158
.LBB1293_193:
	s_or_b64 exec, exec, s[2:3]
	v_cmp_gt_u32_e32 vcc, s33, v22
	s_and_saveexec_b64 s[2:3], vcc
	s_cbranch_execz .LBB1293_199
.LBB1293_194:
	v_cmp_ge_u32_e32 vcc, v22, v18
                                        ; implicit-def: $vgpr4_vgpr5
	s_and_saveexec_b64 s[4:5], vcc
	s_xor_b64 s[4:5], exec, s[4:5]
	s_cbranch_execz .LBB1293_196
; %bb.195:
	s_waitcnt lgkmcnt(1)
	v_xor_b32_e32 v2, 0xfffff4ff, v0
	v_ashrrev_i32_e32 v5, 31, v2
	v_add_co_u32_e32 v4, vcc, v19, v2
	v_addc_co_u32_e32 v5, vcc, v21, v5, vcc
                                        ; implicit-def: $vgpr22
.LBB1293_196:
	s_andn2_saveexec_b64 s[4:5], s[4:5]
	s_cbranch_execz .LBB1293_198
; %bb.197:
	s_waitcnt lgkmcnt(2)
	v_add_co_u32_e32 v4, vcc, v1, v22
	v_addc_co_u32_e32 v5, vcc, 0, v16, vcc
.LBB1293_198:
	s_or_b64 exec, exec, s[4:5]
	s_waitcnt lgkmcnt(2)
	v_lshlrev_b64 v[4:5], 2, v[4:5]
	s_waitcnt lgkmcnt(1)
	v_mov_b32_e32 v2, s25
	v_add_co_u32_e32 v4, vcc, s24, v4
	v_addc_co_u32_e32 v5, vcc, v2, v5, vcc
	global_store_dword v[4:5], v3, off
.LBB1293_199:
	s_or_b64 exec, exec, s[2:3]
	v_cmp_gt_u32_e32 vcc, s33, v20
                                        ; implicit-def: $vgpr14_vgpr15
	s_and_saveexec_b64 s[2:3], vcc
	s_cbranch_execz .LBB1293_205
; %bb.200:
	v_cmp_ge_u32_e32 vcc, v20, v18
                                        ; implicit-def: $vgpr14_vgpr15
	s_and_saveexec_b64 s[4:5], vcc
	s_xor_b64 s[4:5], exec, s[4:5]
	s_cbranch_execz .LBB1293_202
; %bb.201:
	s_waitcnt lgkmcnt(1)
	v_xor_b32_e32 v2, 0xfffff3ff, v0
	v_ashrrev_i32_e32 v3, 31, v2
	v_add_co_u32_e32 v14, vcc, v19, v2
	v_addc_co_u32_e32 v15, vcc, v21, v3, vcc
                                        ; implicit-def: $vgpr20
.LBB1293_202:
	s_andn2_saveexec_b64 s[4:5], s[4:5]
; %bb.203:
	v_add_co_u32_e32 v14, vcc, v1, v20
	v_addc_co_u32_e32 v15, vcc, 0, v16, vcc
; %bb.204:
	s_or_b64 exec, exec, s[4:5]
	s_or_b64 s[0:1], s[0:1], exec
.LBB1293_205:
	s_or_b64 exec, exec, s[2:3]
.LBB1293_206:
	s_and_saveexec_b64 s[2:3], s[0:1]
	s_cbranch_execz .LBB1293_208
; %bb.207:
	s_waitcnt lgkmcnt(1)
	v_lshlrev_b64 v[2:3], 2, v[14:15]
	v_mov_b32_e32 v4, s25
	v_add_co_u32_e32 v2, vcc, s24, v2
	v_addc_co_u32_e32 v3, vcc, v4, v3, vcc
	s_waitcnt lgkmcnt(0)
	global_store_dword v[2:3], v17, off
.LBB1293_208:
	s_or_b64 exec, exec, s[2:3]
	v_cmp_eq_u32_e32 vcc, 0, v0
	s_and_b64 s[0:1], vcc, s[22:23]
	s_and_saveexec_b64 s[2:3], s[0:1]
	s_cbranch_execz .LBB1293_210
; %bb.209:
	v_add_co_u32_e32 v0, vcc, v1, v18
	s_waitcnt lgkmcnt(1)
	v_mov_b32_e32 v2, 0
	v_addc_co_u32_e32 v1, vcc, 0, v16, vcc
	global_store_dwordx2 v2, v[0:1], s[20:21]
.LBB1293_210:
	s_endpgm
	.section	.rodata,"a",@progbits
	.p2align	6, 0x0
	.amdhsa_kernel _ZN7rocprim17ROCPRIM_400000_NS6detail17trampoline_kernelINS0_13select_configILj256ELj13ELNS0_17block_load_methodE3ELS4_3ELS4_3ELNS0_20block_scan_algorithmE0ELj4294967295EEENS1_25partition_config_selectorILNS1_17partition_subalgoE3EjNS0_10empty_typeEbEEZZNS1_14partition_implILS8_3ELb0ES6_jNS0_17counting_iteratorIjlEEPS9_SE_NS0_5tupleIJPjSE_EEENSF_IJSE_SE_EEES9_SG_JZNS1_25segmented_radix_sort_implINS0_14default_configELb1EPKfPfPKlPlN2at6native12_GLOBAL__N_18offset_tEEE10hipError_tPvRmT1_PNSt15iterator_traitsISY_E10value_typeET2_T3_PNSZ_IS14_E10value_typeET4_jRbjT5_S1A_jjP12ihipStream_tbEUljE_EEESV_SW_SX_S14_S18_S1A_T6_T7_T9_mT8_S1C_bDpT10_ENKUlT_T0_E_clISt17integral_constantIbLb0EES1P_EEDaS1K_S1L_EUlS1K_E_NS1_11comp_targetILNS1_3genE4ELNS1_11target_archE910ELNS1_3gpuE8ELNS1_3repE0EEENS1_30default_config_static_selectorELNS0_4arch9wavefront6targetE1EEEvSY_
		.amdhsa_group_segment_fixed_size 13324
		.amdhsa_private_segment_fixed_size 0
		.amdhsa_kernarg_size 144
		.amdhsa_user_sgpr_count 6
		.amdhsa_user_sgpr_private_segment_buffer 1
		.amdhsa_user_sgpr_dispatch_ptr 0
		.amdhsa_user_sgpr_queue_ptr 0
		.amdhsa_user_sgpr_kernarg_segment_ptr 1
		.amdhsa_user_sgpr_dispatch_id 0
		.amdhsa_user_sgpr_flat_scratch_init 0
		.amdhsa_user_sgpr_kernarg_preload_length 0
		.amdhsa_user_sgpr_kernarg_preload_offset 0
		.amdhsa_user_sgpr_private_segment_size 0
		.amdhsa_uses_dynamic_stack 0
		.amdhsa_system_sgpr_private_segment_wavefront_offset 0
		.amdhsa_system_sgpr_workgroup_id_x 1
		.amdhsa_system_sgpr_workgroup_id_y 0
		.amdhsa_system_sgpr_workgroup_id_z 0
		.amdhsa_system_sgpr_workgroup_info 0
		.amdhsa_system_vgpr_workitem_id 0
		.amdhsa_next_free_vgpr 61
		.amdhsa_next_free_sgpr 46
		.amdhsa_accum_offset 64
		.amdhsa_reserve_vcc 1
		.amdhsa_reserve_flat_scratch 0
		.amdhsa_float_round_mode_32 0
		.amdhsa_float_round_mode_16_64 0
		.amdhsa_float_denorm_mode_32 3
		.amdhsa_float_denorm_mode_16_64 3
		.amdhsa_dx10_clamp 1
		.amdhsa_ieee_mode 1
		.amdhsa_fp16_overflow 0
		.amdhsa_tg_split 0
		.amdhsa_exception_fp_ieee_invalid_op 0
		.amdhsa_exception_fp_denorm_src 0
		.amdhsa_exception_fp_ieee_div_zero 0
		.amdhsa_exception_fp_ieee_overflow 0
		.amdhsa_exception_fp_ieee_underflow 0
		.amdhsa_exception_fp_ieee_inexact 0
		.amdhsa_exception_int_div_zero 0
	.end_amdhsa_kernel
	.section	.text._ZN7rocprim17ROCPRIM_400000_NS6detail17trampoline_kernelINS0_13select_configILj256ELj13ELNS0_17block_load_methodE3ELS4_3ELS4_3ELNS0_20block_scan_algorithmE0ELj4294967295EEENS1_25partition_config_selectorILNS1_17partition_subalgoE3EjNS0_10empty_typeEbEEZZNS1_14partition_implILS8_3ELb0ES6_jNS0_17counting_iteratorIjlEEPS9_SE_NS0_5tupleIJPjSE_EEENSF_IJSE_SE_EEES9_SG_JZNS1_25segmented_radix_sort_implINS0_14default_configELb1EPKfPfPKlPlN2at6native12_GLOBAL__N_18offset_tEEE10hipError_tPvRmT1_PNSt15iterator_traitsISY_E10value_typeET2_T3_PNSZ_IS14_E10value_typeET4_jRbjT5_S1A_jjP12ihipStream_tbEUljE_EEESV_SW_SX_S14_S18_S1A_T6_T7_T9_mT8_S1C_bDpT10_ENKUlT_T0_E_clISt17integral_constantIbLb0EES1P_EEDaS1K_S1L_EUlS1K_E_NS1_11comp_targetILNS1_3genE4ELNS1_11target_archE910ELNS1_3gpuE8ELNS1_3repE0EEENS1_30default_config_static_selectorELNS0_4arch9wavefront6targetE1EEEvSY_,"axG",@progbits,_ZN7rocprim17ROCPRIM_400000_NS6detail17trampoline_kernelINS0_13select_configILj256ELj13ELNS0_17block_load_methodE3ELS4_3ELS4_3ELNS0_20block_scan_algorithmE0ELj4294967295EEENS1_25partition_config_selectorILNS1_17partition_subalgoE3EjNS0_10empty_typeEbEEZZNS1_14partition_implILS8_3ELb0ES6_jNS0_17counting_iteratorIjlEEPS9_SE_NS0_5tupleIJPjSE_EEENSF_IJSE_SE_EEES9_SG_JZNS1_25segmented_radix_sort_implINS0_14default_configELb1EPKfPfPKlPlN2at6native12_GLOBAL__N_18offset_tEEE10hipError_tPvRmT1_PNSt15iterator_traitsISY_E10value_typeET2_T3_PNSZ_IS14_E10value_typeET4_jRbjT5_S1A_jjP12ihipStream_tbEUljE_EEESV_SW_SX_S14_S18_S1A_T6_T7_T9_mT8_S1C_bDpT10_ENKUlT_T0_E_clISt17integral_constantIbLb0EES1P_EEDaS1K_S1L_EUlS1K_E_NS1_11comp_targetILNS1_3genE4ELNS1_11target_archE910ELNS1_3gpuE8ELNS1_3repE0EEENS1_30default_config_static_selectorELNS0_4arch9wavefront6targetE1EEEvSY_,comdat
.Lfunc_end1293:
	.size	_ZN7rocprim17ROCPRIM_400000_NS6detail17trampoline_kernelINS0_13select_configILj256ELj13ELNS0_17block_load_methodE3ELS4_3ELS4_3ELNS0_20block_scan_algorithmE0ELj4294967295EEENS1_25partition_config_selectorILNS1_17partition_subalgoE3EjNS0_10empty_typeEbEEZZNS1_14partition_implILS8_3ELb0ES6_jNS0_17counting_iteratorIjlEEPS9_SE_NS0_5tupleIJPjSE_EEENSF_IJSE_SE_EEES9_SG_JZNS1_25segmented_radix_sort_implINS0_14default_configELb1EPKfPfPKlPlN2at6native12_GLOBAL__N_18offset_tEEE10hipError_tPvRmT1_PNSt15iterator_traitsISY_E10value_typeET2_T3_PNSZ_IS14_E10value_typeET4_jRbjT5_S1A_jjP12ihipStream_tbEUljE_EEESV_SW_SX_S14_S18_S1A_T6_T7_T9_mT8_S1C_bDpT10_ENKUlT_T0_E_clISt17integral_constantIbLb0EES1P_EEDaS1K_S1L_EUlS1K_E_NS1_11comp_targetILNS1_3genE4ELNS1_11target_archE910ELNS1_3gpuE8ELNS1_3repE0EEENS1_30default_config_static_selectorELNS0_4arch9wavefront6targetE1EEEvSY_, .Lfunc_end1293-_ZN7rocprim17ROCPRIM_400000_NS6detail17trampoline_kernelINS0_13select_configILj256ELj13ELNS0_17block_load_methodE3ELS4_3ELS4_3ELNS0_20block_scan_algorithmE0ELj4294967295EEENS1_25partition_config_selectorILNS1_17partition_subalgoE3EjNS0_10empty_typeEbEEZZNS1_14partition_implILS8_3ELb0ES6_jNS0_17counting_iteratorIjlEEPS9_SE_NS0_5tupleIJPjSE_EEENSF_IJSE_SE_EEES9_SG_JZNS1_25segmented_radix_sort_implINS0_14default_configELb1EPKfPfPKlPlN2at6native12_GLOBAL__N_18offset_tEEE10hipError_tPvRmT1_PNSt15iterator_traitsISY_E10value_typeET2_T3_PNSZ_IS14_E10value_typeET4_jRbjT5_S1A_jjP12ihipStream_tbEUljE_EEESV_SW_SX_S14_S18_S1A_T6_T7_T9_mT8_S1C_bDpT10_ENKUlT_T0_E_clISt17integral_constantIbLb0EES1P_EEDaS1K_S1L_EUlS1K_E_NS1_11comp_targetILNS1_3genE4ELNS1_11target_archE910ELNS1_3gpuE8ELNS1_3repE0EEENS1_30default_config_static_selectorELNS0_4arch9wavefront6targetE1EEEvSY_
                                        ; -- End function
	.section	.AMDGPU.csdata,"",@progbits
; Kernel info:
; codeLenInByte = 7676
; NumSgprs: 50
; NumVgprs: 61
; NumAgprs: 0
; TotalNumVgprs: 61
; ScratchSize: 0
; MemoryBound: 0
; FloatMode: 240
; IeeeMode: 1
; LDSByteSize: 13324 bytes/workgroup (compile time only)
; SGPRBlocks: 6
; VGPRBlocks: 7
; NumSGPRsForWavesPerEU: 50
; NumVGPRsForWavesPerEU: 61
; AccumOffset: 64
; Occupancy: 4
; WaveLimiterHint : 0
; COMPUTE_PGM_RSRC2:SCRATCH_EN: 0
; COMPUTE_PGM_RSRC2:USER_SGPR: 6
; COMPUTE_PGM_RSRC2:TRAP_HANDLER: 0
; COMPUTE_PGM_RSRC2:TGID_X_EN: 1
; COMPUTE_PGM_RSRC2:TGID_Y_EN: 0
; COMPUTE_PGM_RSRC2:TGID_Z_EN: 0
; COMPUTE_PGM_RSRC2:TIDIG_COMP_CNT: 0
; COMPUTE_PGM_RSRC3_GFX90A:ACCUM_OFFSET: 15
; COMPUTE_PGM_RSRC3_GFX90A:TG_SPLIT: 0
	.section	.text._ZN7rocprim17ROCPRIM_400000_NS6detail17trampoline_kernelINS0_13select_configILj256ELj13ELNS0_17block_load_methodE3ELS4_3ELS4_3ELNS0_20block_scan_algorithmE0ELj4294967295EEENS1_25partition_config_selectorILNS1_17partition_subalgoE3EjNS0_10empty_typeEbEEZZNS1_14partition_implILS8_3ELb0ES6_jNS0_17counting_iteratorIjlEEPS9_SE_NS0_5tupleIJPjSE_EEENSF_IJSE_SE_EEES9_SG_JZNS1_25segmented_radix_sort_implINS0_14default_configELb1EPKfPfPKlPlN2at6native12_GLOBAL__N_18offset_tEEE10hipError_tPvRmT1_PNSt15iterator_traitsISY_E10value_typeET2_T3_PNSZ_IS14_E10value_typeET4_jRbjT5_S1A_jjP12ihipStream_tbEUljE_EEESV_SW_SX_S14_S18_S1A_T6_T7_T9_mT8_S1C_bDpT10_ENKUlT_T0_E_clISt17integral_constantIbLb0EES1P_EEDaS1K_S1L_EUlS1K_E_NS1_11comp_targetILNS1_3genE3ELNS1_11target_archE908ELNS1_3gpuE7ELNS1_3repE0EEENS1_30default_config_static_selectorELNS0_4arch9wavefront6targetE1EEEvSY_,"axG",@progbits,_ZN7rocprim17ROCPRIM_400000_NS6detail17trampoline_kernelINS0_13select_configILj256ELj13ELNS0_17block_load_methodE3ELS4_3ELS4_3ELNS0_20block_scan_algorithmE0ELj4294967295EEENS1_25partition_config_selectorILNS1_17partition_subalgoE3EjNS0_10empty_typeEbEEZZNS1_14partition_implILS8_3ELb0ES6_jNS0_17counting_iteratorIjlEEPS9_SE_NS0_5tupleIJPjSE_EEENSF_IJSE_SE_EEES9_SG_JZNS1_25segmented_radix_sort_implINS0_14default_configELb1EPKfPfPKlPlN2at6native12_GLOBAL__N_18offset_tEEE10hipError_tPvRmT1_PNSt15iterator_traitsISY_E10value_typeET2_T3_PNSZ_IS14_E10value_typeET4_jRbjT5_S1A_jjP12ihipStream_tbEUljE_EEESV_SW_SX_S14_S18_S1A_T6_T7_T9_mT8_S1C_bDpT10_ENKUlT_T0_E_clISt17integral_constantIbLb0EES1P_EEDaS1K_S1L_EUlS1K_E_NS1_11comp_targetILNS1_3genE3ELNS1_11target_archE908ELNS1_3gpuE7ELNS1_3repE0EEENS1_30default_config_static_selectorELNS0_4arch9wavefront6targetE1EEEvSY_,comdat
	.globl	_ZN7rocprim17ROCPRIM_400000_NS6detail17trampoline_kernelINS0_13select_configILj256ELj13ELNS0_17block_load_methodE3ELS4_3ELS4_3ELNS0_20block_scan_algorithmE0ELj4294967295EEENS1_25partition_config_selectorILNS1_17partition_subalgoE3EjNS0_10empty_typeEbEEZZNS1_14partition_implILS8_3ELb0ES6_jNS0_17counting_iteratorIjlEEPS9_SE_NS0_5tupleIJPjSE_EEENSF_IJSE_SE_EEES9_SG_JZNS1_25segmented_radix_sort_implINS0_14default_configELb1EPKfPfPKlPlN2at6native12_GLOBAL__N_18offset_tEEE10hipError_tPvRmT1_PNSt15iterator_traitsISY_E10value_typeET2_T3_PNSZ_IS14_E10value_typeET4_jRbjT5_S1A_jjP12ihipStream_tbEUljE_EEESV_SW_SX_S14_S18_S1A_T6_T7_T9_mT8_S1C_bDpT10_ENKUlT_T0_E_clISt17integral_constantIbLb0EES1P_EEDaS1K_S1L_EUlS1K_E_NS1_11comp_targetILNS1_3genE3ELNS1_11target_archE908ELNS1_3gpuE7ELNS1_3repE0EEENS1_30default_config_static_selectorELNS0_4arch9wavefront6targetE1EEEvSY_ ; -- Begin function _ZN7rocprim17ROCPRIM_400000_NS6detail17trampoline_kernelINS0_13select_configILj256ELj13ELNS0_17block_load_methodE3ELS4_3ELS4_3ELNS0_20block_scan_algorithmE0ELj4294967295EEENS1_25partition_config_selectorILNS1_17partition_subalgoE3EjNS0_10empty_typeEbEEZZNS1_14partition_implILS8_3ELb0ES6_jNS0_17counting_iteratorIjlEEPS9_SE_NS0_5tupleIJPjSE_EEENSF_IJSE_SE_EEES9_SG_JZNS1_25segmented_radix_sort_implINS0_14default_configELb1EPKfPfPKlPlN2at6native12_GLOBAL__N_18offset_tEEE10hipError_tPvRmT1_PNSt15iterator_traitsISY_E10value_typeET2_T3_PNSZ_IS14_E10value_typeET4_jRbjT5_S1A_jjP12ihipStream_tbEUljE_EEESV_SW_SX_S14_S18_S1A_T6_T7_T9_mT8_S1C_bDpT10_ENKUlT_T0_E_clISt17integral_constantIbLb0EES1P_EEDaS1K_S1L_EUlS1K_E_NS1_11comp_targetILNS1_3genE3ELNS1_11target_archE908ELNS1_3gpuE7ELNS1_3repE0EEENS1_30default_config_static_selectorELNS0_4arch9wavefront6targetE1EEEvSY_
	.p2align	8
	.type	_ZN7rocprim17ROCPRIM_400000_NS6detail17trampoline_kernelINS0_13select_configILj256ELj13ELNS0_17block_load_methodE3ELS4_3ELS4_3ELNS0_20block_scan_algorithmE0ELj4294967295EEENS1_25partition_config_selectorILNS1_17partition_subalgoE3EjNS0_10empty_typeEbEEZZNS1_14partition_implILS8_3ELb0ES6_jNS0_17counting_iteratorIjlEEPS9_SE_NS0_5tupleIJPjSE_EEENSF_IJSE_SE_EEES9_SG_JZNS1_25segmented_radix_sort_implINS0_14default_configELb1EPKfPfPKlPlN2at6native12_GLOBAL__N_18offset_tEEE10hipError_tPvRmT1_PNSt15iterator_traitsISY_E10value_typeET2_T3_PNSZ_IS14_E10value_typeET4_jRbjT5_S1A_jjP12ihipStream_tbEUljE_EEESV_SW_SX_S14_S18_S1A_T6_T7_T9_mT8_S1C_bDpT10_ENKUlT_T0_E_clISt17integral_constantIbLb0EES1P_EEDaS1K_S1L_EUlS1K_E_NS1_11comp_targetILNS1_3genE3ELNS1_11target_archE908ELNS1_3gpuE7ELNS1_3repE0EEENS1_30default_config_static_selectorELNS0_4arch9wavefront6targetE1EEEvSY_,@function
_ZN7rocprim17ROCPRIM_400000_NS6detail17trampoline_kernelINS0_13select_configILj256ELj13ELNS0_17block_load_methodE3ELS4_3ELS4_3ELNS0_20block_scan_algorithmE0ELj4294967295EEENS1_25partition_config_selectorILNS1_17partition_subalgoE3EjNS0_10empty_typeEbEEZZNS1_14partition_implILS8_3ELb0ES6_jNS0_17counting_iteratorIjlEEPS9_SE_NS0_5tupleIJPjSE_EEENSF_IJSE_SE_EEES9_SG_JZNS1_25segmented_radix_sort_implINS0_14default_configELb1EPKfPfPKlPlN2at6native12_GLOBAL__N_18offset_tEEE10hipError_tPvRmT1_PNSt15iterator_traitsISY_E10value_typeET2_T3_PNSZ_IS14_E10value_typeET4_jRbjT5_S1A_jjP12ihipStream_tbEUljE_EEESV_SW_SX_S14_S18_S1A_T6_T7_T9_mT8_S1C_bDpT10_ENKUlT_T0_E_clISt17integral_constantIbLb0EES1P_EEDaS1K_S1L_EUlS1K_E_NS1_11comp_targetILNS1_3genE3ELNS1_11target_archE908ELNS1_3gpuE7ELNS1_3repE0EEENS1_30default_config_static_selectorELNS0_4arch9wavefront6targetE1EEEvSY_: ; @_ZN7rocprim17ROCPRIM_400000_NS6detail17trampoline_kernelINS0_13select_configILj256ELj13ELNS0_17block_load_methodE3ELS4_3ELS4_3ELNS0_20block_scan_algorithmE0ELj4294967295EEENS1_25partition_config_selectorILNS1_17partition_subalgoE3EjNS0_10empty_typeEbEEZZNS1_14partition_implILS8_3ELb0ES6_jNS0_17counting_iteratorIjlEEPS9_SE_NS0_5tupleIJPjSE_EEENSF_IJSE_SE_EEES9_SG_JZNS1_25segmented_radix_sort_implINS0_14default_configELb1EPKfPfPKlPlN2at6native12_GLOBAL__N_18offset_tEEE10hipError_tPvRmT1_PNSt15iterator_traitsISY_E10value_typeET2_T3_PNSZ_IS14_E10value_typeET4_jRbjT5_S1A_jjP12ihipStream_tbEUljE_EEESV_SW_SX_S14_S18_S1A_T6_T7_T9_mT8_S1C_bDpT10_ENKUlT_T0_E_clISt17integral_constantIbLb0EES1P_EEDaS1K_S1L_EUlS1K_E_NS1_11comp_targetILNS1_3genE3ELNS1_11target_archE908ELNS1_3gpuE7ELNS1_3repE0EEENS1_30default_config_static_selectorELNS0_4arch9wavefront6targetE1EEEvSY_
; %bb.0:
	.section	.rodata,"a",@progbits
	.p2align	6, 0x0
	.amdhsa_kernel _ZN7rocprim17ROCPRIM_400000_NS6detail17trampoline_kernelINS0_13select_configILj256ELj13ELNS0_17block_load_methodE3ELS4_3ELS4_3ELNS0_20block_scan_algorithmE0ELj4294967295EEENS1_25partition_config_selectorILNS1_17partition_subalgoE3EjNS0_10empty_typeEbEEZZNS1_14partition_implILS8_3ELb0ES6_jNS0_17counting_iteratorIjlEEPS9_SE_NS0_5tupleIJPjSE_EEENSF_IJSE_SE_EEES9_SG_JZNS1_25segmented_radix_sort_implINS0_14default_configELb1EPKfPfPKlPlN2at6native12_GLOBAL__N_18offset_tEEE10hipError_tPvRmT1_PNSt15iterator_traitsISY_E10value_typeET2_T3_PNSZ_IS14_E10value_typeET4_jRbjT5_S1A_jjP12ihipStream_tbEUljE_EEESV_SW_SX_S14_S18_S1A_T6_T7_T9_mT8_S1C_bDpT10_ENKUlT_T0_E_clISt17integral_constantIbLb0EES1P_EEDaS1K_S1L_EUlS1K_E_NS1_11comp_targetILNS1_3genE3ELNS1_11target_archE908ELNS1_3gpuE7ELNS1_3repE0EEENS1_30default_config_static_selectorELNS0_4arch9wavefront6targetE1EEEvSY_
		.amdhsa_group_segment_fixed_size 0
		.amdhsa_private_segment_fixed_size 0
		.amdhsa_kernarg_size 144
		.amdhsa_user_sgpr_count 6
		.amdhsa_user_sgpr_private_segment_buffer 1
		.amdhsa_user_sgpr_dispatch_ptr 0
		.amdhsa_user_sgpr_queue_ptr 0
		.amdhsa_user_sgpr_kernarg_segment_ptr 1
		.amdhsa_user_sgpr_dispatch_id 0
		.amdhsa_user_sgpr_flat_scratch_init 0
		.amdhsa_user_sgpr_kernarg_preload_length 0
		.amdhsa_user_sgpr_kernarg_preload_offset 0
		.amdhsa_user_sgpr_private_segment_size 0
		.amdhsa_uses_dynamic_stack 0
		.amdhsa_system_sgpr_private_segment_wavefront_offset 0
		.amdhsa_system_sgpr_workgroup_id_x 1
		.amdhsa_system_sgpr_workgroup_id_y 0
		.amdhsa_system_sgpr_workgroup_id_z 0
		.amdhsa_system_sgpr_workgroup_info 0
		.amdhsa_system_vgpr_workitem_id 0
		.amdhsa_next_free_vgpr 1
		.amdhsa_next_free_sgpr 0
		.amdhsa_accum_offset 4
		.amdhsa_reserve_vcc 0
		.amdhsa_reserve_flat_scratch 0
		.amdhsa_float_round_mode_32 0
		.amdhsa_float_round_mode_16_64 0
		.amdhsa_float_denorm_mode_32 3
		.amdhsa_float_denorm_mode_16_64 3
		.amdhsa_dx10_clamp 1
		.amdhsa_ieee_mode 1
		.amdhsa_fp16_overflow 0
		.amdhsa_tg_split 0
		.amdhsa_exception_fp_ieee_invalid_op 0
		.amdhsa_exception_fp_denorm_src 0
		.amdhsa_exception_fp_ieee_div_zero 0
		.amdhsa_exception_fp_ieee_overflow 0
		.amdhsa_exception_fp_ieee_underflow 0
		.amdhsa_exception_fp_ieee_inexact 0
		.amdhsa_exception_int_div_zero 0
	.end_amdhsa_kernel
	.section	.text._ZN7rocprim17ROCPRIM_400000_NS6detail17trampoline_kernelINS0_13select_configILj256ELj13ELNS0_17block_load_methodE3ELS4_3ELS4_3ELNS0_20block_scan_algorithmE0ELj4294967295EEENS1_25partition_config_selectorILNS1_17partition_subalgoE3EjNS0_10empty_typeEbEEZZNS1_14partition_implILS8_3ELb0ES6_jNS0_17counting_iteratorIjlEEPS9_SE_NS0_5tupleIJPjSE_EEENSF_IJSE_SE_EEES9_SG_JZNS1_25segmented_radix_sort_implINS0_14default_configELb1EPKfPfPKlPlN2at6native12_GLOBAL__N_18offset_tEEE10hipError_tPvRmT1_PNSt15iterator_traitsISY_E10value_typeET2_T3_PNSZ_IS14_E10value_typeET4_jRbjT5_S1A_jjP12ihipStream_tbEUljE_EEESV_SW_SX_S14_S18_S1A_T6_T7_T9_mT8_S1C_bDpT10_ENKUlT_T0_E_clISt17integral_constantIbLb0EES1P_EEDaS1K_S1L_EUlS1K_E_NS1_11comp_targetILNS1_3genE3ELNS1_11target_archE908ELNS1_3gpuE7ELNS1_3repE0EEENS1_30default_config_static_selectorELNS0_4arch9wavefront6targetE1EEEvSY_,"axG",@progbits,_ZN7rocprim17ROCPRIM_400000_NS6detail17trampoline_kernelINS0_13select_configILj256ELj13ELNS0_17block_load_methodE3ELS4_3ELS4_3ELNS0_20block_scan_algorithmE0ELj4294967295EEENS1_25partition_config_selectorILNS1_17partition_subalgoE3EjNS0_10empty_typeEbEEZZNS1_14partition_implILS8_3ELb0ES6_jNS0_17counting_iteratorIjlEEPS9_SE_NS0_5tupleIJPjSE_EEENSF_IJSE_SE_EEES9_SG_JZNS1_25segmented_radix_sort_implINS0_14default_configELb1EPKfPfPKlPlN2at6native12_GLOBAL__N_18offset_tEEE10hipError_tPvRmT1_PNSt15iterator_traitsISY_E10value_typeET2_T3_PNSZ_IS14_E10value_typeET4_jRbjT5_S1A_jjP12ihipStream_tbEUljE_EEESV_SW_SX_S14_S18_S1A_T6_T7_T9_mT8_S1C_bDpT10_ENKUlT_T0_E_clISt17integral_constantIbLb0EES1P_EEDaS1K_S1L_EUlS1K_E_NS1_11comp_targetILNS1_3genE3ELNS1_11target_archE908ELNS1_3gpuE7ELNS1_3repE0EEENS1_30default_config_static_selectorELNS0_4arch9wavefront6targetE1EEEvSY_,comdat
.Lfunc_end1294:
	.size	_ZN7rocprim17ROCPRIM_400000_NS6detail17trampoline_kernelINS0_13select_configILj256ELj13ELNS0_17block_load_methodE3ELS4_3ELS4_3ELNS0_20block_scan_algorithmE0ELj4294967295EEENS1_25partition_config_selectorILNS1_17partition_subalgoE3EjNS0_10empty_typeEbEEZZNS1_14partition_implILS8_3ELb0ES6_jNS0_17counting_iteratorIjlEEPS9_SE_NS0_5tupleIJPjSE_EEENSF_IJSE_SE_EEES9_SG_JZNS1_25segmented_radix_sort_implINS0_14default_configELb1EPKfPfPKlPlN2at6native12_GLOBAL__N_18offset_tEEE10hipError_tPvRmT1_PNSt15iterator_traitsISY_E10value_typeET2_T3_PNSZ_IS14_E10value_typeET4_jRbjT5_S1A_jjP12ihipStream_tbEUljE_EEESV_SW_SX_S14_S18_S1A_T6_T7_T9_mT8_S1C_bDpT10_ENKUlT_T0_E_clISt17integral_constantIbLb0EES1P_EEDaS1K_S1L_EUlS1K_E_NS1_11comp_targetILNS1_3genE3ELNS1_11target_archE908ELNS1_3gpuE7ELNS1_3repE0EEENS1_30default_config_static_selectorELNS0_4arch9wavefront6targetE1EEEvSY_, .Lfunc_end1294-_ZN7rocprim17ROCPRIM_400000_NS6detail17trampoline_kernelINS0_13select_configILj256ELj13ELNS0_17block_load_methodE3ELS4_3ELS4_3ELNS0_20block_scan_algorithmE0ELj4294967295EEENS1_25partition_config_selectorILNS1_17partition_subalgoE3EjNS0_10empty_typeEbEEZZNS1_14partition_implILS8_3ELb0ES6_jNS0_17counting_iteratorIjlEEPS9_SE_NS0_5tupleIJPjSE_EEENSF_IJSE_SE_EEES9_SG_JZNS1_25segmented_radix_sort_implINS0_14default_configELb1EPKfPfPKlPlN2at6native12_GLOBAL__N_18offset_tEEE10hipError_tPvRmT1_PNSt15iterator_traitsISY_E10value_typeET2_T3_PNSZ_IS14_E10value_typeET4_jRbjT5_S1A_jjP12ihipStream_tbEUljE_EEESV_SW_SX_S14_S18_S1A_T6_T7_T9_mT8_S1C_bDpT10_ENKUlT_T0_E_clISt17integral_constantIbLb0EES1P_EEDaS1K_S1L_EUlS1K_E_NS1_11comp_targetILNS1_3genE3ELNS1_11target_archE908ELNS1_3gpuE7ELNS1_3repE0EEENS1_30default_config_static_selectorELNS0_4arch9wavefront6targetE1EEEvSY_
                                        ; -- End function
	.section	.AMDGPU.csdata,"",@progbits
; Kernel info:
; codeLenInByte = 0
; NumSgprs: 4
; NumVgprs: 0
; NumAgprs: 0
; TotalNumVgprs: 0
; ScratchSize: 0
; MemoryBound: 0
; FloatMode: 240
; IeeeMode: 1
; LDSByteSize: 0 bytes/workgroup (compile time only)
; SGPRBlocks: 0
; VGPRBlocks: 0
; NumSGPRsForWavesPerEU: 4
; NumVGPRsForWavesPerEU: 1
; AccumOffset: 4
; Occupancy: 8
; WaveLimiterHint : 0
; COMPUTE_PGM_RSRC2:SCRATCH_EN: 0
; COMPUTE_PGM_RSRC2:USER_SGPR: 6
; COMPUTE_PGM_RSRC2:TRAP_HANDLER: 0
; COMPUTE_PGM_RSRC2:TGID_X_EN: 1
; COMPUTE_PGM_RSRC2:TGID_Y_EN: 0
; COMPUTE_PGM_RSRC2:TGID_Z_EN: 0
; COMPUTE_PGM_RSRC2:TIDIG_COMP_CNT: 0
; COMPUTE_PGM_RSRC3_GFX90A:ACCUM_OFFSET: 0
; COMPUTE_PGM_RSRC3_GFX90A:TG_SPLIT: 0
	.section	.text._ZN7rocprim17ROCPRIM_400000_NS6detail17trampoline_kernelINS0_13select_configILj256ELj13ELNS0_17block_load_methodE3ELS4_3ELS4_3ELNS0_20block_scan_algorithmE0ELj4294967295EEENS1_25partition_config_selectorILNS1_17partition_subalgoE3EjNS0_10empty_typeEbEEZZNS1_14partition_implILS8_3ELb0ES6_jNS0_17counting_iteratorIjlEEPS9_SE_NS0_5tupleIJPjSE_EEENSF_IJSE_SE_EEES9_SG_JZNS1_25segmented_radix_sort_implINS0_14default_configELb1EPKfPfPKlPlN2at6native12_GLOBAL__N_18offset_tEEE10hipError_tPvRmT1_PNSt15iterator_traitsISY_E10value_typeET2_T3_PNSZ_IS14_E10value_typeET4_jRbjT5_S1A_jjP12ihipStream_tbEUljE_EEESV_SW_SX_S14_S18_S1A_T6_T7_T9_mT8_S1C_bDpT10_ENKUlT_T0_E_clISt17integral_constantIbLb0EES1P_EEDaS1K_S1L_EUlS1K_E_NS1_11comp_targetILNS1_3genE2ELNS1_11target_archE906ELNS1_3gpuE6ELNS1_3repE0EEENS1_30default_config_static_selectorELNS0_4arch9wavefront6targetE1EEEvSY_,"axG",@progbits,_ZN7rocprim17ROCPRIM_400000_NS6detail17trampoline_kernelINS0_13select_configILj256ELj13ELNS0_17block_load_methodE3ELS4_3ELS4_3ELNS0_20block_scan_algorithmE0ELj4294967295EEENS1_25partition_config_selectorILNS1_17partition_subalgoE3EjNS0_10empty_typeEbEEZZNS1_14partition_implILS8_3ELb0ES6_jNS0_17counting_iteratorIjlEEPS9_SE_NS0_5tupleIJPjSE_EEENSF_IJSE_SE_EEES9_SG_JZNS1_25segmented_radix_sort_implINS0_14default_configELb1EPKfPfPKlPlN2at6native12_GLOBAL__N_18offset_tEEE10hipError_tPvRmT1_PNSt15iterator_traitsISY_E10value_typeET2_T3_PNSZ_IS14_E10value_typeET4_jRbjT5_S1A_jjP12ihipStream_tbEUljE_EEESV_SW_SX_S14_S18_S1A_T6_T7_T9_mT8_S1C_bDpT10_ENKUlT_T0_E_clISt17integral_constantIbLb0EES1P_EEDaS1K_S1L_EUlS1K_E_NS1_11comp_targetILNS1_3genE2ELNS1_11target_archE906ELNS1_3gpuE6ELNS1_3repE0EEENS1_30default_config_static_selectorELNS0_4arch9wavefront6targetE1EEEvSY_,comdat
	.globl	_ZN7rocprim17ROCPRIM_400000_NS6detail17trampoline_kernelINS0_13select_configILj256ELj13ELNS0_17block_load_methodE3ELS4_3ELS4_3ELNS0_20block_scan_algorithmE0ELj4294967295EEENS1_25partition_config_selectorILNS1_17partition_subalgoE3EjNS0_10empty_typeEbEEZZNS1_14partition_implILS8_3ELb0ES6_jNS0_17counting_iteratorIjlEEPS9_SE_NS0_5tupleIJPjSE_EEENSF_IJSE_SE_EEES9_SG_JZNS1_25segmented_radix_sort_implINS0_14default_configELb1EPKfPfPKlPlN2at6native12_GLOBAL__N_18offset_tEEE10hipError_tPvRmT1_PNSt15iterator_traitsISY_E10value_typeET2_T3_PNSZ_IS14_E10value_typeET4_jRbjT5_S1A_jjP12ihipStream_tbEUljE_EEESV_SW_SX_S14_S18_S1A_T6_T7_T9_mT8_S1C_bDpT10_ENKUlT_T0_E_clISt17integral_constantIbLb0EES1P_EEDaS1K_S1L_EUlS1K_E_NS1_11comp_targetILNS1_3genE2ELNS1_11target_archE906ELNS1_3gpuE6ELNS1_3repE0EEENS1_30default_config_static_selectorELNS0_4arch9wavefront6targetE1EEEvSY_ ; -- Begin function _ZN7rocprim17ROCPRIM_400000_NS6detail17trampoline_kernelINS0_13select_configILj256ELj13ELNS0_17block_load_methodE3ELS4_3ELS4_3ELNS0_20block_scan_algorithmE0ELj4294967295EEENS1_25partition_config_selectorILNS1_17partition_subalgoE3EjNS0_10empty_typeEbEEZZNS1_14partition_implILS8_3ELb0ES6_jNS0_17counting_iteratorIjlEEPS9_SE_NS0_5tupleIJPjSE_EEENSF_IJSE_SE_EEES9_SG_JZNS1_25segmented_radix_sort_implINS0_14default_configELb1EPKfPfPKlPlN2at6native12_GLOBAL__N_18offset_tEEE10hipError_tPvRmT1_PNSt15iterator_traitsISY_E10value_typeET2_T3_PNSZ_IS14_E10value_typeET4_jRbjT5_S1A_jjP12ihipStream_tbEUljE_EEESV_SW_SX_S14_S18_S1A_T6_T7_T9_mT8_S1C_bDpT10_ENKUlT_T0_E_clISt17integral_constantIbLb0EES1P_EEDaS1K_S1L_EUlS1K_E_NS1_11comp_targetILNS1_3genE2ELNS1_11target_archE906ELNS1_3gpuE6ELNS1_3repE0EEENS1_30default_config_static_selectorELNS0_4arch9wavefront6targetE1EEEvSY_
	.p2align	8
	.type	_ZN7rocprim17ROCPRIM_400000_NS6detail17trampoline_kernelINS0_13select_configILj256ELj13ELNS0_17block_load_methodE3ELS4_3ELS4_3ELNS0_20block_scan_algorithmE0ELj4294967295EEENS1_25partition_config_selectorILNS1_17partition_subalgoE3EjNS0_10empty_typeEbEEZZNS1_14partition_implILS8_3ELb0ES6_jNS0_17counting_iteratorIjlEEPS9_SE_NS0_5tupleIJPjSE_EEENSF_IJSE_SE_EEES9_SG_JZNS1_25segmented_radix_sort_implINS0_14default_configELb1EPKfPfPKlPlN2at6native12_GLOBAL__N_18offset_tEEE10hipError_tPvRmT1_PNSt15iterator_traitsISY_E10value_typeET2_T3_PNSZ_IS14_E10value_typeET4_jRbjT5_S1A_jjP12ihipStream_tbEUljE_EEESV_SW_SX_S14_S18_S1A_T6_T7_T9_mT8_S1C_bDpT10_ENKUlT_T0_E_clISt17integral_constantIbLb0EES1P_EEDaS1K_S1L_EUlS1K_E_NS1_11comp_targetILNS1_3genE2ELNS1_11target_archE906ELNS1_3gpuE6ELNS1_3repE0EEENS1_30default_config_static_selectorELNS0_4arch9wavefront6targetE1EEEvSY_,@function
_ZN7rocprim17ROCPRIM_400000_NS6detail17trampoline_kernelINS0_13select_configILj256ELj13ELNS0_17block_load_methodE3ELS4_3ELS4_3ELNS0_20block_scan_algorithmE0ELj4294967295EEENS1_25partition_config_selectorILNS1_17partition_subalgoE3EjNS0_10empty_typeEbEEZZNS1_14partition_implILS8_3ELb0ES6_jNS0_17counting_iteratorIjlEEPS9_SE_NS0_5tupleIJPjSE_EEENSF_IJSE_SE_EEES9_SG_JZNS1_25segmented_radix_sort_implINS0_14default_configELb1EPKfPfPKlPlN2at6native12_GLOBAL__N_18offset_tEEE10hipError_tPvRmT1_PNSt15iterator_traitsISY_E10value_typeET2_T3_PNSZ_IS14_E10value_typeET4_jRbjT5_S1A_jjP12ihipStream_tbEUljE_EEESV_SW_SX_S14_S18_S1A_T6_T7_T9_mT8_S1C_bDpT10_ENKUlT_T0_E_clISt17integral_constantIbLb0EES1P_EEDaS1K_S1L_EUlS1K_E_NS1_11comp_targetILNS1_3genE2ELNS1_11target_archE906ELNS1_3gpuE6ELNS1_3repE0EEENS1_30default_config_static_selectorELNS0_4arch9wavefront6targetE1EEEvSY_: ; @_ZN7rocprim17ROCPRIM_400000_NS6detail17trampoline_kernelINS0_13select_configILj256ELj13ELNS0_17block_load_methodE3ELS4_3ELS4_3ELNS0_20block_scan_algorithmE0ELj4294967295EEENS1_25partition_config_selectorILNS1_17partition_subalgoE3EjNS0_10empty_typeEbEEZZNS1_14partition_implILS8_3ELb0ES6_jNS0_17counting_iteratorIjlEEPS9_SE_NS0_5tupleIJPjSE_EEENSF_IJSE_SE_EEES9_SG_JZNS1_25segmented_radix_sort_implINS0_14default_configELb1EPKfPfPKlPlN2at6native12_GLOBAL__N_18offset_tEEE10hipError_tPvRmT1_PNSt15iterator_traitsISY_E10value_typeET2_T3_PNSZ_IS14_E10value_typeET4_jRbjT5_S1A_jjP12ihipStream_tbEUljE_EEESV_SW_SX_S14_S18_S1A_T6_T7_T9_mT8_S1C_bDpT10_ENKUlT_T0_E_clISt17integral_constantIbLb0EES1P_EEDaS1K_S1L_EUlS1K_E_NS1_11comp_targetILNS1_3genE2ELNS1_11target_archE906ELNS1_3gpuE6ELNS1_3repE0EEENS1_30default_config_static_selectorELNS0_4arch9wavefront6targetE1EEEvSY_
; %bb.0:
	.section	.rodata,"a",@progbits
	.p2align	6, 0x0
	.amdhsa_kernel _ZN7rocprim17ROCPRIM_400000_NS6detail17trampoline_kernelINS0_13select_configILj256ELj13ELNS0_17block_load_methodE3ELS4_3ELS4_3ELNS0_20block_scan_algorithmE0ELj4294967295EEENS1_25partition_config_selectorILNS1_17partition_subalgoE3EjNS0_10empty_typeEbEEZZNS1_14partition_implILS8_3ELb0ES6_jNS0_17counting_iteratorIjlEEPS9_SE_NS0_5tupleIJPjSE_EEENSF_IJSE_SE_EEES9_SG_JZNS1_25segmented_radix_sort_implINS0_14default_configELb1EPKfPfPKlPlN2at6native12_GLOBAL__N_18offset_tEEE10hipError_tPvRmT1_PNSt15iterator_traitsISY_E10value_typeET2_T3_PNSZ_IS14_E10value_typeET4_jRbjT5_S1A_jjP12ihipStream_tbEUljE_EEESV_SW_SX_S14_S18_S1A_T6_T7_T9_mT8_S1C_bDpT10_ENKUlT_T0_E_clISt17integral_constantIbLb0EES1P_EEDaS1K_S1L_EUlS1K_E_NS1_11comp_targetILNS1_3genE2ELNS1_11target_archE906ELNS1_3gpuE6ELNS1_3repE0EEENS1_30default_config_static_selectorELNS0_4arch9wavefront6targetE1EEEvSY_
		.amdhsa_group_segment_fixed_size 0
		.amdhsa_private_segment_fixed_size 0
		.amdhsa_kernarg_size 144
		.amdhsa_user_sgpr_count 6
		.amdhsa_user_sgpr_private_segment_buffer 1
		.amdhsa_user_sgpr_dispatch_ptr 0
		.amdhsa_user_sgpr_queue_ptr 0
		.amdhsa_user_sgpr_kernarg_segment_ptr 1
		.amdhsa_user_sgpr_dispatch_id 0
		.amdhsa_user_sgpr_flat_scratch_init 0
		.amdhsa_user_sgpr_kernarg_preload_length 0
		.amdhsa_user_sgpr_kernarg_preload_offset 0
		.amdhsa_user_sgpr_private_segment_size 0
		.amdhsa_uses_dynamic_stack 0
		.amdhsa_system_sgpr_private_segment_wavefront_offset 0
		.amdhsa_system_sgpr_workgroup_id_x 1
		.amdhsa_system_sgpr_workgroup_id_y 0
		.amdhsa_system_sgpr_workgroup_id_z 0
		.amdhsa_system_sgpr_workgroup_info 0
		.amdhsa_system_vgpr_workitem_id 0
		.amdhsa_next_free_vgpr 1
		.amdhsa_next_free_sgpr 0
		.amdhsa_accum_offset 4
		.amdhsa_reserve_vcc 0
		.amdhsa_reserve_flat_scratch 0
		.amdhsa_float_round_mode_32 0
		.amdhsa_float_round_mode_16_64 0
		.amdhsa_float_denorm_mode_32 3
		.amdhsa_float_denorm_mode_16_64 3
		.amdhsa_dx10_clamp 1
		.amdhsa_ieee_mode 1
		.amdhsa_fp16_overflow 0
		.amdhsa_tg_split 0
		.amdhsa_exception_fp_ieee_invalid_op 0
		.amdhsa_exception_fp_denorm_src 0
		.amdhsa_exception_fp_ieee_div_zero 0
		.amdhsa_exception_fp_ieee_overflow 0
		.amdhsa_exception_fp_ieee_underflow 0
		.amdhsa_exception_fp_ieee_inexact 0
		.amdhsa_exception_int_div_zero 0
	.end_amdhsa_kernel
	.section	.text._ZN7rocprim17ROCPRIM_400000_NS6detail17trampoline_kernelINS0_13select_configILj256ELj13ELNS0_17block_load_methodE3ELS4_3ELS4_3ELNS0_20block_scan_algorithmE0ELj4294967295EEENS1_25partition_config_selectorILNS1_17partition_subalgoE3EjNS0_10empty_typeEbEEZZNS1_14partition_implILS8_3ELb0ES6_jNS0_17counting_iteratorIjlEEPS9_SE_NS0_5tupleIJPjSE_EEENSF_IJSE_SE_EEES9_SG_JZNS1_25segmented_radix_sort_implINS0_14default_configELb1EPKfPfPKlPlN2at6native12_GLOBAL__N_18offset_tEEE10hipError_tPvRmT1_PNSt15iterator_traitsISY_E10value_typeET2_T3_PNSZ_IS14_E10value_typeET4_jRbjT5_S1A_jjP12ihipStream_tbEUljE_EEESV_SW_SX_S14_S18_S1A_T6_T7_T9_mT8_S1C_bDpT10_ENKUlT_T0_E_clISt17integral_constantIbLb0EES1P_EEDaS1K_S1L_EUlS1K_E_NS1_11comp_targetILNS1_3genE2ELNS1_11target_archE906ELNS1_3gpuE6ELNS1_3repE0EEENS1_30default_config_static_selectorELNS0_4arch9wavefront6targetE1EEEvSY_,"axG",@progbits,_ZN7rocprim17ROCPRIM_400000_NS6detail17trampoline_kernelINS0_13select_configILj256ELj13ELNS0_17block_load_methodE3ELS4_3ELS4_3ELNS0_20block_scan_algorithmE0ELj4294967295EEENS1_25partition_config_selectorILNS1_17partition_subalgoE3EjNS0_10empty_typeEbEEZZNS1_14partition_implILS8_3ELb0ES6_jNS0_17counting_iteratorIjlEEPS9_SE_NS0_5tupleIJPjSE_EEENSF_IJSE_SE_EEES9_SG_JZNS1_25segmented_radix_sort_implINS0_14default_configELb1EPKfPfPKlPlN2at6native12_GLOBAL__N_18offset_tEEE10hipError_tPvRmT1_PNSt15iterator_traitsISY_E10value_typeET2_T3_PNSZ_IS14_E10value_typeET4_jRbjT5_S1A_jjP12ihipStream_tbEUljE_EEESV_SW_SX_S14_S18_S1A_T6_T7_T9_mT8_S1C_bDpT10_ENKUlT_T0_E_clISt17integral_constantIbLb0EES1P_EEDaS1K_S1L_EUlS1K_E_NS1_11comp_targetILNS1_3genE2ELNS1_11target_archE906ELNS1_3gpuE6ELNS1_3repE0EEENS1_30default_config_static_selectorELNS0_4arch9wavefront6targetE1EEEvSY_,comdat
.Lfunc_end1295:
	.size	_ZN7rocprim17ROCPRIM_400000_NS6detail17trampoline_kernelINS0_13select_configILj256ELj13ELNS0_17block_load_methodE3ELS4_3ELS4_3ELNS0_20block_scan_algorithmE0ELj4294967295EEENS1_25partition_config_selectorILNS1_17partition_subalgoE3EjNS0_10empty_typeEbEEZZNS1_14partition_implILS8_3ELb0ES6_jNS0_17counting_iteratorIjlEEPS9_SE_NS0_5tupleIJPjSE_EEENSF_IJSE_SE_EEES9_SG_JZNS1_25segmented_radix_sort_implINS0_14default_configELb1EPKfPfPKlPlN2at6native12_GLOBAL__N_18offset_tEEE10hipError_tPvRmT1_PNSt15iterator_traitsISY_E10value_typeET2_T3_PNSZ_IS14_E10value_typeET4_jRbjT5_S1A_jjP12ihipStream_tbEUljE_EEESV_SW_SX_S14_S18_S1A_T6_T7_T9_mT8_S1C_bDpT10_ENKUlT_T0_E_clISt17integral_constantIbLb0EES1P_EEDaS1K_S1L_EUlS1K_E_NS1_11comp_targetILNS1_3genE2ELNS1_11target_archE906ELNS1_3gpuE6ELNS1_3repE0EEENS1_30default_config_static_selectorELNS0_4arch9wavefront6targetE1EEEvSY_, .Lfunc_end1295-_ZN7rocprim17ROCPRIM_400000_NS6detail17trampoline_kernelINS0_13select_configILj256ELj13ELNS0_17block_load_methodE3ELS4_3ELS4_3ELNS0_20block_scan_algorithmE0ELj4294967295EEENS1_25partition_config_selectorILNS1_17partition_subalgoE3EjNS0_10empty_typeEbEEZZNS1_14partition_implILS8_3ELb0ES6_jNS0_17counting_iteratorIjlEEPS9_SE_NS0_5tupleIJPjSE_EEENSF_IJSE_SE_EEES9_SG_JZNS1_25segmented_radix_sort_implINS0_14default_configELb1EPKfPfPKlPlN2at6native12_GLOBAL__N_18offset_tEEE10hipError_tPvRmT1_PNSt15iterator_traitsISY_E10value_typeET2_T3_PNSZ_IS14_E10value_typeET4_jRbjT5_S1A_jjP12ihipStream_tbEUljE_EEESV_SW_SX_S14_S18_S1A_T6_T7_T9_mT8_S1C_bDpT10_ENKUlT_T0_E_clISt17integral_constantIbLb0EES1P_EEDaS1K_S1L_EUlS1K_E_NS1_11comp_targetILNS1_3genE2ELNS1_11target_archE906ELNS1_3gpuE6ELNS1_3repE0EEENS1_30default_config_static_selectorELNS0_4arch9wavefront6targetE1EEEvSY_
                                        ; -- End function
	.section	.AMDGPU.csdata,"",@progbits
; Kernel info:
; codeLenInByte = 0
; NumSgprs: 4
; NumVgprs: 0
; NumAgprs: 0
; TotalNumVgprs: 0
; ScratchSize: 0
; MemoryBound: 0
; FloatMode: 240
; IeeeMode: 1
; LDSByteSize: 0 bytes/workgroup (compile time only)
; SGPRBlocks: 0
; VGPRBlocks: 0
; NumSGPRsForWavesPerEU: 4
; NumVGPRsForWavesPerEU: 1
; AccumOffset: 4
; Occupancy: 8
; WaveLimiterHint : 0
; COMPUTE_PGM_RSRC2:SCRATCH_EN: 0
; COMPUTE_PGM_RSRC2:USER_SGPR: 6
; COMPUTE_PGM_RSRC2:TRAP_HANDLER: 0
; COMPUTE_PGM_RSRC2:TGID_X_EN: 1
; COMPUTE_PGM_RSRC2:TGID_Y_EN: 0
; COMPUTE_PGM_RSRC2:TGID_Z_EN: 0
; COMPUTE_PGM_RSRC2:TIDIG_COMP_CNT: 0
; COMPUTE_PGM_RSRC3_GFX90A:ACCUM_OFFSET: 0
; COMPUTE_PGM_RSRC3_GFX90A:TG_SPLIT: 0
	.section	.text._ZN7rocprim17ROCPRIM_400000_NS6detail17trampoline_kernelINS0_13select_configILj256ELj13ELNS0_17block_load_methodE3ELS4_3ELS4_3ELNS0_20block_scan_algorithmE0ELj4294967295EEENS1_25partition_config_selectorILNS1_17partition_subalgoE3EjNS0_10empty_typeEbEEZZNS1_14partition_implILS8_3ELb0ES6_jNS0_17counting_iteratorIjlEEPS9_SE_NS0_5tupleIJPjSE_EEENSF_IJSE_SE_EEES9_SG_JZNS1_25segmented_radix_sort_implINS0_14default_configELb1EPKfPfPKlPlN2at6native12_GLOBAL__N_18offset_tEEE10hipError_tPvRmT1_PNSt15iterator_traitsISY_E10value_typeET2_T3_PNSZ_IS14_E10value_typeET4_jRbjT5_S1A_jjP12ihipStream_tbEUljE_EEESV_SW_SX_S14_S18_S1A_T6_T7_T9_mT8_S1C_bDpT10_ENKUlT_T0_E_clISt17integral_constantIbLb0EES1P_EEDaS1K_S1L_EUlS1K_E_NS1_11comp_targetILNS1_3genE10ELNS1_11target_archE1200ELNS1_3gpuE4ELNS1_3repE0EEENS1_30default_config_static_selectorELNS0_4arch9wavefront6targetE1EEEvSY_,"axG",@progbits,_ZN7rocprim17ROCPRIM_400000_NS6detail17trampoline_kernelINS0_13select_configILj256ELj13ELNS0_17block_load_methodE3ELS4_3ELS4_3ELNS0_20block_scan_algorithmE0ELj4294967295EEENS1_25partition_config_selectorILNS1_17partition_subalgoE3EjNS0_10empty_typeEbEEZZNS1_14partition_implILS8_3ELb0ES6_jNS0_17counting_iteratorIjlEEPS9_SE_NS0_5tupleIJPjSE_EEENSF_IJSE_SE_EEES9_SG_JZNS1_25segmented_radix_sort_implINS0_14default_configELb1EPKfPfPKlPlN2at6native12_GLOBAL__N_18offset_tEEE10hipError_tPvRmT1_PNSt15iterator_traitsISY_E10value_typeET2_T3_PNSZ_IS14_E10value_typeET4_jRbjT5_S1A_jjP12ihipStream_tbEUljE_EEESV_SW_SX_S14_S18_S1A_T6_T7_T9_mT8_S1C_bDpT10_ENKUlT_T0_E_clISt17integral_constantIbLb0EES1P_EEDaS1K_S1L_EUlS1K_E_NS1_11comp_targetILNS1_3genE10ELNS1_11target_archE1200ELNS1_3gpuE4ELNS1_3repE0EEENS1_30default_config_static_selectorELNS0_4arch9wavefront6targetE1EEEvSY_,comdat
	.globl	_ZN7rocprim17ROCPRIM_400000_NS6detail17trampoline_kernelINS0_13select_configILj256ELj13ELNS0_17block_load_methodE3ELS4_3ELS4_3ELNS0_20block_scan_algorithmE0ELj4294967295EEENS1_25partition_config_selectorILNS1_17partition_subalgoE3EjNS0_10empty_typeEbEEZZNS1_14partition_implILS8_3ELb0ES6_jNS0_17counting_iteratorIjlEEPS9_SE_NS0_5tupleIJPjSE_EEENSF_IJSE_SE_EEES9_SG_JZNS1_25segmented_radix_sort_implINS0_14default_configELb1EPKfPfPKlPlN2at6native12_GLOBAL__N_18offset_tEEE10hipError_tPvRmT1_PNSt15iterator_traitsISY_E10value_typeET2_T3_PNSZ_IS14_E10value_typeET4_jRbjT5_S1A_jjP12ihipStream_tbEUljE_EEESV_SW_SX_S14_S18_S1A_T6_T7_T9_mT8_S1C_bDpT10_ENKUlT_T0_E_clISt17integral_constantIbLb0EES1P_EEDaS1K_S1L_EUlS1K_E_NS1_11comp_targetILNS1_3genE10ELNS1_11target_archE1200ELNS1_3gpuE4ELNS1_3repE0EEENS1_30default_config_static_selectorELNS0_4arch9wavefront6targetE1EEEvSY_ ; -- Begin function _ZN7rocprim17ROCPRIM_400000_NS6detail17trampoline_kernelINS0_13select_configILj256ELj13ELNS0_17block_load_methodE3ELS4_3ELS4_3ELNS0_20block_scan_algorithmE0ELj4294967295EEENS1_25partition_config_selectorILNS1_17partition_subalgoE3EjNS0_10empty_typeEbEEZZNS1_14partition_implILS8_3ELb0ES6_jNS0_17counting_iteratorIjlEEPS9_SE_NS0_5tupleIJPjSE_EEENSF_IJSE_SE_EEES9_SG_JZNS1_25segmented_radix_sort_implINS0_14default_configELb1EPKfPfPKlPlN2at6native12_GLOBAL__N_18offset_tEEE10hipError_tPvRmT1_PNSt15iterator_traitsISY_E10value_typeET2_T3_PNSZ_IS14_E10value_typeET4_jRbjT5_S1A_jjP12ihipStream_tbEUljE_EEESV_SW_SX_S14_S18_S1A_T6_T7_T9_mT8_S1C_bDpT10_ENKUlT_T0_E_clISt17integral_constantIbLb0EES1P_EEDaS1K_S1L_EUlS1K_E_NS1_11comp_targetILNS1_3genE10ELNS1_11target_archE1200ELNS1_3gpuE4ELNS1_3repE0EEENS1_30default_config_static_selectorELNS0_4arch9wavefront6targetE1EEEvSY_
	.p2align	8
	.type	_ZN7rocprim17ROCPRIM_400000_NS6detail17trampoline_kernelINS0_13select_configILj256ELj13ELNS0_17block_load_methodE3ELS4_3ELS4_3ELNS0_20block_scan_algorithmE0ELj4294967295EEENS1_25partition_config_selectorILNS1_17partition_subalgoE3EjNS0_10empty_typeEbEEZZNS1_14partition_implILS8_3ELb0ES6_jNS0_17counting_iteratorIjlEEPS9_SE_NS0_5tupleIJPjSE_EEENSF_IJSE_SE_EEES9_SG_JZNS1_25segmented_radix_sort_implINS0_14default_configELb1EPKfPfPKlPlN2at6native12_GLOBAL__N_18offset_tEEE10hipError_tPvRmT1_PNSt15iterator_traitsISY_E10value_typeET2_T3_PNSZ_IS14_E10value_typeET4_jRbjT5_S1A_jjP12ihipStream_tbEUljE_EEESV_SW_SX_S14_S18_S1A_T6_T7_T9_mT8_S1C_bDpT10_ENKUlT_T0_E_clISt17integral_constantIbLb0EES1P_EEDaS1K_S1L_EUlS1K_E_NS1_11comp_targetILNS1_3genE10ELNS1_11target_archE1200ELNS1_3gpuE4ELNS1_3repE0EEENS1_30default_config_static_selectorELNS0_4arch9wavefront6targetE1EEEvSY_,@function
_ZN7rocprim17ROCPRIM_400000_NS6detail17trampoline_kernelINS0_13select_configILj256ELj13ELNS0_17block_load_methodE3ELS4_3ELS4_3ELNS0_20block_scan_algorithmE0ELj4294967295EEENS1_25partition_config_selectorILNS1_17partition_subalgoE3EjNS0_10empty_typeEbEEZZNS1_14partition_implILS8_3ELb0ES6_jNS0_17counting_iteratorIjlEEPS9_SE_NS0_5tupleIJPjSE_EEENSF_IJSE_SE_EEES9_SG_JZNS1_25segmented_radix_sort_implINS0_14default_configELb1EPKfPfPKlPlN2at6native12_GLOBAL__N_18offset_tEEE10hipError_tPvRmT1_PNSt15iterator_traitsISY_E10value_typeET2_T3_PNSZ_IS14_E10value_typeET4_jRbjT5_S1A_jjP12ihipStream_tbEUljE_EEESV_SW_SX_S14_S18_S1A_T6_T7_T9_mT8_S1C_bDpT10_ENKUlT_T0_E_clISt17integral_constantIbLb0EES1P_EEDaS1K_S1L_EUlS1K_E_NS1_11comp_targetILNS1_3genE10ELNS1_11target_archE1200ELNS1_3gpuE4ELNS1_3repE0EEENS1_30default_config_static_selectorELNS0_4arch9wavefront6targetE1EEEvSY_: ; @_ZN7rocprim17ROCPRIM_400000_NS6detail17trampoline_kernelINS0_13select_configILj256ELj13ELNS0_17block_load_methodE3ELS4_3ELS4_3ELNS0_20block_scan_algorithmE0ELj4294967295EEENS1_25partition_config_selectorILNS1_17partition_subalgoE3EjNS0_10empty_typeEbEEZZNS1_14partition_implILS8_3ELb0ES6_jNS0_17counting_iteratorIjlEEPS9_SE_NS0_5tupleIJPjSE_EEENSF_IJSE_SE_EEES9_SG_JZNS1_25segmented_radix_sort_implINS0_14default_configELb1EPKfPfPKlPlN2at6native12_GLOBAL__N_18offset_tEEE10hipError_tPvRmT1_PNSt15iterator_traitsISY_E10value_typeET2_T3_PNSZ_IS14_E10value_typeET4_jRbjT5_S1A_jjP12ihipStream_tbEUljE_EEESV_SW_SX_S14_S18_S1A_T6_T7_T9_mT8_S1C_bDpT10_ENKUlT_T0_E_clISt17integral_constantIbLb0EES1P_EEDaS1K_S1L_EUlS1K_E_NS1_11comp_targetILNS1_3genE10ELNS1_11target_archE1200ELNS1_3gpuE4ELNS1_3repE0EEENS1_30default_config_static_selectorELNS0_4arch9wavefront6targetE1EEEvSY_
; %bb.0:
	.section	.rodata,"a",@progbits
	.p2align	6, 0x0
	.amdhsa_kernel _ZN7rocprim17ROCPRIM_400000_NS6detail17trampoline_kernelINS0_13select_configILj256ELj13ELNS0_17block_load_methodE3ELS4_3ELS4_3ELNS0_20block_scan_algorithmE0ELj4294967295EEENS1_25partition_config_selectorILNS1_17partition_subalgoE3EjNS0_10empty_typeEbEEZZNS1_14partition_implILS8_3ELb0ES6_jNS0_17counting_iteratorIjlEEPS9_SE_NS0_5tupleIJPjSE_EEENSF_IJSE_SE_EEES9_SG_JZNS1_25segmented_radix_sort_implINS0_14default_configELb1EPKfPfPKlPlN2at6native12_GLOBAL__N_18offset_tEEE10hipError_tPvRmT1_PNSt15iterator_traitsISY_E10value_typeET2_T3_PNSZ_IS14_E10value_typeET4_jRbjT5_S1A_jjP12ihipStream_tbEUljE_EEESV_SW_SX_S14_S18_S1A_T6_T7_T9_mT8_S1C_bDpT10_ENKUlT_T0_E_clISt17integral_constantIbLb0EES1P_EEDaS1K_S1L_EUlS1K_E_NS1_11comp_targetILNS1_3genE10ELNS1_11target_archE1200ELNS1_3gpuE4ELNS1_3repE0EEENS1_30default_config_static_selectorELNS0_4arch9wavefront6targetE1EEEvSY_
		.amdhsa_group_segment_fixed_size 0
		.amdhsa_private_segment_fixed_size 0
		.amdhsa_kernarg_size 144
		.amdhsa_user_sgpr_count 6
		.amdhsa_user_sgpr_private_segment_buffer 1
		.amdhsa_user_sgpr_dispatch_ptr 0
		.amdhsa_user_sgpr_queue_ptr 0
		.amdhsa_user_sgpr_kernarg_segment_ptr 1
		.amdhsa_user_sgpr_dispatch_id 0
		.amdhsa_user_sgpr_flat_scratch_init 0
		.amdhsa_user_sgpr_kernarg_preload_length 0
		.amdhsa_user_sgpr_kernarg_preload_offset 0
		.amdhsa_user_sgpr_private_segment_size 0
		.amdhsa_uses_dynamic_stack 0
		.amdhsa_system_sgpr_private_segment_wavefront_offset 0
		.amdhsa_system_sgpr_workgroup_id_x 1
		.amdhsa_system_sgpr_workgroup_id_y 0
		.amdhsa_system_sgpr_workgroup_id_z 0
		.amdhsa_system_sgpr_workgroup_info 0
		.amdhsa_system_vgpr_workitem_id 0
		.amdhsa_next_free_vgpr 1
		.amdhsa_next_free_sgpr 0
		.amdhsa_accum_offset 4
		.amdhsa_reserve_vcc 0
		.amdhsa_reserve_flat_scratch 0
		.amdhsa_float_round_mode_32 0
		.amdhsa_float_round_mode_16_64 0
		.amdhsa_float_denorm_mode_32 3
		.amdhsa_float_denorm_mode_16_64 3
		.amdhsa_dx10_clamp 1
		.amdhsa_ieee_mode 1
		.amdhsa_fp16_overflow 0
		.amdhsa_tg_split 0
		.amdhsa_exception_fp_ieee_invalid_op 0
		.amdhsa_exception_fp_denorm_src 0
		.amdhsa_exception_fp_ieee_div_zero 0
		.amdhsa_exception_fp_ieee_overflow 0
		.amdhsa_exception_fp_ieee_underflow 0
		.amdhsa_exception_fp_ieee_inexact 0
		.amdhsa_exception_int_div_zero 0
	.end_amdhsa_kernel
	.section	.text._ZN7rocprim17ROCPRIM_400000_NS6detail17trampoline_kernelINS0_13select_configILj256ELj13ELNS0_17block_load_methodE3ELS4_3ELS4_3ELNS0_20block_scan_algorithmE0ELj4294967295EEENS1_25partition_config_selectorILNS1_17partition_subalgoE3EjNS0_10empty_typeEbEEZZNS1_14partition_implILS8_3ELb0ES6_jNS0_17counting_iteratorIjlEEPS9_SE_NS0_5tupleIJPjSE_EEENSF_IJSE_SE_EEES9_SG_JZNS1_25segmented_radix_sort_implINS0_14default_configELb1EPKfPfPKlPlN2at6native12_GLOBAL__N_18offset_tEEE10hipError_tPvRmT1_PNSt15iterator_traitsISY_E10value_typeET2_T3_PNSZ_IS14_E10value_typeET4_jRbjT5_S1A_jjP12ihipStream_tbEUljE_EEESV_SW_SX_S14_S18_S1A_T6_T7_T9_mT8_S1C_bDpT10_ENKUlT_T0_E_clISt17integral_constantIbLb0EES1P_EEDaS1K_S1L_EUlS1K_E_NS1_11comp_targetILNS1_3genE10ELNS1_11target_archE1200ELNS1_3gpuE4ELNS1_3repE0EEENS1_30default_config_static_selectorELNS0_4arch9wavefront6targetE1EEEvSY_,"axG",@progbits,_ZN7rocprim17ROCPRIM_400000_NS6detail17trampoline_kernelINS0_13select_configILj256ELj13ELNS0_17block_load_methodE3ELS4_3ELS4_3ELNS0_20block_scan_algorithmE0ELj4294967295EEENS1_25partition_config_selectorILNS1_17partition_subalgoE3EjNS0_10empty_typeEbEEZZNS1_14partition_implILS8_3ELb0ES6_jNS0_17counting_iteratorIjlEEPS9_SE_NS0_5tupleIJPjSE_EEENSF_IJSE_SE_EEES9_SG_JZNS1_25segmented_radix_sort_implINS0_14default_configELb1EPKfPfPKlPlN2at6native12_GLOBAL__N_18offset_tEEE10hipError_tPvRmT1_PNSt15iterator_traitsISY_E10value_typeET2_T3_PNSZ_IS14_E10value_typeET4_jRbjT5_S1A_jjP12ihipStream_tbEUljE_EEESV_SW_SX_S14_S18_S1A_T6_T7_T9_mT8_S1C_bDpT10_ENKUlT_T0_E_clISt17integral_constantIbLb0EES1P_EEDaS1K_S1L_EUlS1K_E_NS1_11comp_targetILNS1_3genE10ELNS1_11target_archE1200ELNS1_3gpuE4ELNS1_3repE0EEENS1_30default_config_static_selectorELNS0_4arch9wavefront6targetE1EEEvSY_,comdat
.Lfunc_end1296:
	.size	_ZN7rocprim17ROCPRIM_400000_NS6detail17trampoline_kernelINS0_13select_configILj256ELj13ELNS0_17block_load_methodE3ELS4_3ELS4_3ELNS0_20block_scan_algorithmE0ELj4294967295EEENS1_25partition_config_selectorILNS1_17partition_subalgoE3EjNS0_10empty_typeEbEEZZNS1_14partition_implILS8_3ELb0ES6_jNS0_17counting_iteratorIjlEEPS9_SE_NS0_5tupleIJPjSE_EEENSF_IJSE_SE_EEES9_SG_JZNS1_25segmented_radix_sort_implINS0_14default_configELb1EPKfPfPKlPlN2at6native12_GLOBAL__N_18offset_tEEE10hipError_tPvRmT1_PNSt15iterator_traitsISY_E10value_typeET2_T3_PNSZ_IS14_E10value_typeET4_jRbjT5_S1A_jjP12ihipStream_tbEUljE_EEESV_SW_SX_S14_S18_S1A_T6_T7_T9_mT8_S1C_bDpT10_ENKUlT_T0_E_clISt17integral_constantIbLb0EES1P_EEDaS1K_S1L_EUlS1K_E_NS1_11comp_targetILNS1_3genE10ELNS1_11target_archE1200ELNS1_3gpuE4ELNS1_3repE0EEENS1_30default_config_static_selectorELNS0_4arch9wavefront6targetE1EEEvSY_, .Lfunc_end1296-_ZN7rocprim17ROCPRIM_400000_NS6detail17trampoline_kernelINS0_13select_configILj256ELj13ELNS0_17block_load_methodE3ELS4_3ELS4_3ELNS0_20block_scan_algorithmE0ELj4294967295EEENS1_25partition_config_selectorILNS1_17partition_subalgoE3EjNS0_10empty_typeEbEEZZNS1_14partition_implILS8_3ELb0ES6_jNS0_17counting_iteratorIjlEEPS9_SE_NS0_5tupleIJPjSE_EEENSF_IJSE_SE_EEES9_SG_JZNS1_25segmented_radix_sort_implINS0_14default_configELb1EPKfPfPKlPlN2at6native12_GLOBAL__N_18offset_tEEE10hipError_tPvRmT1_PNSt15iterator_traitsISY_E10value_typeET2_T3_PNSZ_IS14_E10value_typeET4_jRbjT5_S1A_jjP12ihipStream_tbEUljE_EEESV_SW_SX_S14_S18_S1A_T6_T7_T9_mT8_S1C_bDpT10_ENKUlT_T0_E_clISt17integral_constantIbLb0EES1P_EEDaS1K_S1L_EUlS1K_E_NS1_11comp_targetILNS1_3genE10ELNS1_11target_archE1200ELNS1_3gpuE4ELNS1_3repE0EEENS1_30default_config_static_selectorELNS0_4arch9wavefront6targetE1EEEvSY_
                                        ; -- End function
	.section	.AMDGPU.csdata,"",@progbits
; Kernel info:
; codeLenInByte = 0
; NumSgprs: 4
; NumVgprs: 0
; NumAgprs: 0
; TotalNumVgprs: 0
; ScratchSize: 0
; MemoryBound: 0
; FloatMode: 240
; IeeeMode: 1
; LDSByteSize: 0 bytes/workgroup (compile time only)
; SGPRBlocks: 0
; VGPRBlocks: 0
; NumSGPRsForWavesPerEU: 4
; NumVGPRsForWavesPerEU: 1
; AccumOffset: 4
; Occupancy: 8
; WaveLimiterHint : 0
; COMPUTE_PGM_RSRC2:SCRATCH_EN: 0
; COMPUTE_PGM_RSRC2:USER_SGPR: 6
; COMPUTE_PGM_RSRC2:TRAP_HANDLER: 0
; COMPUTE_PGM_RSRC2:TGID_X_EN: 1
; COMPUTE_PGM_RSRC2:TGID_Y_EN: 0
; COMPUTE_PGM_RSRC2:TGID_Z_EN: 0
; COMPUTE_PGM_RSRC2:TIDIG_COMP_CNT: 0
; COMPUTE_PGM_RSRC3_GFX90A:ACCUM_OFFSET: 0
; COMPUTE_PGM_RSRC3_GFX90A:TG_SPLIT: 0
	.section	.text._ZN7rocprim17ROCPRIM_400000_NS6detail17trampoline_kernelINS0_13select_configILj256ELj13ELNS0_17block_load_methodE3ELS4_3ELS4_3ELNS0_20block_scan_algorithmE0ELj4294967295EEENS1_25partition_config_selectorILNS1_17partition_subalgoE3EjNS0_10empty_typeEbEEZZNS1_14partition_implILS8_3ELb0ES6_jNS0_17counting_iteratorIjlEEPS9_SE_NS0_5tupleIJPjSE_EEENSF_IJSE_SE_EEES9_SG_JZNS1_25segmented_radix_sort_implINS0_14default_configELb1EPKfPfPKlPlN2at6native12_GLOBAL__N_18offset_tEEE10hipError_tPvRmT1_PNSt15iterator_traitsISY_E10value_typeET2_T3_PNSZ_IS14_E10value_typeET4_jRbjT5_S1A_jjP12ihipStream_tbEUljE_EEESV_SW_SX_S14_S18_S1A_T6_T7_T9_mT8_S1C_bDpT10_ENKUlT_T0_E_clISt17integral_constantIbLb0EES1P_EEDaS1K_S1L_EUlS1K_E_NS1_11comp_targetILNS1_3genE9ELNS1_11target_archE1100ELNS1_3gpuE3ELNS1_3repE0EEENS1_30default_config_static_selectorELNS0_4arch9wavefront6targetE1EEEvSY_,"axG",@progbits,_ZN7rocprim17ROCPRIM_400000_NS6detail17trampoline_kernelINS0_13select_configILj256ELj13ELNS0_17block_load_methodE3ELS4_3ELS4_3ELNS0_20block_scan_algorithmE0ELj4294967295EEENS1_25partition_config_selectorILNS1_17partition_subalgoE3EjNS0_10empty_typeEbEEZZNS1_14partition_implILS8_3ELb0ES6_jNS0_17counting_iteratorIjlEEPS9_SE_NS0_5tupleIJPjSE_EEENSF_IJSE_SE_EEES9_SG_JZNS1_25segmented_radix_sort_implINS0_14default_configELb1EPKfPfPKlPlN2at6native12_GLOBAL__N_18offset_tEEE10hipError_tPvRmT1_PNSt15iterator_traitsISY_E10value_typeET2_T3_PNSZ_IS14_E10value_typeET4_jRbjT5_S1A_jjP12ihipStream_tbEUljE_EEESV_SW_SX_S14_S18_S1A_T6_T7_T9_mT8_S1C_bDpT10_ENKUlT_T0_E_clISt17integral_constantIbLb0EES1P_EEDaS1K_S1L_EUlS1K_E_NS1_11comp_targetILNS1_3genE9ELNS1_11target_archE1100ELNS1_3gpuE3ELNS1_3repE0EEENS1_30default_config_static_selectorELNS0_4arch9wavefront6targetE1EEEvSY_,comdat
	.globl	_ZN7rocprim17ROCPRIM_400000_NS6detail17trampoline_kernelINS0_13select_configILj256ELj13ELNS0_17block_load_methodE3ELS4_3ELS4_3ELNS0_20block_scan_algorithmE0ELj4294967295EEENS1_25partition_config_selectorILNS1_17partition_subalgoE3EjNS0_10empty_typeEbEEZZNS1_14partition_implILS8_3ELb0ES6_jNS0_17counting_iteratorIjlEEPS9_SE_NS0_5tupleIJPjSE_EEENSF_IJSE_SE_EEES9_SG_JZNS1_25segmented_radix_sort_implINS0_14default_configELb1EPKfPfPKlPlN2at6native12_GLOBAL__N_18offset_tEEE10hipError_tPvRmT1_PNSt15iterator_traitsISY_E10value_typeET2_T3_PNSZ_IS14_E10value_typeET4_jRbjT5_S1A_jjP12ihipStream_tbEUljE_EEESV_SW_SX_S14_S18_S1A_T6_T7_T9_mT8_S1C_bDpT10_ENKUlT_T0_E_clISt17integral_constantIbLb0EES1P_EEDaS1K_S1L_EUlS1K_E_NS1_11comp_targetILNS1_3genE9ELNS1_11target_archE1100ELNS1_3gpuE3ELNS1_3repE0EEENS1_30default_config_static_selectorELNS0_4arch9wavefront6targetE1EEEvSY_ ; -- Begin function _ZN7rocprim17ROCPRIM_400000_NS6detail17trampoline_kernelINS0_13select_configILj256ELj13ELNS0_17block_load_methodE3ELS4_3ELS4_3ELNS0_20block_scan_algorithmE0ELj4294967295EEENS1_25partition_config_selectorILNS1_17partition_subalgoE3EjNS0_10empty_typeEbEEZZNS1_14partition_implILS8_3ELb0ES6_jNS0_17counting_iteratorIjlEEPS9_SE_NS0_5tupleIJPjSE_EEENSF_IJSE_SE_EEES9_SG_JZNS1_25segmented_radix_sort_implINS0_14default_configELb1EPKfPfPKlPlN2at6native12_GLOBAL__N_18offset_tEEE10hipError_tPvRmT1_PNSt15iterator_traitsISY_E10value_typeET2_T3_PNSZ_IS14_E10value_typeET4_jRbjT5_S1A_jjP12ihipStream_tbEUljE_EEESV_SW_SX_S14_S18_S1A_T6_T7_T9_mT8_S1C_bDpT10_ENKUlT_T0_E_clISt17integral_constantIbLb0EES1P_EEDaS1K_S1L_EUlS1K_E_NS1_11comp_targetILNS1_3genE9ELNS1_11target_archE1100ELNS1_3gpuE3ELNS1_3repE0EEENS1_30default_config_static_selectorELNS0_4arch9wavefront6targetE1EEEvSY_
	.p2align	8
	.type	_ZN7rocprim17ROCPRIM_400000_NS6detail17trampoline_kernelINS0_13select_configILj256ELj13ELNS0_17block_load_methodE3ELS4_3ELS4_3ELNS0_20block_scan_algorithmE0ELj4294967295EEENS1_25partition_config_selectorILNS1_17partition_subalgoE3EjNS0_10empty_typeEbEEZZNS1_14partition_implILS8_3ELb0ES6_jNS0_17counting_iteratorIjlEEPS9_SE_NS0_5tupleIJPjSE_EEENSF_IJSE_SE_EEES9_SG_JZNS1_25segmented_radix_sort_implINS0_14default_configELb1EPKfPfPKlPlN2at6native12_GLOBAL__N_18offset_tEEE10hipError_tPvRmT1_PNSt15iterator_traitsISY_E10value_typeET2_T3_PNSZ_IS14_E10value_typeET4_jRbjT5_S1A_jjP12ihipStream_tbEUljE_EEESV_SW_SX_S14_S18_S1A_T6_T7_T9_mT8_S1C_bDpT10_ENKUlT_T0_E_clISt17integral_constantIbLb0EES1P_EEDaS1K_S1L_EUlS1K_E_NS1_11comp_targetILNS1_3genE9ELNS1_11target_archE1100ELNS1_3gpuE3ELNS1_3repE0EEENS1_30default_config_static_selectorELNS0_4arch9wavefront6targetE1EEEvSY_,@function
_ZN7rocprim17ROCPRIM_400000_NS6detail17trampoline_kernelINS0_13select_configILj256ELj13ELNS0_17block_load_methodE3ELS4_3ELS4_3ELNS0_20block_scan_algorithmE0ELj4294967295EEENS1_25partition_config_selectorILNS1_17partition_subalgoE3EjNS0_10empty_typeEbEEZZNS1_14partition_implILS8_3ELb0ES6_jNS0_17counting_iteratorIjlEEPS9_SE_NS0_5tupleIJPjSE_EEENSF_IJSE_SE_EEES9_SG_JZNS1_25segmented_radix_sort_implINS0_14default_configELb1EPKfPfPKlPlN2at6native12_GLOBAL__N_18offset_tEEE10hipError_tPvRmT1_PNSt15iterator_traitsISY_E10value_typeET2_T3_PNSZ_IS14_E10value_typeET4_jRbjT5_S1A_jjP12ihipStream_tbEUljE_EEESV_SW_SX_S14_S18_S1A_T6_T7_T9_mT8_S1C_bDpT10_ENKUlT_T0_E_clISt17integral_constantIbLb0EES1P_EEDaS1K_S1L_EUlS1K_E_NS1_11comp_targetILNS1_3genE9ELNS1_11target_archE1100ELNS1_3gpuE3ELNS1_3repE0EEENS1_30default_config_static_selectorELNS0_4arch9wavefront6targetE1EEEvSY_: ; @_ZN7rocprim17ROCPRIM_400000_NS6detail17trampoline_kernelINS0_13select_configILj256ELj13ELNS0_17block_load_methodE3ELS4_3ELS4_3ELNS0_20block_scan_algorithmE0ELj4294967295EEENS1_25partition_config_selectorILNS1_17partition_subalgoE3EjNS0_10empty_typeEbEEZZNS1_14partition_implILS8_3ELb0ES6_jNS0_17counting_iteratorIjlEEPS9_SE_NS0_5tupleIJPjSE_EEENSF_IJSE_SE_EEES9_SG_JZNS1_25segmented_radix_sort_implINS0_14default_configELb1EPKfPfPKlPlN2at6native12_GLOBAL__N_18offset_tEEE10hipError_tPvRmT1_PNSt15iterator_traitsISY_E10value_typeET2_T3_PNSZ_IS14_E10value_typeET4_jRbjT5_S1A_jjP12ihipStream_tbEUljE_EEESV_SW_SX_S14_S18_S1A_T6_T7_T9_mT8_S1C_bDpT10_ENKUlT_T0_E_clISt17integral_constantIbLb0EES1P_EEDaS1K_S1L_EUlS1K_E_NS1_11comp_targetILNS1_3genE9ELNS1_11target_archE1100ELNS1_3gpuE3ELNS1_3repE0EEENS1_30default_config_static_selectorELNS0_4arch9wavefront6targetE1EEEvSY_
; %bb.0:
	.section	.rodata,"a",@progbits
	.p2align	6, 0x0
	.amdhsa_kernel _ZN7rocprim17ROCPRIM_400000_NS6detail17trampoline_kernelINS0_13select_configILj256ELj13ELNS0_17block_load_methodE3ELS4_3ELS4_3ELNS0_20block_scan_algorithmE0ELj4294967295EEENS1_25partition_config_selectorILNS1_17partition_subalgoE3EjNS0_10empty_typeEbEEZZNS1_14partition_implILS8_3ELb0ES6_jNS0_17counting_iteratorIjlEEPS9_SE_NS0_5tupleIJPjSE_EEENSF_IJSE_SE_EEES9_SG_JZNS1_25segmented_radix_sort_implINS0_14default_configELb1EPKfPfPKlPlN2at6native12_GLOBAL__N_18offset_tEEE10hipError_tPvRmT1_PNSt15iterator_traitsISY_E10value_typeET2_T3_PNSZ_IS14_E10value_typeET4_jRbjT5_S1A_jjP12ihipStream_tbEUljE_EEESV_SW_SX_S14_S18_S1A_T6_T7_T9_mT8_S1C_bDpT10_ENKUlT_T0_E_clISt17integral_constantIbLb0EES1P_EEDaS1K_S1L_EUlS1K_E_NS1_11comp_targetILNS1_3genE9ELNS1_11target_archE1100ELNS1_3gpuE3ELNS1_3repE0EEENS1_30default_config_static_selectorELNS0_4arch9wavefront6targetE1EEEvSY_
		.amdhsa_group_segment_fixed_size 0
		.amdhsa_private_segment_fixed_size 0
		.amdhsa_kernarg_size 144
		.amdhsa_user_sgpr_count 6
		.amdhsa_user_sgpr_private_segment_buffer 1
		.amdhsa_user_sgpr_dispatch_ptr 0
		.amdhsa_user_sgpr_queue_ptr 0
		.amdhsa_user_sgpr_kernarg_segment_ptr 1
		.amdhsa_user_sgpr_dispatch_id 0
		.amdhsa_user_sgpr_flat_scratch_init 0
		.amdhsa_user_sgpr_kernarg_preload_length 0
		.amdhsa_user_sgpr_kernarg_preload_offset 0
		.amdhsa_user_sgpr_private_segment_size 0
		.amdhsa_uses_dynamic_stack 0
		.amdhsa_system_sgpr_private_segment_wavefront_offset 0
		.amdhsa_system_sgpr_workgroup_id_x 1
		.amdhsa_system_sgpr_workgroup_id_y 0
		.amdhsa_system_sgpr_workgroup_id_z 0
		.amdhsa_system_sgpr_workgroup_info 0
		.amdhsa_system_vgpr_workitem_id 0
		.amdhsa_next_free_vgpr 1
		.amdhsa_next_free_sgpr 0
		.amdhsa_accum_offset 4
		.amdhsa_reserve_vcc 0
		.amdhsa_reserve_flat_scratch 0
		.amdhsa_float_round_mode_32 0
		.amdhsa_float_round_mode_16_64 0
		.amdhsa_float_denorm_mode_32 3
		.amdhsa_float_denorm_mode_16_64 3
		.amdhsa_dx10_clamp 1
		.amdhsa_ieee_mode 1
		.amdhsa_fp16_overflow 0
		.amdhsa_tg_split 0
		.amdhsa_exception_fp_ieee_invalid_op 0
		.amdhsa_exception_fp_denorm_src 0
		.amdhsa_exception_fp_ieee_div_zero 0
		.amdhsa_exception_fp_ieee_overflow 0
		.amdhsa_exception_fp_ieee_underflow 0
		.amdhsa_exception_fp_ieee_inexact 0
		.amdhsa_exception_int_div_zero 0
	.end_amdhsa_kernel
	.section	.text._ZN7rocprim17ROCPRIM_400000_NS6detail17trampoline_kernelINS0_13select_configILj256ELj13ELNS0_17block_load_methodE3ELS4_3ELS4_3ELNS0_20block_scan_algorithmE0ELj4294967295EEENS1_25partition_config_selectorILNS1_17partition_subalgoE3EjNS0_10empty_typeEbEEZZNS1_14partition_implILS8_3ELb0ES6_jNS0_17counting_iteratorIjlEEPS9_SE_NS0_5tupleIJPjSE_EEENSF_IJSE_SE_EEES9_SG_JZNS1_25segmented_radix_sort_implINS0_14default_configELb1EPKfPfPKlPlN2at6native12_GLOBAL__N_18offset_tEEE10hipError_tPvRmT1_PNSt15iterator_traitsISY_E10value_typeET2_T3_PNSZ_IS14_E10value_typeET4_jRbjT5_S1A_jjP12ihipStream_tbEUljE_EEESV_SW_SX_S14_S18_S1A_T6_T7_T9_mT8_S1C_bDpT10_ENKUlT_T0_E_clISt17integral_constantIbLb0EES1P_EEDaS1K_S1L_EUlS1K_E_NS1_11comp_targetILNS1_3genE9ELNS1_11target_archE1100ELNS1_3gpuE3ELNS1_3repE0EEENS1_30default_config_static_selectorELNS0_4arch9wavefront6targetE1EEEvSY_,"axG",@progbits,_ZN7rocprim17ROCPRIM_400000_NS6detail17trampoline_kernelINS0_13select_configILj256ELj13ELNS0_17block_load_methodE3ELS4_3ELS4_3ELNS0_20block_scan_algorithmE0ELj4294967295EEENS1_25partition_config_selectorILNS1_17partition_subalgoE3EjNS0_10empty_typeEbEEZZNS1_14partition_implILS8_3ELb0ES6_jNS0_17counting_iteratorIjlEEPS9_SE_NS0_5tupleIJPjSE_EEENSF_IJSE_SE_EEES9_SG_JZNS1_25segmented_radix_sort_implINS0_14default_configELb1EPKfPfPKlPlN2at6native12_GLOBAL__N_18offset_tEEE10hipError_tPvRmT1_PNSt15iterator_traitsISY_E10value_typeET2_T3_PNSZ_IS14_E10value_typeET4_jRbjT5_S1A_jjP12ihipStream_tbEUljE_EEESV_SW_SX_S14_S18_S1A_T6_T7_T9_mT8_S1C_bDpT10_ENKUlT_T0_E_clISt17integral_constantIbLb0EES1P_EEDaS1K_S1L_EUlS1K_E_NS1_11comp_targetILNS1_3genE9ELNS1_11target_archE1100ELNS1_3gpuE3ELNS1_3repE0EEENS1_30default_config_static_selectorELNS0_4arch9wavefront6targetE1EEEvSY_,comdat
.Lfunc_end1297:
	.size	_ZN7rocprim17ROCPRIM_400000_NS6detail17trampoline_kernelINS0_13select_configILj256ELj13ELNS0_17block_load_methodE3ELS4_3ELS4_3ELNS0_20block_scan_algorithmE0ELj4294967295EEENS1_25partition_config_selectorILNS1_17partition_subalgoE3EjNS0_10empty_typeEbEEZZNS1_14partition_implILS8_3ELb0ES6_jNS0_17counting_iteratorIjlEEPS9_SE_NS0_5tupleIJPjSE_EEENSF_IJSE_SE_EEES9_SG_JZNS1_25segmented_radix_sort_implINS0_14default_configELb1EPKfPfPKlPlN2at6native12_GLOBAL__N_18offset_tEEE10hipError_tPvRmT1_PNSt15iterator_traitsISY_E10value_typeET2_T3_PNSZ_IS14_E10value_typeET4_jRbjT5_S1A_jjP12ihipStream_tbEUljE_EEESV_SW_SX_S14_S18_S1A_T6_T7_T9_mT8_S1C_bDpT10_ENKUlT_T0_E_clISt17integral_constantIbLb0EES1P_EEDaS1K_S1L_EUlS1K_E_NS1_11comp_targetILNS1_3genE9ELNS1_11target_archE1100ELNS1_3gpuE3ELNS1_3repE0EEENS1_30default_config_static_selectorELNS0_4arch9wavefront6targetE1EEEvSY_, .Lfunc_end1297-_ZN7rocprim17ROCPRIM_400000_NS6detail17trampoline_kernelINS0_13select_configILj256ELj13ELNS0_17block_load_methodE3ELS4_3ELS4_3ELNS0_20block_scan_algorithmE0ELj4294967295EEENS1_25partition_config_selectorILNS1_17partition_subalgoE3EjNS0_10empty_typeEbEEZZNS1_14partition_implILS8_3ELb0ES6_jNS0_17counting_iteratorIjlEEPS9_SE_NS0_5tupleIJPjSE_EEENSF_IJSE_SE_EEES9_SG_JZNS1_25segmented_radix_sort_implINS0_14default_configELb1EPKfPfPKlPlN2at6native12_GLOBAL__N_18offset_tEEE10hipError_tPvRmT1_PNSt15iterator_traitsISY_E10value_typeET2_T3_PNSZ_IS14_E10value_typeET4_jRbjT5_S1A_jjP12ihipStream_tbEUljE_EEESV_SW_SX_S14_S18_S1A_T6_T7_T9_mT8_S1C_bDpT10_ENKUlT_T0_E_clISt17integral_constantIbLb0EES1P_EEDaS1K_S1L_EUlS1K_E_NS1_11comp_targetILNS1_3genE9ELNS1_11target_archE1100ELNS1_3gpuE3ELNS1_3repE0EEENS1_30default_config_static_selectorELNS0_4arch9wavefront6targetE1EEEvSY_
                                        ; -- End function
	.section	.AMDGPU.csdata,"",@progbits
; Kernel info:
; codeLenInByte = 0
; NumSgprs: 4
; NumVgprs: 0
; NumAgprs: 0
; TotalNumVgprs: 0
; ScratchSize: 0
; MemoryBound: 0
; FloatMode: 240
; IeeeMode: 1
; LDSByteSize: 0 bytes/workgroup (compile time only)
; SGPRBlocks: 0
; VGPRBlocks: 0
; NumSGPRsForWavesPerEU: 4
; NumVGPRsForWavesPerEU: 1
; AccumOffset: 4
; Occupancy: 8
; WaveLimiterHint : 0
; COMPUTE_PGM_RSRC2:SCRATCH_EN: 0
; COMPUTE_PGM_RSRC2:USER_SGPR: 6
; COMPUTE_PGM_RSRC2:TRAP_HANDLER: 0
; COMPUTE_PGM_RSRC2:TGID_X_EN: 1
; COMPUTE_PGM_RSRC2:TGID_Y_EN: 0
; COMPUTE_PGM_RSRC2:TGID_Z_EN: 0
; COMPUTE_PGM_RSRC2:TIDIG_COMP_CNT: 0
; COMPUTE_PGM_RSRC3_GFX90A:ACCUM_OFFSET: 0
; COMPUTE_PGM_RSRC3_GFX90A:TG_SPLIT: 0
	.section	.text._ZN7rocprim17ROCPRIM_400000_NS6detail17trampoline_kernelINS0_13select_configILj256ELj13ELNS0_17block_load_methodE3ELS4_3ELS4_3ELNS0_20block_scan_algorithmE0ELj4294967295EEENS1_25partition_config_selectorILNS1_17partition_subalgoE3EjNS0_10empty_typeEbEEZZNS1_14partition_implILS8_3ELb0ES6_jNS0_17counting_iteratorIjlEEPS9_SE_NS0_5tupleIJPjSE_EEENSF_IJSE_SE_EEES9_SG_JZNS1_25segmented_radix_sort_implINS0_14default_configELb1EPKfPfPKlPlN2at6native12_GLOBAL__N_18offset_tEEE10hipError_tPvRmT1_PNSt15iterator_traitsISY_E10value_typeET2_T3_PNSZ_IS14_E10value_typeET4_jRbjT5_S1A_jjP12ihipStream_tbEUljE_EEESV_SW_SX_S14_S18_S1A_T6_T7_T9_mT8_S1C_bDpT10_ENKUlT_T0_E_clISt17integral_constantIbLb0EES1P_EEDaS1K_S1L_EUlS1K_E_NS1_11comp_targetILNS1_3genE8ELNS1_11target_archE1030ELNS1_3gpuE2ELNS1_3repE0EEENS1_30default_config_static_selectorELNS0_4arch9wavefront6targetE1EEEvSY_,"axG",@progbits,_ZN7rocprim17ROCPRIM_400000_NS6detail17trampoline_kernelINS0_13select_configILj256ELj13ELNS0_17block_load_methodE3ELS4_3ELS4_3ELNS0_20block_scan_algorithmE0ELj4294967295EEENS1_25partition_config_selectorILNS1_17partition_subalgoE3EjNS0_10empty_typeEbEEZZNS1_14partition_implILS8_3ELb0ES6_jNS0_17counting_iteratorIjlEEPS9_SE_NS0_5tupleIJPjSE_EEENSF_IJSE_SE_EEES9_SG_JZNS1_25segmented_radix_sort_implINS0_14default_configELb1EPKfPfPKlPlN2at6native12_GLOBAL__N_18offset_tEEE10hipError_tPvRmT1_PNSt15iterator_traitsISY_E10value_typeET2_T3_PNSZ_IS14_E10value_typeET4_jRbjT5_S1A_jjP12ihipStream_tbEUljE_EEESV_SW_SX_S14_S18_S1A_T6_T7_T9_mT8_S1C_bDpT10_ENKUlT_T0_E_clISt17integral_constantIbLb0EES1P_EEDaS1K_S1L_EUlS1K_E_NS1_11comp_targetILNS1_3genE8ELNS1_11target_archE1030ELNS1_3gpuE2ELNS1_3repE0EEENS1_30default_config_static_selectorELNS0_4arch9wavefront6targetE1EEEvSY_,comdat
	.globl	_ZN7rocprim17ROCPRIM_400000_NS6detail17trampoline_kernelINS0_13select_configILj256ELj13ELNS0_17block_load_methodE3ELS4_3ELS4_3ELNS0_20block_scan_algorithmE0ELj4294967295EEENS1_25partition_config_selectorILNS1_17partition_subalgoE3EjNS0_10empty_typeEbEEZZNS1_14partition_implILS8_3ELb0ES6_jNS0_17counting_iteratorIjlEEPS9_SE_NS0_5tupleIJPjSE_EEENSF_IJSE_SE_EEES9_SG_JZNS1_25segmented_radix_sort_implINS0_14default_configELb1EPKfPfPKlPlN2at6native12_GLOBAL__N_18offset_tEEE10hipError_tPvRmT1_PNSt15iterator_traitsISY_E10value_typeET2_T3_PNSZ_IS14_E10value_typeET4_jRbjT5_S1A_jjP12ihipStream_tbEUljE_EEESV_SW_SX_S14_S18_S1A_T6_T7_T9_mT8_S1C_bDpT10_ENKUlT_T0_E_clISt17integral_constantIbLb0EES1P_EEDaS1K_S1L_EUlS1K_E_NS1_11comp_targetILNS1_3genE8ELNS1_11target_archE1030ELNS1_3gpuE2ELNS1_3repE0EEENS1_30default_config_static_selectorELNS0_4arch9wavefront6targetE1EEEvSY_ ; -- Begin function _ZN7rocprim17ROCPRIM_400000_NS6detail17trampoline_kernelINS0_13select_configILj256ELj13ELNS0_17block_load_methodE3ELS4_3ELS4_3ELNS0_20block_scan_algorithmE0ELj4294967295EEENS1_25partition_config_selectorILNS1_17partition_subalgoE3EjNS0_10empty_typeEbEEZZNS1_14partition_implILS8_3ELb0ES6_jNS0_17counting_iteratorIjlEEPS9_SE_NS0_5tupleIJPjSE_EEENSF_IJSE_SE_EEES9_SG_JZNS1_25segmented_radix_sort_implINS0_14default_configELb1EPKfPfPKlPlN2at6native12_GLOBAL__N_18offset_tEEE10hipError_tPvRmT1_PNSt15iterator_traitsISY_E10value_typeET2_T3_PNSZ_IS14_E10value_typeET4_jRbjT5_S1A_jjP12ihipStream_tbEUljE_EEESV_SW_SX_S14_S18_S1A_T6_T7_T9_mT8_S1C_bDpT10_ENKUlT_T0_E_clISt17integral_constantIbLb0EES1P_EEDaS1K_S1L_EUlS1K_E_NS1_11comp_targetILNS1_3genE8ELNS1_11target_archE1030ELNS1_3gpuE2ELNS1_3repE0EEENS1_30default_config_static_selectorELNS0_4arch9wavefront6targetE1EEEvSY_
	.p2align	8
	.type	_ZN7rocprim17ROCPRIM_400000_NS6detail17trampoline_kernelINS0_13select_configILj256ELj13ELNS0_17block_load_methodE3ELS4_3ELS4_3ELNS0_20block_scan_algorithmE0ELj4294967295EEENS1_25partition_config_selectorILNS1_17partition_subalgoE3EjNS0_10empty_typeEbEEZZNS1_14partition_implILS8_3ELb0ES6_jNS0_17counting_iteratorIjlEEPS9_SE_NS0_5tupleIJPjSE_EEENSF_IJSE_SE_EEES9_SG_JZNS1_25segmented_radix_sort_implINS0_14default_configELb1EPKfPfPKlPlN2at6native12_GLOBAL__N_18offset_tEEE10hipError_tPvRmT1_PNSt15iterator_traitsISY_E10value_typeET2_T3_PNSZ_IS14_E10value_typeET4_jRbjT5_S1A_jjP12ihipStream_tbEUljE_EEESV_SW_SX_S14_S18_S1A_T6_T7_T9_mT8_S1C_bDpT10_ENKUlT_T0_E_clISt17integral_constantIbLb0EES1P_EEDaS1K_S1L_EUlS1K_E_NS1_11comp_targetILNS1_3genE8ELNS1_11target_archE1030ELNS1_3gpuE2ELNS1_3repE0EEENS1_30default_config_static_selectorELNS0_4arch9wavefront6targetE1EEEvSY_,@function
_ZN7rocprim17ROCPRIM_400000_NS6detail17trampoline_kernelINS0_13select_configILj256ELj13ELNS0_17block_load_methodE3ELS4_3ELS4_3ELNS0_20block_scan_algorithmE0ELj4294967295EEENS1_25partition_config_selectorILNS1_17partition_subalgoE3EjNS0_10empty_typeEbEEZZNS1_14partition_implILS8_3ELb0ES6_jNS0_17counting_iteratorIjlEEPS9_SE_NS0_5tupleIJPjSE_EEENSF_IJSE_SE_EEES9_SG_JZNS1_25segmented_radix_sort_implINS0_14default_configELb1EPKfPfPKlPlN2at6native12_GLOBAL__N_18offset_tEEE10hipError_tPvRmT1_PNSt15iterator_traitsISY_E10value_typeET2_T3_PNSZ_IS14_E10value_typeET4_jRbjT5_S1A_jjP12ihipStream_tbEUljE_EEESV_SW_SX_S14_S18_S1A_T6_T7_T9_mT8_S1C_bDpT10_ENKUlT_T0_E_clISt17integral_constantIbLb0EES1P_EEDaS1K_S1L_EUlS1K_E_NS1_11comp_targetILNS1_3genE8ELNS1_11target_archE1030ELNS1_3gpuE2ELNS1_3repE0EEENS1_30default_config_static_selectorELNS0_4arch9wavefront6targetE1EEEvSY_: ; @_ZN7rocprim17ROCPRIM_400000_NS6detail17trampoline_kernelINS0_13select_configILj256ELj13ELNS0_17block_load_methodE3ELS4_3ELS4_3ELNS0_20block_scan_algorithmE0ELj4294967295EEENS1_25partition_config_selectorILNS1_17partition_subalgoE3EjNS0_10empty_typeEbEEZZNS1_14partition_implILS8_3ELb0ES6_jNS0_17counting_iteratorIjlEEPS9_SE_NS0_5tupleIJPjSE_EEENSF_IJSE_SE_EEES9_SG_JZNS1_25segmented_radix_sort_implINS0_14default_configELb1EPKfPfPKlPlN2at6native12_GLOBAL__N_18offset_tEEE10hipError_tPvRmT1_PNSt15iterator_traitsISY_E10value_typeET2_T3_PNSZ_IS14_E10value_typeET4_jRbjT5_S1A_jjP12ihipStream_tbEUljE_EEESV_SW_SX_S14_S18_S1A_T6_T7_T9_mT8_S1C_bDpT10_ENKUlT_T0_E_clISt17integral_constantIbLb0EES1P_EEDaS1K_S1L_EUlS1K_E_NS1_11comp_targetILNS1_3genE8ELNS1_11target_archE1030ELNS1_3gpuE2ELNS1_3repE0EEENS1_30default_config_static_selectorELNS0_4arch9wavefront6targetE1EEEvSY_
; %bb.0:
	.section	.rodata,"a",@progbits
	.p2align	6, 0x0
	.amdhsa_kernel _ZN7rocprim17ROCPRIM_400000_NS6detail17trampoline_kernelINS0_13select_configILj256ELj13ELNS0_17block_load_methodE3ELS4_3ELS4_3ELNS0_20block_scan_algorithmE0ELj4294967295EEENS1_25partition_config_selectorILNS1_17partition_subalgoE3EjNS0_10empty_typeEbEEZZNS1_14partition_implILS8_3ELb0ES6_jNS0_17counting_iteratorIjlEEPS9_SE_NS0_5tupleIJPjSE_EEENSF_IJSE_SE_EEES9_SG_JZNS1_25segmented_radix_sort_implINS0_14default_configELb1EPKfPfPKlPlN2at6native12_GLOBAL__N_18offset_tEEE10hipError_tPvRmT1_PNSt15iterator_traitsISY_E10value_typeET2_T3_PNSZ_IS14_E10value_typeET4_jRbjT5_S1A_jjP12ihipStream_tbEUljE_EEESV_SW_SX_S14_S18_S1A_T6_T7_T9_mT8_S1C_bDpT10_ENKUlT_T0_E_clISt17integral_constantIbLb0EES1P_EEDaS1K_S1L_EUlS1K_E_NS1_11comp_targetILNS1_3genE8ELNS1_11target_archE1030ELNS1_3gpuE2ELNS1_3repE0EEENS1_30default_config_static_selectorELNS0_4arch9wavefront6targetE1EEEvSY_
		.amdhsa_group_segment_fixed_size 0
		.amdhsa_private_segment_fixed_size 0
		.amdhsa_kernarg_size 144
		.amdhsa_user_sgpr_count 6
		.amdhsa_user_sgpr_private_segment_buffer 1
		.amdhsa_user_sgpr_dispatch_ptr 0
		.amdhsa_user_sgpr_queue_ptr 0
		.amdhsa_user_sgpr_kernarg_segment_ptr 1
		.amdhsa_user_sgpr_dispatch_id 0
		.amdhsa_user_sgpr_flat_scratch_init 0
		.amdhsa_user_sgpr_kernarg_preload_length 0
		.amdhsa_user_sgpr_kernarg_preload_offset 0
		.amdhsa_user_sgpr_private_segment_size 0
		.amdhsa_uses_dynamic_stack 0
		.amdhsa_system_sgpr_private_segment_wavefront_offset 0
		.amdhsa_system_sgpr_workgroup_id_x 1
		.amdhsa_system_sgpr_workgroup_id_y 0
		.amdhsa_system_sgpr_workgroup_id_z 0
		.amdhsa_system_sgpr_workgroup_info 0
		.amdhsa_system_vgpr_workitem_id 0
		.amdhsa_next_free_vgpr 1
		.amdhsa_next_free_sgpr 0
		.amdhsa_accum_offset 4
		.amdhsa_reserve_vcc 0
		.amdhsa_reserve_flat_scratch 0
		.amdhsa_float_round_mode_32 0
		.amdhsa_float_round_mode_16_64 0
		.amdhsa_float_denorm_mode_32 3
		.amdhsa_float_denorm_mode_16_64 3
		.amdhsa_dx10_clamp 1
		.amdhsa_ieee_mode 1
		.amdhsa_fp16_overflow 0
		.amdhsa_tg_split 0
		.amdhsa_exception_fp_ieee_invalid_op 0
		.amdhsa_exception_fp_denorm_src 0
		.amdhsa_exception_fp_ieee_div_zero 0
		.amdhsa_exception_fp_ieee_overflow 0
		.amdhsa_exception_fp_ieee_underflow 0
		.amdhsa_exception_fp_ieee_inexact 0
		.amdhsa_exception_int_div_zero 0
	.end_amdhsa_kernel
	.section	.text._ZN7rocprim17ROCPRIM_400000_NS6detail17trampoline_kernelINS0_13select_configILj256ELj13ELNS0_17block_load_methodE3ELS4_3ELS4_3ELNS0_20block_scan_algorithmE0ELj4294967295EEENS1_25partition_config_selectorILNS1_17partition_subalgoE3EjNS0_10empty_typeEbEEZZNS1_14partition_implILS8_3ELb0ES6_jNS0_17counting_iteratorIjlEEPS9_SE_NS0_5tupleIJPjSE_EEENSF_IJSE_SE_EEES9_SG_JZNS1_25segmented_radix_sort_implINS0_14default_configELb1EPKfPfPKlPlN2at6native12_GLOBAL__N_18offset_tEEE10hipError_tPvRmT1_PNSt15iterator_traitsISY_E10value_typeET2_T3_PNSZ_IS14_E10value_typeET4_jRbjT5_S1A_jjP12ihipStream_tbEUljE_EEESV_SW_SX_S14_S18_S1A_T6_T7_T9_mT8_S1C_bDpT10_ENKUlT_T0_E_clISt17integral_constantIbLb0EES1P_EEDaS1K_S1L_EUlS1K_E_NS1_11comp_targetILNS1_3genE8ELNS1_11target_archE1030ELNS1_3gpuE2ELNS1_3repE0EEENS1_30default_config_static_selectorELNS0_4arch9wavefront6targetE1EEEvSY_,"axG",@progbits,_ZN7rocprim17ROCPRIM_400000_NS6detail17trampoline_kernelINS0_13select_configILj256ELj13ELNS0_17block_load_methodE3ELS4_3ELS4_3ELNS0_20block_scan_algorithmE0ELj4294967295EEENS1_25partition_config_selectorILNS1_17partition_subalgoE3EjNS0_10empty_typeEbEEZZNS1_14partition_implILS8_3ELb0ES6_jNS0_17counting_iteratorIjlEEPS9_SE_NS0_5tupleIJPjSE_EEENSF_IJSE_SE_EEES9_SG_JZNS1_25segmented_radix_sort_implINS0_14default_configELb1EPKfPfPKlPlN2at6native12_GLOBAL__N_18offset_tEEE10hipError_tPvRmT1_PNSt15iterator_traitsISY_E10value_typeET2_T3_PNSZ_IS14_E10value_typeET4_jRbjT5_S1A_jjP12ihipStream_tbEUljE_EEESV_SW_SX_S14_S18_S1A_T6_T7_T9_mT8_S1C_bDpT10_ENKUlT_T0_E_clISt17integral_constantIbLb0EES1P_EEDaS1K_S1L_EUlS1K_E_NS1_11comp_targetILNS1_3genE8ELNS1_11target_archE1030ELNS1_3gpuE2ELNS1_3repE0EEENS1_30default_config_static_selectorELNS0_4arch9wavefront6targetE1EEEvSY_,comdat
.Lfunc_end1298:
	.size	_ZN7rocprim17ROCPRIM_400000_NS6detail17trampoline_kernelINS0_13select_configILj256ELj13ELNS0_17block_load_methodE3ELS4_3ELS4_3ELNS0_20block_scan_algorithmE0ELj4294967295EEENS1_25partition_config_selectorILNS1_17partition_subalgoE3EjNS0_10empty_typeEbEEZZNS1_14partition_implILS8_3ELb0ES6_jNS0_17counting_iteratorIjlEEPS9_SE_NS0_5tupleIJPjSE_EEENSF_IJSE_SE_EEES9_SG_JZNS1_25segmented_radix_sort_implINS0_14default_configELb1EPKfPfPKlPlN2at6native12_GLOBAL__N_18offset_tEEE10hipError_tPvRmT1_PNSt15iterator_traitsISY_E10value_typeET2_T3_PNSZ_IS14_E10value_typeET4_jRbjT5_S1A_jjP12ihipStream_tbEUljE_EEESV_SW_SX_S14_S18_S1A_T6_T7_T9_mT8_S1C_bDpT10_ENKUlT_T0_E_clISt17integral_constantIbLb0EES1P_EEDaS1K_S1L_EUlS1K_E_NS1_11comp_targetILNS1_3genE8ELNS1_11target_archE1030ELNS1_3gpuE2ELNS1_3repE0EEENS1_30default_config_static_selectorELNS0_4arch9wavefront6targetE1EEEvSY_, .Lfunc_end1298-_ZN7rocprim17ROCPRIM_400000_NS6detail17trampoline_kernelINS0_13select_configILj256ELj13ELNS0_17block_load_methodE3ELS4_3ELS4_3ELNS0_20block_scan_algorithmE0ELj4294967295EEENS1_25partition_config_selectorILNS1_17partition_subalgoE3EjNS0_10empty_typeEbEEZZNS1_14partition_implILS8_3ELb0ES6_jNS0_17counting_iteratorIjlEEPS9_SE_NS0_5tupleIJPjSE_EEENSF_IJSE_SE_EEES9_SG_JZNS1_25segmented_radix_sort_implINS0_14default_configELb1EPKfPfPKlPlN2at6native12_GLOBAL__N_18offset_tEEE10hipError_tPvRmT1_PNSt15iterator_traitsISY_E10value_typeET2_T3_PNSZ_IS14_E10value_typeET4_jRbjT5_S1A_jjP12ihipStream_tbEUljE_EEESV_SW_SX_S14_S18_S1A_T6_T7_T9_mT8_S1C_bDpT10_ENKUlT_T0_E_clISt17integral_constantIbLb0EES1P_EEDaS1K_S1L_EUlS1K_E_NS1_11comp_targetILNS1_3genE8ELNS1_11target_archE1030ELNS1_3gpuE2ELNS1_3repE0EEENS1_30default_config_static_selectorELNS0_4arch9wavefront6targetE1EEEvSY_
                                        ; -- End function
	.section	.AMDGPU.csdata,"",@progbits
; Kernel info:
; codeLenInByte = 0
; NumSgprs: 4
; NumVgprs: 0
; NumAgprs: 0
; TotalNumVgprs: 0
; ScratchSize: 0
; MemoryBound: 0
; FloatMode: 240
; IeeeMode: 1
; LDSByteSize: 0 bytes/workgroup (compile time only)
; SGPRBlocks: 0
; VGPRBlocks: 0
; NumSGPRsForWavesPerEU: 4
; NumVGPRsForWavesPerEU: 1
; AccumOffset: 4
; Occupancy: 8
; WaveLimiterHint : 0
; COMPUTE_PGM_RSRC2:SCRATCH_EN: 0
; COMPUTE_PGM_RSRC2:USER_SGPR: 6
; COMPUTE_PGM_RSRC2:TRAP_HANDLER: 0
; COMPUTE_PGM_RSRC2:TGID_X_EN: 1
; COMPUTE_PGM_RSRC2:TGID_Y_EN: 0
; COMPUTE_PGM_RSRC2:TGID_Z_EN: 0
; COMPUTE_PGM_RSRC2:TIDIG_COMP_CNT: 0
; COMPUTE_PGM_RSRC3_GFX90A:ACCUM_OFFSET: 0
; COMPUTE_PGM_RSRC3_GFX90A:TG_SPLIT: 0
	.section	.text._ZN7rocprim17ROCPRIM_400000_NS6detail17trampoline_kernelINS0_13select_configILj256ELj13ELNS0_17block_load_methodE3ELS4_3ELS4_3ELNS0_20block_scan_algorithmE0ELj4294967295EEENS1_25partition_config_selectorILNS1_17partition_subalgoE3EjNS0_10empty_typeEbEEZZNS1_14partition_implILS8_3ELb0ES6_jNS0_17counting_iteratorIjlEEPS9_SE_NS0_5tupleIJPjSE_EEENSF_IJSE_SE_EEES9_SG_JZNS1_25segmented_radix_sort_implINS0_14default_configELb1EPKfPfPKlPlN2at6native12_GLOBAL__N_18offset_tEEE10hipError_tPvRmT1_PNSt15iterator_traitsISY_E10value_typeET2_T3_PNSZ_IS14_E10value_typeET4_jRbjT5_S1A_jjP12ihipStream_tbEUljE_EEESV_SW_SX_S14_S18_S1A_T6_T7_T9_mT8_S1C_bDpT10_ENKUlT_T0_E_clISt17integral_constantIbLb1EES1P_EEDaS1K_S1L_EUlS1K_E_NS1_11comp_targetILNS1_3genE0ELNS1_11target_archE4294967295ELNS1_3gpuE0ELNS1_3repE0EEENS1_30default_config_static_selectorELNS0_4arch9wavefront6targetE1EEEvSY_,"axG",@progbits,_ZN7rocprim17ROCPRIM_400000_NS6detail17trampoline_kernelINS0_13select_configILj256ELj13ELNS0_17block_load_methodE3ELS4_3ELS4_3ELNS0_20block_scan_algorithmE0ELj4294967295EEENS1_25partition_config_selectorILNS1_17partition_subalgoE3EjNS0_10empty_typeEbEEZZNS1_14partition_implILS8_3ELb0ES6_jNS0_17counting_iteratorIjlEEPS9_SE_NS0_5tupleIJPjSE_EEENSF_IJSE_SE_EEES9_SG_JZNS1_25segmented_radix_sort_implINS0_14default_configELb1EPKfPfPKlPlN2at6native12_GLOBAL__N_18offset_tEEE10hipError_tPvRmT1_PNSt15iterator_traitsISY_E10value_typeET2_T3_PNSZ_IS14_E10value_typeET4_jRbjT5_S1A_jjP12ihipStream_tbEUljE_EEESV_SW_SX_S14_S18_S1A_T6_T7_T9_mT8_S1C_bDpT10_ENKUlT_T0_E_clISt17integral_constantIbLb1EES1P_EEDaS1K_S1L_EUlS1K_E_NS1_11comp_targetILNS1_3genE0ELNS1_11target_archE4294967295ELNS1_3gpuE0ELNS1_3repE0EEENS1_30default_config_static_selectorELNS0_4arch9wavefront6targetE1EEEvSY_,comdat
	.globl	_ZN7rocprim17ROCPRIM_400000_NS6detail17trampoline_kernelINS0_13select_configILj256ELj13ELNS0_17block_load_methodE3ELS4_3ELS4_3ELNS0_20block_scan_algorithmE0ELj4294967295EEENS1_25partition_config_selectorILNS1_17partition_subalgoE3EjNS0_10empty_typeEbEEZZNS1_14partition_implILS8_3ELb0ES6_jNS0_17counting_iteratorIjlEEPS9_SE_NS0_5tupleIJPjSE_EEENSF_IJSE_SE_EEES9_SG_JZNS1_25segmented_radix_sort_implINS0_14default_configELb1EPKfPfPKlPlN2at6native12_GLOBAL__N_18offset_tEEE10hipError_tPvRmT1_PNSt15iterator_traitsISY_E10value_typeET2_T3_PNSZ_IS14_E10value_typeET4_jRbjT5_S1A_jjP12ihipStream_tbEUljE_EEESV_SW_SX_S14_S18_S1A_T6_T7_T9_mT8_S1C_bDpT10_ENKUlT_T0_E_clISt17integral_constantIbLb1EES1P_EEDaS1K_S1L_EUlS1K_E_NS1_11comp_targetILNS1_3genE0ELNS1_11target_archE4294967295ELNS1_3gpuE0ELNS1_3repE0EEENS1_30default_config_static_selectorELNS0_4arch9wavefront6targetE1EEEvSY_ ; -- Begin function _ZN7rocprim17ROCPRIM_400000_NS6detail17trampoline_kernelINS0_13select_configILj256ELj13ELNS0_17block_load_methodE3ELS4_3ELS4_3ELNS0_20block_scan_algorithmE0ELj4294967295EEENS1_25partition_config_selectorILNS1_17partition_subalgoE3EjNS0_10empty_typeEbEEZZNS1_14partition_implILS8_3ELb0ES6_jNS0_17counting_iteratorIjlEEPS9_SE_NS0_5tupleIJPjSE_EEENSF_IJSE_SE_EEES9_SG_JZNS1_25segmented_radix_sort_implINS0_14default_configELb1EPKfPfPKlPlN2at6native12_GLOBAL__N_18offset_tEEE10hipError_tPvRmT1_PNSt15iterator_traitsISY_E10value_typeET2_T3_PNSZ_IS14_E10value_typeET4_jRbjT5_S1A_jjP12ihipStream_tbEUljE_EEESV_SW_SX_S14_S18_S1A_T6_T7_T9_mT8_S1C_bDpT10_ENKUlT_T0_E_clISt17integral_constantIbLb1EES1P_EEDaS1K_S1L_EUlS1K_E_NS1_11comp_targetILNS1_3genE0ELNS1_11target_archE4294967295ELNS1_3gpuE0ELNS1_3repE0EEENS1_30default_config_static_selectorELNS0_4arch9wavefront6targetE1EEEvSY_
	.p2align	8
	.type	_ZN7rocprim17ROCPRIM_400000_NS6detail17trampoline_kernelINS0_13select_configILj256ELj13ELNS0_17block_load_methodE3ELS4_3ELS4_3ELNS0_20block_scan_algorithmE0ELj4294967295EEENS1_25partition_config_selectorILNS1_17partition_subalgoE3EjNS0_10empty_typeEbEEZZNS1_14partition_implILS8_3ELb0ES6_jNS0_17counting_iteratorIjlEEPS9_SE_NS0_5tupleIJPjSE_EEENSF_IJSE_SE_EEES9_SG_JZNS1_25segmented_radix_sort_implINS0_14default_configELb1EPKfPfPKlPlN2at6native12_GLOBAL__N_18offset_tEEE10hipError_tPvRmT1_PNSt15iterator_traitsISY_E10value_typeET2_T3_PNSZ_IS14_E10value_typeET4_jRbjT5_S1A_jjP12ihipStream_tbEUljE_EEESV_SW_SX_S14_S18_S1A_T6_T7_T9_mT8_S1C_bDpT10_ENKUlT_T0_E_clISt17integral_constantIbLb1EES1P_EEDaS1K_S1L_EUlS1K_E_NS1_11comp_targetILNS1_3genE0ELNS1_11target_archE4294967295ELNS1_3gpuE0ELNS1_3repE0EEENS1_30default_config_static_selectorELNS0_4arch9wavefront6targetE1EEEvSY_,@function
_ZN7rocprim17ROCPRIM_400000_NS6detail17trampoline_kernelINS0_13select_configILj256ELj13ELNS0_17block_load_methodE3ELS4_3ELS4_3ELNS0_20block_scan_algorithmE0ELj4294967295EEENS1_25partition_config_selectorILNS1_17partition_subalgoE3EjNS0_10empty_typeEbEEZZNS1_14partition_implILS8_3ELb0ES6_jNS0_17counting_iteratorIjlEEPS9_SE_NS0_5tupleIJPjSE_EEENSF_IJSE_SE_EEES9_SG_JZNS1_25segmented_radix_sort_implINS0_14default_configELb1EPKfPfPKlPlN2at6native12_GLOBAL__N_18offset_tEEE10hipError_tPvRmT1_PNSt15iterator_traitsISY_E10value_typeET2_T3_PNSZ_IS14_E10value_typeET4_jRbjT5_S1A_jjP12ihipStream_tbEUljE_EEESV_SW_SX_S14_S18_S1A_T6_T7_T9_mT8_S1C_bDpT10_ENKUlT_T0_E_clISt17integral_constantIbLb1EES1P_EEDaS1K_S1L_EUlS1K_E_NS1_11comp_targetILNS1_3genE0ELNS1_11target_archE4294967295ELNS1_3gpuE0ELNS1_3repE0EEENS1_30default_config_static_selectorELNS0_4arch9wavefront6targetE1EEEvSY_: ; @_ZN7rocprim17ROCPRIM_400000_NS6detail17trampoline_kernelINS0_13select_configILj256ELj13ELNS0_17block_load_methodE3ELS4_3ELS4_3ELNS0_20block_scan_algorithmE0ELj4294967295EEENS1_25partition_config_selectorILNS1_17partition_subalgoE3EjNS0_10empty_typeEbEEZZNS1_14partition_implILS8_3ELb0ES6_jNS0_17counting_iteratorIjlEEPS9_SE_NS0_5tupleIJPjSE_EEENSF_IJSE_SE_EEES9_SG_JZNS1_25segmented_radix_sort_implINS0_14default_configELb1EPKfPfPKlPlN2at6native12_GLOBAL__N_18offset_tEEE10hipError_tPvRmT1_PNSt15iterator_traitsISY_E10value_typeET2_T3_PNSZ_IS14_E10value_typeET4_jRbjT5_S1A_jjP12ihipStream_tbEUljE_EEESV_SW_SX_S14_S18_S1A_T6_T7_T9_mT8_S1C_bDpT10_ENKUlT_T0_E_clISt17integral_constantIbLb1EES1P_EEDaS1K_S1L_EUlS1K_E_NS1_11comp_targetILNS1_3genE0ELNS1_11target_archE4294967295ELNS1_3gpuE0ELNS1_3repE0EEENS1_30default_config_static_selectorELNS0_4arch9wavefront6targetE1EEEvSY_
; %bb.0:
	.section	.rodata,"a",@progbits
	.p2align	6, 0x0
	.amdhsa_kernel _ZN7rocprim17ROCPRIM_400000_NS6detail17trampoline_kernelINS0_13select_configILj256ELj13ELNS0_17block_load_methodE3ELS4_3ELS4_3ELNS0_20block_scan_algorithmE0ELj4294967295EEENS1_25partition_config_selectorILNS1_17partition_subalgoE3EjNS0_10empty_typeEbEEZZNS1_14partition_implILS8_3ELb0ES6_jNS0_17counting_iteratorIjlEEPS9_SE_NS0_5tupleIJPjSE_EEENSF_IJSE_SE_EEES9_SG_JZNS1_25segmented_radix_sort_implINS0_14default_configELb1EPKfPfPKlPlN2at6native12_GLOBAL__N_18offset_tEEE10hipError_tPvRmT1_PNSt15iterator_traitsISY_E10value_typeET2_T3_PNSZ_IS14_E10value_typeET4_jRbjT5_S1A_jjP12ihipStream_tbEUljE_EEESV_SW_SX_S14_S18_S1A_T6_T7_T9_mT8_S1C_bDpT10_ENKUlT_T0_E_clISt17integral_constantIbLb1EES1P_EEDaS1K_S1L_EUlS1K_E_NS1_11comp_targetILNS1_3genE0ELNS1_11target_archE4294967295ELNS1_3gpuE0ELNS1_3repE0EEENS1_30default_config_static_selectorELNS0_4arch9wavefront6targetE1EEEvSY_
		.amdhsa_group_segment_fixed_size 0
		.amdhsa_private_segment_fixed_size 0
		.amdhsa_kernarg_size 152
		.amdhsa_user_sgpr_count 6
		.amdhsa_user_sgpr_private_segment_buffer 1
		.amdhsa_user_sgpr_dispatch_ptr 0
		.amdhsa_user_sgpr_queue_ptr 0
		.amdhsa_user_sgpr_kernarg_segment_ptr 1
		.amdhsa_user_sgpr_dispatch_id 0
		.amdhsa_user_sgpr_flat_scratch_init 0
		.amdhsa_user_sgpr_kernarg_preload_length 0
		.amdhsa_user_sgpr_kernarg_preload_offset 0
		.amdhsa_user_sgpr_private_segment_size 0
		.amdhsa_uses_dynamic_stack 0
		.amdhsa_system_sgpr_private_segment_wavefront_offset 0
		.amdhsa_system_sgpr_workgroup_id_x 1
		.amdhsa_system_sgpr_workgroup_id_y 0
		.amdhsa_system_sgpr_workgroup_id_z 0
		.amdhsa_system_sgpr_workgroup_info 0
		.amdhsa_system_vgpr_workitem_id 0
		.amdhsa_next_free_vgpr 1
		.amdhsa_next_free_sgpr 0
		.amdhsa_accum_offset 4
		.amdhsa_reserve_vcc 0
		.amdhsa_reserve_flat_scratch 0
		.amdhsa_float_round_mode_32 0
		.amdhsa_float_round_mode_16_64 0
		.amdhsa_float_denorm_mode_32 3
		.amdhsa_float_denorm_mode_16_64 3
		.amdhsa_dx10_clamp 1
		.amdhsa_ieee_mode 1
		.amdhsa_fp16_overflow 0
		.amdhsa_tg_split 0
		.amdhsa_exception_fp_ieee_invalid_op 0
		.amdhsa_exception_fp_denorm_src 0
		.amdhsa_exception_fp_ieee_div_zero 0
		.amdhsa_exception_fp_ieee_overflow 0
		.amdhsa_exception_fp_ieee_underflow 0
		.amdhsa_exception_fp_ieee_inexact 0
		.amdhsa_exception_int_div_zero 0
	.end_amdhsa_kernel
	.section	.text._ZN7rocprim17ROCPRIM_400000_NS6detail17trampoline_kernelINS0_13select_configILj256ELj13ELNS0_17block_load_methodE3ELS4_3ELS4_3ELNS0_20block_scan_algorithmE0ELj4294967295EEENS1_25partition_config_selectorILNS1_17partition_subalgoE3EjNS0_10empty_typeEbEEZZNS1_14partition_implILS8_3ELb0ES6_jNS0_17counting_iteratorIjlEEPS9_SE_NS0_5tupleIJPjSE_EEENSF_IJSE_SE_EEES9_SG_JZNS1_25segmented_radix_sort_implINS0_14default_configELb1EPKfPfPKlPlN2at6native12_GLOBAL__N_18offset_tEEE10hipError_tPvRmT1_PNSt15iterator_traitsISY_E10value_typeET2_T3_PNSZ_IS14_E10value_typeET4_jRbjT5_S1A_jjP12ihipStream_tbEUljE_EEESV_SW_SX_S14_S18_S1A_T6_T7_T9_mT8_S1C_bDpT10_ENKUlT_T0_E_clISt17integral_constantIbLb1EES1P_EEDaS1K_S1L_EUlS1K_E_NS1_11comp_targetILNS1_3genE0ELNS1_11target_archE4294967295ELNS1_3gpuE0ELNS1_3repE0EEENS1_30default_config_static_selectorELNS0_4arch9wavefront6targetE1EEEvSY_,"axG",@progbits,_ZN7rocprim17ROCPRIM_400000_NS6detail17trampoline_kernelINS0_13select_configILj256ELj13ELNS0_17block_load_methodE3ELS4_3ELS4_3ELNS0_20block_scan_algorithmE0ELj4294967295EEENS1_25partition_config_selectorILNS1_17partition_subalgoE3EjNS0_10empty_typeEbEEZZNS1_14partition_implILS8_3ELb0ES6_jNS0_17counting_iteratorIjlEEPS9_SE_NS0_5tupleIJPjSE_EEENSF_IJSE_SE_EEES9_SG_JZNS1_25segmented_radix_sort_implINS0_14default_configELb1EPKfPfPKlPlN2at6native12_GLOBAL__N_18offset_tEEE10hipError_tPvRmT1_PNSt15iterator_traitsISY_E10value_typeET2_T3_PNSZ_IS14_E10value_typeET4_jRbjT5_S1A_jjP12ihipStream_tbEUljE_EEESV_SW_SX_S14_S18_S1A_T6_T7_T9_mT8_S1C_bDpT10_ENKUlT_T0_E_clISt17integral_constantIbLb1EES1P_EEDaS1K_S1L_EUlS1K_E_NS1_11comp_targetILNS1_3genE0ELNS1_11target_archE4294967295ELNS1_3gpuE0ELNS1_3repE0EEENS1_30default_config_static_selectorELNS0_4arch9wavefront6targetE1EEEvSY_,comdat
.Lfunc_end1299:
	.size	_ZN7rocprim17ROCPRIM_400000_NS6detail17trampoline_kernelINS0_13select_configILj256ELj13ELNS0_17block_load_methodE3ELS4_3ELS4_3ELNS0_20block_scan_algorithmE0ELj4294967295EEENS1_25partition_config_selectorILNS1_17partition_subalgoE3EjNS0_10empty_typeEbEEZZNS1_14partition_implILS8_3ELb0ES6_jNS0_17counting_iteratorIjlEEPS9_SE_NS0_5tupleIJPjSE_EEENSF_IJSE_SE_EEES9_SG_JZNS1_25segmented_radix_sort_implINS0_14default_configELb1EPKfPfPKlPlN2at6native12_GLOBAL__N_18offset_tEEE10hipError_tPvRmT1_PNSt15iterator_traitsISY_E10value_typeET2_T3_PNSZ_IS14_E10value_typeET4_jRbjT5_S1A_jjP12ihipStream_tbEUljE_EEESV_SW_SX_S14_S18_S1A_T6_T7_T9_mT8_S1C_bDpT10_ENKUlT_T0_E_clISt17integral_constantIbLb1EES1P_EEDaS1K_S1L_EUlS1K_E_NS1_11comp_targetILNS1_3genE0ELNS1_11target_archE4294967295ELNS1_3gpuE0ELNS1_3repE0EEENS1_30default_config_static_selectorELNS0_4arch9wavefront6targetE1EEEvSY_, .Lfunc_end1299-_ZN7rocprim17ROCPRIM_400000_NS6detail17trampoline_kernelINS0_13select_configILj256ELj13ELNS0_17block_load_methodE3ELS4_3ELS4_3ELNS0_20block_scan_algorithmE0ELj4294967295EEENS1_25partition_config_selectorILNS1_17partition_subalgoE3EjNS0_10empty_typeEbEEZZNS1_14partition_implILS8_3ELb0ES6_jNS0_17counting_iteratorIjlEEPS9_SE_NS0_5tupleIJPjSE_EEENSF_IJSE_SE_EEES9_SG_JZNS1_25segmented_radix_sort_implINS0_14default_configELb1EPKfPfPKlPlN2at6native12_GLOBAL__N_18offset_tEEE10hipError_tPvRmT1_PNSt15iterator_traitsISY_E10value_typeET2_T3_PNSZ_IS14_E10value_typeET4_jRbjT5_S1A_jjP12ihipStream_tbEUljE_EEESV_SW_SX_S14_S18_S1A_T6_T7_T9_mT8_S1C_bDpT10_ENKUlT_T0_E_clISt17integral_constantIbLb1EES1P_EEDaS1K_S1L_EUlS1K_E_NS1_11comp_targetILNS1_3genE0ELNS1_11target_archE4294967295ELNS1_3gpuE0ELNS1_3repE0EEENS1_30default_config_static_selectorELNS0_4arch9wavefront6targetE1EEEvSY_
                                        ; -- End function
	.section	.AMDGPU.csdata,"",@progbits
; Kernel info:
; codeLenInByte = 0
; NumSgprs: 4
; NumVgprs: 0
; NumAgprs: 0
; TotalNumVgprs: 0
; ScratchSize: 0
; MemoryBound: 0
; FloatMode: 240
; IeeeMode: 1
; LDSByteSize: 0 bytes/workgroup (compile time only)
; SGPRBlocks: 0
; VGPRBlocks: 0
; NumSGPRsForWavesPerEU: 4
; NumVGPRsForWavesPerEU: 1
; AccumOffset: 4
; Occupancy: 8
; WaveLimiterHint : 0
; COMPUTE_PGM_RSRC2:SCRATCH_EN: 0
; COMPUTE_PGM_RSRC2:USER_SGPR: 6
; COMPUTE_PGM_RSRC2:TRAP_HANDLER: 0
; COMPUTE_PGM_RSRC2:TGID_X_EN: 1
; COMPUTE_PGM_RSRC2:TGID_Y_EN: 0
; COMPUTE_PGM_RSRC2:TGID_Z_EN: 0
; COMPUTE_PGM_RSRC2:TIDIG_COMP_CNT: 0
; COMPUTE_PGM_RSRC3_GFX90A:ACCUM_OFFSET: 0
; COMPUTE_PGM_RSRC3_GFX90A:TG_SPLIT: 0
	.section	.text._ZN7rocprim17ROCPRIM_400000_NS6detail17trampoline_kernelINS0_13select_configILj256ELj13ELNS0_17block_load_methodE3ELS4_3ELS4_3ELNS0_20block_scan_algorithmE0ELj4294967295EEENS1_25partition_config_selectorILNS1_17partition_subalgoE3EjNS0_10empty_typeEbEEZZNS1_14partition_implILS8_3ELb0ES6_jNS0_17counting_iteratorIjlEEPS9_SE_NS0_5tupleIJPjSE_EEENSF_IJSE_SE_EEES9_SG_JZNS1_25segmented_radix_sort_implINS0_14default_configELb1EPKfPfPKlPlN2at6native12_GLOBAL__N_18offset_tEEE10hipError_tPvRmT1_PNSt15iterator_traitsISY_E10value_typeET2_T3_PNSZ_IS14_E10value_typeET4_jRbjT5_S1A_jjP12ihipStream_tbEUljE_EEESV_SW_SX_S14_S18_S1A_T6_T7_T9_mT8_S1C_bDpT10_ENKUlT_T0_E_clISt17integral_constantIbLb1EES1P_EEDaS1K_S1L_EUlS1K_E_NS1_11comp_targetILNS1_3genE5ELNS1_11target_archE942ELNS1_3gpuE9ELNS1_3repE0EEENS1_30default_config_static_selectorELNS0_4arch9wavefront6targetE1EEEvSY_,"axG",@progbits,_ZN7rocprim17ROCPRIM_400000_NS6detail17trampoline_kernelINS0_13select_configILj256ELj13ELNS0_17block_load_methodE3ELS4_3ELS4_3ELNS0_20block_scan_algorithmE0ELj4294967295EEENS1_25partition_config_selectorILNS1_17partition_subalgoE3EjNS0_10empty_typeEbEEZZNS1_14partition_implILS8_3ELb0ES6_jNS0_17counting_iteratorIjlEEPS9_SE_NS0_5tupleIJPjSE_EEENSF_IJSE_SE_EEES9_SG_JZNS1_25segmented_radix_sort_implINS0_14default_configELb1EPKfPfPKlPlN2at6native12_GLOBAL__N_18offset_tEEE10hipError_tPvRmT1_PNSt15iterator_traitsISY_E10value_typeET2_T3_PNSZ_IS14_E10value_typeET4_jRbjT5_S1A_jjP12ihipStream_tbEUljE_EEESV_SW_SX_S14_S18_S1A_T6_T7_T9_mT8_S1C_bDpT10_ENKUlT_T0_E_clISt17integral_constantIbLb1EES1P_EEDaS1K_S1L_EUlS1K_E_NS1_11comp_targetILNS1_3genE5ELNS1_11target_archE942ELNS1_3gpuE9ELNS1_3repE0EEENS1_30default_config_static_selectorELNS0_4arch9wavefront6targetE1EEEvSY_,comdat
	.globl	_ZN7rocprim17ROCPRIM_400000_NS6detail17trampoline_kernelINS0_13select_configILj256ELj13ELNS0_17block_load_methodE3ELS4_3ELS4_3ELNS0_20block_scan_algorithmE0ELj4294967295EEENS1_25partition_config_selectorILNS1_17partition_subalgoE3EjNS0_10empty_typeEbEEZZNS1_14partition_implILS8_3ELb0ES6_jNS0_17counting_iteratorIjlEEPS9_SE_NS0_5tupleIJPjSE_EEENSF_IJSE_SE_EEES9_SG_JZNS1_25segmented_radix_sort_implINS0_14default_configELb1EPKfPfPKlPlN2at6native12_GLOBAL__N_18offset_tEEE10hipError_tPvRmT1_PNSt15iterator_traitsISY_E10value_typeET2_T3_PNSZ_IS14_E10value_typeET4_jRbjT5_S1A_jjP12ihipStream_tbEUljE_EEESV_SW_SX_S14_S18_S1A_T6_T7_T9_mT8_S1C_bDpT10_ENKUlT_T0_E_clISt17integral_constantIbLb1EES1P_EEDaS1K_S1L_EUlS1K_E_NS1_11comp_targetILNS1_3genE5ELNS1_11target_archE942ELNS1_3gpuE9ELNS1_3repE0EEENS1_30default_config_static_selectorELNS0_4arch9wavefront6targetE1EEEvSY_ ; -- Begin function _ZN7rocprim17ROCPRIM_400000_NS6detail17trampoline_kernelINS0_13select_configILj256ELj13ELNS0_17block_load_methodE3ELS4_3ELS4_3ELNS0_20block_scan_algorithmE0ELj4294967295EEENS1_25partition_config_selectorILNS1_17partition_subalgoE3EjNS0_10empty_typeEbEEZZNS1_14partition_implILS8_3ELb0ES6_jNS0_17counting_iteratorIjlEEPS9_SE_NS0_5tupleIJPjSE_EEENSF_IJSE_SE_EEES9_SG_JZNS1_25segmented_radix_sort_implINS0_14default_configELb1EPKfPfPKlPlN2at6native12_GLOBAL__N_18offset_tEEE10hipError_tPvRmT1_PNSt15iterator_traitsISY_E10value_typeET2_T3_PNSZ_IS14_E10value_typeET4_jRbjT5_S1A_jjP12ihipStream_tbEUljE_EEESV_SW_SX_S14_S18_S1A_T6_T7_T9_mT8_S1C_bDpT10_ENKUlT_T0_E_clISt17integral_constantIbLb1EES1P_EEDaS1K_S1L_EUlS1K_E_NS1_11comp_targetILNS1_3genE5ELNS1_11target_archE942ELNS1_3gpuE9ELNS1_3repE0EEENS1_30default_config_static_selectorELNS0_4arch9wavefront6targetE1EEEvSY_
	.p2align	8
	.type	_ZN7rocprim17ROCPRIM_400000_NS6detail17trampoline_kernelINS0_13select_configILj256ELj13ELNS0_17block_load_methodE3ELS4_3ELS4_3ELNS0_20block_scan_algorithmE0ELj4294967295EEENS1_25partition_config_selectorILNS1_17partition_subalgoE3EjNS0_10empty_typeEbEEZZNS1_14partition_implILS8_3ELb0ES6_jNS0_17counting_iteratorIjlEEPS9_SE_NS0_5tupleIJPjSE_EEENSF_IJSE_SE_EEES9_SG_JZNS1_25segmented_radix_sort_implINS0_14default_configELb1EPKfPfPKlPlN2at6native12_GLOBAL__N_18offset_tEEE10hipError_tPvRmT1_PNSt15iterator_traitsISY_E10value_typeET2_T3_PNSZ_IS14_E10value_typeET4_jRbjT5_S1A_jjP12ihipStream_tbEUljE_EEESV_SW_SX_S14_S18_S1A_T6_T7_T9_mT8_S1C_bDpT10_ENKUlT_T0_E_clISt17integral_constantIbLb1EES1P_EEDaS1K_S1L_EUlS1K_E_NS1_11comp_targetILNS1_3genE5ELNS1_11target_archE942ELNS1_3gpuE9ELNS1_3repE0EEENS1_30default_config_static_selectorELNS0_4arch9wavefront6targetE1EEEvSY_,@function
_ZN7rocprim17ROCPRIM_400000_NS6detail17trampoline_kernelINS0_13select_configILj256ELj13ELNS0_17block_load_methodE3ELS4_3ELS4_3ELNS0_20block_scan_algorithmE0ELj4294967295EEENS1_25partition_config_selectorILNS1_17partition_subalgoE3EjNS0_10empty_typeEbEEZZNS1_14partition_implILS8_3ELb0ES6_jNS0_17counting_iteratorIjlEEPS9_SE_NS0_5tupleIJPjSE_EEENSF_IJSE_SE_EEES9_SG_JZNS1_25segmented_radix_sort_implINS0_14default_configELb1EPKfPfPKlPlN2at6native12_GLOBAL__N_18offset_tEEE10hipError_tPvRmT1_PNSt15iterator_traitsISY_E10value_typeET2_T3_PNSZ_IS14_E10value_typeET4_jRbjT5_S1A_jjP12ihipStream_tbEUljE_EEESV_SW_SX_S14_S18_S1A_T6_T7_T9_mT8_S1C_bDpT10_ENKUlT_T0_E_clISt17integral_constantIbLb1EES1P_EEDaS1K_S1L_EUlS1K_E_NS1_11comp_targetILNS1_3genE5ELNS1_11target_archE942ELNS1_3gpuE9ELNS1_3repE0EEENS1_30default_config_static_selectorELNS0_4arch9wavefront6targetE1EEEvSY_: ; @_ZN7rocprim17ROCPRIM_400000_NS6detail17trampoline_kernelINS0_13select_configILj256ELj13ELNS0_17block_load_methodE3ELS4_3ELS4_3ELNS0_20block_scan_algorithmE0ELj4294967295EEENS1_25partition_config_selectorILNS1_17partition_subalgoE3EjNS0_10empty_typeEbEEZZNS1_14partition_implILS8_3ELb0ES6_jNS0_17counting_iteratorIjlEEPS9_SE_NS0_5tupleIJPjSE_EEENSF_IJSE_SE_EEES9_SG_JZNS1_25segmented_radix_sort_implINS0_14default_configELb1EPKfPfPKlPlN2at6native12_GLOBAL__N_18offset_tEEE10hipError_tPvRmT1_PNSt15iterator_traitsISY_E10value_typeET2_T3_PNSZ_IS14_E10value_typeET4_jRbjT5_S1A_jjP12ihipStream_tbEUljE_EEESV_SW_SX_S14_S18_S1A_T6_T7_T9_mT8_S1C_bDpT10_ENKUlT_T0_E_clISt17integral_constantIbLb1EES1P_EEDaS1K_S1L_EUlS1K_E_NS1_11comp_targetILNS1_3genE5ELNS1_11target_archE942ELNS1_3gpuE9ELNS1_3repE0EEENS1_30default_config_static_selectorELNS0_4arch9wavefront6targetE1EEEvSY_
; %bb.0:
	.section	.rodata,"a",@progbits
	.p2align	6, 0x0
	.amdhsa_kernel _ZN7rocprim17ROCPRIM_400000_NS6detail17trampoline_kernelINS0_13select_configILj256ELj13ELNS0_17block_load_methodE3ELS4_3ELS4_3ELNS0_20block_scan_algorithmE0ELj4294967295EEENS1_25partition_config_selectorILNS1_17partition_subalgoE3EjNS0_10empty_typeEbEEZZNS1_14partition_implILS8_3ELb0ES6_jNS0_17counting_iteratorIjlEEPS9_SE_NS0_5tupleIJPjSE_EEENSF_IJSE_SE_EEES9_SG_JZNS1_25segmented_radix_sort_implINS0_14default_configELb1EPKfPfPKlPlN2at6native12_GLOBAL__N_18offset_tEEE10hipError_tPvRmT1_PNSt15iterator_traitsISY_E10value_typeET2_T3_PNSZ_IS14_E10value_typeET4_jRbjT5_S1A_jjP12ihipStream_tbEUljE_EEESV_SW_SX_S14_S18_S1A_T6_T7_T9_mT8_S1C_bDpT10_ENKUlT_T0_E_clISt17integral_constantIbLb1EES1P_EEDaS1K_S1L_EUlS1K_E_NS1_11comp_targetILNS1_3genE5ELNS1_11target_archE942ELNS1_3gpuE9ELNS1_3repE0EEENS1_30default_config_static_selectorELNS0_4arch9wavefront6targetE1EEEvSY_
		.amdhsa_group_segment_fixed_size 0
		.amdhsa_private_segment_fixed_size 0
		.amdhsa_kernarg_size 152
		.amdhsa_user_sgpr_count 6
		.amdhsa_user_sgpr_private_segment_buffer 1
		.amdhsa_user_sgpr_dispatch_ptr 0
		.amdhsa_user_sgpr_queue_ptr 0
		.amdhsa_user_sgpr_kernarg_segment_ptr 1
		.amdhsa_user_sgpr_dispatch_id 0
		.amdhsa_user_sgpr_flat_scratch_init 0
		.amdhsa_user_sgpr_kernarg_preload_length 0
		.amdhsa_user_sgpr_kernarg_preload_offset 0
		.amdhsa_user_sgpr_private_segment_size 0
		.amdhsa_uses_dynamic_stack 0
		.amdhsa_system_sgpr_private_segment_wavefront_offset 0
		.amdhsa_system_sgpr_workgroup_id_x 1
		.amdhsa_system_sgpr_workgroup_id_y 0
		.amdhsa_system_sgpr_workgroup_id_z 0
		.amdhsa_system_sgpr_workgroup_info 0
		.amdhsa_system_vgpr_workitem_id 0
		.amdhsa_next_free_vgpr 1
		.amdhsa_next_free_sgpr 0
		.amdhsa_accum_offset 4
		.amdhsa_reserve_vcc 0
		.amdhsa_reserve_flat_scratch 0
		.amdhsa_float_round_mode_32 0
		.amdhsa_float_round_mode_16_64 0
		.amdhsa_float_denorm_mode_32 3
		.amdhsa_float_denorm_mode_16_64 3
		.amdhsa_dx10_clamp 1
		.amdhsa_ieee_mode 1
		.amdhsa_fp16_overflow 0
		.amdhsa_tg_split 0
		.amdhsa_exception_fp_ieee_invalid_op 0
		.amdhsa_exception_fp_denorm_src 0
		.amdhsa_exception_fp_ieee_div_zero 0
		.amdhsa_exception_fp_ieee_overflow 0
		.amdhsa_exception_fp_ieee_underflow 0
		.amdhsa_exception_fp_ieee_inexact 0
		.amdhsa_exception_int_div_zero 0
	.end_amdhsa_kernel
	.section	.text._ZN7rocprim17ROCPRIM_400000_NS6detail17trampoline_kernelINS0_13select_configILj256ELj13ELNS0_17block_load_methodE3ELS4_3ELS4_3ELNS0_20block_scan_algorithmE0ELj4294967295EEENS1_25partition_config_selectorILNS1_17partition_subalgoE3EjNS0_10empty_typeEbEEZZNS1_14partition_implILS8_3ELb0ES6_jNS0_17counting_iteratorIjlEEPS9_SE_NS0_5tupleIJPjSE_EEENSF_IJSE_SE_EEES9_SG_JZNS1_25segmented_radix_sort_implINS0_14default_configELb1EPKfPfPKlPlN2at6native12_GLOBAL__N_18offset_tEEE10hipError_tPvRmT1_PNSt15iterator_traitsISY_E10value_typeET2_T3_PNSZ_IS14_E10value_typeET4_jRbjT5_S1A_jjP12ihipStream_tbEUljE_EEESV_SW_SX_S14_S18_S1A_T6_T7_T9_mT8_S1C_bDpT10_ENKUlT_T0_E_clISt17integral_constantIbLb1EES1P_EEDaS1K_S1L_EUlS1K_E_NS1_11comp_targetILNS1_3genE5ELNS1_11target_archE942ELNS1_3gpuE9ELNS1_3repE0EEENS1_30default_config_static_selectorELNS0_4arch9wavefront6targetE1EEEvSY_,"axG",@progbits,_ZN7rocprim17ROCPRIM_400000_NS6detail17trampoline_kernelINS0_13select_configILj256ELj13ELNS0_17block_load_methodE3ELS4_3ELS4_3ELNS0_20block_scan_algorithmE0ELj4294967295EEENS1_25partition_config_selectorILNS1_17partition_subalgoE3EjNS0_10empty_typeEbEEZZNS1_14partition_implILS8_3ELb0ES6_jNS0_17counting_iteratorIjlEEPS9_SE_NS0_5tupleIJPjSE_EEENSF_IJSE_SE_EEES9_SG_JZNS1_25segmented_radix_sort_implINS0_14default_configELb1EPKfPfPKlPlN2at6native12_GLOBAL__N_18offset_tEEE10hipError_tPvRmT1_PNSt15iterator_traitsISY_E10value_typeET2_T3_PNSZ_IS14_E10value_typeET4_jRbjT5_S1A_jjP12ihipStream_tbEUljE_EEESV_SW_SX_S14_S18_S1A_T6_T7_T9_mT8_S1C_bDpT10_ENKUlT_T0_E_clISt17integral_constantIbLb1EES1P_EEDaS1K_S1L_EUlS1K_E_NS1_11comp_targetILNS1_3genE5ELNS1_11target_archE942ELNS1_3gpuE9ELNS1_3repE0EEENS1_30default_config_static_selectorELNS0_4arch9wavefront6targetE1EEEvSY_,comdat
.Lfunc_end1300:
	.size	_ZN7rocprim17ROCPRIM_400000_NS6detail17trampoline_kernelINS0_13select_configILj256ELj13ELNS0_17block_load_methodE3ELS4_3ELS4_3ELNS0_20block_scan_algorithmE0ELj4294967295EEENS1_25partition_config_selectorILNS1_17partition_subalgoE3EjNS0_10empty_typeEbEEZZNS1_14partition_implILS8_3ELb0ES6_jNS0_17counting_iteratorIjlEEPS9_SE_NS0_5tupleIJPjSE_EEENSF_IJSE_SE_EEES9_SG_JZNS1_25segmented_radix_sort_implINS0_14default_configELb1EPKfPfPKlPlN2at6native12_GLOBAL__N_18offset_tEEE10hipError_tPvRmT1_PNSt15iterator_traitsISY_E10value_typeET2_T3_PNSZ_IS14_E10value_typeET4_jRbjT5_S1A_jjP12ihipStream_tbEUljE_EEESV_SW_SX_S14_S18_S1A_T6_T7_T9_mT8_S1C_bDpT10_ENKUlT_T0_E_clISt17integral_constantIbLb1EES1P_EEDaS1K_S1L_EUlS1K_E_NS1_11comp_targetILNS1_3genE5ELNS1_11target_archE942ELNS1_3gpuE9ELNS1_3repE0EEENS1_30default_config_static_selectorELNS0_4arch9wavefront6targetE1EEEvSY_, .Lfunc_end1300-_ZN7rocprim17ROCPRIM_400000_NS6detail17trampoline_kernelINS0_13select_configILj256ELj13ELNS0_17block_load_methodE3ELS4_3ELS4_3ELNS0_20block_scan_algorithmE0ELj4294967295EEENS1_25partition_config_selectorILNS1_17partition_subalgoE3EjNS0_10empty_typeEbEEZZNS1_14partition_implILS8_3ELb0ES6_jNS0_17counting_iteratorIjlEEPS9_SE_NS0_5tupleIJPjSE_EEENSF_IJSE_SE_EEES9_SG_JZNS1_25segmented_radix_sort_implINS0_14default_configELb1EPKfPfPKlPlN2at6native12_GLOBAL__N_18offset_tEEE10hipError_tPvRmT1_PNSt15iterator_traitsISY_E10value_typeET2_T3_PNSZ_IS14_E10value_typeET4_jRbjT5_S1A_jjP12ihipStream_tbEUljE_EEESV_SW_SX_S14_S18_S1A_T6_T7_T9_mT8_S1C_bDpT10_ENKUlT_T0_E_clISt17integral_constantIbLb1EES1P_EEDaS1K_S1L_EUlS1K_E_NS1_11comp_targetILNS1_3genE5ELNS1_11target_archE942ELNS1_3gpuE9ELNS1_3repE0EEENS1_30default_config_static_selectorELNS0_4arch9wavefront6targetE1EEEvSY_
                                        ; -- End function
	.section	.AMDGPU.csdata,"",@progbits
; Kernel info:
; codeLenInByte = 0
; NumSgprs: 4
; NumVgprs: 0
; NumAgprs: 0
; TotalNumVgprs: 0
; ScratchSize: 0
; MemoryBound: 0
; FloatMode: 240
; IeeeMode: 1
; LDSByteSize: 0 bytes/workgroup (compile time only)
; SGPRBlocks: 0
; VGPRBlocks: 0
; NumSGPRsForWavesPerEU: 4
; NumVGPRsForWavesPerEU: 1
; AccumOffset: 4
; Occupancy: 8
; WaveLimiterHint : 0
; COMPUTE_PGM_RSRC2:SCRATCH_EN: 0
; COMPUTE_PGM_RSRC2:USER_SGPR: 6
; COMPUTE_PGM_RSRC2:TRAP_HANDLER: 0
; COMPUTE_PGM_RSRC2:TGID_X_EN: 1
; COMPUTE_PGM_RSRC2:TGID_Y_EN: 0
; COMPUTE_PGM_RSRC2:TGID_Z_EN: 0
; COMPUTE_PGM_RSRC2:TIDIG_COMP_CNT: 0
; COMPUTE_PGM_RSRC3_GFX90A:ACCUM_OFFSET: 0
; COMPUTE_PGM_RSRC3_GFX90A:TG_SPLIT: 0
	.section	.text._ZN7rocprim17ROCPRIM_400000_NS6detail17trampoline_kernelINS0_13select_configILj256ELj13ELNS0_17block_load_methodE3ELS4_3ELS4_3ELNS0_20block_scan_algorithmE0ELj4294967295EEENS1_25partition_config_selectorILNS1_17partition_subalgoE3EjNS0_10empty_typeEbEEZZNS1_14partition_implILS8_3ELb0ES6_jNS0_17counting_iteratorIjlEEPS9_SE_NS0_5tupleIJPjSE_EEENSF_IJSE_SE_EEES9_SG_JZNS1_25segmented_radix_sort_implINS0_14default_configELb1EPKfPfPKlPlN2at6native12_GLOBAL__N_18offset_tEEE10hipError_tPvRmT1_PNSt15iterator_traitsISY_E10value_typeET2_T3_PNSZ_IS14_E10value_typeET4_jRbjT5_S1A_jjP12ihipStream_tbEUljE_EEESV_SW_SX_S14_S18_S1A_T6_T7_T9_mT8_S1C_bDpT10_ENKUlT_T0_E_clISt17integral_constantIbLb1EES1P_EEDaS1K_S1L_EUlS1K_E_NS1_11comp_targetILNS1_3genE4ELNS1_11target_archE910ELNS1_3gpuE8ELNS1_3repE0EEENS1_30default_config_static_selectorELNS0_4arch9wavefront6targetE1EEEvSY_,"axG",@progbits,_ZN7rocprim17ROCPRIM_400000_NS6detail17trampoline_kernelINS0_13select_configILj256ELj13ELNS0_17block_load_methodE3ELS4_3ELS4_3ELNS0_20block_scan_algorithmE0ELj4294967295EEENS1_25partition_config_selectorILNS1_17partition_subalgoE3EjNS0_10empty_typeEbEEZZNS1_14partition_implILS8_3ELb0ES6_jNS0_17counting_iteratorIjlEEPS9_SE_NS0_5tupleIJPjSE_EEENSF_IJSE_SE_EEES9_SG_JZNS1_25segmented_radix_sort_implINS0_14default_configELb1EPKfPfPKlPlN2at6native12_GLOBAL__N_18offset_tEEE10hipError_tPvRmT1_PNSt15iterator_traitsISY_E10value_typeET2_T3_PNSZ_IS14_E10value_typeET4_jRbjT5_S1A_jjP12ihipStream_tbEUljE_EEESV_SW_SX_S14_S18_S1A_T6_T7_T9_mT8_S1C_bDpT10_ENKUlT_T0_E_clISt17integral_constantIbLb1EES1P_EEDaS1K_S1L_EUlS1K_E_NS1_11comp_targetILNS1_3genE4ELNS1_11target_archE910ELNS1_3gpuE8ELNS1_3repE0EEENS1_30default_config_static_selectorELNS0_4arch9wavefront6targetE1EEEvSY_,comdat
	.globl	_ZN7rocprim17ROCPRIM_400000_NS6detail17trampoline_kernelINS0_13select_configILj256ELj13ELNS0_17block_load_methodE3ELS4_3ELS4_3ELNS0_20block_scan_algorithmE0ELj4294967295EEENS1_25partition_config_selectorILNS1_17partition_subalgoE3EjNS0_10empty_typeEbEEZZNS1_14partition_implILS8_3ELb0ES6_jNS0_17counting_iteratorIjlEEPS9_SE_NS0_5tupleIJPjSE_EEENSF_IJSE_SE_EEES9_SG_JZNS1_25segmented_radix_sort_implINS0_14default_configELb1EPKfPfPKlPlN2at6native12_GLOBAL__N_18offset_tEEE10hipError_tPvRmT1_PNSt15iterator_traitsISY_E10value_typeET2_T3_PNSZ_IS14_E10value_typeET4_jRbjT5_S1A_jjP12ihipStream_tbEUljE_EEESV_SW_SX_S14_S18_S1A_T6_T7_T9_mT8_S1C_bDpT10_ENKUlT_T0_E_clISt17integral_constantIbLb1EES1P_EEDaS1K_S1L_EUlS1K_E_NS1_11comp_targetILNS1_3genE4ELNS1_11target_archE910ELNS1_3gpuE8ELNS1_3repE0EEENS1_30default_config_static_selectorELNS0_4arch9wavefront6targetE1EEEvSY_ ; -- Begin function _ZN7rocprim17ROCPRIM_400000_NS6detail17trampoline_kernelINS0_13select_configILj256ELj13ELNS0_17block_load_methodE3ELS4_3ELS4_3ELNS0_20block_scan_algorithmE0ELj4294967295EEENS1_25partition_config_selectorILNS1_17partition_subalgoE3EjNS0_10empty_typeEbEEZZNS1_14partition_implILS8_3ELb0ES6_jNS0_17counting_iteratorIjlEEPS9_SE_NS0_5tupleIJPjSE_EEENSF_IJSE_SE_EEES9_SG_JZNS1_25segmented_radix_sort_implINS0_14default_configELb1EPKfPfPKlPlN2at6native12_GLOBAL__N_18offset_tEEE10hipError_tPvRmT1_PNSt15iterator_traitsISY_E10value_typeET2_T3_PNSZ_IS14_E10value_typeET4_jRbjT5_S1A_jjP12ihipStream_tbEUljE_EEESV_SW_SX_S14_S18_S1A_T6_T7_T9_mT8_S1C_bDpT10_ENKUlT_T0_E_clISt17integral_constantIbLb1EES1P_EEDaS1K_S1L_EUlS1K_E_NS1_11comp_targetILNS1_3genE4ELNS1_11target_archE910ELNS1_3gpuE8ELNS1_3repE0EEENS1_30default_config_static_selectorELNS0_4arch9wavefront6targetE1EEEvSY_
	.p2align	8
	.type	_ZN7rocprim17ROCPRIM_400000_NS6detail17trampoline_kernelINS0_13select_configILj256ELj13ELNS0_17block_load_methodE3ELS4_3ELS4_3ELNS0_20block_scan_algorithmE0ELj4294967295EEENS1_25partition_config_selectorILNS1_17partition_subalgoE3EjNS0_10empty_typeEbEEZZNS1_14partition_implILS8_3ELb0ES6_jNS0_17counting_iteratorIjlEEPS9_SE_NS0_5tupleIJPjSE_EEENSF_IJSE_SE_EEES9_SG_JZNS1_25segmented_radix_sort_implINS0_14default_configELb1EPKfPfPKlPlN2at6native12_GLOBAL__N_18offset_tEEE10hipError_tPvRmT1_PNSt15iterator_traitsISY_E10value_typeET2_T3_PNSZ_IS14_E10value_typeET4_jRbjT5_S1A_jjP12ihipStream_tbEUljE_EEESV_SW_SX_S14_S18_S1A_T6_T7_T9_mT8_S1C_bDpT10_ENKUlT_T0_E_clISt17integral_constantIbLb1EES1P_EEDaS1K_S1L_EUlS1K_E_NS1_11comp_targetILNS1_3genE4ELNS1_11target_archE910ELNS1_3gpuE8ELNS1_3repE0EEENS1_30default_config_static_selectorELNS0_4arch9wavefront6targetE1EEEvSY_,@function
_ZN7rocprim17ROCPRIM_400000_NS6detail17trampoline_kernelINS0_13select_configILj256ELj13ELNS0_17block_load_methodE3ELS4_3ELS4_3ELNS0_20block_scan_algorithmE0ELj4294967295EEENS1_25partition_config_selectorILNS1_17partition_subalgoE3EjNS0_10empty_typeEbEEZZNS1_14partition_implILS8_3ELb0ES6_jNS0_17counting_iteratorIjlEEPS9_SE_NS0_5tupleIJPjSE_EEENSF_IJSE_SE_EEES9_SG_JZNS1_25segmented_radix_sort_implINS0_14default_configELb1EPKfPfPKlPlN2at6native12_GLOBAL__N_18offset_tEEE10hipError_tPvRmT1_PNSt15iterator_traitsISY_E10value_typeET2_T3_PNSZ_IS14_E10value_typeET4_jRbjT5_S1A_jjP12ihipStream_tbEUljE_EEESV_SW_SX_S14_S18_S1A_T6_T7_T9_mT8_S1C_bDpT10_ENKUlT_T0_E_clISt17integral_constantIbLb1EES1P_EEDaS1K_S1L_EUlS1K_E_NS1_11comp_targetILNS1_3genE4ELNS1_11target_archE910ELNS1_3gpuE8ELNS1_3repE0EEENS1_30default_config_static_selectorELNS0_4arch9wavefront6targetE1EEEvSY_: ; @_ZN7rocprim17ROCPRIM_400000_NS6detail17trampoline_kernelINS0_13select_configILj256ELj13ELNS0_17block_load_methodE3ELS4_3ELS4_3ELNS0_20block_scan_algorithmE0ELj4294967295EEENS1_25partition_config_selectorILNS1_17partition_subalgoE3EjNS0_10empty_typeEbEEZZNS1_14partition_implILS8_3ELb0ES6_jNS0_17counting_iteratorIjlEEPS9_SE_NS0_5tupleIJPjSE_EEENSF_IJSE_SE_EEES9_SG_JZNS1_25segmented_radix_sort_implINS0_14default_configELb1EPKfPfPKlPlN2at6native12_GLOBAL__N_18offset_tEEE10hipError_tPvRmT1_PNSt15iterator_traitsISY_E10value_typeET2_T3_PNSZ_IS14_E10value_typeET4_jRbjT5_S1A_jjP12ihipStream_tbEUljE_EEESV_SW_SX_S14_S18_S1A_T6_T7_T9_mT8_S1C_bDpT10_ENKUlT_T0_E_clISt17integral_constantIbLb1EES1P_EEDaS1K_S1L_EUlS1K_E_NS1_11comp_targetILNS1_3genE4ELNS1_11target_archE910ELNS1_3gpuE8ELNS1_3repE0EEENS1_30default_config_static_selectorELNS0_4arch9wavefront6targetE1EEEvSY_
; %bb.0:
	s_load_dwordx2 s[28:29], s[4:5], 0x10
	s_load_dwordx2 s[24:25], s[4:5], 0x28
	;; [unrolled: 1-line block ×3, first 2 shown]
	s_load_dwordx4 s[20:23], s[4:5], 0x48
	s_load_dword s14, s[4:5], 0x90
	s_load_dwordx2 s[30:31], s[4:5], 0x68
	s_load_dwordx4 s[8:11], s[4:5], 0x80
	v_cmp_eq_u32_e64 s[0:1], 0, v0
	s_and_saveexec_b64 s[2:3], s[0:1]
	s_cbranch_execz .LBB1301_4
; %bb.1:
	s_mov_b64 s[12:13], exec
	v_mbcnt_lo_u32_b32 v1, s12, 0
	v_mbcnt_hi_u32_b32 v1, s13, v1
	v_cmp_eq_u32_e32 vcc, 0, v1
                                        ; implicit-def: $vgpr2
	s_and_saveexec_b64 s[6:7], vcc
	s_cbranch_execz .LBB1301_3
; %bb.2:
	s_load_dwordx2 s[16:17], s[4:5], 0x78
	s_bcnt1_i32_b64 s12, s[12:13]
	v_mov_b32_e32 v2, 0
	v_mov_b32_e32 v3, s12
	s_waitcnt lgkmcnt(0)
	global_atomic_add v2, v2, v3, s[16:17] glc
.LBB1301_3:
	s_or_b64 exec, exec, s[6:7]
	s_waitcnt vmcnt(0)
	v_readfirstlane_b32 s6, v2
	v_add_u32_e32 v1, s6, v1
	v_mov_b32_e32 v2, 0
	ds_write_b32 v2, v1
.LBB1301_4:
	s_or_b64 exec, exec, s[2:3]
	v_mov_b32_e32 v1, 0
	s_load_dword s2, s[4:5], 0x8
	s_load_dword s6, s[4:5], 0x70
	s_waitcnt lgkmcnt(0)
	s_barrier
	ds_read_b32 v2, v1
	s_waitcnt lgkmcnt(0)
	s_barrier
	global_load_dwordx2 v[20:21], v1, s[22:23]
	s_add_i32 s7, s2, s28
	s_movk_i32 s2, 0xd00
	s_add_i32 s4, s6, -1
	s_mulk_i32 s6, 0xd00
	v_mul_lo_u32 v1, v2, s2
	s_add_u32 s2, s28, s6
	v_readfirstlane_b32 s40, v2
	s_addc_u32 s3, s29, 0
	s_cmp_eq_u32 s40, s4
	v_pk_mov_b32 v[2:3], s[26:27], s[26:27] op_sel:[0,1]
	s_cselect_b64 s[22:23], -1, 0
	s_cmp_lg_u32 s40, s4
	v_cmp_lt_u64_e32 vcc, s[2:3], v[2:3]
	s_cselect_b64 s[2:3], -1, 0
	s_or_b64 s[4:5], vcc, s[2:3]
	v_add_u32_e32 v2, s7, v1
	s_mov_b64 s[2:3], -1
	s_and_b64 vcc, exec, s[4:5]
	v_add_u32_e32 v2, v2, v0
	v_lshlrev_b32_e32 v34, 2, v0
	s_cbranch_vccz .LBB1301_6
; %bb.5:
	v_add_u32_e32 v3, 0x100, v2
	v_add_u32_e32 v4, 0x200, v2
	;; [unrolled: 1-line block ×12, first 2 shown]
	ds_write2st64_b32 v34, v2, v3 offset1:4
	ds_write2st64_b32 v34, v4, v5 offset0:8 offset1:12
	ds_write2st64_b32 v34, v6, v7 offset0:16 offset1:20
	;; [unrolled: 1-line block ×5, first 2 shown]
	ds_write_b32 v34, v14 offset:12288
	s_waitcnt lgkmcnt(0)
	s_barrier
	s_mov_b64 s[2:3], 0
.LBB1301_6:
	s_andn2_b64 vcc, exec, s[2:3]
	s_add_i32 s6, s6, s28
	s_cbranch_vccnz .LBB1301_8
; %bb.7:
	v_add_u32_e32 v3, 0x100, v2
	v_add_u32_e32 v4, 0x200, v2
	;; [unrolled: 1-line block ×12, first 2 shown]
	ds_write2st64_b32 v34, v2, v3 offset1:4
	ds_write2st64_b32 v34, v4, v5 offset0:8 offset1:12
	ds_write2st64_b32 v34, v6, v7 offset0:16 offset1:20
	;; [unrolled: 1-line block ×5, first 2 shown]
	ds_write_b32 v34, v14 offset:12288
	s_waitcnt lgkmcnt(0)
	s_barrier
.LBB1301_8:
	v_mul_u32_u24_e32 v36, 13, v0
	v_lshlrev_b32_e32 v2, 2, v36
	ds_read2_b32 v[32:33], v2 offset1:1
	ds_read2_b32 v[30:31], v2 offset0:2 offset1:3
	ds_read2_b32 v[28:29], v2 offset0:4 offset1:5
	;; [unrolled: 1-line block ×5, first 2 shown]
	ds_read_b32 v35, v2 offset:48
	v_cndmask_b32_e64 v2, 0, 1, s[4:5]
	s_sub_i32 s33, s26, s6
	v_cmp_ne_u32_e64 s[2:3], 1, v2
	s_andn2_b64 vcc, exec, s[4:5]
	s_waitcnt lgkmcnt(0)
	s_barrier
	s_cbranch_vccnz .LBB1301_10
; %bb.9:
	v_add_u32_e32 v2, s9, v32
	v_add_u32_e32 v3, s11, v32
	v_mul_lo_u32 v2, v2, s8
	v_mul_lo_u32 v3, v3, s10
	v_sub_u32_e32 v2, v2, v3
	v_add_u32_e32 v3, s9, v33
	v_add_u32_e32 v4, s11, v33
	v_mul_lo_u32 v3, v3, s8
	v_mul_lo_u32 v4, v4, s10
	v_sub_u32_e32 v3, v3, v4
	;; [unrolled: 5-line block ×6, first 2 shown]
	v_add_u32_e32 v8, s9, v26
	v_add_u32_e32 v9, s11, v26
	v_mul_lo_u32 v8, v8, s8
	v_mul_lo_u32 v9, v9, s10
	v_cmp_lt_u32_e32 vcc, s14, v2
	v_sub_u32_e32 v8, v8, v9
	v_add_u32_e32 v9, s9, v27
	v_add_u32_e32 v10, s11, v27
	v_cndmask_b32_e64 v2, 0, 1, vcc
	v_cmp_lt_u32_e32 vcc, s14, v3
	v_mul_lo_u32 v9, v9, s8
	v_mul_lo_u32 v10, v10, s10
	v_cndmask_b32_e64 v3, 0, 1, vcc
	v_cmp_lt_u32_e32 vcc, s14, v4
	v_sub_u32_e32 v9, v9, v10
	v_add_u32_e32 v10, s9, v24
	v_add_u32_e32 v11, s11, v24
	v_cndmask_b32_e64 v4, 0, 1, vcc
	v_cmp_lt_u32_e32 vcc, s14, v5
	v_mul_lo_u32 v10, v10, s8
	v_mul_lo_u32 v11, v11, s10
	v_cndmask_b32_e64 v5, 0, 1, vcc
	;; [unrolled: 9-line block ×4, first 2 shown]
	v_cmp_lt_u32_e32 vcc, s14, v10
	v_sub_u32_e32 v12, v12, v13
	v_add_u32_e32 v13, s9, v23
	v_add_u32_e32 v14, s11, v23
	v_lshlrev_b16_e32 v3, 8, v3
	v_cndmask_b32_e64 v10, 0, 1, vcc
	v_cmp_lt_u32_e32 vcc, s14, v11
	v_mul_lo_u32 v13, v13, s8
	v_mul_lo_u32 v14, v14, s10
	v_or_b32_e32 v2, v2, v3
	v_lshlrev_b16_e32 v3, 8, v5
	v_cndmask_b32_e64 v11, 0, 1, vcc
	v_cmp_lt_u32_e32 vcc, s14, v12
	v_sub_u32_e32 v13, v13, v14
	v_or_b32_sdwa v3, v4, v3 dst_sel:WORD_1 dst_unused:UNUSED_PAD src0_sel:DWORD src1_sel:DWORD
	v_cndmask_b32_e64 v12, 0, 1, vcc
	v_cmp_lt_u32_e32 vcc, s14, v13
	v_add_u32_e32 v14, s9, v35
	v_add_u32_e32 v15, s11, v35
	v_or_b32_sdwa v40, v2, v3 dst_sel:DWORD dst_unused:UNUSED_PAD src0_sel:WORD_0 src1_sel:DWORD
	v_lshlrev_b16_e32 v2, 8, v7
	v_lshlrev_b16_e32 v3, 8, v9
	v_cndmask_b32_e64 v13, 0, 1, vcc
	v_mul_lo_u32 v14, v14, s8
	v_mul_lo_u32 v15, v15, s10
	v_or_b32_e32 v2, v6, v2
	v_or_b32_sdwa v3, v8, v3 dst_sel:WORD_1 dst_unused:UNUSED_PAD src0_sel:DWORD src1_sel:DWORD
	v_sub_u32_e32 v14, v14, v15
	v_or_b32_sdwa v39, v2, v3 dst_sel:DWORD dst_unused:UNUSED_PAD src0_sel:WORD_0 src1_sel:DWORD
	v_lshlrev_b16_e32 v2, 8, v11
	v_lshlrev_b16_e32 v3, 8, v13
	v_cmp_lt_u32_e32 vcc, s14, v14
	v_or_b32_e32 v2, v10, v2
	v_or_b32_sdwa v3, v12, v3 dst_sel:WORD_1 dst_unused:UNUSED_PAD src0_sel:DWORD src1_sel:DWORD
	v_cndmask_b32_e64 v37, 0, 1, vcc
	v_or_b32_sdwa v38, v2, v3 dst_sel:DWORD dst_unused:UNUSED_PAD src0_sel:WORD_0 src1_sel:DWORD
	s_addk_i32 s33, 0xd00
	s_cbranch_execz .LBB1301_11
	s_branch .LBB1301_38
.LBB1301_10:
                                        ; implicit-def: $vgpr37
                                        ; implicit-def: $vgpr38
                                        ; implicit-def: $vgpr39
                                        ; implicit-def: $vgpr40
	s_addk_i32 s33, 0xd00
.LBB1301_11:
	v_cmp_gt_u32_e32 vcc, s33, v36
	v_mov_b32_e32 v3, 0
	v_mov_b32_e32 v2, 0
	s_and_saveexec_b64 s[4:5], vcc
; %bb.12:
	v_add_u32_e32 v2, s9, v32
	v_add_u32_e32 v4, s11, v32
	v_mul_lo_u32 v2, v2, s8
	v_mul_lo_u32 v4, v4, s10
	v_sub_u32_e32 v2, v2, v4
	v_cmp_lt_u32_e32 vcc, s14, v2
	v_cndmask_b32_e64 v2, 0, 1, vcc
; %bb.13:
	s_or_b64 exec, exec, s[4:5]
	v_add_u32_e32 v4, 1, v36
	v_cmp_gt_u32_e32 vcc, s33, v4
	s_and_saveexec_b64 s[4:5], vcc
; %bb.14:
	v_add_u32_e32 v3, s9, v33
	v_add_u32_e32 v4, s11, v33
	v_mul_lo_u32 v3, v3, s8
	v_mul_lo_u32 v4, v4, s10
	v_sub_u32_e32 v3, v3, v4
	v_cmp_lt_u32_e32 vcc, s14, v3
	v_cndmask_b32_e64 v3, 0, 1, vcc
; %bb.15:
	s_or_b64 exec, exec, s[4:5]
	v_add_u32_e32 v4, 2, v36
	v_cmp_gt_u32_e32 vcc, s33, v4
	v_mov_b32_e32 v5, 0
	v_mov_b32_e32 v4, 0
	s_and_saveexec_b64 s[4:5], vcc
; %bb.16:
	v_add_u32_e32 v4, s9, v30
	v_add_u32_e32 v6, s11, v30
	v_mul_lo_u32 v4, v4, s8
	v_mul_lo_u32 v6, v6, s10
	v_sub_u32_e32 v4, v4, v6
	v_cmp_lt_u32_e32 vcc, s14, v4
	v_cndmask_b32_e64 v4, 0, 1, vcc
; %bb.17:
	s_or_b64 exec, exec, s[4:5]
	v_add_u32_e32 v6, 3, v36
	v_cmp_gt_u32_e32 vcc, s33, v6
	s_and_saveexec_b64 s[4:5], vcc
; %bb.18:
	v_add_u32_e32 v5, s9, v31
	v_add_u32_e32 v6, s11, v31
	v_mul_lo_u32 v5, v5, s8
	v_mul_lo_u32 v6, v6, s10
	v_sub_u32_e32 v5, v5, v6
	v_cmp_lt_u32_e32 vcc, s14, v5
	v_cndmask_b32_e64 v5, 0, 1, vcc
; %bb.19:
	s_or_b64 exec, exec, s[4:5]
	v_add_u32_e32 v6, 4, v36
	;; [unrolled: 28-line block ×6, first 2 shown]
	v_cmp_gt_u32_e32 vcc, s33, v14
	v_mov_b32_e32 v37, 0
	s_and_saveexec_b64 s[4:5], vcc
; %bb.36:
	v_add_u32_e32 v14, s9, v35
	v_add_u32_e32 v15, s11, v35
	v_mul_lo_u32 v14, v14, s8
	v_mul_lo_u32 v15, v15, s10
	v_sub_u32_e32 v14, v14, v15
	v_cmp_lt_u32_e32 vcc, s14, v14
	v_cndmask_b32_e64 v37, 0, 1, vcc
; %bb.37:
	s_or_b64 exec, exec, s[4:5]
	v_lshlrev_b16_e32 v3, 8, v3
	v_or_b32_e32 v2, v2, v3
	v_lshlrev_b16_e32 v3, 8, v5
	v_or_b32_sdwa v3, v4, v3 dst_sel:WORD_1 dst_unused:UNUSED_PAD src0_sel:DWORD src1_sel:DWORD
	v_or_b32_sdwa v40, v2, v3 dst_sel:DWORD dst_unused:UNUSED_PAD src0_sel:WORD_0 src1_sel:DWORD
	v_lshlrev_b16_e32 v2, 8, v7
	v_lshlrev_b16_e32 v3, 8, v9
	v_or_b32_e32 v2, v6, v2
	v_or_b32_sdwa v3, v8, v3 dst_sel:WORD_1 dst_unused:UNUSED_PAD src0_sel:DWORD src1_sel:DWORD
	v_or_b32_sdwa v39, v2, v3 dst_sel:DWORD dst_unused:UNUSED_PAD src0_sel:WORD_0 src1_sel:DWORD
	v_lshlrev_b16_e32 v2, 8, v11
	v_lshlrev_b16_e32 v3, 8, v13
	v_or_b32_e32 v2, v10, v2
	v_or_b32_sdwa v3, v12, v3 dst_sel:WORD_1 dst_unused:UNUSED_PAD src0_sel:DWORD src1_sel:DWORD
	v_or_b32_sdwa v38, v2, v3 dst_sel:DWORD dst_unused:UNUSED_PAD src0_sel:WORD_0 src1_sel:DWORD
.LBB1301_38:
	v_and_b32_e32 v44, 0xff, v40
	v_bfe_u32 v45, v40, 8, 8
	v_bfe_u32 v46, v40, 16, 8
	v_lshrrev_b32_e32 v43, 24, v40
	v_and_b32_e32 v47, 0xff, v39
	v_add3_u32 v3, v45, v44, v46
	v_bfe_u32 v48, v39, 8, 8
	v_bfe_u32 v49, v39, 16, 8
	v_add3_u32 v3, v3, v43, v47
	v_lshrrev_b32_e32 v42, 24, v39
	v_and_b32_e32 v50, 0xff, v38
	v_add3_u32 v3, v3, v48, v49
	v_bfe_u32 v51, v38, 8, 8
	v_bfe_u32 v52, v38, 16, 8
	v_add3_u32 v3, v3, v42, v50
	v_lshrrev_b32_e32 v41, 24, v38
	v_and_b32_e32 v2, 0xff, v37
	v_add3_u32 v3, v3, v51, v52
	v_add3_u32 v55, v3, v41, v2
	v_mbcnt_lo_u32_b32 v2, -1, 0
	v_mbcnt_hi_u32_b32 v53, -1, v2
	v_and_b32_e32 v2, 15, v53
	v_cmp_eq_u32_e64 s[16:17], 0, v2
	v_cmp_lt_u32_e64 s[14:15], 1, v2
	v_cmp_lt_u32_e64 s[12:13], 3, v2
	;; [unrolled: 1-line block ×3, first 2 shown]
	v_and_b32_e32 v2, 16, v53
	v_cmp_eq_u32_e64 s[8:9], 0, v2
	v_or_b32_e32 v2, 63, v0
	s_cmp_lg_u32 s40, 0
	v_cmp_lt_u32_e64 s[4:5], 31, v53
	v_lshrrev_b32_e32 v54, 6, v0
	v_cmp_eq_u32_e64 s[6:7], v2, v0
	s_cbranch_scc0 .LBB1301_69
; %bb.39:
	v_mov_b32_dpp v2, v55 row_shr:1 row_mask:0xf bank_mask:0xf
	v_cndmask_b32_e64 v2, v2, 0, s[16:17]
	v_add_u32_e32 v2, v2, v55
	s_nop 1
	v_mov_b32_dpp v3, v2 row_shr:2 row_mask:0xf bank_mask:0xf
	v_cndmask_b32_e64 v3, 0, v3, s[14:15]
	v_add_u32_e32 v2, v2, v3
	s_nop 1
	;; [unrolled: 4-line block ×4, first 2 shown]
	v_mov_b32_dpp v3, v2 row_bcast:15 row_mask:0xf bank_mask:0xf
	v_cndmask_b32_e64 v3, v3, 0, s[8:9]
	v_add_u32_e32 v2, v2, v3
	s_nop 1
	v_mov_b32_dpp v3, v2 row_bcast:31 row_mask:0xf bank_mask:0xf
	v_cndmask_b32_e64 v3, 0, v3, s[4:5]
	v_add_u32_e32 v2, v2, v3
	s_and_saveexec_b64 s[18:19], s[6:7]
	s_cbranch_execz .LBB1301_41
; %bb.40:
	v_lshlrev_b32_e32 v3, 2, v54
	ds_write_b32 v3, v2
.LBB1301_41:
	s_or_b64 exec, exec, s[18:19]
	v_cmp_gt_u32_e32 vcc, 4, v0
	s_waitcnt lgkmcnt(0)
	s_barrier
	s_and_saveexec_b64 s[18:19], vcc
	s_cbranch_execz .LBB1301_43
; %bb.42:
	ds_read_b32 v3, v34
	v_and_b32_e32 v4, 3, v53
	v_cmp_ne_u32_e32 vcc, 0, v4
	s_waitcnt lgkmcnt(0)
	v_mov_b32_dpp v5, v3 row_shr:1 row_mask:0xf bank_mask:0xf
	v_cndmask_b32_e32 v5, 0, v5, vcc
	v_add_u32_e32 v3, v5, v3
	v_cmp_lt_u32_e32 vcc, 1, v4
	s_nop 0
	v_mov_b32_dpp v5, v3 row_shr:2 row_mask:0xf bank_mask:0xf
	v_cndmask_b32_e32 v4, 0, v5, vcc
	v_add_u32_e32 v3, v3, v4
	ds_write_b32 v34, v3
.LBB1301_43:
	s_or_b64 exec, exec, s[18:19]
	v_cmp_gt_u32_e32 vcc, 64, v0
	v_cmp_lt_u32_e64 s[18:19], 63, v0
	s_waitcnt lgkmcnt(0)
	s_barrier
	s_waitcnt lgkmcnt(0)
                                        ; implicit-def: $vgpr12
	s_and_saveexec_b64 s[34:35], s[18:19]
	s_cbranch_execz .LBB1301_45
; %bb.44:
	v_lshl_add_u32 v3, v54, 2, -4
	ds_read_b32 v12, v3
	s_waitcnt lgkmcnt(0)
	v_add_u32_e32 v2, v12, v2
.LBB1301_45:
	s_or_b64 exec, exec, s[34:35]
	v_add_u32_e32 v3, -1, v53
	v_and_b32_e32 v4, 64, v53
	v_cmp_lt_i32_e64 s[18:19], v3, v4
	v_cndmask_b32_e64 v3, v3, v53, s[18:19]
	v_lshlrev_b32_e32 v3, 2, v3
	ds_bpermute_b32 v13, v3, v2
	v_cmp_eq_u32_e64 s[18:19], 0, v53
	s_and_saveexec_b64 s[34:35], vcc
	s_cbranch_execz .LBB1301_68
; %bb.46:
	v_mov_b32_e32 v11, 0
	ds_read_b32 v2, v11 offset:12
	s_and_saveexec_b64 s[36:37], s[18:19]
	s_cbranch_execz .LBB1301_48
; %bb.47:
	s_add_i32 s38, s40, 64
	s_mov_b32 s39, 0
	s_lshl_b64 s[38:39], s[38:39], 3
	s_add_u32 s38, s30, s38
	v_mov_b32_e32 v3, 1
	s_addc_u32 s39, s31, s39
	s_waitcnt lgkmcnt(0)
	global_store_dwordx2 v11, v[2:3], s[38:39]
.LBB1301_48:
	s_or_b64 exec, exec, s[36:37]
	v_xad_u32 v4, v53, -1, s40
	v_add_u32_e32 v10, 64, v4
	v_lshlrev_b64 v[6:7], 3, v[10:11]
	v_mov_b32_e32 v3, s31
	v_add_co_u32_e32 v6, vcc, s30, v6
	v_addc_co_u32_e32 v7, vcc, v3, v7, vcc
	global_load_dwordx2 v[8:9], v[6:7], off glc
	s_waitcnt vmcnt(0)
	v_cmp_eq_u16_sdwa s[38:39], v9, v11 src0_sel:BYTE_0 src1_sel:DWORD
	s_and_saveexec_b64 s[36:37], s[38:39]
	s_cbranch_execz .LBB1301_54
; %bb.49:
	s_mov_b32 s41, 1
	s_mov_b64 s[38:39], 0
	v_mov_b32_e32 v3, 0
.LBB1301_50:                            ; =>This Loop Header: Depth=1
                                        ;     Child Loop BB1301_51 Depth 2
	s_max_u32 s42, s41, 1
.LBB1301_51:                            ;   Parent Loop BB1301_50 Depth=1
                                        ; =>  This Inner Loop Header: Depth=2
	s_add_i32 s42, s42, -1
	s_cmp_eq_u32 s42, 0
	s_sleep 1
	s_cbranch_scc0 .LBB1301_51
; %bb.52:                               ;   in Loop: Header=BB1301_50 Depth=1
	global_load_dwordx2 v[8:9], v[6:7], off glc
	s_cmp_lt_u32 s41, 32
	s_cselect_b64 s[42:43], -1, 0
	s_cmp_lg_u64 s[42:43], 0
	s_addc_u32 s41, s41, 0
	s_waitcnt vmcnt(0)
	v_cmp_ne_u16_sdwa s[42:43], v9, v3 src0_sel:BYTE_0 src1_sel:DWORD
	s_or_b64 s[38:39], s[42:43], s[38:39]
	s_andn2_b64 exec, exec, s[38:39]
	s_cbranch_execnz .LBB1301_50
; %bb.53:
	s_or_b64 exec, exec, s[38:39]
.LBB1301_54:
	s_or_b64 exec, exec, s[36:37]
	v_and_b32_e32 v14, 63, v53
	v_mov_b32_e32 v3, 2
	v_cmp_ne_u32_e32 vcc, 63, v14
	v_cmp_eq_u16_sdwa s[36:37], v9, v3 src0_sel:BYTE_0 src1_sel:DWORD
	v_lshlrev_b64 v[6:7], v53, -1
	v_addc_co_u32_e32 v11, vcc, 0, v53, vcc
	v_and_b32_e32 v5, s37, v7
	v_lshlrev_b32_e32 v15, 2, v11
	v_or_b32_e32 v5, 0x80000000, v5
	ds_bpermute_b32 v11, v15, v8
	v_and_b32_e32 v10, s36, v6
	v_ffbl_b32_e32 v5, v5
	v_add_u32_e32 v5, 32, v5
	v_ffbl_b32_e32 v10, v10
	v_min_u32_e32 v5, v10, v5
	v_cmp_lt_u32_e32 vcc, v14, v5
	s_waitcnt lgkmcnt(0)
	v_cndmask_b32_e32 v10, 0, v11, vcc
	v_cmp_gt_u32_e32 vcc, 62, v14
	v_add_u32_e32 v8, v10, v8
	v_cndmask_b32_e64 v10, 0, 1, vcc
	v_lshlrev_b32_e32 v10, 1, v10
	v_add_lshl_u32 v16, v10, v53, 2
	ds_bpermute_b32 v10, v16, v8
	v_add_u32_e32 v17, 2, v14
	v_cmp_le_u32_e32 vcc, v17, v5
	v_add_u32_e32 v19, 4, v14
	v_add_u32_e32 v57, 8, v14
	s_waitcnt lgkmcnt(0)
	v_cndmask_b32_e32 v10, 0, v10, vcc
	v_cmp_gt_u32_e32 vcc, 60, v14
	v_add_u32_e32 v8, v8, v10
	v_cndmask_b32_e64 v10, 0, 1, vcc
	v_lshlrev_b32_e32 v10, 2, v10
	v_add_lshl_u32 v18, v10, v53, 2
	ds_bpermute_b32 v10, v18, v8
	v_cmp_le_u32_e32 vcc, v19, v5
	v_add_u32_e32 v60, 16, v14
	v_add_u32_e32 v62, 32, v14
	s_waitcnt lgkmcnt(0)
	v_cndmask_b32_e32 v10, 0, v10, vcc
	v_cmp_gt_u32_e32 vcc, 56, v14
	v_add_u32_e32 v8, v8, v10
	v_cndmask_b32_e64 v10, 0, 1, vcc
	v_lshlrev_b32_e32 v10, 3, v10
	v_add_lshl_u32 v56, v10, v53, 2
	ds_bpermute_b32 v10, v56, v8
	v_cmp_le_u32_e32 vcc, v57, v5
	s_waitcnt lgkmcnt(0)
	v_cndmask_b32_e32 v10, 0, v10, vcc
	v_cmp_gt_u32_e32 vcc, 48, v14
	v_add_u32_e32 v8, v8, v10
	v_cndmask_b32_e64 v10, 0, 1, vcc
	v_lshlrev_b32_e32 v10, 4, v10
	v_add_lshl_u32 v59, v10, v53, 2
	ds_bpermute_b32 v10, v59, v8
	v_cmp_le_u32_e32 vcc, v60, v5
	;; [unrolled: 9-line block ×3, first 2 shown]
	s_waitcnt lgkmcnt(0)
	v_cndmask_b32_e32 v5, 0, v10, vcc
	v_add_u32_e32 v8, v8, v5
	v_mov_b32_e32 v5, 0
	s_branch .LBB1301_56
.LBB1301_55:                            ;   in Loop: Header=BB1301_56 Depth=1
	s_or_b64 exec, exec, s[36:37]
	v_cmp_eq_u16_sdwa s[36:37], v9, v3 src0_sel:BYTE_0 src1_sel:DWORD
	v_and_b32_e32 v10, s37, v7
	v_or_b32_e32 v10, 0x80000000, v10
	ds_bpermute_b32 v63, v15, v8
	v_and_b32_e32 v11, s36, v6
	v_ffbl_b32_e32 v10, v10
	v_add_u32_e32 v10, 32, v10
	v_ffbl_b32_e32 v11, v11
	v_min_u32_e32 v10, v11, v10
	v_cmp_lt_u32_e32 vcc, v14, v10
	s_waitcnt lgkmcnt(0)
	v_cndmask_b32_e32 v11, 0, v63, vcc
	v_add_u32_e32 v8, v11, v8
	ds_bpermute_b32 v11, v16, v8
	v_cmp_le_u32_e32 vcc, v17, v10
	v_subrev_u32_e32 v4, 64, v4
	s_waitcnt lgkmcnt(0)
	v_cndmask_b32_e32 v11, 0, v11, vcc
	v_add_u32_e32 v8, v8, v11
	ds_bpermute_b32 v11, v18, v8
	v_cmp_le_u32_e32 vcc, v19, v10
	s_waitcnt lgkmcnt(0)
	v_cndmask_b32_e32 v11, 0, v11, vcc
	v_add_u32_e32 v8, v8, v11
	ds_bpermute_b32 v11, v56, v8
	v_cmp_le_u32_e32 vcc, v57, v10
	;; [unrolled: 5-line block ×4, first 2 shown]
	s_waitcnt lgkmcnt(0)
	v_cndmask_b32_e32 v10, 0, v11, vcc
	v_add3_u32 v8, v10, v58, v8
.LBB1301_56:                            ; =>This Loop Header: Depth=1
                                        ;     Child Loop BB1301_59 Depth 2
                                        ;       Child Loop BB1301_60 Depth 3
	v_cmp_ne_u16_sdwa s[36:37], v9, v3 src0_sel:BYTE_0 src1_sel:DWORD
	v_cndmask_b32_e64 v9, 0, 1, s[36:37]
	;;#ASMSTART
	;;#ASMEND
	v_cmp_ne_u32_e32 vcc, 0, v9
	s_cmp_lg_u64 vcc, exec
	v_mov_b32_e32 v58, v8
	s_cbranch_scc1 .LBB1301_63
; %bb.57:                               ;   in Loop: Header=BB1301_56 Depth=1
	v_lshlrev_b64 v[8:9], 3, v[4:5]
	v_mov_b32_e32 v11, s31
	v_add_co_u32_e32 v10, vcc, s30, v8
	v_addc_co_u32_e32 v11, vcc, v11, v9, vcc
	global_load_dwordx2 v[8:9], v[10:11], off glc
	s_waitcnt vmcnt(0)
	v_cmp_eq_u16_sdwa s[38:39], v9, v5 src0_sel:BYTE_0 src1_sel:DWORD
	s_and_saveexec_b64 s[36:37], s[38:39]
	s_cbranch_execz .LBB1301_55
; %bb.58:                               ;   in Loop: Header=BB1301_56 Depth=1
	s_mov_b32 s41, 1
	s_mov_b64 s[38:39], 0
.LBB1301_59:                            ;   Parent Loop BB1301_56 Depth=1
                                        ; =>  This Loop Header: Depth=2
                                        ;       Child Loop BB1301_60 Depth 3
	s_max_u32 s42, s41, 1
.LBB1301_60:                            ;   Parent Loop BB1301_56 Depth=1
                                        ;     Parent Loop BB1301_59 Depth=2
                                        ; =>    This Inner Loop Header: Depth=3
	s_add_i32 s42, s42, -1
	s_cmp_eq_u32 s42, 0
	s_sleep 1
	s_cbranch_scc0 .LBB1301_60
; %bb.61:                               ;   in Loop: Header=BB1301_59 Depth=2
	global_load_dwordx2 v[8:9], v[10:11], off glc
	s_cmp_lt_u32 s41, 32
	s_cselect_b64 s[42:43], -1, 0
	s_cmp_lg_u64 s[42:43], 0
	s_addc_u32 s41, s41, 0
	s_waitcnt vmcnt(0)
	v_cmp_ne_u16_sdwa s[42:43], v9, v5 src0_sel:BYTE_0 src1_sel:DWORD
	s_or_b64 s[38:39], s[42:43], s[38:39]
	s_andn2_b64 exec, exec, s[38:39]
	s_cbranch_execnz .LBB1301_59
; %bb.62:                               ;   in Loop: Header=BB1301_56 Depth=1
	s_or_b64 exec, exec, s[38:39]
	s_branch .LBB1301_55
.LBB1301_63:                            ;   in Loop: Header=BB1301_56 Depth=1
                                        ; implicit-def: $vgpr8
                                        ; implicit-def: $vgpr9
	s_cbranch_execz .LBB1301_56
; %bb.64:
	s_and_saveexec_b64 s[36:37], s[18:19]
	s_cbranch_execz .LBB1301_66
; %bb.65:
	s_add_i32 s38, s40, 64
	s_mov_b32 s39, 0
	s_lshl_b64 s[38:39], s[38:39], 3
	s_add_u32 s38, s30, s38
	v_add_u32_e32 v4, v58, v2
	v_mov_b32_e32 v5, 2
	s_addc_u32 s39, s31, s39
	v_mov_b32_e32 v3, 0
	global_store_dwordx2 v3, v[4:5], s[38:39]
	s_movk_i32 s38, 0x3400
	v_add_u32_e64 v3, s38, 0
	ds_write2_b32 v3, v2, v58 offset1:2
.LBB1301_66:
	s_or_b64 exec, exec, s[36:37]
	s_and_b64 exec, exec, s[0:1]
	s_cbranch_execz .LBB1301_68
; %bb.67:
	v_mov_b32_e32 v2, 0
	ds_write_b32 v2, v58 offset:12
.LBB1301_68:
	s_or_b64 exec, exec, s[34:35]
	v_mov_b32_e32 v2, 0
	s_waitcnt lgkmcnt(0)
	s_barrier
	ds_read_b32 v2, v2 offset:12
	v_cndmask_b32_e64 v3, v13, v12, s[18:19]
	v_cndmask_b32_e64 v3, v3, 0, s[0:1]
	s_movk_i32 s18, 0x3400
	v_add_u32_e64 v12, s18, 0
	s_waitcnt lgkmcnt(0)
	v_add_u32_e32 v2, v2, v3
	v_add_u32_e32 v3, v2, v44
	;; [unrolled: 1-line block ×9, first 2 shown]
	s_barrier
	ds_read2_b32 v[18:19], v12 offset1:2
	v_add_u32_e32 v11, v10, v50
	v_add_u32_e32 v12, v11, v51
	;; [unrolled: 1-line block ×4, first 2 shown]
	s_branch .LBB1301_79
.LBB1301_69:
                                        ; implicit-def: $vgpr19
                                        ; implicit-def: $vgpr2_vgpr3_vgpr4_vgpr5_vgpr6_vgpr7_vgpr8_vgpr9_vgpr10_vgpr11_vgpr12_vgpr13_vgpr14_vgpr15_vgpr16_vgpr17
	s_cbranch_execz .LBB1301_79
; %bb.70:
	s_nop 0
	v_mov_b32_dpp v2, v55 row_shr:1 row_mask:0xf bank_mask:0xf
	v_cndmask_b32_e64 v2, v2, 0, s[16:17]
	v_add_u32_e32 v2, v2, v55
	s_nop 1
	v_mov_b32_dpp v3, v2 row_shr:2 row_mask:0xf bank_mask:0xf
	v_cndmask_b32_e64 v3, 0, v3, s[14:15]
	v_add_u32_e32 v2, v2, v3
	;; [unrolled: 4-line block ×4, first 2 shown]
	s_nop 1
	v_mov_b32_dpp v3, v2 row_bcast:15 row_mask:0xf bank_mask:0xf
	v_cndmask_b32_e64 v3, v3, 0, s[8:9]
	v_add_u32_e32 v2, v2, v3
	s_nop 1
	v_mov_b32_dpp v3, v2 row_bcast:31 row_mask:0xf bank_mask:0xf
	v_cndmask_b32_e64 v3, 0, v3, s[4:5]
	v_add_u32_e32 v2, v2, v3
	s_and_saveexec_b64 s[4:5], s[6:7]
	s_cbranch_execz .LBB1301_72
; %bb.71:
	v_lshlrev_b32_e32 v3, 2, v54
	ds_write_b32 v3, v2
.LBB1301_72:
	s_or_b64 exec, exec, s[4:5]
	v_cmp_gt_u32_e32 vcc, 4, v0
	s_waitcnt lgkmcnt(0)
	s_barrier
	s_and_saveexec_b64 s[4:5], vcc
	s_cbranch_execz .LBB1301_74
; %bb.73:
	ds_read_b32 v3, v34
	v_and_b32_e32 v4, 3, v53
	v_cmp_ne_u32_e32 vcc, 0, v4
	s_waitcnt lgkmcnt(0)
	v_mov_b32_dpp v5, v3 row_shr:1 row_mask:0xf bank_mask:0xf
	v_cndmask_b32_e32 v5, 0, v5, vcc
	v_add_u32_e32 v3, v5, v3
	v_cmp_lt_u32_e32 vcc, 1, v4
	s_nop 0
	v_mov_b32_dpp v5, v3 row_shr:2 row_mask:0xf bank_mask:0xf
	v_cndmask_b32_e32 v4, 0, v5, vcc
	v_add_u32_e32 v3, v3, v4
	ds_write_b32 v34, v3
.LBB1301_74:
	s_or_b64 exec, exec, s[4:5]
	v_cmp_lt_u32_e32 vcc, 63, v0
	v_mov_b32_e32 v4, 0
	v_mov_b32_e32 v3, 0
	s_waitcnt lgkmcnt(0)
	s_barrier
	s_and_saveexec_b64 s[4:5], vcc
	s_cbranch_execz .LBB1301_76
; %bb.75:
	v_lshl_add_u32 v3, v54, 2, -4
	ds_read_b32 v3, v3
.LBB1301_76:
	s_or_b64 exec, exec, s[4:5]
	v_add_u32_e32 v5, -1, v53
	v_and_b32_e32 v6, 64, v53
	v_cmp_lt_i32_e32 vcc, v5, v6
	v_cndmask_b32_e32 v5, v5, v53, vcc
	s_waitcnt lgkmcnt(0)
	v_add_u32_e32 v2, v3, v2
	v_lshlrev_b32_e32 v5, 2, v5
	ds_bpermute_b32 v2, v5, v2
	ds_read_b32 v18, v4 offset:12
	s_and_saveexec_b64 s[4:5], s[0:1]
	s_cbranch_execz .LBB1301_78
; %bb.77:
	v_mov_b32_e32 v4, 0
	v_mov_b32_e32 v19, 2
	s_waitcnt lgkmcnt(0)
	global_store_dwordx2 v4, v[18:19], s[30:31] offset:512
.LBB1301_78:
	s_or_b64 exec, exec, s[4:5]
	v_cmp_eq_u32_e32 vcc, 0, v53
	s_waitcnt lgkmcnt(1)
	v_cndmask_b32_e32 v2, v2, v3, vcc
	v_cndmask_b32_e64 v2, v2, 0, s[0:1]
	v_add_u32_e32 v3, v2, v44
	v_add_u32_e32 v4, v3, v45
	;; [unrolled: 1-line block ×11, first 2 shown]
	v_mov_b32_e32 v19, 0
	v_add_u32_e32 v14, v13, v41
	s_waitcnt lgkmcnt(0)
	s_barrier
.LBB1301_79:
	s_waitcnt lgkmcnt(0)
	v_add_u32_e32 v36, v18, v36
	v_sub_u32_e32 v2, v2, v19
	v_and_b32_e32 v45, 1, v40
	v_sub_u32_e32 v44, v36, v2
	v_cmp_eq_u32_e32 vcc, 1, v45
	v_cndmask_b32_e32 v2, v44, v2, vcc
	v_lshlrev_b32_e32 v2, 2, v2
	v_lshrrev_b32_e32 v17, 8, v40
	ds_write_b32 v2, v32
	v_sub_u32_e32 v2, v3, v19
	v_sub_u32_e32 v3, v36, v2
	v_and_b32_e32 v17, 1, v17
	v_add_u32_e32 v3, 1, v3
	v_cmp_eq_u32_e32 vcc, 1, v17
	v_cndmask_b32_e32 v2, v3, v2, vcc
	v_lshlrev_b32_e32 v2, 2, v2
	ds_write_b32 v2, v33
	v_sub_u32_e32 v2, v4, v19
	v_mov_b32_e32 v4, 1
	v_sub_u32_e32 v3, v36, v2
	v_and_b32_sdwa v17, v4, v40 dst_sel:DWORD dst_unused:UNUSED_PAD src0_sel:DWORD src1_sel:WORD_1
	v_add_u32_e32 v3, 2, v3
	v_cmp_eq_u32_e32 vcc, 1, v17
	v_cndmask_b32_e32 v2, v3, v2, vcc
	v_lshlrev_b32_e32 v2, 2, v2
	ds_write_b32 v2, v30
	v_sub_u32_e32 v2, v5, v19
	v_sub_u32_e32 v3, v36, v2
	v_and_b32_e32 v5, 1, v43
	v_add_u32_e32 v3, 3, v3
	v_cmp_eq_u32_e32 vcc, 1, v5
	v_cndmask_b32_e32 v2, v3, v2, vcc
	v_lshlrev_b32_e32 v2, 2, v2
	ds_write_b32 v2, v31
	v_sub_u32_e32 v2, v6, v19
	v_sub_u32_e32 v3, v36, v2
	v_and_b32_e32 v5, 1, v39
	v_add_u32_e32 v3, 4, v3
	v_cmp_eq_u32_e32 vcc, 1, v5
	v_cndmask_b32_e32 v2, v3, v2, vcc
	v_lshlrev_b32_e32 v2, 2, v2
	v_lshrrev_b32_e32 v16, 8, v39
	ds_write_b32 v2, v28
	v_sub_u32_e32 v2, v7, v19
	v_sub_u32_e32 v3, v36, v2
	v_and_b32_e32 v5, 1, v16
	v_add_u32_e32 v3, 5, v3
	v_cmp_eq_u32_e32 vcc, 1, v5
	v_cndmask_b32_e32 v2, v3, v2, vcc
	v_lshlrev_b32_e32 v2, 2, v2
	ds_write_b32 v2, v29
	v_sub_u32_e32 v2, v8, v19
	v_sub_u32_e32 v3, v36, v2
	v_and_b32_sdwa v5, v4, v39 dst_sel:DWORD dst_unused:UNUSED_PAD src0_sel:DWORD src1_sel:WORD_1
	v_add_u32_e32 v3, 6, v3
	v_cmp_eq_u32_e32 vcc, 1, v5
	v_cndmask_b32_e32 v2, v3, v2, vcc
	v_lshlrev_b32_e32 v2, 2, v2
	ds_write_b32 v2, v26
	v_sub_u32_e32 v2, v9, v19
	v_sub_u32_e32 v3, v36, v2
	v_and_b32_e32 v5, 1, v42
	v_add_u32_e32 v3, 7, v3
	v_cmp_eq_u32_e32 vcc, 1, v5
	v_cndmask_b32_e32 v2, v3, v2, vcc
	v_lshlrev_b32_e32 v2, 2, v2
	ds_write_b32 v2, v27
	v_sub_u32_e32 v2, v10, v19
	v_sub_u32_e32 v3, v36, v2
	v_and_b32_e32 v5, 1, v38
	v_add_u32_e32 v3, 8, v3
	v_cmp_eq_u32_e32 vcc, 1, v5
	v_cndmask_b32_e32 v2, v3, v2, vcc
	v_lshlrev_b32_e32 v2, 2, v2
	v_lshrrev_b32_e32 v15, 8, v38
	ds_write_b32 v2, v24
	v_sub_u32_e32 v2, v11, v19
	v_sub_u32_e32 v3, v36, v2
	v_and_b32_e32 v5, 1, v15
	v_add_u32_e32 v3, 9, v3
	v_cmp_eq_u32_e32 vcc, 1, v5
	v_cndmask_b32_e32 v2, v3, v2, vcc
	v_lshlrev_b32_e32 v2, 2, v2
	ds_write_b32 v2, v25
	v_sub_u32_e32 v2, v12, v19
	v_sub_u32_e32 v3, v36, v2
	v_and_b32_sdwa v4, v4, v38 dst_sel:DWORD dst_unused:UNUSED_PAD src0_sel:DWORD src1_sel:WORD_1
	v_add_u32_e32 v3, 10, v3
	v_cmp_eq_u32_e32 vcc, 1, v4
	v_cndmask_b32_e32 v2, v3, v2, vcc
	v_lshlrev_b32_e32 v2, 2, v2
	ds_write_b32 v2, v22
	v_sub_u32_e32 v2, v13, v19
	v_sub_u32_e32 v3, v36, v2
	v_and_b32_e32 v4, 1, v41
	v_add_u32_e32 v3, 11, v3
	v_cmp_eq_u32_e32 vcc, 1, v4
	v_cndmask_b32_e32 v2, v3, v2, vcc
	v_lshlrev_b32_e32 v2, 2, v2
	ds_write_b32 v2, v23
	v_sub_u32_e32 v2, v14, v19
	v_sub_u32_e32 v3, v36, v2
	v_and_b32_e32 v4, 1, v37
	v_add_u32_e32 v3, 12, v3
	v_cmp_eq_u32_e32 vcc, 1, v4
	v_cndmask_b32_e32 v2, v3, v2, vcc
	s_waitcnt vmcnt(0)
	v_add_co_u32_e32 v16, vcc, v20, v19
	v_addc_co_u32_e32 v17, vcc, 0, v21, vcc
	v_mov_b32_e32 v14, s29
	v_add_co_u32_e32 v1, vcc, s28, v1
	v_addc_co_u32_e32 v14, vcc, 0, v14, vcc
	v_lshlrev_b32_e32 v2, 2, v2
	v_mov_b32_e32 v15, s27
	v_sub_co_u32_e32 v1, vcc, s26, v1
	ds_write_b32 v2, v35
	s_waitcnt lgkmcnt(0)
	s_barrier
	ds_read2st64_b32 v[12:13], v34 offset1:4
	ds_read2st64_b32 v[10:11], v34 offset0:8 offset1:12
	ds_read2st64_b32 v[8:9], v34 offset0:16 offset1:20
	ds_read2st64_b32 v[6:7], v34 offset0:24 offset1:28
	ds_read2st64_b32 v[4:5], v34 offset0:32 offset1:36
	ds_read2st64_b32 v[2:3], v34 offset0:40 offset1:44
	ds_read_b32 v22, v34 offset:12288
	v_subb_co_u32_e32 v14, vcc, v15, v14, vcc
	v_add_co_u32_e32 v1, vcc, v1, v18
	v_addc_co_u32_e32 v14, vcc, 0, v14, vcc
	s_and_b64 vcc, exec, s[2:3]
	v_add_co_u32_e64 v1, s[2:3], v1, v16
	v_or_b32_e32 v35, 0x100, v0
	v_or_b32_e32 v33, 0x200, v0
	;; [unrolled: 1-line block ×12, first 2 shown]
	v_addc_co_u32_e64 v19, s[2:3], v14, v17, s[2:3]
	s_cbranch_vccnz .LBB1301_136
; %bb.80:
	v_cmp_ge_u32_e32 vcc, v0, v18
                                        ; implicit-def: $vgpr14_vgpr15
	s_and_saveexec_b64 s[2:3], vcc
	s_xor_b64 s[2:3], exec, s[2:3]
; %bb.81:
	v_not_b32_e32 v14, v0
	v_ashrrev_i32_e32 v15, 31, v14
	v_add_co_u32_e32 v14, vcc, v1, v14
	v_addc_co_u32_e32 v15, vcc, v19, v15, vcc
; %bb.82:
	s_andn2_saveexec_b64 s[2:3], s[2:3]
; %bb.83:
	v_add_co_u32_e32 v14, vcc, v16, v0
	v_addc_co_u32_e32 v15, vcc, 0, v17, vcc
; %bb.84:
	s_or_b64 exec, exec, s[2:3]
	v_lshlrev_b64 v[14:15], 2, v[14:15]
	v_mov_b32_e32 v20, s25
	v_add_co_u32_e32 v14, vcc, s24, v14
	v_addc_co_u32_e32 v15, vcc, v20, v15, vcc
	v_cmp_ge_u32_e32 vcc, v35, v18
	s_waitcnt lgkmcnt(6)
	global_store_dword v[14:15], v12, off
                                        ; implicit-def: $vgpr14_vgpr15
	s_and_saveexec_b64 s[2:3], vcc
	s_xor_b64 s[2:3], exec, s[2:3]
; %bb.85:
	v_xor_b32_e32 v14, 0xfffffeff, v0
	v_ashrrev_i32_e32 v15, 31, v14
	v_add_co_u32_e32 v14, vcc, v1, v14
	v_addc_co_u32_e32 v15, vcc, v19, v15, vcc
; %bb.86:
	s_andn2_saveexec_b64 s[2:3], s[2:3]
; %bb.87:
	v_add_co_u32_e32 v14, vcc, v16, v35
	v_addc_co_u32_e32 v15, vcc, 0, v17, vcc
; %bb.88:
	s_or_b64 exec, exec, s[2:3]
	v_lshlrev_b64 v[14:15], 2, v[14:15]
	v_mov_b32_e32 v20, s25
	v_add_co_u32_e32 v14, vcc, s24, v14
	v_addc_co_u32_e32 v15, vcc, v20, v15, vcc
	v_cmp_ge_u32_e32 vcc, v33, v18
	global_store_dword v[14:15], v13, off
                                        ; implicit-def: $vgpr14_vgpr15
	s_and_saveexec_b64 s[2:3], vcc
	s_xor_b64 s[2:3], exec, s[2:3]
; %bb.89:
	v_xor_b32_e32 v14, 0xfffffdff, v0
	v_ashrrev_i32_e32 v15, 31, v14
	v_add_co_u32_e32 v14, vcc, v1, v14
	v_addc_co_u32_e32 v15, vcc, v19, v15, vcc
; %bb.90:
	s_andn2_saveexec_b64 s[2:3], s[2:3]
; %bb.91:
	v_add_co_u32_e32 v14, vcc, v16, v33
	v_addc_co_u32_e32 v15, vcc, 0, v17, vcc
; %bb.92:
	s_or_b64 exec, exec, s[2:3]
	v_lshlrev_b64 v[14:15], 2, v[14:15]
	v_mov_b32_e32 v20, s25
	v_add_co_u32_e32 v14, vcc, s24, v14
	v_addc_co_u32_e32 v15, vcc, v20, v15, vcc
	v_cmp_ge_u32_e32 vcc, v32, v18
	s_waitcnt lgkmcnt(5)
	global_store_dword v[14:15], v10, off
                                        ; implicit-def: $vgpr14_vgpr15
	s_and_saveexec_b64 s[2:3], vcc
	s_xor_b64 s[2:3], exec, s[2:3]
; %bb.93:
	v_xor_b32_e32 v14, 0xfffffcff, v0
	v_ashrrev_i32_e32 v15, 31, v14
	v_add_co_u32_e32 v14, vcc, v1, v14
	v_addc_co_u32_e32 v15, vcc, v19, v15, vcc
; %bb.94:
	s_andn2_saveexec_b64 s[2:3], s[2:3]
; %bb.95:
	v_add_co_u32_e32 v14, vcc, v16, v32
	v_addc_co_u32_e32 v15, vcc, 0, v17, vcc
; %bb.96:
	s_or_b64 exec, exec, s[2:3]
	v_lshlrev_b64 v[14:15], 2, v[14:15]
	v_mov_b32_e32 v20, s25
	v_add_co_u32_e32 v14, vcc, s24, v14
	v_addc_co_u32_e32 v15, vcc, v20, v15, vcc
	v_cmp_ge_u32_e32 vcc, v31, v18
	global_store_dword v[14:15], v11, off
                                        ; implicit-def: $vgpr14_vgpr15
	s_and_saveexec_b64 s[2:3], vcc
	s_xor_b64 s[2:3], exec, s[2:3]
; %bb.97:
	v_xor_b32_e32 v14, 0xfffffbff, v0
	;; [unrolled: 43-line block ×6, first 2 shown]
	v_ashrrev_i32_e32 v15, 31, v14
	v_add_co_u32_e32 v14, vcc, v1, v14
	v_addc_co_u32_e32 v15, vcc, v19, v15, vcc
; %bb.130:
	s_andn2_saveexec_b64 s[2:3], s[2:3]
; %bb.131:
	v_add_co_u32_e32 v14, vcc, v16, v23
	v_addc_co_u32_e32 v15, vcc, 0, v17, vcc
; %bb.132:
	s_or_b64 exec, exec, s[2:3]
	s_mov_b64 s[2:3], -1
.LBB1301_133:
	s_and_saveexec_b64 s[4:5], s[2:3]
	s_cbranch_execz .LBB1301_216
.LBB1301_134:
	v_lshlrev_b64 v[0:1], 2, v[14:15]
	s_waitcnt lgkmcnt(1)
	v_mov_b32_e32 v2, s25
	v_add_co_u32_e32 v0, vcc, s24, v0
	v_addc_co_u32_e32 v1, vcc, v2, v1, vcc
	s_waitcnt lgkmcnt(0)
	global_store_dword v[0:1], v22, off
	s_or_b64 exec, exec, s[4:5]
	s_and_b64 s[0:1], s[0:1], s[22:23]
	s_and_saveexec_b64 s[2:3], s[0:1]
	s_cbranch_execnz .LBB1301_217
.LBB1301_135:
	s_endpgm
.LBB1301_136:
	s_mov_b64 s[2:3], 0
                                        ; implicit-def: $vgpr14_vgpr15
	s_cbranch_execz .LBB1301_133
; %bb.137:
	v_cmp_gt_u32_e32 vcc, s33, v0
	s_and_saveexec_b64 s[4:5], vcc
	s_cbranch_execz .LBB1301_173
; %bb.138:
	v_cmp_ge_u32_e32 vcc, v0, v18
                                        ; implicit-def: $vgpr14_vgpr15
	s_and_saveexec_b64 s[6:7], vcc
	s_xor_b64 s[6:7], exec, s[6:7]
; %bb.139:
	v_not_b32_e32 v14, v0
	v_ashrrev_i32_e32 v15, 31, v14
	v_add_co_u32_e32 v14, vcc, v1, v14
	v_addc_co_u32_e32 v15, vcc, v19, v15, vcc
; %bb.140:
	s_andn2_saveexec_b64 s[6:7], s[6:7]
; %bb.141:
	v_add_co_u32_e32 v14, vcc, v16, v0
	v_addc_co_u32_e32 v15, vcc, 0, v17, vcc
; %bb.142:
	s_or_b64 exec, exec, s[6:7]
	v_lshlrev_b64 v[14:15], 2, v[14:15]
	v_mov_b32_e32 v20, s25
	v_add_co_u32_e32 v14, vcc, s24, v14
	v_addc_co_u32_e32 v15, vcc, v20, v15, vcc
	s_waitcnt lgkmcnt(6)
	global_store_dword v[14:15], v12, off
	s_or_b64 exec, exec, s[4:5]
	v_cmp_gt_u32_e32 vcc, s33, v35
	s_and_saveexec_b64 s[4:5], vcc
	s_cbranch_execnz .LBB1301_174
.LBB1301_143:
	s_or_b64 exec, exec, s[4:5]
	v_cmp_gt_u32_e32 vcc, s33, v33
	s_and_saveexec_b64 s[4:5], vcc
	s_cbranch_execz .LBB1301_179
.LBB1301_144:
	v_cmp_ge_u32_e32 vcc, v33, v18
                                        ; implicit-def: $vgpr12_vgpr13
	s_and_saveexec_b64 s[6:7], vcc
	s_xor_b64 s[6:7], exec, s[6:7]
	s_cbranch_execz .LBB1301_146
; %bb.145:
	s_waitcnt lgkmcnt(6)
	v_xor_b32_e32 v12, 0xfffffdff, v0
	v_ashrrev_i32_e32 v13, 31, v12
	v_add_co_u32_e32 v12, vcc, v1, v12
	v_addc_co_u32_e32 v13, vcc, v19, v13, vcc
                                        ; implicit-def: $vgpr33
.LBB1301_146:
	s_andn2_saveexec_b64 s[6:7], s[6:7]
	s_cbranch_execz .LBB1301_148
; %bb.147:
	s_waitcnt lgkmcnt(6)
	v_add_co_u32_e32 v12, vcc, v16, v33
	v_addc_co_u32_e32 v13, vcc, 0, v17, vcc
.LBB1301_148:
	s_or_b64 exec, exec, s[6:7]
	s_waitcnt lgkmcnt(6)
	v_lshlrev_b64 v[12:13], 2, v[12:13]
	v_mov_b32_e32 v14, s25
	v_add_co_u32_e32 v12, vcc, s24, v12
	v_addc_co_u32_e32 v13, vcc, v14, v13, vcc
	s_waitcnt lgkmcnt(5)
	global_store_dword v[12:13], v10, off
	s_or_b64 exec, exec, s[4:5]
	v_cmp_gt_u32_e32 vcc, s33, v32
	s_and_saveexec_b64 s[4:5], vcc
	s_cbranch_execnz .LBB1301_180
.LBB1301_149:
	s_or_b64 exec, exec, s[4:5]
	v_cmp_gt_u32_e32 vcc, s33, v31
	s_and_saveexec_b64 s[4:5], vcc
	s_cbranch_execz .LBB1301_185
.LBB1301_150:
	v_cmp_ge_u32_e32 vcc, v31, v18
                                        ; implicit-def: $vgpr10_vgpr11
	s_and_saveexec_b64 s[6:7], vcc
	s_xor_b64 s[6:7], exec, s[6:7]
	s_cbranch_execz .LBB1301_152
; %bb.151:
	s_waitcnt lgkmcnt(5)
	v_xor_b32_e32 v10, 0xfffffbff, v0
	v_ashrrev_i32_e32 v11, 31, v10
	v_add_co_u32_e32 v10, vcc, v1, v10
	v_addc_co_u32_e32 v11, vcc, v19, v11, vcc
                                        ; implicit-def: $vgpr31
.LBB1301_152:
	s_andn2_saveexec_b64 s[6:7], s[6:7]
	s_cbranch_execz .LBB1301_154
; %bb.153:
	s_waitcnt lgkmcnt(5)
	v_add_co_u32_e32 v10, vcc, v16, v31
	v_addc_co_u32_e32 v11, vcc, 0, v17, vcc
.LBB1301_154:
	s_or_b64 exec, exec, s[6:7]
	s_waitcnt lgkmcnt(5)
	v_lshlrev_b64 v[10:11], 2, v[10:11]
	v_mov_b32_e32 v12, s25
	v_add_co_u32_e32 v10, vcc, s24, v10
	v_addc_co_u32_e32 v11, vcc, v12, v11, vcc
	s_waitcnt lgkmcnt(4)
	global_store_dword v[10:11], v8, off
	s_or_b64 exec, exec, s[4:5]
	v_cmp_gt_u32_e32 vcc, s33, v30
	s_and_saveexec_b64 s[4:5], vcc
	s_cbranch_execnz .LBB1301_186
.LBB1301_155:
	s_or_b64 exec, exec, s[4:5]
	v_cmp_gt_u32_e32 vcc, s33, v29
	s_and_saveexec_b64 s[4:5], vcc
	s_cbranch_execz .LBB1301_191
.LBB1301_156:
	v_cmp_ge_u32_e32 vcc, v29, v18
                                        ; implicit-def: $vgpr8_vgpr9
	s_and_saveexec_b64 s[6:7], vcc
	s_xor_b64 s[6:7], exec, s[6:7]
	s_cbranch_execz .LBB1301_158
; %bb.157:
	s_waitcnt lgkmcnt(4)
	v_xor_b32_e32 v8, 0xfffff9ff, v0
	v_ashrrev_i32_e32 v9, 31, v8
	v_add_co_u32_e32 v8, vcc, v1, v8
	v_addc_co_u32_e32 v9, vcc, v19, v9, vcc
                                        ; implicit-def: $vgpr29
.LBB1301_158:
	s_andn2_saveexec_b64 s[6:7], s[6:7]
	s_cbranch_execz .LBB1301_160
; %bb.159:
	s_waitcnt lgkmcnt(4)
	v_add_co_u32_e32 v8, vcc, v16, v29
	v_addc_co_u32_e32 v9, vcc, 0, v17, vcc
.LBB1301_160:
	s_or_b64 exec, exec, s[6:7]
	s_waitcnt lgkmcnt(4)
	v_lshlrev_b64 v[8:9], 2, v[8:9]
	v_mov_b32_e32 v10, s25
	v_add_co_u32_e32 v8, vcc, s24, v8
	v_addc_co_u32_e32 v9, vcc, v10, v9, vcc
	s_waitcnt lgkmcnt(3)
	global_store_dword v[8:9], v6, off
	s_or_b64 exec, exec, s[4:5]
	v_cmp_gt_u32_e32 vcc, s33, v28
	s_and_saveexec_b64 s[4:5], vcc
	s_cbranch_execnz .LBB1301_192
.LBB1301_161:
	s_or_b64 exec, exec, s[4:5]
	v_cmp_gt_u32_e32 vcc, s33, v27
	s_and_saveexec_b64 s[4:5], vcc
	s_cbranch_execz .LBB1301_197
.LBB1301_162:
	v_cmp_ge_u32_e32 vcc, v27, v18
                                        ; implicit-def: $vgpr6_vgpr7
	s_and_saveexec_b64 s[6:7], vcc
	s_xor_b64 s[6:7], exec, s[6:7]
	s_cbranch_execz .LBB1301_164
; %bb.163:
	s_waitcnt lgkmcnt(3)
	v_xor_b32_e32 v6, 0xfffff7ff, v0
	v_ashrrev_i32_e32 v7, 31, v6
	v_add_co_u32_e32 v6, vcc, v1, v6
	v_addc_co_u32_e32 v7, vcc, v19, v7, vcc
                                        ; implicit-def: $vgpr27
.LBB1301_164:
	s_andn2_saveexec_b64 s[6:7], s[6:7]
	s_cbranch_execz .LBB1301_166
; %bb.165:
	s_waitcnt lgkmcnt(3)
	v_add_co_u32_e32 v6, vcc, v16, v27
	v_addc_co_u32_e32 v7, vcc, 0, v17, vcc
.LBB1301_166:
	s_or_b64 exec, exec, s[6:7]
	s_waitcnt lgkmcnt(3)
	v_lshlrev_b64 v[6:7], 2, v[6:7]
	v_mov_b32_e32 v8, s25
	v_add_co_u32_e32 v6, vcc, s24, v6
	v_addc_co_u32_e32 v7, vcc, v8, v7, vcc
	s_waitcnt lgkmcnt(2)
	global_store_dword v[6:7], v4, off
	s_or_b64 exec, exec, s[4:5]
	v_cmp_gt_u32_e32 vcc, s33, v26
	s_and_saveexec_b64 s[4:5], vcc
	s_cbranch_execnz .LBB1301_198
.LBB1301_167:
	s_or_b64 exec, exec, s[4:5]
	v_cmp_gt_u32_e32 vcc, s33, v25
	s_and_saveexec_b64 s[4:5], vcc
	s_cbranch_execz .LBB1301_203
.LBB1301_168:
	v_cmp_ge_u32_e32 vcc, v25, v18
                                        ; implicit-def: $vgpr4_vgpr5
	s_and_saveexec_b64 s[6:7], vcc
	s_xor_b64 s[6:7], exec, s[6:7]
	s_cbranch_execz .LBB1301_170
; %bb.169:
	s_waitcnt lgkmcnt(2)
	v_xor_b32_e32 v4, 0xfffff5ff, v0
	v_ashrrev_i32_e32 v5, 31, v4
	v_add_co_u32_e32 v4, vcc, v1, v4
	v_addc_co_u32_e32 v5, vcc, v19, v5, vcc
                                        ; implicit-def: $vgpr25
.LBB1301_170:
	s_andn2_saveexec_b64 s[6:7], s[6:7]
	s_cbranch_execz .LBB1301_172
; %bb.171:
	s_waitcnt lgkmcnt(2)
	v_add_co_u32_e32 v4, vcc, v16, v25
	v_addc_co_u32_e32 v5, vcc, 0, v17, vcc
.LBB1301_172:
	s_or_b64 exec, exec, s[6:7]
	s_waitcnt lgkmcnt(2)
	v_lshlrev_b64 v[4:5], 2, v[4:5]
	v_mov_b32_e32 v6, s25
	v_add_co_u32_e32 v4, vcc, s24, v4
	v_addc_co_u32_e32 v5, vcc, v6, v5, vcc
	s_waitcnt lgkmcnt(1)
	global_store_dword v[4:5], v2, off
	s_or_b64 exec, exec, s[4:5]
	v_cmp_gt_u32_e32 vcc, s33, v24
	s_and_saveexec_b64 s[4:5], vcc
	s_cbranch_execz .LBB1301_209
	s_branch .LBB1301_204
.LBB1301_173:
	s_or_b64 exec, exec, s[4:5]
	v_cmp_gt_u32_e32 vcc, s33, v35
	s_and_saveexec_b64 s[4:5], vcc
	s_cbranch_execz .LBB1301_143
.LBB1301_174:
	v_cmp_ge_u32_e32 vcc, v35, v18
                                        ; implicit-def: $vgpr14_vgpr15
	s_and_saveexec_b64 s[6:7], vcc
	s_xor_b64 s[6:7], exec, s[6:7]
	s_cbranch_execz .LBB1301_176
; %bb.175:
	s_waitcnt lgkmcnt(6)
	v_xor_b32_e32 v12, 0xfffffeff, v0
	v_ashrrev_i32_e32 v15, 31, v12
	v_add_co_u32_e32 v14, vcc, v1, v12
	v_addc_co_u32_e32 v15, vcc, v19, v15, vcc
                                        ; implicit-def: $vgpr35
.LBB1301_176:
	s_andn2_saveexec_b64 s[6:7], s[6:7]
; %bb.177:
	v_add_co_u32_e32 v14, vcc, v16, v35
	v_addc_co_u32_e32 v15, vcc, 0, v17, vcc
; %bb.178:
	s_or_b64 exec, exec, s[6:7]
	v_lshlrev_b64 v[14:15], 2, v[14:15]
	s_waitcnt lgkmcnt(6)
	v_mov_b32_e32 v12, s25
	v_add_co_u32_e32 v14, vcc, s24, v14
	v_addc_co_u32_e32 v15, vcc, v12, v15, vcc
	global_store_dword v[14:15], v13, off
	s_or_b64 exec, exec, s[4:5]
	v_cmp_gt_u32_e32 vcc, s33, v33
	s_and_saveexec_b64 s[4:5], vcc
	s_cbranch_execnz .LBB1301_144
.LBB1301_179:
	s_or_b64 exec, exec, s[4:5]
	v_cmp_gt_u32_e32 vcc, s33, v32
	s_and_saveexec_b64 s[4:5], vcc
	s_cbranch_execz .LBB1301_149
.LBB1301_180:
	v_cmp_ge_u32_e32 vcc, v32, v18
                                        ; implicit-def: $vgpr12_vgpr13
	s_and_saveexec_b64 s[6:7], vcc
	s_xor_b64 s[6:7], exec, s[6:7]
	s_cbranch_execz .LBB1301_182
; %bb.181:
	s_waitcnt lgkmcnt(5)
	v_xor_b32_e32 v10, 0xfffffcff, v0
	v_ashrrev_i32_e32 v13, 31, v10
	v_add_co_u32_e32 v12, vcc, v1, v10
	v_addc_co_u32_e32 v13, vcc, v19, v13, vcc
                                        ; implicit-def: $vgpr32
.LBB1301_182:
	s_andn2_saveexec_b64 s[6:7], s[6:7]
	s_cbranch_execz .LBB1301_184
; %bb.183:
	s_waitcnt lgkmcnt(6)
	v_add_co_u32_e32 v12, vcc, v16, v32
	v_addc_co_u32_e32 v13, vcc, 0, v17, vcc
.LBB1301_184:
	s_or_b64 exec, exec, s[6:7]
	s_waitcnt lgkmcnt(6)
	v_lshlrev_b64 v[12:13], 2, v[12:13]
	s_waitcnt lgkmcnt(5)
	v_mov_b32_e32 v10, s25
	v_add_co_u32_e32 v12, vcc, s24, v12
	v_addc_co_u32_e32 v13, vcc, v10, v13, vcc
	global_store_dword v[12:13], v11, off
	s_or_b64 exec, exec, s[4:5]
	v_cmp_gt_u32_e32 vcc, s33, v31
	s_and_saveexec_b64 s[4:5], vcc
	s_cbranch_execnz .LBB1301_150
.LBB1301_185:
	s_or_b64 exec, exec, s[4:5]
	v_cmp_gt_u32_e32 vcc, s33, v30
	s_and_saveexec_b64 s[4:5], vcc
	s_cbranch_execz .LBB1301_155
.LBB1301_186:
	v_cmp_ge_u32_e32 vcc, v30, v18
                                        ; implicit-def: $vgpr10_vgpr11
	s_and_saveexec_b64 s[6:7], vcc
	s_xor_b64 s[6:7], exec, s[6:7]
	s_cbranch_execz .LBB1301_188
; %bb.187:
	s_waitcnt lgkmcnt(4)
	v_xor_b32_e32 v8, 0xfffffaff, v0
	v_ashrrev_i32_e32 v11, 31, v8
	v_add_co_u32_e32 v10, vcc, v1, v8
	v_addc_co_u32_e32 v11, vcc, v19, v11, vcc
                                        ; implicit-def: $vgpr30
.LBB1301_188:
	s_andn2_saveexec_b64 s[6:7], s[6:7]
	s_cbranch_execz .LBB1301_190
; %bb.189:
	s_waitcnt lgkmcnt(5)
	v_add_co_u32_e32 v10, vcc, v16, v30
	v_addc_co_u32_e32 v11, vcc, 0, v17, vcc
.LBB1301_190:
	s_or_b64 exec, exec, s[6:7]
	s_waitcnt lgkmcnt(5)
	v_lshlrev_b64 v[10:11], 2, v[10:11]
	s_waitcnt lgkmcnt(4)
	v_mov_b32_e32 v8, s25
	v_add_co_u32_e32 v10, vcc, s24, v10
	v_addc_co_u32_e32 v11, vcc, v8, v11, vcc
	global_store_dword v[10:11], v9, off
	s_or_b64 exec, exec, s[4:5]
	v_cmp_gt_u32_e32 vcc, s33, v29
	s_and_saveexec_b64 s[4:5], vcc
	s_cbranch_execnz .LBB1301_156
.LBB1301_191:
	s_or_b64 exec, exec, s[4:5]
	v_cmp_gt_u32_e32 vcc, s33, v28
	s_and_saveexec_b64 s[4:5], vcc
	s_cbranch_execz .LBB1301_161
.LBB1301_192:
	v_cmp_ge_u32_e32 vcc, v28, v18
                                        ; implicit-def: $vgpr8_vgpr9
	s_and_saveexec_b64 s[6:7], vcc
	s_xor_b64 s[6:7], exec, s[6:7]
	s_cbranch_execz .LBB1301_194
; %bb.193:
	s_waitcnt lgkmcnt(3)
	v_xor_b32_e32 v6, 0xfffff8ff, v0
	v_ashrrev_i32_e32 v9, 31, v6
	v_add_co_u32_e32 v8, vcc, v1, v6
	v_addc_co_u32_e32 v9, vcc, v19, v9, vcc
                                        ; implicit-def: $vgpr28
.LBB1301_194:
	s_andn2_saveexec_b64 s[6:7], s[6:7]
	s_cbranch_execz .LBB1301_196
; %bb.195:
	s_waitcnt lgkmcnt(4)
	v_add_co_u32_e32 v8, vcc, v16, v28
	v_addc_co_u32_e32 v9, vcc, 0, v17, vcc
.LBB1301_196:
	s_or_b64 exec, exec, s[6:7]
	s_waitcnt lgkmcnt(4)
	v_lshlrev_b64 v[8:9], 2, v[8:9]
	s_waitcnt lgkmcnt(3)
	v_mov_b32_e32 v6, s25
	v_add_co_u32_e32 v8, vcc, s24, v8
	v_addc_co_u32_e32 v9, vcc, v6, v9, vcc
	global_store_dword v[8:9], v7, off
	s_or_b64 exec, exec, s[4:5]
	v_cmp_gt_u32_e32 vcc, s33, v27
	s_and_saveexec_b64 s[4:5], vcc
	s_cbranch_execnz .LBB1301_162
.LBB1301_197:
	s_or_b64 exec, exec, s[4:5]
	v_cmp_gt_u32_e32 vcc, s33, v26
	s_and_saveexec_b64 s[4:5], vcc
	s_cbranch_execz .LBB1301_167
.LBB1301_198:
	v_cmp_ge_u32_e32 vcc, v26, v18
                                        ; implicit-def: $vgpr6_vgpr7
	s_and_saveexec_b64 s[6:7], vcc
	s_xor_b64 s[6:7], exec, s[6:7]
	s_cbranch_execz .LBB1301_200
; %bb.199:
	s_waitcnt lgkmcnt(2)
	v_xor_b32_e32 v4, 0xfffff6ff, v0
	v_ashrrev_i32_e32 v7, 31, v4
	v_add_co_u32_e32 v6, vcc, v1, v4
	v_addc_co_u32_e32 v7, vcc, v19, v7, vcc
                                        ; implicit-def: $vgpr26
.LBB1301_200:
	s_andn2_saveexec_b64 s[6:7], s[6:7]
	s_cbranch_execz .LBB1301_202
; %bb.201:
	s_waitcnt lgkmcnt(3)
	v_add_co_u32_e32 v6, vcc, v16, v26
	v_addc_co_u32_e32 v7, vcc, 0, v17, vcc
.LBB1301_202:
	s_or_b64 exec, exec, s[6:7]
	s_waitcnt lgkmcnt(3)
	v_lshlrev_b64 v[6:7], 2, v[6:7]
	s_waitcnt lgkmcnt(2)
	v_mov_b32_e32 v4, s25
	v_add_co_u32_e32 v6, vcc, s24, v6
	v_addc_co_u32_e32 v7, vcc, v4, v7, vcc
	global_store_dword v[6:7], v5, off
	s_or_b64 exec, exec, s[4:5]
	v_cmp_gt_u32_e32 vcc, s33, v25
	s_and_saveexec_b64 s[4:5], vcc
	s_cbranch_execnz .LBB1301_168
.LBB1301_203:
	s_or_b64 exec, exec, s[4:5]
	v_cmp_gt_u32_e32 vcc, s33, v24
	s_and_saveexec_b64 s[4:5], vcc
	s_cbranch_execz .LBB1301_209
.LBB1301_204:
	v_cmp_ge_u32_e32 vcc, v24, v18
                                        ; implicit-def: $vgpr4_vgpr5
	s_and_saveexec_b64 s[6:7], vcc
	s_xor_b64 s[6:7], exec, s[6:7]
	s_cbranch_execz .LBB1301_206
; %bb.205:
	s_waitcnt lgkmcnt(1)
	v_xor_b32_e32 v2, 0xfffff4ff, v0
	v_ashrrev_i32_e32 v5, 31, v2
	v_add_co_u32_e32 v4, vcc, v1, v2
	v_addc_co_u32_e32 v5, vcc, v19, v5, vcc
                                        ; implicit-def: $vgpr24
.LBB1301_206:
	s_andn2_saveexec_b64 s[6:7], s[6:7]
	s_cbranch_execz .LBB1301_208
; %bb.207:
	s_waitcnt lgkmcnt(2)
	v_add_co_u32_e32 v4, vcc, v16, v24
	v_addc_co_u32_e32 v5, vcc, 0, v17, vcc
.LBB1301_208:
	s_or_b64 exec, exec, s[6:7]
	s_waitcnt lgkmcnt(2)
	v_lshlrev_b64 v[4:5], 2, v[4:5]
	s_waitcnt lgkmcnt(1)
	v_mov_b32_e32 v2, s25
	v_add_co_u32_e32 v4, vcc, s24, v4
	v_addc_co_u32_e32 v5, vcc, v2, v5, vcc
	global_store_dword v[4:5], v3, off
.LBB1301_209:
	s_or_b64 exec, exec, s[4:5]
	v_cmp_gt_u32_e32 vcc, s33, v23
                                        ; implicit-def: $vgpr14_vgpr15
	s_and_saveexec_b64 s[4:5], vcc
	s_cbranch_execz .LBB1301_215
; %bb.210:
	v_cmp_ge_u32_e32 vcc, v23, v18
                                        ; implicit-def: $vgpr14_vgpr15
	s_and_saveexec_b64 s[6:7], vcc
	s_xor_b64 s[6:7], exec, s[6:7]
	s_cbranch_execz .LBB1301_212
; %bb.211:
	v_xor_b32_e32 v0, 0xfffff3ff, v0
	s_waitcnt lgkmcnt(1)
	v_ashrrev_i32_e32 v2, 31, v0
	v_add_co_u32_e32 v14, vcc, v1, v0
	v_addc_co_u32_e32 v15, vcc, v19, v2, vcc
                                        ; implicit-def: $vgpr23
.LBB1301_212:
	s_andn2_saveexec_b64 s[6:7], s[6:7]
; %bb.213:
	v_add_co_u32_e32 v14, vcc, v16, v23
	v_addc_co_u32_e32 v15, vcc, 0, v17, vcc
; %bb.214:
	s_or_b64 exec, exec, s[6:7]
	s_or_b64 s[2:3], s[2:3], exec
.LBB1301_215:
	s_or_b64 exec, exec, s[4:5]
	s_and_saveexec_b64 s[4:5], s[2:3]
	s_cbranch_execnz .LBB1301_134
.LBB1301_216:
	s_or_b64 exec, exec, s[4:5]
	s_and_b64 s[0:1], s[0:1], s[22:23]
	s_and_saveexec_b64 s[2:3], s[0:1]
	s_cbranch_execz .LBB1301_135
.LBB1301_217:
	v_add_co_u32_e32 v0, vcc, v16, v18
	s_waitcnt lgkmcnt(1)
	v_mov_b32_e32 v2, 0
	v_addc_co_u32_e32 v1, vcc, 0, v17, vcc
	global_store_dwordx2 v2, v[0:1], s[20:21]
	s_endpgm
	.section	.rodata,"a",@progbits
	.p2align	6, 0x0
	.amdhsa_kernel _ZN7rocprim17ROCPRIM_400000_NS6detail17trampoline_kernelINS0_13select_configILj256ELj13ELNS0_17block_load_methodE3ELS4_3ELS4_3ELNS0_20block_scan_algorithmE0ELj4294967295EEENS1_25partition_config_selectorILNS1_17partition_subalgoE3EjNS0_10empty_typeEbEEZZNS1_14partition_implILS8_3ELb0ES6_jNS0_17counting_iteratorIjlEEPS9_SE_NS0_5tupleIJPjSE_EEENSF_IJSE_SE_EEES9_SG_JZNS1_25segmented_radix_sort_implINS0_14default_configELb1EPKfPfPKlPlN2at6native12_GLOBAL__N_18offset_tEEE10hipError_tPvRmT1_PNSt15iterator_traitsISY_E10value_typeET2_T3_PNSZ_IS14_E10value_typeET4_jRbjT5_S1A_jjP12ihipStream_tbEUljE_EEESV_SW_SX_S14_S18_S1A_T6_T7_T9_mT8_S1C_bDpT10_ENKUlT_T0_E_clISt17integral_constantIbLb1EES1P_EEDaS1K_S1L_EUlS1K_E_NS1_11comp_targetILNS1_3genE4ELNS1_11target_archE910ELNS1_3gpuE8ELNS1_3repE0EEENS1_30default_config_static_selectorELNS0_4arch9wavefront6targetE1EEEvSY_
		.amdhsa_group_segment_fixed_size 13324
		.amdhsa_private_segment_fixed_size 0
		.amdhsa_kernarg_size 152
		.amdhsa_user_sgpr_count 6
		.amdhsa_user_sgpr_private_segment_buffer 1
		.amdhsa_user_sgpr_dispatch_ptr 0
		.amdhsa_user_sgpr_queue_ptr 0
		.amdhsa_user_sgpr_kernarg_segment_ptr 1
		.amdhsa_user_sgpr_dispatch_id 0
		.amdhsa_user_sgpr_flat_scratch_init 0
		.amdhsa_user_sgpr_kernarg_preload_length 0
		.amdhsa_user_sgpr_kernarg_preload_offset 0
		.amdhsa_user_sgpr_private_segment_size 0
		.amdhsa_uses_dynamic_stack 0
		.amdhsa_system_sgpr_private_segment_wavefront_offset 0
		.amdhsa_system_sgpr_workgroup_id_x 1
		.amdhsa_system_sgpr_workgroup_id_y 0
		.amdhsa_system_sgpr_workgroup_id_z 0
		.amdhsa_system_sgpr_workgroup_info 0
		.amdhsa_system_vgpr_workitem_id 0
		.amdhsa_next_free_vgpr 64
		.amdhsa_next_free_sgpr 44
		.amdhsa_accum_offset 64
		.amdhsa_reserve_vcc 1
		.amdhsa_reserve_flat_scratch 0
		.amdhsa_float_round_mode_32 0
		.amdhsa_float_round_mode_16_64 0
		.amdhsa_float_denorm_mode_32 3
		.amdhsa_float_denorm_mode_16_64 3
		.amdhsa_dx10_clamp 1
		.amdhsa_ieee_mode 1
		.amdhsa_fp16_overflow 0
		.amdhsa_tg_split 0
		.amdhsa_exception_fp_ieee_invalid_op 0
		.amdhsa_exception_fp_denorm_src 0
		.amdhsa_exception_fp_ieee_div_zero 0
		.amdhsa_exception_fp_ieee_overflow 0
		.amdhsa_exception_fp_ieee_underflow 0
		.amdhsa_exception_fp_ieee_inexact 0
		.amdhsa_exception_int_div_zero 0
	.end_amdhsa_kernel
	.section	.text._ZN7rocprim17ROCPRIM_400000_NS6detail17trampoline_kernelINS0_13select_configILj256ELj13ELNS0_17block_load_methodE3ELS4_3ELS4_3ELNS0_20block_scan_algorithmE0ELj4294967295EEENS1_25partition_config_selectorILNS1_17partition_subalgoE3EjNS0_10empty_typeEbEEZZNS1_14partition_implILS8_3ELb0ES6_jNS0_17counting_iteratorIjlEEPS9_SE_NS0_5tupleIJPjSE_EEENSF_IJSE_SE_EEES9_SG_JZNS1_25segmented_radix_sort_implINS0_14default_configELb1EPKfPfPKlPlN2at6native12_GLOBAL__N_18offset_tEEE10hipError_tPvRmT1_PNSt15iterator_traitsISY_E10value_typeET2_T3_PNSZ_IS14_E10value_typeET4_jRbjT5_S1A_jjP12ihipStream_tbEUljE_EEESV_SW_SX_S14_S18_S1A_T6_T7_T9_mT8_S1C_bDpT10_ENKUlT_T0_E_clISt17integral_constantIbLb1EES1P_EEDaS1K_S1L_EUlS1K_E_NS1_11comp_targetILNS1_3genE4ELNS1_11target_archE910ELNS1_3gpuE8ELNS1_3repE0EEENS1_30default_config_static_selectorELNS0_4arch9wavefront6targetE1EEEvSY_,"axG",@progbits,_ZN7rocprim17ROCPRIM_400000_NS6detail17trampoline_kernelINS0_13select_configILj256ELj13ELNS0_17block_load_methodE3ELS4_3ELS4_3ELNS0_20block_scan_algorithmE0ELj4294967295EEENS1_25partition_config_selectorILNS1_17partition_subalgoE3EjNS0_10empty_typeEbEEZZNS1_14partition_implILS8_3ELb0ES6_jNS0_17counting_iteratorIjlEEPS9_SE_NS0_5tupleIJPjSE_EEENSF_IJSE_SE_EEES9_SG_JZNS1_25segmented_radix_sort_implINS0_14default_configELb1EPKfPfPKlPlN2at6native12_GLOBAL__N_18offset_tEEE10hipError_tPvRmT1_PNSt15iterator_traitsISY_E10value_typeET2_T3_PNSZ_IS14_E10value_typeET4_jRbjT5_S1A_jjP12ihipStream_tbEUljE_EEESV_SW_SX_S14_S18_S1A_T6_T7_T9_mT8_S1C_bDpT10_ENKUlT_T0_E_clISt17integral_constantIbLb1EES1P_EEDaS1K_S1L_EUlS1K_E_NS1_11comp_targetILNS1_3genE4ELNS1_11target_archE910ELNS1_3gpuE8ELNS1_3repE0EEENS1_30default_config_static_selectorELNS0_4arch9wavefront6targetE1EEEvSY_,comdat
.Lfunc_end1301:
	.size	_ZN7rocprim17ROCPRIM_400000_NS6detail17trampoline_kernelINS0_13select_configILj256ELj13ELNS0_17block_load_methodE3ELS4_3ELS4_3ELNS0_20block_scan_algorithmE0ELj4294967295EEENS1_25partition_config_selectorILNS1_17partition_subalgoE3EjNS0_10empty_typeEbEEZZNS1_14partition_implILS8_3ELb0ES6_jNS0_17counting_iteratorIjlEEPS9_SE_NS0_5tupleIJPjSE_EEENSF_IJSE_SE_EEES9_SG_JZNS1_25segmented_radix_sort_implINS0_14default_configELb1EPKfPfPKlPlN2at6native12_GLOBAL__N_18offset_tEEE10hipError_tPvRmT1_PNSt15iterator_traitsISY_E10value_typeET2_T3_PNSZ_IS14_E10value_typeET4_jRbjT5_S1A_jjP12ihipStream_tbEUljE_EEESV_SW_SX_S14_S18_S1A_T6_T7_T9_mT8_S1C_bDpT10_ENKUlT_T0_E_clISt17integral_constantIbLb1EES1P_EEDaS1K_S1L_EUlS1K_E_NS1_11comp_targetILNS1_3genE4ELNS1_11target_archE910ELNS1_3gpuE8ELNS1_3repE0EEENS1_30default_config_static_selectorELNS0_4arch9wavefront6targetE1EEEvSY_, .Lfunc_end1301-_ZN7rocprim17ROCPRIM_400000_NS6detail17trampoline_kernelINS0_13select_configILj256ELj13ELNS0_17block_load_methodE3ELS4_3ELS4_3ELNS0_20block_scan_algorithmE0ELj4294967295EEENS1_25partition_config_selectorILNS1_17partition_subalgoE3EjNS0_10empty_typeEbEEZZNS1_14partition_implILS8_3ELb0ES6_jNS0_17counting_iteratorIjlEEPS9_SE_NS0_5tupleIJPjSE_EEENSF_IJSE_SE_EEES9_SG_JZNS1_25segmented_radix_sort_implINS0_14default_configELb1EPKfPfPKlPlN2at6native12_GLOBAL__N_18offset_tEEE10hipError_tPvRmT1_PNSt15iterator_traitsISY_E10value_typeET2_T3_PNSZ_IS14_E10value_typeET4_jRbjT5_S1A_jjP12ihipStream_tbEUljE_EEESV_SW_SX_S14_S18_S1A_T6_T7_T9_mT8_S1C_bDpT10_ENKUlT_T0_E_clISt17integral_constantIbLb1EES1P_EEDaS1K_S1L_EUlS1K_E_NS1_11comp_targetILNS1_3genE4ELNS1_11target_archE910ELNS1_3gpuE8ELNS1_3repE0EEENS1_30default_config_static_selectorELNS0_4arch9wavefront6targetE1EEEvSY_
                                        ; -- End function
	.section	.AMDGPU.csdata,"",@progbits
; Kernel info:
; codeLenInByte = 7896
; NumSgprs: 48
; NumVgprs: 64
; NumAgprs: 0
; TotalNumVgprs: 64
; ScratchSize: 0
; MemoryBound: 0
; FloatMode: 240
; IeeeMode: 1
; LDSByteSize: 13324 bytes/workgroup (compile time only)
; SGPRBlocks: 5
; VGPRBlocks: 7
; NumSGPRsForWavesPerEU: 48
; NumVGPRsForWavesPerEU: 64
; AccumOffset: 64
; Occupancy: 4
; WaveLimiterHint : 0
; COMPUTE_PGM_RSRC2:SCRATCH_EN: 0
; COMPUTE_PGM_RSRC2:USER_SGPR: 6
; COMPUTE_PGM_RSRC2:TRAP_HANDLER: 0
; COMPUTE_PGM_RSRC2:TGID_X_EN: 1
; COMPUTE_PGM_RSRC2:TGID_Y_EN: 0
; COMPUTE_PGM_RSRC2:TGID_Z_EN: 0
; COMPUTE_PGM_RSRC2:TIDIG_COMP_CNT: 0
; COMPUTE_PGM_RSRC3_GFX90A:ACCUM_OFFSET: 15
; COMPUTE_PGM_RSRC3_GFX90A:TG_SPLIT: 0
	.section	.text._ZN7rocprim17ROCPRIM_400000_NS6detail17trampoline_kernelINS0_13select_configILj256ELj13ELNS0_17block_load_methodE3ELS4_3ELS4_3ELNS0_20block_scan_algorithmE0ELj4294967295EEENS1_25partition_config_selectorILNS1_17partition_subalgoE3EjNS0_10empty_typeEbEEZZNS1_14partition_implILS8_3ELb0ES6_jNS0_17counting_iteratorIjlEEPS9_SE_NS0_5tupleIJPjSE_EEENSF_IJSE_SE_EEES9_SG_JZNS1_25segmented_radix_sort_implINS0_14default_configELb1EPKfPfPKlPlN2at6native12_GLOBAL__N_18offset_tEEE10hipError_tPvRmT1_PNSt15iterator_traitsISY_E10value_typeET2_T3_PNSZ_IS14_E10value_typeET4_jRbjT5_S1A_jjP12ihipStream_tbEUljE_EEESV_SW_SX_S14_S18_S1A_T6_T7_T9_mT8_S1C_bDpT10_ENKUlT_T0_E_clISt17integral_constantIbLb1EES1P_EEDaS1K_S1L_EUlS1K_E_NS1_11comp_targetILNS1_3genE3ELNS1_11target_archE908ELNS1_3gpuE7ELNS1_3repE0EEENS1_30default_config_static_selectorELNS0_4arch9wavefront6targetE1EEEvSY_,"axG",@progbits,_ZN7rocprim17ROCPRIM_400000_NS6detail17trampoline_kernelINS0_13select_configILj256ELj13ELNS0_17block_load_methodE3ELS4_3ELS4_3ELNS0_20block_scan_algorithmE0ELj4294967295EEENS1_25partition_config_selectorILNS1_17partition_subalgoE3EjNS0_10empty_typeEbEEZZNS1_14partition_implILS8_3ELb0ES6_jNS0_17counting_iteratorIjlEEPS9_SE_NS0_5tupleIJPjSE_EEENSF_IJSE_SE_EEES9_SG_JZNS1_25segmented_radix_sort_implINS0_14default_configELb1EPKfPfPKlPlN2at6native12_GLOBAL__N_18offset_tEEE10hipError_tPvRmT1_PNSt15iterator_traitsISY_E10value_typeET2_T3_PNSZ_IS14_E10value_typeET4_jRbjT5_S1A_jjP12ihipStream_tbEUljE_EEESV_SW_SX_S14_S18_S1A_T6_T7_T9_mT8_S1C_bDpT10_ENKUlT_T0_E_clISt17integral_constantIbLb1EES1P_EEDaS1K_S1L_EUlS1K_E_NS1_11comp_targetILNS1_3genE3ELNS1_11target_archE908ELNS1_3gpuE7ELNS1_3repE0EEENS1_30default_config_static_selectorELNS0_4arch9wavefront6targetE1EEEvSY_,comdat
	.globl	_ZN7rocprim17ROCPRIM_400000_NS6detail17trampoline_kernelINS0_13select_configILj256ELj13ELNS0_17block_load_methodE3ELS4_3ELS4_3ELNS0_20block_scan_algorithmE0ELj4294967295EEENS1_25partition_config_selectorILNS1_17partition_subalgoE3EjNS0_10empty_typeEbEEZZNS1_14partition_implILS8_3ELb0ES6_jNS0_17counting_iteratorIjlEEPS9_SE_NS0_5tupleIJPjSE_EEENSF_IJSE_SE_EEES9_SG_JZNS1_25segmented_radix_sort_implINS0_14default_configELb1EPKfPfPKlPlN2at6native12_GLOBAL__N_18offset_tEEE10hipError_tPvRmT1_PNSt15iterator_traitsISY_E10value_typeET2_T3_PNSZ_IS14_E10value_typeET4_jRbjT5_S1A_jjP12ihipStream_tbEUljE_EEESV_SW_SX_S14_S18_S1A_T6_T7_T9_mT8_S1C_bDpT10_ENKUlT_T0_E_clISt17integral_constantIbLb1EES1P_EEDaS1K_S1L_EUlS1K_E_NS1_11comp_targetILNS1_3genE3ELNS1_11target_archE908ELNS1_3gpuE7ELNS1_3repE0EEENS1_30default_config_static_selectorELNS0_4arch9wavefront6targetE1EEEvSY_ ; -- Begin function _ZN7rocprim17ROCPRIM_400000_NS6detail17trampoline_kernelINS0_13select_configILj256ELj13ELNS0_17block_load_methodE3ELS4_3ELS4_3ELNS0_20block_scan_algorithmE0ELj4294967295EEENS1_25partition_config_selectorILNS1_17partition_subalgoE3EjNS0_10empty_typeEbEEZZNS1_14partition_implILS8_3ELb0ES6_jNS0_17counting_iteratorIjlEEPS9_SE_NS0_5tupleIJPjSE_EEENSF_IJSE_SE_EEES9_SG_JZNS1_25segmented_radix_sort_implINS0_14default_configELb1EPKfPfPKlPlN2at6native12_GLOBAL__N_18offset_tEEE10hipError_tPvRmT1_PNSt15iterator_traitsISY_E10value_typeET2_T3_PNSZ_IS14_E10value_typeET4_jRbjT5_S1A_jjP12ihipStream_tbEUljE_EEESV_SW_SX_S14_S18_S1A_T6_T7_T9_mT8_S1C_bDpT10_ENKUlT_T0_E_clISt17integral_constantIbLb1EES1P_EEDaS1K_S1L_EUlS1K_E_NS1_11comp_targetILNS1_3genE3ELNS1_11target_archE908ELNS1_3gpuE7ELNS1_3repE0EEENS1_30default_config_static_selectorELNS0_4arch9wavefront6targetE1EEEvSY_
	.p2align	8
	.type	_ZN7rocprim17ROCPRIM_400000_NS6detail17trampoline_kernelINS0_13select_configILj256ELj13ELNS0_17block_load_methodE3ELS4_3ELS4_3ELNS0_20block_scan_algorithmE0ELj4294967295EEENS1_25partition_config_selectorILNS1_17partition_subalgoE3EjNS0_10empty_typeEbEEZZNS1_14partition_implILS8_3ELb0ES6_jNS0_17counting_iteratorIjlEEPS9_SE_NS0_5tupleIJPjSE_EEENSF_IJSE_SE_EEES9_SG_JZNS1_25segmented_radix_sort_implINS0_14default_configELb1EPKfPfPKlPlN2at6native12_GLOBAL__N_18offset_tEEE10hipError_tPvRmT1_PNSt15iterator_traitsISY_E10value_typeET2_T3_PNSZ_IS14_E10value_typeET4_jRbjT5_S1A_jjP12ihipStream_tbEUljE_EEESV_SW_SX_S14_S18_S1A_T6_T7_T9_mT8_S1C_bDpT10_ENKUlT_T0_E_clISt17integral_constantIbLb1EES1P_EEDaS1K_S1L_EUlS1K_E_NS1_11comp_targetILNS1_3genE3ELNS1_11target_archE908ELNS1_3gpuE7ELNS1_3repE0EEENS1_30default_config_static_selectorELNS0_4arch9wavefront6targetE1EEEvSY_,@function
_ZN7rocprim17ROCPRIM_400000_NS6detail17trampoline_kernelINS0_13select_configILj256ELj13ELNS0_17block_load_methodE3ELS4_3ELS4_3ELNS0_20block_scan_algorithmE0ELj4294967295EEENS1_25partition_config_selectorILNS1_17partition_subalgoE3EjNS0_10empty_typeEbEEZZNS1_14partition_implILS8_3ELb0ES6_jNS0_17counting_iteratorIjlEEPS9_SE_NS0_5tupleIJPjSE_EEENSF_IJSE_SE_EEES9_SG_JZNS1_25segmented_radix_sort_implINS0_14default_configELb1EPKfPfPKlPlN2at6native12_GLOBAL__N_18offset_tEEE10hipError_tPvRmT1_PNSt15iterator_traitsISY_E10value_typeET2_T3_PNSZ_IS14_E10value_typeET4_jRbjT5_S1A_jjP12ihipStream_tbEUljE_EEESV_SW_SX_S14_S18_S1A_T6_T7_T9_mT8_S1C_bDpT10_ENKUlT_T0_E_clISt17integral_constantIbLb1EES1P_EEDaS1K_S1L_EUlS1K_E_NS1_11comp_targetILNS1_3genE3ELNS1_11target_archE908ELNS1_3gpuE7ELNS1_3repE0EEENS1_30default_config_static_selectorELNS0_4arch9wavefront6targetE1EEEvSY_: ; @_ZN7rocprim17ROCPRIM_400000_NS6detail17trampoline_kernelINS0_13select_configILj256ELj13ELNS0_17block_load_methodE3ELS4_3ELS4_3ELNS0_20block_scan_algorithmE0ELj4294967295EEENS1_25partition_config_selectorILNS1_17partition_subalgoE3EjNS0_10empty_typeEbEEZZNS1_14partition_implILS8_3ELb0ES6_jNS0_17counting_iteratorIjlEEPS9_SE_NS0_5tupleIJPjSE_EEENSF_IJSE_SE_EEES9_SG_JZNS1_25segmented_radix_sort_implINS0_14default_configELb1EPKfPfPKlPlN2at6native12_GLOBAL__N_18offset_tEEE10hipError_tPvRmT1_PNSt15iterator_traitsISY_E10value_typeET2_T3_PNSZ_IS14_E10value_typeET4_jRbjT5_S1A_jjP12ihipStream_tbEUljE_EEESV_SW_SX_S14_S18_S1A_T6_T7_T9_mT8_S1C_bDpT10_ENKUlT_T0_E_clISt17integral_constantIbLb1EES1P_EEDaS1K_S1L_EUlS1K_E_NS1_11comp_targetILNS1_3genE3ELNS1_11target_archE908ELNS1_3gpuE7ELNS1_3repE0EEENS1_30default_config_static_selectorELNS0_4arch9wavefront6targetE1EEEvSY_
; %bb.0:
	.section	.rodata,"a",@progbits
	.p2align	6, 0x0
	.amdhsa_kernel _ZN7rocprim17ROCPRIM_400000_NS6detail17trampoline_kernelINS0_13select_configILj256ELj13ELNS0_17block_load_methodE3ELS4_3ELS4_3ELNS0_20block_scan_algorithmE0ELj4294967295EEENS1_25partition_config_selectorILNS1_17partition_subalgoE3EjNS0_10empty_typeEbEEZZNS1_14partition_implILS8_3ELb0ES6_jNS0_17counting_iteratorIjlEEPS9_SE_NS0_5tupleIJPjSE_EEENSF_IJSE_SE_EEES9_SG_JZNS1_25segmented_radix_sort_implINS0_14default_configELb1EPKfPfPKlPlN2at6native12_GLOBAL__N_18offset_tEEE10hipError_tPvRmT1_PNSt15iterator_traitsISY_E10value_typeET2_T3_PNSZ_IS14_E10value_typeET4_jRbjT5_S1A_jjP12ihipStream_tbEUljE_EEESV_SW_SX_S14_S18_S1A_T6_T7_T9_mT8_S1C_bDpT10_ENKUlT_T0_E_clISt17integral_constantIbLb1EES1P_EEDaS1K_S1L_EUlS1K_E_NS1_11comp_targetILNS1_3genE3ELNS1_11target_archE908ELNS1_3gpuE7ELNS1_3repE0EEENS1_30default_config_static_selectorELNS0_4arch9wavefront6targetE1EEEvSY_
		.amdhsa_group_segment_fixed_size 0
		.amdhsa_private_segment_fixed_size 0
		.amdhsa_kernarg_size 152
		.amdhsa_user_sgpr_count 6
		.amdhsa_user_sgpr_private_segment_buffer 1
		.amdhsa_user_sgpr_dispatch_ptr 0
		.amdhsa_user_sgpr_queue_ptr 0
		.amdhsa_user_sgpr_kernarg_segment_ptr 1
		.amdhsa_user_sgpr_dispatch_id 0
		.amdhsa_user_sgpr_flat_scratch_init 0
		.amdhsa_user_sgpr_kernarg_preload_length 0
		.amdhsa_user_sgpr_kernarg_preload_offset 0
		.amdhsa_user_sgpr_private_segment_size 0
		.amdhsa_uses_dynamic_stack 0
		.amdhsa_system_sgpr_private_segment_wavefront_offset 0
		.amdhsa_system_sgpr_workgroup_id_x 1
		.amdhsa_system_sgpr_workgroup_id_y 0
		.amdhsa_system_sgpr_workgroup_id_z 0
		.amdhsa_system_sgpr_workgroup_info 0
		.amdhsa_system_vgpr_workitem_id 0
		.amdhsa_next_free_vgpr 1
		.amdhsa_next_free_sgpr 0
		.amdhsa_accum_offset 4
		.amdhsa_reserve_vcc 0
		.amdhsa_reserve_flat_scratch 0
		.amdhsa_float_round_mode_32 0
		.amdhsa_float_round_mode_16_64 0
		.amdhsa_float_denorm_mode_32 3
		.amdhsa_float_denorm_mode_16_64 3
		.amdhsa_dx10_clamp 1
		.amdhsa_ieee_mode 1
		.amdhsa_fp16_overflow 0
		.amdhsa_tg_split 0
		.amdhsa_exception_fp_ieee_invalid_op 0
		.amdhsa_exception_fp_denorm_src 0
		.amdhsa_exception_fp_ieee_div_zero 0
		.amdhsa_exception_fp_ieee_overflow 0
		.amdhsa_exception_fp_ieee_underflow 0
		.amdhsa_exception_fp_ieee_inexact 0
		.amdhsa_exception_int_div_zero 0
	.end_amdhsa_kernel
	.section	.text._ZN7rocprim17ROCPRIM_400000_NS6detail17trampoline_kernelINS0_13select_configILj256ELj13ELNS0_17block_load_methodE3ELS4_3ELS4_3ELNS0_20block_scan_algorithmE0ELj4294967295EEENS1_25partition_config_selectorILNS1_17partition_subalgoE3EjNS0_10empty_typeEbEEZZNS1_14partition_implILS8_3ELb0ES6_jNS0_17counting_iteratorIjlEEPS9_SE_NS0_5tupleIJPjSE_EEENSF_IJSE_SE_EEES9_SG_JZNS1_25segmented_radix_sort_implINS0_14default_configELb1EPKfPfPKlPlN2at6native12_GLOBAL__N_18offset_tEEE10hipError_tPvRmT1_PNSt15iterator_traitsISY_E10value_typeET2_T3_PNSZ_IS14_E10value_typeET4_jRbjT5_S1A_jjP12ihipStream_tbEUljE_EEESV_SW_SX_S14_S18_S1A_T6_T7_T9_mT8_S1C_bDpT10_ENKUlT_T0_E_clISt17integral_constantIbLb1EES1P_EEDaS1K_S1L_EUlS1K_E_NS1_11comp_targetILNS1_3genE3ELNS1_11target_archE908ELNS1_3gpuE7ELNS1_3repE0EEENS1_30default_config_static_selectorELNS0_4arch9wavefront6targetE1EEEvSY_,"axG",@progbits,_ZN7rocprim17ROCPRIM_400000_NS6detail17trampoline_kernelINS0_13select_configILj256ELj13ELNS0_17block_load_methodE3ELS4_3ELS4_3ELNS0_20block_scan_algorithmE0ELj4294967295EEENS1_25partition_config_selectorILNS1_17partition_subalgoE3EjNS0_10empty_typeEbEEZZNS1_14partition_implILS8_3ELb0ES6_jNS0_17counting_iteratorIjlEEPS9_SE_NS0_5tupleIJPjSE_EEENSF_IJSE_SE_EEES9_SG_JZNS1_25segmented_radix_sort_implINS0_14default_configELb1EPKfPfPKlPlN2at6native12_GLOBAL__N_18offset_tEEE10hipError_tPvRmT1_PNSt15iterator_traitsISY_E10value_typeET2_T3_PNSZ_IS14_E10value_typeET4_jRbjT5_S1A_jjP12ihipStream_tbEUljE_EEESV_SW_SX_S14_S18_S1A_T6_T7_T9_mT8_S1C_bDpT10_ENKUlT_T0_E_clISt17integral_constantIbLb1EES1P_EEDaS1K_S1L_EUlS1K_E_NS1_11comp_targetILNS1_3genE3ELNS1_11target_archE908ELNS1_3gpuE7ELNS1_3repE0EEENS1_30default_config_static_selectorELNS0_4arch9wavefront6targetE1EEEvSY_,comdat
.Lfunc_end1302:
	.size	_ZN7rocprim17ROCPRIM_400000_NS6detail17trampoline_kernelINS0_13select_configILj256ELj13ELNS0_17block_load_methodE3ELS4_3ELS4_3ELNS0_20block_scan_algorithmE0ELj4294967295EEENS1_25partition_config_selectorILNS1_17partition_subalgoE3EjNS0_10empty_typeEbEEZZNS1_14partition_implILS8_3ELb0ES6_jNS0_17counting_iteratorIjlEEPS9_SE_NS0_5tupleIJPjSE_EEENSF_IJSE_SE_EEES9_SG_JZNS1_25segmented_radix_sort_implINS0_14default_configELb1EPKfPfPKlPlN2at6native12_GLOBAL__N_18offset_tEEE10hipError_tPvRmT1_PNSt15iterator_traitsISY_E10value_typeET2_T3_PNSZ_IS14_E10value_typeET4_jRbjT5_S1A_jjP12ihipStream_tbEUljE_EEESV_SW_SX_S14_S18_S1A_T6_T7_T9_mT8_S1C_bDpT10_ENKUlT_T0_E_clISt17integral_constantIbLb1EES1P_EEDaS1K_S1L_EUlS1K_E_NS1_11comp_targetILNS1_3genE3ELNS1_11target_archE908ELNS1_3gpuE7ELNS1_3repE0EEENS1_30default_config_static_selectorELNS0_4arch9wavefront6targetE1EEEvSY_, .Lfunc_end1302-_ZN7rocprim17ROCPRIM_400000_NS6detail17trampoline_kernelINS0_13select_configILj256ELj13ELNS0_17block_load_methodE3ELS4_3ELS4_3ELNS0_20block_scan_algorithmE0ELj4294967295EEENS1_25partition_config_selectorILNS1_17partition_subalgoE3EjNS0_10empty_typeEbEEZZNS1_14partition_implILS8_3ELb0ES6_jNS0_17counting_iteratorIjlEEPS9_SE_NS0_5tupleIJPjSE_EEENSF_IJSE_SE_EEES9_SG_JZNS1_25segmented_radix_sort_implINS0_14default_configELb1EPKfPfPKlPlN2at6native12_GLOBAL__N_18offset_tEEE10hipError_tPvRmT1_PNSt15iterator_traitsISY_E10value_typeET2_T3_PNSZ_IS14_E10value_typeET4_jRbjT5_S1A_jjP12ihipStream_tbEUljE_EEESV_SW_SX_S14_S18_S1A_T6_T7_T9_mT8_S1C_bDpT10_ENKUlT_T0_E_clISt17integral_constantIbLb1EES1P_EEDaS1K_S1L_EUlS1K_E_NS1_11comp_targetILNS1_3genE3ELNS1_11target_archE908ELNS1_3gpuE7ELNS1_3repE0EEENS1_30default_config_static_selectorELNS0_4arch9wavefront6targetE1EEEvSY_
                                        ; -- End function
	.section	.AMDGPU.csdata,"",@progbits
; Kernel info:
; codeLenInByte = 0
; NumSgprs: 4
; NumVgprs: 0
; NumAgprs: 0
; TotalNumVgprs: 0
; ScratchSize: 0
; MemoryBound: 0
; FloatMode: 240
; IeeeMode: 1
; LDSByteSize: 0 bytes/workgroup (compile time only)
; SGPRBlocks: 0
; VGPRBlocks: 0
; NumSGPRsForWavesPerEU: 4
; NumVGPRsForWavesPerEU: 1
; AccumOffset: 4
; Occupancy: 8
; WaveLimiterHint : 0
; COMPUTE_PGM_RSRC2:SCRATCH_EN: 0
; COMPUTE_PGM_RSRC2:USER_SGPR: 6
; COMPUTE_PGM_RSRC2:TRAP_HANDLER: 0
; COMPUTE_PGM_RSRC2:TGID_X_EN: 1
; COMPUTE_PGM_RSRC2:TGID_Y_EN: 0
; COMPUTE_PGM_RSRC2:TGID_Z_EN: 0
; COMPUTE_PGM_RSRC2:TIDIG_COMP_CNT: 0
; COMPUTE_PGM_RSRC3_GFX90A:ACCUM_OFFSET: 0
; COMPUTE_PGM_RSRC3_GFX90A:TG_SPLIT: 0
	.section	.text._ZN7rocprim17ROCPRIM_400000_NS6detail17trampoline_kernelINS0_13select_configILj256ELj13ELNS0_17block_load_methodE3ELS4_3ELS4_3ELNS0_20block_scan_algorithmE0ELj4294967295EEENS1_25partition_config_selectorILNS1_17partition_subalgoE3EjNS0_10empty_typeEbEEZZNS1_14partition_implILS8_3ELb0ES6_jNS0_17counting_iteratorIjlEEPS9_SE_NS0_5tupleIJPjSE_EEENSF_IJSE_SE_EEES9_SG_JZNS1_25segmented_radix_sort_implINS0_14default_configELb1EPKfPfPKlPlN2at6native12_GLOBAL__N_18offset_tEEE10hipError_tPvRmT1_PNSt15iterator_traitsISY_E10value_typeET2_T3_PNSZ_IS14_E10value_typeET4_jRbjT5_S1A_jjP12ihipStream_tbEUljE_EEESV_SW_SX_S14_S18_S1A_T6_T7_T9_mT8_S1C_bDpT10_ENKUlT_T0_E_clISt17integral_constantIbLb1EES1P_EEDaS1K_S1L_EUlS1K_E_NS1_11comp_targetILNS1_3genE2ELNS1_11target_archE906ELNS1_3gpuE6ELNS1_3repE0EEENS1_30default_config_static_selectorELNS0_4arch9wavefront6targetE1EEEvSY_,"axG",@progbits,_ZN7rocprim17ROCPRIM_400000_NS6detail17trampoline_kernelINS0_13select_configILj256ELj13ELNS0_17block_load_methodE3ELS4_3ELS4_3ELNS0_20block_scan_algorithmE0ELj4294967295EEENS1_25partition_config_selectorILNS1_17partition_subalgoE3EjNS0_10empty_typeEbEEZZNS1_14partition_implILS8_3ELb0ES6_jNS0_17counting_iteratorIjlEEPS9_SE_NS0_5tupleIJPjSE_EEENSF_IJSE_SE_EEES9_SG_JZNS1_25segmented_radix_sort_implINS0_14default_configELb1EPKfPfPKlPlN2at6native12_GLOBAL__N_18offset_tEEE10hipError_tPvRmT1_PNSt15iterator_traitsISY_E10value_typeET2_T3_PNSZ_IS14_E10value_typeET4_jRbjT5_S1A_jjP12ihipStream_tbEUljE_EEESV_SW_SX_S14_S18_S1A_T6_T7_T9_mT8_S1C_bDpT10_ENKUlT_T0_E_clISt17integral_constantIbLb1EES1P_EEDaS1K_S1L_EUlS1K_E_NS1_11comp_targetILNS1_3genE2ELNS1_11target_archE906ELNS1_3gpuE6ELNS1_3repE0EEENS1_30default_config_static_selectorELNS0_4arch9wavefront6targetE1EEEvSY_,comdat
	.globl	_ZN7rocprim17ROCPRIM_400000_NS6detail17trampoline_kernelINS0_13select_configILj256ELj13ELNS0_17block_load_methodE3ELS4_3ELS4_3ELNS0_20block_scan_algorithmE0ELj4294967295EEENS1_25partition_config_selectorILNS1_17partition_subalgoE3EjNS0_10empty_typeEbEEZZNS1_14partition_implILS8_3ELb0ES6_jNS0_17counting_iteratorIjlEEPS9_SE_NS0_5tupleIJPjSE_EEENSF_IJSE_SE_EEES9_SG_JZNS1_25segmented_radix_sort_implINS0_14default_configELb1EPKfPfPKlPlN2at6native12_GLOBAL__N_18offset_tEEE10hipError_tPvRmT1_PNSt15iterator_traitsISY_E10value_typeET2_T3_PNSZ_IS14_E10value_typeET4_jRbjT5_S1A_jjP12ihipStream_tbEUljE_EEESV_SW_SX_S14_S18_S1A_T6_T7_T9_mT8_S1C_bDpT10_ENKUlT_T0_E_clISt17integral_constantIbLb1EES1P_EEDaS1K_S1L_EUlS1K_E_NS1_11comp_targetILNS1_3genE2ELNS1_11target_archE906ELNS1_3gpuE6ELNS1_3repE0EEENS1_30default_config_static_selectorELNS0_4arch9wavefront6targetE1EEEvSY_ ; -- Begin function _ZN7rocprim17ROCPRIM_400000_NS6detail17trampoline_kernelINS0_13select_configILj256ELj13ELNS0_17block_load_methodE3ELS4_3ELS4_3ELNS0_20block_scan_algorithmE0ELj4294967295EEENS1_25partition_config_selectorILNS1_17partition_subalgoE3EjNS0_10empty_typeEbEEZZNS1_14partition_implILS8_3ELb0ES6_jNS0_17counting_iteratorIjlEEPS9_SE_NS0_5tupleIJPjSE_EEENSF_IJSE_SE_EEES9_SG_JZNS1_25segmented_radix_sort_implINS0_14default_configELb1EPKfPfPKlPlN2at6native12_GLOBAL__N_18offset_tEEE10hipError_tPvRmT1_PNSt15iterator_traitsISY_E10value_typeET2_T3_PNSZ_IS14_E10value_typeET4_jRbjT5_S1A_jjP12ihipStream_tbEUljE_EEESV_SW_SX_S14_S18_S1A_T6_T7_T9_mT8_S1C_bDpT10_ENKUlT_T0_E_clISt17integral_constantIbLb1EES1P_EEDaS1K_S1L_EUlS1K_E_NS1_11comp_targetILNS1_3genE2ELNS1_11target_archE906ELNS1_3gpuE6ELNS1_3repE0EEENS1_30default_config_static_selectorELNS0_4arch9wavefront6targetE1EEEvSY_
	.p2align	8
	.type	_ZN7rocprim17ROCPRIM_400000_NS6detail17trampoline_kernelINS0_13select_configILj256ELj13ELNS0_17block_load_methodE3ELS4_3ELS4_3ELNS0_20block_scan_algorithmE0ELj4294967295EEENS1_25partition_config_selectorILNS1_17partition_subalgoE3EjNS0_10empty_typeEbEEZZNS1_14partition_implILS8_3ELb0ES6_jNS0_17counting_iteratorIjlEEPS9_SE_NS0_5tupleIJPjSE_EEENSF_IJSE_SE_EEES9_SG_JZNS1_25segmented_radix_sort_implINS0_14default_configELb1EPKfPfPKlPlN2at6native12_GLOBAL__N_18offset_tEEE10hipError_tPvRmT1_PNSt15iterator_traitsISY_E10value_typeET2_T3_PNSZ_IS14_E10value_typeET4_jRbjT5_S1A_jjP12ihipStream_tbEUljE_EEESV_SW_SX_S14_S18_S1A_T6_T7_T9_mT8_S1C_bDpT10_ENKUlT_T0_E_clISt17integral_constantIbLb1EES1P_EEDaS1K_S1L_EUlS1K_E_NS1_11comp_targetILNS1_3genE2ELNS1_11target_archE906ELNS1_3gpuE6ELNS1_3repE0EEENS1_30default_config_static_selectorELNS0_4arch9wavefront6targetE1EEEvSY_,@function
_ZN7rocprim17ROCPRIM_400000_NS6detail17trampoline_kernelINS0_13select_configILj256ELj13ELNS0_17block_load_methodE3ELS4_3ELS4_3ELNS0_20block_scan_algorithmE0ELj4294967295EEENS1_25partition_config_selectorILNS1_17partition_subalgoE3EjNS0_10empty_typeEbEEZZNS1_14partition_implILS8_3ELb0ES6_jNS0_17counting_iteratorIjlEEPS9_SE_NS0_5tupleIJPjSE_EEENSF_IJSE_SE_EEES9_SG_JZNS1_25segmented_radix_sort_implINS0_14default_configELb1EPKfPfPKlPlN2at6native12_GLOBAL__N_18offset_tEEE10hipError_tPvRmT1_PNSt15iterator_traitsISY_E10value_typeET2_T3_PNSZ_IS14_E10value_typeET4_jRbjT5_S1A_jjP12ihipStream_tbEUljE_EEESV_SW_SX_S14_S18_S1A_T6_T7_T9_mT8_S1C_bDpT10_ENKUlT_T0_E_clISt17integral_constantIbLb1EES1P_EEDaS1K_S1L_EUlS1K_E_NS1_11comp_targetILNS1_3genE2ELNS1_11target_archE906ELNS1_3gpuE6ELNS1_3repE0EEENS1_30default_config_static_selectorELNS0_4arch9wavefront6targetE1EEEvSY_: ; @_ZN7rocprim17ROCPRIM_400000_NS6detail17trampoline_kernelINS0_13select_configILj256ELj13ELNS0_17block_load_methodE3ELS4_3ELS4_3ELNS0_20block_scan_algorithmE0ELj4294967295EEENS1_25partition_config_selectorILNS1_17partition_subalgoE3EjNS0_10empty_typeEbEEZZNS1_14partition_implILS8_3ELb0ES6_jNS0_17counting_iteratorIjlEEPS9_SE_NS0_5tupleIJPjSE_EEENSF_IJSE_SE_EEES9_SG_JZNS1_25segmented_radix_sort_implINS0_14default_configELb1EPKfPfPKlPlN2at6native12_GLOBAL__N_18offset_tEEE10hipError_tPvRmT1_PNSt15iterator_traitsISY_E10value_typeET2_T3_PNSZ_IS14_E10value_typeET4_jRbjT5_S1A_jjP12ihipStream_tbEUljE_EEESV_SW_SX_S14_S18_S1A_T6_T7_T9_mT8_S1C_bDpT10_ENKUlT_T0_E_clISt17integral_constantIbLb1EES1P_EEDaS1K_S1L_EUlS1K_E_NS1_11comp_targetILNS1_3genE2ELNS1_11target_archE906ELNS1_3gpuE6ELNS1_3repE0EEENS1_30default_config_static_selectorELNS0_4arch9wavefront6targetE1EEEvSY_
; %bb.0:
	.section	.rodata,"a",@progbits
	.p2align	6, 0x0
	.amdhsa_kernel _ZN7rocprim17ROCPRIM_400000_NS6detail17trampoline_kernelINS0_13select_configILj256ELj13ELNS0_17block_load_methodE3ELS4_3ELS4_3ELNS0_20block_scan_algorithmE0ELj4294967295EEENS1_25partition_config_selectorILNS1_17partition_subalgoE3EjNS0_10empty_typeEbEEZZNS1_14partition_implILS8_3ELb0ES6_jNS0_17counting_iteratorIjlEEPS9_SE_NS0_5tupleIJPjSE_EEENSF_IJSE_SE_EEES9_SG_JZNS1_25segmented_radix_sort_implINS0_14default_configELb1EPKfPfPKlPlN2at6native12_GLOBAL__N_18offset_tEEE10hipError_tPvRmT1_PNSt15iterator_traitsISY_E10value_typeET2_T3_PNSZ_IS14_E10value_typeET4_jRbjT5_S1A_jjP12ihipStream_tbEUljE_EEESV_SW_SX_S14_S18_S1A_T6_T7_T9_mT8_S1C_bDpT10_ENKUlT_T0_E_clISt17integral_constantIbLb1EES1P_EEDaS1K_S1L_EUlS1K_E_NS1_11comp_targetILNS1_3genE2ELNS1_11target_archE906ELNS1_3gpuE6ELNS1_3repE0EEENS1_30default_config_static_selectorELNS0_4arch9wavefront6targetE1EEEvSY_
		.amdhsa_group_segment_fixed_size 0
		.amdhsa_private_segment_fixed_size 0
		.amdhsa_kernarg_size 152
		.amdhsa_user_sgpr_count 6
		.amdhsa_user_sgpr_private_segment_buffer 1
		.amdhsa_user_sgpr_dispatch_ptr 0
		.amdhsa_user_sgpr_queue_ptr 0
		.amdhsa_user_sgpr_kernarg_segment_ptr 1
		.amdhsa_user_sgpr_dispatch_id 0
		.amdhsa_user_sgpr_flat_scratch_init 0
		.amdhsa_user_sgpr_kernarg_preload_length 0
		.amdhsa_user_sgpr_kernarg_preload_offset 0
		.amdhsa_user_sgpr_private_segment_size 0
		.amdhsa_uses_dynamic_stack 0
		.amdhsa_system_sgpr_private_segment_wavefront_offset 0
		.amdhsa_system_sgpr_workgroup_id_x 1
		.amdhsa_system_sgpr_workgroup_id_y 0
		.amdhsa_system_sgpr_workgroup_id_z 0
		.amdhsa_system_sgpr_workgroup_info 0
		.amdhsa_system_vgpr_workitem_id 0
		.amdhsa_next_free_vgpr 1
		.amdhsa_next_free_sgpr 0
		.amdhsa_accum_offset 4
		.amdhsa_reserve_vcc 0
		.amdhsa_reserve_flat_scratch 0
		.amdhsa_float_round_mode_32 0
		.amdhsa_float_round_mode_16_64 0
		.amdhsa_float_denorm_mode_32 3
		.amdhsa_float_denorm_mode_16_64 3
		.amdhsa_dx10_clamp 1
		.amdhsa_ieee_mode 1
		.amdhsa_fp16_overflow 0
		.amdhsa_tg_split 0
		.amdhsa_exception_fp_ieee_invalid_op 0
		.amdhsa_exception_fp_denorm_src 0
		.amdhsa_exception_fp_ieee_div_zero 0
		.amdhsa_exception_fp_ieee_overflow 0
		.amdhsa_exception_fp_ieee_underflow 0
		.amdhsa_exception_fp_ieee_inexact 0
		.amdhsa_exception_int_div_zero 0
	.end_amdhsa_kernel
	.section	.text._ZN7rocprim17ROCPRIM_400000_NS6detail17trampoline_kernelINS0_13select_configILj256ELj13ELNS0_17block_load_methodE3ELS4_3ELS4_3ELNS0_20block_scan_algorithmE0ELj4294967295EEENS1_25partition_config_selectorILNS1_17partition_subalgoE3EjNS0_10empty_typeEbEEZZNS1_14partition_implILS8_3ELb0ES6_jNS0_17counting_iteratorIjlEEPS9_SE_NS0_5tupleIJPjSE_EEENSF_IJSE_SE_EEES9_SG_JZNS1_25segmented_radix_sort_implINS0_14default_configELb1EPKfPfPKlPlN2at6native12_GLOBAL__N_18offset_tEEE10hipError_tPvRmT1_PNSt15iterator_traitsISY_E10value_typeET2_T3_PNSZ_IS14_E10value_typeET4_jRbjT5_S1A_jjP12ihipStream_tbEUljE_EEESV_SW_SX_S14_S18_S1A_T6_T7_T9_mT8_S1C_bDpT10_ENKUlT_T0_E_clISt17integral_constantIbLb1EES1P_EEDaS1K_S1L_EUlS1K_E_NS1_11comp_targetILNS1_3genE2ELNS1_11target_archE906ELNS1_3gpuE6ELNS1_3repE0EEENS1_30default_config_static_selectorELNS0_4arch9wavefront6targetE1EEEvSY_,"axG",@progbits,_ZN7rocprim17ROCPRIM_400000_NS6detail17trampoline_kernelINS0_13select_configILj256ELj13ELNS0_17block_load_methodE3ELS4_3ELS4_3ELNS0_20block_scan_algorithmE0ELj4294967295EEENS1_25partition_config_selectorILNS1_17partition_subalgoE3EjNS0_10empty_typeEbEEZZNS1_14partition_implILS8_3ELb0ES6_jNS0_17counting_iteratorIjlEEPS9_SE_NS0_5tupleIJPjSE_EEENSF_IJSE_SE_EEES9_SG_JZNS1_25segmented_radix_sort_implINS0_14default_configELb1EPKfPfPKlPlN2at6native12_GLOBAL__N_18offset_tEEE10hipError_tPvRmT1_PNSt15iterator_traitsISY_E10value_typeET2_T3_PNSZ_IS14_E10value_typeET4_jRbjT5_S1A_jjP12ihipStream_tbEUljE_EEESV_SW_SX_S14_S18_S1A_T6_T7_T9_mT8_S1C_bDpT10_ENKUlT_T0_E_clISt17integral_constantIbLb1EES1P_EEDaS1K_S1L_EUlS1K_E_NS1_11comp_targetILNS1_3genE2ELNS1_11target_archE906ELNS1_3gpuE6ELNS1_3repE0EEENS1_30default_config_static_selectorELNS0_4arch9wavefront6targetE1EEEvSY_,comdat
.Lfunc_end1303:
	.size	_ZN7rocprim17ROCPRIM_400000_NS6detail17trampoline_kernelINS0_13select_configILj256ELj13ELNS0_17block_load_methodE3ELS4_3ELS4_3ELNS0_20block_scan_algorithmE0ELj4294967295EEENS1_25partition_config_selectorILNS1_17partition_subalgoE3EjNS0_10empty_typeEbEEZZNS1_14partition_implILS8_3ELb0ES6_jNS0_17counting_iteratorIjlEEPS9_SE_NS0_5tupleIJPjSE_EEENSF_IJSE_SE_EEES9_SG_JZNS1_25segmented_radix_sort_implINS0_14default_configELb1EPKfPfPKlPlN2at6native12_GLOBAL__N_18offset_tEEE10hipError_tPvRmT1_PNSt15iterator_traitsISY_E10value_typeET2_T3_PNSZ_IS14_E10value_typeET4_jRbjT5_S1A_jjP12ihipStream_tbEUljE_EEESV_SW_SX_S14_S18_S1A_T6_T7_T9_mT8_S1C_bDpT10_ENKUlT_T0_E_clISt17integral_constantIbLb1EES1P_EEDaS1K_S1L_EUlS1K_E_NS1_11comp_targetILNS1_3genE2ELNS1_11target_archE906ELNS1_3gpuE6ELNS1_3repE0EEENS1_30default_config_static_selectorELNS0_4arch9wavefront6targetE1EEEvSY_, .Lfunc_end1303-_ZN7rocprim17ROCPRIM_400000_NS6detail17trampoline_kernelINS0_13select_configILj256ELj13ELNS0_17block_load_methodE3ELS4_3ELS4_3ELNS0_20block_scan_algorithmE0ELj4294967295EEENS1_25partition_config_selectorILNS1_17partition_subalgoE3EjNS0_10empty_typeEbEEZZNS1_14partition_implILS8_3ELb0ES6_jNS0_17counting_iteratorIjlEEPS9_SE_NS0_5tupleIJPjSE_EEENSF_IJSE_SE_EEES9_SG_JZNS1_25segmented_radix_sort_implINS0_14default_configELb1EPKfPfPKlPlN2at6native12_GLOBAL__N_18offset_tEEE10hipError_tPvRmT1_PNSt15iterator_traitsISY_E10value_typeET2_T3_PNSZ_IS14_E10value_typeET4_jRbjT5_S1A_jjP12ihipStream_tbEUljE_EEESV_SW_SX_S14_S18_S1A_T6_T7_T9_mT8_S1C_bDpT10_ENKUlT_T0_E_clISt17integral_constantIbLb1EES1P_EEDaS1K_S1L_EUlS1K_E_NS1_11comp_targetILNS1_3genE2ELNS1_11target_archE906ELNS1_3gpuE6ELNS1_3repE0EEENS1_30default_config_static_selectorELNS0_4arch9wavefront6targetE1EEEvSY_
                                        ; -- End function
	.section	.AMDGPU.csdata,"",@progbits
; Kernel info:
; codeLenInByte = 0
; NumSgprs: 4
; NumVgprs: 0
; NumAgprs: 0
; TotalNumVgprs: 0
; ScratchSize: 0
; MemoryBound: 0
; FloatMode: 240
; IeeeMode: 1
; LDSByteSize: 0 bytes/workgroup (compile time only)
; SGPRBlocks: 0
; VGPRBlocks: 0
; NumSGPRsForWavesPerEU: 4
; NumVGPRsForWavesPerEU: 1
; AccumOffset: 4
; Occupancy: 8
; WaveLimiterHint : 0
; COMPUTE_PGM_RSRC2:SCRATCH_EN: 0
; COMPUTE_PGM_RSRC2:USER_SGPR: 6
; COMPUTE_PGM_RSRC2:TRAP_HANDLER: 0
; COMPUTE_PGM_RSRC2:TGID_X_EN: 1
; COMPUTE_PGM_RSRC2:TGID_Y_EN: 0
; COMPUTE_PGM_RSRC2:TGID_Z_EN: 0
; COMPUTE_PGM_RSRC2:TIDIG_COMP_CNT: 0
; COMPUTE_PGM_RSRC3_GFX90A:ACCUM_OFFSET: 0
; COMPUTE_PGM_RSRC3_GFX90A:TG_SPLIT: 0
	.section	.text._ZN7rocprim17ROCPRIM_400000_NS6detail17trampoline_kernelINS0_13select_configILj256ELj13ELNS0_17block_load_methodE3ELS4_3ELS4_3ELNS0_20block_scan_algorithmE0ELj4294967295EEENS1_25partition_config_selectorILNS1_17partition_subalgoE3EjNS0_10empty_typeEbEEZZNS1_14partition_implILS8_3ELb0ES6_jNS0_17counting_iteratorIjlEEPS9_SE_NS0_5tupleIJPjSE_EEENSF_IJSE_SE_EEES9_SG_JZNS1_25segmented_radix_sort_implINS0_14default_configELb1EPKfPfPKlPlN2at6native12_GLOBAL__N_18offset_tEEE10hipError_tPvRmT1_PNSt15iterator_traitsISY_E10value_typeET2_T3_PNSZ_IS14_E10value_typeET4_jRbjT5_S1A_jjP12ihipStream_tbEUljE_EEESV_SW_SX_S14_S18_S1A_T6_T7_T9_mT8_S1C_bDpT10_ENKUlT_T0_E_clISt17integral_constantIbLb1EES1P_EEDaS1K_S1L_EUlS1K_E_NS1_11comp_targetILNS1_3genE10ELNS1_11target_archE1200ELNS1_3gpuE4ELNS1_3repE0EEENS1_30default_config_static_selectorELNS0_4arch9wavefront6targetE1EEEvSY_,"axG",@progbits,_ZN7rocprim17ROCPRIM_400000_NS6detail17trampoline_kernelINS0_13select_configILj256ELj13ELNS0_17block_load_methodE3ELS4_3ELS4_3ELNS0_20block_scan_algorithmE0ELj4294967295EEENS1_25partition_config_selectorILNS1_17partition_subalgoE3EjNS0_10empty_typeEbEEZZNS1_14partition_implILS8_3ELb0ES6_jNS0_17counting_iteratorIjlEEPS9_SE_NS0_5tupleIJPjSE_EEENSF_IJSE_SE_EEES9_SG_JZNS1_25segmented_radix_sort_implINS0_14default_configELb1EPKfPfPKlPlN2at6native12_GLOBAL__N_18offset_tEEE10hipError_tPvRmT1_PNSt15iterator_traitsISY_E10value_typeET2_T3_PNSZ_IS14_E10value_typeET4_jRbjT5_S1A_jjP12ihipStream_tbEUljE_EEESV_SW_SX_S14_S18_S1A_T6_T7_T9_mT8_S1C_bDpT10_ENKUlT_T0_E_clISt17integral_constantIbLb1EES1P_EEDaS1K_S1L_EUlS1K_E_NS1_11comp_targetILNS1_3genE10ELNS1_11target_archE1200ELNS1_3gpuE4ELNS1_3repE0EEENS1_30default_config_static_selectorELNS0_4arch9wavefront6targetE1EEEvSY_,comdat
	.globl	_ZN7rocprim17ROCPRIM_400000_NS6detail17trampoline_kernelINS0_13select_configILj256ELj13ELNS0_17block_load_methodE3ELS4_3ELS4_3ELNS0_20block_scan_algorithmE0ELj4294967295EEENS1_25partition_config_selectorILNS1_17partition_subalgoE3EjNS0_10empty_typeEbEEZZNS1_14partition_implILS8_3ELb0ES6_jNS0_17counting_iteratorIjlEEPS9_SE_NS0_5tupleIJPjSE_EEENSF_IJSE_SE_EEES9_SG_JZNS1_25segmented_radix_sort_implINS0_14default_configELb1EPKfPfPKlPlN2at6native12_GLOBAL__N_18offset_tEEE10hipError_tPvRmT1_PNSt15iterator_traitsISY_E10value_typeET2_T3_PNSZ_IS14_E10value_typeET4_jRbjT5_S1A_jjP12ihipStream_tbEUljE_EEESV_SW_SX_S14_S18_S1A_T6_T7_T9_mT8_S1C_bDpT10_ENKUlT_T0_E_clISt17integral_constantIbLb1EES1P_EEDaS1K_S1L_EUlS1K_E_NS1_11comp_targetILNS1_3genE10ELNS1_11target_archE1200ELNS1_3gpuE4ELNS1_3repE0EEENS1_30default_config_static_selectorELNS0_4arch9wavefront6targetE1EEEvSY_ ; -- Begin function _ZN7rocprim17ROCPRIM_400000_NS6detail17trampoline_kernelINS0_13select_configILj256ELj13ELNS0_17block_load_methodE3ELS4_3ELS4_3ELNS0_20block_scan_algorithmE0ELj4294967295EEENS1_25partition_config_selectorILNS1_17partition_subalgoE3EjNS0_10empty_typeEbEEZZNS1_14partition_implILS8_3ELb0ES6_jNS0_17counting_iteratorIjlEEPS9_SE_NS0_5tupleIJPjSE_EEENSF_IJSE_SE_EEES9_SG_JZNS1_25segmented_radix_sort_implINS0_14default_configELb1EPKfPfPKlPlN2at6native12_GLOBAL__N_18offset_tEEE10hipError_tPvRmT1_PNSt15iterator_traitsISY_E10value_typeET2_T3_PNSZ_IS14_E10value_typeET4_jRbjT5_S1A_jjP12ihipStream_tbEUljE_EEESV_SW_SX_S14_S18_S1A_T6_T7_T9_mT8_S1C_bDpT10_ENKUlT_T0_E_clISt17integral_constantIbLb1EES1P_EEDaS1K_S1L_EUlS1K_E_NS1_11comp_targetILNS1_3genE10ELNS1_11target_archE1200ELNS1_3gpuE4ELNS1_3repE0EEENS1_30default_config_static_selectorELNS0_4arch9wavefront6targetE1EEEvSY_
	.p2align	8
	.type	_ZN7rocprim17ROCPRIM_400000_NS6detail17trampoline_kernelINS0_13select_configILj256ELj13ELNS0_17block_load_methodE3ELS4_3ELS4_3ELNS0_20block_scan_algorithmE0ELj4294967295EEENS1_25partition_config_selectorILNS1_17partition_subalgoE3EjNS0_10empty_typeEbEEZZNS1_14partition_implILS8_3ELb0ES6_jNS0_17counting_iteratorIjlEEPS9_SE_NS0_5tupleIJPjSE_EEENSF_IJSE_SE_EEES9_SG_JZNS1_25segmented_radix_sort_implINS0_14default_configELb1EPKfPfPKlPlN2at6native12_GLOBAL__N_18offset_tEEE10hipError_tPvRmT1_PNSt15iterator_traitsISY_E10value_typeET2_T3_PNSZ_IS14_E10value_typeET4_jRbjT5_S1A_jjP12ihipStream_tbEUljE_EEESV_SW_SX_S14_S18_S1A_T6_T7_T9_mT8_S1C_bDpT10_ENKUlT_T0_E_clISt17integral_constantIbLb1EES1P_EEDaS1K_S1L_EUlS1K_E_NS1_11comp_targetILNS1_3genE10ELNS1_11target_archE1200ELNS1_3gpuE4ELNS1_3repE0EEENS1_30default_config_static_selectorELNS0_4arch9wavefront6targetE1EEEvSY_,@function
_ZN7rocprim17ROCPRIM_400000_NS6detail17trampoline_kernelINS0_13select_configILj256ELj13ELNS0_17block_load_methodE3ELS4_3ELS4_3ELNS0_20block_scan_algorithmE0ELj4294967295EEENS1_25partition_config_selectorILNS1_17partition_subalgoE3EjNS0_10empty_typeEbEEZZNS1_14partition_implILS8_3ELb0ES6_jNS0_17counting_iteratorIjlEEPS9_SE_NS0_5tupleIJPjSE_EEENSF_IJSE_SE_EEES9_SG_JZNS1_25segmented_radix_sort_implINS0_14default_configELb1EPKfPfPKlPlN2at6native12_GLOBAL__N_18offset_tEEE10hipError_tPvRmT1_PNSt15iterator_traitsISY_E10value_typeET2_T3_PNSZ_IS14_E10value_typeET4_jRbjT5_S1A_jjP12ihipStream_tbEUljE_EEESV_SW_SX_S14_S18_S1A_T6_T7_T9_mT8_S1C_bDpT10_ENKUlT_T0_E_clISt17integral_constantIbLb1EES1P_EEDaS1K_S1L_EUlS1K_E_NS1_11comp_targetILNS1_3genE10ELNS1_11target_archE1200ELNS1_3gpuE4ELNS1_3repE0EEENS1_30default_config_static_selectorELNS0_4arch9wavefront6targetE1EEEvSY_: ; @_ZN7rocprim17ROCPRIM_400000_NS6detail17trampoline_kernelINS0_13select_configILj256ELj13ELNS0_17block_load_methodE3ELS4_3ELS4_3ELNS0_20block_scan_algorithmE0ELj4294967295EEENS1_25partition_config_selectorILNS1_17partition_subalgoE3EjNS0_10empty_typeEbEEZZNS1_14partition_implILS8_3ELb0ES6_jNS0_17counting_iteratorIjlEEPS9_SE_NS0_5tupleIJPjSE_EEENSF_IJSE_SE_EEES9_SG_JZNS1_25segmented_radix_sort_implINS0_14default_configELb1EPKfPfPKlPlN2at6native12_GLOBAL__N_18offset_tEEE10hipError_tPvRmT1_PNSt15iterator_traitsISY_E10value_typeET2_T3_PNSZ_IS14_E10value_typeET4_jRbjT5_S1A_jjP12ihipStream_tbEUljE_EEESV_SW_SX_S14_S18_S1A_T6_T7_T9_mT8_S1C_bDpT10_ENKUlT_T0_E_clISt17integral_constantIbLb1EES1P_EEDaS1K_S1L_EUlS1K_E_NS1_11comp_targetILNS1_3genE10ELNS1_11target_archE1200ELNS1_3gpuE4ELNS1_3repE0EEENS1_30default_config_static_selectorELNS0_4arch9wavefront6targetE1EEEvSY_
; %bb.0:
	.section	.rodata,"a",@progbits
	.p2align	6, 0x0
	.amdhsa_kernel _ZN7rocprim17ROCPRIM_400000_NS6detail17trampoline_kernelINS0_13select_configILj256ELj13ELNS0_17block_load_methodE3ELS4_3ELS4_3ELNS0_20block_scan_algorithmE0ELj4294967295EEENS1_25partition_config_selectorILNS1_17partition_subalgoE3EjNS0_10empty_typeEbEEZZNS1_14partition_implILS8_3ELb0ES6_jNS0_17counting_iteratorIjlEEPS9_SE_NS0_5tupleIJPjSE_EEENSF_IJSE_SE_EEES9_SG_JZNS1_25segmented_radix_sort_implINS0_14default_configELb1EPKfPfPKlPlN2at6native12_GLOBAL__N_18offset_tEEE10hipError_tPvRmT1_PNSt15iterator_traitsISY_E10value_typeET2_T3_PNSZ_IS14_E10value_typeET4_jRbjT5_S1A_jjP12ihipStream_tbEUljE_EEESV_SW_SX_S14_S18_S1A_T6_T7_T9_mT8_S1C_bDpT10_ENKUlT_T0_E_clISt17integral_constantIbLb1EES1P_EEDaS1K_S1L_EUlS1K_E_NS1_11comp_targetILNS1_3genE10ELNS1_11target_archE1200ELNS1_3gpuE4ELNS1_3repE0EEENS1_30default_config_static_selectorELNS0_4arch9wavefront6targetE1EEEvSY_
		.amdhsa_group_segment_fixed_size 0
		.amdhsa_private_segment_fixed_size 0
		.amdhsa_kernarg_size 152
		.amdhsa_user_sgpr_count 6
		.amdhsa_user_sgpr_private_segment_buffer 1
		.amdhsa_user_sgpr_dispatch_ptr 0
		.amdhsa_user_sgpr_queue_ptr 0
		.amdhsa_user_sgpr_kernarg_segment_ptr 1
		.amdhsa_user_sgpr_dispatch_id 0
		.amdhsa_user_sgpr_flat_scratch_init 0
		.amdhsa_user_sgpr_kernarg_preload_length 0
		.amdhsa_user_sgpr_kernarg_preload_offset 0
		.amdhsa_user_sgpr_private_segment_size 0
		.amdhsa_uses_dynamic_stack 0
		.amdhsa_system_sgpr_private_segment_wavefront_offset 0
		.amdhsa_system_sgpr_workgroup_id_x 1
		.amdhsa_system_sgpr_workgroup_id_y 0
		.amdhsa_system_sgpr_workgroup_id_z 0
		.amdhsa_system_sgpr_workgroup_info 0
		.amdhsa_system_vgpr_workitem_id 0
		.amdhsa_next_free_vgpr 1
		.amdhsa_next_free_sgpr 0
		.amdhsa_accum_offset 4
		.amdhsa_reserve_vcc 0
		.amdhsa_reserve_flat_scratch 0
		.amdhsa_float_round_mode_32 0
		.amdhsa_float_round_mode_16_64 0
		.amdhsa_float_denorm_mode_32 3
		.amdhsa_float_denorm_mode_16_64 3
		.amdhsa_dx10_clamp 1
		.amdhsa_ieee_mode 1
		.amdhsa_fp16_overflow 0
		.amdhsa_tg_split 0
		.amdhsa_exception_fp_ieee_invalid_op 0
		.amdhsa_exception_fp_denorm_src 0
		.amdhsa_exception_fp_ieee_div_zero 0
		.amdhsa_exception_fp_ieee_overflow 0
		.amdhsa_exception_fp_ieee_underflow 0
		.amdhsa_exception_fp_ieee_inexact 0
		.amdhsa_exception_int_div_zero 0
	.end_amdhsa_kernel
	.section	.text._ZN7rocprim17ROCPRIM_400000_NS6detail17trampoline_kernelINS0_13select_configILj256ELj13ELNS0_17block_load_methodE3ELS4_3ELS4_3ELNS0_20block_scan_algorithmE0ELj4294967295EEENS1_25partition_config_selectorILNS1_17partition_subalgoE3EjNS0_10empty_typeEbEEZZNS1_14partition_implILS8_3ELb0ES6_jNS0_17counting_iteratorIjlEEPS9_SE_NS0_5tupleIJPjSE_EEENSF_IJSE_SE_EEES9_SG_JZNS1_25segmented_radix_sort_implINS0_14default_configELb1EPKfPfPKlPlN2at6native12_GLOBAL__N_18offset_tEEE10hipError_tPvRmT1_PNSt15iterator_traitsISY_E10value_typeET2_T3_PNSZ_IS14_E10value_typeET4_jRbjT5_S1A_jjP12ihipStream_tbEUljE_EEESV_SW_SX_S14_S18_S1A_T6_T7_T9_mT8_S1C_bDpT10_ENKUlT_T0_E_clISt17integral_constantIbLb1EES1P_EEDaS1K_S1L_EUlS1K_E_NS1_11comp_targetILNS1_3genE10ELNS1_11target_archE1200ELNS1_3gpuE4ELNS1_3repE0EEENS1_30default_config_static_selectorELNS0_4arch9wavefront6targetE1EEEvSY_,"axG",@progbits,_ZN7rocprim17ROCPRIM_400000_NS6detail17trampoline_kernelINS0_13select_configILj256ELj13ELNS0_17block_load_methodE3ELS4_3ELS4_3ELNS0_20block_scan_algorithmE0ELj4294967295EEENS1_25partition_config_selectorILNS1_17partition_subalgoE3EjNS0_10empty_typeEbEEZZNS1_14partition_implILS8_3ELb0ES6_jNS0_17counting_iteratorIjlEEPS9_SE_NS0_5tupleIJPjSE_EEENSF_IJSE_SE_EEES9_SG_JZNS1_25segmented_radix_sort_implINS0_14default_configELb1EPKfPfPKlPlN2at6native12_GLOBAL__N_18offset_tEEE10hipError_tPvRmT1_PNSt15iterator_traitsISY_E10value_typeET2_T3_PNSZ_IS14_E10value_typeET4_jRbjT5_S1A_jjP12ihipStream_tbEUljE_EEESV_SW_SX_S14_S18_S1A_T6_T7_T9_mT8_S1C_bDpT10_ENKUlT_T0_E_clISt17integral_constantIbLb1EES1P_EEDaS1K_S1L_EUlS1K_E_NS1_11comp_targetILNS1_3genE10ELNS1_11target_archE1200ELNS1_3gpuE4ELNS1_3repE0EEENS1_30default_config_static_selectorELNS0_4arch9wavefront6targetE1EEEvSY_,comdat
.Lfunc_end1304:
	.size	_ZN7rocprim17ROCPRIM_400000_NS6detail17trampoline_kernelINS0_13select_configILj256ELj13ELNS0_17block_load_methodE3ELS4_3ELS4_3ELNS0_20block_scan_algorithmE0ELj4294967295EEENS1_25partition_config_selectorILNS1_17partition_subalgoE3EjNS0_10empty_typeEbEEZZNS1_14partition_implILS8_3ELb0ES6_jNS0_17counting_iteratorIjlEEPS9_SE_NS0_5tupleIJPjSE_EEENSF_IJSE_SE_EEES9_SG_JZNS1_25segmented_radix_sort_implINS0_14default_configELb1EPKfPfPKlPlN2at6native12_GLOBAL__N_18offset_tEEE10hipError_tPvRmT1_PNSt15iterator_traitsISY_E10value_typeET2_T3_PNSZ_IS14_E10value_typeET4_jRbjT5_S1A_jjP12ihipStream_tbEUljE_EEESV_SW_SX_S14_S18_S1A_T6_T7_T9_mT8_S1C_bDpT10_ENKUlT_T0_E_clISt17integral_constantIbLb1EES1P_EEDaS1K_S1L_EUlS1K_E_NS1_11comp_targetILNS1_3genE10ELNS1_11target_archE1200ELNS1_3gpuE4ELNS1_3repE0EEENS1_30default_config_static_selectorELNS0_4arch9wavefront6targetE1EEEvSY_, .Lfunc_end1304-_ZN7rocprim17ROCPRIM_400000_NS6detail17trampoline_kernelINS0_13select_configILj256ELj13ELNS0_17block_load_methodE3ELS4_3ELS4_3ELNS0_20block_scan_algorithmE0ELj4294967295EEENS1_25partition_config_selectorILNS1_17partition_subalgoE3EjNS0_10empty_typeEbEEZZNS1_14partition_implILS8_3ELb0ES6_jNS0_17counting_iteratorIjlEEPS9_SE_NS0_5tupleIJPjSE_EEENSF_IJSE_SE_EEES9_SG_JZNS1_25segmented_radix_sort_implINS0_14default_configELb1EPKfPfPKlPlN2at6native12_GLOBAL__N_18offset_tEEE10hipError_tPvRmT1_PNSt15iterator_traitsISY_E10value_typeET2_T3_PNSZ_IS14_E10value_typeET4_jRbjT5_S1A_jjP12ihipStream_tbEUljE_EEESV_SW_SX_S14_S18_S1A_T6_T7_T9_mT8_S1C_bDpT10_ENKUlT_T0_E_clISt17integral_constantIbLb1EES1P_EEDaS1K_S1L_EUlS1K_E_NS1_11comp_targetILNS1_3genE10ELNS1_11target_archE1200ELNS1_3gpuE4ELNS1_3repE0EEENS1_30default_config_static_selectorELNS0_4arch9wavefront6targetE1EEEvSY_
                                        ; -- End function
	.section	.AMDGPU.csdata,"",@progbits
; Kernel info:
; codeLenInByte = 0
; NumSgprs: 4
; NumVgprs: 0
; NumAgprs: 0
; TotalNumVgprs: 0
; ScratchSize: 0
; MemoryBound: 0
; FloatMode: 240
; IeeeMode: 1
; LDSByteSize: 0 bytes/workgroup (compile time only)
; SGPRBlocks: 0
; VGPRBlocks: 0
; NumSGPRsForWavesPerEU: 4
; NumVGPRsForWavesPerEU: 1
; AccumOffset: 4
; Occupancy: 8
; WaveLimiterHint : 0
; COMPUTE_PGM_RSRC2:SCRATCH_EN: 0
; COMPUTE_PGM_RSRC2:USER_SGPR: 6
; COMPUTE_PGM_RSRC2:TRAP_HANDLER: 0
; COMPUTE_PGM_RSRC2:TGID_X_EN: 1
; COMPUTE_PGM_RSRC2:TGID_Y_EN: 0
; COMPUTE_PGM_RSRC2:TGID_Z_EN: 0
; COMPUTE_PGM_RSRC2:TIDIG_COMP_CNT: 0
; COMPUTE_PGM_RSRC3_GFX90A:ACCUM_OFFSET: 0
; COMPUTE_PGM_RSRC3_GFX90A:TG_SPLIT: 0
	.section	.text._ZN7rocprim17ROCPRIM_400000_NS6detail17trampoline_kernelINS0_13select_configILj256ELj13ELNS0_17block_load_methodE3ELS4_3ELS4_3ELNS0_20block_scan_algorithmE0ELj4294967295EEENS1_25partition_config_selectorILNS1_17partition_subalgoE3EjNS0_10empty_typeEbEEZZNS1_14partition_implILS8_3ELb0ES6_jNS0_17counting_iteratorIjlEEPS9_SE_NS0_5tupleIJPjSE_EEENSF_IJSE_SE_EEES9_SG_JZNS1_25segmented_radix_sort_implINS0_14default_configELb1EPKfPfPKlPlN2at6native12_GLOBAL__N_18offset_tEEE10hipError_tPvRmT1_PNSt15iterator_traitsISY_E10value_typeET2_T3_PNSZ_IS14_E10value_typeET4_jRbjT5_S1A_jjP12ihipStream_tbEUljE_EEESV_SW_SX_S14_S18_S1A_T6_T7_T9_mT8_S1C_bDpT10_ENKUlT_T0_E_clISt17integral_constantIbLb1EES1P_EEDaS1K_S1L_EUlS1K_E_NS1_11comp_targetILNS1_3genE9ELNS1_11target_archE1100ELNS1_3gpuE3ELNS1_3repE0EEENS1_30default_config_static_selectorELNS0_4arch9wavefront6targetE1EEEvSY_,"axG",@progbits,_ZN7rocprim17ROCPRIM_400000_NS6detail17trampoline_kernelINS0_13select_configILj256ELj13ELNS0_17block_load_methodE3ELS4_3ELS4_3ELNS0_20block_scan_algorithmE0ELj4294967295EEENS1_25partition_config_selectorILNS1_17partition_subalgoE3EjNS0_10empty_typeEbEEZZNS1_14partition_implILS8_3ELb0ES6_jNS0_17counting_iteratorIjlEEPS9_SE_NS0_5tupleIJPjSE_EEENSF_IJSE_SE_EEES9_SG_JZNS1_25segmented_radix_sort_implINS0_14default_configELb1EPKfPfPKlPlN2at6native12_GLOBAL__N_18offset_tEEE10hipError_tPvRmT1_PNSt15iterator_traitsISY_E10value_typeET2_T3_PNSZ_IS14_E10value_typeET4_jRbjT5_S1A_jjP12ihipStream_tbEUljE_EEESV_SW_SX_S14_S18_S1A_T6_T7_T9_mT8_S1C_bDpT10_ENKUlT_T0_E_clISt17integral_constantIbLb1EES1P_EEDaS1K_S1L_EUlS1K_E_NS1_11comp_targetILNS1_3genE9ELNS1_11target_archE1100ELNS1_3gpuE3ELNS1_3repE0EEENS1_30default_config_static_selectorELNS0_4arch9wavefront6targetE1EEEvSY_,comdat
	.globl	_ZN7rocprim17ROCPRIM_400000_NS6detail17trampoline_kernelINS0_13select_configILj256ELj13ELNS0_17block_load_methodE3ELS4_3ELS4_3ELNS0_20block_scan_algorithmE0ELj4294967295EEENS1_25partition_config_selectorILNS1_17partition_subalgoE3EjNS0_10empty_typeEbEEZZNS1_14partition_implILS8_3ELb0ES6_jNS0_17counting_iteratorIjlEEPS9_SE_NS0_5tupleIJPjSE_EEENSF_IJSE_SE_EEES9_SG_JZNS1_25segmented_radix_sort_implINS0_14default_configELb1EPKfPfPKlPlN2at6native12_GLOBAL__N_18offset_tEEE10hipError_tPvRmT1_PNSt15iterator_traitsISY_E10value_typeET2_T3_PNSZ_IS14_E10value_typeET4_jRbjT5_S1A_jjP12ihipStream_tbEUljE_EEESV_SW_SX_S14_S18_S1A_T6_T7_T9_mT8_S1C_bDpT10_ENKUlT_T0_E_clISt17integral_constantIbLb1EES1P_EEDaS1K_S1L_EUlS1K_E_NS1_11comp_targetILNS1_3genE9ELNS1_11target_archE1100ELNS1_3gpuE3ELNS1_3repE0EEENS1_30default_config_static_selectorELNS0_4arch9wavefront6targetE1EEEvSY_ ; -- Begin function _ZN7rocprim17ROCPRIM_400000_NS6detail17trampoline_kernelINS0_13select_configILj256ELj13ELNS0_17block_load_methodE3ELS4_3ELS4_3ELNS0_20block_scan_algorithmE0ELj4294967295EEENS1_25partition_config_selectorILNS1_17partition_subalgoE3EjNS0_10empty_typeEbEEZZNS1_14partition_implILS8_3ELb0ES6_jNS0_17counting_iteratorIjlEEPS9_SE_NS0_5tupleIJPjSE_EEENSF_IJSE_SE_EEES9_SG_JZNS1_25segmented_radix_sort_implINS0_14default_configELb1EPKfPfPKlPlN2at6native12_GLOBAL__N_18offset_tEEE10hipError_tPvRmT1_PNSt15iterator_traitsISY_E10value_typeET2_T3_PNSZ_IS14_E10value_typeET4_jRbjT5_S1A_jjP12ihipStream_tbEUljE_EEESV_SW_SX_S14_S18_S1A_T6_T7_T9_mT8_S1C_bDpT10_ENKUlT_T0_E_clISt17integral_constantIbLb1EES1P_EEDaS1K_S1L_EUlS1K_E_NS1_11comp_targetILNS1_3genE9ELNS1_11target_archE1100ELNS1_3gpuE3ELNS1_3repE0EEENS1_30default_config_static_selectorELNS0_4arch9wavefront6targetE1EEEvSY_
	.p2align	8
	.type	_ZN7rocprim17ROCPRIM_400000_NS6detail17trampoline_kernelINS0_13select_configILj256ELj13ELNS0_17block_load_methodE3ELS4_3ELS4_3ELNS0_20block_scan_algorithmE0ELj4294967295EEENS1_25partition_config_selectorILNS1_17partition_subalgoE3EjNS0_10empty_typeEbEEZZNS1_14partition_implILS8_3ELb0ES6_jNS0_17counting_iteratorIjlEEPS9_SE_NS0_5tupleIJPjSE_EEENSF_IJSE_SE_EEES9_SG_JZNS1_25segmented_radix_sort_implINS0_14default_configELb1EPKfPfPKlPlN2at6native12_GLOBAL__N_18offset_tEEE10hipError_tPvRmT1_PNSt15iterator_traitsISY_E10value_typeET2_T3_PNSZ_IS14_E10value_typeET4_jRbjT5_S1A_jjP12ihipStream_tbEUljE_EEESV_SW_SX_S14_S18_S1A_T6_T7_T9_mT8_S1C_bDpT10_ENKUlT_T0_E_clISt17integral_constantIbLb1EES1P_EEDaS1K_S1L_EUlS1K_E_NS1_11comp_targetILNS1_3genE9ELNS1_11target_archE1100ELNS1_3gpuE3ELNS1_3repE0EEENS1_30default_config_static_selectorELNS0_4arch9wavefront6targetE1EEEvSY_,@function
_ZN7rocprim17ROCPRIM_400000_NS6detail17trampoline_kernelINS0_13select_configILj256ELj13ELNS0_17block_load_methodE3ELS4_3ELS4_3ELNS0_20block_scan_algorithmE0ELj4294967295EEENS1_25partition_config_selectorILNS1_17partition_subalgoE3EjNS0_10empty_typeEbEEZZNS1_14partition_implILS8_3ELb0ES6_jNS0_17counting_iteratorIjlEEPS9_SE_NS0_5tupleIJPjSE_EEENSF_IJSE_SE_EEES9_SG_JZNS1_25segmented_radix_sort_implINS0_14default_configELb1EPKfPfPKlPlN2at6native12_GLOBAL__N_18offset_tEEE10hipError_tPvRmT1_PNSt15iterator_traitsISY_E10value_typeET2_T3_PNSZ_IS14_E10value_typeET4_jRbjT5_S1A_jjP12ihipStream_tbEUljE_EEESV_SW_SX_S14_S18_S1A_T6_T7_T9_mT8_S1C_bDpT10_ENKUlT_T0_E_clISt17integral_constantIbLb1EES1P_EEDaS1K_S1L_EUlS1K_E_NS1_11comp_targetILNS1_3genE9ELNS1_11target_archE1100ELNS1_3gpuE3ELNS1_3repE0EEENS1_30default_config_static_selectorELNS0_4arch9wavefront6targetE1EEEvSY_: ; @_ZN7rocprim17ROCPRIM_400000_NS6detail17trampoline_kernelINS0_13select_configILj256ELj13ELNS0_17block_load_methodE3ELS4_3ELS4_3ELNS0_20block_scan_algorithmE0ELj4294967295EEENS1_25partition_config_selectorILNS1_17partition_subalgoE3EjNS0_10empty_typeEbEEZZNS1_14partition_implILS8_3ELb0ES6_jNS0_17counting_iteratorIjlEEPS9_SE_NS0_5tupleIJPjSE_EEENSF_IJSE_SE_EEES9_SG_JZNS1_25segmented_radix_sort_implINS0_14default_configELb1EPKfPfPKlPlN2at6native12_GLOBAL__N_18offset_tEEE10hipError_tPvRmT1_PNSt15iterator_traitsISY_E10value_typeET2_T3_PNSZ_IS14_E10value_typeET4_jRbjT5_S1A_jjP12ihipStream_tbEUljE_EEESV_SW_SX_S14_S18_S1A_T6_T7_T9_mT8_S1C_bDpT10_ENKUlT_T0_E_clISt17integral_constantIbLb1EES1P_EEDaS1K_S1L_EUlS1K_E_NS1_11comp_targetILNS1_3genE9ELNS1_11target_archE1100ELNS1_3gpuE3ELNS1_3repE0EEENS1_30default_config_static_selectorELNS0_4arch9wavefront6targetE1EEEvSY_
; %bb.0:
	.section	.rodata,"a",@progbits
	.p2align	6, 0x0
	.amdhsa_kernel _ZN7rocprim17ROCPRIM_400000_NS6detail17trampoline_kernelINS0_13select_configILj256ELj13ELNS0_17block_load_methodE3ELS4_3ELS4_3ELNS0_20block_scan_algorithmE0ELj4294967295EEENS1_25partition_config_selectorILNS1_17partition_subalgoE3EjNS0_10empty_typeEbEEZZNS1_14partition_implILS8_3ELb0ES6_jNS0_17counting_iteratorIjlEEPS9_SE_NS0_5tupleIJPjSE_EEENSF_IJSE_SE_EEES9_SG_JZNS1_25segmented_radix_sort_implINS0_14default_configELb1EPKfPfPKlPlN2at6native12_GLOBAL__N_18offset_tEEE10hipError_tPvRmT1_PNSt15iterator_traitsISY_E10value_typeET2_T3_PNSZ_IS14_E10value_typeET4_jRbjT5_S1A_jjP12ihipStream_tbEUljE_EEESV_SW_SX_S14_S18_S1A_T6_T7_T9_mT8_S1C_bDpT10_ENKUlT_T0_E_clISt17integral_constantIbLb1EES1P_EEDaS1K_S1L_EUlS1K_E_NS1_11comp_targetILNS1_3genE9ELNS1_11target_archE1100ELNS1_3gpuE3ELNS1_3repE0EEENS1_30default_config_static_selectorELNS0_4arch9wavefront6targetE1EEEvSY_
		.amdhsa_group_segment_fixed_size 0
		.amdhsa_private_segment_fixed_size 0
		.amdhsa_kernarg_size 152
		.amdhsa_user_sgpr_count 6
		.amdhsa_user_sgpr_private_segment_buffer 1
		.amdhsa_user_sgpr_dispatch_ptr 0
		.amdhsa_user_sgpr_queue_ptr 0
		.amdhsa_user_sgpr_kernarg_segment_ptr 1
		.amdhsa_user_sgpr_dispatch_id 0
		.amdhsa_user_sgpr_flat_scratch_init 0
		.amdhsa_user_sgpr_kernarg_preload_length 0
		.amdhsa_user_sgpr_kernarg_preload_offset 0
		.amdhsa_user_sgpr_private_segment_size 0
		.amdhsa_uses_dynamic_stack 0
		.amdhsa_system_sgpr_private_segment_wavefront_offset 0
		.amdhsa_system_sgpr_workgroup_id_x 1
		.amdhsa_system_sgpr_workgroup_id_y 0
		.amdhsa_system_sgpr_workgroup_id_z 0
		.amdhsa_system_sgpr_workgroup_info 0
		.amdhsa_system_vgpr_workitem_id 0
		.amdhsa_next_free_vgpr 1
		.amdhsa_next_free_sgpr 0
		.amdhsa_accum_offset 4
		.amdhsa_reserve_vcc 0
		.amdhsa_reserve_flat_scratch 0
		.amdhsa_float_round_mode_32 0
		.amdhsa_float_round_mode_16_64 0
		.amdhsa_float_denorm_mode_32 3
		.amdhsa_float_denorm_mode_16_64 3
		.amdhsa_dx10_clamp 1
		.amdhsa_ieee_mode 1
		.amdhsa_fp16_overflow 0
		.amdhsa_tg_split 0
		.amdhsa_exception_fp_ieee_invalid_op 0
		.amdhsa_exception_fp_denorm_src 0
		.amdhsa_exception_fp_ieee_div_zero 0
		.amdhsa_exception_fp_ieee_overflow 0
		.amdhsa_exception_fp_ieee_underflow 0
		.amdhsa_exception_fp_ieee_inexact 0
		.amdhsa_exception_int_div_zero 0
	.end_amdhsa_kernel
	.section	.text._ZN7rocprim17ROCPRIM_400000_NS6detail17trampoline_kernelINS0_13select_configILj256ELj13ELNS0_17block_load_methodE3ELS4_3ELS4_3ELNS0_20block_scan_algorithmE0ELj4294967295EEENS1_25partition_config_selectorILNS1_17partition_subalgoE3EjNS0_10empty_typeEbEEZZNS1_14partition_implILS8_3ELb0ES6_jNS0_17counting_iteratorIjlEEPS9_SE_NS0_5tupleIJPjSE_EEENSF_IJSE_SE_EEES9_SG_JZNS1_25segmented_radix_sort_implINS0_14default_configELb1EPKfPfPKlPlN2at6native12_GLOBAL__N_18offset_tEEE10hipError_tPvRmT1_PNSt15iterator_traitsISY_E10value_typeET2_T3_PNSZ_IS14_E10value_typeET4_jRbjT5_S1A_jjP12ihipStream_tbEUljE_EEESV_SW_SX_S14_S18_S1A_T6_T7_T9_mT8_S1C_bDpT10_ENKUlT_T0_E_clISt17integral_constantIbLb1EES1P_EEDaS1K_S1L_EUlS1K_E_NS1_11comp_targetILNS1_3genE9ELNS1_11target_archE1100ELNS1_3gpuE3ELNS1_3repE0EEENS1_30default_config_static_selectorELNS0_4arch9wavefront6targetE1EEEvSY_,"axG",@progbits,_ZN7rocprim17ROCPRIM_400000_NS6detail17trampoline_kernelINS0_13select_configILj256ELj13ELNS0_17block_load_methodE3ELS4_3ELS4_3ELNS0_20block_scan_algorithmE0ELj4294967295EEENS1_25partition_config_selectorILNS1_17partition_subalgoE3EjNS0_10empty_typeEbEEZZNS1_14partition_implILS8_3ELb0ES6_jNS0_17counting_iteratorIjlEEPS9_SE_NS0_5tupleIJPjSE_EEENSF_IJSE_SE_EEES9_SG_JZNS1_25segmented_radix_sort_implINS0_14default_configELb1EPKfPfPKlPlN2at6native12_GLOBAL__N_18offset_tEEE10hipError_tPvRmT1_PNSt15iterator_traitsISY_E10value_typeET2_T3_PNSZ_IS14_E10value_typeET4_jRbjT5_S1A_jjP12ihipStream_tbEUljE_EEESV_SW_SX_S14_S18_S1A_T6_T7_T9_mT8_S1C_bDpT10_ENKUlT_T0_E_clISt17integral_constantIbLb1EES1P_EEDaS1K_S1L_EUlS1K_E_NS1_11comp_targetILNS1_3genE9ELNS1_11target_archE1100ELNS1_3gpuE3ELNS1_3repE0EEENS1_30default_config_static_selectorELNS0_4arch9wavefront6targetE1EEEvSY_,comdat
.Lfunc_end1305:
	.size	_ZN7rocprim17ROCPRIM_400000_NS6detail17trampoline_kernelINS0_13select_configILj256ELj13ELNS0_17block_load_methodE3ELS4_3ELS4_3ELNS0_20block_scan_algorithmE0ELj4294967295EEENS1_25partition_config_selectorILNS1_17partition_subalgoE3EjNS0_10empty_typeEbEEZZNS1_14partition_implILS8_3ELb0ES6_jNS0_17counting_iteratorIjlEEPS9_SE_NS0_5tupleIJPjSE_EEENSF_IJSE_SE_EEES9_SG_JZNS1_25segmented_radix_sort_implINS0_14default_configELb1EPKfPfPKlPlN2at6native12_GLOBAL__N_18offset_tEEE10hipError_tPvRmT1_PNSt15iterator_traitsISY_E10value_typeET2_T3_PNSZ_IS14_E10value_typeET4_jRbjT5_S1A_jjP12ihipStream_tbEUljE_EEESV_SW_SX_S14_S18_S1A_T6_T7_T9_mT8_S1C_bDpT10_ENKUlT_T0_E_clISt17integral_constantIbLb1EES1P_EEDaS1K_S1L_EUlS1K_E_NS1_11comp_targetILNS1_3genE9ELNS1_11target_archE1100ELNS1_3gpuE3ELNS1_3repE0EEENS1_30default_config_static_selectorELNS0_4arch9wavefront6targetE1EEEvSY_, .Lfunc_end1305-_ZN7rocprim17ROCPRIM_400000_NS6detail17trampoline_kernelINS0_13select_configILj256ELj13ELNS0_17block_load_methodE3ELS4_3ELS4_3ELNS0_20block_scan_algorithmE0ELj4294967295EEENS1_25partition_config_selectorILNS1_17partition_subalgoE3EjNS0_10empty_typeEbEEZZNS1_14partition_implILS8_3ELb0ES6_jNS0_17counting_iteratorIjlEEPS9_SE_NS0_5tupleIJPjSE_EEENSF_IJSE_SE_EEES9_SG_JZNS1_25segmented_radix_sort_implINS0_14default_configELb1EPKfPfPKlPlN2at6native12_GLOBAL__N_18offset_tEEE10hipError_tPvRmT1_PNSt15iterator_traitsISY_E10value_typeET2_T3_PNSZ_IS14_E10value_typeET4_jRbjT5_S1A_jjP12ihipStream_tbEUljE_EEESV_SW_SX_S14_S18_S1A_T6_T7_T9_mT8_S1C_bDpT10_ENKUlT_T0_E_clISt17integral_constantIbLb1EES1P_EEDaS1K_S1L_EUlS1K_E_NS1_11comp_targetILNS1_3genE9ELNS1_11target_archE1100ELNS1_3gpuE3ELNS1_3repE0EEENS1_30default_config_static_selectorELNS0_4arch9wavefront6targetE1EEEvSY_
                                        ; -- End function
	.section	.AMDGPU.csdata,"",@progbits
; Kernel info:
; codeLenInByte = 0
; NumSgprs: 4
; NumVgprs: 0
; NumAgprs: 0
; TotalNumVgprs: 0
; ScratchSize: 0
; MemoryBound: 0
; FloatMode: 240
; IeeeMode: 1
; LDSByteSize: 0 bytes/workgroup (compile time only)
; SGPRBlocks: 0
; VGPRBlocks: 0
; NumSGPRsForWavesPerEU: 4
; NumVGPRsForWavesPerEU: 1
; AccumOffset: 4
; Occupancy: 8
; WaveLimiterHint : 0
; COMPUTE_PGM_RSRC2:SCRATCH_EN: 0
; COMPUTE_PGM_RSRC2:USER_SGPR: 6
; COMPUTE_PGM_RSRC2:TRAP_HANDLER: 0
; COMPUTE_PGM_RSRC2:TGID_X_EN: 1
; COMPUTE_PGM_RSRC2:TGID_Y_EN: 0
; COMPUTE_PGM_RSRC2:TGID_Z_EN: 0
; COMPUTE_PGM_RSRC2:TIDIG_COMP_CNT: 0
; COMPUTE_PGM_RSRC3_GFX90A:ACCUM_OFFSET: 0
; COMPUTE_PGM_RSRC3_GFX90A:TG_SPLIT: 0
	.section	.text._ZN7rocprim17ROCPRIM_400000_NS6detail17trampoline_kernelINS0_13select_configILj256ELj13ELNS0_17block_load_methodE3ELS4_3ELS4_3ELNS0_20block_scan_algorithmE0ELj4294967295EEENS1_25partition_config_selectorILNS1_17partition_subalgoE3EjNS0_10empty_typeEbEEZZNS1_14partition_implILS8_3ELb0ES6_jNS0_17counting_iteratorIjlEEPS9_SE_NS0_5tupleIJPjSE_EEENSF_IJSE_SE_EEES9_SG_JZNS1_25segmented_radix_sort_implINS0_14default_configELb1EPKfPfPKlPlN2at6native12_GLOBAL__N_18offset_tEEE10hipError_tPvRmT1_PNSt15iterator_traitsISY_E10value_typeET2_T3_PNSZ_IS14_E10value_typeET4_jRbjT5_S1A_jjP12ihipStream_tbEUljE_EEESV_SW_SX_S14_S18_S1A_T6_T7_T9_mT8_S1C_bDpT10_ENKUlT_T0_E_clISt17integral_constantIbLb1EES1P_EEDaS1K_S1L_EUlS1K_E_NS1_11comp_targetILNS1_3genE8ELNS1_11target_archE1030ELNS1_3gpuE2ELNS1_3repE0EEENS1_30default_config_static_selectorELNS0_4arch9wavefront6targetE1EEEvSY_,"axG",@progbits,_ZN7rocprim17ROCPRIM_400000_NS6detail17trampoline_kernelINS0_13select_configILj256ELj13ELNS0_17block_load_methodE3ELS4_3ELS4_3ELNS0_20block_scan_algorithmE0ELj4294967295EEENS1_25partition_config_selectorILNS1_17partition_subalgoE3EjNS0_10empty_typeEbEEZZNS1_14partition_implILS8_3ELb0ES6_jNS0_17counting_iteratorIjlEEPS9_SE_NS0_5tupleIJPjSE_EEENSF_IJSE_SE_EEES9_SG_JZNS1_25segmented_radix_sort_implINS0_14default_configELb1EPKfPfPKlPlN2at6native12_GLOBAL__N_18offset_tEEE10hipError_tPvRmT1_PNSt15iterator_traitsISY_E10value_typeET2_T3_PNSZ_IS14_E10value_typeET4_jRbjT5_S1A_jjP12ihipStream_tbEUljE_EEESV_SW_SX_S14_S18_S1A_T6_T7_T9_mT8_S1C_bDpT10_ENKUlT_T0_E_clISt17integral_constantIbLb1EES1P_EEDaS1K_S1L_EUlS1K_E_NS1_11comp_targetILNS1_3genE8ELNS1_11target_archE1030ELNS1_3gpuE2ELNS1_3repE0EEENS1_30default_config_static_selectorELNS0_4arch9wavefront6targetE1EEEvSY_,comdat
	.globl	_ZN7rocprim17ROCPRIM_400000_NS6detail17trampoline_kernelINS0_13select_configILj256ELj13ELNS0_17block_load_methodE3ELS4_3ELS4_3ELNS0_20block_scan_algorithmE0ELj4294967295EEENS1_25partition_config_selectorILNS1_17partition_subalgoE3EjNS0_10empty_typeEbEEZZNS1_14partition_implILS8_3ELb0ES6_jNS0_17counting_iteratorIjlEEPS9_SE_NS0_5tupleIJPjSE_EEENSF_IJSE_SE_EEES9_SG_JZNS1_25segmented_radix_sort_implINS0_14default_configELb1EPKfPfPKlPlN2at6native12_GLOBAL__N_18offset_tEEE10hipError_tPvRmT1_PNSt15iterator_traitsISY_E10value_typeET2_T3_PNSZ_IS14_E10value_typeET4_jRbjT5_S1A_jjP12ihipStream_tbEUljE_EEESV_SW_SX_S14_S18_S1A_T6_T7_T9_mT8_S1C_bDpT10_ENKUlT_T0_E_clISt17integral_constantIbLb1EES1P_EEDaS1K_S1L_EUlS1K_E_NS1_11comp_targetILNS1_3genE8ELNS1_11target_archE1030ELNS1_3gpuE2ELNS1_3repE0EEENS1_30default_config_static_selectorELNS0_4arch9wavefront6targetE1EEEvSY_ ; -- Begin function _ZN7rocprim17ROCPRIM_400000_NS6detail17trampoline_kernelINS0_13select_configILj256ELj13ELNS0_17block_load_methodE3ELS4_3ELS4_3ELNS0_20block_scan_algorithmE0ELj4294967295EEENS1_25partition_config_selectorILNS1_17partition_subalgoE3EjNS0_10empty_typeEbEEZZNS1_14partition_implILS8_3ELb0ES6_jNS0_17counting_iteratorIjlEEPS9_SE_NS0_5tupleIJPjSE_EEENSF_IJSE_SE_EEES9_SG_JZNS1_25segmented_radix_sort_implINS0_14default_configELb1EPKfPfPKlPlN2at6native12_GLOBAL__N_18offset_tEEE10hipError_tPvRmT1_PNSt15iterator_traitsISY_E10value_typeET2_T3_PNSZ_IS14_E10value_typeET4_jRbjT5_S1A_jjP12ihipStream_tbEUljE_EEESV_SW_SX_S14_S18_S1A_T6_T7_T9_mT8_S1C_bDpT10_ENKUlT_T0_E_clISt17integral_constantIbLb1EES1P_EEDaS1K_S1L_EUlS1K_E_NS1_11comp_targetILNS1_3genE8ELNS1_11target_archE1030ELNS1_3gpuE2ELNS1_3repE0EEENS1_30default_config_static_selectorELNS0_4arch9wavefront6targetE1EEEvSY_
	.p2align	8
	.type	_ZN7rocprim17ROCPRIM_400000_NS6detail17trampoline_kernelINS0_13select_configILj256ELj13ELNS0_17block_load_methodE3ELS4_3ELS4_3ELNS0_20block_scan_algorithmE0ELj4294967295EEENS1_25partition_config_selectorILNS1_17partition_subalgoE3EjNS0_10empty_typeEbEEZZNS1_14partition_implILS8_3ELb0ES6_jNS0_17counting_iteratorIjlEEPS9_SE_NS0_5tupleIJPjSE_EEENSF_IJSE_SE_EEES9_SG_JZNS1_25segmented_radix_sort_implINS0_14default_configELb1EPKfPfPKlPlN2at6native12_GLOBAL__N_18offset_tEEE10hipError_tPvRmT1_PNSt15iterator_traitsISY_E10value_typeET2_T3_PNSZ_IS14_E10value_typeET4_jRbjT5_S1A_jjP12ihipStream_tbEUljE_EEESV_SW_SX_S14_S18_S1A_T6_T7_T9_mT8_S1C_bDpT10_ENKUlT_T0_E_clISt17integral_constantIbLb1EES1P_EEDaS1K_S1L_EUlS1K_E_NS1_11comp_targetILNS1_3genE8ELNS1_11target_archE1030ELNS1_3gpuE2ELNS1_3repE0EEENS1_30default_config_static_selectorELNS0_4arch9wavefront6targetE1EEEvSY_,@function
_ZN7rocprim17ROCPRIM_400000_NS6detail17trampoline_kernelINS0_13select_configILj256ELj13ELNS0_17block_load_methodE3ELS4_3ELS4_3ELNS0_20block_scan_algorithmE0ELj4294967295EEENS1_25partition_config_selectorILNS1_17partition_subalgoE3EjNS0_10empty_typeEbEEZZNS1_14partition_implILS8_3ELb0ES6_jNS0_17counting_iteratorIjlEEPS9_SE_NS0_5tupleIJPjSE_EEENSF_IJSE_SE_EEES9_SG_JZNS1_25segmented_radix_sort_implINS0_14default_configELb1EPKfPfPKlPlN2at6native12_GLOBAL__N_18offset_tEEE10hipError_tPvRmT1_PNSt15iterator_traitsISY_E10value_typeET2_T3_PNSZ_IS14_E10value_typeET4_jRbjT5_S1A_jjP12ihipStream_tbEUljE_EEESV_SW_SX_S14_S18_S1A_T6_T7_T9_mT8_S1C_bDpT10_ENKUlT_T0_E_clISt17integral_constantIbLb1EES1P_EEDaS1K_S1L_EUlS1K_E_NS1_11comp_targetILNS1_3genE8ELNS1_11target_archE1030ELNS1_3gpuE2ELNS1_3repE0EEENS1_30default_config_static_selectorELNS0_4arch9wavefront6targetE1EEEvSY_: ; @_ZN7rocprim17ROCPRIM_400000_NS6detail17trampoline_kernelINS0_13select_configILj256ELj13ELNS0_17block_load_methodE3ELS4_3ELS4_3ELNS0_20block_scan_algorithmE0ELj4294967295EEENS1_25partition_config_selectorILNS1_17partition_subalgoE3EjNS0_10empty_typeEbEEZZNS1_14partition_implILS8_3ELb0ES6_jNS0_17counting_iteratorIjlEEPS9_SE_NS0_5tupleIJPjSE_EEENSF_IJSE_SE_EEES9_SG_JZNS1_25segmented_radix_sort_implINS0_14default_configELb1EPKfPfPKlPlN2at6native12_GLOBAL__N_18offset_tEEE10hipError_tPvRmT1_PNSt15iterator_traitsISY_E10value_typeET2_T3_PNSZ_IS14_E10value_typeET4_jRbjT5_S1A_jjP12ihipStream_tbEUljE_EEESV_SW_SX_S14_S18_S1A_T6_T7_T9_mT8_S1C_bDpT10_ENKUlT_T0_E_clISt17integral_constantIbLb1EES1P_EEDaS1K_S1L_EUlS1K_E_NS1_11comp_targetILNS1_3genE8ELNS1_11target_archE1030ELNS1_3gpuE2ELNS1_3repE0EEENS1_30default_config_static_selectorELNS0_4arch9wavefront6targetE1EEEvSY_
; %bb.0:
	.section	.rodata,"a",@progbits
	.p2align	6, 0x0
	.amdhsa_kernel _ZN7rocprim17ROCPRIM_400000_NS6detail17trampoline_kernelINS0_13select_configILj256ELj13ELNS0_17block_load_methodE3ELS4_3ELS4_3ELNS0_20block_scan_algorithmE0ELj4294967295EEENS1_25partition_config_selectorILNS1_17partition_subalgoE3EjNS0_10empty_typeEbEEZZNS1_14partition_implILS8_3ELb0ES6_jNS0_17counting_iteratorIjlEEPS9_SE_NS0_5tupleIJPjSE_EEENSF_IJSE_SE_EEES9_SG_JZNS1_25segmented_radix_sort_implINS0_14default_configELb1EPKfPfPKlPlN2at6native12_GLOBAL__N_18offset_tEEE10hipError_tPvRmT1_PNSt15iterator_traitsISY_E10value_typeET2_T3_PNSZ_IS14_E10value_typeET4_jRbjT5_S1A_jjP12ihipStream_tbEUljE_EEESV_SW_SX_S14_S18_S1A_T6_T7_T9_mT8_S1C_bDpT10_ENKUlT_T0_E_clISt17integral_constantIbLb1EES1P_EEDaS1K_S1L_EUlS1K_E_NS1_11comp_targetILNS1_3genE8ELNS1_11target_archE1030ELNS1_3gpuE2ELNS1_3repE0EEENS1_30default_config_static_selectorELNS0_4arch9wavefront6targetE1EEEvSY_
		.amdhsa_group_segment_fixed_size 0
		.amdhsa_private_segment_fixed_size 0
		.amdhsa_kernarg_size 152
		.amdhsa_user_sgpr_count 6
		.amdhsa_user_sgpr_private_segment_buffer 1
		.amdhsa_user_sgpr_dispatch_ptr 0
		.amdhsa_user_sgpr_queue_ptr 0
		.amdhsa_user_sgpr_kernarg_segment_ptr 1
		.amdhsa_user_sgpr_dispatch_id 0
		.amdhsa_user_sgpr_flat_scratch_init 0
		.amdhsa_user_sgpr_kernarg_preload_length 0
		.amdhsa_user_sgpr_kernarg_preload_offset 0
		.amdhsa_user_sgpr_private_segment_size 0
		.amdhsa_uses_dynamic_stack 0
		.amdhsa_system_sgpr_private_segment_wavefront_offset 0
		.amdhsa_system_sgpr_workgroup_id_x 1
		.amdhsa_system_sgpr_workgroup_id_y 0
		.amdhsa_system_sgpr_workgroup_id_z 0
		.amdhsa_system_sgpr_workgroup_info 0
		.amdhsa_system_vgpr_workitem_id 0
		.amdhsa_next_free_vgpr 1
		.amdhsa_next_free_sgpr 0
		.amdhsa_accum_offset 4
		.amdhsa_reserve_vcc 0
		.amdhsa_reserve_flat_scratch 0
		.amdhsa_float_round_mode_32 0
		.amdhsa_float_round_mode_16_64 0
		.amdhsa_float_denorm_mode_32 3
		.amdhsa_float_denorm_mode_16_64 3
		.amdhsa_dx10_clamp 1
		.amdhsa_ieee_mode 1
		.amdhsa_fp16_overflow 0
		.amdhsa_tg_split 0
		.amdhsa_exception_fp_ieee_invalid_op 0
		.amdhsa_exception_fp_denorm_src 0
		.amdhsa_exception_fp_ieee_div_zero 0
		.amdhsa_exception_fp_ieee_overflow 0
		.amdhsa_exception_fp_ieee_underflow 0
		.amdhsa_exception_fp_ieee_inexact 0
		.amdhsa_exception_int_div_zero 0
	.end_amdhsa_kernel
	.section	.text._ZN7rocprim17ROCPRIM_400000_NS6detail17trampoline_kernelINS0_13select_configILj256ELj13ELNS0_17block_load_methodE3ELS4_3ELS4_3ELNS0_20block_scan_algorithmE0ELj4294967295EEENS1_25partition_config_selectorILNS1_17partition_subalgoE3EjNS0_10empty_typeEbEEZZNS1_14partition_implILS8_3ELb0ES6_jNS0_17counting_iteratorIjlEEPS9_SE_NS0_5tupleIJPjSE_EEENSF_IJSE_SE_EEES9_SG_JZNS1_25segmented_radix_sort_implINS0_14default_configELb1EPKfPfPKlPlN2at6native12_GLOBAL__N_18offset_tEEE10hipError_tPvRmT1_PNSt15iterator_traitsISY_E10value_typeET2_T3_PNSZ_IS14_E10value_typeET4_jRbjT5_S1A_jjP12ihipStream_tbEUljE_EEESV_SW_SX_S14_S18_S1A_T6_T7_T9_mT8_S1C_bDpT10_ENKUlT_T0_E_clISt17integral_constantIbLb1EES1P_EEDaS1K_S1L_EUlS1K_E_NS1_11comp_targetILNS1_3genE8ELNS1_11target_archE1030ELNS1_3gpuE2ELNS1_3repE0EEENS1_30default_config_static_selectorELNS0_4arch9wavefront6targetE1EEEvSY_,"axG",@progbits,_ZN7rocprim17ROCPRIM_400000_NS6detail17trampoline_kernelINS0_13select_configILj256ELj13ELNS0_17block_load_methodE3ELS4_3ELS4_3ELNS0_20block_scan_algorithmE0ELj4294967295EEENS1_25partition_config_selectorILNS1_17partition_subalgoE3EjNS0_10empty_typeEbEEZZNS1_14partition_implILS8_3ELb0ES6_jNS0_17counting_iteratorIjlEEPS9_SE_NS0_5tupleIJPjSE_EEENSF_IJSE_SE_EEES9_SG_JZNS1_25segmented_radix_sort_implINS0_14default_configELb1EPKfPfPKlPlN2at6native12_GLOBAL__N_18offset_tEEE10hipError_tPvRmT1_PNSt15iterator_traitsISY_E10value_typeET2_T3_PNSZ_IS14_E10value_typeET4_jRbjT5_S1A_jjP12ihipStream_tbEUljE_EEESV_SW_SX_S14_S18_S1A_T6_T7_T9_mT8_S1C_bDpT10_ENKUlT_T0_E_clISt17integral_constantIbLb1EES1P_EEDaS1K_S1L_EUlS1K_E_NS1_11comp_targetILNS1_3genE8ELNS1_11target_archE1030ELNS1_3gpuE2ELNS1_3repE0EEENS1_30default_config_static_selectorELNS0_4arch9wavefront6targetE1EEEvSY_,comdat
.Lfunc_end1306:
	.size	_ZN7rocprim17ROCPRIM_400000_NS6detail17trampoline_kernelINS0_13select_configILj256ELj13ELNS0_17block_load_methodE3ELS4_3ELS4_3ELNS0_20block_scan_algorithmE0ELj4294967295EEENS1_25partition_config_selectorILNS1_17partition_subalgoE3EjNS0_10empty_typeEbEEZZNS1_14partition_implILS8_3ELb0ES6_jNS0_17counting_iteratorIjlEEPS9_SE_NS0_5tupleIJPjSE_EEENSF_IJSE_SE_EEES9_SG_JZNS1_25segmented_radix_sort_implINS0_14default_configELb1EPKfPfPKlPlN2at6native12_GLOBAL__N_18offset_tEEE10hipError_tPvRmT1_PNSt15iterator_traitsISY_E10value_typeET2_T3_PNSZ_IS14_E10value_typeET4_jRbjT5_S1A_jjP12ihipStream_tbEUljE_EEESV_SW_SX_S14_S18_S1A_T6_T7_T9_mT8_S1C_bDpT10_ENKUlT_T0_E_clISt17integral_constantIbLb1EES1P_EEDaS1K_S1L_EUlS1K_E_NS1_11comp_targetILNS1_3genE8ELNS1_11target_archE1030ELNS1_3gpuE2ELNS1_3repE0EEENS1_30default_config_static_selectorELNS0_4arch9wavefront6targetE1EEEvSY_, .Lfunc_end1306-_ZN7rocprim17ROCPRIM_400000_NS6detail17trampoline_kernelINS0_13select_configILj256ELj13ELNS0_17block_load_methodE3ELS4_3ELS4_3ELNS0_20block_scan_algorithmE0ELj4294967295EEENS1_25partition_config_selectorILNS1_17partition_subalgoE3EjNS0_10empty_typeEbEEZZNS1_14partition_implILS8_3ELb0ES6_jNS0_17counting_iteratorIjlEEPS9_SE_NS0_5tupleIJPjSE_EEENSF_IJSE_SE_EEES9_SG_JZNS1_25segmented_radix_sort_implINS0_14default_configELb1EPKfPfPKlPlN2at6native12_GLOBAL__N_18offset_tEEE10hipError_tPvRmT1_PNSt15iterator_traitsISY_E10value_typeET2_T3_PNSZ_IS14_E10value_typeET4_jRbjT5_S1A_jjP12ihipStream_tbEUljE_EEESV_SW_SX_S14_S18_S1A_T6_T7_T9_mT8_S1C_bDpT10_ENKUlT_T0_E_clISt17integral_constantIbLb1EES1P_EEDaS1K_S1L_EUlS1K_E_NS1_11comp_targetILNS1_3genE8ELNS1_11target_archE1030ELNS1_3gpuE2ELNS1_3repE0EEENS1_30default_config_static_selectorELNS0_4arch9wavefront6targetE1EEEvSY_
                                        ; -- End function
	.section	.AMDGPU.csdata,"",@progbits
; Kernel info:
; codeLenInByte = 0
; NumSgprs: 4
; NumVgprs: 0
; NumAgprs: 0
; TotalNumVgprs: 0
; ScratchSize: 0
; MemoryBound: 0
; FloatMode: 240
; IeeeMode: 1
; LDSByteSize: 0 bytes/workgroup (compile time only)
; SGPRBlocks: 0
; VGPRBlocks: 0
; NumSGPRsForWavesPerEU: 4
; NumVGPRsForWavesPerEU: 1
; AccumOffset: 4
; Occupancy: 8
; WaveLimiterHint : 0
; COMPUTE_PGM_RSRC2:SCRATCH_EN: 0
; COMPUTE_PGM_RSRC2:USER_SGPR: 6
; COMPUTE_PGM_RSRC2:TRAP_HANDLER: 0
; COMPUTE_PGM_RSRC2:TGID_X_EN: 1
; COMPUTE_PGM_RSRC2:TGID_Y_EN: 0
; COMPUTE_PGM_RSRC2:TGID_Z_EN: 0
; COMPUTE_PGM_RSRC2:TIDIG_COMP_CNT: 0
; COMPUTE_PGM_RSRC3_GFX90A:ACCUM_OFFSET: 0
; COMPUTE_PGM_RSRC3_GFX90A:TG_SPLIT: 0
	.section	.text._ZN7rocprim17ROCPRIM_400000_NS6detail17trampoline_kernelINS0_13select_configILj256ELj13ELNS0_17block_load_methodE3ELS4_3ELS4_3ELNS0_20block_scan_algorithmE0ELj4294967295EEENS1_25partition_config_selectorILNS1_17partition_subalgoE3EjNS0_10empty_typeEbEEZZNS1_14partition_implILS8_3ELb0ES6_jNS0_17counting_iteratorIjlEEPS9_SE_NS0_5tupleIJPjSE_EEENSF_IJSE_SE_EEES9_SG_JZNS1_25segmented_radix_sort_implINS0_14default_configELb1EPKfPfPKlPlN2at6native12_GLOBAL__N_18offset_tEEE10hipError_tPvRmT1_PNSt15iterator_traitsISY_E10value_typeET2_T3_PNSZ_IS14_E10value_typeET4_jRbjT5_S1A_jjP12ihipStream_tbEUljE_EEESV_SW_SX_S14_S18_S1A_T6_T7_T9_mT8_S1C_bDpT10_ENKUlT_T0_E_clISt17integral_constantIbLb1EES1O_IbLb0EEEEDaS1K_S1L_EUlS1K_E_NS1_11comp_targetILNS1_3genE0ELNS1_11target_archE4294967295ELNS1_3gpuE0ELNS1_3repE0EEENS1_30default_config_static_selectorELNS0_4arch9wavefront6targetE1EEEvSY_,"axG",@progbits,_ZN7rocprim17ROCPRIM_400000_NS6detail17trampoline_kernelINS0_13select_configILj256ELj13ELNS0_17block_load_methodE3ELS4_3ELS4_3ELNS0_20block_scan_algorithmE0ELj4294967295EEENS1_25partition_config_selectorILNS1_17partition_subalgoE3EjNS0_10empty_typeEbEEZZNS1_14partition_implILS8_3ELb0ES6_jNS0_17counting_iteratorIjlEEPS9_SE_NS0_5tupleIJPjSE_EEENSF_IJSE_SE_EEES9_SG_JZNS1_25segmented_radix_sort_implINS0_14default_configELb1EPKfPfPKlPlN2at6native12_GLOBAL__N_18offset_tEEE10hipError_tPvRmT1_PNSt15iterator_traitsISY_E10value_typeET2_T3_PNSZ_IS14_E10value_typeET4_jRbjT5_S1A_jjP12ihipStream_tbEUljE_EEESV_SW_SX_S14_S18_S1A_T6_T7_T9_mT8_S1C_bDpT10_ENKUlT_T0_E_clISt17integral_constantIbLb1EES1O_IbLb0EEEEDaS1K_S1L_EUlS1K_E_NS1_11comp_targetILNS1_3genE0ELNS1_11target_archE4294967295ELNS1_3gpuE0ELNS1_3repE0EEENS1_30default_config_static_selectorELNS0_4arch9wavefront6targetE1EEEvSY_,comdat
	.globl	_ZN7rocprim17ROCPRIM_400000_NS6detail17trampoline_kernelINS0_13select_configILj256ELj13ELNS0_17block_load_methodE3ELS4_3ELS4_3ELNS0_20block_scan_algorithmE0ELj4294967295EEENS1_25partition_config_selectorILNS1_17partition_subalgoE3EjNS0_10empty_typeEbEEZZNS1_14partition_implILS8_3ELb0ES6_jNS0_17counting_iteratorIjlEEPS9_SE_NS0_5tupleIJPjSE_EEENSF_IJSE_SE_EEES9_SG_JZNS1_25segmented_radix_sort_implINS0_14default_configELb1EPKfPfPKlPlN2at6native12_GLOBAL__N_18offset_tEEE10hipError_tPvRmT1_PNSt15iterator_traitsISY_E10value_typeET2_T3_PNSZ_IS14_E10value_typeET4_jRbjT5_S1A_jjP12ihipStream_tbEUljE_EEESV_SW_SX_S14_S18_S1A_T6_T7_T9_mT8_S1C_bDpT10_ENKUlT_T0_E_clISt17integral_constantIbLb1EES1O_IbLb0EEEEDaS1K_S1L_EUlS1K_E_NS1_11comp_targetILNS1_3genE0ELNS1_11target_archE4294967295ELNS1_3gpuE0ELNS1_3repE0EEENS1_30default_config_static_selectorELNS0_4arch9wavefront6targetE1EEEvSY_ ; -- Begin function _ZN7rocprim17ROCPRIM_400000_NS6detail17trampoline_kernelINS0_13select_configILj256ELj13ELNS0_17block_load_methodE3ELS4_3ELS4_3ELNS0_20block_scan_algorithmE0ELj4294967295EEENS1_25partition_config_selectorILNS1_17partition_subalgoE3EjNS0_10empty_typeEbEEZZNS1_14partition_implILS8_3ELb0ES6_jNS0_17counting_iteratorIjlEEPS9_SE_NS0_5tupleIJPjSE_EEENSF_IJSE_SE_EEES9_SG_JZNS1_25segmented_radix_sort_implINS0_14default_configELb1EPKfPfPKlPlN2at6native12_GLOBAL__N_18offset_tEEE10hipError_tPvRmT1_PNSt15iterator_traitsISY_E10value_typeET2_T3_PNSZ_IS14_E10value_typeET4_jRbjT5_S1A_jjP12ihipStream_tbEUljE_EEESV_SW_SX_S14_S18_S1A_T6_T7_T9_mT8_S1C_bDpT10_ENKUlT_T0_E_clISt17integral_constantIbLb1EES1O_IbLb0EEEEDaS1K_S1L_EUlS1K_E_NS1_11comp_targetILNS1_3genE0ELNS1_11target_archE4294967295ELNS1_3gpuE0ELNS1_3repE0EEENS1_30default_config_static_selectorELNS0_4arch9wavefront6targetE1EEEvSY_
	.p2align	8
	.type	_ZN7rocprim17ROCPRIM_400000_NS6detail17trampoline_kernelINS0_13select_configILj256ELj13ELNS0_17block_load_methodE3ELS4_3ELS4_3ELNS0_20block_scan_algorithmE0ELj4294967295EEENS1_25partition_config_selectorILNS1_17partition_subalgoE3EjNS0_10empty_typeEbEEZZNS1_14partition_implILS8_3ELb0ES6_jNS0_17counting_iteratorIjlEEPS9_SE_NS0_5tupleIJPjSE_EEENSF_IJSE_SE_EEES9_SG_JZNS1_25segmented_radix_sort_implINS0_14default_configELb1EPKfPfPKlPlN2at6native12_GLOBAL__N_18offset_tEEE10hipError_tPvRmT1_PNSt15iterator_traitsISY_E10value_typeET2_T3_PNSZ_IS14_E10value_typeET4_jRbjT5_S1A_jjP12ihipStream_tbEUljE_EEESV_SW_SX_S14_S18_S1A_T6_T7_T9_mT8_S1C_bDpT10_ENKUlT_T0_E_clISt17integral_constantIbLb1EES1O_IbLb0EEEEDaS1K_S1L_EUlS1K_E_NS1_11comp_targetILNS1_3genE0ELNS1_11target_archE4294967295ELNS1_3gpuE0ELNS1_3repE0EEENS1_30default_config_static_selectorELNS0_4arch9wavefront6targetE1EEEvSY_,@function
_ZN7rocprim17ROCPRIM_400000_NS6detail17trampoline_kernelINS0_13select_configILj256ELj13ELNS0_17block_load_methodE3ELS4_3ELS4_3ELNS0_20block_scan_algorithmE0ELj4294967295EEENS1_25partition_config_selectorILNS1_17partition_subalgoE3EjNS0_10empty_typeEbEEZZNS1_14partition_implILS8_3ELb0ES6_jNS0_17counting_iteratorIjlEEPS9_SE_NS0_5tupleIJPjSE_EEENSF_IJSE_SE_EEES9_SG_JZNS1_25segmented_radix_sort_implINS0_14default_configELb1EPKfPfPKlPlN2at6native12_GLOBAL__N_18offset_tEEE10hipError_tPvRmT1_PNSt15iterator_traitsISY_E10value_typeET2_T3_PNSZ_IS14_E10value_typeET4_jRbjT5_S1A_jjP12ihipStream_tbEUljE_EEESV_SW_SX_S14_S18_S1A_T6_T7_T9_mT8_S1C_bDpT10_ENKUlT_T0_E_clISt17integral_constantIbLb1EES1O_IbLb0EEEEDaS1K_S1L_EUlS1K_E_NS1_11comp_targetILNS1_3genE0ELNS1_11target_archE4294967295ELNS1_3gpuE0ELNS1_3repE0EEENS1_30default_config_static_selectorELNS0_4arch9wavefront6targetE1EEEvSY_: ; @_ZN7rocprim17ROCPRIM_400000_NS6detail17trampoline_kernelINS0_13select_configILj256ELj13ELNS0_17block_load_methodE3ELS4_3ELS4_3ELNS0_20block_scan_algorithmE0ELj4294967295EEENS1_25partition_config_selectorILNS1_17partition_subalgoE3EjNS0_10empty_typeEbEEZZNS1_14partition_implILS8_3ELb0ES6_jNS0_17counting_iteratorIjlEEPS9_SE_NS0_5tupleIJPjSE_EEENSF_IJSE_SE_EEES9_SG_JZNS1_25segmented_radix_sort_implINS0_14default_configELb1EPKfPfPKlPlN2at6native12_GLOBAL__N_18offset_tEEE10hipError_tPvRmT1_PNSt15iterator_traitsISY_E10value_typeET2_T3_PNSZ_IS14_E10value_typeET4_jRbjT5_S1A_jjP12ihipStream_tbEUljE_EEESV_SW_SX_S14_S18_S1A_T6_T7_T9_mT8_S1C_bDpT10_ENKUlT_T0_E_clISt17integral_constantIbLb1EES1O_IbLb0EEEEDaS1K_S1L_EUlS1K_E_NS1_11comp_targetILNS1_3genE0ELNS1_11target_archE4294967295ELNS1_3gpuE0ELNS1_3repE0EEENS1_30default_config_static_selectorELNS0_4arch9wavefront6targetE1EEEvSY_
; %bb.0:
	.section	.rodata,"a",@progbits
	.p2align	6, 0x0
	.amdhsa_kernel _ZN7rocprim17ROCPRIM_400000_NS6detail17trampoline_kernelINS0_13select_configILj256ELj13ELNS0_17block_load_methodE3ELS4_3ELS4_3ELNS0_20block_scan_algorithmE0ELj4294967295EEENS1_25partition_config_selectorILNS1_17partition_subalgoE3EjNS0_10empty_typeEbEEZZNS1_14partition_implILS8_3ELb0ES6_jNS0_17counting_iteratorIjlEEPS9_SE_NS0_5tupleIJPjSE_EEENSF_IJSE_SE_EEES9_SG_JZNS1_25segmented_radix_sort_implINS0_14default_configELb1EPKfPfPKlPlN2at6native12_GLOBAL__N_18offset_tEEE10hipError_tPvRmT1_PNSt15iterator_traitsISY_E10value_typeET2_T3_PNSZ_IS14_E10value_typeET4_jRbjT5_S1A_jjP12ihipStream_tbEUljE_EEESV_SW_SX_S14_S18_S1A_T6_T7_T9_mT8_S1C_bDpT10_ENKUlT_T0_E_clISt17integral_constantIbLb1EES1O_IbLb0EEEEDaS1K_S1L_EUlS1K_E_NS1_11comp_targetILNS1_3genE0ELNS1_11target_archE4294967295ELNS1_3gpuE0ELNS1_3repE0EEENS1_30default_config_static_selectorELNS0_4arch9wavefront6targetE1EEEvSY_
		.amdhsa_group_segment_fixed_size 0
		.amdhsa_private_segment_fixed_size 0
		.amdhsa_kernarg_size 144
		.amdhsa_user_sgpr_count 6
		.amdhsa_user_sgpr_private_segment_buffer 1
		.amdhsa_user_sgpr_dispatch_ptr 0
		.amdhsa_user_sgpr_queue_ptr 0
		.amdhsa_user_sgpr_kernarg_segment_ptr 1
		.amdhsa_user_sgpr_dispatch_id 0
		.amdhsa_user_sgpr_flat_scratch_init 0
		.amdhsa_user_sgpr_kernarg_preload_length 0
		.amdhsa_user_sgpr_kernarg_preload_offset 0
		.amdhsa_user_sgpr_private_segment_size 0
		.amdhsa_uses_dynamic_stack 0
		.amdhsa_system_sgpr_private_segment_wavefront_offset 0
		.amdhsa_system_sgpr_workgroup_id_x 1
		.amdhsa_system_sgpr_workgroup_id_y 0
		.amdhsa_system_sgpr_workgroup_id_z 0
		.amdhsa_system_sgpr_workgroup_info 0
		.amdhsa_system_vgpr_workitem_id 0
		.amdhsa_next_free_vgpr 1
		.amdhsa_next_free_sgpr 0
		.amdhsa_accum_offset 4
		.amdhsa_reserve_vcc 0
		.amdhsa_reserve_flat_scratch 0
		.amdhsa_float_round_mode_32 0
		.amdhsa_float_round_mode_16_64 0
		.amdhsa_float_denorm_mode_32 3
		.amdhsa_float_denorm_mode_16_64 3
		.amdhsa_dx10_clamp 1
		.amdhsa_ieee_mode 1
		.amdhsa_fp16_overflow 0
		.amdhsa_tg_split 0
		.amdhsa_exception_fp_ieee_invalid_op 0
		.amdhsa_exception_fp_denorm_src 0
		.amdhsa_exception_fp_ieee_div_zero 0
		.amdhsa_exception_fp_ieee_overflow 0
		.amdhsa_exception_fp_ieee_underflow 0
		.amdhsa_exception_fp_ieee_inexact 0
		.amdhsa_exception_int_div_zero 0
	.end_amdhsa_kernel
	.section	.text._ZN7rocprim17ROCPRIM_400000_NS6detail17trampoline_kernelINS0_13select_configILj256ELj13ELNS0_17block_load_methodE3ELS4_3ELS4_3ELNS0_20block_scan_algorithmE0ELj4294967295EEENS1_25partition_config_selectorILNS1_17partition_subalgoE3EjNS0_10empty_typeEbEEZZNS1_14partition_implILS8_3ELb0ES6_jNS0_17counting_iteratorIjlEEPS9_SE_NS0_5tupleIJPjSE_EEENSF_IJSE_SE_EEES9_SG_JZNS1_25segmented_radix_sort_implINS0_14default_configELb1EPKfPfPKlPlN2at6native12_GLOBAL__N_18offset_tEEE10hipError_tPvRmT1_PNSt15iterator_traitsISY_E10value_typeET2_T3_PNSZ_IS14_E10value_typeET4_jRbjT5_S1A_jjP12ihipStream_tbEUljE_EEESV_SW_SX_S14_S18_S1A_T6_T7_T9_mT8_S1C_bDpT10_ENKUlT_T0_E_clISt17integral_constantIbLb1EES1O_IbLb0EEEEDaS1K_S1L_EUlS1K_E_NS1_11comp_targetILNS1_3genE0ELNS1_11target_archE4294967295ELNS1_3gpuE0ELNS1_3repE0EEENS1_30default_config_static_selectorELNS0_4arch9wavefront6targetE1EEEvSY_,"axG",@progbits,_ZN7rocprim17ROCPRIM_400000_NS6detail17trampoline_kernelINS0_13select_configILj256ELj13ELNS0_17block_load_methodE3ELS4_3ELS4_3ELNS0_20block_scan_algorithmE0ELj4294967295EEENS1_25partition_config_selectorILNS1_17partition_subalgoE3EjNS0_10empty_typeEbEEZZNS1_14partition_implILS8_3ELb0ES6_jNS0_17counting_iteratorIjlEEPS9_SE_NS0_5tupleIJPjSE_EEENSF_IJSE_SE_EEES9_SG_JZNS1_25segmented_radix_sort_implINS0_14default_configELb1EPKfPfPKlPlN2at6native12_GLOBAL__N_18offset_tEEE10hipError_tPvRmT1_PNSt15iterator_traitsISY_E10value_typeET2_T3_PNSZ_IS14_E10value_typeET4_jRbjT5_S1A_jjP12ihipStream_tbEUljE_EEESV_SW_SX_S14_S18_S1A_T6_T7_T9_mT8_S1C_bDpT10_ENKUlT_T0_E_clISt17integral_constantIbLb1EES1O_IbLb0EEEEDaS1K_S1L_EUlS1K_E_NS1_11comp_targetILNS1_3genE0ELNS1_11target_archE4294967295ELNS1_3gpuE0ELNS1_3repE0EEENS1_30default_config_static_selectorELNS0_4arch9wavefront6targetE1EEEvSY_,comdat
.Lfunc_end1307:
	.size	_ZN7rocprim17ROCPRIM_400000_NS6detail17trampoline_kernelINS0_13select_configILj256ELj13ELNS0_17block_load_methodE3ELS4_3ELS4_3ELNS0_20block_scan_algorithmE0ELj4294967295EEENS1_25partition_config_selectorILNS1_17partition_subalgoE3EjNS0_10empty_typeEbEEZZNS1_14partition_implILS8_3ELb0ES6_jNS0_17counting_iteratorIjlEEPS9_SE_NS0_5tupleIJPjSE_EEENSF_IJSE_SE_EEES9_SG_JZNS1_25segmented_radix_sort_implINS0_14default_configELb1EPKfPfPKlPlN2at6native12_GLOBAL__N_18offset_tEEE10hipError_tPvRmT1_PNSt15iterator_traitsISY_E10value_typeET2_T3_PNSZ_IS14_E10value_typeET4_jRbjT5_S1A_jjP12ihipStream_tbEUljE_EEESV_SW_SX_S14_S18_S1A_T6_T7_T9_mT8_S1C_bDpT10_ENKUlT_T0_E_clISt17integral_constantIbLb1EES1O_IbLb0EEEEDaS1K_S1L_EUlS1K_E_NS1_11comp_targetILNS1_3genE0ELNS1_11target_archE4294967295ELNS1_3gpuE0ELNS1_3repE0EEENS1_30default_config_static_selectorELNS0_4arch9wavefront6targetE1EEEvSY_, .Lfunc_end1307-_ZN7rocprim17ROCPRIM_400000_NS6detail17trampoline_kernelINS0_13select_configILj256ELj13ELNS0_17block_load_methodE3ELS4_3ELS4_3ELNS0_20block_scan_algorithmE0ELj4294967295EEENS1_25partition_config_selectorILNS1_17partition_subalgoE3EjNS0_10empty_typeEbEEZZNS1_14partition_implILS8_3ELb0ES6_jNS0_17counting_iteratorIjlEEPS9_SE_NS0_5tupleIJPjSE_EEENSF_IJSE_SE_EEES9_SG_JZNS1_25segmented_radix_sort_implINS0_14default_configELb1EPKfPfPKlPlN2at6native12_GLOBAL__N_18offset_tEEE10hipError_tPvRmT1_PNSt15iterator_traitsISY_E10value_typeET2_T3_PNSZ_IS14_E10value_typeET4_jRbjT5_S1A_jjP12ihipStream_tbEUljE_EEESV_SW_SX_S14_S18_S1A_T6_T7_T9_mT8_S1C_bDpT10_ENKUlT_T0_E_clISt17integral_constantIbLb1EES1O_IbLb0EEEEDaS1K_S1L_EUlS1K_E_NS1_11comp_targetILNS1_3genE0ELNS1_11target_archE4294967295ELNS1_3gpuE0ELNS1_3repE0EEENS1_30default_config_static_selectorELNS0_4arch9wavefront6targetE1EEEvSY_
                                        ; -- End function
	.section	.AMDGPU.csdata,"",@progbits
; Kernel info:
; codeLenInByte = 0
; NumSgprs: 4
; NumVgprs: 0
; NumAgprs: 0
; TotalNumVgprs: 0
; ScratchSize: 0
; MemoryBound: 0
; FloatMode: 240
; IeeeMode: 1
; LDSByteSize: 0 bytes/workgroup (compile time only)
; SGPRBlocks: 0
; VGPRBlocks: 0
; NumSGPRsForWavesPerEU: 4
; NumVGPRsForWavesPerEU: 1
; AccumOffset: 4
; Occupancy: 8
; WaveLimiterHint : 0
; COMPUTE_PGM_RSRC2:SCRATCH_EN: 0
; COMPUTE_PGM_RSRC2:USER_SGPR: 6
; COMPUTE_PGM_RSRC2:TRAP_HANDLER: 0
; COMPUTE_PGM_RSRC2:TGID_X_EN: 1
; COMPUTE_PGM_RSRC2:TGID_Y_EN: 0
; COMPUTE_PGM_RSRC2:TGID_Z_EN: 0
; COMPUTE_PGM_RSRC2:TIDIG_COMP_CNT: 0
; COMPUTE_PGM_RSRC3_GFX90A:ACCUM_OFFSET: 0
; COMPUTE_PGM_RSRC3_GFX90A:TG_SPLIT: 0
	.section	.text._ZN7rocprim17ROCPRIM_400000_NS6detail17trampoline_kernelINS0_13select_configILj256ELj13ELNS0_17block_load_methodE3ELS4_3ELS4_3ELNS0_20block_scan_algorithmE0ELj4294967295EEENS1_25partition_config_selectorILNS1_17partition_subalgoE3EjNS0_10empty_typeEbEEZZNS1_14partition_implILS8_3ELb0ES6_jNS0_17counting_iteratorIjlEEPS9_SE_NS0_5tupleIJPjSE_EEENSF_IJSE_SE_EEES9_SG_JZNS1_25segmented_radix_sort_implINS0_14default_configELb1EPKfPfPKlPlN2at6native12_GLOBAL__N_18offset_tEEE10hipError_tPvRmT1_PNSt15iterator_traitsISY_E10value_typeET2_T3_PNSZ_IS14_E10value_typeET4_jRbjT5_S1A_jjP12ihipStream_tbEUljE_EEESV_SW_SX_S14_S18_S1A_T6_T7_T9_mT8_S1C_bDpT10_ENKUlT_T0_E_clISt17integral_constantIbLb1EES1O_IbLb0EEEEDaS1K_S1L_EUlS1K_E_NS1_11comp_targetILNS1_3genE5ELNS1_11target_archE942ELNS1_3gpuE9ELNS1_3repE0EEENS1_30default_config_static_selectorELNS0_4arch9wavefront6targetE1EEEvSY_,"axG",@progbits,_ZN7rocprim17ROCPRIM_400000_NS6detail17trampoline_kernelINS0_13select_configILj256ELj13ELNS0_17block_load_methodE3ELS4_3ELS4_3ELNS0_20block_scan_algorithmE0ELj4294967295EEENS1_25partition_config_selectorILNS1_17partition_subalgoE3EjNS0_10empty_typeEbEEZZNS1_14partition_implILS8_3ELb0ES6_jNS0_17counting_iteratorIjlEEPS9_SE_NS0_5tupleIJPjSE_EEENSF_IJSE_SE_EEES9_SG_JZNS1_25segmented_radix_sort_implINS0_14default_configELb1EPKfPfPKlPlN2at6native12_GLOBAL__N_18offset_tEEE10hipError_tPvRmT1_PNSt15iterator_traitsISY_E10value_typeET2_T3_PNSZ_IS14_E10value_typeET4_jRbjT5_S1A_jjP12ihipStream_tbEUljE_EEESV_SW_SX_S14_S18_S1A_T6_T7_T9_mT8_S1C_bDpT10_ENKUlT_T0_E_clISt17integral_constantIbLb1EES1O_IbLb0EEEEDaS1K_S1L_EUlS1K_E_NS1_11comp_targetILNS1_3genE5ELNS1_11target_archE942ELNS1_3gpuE9ELNS1_3repE0EEENS1_30default_config_static_selectorELNS0_4arch9wavefront6targetE1EEEvSY_,comdat
	.globl	_ZN7rocprim17ROCPRIM_400000_NS6detail17trampoline_kernelINS0_13select_configILj256ELj13ELNS0_17block_load_methodE3ELS4_3ELS4_3ELNS0_20block_scan_algorithmE0ELj4294967295EEENS1_25partition_config_selectorILNS1_17partition_subalgoE3EjNS0_10empty_typeEbEEZZNS1_14partition_implILS8_3ELb0ES6_jNS0_17counting_iteratorIjlEEPS9_SE_NS0_5tupleIJPjSE_EEENSF_IJSE_SE_EEES9_SG_JZNS1_25segmented_radix_sort_implINS0_14default_configELb1EPKfPfPKlPlN2at6native12_GLOBAL__N_18offset_tEEE10hipError_tPvRmT1_PNSt15iterator_traitsISY_E10value_typeET2_T3_PNSZ_IS14_E10value_typeET4_jRbjT5_S1A_jjP12ihipStream_tbEUljE_EEESV_SW_SX_S14_S18_S1A_T6_T7_T9_mT8_S1C_bDpT10_ENKUlT_T0_E_clISt17integral_constantIbLb1EES1O_IbLb0EEEEDaS1K_S1L_EUlS1K_E_NS1_11comp_targetILNS1_3genE5ELNS1_11target_archE942ELNS1_3gpuE9ELNS1_3repE0EEENS1_30default_config_static_selectorELNS0_4arch9wavefront6targetE1EEEvSY_ ; -- Begin function _ZN7rocprim17ROCPRIM_400000_NS6detail17trampoline_kernelINS0_13select_configILj256ELj13ELNS0_17block_load_methodE3ELS4_3ELS4_3ELNS0_20block_scan_algorithmE0ELj4294967295EEENS1_25partition_config_selectorILNS1_17partition_subalgoE3EjNS0_10empty_typeEbEEZZNS1_14partition_implILS8_3ELb0ES6_jNS0_17counting_iteratorIjlEEPS9_SE_NS0_5tupleIJPjSE_EEENSF_IJSE_SE_EEES9_SG_JZNS1_25segmented_radix_sort_implINS0_14default_configELb1EPKfPfPKlPlN2at6native12_GLOBAL__N_18offset_tEEE10hipError_tPvRmT1_PNSt15iterator_traitsISY_E10value_typeET2_T3_PNSZ_IS14_E10value_typeET4_jRbjT5_S1A_jjP12ihipStream_tbEUljE_EEESV_SW_SX_S14_S18_S1A_T6_T7_T9_mT8_S1C_bDpT10_ENKUlT_T0_E_clISt17integral_constantIbLb1EES1O_IbLb0EEEEDaS1K_S1L_EUlS1K_E_NS1_11comp_targetILNS1_3genE5ELNS1_11target_archE942ELNS1_3gpuE9ELNS1_3repE0EEENS1_30default_config_static_selectorELNS0_4arch9wavefront6targetE1EEEvSY_
	.p2align	8
	.type	_ZN7rocprim17ROCPRIM_400000_NS6detail17trampoline_kernelINS0_13select_configILj256ELj13ELNS0_17block_load_methodE3ELS4_3ELS4_3ELNS0_20block_scan_algorithmE0ELj4294967295EEENS1_25partition_config_selectorILNS1_17partition_subalgoE3EjNS0_10empty_typeEbEEZZNS1_14partition_implILS8_3ELb0ES6_jNS0_17counting_iteratorIjlEEPS9_SE_NS0_5tupleIJPjSE_EEENSF_IJSE_SE_EEES9_SG_JZNS1_25segmented_radix_sort_implINS0_14default_configELb1EPKfPfPKlPlN2at6native12_GLOBAL__N_18offset_tEEE10hipError_tPvRmT1_PNSt15iterator_traitsISY_E10value_typeET2_T3_PNSZ_IS14_E10value_typeET4_jRbjT5_S1A_jjP12ihipStream_tbEUljE_EEESV_SW_SX_S14_S18_S1A_T6_T7_T9_mT8_S1C_bDpT10_ENKUlT_T0_E_clISt17integral_constantIbLb1EES1O_IbLb0EEEEDaS1K_S1L_EUlS1K_E_NS1_11comp_targetILNS1_3genE5ELNS1_11target_archE942ELNS1_3gpuE9ELNS1_3repE0EEENS1_30default_config_static_selectorELNS0_4arch9wavefront6targetE1EEEvSY_,@function
_ZN7rocprim17ROCPRIM_400000_NS6detail17trampoline_kernelINS0_13select_configILj256ELj13ELNS0_17block_load_methodE3ELS4_3ELS4_3ELNS0_20block_scan_algorithmE0ELj4294967295EEENS1_25partition_config_selectorILNS1_17partition_subalgoE3EjNS0_10empty_typeEbEEZZNS1_14partition_implILS8_3ELb0ES6_jNS0_17counting_iteratorIjlEEPS9_SE_NS0_5tupleIJPjSE_EEENSF_IJSE_SE_EEES9_SG_JZNS1_25segmented_radix_sort_implINS0_14default_configELb1EPKfPfPKlPlN2at6native12_GLOBAL__N_18offset_tEEE10hipError_tPvRmT1_PNSt15iterator_traitsISY_E10value_typeET2_T3_PNSZ_IS14_E10value_typeET4_jRbjT5_S1A_jjP12ihipStream_tbEUljE_EEESV_SW_SX_S14_S18_S1A_T6_T7_T9_mT8_S1C_bDpT10_ENKUlT_T0_E_clISt17integral_constantIbLb1EES1O_IbLb0EEEEDaS1K_S1L_EUlS1K_E_NS1_11comp_targetILNS1_3genE5ELNS1_11target_archE942ELNS1_3gpuE9ELNS1_3repE0EEENS1_30default_config_static_selectorELNS0_4arch9wavefront6targetE1EEEvSY_: ; @_ZN7rocprim17ROCPRIM_400000_NS6detail17trampoline_kernelINS0_13select_configILj256ELj13ELNS0_17block_load_methodE3ELS4_3ELS4_3ELNS0_20block_scan_algorithmE0ELj4294967295EEENS1_25partition_config_selectorILNS1_17partition_subalgoE3EjNS0_10empty_typeEbEEZZNS1_14partition_implILS8_3ELb0ES6_jNS0_17counting_iteratorIjlEEPS9_SE_NS0_5tupleIJPjSE_EEENSF_IJSE_SE_EEES9_SG_JZNS1_25segmented_radix_sort_implINS0_14default_configELb1EPKfPfPKlPlN2at6native12_GLOBAL__N_18offset_tEEE10hipError_tPvRmT1_PNSt15iterator_traitsISY_E10value_typeET2_T3_PNSZ_IS14_E10value_typeET4_jRbjT5_S1A_jjP12ihipStream_tbEUljE_EEESV_SW_SX_S14_S18_S1A_T6_T7_T9_mT8_S1C_bDpT10_ENKUlT_T0_E_clISt17integral_constantIbLb1EES1O_IbLb0EEEEDaS1K_S1L_EUlS1K_E_NS1_11comp_targetILNS1_3genE5ELNS1_11target_archE942ELNS1_3gpuE9ELNS1_3repE0EEENS1_30default_config_static_selectorELNS0_4arch9wavefront6targetE1EEEvSY_
; %bb.0:
	.section	.rodata,"a",@progbits
	.p2align	6, 0x0
	.amdhsa_kernel _ZN7rocprim17ROCPRIM_400000_NS6detail17trampoline_kernelINS0_13select_configILj256ELj13ELNS0_17block_load_methodE3ELS4_3ELS4_3ELNS0_20block_scan_algorithmE0ELj4294967295EEENS1_25partition_config_selectorILNS1_17partition_subalgoE3EjNS0_10empty_typeEbEEZZNS1_14partition_implILS8_3ELb0ES6_jNS0_17counting_iteratorIjlEEPS9_SE_NS0_5tupleIJPjSE_EEENSF_IJSE_SE_EEES9_SG_JZNS1_25segmented_radix_sort_implINS0_14default_configELb1EPKfPfPKlPlN2at6native12_GLOBAL__N_18offset_tEEE10hipError_tPvRmT1_PNSt15iterator_traitsISY_E10value_typeET2_T3_PNSZ_IS14_E10value_typeET4_jRbjT5_S1A_jjP12ihipStream_tbEUljE_EEESV_SW_SX_S14_S18_S1A_T6_T7_T9_mT8_S1C_bDpT10_ENKUlT_T0_E_clISt17integral_constantIbLb1EES1O_IbLb0EEEEDaS1K_S1L_EUlS1K_E_NS1_11comp_targetILNS1_3genE5ELNS1_11target_archE942ELNS1_3gpuE9ELNS1_3repE0EEENS1_30default_config_static_selectorELNS0_4arch9wavefront6targetE1EEEvSY_
		.amdhsa_group_segment_fixed_size 0
		.amdhsa_private_segment_fixed_size 0
		.amdhsa_kernarg_size 144
		.amdhsa_user_sgpr_count 6
		.amdhsa_user_sgpr_private_segment_buffer 1
		.amdhsa_user_sgpr_dispatch_ptr 0
		.amdhsa_user_sgpr_queue_ptr 0
		.amdhsa_user_sgpr_kernarg_segment_ptr 1
		.amdhsa_user_sgpr_dispatch_id 0
		.amdhsa_user_sgpr_flat_scratch_init 0
		.amdhsa_user_sgpr_kernarg_preload_length 0
		.amdhsa_user_sgpr_kernarg_preload_offset 0
		.amdhsa_user_sgpr_private_segment_size 0
		.amdhsa_uses_dynamic_stack 0
		.amdhsa_system_sgpr_private_segment_wavefront_offset 0
		.amdhsa_system_sgpr_workgroup_id_x 1
		.amdhsa_system_sgpr_workgroup_id_y 0
		.amdhsa_system_sgpr_workgroup_id_z 0
		.amdhsa_system_sgpr_workgroup_info 0
		.amdhsa_system_vgpr_workitem_id 0
		.amdhsa_next_free_vgpr 1
		.amdhsa_next_free_sgpr 0
		.amdhsa_accum_offset 4
		.amdhsa_reserve_vcc 0
		.amdhsa_reserve_flat_scratch 0
		.amdhsa_float_round_mode_32 0
		.amdhsa_float_round_mode_16_64 0
		.amdhsa_float_denorm_mode_32 3
		.amdhsa_float_denorm_mode_16_64 3
		.amdhsa_dx10_clamp 1
		.amdhsa_ieee_mode 1
		.amdhsa_fp16_overflow 0
		.amdhsa_tg_split 0
		.amdhsa_exception_fp_ieee_invalid_op 0
		.amdhsa_exception_fp_denorm_src 0
		.amdhsa_exception_fp_ieee_div_zero 0
		.amdhsa_exception_fp_ieee_overflow 0
		.amdhsa_exception_fp_ieee_underflow 0
		.amdhsa_exception_fp_ieee_inexact 0
		.amdhsa_exception_int_div_zero 0
	.end_amdhsa_kernel
	.section	.text._ZN7rocprim17ROCPRIM_400000_NS6detail17trampoline_kernelINS0_13select_configILj256ELj13ELNS0_17block_load_methodE3ELS4_3ELS4_3ELNS0_20block_scan_algorithmE0ELj4294967295EEENS1_25partition_config_selectorILNS1_17partition_subalgoE3EjNS0_10empty_typeEbEEZZNS1_14partition_implILS8_3ELb0ES6_jNS0_17counting_iteratorIjlEEPS9_SE_NS0_5tupleIJPjSE_EEENSF_IJSE_SE_EEES9_SG_JZNS1_25segmented_radix_sort_implINS0_14default_configELb1EPKfPfPKlPlN2at6native12_GLOBAL__N_18offset_tEEE10hipError_tPvRmT1_PNSt15iterator_traitsISY_E10value_typeET2_T3_PNSZ_IS14_E10value_typeET4_jRbjT5_S1A_jjP12ihipStream_tbEUljE_EEESV_SW_SX_S14_S18_S1A_T6_T7_T9_mT8_S1C_bDpT10_ENKUlT_T0_E_clISt17integral_constantIbLb1EES1O_IbLb0EEEEDaS1K_S1L_EUlS1K_E_NS1_11comp_targetILNS1_3genE5ELNS1_11target_archE942ELNS1_3gpuE9ELNS1_3repE0EEENS1_30default_config_static_selectorELNS0_4arch9wavefront6targetE1EEEvSY_,"axG",@progbits,_ZN7rocprim17ROCPRIM_400000_NS6detail17trampoline_kernelINS0_13select_configILj256ELj13ELNS0_17block_load_methodE3ELS4_3ELS4_3ELNS0_20block_scan_algorithmE0ELj4294967295EEENS1_25partition_config_selectorILNS1_17partition_subalgoE3EjNS0_10empty_typeEbEEZZNS1_14partition_implILS8_3ELb0ES6_jNS0_17counting_iteratorIjlEEPS9_SE_NS0_5tupleIJPjSE_EEENSF_IJSE_SE_EEES9_SG_JZNS1_25segmented_radix_sort_implINS0_14default_configELb1EPKfPfPKlPlN2at6native12_GLOBAL__N_18offset_tEEE10hipError_tPvRmT1_PNSt15iterator_traitsISY_E10value_typeET2_T3_PNSZ_IS14_E10value_typeET4_jRbjT5_S1A_jjP12ihipStream_tbEUljE_EEESV_SW_SX_S14_S18_S1A_T6_T7_T9_mT8_S1C_bDpT10_ENKUlT_T0_E_clISt17integral_constantIbLb1EES1O_IbLb0EEEEDaS1K_S1L_EUlS1K_E_NS1_11comp_targetILNS1_3genE5ELNS1_11target_archE942ELNS1_3gpuE9ELNS1_3repE0EEENS1_30default_config_static_selectorELNS0_4arch9wavefront6targetE1EEEvSY_,comdat
.Lfunc_end1308:
	.size	_ZN7rocprim17ROCPRIM_400000_NS6detail17trampoline_kernelINS0_13select_configILj256ELj13ELNS0_17block_load_methodE3ELS4_3ELS4_3ELNS0_20block_scan_algorithmE0ELj4294967295EEENS1_25partition_config_selectorILNS1_17partition_subalgoE3EjNS0_10empty_typeEbEEZZNS1_14partition_implILS8_3ELb0ES6_jNS0_17counting_iteratorIjlEEPS9_SE_NS0_5tupleIJPjSE_EEENSF_IJSE_SE_EEES9_SG_JZNS1_25segmented_radix_sort_implINS0_14default_configELb1EPKfPfPKlPlN2at6native12_GLOBAL__N_18offset_tEEE10hipError_tPvRmT1_PNSt15iterator_traitsISY_E10value_typeET2_T3_PNSZ_IS14_E10value_typeET4_jRbjT5_S1A_jjP12ihipStream_tbEUljE_EEESV_SW_SX_S14_S18_S1A_T6_T7_T9_mT8_S1C_bDpT10_ENKUlT_T0_E_clISt17integral_constantIbLb1EES1O_IbLb0EEEEDaS1K_S1L_EUlS1K_E_NS1_11comp_targetILNS1_3genE5ELNS1_11target_archE942ELNS1_3gpuE9ELNS1_3repE0EEENS1_30default_config_static_selectorELNS0_4arch9wavefront6targetE1EEEvSY_, .Lfunc_end1308-_ZN7rocprim17ROCPRIM_400000_NS6detail17trampoline_kernelINS0_13select_configILj256ELj13ELNS0_17block_load_methodE3ELS4_3ELS4_3ELNS0_20block_scan_algorithmE0ELj4294967295EEENS1_25partition_config_selectorILNS1_17partition_subalgoE3EjNS0_10empty_typeEbEEZZNS1_14partition_implILS8_3ELb0ES6_jNS0_17counting_iteratorIjlEEPS9_SE_NS0_5tupleIJPjSE_EEENSF_IJSE_SE_EEES9_SG_JZNS1_25segmented_radix_sort_implINS0_14default_configELb1EPKfPfPKlPlN2at6native12_GLOBAL__N_18offset_tEEE10hipError_tPvRmT1_PNSt15iterator_traitsISY_E10value_typeET2_T3_PNSZ_IS14_E10value_typeET4_jRbjT5_S1A_jjP12ihipStream_tbEUljE_EEESV_SW_SX_S14_S18_S1A_T6_T7_T9_mT8_S1C_bDpT10_ENKUlT_T0_E_clISt17integral_constantIbLb1EES1O_IbLb0EEEEDaS1K_S1L_EUlS1K_E_NS1_11comp_targetILNS1_3genE5ELNS1_11target_archE942ELNS1_3gpuE9ELNS1_3repE0EEENS1_30default_config_static_selectorELNS0_4arch9wavefront6targetE1EEEvSY_
                                        ; -- End function
	.section	.AMDGPU.csdata,"",@progbits
; Kernel info:
; codeLenInByte = 0
; NumSgprs: 4
; NumVgprs: 0
; NumAgprs: 0
; TotalNumVgprs: 0
; ScratchSize: 0
; MemoryBound: 0
; FloatMode: 240
; IeeeMode: 1
; LDSByteSize: 0 bytes/workgroup (compile time only)
; SGPRBlocks: 0
; VGPRBlocks: 0
; NumSGPRsForWavesPerEU: 4
; NumVGPRsForWavesPerEU: 1
; AccumOffset: 4
; Occupancy: 8
; WaveLimiterHint : 0
; COMPUTE_PGM_RSRC2:SCRATCH_EN: 0
; COMPUTE_PGM_RSRC2:USER_SGPR: 6
; COMPUTE_PGM_RSRC2:TRAP_HANDLER: 0
; COMPUTE_PGM_RSRC2:TGID_X_EN: 1
; COMPUTE_PGM_RSRC2:TGID_Y_EN: 0
; COMPUTE_PGM_RSRC2:TGID_Z_EN: 0
; COMPUTE_PGM_RSRC2:TIDIG_COMP_CNT: 0
; COMPUTE_PGM_RSRC3_GFX90A:ACCUM_OFFSET: 0
; COMPUTE_PGM_RSRC3_GFX90A:TG_SPLIT: 0
	.section	.text._ZN7rocprim17ROCPRIM_400000_NS6detail17trampoline_kernelINS0_13select_configILj256ELj13ELNS0_17block_load_methodE3ELS4_3ELS4_3ELNS0_20block_scan_algorithmE0ELj4294967295EEENS1_25partition_config_selectorILNS1_17partition_subalgoE3EjNS0_10empty_typeEbEEZZNS1_14partition_implILS8_3ELb0ES6_jNS0_17counting_iteratorIjlEEPS9_SE_NS0_5tupleIJPjSE_EEENSF_IJSE_SE_EEES9_SG_JZNS1_25segmented_radix_sort_implINS0_14default_configELb1EPKfPfPKlPlN2at6native12_GLOBAL__N_18offset_tEEE10hipError_tPvRmT1_PNSt15iterator_traitsISY_E10value_typeET2_T3_PNSZ_IS14_E10value_typeET4_jRbjT5_S1A_jjP12ihipStream_tbEUljE_EEESV_SW_SX_S14_S18_S1A_T6_T7_T9_mT8_S1C_bDpT10_ENKUlT_T0_E_clISt17integral_constantIbLb1EES1O_IbLb0EEEEDaS1K_S1L_EUlS1K_E_NS1_11comp_targetILNS1_3genE4ELNS1_11target_archE910ELNS1_3gpuE8ELNS1_3repE0EEENS1_30default_config_static_selectorELNS0_4arch9wavefront6targetE1EEEvSY_,"axG",@progbits,_ZN7rocprim17ROCPRIM_400000_NS6detail17trampoline_kernelINS0_13select_configILj256ELj13ELNS0_17block_load_methodE3ELS4_3ELS4_3ELNS0_20block_scan_algorithmE0ELj4294967295EEENS1_25partition_config_selectorILNS1_17partition_subalgoE3EjNS0_10empty_typeEbEEZZNS1_14partition_implILS8_3ELb0ES6_jNS0_17counting_iteratorIjlEEPS9_SE_NS0_5tupleIJPjSE_EEENSF_IJSE_SE_EEES9_SG_JZNS1_25segmented_radix_sort_implINS0_14default_configELb1EPKfPfPKlPlN2at6native12_GLOBAL__N_18offset_tEEE10hipError_tPvRmT1_PNSt15iterator_traitsISY_E10value_typeET2_T3_PNSZ_IS14_E10value_typeET4_jRbjT5_S1A_jjP12ihipStream_tbEUljE_EEESV_SW_SX_S14_S18_S1A_T6_T7_T9_mT8_S1C_bDpT10_ENKUlT_T0_E_clISt17integral_constantIbLb1EES1O_IbLb0EEEEDaS1K_S1L_EUlS1K_E_NS1_11comp_targetILNS1_3genE4ELNS1_11target_archE910ELNS1_3gpuE8ELNS1_3repE0EEENS1_30default_config_static_selectorELNS0_4arch9wavefront6targetE1EEEvSY_,comdat
	.globl	_ZN7rocprim17ROCPRIM_400000_NS6detail17trampoline_kernelINS0_13select_configILj256ELj13ELNS0_17block_load_methodE3ELS4_3ELS4_3ELNS0_20block_scan_algorithmE0ELj4294967295EEENS1_25partition_config_selectorILNS1_17partition_subalgoE3EjNS0_10empty_typeEbEEZZNS1_14partition_implILS8_3ELb0ES6_jNS0_17counting_iteratorIjlEEPS9_SE_NS0_5tupleIJPjSE_EEENSF_IJSE_SE_EEES9_SG_JZNS1_25segmented_radix_sort_implINS0_14default_configELb1EPKfPfPKlPlN2at6native12_GLOBAL__N_18offset_tEEE10hipError_tPvRmT1_PNSt15iterator_traitsISY_E10value_typeET2_T3_PNSZ_IS14_E10value_typeET4_jRbjT5_S1A_jjP12ihipStream_tbEUljE_EEESV_SW_SX_S14_S18_S1A_T6_T7_T9_mT8_S1C_bDpT10_ENKUlT_T0_E_clISt17integral_constantIbLb1EES1O_IbLb0EEEEDaS1K_S1L_EUlS1K_E_NS1_11comp_targetILNS1_3genE4ELNS1_11target_archE910ELNS1_3gpuE8ELNS1_3repE0EEENS1_30default_config_static_selectorELNS0_4arch9wavefront6targetE1EEEvSY_ ; -- Begin function _ZN7rocprim17ROCPRIM_400000_NS6detail17trampoline_kernelINS0_13select_configILj256ELj13ELNS0_17block_load_methodE3ELS4_3ELS4_3ELNS0_20block_scan_algorithmE0ELj4294967295EEENS1_25partition_config_selectorILNS1_17partition_subalgoE3EjNS0_10empty_typeEbEEZZNS1_14partition_implILS8_3ELb0ES6_jNS0_17counting_iteratorIjlEEPS9_SE_NS0_5tupleIJPjSE_EEENSF_IJSE_SE_EEES9_SG_JZNS1_25segmented_radix_sort_implINS0_14default_configELb1EPKfPfPKlPlN2at6native12_GLOBAL__N_18offset_tEEE10hipError_tPvRmT1_PNSt15iterator_traitsISY_E10value_typeET2_T3_PNSZ_IS14_E10value_typeET4_jRbjT5_S1A_jjP12ihipStream_tbEUljE_EEESV_SW_SX_S14_S18_S1A_T6_T7_T9_mT8_S1C_bDpT10_ENKUlT_T0_E_clISt17integral_constantIbLb1EES1O_IbLb0EEEEDaS1K_S1L_EUlS1K_E_NS1_11comp_targetILNS1_3genE4ELNS1_11target_archE910ELNS1_3gpuE8ELNS1_3repE0EEENS1_30default_config_static_selectorELNS0_4arch9wavefront6targetE1EEEvSY_
	.p2align	8
	.type	_ZN7rocprim17ROCPRIM_400000_NS6detail17trampoline_kernelINS0_13select_configILj256ELj13ELNS0_17block_load_methodE3ELS4_3ELS4_3ELNS0_20block_scan_algorithmE0ELj4294967295EEENS1_25partition_config_selectorILNS1_17partition_subalgoE3EjNS0_10empty_typeEbEEZZNS1_14partition_implILS8_3ELb0ES6_jNS0_17counting_iteratorIjlEEPS9_SE_NS0_5tupleIJPjSE_EEENSF_IJSE_SE_EEES9_SG_JZNS1_25segmented_radix_sort_implINS0_14default_configELb1EPKfPfPKlPlN2at6native12_GLOBAL__N_18offset_tEEE10hipError_tPvRmT1_PNSt15iterator_traitsISY_E10value_typeET2_T3_PNSZ_IS14_E10value_typeET4_jRbjT5_S1A_jjP12ihipStream_tbEUljE_EEESV_SW_SX_S14_S18_S1A_T6_T7_T9_mT8_S1C_bDpT10_ENKUlT_T0_E_clISt17integral_constantIbLb1EES1O_IbLb0EEEEDaS1K_S1L_EUlS1K_E_NS1_11comp_targetILNS1_3genE4ELNS1_11target_archE910ELNS1_3gpuE8ELNS1_3repE0EEENS1_30default_config_static_selectorELNS0_4arch9wavefront6targetE1EEEvSY_,@function
_ZN7rocprim17ROCPRIM_400000_NS6detail17trampoline_kernelINS0_13select_configILj256ELj13ELNS0_17block_load_methodE3ELS4_3ELS4_3ELNS0_20block_scan_algorithmE0ELj4294967295EEENS1_25partition_config_selectorILNS1_17partition_subalgoE3EjNS0_10empty_typeEbEEZZNS1_14partition_implILS8_3ELb0ES6_jNS0_17counting_iteratorIjlEEPS9_SE_NS0_5tupleIJPjSE_EEENSF_IJSE_SE_EEES9_SG_JZNS1_25segmented_radix_sort_implINS0_14default_configELb1EPKfPfPKlPlN2at6native12_GLOBAL__N_18offset_tEEE10hipError_tPvRmT1_PNSt15iterator_traitsISY_E10value_typeET2_T3_PNSZ_IS14_E10value_typeET4_jRbjT5_S1A_jjP12ihipStream_tbEUljE_EEESV_SW_SX_S14_S18_S1A_T6_T7_T9_mT8_S1C_bDpT10_ENKUlT_T0_E_clISt17integral_constantIbLb1EES1O_IbLb0EEEEDaS1K_S1L_EUlS1K_E_NS1_11comp_targetILNS1_3genE4ELNS1_11target_archE910ELNS1_3gpuE8ELNS1_3repE0EEENS1_30default_config_static_selectorELNS0_4arch9wavefront6targetE1EEEvSY_: ; @_ZN7rocprim17ROCPRIM_400000_NS6detail17trampoline_kernelINS0_13select_configILj256ELj13ELNS0_17block_load_methodE3ELS4_3ELS4_3ELNS0_20block_scan_algorithmE0ELj4294967295EEENS1_25partition_config_selectorILNS1_17partition_subalgoE3EjNS0_10empty_typeEbEEZZNS1_14partition_implILS8_3ELb0ES6_jNS0_17counting_iteratorIjlEEPS9_SE_NS0_5tupleIJPjSE_EEENSF_IJSE_SE_EEES9_SG_JZNS1_25segmented_radix_sort_implINS0_14default_configELb1EPKfPfPKlPlN2at6native12_GLOBAL__N_18offset_tEEE10hipError_tPvRmT1_PNSt15iterator_traitsISY_E10value_typeET2_T3_PNSZ_IS14_E10value_typeET4_jRbjT5_S1A_jjP12ihipStream_tbEUljE_EEESV_SW_SX_S14_S18_S1A_T6_T7_T9_mT8_S1C_bDpT10_ENKUlT_T0_E_clISt17integral_constantIbLb1EES1O_IbLb0EEEEDaS1K_S1L_EUlS1K_E_NS1_11comp_targetILNS1_3genE4ELNS1_11target_archE910ELNS1_3gpuE8ELNS1_3repE0EEENS1_30default_config_static_selectorELNS0_4arch9wavefront6targetE1EEEvSY_
; %bb.0:
	s_load_dwordx2 s[26:27], s[4:5], 0x58
	s_load_dwordx4 s[20:23], s[4:5], 0x48
	s_load_dword s13, s[4:5], 0x8
	s_load_dwordx2 s[28:29], s[4:5], 0x10
	s_load_dword s12, s[4:5], 0x70
	s_load_dword s7, s[4:5], 0x88
	s_load_dwordx4 s[8:11], s[4:5], 0x78
	s_waitcnt lgkmcnt(0)
	s_load_dwordx2 s[30:31], s[22:23], 0x0
	v_pk_mov_b32 v[2:3], s[26:27], s[26:27] op_sel:[0,1]
	s_add_i32 s2, s12, -1
	s_mulk_i32 s12, 0xd00
	s_add_u32 s0, s28, s12
	s_addc_u32 s1, s29, 0
	s_cmp_eq_u32 s6, s2
	s_cselect_b64 s[22:23], -1, 0
	s_cmp_lg_u32 s6, s2
	s_mul_i32 s42, s6, 0xd00
	v_cmp_lt_u64_e32 vcc, s[0:1], v[2:3]
	s_cselect_b64 s[0:1], -1, 0
	s_or_b64 s[2:3], s[0:1], vcc
	s_add_i32 s0, s13, s42
	s_add_i32 s0, s0, s28
	v_add_u32_e32 v2, s0, v0
	s_mov_b64 s[0:1], -1
	s_and_b64 vcc, exec, s[2:3]
	v_lshlrev_b32_e32 v1, 2, v0
	s_cbranch_vccz .LBB1309_2
; %bb.1:
	v_add_u32_e32 v3, 0x100, v2
	v_add_u32_e32 v4, 0x200, v2
	;; [unrolled: 1-line block ×12, first 2 shown]
	ds_write2st64_b32 v1, v2, v3 offset1:4
	ds_write2st64_b32 v1, v4, v5 offset0:8 offset1:12
	ds_write2st64_b32 v1, v6, v7 offset0:16 offset1:20
	;; [unrolled: 1-line block ×5, first 2 shown]
	ds_write_b32 v1, v14 offset:12288
	s_waitcnt lgkmcnt(0)
	s_barrier
	s_mov_b64 s[0:1], 0
.LBB1309_2:
	s_andn2_b64 vcc, exec, s[0:1]
	s_add_i32 s12, s12, s28
	s_cbranch_vccnz .LBB1309_4
; %bb.3:
	v_add_u32_e32 v3, 0x100, v2
	v_add_u32_e32 v4, 0x200, v2
	;; [unrolled: 1-line block ×12, first 2 shown]
	ds_write2st64_b32 v1, v2, v3 offset1:4
	ds_write2st64_b32 v1, v4, v5 offset0:8 offset1:12
	ds_write2st64_b32 v1, v6, v7 offset0:16 offset1:20
	;; [unrolled: 1-line block ×5, first 2 shown]
	ds_write_b32 v1, v14 offset:12288
	s_waitcnt lgkmcnt(0)
	s_barrier
.LBB1309_4:
	v_mul_u32_u24_e32 v33, 13, v0
	v_lshlrev_b32_e32 v2, 2, v33
	s_waitcnt lgkmcnt(0)
	ds_read2_b32 v[30:31], v2 offset1:1
	ds_read2_b32 v[28:29], v2 offset0:2 offset1:3
	ds_read2_b32 v[26:27], v2 offset0:4 offset1:5
	ds_read2_b32 v[24:25], v2 offset0:6 offset1:7
	ds_read2_b32 v[22:23], v2 offset0:8 offset1:9
	ds_read2_b32 v[20:21], v2 offset0:10 offset1:11
	ds_read_b32 v32, v2 offset:48
	v_cndmask_b32_e64 v2, 0, 1, s[2:3]
	s_sub_i32 s33, s26, s12
	v_cmp_ne_u32_e64 s[0:1], 1, v2
	s_andn2_b64 vcc, exec, s[2:3]
	s_waitcnt lgkmcnt(0)
	s_barrier
	s_cbranch_vccnz .LBB1309_6
; %bb.5:
	v_add_u32_e32 v2, s9, v30
	v_add_u32_e32 v3, s11, v30
	v_mul_lo_u32 v2, v2, s8
	v_mul_lo_u32 v3, v3, s10
	v_sub_u32_e32 v2, v2, v3
	v_add_u32_e32 v3, s9, v31
	v_add_u32_e32 v4, s11, v31
	v_mul_lo_u32 v3, v3, s8
	v_mul_lo_u32 v4, v4, s10
	v_sub_u32_e32 v3, v3, v4
	;; [unrolled: 5-line block ×6, first 2 shown]
	v_add_u32_e32 v8, s9, v24
	v_add_u32_e32 v9, s11, v24
	v_mul_lo_u32 v8, v8, s8
	v_mul_lo_u32 v9, v9, s10
	v_cmp_lt_u32_e32 vcc, s7, v2
	v_sub_u32_e32 v8, v8, v9
	v_add_u32_e32 v9, s9, v25
	v_add_u32_e32 v10, s11, v25
	v_cndmask_b32_e64 v2, 0, 1, vcc
	v_cmp_lt_u32_e32 vcc, s7, v3
	v_mul_lo_u32 v9, v9, s8
	v_mul_lo_u32 v10, v10, s10
	v_cndmask_b32_e64 v3, 0, 1, vcc
	v_cmp_lt_u32_e32 vcc, s7, v4
	v_sub_u32_e32 v9, v9, v10
	v_add_u32_e32 v10, s9, v22
	v_add_u32_e32 v11, s11, v22
	v_cndmask_b32_e64 v4, 0, 1, vcc
	v_cmp_lt_u32_e32 vcc, s7, v5
	v_mul_lo_u32 v10, v10, s8
	v_mul_lo_u32 v11, v11, s10
	v_cndmask_b32_e64 v5, 0, 1, vcc
	;; [unrolled: 9-line block ×4, first 2 shown]
	v_cmp_lt_u32_e32 vcc, s7, v10
	v_sub_u32_e32 v12, v12, v13
	v_add_u32_e32 v13, s9, v21
	v_add_u32_e32 v14, s11, v21
	v_lshlrev_b16_e32 v3, 8, v3
	v_cndmask_b32_e64 v10, 0, 1, vcc
	v_cmp_lt_u32_e32 vcc, s7, v11
	v_mul_lo_u32 v13, v13, s8
	v_mul_lo_u32 v14, v14, s10
	v_or_b32_e32 v2, v2, v3
	v_lshlrev_b16_e32 v3, 8, v5
	v_cndmask_b32_e64 v11, 0, 1, vcc
	v_cmp_lt_u32_e32 vcc, s7, v12
	v_sub_u32_e32 v13, v13, v14
	v_or_b32_sdwa v3, v4, v3 dst_sel:WORD_1 dst_unused:UNUSED_PAD src0_sel:DWORD src1_sel:DWORD
	v_cndmask_b32_e64 v12, 0, 1, vcc
	v_cmp_lt_u32_e32 vcc, s7, v13
	v_add_u32_e32 v14, s9, v32
	v_add_u32_e32 v15, s11, v32
	v_or_b32_sdwa v37, v2, v3 dst_sel:DWORD dst_unused:UNUSED_PAD src0_sel:WORD_0 src1_sel:DWORD
	v_lshlrev_b16_e32 v2, 8, v7
	v_lshlrev_b16_e32 v3, 8, v9
	v_cndmask_b32_e64 v13, 0, 1, vcc
	v_mul_lo_u32 v14, v14, s8
	v_mul_lo_u32 v15, v15, s10
	v_or_b32_e32 v2, v6, v2
	v_or_b32_sdwa v3, v8, v3 dst_sel:WORD_1 dst_unused:UNUSED_PAD src0_sel:DWORD src1_sel:DWORD
	v_sub_u32_e32 v14, v14, v15
	v_or_b32_sdwa v36, v2, v3 dst_sel:DWORD dst_unused:UNUSED_PAD src0_sel:WORD_0 src1_sel:DWORD
	v_lshlrev_b16_e32 v2, 8, v11
	v_lshlrev_b16_e32 v3, 8, v13
	v_cmp_lt_u32_e32 vcc, s7, v14
	v_or_b32_e32 v2, v10, v2
	v_or_b32_sdwa v3, v12, v3 dst_sel:WORD_1 dst_unused:UNUSED_PAD src0_sel:DWORD src1_sel:DWORD
	v_cndmask_b32_e64 v34, 0, 1, vcc
	v_or_b32_sdwa v35, v2, v3 dst_sel:DWORD dst_unused:UNUSED_PAD src0_sel:WORD_0 src1_sel:DWORD
	s_mov_b64 s[2:3], 0
	s_branch .LBB1309_7
.LBB1309_6:
	s_mov_b64 s[2:3], -1
                                        ; implicit-def: $vgpr34
                                        ; implicit-def: $vgpr35
                                        ; implicit-def: $vgpr36
                                        ; implicit-def: $vgpr37
.LBB1309_7:
	s_load_dwordx2 s[24:25], s[4:5], 0x28
	s_load_dwordx2 s[34:35], s[4:5], 0x68
	s_andn2_b64 vcc, exec, s[2:3]
	s_addk_i32 s33, 0xd00
	s_cbranch_vccnz .LBB1309_35
; %bb.8:
	v_cmp_gt_u32_e32 vcc, s33, v33
	v_mov_b32_e32 v3, 0
	v_mov_b32_e32 v2, 0
	s_and_saveexec_b64 s[2:3], vcc
; %bb.9:
	v_add_u32_e32 v2, s9, v30
	v_add_u32_e32 v4, s11, v30
	v_mul_lo_u32 v2, v2, s8
	v_mul_lo_u32 v4, v4, s10
	v_sub_u32_e32 v2, v2, v4
	v_cmp_lt_u32_e32 vcc, s7, v2
	v_cndmask_b32_e64 v2, 0, 1, vcc
; %bb.10:
	s_or_b64 exec, exec, s[2:3]
	v_add_u32_e32 v4, 1, v33
	v_cmp_gt_u32_e32 vcc, s33, v4
	s_and_saveexec_b64 s[2:3], vcc
; %bb.11:
	v_add_u32_e32 v3, s9, v31
	v_add_u32_e32 v4, s11, v31
	v_mul_lo_u32 v3, v3, s8
	v_mul_lo_u32 v4, v4, s10
	v_sub_u32_e32 v3, v3, v4
	v_cmp_lt_u32_e32 vcc, s7, v3
	v_cndmask_b32_e64 v3, 0, 1, vcc
; %bb.12:
	s_or_b64 exec, exec, s[2:3]
	v_add_u32_e32 v4, 2, v33
	v_cmp_gt_u32_e32 vcc, s33, v4
	v_mov_b32_e32 v5, 0
	v_mov_b32_e32 v4, 0
	s_and_saveexec_b64 s[2:3], vcc
; %bb.13:
	v_add_u32_e32 v4, s9, v28
	v_add_u32_e32 v6, s11, v28
	v_mul_lo_u32 v4, v4, s8
	v_mul_lo_u32 v6, v6, s10
	v_sub_u32_e32 v4, v4, v6
	v_cmp_lt_u32_e32 vcc, s7, v4
	v_cndmask_b32_e64 v4, 0, 1, vcc
; %bb.14:
	s_or_b64 exec, exec, s[2:3]
	v_add_u32_e32 v6, 3, v33
	v_cmp_gt_u32_e32 vcc, s33, v6
	s_and_saveexec_b64 s[2:3], vcc
; %bb.15:
	v_add_u32_e32 v5, s9, v29
	v_add_u32_e32 v6, s11, v29
	v_mul_lo_u32 v5, v5, s8
	v_mul_lo_u32 v6, v6, s10
	v_sub_u32_e32 v5, v5, v6
	v_cmp_lt_u32_e32 vcc, s7, v5
	v_cndmask_b32_e64 v5, 0, 1, vcc
; %bb.16:
	s_or_b64 exec, exec, s[2:3]
	v_add_u32_e32 v6, 4, v33
	;; [unrolled: 28-line block ×6, first 2 shown]
	v_cmp_gt_u32_e32 vcc, s33, v14
	v_mov_b32_e32 v34, 0
	s_and_saveexec_b64 s[2:3], vcc
; %bb.33:
	v_add_u32_e32 v14, s9, v32
	v_add_u32_e32 v15, s11, v32
	v_mul_lo_u32 v14, v14, s8
	v_mul_lo_u32 v15, v15, s10
	v_sub_u32_e32 v14, v14, v15
	v_cmp_lt_u32_e32 vcc, s7, v14
	v_cndmask_b32_e64 v34, 0, 1, vcc
; %bb.34:
	s_or_b64 exec, exec, s[2:3]
	v_lshlrev_b16_e32 v3, 8, v3
	v_or_b32_e32 v2, v2, v3
	v_lshlrev_b16_e32 v3, 8, v5
	v_or_b32_sdwa v3, v4, v3 dst_sel:WORD_1 dst_unused:UNUSED_PAD src0_sel:DWORD src1_sel:DWORD
	v_or_b32_sdwa v37, v2, v3 dst_sel:DWORD dst_unused:UNUSED_PAD src0_sel:WORD_0 src1_sel:DWORD
	v_lshlrev_b16_e32 v2, 8, v7
	v_lshlrev_b16_e32 v3, 8, v9
	v_or_b32_e32 v2, v6, v2
	v_or_b32_sdwa v3, v8, v3 dst_sel:WORD_1 dst_unused:UNUSED_PAD src0_sel:DWORD src1_sel:DWORD
	v_or_b32_sdwa v36, v2, v3 dst_sel:DWORD dst_unused:UNUSED_PAD src0_sel:WORD_0 src1_sel:DWORD
	v_lshlrev_b16_e32 v2, 8, v11
	v_lshlrev_b16_e32 v3, 8, v13
	v_or_b32_e32 v2, v10, v2
	v_or_b32_sdwa v3, v12, v3 dst_sel:WORD_1 dst_unused:UNUSED_PAD src0_sel:DWORD src1_sel:DWORD
	v_or_b32_sdwa v35, v2, v3 dst_sel:DWORD dst_unused:UNUSED_PAD src0_sel:WORD_0 src1_sel:DWORD
.LBB1309_35:
	v_and_b32_e32 v41, 0xff, v37
	v_bfe_u32 v42, v37, 8, 8
	v_bfe_u32 v43, v37, 16, 8
	v_lshrrev_b32_e32 v40, 24, v37
	v_and_b32_e32 v44, 0xff, v36
	v_add3_u32 v3, v42, v41, v43
	v_bfe_u32 v45, v36, 8, 8
	v_bfe_u32 v46, v36, 16, 8
	v_add3_u32 v3, v3, v40, v44
	v_lshrrev_b32_e32 v39, 24, v36
	v_and_b32_e32 v47, 0xff, v35
	v_add3_u32 v3, v3, v45, v46
	v_bfe_u32 v48, v35, 8, 8
	v_bfe_u32 v49, v35, 16, 8
	v_add3_u32 v3, v3, v39, v47
	v_lshrrev_b32_e32 v38, 24, v35
	v_and_b32_e32 v2, 0xff, v34
	v_add3_u32 v3, v3, v48, v49
	v_add3_u32 v52, v3, v38, v2
	v_mbcnt_lo_u32_b32 v2, -1, 0
	v_mbcnt_hi_u32_b32 v50, -1, v2
	v_and_b32_e32 v2, 15, v50
	v_cmp_eq_u32_e64 s[14:15], 0, v2
	v_cmp_lt_u32_e64 s[12:13], 1, v2
	v_cmp_lt_u32_e64 s[10:11], 3, v2
	;; [unrolled: 1-line block ×3, first 2 shown]
	v_and_b32_e32 v2, 16, v50
	v_cmp_eq_u32_e64 s[18:19], 0, v2
	v_or_b32_e32 v2, 63, v0
	s_cmp_lg_u32 s6, 0
	v_cmp_lt_u32_e64 s[2:3], 31, v50
	v_lshrrev_b32_e32 v51, 6, v0
	v_cmp_eq_u32_e64 s[4:5], v2, v0
	s_cbranch_scc0 .LBB1309_66
; %bb.36:
	v_mov_b32_dpp v2, v52 row_shr:1 row_mask:0xf bank_mask:0xf
	v_cndmask_b32_e64 v2, v2, 0, s[14:15]
	v_add_u32_e32 v2, v2, v52
	s_nop 1
	v_mov_b32_dpp v3, v2 row_shr:2 row_mask:0xf bank_mask:0xf
	v_cndmask_b32_e64 v3, 0, v3, s[12:13]
	v_add_u32_e32 v2, v2, v3
	s_nop 1
	;; [unrolled: 4-line block ×4, first 2 shown]
	v_mov_b32_dpp v3, v2 row_bcast:15 row_mask:0xf bank_mask:0xf
	v_cndmask_b32_e64 v3, v3, 0, s[18:19]
	v_add_u32_e32 v2, v2, v3
	s_nop 1
	v_mov_b32_dpp v3, v2 row_bcast:31 row_mask:0xf bank_mask:0xf
	v_cndmask_b32_e64 v3, 0, v3, s[2:3]
	v_add_u32_e32 v2, v2, v3
	s_and_saveexec_b64 s[16:17], s[4:5]
	s_cbranch_execz .LBB1309_38
; %bb.37:
	v_lshlrev_b32_e32 v3, 2, v51
	ds_write_b32 v3, v2
.LBB1309_38:
	s_or_b64 exec, exec, s[16:17]
	v_cmp_gt_u32_e32 vcc, 4, v0
	s_waitcnt lgkmcnt(0)
	s_barrier
	s_and_saveexec_b64 s[16:17], vcc
	s_cbranch_execz .LBB1309_40
; %bb.39:
	ds_read_b32 v3, v1
	v_and_b32_e32 v4, 3, v50
	v_cmp_ne_u32_e32 vcc, 0, v4
	s_waitcnt lgkmcnt(0)
	v_mov_b32_dpp v5, v3 row_shr:1 row_mask:0xf bank_mask:0xf
	v_cndmask_b32_e32 v5, 0, v5, vcc
	v_add_u32_e32 v3, v5, v3
	v_cmp_lt_u32_e32 vcc, 1, v4
	s_nop 0
	v_mov_b32_dpp v5, v3 row_shr:2 row_mask:0xf bank_mask:0xf
	v_cndmask_b32_e32 v4, 0, v5, vcc
	v_add_u32_e32 v3, v3, v4
	ds_write_b32 v1, v3
.LBB1309_40:
	s_or_b64 exec, exec, s[16:17]
	v_cmp_gt_u32_e32 vcc, 64, v0
	v_cmp_lt_u32_e64 s[16:17], 63, v0
	s_waitcnt lgkmcnt(0)
	s_barrier
	s_waitcnt lgkmcnt(0)
                                        ; implicit-def: $vgpr12
	s_and_saveexec_b64 s[36:37], s[16:17]
	s_cbranch_execz .LBB1309_42
; %bb.41:
	v_lshl_add_u32 v3, v51, 2, -4
	ds_read_b32 v12, v3
	s_waitcnt lgkmcnt(0)
	v_add_u32_e32 v2, v12, v2
.LBB1309_42:
	s_or_b64 exec, exec, s[36:37]
	v_add_u32_e32 v3, -1, v50
	v_and_b32_e32 v4, 64, v50
	v_cmp_lt_i32_e64 s[16:17], v3, v4
	v_cndmask_b32_e64 v3, v3, v50, s[16:17]
	v_lshlrev_b32_e32 v3, 2, v3
	ds_bpermute_b32 v13, v3, v2
	v_cmp_eq_u32_e64 s[16:17], 0, v50
	s_and_saveexec_b64 s[36:37], vcc
	s_cbranch_execz .LBB1309_65
; %bb.43:
	v_mov_b32_e32 v11, 0
	ds_read_b32 v2, v11 offset:12
	s_and_saveexec_b64 s[38:39], s[16:17]
	s_cbranch_execz .LBB1309_45
; %bb.44:
	s_add_i32 s40, s6, 64
	s_mov_b32 s41, 0
	s_lshl_b64 s[40:41], s[40:41], 3
	s_add_u32 s40, s34, s40
	v_mov_b32_e32 v3, 1
	s_addc_u32 s41, s35, s41
	s_waitcnt lgkmcnt(0)
	global_store_dwordx2 v11, v[2:3], s[40:41]
.LBB1309_45:
	s_or_b64 exec, exec, s[38:39]
	v_xad_u32 v4, v50, -1, s6
	v_add_u32_e32 v10, 64, v4
	v_lshlrev_b64 v[6:7], 3, v[10:11]
	v_mov_b32_e32 v3, s35
	v_add_co_u32_e32 v6, vcc, s34, v6
	v_addc_co_u32_e32 v7, vcc, v3, v7, vcc
	global_load_dwordx2 v[8:9], v[6:7], off glc
	s_waitcnt vmcnt(0)
	v_cmp_eq_u16_sdwa s[40:41], v9, v11 src0_sel:BYTE_0 src1_sel:DWORD
	s_and_saveexec_b64 s[38:39], s[40:41]
	s_cbranch_execz .LBB1309_51
; %bb.46:
	s_mov_b32 s7, 1
	s_mov_b64 s[40:41], 0
	v_mov_b32_e32 v3, 0
.LBB1309_47:                            ; =>This Loop Header: Depth=1
                                        ;     Child Loop BB1309_48 Depth 2
	s_max_u32 s43, s7, 1
.LBB1309_48:                            ;   Parent Loop BB1309_47 Depth=1
                                        ; =>  This Inner Loop Header: Depth=2
	s_add_i32 s43, s43, -1
	s_cmp_eq_u32 s43, 0
	s_sleep 1
	s_cbranch_scc0 .LBB1309_48
; %bb.49:                               ;   in Loop: Header=BB1309_47 Depth=1
	global_load_dwordx2 v[8:9], v[6:7], off glc
	s_cmp_lt_u32 s7, 32
	s_cselect_b64 s[44:45], -1, 0
	s_cmp_lg_u64 s[44:45], 0
	s_addc_u32 s7, s7, 0
	s_waitcnt vmcnt(0)
	v_cmp_ne_u16_sdwa s[44:45], v9, v3 src0_sel:BYTE_0 src1_sel:DWORD
	s_or_b64 s[40:41], s[44:45], s[40:41]
	s_andn2_b64 exec, exec, s[40:41]
	s_cbranch_execnz .LBB1309_47
; %bb.50:
	s_or_b64 exec, exec, s[40:41]
.LBB1309_51:
	s_or_b64 exec, exec, s[38:39]
	v_and_b32_e32 v14, 63, v50
	v_mov_b32_e32 v3, 2
	v_cmp_ne_u32_e32 vcc, 63, v14
	v_cmp_eq_u16_sdwa s[38:39], v9, v3 src0_sel:BYTE_0 src1_sel:DWORD
	v_lshlrev_b64 v[6:7], v50, -1
	v_addc_co_u32_e32 v11, vcc, 0, v50, vcc
	v_and_b32_e32 v5, s39, v7
	v_lshlrev_b32_e32 v15, 2, v11
	v_or_b32_e32 v5, 0x80000000, v5
	ds_bpermute_b32 v11, v15, v8
	v_and_b32_e32 v10, s38, v6
	v_ffbl_b32_e32 v5, v5
	v_add_u32_e32 v5, 32, v5
	v_ffbl_b32_e32 v10, v10
	v_min_u32_e32 v5, v10, v5
	v_cmp_lt_u32_e32 vcc, v14, v5
	s_waitcnt lgkmcnt(0)
	v_cndmask_b32_e32 v10, 0, v11, vcc
	v_cmp_gt_u32_e32 vcc, 62, v14
	v_add_u32_e32 v8, v10, v8
	v_cndmask_b32_e64 v10, 0, 1, vcc
	v_lshlrev_b32_e32 v10, 1, v10
	v_add_lshl_u32 v16, v10, v50, 2
	ds_bpermute_b32 v10, v16, v8
	v_add_u32_e32 v17, 2, v14
	v_cmp_le_u32_e32 vcc, v17, v5
	v_add_u32_e32 v19, 4, v14
	v_add_u32_e32 v54, 8, v14
	s_waitcnt lgkmcnt(0)
	v_cndmask_b32_e32 v10, 0, v10, vcc
	v_cmp_gt_u32_e32 vcc, 60, v14
	v_add_u32_e32 v8, v8, v10
	v_cndmask_b32_e64 v10, 0, 1, vcc
	v_lshlrev_b32_e32 v10, 2, v10
	v_add_lshl_u32 v18, v10, v50, 2
	ds_bpermute_b32 v10, v18, v8
	v_cmp_le_u32_e32 vcc, v19, v5
	v_add_u32_e32 v57, 16, v14
	v_add_u32_e32 v59, 32, v14
	s_waitcnt lgkmcnt(0)
	v_cndmask_b32_e32 v10, 0, v10, vcc
	v_cmp_gt_u32_e32 vcc, 56, v14
	v_add_u32_e32 v8, v8, v10
	v_cndmask_b32_e64 v10, 0, 1, vcc
	v_lshlrev_b32_e32 v10, 3, v10
	v_add_lshl_u32 v53, v10, v50, 2
	ds_bpermute_b32 v10, v53, v8
	v_cmp_le_u32_e32 vcc, v54, v5
	s_waitcnt lgkmcnt(0)
	v_cndmask_b32_e32 v10, 0, v10, vcc
	v_cmp_gt_u32_e32 vcc, 48, v14
	v_add_u32_e32 v8, v8, v10
	v_cndmask_b32_e64 v10, 0, 1, vcc
	v_lshlrev_b32_e32 v10, 4, v10
	v_add_lshl_u32 v56, v10, v50, 2
	ds_bpermute_b32 v10, v56, v8
	v_cmp_le_u32_e32 vcc, v57, v5
	;; [unrolled: 9-line block ×3, first 2 shown]
	s_waitcnt lgkmcnt(0)
	v_cndmask_b32_e32 v5, 0, v10, vcc
	v_add_u32_e32 v8, v8, v5
	v_mov_b32_e32 v5, 0
	s_branch .LBB1309_53
.LBB1309_52:                            ;   in Loop: Header=BB1309_53 Depth=1
	s_or_b64 exec, exec, s[38:39]
	v_cmp_eq_u16_sdwa s[38:39], v9, v3 src0_sel:BYTE_0 src1_sel:DWORD
	v_and_b32_e32 v10, s39, v7
	v_or_b32_e32 v10, 0x80000000, v10
	ds_bpermute_b32 v60, v15, v8
	v_and_b32_e32 v11, s38, v6
	v_ffbl_b32_e32 v10, v10
	v_add_u32_e32 v10, 32, v10
	v_ffbl_b32_e32 v11, v11
	v_min_u32_e32 v10, v11, v10
	v_cmp_lt_u32_e32 vcc, v14, v10
	s_waitcnt lgkmcnt(0)
	v_cndmask_b32_e32 v11, 0, v60, vcc
	v_add_u32_e32 v8, v11, v8
	ds_bpermute_b32 v11, v16, v8
	v_cmp_le_u32_e32 vcc, v17, v10
	v_subrev_u32_e32 v4, 64, v4
	s_waitcnt lgkmcnt(0)
	v_cndmask_b32_e32 v11, 0, v11, vcc
	v_add_u32_e32 v8, v8, v11
	ds_bpermute_b32 v11, v18, v8
	v_cmp_le_u32_e32 vcc, v19, v10
	s_waitcnt lgkmcnt(0)
	v_cndmask_b32_e32 v11, 0, v11, vcc
	v_add_u32_e32 v8, v8, v11
	ds_bpermute_b32 v11, v53, v8
	v_cmp_le_u32_e32 vcc, v54, v10
	;; [unrolled: 5-line block ×4, first 2 shown]
	s_waitcnt lgkmcnt(0)
	v_cndmask_b32_e32 v10, 0, v11, vcc
	v_add3_u32 v8, v10, v55, v8
.LBB1309_53:                            ; =>This Loop Header: Depth=1
                                        ;     Child Loop BB1309_56 Depth 2
                                        ;       Child Loop BB1309_57 Depth 3
	v_cmp_ne_u16_sdwa s[38:39], v9, v3 src0_sel:BYTE_0 src1_sel:DWORD
	v_cndmask_b32_e64 v9, 0, 1, s[38:39]
	;;#ASMSTART
	;;#ASMEND
	v_cmp_ne_u32_e32 vcc, 0, v9
	s_cmp_lg_u64 vcc, exec
	v_mov_b32_e32 v55, v8
	s_cbranch_scc1 .LBB1309_60
; %bb.54:                               ;   in Loop: Header=BB1309_53 Depth=1
	v_lshlrev_b64 v[8:9], 3, v[4:5]
	v_mov_b32_e32 v11, s35
	v_add_co_u32_e32 v10, vcc, s34, v8
	v_addc_co_u32_e32 v11, vcc, v11, v9, vcc
	global_load_dwordx2 v[8:9], v[10:11], off glc
	s_waitcnt vmcnt(0)
	v_cmp_eq_u16_sdwa s[40:41], v9, v5 src0_sel:BYTE_0 src1_sel:DWORD
	s_and_saveexec_b64 s[38:39], s[40:41]
	s_cbranch_execz .LBB1309_52
; %bb.55:                               ;   in Loop: Header=BB1309_53 Depth=1
	s_mov_b32 s7, 1
	s_mov_b64 s[40:41], 0
.LBB1309_56:                            ;   Parent Loop BB1309_53 Depth=1
                                        ; =>  This Loop Header: Depth=2
                                        ;       Child Loop BB1309_57 Depth 3
	s_max_u32 s43, s7, 1
.LBB1309_57:                            ;   Parent Loop BB1309_53 Depth=1
                                        ;     Parent Loop BB1309_56 Depth=2
                                        ; =>    This Inner Loop Header: Depth=3
	s_add_i32 s43, s43, -1
	s_cmp_eq_u32 s43, 0
	s_sleep 1
	s_cbranch_scc0 .LBB1309_57
; %bb.58:                               ;   in Loop: Header=BB1309_56 Depth=2
	global_load_dwordx2 v[8:9], v[10:11], off glc
	s_cmp_lt_u32 s7, 32
	s_cselect_b64 s[44:45], -1, 0
	s_cmp_lg_u64 s[44:45], 0
	s_addc_u32 s7, s7, 0
	s_waitcnt vmcnt(0)
	v_cmp_ne_u16_sdwa s[44:45], v9, v5 src0_sel:BYTE_0 src1_sel:DWORD
	s_or_b64 s[40:41], s[44:45], s[40:41]
	s_andn2_b64 exec, exec, s[40:41]
	s_cbranch_execnz .LBB1309_56
; %bb.59:                               ;   in Loop: Header=BB1309_53 Depth=1
	s_or_b64 exec, exec, s[40:41]
	s_branch .LBB1309_52
.LBB1309_60:                            ;   in Loop: Header=BB1309_53 Depth=1
                                        ; implicit-def: $vgpr8
                                        ; implicit-def: $vgpr9
	s_cbranch_execz .LBB1309_53
; %bb.61:
	s_and_saveexec_b64 s[38:39], s[16:17]
	s_cbranch_execz .LBB1309_63
; %bb.62:
	s_add_i32 s6, s6, 64
	s_mov_b32 s7, 0
	s_lshl_b64 s[6:7], s[6:7], 3
	s_add_u32 s6, s34, s6
	v_add_u32_e32 v4, v55, v2
	v_mov_b32_e32 v5, 2
	s_addc_u32 s7, s35, s7
	v_mov_b32_e32 v3, 0
	global_store_dwordx2 v3, v[4:5], s[6:7]
	s_movk_i32 s6, 0x3400
	v_add_u32_e64 v3, s6, 0
	ds_write2_b32 v3, v2, v55 offset1:2
.LBB1309_63:
	s_or_b64 exec, exec, s[38:39]
	v_cmp_eq_u32_e32 vcc, 0, v0
	s_and_b64 exec, exec, vcc
	s_cbranch_execz .LBB1309_65
; %bb.64:
	v_mov_b32_e32 v2, 0
	ds_write_b32 v2, v55 offset:12
.LBB1309_65:
	s_or_b64 exec, exec, s[36:37]
	v_mov_b32_e32 v2, 0
	s_waitcnt lgkmcnt(0)
	s_barrier
	ds_read_b32 v2, v2 offset:12
	v_cndmask_b32_e64 v3, v13, v12, s[16:17]
	v_cmp_ne_u32_e32 vcc, 0, v0
	v_cndmask_b32_e32 v3, 0, v3, vcc
	s_movk_i32 s6, 0x3400
	s_waitcnt lgkmcnt(0)
	v_add_u32_e32 v2, v2, v3
	v_add_u32_e32 v3, v2, v41
	v_add_u32_e32 v4, v3, v42
	v_add_u32_e32 v5, v4, v43
	v_add_u32_e32 v6, v5, v40
	v_add_u32_e32 v7, v6, v44
	v_add_u32_e32 v8, v7, v45
	v_add_u32_e32 v9, v8, v46
	v_add_u32_e64 v12, s6, 0
	v_add_u32_e32 v10, v9, v39
	s_barrier
	ds_read2_b32 v[18:19], v12 offset1:2
	v_add_u32_e32 v11, v10, v47
	v_add_u32_e32 v12, v11, v48
	;; [unrolled: 1-line block ×4, first 2 shown]
	s_branch .LBB1309_76
.LBB1309_66:
                                        ; implicit-def: $vgpr19
                                        ; implicit-def: $vgpr2_vgpr3_vgpr4_vgpr5_vgpr6_vgpr7_vgpr8_vgpr9_vgpr10_vgpr11_vgpr12_vgpr13_vgpr14_vgpr15_vgpr16_vgpr17
	s_cbranch_execz .LBB1309_76
; %bb.67:
	s_nop 0
	v_mov_b32_dpp v2, v52 row_shr:1 row_mask:0xf bank_mask:0xf
	v_cndmask_b32_e64 v2, v2, 0, s[14:15]
	v_add_u32_e32 v2, v2, v52
	s_nop 1
	v_mov_b32_dpp v3, v2 row_shr:2 row_mask:0xf bank_mask:0xf
	v_cndmask_b32_e64 v3, 0, v3, s[12:13]
	v_add_u32_e32 v2, v2, v3
	;; [unrolled: 4-line block ×4, first 2 shown]
	s_nop 1
	v_mov_b32_dpp v3, v2 row_bcast:15 row_mask:0xf bank_mask:0xf
	v_cndmask_b32_e64 v3, v3, 0, s[18:19]
	v_add_u32_e32 v2, v2, v3
	s_nop 1
	v_mov_b32_dpp v3, v2 row_bcast:31 row_mask:0xf bank_mask:0xf
	v_cndmask_b32_e64 v3, 0, v3, s[2:3]
	v_add_u32_e32 v2, v2, v3
	s_and_saveexec_b64 s[2:3], s[4:5]
	s_cbranch_execz .LBB1309_69
; %bb.68:
	v_lshlrev_b32_e32 v3, 2, v51
	ds_write_b32 v3, v2
.LBB1309_69:
	s_or_b64 exec, exec, s[2:3]
	v_cmp_gt_u32_e32 vcc, 4, v0
	s_waitcnt lgkmcnt(0)
	s_barrier
	s_and_saveexec_b64 s[2:3], vcc
	s_cbranch_execz .LBB1309_71
; %bb.70:
	ds_read_b32 v3, v1
	v_and_b32_e32 v4, 3, v50
	v_cmp_ne_u32_e32 vcc, 0, v4
	s_waitcnt lgkmcnt(0)
	v_mov_b32_dpp v5, v3 row_shr:1 row_mask:0xf bank_mask:0xf
	v_cndmask_b32_e32 v5, 0, v5, vcc
	v_add_u32_e32 v3, v5, v3
	v_cmp_lt_u32_e32 vcc, 1, v4
	s_nop 0
	v_mov_b32_dpp v5, v3 row_shr:2 row_mask:0xf bank_mask:0xf
	v_cndmask_b32_e32 v4, 0, v5, vcc
	v_add_u32_e32 v3, v3, v4
	ds_write_b32 v1, v3
.LBB1309_71:
	s_or_b64 exec, exec, s[2:3]
	v_cmp_lt_u32_e32 vcc, 63, v0
	v_mov_b32_e32 v4, 0
	v_mov_b32_e32 v3, 0
	s_waitcnt lgkmcnt(0)
	s_barrier
	s_and_saveexec_b64 s[2:3], vcc
	s_cbranch_execz .LBB1309_73
; %bb.72:
	v_lshl_add_u32 v3, v51, 2, -4
	ds_read_b32 v3, v3
.LBB1309_73:
	s_or_b64 exec, exec, s[2:3]
	v_add_u32_e32 v5, -1, v50
	v_and_b32_e32 v6, 64, v50
	v_cmp_lt_i32_e32 vcc, v5, v6
	v_cndmask_b32_e32 v5, v5, v50, vcc
	s_waitcnt lgkmcnt(0)
	v_add_u32_e32 v2, v3, v2
	v_lshlrev_b32_e32 v5, 2, v5
	ds_bpermute_b32 v2, v5, v2
	ds_read_b32 v18, v4 offset:12
	v_cmp_eq_u32_e32 vcc, 0, v0
	s_and_saveexec_b64 s[2:3], vcc
	s_cbranch_execz .LBB1309_75
; %bb.74:
	v_mov_b32_e32 v4, 0
	v_mov_b32_e32 v19, 2
	s_waitcnt lgkmcnt(0)
	global_store_dwordx2 v4, v[18:19], s[34:35] offset:512
.LBB1309_75:
	s_or_b64 exec, exec, s[2:3]
	v_cmp_eq_u32_e64 s[2:3], 0, v50
	s_waitcnt lgkmcnt(1)
	v_cndmask_b32_e64 v2, v2, v3, s[2:3]
	v_cndmask_b32_e64 v2, v2, 0, vcc
	v_add_u32_e32 v3, v2, v41
	v_add_u32_e32 v4, v3, v42
	;; [unrolled: 1-line block ×11, first 2 shown]
	v_mov_b32_e32 v19, 0
	v_add_u32_e32 v14, v13, v38
	s_waitcnt lgkmcnt(0)
	s_barrier
.LBB1309_76:
	s_waitcnt lgkmcnt(0)
	v_add_u32_e32 v33, v18, v33
	v_sub_u32_e32 v2, v2, v19
	v_and_b32_e32 v42, 1, v37
	v_sub_u32_e32 v41, v33, v2
	v_cmp_eq_u32_e32 vcc, 1, v42
	v_cndmask_b32_e32 v2, v41, v2, vcc
	v_lshlrev_b32_e32 v2, 2, v2
	v_lshrrev_b32_e32 v17, 8, v37
	ds_write_b32 v2, v30
	v_sub_u32_e32 v2, v3, v19
	v_sub_u32_e32 v3, v33, v2
	v_and_b32_e32 v17, 1, v17
	v_add_u32_e32 v3, 1, v3
	v_cmp_eq_u32_e32 vcc, 1, v17
	v_cndmask_b32_e32 v2, v3, v2, vcc
	v_lshlrev_b32_e32 v2, 2, v2
	ds_write_b32 v2, v31
	v_sub_u32_e32 v2, v4, v19
	v_mov_b32_e32 v4, 1
	v_sub_u32_e32 v3, v33, v2
	v_and_b32_sdwa v17, v4, v37 dst_sel:DWORD dst_unused:UNUSED_PAD src0_sel:DWORD src1_sel:WORD_1
	v_add_u32_e32 v3, 2, v3
	v_cmp_eq_u32_e32 vcc, 1, v17
	v_cndmask_b32_e32 v2, v3, v2, vcc
	v_lshlrev_b32_e32 v2, 2, v2
	ds_write_b32 v2, v28
	v_sub_u32_e32 v2, v5, v19
	v_sub_u32_e32 v3, v33, v2
	v_and_b32_e32 v5, 1, v40
	v_add_u32_e32 v3, 3, v3
	v_cmp_eq_u32_e32 vcc, 1, v5
	v_cndmask_b32_e32 v2, v3, v2, vcc
	v_lshlrev_b32_e32 v2, 2, v2
	ds_write_b32 v2, v29
	v_sub_u32_e32 v2, v6, v19
	v_sub_u32_e32 v3, v33, v2
	v_and_b32_e32 v5, 1, v36
	v_add_u32_e32 v3, 4, v3
	v_cmp_eq_u32_e32 vcc, 1, v5
	v_cndmask_b32_e32 v2, v3, v2, vcc
	v_lshlrev_b32_e32 v2, 2, v2
	v_lshrrev_b32_e32 v16, 8, v36
	ds_write_b32 v2, v26
	v_sub_u32_e32 v2, v7, v19
	v_sub_u32_e32 v3, v33, v2
	v_and_b32_e32 v5, 1, v16
	v_add_u32_e32 v3, 5, v3
	v_cmp_eq_u32_e32 vcc, 1, v5
	v_cndmask_b32_e32 v2, v3, v2, vcc
	v_lshlrev_b32_e32 v2, 2, v2
	ds_write_b32 v2, v27
	v_sub_u32_e32 v2, v8, v19
	v_sub_u32_e32 v3, v33, v2
	v_and_b32_sdwa v5, v4, v36 dst_sel:DWORD dst_unused:UNUSED_PAD src0_sel:DWORD src1_sel:WORD_1
	v_add_u32_e32 v3, 6, v3
	v_cmp_eq_u32_e32 vcc, 1, v5
	v_cndmask_b32_e32 v2, v3, v2, vcc
	v_lshlrev_b32_e32 v2, 2, v2
	ds_write_b32 v2, v24
	v_sub_u32_e32 v2, v9, v19
	v_sub_u32_e32 v3, v33, v2
	v_and_b32_e32 v5, 1, v39
	v_add_u32_e32 v3, 7, v3
	v_cmp_eq_u32_e32 vcc, 1, v5
	v_cndmask_b32_e32 v2, v3, v2, vcc
	v_lshlrev_b32_e32 v2, 2, v2
	ds_write_b32 v2, v25
	v_sub_u32_e32 v2, v10, v19
	v_sub_u32_e32 v3, v33, v2
	v_and_b32_e32 v5, 1, v35
	v_add_u32_e32 v3, 8, v3
	v_cmp_eq_u32_e32 vcc, 1, v5
	v_cndmask_b32_e32 v2, v3, v2, vcc
	v_lshlrev_b32_e32 v2, 2, v2
	v_lshrrev_b32_e32 v15, 8, v35
	ds_write_b32 v2, v22
	v_sub_u32_e32 v2, v11, v19
	v_sub_u32_e32 v3, v33, v2
	v_and_b32_e32 v5, 1, v15
	v_add_u32_e32 v3, 9, v3
	v_cmp_eq_u32_e32 vcc, 1, v5
	v_cndmask_b32_e32 v2, v3, v2, vcc
	v_lshlrev_b32_e32 v2, 2, v2
	ds_write_b32 v2, v23
	v_sub_u32_e32 v2, v12, v19
	v_sub_u32_e32 v3, v33, v2
	v_and_b32_sdwa v4, v4, v35 dst_sel:DWORD dst_unused:UNUSED_PAD src0_sel:DWORD src1_sel:WORD_1
	v_add_u32_e32 v3, 10, v3
	v_cmp_eq_u32_e32 vcc, 1, v4
	v_cndmask_b32_e32 v2, v3, v2, vcc
	v_lshlrev_b32_e32 v2, 2, v2
	ds_write_b32 v2, v20
	v_sub_u32_e32 v2, v13, v19
	v_sub_u32_e32 v3, v33, v2
	v_and_b32_e32 v4, 1, v38
	v_add_u32_e32 v3, 11, v3
	v_cmp_eq_u32_e32 vcc, 1, v4
	v_cndmask_b32_e32 v2, v3, v2, vcc
	v_lshlrev_b32_e32 v2, 2, v2
	ds_write_b32 v2, v21
	v_sub_u32_e32 v2, v14, v19
	v_sub_u32_e32 v3, v33, v2
	v_and_b32_e32 v4, 1, v34
	v_add_u32_e32 v3, 12, v3
	v_cmp_eq_u32_e32 vcc, 1, v4
	v_cndmask_b32_e32 v2, v3, v2, vcc
	s_add_u32 s2, s28, s42
	v_lshlrev_b32_e32 v2, 2, v2
	s_addc_u32 s3, s29, 0
	ds_write_b32 v2, v32
	s_waitcnt lgkmcnt(0)
	s_barrier
	ds_read2st64_b32 v[12:13], v1 offset1:4
	ds_read2st64_b32 v[10:11], v1 offset0:8 offset1:12
	ds_read2st64_b32 v[8:9], v1 offset0:16 offset1:20
	;; [unrolled: 1-line block ×5, first 2 shown]
	ds_read_b32 v17, v1 offset:12288
	v_mov_b32_e32 v14, s31
	v_add_co_u32_e32 v1, vcc, s30, v19
	s_sub_u32 s2, s26, s2
	v_addc_co_u32_e32 v16, vcc, 0, v14, vcc
	s_subb_u32 s3, s27, s3
	v_mov_b32_e32 v14, s3
	v_add_co_u32_e32 v15, vcc, s2, v18
	v_addc_co_u32_e32 v14, vcc, 0, v14, vcc
	s_and_b64 vcc, exec, s[0:1]
	v_add_co_u32_e64 v19, s[0:1], v15, v1
	v_or_b32_e32 v32, 0x100, v0
	v_or_b32_e32 v31, 0x200, v0
	;; [unrolled: 1-line block ×12, first 2 shown]
	v_addc_co_u32_e64 v21, s[0:1], v14, v16, s[0:1]
	s_cbranch_vccnz .LBB1309_130
; %bb.77:
	v_cmp_ge_u32_e32 vcc, v0, v18
                                        ; implicit-def: $vgpr14_vgpr15
	s_and_saveexec_b64 s[0:1], vcc
	s_xor_b64 s[0:1], exec, s[0:1]
; %bb.78:
	v_not_b32_e32 v14, v0
	v_ashrrev_i32_e32 v15, 31, v14
	v_add_co_u32_e32 v14, vcc, v19, v14
	v_addc_co_u32_e32 v15, vcc, v21, v15, vcc
; %bb.79:
	s_andn2_saveexec_b64 s[0:1], s[0:1]
; %bb.80:
	v_add_co_u32_e32 v14, vcc, v1, v0
	v_addc_co_u32_e32 v15, vcc, 0, v16, vcc
; %bb.81:
	s_or_b64 exec, exec, s[0:1]
	v_lshlrev_b64 v[14:15], 2, v[14:15]
	v_mov_b32_e32 v33, s25
	v_add_co_u32_e32 v14, vcc, s24, v14
	v_addc_co_u32_e32 v15, vcc, v33, v15, vcc
	v_cmp_ge_u32_e32 vcc, v32, v18
	s_waitcnt lgkmcnt(6)
	global_store_dword v[14:15], v12, off
                                        ; implicit-def: $vgpr14_vgpr15
	s_and_saveexec_b64 s[0:1], vcc
	s_xor_b64 s[0:1], exec, s[0:1]
; %bb.82:
	v_xor_b32_e32 v14, 0xfffffeff, v0
	v_ashrrev_i32_e32 v15, 31, v14
	v_add_co_u32_e32 v14, vcc, v19, v14
	v_addc_co_u32_e32 v15, vcc, v21, v15, vcc
; %bb.83:
	s_andn2_saveexec_b64 s[0:1], s[0:1]
; %bb.84:
	v_add_co_u32_e32 v14, vcc, v1, v32
	v_addc_co_u32_e32 v15, vcc, 0, v16, vcc
; %bb.85:
	s_or_b64 exec, exec, s[0:1]
	v_lshlrev_b64 v[14:15], 2, v[14:15]
	v_mov_b32_e32 v33, s25
	v_add_co_u32_e32 v14, vcc, s24, v14
	v_addc_co_u32_e32 v15, vcc, v33, v15, vcc
	v_cmp_ge_u32_e32 vcc, v31, v18
	global_store_dword v[14:15], v13, off
                                        ; implicit-def: $vgpr14_vgpr15
	s_and_saveexec_b64 s[0:1], vcc
	s_xor_b64 s[0:1], exec, s[0:1]
; %bb.86:
	v_xor_b32_e32 v14, 0xfffffdff, v0
	v_ashrrev_i32_e32 v15, 31, v14
	v_add_co_u32_e32 v14, vcc, v19, v14
	v_addc_co_u32_e32 v15, vcc, v21, v15, vcc
; %bb.87:
	s_andn2_saveexec_b64 s[0:1], s[0:1]
; %bb.88:
	v_add_co_u32_e32 v14, vcc, v1, v31
	v_addc_co_u32_e32 v15, vcc, 0, v16, vcc
; %bb.89:
	s_or_b64 exec, exec, s[0:1]
	v_lshlrev_b64 v[14:15], 2, v[14:15]
	v_mov_b32_e32 v33, s25
	v_add_co_u32_e32 v14, vcc, s24, v14
	v_addc_co_u32_e32 v15, vcc, v33, v15, vcc
	v_cmp_ge_u32_e32 vcc, v30, v18
	s_waitcnt lgkmcnt(5)
	global_store_dword v[14:15], v10, off
                                        ; implicit-def: $vgpr14_vgpr15
	s_and_saveexec_b64 s[0:1], vcc
	s_xor_b64 s[0:1], exec, s[0:1]
; %bb.90:
	v_xor_b32_e32 v14, 0xfffffcff, v0
	v_ashrrev_i32_e32 v15, 31, v14
	v_add_co_u32_e32 v14, vcc, v19, v14
	v_addc_co_u32_e32 v15, vcc, v21, v15, vcc
; %bb.91:
	s_andn2_saveexec_b64 s[0:1], s[0:1]
; %bb.92:
	v_add_co_u32_e32 v14, vcc, v1, v30
	v_addc_co_u32_e32 v15, vcc, 0, v16, vcc
; %bb.93:
	s_or_b64 exec, exec, s[0:1]
	v_lshlrev_b64 v[14:15], 2, v[14:15]
	v_mov_b32_e32 v33, s25
	v_add_co_u32_e32 v14, vcc, s24, v14
	v_addc_co_u32_e32 v15, vcc, v33, v15, vcc
	v_cmp_ge_u32_e32 vcc, v29, v18
	global_store_dword v[14:15], v11, off
                                        ; implicit-def: $vgpr14_vgpr15
	s_and_saveexec_b64 s[0:1], vcc
	s_xor_b64 s[0:1], exec, s[0:1]
; %bb.94:
	v_xor_b32_e32 v14, 0xfffffbff, v0
	;; [unrolled: 43-line block ×6, first 2 shown]
	v_ashrrev_i32_e32 v15, 31, v14
	v_add_co_u32_e32 v14, vcc, v19, v14
	v_addc_co_u32_e32 v15, vcc, v21, v15, vcc
; %bb.127:
	s_andn2_saveexec_b64 s[0:1], s[0:1]
; %bb.128:
	v_add_co_u32_e32 v14, vcc, v1, v20
	v_addc_co_u32_e32 v15, vcc, 0, v16, vcc
; %bb.129:
	s_or_b64 exec, exec, s[0:1]
	s_mov_b64 s[0:1], -1
	s_branch .LBB1309_210
.LBB1309_130:
	s_mov_b64 s[0:1], 0
                                        ; implicit-def: $vgpr14_vgpr15
	s_cbranch_execz .LBB1309_210
; %bb.131:
	v_cmp_gt_u32_e32 vcc, s33, v0
	s_and_saveexec_b64 s[2:3], vcc
	s_cbranch_execz .LBB1309_167
; %bb.132:
	v_cmp_ge_u32_e32 vcc, v0, v18
                                        ; implicit-def: $vgpr14_vgpr15
	s_and_saveexec_b64 s[4:5], vcc
	s_xor_b64 s[4:5], exec, s[4:5]
; %bb.133:
	v_not_b32_e32 v14, v0
	v_ashrrev_i32_e32 v15, 31, v14
	v_add_co_u32_e32 v14, vcc, v19, v14
	v_addc_co_u32_e32 v15, vcc, v21, v15, vcc
; %bb.134:
	s_andn2_saveexec_b64 s[4:5], s[4:5]
; %bb.135:
	v_add_co_u32_e32 v14, vcc, v1, v0
	v_addc_co_u32_e32 v15, vcc, 0, v16, vcc
; %bb.136:
	s_or_b64 exec, exec, s[4:5]
	v_lshlrev_b64 v[14:15], 2, v[14:15]
	v_mov_b32_e32 v33, s25
	v_add_co_u32_e32 v14, vcc, s24, v14
	v_addc_co_u32_e32 v15, vcc, v33, v15, vcc
	s_waitcnt lgkmcnt(6)
	global_store_dword v[14:15], v12, off
	s_or_b64 exec, exec, s[2:3]
	v_cmp_gt_u32_e32 vcc, s33, v32
	s_and_saveexec_b64 s[2:3], vcc
	s_cbranch_execnz .LBB1309_168
.LBB1309_137:
	s_or_b64 exec, exec, s[2:3]
	v_cmp_gt_u32_e32 vcc, s33, v31
	s_and_saveexec_b64 s[2:3], vcc
	s_cbranch_execz .LBB1309_173
.LBB1309_138:
	v_cmp_ge_u32_e32 vcc, v31, v18
                                        ; implicit-def: $vgpr12_vgpr13
	s_and_saveexec_b64 s[4:5], vcc
	s_xor_b64 s[4:5], exec, s[4:5]
	s_cbranch_execz .LBB1309_140
; %bb.139:
	s_waitcnt lgkmcnt(6)
	v_xor_b32_e32 v12, 0xfffffdff, v0
	v_ashrrev_i32_e32 v13, 31, v12
	v_add_co_u32_e32 v12, vcc, v19, v12
	v_addc_co_u32_e32 v13, vcc, v21, v13, vcc
                                        ; implicit-def: $vgpr31
.LBB1309_140:
	s_andn2_saveexec_b64 s[4:5], s[4:5]
	s_cbranch_execz .LBB1309_142
; %bb.141:
	s_waitcnt lgkmcnt(6)
	v_add_co_u32_e32 v12, vcc, v1, v31
	v_addc_co_u32_e32 v13, vcc, 0, v16, vcc
.LBB1309_142:
	s_or_b64 exec, exec, s[4:5]
	s_waitcnt lgkmcnt(6)
	v_lshlrev_b64 v[12:13], 2, v[12:13]
	v_mov_b32_e32 v14, s25
	v_add_co_u32_e32 v12, vcc, s24, v12
	v_addc_co_u32_e32 v13, vcc, v14, v13, vcc
	s_waitcnt lgkmcnt(5)
	global_store_dword v[12:13], v10, off
	s_or_b64 exec, exec, s[2:3]
	v_cmp_gt_u32_e32 vcc, s33, v30
	s_and_saveexec_b64 s[2:3], vcc
	s_cbranch_execnz .LBB1309_174
.LBB1309_143:
	s_or_b64 exec, exec, s[2:3]
	v_cmp_gt_u32_e32 vcc, s33, v29
	s_and_saveexec_b64 s[2:3], vcc
	s_cbranch_execz .LBB1309_179
.LBB1309_144:
	v_cmp_ge_u32_e32 vcc, v29, v18
                                        ; implicit-def: $vgpr10_vgpr11
	s_and_saveexec_b64 s[4:5], vcc
	s_xor_b64 s[4:5], exec, s[4:5]
	s_cbranch_execz .LBB1309_146
; %bb.145:
	s_waitcnt lgkmcnt(5)
	v_xor_b32_e32 v10, 0xfffffbff, v0
	v_ashrrev_i32_e32 v11, 31, v10
	v_add_co_u32_e32 v10, vcc, v19, v10
	v_addc_co_u32_e32 v11, vcc, v21, v11, vcc
                                        ; implicit-def: $vgpr29
.LBB1309_146:
	s_andn2_saveexec_b64 s[4:5], s[4:5]
	s_cbranch_execz .LBB1309_148
; %bb.147:
	s_waitcnt lgkmcnt(5)
	v_add_co_u32_e32 v10, vcc, v1, v29
	v_addc_co_u32_e32 v11, vcc, 0, v16, vcc
.LBB1309_148:
	s_or_b64 exec, exec, s[4:5]
	s_waitcnt lgkmcnt(5)
	v_lshlrev_b64 v[10:11], 2, v[10:11]
	v_mov_b32_e32 v12, s25
	v_add_co_u32_e32 v10, vcc, s24, v10
	v_addc_co_u32_e32 v11, vcc, v12, v11, vcc
	s_waitcnt lgkmcnt(4)
	global_store_dword v[10:11], v8, off
	s_or_b64 exec, exec, s[2:3]
	v_cmp_gt_u32_e32 vcc, s33, v28
	s_and_saveexec_b64 s[2:3], vcc
	s_cbranch_execnz .LBB1309_180
.LBB1309_149:
	s_or_b64 exec, exec, s[2:3]
	v_cmp_gt_u32_e32 vcc, s33, v27
	s_and_saveexec_b64 s[2:3], vcc
	s_cbranch_execz .LBB1309_185
.LBB1309_150:
	v_cmp_ge_u32_e32 vcc, v27, v18
                                        ; implicit-def: $vgpr8_vgpr9
	s_and_saveexec_b64 s[4:5], vcc
	s_xor_b64 s[4:5], exec, s[4:5]
	s_cbranch_execz .LBB1309_152
; %bb.151:
	s_waitcnt lgkmcnt(4)
	v_xor_b32_e32 v8, 0xfffff9ff, v0
	v_ashrrev_i32_e32 v9, 31, v8
	v_add_co_u32_e32 v8, vcc, v19, v8
	v_addc_co_u32_e32 v9, vcc, v21, v9, vcc
                                        ; implicit-def: $vgpr27
.LBB1309_152:
	s_andn2_saveexec_b64 s[4:5], s[4:5]
	s_cbranch_execz .LBB1309_154
; %bb.153:
	s_waitcnt lgkmcnt(4)
	v_add_co_u32_e32 v8, vcc, v1, v27
	v_addc_co_u32_e32 v9, vcc, 0, v16, vcc
.LBB1309_154:
	s_or_b64 exec, exec, s[4:5]
	s_waitcnt lgkmcnt(4)
	v_lshlrev_b64 v[8:9], 2, v[8:9]
	v_mov_b32_e32 v10, s25
	v_add_co_u32_e32 v8, vcc, s24, v8
	v_addc_co_u32_e32 v9, vcc, v10, v9, vcc
	s_waitcnt lgkmcnt(3)
	global_store_dword v[8:9], v6, off
	s_or_b64 exec, exec, s[2:3]
	v_cmp_gt_u32_e32 vcc, s33, v26
	s_and_saveexec_b64 s[2:3], vcc
	s_cbranch_execnz .LBB1309_186
.LBB1309_155:
	s_or_b64 exec, exec, s[2:3]
	v_cmp_gt_u32_e32 vcc, s33, v25
	s_and_saveexec_b64 s[2:3], vcc
	s_cbranch_execz .LBB1309_191
.LBB1309_156:
	v_cmp_ge_u32_e32 vcc, v25, v18
                                        ; implicit-def: $vgpr6_vgpr7
	s_and_saveexec_b64 s[4:5], vcc
	s_xor_b64 s[4:5], exec, s[4:5]
	s_cbranch_execz .LBB1309_158
; %bb.157:
	s_waitcnt lgkmcnt(3)
	v_xor_b32_e32 v6, 0xfffff7ff, v0
	v_ashrrev_i32_e32 v7, 31, v6
	v_add_co_u32_e32 v6, vcc, v19, v6
	v_addc_co_u32_e32 v7, vcc, v21, v7, vcc
                                        ; implicit-def: $vgpr25
.LBB1309_158:
	s_andn2_saveexec_b64 s[4:5], s[4:5]
	s_cbranch_execz .LBB1309_160
; %bb.159:
	s_waitcnt lgkmcnt(3)
	v_add_co_u32_e32 v6, vcc, v1, v25
	v_addc_co_u32_e32 v7, vcc, 0, v16, vcc
.LBB1309_160:
	s_or_b64 exec, exec, s[4:5]
	s_waitcnt lgkmcnt(3)
	v_lshlrev_b64 v[6:7], 2, v[6:7]
	v_mov_b32_e32 v8, s25
	v_add_co_u32_e32 v6, vcc, s24, v6
	v_addc_co_u32_e32 v7, vcc, v8, v7, vcc
	s_waitcnt lgkmcnt(2)
	global_store_dword v[6:7], v4, off
	s_or_b64 exec, exec, s[2:3]
	v_cmp_gt_u32_e32 vcc, s33, v24
	s_and_saveexec_b64 s[2:3], vcc
	s_cbranch_execnz .LBB1309_192
.LBB1309_161:
	s_or_b64 exec, exec, s[2:3]
	v_cmp_gt_u32_e32 vcc, s33, v23
	s_and_saveexec_b64 s[2:3], vcc
	s_cbranch_execz .LBB1309_197
.LBB1309_162:
	v_cmp_ge_u32_e32 vcc, v23, v18
                                        ; implicit-def: $vgpr4_vgpr5
	s_and_saveexec_b64 s[4:5], vcc
	s_xor_b64 s[4:5], exec, s[4:5]
	s_cbranch_execz .LBB1309_164
; %bb.163:
	s_waitcnt lgkmcnt(2)
	v_xor_b32_e32 v4, 0xfffff5ff, v0
	v_ashrrev_i32_e32 v5, 31, v4
	v_add_co_u32_e32 v4, vcc, v19, v4
	v_addc_co_u32_e32 v5, vcc, v21, v5, vcc
                                        ; implicit-def: $vgpr23
.LBB1309_164:
	s_andn2_saveexec_b64 s[4:5], s[4:5]
	s_cbranch_execz .LBB1309_166
; %bb.165:
	s_waitcnt lgkmcnt(2)
	v_add_co_u32_e32 v4, vcc, v1, v23
	v_addc_co_u32_e32 v5, vcc, 0, v16, vcc
.LBB1309_166:
	s_or_b64 exec, exec, s[4:5]
	s_waitcnt lgkmcnt(2)
	v_lshlrev_b64 v[4:5], 2, v[4:5]
	v_mov_b32_e32 v6, s25
	v_add_co_u32_e32 v4, vcc, s24, v4
	v_addc_co_u32_e32 v5, vcc, v6, v5, vcc
	s_waitcnt lgkmcnt(1)
	global_store_dword v[4:5], v2, off
	s_or_b64 exec, exec, s[2:3]
	v_cmp_gt_u32_e32 vcc, s33, v22
	s_and_saveexec_b64 s[2:3], vcc
	s_cbranch_execz .LBB1309_203
	s_branch .LBB1309_198
.LBB1309_167:
	s_or_b64 exec, exec, s[2:3]
	v_cmp_gt_u32_e32 vcc, s33, v32
	s_and_saveexec_b64 s[2:3], vcc
	s_cbranch_execz .LBB1309_137
.LBB1309_168:
	v_cmp_ge_u32_e32 vcc, v32, v18
                                        ; implicit-def: $vgpr14_vgpr15
	s_and_saveexec_b64 s[4:5], vcc
	s_xor_b64 s[4:5], exec, s[4:5]
	s_cbranch_execz .LBB1309_170
; %bb.169:
	s_waitcnt lgkmcnt(6)
	v_xor_b32_e32 v12, 0xfffffeff, v0
	v_ashrrev_i32_e32 v15, 31, v12
	v_add_co_u32_e32 v14, vcc, v19, v12
	v_addc_co_u32_e32 v15, vcc, v21, v15, vcc
                                        ; implicit-def: $vgpr32
.LBB1309_170:
	s_andn2_saveexec_b64 s[4:5], s[4:5]
; %bb.171:
	v_add_co_u32_e32 v14, vcc, v1, v32
	v_addc_co_u32_e32 v15, vcc, 0, v16, vcc
; %bb.172:
	s_or_b64 exec, exec, s[4:5]
	v_lshlrev_b64 v[14:15], 2, v[14:15]
	s_waitcnt lgkmcnt(6)
	v_mov_b32_e32 v12, s25
	v_add_co_u32_e32 v14, vcc, s24, v14
	v_addc_co_u32_e32 v15, vcc, v12, v15, vcc
	global_store_dword v[14:15], v13, off
	s_or_b64 exec, exec, s[2:3]
	v_cmp_gt_u32_e32 vcc, s33, v31
	s_and_saveexec_b64 s[2:3], vcc
	s_cbranch_execnz .LBB1309_138
.LBB1309_173:
	s_or_b64 exec, exec, s[2:3]
	v_cmp_gt_u32_e32 vcc, s33, v30
	s_and_saveexec_b64 s[2:3], vcc
	s_cbranch_execz .LBB1309_143
.LBB1309_174:
	v_cmp_ge_u32_e32 vcc, v30, v18
                                        ; implicit-def: $vgpr12_vgpr13
	s_and_saveexec_b64 s[4:5], vcc
	s_xor_b64 s[4:5], exec, s[4:5]
	s_cbranch_execz .LBB1309_176
; %bb.175:
	s_waitcnt lgkmcnt(5)
	v_xor_b32_e32 v10, 0xfffffcff, v0
	v_ashrrev_i32_e32 v13, 31, v10
	v_add_co_u32_e32 v12, vcc, v19, v10
	v_addc_co_u32_e32 v13, vcc, v21, v13, vcc
                                        ; implicit-def: $vgpr30
.LBB1309_176:
	s_andn2_saveexec_b64 s[4:5], s[4:5]
	s_cbranch_execz .LBB1309_178
; %bb.177:
	s_waitcnt lgkmcnt(6)
	v_add_co_u32_e32 v12, vcc, v1, v30
	v_addc_co_u32_e32 v13, vcc, 0, v16, vcc
.LBB1309_178:
	s_or_b64 exec, exec, s[4:5]
	s_waitcnt lgkmcnt(6)
	v_lshlrev_b64 v[12:13], 2, v[12:13]
	s_waitcnt lgkmcnt(5)
	v_mov_b32_e32 v10, s25
	v_add_co_u32_e32 v12, vcc, s24, v12
	v_addc_co_u32_e32 v13, vcc, v10, v13, vcc
	global_store_dword v[12:13], v11, off
	s_or_b64 exec, exec, s[2:3]
	v_cmp_gt_u32_e32 vcc, s33, v29
	s_and_saveexec_b64 s[2:3], vcc
	s_cbranch_execnz .LBB1309_144
.LBB1309_179:
	s_or_b64 exec, exec, s[2:3]
	v_cmp_gt_u32_e32 vcc, s33, v28
	s_and_saveexec_b64 s[2:3], vcc
	s_cbranch_execz .LBB1309_149
.LBB1309_180:
	v_cmp_ge_u32_e32 vcc, v28, v18
                                        ; implicit-def: $vgpr10_vgpr11
	s_and_saveexec_b64 s[4:5], vcc
	s_xor_b64 s[4:5], exec, s[4:5]
	s_cbranch_execz .LBB1309_182
; %bb.181:
	s_waitcnt lgkmcnt(4)
	v_xor_b32_e32 v8, 0xfffffaff, v0
	v_ashrrev_i32_e32 v11, 31, v8
	v_add_co_u32_e32 v10, vcc, v19, v8
	v_addc_co_u32_e32 v11, vcc, v21, v11, vcc
                                        ; implicit-def: $vgpr28
.LBB1309_182:
	s_andn2_saveexec_b64 s[4:5], s[4:5]
	s_cbranch_execz .LBB1309_184
; %bb.183:
	s_waitcnt lgkmcnt(5)
	v_add_co_u32_e32 v10, vcc, v1, v28
	v_addc_co_u32_e32 v11, vcc, 0, v16, vcc
.LBB1309_184:
	s_or_b64 exec, exec, s[4:5]
	s_waitcnt lgkmcnt(5)
	v_lshlrev_b64 v[10:11], 2, v[10:11]
	s_waitcnt lgkmcnt(4)
	v_mov_b32_e32 v8, s25
	v_add_co_u32_e32 v10, vcc, s24, v10
	v_addc_co_u32_e32 v11, vcc, v8, v11, vcc
	global_store_dword v[10:11], v9, off
	s_or_b64 exec, exec, s[2:3]
	v_cmp_gt_u32_e32 vcc, s33, v27
	s_and_saveexec_b64 s[2:3], vcc
	s_cbranch_execnz .LBB1309_150
.LBB1309_185:
	s_or_b64 exec, exec, s[2:3]
	v_cmp_gt_u32_e32 vcc, s33, v26
	s_and_saveexec_b64 s[2:3], vcc
	s_cbranch_execz .LBB1309_155
.LBB1309_186:
	v_cmp_ge_u32_e32 vcc, v26, v18
                                        ; implicit-def: $vgpr8_vgpr9
	s_and_saveexec_b64 s[4:5], vcc
	s_xor_b64 s[4:5], exec, s[4:5]
	s_cbranch_execz .LBB1309_188
; %bb.187:
	s_waitcnt lgkmcnt(3)
	v_xor_b32_e32 v6, 0xfffff8ff, v0
	v_ashrrev_i32_e32 v9, 31, v6
	v_add_co_u32_e32 v8, vcc, v19, v6
	v_addc_co_u32_e32 v9, vcc, v21, v9, vcc
                                        ; implicit-def: $vgpr26
.LBB1309_188:
	s_andn2_saveexec_b64 s[4:5], s[4:5]
	s_cbranch_execz .LBB1309_190
; %bb.189:
	s_waitcnt lgkmcnt(4)
	v_add_co_u32_e32 v8, vcc, v1, v26
	v_addc_co_u32_e32 v9, vcc, 0, v16, vcc
.LBB1309_190:
	s_or_b64 exec, exec, s[4:5]
	s_waitcnt lgkmcnt(4)
	v_lshlrev_b64 v[8:9], 2, v[8:9]
	s_waitcnt lgkmcnt(3)
	v_mov_b32_e32 v6, s25
	v_add_co_u32_e32 v8, vcc, s24, v8
	v_addc_co_u32_e32 v9, vcc, v6, v9, vcc
	global_store_dword v[8:9], v7, off
	s_or_b64 exec, exec, s[2:3]
	v_cmp_gt_u32_e32 vcc, s33, v25
	s_and_saveexec_b64 s[2:3], vcc
	s_cbranch_execnz .LBB1309_156
.LBB1309_191:
	s_or_b64 exec, exec, s[2:3]
	v_cmp_gt_u32_e32 vcc, s33, v24
	s_and_saveexec_b64 s[2:3], vcc
	s_cbranch_execz .LBB1309_161
.LBB1309_192:
	v_cmp_ge_u32_e32 vcc, v24, v18
                                        ; implicit-def: $vgpr6_vgpr7
	s_and_saveexec_b64 s[4:5], vcc
	s_xor_b64 s[4:5], exec, s[4:5]
	s_cbranch_execz .LBB1309_194
; %bb.193:
	s_waitcnt lgkmcnt(2)
	v_xor_b32_e32 v4, 0xfffff6ff, v0
	v_ashrrev_i32_e32 v7, 31, v4
	v_add_co_u32_e32 v6, vcc, v19, v4
	v_addc_co_u32_e32 v7, vcc, v21, v7, vcc
                                        ; implicit-def: $vgpr24
.LBB1309_194:
	s_andn2_saveexec_b64 s[4:5], s[4:5]
	s_cbranch_execz .LBB1309_196
; %bb.195:
	s_waitcnt lgkmcnt(3)
	v_add_co_u32_e32 v6, vcc, v1, v24
	v_addc_co_u32_e32 v7, vcc, 0, v16, vcc
.LBB1309_196:
	s_or_b64 exec, exec, s[4:5]
	s_waitcnt lgkmcnt(3)
	v_lshlrev_b64 v[6:7], 2, v[6:7]
	s_waitcnt lgkmcnt(2)
	v_mov_b32_e32 v4, s25
	v_add_co_u32_e32 v6, vcc, s24, v6
	v_addc_co_u32_e32 v7, vcc, v4, v7, vcc
	global_store_dword v[6:7], v5, off
	s_or_b64 exec, exec, s[2:3]
	v_cmp_gt_u32_e32 vcc, s33, v23
	s_and_saveexec_b64 s[2:3], vcc
	s_cbranch_execnz .LBB1309_162
.LBB1309_197:
	s_or_b64 exec, exec, s[2:3]
	v_cmp_gt_u32_e32 vcc, s33, v22
	s_and_saveexec_b64 s[2:3], vcc
	s_cbranch_execz .LBB1309_203
.LBB1309_198:
	v_cmp_ge_u32_e32 vcc, v22, v18
                                        ; implicit-def: $vgpr4_vgpr5
	s_and_saveexec_b64 s[4:5], vcc
	s_xor_b64 s[4:5], exec, s[4:5]
	s_cbranch_execz .LBB1309_200
; %bb.199:
	s_waitcnt lgkmcnt(1)
	v_xor_b32_e32 v2, 0xfffff4ff, v0
	v_ashrrev_i32_e32 v5, 31, v2
	v_add_co_u32_e32 v4, vcc, v19, v2
	v_addc_co_u32_e32 v5, vcc, v21, v5, vcc
                                        ; implicit-def: $vgpr22
.LBB1309_200:
	s_andn2_saveexec_b64 s[4:5], s[4:5]
	s_cbranch_execz .LBB1309_202
; %bb.201:
	s_waitcnt lgkmcnt(2)
	v_add_co_u32_e32 v4, vcc, v1, v22
	v_addc_co_u32_e32 v5, vcc, 0, v16, vcc
.LBB1309_202:
	s_or_b64 exec, exec, s[4:5]
	s_waitcnt lgkmcnt(2)
	v_lshlrev_b64 v[4:5], 2, v[4:5]
	s_waitcnt lgkmcnt(1)
	v_mov_b32_e32 v2, s25
	v_add_co_u32_e32 v4, vcc, s24, v4
	v_addc_co_u32_e32 v5, vcc, v2, v5, vcc
	global_store_dword v[4:5], v3, off
.LBB1309_203:
	s_or_b64 exec, exec, s[2:3]
	v_cmp_gt_u32_e32 vcc, s33, v20
                                        ; implicit-def: $vgpr14_vgpr15
	s_and_saveexec_b64 s[2:3], vcc
	s_cbranch_execz .LBB1309_209
; %bb.204:
	v_cmp_ge_u32_e32 vcc, v20, v18
                                        ; implicit-def: $vgpr14_vgpr15
	s_and_saveexec_b64 s[4:5], vcc
	s_xor_b64 s[4:5], exec, s[4:5]
	s_cbranch_execz .LBB1309_206
; %bb.205:
	s_waitcnt lgkmcnt(1)
	v_xor_b32_e32 v2, 0xfffff3ff, v0
	v_ashrrev_i32_e32 v3, 31, v2
	v_add_co_u32_e32 v14, vcc, v19, v2
	v_addc_co_u32_e32 v15, vcc, v21, v3, vcc
                                        ; implicit-def: $vgpr20
.LBB1309_206:
	s_andn2_saveexec_b64 s[4:5], s[4:5]
; %bb.207:
	v_add_co_u32_e32 v14, vcc, v1, v20
	v_addc_co_u32_e32 v15, vcc, 0, v16, vcc
; %bb.208:
	s_or_b64 exec, exec, s[4:5]
	s_or_b64 s[0:1], s[0:1], exec
.LBB1309_209:
	s_or_b64 exec, exec, s[2:3]
.LBB1309_210:
	s_and_saveexec_b64 s[2:3], s[0:1]
	s_cbranch_execz .LBB1309_212
; %bb.211:
	s_waitcnt lgkmcnt(1)
	v_lshlrev_b64 v[2:3], 2, v[14:15]
	v_mov_b32_e32 v4, s25
	v_add_co_u32_e32 v2, vcc, s24, v2
	v_addc_co_u32_e32 v3, vcc, v4, v3, vcc
	s_waitcnt lgkmcnt(0)
	global_store_dword v[2:3], v17, off
.LBB1309_212:
	s_or_b64 exec, exec, s[2:3]
	v_cmp_eq_u32_e32 vcc, 0, v0
	s_and_b64 s[0:1], vcc, s[22:23]
	s_and_saveexec_b64 s[2:3], s[0:1]
	s_cbranch_execz .LBB1309_214
; %bb.213:
	v_add_co_u32_e32 v0, vcc, v1, v18
	s_waitcnt lgkmcnt(1)
	v_mov_b32_e32 v2, 0
	v_addc_co_u32_e32 v1, vcc, 0, v16, vcc
	global_store_dwordx2 v2, v[0:1], s[20:21]
.LBB1309_214:
	s_endpgm
	.section	.rodata,"a",@progbits
	.p2align	6, 0x0
	.amdhsa_kernel _ZN7rocprim17ROCPRIM_400000_NS6detail17trampoline_kernelINS0_13select_configILj256ELj13ELNS0_17block_load_methodE3ELS4_3ELS4_3ELNS0_20block_scan_algorithmE0ELj4294967295EEENS1_25partition_config_selectorILNS1_17partition_subalgoE3EjNS0_10empty_typeEbEEZZNS1_14partition_implILS8_3ELb0ES6_jNS0_17counting_iteratorIjlEEPS9_SE_NS0_5tupleIJPjSE_EEENSF_IJSE_SE_EEES9_SG_JZNS1_25segmented_radix_sort_implINS0_14default_configELb1EPKfPfPKlPlN2at6native12_GLOBAL__N_18offset_tEEE10hipError_tPvRmT1_PNSt15iterator_traitsISY_E10value_typeET2_T3_PNSZ_IS14_E10value_typeET4_jRbjT5_S1A_jjP12ihipStream_tbEUljE_EEESV_SW_SX_S14_S18_S1A_T6_T7_T9_mT8_S1C_bDpT10_ENKUlT_T0_E_clISt17integral_constantIbLb1EES1O_IbLb0EEEEDaS1K_S1L_EUlS1K_E_NS1_11comp_targetILNS1_3genE4ELNS1_11target_archE910ELNS1_3gpuE8ELNS1_3repE0EEENS1_30default_config_static_selectorELNS0_4arch9wavefront6targetE1EEEvSY_
		.amdhsa_group_segment_fixed_size 13324
		.amdhsa_private_segment_fixed_size 0
		.amdhsa_kernarg_size 144
		.amdhsa_user_sgpr_count 6
		.amdhsa_user_sgpr_private_segment_buffer 1
		.amdhsa_user_sgpr_dispatch_ptr 0
		.amdhsa_user_sgpr_queue_ptr 0
		.amdhsa_user_sgpr_kernarg_segment_ptr 1
		.amdhsa_user_sgpr_dispatch_id 0
		.amdhsa_user_sgpr_flat_scratch_init 0
		.amdhsa_user_sgpr_kernarg_preload_length 0
		.amdhsa_user_sgpr_kernarg_preload_offset 0
		.amdhsa_user_sgpr_private_segment_size 0
		.amdhsa_uses_dynamic_stack 0
		.amdhsa_system_sgpr_private_segment_wavefront_offset 0
		.amdhsa_system_sgpr_workgroup_id_x 1
		.amdhsa_system_sgpr_workgroup_id_y 0
		.amdhsa_system_sgpr_workgroup_id_z 0
		.amdhsa_system_sgpr_workgroup_info 0
		.amdhsa_system_vgpr_workitem_id 0
		.amdhsa_next_free_vgpr 61
		.amdhsa_next_free_sgpr 46
		.amdhsa_accum_offset 64
		.amdhsa_reserve_vcc 1
		.amdhsa_reserve_flat_scratch 0
		.amdhsa_float_round_mode_32 0
		.amdhsa_float_round_mode_16_64 0
		.amdhsa_float_denorm_mode_32 3
		.amdhsa_float_denorm_mode_16_64 3
		.amdhsa_dx10_clamp 1
		.amdhsa_ieee_mode 1
		.amdhsa_fp16_overflow 0
		.amdhsa_tg_split 0
		.amdhsa_exception_fp_ieee_invalid_op 0
		.amdhsa_exception_fp_denorm_src 0
		.amdhsa_exception_fp_ieee_div_zero 0
		.amdhsa_exception_fp_ieee_overflow 0
		.amdhsa_exception_fp_ieee_underflow 0
		.amdhsa_exception_fp_ieee_inexact 0
		.amdhsa_exception_int_div_zero 0
	.end_amdhsa_kernel
	.section	.text._ZN7rocprim17ROCPRIM_400000_NS6detail17trampoline_kernelINS0_13select_configILj256ELj13ELNS0_17block_load_methodE3ELS4_3ELS4_3ELNS0_20block_scan_algorithmE0ELj4294967295EEENS1_25partition_config_selectorILNS1_17partition_subalgoE3EjNS0_10empty_typeEbEEZZNS1_14partition_implILS8_3ELb0ES6_jNS0_17counting_iteratorIjlEEPS9_SE_NS0_5tupleIJPjSE_EEENSF_IJSE_SE_EEES9_SG_JZNS1_25segmented_radix_sort_implINS0_14default_configELb1EPKfPfPKlPlN2at6native12_GLOBAL__N_18offset_tEEE10hipError_tPvRmT1_PNSt15iterator_traitsISY_E10value_typeET2_T3_PNSZ_IS14_E10value_typeET4_jRbjT5_S1A_jjP12ihipStream_tbEUljE_EEESV_SW_SX_S14_S18_S1A_T6_T7_T9_mT8_S1C_bDpT10_ENKUlT_T0_E_clISt17integral_constantIbLb1EES1O_IbLb0EEEEDaS1K_S1L_EUlS1K_E_NS1_11comp_targetILNS1_3genE4ELNS1_11target_archE910ELNS1_3gpuE8ELNS1_3repE0EEENS1_30default_config_static_selectorELNS0_4arch9wavefront6targetE1EEEvSY_,"axG",@progbits,_ZN7rocprim17ROCPRIM_400000_NS6detail17trampoline_kernelINS0_13select_configILj256ELj13ELNS0_17block_load_methodE3ELS4_3ELS4_3ELNS0_20block_scan_algorithmE0ELj4294967295EEENS1_25partition_config_selectorILNS1_17partition_subalgoE3EjNS0_10empty_typeEbEEZZNS1_14partition_implILS8_3ELb0ES6_jNS0_17counting_iteratorIjlEEPS9_SE_NS0_5tupleIJPjSE_EEENSF_IJSE_SE_EEES9_SG_JZNS1_25segmented_radix_sort_implINS0_14default_configELb1EPKfPfPKlPlN2at6native12_GLOBAL__N_18offset_tEEE10hipError_tPvRmT1_PNSt15iterator_traitsISY_E10value_typeET2_T3_PNSZ_IS14_E10value_typeET4_jRbjT5_S1A_jjP12ihipStream_tbEUljE_EEESV_SW_SX_S14_S18_S1A_T6_T7_T9_mT8_S1C_bDpT10_ENKUlT_T0_E_clISt17integral_constantIbLb1EES1O_IbLb0EEEEDaS1K_S1L_EUlS1K_E_NS1_11comp_targetILNS1_3genE4ELNS1_11target_archE910ELNS1_3gpuE8ELNS1_3repE0EEENS1_30default_config_static_selectorELNS0_4arch9wavefront6targetE1EEEvSY_,comdat
.Lfunc_end1309:
	.size	_ZN7rocprim17ROCPRIM_400000_NS6detail17trampoline_kernelINS0_13select_configILj256ELj13ELNS0_17block_load_methodE3ELS4_3ELS4_3ELNS0_20block_scan_algorithmE0ELj4294967295EEENS1_25partition_config_selectorILNS1_17partition_subalgoE3EjNS0_10empty_typeEbEEZZNS1_14partition_implILS8_3ELb0ES6_jNS0_17counting_iteratorIjlEEPS9_SE_NS0_5tupleIJPjSE_EEENSF_IJSE_SE_EEES9_SG_JZNS1_25segmented_radix_sort_implINS0_14default_configELb1EPKfPfPKlPlN2at6native12_GLOBAL__N_18offset_tEEE10hipError_tPvRmT1_PNSt15iterator_traitsISY_E10value_typeET2_T3_PNSZ_IS14_E10value_typeET4_jRbjT5_S1A_jjP12ihipStream_tbEUljE_EEESV_SW_SX_S14_S18_S1A_T6_T7_T9_mT8_S1C_bDpT10_ENKUlT_T0_E_clISt17integral_constantIbLb1EES1O_IbLb0EEEEDaS1K_S1L_EUlS1K_E_NS1_11comp_targetILNS1_3genE4ELNS1_11target_archE910ELNS1_3gpuE8ELNS1_3repE0EEENS1_30default_config_static_selectorELNS0_4arch9wavefront6targetE1EEEvSY_, .Lfunc_end1309-_ZN7rocprim17ROCPRIM_400000_NS6detail17trampoline_kernelINS0_13select_configILj256ELj13ELNS0_17block_load_methodE3ELS4_3ELS4_3ELNS0_20block_scan_algorithmE0ELj4294967295EEENS1_25partition_config_selectorILNS1_17partition_subalgoE3EjNS0_10empty_typeEbEEZZNS1_14partition_implILS8_3ELb0ES6_jNS0_17counting_iteratorIjlEEPS9_SE_NS0_5tupleIJPjSE_EEENSF_IJSE_SE_EEES9_SG_JZNS1_25segmented_radix_sort_implINS0_14default_configELb1EPKfPfPKlPlN2at6native12_GLOBAL__N_18offset_tEEE10hipError_tPvRmT1_PNSt15iterator_traitsISY_E10value_typeET2_T3_PNSZ_IS14_E10value_typeET4_jRbjT5_S1A_jjP12ihipStream_tbEUljE_EEESV_SW_SX_S14_S18_S1A_T6_T7_T9_mT8_S1C_bDpT10_ENKUlT_T0_E_clISt17integral_constantIbLb1EES1O_IbLb0EEEEDaS1K_S1L_EUlS1K_E_NS1_11comp_targetILNS1_3genE4ELNS1_11target_archE910ELNS1_3gpuE8ELNS1_3repE0EEENS1_30default_config_static_selectorELNS0_4arch9wavefront6targetE1EEEvSY_
                                        ; -- End function
	.section	.AMDGPU.csdata,"",@progbits
; Kernel info:
; codeLenInByte = 7756
; NumSgprs: 50
; NumVgprs: 61
; NumAgprs: 0
; TotalNumVgprs: 61
; ScratchSize: 0
; MemoryBound: 0
; FloatMode: 240
; IeeeMode: 1
; LDSByteSize: 13324 bytes/workgroup (compile time only)
; SGPRBlocks: 6
; VGPRBlocks: 7
; NumSGPRsForWavesPerEU: 50
; NumVGPRsForWavesPerEU: 61
; AccumOffset: 64
; Occupancy: 4
; WaveLimiterHint : 0
; COMPUTE_PGM_RSRC2:SCRATCH_EN: 0
; COMPUTE_PGM_RSRC2:USER_SGPR: 6
; COMPUTE_PGM_RSRC2:TRAP_HANDLER: 0
; COMPUTE_PGM_RSRC2:TGID_X_EN: 1
; COMPUTE_PGM_RSRC2:TGID_Y_EN: 0
; COMPUTE_PGM_RSRC2:TGID_Z_EN: 0
; COMPUTE_PGM_RSRC2:TIDIG_COMP_CNT: 0
; COMPUTE_PGM_RSRC3_GFX90A:ACCUM_OFFSET: 15
; COMPUTE_PGM_RSRC3_GFX90A:TG_SPLIT: 0
	.section	.text._ZN7rocprim17ROCPRIM_400000_NS6detail17trampoline_kernelINS0_13select_configILj256ELj13ELNS0_17block_load_methodE3ELS4_3ELS4_3ELNS0_20block_scan_algorithmE0ELj4294967295EEENS1_25partition_config_selectorILNS1_17partition_subalgoE3EjNS0_10empty_typeEbEEZZNS1_14partition_implILS8_3ELb0ES6_jNS0_17counting_iteratorIjlEEPS9_SE_NS0_5tupleIJPjSE_EEENSF_IJSE_SE_EEES9_SG_JZNS1_25segmented_radix_sort_implINS0_14default_configELb1EPKfPfPKlPlN2at6native12_GLOBAL__N_18offset_tEEE10hipError_tPvRmT1_PNSt15iterator_traitsISY_E10value_typeET2_T3_PNSZ_IS14_E10value_typeET4_jRbjT5_S1A_jjP12ihipStream_tbEUljE_EEESV_SW_SX_S14_S18_S1A_T6_T7_T9_mT8_S1C_bDpT10_ENKUlT_T0_E_clISt17integral_constantIbLb1EES1O_IbLb0EEEEDaS1K_S1L_EUlS1K_E_NS1_11comp_targetILNS1_3genE3ELNS1_11target_archE908ELNS1_3gpuE7ELNS1_3repE0EEENS1_30default_config_static_selectorELNS0_4arch9wavefront6targetE1EEEvSY_,"axG",@progbits,_ZN7rocprim17ROCPRIM_400000_NS6detail17trampoline_kernelINS0_13select_configILj256ELj13ELNS0_17block_load_methodE3ELS4_3ELS4_3ELNS0_20block_scan_algorithmE0ELj4294967295EEENS1_25partition_config_selectorILNS1_17partition_subalgoE3EjNS0_10empty_typeEbEEZZNS1_14partition_implILS8_3ELb0ES6_jNS0_17counting_iteratorIjlEEPS9_SE_NS0_5tupleIJPjSE_EEENSF_IJSE_SE_EEES9_SG_JZNS1_25segmented_radix_sort_implINS0_14default_configELb1EPKfPfPKlPlN2at6native12_GLOBAL__N_18offset_tEEE10hipError_tPvRmT1_PNSt15iterator_traitsISY_E10value_typeET2_T3_PNSZ_IS14_E10value_typeET4_jRbjT5_S1A_jjP12ihipStream_tbEUljE_EEESV_SW_SX_S14_S18_S1A_T6_T7_T9_mT8_S1C_bDpT10_ENKUlT_T0_E_clISt17integral_constantIbLb1EES1O_IbLb0EEEEDaS1K_S1L_EUlS1K_E_NS1_11comp_targetILNS1_3genE3ELNS1_11target_archE908ELNS1_3gpuE7ELNS1_3repE0EEENS1_30default_config_static_selectorELNS0_4arch9wavefront6targetE1EEEvSY_,comdat
	.globl	_ZN7rocprim17ROCPRIM_400000_NS6detail17trampoline_kernelINS0_13select_configILj256ELj13ELNS0_17block_load_methodE3ELS4_3ELS4_3ELNS0_20block_scan_algorithmE0ELj4294967295EEENS1_25partition_config_selectorILNS1_17partition_subalgoE3EjNS0_10empty_typeEbEEZZNS1_14partition_implILS8_3ELb0ES6_jNS0_17counting_iteratorIjlEEPS9_SE_NS0_5tupleIJPjSE_EEENSF_IJSE_SE_EEES9_SG_JZNS1_25segmented_radix_sort_implINS0_14default_configELb1EPKfPfPKlPlN2at6native12_GLOBAL__N_18offset_tEEE10hipError_tPvRmT1_PNSt15iterator_traitsISY_E10value_typeET2_T3_PNSZ_IS14_E10value_typeET4_jRbjT5_S1A_jjP12ihipStream_tbEUljE_EEESV_SW_SX_S14_S18_S1A_T6_T7_T9_mT8_S1C_bDpT10_ENKUlT_T0_E_clISt17integral_constantIbLb1EES1O_IbLb0EEEEDaS1K_S1L_EUlS1K_E_NS1_11comp_targetILNS1_3genE3ELNS1_11target_archE908ELNS1_3gpuE7ELNS1_3repE0EEENS1_30default_config_static_selectorELNS0_4arch9wavefront6targetE1EEEvSY_ ; -- Begin function _ZN7rocprim17ROCPRIM_400000_NS6detail17trampoline_kernelINS0_13select_configILj256ELj13ELNS0_17block_load_methodE3ELS4_3ELS4_3ELNS0_20block_scan_algorithmE0ELj4294967295EEENS1_25partition_config_selectorILNS1_17partition_subalgoE3EjNS0_10empty_typeEbEEZZNS1_14partition_implILS8_3ELb0ES6_jNS0_17counting_iteratorIjlEEPS9_SE_NS0_5tupleIJPjSE_EEENSF_IJSE_SE_EEES9_SG_JZNS1_25segmented_radix_sort_implINS0_14default_configELb1EPKfPfPKlPlN2at6native12_GLOBAL__N_18offset_tEEE10hipError_tPvRmT1_PNSt15iterator_traitsISY_E10value_typeET2_T3_PNSZ_IS14_E10value_typeET4_jRbjT5_S1A_jjP12ihipStream_tbEUljE_EEESV_SW_SX_S14_S18_S1A_T6_T7_T9_mT8_S1C_bDpT10_ENKUlT_T0_E_clISt17integral_constantIbLb1EES1O_IbLb0EEEEDaS1K_S1L_EUlS1K_E_NS1_11comp_targetILNS1_3genE3ELNS1_11target_archE908ELNS1_3gpuE7ELNS1_3repE0EEENS1_30default_config_static_selectorELNS0_4arch9wavefront6targetE1EEEvSY_
	.p2align	8
	.type	_ZN7rocprim17ROCPRIM_400000_NS6detail17trampoline_kernelINS0_13select_configILj256ELj13ELNS0_17block_load_methodE3ELS4_3ELS4_3ELNS0_20block_scan_algorithmE0ELj4294967295EEENS1_25partition_config_selectorILNS1_17partition_subalgoE3EjNS0_10empty_typeEbEEZZNS1_14partition_implILS8_3ELb0ES6_jNS0_17counting_iteratorIjlEEPS9_SE_NS0_5tupleIJPjSE_EEENSF_IJSE_SE_EEES9_SG_JZNS1_25segmented_radix_sort_implINS0_14default_configELb1EPKfPfPKlPlN2at6native12_GLOBAL__N_18offset_tEEE10hipError_tPvRmT1_PNSt15iterator_traitsISY_E10value_typeET2_T3_PNSZ_IS14_E10value_typeET4_jRbjT5_S1A_jjP12ihipStream_tbEUljE_EEESV_SW_SX_S14_S18_S1A_T6_T7_T9_mT8_S1C_bDpT10_ENKUlT_T0_E_clISt17integral_constantIbLb1EES1O_IbLb0EEEEDaS1K_S1L_EUlS1K_E_NS1_11comp_targetILNS1_3genE3ELNS1_11target_archE908ELNS1_3gpuE7ELNS1_3repE0EEENS1_30default_config_static_selectorELNS0_4arch9wavefront6targetE1EEEvSY_,@function
_ZN7rocprim17ROCPRIM_400000_NS6detail17trampoline_kernelINS0_13select_configILj256ELj13ELNS0_17block_load_methodE3ELS4_3ELS4_3ELNS0_20block_scan_algorithmE0ELj4294967295EEENS1_25partition_config_selectorILNS1_17partition_subalgoE3EjNS0_10empty_typeEbEEZZNS1_14partition_implILS8_3ELb0ES6_jNS0_17counting_iteratorIjlEEPS9_SE_NS0_5tupleIJPjSE_EEENSF_IJSE_SE_EEES9_SG_JZNS1_25segmented_radix_sort_implINS0_14default_configELb1EPKfPfPKlPlN2at6native12_GLOBAL__N_18offset_tEEE10hipError_tPvRmT1_PNSt15iterator_traitsISY_E10value_typeET2_T3_PNSZ_IS14_E10value_typeET4_jRbjT5_S1A_jjP12ihipStream_tbEUljE_EEESV_SW_SX_S14_S18_S1A_T6_T7_T9_mT8_S1C_bDpT10_ENKUlT_T0_E_clISt17integral_constantIbLb1EES1O_IbLb0EEEEDaS1K_S1L_EUlS1K_E_NS1_11comp_targetILNS1_3genE3ELNS1_11target_archE908ELNS1_3gpuE7ELNS1_3repE0EEENS1_30default_config_static_selectorELNS0_4arch9wavefront6targetE1EEEvSY_: ; @_ZN7rocprim17ROCPRIM_400000_NS6detail17trampoline_kernelINS0_13select_configILj256ELj13ELNS0_17block_load_methodE3ELS4_3ELS4_3ELNS0_20block_scan_algorithmE0ELj4294967295EEENS1_25partition_config_selectorILNS1_17partition_subalgoE3EjNS0_10empty_typeEbEEZZNS1_14partition_implILS8_3ELb0ES6_jNS0_17counting_iteratorIjlEEPS9_SE_NS0_5tupleIJPjSE_EEENSF_IJSE_SE_EEES9_SG_JZNS1_25segmented_radix_sort_implINS0_14default_configELb1EPKfPfPKlPlN2at6native12_GLOBAL__N_18offset_tEEE10hipError_tPvRmT1_PNSt15iterator_traitsISY_E10value_typeET2_T3_PNSZ_IS14_E10value_typeET4_jRbjT5_S1A_jjP12ihipStream_tbEUljE_EEESV_SW_SX_S14_S18_S1A_T6_T7_T9_mT8_S1C_bDpT10_ENKUlT_T0_E_clISt17integral_constantIbLb1EES1O_IbLb0EEEEDaS1K_S1L_EUlS1K_E_NS1_11comp_targetILNS1_3genE3ELNS1_11target_archE908ELNS1_3gpuE7ELNS1_3repE0EEENS1_30default_config_static_selectorELNS0_4arch9wavefront6targetE1EEEvSY_
; %bb.0:
	.section	.rodata,"a",@progbits
	.p2align	6, 0x0
	.amdhsa_kernel _ZN7rocprim17ROCPRIM_400000_NS6detail17trampoline_kernelINS0_13select_configILj256ELj13ELNS0_17block_load_methodE3ELS4_3ELS4_3ELNS0_20block_scan_algorithmE0ELj4294967295EEENS1_25partition_config_selectorILNS1_17partition_subalgoE3EjNS0_10empty_typeEbEEZZNS1_14partition_implILS8_3ELb0ES6_jNS0_17counting_iteratorIjlEEPS9_SE_NS0_5tupleIJPjSE_EEENSF_IJSE_SE_EEES9_SG_JZNS1_25segmented_radix_sort_implINS0_14default_configELb1EPKfPfPKlPlN2at6native12_GLOBAL__N_18offset_tEEE10hipError_tPvRmT1_PNSt15iterator_traitsISY_E10value_typeET2_T3_PNSZ_IS14_E10value_typeET4_jRbjT5_S1A_jjP12ihipStream_tbEUljE_EEESV_SW_SX_S14_S18_S1A_T6_T7_T9_mT8_S1C_bDpT10_ENKUlT_T0_E_clISt17integral_constantIbLb1EES1O_IbLb0EEEEDaS1K_S1L_EUlS1K_E_NS1_11comp_targetILNS1_3genE3ELNS1_11target_archE908ELNS1_3gpuE7ELNS1_3repE0EEENS1_30default_config_static_selectorELNS0_4arch9wavefront6targetE1EEEvSY_
		.amdhsa_group_segment_fixed_size 0
		.amdhsa_private_segment_fixed_size 0
		.amdhsa_kernarg_size 144
		.amdhsa_user_sgpr_count 6
		.amdhsa_user_sgpr_private_segment_buffer 1
		.amdhsa_user_sgpr_dispatch_ptr 0
		.amdhsa_user_sgpr_queue_ptr 0
		.amdhsa_user_sgpr_kernarg_segment_ptr 1
		.amdhsa_user_sgpr_dispatch_id 0
		.amdhsa_user_sgpr_flat_scratch_init 0
		.amdhsa_user_sgpr_kernarg_preload_length 0
		.amdhsa_user_sgpr_kernarg_preload_offset 0
		.amdhsa_user_sgpr_private_segment_size 0
		.amdhsa_uses_dynamic_stack 0
		.amdhsa_system_sgpr_private_segment_wavefront_offset 0
		.amdhsa_system_sgpr_workgroup_id_x 1
		.amdhsa_system_sgpr_workgroup_id_y 0
		.amdhsa_system_sgpr_workgroup_id_z 0
		.amdhsa_system_sgpr_workgroup_info 0
		.amdhsa_system_vgpr_workitem_id 0
		.amdhsa_next_free_vgpr 1
		.amdhsa_next_free_sgpr 0
		.amdhsa_accum_offset 4
		.amdhsa_reserve_vcc 0
		.amdhsa_reserve_flat_scratch 0
		.amdhsa_float_round_mode_32 0
		.amdhsa_float_round_mode_16_64 0
		.amdhsa_float_denorm_mode_32 3
		.amdhsa_float_denorm_mode_16_64 3
		.amdhsa_dx10_clamp 1
		.amdhsa_ieee_mode 1
		.amdhsa_fp16_overflow 0
		.amdhsa_tg_split 0
		.amdhsa_exception_fp_ieee_invalid_op 0
		.amdhsa_exception_fp_denorm_src 0
		.amdhsa_exception_fp_ieee_div_zero 0
		.amdhsa_exception_fp_ieee_overflow 0
		.amdhsa_exception_fp_ieee_underflow 0
		.amdhsa_exception_fp_ieee_inexact 0
		.amdhsa_exception_int_div_zero 0
	.end_amdhsa_kernel
	.section	.text._ZN7rocprim17ROCPRIM_400000_NS6detail17trampoline_kernelINS0_13select_configILj256ELj13ELNS0_17block_load_methodE3ELS4_3ELS4_3ELNS0_20block_scan_algorithmE0ELj4294967295EEENS1_25partition_config_selectorILNS1_17partition_subalgoE3EjNS0_10empty_typeEbEEZZNS1_14partition_implILS8_3ELb0ES6_jNS0_17counting_iteratorIjlEEPS9_SE_NS0_5tupleIJPjSE_EEENSF_IJSE_SE_EEES9_SG_JZNS1_25segmented_radix_sort_implINS0_14default_configELb1EPKfPfPKlPlN2at6native12_GLOBAL__N_18offset_tEEE10hipError_tPvRmT1_PNSt15iterator_traitsISY_E10value_typeET2_T3_PNSZ_IS14_E10value_typeET4_jRbjT5_S1A_jjP12ihipStream_tbEUljE_EEESV_SW_SX_S14_S18_S1A_T6_T7_T9_mT8_S1C_bDpT10_ENKUlT_T0_E_clISt17integral_constantIbLb1EES1O_IbLb0EEEEDaS1K_S1L_EUlS1K_E_NS1_11comp_targetILNS1_3genE3ELNS1_11target_archE908ELNS1_3gpuE7ELNS1_3repE0EEENS1_30default_config_static_selectorELNS0_4arch9wavefront6targetE1EEEvSY_,"axG",@progbits,_ZN7rocprim17ROCPRIM_400000_NS6detail17trampoline_kernelINS0_13select_configILj256ELj13ELNS0_17block_load_methodE3ELS4_3ELS4_3ELNS0_20block_scan_algorithmE0ELj4294967295EEENS1_25partition_config_selectorILNS1_17partition_subalgoE3EjNS0_10empty_typeEbEEZZNS1_14partition_implILS8_3ELb0ES6_jNS0_17counting_iteratorIjlEEPS9_SE_NS0_5tupleIJPjSE_EEENSF_IJSE_SE_EEES9_SG_JZNS1_25segmented_radix_sort_implINS0_14default_configELb1EPKfPfPKlPlN2at6native12_GLOBAL__N_18offset_tEEE10hipError_tPvRmT1_PNSt15iterator_traitsISY_E10value_typeET2_T3_PNSZ_IS14_E10value_typeET4_jRbjT5_S1A_jjP12ihipStream_tbEUljE_EEESV_SW_SX_S14_S18_S1A_T6_T7_T9_mT8_S1C_bDpT10_ENKUlT_T0_E_clISt17integral_constantIbLb1EES1O_IbLb0EEEEDaS1K_S1L_EUlS1K_E_NS1_11comp_targetILNS1_3genE3ELNS1_11target_archE908ELNS1_3gpuE7ELNS1_3repE0EEENS1_30default_config_static_selectorELNS0_4arch9wavefront6targetE1EEEvSY_,comdat
.Lfunc_end1310:
	.size	_ZN7rocprim17ROCPRIM_400000_NS6detail17trampoline_kernelINS0_13select_configILj256ELj13ELNS0_17block_load_methodE3ELS4_3ELS4_3ELNS0_20block_scan_algorithmE0ELj4294967295EEENS1_25partition_config_selectorILNS1_17partition_subalgoE3EjNS0_10empty_typeEbEEZZNS1_14partition_implILS8_3ELb0ES6_jNS0_17counting_iteratorIjlEEPS9_SE_NS0_5tupleIJPjSE_EEENSF_IJSE_SE_EEES9_SG_JZNS1_25segmented_radix_sort_implINS0_14default_configELb1EPKfPfPKlPlN2at6native12_GLOBAL__N_18offset_tEEE10hipError_tPvRmT1_PNSt15iterator_traitsISY_E10value_typeET2_T3_PNSZ_IS14_E10value_typeET4_jRbjT5_S1A_jjP12ihipStream_tbEUljE_EEESV_SW_SX_S14_S18_S1A_T6_T7_T9_mT8_S1C_bDpT10_ENKUlT_T0_E_clISt17integral_constantIbLb1EES1O_IbLb0EEEEDaS1K_S1L_EUlS1K_E_NS1_11comp_targetILNS1_3genE3ELNS1_11target_archE908ELNS1_3gpuE7ELNS1_3repE0EEENS1_30default_config_static_selectorELNS0_4arch9wavefront6targetE1EEEvSY_, .Lfunc_end1310-_ZN7rocprim17ROCPRIM_400000_NS6detail17trampoline_kernelINS0_13select_configILj256ELj13ELNS0_17block_load_methodE3ELS4_3ELS4_3ELNS0_20block_scan_algorithmE0ELj4294967295EEENS1_25partition_config_selectorILNS1_17partition_subalgoE3EjNS0_10empty_typeEbEEZZNS1_14partition_implILS8_3ELb0ES6_jNS0_17counting_iteratorIjlEEPS9_SE_NS0_5tupleIJPjSE_EEENSF_IJSE_SE_EEES9_SG_JZNS1_25segmented_radix_sort_implINS0_14default_configELb1EPKfPfPKlPlN2at6native12_GLOBAL__N_18offset_tEEE10hipError_tPvRmT1_PNSt15iterator_traitsISY_E10value_typeET2_T3_PNSZ_IS14_E10value_typeET4_jRbjT5_S1A_jjP12ihipStream_tbEUljE_EEESV_SW_SX_S14_S18_S1A_T6_T7_T9_mT8_S1C_bDpT10_ENKUlT_T0_E_clISt17integral_constantIbLb1EES1O_IbLb0EEEEDaS1K_S1L_EUlS1K_E_NS1_11comp_targetILNS1_3genE3ELNS1_11target_archE908ELNS1_3gpuE7ELNS1_3repE0EEENS1_30default_config_static_selectorELNS0_4arch9wavefront6targetE1EEEvSY_
                                        ; -- End function
	.section	.AMDGPU.csdata,"",@progbits
; Kernel info:
; codeLenInByte = 0
; NumSgprs: 4
; NumVgprs: 0
; NumAgprs: 0
; TotalNumVgprs: 0
; ScratchSize: 0
; MemoryBound: 0
; FloatMode: 240
; IeeeMode: 1
; LDSByteSize: 0 bytes/workgroup (compile time only)
; SGPRBlocks: 0
; VGPRBlocks: 0
; NumSGPRsForWavesPerEU: 4
; NumVGPRsForWavesPerEU: 1
; AccumOffset: 4
; Occupancy: 8
; WaveLimiterHint : 0
; COMPUTE_PGM_RSRC2:SCRATCH_EN: 0
; COMPUTE_PGM_RSRC2:USER_SGPR: 6
; COMPUTE_PGM_RSRC2:TRAP_HANDLER: 0
; COMPUTE_PGM_RSRC2:TGID_X_EN: 1
; COMPUTE_PGM_RSRC2:TGID_Y_EN: 0
; COMPUTE_PGM_RSRC2:TGID_Z_EN: 0
; COMPUTE_PGM_RSRC2:TIDIG_COMP_CNT: 0
; COMPUTE_PGM_RSRC3_GFX90A:ACCUM_OFFSET: 0
; COMPUTE_PGM_RSRC3_GFX90A:TG_SPLIT: 0
	.section	.text._ZN7rocprim17ROCPRIM_400000_NS6detail17trampoline_kernelINS0_13select_configILj256ELj13ELNS0_17block_load_methodE3ELS4_3ELS4_3ELNS0_20block_scan_algorithmE0ELj4294967295EEENS1_25partition_config_selectorILNS1_17partition_subalgoE3EjNS0_10empty_typeEbEEZZNS1_14partition_implILS8_3ELb0ES6_jNS0_17counting_iteratorIjlEEPS9_SE_NS0_5tupleIJPjSE_EEENSF_IJSE_SE_EEES9_SG_JZNS1_25segmented_radix_sort_implINS0_14default_configELb1EPKfPfPKlPlN2at6native12_GLOBAL__N_18offset_tEEE10hipError_tPvRmT1_PNSt15iterator_traitsISY_E10value_typeET2_T3_PNSZ_IS14_E10value_typeET4_jRbjT5_S1A_jjP12ihipStream_tbEUljE_EEESV_SW_SX_S14_S18_S1A_T6_T7_T9_mT8_S1C_bDpT10_ENKUlT_T0_E_clISt17integral_constantIbLb1EES1O_IbLb0EEEEDaS1K_S1L_EUlS1K_E_NS1_11comp_targetILNS1_3genE2ELNS1_11target_archE906ELNS1_3gpuE6ELNS1_3repE0EEENS1_30default_config_static_selectorELNS0_4arch9wavefront6targetE1EEEvSY_,"axG",@progbits,_ZN7rocprim17ROCPRIM_400000_NS6detail17trampoline_kernelINS0_13select_configILj256ELj13ELNS0_17block_load_methodE3ELS4_3ELS4_3ELNS0_20block_scan_algorithmE0ELj4294967295EEENS1_25partition_config_selectorILNS1_17partition_subalgoE3EjNS0_10empty_typeEbEEZZNS1_14partition_implILS8_3ELb0ES6_jNS0_17counting_iteratorIjlEEPS9_SE_NS0_5tupleIJPjSE_EEENSF_IJSE_SE_EEES9_SG_JZNS1_25segmented_radix_sort_implINS0_14default_configELb1EPKfPfPKlPlN2at6native12_GLOBAL__N_18offset_tEEE10hipError_tPvRmT1_PNSt15iterator_traitsISY_E10value_typeET2_T3_PNSZ_IS14_E10value_typeET4_jRbjT5_S1A_jjP12ihipStream_tbEUljE_EEESV_SW_SX_S14_S18_S1A_T6_T7_T9_mT8_S1C_bDpT10_ENKUlT_T0_E_clISt17integral_constantIbLb1EES1O_IbLb0EEEEDaS1K_S1L_EUlS1K_E_NS1_11comp_targetILNS1_3genE2ELNS1_11target_archE906ELNS1_3gpuE6ELNS1_3repE0EEENS1_30default_config_static_selectorELNS0_4arch9wavefront6targetE1EEEvSY_,comdat
	.globl	_ZN7rocprim17ROCPRIM_400000_NS6detail17trampoline_kernelINS0_13select_configILj256ELj13ELNS0_17block_load_methodE3ELS4_3ELS4_3ELNS0_20block_scan_algorithmE0ELj4294967295EEENS1_25partition_config_selectorILNS1_17partition_subalgoE3EjNS0_10empty_typeEbEEZZNS1_14partition_implILS8_3ELb0ES6_jNS0_17counting_iteratorIjlEEPS9_SE_NS0_5tupleIJPjSE_EEENSF_IJSE_SE_EEES9_SG_JZNS1_25segmented_radix_sort_implINS0_14default_configELb1EPKfPfPKlPlN2at6native12_GLOBAL__N_18offset_tEEE10hipError_tPvRmT1_PNSt15iterator_traitsISY_E10value_typeET2_T3_PNSZ_IS14_E10value_typeET4_jRbjT5_S1A_jjP12ihipStream_tbEUljE_EEESV_SW_SX_S14_S18_S1A_T6_T7_T9_mT8_S1C_bDpT10_ENKUlT_T0_E_clISt17integral_constantIbLb1EES1O_IbLb0EEEEDaS1K_S1L_EUlS1K_E_NS1_11comp_targetILNS1_3genE2ELNS1_11target_archE906ELNS1_3gpuE6ELNS1_3repE0EEENS1_30default_config_static_selectorELNS0_4arch9wavefront6targetE1EEEvSY_ ; -- Begin function _ZN7rocprim17ROCPRIM_400000_NS6detail17trampoline_kernelINS0_13select_configILj256ELj13ELNS0_17block_load_methodE3ELS4_3ELS4_3ELNS0_20block_scan_algorithmE0ELj4294967295EEENS1_25partition_config_selectorILNS1_17partition_subalgoE3EjNS0_10empty_typeEbEEZZNS1_14partition_implILS8_3ELb0ES6_jNS0_17counting_iteratorIjlEEPS9_SE_NS0_5tupleIJPjSE_EEENSF_IJSE_SE_EEES9_SG_JZNS1_25segmented_radix_sort_implINS0_14default_configELb1EPKfPfPKlPlN2at6native12_GLOBAL__N_18offset_tEEE10hipError_tPvRmT1_PNSt15iterator_traitsISY_E10value_typeET2_T3_PNSZ_IS14_E10value_typeET4_jRbjT5_S1A_jjP12ihipStream_tbEUljE_EEESV_SW_SX_S14_S18_S1A_T6_T7_T9_mT8_S1C_bDpT10_ENKUlT_T0_E_clISt17integral_constantIbLb1EES1O_IbLb0EEEEDaS1K_S1L_EUlS1K_E_NS1_11comp_targetILNS1_3genE2ELNS1_11target_archE906ELNS1_3gpuE6ELNS1_3repE0EEENS1_30default_config_static_selectorELNS0_4arch9wavefront6targetE1EEEvSY_
	.p2align	8
	.type	_ZN7rocprim17ROCPRIM_400000_NS6detail17trampoline_kernelINS0_13select_configILj256ELj13ELNS0_17block_load_methodE3ELS4_3ELS4_3ELNS0_20block_scan_algorithmE0ELj4294967295EEENS1_25partition_config_selectorILNS1_17partition_subalgoE3EjNS0_10empty_typeEbEEZZNS1_14partition_implILS8_3ELb0ES6_jNS0_17counting_iteratorIjlEEPS9_SE_NS0_5tupleIJPjSE_EEENSF_IJSE_SE_EEES9_SG_JZNS1_25segmented_radix_sort_implINS0_14default_configELb1EPKfPfPKlPlN2at6native12_GLOBAL__N_18offset_tEEE10hipError_tPvRmT1_PNSt15iterator_traitsISY_E10value_typeET2_T3_PNSZ_IS14_E10value_typeET4_jRbjT5_S1A_jjP12ihipStream_tbEUljE_EEESV_SW_SX_S14_S18_S1A_T6_T7_T9_mT8_S1C_bDpT10_ENKUlT_T0_E_clISt17integral_constantIbLb1EES1O_IbLb0EEEEDaS1K_S1L_EUlS1K_E_NS1_11comp_targetILNS1_3genE2ELNS1_11target_archE906ELNS1_3gpuE6ELNS1_3repE0EEENS1_30default_config_static_selectorELNS0_4arch9wavefront6targetE1EEEvSY_,@function
_ZN7rocprim17ROCPRIM_400000_NS6detail17trampoline_kernelINS0_13select_configILj256ELj13ELNS0_17block_load_methodE3ELS4_3ELS4_3ELNS0_20block_scan_algorithmE0ELj4294967295EEENS1_25partition_config_selectorILNS1_17partition_subalgoE3EjNS0_10empty_typeEbEEZZNS1_14partition_implILS8_3ELb0ES6_jNS0_17counting_iteratorIjlEEPS9_SE_NS0_5tupleIJPjSE_EEENSF_IJSE_SE_EEES9_SG_JZNS1_25segmented_radix_sort_implINS0_14default_configELb1EPKfPfPKlPlN2at6native12_GLOBAL__N_18offset_tEEE10hipError_tPvRmT1_PNSt15iterator_traitsISY_E10value_typeET2_T3_PNSZ_IS14_E10value_typeET4_jRbjT5_S1A_jjP12ihipStream_tbEUljE_EEESV_SW_SX_S14_S18_S1A_T6_T7_T9_mT8_S1C_bDpT10_ENKUlT_T0_E_clISt17integral_constantIbLb1EES1O_IbLb0EEEEDaS1K_S1L_EUlS1K_E_NS1_11comp_targetILNS1_3genE2ELNS1_11target_archE906ELNS1_3gpuE6ELNS1_3repE0EEENS1_30default_config_static_selectorELNS0_4arch9wavefront6targetE1EEEvSY_: ; @_ZN7rocprim17ROCPRIM_400000_NS6detail17trampoline_kernelINS0_13select_configILj256ELj13ELNS0_17block_load_methodE3ELS4_3ELS4_3ELNS0_20block_scan_algorithmE0ELj4294967295EEENS1_25partition_config_selectorILNS1_17partition_subalgoE3EjNS0_10empty_typeEbEEZZNS1_14partition_implILS8_3ELb0ES6_jNS0_17counting_iteratorIjlEEPS9_SE_NS0_5tupleIJPjSE_EEENSF_IJSE_SE_EEES9_SG_JZNS1_25segmented_radix_sort_implINS0_14default_configELb1EPKfPfPKlPlN2at6native12_GLOBAL__N_18offset_tEEE10hipError_tPvRmT1_PNSt15iterator_traitsISY_E10value_typeET2_T3_PNSZ_IS14_E10value_typeET4_jRbjT5_S1A_jjP12ihipStream_tbEUljE_EEESV_SW_SX_S14_S18_S1A_T6_T7_T9_mT8_S1C_bDpT10_ENKUlT_T0_E_clISt17integral_constantIbLb1EES1O_IbLb0EEEEDaS1K_S1L_EUlS1K_E_NS1_11comp_targetILNS1_3genE2ELNS1_11target_archE906ELNS1_3gpuE6ELNS1_3repE0EEENS1_30default_config_static_selectorELNS0_4arch9wavefront6targetE1EEEvSY_
; %bb.0:
	.section	.rodata,"a",@progbits
	.p2align	6, 0x0
	.amdhsa_kernel _ZN7rocprim17ROCPRIM_400000_NS6detail17trampoline_kernelINS0_13select_configILj256ELj13ELNS0_17block_load_methodE3ELS4_3ELS4_3ELNS0_20block_scan_algorithmE0ELj4294967295EEENS1_25partition_config_selectorILNS1_17partition_subalgoE3EjNS0_10empty_typeEbEEZZNS1_14partition_implILS8_3ELb0ES6_jNS0_17counting_iteratorIjlEEPS9_SE_NS0_5tupleIJPjSE_EEENSF_IJSE_SE_EEES9_SG_JZNS1_25segmented_radix_sort_implINS0_14default_configELb1EPKfPfPKlPlN2at6native12_GLOBAL__N_18offset_tEEE10hipError_tPvRmT1_PNSt15iterator_traitsISY_E10value_typeET2_T3_PNSZ_IS14_E10value_typeET4_jRbjT5_S1A_jjP12ihipStream_tbEUljE_EEESV_SW_SX_S14_S18_S1A_T6_T7_T9_mT8_S1C_bDpT10_ENKUlT_T0_E_clISt17integral_constantIbLb1EES1O_IbLb0EEEEDaS1K_S1L_EUlS1K_E_NS1_11comp_targetILNS1_3genE2ELNS1_11target_archE906ELNS1_3gpuE6ELNS1_3repE0EEENS1_30default_config_static_selectorELNS0_4arch9wavefront6targetE1EEEvSY_
		.amdhsa_group_segment_fixed_size 0
		.amdhsa_private_segment_fixed_size 0
		.amdhsa_kernarg_size 144
		.amdhsa_user_sgpr_count 6
		.amdhsa_user_sgpr_private_segment_buffer 1
		.amdhsa_user_sgpr_dispatch_ptr 0
		.amdhsa_user_sgpr_queue_ptr 0
		.amdhsa_user_sgpr_kernarg_segment_ptr 1
		.amdhsa_user_sgpr_dispatch_id 0
		.amdhsa_user_sgpr_flat_scratch_init 0
		.amdhsa_user_sgpr_kernarg_preload_length 0
		.amdhsa_user_sgpr_kernarg_preload_offset 0
		.amdhsa_user_sgpr_private_segment_size 0
		.amdhsa_uses_dynamic_stack 0
		.amdhsa_system_sgpr_private_segment_wavefront_offset 0
		.amdhsa_system_sgpr_workgroup_id_x 1
		.amdhsa_system_sgpr_workgroup_id_y 0
		.amdhsa_system_sgpr_workgroup_id_z 0
		.amdhsa_system_sgpr_workgroup_info 0
		.amdhsa_system_vgpr_workitem_id 0
		.amdhsa_next_free_vgpr 1
		.amdhsa_next_free_sgpr 0
		.amdhsa_accum_offset 4
		.amdhsa_reserve_vcc 0
		.amdhsa_reserve_flat_scratch 0
		.amdhsa_float_round_mode_32 0
		.amdhsa_float_round_mode_16_64 0
		.amdhsa_float_denorm_mode_32 3
		.amdhsa_float_denorm_mode_16_64 3
		.amdhsa_dx10_clamp 1
		.amdhsa_ieee_mode 1
		.amdhsa_fp16_overflow 0
		.amdhsa_tg_split 0
		.amdhsa_exception_fp_ieee_invalid_op 0
		.amdhsa_exception_fp_denorm_src 0
		.amdhsa_exception_fp_ieee_div_zero 0
		.amdhsa_exception_fp_ieee_overflow 0
		.amdhsa_exception_fp_ieee_underflow 0
		.amdhsa_exception_fp_ieee_inexact 0
		.amdhsa_exception_int_div_zero 0
	.end_amdhsa_kernel
	.section	.text._ZN7rocprim17ROCPRIM_400000_NS6detail17trampoline_kernelINS0_13select_configILj256ELj13ELNS0_17block_load_methodE3ELS4_3ELS4_3ELNS0_20block_scan_algorithmE0ELj4294967295EEENS1_25partition_config_selectorILNS1_17partition_subalgoE3EjNS0_10empty_typeEbEEZZNS1_14partition_implILS8_3ELb0ES6_jNS0_17counting_iteratorIjlEEPS9_SE_NS0_5tupleIJPjSE_EEENSF_IJSE_SE_EEES9_SG_JZNS1_25segmented_radix_sort_implINS0_14default_configELb1EPKfPfPKlPlN2at6native12_GLOBAL__N_18offset_tEEE10hipError_tPvRmT1_PNSt15iterator_traitsISY_E10value_typeET2_T3_PNSZ_IS14_E10value_typeET4_jRbjT5_S1A_jjP12ihipStream_tbEUljE_EEESV_SW_SX_S14_S18_S1A_T6_T7_T9_mT8_S1C_bDpT10_ENKUlT_T0_E_clISt17integral_constantIbLb1EES1O_IbLb0EEEEDaS1K_S1L_EUlS1K_E_NS1_11comp_targetILNS1_3genE2ELNS1_11target_archE906ELNS1_3gpuE6ELNS1_3repE0EEENS1_30default_config_static_selectorELNS0_4arch9wavefront6targetE1EEEvSY_,"axG",@progbits,_ZN7rocprim17ROCPRIM_400000_NS6detail17trampoline_kernelINS0_13select_configILj256ELj13ELNS0_17block_load_methodE3ELS4_3ELS4_3ELNS0_20block_scan_algorithmE0ELj4294967295EEENS1_25partition_config_selectorILNS1_17partition_subalgoE3EjNS0_10empty_typeEbEEZZNS1_14partition_implILS8_3ELb0ES6_jNS0_17counting_iteratorIjlEEPS9_SE_NS0_5tupleIJPjSE_EEENSF_IJSE_SE_EEES9_SG_JZNS1_25segmented_radix_sort_implINS0_14default_configELb1EPKfPfPKlPlN2at6native12_GLOBAL__N_18offset_tEEE10hipError_tPvRmT1_PNSt15iterator_traitsISY_E10value_typeET2_T3_PNSZ_IS14_E10value_typeET4_jRbjT5_S1A_jjP12ihipStream_tbEUljE_EEESV_SW_SX_S14_S18_S1A_T6_T7_T9_mT8_S1C_bDpT10_ENKUlT_T0_E_clISt17integral_constantIbLb1EES1O_IbLb0EEEEDaS1K_S1L_EUlS1K_E_NS1_11comp_targetILNS1_3genE2ELNS1_11target_archE906ELNS1_3gpuE6ELNS1_3repE0EEENS1_30default_config_static_selectorELNS0_4arch9wavefront6targetE1EEEvSY_,comdat
.Lfunc_end1311:
	.size	_ZN7rocprim17ROCPRIM_400000_NS6detail17trampoline_kernelINS0_13select_configILj256ELj13ELNS0_17block_load_methodE3ELS4_3ELS4_3ELNS0_20block_scan_algorithmE0ELj4294967295EEENS1_25partition_config_selectorILNS1_17partition_subalgoE3EjNS0_10empty_typeEbEEZZNS1_14partition_implILS8_3ELb0ES6_jNS0_17counting_iteratorIjlEEPS9_SE_NS0_5tupleIJPjSE_EEENSF_IJSE_SE_EEES9_SG_JZNS1_25segmented_radix_sort_implINS0_14default_configELb1EPKfPfPKlPlN2at6native12_GLOBAL__N_18offset_tEEE10hipError_tPvRmT1_PNSt15iterator_traitsISY_E10value_typeET2_T3_PNSZ_IS14_E10value_typeET4_jRbjT5_S1A_jjP12ihipStream_tbEUljE_EEESV_SW_SX_S14_S18_S1A_T6_T7_T9_mT8_S1C_bDpT10_ENKUlT_T0_E_clISt17integral_constantIbLb1EES1O_IbLb0EEEEDaS1K_S1L_EUlS1K_E_NS1_11comp_targetILNS1_3genE2ELNS1_11target_archE906ELNS1_3gpuE6ELNS1_3repE0EEENS1_30default_config_static_selectorELNS0_4arch9wavefront6targetE1EEEvSY_, .Lfunc_end1311-_ZN7rocprim17ROCPRIM_400000_NS6detail17trampoline_kernelINS0_13select_configILj256ELj13ELNS0_17block_load_methodE3ELS4_3ELS4_3ELNS0_20block_scan_algorithmE0ELj4294967295EEENS1_25partition_config_selectorILNS1_17partition_subalgoE3EjNS0_10empty_typeEbEEZZNS1_14partition_implILS8_3ELb0ES6_jNS0_17counting_iteratorIjlEEPS9_SE_NS0_5tupleIJPjSE_EEENSF_IJSE_SE_EEES9_SG_JZNS1_25segmented_radix_sort_implINS0_14default_configELb1EPKfPfPKlPlN2at6native12_GLOBAL__N_18offset_tEEE10hipError_tPvRmT1_PNSt15iterator_traitsISY_E10value_typeET2_T3_PNSZ_IS14_E10value_typeET4_jRbjT5_S1A_jjP12ihipStream_tbEUljE_EEESV_SW_SX_S14_S18_S1A_T6_T7_T9_mT8_S1C_bDpT10_ENKUlT_T0_E_clISt17integral_constantIbLb1EES1O_IbLb0EEEEDaS1K_S1L_EUlS1K_E_NS1_11comp_targetILNS1_3genE2ELNS1_11target_archE906ELNS1_3gpuE6ELNS1_3repE0EEENS1_30default_config_static_selectorELNS0_4arch9wavefront6targetE1EEEvSY_
                                        ; -- End function
	.section	.AMDGPU.csdata,"",@progbits
; Kernel info:
; codeLenInByte = 0
; NumSgprs: 4
; NumVgprs: 0
; NumAgprs: 0
; TotalNumVgprs: 0
; ScratchSize: 0
; MemoryBound: 0
; FloatMode: 240
; IeeeMode: 1
; LDSByteSize: 0 bytes/workgroup (compile time only)
; SGPRBlocks: 0
; VGPRBlocks: 0
; NumSGPRsForWavesPerEU: 4
; NumVGPRsForWavesPerEU: 1
; AccumOffset: 4
; Occupancy: 8
; WaveLimiterHint : 0
; COMPUTE_PGM_RSRC2:SCRATCH_EN: 0
; COMPUTE_PGM_RSRC2:USER_SGPR: 6
; COMPUTE_PGM_RSRC2:TRAP_HANDLER: 0
; COMPUTE_PGM_RSRC2:TGID_X_EN: 1
; COMPUTE_PGM_RSRC2:TGID_Y_EN: 0
; COMPUTE_PGM_RSRC2:TGID_Z_EN: 0
; COMPUTE_PGM_RSRC2:TIDIG_COMP_CNT: 0
; COMPUTE_PGM_RSRC3_GFX90A:ACCUM_OFFSET: 0
; COMPUTE_PGM_RSRC3_GFX90A:TG_SPLIT: 0
	.section	.text._ZN7rocprim17ROCPRIM_400000_NS6detail17trampoline_kernelINS0_13select_configILj256ELj13ELNS0_17block_load_methodE3ELS4_3ELS4_3ELNS0_20block_scan_algorithmE0ELj4294967295EEENS1_25partition_config_selectorILNS1_17partition_subalgoE3EjNS0_10empty_typeEbEEZZNS1_14partition_implILS8_3ELb0ES6_jNS0_17counting_iteratorIjlEEPS9_SE_NS0_5tupleIJPjSE_EEENSF_IJSE_SE_EEES9_SG_JZNS1_25segmented_radix_sort_implINS0_14default_configELb1EPKfPfPKlPlN2at6native12_GLOBAL__N_18offset_tEEE10hipError_tPvRmT1_PNSt15iterator_traitsISY_E10value_typeET2_T3_PNSZ_IS14_E10value_typeET4_jRbjT5_S1A_jjP12ihipStream_tbEUljE_EEESV_SW_SX_S14_S18_S1A_T6_T7_T9_mT8_S1C_bDpT10_ENKUlT_T0_E_clISt17integral_constantIbLb1EES1O_IbLb0EEEEDaS1K_S1L_EUlS1K_E_NS1_11comp_targetILNS1_3genE10ELNS1_11target_archE1200ELNS1_3gpuE4ELNS1_3repE0EEENS1_30default_config_static_selectorELNS0_4arch9wavefront6targetE1EEEvSY_,"axG",@progbits,_ZN7rocprim17ROCPRIM_400000_NS6detail17trampoline_kernelINS0_13select_configILj256ELj13ELNS0_17block_load_methodE3ELS4_3ELS4_3ELNS0_20block_scan_algorithmE0ELj4294967295EEENS1_25partition_config_selectorILNS1_17partition_subalgoE3EjNS0_10empty_typeEbEEZZNS1_14partition_implILS8_3ELb0ES6_jNS0_17counting_iteratorIjlEEPS9_SE_NS0_5tupleIJPjSE_EEENSF_IJSE_SE_EEES9_SG_JZNS1_25segmented_radix_sort_implINS0_14default_configELb1EPKfPfPKlPlN2at6native12_GLOBAL__N_18offset_tEEE10hipError_tPvRmT1_PNSt15iterator_traitsISY_E10value_typeET2_T3_PNSZ_IS14_E10value_typeET4_jRbjT5_S1A_jjP12ihipStream_tbEUljE_EEESV_SW_SX_S14_S18_S1A_T6_T7_T9_mT8_S1C_bDpT10_ENKUlT_T0_E_clISt17integral_constantIbLb1EES1O_IbLb0EEEEDaS1K_S1L_EUlS1K_E_NS1_11comp_targetILNS1_3genE10ELNS1_11target_archE1200ELNS1_3gpuE4ELNS1_3repE0EEENS1_30default_config_static_selectorELNS0_4arch9wavefront6targetE1EEEvSY_,comdat
	.globl	_ZN7rocprim17ROCPRIM_400000_NS6detail17trampoline_kernelINS0_13select_configILj256ELj13ELNS0_17block_load_methodE3ELS4_3ELS4_3ELNS0_20block_scan_algorithmE0ELj4294967295EEENS1_25partition_config_selectorILNS1_17partition_subalgoE3EjNS0_10empty_typeEbEEZZNS1_14partition_implILS8_3ELb0ES6_jNS0_17counting_iteratorIjlEEPS9_SE_NS0_5tupleIJPjSE_EEENSF_IJSE_SE_EEES9_SG_JZNS1_25segmented_radix_sort_implINS0_14default_configELb1EPKfPfPKlPlN2at6native12_GLOBAL__N_18offset_tEEE10hipError_tPvRmT1_PNSt15iterator_traitsISY_E10value_typeET2_T3_PNSZ_IS14_E10value_typeET4_jRbjT5_S1A_jjP12ihipStream_tbEUljE_EEESV_SW_SX_S14_S18_S1A_T6_T7_T9_mT8_S1C_bDpT10_ENKUlT_T0_E_clISt17integral_constantIbLb1EES1O_IbLb0EEEEDaS1K_S1L_EUlS1K_E_NS1_11comp_targetILNS1_3genE10ELNS1_11target_archE1200ELNS1_3gpuE4ELNS1_3repE0EEENS1_30default_config_static_selectorELNS0_4arch9wavefront6targetE1EEEvSY_ ; -- Begin function _ZN7rocprim17ROCPRIM_400000_NS6detail17trampoline_kernelINS0_13select_configILj256ELj13ELNS0_17block_load_methodE3ELS4_3ELS4_3ELNS0_20block_scan_algorithmE0ELj4294967295EEENS1_25partition_config_selectorILNS1_17partition_subalgoE3EjNS0_10empty_typeEbEEZZNS1_14partition_implILS8_3ELb0ES6_jNS0_17counting_iteratorIjlEEPS9_SE_NS0_5tupleIJPjSE_EEENSF_IJSE_SE_EEES9_SG_JZNS1_25segmented_radix_sort_implINS0_14default_configELb1EPKfPfPKlPlN2at6native12_GLOBAL__N_18offset_tEEE10hipError_tPvRmT1_PNSt15iterator_traitsISY_E10value_typeET2_T3_PNSZ_IS14_E10value_typeET4_jRbjT5_S1A_jjP12ihipStream_tbEUljE_EEESV_SW_SX_S14_S18_S1A_T6_T7_T9_mT8_S1C_bDpT10_ENKUlT_T0_E_clISt17integral_constantIbLb1EES1O_IbLb0EEEEDaS1K_S1L_EUlS1K_E_NS1_11comp_targetILNS1_3genE10ELNS1_11target_archE1200ELNS1_3gpuE4ELNS1_3repE0EEENS1_30default_config_static_selectorELNS0_4arch9wavefront6targetE1EEEvSY_
	.p2align	8
	.type	_ZN7rocprim17ROCPRIM_400000_NS6detail17trampoline_kernelINS0_13select_configILj256ELj13ELNS0_17block_load_methodE3ELS4_3ELS4_3ELNS0_20block_scan_algorithmE0ELj4294967295EEENS1_25partition_config_selectorILNS1_17partition_subalgoE3EjNS0_10empty_typeEbEEZZNS1_14partition_implILS8_3ELb0ES6_jNS0_17counting_iteratorIjlEEPS9_SE_NS0_5tupleIJPjSE_EEENSF_IJSE_SE_EEES9_SG_JZNS1_25segmented_radix_sort_implINS0_14default_configELb1EPKfPfPKlPlN2at6native12_GLOBAL__N_18offset_tEEE10hipError_tPvRmT1_PNSt15iterator_traitsISY_E10value_typeET2_T3_PNSZ_IS14_E10value_typeET4_jRbjT5_S1A_jjP12ihipStream_tbEUljE_EEESV_SW_SX_S14_S18_S1A_T6_T7_T9_mT8_S1C_bDpT10_ENKUlT_T0_E_clISt17integral_constantIbLb1EES1O_IbLb0EEEEDaS1K_S1L_EUlS1K_E_NS1_11comp_targetILNS1_3genE10ELNS1_11target_archE1200ELNS1_3gpuE4ELNS1_3repE0EEENS1_30default_config_static_selectorELNS0_4arch9wavefront6targetE1EEEvSY_,@function
_ZN7rocprim17ROCPRIM_400000_NS6detail17trampoline_kernelINS0_13select_configILj256ELj13ELNS0_17block_load_methodE3ELS4_3ELS4_3ELNS0_20block_scan_algorithmE0ELj4294967295EEENS1_25partition_config_selectorILNS1_17partition_subalgoE3EjNS0_10empty_typeEbEEZZNS1_14partition_implILS8_3ELb0ES6_jNS0_17counting_iteratorIjlEEPS9_SE_NS0_5tupleIJPjSE_EEENSF_IJSE_SE_EEES9_SG_JZNS1_25segmented_radix_sort_implINS0_14default_configELb1EPKfPfPKlPlN2at6native12_GLOBAL__N_18offset_tEEE10hipError_tPvRmT1_PNSt15iterator_traitsISY_E10value_typeET2_T3_PNSZ_IS14_E10value_typeET4_jRbjT5_S1A_jjP12ihipStream_tbEUljE_EEESV_SW_SX_S14_S18_S1A_T6_T7_T9_mT8_S1C_bDpT10_ENKUlT_T0_E_clISt17integral_constantIbLb1EES1O_IbLb0EEEEDaS1K_S1L_EUlS1K_E_NS1_11comp_targetILNS1_3genE10ELNS1_11target_archE1200ELNS1_3gpuE4ELNS1_3repE0EEENS1_30default_config_static_selectorELNS0_4arch9wavefront6targetE1EEEvSY_: ; @_ZN7rocprim17ROCPRIM_400000_NS6detail17trampoline_kernelINS0_13select_configILj256ELj13ELNS0_17block_load_methodE3ELS4_3ELS4_3ELNS0_20block_scan_algorithmE0ELj4294967295EEENS1_25partition_config_selectorILNS1_17partition_subalgoE3EjNS0_10empty_typeEbEEZZNS1_14partition_implILS8_3ELb0ES6_jNS0_17counting_iteratorIjlEEPS9_SE_NS0_5tupleIJPjSE_EEENSF_IJSE_SE_EEES9_SG_JZNS1_25segmented_radix_sort_implINS0_14default_configELb1EPKfPfPKlPlN2at6native12_GLOBAL__N_18offset_tEEE10hipError_tPvRmT1_PNSt15iterator_traitsISY_E10value_typeET2_T3_PNSZ_IS14_E10value_typeET4_jRbjT5_S1A_jjP12ihipStream_tbEUljE_EEESV_SW_SX_S14_S18_S1A_T6_T7_T9_mT8_S1C_bDpT10_ENKUlT_T0_E_clISt17integral_constantIbLb1EES1O_IbLb0EEEEDaS1K_S1L_EUlS1K_E_NS1_11comp_targetILNS1_3genE10ELNS1_11target_archE1200ELNS1_3gpuE4ELNS1_3repE0EEENS1_30default_config_static_selectorELNS0_4arch9wavefront6targetE1EEEvSY_
; %bb.0:
	.section	.rodata,"a",@progbits
	.p2align	6, 0x0
	.amdhsa_kernel _ZN7rocprim17ROCPRIM_400000_NS6detail17trampoline_kernelINS0_13select_configILj256ELj13ELNS0_17block_load_methodE3ELS4_3ELS4_3ELNS0_20block_scan_algorithmE0ELj4294967295EEENS1_25partition_config_selectorILNS1_17partition_subalgoE3EjNS0_10empty_typeEbEEZZNS1_14partition_implILS8_3ELb0ES6_jNS0_17counting_iteratorIjlEEPS9_SE_NS0_5tupleIJPjSE_EEENSF_IJSE_SE_EEES9_SG_JZNS1_25segmented_radix_sort_implINS0_14default_configELb1EPKfPfPKlPlN2at6native12_GLOBAL__N_18offset_tEEE10hipError_tPvRmT1_PNSt15iterator_traitsISY_E10value_typeET2_T3_PNSZ_IS14_E10value_typeET4_jRbjT5_S1A_jjP12ihipStream_tbEUljE_EEESV_SW_SX_S14_S18_S1A_T6_T7_T9_mT8_S1C_bDpT10_ENKUlT_T0_E_clISt17integral_constantIbLb1EES1O_IbLb0EEEEDaS1K_S1L_EUlS1K_E_NS1_11comp_targetILNS1_3genE10ELNS1_11target_archE1200ELNS1_3gpuE4ELNS1_3repE0EEENS1_30default_config_static_selectorELNS0_4arch9wavefront6targetE1EEEvSY_
		.amdhsa_group_segment_fixed_size 0
		.amdhsa_private_segment_fixed_size 0
		.amdhsa_kernarg_size 144
		.amdhsa_user_sgpr_count 6
		.amdhsa_user_sgpr_private_segment_buffer 1
		.amdhsa_user_sgpr_dispatch_ptr 0
		.amdhsa_user_sgpr_queue_ptr 0
		.amdhsa_user_sgpr_kernarg_segment_ptr 1
		.amdhsa_user_sgpr_dispatch_id 0
		.amdhsa_user_sgpr_flat_scratch_init 0
		.amdhsa_user_sgpr_kernarg_preload_length 0
		.amdhsa_user_sgpr_kernarg_preload_offset 0
		.amdhsa_user_sgpr_private_segment_size 0
		.amdhsa_uses_dynamic_stack 0
		.amdhsa_system_sgpr_private_segment_wavefront_offset 0
		.amdhsa_system_sgpr_workgroup_id_x 1
		.amdhsa_system_sgpr_workgroup_id_y 0
		.amdhsa_system_sgpr_workgroup_id_z 0
		.amdhsa_system_sgpr_workgroup_info 0
		.amdhsa_system_vgpr_workitem_id 0
		.amdhsa_next_free_vgpr 1
		.amdhsa_next_free_sgpr 0
		.amdhsa_accum_offset 4
		.amdhsa_reserve_vcc 0
		.amdhsa_reserve_flat_scratch 0
		.amdhsa_float_round_mode_32 0
		.amdhsa_float_round_mode_16_64 0
		.amdhsa_float_denorm_mode_32 3
		.amdhsa_float_denorm_mode_16_64 3
		.amdhsa_dx10_clamp 1
		.amdhsa_ieee_mode 1
		.amdhsa_fp16_overflow 0
		.amdhsa_tg_split 0
		.amdhsa_exception_fp_ieee_invalid_op 0
		.amdhsa_exception_fp_denorm_src 0
		.amdhsa_exception_fp_ieee_div_zero 0
		.amdhsa_exception_fp_ieee_overflow 0
		.amdhsa_exception_fp_ieee_underflow 0
		.amdhsa_exception_fp_ieee_inexact 0
		.amdhsa_exception_int_div_zero 0
	.end_amdhsa_kernel
	.section	.text._ZN7rocprim17ROCPRIM_400000_NS6detail17trampoline_kernelINS0_13select_configILj256ELj13ELNS0_17block_load_methodE3ELS4_3ELS4_3ELNS0_20block_scan_algorithmE0ELj4294967295EEENS1_25partition_config_selectorILNS1_17partition_subalgoE3EjNS0_10empty_typeEbEEZZNS1_14partition_implILS8_3ELb0ES6_jNS0_17counting_iteratorIjlEEPS9_SE_NS0_5tupleIJPjSE_EEENSF_IJSE_SE_EEES9_SG_JZNS1_25segmented_radix_sort_implINS0_14default_configELb1EPKfPfPKlPlN2at6native12_GLOBAL__N_18offset_tEEE10hipError_tPvRmT1_PNSt15iterator_traitsISY_E10value_typeET2_T3_PNSZ_IS14_E10value_typeET4_jRbjT5_S1A_jjP12ihipStream_tbEUljE_EEESV_SW_SX_S14_S18_S1A_T6_T7_T9_mT8_S1C_bDpT10_ENKUlT_T0_E_clISt17integral_constantIbLb1EES1O_IbLb0EEEEDaS1K_S1L_EUlS1K_E_NS1_11comp_targetILNS1_3genE10ELNS1_11target_archE1200ELNS1_3gpuE4ELNS1_3repE0EEENS1_30default_config_static_selectorELNS0_4arch9wavefront6targetE1EEEvSY_,"axG",@progbits,_ZN7rocprim17ROCPRIM_400000_NS6detail17trampoline_kernelINS0_13select_configILj256ELj13ELNS0_17block_load_methodE3ELS4_3ELS4_3ELNS0_20block_scan_algorithmE0ELj4294967295EEENS1_25partition_config_selectorILNS1_17partition_subalgoE3EjNS0_10empty_typeEbEEZZNS1_14partition_implILS8_3ELb0ES6_jNS0_17counting_iteratorIjlEEPS9_SE_NS0_5tupleIJPjSE_EEENSF_IJSE_SE_EEES9_SG_JZNS1_25segmented_radix_sort_implINS0_14default_configELb1EPKfPfPKlPlN2at6native12_GLOBAL__N_18offset_tEEE10hipError_tPvRmT1_PNSt15iterator_traitsISY_E10value_typeET2_T3_PNSZ_IS14_E10value_typeET4_jRbjT5_S1A_jjP12ihipStream_tbEUljE_EEESV_SW_SX_S14_S18_S1A_T6_T7_T9_mT8_S1C_bDpT10_ENKUlT_T0_E_clISt17integral_constantIbLb1EES1O_IbLb0EEEEDaS1K_S1L_EUlS1K_E_NS1_11comp_targetILNS1_3genE10ELNS1_11target_archE1200ELNS1_3gpuE4ELNS1_3repE0EEENS1_30default_config_static_selectorELNS0_4arch9wavefront6targetE1EEEvSY_,comdat
.Lfunc_end1312:
	.size	_ZN7rocprim17ROCPRIM_400000_NS6detail17trampoline_kernelINS0_13select_configILj256ELj13ELNS0_17block_load_methodE3ELS4_3ELS4_3ELNS0_20block_scan_algorithmE0ELj4294967295EEENS1_25partition_config_selectorILNS1_17partition_subalgoE3EjNS0_10empty_typeEbEEZZNS1_14partition_implILS8_3ELb0ES6_jNS0_17counting_iteratorIjlEEPS9_SE_NS0_5tupleIJPjSE_EEENSF_IJSE_SE_EEES9_SG_JZNS1_25segmented_radix_sort_implINS0_14default_configELb1EPKfPfPKlPlN2at6native12_GLOBAL__N_18offset_tEEE10hipError_tPvRmT1_PNSt15iterator_traitsISY_E10value_typeET2_T3_PNSZ_IS14_E10value_typeET4_jRbjT5_S1A_jjP12ihipStream_tbEUljE_EEESV_SW_SX_S14_S18_S1A_T6_T7_T9_mT8_S1C_bDpT10_ENKUlT_T0_E_clISt17integral_constantIbLb1EES1O_IbLb0EEEEDaS1K_S1L_EUlS1K_E_NS1_11comp_targetILNS1_3genE10ELNS1_11target_archE1200ELNS1_3gpuE4ELNS1_3repE0EEENS1_30default_config_static_selectorELNS0_4arch9wavefront6targetE1EEEvSY_, .Lfunc_end1312-_ZN7rocprim17ROCPRIM_400000_NS6detail17trampoline_kernelINS0_13select_configILj256ELj13ELNS0_17block_load_methodE3ELS4_3ELS4_3ELNS0_20block_scan_algorithmE0ELj4294967295EEENS1_25partition_config_selectorILNS1_17partition_subalgoE3EjNS0_10empty_typeEbEEZZNS1_14partition_implILS8_3ELb0ES6_jNS0_17counting_iteratorIjlEEPS9_SE_NS0_5tupleIJPjSE_EEENSF_IJSE_SE_EEES9_SG_JZNS1_25segmented_radix_sort_implINS0_14default_configELb1EPKfPfPKlPlN2at6native12_GLOBAL__N_18offset_tEEE10hipError_tPvRmT1_PNSt15iterator_traitsISY_E10value_typeET2_T3_PNSZ_IS14_E10value_typeET4_jRbjT5_S1A_jjP12ihipStream_tbEUljE_EEESV_SW_SX_S14_S18_S1A_T6_T7_T9_mT8_S1C_bDpT10_ENKUlT_T0_E_clISt17integral_constantIbLb1EES1O_IbLb0EEEEDaS1K_S1L_EUlS1K_E_NS1_11comp_targetILNS1_3genE10ELNS1_11target_archE1200ELNS1_3gpuE4ELNS1_3repE0EEENS1_30default_config_static_selectorELNS0_4arch9wavefront6targetE1EEEvSY_
                                        ; -- End function
	.section	.AMDGPU.csdata,"",@progbits
; Kernel info:
; codeLenInByte = 0
; NumSgprs: 4
; NumVgprs: 0
; NumAgprs: 0
; TotalNumVgprs: 0
; ScratchSize: 0
; MemoryBound: 0
; FloatMode: 240
; IeeeMode: 1
; LDSByteSize: 0 bytes/workgroup (compile time only)
; SGPRBlocks: 0
; VGPRBlocks: 0
; NumSGPRsForWavesPerEU: 4
; NumVGPRsForWavesPerEU: 1
; AccumOffset: 4
; Occupancy: 8
; WaveLimiterHint : 0
; COMPUTE_PGM_RSRC2:SCRATCH_EN: 0
; COMPUTE_PGM_RSRC2:USER_SGPR: 6
; COMPUTE_PGM_RSRC2:TRAP_HANDLER: 0
; COMPUTE_PGM_RSRC2:TGID_X_EN: 1
; COMPUTE_PGM_RSRC2:TGID_Y_EN: 0
; COMPUTE_PGM_RSRC2:TGID_Z_EN: 0
; COMPUTE_PGM_RSRC2:TIDIG_COMP_CNT: 0
; COMPUTE_PGM_RSRC3_GFX90A:ACCUM_OFFSET: 0
; COMPUTE_PGM_RSRC3_GFX90A:TG_SPLIT: 0
	.section	.text._ZN7rocprim17ROCPRIM_400000_NS6detail17trampoline_kernelINS0_13select_configILj256ELj13ELNS0_17block_load_methodE3ELS4_3ELS4_3ELNS0_20block_scan_algorithmE0ELj4294967295EEENS1_25partition_config_selectorILNS1_17partition_subalgoE3EjNS0_10empty_typeEbEEZZNS1_14partition_implILS8_3ELb0ES6_jNS0_17counting_iteratorIjlEEPS9_SE_NS0_5tupleIJPjSE_EEENSF_IJSE_SE_EEES9_SG_JZNS1_25segmented_radix_sort_implINS0_14default_configELb1EPKfPfPKlPlN2at6native12_GLOBAL__N_18offset_tEEE10hipError_tPvRmT1_PNSt15iterator_traitsISY_E10value_typeET2_T3_PNSZ_IS14_E10value_typeET4_jRbjT5_S1A_jjP12ihipStream_tbEUljE_EEESV_SW_SX_S14_S18_S1A_T6_T7_T9_mT8_S1C_bDpT10_ENKUlT_T0_E_clISt17integral_constantIbLb1EES1O_IbLb0EEEEDaS1K_S1L_EUlS1K_E_NS1_11comp_targetILNS1_3genE9ELNS1_11target_archE1100ELNS1_3gpuE3ELNS1_3repE0EEENS1_30default_config_static_selectorELNS0_4arch9wavefront6targetE1EEEvSY_,"axG",@progbits,_ZN7rocprim17ROCPRIM_400000_NS6detail17trampoline_kernelINS0_13select_configILj256ELj13ELNS0_17block_load_methodE3ELS4_3ELS4_3ELNS0_20block_scan_algorithmE0ELj4294967295EEENS1_25partition_config_selectorILNS1_17partition_subalgoE3EjNS0_10empty_typeEbEEZZNS1_14partition_implILS8_3ELb0ES6_jNS0_17counting_iteratorIjlEEPS9_SE_NS0_5tupleIJPjSE_EEENSF_IJSE_SE_EEES9_SG_JZNS1_25segmented_radix_sort_implINS0_14default_configELb1EPKfPfPKlPlN2at6native12_GLOBAL__N_18offset_tEEE10hipError_tPvRmT1_PNSt15iterator_traitsISY_E10value_typeET2_T3_PNSZ_IS14_E10value_typeET4_jRbjT5_S1A_jjP12ihipStream_tbEUljE_EEESV_SW_SX_S14_S18_S1A_T6_T7_T9_mT8_S1C_bDpT10_ENKUlT_T0_E_clISt17integral_constantIbLb1EES1O_IbLb0EEEEDaS1K_S1L_EUlS1K_E_NS1_11comp_targetILNS1_3genE9ELNS1_11target_archE1100ELNS1_3gpuE3ELNS1_3repE0EEENS1_30default_config_static_selectorELNS0_4arch9wavefront6targetE1EEEvSY_,comdat
	.globl	_ZN7rocprim17ROCPRIM_400000_NS6detail17trampoline_kernelINS0_13select_configILj256ELj13ELNS0_17block_load_methodE3ELS4_3ELS4_3ELNS0_20block_scan_algorithmE0ELj4294967295EEENS1_25partition_config_selectorILNS1_17partition_subalgoE3EjNS0_10empty_typeEbEEZZNS1_14partition_implILS8_3ELb0ES6_jNS0_17counting_iteratorIjlEEPS9_SE_NS0_5tupleIJPjSE_EEENSF_IJSE_SE_EEES9_SG_JZNS1_25segmented_radix_sort_implINS0_14default_configELb1EPKfPfPKlPlN2at6native12_GLOBAL__N_18offset_tEEE10hipError_tPvRmT1_PNSt15iterator_traitsISY_E10value_typeET2_T3_PNSZ_IS14_E10value_typeET4_jRbjT5_S1A_jjP12ihipStream_tbEUljE_EEESV_SW_SX_S14_S18_S1A_T6_T7_T9_mT8_S1C_bDpT10_ENKUlT_T0_E_clISt17integral_constantIbLb1EES1O_IbLb0EEEEDaS1K_S1L_EUlS1K_E_NS1_11comp_targetILNS1_3genE9ELNS1_11target_archE1100ELNS1_3gpuE3ELNS1_3repE0EEENS1_30default_config_static_selectorELNS0_4arch9wavefront6targetE1EEEvSY_ ; -- Begin function _ZN7rocprim17ROCPRIM_400000_NS6detail17trampoline_kernelINS0_13select_configILj256ELj13ELNS0_17block_load_methodE3ELS4_3ELS4_3ELNS0_20block_scan_algorithmE0ELj4294967295EEENS1_25partition_config_selectorILNS1_17partition_subalgoE3EjNS0_10empty_typeEbEEZZNS1_14partition_implILS8_3ELb0ES6_jNS0_17counting_iteratorIjlEEPS9_SE_NS0_5tupleIJPjSE_EEENSF_IJSE_SE_EEES9_SG_JZNS1_25segmented_radix_sort_implINS0_14default_configELb1EPKfPfPKlPlN2at6native12_GLOBAL__N_18offset_tEEE10hipError_tPvRmT1_PNSt15iterator_traitsISY_E10value_typeET2_T3_PNSZ_IS14_E10value_typeET4_jRbjT5_S1A_jjP12ihipStream_tbEUljE_EEESV_SW_SX_S14_S18_S1A_T6_T7_T9_mT8_S1C_bDpT10_ENKUlT_T0_E_clISt17integral_constantIbLb1EES1O_IbLb0EEEEDaS1K_S1L_EUlS1K_E_NS1_11comp_targetILNS1_3genE9ELNS1_11target_archE1100ELNS1_3gpuE3ELNS1_3repE0EEENS1_30default_config_static_selectorELNS0_4arch9wavefront6targetE1EEEvSY_
	.p2align	8
	.type	_ZN7rocprim17ROCPRIM_400000_NS6detail17trampoline_kernelINS0_13select_configILj256ELj13ELNS0_17block_load_methodE3ELS4_3ELS4_3ELNS0_20block_scan_algorithmE0ELj4294967295EEENS1_25partition_config_selectorILNS1_17partition_subalgoE3EjNS0_10empty_typeEbEEZZNS1_14partition_implILS8_3ELb0ES6_jNS0_17counting_iteratorIjlEEPS9_SE_NS0_5tupleIJPjSE_EEENSF_IJSE_SE_EEES9_SG_JZNS1_25segmented_radix_sort_implINS0_14default_configELb1EPKfPfPKlPlN2at6native12_GLOBAL__N_18offset_tEEE10hipError_tPvRmT1_PNSt15iterator_traitsISY_E10value_typeET2_T3_PNSZ_IS14_E10value_typeET4_jRbjT5_S1A_jjP12ihipStream_tbEUljE_EEESV_SW_SX_S14_S18_S1A_T6_T7_T9_mT8_S1C_bDpT10_ENKUlT_T0_E_clISt17integral_constantIbLb1EES1O_IbLb0EEEEDaS1K_S1L_EUlS1K_E_NS1_11comp_targetILNS1_3genE9ELNS1_11target_archE1100ELNS1_3gpuE3ELNS1_3repE0EEENS1_30default_config_static_selectorELNS0_4arch9wavefront6targetE1EEEvSY_,@function
_ZN7rocprim17ROCPRIM_400000_NS6detail17trampoline_kernelINS0_13select_configILj256ELj13ELNS0_17block_load_methodE3ELS4_3ELS4_3ELNS0_20block_scan_algorithmE0ELj4294967295EEENS1_25partition_config_selectorILNS1_17partition_subalgoE3EjNS0_10empty_typeEbEEZZNS1_14partition_implILS8_3ELb0ES6_jNS0_17counting_iteratorIjlEEPS9_SE_NS0_5tupleIJPjSE_EEENSF_IJSE_SE_EEES9_SG_JZNS1_25segmented_radix_sort_implINS0_14default_configELb1EPKfPfPKlPlN2at6native12_GLOBAL__N_18offset_tEEE10hipError_tPvRmT1_PNSt15iterator_traitsISY_E10value_typeET2_T3_PNSZ_IS14_E10value_typeET4_jRbjT5_S1A_jjP12ihipStream_tbEUljE_EEESV_SW_SX_S14_S18_S1A_T6_T7_T9_mT8_S1C_bDpT10_ENKUlT_T0_E_clISt17integral_constantIbLb1EES1O_IbLb0EEEEDaS1K_S1L_EUlS1K_E_NS1_11comp_targetILNS1_3genE9ELNS1_11target_archE1100ELNS1_3gpuE3ELNS1_3repE0EEENS1_30default_config_static_selectorELNS0_4arch9wavefront6targetE1EEEvSY_: ; @_ZN7rocprim17ROCPRIM_400000_NS6detail17trampoline_kernelINS0_13select_configILj256ELj13ELNS0_17block_load_methodE3ELS4_3ELS4_3ELNS0_20block_scan_algorithmE0ELj4294967295EEENS1_25partition_config_selectorILNS1_17partition_subalgoE3EjNS0_10empty_typeEbEEZZNS1_14partition_implILS8_3ELb0ES6_jNS0_17counting_iteratorIjlEEPS9_SE_NS0_5tupleIJPjSE_EEENSF_IJSE_SE_EEES9_SG_JZNS1_25segmented_radix_sort_implINS0_14default_configELb1EPKfPfPKlPlN2at6native12_GLOBAL__N_18offset_tEEE10hipError_tPvRmT1_PNSt15iterator_traitsISY_E10value_typeET2_T3_PNSZ_IS14_E10value_typeET4_jRbjT5_S1A_jjP12ihipStream_tbEUljE_EEESV_SW_SX_S14_S18_S1A_T6_T7_T9_mT8_S1C_bDpT10_ENKUlT_T0_E_clISt17integral_constantIbLb1EES1O_IbLb0EEEEDaS1K_S1L_EUlS1K_E_NS1_11comp_targetILNS1_3genE9ELNS1_11target_archE1100ELNS1_3gpuE3ELNS1_3repE0EEENS1_30default_config_static_selectorELNS0_4arch9wavefront6targetE1EEEvSY_
; %bb.0:
	.section	.rodata,"a",@progbits
	.p2align	6, 0x0
	.amdhsa_kernel _ZN7rocprim17ROCPRIM_400000_NS6detail17trampoline_kernelINS0_13select_configILj256ELj13ELNS0_17block_load_methodE3ELS4_3ELS4_3ELNS0_20block_scan_algorithmE0ELj4294967295EEENS1_25partition_config_selectorILNS1_17partition_subalgoE3EjNS0_10empty_typeEbEEZZNS1_14partition_implILS8_3ELb0ES6_jNS0_17counting_iteratorIjlEEPS9_SE_NS0_5tupleIJPjSE_EEENSF_IJSE_SE_EEES9_SG_JZNS1_25segmented_radix_sort_implINS0_14default_configELb1EPKfPfPKlPlN2at6native12_GLOBAL__N_18offset_tEEE10hipError_tPvRmT1_PNSt15iterator_traitsISY_E10value_typeET2_T3_PNSZ_IS14_E10value_typeET4_jRbjT5_S1A_jjP12ihipStream_tbEUljE_EEESV_SW_SX_S14_S18_S1A_T6_T7_T9_mT8_S1C_bDpT10_ENKUlT_T0_E_clISt17integral_constantIbLb1EES1O_IbLb0EEEEDaS1K_S1L_EUlS1K_E_NS1_11comp_targetILNS1_3genE9ELNS1_11target_archE1100ELNS1_3gpuE3ELNS1_3repE0EEENS1_30default_config_static_selectorELNS0_4arch9wavefront6targetE1EEEvSY_
		.amdhsa_group_segment_fixed_size 0
		.amdhsa_private_segment_fixed_size 0
		.amdhsa_kernarg_size 144
		.amdhsa_user_sgpr_count 6
		.amdhsa_user_sgpr_private_segment_buffer 1
		.amdhsa_user_sgpr_dispatch_ptr 0
		.amdhsa_user_sgpr_queue_ptr 0
		.amdhsa_user_sgpr_kernarg_segment_ptr 1
		.amdhsa_user_sgpr_dispatch_id 0
		.amdhsa_user_sgpr_flat_scratch_init 0
		.amdhsa_user_sgpr_kernarg_preload_length 0
		.amdhsa_user_sgpr_kernarg_preload_offset 0
		.amdhsa_user_sgpr_private_segment_size 0
		.amdhsa_uses_dynamic_stack 0
		.amdhsa_system_sgpr_private_segment_wavefront_offset 0
		.amdhsa_system_sgpr_workgroup_id_x 1
		.amdhsa_system_sgpr_workgroup_id_y 0
		.amdhsa_system_sgpr_workgroup_id_z 0
		.amdhsa_system_sgpr_workgroup_info 0
		.amdhsa_system_vgpr_workitem_id 0
		.amdhsa_next_free_vgpr 1
		.amdhsa_next_free_sgpr 0
		.amdhsa_accum_offset 4
		.amdhsa_reserve_vcc 0
		.amdhsa_reserve_flat_scratch 0
		.amdhsa_float_round_mode_32 0
		.amdhsa_float_round_mode_16_64 0
		.amdhsa_float_denorm_mode_32 3
		.amdhsa_float_denorm_mode_16_64 3
		.amdhsa_dx10_clamp 1
		.amdhsa_ieee_mode 1
		.amdhsa_fp16_overflow 0
		.amdhsa_tg_split 0
		.amdhsa_exception_fp_ieee_invalid_op 0
		.amdhsa_exception_fp_denorm_src 0
		.amdhsa_exception_fp_ieee_div_zero 0
		.amdhsa_exception_fp_ieee_overflow 0
		.amdhsa_exception_fp_ieee_underflow 0
		.amdhsa_exception_fp_ieee_inexact 0
		.amdhsa_exception_int_div_zero 0
	.end_amdhsa_kernel
	.section	.text._ZN7rocprim17ROCPRIM_400000_NS6detail17trampoline_kernelINS0_13select_configILj256ELj13ELNS0_17block_load_methodE3ELS4_3ELS4_3ELNS0_20block_scan_algorithmE0ELj4294967295EEENS1_25partition_config_selectorILNS1_17partition_subalgoE3EjNS0_10empty_typeEbEEZZNS1_14partition_implILS8_3ELb0ES6_jNS0_17counting_iteratorIjlEEPS9_SE_NS0_5tupleIJPjSE_EEENSF_IJSE_SE_EEES9_SG_JZNS1_25segmented_radix_sort_implINS0_14default_configELb1EPKfPfPKlPlN2at6native12_GLOBAL__N_18offset_tEEE10hipError_tPvRmT1_PNSt15iterator_traitsISY_E10value_typeET2_T3_PNSZ_IS14_E10value_typeET4_jRbjT5_S1A_jjP12ihipStream_tbEUljE_EEESV_SW_SX_S14_S18_S1A_T6_T7_T9_mT8_S1C_bDpT10_ENKUlT_T0_E_clISt17integral_constantIbLb1EES1O_IbLb0EEEEDaS1K_S1L_EUlS1K_E_NS1_11comp_targetILNS1_3genE9ELNS1_11target_archE1100ELNS1_3gpuE3ELNS1_3repE0EEENS1_30default_config_static_selectorELNS0_4arch9wavefront6targetE1EEEvSY_,"axG",@progbits,_ZN7rocprim17ROCPRIM_400000_NS6detail17trampoline_kernelINS0_13select_configILj256ELj13ELNS0_17block_load_methodE3ELS4_3ELS4_3ELNS0_20block_scan_algorithmE0ELj4294967295EEENS1_25partition_config_selectorILNS1_17partition_subalgoE3EjNS0_10empty_typeEbEEZZNS1_14partition_implILS8_3ELb0ES6_jNS0_17counting_iteratorIjlEEPS9_SE_NS0_5tupleIJPjSE_EEENSF_IJSE_SE_EEES9_SG_JZNS1_25segmented_radix_sort_implINS0_14default_configELb1EPKfPfPKlPlN2at6native12_GLOBAL__N_18offset_tEEE10hipError_tPvRmT1_PNSt15iterator_traitsISY_E10value_typeET2_T3_PNSZ_IS14_E10value_typeET4_jRbjT5_S1A_jjP12ihipStream_tbEUljE_EEESV_SW_SX_S14_S18_S1A_T6_T7_T9_mT8_S1C_bDpT10_ENKUlT_T0_E_clISt17integral_constantIbLb1EES1O_IbLb0EEEEDaS1K_S1L_EUlS1K_E_NS1_11comp_targetILNS1_3genE9ELNS1_11target_archE1100ELNS1_3gpuE3ELNS1_3repE0EEENS1_30default_config_static_selectorELNS0_4arch9wavefront6targetE1EEEvSY_,comdat
.Lfunc_end1313:
	.size	_ZN7rocprim17ROCPRIM_400000_NS6detail17trampoline_kernelINS0_13select_configILj256ELj13ELNS0_17block_load_methodE3ELS4_3ELS4_3ELNS0_20block_scan_algorithmE0ELj4294967295EEENS1_25partition_config_selectorILNS1_17partition_subalgoE3EjNS0_10empty_typeEbEEZZNS1_14partition_implILS8_3ELb0ES6_jNS0_17counting_iteratorIjlEEPS9_SE_NS0_5tupleIJPjSE_EEENSF_IJSE_SE_EEES9_SG_JZNS1_25segmented_radix_sort_implINS0_14default_configELb1EPKfPfPKlPlN2at6native12_GLOBAL__N_18offset_tEEE10hipError_tPvRmT1_PNSt15iterator_traitsISY_E10value_typeET2_T3_PNSZ_IS14_E10value_typeET4_jRbjT5_S1A_jjP12ihipStream_tbEUljE_EEESV_SW_SX_S14_S18_S1A_T6_T7_T9_mT8_S1C_bDpT10_ENKUlT_T0_E_clISt17integral_constantIbLb1EES1O_IbLb0EEEEDaS1K_S1L_EUlS1K_E_NS1_11comp_targetILNS1_3genE9ELNS1_11target_archE1100ELNS1_3gpuE3ELNS1_3repE0EEENS1_30default_config_static_selectorELNS0_4arch9wavefront6targetE1EEEvSY_, .Lfunc_end1313-_ZN7rocprim17ROCPRIM_400000_NS6detail17trampoline_kernelINS0_13select_configILj256ELj13ELNS0_17block_load_methodE3ELS4_3ELS4_3ELNS0_20block_scan_algorithmE0ELj4294967295EEENS1_25partition_config_selectorILNS1_17partition_subalgoE3EjNS0_10empty_typeEbEEZZNS1_14partition_implILS8_3ELb0ES6_jNS0_17counting_iteratorIjlEEPS9_SE_NS0_5tupleIJPjSE_EEENSF_IJSE_SE_EEES9_SG_JZNS1_25segmented_radix_sort_implINS0_14default_configELb1EPKfPfPKlPlN2at6native12_GLOBAL__N_18offset_tEEE10hipError_tPvRmT1_PNSt15iterator_traitsISY_E10value_typeET2_T3_PNSZ_IS14_E10value_typeET4_jRbjT5_S1A_jjP12ihipStream_tbEUljE_EEESV_SW_SX_S14_S18_S1A_T6_T7_T9_mT8_S1C_bDpT10_ENKUlT_T0_E_clISt17integral_constantIbLb1EES1O_IbLb0EEEEDaS1K_S1L_EUlS1K_E_NS1_11comp_targetILNS1_3genE9ELNS1_11target_archE1100ELNS1_3gpuE3ELNS1_3repE0EEENS1_30default_config_static_selectorELNS0_4arch9wavefront6targetE1EEEvSY_
                                        ; -- End function
	.section	.AMDGPU.csdata,"",@progbits
; Kernel info:
; codeLenInByte = 0
; NumSgprs: 4
; NumVgprs: 0
; NumAgprs: 0
; TotalNumVgprs: 0
; ScratchSize: 0
; MemoryBound: 0
; FloatMode: 240
; IeeeMode: 1
; LDSByteSize: 0 bytes/workgroup (compile time only)
; SGPRBlocks: 0
; VGPRBlocks: 0
; NumSGPRsForWavesPerEU: 4
; NumVGPRsForWavesPerEU: 1
; AccumOffset: 4
; Occupancy: 8
; WaveLimiterHint : 0
; COMPUTE_PGM_RSRC2:SCRATCH_EN: 0
; COMPUTE_PGM_RSRC2:USER_SGPR: 6
; COMPUTE_PGM_RSRC2:TRAP_HANDLER: 0
; COMPUTE_PGM_RSRC2:TGID_X_EN: 1
; COMPUTE_PGM_RSRC2:TGID_Y_EN: 0
; COMPUTE_PGM_RSRC2:TGID_Z_EN: 0
; COMPUTE_PGM_RSRC2:TIDIG_COMP_CNT: 0
; COMPUTE_PGM_RSRC3_GFX90A:ACCUM_OFFSET: 0
; COMPUTE_PGM_RSRC3_GFX90A:TG_SPLIT: 0
	.section	.text._ZN7rocprim17ROCPRIM_400000_NS6detail17trampoline_kernelINS0_13select_configILj256ELj13ELNS0_17block_load_methodE3ELS4_3ELS4_3ELNS0_20block_scan_algorithmE0ELj4294967295EEENS1_25partition_config_selectorILNS1_17partition_subalgoE3EjNS0_10empty_typeEbEEZZNS1_14partition_implILS8_3ELb0ES6_jNS0_17counting_iteratorIjlEEPS9_SE_NS0_5tupleIJPjSE_EEENSF_IJSE_SE_EEES9_SG_JZNS1_25segmented_radix_sort_implINS0_14default_configELb1EPKfPfPKlPlN2at6native12_GLOBAL__N_18offset_tEEE10hipError_tPvRmT1_PNSt15iterator_traitsISY_E10value_typeET2_T3_PNSZ_IS14_E10value_typeET4_jRbjT5_S1A_jjP12ihipStream_tbEUljE_EEESV_SW_SX_S14_S18_S1A_T6_T7_T9_mT8_S1C_bDpT10_ENKUlT_T0_E_clISt17integral_constantIbLb1EES1O_IbLb0EEEEDaS1K_S1L_EUlS1K_E_NS1_11comp_targetILNS1_3genE8ELNS1_11target_archE1030ELNS1_3gpuE2ELNS1_3repE0EEENS1_30default_config_static_selectorELNS0_4arch9wavefront6targetE1EEEvSY_,"axG",@progbits,_ZN7rocprim17ROCPRIM_400000_NS6detail17trampoline_kernelINS0_13select_configILj256ELj13ELNS0_17block_load_methodE3ELS4_3ELS4_3ELNS0_20block_scan_algorithmE0ELj4294967295EEENS1_25partition_config_selectorILNS1_17partition_subalgoE3EjNS0_10empty_typeEbEEZZNS1_14partition_implILS8_3ELb0ES6_jNS0_17counting_iteratorIjlEEPS9_SE_NS0_5tupleIJPjSE_EEENSF_IJSE_SE_EEES9_SG_JZNS1_25segmented_radix_sort_implINS0_14default_configELb1EPKfPfPKlPlN2at6native12_GLOBAL__N_18offset_tEEE10hipError_tPvRmT1_PNSt15iterator_traitsISY_E10value_typeET2_T3_PNSZ_IS14_E10value_typeET4_jRbjT5_S1A_jjP12ihipStream_tbEUljE_EEESV_SW_SX_S14_S18_S1A_T6_T7_T9_mT8_S1C_bDpT10_ENKUlT_T0_E_clISt17integral_constantIbLb1EES1O_IbLb0EEEEDaS1K_S1L_EUlS1K_E_NS1_11comp_targetILNS1_3genE8ELNS1_11target_archE1030ELNS1_3gpuE2ELNS1_3repE0EEENS1_30default_config_static_selectorELNS0_4arch9wavefront6targetE1EEEvSY_,comdat
	.globl	_ZN7rocprim17ROCPRIM_400000_NS6detail17trampoline_kernelINS0_13select_configILj256ELj13ELNS0_17block_load_methodE3ELS4_3ELS4_3ELNS0_20block_scan_algorithmE0ELj4294967295EEENS1_25partition_config_selectorILNS1_17partition_subalgoE3EjNS0_10empty_typeEbEEZZNS1_14partition_implILS8_3ELb0ES6_jNS0_17counting_iteratorIjlEEPS9_SE_NS0_5tupleIJPjSE_EEENSF_IJSE_SE_EEES9_SG_JZNS1_25segmented_radix_sort_implINS0_14default_configELb1EPKfPfPKlPlN2at6native12_GLOBAL__N_18offset_tEEE10hipError_tPvRmT1_PNSt15iterator_traitsISY_E10value_typeET2_T3_PNSZ_IS14_E10value_typeET4_jRbjT5_S1A_jjP12ihipStream_tbEUljE_EEESV_SW_SX_S14_S18_S1A_T6_T7_T9_mT8_S1C_bDpT10_ENKUlT_T0_E_clISt17integral_constantIbLb1EES1O_IbLb0EEEEDaS1K_S1L_EUlS1K_E_NS1_11comp_targetILNS1_3genE8ELNS1_11target_archE1030ELNS1_3gpuE2ELNS1_3repE0EEENS1_30default_config_static_selectorELNS0_4arch9wavefront6targetE1EEEvSY_ ; -- Begin function _ZN7rocprim17ROCPRIM_400000_NS6detail17trampoline_kernelINS0_13select_configILj256ELj13ELNS0_17block_load_methodE3ELS4_3ELS4_3ELNS0_20block_scan_algorithmE0ELj4294967295EEENS1_25partition_config_selectorILNS1_17partition_subalgoE3EjNS0_10empty_typeEbEEZZNS1_14partition_implILS8_3ELb0ES6_jNS0_17counting_iteratorIjlEEPS9_SE_NS0_5tupleIJPjSE_EEENSF_IJSE_SE_EEES9_SG_JZNS1_25segmented_radix_sort_implINS0_14default_configELb1EPKfPfPKlPlN2at6native12_GLOBAL__N_18offset_tEEE10hipError_tPvRmT1_PNSt15iterator_traitsISY_E10value_typeET2_T3_PNSZ_IS14_E10value_typeET4_jRbjT5_S1A_jjP12ihipStream_tbEUljE_EEESV_SW_SX_S14_S18_S1A_T6_T7_T9_mT8_S1C_bDpT10_ENKUlT_T0_E_clISt17integral_constantIbLb1EES1O_IbLb0EEEEDaS1K_S1L_EUlS1K_E_NS1_11comp_targetILNS1_3genE8ELNS1_11target_archE1030ELNS1_3gpuE2ELNS1_3repE0EEENS1_30default_config_static_selectorELNS0_4arch9wavefront6targetE1EEEvSY_
	.p2align	8
	.type	_ZN7rocprim17ROCPRIM_400000_NS6detail17trampoline_kernelINS0_13select_configILj256ELj13ELNS0_17block_load_methodE3ELS4_3ELS4_3ELNS0_20block_scan_algorithmE0ELj4294967295EEENS1_25partition_config_selectorILNS1_17partition_subalgoE3EjNS0_10empty_typeEbEEZZNS1_14partition_implILS8_3ELb0ES6_jNS0_17counting_iteratorIjlEEPS9_SE_NS0_5tupleIJPjSE_EEENSF_IJSE_SE_EEES9_SG_JZNS1_25segmented_radix_sort_implINS0_14default_configELb1EPKfPfPKlPlN2at6native12_GLOBAL__N_18offset_tEEE10hipError_tPvRmT1_PNSt15iterator_traitsISY_E10value_typeET2_T3_PNSZ_IS14_E10value_typeET4_jRbjT5_S1A_jjP12ihipStream_tbEUljE_EEESV_SW_SX_S14_S18_S1A_T6_T7_T9_mT8_S1C_bDpT10_ENKUlT_T0_E_clISt17integral_constantIbLb1EES1O_IbLb0EEEEDaS1K_S1L_EUlS1K_E_NS1_11comp_targetILNS1_3genE8ELNS1_11target_archE1030ELNS1_3gpuE2ELNS1_3repE0EEENS1_30default_config_static_selectorELNS0_4arch9wavefront6targetE1EEEvSY_,@function
_ZN7rocprim17ROCPRIM_400000_NS6detail17trampoline_kernelINS0_13select_configILj256ELj13ELNS0_17block_load_methodE3ELS4_3ELS4_3ELNS0_20block_scan_algorithmE0ELj4294967295EEENS1_25partition_config_selectorILNS1_17partition_subalgoE3EjNS0_10empty_typeEbEEZZNS1_14partition_implILS8_3ELb0ES6_jNS0_17counting_iteratorIjlEEPS9_SE_NS0_5tupleIJPjSE_EEENSF_IJSE_SE_EEES9_SG_JZNS1_25segmented_radix_sort_implINS0_14default_configELb1EPKfPfPKlPlN2at6native12_GLOBAL__N_18offset_tEEE10hipError_tPvRmT1_PNSt15iterator_traitsISY_E10value_typeET2_T3_PNSZ_IS14_E10value_typeET4_jRbjT5_S1A_jjP12ihipStream_tbEUljE_EEESV_SW_SX_S14_S18_S1A_T6_T7_T9_mT8_S1C_bDpT10_ENKUlT_T0_E_clISt17integral_constantIbLb1EES1O_IbLb0EEEEDaS1K_S1L_EUlS1K_E_NS1_11comp_targetILNS1_3genE8ELNS1_11target_archE1030ELNS1_3gpuE2ELNS1_3repE0EEENS1_30default_config_static_selectorELNS0_4arch9wavefront6targetE1EEEvSY_: ; @_ZN7rocprim17ROCPRIM_400000_NS6detail17trampoline_kernelINS0_13select_configILj256ELj13ELNS0_17block_load_methodE3ELS4_3ELS4_3ELNS0_20block_scan_algorithmE0ELj4294967295EEENS1_25partition_config_selectorILNS1_17partition_subalgoE3EjNS0_10empty_typeEbEEZZNS1_14partition_implILS8_3ELb0ES6_jNS0_17counting_iteratorIjlEEPS9_SE_NS0_5tupleIJPjSE_EEENSF_IJSE_SE_EEES9_SG_JZNS1_25segmented_radix_sort_implINS0_14default_configELb1EPKfPfPKlPlN2at6native12_GLOBAL__N_18offset_tEEE10hipError_tPvRmT1_PNSt15iterator_traitsISY_E10value_typeET2_T3_PNSZ_IS14_E10value_typeET4_jRbjT5_S1A_jjP12ihipStream_tbEUljE_EEESV_SW_SX_S14_S18_S1A_T6_T7_T9_mT8_S1C_bDpT10_ENKUlT_T0_E_clISt17integral_constantIbLb1EES1O_IbLb0EEEEDaS1K_S1L_EUlS1K_E_NS1_11comp_targetILNS1_3genE8ELNS1_11target_archE1030ELNS1_3gpuE2ELNS1_3repE0EEENS1_30default_config_static_selectorELNS0_4arch9wavefront6targetE1EEEvSY_
; %bb.0:
	.section	.rodata,"a",@progbits
	.p2align	6, 0x0
	.amdhsa_kernel _ZN7rocprim17ROCPRIM_400000_NS6detail17trampoline_kernelINS0_13select_configILj256ELj13ELNS0_17block_load_methodE3ELS4_3ELS4_3ELNS0_20block_scan_algorithmE0ELj4294967295EEENS1_25partition_config_selectorILNS1_17partition_subalgoE3EjNS0_10empty_typeEbEEZZNS1_14partition_implILS8_3ELb0ES6_jNS0_17counting_iteratorIjlEEPS9_SE_NS0_5tupleIJPjSE_EEENSF_IJSE_SE_EEES9_SG_JZNS1_25segmented_radix_sort_implINS0_14default_configELb1EPKfPfPKlPlN2at6native12_GLOBAL__N_18offset_tEEE10hipError_tPvRmT1_PNSt15iterator_traitsISY_E10value_typeET2_T3_PNSZ_IS14_E10value_typeET4_jRbjT5_S1A_jjP12ihipStream_tbEUljE_EEESV_SW_SX_S14_S18_S1A_T6_T7_T9_mT8_S1C_bDpT10_ENKUlT_T0_E_clISt17integral_constantIbLb1EES1O_IbLb0EEEEDaS1K_S1L_EUlS1K_E_NS1_11comp_targetILNS1_3genE8ELNS1_11target_archE1030ELNS1_3gpuE2ELNS1_3repE0EEENS1_30default_config_static_selectorELNS0_4arch9wavefront6targetE1EEEvSY_
		.amdhsa_group_segment_fixed_size 0
		.amdhsa_private_segment_fixed_size 0
		.amdhsa_kernarg_size 144
		.amdhsa_user_sgpr_count 6
		.amdhsa_user_sgpr_private_segment_buffer 1
		.amdhsa_user_sgpr_dispatch_ptr 0
		.amdhsa_user_sgpr_queue_ptr 0
		.amdhsa_user_sgpr_kernarg_segment_ptr 1
		.amdhsa_user_sgpr_dispatch_id 0
		.amdhsa_user_sgpr_flat_scratch_init 0
		.amdhsa_user_sgpr_kernarg_preload_length 0
		.amdhsa_user_sgpr_kernarg_preload_offset 0
		.amdhsa_user_sgpr_private_segment_size 0
		.amdhsa_uses_dynamic_stack 0
		.amdhsa_system_sgpr_private_segment_wavefront_offset 0
		.amdhsa_system_sgpr_workgroup_id_x 1
		.amdhsa_system_sgpr_workgroup_id_y 0
		.amdhsa_system_sgpr_workgroup_id_z 0
		.amdhsa_system_sgpr_workgroup_info 0
		.amdhsa_system_vgpr_workitem_id 0
		.amdhsa_next_free_vgpr 1
		.amdhsa_next_free_sgpr 0
		.amdhsa_accum_offset 4
		.amdhsa_reserve_vcc 0
		.amdhsa_reserve_flat_scratch 0
		.amdhsa_float_round_mode_32 0
		.amdhsa_float_round_mode_16_64 0
		.amdhsa_float_denorm_mode_32 3
		.amdhsa_float_denorm_mode_16_64 3
		.amdhsa_dx10_clamp 1
		.amdhsa_ieee_mode 1
		.amdhsa_fp16_overflow 0
		.amdhsa_tg_split 0
		.amdhsa_exception_fp_ieee_invalid_op 0
		.amdhsa_exception_fp_denorm_src 0
		.amdhsa_exception_fp_ieee_div_zero 0
		.amdhsa_exception_fp_ieee_overflow 0
		.amdhsa_exception_fp_ieee_underflow 0
		.amdhsa_exception_fp_ieee_inexact 0
		.amdhsa_exception_int_div_zero 0
	.end_amdhsa_kernel
	.section	.text._ZN7rocprim17ROCPRIM_400000_NS6detail17trampoline_kernelINS0_13select_configILj256ELj13ELNS0_17block_load_methodE3ELS4_3ELS4_3ELNS0_20block_scan_algorithmE0ELj4294967295EEENS1_25partition_config_selectorILNS1_17partition_subalgoE3EjNS0_10empty_typeEbEEZZNS1_14partition_implILS8_3ELb0ES6_jNS0_17counting_iteratorIjlEEPS9_SE_NS0_5tupleIJPjSE_EEENSF_IJSE_SE_EEES9_SG_JZNS1_25segmented_radix_sort_implINS0_14default_configELb1EPKfPfPKlPlN2at6native12_GLOBAL__N_18offset_tEEE10hipError_tPvRmT1_PNSt15iterator_traitsISY_E10value_typeET2_T3_PNSZ_IS14_E10value_typeET4_jRbjT5_S1A_jjP12ihipStream_tbEUljE_EEESV_SW_SX_S14_S18_S1A_T6_T7_T9_mT8_S1C_bDpT10_ENKUlT_T0_E_clISt17integral_constantIbLb1EES1O_IbLb0EEEEDaS1K_S1L_EUlS1K_E_NS1_11comp_targetILNS1_3genE8ELNS1_11target_archE1030ELNS1_3gpuE2ELNS1_3repE0EEENS1_30default_config_static_selectorELNS0_4arch9wavefront6targetE1EEEvSY_,"axG",@progbits,_ZN7rocprim17ROCPRIM_400000_NS6detail17trampoline_kernelINS0_13select_configILj256ELj13ELNS0_17block_load_methodE3ELS4_3ELS4_3ELNS0_20block_scan_algorithmE0ELj4294967295EEENS1_25partition_config_selectorILNS1_17partition_subalgoE3EjNS0_10empty_typeEbEEZZNS1_14partition_implILS8_3ELb0ES6_jNS0_17counting_iteratorIjlEEPS9_SE_NS0_5tupleIJPjSE_EEENSF_IJSE_SE_EEES9_SG_JZNS1_25segmented_radix_sort_implINS0_14default_configELb1EPKfPfPKlPlN2at6native12_GLOBAL__N_18offset_tEEE10hipError_tPvRmT1_PNSt15iterator_traitsISY_E10value_typeET2_T3_PNSZ_IS14_E10value_typeET4_jRbjT5_S1A_jjP12ihipStream_tbEUljE_EEESV_SW_SX_S14_S18_S1A_T6_T7_T9_mT8_S1C_bDpT10_ENKUlT_T0_E_clISt17integral_constantIbLb1EES1O_IbLb0EEEEDaS1K_S1L_EUlS1K_E_NS1_11comp_targetILNS1_3genE8ELNS1_11target_archE1030ELNS1_3gpuE2ELNS1_3repE0EEENS1_30default_config_static_selectorELNS0_4arch9wavefront6targetE1EEEvSY_,comdat
.Lfunc_end1314:
	.size	_ZN7rocprim17ROCPRIM_400000_NS6detail17trampoline_kernelINS0_13select_configILj256ELj13ELNS0_17block_load_methodE3ELS4_3ELS4_3ELNS0_20block_scan_algorithmE0ELj4294967295EEENS1_25partition_config_selectorILNS1_17partition_subalgoE3EjNS0_10empty_typeEbEEZZNS1_14partition_implILS8_3ELb0ES6_jNS0_17counting_iteratorIjlEEPS9_SE_NS0_5tupleIJPjSE_EEENSF_IJSE_SE_EEES9_SG_JZNS1_25segmented_radix_sort_implINS0_14default_configELb1EPKfPfPKlPlN2at6native12_GLOBAL__N_18offset_tEEE10hipError_tPvRmT1_PNSt15iterator_traitsISY_E10value_typeET2_T3_PNSZ_IS14_E10value_typeET4_jRbjT5_S1A_jjP12ihipStream_tbEUljE_EEESV_SW_SX_S14_S18_S1A_T6_T7_T9_mT8_S1C_bDpT10_ENKUlT_T0_E_clISt17integral_constantIbLb1EES1O_IbLb0EEEEDaS1K_S1L_EUlS1K_E_NS1_11comp_targetILNS1_3genE8ELNS1_11target_archE1030ELNS1_3gpuE2ELNS1_3repE0EEENS1_30default_config_static_selectorELNS0_4arch9wavefront6targetE1EEEvSY_, .Lfunc_end1314-_ZN7rocprim17ROCPRIM_400000_NS6detail17trampoline_kernelINS0_13select_configILj256ELj13ELNS0_17block_load_methodE3ELS4_3ELS4_3ELNS0_20block_scan_algorithmE0ELj4294967295EEENS1_25partition_config_selectorILNS1_17partition_subalgoE3EjNS0_10empty_typeEbEEZZNS1_14partition_implILS8_3ELb0ES6_jNS0_17counting_iteratorIjlEEPS9_SE_NS0_5tupleIJPjSE_EEENSF_IJSE_SE_EEES9_SG_JZNS1_25segmented_radix_sort_implINS0_14default_configELb1EPKfPfPKlPlN2at6native12_GLOBAL__N_18offset_tEEE10hipError_tPvRmT1_PNSt15iterator_traitsISY_E10value_typeET2_T3_PNSZ_IS14_E10value_typeET4_jRbjT5_S1A_jjP12ihipStream_tbEUljE_EEESV_SW_SX_S14_S18_S1A_T6_T7_T9_mT8_S1C_bDpT10_ENKUlT_T0_E_clISt17integral_constantIbLb1EES1O_IbLb0EEEEDaS1K_S1L_EUlS1K_E_NS1_11comp_targetILNS1_3genE8ELNS1_11target_archE1030ELNS1_3gpuE2ELNS1_3repE0EEENS1_30default_config_static_selectorELNS0_4arch9wavefront6targetE1EEEvSY_
                                        ; -- End function
	.section	.AMDGPU.csdata,"",@progbits
; Kernel info:
; codeLenInByte = 0
; NumSgprs: 4
; NumVgprs: 0
; NumAgprs: 0
; TotalNumVgprs: 0
; ScratchSize: 0
; MemoryBound: 0
; FloatMode: 240
; IeeeMode: 1
; LDSByteSize: 0 bytes/workgroup (compile time only)
; SGPRBlocks: 0
; VGPRBlocks: 0
; NumSGPRsForWavesPerEU: 4
; NumVGPRsForWavesPerEU: 1
; AccumOffset: 4
; Occupancy: 8
; WaveLimiterHint : 0
; COMPUTE_PGM_RSRC2:SCRATCH_EN: 0
; COMPUTE_PGM_RSRC2:USER_SGPR: 6
; COMPUTE_PGM_RSRC2:TRAP_HANDLER: 0
; COMPUTE_PGM_RSRC2:TGID_X_EN: 1
; COMPUTE_PGM_RSRC2:TGID_Y_EN: 0
; COMPUTE_PGM_RSRC2:TGID_Z_EN: 0
; COMPUTE_PGM_RSRC2:TIDIG_COMP_CNT: 0
; COMPUTE_PGM_RSRC3_GFX90A:ACCUM_OFFSET: 0
; COMPUTE_PGM_RSRC3_GFX90A:TG_SPLIT: 0
	.section	.text._ZN7rocprim17ROCPRIM_400000_NS6detail17trampoline_kernelINS0_13select_configILj256ELj13ELNS0_17block_load_methodE3ELS4_3ELS4_3ELNS0_20block_scan_algorithmE0ELj4294967295EEENS1_25partition_config_selectorILNS1_17partition_subalgoE3EjNS0_10empty_typeEbEEZZNS1_14partition_implILS8_3ELb0ES6_jNS0_17counting_iteratorIjlEEPS9_SE_NS0_5tupleIJPjSE_EEENSF_IJSE_SE_EEES9_SG_JZNS1_25segmented_radix_sort_implINS0_14default_configELb1EPKfPfPKlPlN2at6native12_GLOBAL__N_18offset_tEEE10hipError_tPvRmT1_PNSt15iterator_traitsISY_E10value_typeET2_T3_PNSZ_IS14_E10value_typeET4_jRbjT5_S1A_jjP12ihipStream_tbEUljE_EEESV_SW_SX_S14_S18_S1A_T6_T7_T9_mT8_S1C_bDpT10_ENKUlT_T0_E_clISt17integral_constantIbLb0EES1O_IbLb1EEEEDaS1K_S1L_EUlS1K_E_NS1_11comp_targetILNS1_3genE0ELNS1_11target_archE4294967295ELNS1_3gpuE0ELNS1_3repE0EEENS1_30default_config_static_selectorELNS0_4arch9wavefront6targetE1EEEvSY_,"axG",@progbits,_ZN7rocprim17ROCPRIM_400000_NS6detail17trampoline_kernelINS0_13select_configILj256ELj13ELNS0_17block_load_methodE3ELS4_3ELS4_3ELNS0_20block_scan_algorithmE0ELj4294967295EEENS1_25partition_config_selectorILNS1_17partition_subalgoE3EjNS0_10empty_typeEbEEZZNS1_14partition_implILS8_3ELb0ES6_jNS0_17counting_iteratorIjlEEPS9_SE_NS0_5tupleIJPjSE_EEENSF_IJSE_SE_EEES9_SG_JZNS1_25segmented_radix_sort_implINS0_14default_configELb1EPKfPfPKlPlN2at6native12_GLOBAL__N_18offset_tEEE10hipError_tPvRmT1_PNSt15iterator_traitsISY_E10value_typeET2_T3_PNSZ_IS14_E10value_typeET4_jRbjT5_S1A_jjP12ihipStream_tbEUljE_EEESV_SW_SX_S14_S18_S1A_T6_T7_T9_mT8_S1C_bDpT10_ENKUlT_T0_E_clISt17integral_constantIbLb0EES1O_IbLb1EEEEDaS1K_S1L_EUlS1K_E_NS1_11comp_targetILNS1_3genE0ELNS1_11target_archE4294967295ELNS1_3gpuE0ELNS1_3repE0EEENS1_30default_config_static_selectorELNS0_4arch9wavefront6targetE1EEEvSY_,comdat
	.globl	_ZN7rocprim17ROCPRIM_400000_NS6detail17trampoline_kernelINS0_13select_configILj256ELj13ELNS0_17block_load_methodE3ELS4_3ELS4_3ELNS0_20block_scan_algorithmE0ELj4294967295EEENS1_25partition_config_selectorILNS1_17partition_subalgoE3EjNS0_10empty_typeEbEEZZNS1_14partition_implILS8_3ELb0ES6_jNS0_17counting_iteratorIjlEEPS9_SE_NS0_5tupleIJPjSE_EEENSF_IJSE_SE_EEES9_SG_JZNS1_25segmented_radix_sort_implINS0_14default_configELb1EPKfPfPKlPlN2at6native12_GLOBAL__N_18offset_tEEE10hipError_tPvRmT1_PNSt15iterator_traitsISY_E10value_typeET2_T3_PNSZ_IS14_E10value_typeET4_jRbjT5_S1A_jjP12ihipStream_tbEUljE_EEESV_SW_SX_S14_S18_S1A_T6_T7_T9_mT8_S1C_bDpT10_ENKUlT_T0_E_clISt17integral_constantIbLb0EES1O_IbLb1EEEEDaS1K_S1L_EUlS1K_E_NS1_11comp_targetILNS1_3genE0ELNS1_11target_archE4294967295ELNS1_3gpuE0ELNS1_3repE0EEENS1_30default_config_static_selectorELNS0_4arch9wavefront6targetE1EEEvSY_ ; -- Begin function _ZN7rocprim17ROCPRIM_400000_NS6detail17trampoline_kernelINS0_13select_configILj256ELj13ELNS0_17block_load_methodE3ELS4_3ELS4_3ELNS0_20block_scan_algorithmE0ELj4294967295EEENS1_25partition_config_selectorILNS1_17partition_subalgoE3EjNS0_10empty_typeEbEEZZNS1_14partition_implILS8_3ELb0ES6_jNS0_17counting_iteratorIjlEEPS9_SE_NS0_5tupleIJPjSE_EEENSF_IJSE_SE_EEES9_SG_JZNS1_25segmented_radix_sort_implINS0_14default_configELb1EPKfPfPKlPlN2at6native12_GLOBAL__N_18offset_tEEE10hipError_tPvRmT1_PNSt15iterator_traitsISY_E10value_typeET2_T3_PNSZ_IS14_E10value_typeET4_jRbjT5_S1A_jjP12ihipStream_tbEUljE_EEESV_SW_SX_S14_S18_S1A_T6_T7_T9_mT8_S1C_bDpT10_ENKUlT_T0_E_clISt17integral_constantIbLb0EES1O_IbLb1EEEEDaS1K_S1L_EUlS1K_E_NS1_11comp_targetILNS1_3genE0ELNS1_11target_archE4294967295ELNS1_3gpuE0ELNS1_3repE0EEENS1_30default_config_static_selectorELNS0_4arch9wavefront6targetE1EEEvSY_
	.p2align	8
	.type	_ZN7rocprim17ROCPRIM_400000_NS6detail17trampoline_kernelINS0_13select_configILj256ELj13ELNS0_17block_load_methodE3ELS4_3ELS4_3ELNS0_20block_scan_algorithmE0ELj4294967295EEENS1_25partition_config_selectorILNS1_17partition_subalgoE3EjNS0_10empty_typeEbEEZZNS1_14partition_implILS8_3ELb0ES6_jNS0_17counting_iteratorIjlEEPS9_SE_NS0_5tupleIJPjSE_EEENSF_IJSE_SE_EEES9_SG_JZNS1_25segmented_radix_sort_implINS0_14default_configELb1EPKfPfPKlPlN2at6native12_GLOBAL__N_18offset_tEEE10hipError_tPvRmT1_PNSt15iterator_traitsISY_E10value_typeET2_T3_PNSZ_IS14_E10value_typeET4_jRbjT5_S1A_jjP12ihipStream_tbEUljE_EEESV_SW_SX_S14_S18_S1A_T6_T7_T9_mT8_S1C_bDpT10_ENKUlT_T0_E_clISt17integral_constantIbLb0EES1O_IbLb1EEEEDaS1K_S1L_EUlS1K_E_NS1_11comp_targetILNS1_3genE0ELNS1_11target_archE4294967295ELNS1_3gpuE0ELNS1_3repE0EEENS1_30default_config_static_selectorELNS0_4arch9wavefront6targetE1EEEvSY_,@function
_ZN7rocprim17ROCPRIM_400000_NS6detail17trampoline_kernelINS0_13select_configILj256ELj13ELNS0_17block_load_methodE3ELS4_3ELS4_3ELNS0_20block_scan_algorithmE0ELj4294967295EEENS1_25partition_config_selectorILNS1_17partition_subalgoE3EjNS0_10empty_typeEbEEZZNS1_14partition_implILS8_3ELb0ES6_jNS0_17counting_iteratorIjlEEPS9_SE_NS0_5tupleIJPjSE_EEENSF_IJSE_SE_EEES9_SG_JZNS1_25segmented_radix_sort_implINS0_14default_configELb1EPKfPfPKlPlN2at6native12_GLOBAL__N_18offset_tEEE10hipError_tPvRmT1_PNSt15iterator_traitsISY_E10value_typeET2_T3_PNSZ_IS14_E10value_typeET4_jRbjT5_S1A_jjP12ihipStream_tbEUljE_EEESV_SW_SX_S14_S18_S1A_T6_T7_T9_mT8_S1C_bDpT10_ENKUlT_T0_E_clISt17integral_constantIbLb0EES1O_IbLb1EEEEDaS1K_S1L_EUlS1K_E_NS1_11comp_targetILNS1_3genE0ELNS1_11target_archE4294967295ELNS1_3gpuE0ELNS1_3repE0EEENS1_30default_config_static_selectorELNS0_4arch9wavefront6targetE1EEEvSY_: ; @_ZN7rocprim17ROCPRIM_400000_NS6detail17trampoline_kernelINS0_13select_configILj256ELj13ELNS0_17block_load_methodE3ELS4_3ELS4_3ELNS0_20block_scan_algorithmE0ELj4294967295EEENS1_25partition_config_selectorILNS1_17partition_subalgoE3EjNS0_10empty_typeEbEEZZNS1_14partition_implILS8_3ELb0ES6_jNS0_17counting_iteratorIjlEEPS9_SE_NS0_5tupleIJPjSE_EEENSF_IJSE_SE_EEES9_SG_JZNS1_25segmented_radix_sort_implINS0_14default_configELb1EPKfPfPKlPlN2at6native12_GLOBAL__N_18offset_tEEE10hipError_tPvRmT1_PNSt15iterator_traitsISY_E10value_typeET2_T3_PNSZ_IS14_E10value_typeET4_jRbjT5_S1A_jjP12ihipStream_tbEUljE_EEESV_SW_SX_S14_S18_S1A_T6_T7_T9_mT8_S1C_bDpT10_ENKUlT_T0_E_clISt17integral_constantIbLb0EES1O_IbLb1EEEEDaS1K_S1L_EUlS1K_E_NS1_11comp_targetILNS1_3genE0ELNS1_11target_archE4294967295ELNS1_3gpuE0ELNS1_3repE0EEENS1_30default_config_static_selectorELNS0_4arch9wavefront6targetE1EEEvSY_
; %bb.0:
	.section	.rodata,"a",@progbits
	.p2align	6, 0x0
	.amdhsa_kernel _ZN7rocprim17ROCPRIM_400000_NS6detail17trampoline_kernelINS0_13select_configILj256ELj13ELNS0_17block_load_methodE3ELS4_3ELS4_3ELNS0_20block_scan_algorithmE0ELj4294967295EEENS1_25partition_config_selectorILNS1_17partition_subalgoE3EjNS0_10empty_typeEbEEZZNS1_14partition_implILS8_3ELb0ES6_jNS0_17counting_iteratorIjlEEPS9_SE_NS0_5tupleIJPjSE_EEENSF_IJSE_SE_EEES9_SG_JZNS1_25segmented_radix_sort_implINS0_14default_configELb1EPKfPfPKlPlN2at6native12_GLOBAL__N_18offset_tEEE10hipError_tPvRmT1_PNSt15iterator_traitsISY_E10value_typeET2_T3_PNSZ_IS14_E10value_typeET4_jRbjT5_S1A_jjP12ihipStream_tbEUljE_EEESV_SW_SX_S14_S18_S1A_T6_T7_T9_mT8_S1C_bDpT10_ENKUlT_T0_E_clISt17integral_constantIbLb0EES1O_IbLb1EEEEDaS1K_S1L_EUlS1K_E_NS1_11comp_targetILNS1_3genE0ELNS1_11target_archE4294967295ELNS1_3gpuE0ELNS1_3repE0EEENS1_30default_config_static_selectorELNS0_4arch9wavefront6targetE1EEEvSY_
		.amdhsa_group_segment_fixed_size 0
		.amdhsa_private_segment_fixed_size 0
		.amdhsa_kernarg_size 152
		.amdhsa_user_sgpr_count 6
		.amdhsa_user_sgpr_private_segment_buffer 1
		.amdhsa_user_sgpr_dispatch_ptr 0
		.amdhsa_user_sgpr_queue_ptr 0
		.amdhsa_user_sgpr_kernarg_segment_ptr 1
		.amdhsa_user_sgpr_dispatch_id 0
		.amdhsa_user_sgpr_flat_scratch_init 0
		.amdhsa_user_sgpr_kernarg_preload_length 0
		.amdhsa_user_sgpr_kernarg_preload_offset 0
		.amdhsa_user_sgpr_private_segment_size 0
		.amdhsa_uses_dynamic_stack 0
		.amdhsa_system_sgpr_private_segment_wavefront_offset 0
		.amdhsa_system_sgpr_workgroup_id_x 1
		.amdhsa_system_sgpr_workgroup_id_y 0
		.amdhsa_system_sgpr_workgroup_id_z 0
		.amdhsa_system_sgpr_workgroup_info 0
		.amdhsa_system_vgpr_workitem_id 0
		.amdhsa_next_free_vgpr 1
		.amdhsa_next_free_sgpr 0
		.amdhsa_accum_offset 4
		.amdhsa_reserve_vcc 0
		.amdhsa_reserve_flat_scratch 0
		.amdhsa_float_round_mode_32 0
		.amdhsa_float_round_mode_16_64 0
		.amdhsa_float_denorm_mode_32 3
		.amdhsa_float_denorm_mode_16_64 3
		.amdhsa_dx10_clamp 1
		.amdhsa_ieee_mode 1
		.amdhsa_fp16_overflow 0
		.amdhsa_tg_split 0
		.amdhsa_exception_fp_ieee_invalid_op 0
		.amdhsa_exception_fp_denorm_src 0
		.amdhsa_exception_fp_ieee_div_zero 0
		.amdhsa_exception_fp_ieee_overflow 0
		.amdhsa_exception_fp_ieee_underflow 0
		.amdhsa_exception_fp_ieee_inexact 0
		.amdhsa_exception_int_div_zero 0
	.end_amdhsa_kernel
	.section	.text._ZN7rocprim17ROCPRIM_400000_NS6detail17trampoline_kernelINS0_13select_configILj256ELj13ELNS0_17block_load_methodE3ELS4_3ELS4_3ELNS0_20block_scan_algorithmE0ELj4294967295EEENS1_25partition_config_selectorILNS1_17partition_subalgoE3EjNS0_10empty_typeEbEEZZNS1_14partition_implILS8_3ELb0ES6_jNS0_17counting_iteratorIjlEEPS9_SE_NS0_5tupleIJPjSE_EEENSF_IJSE_SE_EEES9_SG_JZNS1_25segmented_radix_sort_implINS0_14default_configELb1EPKfPfPKlPlN2at6native12_GLOBAL__N_18offset_tEEE10hipError_tPvRmT1_PNSt15iterator_traitsISY_E10value_typeET2_T3_PNSZ_IS14_E10value_typeET4_jRbjT5_S1A_jjP12ihipStream_tbEUljE_EEESV_SW_SX_S14_S18_S1A_T6_T7_T9_mT8_S1C_bDpT10_ENKUlT_T0_E_clISt17integral_constantIbLb0EES1O_IbLb1EEEEDaS1K_S1L_EUlS1K_E_NS1_11comp_targetILNS1_3genE0ELNS1_11target_archE4294967295ELNS1_3gpuE0ELNS1_3repE0EEENS1_30default_config_static_selectorELNS0_4arch9wavefront6targetE1EEEvSY_,"axG",@progbits,_ZN7rocprim17ROCPRIM_400000_NS6detail17trampoline_kernelINS0_13select_configILj256ELj13ELNS0_17block_load_methodE3ELS4_3ELS4_3ELNS0_20block_scan_algorithmE0ELj4294967295EEENS1_25partition_config_selectorILNS1_17partition_subalgoE3EjNS0_10empty_typeEbEEZZNS1_14partition_implILS8_3ELb0ES6_jNS0_17counting_iteratorIjlEEPS9_SE_NS0_5tupleIJPjSE_EEENSF_IJSE_SE_EEES9_SG_JZNS1_25segmented_radix_sort_implINS0_14default_configELb1EPKfPfPKlPlN2at6native12_GLOBAL__N_18offset_tEEE10hipError_tPvRmT1_PNSt15iterator_traitsISY_E10value_typeET2_T3_PNSZ_IS14_E10value_typeET4_jRbjT5_S1A_jjP12ihipStream_tbEUljE_EEESV_SW_SX_S14_S18_S1A_T6_T7_T9_mT8_S1C_bDpT10_ENKUlT_T0_E_clISt17integral_constantIbLb0EES1O_IbLb1EEEEDaS1K_S1L_EUlS1K_E_NS1_11comp_targetILNS1_3genE0ELNS1_11target_archE4294967295ELNS1_3gpuE0ELNS1_3repE0EEENS1_30default_config_static_selectorELNS0_4arch9wavefront6targetE1EEEvSY_,comdat
.Lfunc_end1315:
	.size	_ZN7rocprim17ROCPRIM_400000_NS6detail17trampoline_kernelINS0_13select_configILj256ELj13ELNS0_17block_load_methodE3ELS4_3ELS4_3ELNS0_20block_scan_algorithmE0ELj4294967295EEENS1_25partition_config_selectorILNS1_17partition_subalgoE3EjNS0_10empty_typeEbEEZZNS1_14partition_implILS8_3ELb0ES6_jNS0_17counting_iteratorIjlEEPS9_SE_NS0_5tupleIJPjSE_EEENSF_IJSE_SE_EEES9_SG_JZNS1_25segmented_radix_sort_implINS0_14default_configELb1EPKfPfPKlPlN2at6native12_GLOBAL__N_18offset_tEEE10hipError_tPvRmT1_PNSt15iterator_traitsISY_E10value_typeET2_T3_PNSZ_IS14_E10value_typeET4_jRbjT5_S1A_jjP12ihipStream_tbEUljE_EEESV_SW_SX_S14_S18_S1A_T6_T7_T9_mT8_S1C_bDpT10_ENKUlT_T0_E_clISt17integral_constantIbLb0EES1O_IbLb1EEEEDaS1K_S1L_EUlS1K_E_NS1_11comp_targetILNS1_3genE0ELNS1_11target_archE4294967295ELNS1_3gpuE0ELNS1_3repE0EEENS1_30default_config_static_selectorELNS0_4arch9wavefront6targetE1EEEvSY_, .Lfunc_end1315-_ZN7rocprim17ROCPRIM_400000_NS6detail17trampoline_kernelINS0_13select_configILj256ELj13ELNS0_17block_load_methodE3ELS4_3ELS4_3ELNS0_20block_scan_algorithmE0ELj4294967295EEENS1_25partition_config_selectorILNS1_17partition_subalgoE3EjNS0_10empty_typeEbEEZZNS1_14partition_implILS8_3ELb0ES6_jNS0_17counting_iteratorIjlEEPS9_SE_NS0_5tupleIJPjSE_EEENSF_IJSE_SE_EEES9_SG_JZNS1_25segmented_radix_sort_implINS0_14default_configELb1EPKfPfPKlPlN2at6native12_GLOBAL__N_18offset_tEEE10hipError_tPvRmT1_PNSt15iterator_traitsISY_E10value_typeET2_T3_PNSZ_IS14_E10value_typeET4_jRbjT5_S1A_jjP12ihipStream_tbEUljE_EEESV_SW_SX_S14_S18_S1A_T6_T7_T9_mT8_S1C_bDpT10_ENKUlT_T0_E_clISt17integral_constantIbLb0EES1O_IbLb1EEEEDaS1K_S1L_EUlS1K_E_NS1_11comp_targetILNS1_3genE0ELNS1_11target_archE4294967295ELNS1_3gpuE0ELNS1_3repE0EEENS1_30default_config_static_selectorELNS0_4arch9wavefront6targetE1EEEvSY_
                                        ; -- End function
	.section	.AMDGPU.csdata,"",@progbits
; Kernel info:
; codeLenInByte = 0
; NumSgprs: 4
; NumVgprs: 0
; NumAgprs: 0
; TotalNumVgprs: 0
; ScratchSize: 0
; MemoryBound: 0
; FloatMode: 240
; IeeeMode: 1
; LDSByteSize: 0 bytes/workgroup (compile time only)
; SGPRBlocks: 0
; VGPRBlocks: 0
; NumSGPRsForWavesPerEU: 4
; NumVGPRsForWavesPerEU: 1
; AccumOffset: 4
; Occupancy: 8
; WaveLimiterHint : 0
; COMPUTE_PGM_RSRC2:SCRATCH_EN: 0
; COMPUTE_PGM_RSRC2:USER_SGPR: 6
; COMPUTE_PGM_RSRC2:TRAP_HANDLER: 0
; COMPUTE_PGM_RSRC2:TGID_X_EN: 1
; COMPUTE_PGM_RSRC2:TGID_Y_EN: 0
; COMPUTE_PGM_RSRC2:TGID_Z_EN: 0
; COMPUTE_PGM_RSRC2:TIDIG_COMP_CNT: 0
; COMPUTE_PGM_RSRC3_GFX90A:ACCUM_OFFSET: 0
; COMPUTE_PGM_RSRC3_GFX90A:TG_SPLIT: 0
	.section	.text._ZN7rocprim17ROCPRIM_400000_NS6detail17trampoline_kernelINS0_13select_configILj256ELj13ELNS0_17block_load_methodE3ELS4_3ELS4_3ELNS0_20block_scan_algorithmE0ELj4294967295EEENS1_25partition_config_selectorILNS1_17partition_subalgoE3EjNS0_10empty_typeEbEEZZNS1_14partition_implILS8_3ELb0ES6_jNS0_17counting_iteratorIjlEEPS9_SE_NS0_5tupleIJPjSE_EEENSF_IJSE_SE_EEES9_SG_JZNS1_25segmented_radix_sort_implINS0_14default_configELb1EPKfPfPKlPlN2at6native12_GLOBAL__N_18offset_tEEE10hipError_tPvRmT1_PNSt15iterator_traitsISY_E10value_typeET2_T3_PNSZ_IS14_E10value_typeET4_jRbjT5_S1A_jjP12ihipStream_tbEUljE_EEESV_SW_SX_S14_S18_S1A_T6_T7_T9_mT8_S1C_bDpT10_ENKUlT_T0_E_clISt17integral_constantIbLb0EES1O_IbLb1EEEEDaS1K_S1L_EUlS1K_E_NS1_11comp_targetILNS1_3genE5ELNS1_11target_archE942ELNS1_3gpuE9ELNS1_3repE0EEENS1_30default_config_static_selectorELNS0_4arch9wavefront6targetE1EEEvSY_,"axG",@progbits,_ZN7rocprim17ROCPRIM_400000_NS6detail17trampoline_kernelINS0_13select_configILj256ELj13ELNS0_17block_load_methodE3ELS4_3ELS4_3ELNS0_20block_scan_algorithmE0ELj4294967295EEENS1_25partition_config_selectorILNS1_17partition_subalgoE3EjNS0_10empty_typeEbEEZZNS1_14partition_implILS8_3ELb0ES6_jNS0_17counting_iteratorIjlEEPS9_SE_NS0_5tupleIJPjSE_EEENSF_IJSE_SE_EEES9_SG_JZNS1_25segmented_radix_sort_implINS0_14default_configELb1EPKfPfPKlPlN2at6native12_GLOBAL__N_18offset_tEEE10hipError_tPvRmT1_PNSt15iterator_traitsISY_E10value_typeET2_T3_PNSZ_IS14_E10value_typeET4_jRbjT5_S1A_jjP12ihipStream_tbEUljE_EEESV_SW_SX_S14_S18_S1A_T6_T7_T9_mT8_S1C_bDpT10_ENKUlT_T0_E_clISt17integral_constantIbLb0EES1O_IbLb1EEEEDaS1K_S1L_EUlS1K_E_NS1_11comp_targetILNS1_3genE5ELNS1_11target_archE942ELNS1_3gpuE9ELNS1_3repE0EEENS1_30default_config_static_selectorELNS0_4arch9wavefront6targetE1EEEvSY_,comdat
	.globl	_ZN7rocprim17ROCPRIM_400000_NS6detail17trampoline_kernelINS0_13select_configILj256ELj13ELNS0_17block_load_methodE3ELS4_3ELS4_3ELNS0_20block_scan_algorithmE0ELj4294967295EEENS1_25partition_config_selectorILNS1_17partition_subalgoE3EjNS0_10empty_typeEbEEZZNS1_14partition_implILS8_3ELb0ES6_jNS0_17counting_iteratorIjlEEPS9_SE_NS0_5tupleIJPjSE_EEENSF_IJSE_SE_EEES9_SG_JZNS1_25segmented_radix_sort_implINS0_14default_configELb1EPKfPfPKlPlN2at6native12_GLOBAL__N_18offset_tEEE10hipError_tPvRmT1_PNSt15iterator_traitsISY_E10value_typeET2_T3_PNSZ_IS14_E10value_typeET4_jRbjT5_S1A_jjP12ihipStream_tbEUljE_EEESV_SW_SX_S14_S18_S1A_T6_T7_T9_mT8_S1C_bDpT10_ENKUlT_T0_E_clISt17integral_constantIbLb0EES1O_IbLb1EEEEDaS1K_S1L_EUlS1K_E_NS1_11comp_targetILNS1_3genE5ELNS1_11target_archE942ELNS1_3gpuE9ELNS1_3repE0EEENS1_30default_config_static_selectorELNS0_4arch9wavefront6targetE1EEEvSY_ ; -- Begin function _ZN7rocprim17ROCPRIM_400000_NS6detail17trampoline_kernelINS0_13select_configILj256ELj13ELNS0_17block_load_methodE3ELS4_3ELS4_3ELNS0_20block_scan_algorithmE0ELj4294967295EEENS1_25partition_config_selectorILNS1_17partition_subalgoE3EjNS0_10empty_typeEbEEZZNS1_14partition_implILS8_3ELb0ES6_jNS0_17counting_iteratorIjlEEPS9_SE_NS0_5tupleIJPjSE_EEENSF_IJSE_SE_EEES9_SG_JZNS1_25segmented_radix_sort_implINS0_14default_configELb1EPKfPfPKlPlN2at6native12_GLOBAL__N_18offset_tEEE10hipError_tPvRmT1_PNSt15iterator_traitsISY_E10value_typeET2_T3_PNSZ_IS14_E10value_typeET4_jRbjT5_S1A_jjP12ihipStream_tbEUljE_EEESV_SW_SX_S14_S18_S1A_T6_T7_T9_mT8_S1C_bDpT10_ENKUlT_T0_E_clISt17integral_constantIbLb0EES1O_IbLb1EEEEDaS1K_S1L_EUlS1K_E_NS1_11comp_targetILNS1_3genE5ELNS1_11target_archE942ELNS1_3gpuE9ELNS1_3repE0EEENS1_30default_config_static_selectorELNS0_4arch9wavefront6targetE1EEEvSY_
	.p2align	8
	.type	_ZN7rocprim17ROCPRIM_400000_NS6detail17trampoline_kernelINS0_13select_configILj256ELj13ELNS0_17block_load_methodE3ELS4_3ELS4_3ELNS0_20block_scan_algorithmE0ELj4294967295EEENS1_25partition_config_selectorILNS1_17partition_subalgoE3EjNS0_10empty_typeEbEEZZNS1_14partition_implILS8_3ELb0ES6_jNS0_17counting_iteratorIjlEEPS9_SE_NS0_5tupleIJPjSE_EEENSF_IJSE_SE_EEES9_SG_JZNS1_25segmented_radix_sort_implINS0_14default_configELb1EPKfPfPKlPlN2at6native12_GLOBAL__N_18offset_tEEE10hipError_tPvRmT1_PNSt15iterator_traitsISY_E10value_typeET2_T3_PNSZ_IS14_E10value_typeET4_jRbjT5_S1A_jjP12ihipStream_tbEUljE_EEESV_SW_SX_S14_S18_S1A_T6_T7_T9_mT8_S1C_bDpT10_ENKUlT_T0_E_clISt17integral_constantIbLb0EES1O_IbLb1EEEEDaS1K_S1L_EUlS1K_E_NS1_11comp_targetILNS1_3genE5ELNS1_11target_archE942ELNS1_3gpuE9ELNS1_3repE0EEENS1_30default_config_static_selectorELNS0_4arch9wavefront6targetE1EEEvSY_,@function
_ZN7rocprim17ROCPRIM_400000_NS6detail17trampoline_kernelINS0_13select_configILj256ELj13ELNS0_17block_load_methodE3ELS4_3ELS4_3ELNS0_20block_scan_algorithmE0ELj4294967295EEENS1_25partition_config_selectorILNS1_17partition_subalgoE3EjNS0_10empty_typeEbEEZZNS1_14partition_implILS8_3ELb0ES6_jNS0_17counting_iteratorIjlEEPS9_SE_NS0_5tupleIJPjSE_EEENSF_IJSE_SE_EEES9_SG_JZNS1_25segmented_radix_sort_implINS0_14default_configELb1EPKfPfPKlPlN2at6native12_GLOBAL__N_18offset_tEEE10hipError_tPvRmT1_PNSt15iterator_traitsISY_E10value_typeET2_T3_PNSZ_IS14_E10value_typeET4_jRbjT5_S1A_jjP12ihipStream_tbEUljE_EEESV_SW_SX_S14_S18_S1A_T6_T7_T9_mT8_S1C_bDpT10_ENKUlT_T0_E_clISt17integral_constantIbLb0EES1O_IbLb1EEEEDaS1K_S1L_EUlS1K_E_NS1_11comp_targetILNS1_3genE5ELNS1_11target_archE942ELNS1_3gpuE9ELNS1_3repE0EEENS1_30default_config_static_selectorELNS0_4arch9wavefront6targetE1EEEvSY_: ; @_ZN7rocprim17ROCPRIM_400000_NS6detail17trampoline_kernelINS0_13select_configILj256ELj13ELNS0_17block_load_methodE3ELS4_3ELS4_3ELNS0_20block_scan_algorithmE0ELj4294967295EEENS1_25partition_config_selectorILNS1_17partition_subalgoE3EjNS0_10empty_typeEbEEZZNS1_14partition_implILS8_3ELb0ES6_jNS0_17counting_iteratorIjlEEPS9_SE_NS0_5tupleIJPjSE_EEENSF_IJSE_SE_EEES9_SG_JZNS1_25segmented_radix_sort_implINS0_14default_configELb1EPKfPfPKlPlN2at6native12_GLOBAL__N_18offset_tEEE10hipError_tPvRmT1_PNSt15iterator_traitsISY_E10value_typeET2_T3_PNSZ_IS14_E10value_typeET4_jRbjT5_S1A_jjP12ihipStream_tbEUljE_EEESV_SW_SX_S14_S18_S1A_T6_T7_T9_mT8_S1C_bDpT10_ENKUlT_T0_E_clISt17integral_constantIbLb0EES1O_IbLb1EEEEDaS1K_S1L_EUlS1K_E_NS1_11comp_targetILNS1_3genE5ELNS1_11target_archE942ELNS1_3gpuE9ELNS1_3repE0EEENS1_30default_config_static_selectorELNS0_4arch9wavefront6targetE1EEEvSY_
; %bb.0:
	.section	.rodata,"a",@progbits
	.p2align	6, 0x0
	.amdhsa_kernel _ZN7rocprim17ROCPRIM_400000_NS6detail17trampoline_kernelINS0_13select_configILj256ELj13ELNS0_17block_load_methodE3ELS4_3ELS4_3ELNS0_20block_scan_algorithmE0ELj4294967295EEENS1_25partition_config_selectorILNS1_17partition_subalgoE3EjNS0_10empty_typeEbEEZZNS1_14partition_implILS8_3ELb0ES6_jNS0_17counting_iteratorIjlEEPS9_SE_NS0_5tupleIJPjSE_EEENSF_IJSE_SE_EEES9_SG_JZNS1_25segmented_radix_sort_implINS0_14default_configELb1EPKfPfPKlPlN2at6native12_GLOBAL__N_18offset_tEEE10hipError_tPvRmT1_PNSt15iterator_traitsISY_E10value_typeET2_T3_PNSZ_IS14_E10value_typeET4_jRbjT5_S1A_jjP12ihipStream_tbEUljE_EEESV_SW_SX_S14_S18_S1A_T6_T7_T9_mT8_S1C_bDpT10_ENKUlT_T0_E_clISt17integral_constantIbLb0EES1O_IbLb1EEEEDaS1K_S1L_EUlS1K_E_NS1_11comp_targetILNS1_3genE5ELNS1_11target_archE942ELNS1_3gpuE9ELNS1_3repE0EEENS1_30default_config_static_selectorELNS0_4arch9wavefront6targetE1EEEvSY_
		.amdhsa_group_segment_fixed_size 0
		.amdhsa_private_segment_fixed_size 0
		.amdhsa_kernarg_size 152
		.amdhsa_user_sgpr_count 6
		.amdhsa_user_sgpr_private_segment_buffer 1
		.amdhsa_user_sgpr_dispatch_ptr 0
		.amdhsa_user_sgpr_queue_ptr 0
		.amdhsa_user_sgpr_kernarg_segment_ptr 1
		.amdhsa_user_sgpr_dispatch_id 0
		.amdhsa_user_sgpr_flat_scratch_init 0
		.amdhsa_user_sgpr_kernarg_preload_length 0
		.amdhsa_user_sgpr_kernarg_preload_offset 0
		.amdhsa_user_sgpr_private_segment_size 0
		.amdhsa_uses_dynamic_stack 0
		.amdhsa_system_sgpr_private_segment_wavefront_offset 0
		.amdhsa_system_sgpr_workgroup_id_x 1
		.amdhsa_system_sgpr_workgroup_id_y 0
		.amdhsa_system_sgpr_workgroup_id_z 0
		.amdhsa_system_sgpr_workgroup_info 0
		.amdhsa_system_vgpr_workitem_id 0
		.amdhsa_next_free_vgpr 1
		.amdhsa_next_free_sgpr 0
		.amdhsa_accum_offset 4
		.amdhsa_reserve_vcc 0
		.amdhsa_reserve_flat_scratch 0
		.amdhsa_float_round_mode_32 0
		.amdhsa_float_round_mode_16_64 0
		.amdhsa_float_denorm_mode_32 3
		.amdhsa_float_denorm_mode_16_64 3
		.amdhsa_dx10_clamp 1
		.amdhsa_ieee_mode 1
		.amdhsa_fp16_overflow 0
		.amdhsa_tg_split 0
		.amdhsa_exception_fp_ieee_invalid_op 0
		.amdhsa_exception_fp_denorm_src 0
		.amdhsa_exception_fp_ieee_div_zero 0
		.amdhsa_exception_fp_ieee_overflow 0
		.amdhsa_exception_fp_ieee_underflow 0
		.amdhsa_exception_fp_ieee_inexact 0
		.amdhsa_exception_int_div_zero 0
	.end_amdhsa_kernel
	.section	.text._ZN7rocprim17ROCPRIM_400000_NS6detail17trampoline_kernelINS0_13select_configILj256ELj13ELNS0_17block_load_methodE3ELS4_3ELS4_3ELNS0_20block_scan_algorithmE0ELj4294967295EEENS1_25partition_config_selectorILNS1_17partition_subalgoE3EjNS0_10empty_typeEbEEZZNS1_14partition_implILS8_3ELb0ES6_jNS0_17counting_iteratorIjlEEPS9_SE_NS0_5tupleIJPjSE_EEENSF_IJSE_SE_EEES9_SG_JZNS1_25segmented_radix_sort_implINS0_14default_configELb1EPKfPfPKlPlN2at6native12_GLOBAL__N_18offset_tEEE10hipError_tPvRmT1_PNSt15iterator_traitsISY_E10value_typeET2_T3_PNSZ_IS14_E10value_typeET4_jRbjT5_S1A_jjP12ihipStream_tbEUljE_EEESV_SW_SX_S14_S18_S1A_T6_T7_T9_mT8_S1C_bDpT10_ENKUlT_T0_E_clISt17integral_constantIbLb0EES1O_IbLb1EEEEDaS1K_S1L_EUlS1K_E_NS1_11comp_targetILNS1_3genE5ELNS1_11target_archE942ELNS1_3gpuE9ELNS1_3repE0EEENS1_30default_config_static_selectorELNS0_4arch9wavefront6targetE1EEEvSY_,"axG",@progbits,_ZN7rocprim17ROCPRIM_400000_NS6detail17trampoline_kernelINS0_13select_configILj256ELj13ELNS0_17block_load_methodE3ELS4_3ELS4_3ELNS0_20block_scan_algorithmE0ELj4294967295EEENS1_25partition_config_selectorILNS1_17partition_subalgoE3EjNS0_10empty_typeEbEEZZNS1_14partition_implILS8_3ELb0ES6_jNS0_17counting_iteratorIjlEEPS9_SE_NS0_5tupleIJPjSE_EEENSF_IJSE_SE_EEES9_SG_JZNS1_25segmented_radix_sort_implINS0_14default_configELb1EPKfPfPKlPlN2at6native12_GLOBAL__N_18offset_tEEE10hipError_tPvRmT1_PNSt15iterator_traitsISY_E10value_typeET2_T3_PNSZ_IS14_E10value_typeET4_jRbjT5_S1A_jjP12ihipStream_tbEUljE_EEESV_SW_SX_S14_S18_S1A_T6_T7_T9_mT8_S1C_bDpT10_ENKUlT_T0_E_clISt17integral_constantIbLb0EES1O_IbLb1EEEEDaS1K_S1L_EUlS1K_E_NS1_11comp_targetILNS1_3genE5ELNS1_11target_archE942ELNS1_3gpuE9ELNS1_3repE0EEENS1_30default_config_static_selectorELNS0_4arch9wavefront6targetE1EEEvSY_,comdat
.Lfunc_end1316:
	.size	_ZN7rocprim17ROCPRIM_400000_NS6detail17trampoline_kernelINS0_13select_configILj256ELj13ELNS0_17block_load_methodE3ELS4_3ELS4_3ELNS0_20block_scan_algorithmE0ELj4294967295EEENS1_25partition_config_selectorILNS1_17partition_subalgoE3EjNS0_10empty_typeEbEEZZNS1_14partition_implILS8_3ELb0ES6_jNS0_17counting_iteratorIjlEEPS9_SE_NS0_5tupleIJPjSE_EEENSF_IJSE_SE_EEES9_SG_JZNS1_25segmented_radix_sort_implINS0_14default_configELb1EPKfPfPKlPlN2at6native12_GLOBAL__N_18offset_tEEE10hipError_tPvRmT1_PNSt15iterator_traitsISY_E10value_typeET2_T3_PNSZ_IS14_E10value_typeET4_jRbjT5_S1A_jjP12ihipStream_tbEUljE_EEESV_SW_SX_S14_S18_S1A_T6_T7_T9_mT8_S1C_bDpT10_ENKUlT_T0_E_clISt17integral_constantIbLb0EES1O_IbLb1EEEEDaS1K_S1L_EUlS1K_E_NS1_11comp_targetILNS1_3genE5ELNS1_11target_archE942ELNS1_3gpuE9ELNS1_3repE0EEENS1_30default_config_static_selectorELNS0_4arch9wavefront6targetE1EEEvSY_, .Lfunc_end1316-_ZN7rocprim17ROCPRIM_400000_NS6detail17trampoline_kernelINS0_13select_configILj256ELj13ELNS0_17block_load_methodE3ELS4_3ELS4_3ELNS0_20block_scan_algorithmE0ELj4294967295EEENS1_25partition_config_selectorILNS1_17partition_subalgoE3EjNS0_10empty_typeEbEEZZNS1_14partition_implILS8_3ELb0ES6_jNS0_17counting_iteratorIjlEEPS9_SE_NS0_5tupleIJPjSE_EEENSF_IJSE_SE_EEES9_SG_JZNS1_25segmented_radix_sort_implINS0_14default_configELb1EPKfPfPKlPlN2at6native12_GLOBAL__N_18offset_tEEE10hipError_tPvRmT1_PNSt15iterator_traitsISY_E10value_typeET2_T3_PNSZ_IS14_E10value_typeET4_jRbjT5_S1A_jjP12ihipStream_tbEUljE_EEESV_SW_SX_S14_S18_S1A_T6_T7_T9_mT8_S1C_bDpT10_ENKUlT_T0_E_clISt17integral_constantIbLb0EES1O_IbLb1EEEEDaS1K_S1L_EUlS1K_E_NS1_11comp_targetILNS1_3genE5ELNS1_11target_archE942ELNS1_3gpuE9ELNS1_3repE0EEENS1_30default_config_static_selectorELNS0_4arch9wavefront6targetE1EEEvSY_
                                        ; -- End function
	.section	.AMDGPU.csdata,"",@progbits
; Kernel info:
; codeLenInByte = 0
; NumSgprs: 4
; NumVgprs: 0
; NumAgprs: 0
; TotalNumVgprs: 0
; ScratchSize: 0
; MemoryBound: 0
; FloatMode: 240
; IeeeMode: 1
; LDSByteSize: 0 bytes/workgroup (compile time only)
; SGPRBlocks: 0
; VGPRBlocks: 0
; NumSGPRsForWavesPerEU: 4
; NumVGPRsForWavesPerEU: 1
; AccumOffset: 4
; Occupancy: 8
; WaveLimiterHint : 0
; COMPUTE_PGM_RSRC2:SCRATCH_EN: 0
; COMPUTE_PGM_RSRC2:USER_SGPR: 6
; COMPUTE_PGM_RSRC2:TRAP_HANDLER: 0
; COMPUTE_PGM_RSRC2:TGID_X_EN: 1
; COMPUTE_PGM_RSRC2:TGID_Y_EN: 0
; COMPUTE_PGM_RSRC2:TGID_Z_EN: 0
; COMPUTE_PGM_RSRC2:TIDIG_COMP_CNT: 0
; COMPUTE_PGM_RSRC3_GFX90A:ACCUM_OFFSET: 0
; COMPUTE_PGM_RSRC3_GFX90A:TG_SPLIT: 0
	.section	.text._ZN7rocprim17ROCPRIM_400000_NS6detail17trampoline_kernelINS0_13select_configILj256ELj13ELNS0_17block_load_methodE3ELS4_3ELS4_3ELNS0_20block_scan_algorithmE0ELj4294967295EEENS1_25partition_config_selectorILNS1_17partition_subalgoE3EjNS0_10empty_typeEbEEZZNS1_14partition_implILS8_3ELb0ES6_jNS0_17counting_iteratorIjlEEPS9_SE_NS0_5tupleIJPjSE_EEENSF_IJSE_SE_EEES9_SG_JZNS1_25segmented_radix_sort_implINS0_14default_configELb1EPKfPfPKlPlN2at6native12_GLOBAL__N_18offset_tEEE10hipError_tPvRmT1_PNSt15iterator_traitsISY_E10value_typeET2_T3_PNSZ_IS14_E10value_typeET4_jRbjT5_S1A_jjP12ihipStream_tbEUljE_EEESV_SW_SX_S14_S18_S1A_T6_T7_T9_mT8_S1C_bDpT10_ENKUlT_T0_E_clISt17integral_constantIbLb0EES1O_IbLb1EEEEDaS1K_S1L_EUlS1K_E_NS1_11comp_targetILNS1_3genE4ELNS1_11target_archE910ELNS1_3gpuE8ELNS1_3repE0EEENS1_30default_config_static_selectorELNS0_4arch9wavefront6targetE1EEEvSY_,"axG",@progbits,_ZN7rocprim17ROCPRIM_400000_NS6detail17trampoline_kernelINS0_13select_configILj256ELj13ELNS0_17block_load_methodE3ELS4_3ELS4_3ELNS0_20block_scan_algorithmE0ELj4294967295EEENS1_25partition_config_selectorILNS1_17partition_subalgoE3EjNS0_10empty_typeEbEEZZNS1_14partition_implILS8_3ELb0ES6_jNS0_17counting_iteratorIjlEEPS9_SE_NS0_5tupleIJPjSE_EEENSF_IJSE_SE_EEES9_SG_JZNS1_25segmented_radix_sort_implINS0_14default_configELb1EPKfPfPKlPlN2at6native12_GLOBAL__N_18offset_tEEE10hipError_tPvRmT1_PNSt15iterator_traitsISY_E10value_typeET2_T3_PNSZ_IS14_E10value_typeET4_jRbjT5_S1A_jjP12ihipStream_tbEUljE_EEESV_SW_SX_S14_S18_S1A_T6_T7_T9_mT8_S1C_bDpT10_ENKUlT_T0_E_clISt17integral_constantIbLb0EES1O_IbLb1EEEEDaS1K_S1L_EUlS1K_E_NS1_11comp_targetILNS1_3genE4ELNS1_11target_archE910ELNS1_3gpuE8ELNS1_3repE0EEENS1_30default_config_static_selectorELNS0_4arch9wavefront6targetE1EEEvSY_,comdat
	.globl	_ZN7rocprim17ROCPRIM_400000_NS6detail17trampoline_kernelINS0_13select_configILj256ELj13ELNS0_17block_load_methodE3ELS4_3ELS4_3ELNS0_20block_scan_algorithmE0ELj4294967295EEENS1_25partition_config_selectorILNS1_17partition_subalgoE3EjNS0_10empty_typeEbEEZZNS1_14partition_implILS8_3ELb0ES6_jNS0_17counting_iteratorIjlEEPS9_SE_NS0_5tupleIJPjSE_EEENSF_IJSE_SE_EEES9_SG_JZNS1_25segmented_radix_sort_implINS0_14default_configELb1EPKfPfPKlPlN2at6native12_GLOBAL__N_18offset_tEEE10hipError_tPvRmT1_PNSt15iterator_traitsISY_E10value_typeET2_T3_PNSZ_IS14_E10value_typeET4_jRbjT5_S1A_jjP12ihipStream_tbEUljE_EEESV_SW_SX_S14_S18_S1A_T6_T7_T9_mT8_S1C_bDpT10_ENKUlT_T0_E_clISt17integral_constantIbLb0EES1O_IbLb1EEEEDaS1K_S1L_EUlS1K_E_NS1_11comp_targetILNS1_3genE4ELNS1_11target_archE910ELNS1_3gpuE8ELNS1_3repE0EEENS1_30default_config_static_selectorELNS0_4arch9wavefront6targetE1EEEvSY_ ; -- Begin function _ZN7rocprim17ROCPRIM_400000_NS6detail17trampoline_kernelINS0_13select_configILj256ELj13ELNS0_17block_load_methodE3ELS4_3ELS4_3ELNS0_20block_scan_algorithmE0ELj4294967295EEENS1_25partition_config_selectorILNS1_17partition_subalgoE3EjNS0_10empty_typeEbEEZZNS1_14partition_implILS8_3ELb0ES6_jNS0_17counting_iteratorIjlEEPS9_SE_NS0_5tupleIJPjSE_EEENSF_IJSE_SE_EEES9_SG_JZNS1_25segmented_radix_sort_implINS0_14default_configELb1EPKfPfPKlPlN2at6native12_GLOBAL__N_18offset_tEEE10hipError_tPvRmT1_PNSt15iterator_traitsISY_E10value_typeET2_T3_PNSZ_IS14_E10value_typeET4_jRbjT5_S1A_jjP12ihipStream_tbEUljE_EEESV_SW_SX_S14_S18_S1A_T6_T7_T9_mT8_S1C_bDpT10_ENKUlT_T0_E_clISt17integral_constantIbLb0EES1O_IbLb1EEEEDaS1K_S1L_EUlS1K_E_NS1_11comp_targetILNS1_3genE4ELNS1_11target_archE910ELNS1_3gpuE8ELNS1_3repE0EEENS1_30default_config_static_selectorELNS0_4arch9wavefront6targetE1EEEvSY_
	.p2align	8
	.type	_ZN7rocprim17ROCPRIM_400000_NS6detail17trampoline_kernelINS0_13select_configILj256ELj13ELNS0_17block_load_methodE3ELS4_3ELS4_3ELNS0_20block_scan_algorithmE0ELj4294967295EEENS1_25partition_config_selectorILNS1_17partition_subalgoE3EjNS0_10empty_typeEbEEZZNS1_14partition_implILS8_3ELb0ES6_jNS0_17counting_iteratorIjlEEPS9_SE_NS0_5tupleIJPjSE_EEENSF_IJSE_SE_EEES9_SG_JZNS1_25segmented_radix_sort_implINS0_14default_configELb1EPKfPfPKlPlN2at6native12_GLOBAL__N_18offset_tEEE10hipError_tPvRmT1_PNSt15iterator_traitsISY_E10value_typeET2_T3_PNSZ_IS14_E10value_typeET4_jRbjT5_S1A_jjP12ihipStream_tbEUljE_EEESV_SW_SX_S14_S18_S1A_T6_T7_T9_mT8_S1C_bDpT10_ENKUlT_T0_E_clISt17integral_constantIbLb0EES1O_IbLb1EEEEDaS1K_S1L_EUlS1K_E_NS1_11comp_targetILNS1_3genE4ELNS1_11target_archE910ELNS1_3gpuE8ELNS1_3repE0EEENS1_30default_config_static_selectorELNS0_4arch9wavefront6targetE1EEEvSY_,@function
_ZN7rocprim17ROCPRIM_400000_NS6detail17trampoline_kernelINS0_13select_configILj256ELj13ELNS0_17block_load_methodE3ELS4_3ELS4_3ELNS0_20block_scan_algorithmE0ELj4294967295EEENS1_25partition_config_selectorILNS1_17partition_subalgoE3EjNS0_10empty_typeEbEEZZNS1_14partition_implILS8_3ELb0ES6_jNS0_17counting_iteratorIjlEEPS9_SE_NS0_5tupleIJPjSE_EEENSF_IJSE_SE_EEES9_SG_JZNS1_25segmented_radix_sort_implINS0_14default_configELb1EPKfPfPKlPlN2at6native12_GLOBAL__N_18offset_tEEE10hipError_tPvRmT1_PNSt15iterator_traitsISY_E10value_typeET2_T3_PNSZ_IS14_E10value_typeET4_jRbjT5_S1A_jjP12ihipStream_tbEUljE_EEESV_SW_SX_S14_S18_S1A_T6_T7_T9_mT8_S1C_bDpT10_ENKUlT_T0_E_clISt17integral_constantIbLb0EES1O_IbLb1EEEEDaS1K_S1L_EUlS1K_E_NS1_11comp_targetILNS1_3genE4ELNS1_11target_archE910ELNS1_3gpuE8ELNS1_3repE0EEENS1_30default_config_static_selectorELNS0_4arch9wavefront6targetE1EEEvSY_: ; @_ZN7rocprim17ROCPRIM_400000_NS6detail17trampoline_kernelINS0_13select_configILj256ELj13ELNS0_17block_load_methodE3ELS4_3ELS4_3ELNS0_20block_scan_algorithmE0ELj4294967295EEENS1_25partition_config_selectorILNS1_17partition_subalgoE3EjNS0_10empty_typeEbEEZZNS1_14partition_implILS8_3ELb0ES6_jNS0_17counting_iteratorIjlEEPS9_SE_NS0_5tupleIJPjSE_EEENSF_IJSE_SE_EEES9_SG_JZNS1_25segmented_radix_sort_implINS0_14default_configELb1EPKfPfPKlPlN2at6native12_GLOBAL__N_18offset_tEEE10hipError_tPvRmT1_PNSt15iterator_traitsISY_E10value_typeET2_T3_PNSZ_IS14_E10value_typeET4_jRbjT5_S1A_jjP12ihipStream_tbEUljE_EEESV_SW_SX_S14_S18_S1A_T6_T7_T9_mT8_S1C_bDpT10_ENKUlT_T0_E_clISt17integral_constantIbLb0EES1O_IbLb1EEEEDaS1K_S1L_EUlS1K_E_NS1_11comp_targetILNS1_3genE4ELNS1_11target_archE910ELNS1_3gpuE8ELNS1_3repE0EEENS1_30default_config_static_selectorELNS0_4arch9wavefront6targetE1EEEvSY_
; %bb.0:
	s_load_dwordx2 s[28:29], s[4:5], 0x10
	s_load_dwordx2 s[24:25], s[4:5], 0x28
	;; [unrolled: 1-line block ×3, first 2 shown]
	s_load_dwordx4 s[20:23], s[4:5], 0x48
	s_load_dword s14, s[4:5], 0x90
	s_load_dwordx2 s[30:31], s[4:5], 0x68
	s_load_dwordx4 s[8:11], s[4:5], 0x80
	v_cmp_eq_u32_e64 s[0:1], 0, v0
	s_and_saveexec_b64 s[2:3], s[0:1]
	s_cbranch_execz .LBB1317_4
; %bb.1:
	s_mov_b64 s[12:13], exec
	v_mbcnt_lo_u32_b32 v1, s12, 0
	v_mbcnt_hi_u32_b32 v1, s13, v1
	v_cmp_eq_u32_e32 vcc, 0, v1
                                        ; implicit-def: $vgpr2
	s_and_saveexec_b64 s[6:7], vcc
	s_cbranch_execz .LBB1317_3
; %bb.2:
	s_load_dwordx2 s[16:17], s[4:5], 0x78
	s_bcnt1_i32_b64 s12, s[12:13]
	v_mov_b32_e32 v2, 0
	v_mov_b32_e32 v3, s12
	s_waitcnt lgkmcnt(0)
	global_atomic_add v2, v2, v3, s[16:17] glc
.LBB1317_3:
	s_or_b64 exec, exec, s[6:7]
	s_waitcnt vmcnt(0)
	v_readfirstlane_b32 s6, v2
	v_add_u32_e32 v1, s6, v1
	v_mov_b32_e32 v2, 0
	ds_write_b32 v2, v1
.LBB1317_4:
	s_or_b64 exec, exec, s[2:3]
	v_mov_b32_e32 v1, 0
	s_load_dword s2, s[4:5], 0x8
	s_load_dword s6, s[4:5], 0x70
	s_waitcnt lgkmcnt(0)
	s_barrier
	ds_read_b32 v2, v1
	s_waitcnt lgkmcnt(0)
	s_barrier
	global_load_dwordx2 v[20:21], v1, s[22:23]
	s_add_i32 s7, s2, s28
	s_movk_i32 s2, 0xd00
	s_add_i32 s4, s6, -1
	s_mulk_i32 s6, 0xd00
	v_mul_lo_u32 v34, v2, s2
	s_add_u32 s2, s28, s6
	v_readfirstlane_b32 s40, v2
	s_addc_u32 s3, s29, 0
	s_cmp_eq_u32 s40, s4
	v_pk_mov_b32 v[2:3], s[26:27], s[26:27] op_sel:[0,1]
	s_cselect_b64 s[22:23], -1, 0
	s_cmp_lg_u32 s40, s4
	v_cmp_lt_u64_e32 vcc, s[2:3], v[2:3]
	s_cselect_b64 s[2:3], -1, 0
	s_or_b64 s[4:5], vcc, s[2:3]
	v_add_u32_e32 v1, s7, v34
	s_mov_b64 s[2:3], -1
	s_and_b64 vcc, exec, s[4:5]
	v_add_u32_e32 v2, v1, v0
	v_lshlrev_b32_e32 v1, 2, v0
	s_cbranch_vccz .LBB1317_6
; %bb.5:
	v_add_u32_e32 v3, 0x100, v2
	v_add_u32_e32 v4, 0x200, v2
	;; [unrolled: 1-line block ×12, first 2 shown]
	ds_write2st64_b32 v1, v2, v3 offset1:4
	ds_write2st64_b32 v1, v4, v5 offset0:8 offset1:12
	ds_write2st64_b32 v1, v6, v7 offset0:16 offset1:20
	;; [unrolled: 1-line block ×5, first 2 shown]
	ds_write_b32 v1, v14 offset:12288
	s_waitcnt lgkmcnt(0)
	s_barrier
	s_mov_b64 s[2:3], 0
.LBB1317_6:
	s_andn2_b64 vcc, exec, s[2:3]
	s_add_i32 s6, s6, s28
	s_cbranch_vccnz .LBB1317_8
; %bb.7:
	v_add_u32_e32 v3, 0x100, v2
	v_add_u32_e32 v4, 0x200, v2
	v_add_u32_e32 v5, 0x300, v2
	v_add_u32_e32 v6, 0x400, v2
	v_add_u32_e32 v7, 0x500, v2
	v_add_u32_e32 v8, 0x600, v2
	v_add_u32_e32 v9, 0x700, v2
	v_add_u32_e32 v10, 0x800, v2
	v_add_u32_e32 v11, 0x900, v2
	v_add_u32_e32 v12, 0xa00, v2
	v_add_u32_e32 v13, 0xb00, v2
	v_add_u32_e32 v14, 0xc00, v2
	ds_write2st64_b32 v1, v2, v3 offset1:4
	ds_write2st64_b32 v1, v4, v5 offset0:8 offset1:12
	ds_write2st64_b32 v1, v6, v7 offset0:16 offset1:20
	;; [unrolled: 1-line block ×5, first 2 shown]
	ds_write_b32 v1, v14 offset:12288
	s_waitcnt lgkmcnt(0)
	s_barrier
.LBB1317_8:
	v_mul_u32_u24_e32 v36, 13, v0
	v_lshlrev_b32_e32 v2, 2, v36
	ds_read2_b32 v[32:33], v2 offset1:1
	ds_read2_b32 v[30:31], v2 offset0:2 offset1:3
	ds_read2_b32 v[28:29], v2 offset0:4 offset1:5
	;; [unrolled: 1-line block ×5, first 2 shown]
	ds_read_b32 v35, v2 offset:48
	v_cndmask_b32_e64 v2, 0, 1, s[4:5]
	s_sub_i32 s33, s26, s6
	v_cmp_ne_u32_e64 s[2:3], 1, v2
	s_andn2_b64 vcc, exec, s[4:5]
	s_waitcnt lgkmcnt(0)
	s_barrier
	s_cbranch_vccnz .LBB1317_10
; %bb.9:
	v_add_u32_e32 v2, s9, v32
	v_add_u32_e32 v3, s11, v32
	v_mul_lo_u32 v2, v2, s8
	v_mul_lo_u32 v3, v3, s10
	v_sub_u32_e32 v2, v2, v3
	v_add_u32_e32 v3, s9, v33
	v_add_u32_e32 v4, s11, v33
	v_mul_lo_u32 v3, v3, s8
	v_mul_lo_u32 v4, v4, s10
	v_sub_u32_e32 v3, v3, v4
	;; [unrolled: 5-line block ×6, first 2 shown]
	v_add_u32_e32 v8, s9, v26
	v_add_u32_e32 v9, s11, v26
	v_mul_lo_u32 v8, v8, s8
	v_mul_lo_u32 v9, v9, s10
	v_cmp_lt_u32_e32 vcc, s14, v2
	v_sub_u32_e32 v8, v8, v9
	v_add_u32_e32 v9, s9, v27
	v_add_u32_e32 v10, s11, v27
	v_cndmask_b32_e64 v2, 0, 1, vcc
	v_cmp_lt_u32_e32 vcc, s14, v3
	v_mul_lo_u32 v9, v9, s8
	v_mul_lo_u32 v10, v10, s10
	v_cndmask_b32_e64 v3, 0, 1, vcc
	v_cmp_lt_u32_e32 vcc, s14, v4
	v_sub_u32_e32 v9, v9, v10
	v_add_u32_e32 v10, s9, v24
	v_add_u32_e32 v11, s11, v24
	v_cndmask_b32_e64 v4, 0, 1, vcc
	v_cmp_lt_u32_e32 vcc, s14, v5
	v_mul_lo_u32 v10, v10, s8
	v_mul_lo_u32 v11, v11, s10
	v_cndmask_b32_e64 v5, 0, 1, vcc
	;; [unrolled: 9-line block ×4, first 2 shown]
	v_cmp_lt_u32_e32 vcc, s14, v10
	v_sub_u32_e32 v12, v12, v13
	v_add_u32_e32 v13, s9, v23
	v_add_u32_e32 v14, s11, v23
	v_lshlrev_b16_e32 v3, 8, v3
	v_cndmask_b32_e64 v10, 0, 1, vcc
	v_cmp_lt_u32_e32 vcc, s14, v11
	v_mul_lo_u32 v13, v13, s8
	v_mul_lo_u32 v14, v14, s10
	v_or_b32_e32 v2, v2, v3
	v_lshlrev_b16_e32 v3, 8, v5
	v_cndmask_b32_e64 v11, 0, 1, vcc
	v_cmp_lt_u32_e32 vcc, s14, v12
	v_sub_u32_e32 v13, v13, v14
	v_or_b32_sdwa v3, v4, v3 dst_sel:WORD_1 dst_unused:UNUSED_PAD src0_sel:DWORD src1_sel:DWORD
	v_cndmask_b32_e64 v12, 0, 1, vcc
	v_cmp_lt_u32_e32 vcc, s14, v13
	v_add_u32_e32 v14, s9, v35
	v_add_u32_e32 v15, s11, v35
	v_or_b32_sdwa v40, v2, v3 dst_sel:DWORD dst_unused:UNUSED_PAD src0_sel:WORD_0 src1_sel:DWORD
	v_lshlrev_b16_e32 v2, 8, v7
	v_lshlrev_b16_e32 v3, 8, v9
	v_cndmask_b32_e64 v13, 0, 1, vcc
	v_mul_lo_u32 v14, v14, s8
	v_mul_lo_u32 v15, v15, s10
	v_or_b32_e32 v2, v6, v2
	v_or_b32_sdwa v3, v8, v3 dst_sel:WORD_1 dst_unused:UNUSED_PAD src0_sel:DWORD src1_sel:DWORD
	v_sub_u32_e32 v14, v14, v15
	v_or_b32_sdwa v39, v2, v3 dst_sel:DWORD dst_unused:UNUSED_PAD src0_sel:WORD_0 src1_sel:DWORD
	v_lshlrev_b16_e32 v2, 8, v11
	v_lshlrev_b16_e32 v3, 8, v13
	v_cmp_lt_u32_e32 vcc, s14, v14
	v_or_b32_e32 v2, v10, v2
	v_or_b32_sdwa v3, v12, v3 dst_sel:WORD_1 dst_unused:UNUSED_PAD src0_sel:DWORD src1_sel:DWORD
	v_cndmask_b32_e64 v37, 0, 1, vcc
	v_or_b32_sdwa v38, v2, v3 dst_sel:DWORD dst_unused:UNUSED_PAD src0_sel:WORD_0 src1_sel:DWORD
	s_addk_i32 s33, 0xd00
	s_cbranch_execz .LBB1317_11
	s_branch .LBB1317_38
.LBB1317_10:
                                        ; implicit-def: $vgpr37
                                        ; implicit-def: $vgpr38
                                        ; implicit-def: $vgpr39
                                        ; implicit-def: $vgpr40
	s_addk_i32 s33, 0xd00
.LBB1317_11:
	v_cmp_gt_u32_e32 vcc, s33, v36
	v_mov_b32_e32 v3, 0
	v_mov_b32_e32 v2, 0
	s_and_saveexec_b64 s[4:5], vcc
; %bb.12:
	v_add_u32_e32 v2, s9, v32
	v_add_u32_e32 v4, s11, v32
	v_mul_lo_u32 v2, v2, s8
	v_mul_lo_u32 v4, v4, s10
	v_sub_u32_e32 v2, v2, v4
	v_cmp_lt_u32_e32 vcc, s14, v2
	v_cndmask_b32_e64 v2, 0, 1, vcc
; %bb.13:
	s_or_b64 exec, exec, s[4:5]
	v_add_u32_e32 v4, 1, v36
	v_cmp_gt_u32_e32 vcc, s33, v4
	s_and_saveexec_b64 s[4:5], vcc
; %bb.14:
	v_add_u32_e32 v3, s9, v33
	v_add_u32_e32 v4, s11, v33
	v_mul_lo_u32 v3, v3, s8
	v_mul_lo_u32 v4, v4, s10
	v_sub_u32_e32 v3, v3, v4
	v_cmp_lt_u32_e32 vcc, s14, v3
	v_cndmask_b32_e64 v3, 0, 1, vcc
; %bb.15:
	s_or_b64 exec, exec, s[4:5]
	v_add_u32_e32 v4, 2, v36
	v_cmp_gt_u32_e32 vcc, s33, v4
	v_mov_b32_e32 v5, 0
	v_mov_b32_e32 v4, 0
	s_and_saveexec_b64 s[4:5], vcc
; %bb.16:
	v_add_u32_e32 v4, s9, v30
	v_add_u32_e32 v6, s11, v30
	v_mul_lo_u32 v4, v4, s8
	v_mul_lo_u32 v6, v6, s10
	v_sub_u32_e32 v4, v4, v6
	v_cmp_lt_u32_e32 vcc, s14, v4
	v_cndmask_b32_e64 v4, 0, 1, vcc
; %bb.17:
	s_or_b64 exec, exec, s[4:5]
	v_add_u32_e32 v6, 3, v36
	v_cmp_gt_u32_e32 vcc, s33, v6
	s_and_saveexec_b64 s[4:5], vcc
; %bb.18:
	v_add_u32_e32 v5, s9, v31
	v_add_u32_e32 v6, s11, v31
	v_mul_lo_u32 v5, v5, s8
	v_mul_lo_u32 v6, v6, s10
	v_sub_u32_e32 v5, v5, v6
	v_cmp_lt_u32_e32 vcc, s14, v5
	v_cndmask_b32_e64 v5, 0, 1, vcc
; %bb.19:
	s_or_b64 exec, exec, s[4:5]
	v_add_u32_e32 v6, 4, v36
	;; [unrolled: 28-line block ×6, first 2 shown]
	v_cmp_gt_u32_e32 vcc, s33, v14
	v_mov_b32_e32 v37, 0
	s_and_saveexec_b64 s[4:5], vcc
; %bb.36:
	v_add_u32_e32 v14, s9, v35
	v_add_u32_e32 v15, s11, v35
	v_mul_lo_u32 v14, v14, s8
	v_mul_lo_u32 v15, v15, s10
	v_sub_u32_e32 v14, v14, v15
	v_cmp_lt_u32_e32 vcc, s14, v14
	v_cndmask_b32_e64 v37, 0, 1, vcc
; %bb.37:
	s_or_b64 exec, exec, s[4:5]
	v_lshlrev_b16_e32 v3, 8, v3
	v_or_b32_e32 v2, v2, v3
	v_lshlrev_b16_e32 v3, 8, v5
	v_or_b32_sdwa v3, v4, v3 dst_sel:WORD_1 dst_unused:UNUSED_PAD src0_sel:DWORD src1_sel:DWORD
	v_or_b32_sdwa v40, v2, v3 dst_sel:DWORD dst_unused:UNUSED_PAD src0_sel:WORD_0 src1_sel:DWORD
	v_lshlrev_b16_e32 v2, 8, v7
	v_lshlrev_b16_e32 v3, 8, v9
	v_or_b32_e32 v2, v6, v2
	v_or_b32_sdwa v3, v8, v3 dst_sel:WORD_1 dst_unused:UNUSED_PAD src0_sel:DWORD src1_sel:DWORD
	v_or_b32_sdwa v39, v2, v3 dst_sel:DWORD dst_unused:UNUSED_PAD src0_sel:WORD_0 src1_sel:DWORD
	v_lshlrev_b16_e32 v2, 8, v11
	v_lshlrev_b16_e32 v3, 8, v13
	v_or_b32_e32 v2, v10, v2
	v_or_b32_sdwa v3, v12, v3 dst_sel:WORD_1 dst_unused:UNUSED_PAD src0_sel:DWORD src1_sel:DWORD
	v_or_b32_sdwa v38, v2, v3 dst_sel:DWORD dst_unused:UNUSED_PAD src0_sel:WORD_0 src1_sel:DWORD
.LBB1317_38:
	v_and_b32_e32 v44, 0xff, v40
	v_bfe_u32 v45, v40, 8, 8
	v_bfe_u32 v46, v40, 16, 8
	v_lshrrev_b32_e32 v43, 24, v40
	v_and_b32_e32 v47, 0xff, v39
	v_add3_u32 v3, v45, v44, v46
	v_bfe_u32 v48, v39, 8, 8
	v_bfe_u32 v49, v39, 16, 8
	v_add3_u32 v3, v3, v43, v47
	v_lshrrev_b32_e32 v42, 24, v39
	v_and_b32_e32 v50, 0xff, v38
	v_add3_u32 v3, v3, v48, v49
	v_bfe_u32 v51, v38, 8, 8
	v_bfe_u32 v52, v38, 16, 8
	v_add3_u32 v3, v3, v42, v50
	v_lshrrev_b32_e32 v41, 24, v38
	v_and_b32_e32 v2, 0xff, v37
	v_add3_u32 v3, v3, v51, v52
	v_add3_u32 v55, v3, v41, v2
	v_mbcnt_lo_u32_b32 v2, -1, 0
	v_mbcnt_hi_u32_b32 v53, -1, v2
	v_and_b32_e32 v2, 15, v53
	v_cmp_eq_u32_e64 s[16:17], 0, v2
	v_cmp_lt_u32_e64 s[14:15], 1, v2
	v_cmp_lt_u32_e64 s[12:13], 3, v2
	;; [unrolled: 1-line block ×3, first 2 shown]
	v_and_b32_e32 v2, 16, v53
	v_cmp_eq_u32_e64 s[8:9], 0, v2
	v_or_b32_e32 v2, 63, v0
	s_cmp_lg_u32 s40, 0
	v_cmp_lt_u32_e64 s[4:5], 31, v53
	v_lshrrev_b32_e32 v54, 6, v0
	v_cmp_eq_u32_e64 s[6:7], v2, v0
	s_cbranch_scc0 .LBB1317_65
; %bb.39:
	v_mov_b32_dpp v2, v55 row_shr:1 row_mask:0xf bank_mask:0xf
	v_cndmask_b32_e64 v2, v2, 0, s[16:17]
	v_add_u32_e32 v2, v2, v55
	s_nop 1
	v_mov_b32_dpp v3, v2 row_shr:2 row_mask:0xf bank_mask:0xf
	v_cndmask_b32_e64 v3, 0, v3, s[14:15]
	v_add_u32_e32 v2, v2, v3
	s_nop 1
	;; [unrolled: 4-line block ×4, first 2 shown]
	v_mov_b32_dpp v3, v2 row_bcast:15 row_mask:0xf bank_mask:0xf
	v_cndmask_b32_e64 v3, v3, 0, s[8:9]
	v_add_u32_e32 v2, v2, v3
	s_nop 1
	v_mov_b32_dpp v3, v2 row_bcast:31 row_mask:0xf bank_mask:0xf
	v_cndmask_b32_e64 v3, 0, v3, s[4:5]
	v_add_u32_e32 v2, v2, v3
	s_and_saveexec_b64 s[18:19], s[6:7]
	s_cbranch_execz .LBB1317_41
; %bb.40:
	v_lshlrev_b32_e32 v3, 2, v54
	ds_write_b32 v3, v2
.LBB1317_41:
	s_or_b64 exec, exec, s[18:19]
	v_cmp_gt_u32_e32 vcc, 4, v0
	s_waitcnt lgkmcnt(0)
	s_barrier
	s_and_saveexec_b64 s[18:19], vcc
	s_cbranch_execz .LBB1317_43
; %bb.42:
	ds_read_b32 v3, v1
	v_and_b32_e32 v4, 3, v53
	v_cmp_ne_u32_e32 vcc, 0, v4
	s_waitcnt lgkmcnt(0)
	v_mov_b32_dpp v5, v3 row_shr:1 row_mask:0xf bank_mask:0xf
	v_cndmask_b32_e32 v5, 0, v5, vcc
	v_add_u32_e32 v3, v5, v3
	v_cmp_lt_u32_e32 vcc, 1, v4
	s_nop 0
	v_mov_b32_dpp v5, v3 row_shr:2 row_mask:0xf bank_mask:0xf
	v_cndmask_b32_e32 v4, 0, v5, vcc
	v_add_u32_e32 v3, v3, v4
	ds_write_b32 v1, v3
.LBB1317_43:
	s_or_b64 exec, exec, s[18:19]
	v_cmp_gt_u32_e32 vcc, 64, v0
	v_cmp_lt_u32_e64 s[18:19], 63, v0
	s_waitcnt lgkmcnt(0)
	s_barrier
	s_waitcnt lgkmcnt(0)
                                        ; implicit-def: $vgpr12
	s_and_saveexec_b64 s[34:35], s[18:19]
	s_cbranch_execz .LBB1317_45
; %bb.44:
	v_lshl_add_u32 v3, v54, 2, -4
	ds_read_b32 v12, v3
	s_waitcnt lgkmcnt(0)
	v_add_u32_e32 v2, v12, v2
.LBB1317_45:
	s_or_b64 exec, exec, s[34:35]
	v_add_u32_e32 v3, -1, v53
	v_and_b32_e32 v4, 64, v53
	v_cmp_lt_i32_e64 s[18:19], v3, v4
	v_cndmask_b32_e64 v3, v3, v53, s[18:19]
	v_lshlrev_b32_e32 v3, 2, v3
	ds_bpermute_b32 v13, v3, v2
	v_cmp_eq_u32_e64 s[18:19], 0, v53
	s_and_saveexec_b64 s[34:35], vcc
	s_cbranch_execz .LBB1317_64
; %bb.46:
	v_mov_b32_e32 v9, 0
	ds_read_b32 v2, v9 offset:12
	s_and_saveexec_b64 s[36:37], s[18:19]
	s_cbranch_execz .LBB1317_48
; %bb.47:
	s_add_i32 s38, s40, 64
	s_mov_b32 s39, 0
	s_lshl_b64 s[38:39], s[38:39], 3
	s_add_u32 s38, s30, s38
	v_mov_b32_e32 v3, 1
	s_addc_u32 s39, s31, s39
	s_waitcnt lgkmcnt(0)
	global_store_dwordx2 v9, v[2:3], s[38:39]
.LBB1317_48:
	s_or_b64 exec, exec, s[36:37]
	v_xad_u32 v4, v53, -1, s40
	v_add_u32_e32 v8, 64, v4
	v_lshlrev_b64 v[6:7], 3, v[8:9]
	v_mov_b32_e32 v3, s31
	v_add_co_u32_e32 v10, vcc, s30, v6
	v_addc_co_u32_e32 v11, vcc, v3, v7, vcc
	global_load_dwordx2 v[6:7], v[10:11], off glc
	s_waitcnt vmcnt(0)
	v_cmp_eq_u16_sdwa s[38:39], v7, v9 src0_sel:BYTE_0 src1_sel:DWORD
	s_and_saveexec_b64 s[36:37], s[38:39]
	s_cbranch_execz .LBB1317_52
; %bb.49:
	s_mov_b64 s[38:39], 0
	v_mov_b32_e32 v3, 0
.LBB1317_50:                            ; =>This Inner Loop Header: Depth=1
	global_load_dwordx2 v[6:7], v[10:11], off glc
	s_waitcnt vmcnt(0)
	v_cmp_ne_u16_sdwa s[42:43], v7, v3 src0_sel:BYTE_0 src1_sel:DWORD
	s_or_b64 s[38:39], s[42:43], s[38:39]
	s_andn2_b64 exec, exec, s[38:39]
	s_cbranch_execnz .LBB1317_50
; %bb.51:
	s_or_b64 exec, exec, s[38:39]
.LBB1317_52:
	s_or_b64 exec, exec, s[36:37]
	v_and_b32_e32 v14, 63, v53
	v_mov_b32_e32 v3, 2
	v_cmp_ne_u32_e32 vcc, 63, v14
	v_cmp_eq_u16_sdwa s[36:37], v7, v3 src0_sel:BYTE_0 src1_sel:DWORD
	v_lshlrev_b64 v[8:9], v53, -1
	v_addc_co_u32_e32 v11, vcc, 0, v53, vcc
	v_and_b32_e32 v5, s37, v9
	v_lshlrev_b32_e32 v15, 2, v11
	v_or_b32_e32 v5, 0x80000000, v5
	ds_bpermute_b32 v11, v15, v6
	v_and_b32_e32 v10, s36, v8
	v_ffbl_b32_e32 v5, v5
	v_add_u32_e32 v5, 32, v5
	v_ffbl_b32_e32 v10, v10
	v_min_u32_e32 v5, v10, v5
	v_cmp_lt_u32_e32 vcc, v14, v5
	s_waitcnt lgkmcnt(0)
	v_cndmask_b32_e32 v10, 0, v11, vcc
	v_cmp_gt_u32_e32 vcc, 62, v14
	v_add_u32_e32 v6, v10, v6
	v_cndmask_b32_e64 v10, 0, 1, vcc
	v_lshlrev_b32_e32 v10, 1, v10
	v_add_lshl_u32 v16, v10, v53, 2
	ds_bpermute_b32 v10, v16, v6
	v_add_u32_e32 v17, 2, v14
	v_cmp_le_u32_e32 vcc, v17, v5
	v_add_u32_e32 v19, 4, v14
	v_add_u32_e32 v57, 8, v14
	s_waitcnt lgkmcnt(0)
	v_cndmask_b32_e32 v10, 0, v10, vcc
	v_cmp_gt_u32_e32 vcc, 60, v14
	v_add_u32_e32 v6, v6, v10
	v_cndmask_b32_e64 v10, 0, 1, vcc
	v_lshlrev_b32_e32 v10, 2, v10
	v_add_lshl_u32 v18, v10, v53, 2
	ds_bpermute_b32 v10, v18, v6
	v_cmp_le_u32_e32 vcc, v19, v5
	v_add_u32_e32 v60, 16, v14
	v_add_u32_e32 v62, 32, v14
	s_waitcnt lgkmcnt(0)
	v_cndmask_b32_e32 v10, 0, v10, vcc
	v_cmp_gt_u32_e32 vcc, 56, v14
	v_add_u32_e32 v6, v6, v10
	v_cndmask_b32_e64 v10, 0, 1, vcc
	v_lshlrev_b32_e32 v10, 3, v10
	v_add_lshl_u32 v56, v10, v53, 2
	ds_bpermute_b32 v10, v56, v6
	v_cmp_le_u32_e32 vcc, v57, v5
	s_waitcnt lgkmcnt(0)
	v_cndmask_b32_e32 v10, 0, v10, vcc
	v_cmp_gt_u32_e32 vcc, 48, v14
	v_add_u32_e32 v6, v6, v10
	v_cndmask_b32_e64 v10, 0, 1, vcc
	v_lshlrev_b32_e32 v10, 4, v10
	v_add_lshl_u32 v59, v10, v53, 2
	ds_bpermute_b32 v10, v59, v6
	v_cmp_le_u32_e32 vcc, v60, v5
	;; [unrolled: 9-line block ×3, first 2 shown]
	s_waitcnt lgkmcnt(0)
	v_cndmask_b32_e32 v5, 0, v10, vcc
	v_add_u32_e32 v6, v6, v5
	v_mov_b32_e32 v5, 0
	s_branch .LBB1317_54
.LBB1317_53:                            ;   in Loop: Header=BB1317_54 Depth=1
	s_or_b64 exec, exec, s[36:37]
	v_cmp_eq_u16_sdwa s[36:37], v7, v3 src0_sel:BYTE_0 src1_sel:DWORD
	v_and_b32_e32 v10, s37, v9
	v_or_b32_e32 v10, 0x80000000, v10
	ds_bpermute_b32 v63, v15, v6
	v_and_b32_e32 v11, s36, v8
	v_ffbl_b32_e32 v10, v10
	v_add_u32_e32 v10, 32, v10
	v_ffbl_b32_e32 v11, v11
	v_min_u32_e32 v10, v11, v10
	v_cmp_lt_u32_e32 vcc, v14, v10
	s_waitcnt lgkmcnt(0)
	v_cndmask_b32_e32 v11, 0, v63, vcc
	v_add_u32_e32 v6, v11, v6
	ds_bpermute_b32 v11, v16, v6
	v_cmp_le_u32_e32 vcc, v17, v10
	v_subrev_u32_e32 v4, 64, v4
	s_waitcnt lgkmcnt(0)
	v_cndmask_b32_e32 v11, 0, v11, vcc
	v_add_u32_e32 v6, v6, v11
	ds_bpermute_b32 v11, v18, v6
	v_cmp_le_u32_e32 vcc, v19, v10
	s_waitcnt lgkmcnt(0)
	v_cndmask_b32_e32 v11, 0, v11, vcc
	v_add_u32_e32 v6, v6, v11
	ds_bpermute_b32 v11, v56, v6
	v_cmp_le_u32_e32 vcc, v57, v10
	;; [unrolled: 5-line block ×4, first 2 shown]
	s_waitcnt lgkmcnt(0)
	v_cndmask_b32_e32 v10, 0, v11, vcc
	v_add3_u32 v6, v10, v58, v6
.LBB1317_54:                            ; =>This Loop Header: Depth=1
                                        ;     Child Loop BB1317_57 Depth 2
	v_cmp_ne_u16_sdwa s[36:37], v7, v3 src0_sel:BYTE_0 src1_sel:DWORD
	v_cndmask_b32_e64 v7, 0, 1, s[36:37]
	;;#ASMSTART
	;;#ASMEND
	v_cmp_ne_u32_e32 vcc, 0, v7
	s_cmp_lg_u64 vcc, exec
	v_mov_b32_e32 v58, v6
	s_cbranch_scc1 .LBB1317_59
; %bb.55:                               ;   in Loop: Header=BB1317_54 Depth=1
	v_lshlrev_b64 v[6:7], 3, v[4:5]
	v_mov_b32_e32 v11, s31
	v_add_co_u32_e32 v10, vcc, s30, v6
	v_addc_co_u32_e32 v11, vcc, v11, v7, vcc
	global_load_dwordx2 v[6:7], v[10:11], off glc
	s_waitcnt vmcnt(0)
	v_cmp_eq_u16_sdwa s[38:39], v7, v5 src0_sel:BYTE_0 src1_sel:DWORD
	s_and_saveexec_b64 s[36:37], s[38:39]
	s_cbranch_execz .LBB1317_53
; %bb.56:                               ;   in Loop: Header=BB1317_54 Depth=1
	s_mov_b64 s[38:39], 0
.LBB1317_57:                            ;   Parent Loop BB1317_54 Depth=1
                                        ; =>  This Inner Loop Header: Depth=2
	global_load_dwordx2 v[6:7], v[10:11], off glc
	s_waitcnt vmcnt(0)
	v_cmp_ne_u16_sdwa s[42:43], v7, v5 src0_sel:BYTE_0 src1_sel:DWORD
	s_or_b64 s[38:39], s[42:43], s[38:39]
	s_andn2_b64 exec, exec, s[38:39]
	s_cbranch_execnz .LBB1317_57
; %bb.58:                               ;   in Loop: Header=BB1317_54 Depth=1
	s_or_b64 exec, exec, s[38:39]
	s_branch .LBB1317_53
.LBB1317_59:                            ;   in Loop: Header=BB1317_54 Depth=1
                                        ; implicit-def: $vgpr6
                                        ; implicit-def: $vgpr7
	s_cbranch_execz .LBB1317_54
; %bb.60:
	s_and_saveexec_b64 s[36:37], s[18:19]
	s_cbranch_execz .LBB1317_62
; %bb.61:
	s_add_i32 s38, s40, 64
	s_mov_b32 s39, 0
	s_lshl_b64 s[38:39], s[38:39], 3
	s_add_u32 s38, s30, s38
	v_add_u32_e32 v4, v58, v2
	v_mov_b32_e32 v5, 2
	s_addc_u32 s39, s31, s39
	v_mov_b32_e32 v3, 0
	global_store_dwordx2 v3, v[4:5], s[38:39]
	s_movk_i32 s38, 0x3400
	v_add_u32_e64 v3, s38, 0
	ds_write2_b32 v3, v2, v58 offset1:2
.LBB1317_62:
	s_or_b64 exec, exec, s[36:37]
	s_and_b64 exec, exec, s[0:1]
	s_cbranch_execz .LBB1317_64
; %bb.63:
	v_mov_b32_e32 v2, 0
	ds_write_b32 v2, v58 offset:12
.LBB1317_64:
	s_or_b64 exec, exec, s[34:35]
	v_mov_b32_e32 v2, 0
	s_waitcnt lgkmcnt(0)
	s_barrier
	ds_read_b32 v2, v2 offset:12
	v_cndmask_b32_e64 v3, v13, v12, s[18:19]
	v_cndmask_b32_e64 v3, v3, 0, s[0:1]
	s_movk_i32 s18, 0x3400
	v_add_u32_e64 v12, s18, 0
	s_waitcnt lgkmcnt(0)
	v_add_u32_e32 v2, v2, v3
	v_add_u32_e32 v3, v2, v44
	;; [unrolled: 1-line block ×9, first 2 shown]
	s_barrier
	ds_read2_b32 v[18:19], v12 offset1:2
	v_add_u32_e32 v11, v10, v50
	v_add_u32_e32 v12, v11, v51
	;; [unrolled: 1-line block ×4, first 2 shown]
	s_branch .LBB1317_75
.LBB1317_65:
                                        ; implicit-def: $vgpr19
                                        ; implicit-def: $vgpr2_vgpr3_vgpr4_vgpr5_vgpr6_vgpr7_vgpr8_vgpr9_vgpr10_vgpr11_vgpr12_vgpr13_vgpr14_vgpr15_vgpr16_vgpr17
	s_cbranch_execz .LBB1317_75
; %bb.66:
	s_nop 0
	v_mov_b32_dpp v2, v55 row_shr:1 row_mask:0xf bank_mask:0xf
	v_cndmask_b32_e64 v2, v2, 0, s[16:17]
	v_add_u32_e32 v2, v2, v55
	s_nop 1
	v_mov_b32_dpp v3, v2 row_shr:2 row_mask:0xf bank_mask:0xf
	v_cndmask_b32_e64 v3, 0, v3, s[14:15]
	v_add_u32_e32 v2, v2, v3
	;; [unrolled: 4-line block ×4, first 2 shown]
	s_nop 1
	v_mov_b32_dpp v3, v2 row_bcast:15 row_mask:0xf bank_mask:0xf
	v_cndmask_b32_e64 v3, v3, 0, s[8:9]
	v_add_u32_e32 v2, v2, v3
	s_nop 1
	v_mov_b32_dpp v3, v2 row_bcast:31 row_mask:0xf bank_mask:0xf
	v_cndmask_b32_e64 v3, 0, v3, s[4:5]
	v_add_u32_e32 v2, v2, v3
	s_and_saveexec_b64 s[4:5], s[6:7]
	s_cbranch_execz .LBB1317_68
; %bb.67:
	v_lshlrev_b32_e32 v3, 2, v54
	ds_write_b32 v3, v2
.LBB1317_68:
	s_or_b64 exec, exec, s[4:5]
	v_cmp_gt_u32_e32 vcc, 4, v0
	s_waitcnt lgkmcnt(0)
	s_barrier
	s_and_saveexec_b64 s[4:5], vcc
	s_cbranch_execz .LBB1317_70
; %bb.69:
	ds_read_b32 v3, v1
	v_and_b32_e32 v4, 3, v53
	v_cmp_ne_u32_e32 vcc, 0, v4
	s_waitcnt lgkmcnt(0)
	v_mov_b32_dpp v5, v3 row_shr:1 row_mask:0xf bank_mask:0xf
	v_cndmask_b32_e32 v5, 0, v5, vcc
	v_add_u32_e32 v3, v5, v3
	v_cmp_lt_u32_e32 vcc, 1, v4
	s_nop 0
	v_mov_b32_dpp v5, v3 row_shr:2 row_mask:0xf bank_mask:0xf
	v_cndmask_b32_e32 v4, 0, v5, vcc
	v_add_u32_e32 v3, v3, v4
	ds_write_b32 v1, v3
.LBB1317_70:
	s_or_b64 exec, exec, s[4:5]
	v_cmp_lt_u32_e32 vcc, 63, v0
	v_mov_b32_e32 v4, 0
	v_mov_b32_e32 v3, 0
	s_waitcnt lgkmcnt(0)
	s_barrier
	s_and_saveexec_b64 s[4:5], vcc
	s_cbranch_execz .LBB1317_72
; %bb.71:
	v_lshl_add_u32 v3, v54, 2, -4
	ds_read_b32 v3, v3
.LBB1317_72:
	s_or_b64 exec, exec, s[4:5]
	v_add_u32_e32 v5, -1, v53
	v_and_b32_e32 v6, 64, v53
	v_cmp_lt_i32_e32 vcc, v5, v6
	v_cndmask_b32_e32 v5, v5, v53, vcc
	s_waitcnt lgkmcnt(0)
	v_add_u32_e32 v2, v3, v2
	v_lshlrev_b32_e32 v5, 2, v5
	ds_bpermute_b32 v2, v5, v2
	ds_read_b32 v18, v4 offset:12
	s_and_saveexec_b64 s[4:5], s[0:1]
	s_cbranch_execz .LBB1317_74
; %bb.73:
	v_mov_b32_e32 v4, 0
	v_mov_b32_e32 v19, 2
	s_waitcnt lgkmcnt(0)
	global_store_dwordx2 v4, v[18:19], s[30:31] offset:512
.LBB1317_74:
	s_or_b64 exec, exec, s[4:5]
	v_cmp_eq_u32_e32 vcc, 0, v53
	s_waitcnt lgkmcnt(1)
	v_cndmask_b32_e32 v2, v2, v3, vcc
	v_cndmask_b32_e64 v2, v2, 0, s[0:1]
	v_add_u32_e32 v3, v2, v44
	v_add_u32_e32 v4, v3, v45
	v_add_u32_e32 v5, v4, v46
	v_add_u32_e32 v6, v5, v43
	v_add_u32_e32 v7, v6, v47
	v_add_u32_e32 v8, v7, v48
	v_add_u32_e32 v9, v8, v49
	v_add_u32_e32 v10, v9, v42
	v_add_u32_e32 v11, v10, v50
	v_add_u32_e32 v12, v11, v51
	v_add_u32_e32 v13, v12, v52
	v_mov_b32_e32 v19, 0
	v_add_u32_e32 v14, v13, v41
	s_waitcnt lgkmcnt(0)
	s_barrier
.LBB1317_75:
	s_waitcnt lgkmcnt(0)
	v_add_u32_e32 v36, v18, v36
	v_sub_u32_e32 v2, v2, v19
	v_and_b32_e32 v45, 1, v40
	v_sub_u32_e32 v44, v36, v2
	v_cmp_eq_u32_e32 vcc, 1, v45
	v_cndmask_b32_e32 v2, v44, v2, vcc
	v_lshlrev_b32_e32 v2, 2, v2
	v_lshrrev_b32_e32 v17, 8, v40
	ds_write_b32 v2, v32
	v_sub_u32_e32 v2, v3, v19
	v_sub_u32_e32 v3, v36, v2
	v_and_b32_e32 v17, 1, v17
	v_add_u32_e32 v3, 1, v3
	v_cmp_eq_u32_e32 vcc, 1, v17
	v_cndmask_b32_e32 v2, v3, v2, vcc
	v_lshlrev_b32_e32 v2, 2, v2
	ds_write_b32 v2, v33
	v_sub_u32_e32 v2, v4, v19
	v_mov_b32_e32 v4, 1
	v_sub_u32_e32 v3, v36, v2
	v_and_b32_sdwa v17, v4, v40 dst_sel:DWORD dst_unused:UNUSED_PAD src0_sel:DWORD src1_sel:WORD_1
	v_add_u32_e32 v3, 2, v3
	v_cmp_eq_u32_e32 vcc, 1, v17
	v_cndmask_b32_e32 v2, v3, v2, vcc
	v_lshlrev_b32_e32 v2, 2, v2
	ds_write_b32 v2, v30
	v_sub_u32_e32 v2, v5, v19
	v_sub_u32_e32 v3, v36, v2
	v_and_b32_e32 v5, 1, v43
	v_add_u32_e32 v3, 3, v3
	v_cmp_eq_u32_e32 vcc, 1, v5
	v_cndmask_b32_e32 v2, v3, v2, vcc
	v_lshlrev_b32_e32 v2, 2, v2
	ds_write_b32 v2, v31
	v_sub_u32_e32 v2, v6, v19
	v_sub_u32_e32 v3, v36, v2
	v_and_b32_e32 v5, 1, v39
	v_add_u32_e32 v3, 4, v3
	v_cmp_eq_u32_e32 vcc, 1, v5
	v_cndmask_b32_e32 v2, v3, v2, vcc
	v_lshlrev_b32_e32 v2, 2, v2
	v_lshrrev_b32_e32 v16, 8, v39
	ds_write_b32 v2, v28
	v_sub_u32_e32 v2, v7, v19
	v_sub_u32_e32 v3, v36, v2
	v_and_b32_e32 v5, 1, v16
	v_add_u32_e32 v3, 5, v3
	v_cmp_eq_u32_e32 vcc, 1, v5
	v_cndmask_b32_e32 v2, v3, v2, vcc
	v_lshlrev_b32_e32 v2, 2, v2
	ds_write_b32 v2, v29
	v_sub_u32_e32 v2, v8, v19
	v_sub_u32_e32 v3, v36, v2
	v_and_b32_sdwa v5, v4, v39 dst_sel:DWORD dst_unused:UNUSED_PAD src0_sel:DWORD src1_sel:WORD_1
	v_add_u32_e32 v3, 6, v3
	v_cmp_eq_u32_e32 vcc, 1, v5
	v_cndmask_b32_e32 v2, v3, v2, vcc
	v_lshlrev_b32_e32 v2, 2, v2
	ds_write_b32 v2, v26
	v_sub_u32_e32 v2, v9, v19
	v_sub_u32_e32 v3, v36, v2
	v_and_b32_e32 v5, 1, v42
	v_add_u32_e32 v3, 7, v3
	v_cmp_eq_u32_e32 vcc, 1, v5
	v_cndmask_b32_e32 v2, v3, v2, vcc
	v_lshlrev_b32_e32 v2, 2, v2
	ds_write_b32 v2, v27
	v_sub_u32_e32 v2, v10, v19
	v_sub_u32_e32 v3, v36, v2
	v_and_b32_e32 v5, 1, v38
	v_add_u32_e32 v3, 8, v3
	v_cmp_eq_u32_e32 vcc, 1, v5
	v_cndmask_b32_e32 v2, v3, v2, vcc
	v_lshlrev_b32_e32 v2, 2, v2
	v_lshrrev_b32_e32 v15, 8, v38
	ds_write_b32 v2, v24
	v_sub_u32_e32 v2, v11, v19
	v_sub_u32_e32 v3, v36, v2
	v_and_b32_e32 v5, 1, v15
	v_add_u32_e32 v3, 9, v3
	v_cmp_eq_u32_e32 vcc, 1, v5
	v_cndmask_b32_e32 v2, v3, v2, vcc
	v_lshlrev_b32_e32 v2, 2, v2
	ds_write_b32 v2, v25
	v_sub_u32_e32 v2, v12, v19
	v_sub_u32_e32 v3, v36, v2
	v_and_b32_sdwa v4, v4, v38 dst_sel:DWORD dst_unused:UNUSED_PAD src0_sel:DWORD src1_sel:WORD_1
	v_add_u32_e32 v3, 10, v3
	v_cmp_eq_u32_e32 vcc, 1, v4
	v_cndmask_b32_e32 v2, v3, v2, vcc
	v_lshlrev_b32_e32 v2, 2, v2
	ds_write_b32 v2, v22
	v_sub_u32_e32 v2, v13, v19
	v_sub_u32_e32 v3, v36, v2
	v_and_b32_e32 v4, 1, v41
	v_add_u32_e32 v3, 11, v3
	v_cmp_eq_u32_e32 vcc, 1, v4
	v_cndmask_b32_e32 v2, v3, v2, vcc
	v_lshlrev_b32_e32 v2, 2, v2
	ds_write_b32 v2, v23
	v_sub_u32_e32 v2, v14, v19
	v_sub_u32_e32 v3, v36, v2
	v_and_b32_e32 v4, 1, v37
	v_add_u32_e32 v3, 12, v3
	v_cmp_eq_u32_e32 vcc, 1, v4
	v_cndmask_b32_e32 v2, v3, v2, vcc
	v_lshlrev_b32_e32 v2, 2, v2
	ds_write_b32 v2, v35
	s_waitcnt lgkmcnt(0)
	s_barrier
	ds_read2st64_b32 v[12:13], v1 offset1:4
	ds_read2st64_b32 v[10:11], v1 offset0:8 offset1:12
	ds_read2st64_b32 v[8:9], v1 offset0:16 offset1:20
	;; [unrolled: 1-line block ×5, first 2 shown]
	ds_read_b32 v17, v1 offset:12288
	s_waitcnt vmcnt(0)
	v_add_co_u32_e32 v1, vcc, v20, v19
	v_addc_co_u32_e32 v16, vcc, 0, v21, vcc
	v_mov_b32_e32 v14, s29
	v_add_co_u32_e32 v15, vcc, s28, v34
	v_addc_co_u32_e32 v14, vcc, 0, v14, vcc
	v_mov_b32_e32 v19, s27
	v_sub_co_u32_e32 v15, vcc, s26, v15
	v_subb_co_u32_e32 v14, vcc, v19, v14, vcc
	v_add_co_u32_e32 v15, vcc, v15, v18
	v_addc_co_u32_e32 v14, vcc, 0, v14, vcc
	s_and_b64 vcc, exec, s[2:3]
	v_add_co_u32_e64 v19, s[2:3], v15, v1
	v_or_b32_e32 v33, 0x100, v0
	v_or_b32_e32 v32, 0x200, v0
	;; [unrolled: 1-line block ×12, first 2 shown]
	v_addc_co_u32_e64 v20, s[2:3], v14, v16, s[2:3]
	s_cbranch_vccnz .LBB1317_132
; %bb.76:
	v_cmp_ge_u32_e32 vcc, v0, v18
                                        ; implicit-def: $vgpr14_vgpr15
	s_and_saveexec_b64 s[2:3], vcc
	s_xor_b64 s[2:3], exec, s[2:3]
; %bb.77:
	v_not_b32_e32 v14, v0
	v_ashrrev_i32_e32 v15, 31, v14
	v_add_co_u32_e32 v14, vcc, v19, v14
	v_addc_co_u32_e32 v15, vcc, v20, v15, vcc
; %bb.78:
	s_andn2_saveexec_b64 s[2:3], s[2:3]
; %bb.79:
	v_add_co_u32_e32 v14, vcc, v1, v0
	v_addc_co_u32_e32 v15, vcc, 0, v16, vcc
; %bb.80:
	s_or_b64 exec, exec, s[2:3]
	v_lshlrev_b64 v[14:15], 2, v[14:15]
	v_mov_b32_e32 v21, s25
	v_add_co_u32_e32 v14, vcc, s24, v14
	v_addc_co_u32_e32 v15, vcc, v21, v15, vcc
	v_cmp_ge_u32_e32 vcc, v33, v18
	s_waitcnt lgkmcnt(6)
	global_store_dword v[14:15], v12, off
                                        ; implicit-def: $vgpr14_vgpr15
	s_and_saveexec_b64 s[2:3], vcc
	s_xor_b64 s[2:3], exec, s[2:3]
; %bb.81:
	v_xor_b32_e32 v14, 0xfffffeff, v0
	v_ashrrev_i32_e32 v15, 31, v14
	v_add_co_u32_e32 v14, vcc, v19, v14
	v_addc_co_u32_e32 v15, vcc, v20, v15, vcc
; %bb.82:
	s_andn2_saveexec_b64 s[2:3], s[2:3]
; %bb.83:
	v_add_co_u32_e32 v14, vcc, v1, v33
	v_addc_co_u32_e32 v15, vcc, 0, v16, vcc
; %bb.84:
	s_or_b64 exec, exec, s[2:3]
	v_lshlrev_b64 v[14:15], 2, v[14:15]
	v_mov_b32_e32 v21, s25
	v_add_co_u32_e32 v14, vcc, s24, v14
	v_addc_co_u32_e32 v15, vcc, v21, v15, vcc
	v_cmp_ge_u32_e32 vcc, v32, v18
	global_store_dword v[14:15], v13, off
                                        ; implicit-def: $vgpr14_vgpr15
	s_and_saveexec_b64 s[2:3], vcc
	s_xor_b64 s[2:3], exec, s[2:3]
; %bb.85:
	v_xor_b32_e32 v14, 0xfffffdff, v0
	v_ashrrev_i32_e32 v15, 31, v14
	v_add_co_u32_e32 v14, vcc, v19, v14
	v_addc_co_u32_e32 v15, vcc, v20, v15, vcc
; %bb.86:
	s_andn2_saveexec_b64 s[2:3], s[2:3]
; %bb.87:
	v_add_co_u32_e32 v14, vcc, v1, v32
	v_addc_co_u32_e32 v15, vcc, 0, v16, vcc
; %bb.88:
	s_or_b64 exec, exec, s[2:3]
	v_lshlrev_b64 v[14:15], 2, v[14:15]
	v_mov_b32_e32 v21, s25
	v_add_co_u32_e32 v14, vcc, s24, v14
	v_addc_co_u32_e32 v15, vcc, v21, v15, vcc
	v_cmp_ge_u32_e32 vcc, v31, v18
	s_waitcnt lgkmcnt(5)
	global_store_dword v[14:15], v10, off
                                        ; implicit-def: $vgpr14_vgpr15
	s_and_saveexec_b64 s[2:3], vcc
	s_xor_b64 s[2:3], exec, s[2:3]
; %bb.89:
	v_xor_b32_e32 v14, 0xfffffcff, v0
	v_ashrrev_i32_e32 v15, 31, v14
	v_add_co_u32_e32 v14, vcc, v19, v14
	v_addc_co_u32_e32 v15, vcc, v20, v15, vcc
; %bb.90:
	s_andn2_saveexec_b64 s[2:3], s[2:3]
; %bb.91:
	v_add_co_u32_e32 v14, vcc, v1, v31
	v_addc_co_u32_e32 v15, vcc, 0, v16, vcc
; %bb.92:
	s_or_b64 exec, exec, s[2:3]
	v_lshlrev_b64 v[14:15], 2, v[14:15]
	v_mov_b32_e32 v21, s25
	v_add_co_u32_e32 v14, vcc, s24, v14
	v_addc_co_u32_e32 v15, vcc, v21, v15, vcc
	v_cmp_ge_u32_e32 vcc, v30, v18
	global_store_dword v[14:15], v11, off
                                        ; implicit-def: $vgpr14_vgpr15
	s_and_saveexec_b64 s[2:3], vcc
	s_xor_b64 s[2:3], exec, s[2:3]
; %bb.93:
	v_xor_b32_e32 v14, 0xfffffbff, v0
	;; [unrolled: 43-line block ×6, first 2 shown]
	v_ashrrev_i32_e32 v15, 31, v14
	v_add_co_u32_e32 v14, vcc, v19, v14
	v_addc_co_u32_e32 v15, vcc, v20, v15, vcc
; %bb.126:
	s_andn2_saveexec_b64 s[2:3], s[2:3]
; %bb.127:
	v_add_co_u32_e32 v14, vcc, v1, v22
	v_addc_co_u32_e32 v15, vcc, 0, v16, vcc
; %bb.128:
	s_or_b64 exec, exec, s[2:3]
	s_mov_b64 s[2:3], -1
.LBB1317_129:
	s_and_saveexec_b64 s[4:5], s[2:3]
	s_cbranch_execz .LBB1317_212
.LBB1317_130:
	s_waitcnt lgkmcnt(1)
	v_lshlrev_b64 v[2:3], 2, v[14:15]
	v_mov_b32_e32 v0, s25
	v_add_co_u32_e32 v2, vcc, s24, v2
	v_addc_co_u32_e32 v3, vcc, v0, v3, vcc
	s_waitcnt lgkmcnt(0)
	global_store_dword v[2:3], v17, off
	s_or_b64 exec, exec, s[4:5]
	s_and_b64 s[0:1], s[0:1], s[22:23]
	s_and_saveexec_b64 s[2:3], s[0:1]
	s_cbranch_execnz .LBB1317_213
.LBB1317_131:
	s_endpgm
.LBB1317_132:
	s_mov_b64 s[2:3], 0
                                        ; implicit-def: $vgpr14_vgpr15
	s_cbranch_execz .LBB1317_129
; %bb.133:
	v_cmp_gt_u32_e32 vcc, s33, v0
	s_and_saveexec_b64 s[4:5], vcc
	s_cbranch_execz .LBB1317_169
; %bb.134:
	v_cmp_ge_u32_e32 vcc, v0, v18
                                        ; implicit-def: $vgpr14_vgpr15
	s_and_saveexec_b64 s[6:7], vcc
	s_xor_b64 s[6:7], exec, s[6:7]
; %bb.135:
	v_not_b32_e32 v14, v0
	v_ashrrev_i32_e32 v15, 31, v14
	v_add_co_u32_e32 v14, vcc, v19, v14
	v_addc_co_u32_e32 v15, vcc, v20, v15, vcc
; %bb.136:
	s_andn2_saveexec_b64 s[6:7], s[6:7]
; %bb.137:
	v_add_co_u32_e32 v14, vcc, v1, v0
	v_addc_co_u32_e32 v15, vcc, 0, v16, vcc
; %bb.138:
	s_or_b64 exec, exec, s[6:7]
	v_lshlrev_b64 v[14:15], 2, v[14:15]
	v_mov_b32_e32 v21, s25
	v_add_co_u32_e32 v14, vcc, s24, v14
	v_addc_co_u32_e32 v15, vcc, v21, v15, vcc
	s_waitcnt lgkmcnt(6)
	global_store_dword v[14:15], v12, off
	s_or_b64 exec, exec, s[4:5]
	v_cmp_gt_u32_e32 vcc, s33, v33
	s_and_saveexec_b64 s[4:5], vcc
	s_cbranch_execnz .LBB1317_170
.LBB1317_139:
	s_or_b64 exec, exec, s[4:5]
	v_cmp_gt_u32_e32 vcc, s33, v32
	s_and_saveexec_b64 s[4:5], vcc
	s_cbranch_execz .LBB1317_175
.LBB1317_140:
	v_cmp_ge_u32_e32 vcc, v32, v18
                                        ; implicit-def: $vgpr12_vgpr13
	s_and_saveexec_b64 s[6:7], vcc
	s_xor_b64 s[6:7], exec, s[6:7]
	s_cbranch_execz .LBB1317_142
; %bb.141:
	s_waitcnt lgkmcnt(6)
	v_xor_b32_e32 v12, 0xfffffdff, v0
	v_ashrrev_i32_e32 v13, 31, v12
	v_add_co_u32_e32 v12, vcc, v19, v12
	v_addc_co_u32_e32 v13, vcc, v20, v13, vcc
                                        ; implicit-def: $vgpr32
.LBB1317_142:
	s_andn2_saveexec_b64 s[6:7], s[6:7]
	s_cbranch_execz .LBB1317_144
; %bb.143:
	s_waitcnt lgkmcnt(6)
	v_add_co_u32_e32 v12, vcc, v1, v32
	v_addc_co_u32_e32 v13, vcc, 0, v16, vcc
.LBB1317_144:
	s_or_b64 exec, exec, s[6:7]
	s_waitcnt lgkmcnt(6)
	v_lshlrev_b64 v[12:13], 2, v[12:13]
	v_mov_b32_e32 v14, s25
	v_add_co_u32_e32 v12, vcc, s24, v12
	v_addc_co_u32_e32 v13, vcc, v14, v13, vcc
	s_waitcnt lgkmcnt(5)
	global_store_dword v[12:13], v10, off
	s_or_b64 exec, exec, s[4:5]
	v_cmp_gt_u32_e32 vcc, s33, v31
	s_and_saveexec_b64 s[4:5], vcc
	s_cbranch_execnz .LBB1317_176
.LBB1317_145:
	s_or_b64 exec, exec, s[4:5]
	v_cmp_gt_u32_e32 vcc, s33, v30
	s_and_saveexec_b64 s[4:5], vcc
	s_cbranch_execz .LBB1317_181
.LBB1317_146:
	v_cmp_ge_u32_e32 vcc, v30, v18
                                        ; implicit-def: $vgpr10_vgpr11
	s_and_saveexec_b64 s[6:7], vcc
	s_xor_b64 s[6:7], exec, s[6:7]
	s_cbranch_execz .LBB1317_148
; %bb.147:
	s_waitcnt lgkmcnt(5)
	v_xor_b32_e32 v10, 0xfffffbff, v0
	v_ashrrev_i32_e32 v11, 31, v10
	v_add_co_u32_e32 v10, vcc, v19, v10
	v_addc_co_u32_e32 v11, vcc, v20, v11, vcc
                                        ; implicit-def: $vgpr30
.LBB1317_148:
	s_andn2_saveexec_b64 s[6:7], s[6:7]
	s_cbranch_execz .LBB1317_150
; %bb.149:
	s_waitcnt lgkmcnt(5)
	v_add_co_u32_e32 v10, vcc, v1, v30
	v_addc_co_u32_e32 v11, vcc, 0, v16, vcc
.LBB1317_150:
	s_or_b64 exec, exec, s[6:7]
	s_waitcnt lgkmcnt(5)
	v_lshlrev_b64 v[10:11], 2, v[10:11]
	v_mov_b32_e32 v12, s25
	v_add_co_u32_e32 v10, vcc, s24, v10
	v_addc_co_u32_e32 v11, vcc, v12, v11, vcc
	s_waitcnt lgkmcnt(4)
	global_store_dword v[10:11], v8, off
	s_or_b64 exec, exec, s[4:5]
	v_cmp_gt_u32_e32 vcc, s33, v29
	s_and_saveexec_b64 s[4:5], vcc
	s_cbranch_execnz .LBB1317_182
.LBB1317_151:
	s_or_b64 exec, exec, s[4:5]
	v_cmp_gt_u32_e32 vcc, s33, v28
	s_and_saveexec_b64 s[4:5], vcc
	s_cbranch_execz .LBB1317_187
.LBB1317_152:
	v_cmp_ge_u32_e32 vcc, v28, v18
                                        ; implicit-def: $vgpr8_vgpr9
	s_and_saveexec_b64 s[6:7], vcc
	s_xor_b64 s[6:7], exec, s[6:7]
	s_cbranch_execz .LBB1317_154
; %bb.153:
	s_waitcnt lgkmcnt(4)
	v_xor_b32_e32 v8, 0xfffff9ff, v0
	v_ashrrev_i32_e32 v9, 31, v8
	v_add_co_u32_e32 v8, vcc, v19, v8
	v_addc_co_u32_e32 v9, vcc, v20, v9, vcc
                                        ; implicit-def: $vgpr28
.LBB1317_154:
	s_andn2_saveexec_b64 s[6:7], s[6:7]
	s_cbranch_execz .LBB1317_156
; %bb.155:
	s_waitcnt lgkmcnt(4)
	v_add_co_u32_e32 v8, vcc, v1, v28
	v_addc_co_u32_e32 v9, vcc, 0, v16, vcc
.LBB1317_156:
	s_or_b64 exec, exec, s[6:7]
	s_waitcnt lgkmcnt(4)
	v_lshlrev_b64 v[8:9], 2, v[8:9]
	v_mov_b32_e32 v10, s25
	v_add_co_u32_e32 v8, vcc, s24, v8
	v_addc_co_u32_e32 v9, vcc, v10, v9, vcc
	s_waitcnt lgkmcnt(3)
	global_store_dword v[8:9], v6, off
	s_or_b64 exec, exec, s[4:5]
	v_cmp_gt_u32_e32 vcc, s33, v27
	s_and_saveexec_b64 s[4:5], vcc
	s_cbranch_execnz .LBB1317_188
.LBB1317_157:
	s_or_b64 exec, exec, s[4:5]
	v_cmp_gt_u32_e32 vcc, s33, v26
	s_and_saveexec_b64 s[4:5], vcc
	s_cbranch_execz .LBB1317_193
.LBB1317_158:
	v_cmp_ge_u32_e32 vcc, v26, v18
                                        ; implicit-def: $vgpr6_vgpr7
	s_and_saveexec_b64 s[6:7], vcc
	s_xor_b64 s[6:7], exec, s[6:7]
	s_cbranch_execz .LBB1317_160
; %bb.159:
	s_waitcnt lgkmcnt(3)
	v_xor_b32_e32 v6, 0xfffff7ff, v0
	v_ashrrev_i32_e32 v7, 31, v6
	v_add_co_u32_e32 v6, vcc, v19, v6
	v_addc_co_u32_e32 v7, vcc, v20, v7, vcc
                                        ; implicit-def: $vgpr26
.LBB1317_160:
	s_andn2_saveexec_b64 s[6:7], s[6:7]
	s_cbranch_execz .LBB1317_162
; %bb.161:
	s_waitcnt lgkmcnt(3)
	v_add_co_u32_e32 v6, vcc, v1, v26
	v_addc_co_u32_e32 v7, vcc, 0, v16, vcc
.LBB1317_162:
	s_or_b64 exec, exec, s[6:7]
	s_waitcnt lgkmcnt(3)
	v_lshlrev_b64 v[6:7], 2, v[6:7]
	v_mov_b32_e32 v8, s25
	v_add_co_u32_e32 v6, vcc, s24, v6
	v_addc_co_u32_e32 v7, vcc, v8, v7, vcc
	s_waitcnt lgkmcnt(2)
	global_store_dword v[6:7], v4, off
	s_or_b64 exec, exec, s[4:5]
	v_cmp_gt_u32_e32 vcc, s33, v25
	s_and_saveexec_b64 s[4:5], vcc
	s_cbranch_execnz .LBB1317_194
.LBB1317_163:
	s_or_b64 exec, exec, s[4:5]
	v_cmp_gt_u32_e32 vcc, s33, v24
	s_and_saveexec_b64 s[4:5], vcc
	s_cbranch_execz .LBB1317_199
.LBB1317_164:
	v_cmp_ge_u32_e32 vcc, v24, v18
                                        ; implicit-def: $vgpr4_vgpr5
	s_and_saveexec_b64 s[6:7], vcc
	s_xor_b64 s[6:7], exec, s[6:7]
	s_cbranch_execz .LBB1317_166
; %bb.165:
	s_waitcnt lgkmcnt(2)
	v_xor_b32_e32 v4, 0xfffff5ff, v0
	v_ashrrev_i32_e32 v5, 31, v4
	v_add_co_u32_e32 v4, vcc, v19, v4
	v_addc_co_u32_e32 v5, vcc, v20, v5, vcc
                                        ; implicit-def: $vgpr24
.LBB1317_166:
	s_andn2_saveexec_b64 s[6:7], s[6:7]
	s_cbranch_execz .LBB1317_168
; %bb.167:
	s_waitcnt lgkmcnt(2)
	v_add_co_u32_e32 v4, vcc, v1, v24
	v_addc_co_u32_e32 v5, vcc, 0, v16, vcc
.LBB1317_168:
	s_or_b64 exec, exec, s[6:7]
	s_waitcnt lgkmcnt(2)
	v_lshlrev_b64 v[4:5], 2, v[4:5]
	v_mov_b32_e32 v6, s25
	v_add_co_u32_e32 v4, vcc, s24, v4
	v_addc_co_u32_e32 v5, vcc, v6, v5, vcc
	s_waitcnt lgkmcnt(1)
	global_store_dword v[4:5], v2, off
	s_or_b64 exec, exec, s[4:5]
	v_cmp_gt_u32_e32 vcc, s33, v23
	s_and_saveexec_b64 s[4:5], vcc
	s_cbranch_execz .LBB1317_205
	s_branch .LBB1317_200
.LBB1317_169:
	s_or_b64 exec, exec, s[4:5]
	v_cmp_gt_u32_e32 vcc, s33, v33
	s_and_saveexec_b64 s[4:5], vcc
	s_cbranch_execz .LBB1317_139
.LBB1317_170:
	v_cmp_ge_u32_e32 vcc, v33, v18
                                        ; implicit-def: $vgpr14_vgpr15
	s_and_saveexec_b64 s[6:7], vcc
	s_xor_b64 s[6:7], exec, s[6:7]
	s_cbranch_execz .LBB1317_172
; %bb.171:
	s_waitcnt lgkmcnt(6)
	v_xor_b32_e32 v12, 0xfffffeff, v0
	v_ashrrev_i32_e32 v15, 31, v12
	v_add_co_u32_e32 v14, vcc, v19, v12
	v_addc_co_u32_e32 v15, vcc, v20, v15, vcc
                                        ; implicit-def: $vgpr33
.LBB1317_172:
	s_andn2_saveexec_b64 s[6:7], s[6:7]
; %bb.173:
	v_add_co_u32_e32 v14, vcc, v1, v33
	v_addc_co_u32_e32 v15, vcc, 0, v16, vcc
; %bb.174:
	s_or_b64 exec, exec, s[6:7]
	v_lshlrev_b64 v[14:15], 2, v[14:15]
	s_waitcnt lgkmcnt(6)
	v_mov_b32_e32 v12, s25
	v_add_co_u32_e32 v14, vcc, s24, v14
	v_addc_co_u32_e32 v15, vcc, v12, v15, vcc
	global_store_dword v[14:15], v13, off
	s_or_b64 exec, exec, s[4:5]
	v_cmp_gt_u32_e32 vcc, s33, v32
	s_and_saveexec_b64 s[4:5], vcc
	s_cbranch_execnz .LBB1317_140
.LBB1317_175:
	s_or_b64 exec, exec, s[4:5]
	v_cmp_gt_u32_e32 vcc, s33, v31
	s_and_saveexec_b64 s[4:5], vcc
	s_cbranch_execz .LBB1317_145
.LBB1317_176:
	v_cmp_ge_u32_e32 vcc, v31, v18
                                        ; implicit-def: $vgpr12_vgpr13
	s_and_saveexec_b64 s[6:7], vcc
	s_xor_b64 s[6:7], exec, s[6:7]
	s_cbranch_execz .LBB1317_178
; %bb.177:
	s_waitcnt lgkmcnt(5)
	v_xor_b32_e32 v10, 0xfffffcff, v0
	v_ashrrev_i32_e32 v13, 31, v10
	v_add_co_u32_e32 v12, vcc, v19, v10
	v_addc_co_u32_e32 v13, vcc, v20, v13, vcc
                                        ; implicit-def: $vgpr31
.LBB1317_178:
	s_andn2_saveexec_b64 s[6:7], s[6:7]
	s_cbranch_execz .LBB1317_180
; %bb.179:
	s_waitcnt lgkmcnt(6)
	v_add_co_u32_e32 v12, vcc, v1, v31
	v_addc_co_u32_e32 v13, vcc, 0, v16, vcc
.LBB1317_180:
	s_or_b64 exec, exec, s[6:7]
	s_waitcnt lgkmcnt(6)
	v_lshlrev_b64 v[12:13], 2, v[12:13]
	s_waitcnt lgkmcnt(5)
	v_mov_b32_e32 v10, s25
	v_add_co_u32_e32 v12, vcc, s24, v12
	v_addc_co_u32_e32 v13, vcc, v10, v13, vcc
	global_store_dword v[12:13], v11, off
	s_or_b64 exec, exec, s[4:5]
	v_cmp_gt_u32_e32 vcc, s33, v30
	s_and_saveexec_b64 s[4:5], vcc
	s_cbranch_execnz .LBB1317_146
.LBB1317_181:
	s_or_b64 exec, exec, s[4:5]
	v_cmp_gt_u32_e32 vcc, s33, v29
	s_and_saveexec_b64 s[4:5], vcc
	s_cbranch_execz .LBB1317_151
.LBB1317_182:
	v_cmp_ge_u32_e32 vcc, v29, v18
                                        ; implicit-def: $vgpr10_vgpr11
	s_and_saveexec_b64 s[6:7], vcc
	s_xor_b64 s[6:7], exec, s[6:7]
	s_cbranch_execz .LBB1317_184
; %bb.183:
	s_waitcnt lgkmcnt(4)
	v_xor_b32_e32 v8, 0xfffffaff, v0
	v_ashrrev_i32_e32 v11, 31, v8
	v_add_co_u32_e32 v10, vcc, v19, v8
	v_addc_co_u32_e32 v11, vcc, v20, v11, vcc
                                        ; implicit-def: $vgpr29
.LBB1317_184:
	s_andn2_saveexec_b64 s[6:7], s[6:7]
	s_cbranch_execz .LBB1317_186
; %bb.185:
	s_waitcnt lgkmcnt(5)
	v_add_co_u32_e32 v10, vcc, v1, v29
	v_addc_co_u32_e32 v11, vcc, 0, v16, vcc
.LBB1317_186:
	s_or_b64 exec, exec, s[6:7]
	s_waitcnt lgkmcnt(5)
	v_lshlrev_b64 v[10:11], 2, v[10:11]
	s_waitcnt lgkmcnt(4)
	v_mov_b32_e32 v8, s25
	v_add_co_u32_e32 v10, vcc, s24, v10
	v_addc_co_u32_e32 v11, vcc, v8, v11, vcc
	global_store_dword v[10:11], v9, off
	s_or_b64 exec, exec, s[4:5]
	v_cmp_gt_u32_e32 vcc, s33, v28
	s_and_saveexec_b64 s[4:5], vcc
	s_cbranch_execnz .LBB1317_152
.LBB1317_187:
	s_or_b64 exec, exec, s[4:5]
	v_cmp_gt_u32_e32 vcc, s33, v27
	s_and_saveexec_b64 s[4:5], vcc
	s_cbranch_execz .LBB1317_157
.LBB1317_188:
	v_cmp_ge_u32_e32 vcc, v27, v18
                                        ; implicit-def: $vgpr8_vgpr9
	s_and_saveexec_b64 s[6:7], vcc
	s_xor_b64 s[6:7], exec, s[6:7]
	s_cbranch_execz .LBB1317_190
; %bb.189:
	s_waitcnt lgkmcnt(3)
	v_xor_b32_e32 v6, 0xfffff8ff, v0
	v_ashrrev_i32_e32 v9, 31, v6
	v_add_co_u32_e32 v8, vcc, v19, v6
	v_addc_co_u32_e32 v9, vcc, v20, v9, vcc
                                        ; implicit-def: $vgpr27
.LBB1317_190:
	s_andn2_saveexec_b64 s[6:7], s[6:7]
	s_cbranch_execz .LBB1317_192
; %bb.191:
	s_waitcnt lgkmcnt(4)
	v_add_co_u32_e32 v8, vcc, v1, v27
	v_addc_co_u32_e32 v9, vcc, 0, v16, vcc
.LBB1317_192:
	s_or_b64 exec, exec, s[6:7]
	s_waitcnt lgkmcnt(4)
	v_lshlrev_b64 v[8:9], 2, v[8:9]
	s_waitcnt lgkmcnt(3)
	v_mov_b32_e32 v6, s25
	v_add_co_u32_e32 v8, vcc, s24, v8
	v_addc_co_u32_e32 v9, vcc, v6, v9, vcc
	global_store_dword v[8:9], v7, off
	s_or_b64 exec, exec, s[4:5]
	v_cmp_gt_u32_e32 vcc, s33, v26
	s_and_saveexec_b64 s[4:5], vcc
	s_cbranch_execnz .LBB1317_158
.LBB1317_193:
	s_or_b64 exec, exec, s[4:5]
	v_cmp_gt_u32_e32 vcc, s33, v25
	s_and_saveexec_b64 s[4:5], vcc
	s_cbranch_execz .LBB1317_163
.LBB1317_194:
	v_cmp_ge_u32_e32 vcc, v25, v18
                                        ; implicit-def: $vgpr6_vgpr7
	s_and_saveexec_b64 s[6:7], vcc
	s_xor_b64 s[6:7], exec, s[6:7]
	s_cbranch_execz .LBB1317_196
; %bb.195:
	s_waitcnt lgkmcnt(2)
	v_xor_b32_e32 v4, 0xfffff6ff, v0
	v_ashrrev_i32_e32 v7, 31, v4
	v_add_co_u32_e32 v6, vcc, v19, v4
	v_addc_co_u32_e32 v7, vcc, v20, v7, vcc
                                        ; implicit-def: $vgpr25
.LBB1317_196:
	s_andn2_saveexec_b64 s[6:7], s[6:7]
	s_cbranch_execz .LBB1317_198
; %bb.197:
	s_waitcnt lgkmcnt(3)
	v_add_co_u32_e32 v6, vcc, v1, v25
	v_addc_co_u32_e32 v7, vcc, 0, v16, vcc
.LBB1317_198:
	s_or_b64 exec, exec, s[6:7]
	s_waitcnt lgkmcnt(3)
	v_lshlrev_b64 v[6:7], 2, v[6:7]
	s_waitcnt lgkmcnt(2)
	v_mov_b32_e32 v4, s25
	v_add_co_u32_e32 v6, vcc, s24, v6
	v_addc_co_u32_e32 v7, vcc, v4, v7, vcc
	global_store_dword v[6:7], v5, off
	s_or_b64 exec, exec, s[4:5]
	v_cmp_gt_u32_e32 vcc, s33, v24
	s_and_saveexec_b64 s[4:5], vcc
	s_cbranch_execnz .LBB1317_164
.LBB1317_199:
	s_or_b64 exec, exec, s[4:5]
	v_cmp_gt_u32_e32 vcc, s33, v23
	s_and_saveexec_b64 s[4:5], vcc
	s_cbranch_execz .LBB1317_205
.LBB1317_200:
	v_cmp_ge_u32_e32 vcc, v23, v18
                                        ; implicit-def: $vgpr4_vgpr5
	s_and_saveexec_b64 s[6:7], vcc
	s_xor_b64 s[6:7], exec, s[6:7]
	s_cbranch_execz .LBB1317_202
; %bb.201:
	s_waitcnt lgkmcnt(1)
	v_xor_b32_e32 v2, 0xfffff4ff, v0
	v_ashrrev_i32_e32 v5, 31, v2
	v_add_co_u32_e32 v4, vcc, v19, v2
	v_addc_co_u32_e32 v5, vcc, v20, v5, vcc
                                        ; implicit-def: $vgpr23
.LBB1317_202:
	s_andn2_saveexec_b64 s[6:7], s[6:7]
	s_cbranch_execz .LBB1317_204
; %bb.203:
	s_waitcnt lgkmcnt(2)
	v_add_co_u32_e32 v4, vcc, v1, v23
	v_addc_co_u32_e32 v5, vcc, 0, v16, vcc
.LBB1317_204:
	s_or_b64 exec, exec, s[6:7]
	s_waitcnt lgkmcnt(2)
	v_lshlrev_b64 v[4:5], 2, v[4:5]
	s_waitcnt lgkmcnt(1)
	v_mov_b32_e32 v2, s25
	v_add_co_u32_e32 v4, vcc, s24, v4
	v_addc_co_u32_e32 v5, vcc, v2, v5, vcc
	global_store_dword v[4:5], v3, off
.LBB1317_205:
	s_or_b64 exec, exec, s[4:5]
	v_cmp_gt_u32_e32 vcc, s33, v22
                                        ; implicit-def: $vgpr14_vgpr15
	s_and_saveexec_b64 s[4:5], vcc
	s_cbranch_execz .LBB1317_211
; %bb.206:
	v_cmp_ge_u32_e32 vcc, v22, v18
                                        ; implicit-def: $vgpr14_vgpr15
	s_and_saveexec_b64 s[6:7], vcc
	s_xor_b64 s[6:7], exec, s[6:7]
	s_cbranch_execz .LBB1317_208
; %bb.207:
	v_xor_b32_e32 v0, 0xfffff3ff, v0
	s_waitcnt lgkmcnt(1)
	v_ashrrev_i32_e32 v2, 31, v0
	v_add_co_u32_e32 v14, vcc, v19, v0
	v_addc_co_u32_e32 v15, vcc, v20, v2, vcc
                                        ; implicit-def: $vgpr22
.LBB1317_208:
	s_andn2_saveexec_b64 s[6:7], s[6:7]
; %bb.209:
	v_add_co_u32_e32 v14, vcc, v1, v22
	v_addc_co_u32_e32 v15, vcc, 0, v16, vcc
; %bb.210:
	s_or_b64 exec, exec, s[6:7]
	s_or_b64 s[2:3], s[2:3], exec
.LBB1317_211:
	s_or_b64 exec, exec, s[4:5]
	s_and_saveexec_b64 s[4:5], s[2:3]
	s_cbranch_execnz .LBB1317_130
.LBB1317_212:
	s_or_b64 exec, exec, s[4:5]
	s_and_b64 s[0:1], s[0:1], s[22:23]
	s_and_saveexec_b64 s[2:3], s[0:1]
	s_cbranch_execz .LBB1317_131
.LBB1317_213:
	v_add_co_u32_e32 v0, vcc, v1, v18
	s_waitcnt lgkmcnt(1)
	v_mov_b32_e32 v2, 0
	v_addc_co_u32_e32 v1, vcc, 0, v16, vcc
	global_store_dwordx2 v2, v[0:1], s[20:21]
	s_endpgm
	.section	.rodata,"a",@progbits
	.p2align	6, 0x0
	.amdhsa_kernel _ZN7rocprim17ROCPRIM_400000_NS6detail17trampoline_kernelINS0_13select_configILj256ELj13ELNS0_17block_load_methodE3ELS4_3ELS4_3ELNS0_20block_scan_algorithmE0ELj4294967295EEENS1_25partition_config_selectorILNS1_17partition_subalgoE3EjNS0_10empty_typeEbEEZZNS1_14partition_implILS8_3ELb0ES6_jNS0_17counting_iteratorIjlEEPS9_SE_NS0_5tupleIJPjSE_EEENSF_IJSE_SE_EEES9_SG_JZNS1_25segmented_radix_sort_implINS0_14default_configELb1EPKfPfPKlPlN2at6native12_GLOBAL__N_18offset_tEEE10hipError_tPvRmT1_PNSt15iterator_traitsISY_E10value_typeET2_T3_PNSZ_IS14_E10value_typeET4_jRbjT5_S1A_jjP12ihipStream_tbEUljE_EEESV_SW_SX_S14_S18_S1A_T6_T7_T9_mT8_S1C_bDpT10_ENKUlT_T0_E_clISt17integral_constantIbLb0EES1O_IbLb1EEEEDaS1K_S1L_EUlS1K_E_NS1_11comp_targetILNS1_3genE4ELNS1_11target_archE910ELNS1_3gpuE8ELNS1_3repE0EEENS1_30default_config_static_selectorELNS0_4arch9wavefront6targetE1EEEvSY_
		.amdhsa_group_segment_fixed_size 13324
		.amdhsa_private_segment_fixed_size 0
		.amdhsa_kernarg_size 152
		.amdhsa_user_sgpr_count 6
		.amdhsa_user_sgpr_private_segment_buffer 1
		.amdhsa_user_sgpr_dispatch_ptr 0
		.amdhsa_user_sgpr_queue_ptr 0
		.amdhsa_user_sgpr_kernarg_segment_ptr 1
		.amdhsa_user_sgpr_dispatch_id 0
		.amdhsa_user_sgpr_flat_scratch_init 0
		.amdhsa_user_sgpr_kernarg_preload_length 0
		.amdhsa_user_sgpr_kernarg_preload_offset 0
		.amdhsa_user_sgpr_private_segment_size 0
		.amdhsa_uses_dynamic_stack 0
		.amdhsa_system_sgpr_private_segment_wavefront_offset 0
		.amdhsa_system_sgpr_workgroup_id_x 1
		.amdhsa_system_sgpr_workgroup_id_y 0
		.amdhsa_system_sgpr_workgroup_id_z 0
		.amdhsa_system_sgpr_workgroup_info 0
		.amdhsa_system_vgpr_workitem_id 0
		.amdhsa_next_free_vgpr 64
		.amdhsa_next_free_sgpr 44
		.amdhsa_accum_offset 64
		.amdhsa_reserve_vcc 1
		.amdhsa_reserve_flat_scratch 0
		.amdhsa_float_round_mode_32 0
		.amdhsa_float_round_mode_16_64 0
		.amdhsa_float_denorm_mode_32 3
		.amdhsa_float_denorm_mode_16_64 3
		.amdhsa_dx10_clamp 1
		.amdhsa_ieee_mode 1
		.amdhsa_fp16_overflow 0
		.amdhsa_tg_split 0
		.amdhsa_exception_fp_ieee_invalid_op 0
		.amdhsa_exception_fp_denorm_src 0
		.amdhsa_exception_fp_ieee_div_zero 0
		.amdhsa_exception_fp_ieee_overflow 0
		.amdhsa_exception_fp_ieee_underflow 0
		.amdhsa_exception_fp_ieee_inexact 0
		.amdhsa_exception_int_div_zero 0
	.end_amdhsa_kernel
	.section	.text._ZN7rocprim17ROCPRIM_400000_NS6detail17trampoline_kernelINS0_13select_configILj256ELj13ELNS0_17block_load_methodE3ELS4_3ELS4_3ELNS0_20block_scan_algorithmE0ELj4294967295EEENS1_25partition_config_selectorILNS1_17partition_subalgoE3EjNS0_10empty_typeEbEEZZNS1_14partition_implILS8_3ELb0ES6_jNS0_17counting_iteratorIjlEEPS9_SE_NS0_5tupleIJPjSE_EEENSF_IJSE_SE_EEES9_SG_JZNS1_25segmented_radix_sort_implINS0_14default_configELb1EPKfPfPKlPlN2at6native12_GLOBAL__N_18offset_tEEE10hipError_tPvRmT1_PNSt15iterator_traitsISY_E10value_typeET2_T3_PNSZ_IS14_E10value_typeET4_jRbjT5_S1A_jjP12ihipStream_tbEUljE_EEESV_SW_SX_S14_S18_S1A_T6_T7_T9_mT8_S1C_bDpT10_ENKUlT_T0_E_clISt17integral_constantIbLb0EES1O_IbLb1EEEEDaS1K_S1L_EUlS1K_E_NS1_11comp_targetILNS1_3genE4ELNS1_11target_archE910ELNS1_3gpuE8ELNS1_3repE0EEENS1_30default_config_static_selectorELNS0_4arch9wavefront6targetE1EEEvSY_,"axG",@progbits,_ZN7rocprim17ROCPRIM_400000_NS6detail17trampoline_kernelINS0_13select_configILj256ELj13ELNS0_17block_load_methodE3ELS4_3ELS4_3ELNS0_20block_scan_algorithmE0ELj4294967295EEENS1_25partition_config_selectorILNS1_17partition_subalgoE3EjNS0_10empty_typeEbEEZZNS1_14partition_implILS8_3ELb0ES6_jNS0_17counting_iteratorIjlEEPS9_SE_NS0_5tupleIJPjSE_EEENSF_IJSE_SE_EEES9_SG_JZNS1_25segmented_radix_sort_implINS0_14default_configELb1EPKfPfPKlPlN2at6native12_GLOBAL__N_18offset_tEEE10hipError_tPvRmT1_PNSt15iterator_traitsISY_E10value_typeET2_T3_PNSZ_IS14_E10value_typeET4_jRbjT5_S1A_jjP12ihipStream_tbEUljE_EEESV_SW_SX_S14_S18_S1A_T6_T7_T9_mT8_S1C_bDpT10_ENKUlT_T0_E_clISt17integral_constantIbLb0EES1O_IbLb1EEEEDaS1K_S1L_EUlS1K_E_NS1_11comp_targetILNS1_3genE4ELNS1_11target_archE910ELNS1_3gpuE8ELNS1_3repE0EEENS1_30default_config_static_selectorELNS0_4arch9wavefront6targetE1EEEvSY_,comdat
.Lfunc_end1317:
	.size	_ZN7rocprim17ROCPRIM_400000_NS6detail17trampoline_kernelINS0_13select_configILj256ELj13ELNS0_17block_load_methodE3ELS4_3ELS4_3ELNS0_20block_scan_algorithmE0ELj4294967295EEENS1_25partition_config_selectorILNS1_17partition_subalgoE3EjNS0_10empty_typeEbEEZZNS1_14partition_implILS8_3ELb0ES6_jNS0_17counting_iteratorIjlEEPS9_SE_NS0_5tupleIJPjSE_EEENSF_IJSE_SE_EEES9_SG_JZNS1_25segmented_radix_sort_implINS0_14default_configELb1EPKfPfPKlPlN2at6native12_GLOBAL__N_18offset_tEEE10hipError_tPvRmT1_PNSt15iterator_traitsISY_E10value_typeET2_T3_PNSZ_IS14_E10value_typeET4_jRbjT5_S1A_jjP12ihipStream_tbEUljE_EEESV_SW_SX_S14_S18_S1A_T6_T7_T9_mT8_S1C_bDpT10_ENKUlT_T0_E_clISt17integral_constantIbLb0EES1O_IbLb1EEEEDaS1K_S1L_EUlS1K_E_NS1_11comp_targetILNS1_3genE4ELNS1_11target_archE910ELNS1_3gpuE8ELNS1_3repE0EEENS1_30default_config_static_selectorELNS0_4arch9wavefront6targetE1EEEvSY_, .Lfunc_end1317-_ZN7rocprim17ROCPRIM_400000_NS6detail17trampoline_kernelINS0_13select_configILj256ELj13ELNS0_17block_load_methodE3ELS4_3ELS4_3ELNS0_20block_scan_algorithmE0ELj4294967295EEENS1_25partition_config_selectorILNS1_17partition_subalgoE3EjNS0_10empty_typeEbEEZZNS1_14partition_implILS8_3ELb0ES6_jNS0_17counting_iteratorIjlEEPS9_SE_NS0_5tupleIJPjSE_EEENSF_IJSE_SE_EEES9_SG_JZNS1_25segmented_radix_sort_implINS0_14default_configELb1EPKfPfPKlPlN2at6native12_GLOBAL__N_18offset_tEEE10hipError_tPvRmT1_PNSt15iterator_traitsISY_E10value_typeET2_T3_PNSZ_IS14_E10value_typeET4_jRbjT5_S1A_jjP12ihipStream_tbEUljE_EEESV_SW_SX_S14_S18_S1A_T6_T7_T9_mT8_S1C_bDpT10_ENKUlT_T0_E_clISt17integral_constantIbLb0EES1O_IbLb1EEEEDaS1K_S1L_EUlS1K_E_NS1_11comp_targetILNS1_3genE4ELNS1_11target_archE910ELNS1_3gpuE8ELNS1_3repE0EEENS1_30default_config_static_selectorELNS0_4arch9wavefront6targetE1EEEvSY_
                                        ; -- End function
	.section	.AMDGPU.csdata,"",@progbits
; Kernel info:
; codeLenInByte = 7816
; NumSgprs: 48
; NumVgprs: 64
; NumAgprs: 0
; TotalNumVgprs: 64
; ScratchSize: 0
; MemoryBound: 0
; FloatMode: 240
; IeeeMode: 1
; LDSByteSize: 13324 bytes/workgroup (compile time only)
; SGPRBlocks: 5
; VGPRBlocks: 7
; NumSGPRsForWavesPerEU: 48
; NumVGPRsForWavesPerEU: 64
; AccumOffset: 64
; Occupancy: 4
; WaveLimiterHint : 0
; COMPUTE_PGM_RSRC2:SCRATCH_EN: 0
; COMPUTE_PGM_RSRC2:USER_SGPR: 6
; COMPUTE_PGM_RSRC2:TRAP_HANDLER: 0
; COMPUTE_PGM_RSRC2:TGID_X_EN: 1
; COMPUTE_PGM_RSRC2:TGID_Y_EN: 0
; COMPUTE_PGM_RSRC2:TGID_Z_EN: 0
; COMPUTE_PGM_RSRC2:TIDIG_COMP_CNT: 0
; COMPUTE_PGM_RSRC3_GFX90A:ACCUM_OFFSET: 15
; COMPUTE_PGM_RSRC3_GFX90A:TG_SPLIT: 0
	.section	.text._ZN7rocprim17ROCPRIM_400000_NS6detail17trampoline_kernelINS0_13select_configILj256ELj13ELNS0_17block_load_methodE3ELS4_3ELS4_3ELNS0_20block_scan_algorithmE0ELj4294967295EEENS1_25partition_config_selectorILNS1_17partition_subalgoE3EjNS0_10empty_typeEbEEZZNS1_14partition_implILS8_3ELb0ES6_jNS0_17counting_iteratorIjlEEPS9_SE_NS0_5tupleIJPjSE_EEENSF_IJSE_SE_EEES9_SG_JZNS1_25segmented_radix_sort_implINS0_14default_configELb1EPKfPfPKlPlN2at6native12_GLOBAL__N_18offset_tEEE10hipError_tPvRmT1_PNSt15iterator_traitsISY_E10value_typeET2_T3_PNSZ_IS14_E10value_typeET4_jRbjT5_S1A_jjP12ihipStream_tbEUljE_EEESV_SW_SX_S14_S18_S1A_T6_T7_T9_mT8_S1C_bDpT10_ENKUlT_T0_E_clISt17integral_constantIbLb0EES1O_IbLb1EEEEDaS1K_S1L_EUlS1K_E_NS1_11comp_targetILNS1_3genE3ELNS1_11target_archE908ELNS1_3gpuE7ELNS1_3repE0EEENS1_30default_config_static_selectorELNS0_4arch9wavefront6targetE1EEEvSY_,"axG",@progbits,_ZN7rocprim17ROCPRIM_400000_NS6detail17trampoline_kernelINS0_13select_configILj256ELj13ELNS0_17block_load_methodE3ELS4_3ELS4_3ELNS0_20block_scan_algorithmE0ELj4294967295EEENS1_25partition_config_selectorILNS1_17partition_subalgoE3EjNS0_10empty_typeEbEEZZNS1_14partition_implILS8_3ELb0ES6_jNS0_17counting_iteratorIjlEEPS9_SE_NS0_5tupleIJPjSE_EEENSF_IJSE_SE_EEES9_SG_JZNS1_25segmented_radix_sort_implINS0_14default_configELb1EPKfPfPKlPlN2at6native12_GLOBAL__N_18offset_tEEE10hipError_tPvRmT1_PNSt15iterator_traitsISY_E10value_typeET2_T3_PNSZ_IS14_E10value_typeET4_jRbjT5_S1A_jjP12ihipStream_tbEUljE_EEESV_SW_SX_S14_S18_S1A_T6_T7_T9_mT8_S1C_bDpT10_ENKUlT_T0_E_clISt17integral_constantIbLb0EES1O_IbLb1EEEEDaS1K_S1L_EUlS1K_E_NS1_11comp_targetILNS1_3genE3ELNS1_11target_archE908ELNS1_3gpuE7ELNS1_3repE0EEENS1_30default_config_static_selectorELNS0_4arch9wavefront6targetE1EEEvSY_,comdat
	.globl	_ZN7rocprim17ROCPRIM_400000_NS6detail17trampoline_kernelINS0_13select_configILj256ELj13ELNS0_17block_load_methodE3ELS4_3ELS4_3ELNS0_20block_scan_algorithmE0ELj4294967295EEENS1_25partition_config_selectorILNS1_17partition_subalgoE3EjNS0_10empty_typeEbEEZZNS1_14partition_implILS8_3ELb0ES6_jNS0_17counting_iteratorIjlEEPS9_SE_NS0_5tupleIJPjSE_EEENSF_IJSE_SE_EEES9_SG_JZNS1_25segmented_radix_sort_implINS0_14default_configELb1EPKfPfPKlPlN2at6native12_GLOBAL__N_18offset_tEEE10hipError_tPvRmT1_PNSt15iterator_traitsISY_E10value_typeET2_T3_PNSZ_IS14_E10value_typeET4_jRbjT5_S1A_jjP12ihipStream_tbEUljE_EEESV_SW_SX_S14_S18_S1A_T6_T7_T9_mT8_S1C_bDpT10_ENKUlT_T0_E_clISt17integral_constantIbLb0EES1O_IbLb1EEEEDaS1K_S1L_EUlS1K_E_NS1_11comp_targetILNS1_3genE3ELNS1_11target_archE908ELNS1_3gpuE7ELNS1_3repE0EEENS1_30default_config_static_selectorELNS0_4arch9wavefront6targetE1EEEvSY_ ; -- Begin function _ZN7rocprim17ROCPRIM_400000_NS6detail17trampoline_kernelINS0_13select_configILj256ELj13ELNS0_17block_load_methodE3ELS4_3ELS4_3ELNS0_20block_scan_algorithmE0ELj4294967295EEENS1_25partition_config_selectorILNS1_17partition_subalgoE3EjNS0_10empty_typeEbEEZZNS1_14partition_implILS8_3ELb0ES6_jNS0_17counting_iteratorIjlEEPS9_SE_NS0_5tupleIJPjSE_EEENSF_IJSE_SE_EEES9_SG_JZNS1_25segmented_radix_sort_implINS0_14default_configELb1EPKfPfPKlPlN2at6native12_GLOBAL__N_18offset_tEEE10hipError_tPvRmT1_PNSt15iterator_traitsISY_E10value_typeET2_T3_PNSZ_IS14_E10value_typeET4_jRbjT5_S1A_jjP12ihipStream_tbEUljE_EEESV_SW_SX_S14_S18_S1A_T6_T7_T9_mT8_S1C_bDpT10_ENKUlT_T0_E_clISt17integral_constantIbLb0EES1O_IbLb1EEEEDaS1K_S1L_EUlS1K_E_NS1_11comp_targetILNS1_3genE3ELNS1_11target_archE908ELNS1_3gpuE7ELNS1_3repE0EEENS1_30default_config_static_selectorELNS0_4arch9wavefront6targetE1EEEvSY_
	.p2align	8
	.type	_ZN7rocprim17ROCPRIM_400000_NS6detail17trampoline_kernelINS0_13select_configILj256ELj13ELNS0_17block_load_methodE3ELS4_3ELS4_3ELNS0_20block_scan_algorithmE0ELj4294967295EEENS1_25partition_config_selectorILNS1_17partition_subalgoE3EjNS0_10empty_typeEbEEZZNS1_14partition_implILS8_3ELb0ES6_jNS0_17counting_iteratorIjlEEPS9_SE_NS0_5tupleIJPjSE_EEENSF_IJSE_SE_EEES9_SG_JZNS1_25segmented_radix_sort_implINS0_14default_configELb1EPKfPfPKlPlN2at6native12_GLOBAL__N_18offset_tEEE10hipError_tPvRmT1_PNSt15iterator_traitsISY_E10value_typeET2_T3_PNSZ_IS14_E10value_typeET4_jRbjT5_S1A_jjP12ihipStream_tbEUljE_EEESV_SW_SX_S14_S18_S1A_T6_T7_T9_mT8_S1C_bDpT10_ENKUlT_T0_E_clISt17integral_constantIbLb0EES1O_IbLb1EEEEDaS1K_S1L_EUlS1K_E_NS1_11comp_targetILNS1_3genE3ELNS1_11target_archE908ELNS1_3gpuE7ELNS1_3repE0EEENS1_30default_config_static_selectorELNS0_4arch9wavefront6targetE1EEEvSY_,@function
_ZN7rocprim17ROCPRIM_400000_NS6detail17trampoline_kernelINS0_13select_configILj256ELj13ELNS0_17block_load_methodE3ELS4_3ELS4_3ELNS0_20block_scan_algorithmE0ELj4294967295EEENS1_25partition_config_selectorILNS1_17partition_subalgoE3EjNS0_10empty_typeEbEEZZNS1_14partition_implILS8_3ELb0ES6_jNS0_17counting_iteratorIjlEEPS9_SE_NS0_5tupleIJPjSE_EEENSF_IJSE_SE_EEES9_SG_JZNS1_25segmented_radix_sort_implINS0_14default_configELb1EPKfPfPKlPlN2at6native12_GLOBAL__N_18offset_tEEE10hipError_tPvRmT1_PNSt15iterator_traitsISY_E10value_typeET2_T3_PNSZ_IS14_E10value_typeET4_jRbjT5_S1A_jjP12ihipStream_tbEUljE_EEESV_SW_SX_S14_S18_S1A_T6_T7_T9_mT8_S1C_bDpT10_ENKUlT_T0_E_clISt17integral_constantIbLb0EES1O_IbLb1EEEEDaS1K_S1L_EUlS1K_E_NS1_11comp_targetILNS1_3genE3ELNS1_11target_archE908ELNS1_3gpuE7ELNS1_3repE0EEENS1_30default_config_static_selectorELNS0_4arch9wavefront6targetE1EEEvSY_: ; @_ZN7rocprim17ROCPRIM_400000_NS6detail17trampoline_kernelINS0_13select_configILj256ELj13ELNS0_17block_load_methodE3ELS4_3ELS4_3ELNS0_20block_scan_algorithmE0ELj4294967295EEENS1_25partition_config_selectorILNS1_17partition_subalgoE3EjNS0_10empty_typeEbEEZZNS1_14partition_implILS8_3ELb0ES6_jNS0_17counting_iteratorIjlEEPS9_SE_NS0_5tupleIJPjSE_EEENSF_IJSE_SE_EEES9_SG_JZNS1_25segmented_radix_sort_implINS0_14default_configELb1EPKfPfPKlPlN2at6native12_GLOBAL__N_18offset_tEEE10hipError_tPvRmT1_PNSt15iterator_traitsISY_E10value_typeET2_T3_PNSZ_IS14_E10value_typeET4_jRbjT5_S1A_jjP12ihipStream_tbEUljE_EEESV_SW_SX_S14_S18_S1A_T6_T7_T9_mT8_S1C_bDpT10_ENKUlT_T0_E_clISt17integral_constantIbLb0EES1O_IbLb1EEEEDaS1K_S1L_EUlS1K_E_NS1_11comp_targetILNS1_3genE3ELNS1_11target_archE908ELNS1_3gpuE7ELNS1_3repE0EEENS1_30default_config_static_selectorELNS0_4arch9wavefront6targetE1EEEvSY_
; %bb.0:
	.section	.rodata,"a",@progbits
	.p2align	6, 0x0
	.amdhsa_kernel _ZN7rocprim17ROCPRIM_400000_NS6detail17trampoline_kernelINS0_13select_configILj256ELj13ELNS0_17block_load_methodE3ELS4_3ELS4_3ELNS0_20block_scan_algorithmE0ELj4294967295EEENS1_25partition_config_selectorILNS1_17partition_subalgoE3EjNS0_10empty_typeEbEEZZNS1_14partition_implILS8_3ELb0ES6_jNS0_17counting_iteratorIjlEEPS9_SE_NS0_5tupleIJPjSE_EEENSF_IJSE_SE_EEES9_SG_JZNS1_25segmented_radix_sort_implINS0_14default_configELb1EPKfPfPKlPlN2at6native12_GLOBAL__N_18offset_tEEE10hipError_tPvRmT1_PNSt15iterator_traitsISY_E10value_typeET2_T3_PNSZ_IS14_E10value_typeET4_jRbjT5_S1A_jjP12ihipStream_tbEUljE_EEESV_SW_SX_S14_S18_S1A_T6_T7_T9_mT8_S1C_bDpT10_ENKUlT_T0_E_clISt17integral_constantIbLb0EES1O_IbLb1EEEEDaS1K_S1L_EUlS1K_E_NS1_11comp_targetILNS1_3genE3ELNS1_11target_archE908ELNS1_3gpuE7ELNS1_3repE0EEENS1_30default_config_static_selectorELNS0_4arch9wavefront6targetE1EEEvSY_
		.amdhsa_group_segment_fixed_size 0
		.amdhsa_private_segment_fixed_size 0
		.amdhsa_kernarg_size 152
		.amdhsa_user_sgpr_count 6
		.amdhsa_user_sgpr_private_segment_buffer 1
		.amdhsa_user_sgpr_dispatch_ptr 0
		.amdhsa_user_sgpr_queue_ptr 0
		.amdhsa_user_sgpr_kernarg_segment_ptr 1
		.amdhsa_user_sgpr_dispatch_id 0
		.amdhsa_user_sgpr_flat_scratch_init 0
		.amdhsa_user_sgpr_kernarg_preload_length 0
		.amdhsa_user_sgpr_kernarg_preload_offset 0
		.amdhsa_user_sgpr_private_segment_size 0
		.amdhsa_uses_dynamic_stack 0
		.amdhsa_system_sgpr_private_segment_wavefront_offset 0
		.amdhsa_system_sgpr_workgroup_id_x 1
		.amdhsa_system_sgpr_workgroup_id_y 0
		.amdhsa_system_sgpr_workgroup_id_z 0
		.amdhsa_system_sgpr_workgroup_info 0
		.amdhsa_system_vgpr_workitem_id 0
		.amdhsa_next_free_vgpr 1
		.amdhsa_next_free_sgpr 0
		.amdhsa_accum_offset 4
		.amdhsa_reserve_vcc 0
		.amdhsa_reserve_flat_scratch 0
		.amdhsa_float_round_mode_32 0
		.amdhsa_float_round_mode_16_64 0
		.amdhsa_float_denorm_mode_32 3
		.amdhsa_float_denorm_mode_16_64 3
		.amdhsa_dx10_clamp 1
		.amdhsa_ieee_mode 1
		.amdhsa_fp16_overflow 0
		.amdhsa_tg_split 0
		.amdhsa_exception_fp_ieee_invalid_op 0
		.amdhsa_exception_fp_denorm_src 0
		.amdhsa_exception_fp_ieee_div_zero 0
		.amdhsa_exception_fp_ieee_overflow 0
		.amdhsa_exception_fp_ieee_underflow 0
		.amdhsa_exception_fp_ieee_inexact 0
		.amdhsa_exception_int_div_zero 0
	.end_amdhsa_kernel
	.section	.text._ZN7rocprim17ROCPRIM_400000_NS6detail17trampoline_kernelINS0_13select_configILj256ELj13ELNS0_17block_load_methodE3ELS4_3ELS4_3ELNS0_20block_scan_algorithmE0ELj4294967295EEENS1_25partition_config_selectorILNS1_17partition_subalgoE3EjNS0_10empty_typeEbEEZZNS1_14partition_implILS8_3ELb0ES6_jNS0_17counting_iteratorIjlEEPS9_SE_NS0_5tupleIJPjSE_EEENSF_IJSE_SE_EEES9_SG_JZNS1_25segmented_radix_sort_implINS0_14default_configELb1EPKfPfPKlPlN2at6native12_GLOBAL__N_18offset_tEEE10hipError_tPvRmT1_PNSt15iterator_traitsISY_E10value_typeET2_T3_PNSZ_IS14_E10value_typeET4_jRbjT5_S1A_jjP12ihipStream_tbEUljE_EEESV_SW_SX_S14_S18_S1A_T6_T7_T9_mT8_S1C_bDpT10_ENKUlT_T0_E_clISt17integral_constantIbLb0EES1O_IbLb1EEEEDaS1K_S1L_EUlS1K_E_NS1_11comp_targetILNS1_3genE3ELNS1_11target_archE908ELNS1_3gpuE7ELNS1_3repE0EEENS1_30default_config_static_selectorELNS0_4arch9wavefront6targetE1EEEvSY_,"axG",@progbits,_ZN7rocprim17ROCPRIM_400000_NS6detail17trampoline_kernelINS0_13select_configILj256ELj13ELNS0_17block_load_methodE3ELS4_3ELS4_3ELNS0_20block_scan_algorithmE0ELj4294967295EEENS1_25partition_config_selectorILNS1_17partition_subalgoE3EjNS0_10empty_typeEbEEZZNS1_14partition_implILS8_3ELb0ES6_jNS0_17counting_iteratorIjlEEPS9_SE_NS0_5tupleIJPjSE_EEENSF_IJSE_SE_EEES9_SG_JZNS1_25segmented_radix_sort_implINS0_14default_configELb1EPKfPfPKlPlN2at6native12_GLOBAL__N_18offset_tEEE10hipError_tPvRmT1_PNSt15iterator_traitsISY_E10value_typeET2_T3_PNSZ_IS14_E10value_typeET4_jRbjT5_S1A_jjP12ihipStream_tbEUljE_EEESV_SW_SX_S14_S18_S1A_T6_T7_T9_mT8_S1C_bDpT10_ENKUlT_T0_E_clISt17integral_constantIbLb0EES1O_IbLb1EEEEDaS1K_S1L_EUlS1K_E_NS1_11comp_targetILNS1_3genE3ELNS1_11target_archE908ELNS1_3gpuE7ELNS1_3repE0EEENS1_30default_config_static_selectorELNS0_4arch9wavefront6targetE1EEEvSY_,comdat
.Lfunc_end1318:
	.size	_ZN7rocprim17ROCPRIM_400000_NS6detail17trampoline_kernelINS0_13select_configILj256ELj13ELNS0_17block_load_methodE3ELS4_3ELS4_3ELNS0_20block_scan_algorithmE0ELj4294967295EEENS1_25partition_config_selectorILNS1_17partition_subalgoE3EjNS0_10empty_typeEbEEZZNS1_14partition_implILS8_3ELb0ES6_jNS0_17counting_iteratorIjlEEPS9_SE_NS0_5tupleIJPjSE_EEENSF_IJSE_SE_EEES9_SG_JZNS1_25segmented_radix_sort_implINS0_14default_configELb1EPKfPfPKlPlN2at6native12_GLOBAL__N_18offset_tEEE10hipError_tPvRmT1_PNSt15iterator_traitsISY_E10value_typeET2_T3_PNSZ_IS14_E10value_typeET4_jRbjT5_S1A_jjP12ihipStream_tbEUljE_EEESV_SW_SX_S14_S18_S1A_T6_T7_T9_mT8_S1C_bDpT10_ENKUlT_T0_E_clISt17integral_constantIbLb0EES1O_IbLb1EEEEDaS1K_S1L_EUlS1K_E_NS1_11comp_targetILNS1_3genE3ELNS1_11target_archE908ELNS1_3gpuE7ELNS1_3repE0EEENS1_30default_config_static_selectorELNS0_4arch9wavefront6targetE1EEEvSY_, .Lfunc_end1318-_ZN7rocprim17ROCPRIM_400000_NS6detail17trampoline_kernelINS0_13select_configILj256ELj13ELNS0_17block_load_methodE3ELS4_3ELS4_3ELNS0_20block_scan_algorithmE0ELj4294967295EEENS1_25partition_config_selectorILNS1_17partition_subalgoE3EjNS0_10empty_typeEbEEZZNS1_14partition_implILS8_3ELb0ES6_jNS0_17counting_iteratorIjlEEPS9_SE_NS0_5tupleIJPjSE_EEENSF_IJSE_SE_EEES9_SG_JZNS1_25segmented_radix_sort_implINS0_14default_configELb1EPKfPfPKlPlN2at6native12_GLOBAL__N_18offset_tEEE10hipError_tPvRmT1_PNSt15iterator_traitsISY_E10value_typeET2_T3_PNSZ_IS14_E10value_typeET4_jRbjT5_S1A_jjP12ihipStream_tbEUljE_EEESV_SW_SX_S14_S18_S1A_T6_T7_T9_mT8_S1C_bDpT10_ENKUlT_T0_E_clISt17integral_constantIbLb0EES1O_IbLb1EEEEDaS1K_S1L_EUlS1K_E_NS1_11comp_targetILNS1_3genE3ELNS1_11target_archE908ELNS1_3gpuE7ELNS1_3repE0EEENS1_30default_config_static_selectorELNS0_4arch9wavefront6targetE1EEEvSY_
                                        ; -- End function
	.section	.AMDGPU.csdata,"",@progbits
; Kernel info:
; codeLenInByte = 0
; NumSgprs: 4
; NumVgprs: 0
; NumAgprs: 0
; TotalNumVgprs: 0
; ScratchSize: 0
; MemoryBound: 0
; FloatMode: 240
; IeeeMode: 1
; LDSByteSize: 0 bytes/workgroup (compile time only)
; SGPRBlocks: 0
; VGPRBlocks: 0
; NumSGPRsForWavesPerEU: 4
; NumVGPRsForWavesPerEU: 1
; AccumOffset: 4
; Occupancy: 8
; WaveLimiterHint : 0
; COMPUTE_PGM_RSRC2:SCRATCH_EN: 0
; COMPUTE_PGM_RSRC2:USER_SGPR: 6
; COMPUTE_PGM_RSRC2:TRAP_HANDLER: 0
; COMPUTE_PGM_RSRC2:TGID_X_EN: 1
; COMPUTE_PGM_RSRC2:TGID_Y_EN: 0
; COMPUTE_PGM_RSRC2:TGID_Z_EN: 0
; COMPUTE_PGM_RSRC2:TIDIG_COMP_CNT: 0
; COMPUTE_PGM_RSRC3_GFX90A:ACCUM_OFFSET: 0
; COMPUTE_PGM_RSRC3_GFX90A:TG_SPLIT: 0
	.section	.text._ZN7rocprim17ROCPRIM_400000_NS6detail17trampoline_kernelINS0_13select_configILj256ELj13ELNS0_17block_load_methodE3ELS4_3ELS4_3ELNS0_20block_scan_algorithmE0ELj4294967295EEENS1_25partition_config_selectorILNS1_17partition_subalgoE3EjNS0_10empty_typeEbEEZZNS1_14partition_implILS8_3ELb0ES6_jNS0_17counting_iteratorIjlEEPS9_SE_NS0_5tupleIJPjSE_EEENSF_IJSE_SE_EEES9_SG_JZNS1_25segmented_radix_sort_implINS0_14default_configELb1EPKfPfPKlPlN2at6native12_GLOBAL__N_18offset_tEEE10hipError_tPvRmT1_PNSt15iterator_traitsISY_E10value_typeET2_T3_PNSZ_IS14_E10value_typeET4_jRbjT5_S1A_jjP12ihipStream_tbEUljE_EEESV_SW_SX_S14_S18_S1A_T6_T7_T9_mT8_S1C_bDpT10_ENKUlT_T0_E_clISt17integral_constantIbLb0EES1O_IbLb1EEEEDaS1K_S1L_EUlS1K_E_NS1_11comp_targetILNS1_3genE2ELNS1_11target_archE906ELNS1_3gpuE6ELNS1_3repE0EEENS1_30default_config_static_selectorELNS0_4arch9wavefront6targetE1EEEvSY_,"axG",@progbits,_ZN7rocprim17ROCPRIM_400000_NS6detail17trampoline_kernelINS0_13select_configILj256ELj13ELNS0_17block_load_methodE3ELS4_3ELS4_3ELNS0_20block_scan_algorithmE0ELj4294967295EEENS1_25partition_config_selectorILNS1_17partition_subalgoE3EjNS0_10empty_typeEbEEZZNS1_14partition_implILS8_3ELb0ES6_jNS0_17counting_iteratorIjlEEPS9_SE_NS0_5tupleIJPjSE_EEENSF_IJSE_SE_EEES9_SG_JZNS1_25segmented_radix_sort_implINS0_14default_configELb1EPKfPfPKlPlN2at6native12_GLOBAL__N_18offset_tEEE10hipError_tPvRmT1_PNSt15iterator_traitsISY_E10value_typeET2_T3_PNSZ_IS14_E10value_typeET4_jRbjT5_S1A_jjP12ihipStream_tbEUljE_EEESV_SW_SX_S14_S18_S1A_T6_T7_T9_mT8_S1C_bDpT10_ENKUlT_T0_E_clISt17integral_constantIbLb0EES1O_IbLb1EEEEDaS1K_S1L_EUlS1K_E_NS1_11comp_targetILNS1_3genE2ELNS1_11target_archE906ELNS1_3gpuE6ELNS1_3repE0EEENS1_30default_config_static_selectorELNS0_4arch9wavefront6targetE1EEEvSY_,comdat
	.globl	_ZN7rocprim17ROCPRIM_400000_NS6detail17trampoline_kernelINS0_13select_configILj256ELj13ELNS0_17block_load_methodE3ELS4_3ELS4_3ELNS0_20block_scan_algorithmE0ELj4294967295EEENS1_25partition_config_selectorILNS1_17partition_subalgoE3EjNS0_10empty_typeEbEEZZNS1_14partition_implILS8_3ELb0ES6_jNS0_17counting_iteratorIjlEEPS9_SE_NS0_5tupleIJPjSE_EEENSF_IJSE_SE_EEES9_SG_JZNS1_25segmented_radix_sort_implINS0_14default_configELb1EPKfPfPKlPlN2at6native12_GLOBAL__N_18offset_tEEE10hipError_tPvRmT1_PNSt15iterator_traitsISY_E10value_typeET2_T3_PNSZ_IS14_E10value_typeET4_jRbjT5_S1A_jjP12ihipStream_tbEUljE_EEESV_SW_SX_S14_S18_S1A_T6_T7_T9_mT8_S1C_bDpT10_ENKUlT_T0_E_clISt17integral_constantIbLb0EES1O_IbLb1EEEEDaS1K_S1L_EUlS1K_E_NS1_11comp_targetILNS1_3genE2ELNS1_11target_archE906ELNS1_3gpuE6ELNS1_3repE0EEENS1_30default_config_static_selectorELNS0_4arch9wavefront6targetE1EEEvSY_ ; -- Begin function _ZN7rocprim17ROCPRIM_400000_NS6detail17trampoline_kernelINS0_13select_configILj256ELj13ELNS0_17block_load_methodE3ELS4_3ELS4_3ELNS0_20block_scan_algorithmE0ELj4294967295EEENS1_25partition_config_selectorILNS1_17partition_subalgoE3EjNS0_10empty_typeEbEEZZNS1_14partition_implILS8_3ELb0ES6_jNS0_17counting_iteratorIjlEEPS9_SE_NS0_5tupleIJPjSE_EEENSF_IJSE_SE_EEES9_SG_JZNS1_25segmented_radix_sort_implINS0_14default_configELb1EPKfPfPKlPlN2at6native12_GLOBAL__N_18offset_tEEE10hipError_tPvRmT1_PNSt15iterator_traitsISY_E10value_typeET2_T3_PNSZ_IS14_E10value_typeET4_jRbjT5_S1A_jjP12ihipStream_tbEUljE_EEESV_SW_SX_S14_S18_S1A_T6_T7_T9_mT8_S1C_bDpT10_ENKUlT_T0_E_clISt17integral_constantIbLb0EES1O_IbLb1EEEEDaS1K_S1L_EUlS1K_E_NS1_11comp_targetILNS1_3genE2ELNS1_11target_archE906ELNS1_3gpuE6ELNS1_3repE0EEENS1_30default_config_static_selectorELNS0_4arch9wavefront6targetE1EEEvSY_
	.p2align	8
	.type	_ZN7rocprim17ROCPRIM_400000_NS6detail17trampoline_kernelINS0_13select_configILj256ELj13ELNS0_17block_load_methodE3ELS4_3ELS4_3ELNS0_20block_scan_algorithmE0ELj4294967295EEENS1_25partition_config_selectorILNS1_17partition_subalgoE3EjNS0_10empty_typeEbEEZZNS1_14partition_implILS8_3ELb0ES6_jNS0_17counting_iteratorIjlEEPS9_SE_NS0_5tupleIJPjSE_EEENSF_IJSE_SE_EEES9_SG_JZNS1_25segmented_radix_sort_implINS0_14default_configELb1EPKfPfPKlPlN2at6native12_GLOBAL__N_18offset_tEEE10hipError_tPvRmT1_PNSt15iterator_traitsISY_E10value_typeET2_T3_PNSZ_IS14_E10value_typeET4_jRbjT5_S1A_jjP12ihipStream_tbEUljE_EEESV_SW_SX_S14_S18_S1A_T6_T7_T9_mT8_S1C_bDpT10_ENKUlT_T0_E_clISt17integral_constantIbLb0EES1O_IbLb1EEEEDaS1K_S1L_EUlS1K_E_NS1_11comp_targetILNS1_3genE2ELNS1_11target_archE906ELNS1_3gpuE6ELNS1_3repE0EEENS1_30default_config_static_selectorELNS0_4arch9wavefront6targetE1EEEvSY_,@function
_ZN7rocprim17ROCPRIM_400000_NS6detail17trampoline_kernelINS0_13select_configILj256ELj13ELNS0_17block_load_methodE3ELS4_3ELS4_3ELNS0_20block_scan_algorithmE0ELj4294967295EEENS1_25partition_config_selectorILNS1_17partition_subalgoE3EjNS0_10empty_typeEbEEZZNS1_14partition_implILS8_3ELb0ES6_jNS0_17counting_iteratorIjlEEPS9_SE_NS0_5tupleIJPjSE_EEENSF_IJSE_SE_EEES9_SG_JZNS1_25segmented_radix_sort_implINS0_14default_configELb1EPKfPfPKlPlN2at6native12_GLOBAL__N_18offset_tEEE10hipError_tPvRmT1_PNSt15iterator_traitsISY_E10value_typeET2_T3_PNSZ_IS14_E10value_typeET4_jRbjT5_S1A_jjP12ihipStream_tbEUljE_EEESV_SW_SX_S14_S18_S1A_T6_T7_T9_mT8_S1C_bDpT10_ENKUlT_T0_E_clISt17integral_constantIbLb0EES1O_IbLb1EEEEDaS1K_S1L_EUlS1K_E_NS1_11comp_targetILNS1_3genE2ELNS1_11target_archE906ELNS1_3gpuE6ELNS1_3repE0EEENS1_30default_config_static_selectorELNS0_4arch9wavefront6targetE1EEEvSY_: ; @_ZN7rocprim17ROCPRIM_400000_NS6detail17trampoline_kernelINS0_13select_configILj256ELj13ELNS0_17block_load_methodE3ELS4_3ELS4_3ELNS0_20block_scan_algorithmE0ELj4294967295EEENS1_25partition_config_selectorILNS1_17partition_subalgoE3EjNS0_10empty_typeEbEEZZNS1_14partition_implILS8_3ELb0ES6_jNS0_17counting_iteratorIjlEEPS9_SE_NS0_5tupleIJPjSE_EEENSF_IJSE_SE_EEES9_SG_JZNS1_25segmented_radix_sort_implINS0_14default_configELb1EPKfPfPKlPlN2at6native12_GLOBAL__N_18offset_tEEE10hipError_tPvRmT1_PNSt15iterator_traitsISY_E10value_typeET2_T3_PNSZ_IS14_E10value_typeET4_jRbjT5_S1A_jjP12ihipStream_tbEUljE_EEESV_SW_SX_S14_S18_S1A_T6_T7_T9_mT8_S1C_bDpT10_ENKUlT_T0_E_clISt17integral_constantIbLb0EES1O_IbLb1EEEEDaS1K_S1L_EUlS1K_E_NS1_11comp_targetILNS1_3genE2ELNS1_11target_archE906ELNS1_3gpuE6ELNS1_3repE0EEENS1_30default_config_static_selectorELNS0_4arch9wavefront6targetE1EEEvSY_
; %bb.0:
	.section	.rodata,"a",@progbits
	.p2align	6, 0x0
	.amdhsa_kernel _ZN7rocprim17ROCPRIM_400000_NS6detail17trampoline_kernelINS0_13select_configILj256ELj13ELNS0_17block_load_methodE3ELS4_3ELS4_3ELNS0_20block_scan_algorithmE0ELj4294967295EEENS1_25partition_config_selectorILNS1_17partition_subalgoE3EjNS0_10empty_typeEbEEZZNS1_14partition_implILS8_3ELb0ES6_jNS0_17counting_iteratorIjlEEPS9_SE_NS0_5tupleIJPjSE_EEENSF_IJSE_SE_EEES9_SG_JZNS1_25segmented_radix_sort_implINS0_14default_configELb1EPKfPfPKlPlN2at6native12_GLOBAL__N_18offset_tEEE10hipError_tPvRmT1_PNSt15iterator_traitsISY_E10value_typeET2_T3_PNSZ_IS14_E10value_typeET4_jRbjT5_S1A_jjP12ihipStream_tbEUljE_EEESV_SW_SX_S14_S18_S1A_T6_T7_T9_mT8_S1C_bDpT10_ENKUlT_T0_E_clISt17integral_constantIbLb0EES1O_IbLb1EEEEDaS1K_S1L_EUlS1K_E_NS1_11comp_targetILNS1_3genE2ELNS1_11target_archE906ELNS1_3gpuE6ELNS1_3repE0EEENS1_30default_config_static_selectorELNS0_4arch9wavefront6targetE1EEEvSY_
		.amdhsa_group_segment_fixed_size 0
		.amdhsa_private_segment_fixed_size 0
		.amdhsa_kernarg_size 152
		.amdhsa_user_sgpr_count 6
		.amdhsa_user_sgpr_private_segment_buffer 1
		.amdhsa_user_sgpr_dispatch_ptr 0
		.amdhsa_user_sgpr_queue_ptr 0
		.amdhsa_user_sgpr_kernarg_segment_ptr 1
		.amdhsa_user_sgpr_dispatch_id 0
		.amdhsa_user_sgpr_flat_scratch_init 0
		.amdhsa_user_sgpr_kernarg_preload_length 0
		.amdhsa_user_sgpr_kernarg_preload_offset 0
		.amdhsa_user_sgpr_private_segment_size 0
		.amdhsa_uses_dynamic_stack 0
		.amdhsa_system_sgpr_private_segment_wavefront_offset 0
		.amdhsa_system_sgpr_workgroup_id_x 1
		.amdhsa_system_sgpr_workgroup_id_y 0
		.amdhsa_system_sgpr_workgroup_id_z 0
		.amdhsa_system_sgpr_workgroup_info 0
		.amdhsa_system_vgpr_workitem_id 0
		.amdhsa_next_free_vgpr 1
		.amdhsa_next_free_sgpr 0
		.amdhsa_accum_offset 4
		.amdhsa_reserve_vcc 0
		.amdhsa_reserve_flat_scratch 0
		.amdhsa_float_round_mode_32 0
		.amdhsa_float_round_mode_16_64 0
		.amdhsa_float_denorm_mode_32 3
		.amdhsa_float_denorm_mode_16_64 3
		.amdhsa_dx10_clamp 1
		.amdhsa_ieee_mode 1
		.amdhsa_fp16_overflow 0
		.amdhsa_tg_split 0
		.amdhsa_exception_fp_ieee_invalid_op 0
		.amdhsa_exception_fp_denorm_src 0
		.amdhsa_exception_fp_ieee_div_zero 0
		.amdhsa_exception_fp_ieee_overflow 0
		.amdhsa_exception_fp_ieee_underflow 0
		.amdhsa_exception_fp_ieee_inexact 0
		.amdhsa_exception_int_div_zero 0
	.end_amdhsa_kernel
	.section	.text._ZN7rocprim17ROCPRIM_400000_NS6detail17trampoline_kernelINS0_13select_configILj256ELj13ELNS0_17block_load_methodE3ELS4_3ELS4_3ELNS0_20block_scan_algorithmE0ELj4294967295EEENS1_25partition_config_selectorILNS1_17partition_subalgoE3EjNS0_10empty_typeEbEEZZNS1_14partition_implILS8_3ELb0ES6_jNS0_17counting_iteratorIjlEEPS9_SE_NS0_5tupleIJPjSE_EEENSF_IJSE_SE_EEES9_SG_JZNS1_25segmented_radix_sort_implINS0_14default_configELb1EPKfPfPKlPlN2at6native12_GLOBAL__N_18offset_tEEE10hipError_tPvRmT1_PNSt15iterator_traitsISY_E10value_typeET2_T3_PNSZ_IS14_E10value_typeET4_jRbjT5_S1A_jjP12ihipStream_tbEUljE_EEESV_SW_SX_S14_S18_S1A_T6_T7_T9_mT8_S1C_bDpT10_ENKUlT_T0_E_clISt17integral_constantIbLb0EES1O_IbLb1EEEEDaS1K_S1L_EUlS1K_E_NS1_11comp_targetILNS1_3genE2ELNS1_11target_archE906ELNS1_3gpuE6ELNS1_3repE0EEENS1_30default_config_static_selectorELNS0_4arch9wavefront6targetE1EEEvSY_,"axG",@progbits,_ZN7rocprim17ROCPRIM_400000_NS6detail17trampoline_kernelINS0_13select_configILj256ELj13ELNS0_17block_load_methodE3ELS4_3ELS4_3ELNS0_20block_scan_algorithmE0ELj4294967295EEENS1_25partition_config_selectorILNS1_17partition_subalgoE3EjNS0_10empty_typeEbEEZZNS1_14partition_implILS8_3ELb0ES6_jNS0_17counting_iteratorIjlEEPS9_SE_NS0_5tupleIJPjSE_EEENSF_IJSE_SE_EEES9_SG_JZNS1_25segmented_radix_sort_implINS0_14default_configELb1EPKfPfPKlPlN2at6native12_GLOBAL__N_18offset_tEEE10hipError_tPvRmT1_PNSt15iterator_traitsISY_E10value_typeET2_T3_PNSZ_IS14_E10value_typeET4_jRbjT5_S1A_jjP12ihipStream_tbEUljE_EEESV_SW_SX_S14_S18_S1A_T6_T7_T9_mT8_S1C_bDpT10_ENKUlT_T0_E_clISt17integral_constantIbLb0EES1O_IbLb1EEEEDaS1K_S1L_EUlS1K_E_NS1_11comp_targetILNS1_3genE2ELNS1_11target_archE906ELNS1_3gpuE6ELNS1_3repE0EEENS1_30default_config_static_selectorELNS0_4arch9wavefront6targetE1EEEvSY_,comdat
.Lfunc_end1319:
	.size	_ZN7rocprim17ROCPRIM_400000_NS6detail17trampoline_kernelINS0_13select_configILj256ELj13ELNS0_17block_load_methodE3ELS4_3ELS4_3ELNS0_20block_scan_algorithmE0ELj4294967295EEENS1_25partition_config_selectorILNS1_17partition_subalgoE3EjNS0_10empty_typeEbEEZZNS1_14partition_implILS8_3ELb0ES6_jNS0_17counting_iteratorIjlEEPS9_SE_NS0_5tupleIJPjSE_EEENSF_IJSE_SE_EEES9_SG_JZNS1_25segmented_radix_sort_implINS0_14default_configELb1EPKfPfPKlPlN2at6native12_GLOBAL__N_18offset_tEEE10hipError_tPvRmT1_PNSt15iterator_traitsISY_E10value_typeET2_T3_PNSZ_IS14_E10value_typeET4_jRbjT5_S1A_jjP12ihipStream_tbEUljE_EEESV_SW_SX_S14_S18_S1A_T6_T7_T9_mT8_S1C_bDpT10_ENKUlT_T0_E_clISt17integral_constantIbLb0EES1O_IbLb1EEEEDaS1K_S1L_EUlS1K_E_NS1_11comp_targetILNS1_3genE2ELNS1_11target_archE906ELNS1_3gpuE6ELNS1_3repE0EEENS1_30default_config_static_selectorELNS0_4arch9wavefront6targetE1EEEvSY_, .Lfunc_end1319-_ZN7rocprim17ROCPRIM_400000_NS6detail17trampoline_kernelINS0_13select_configILj256ELj13ELNS0_17block_load_methodE3ELS4_3ELS4_3ELNS0_20block_scan_algorithmE0ELj4294967295EEENS1_25partition_config_selectorILNS1_17partition_subalgoE3EjNS0_10empty_typeEbEEZZNS1_14partition_implILS8_3ELb0ES6_jNS0_17counting_iteratorIjlEEPS9_SE_NS0_5tupleIJPjSE_EEENSF_IJSE_SE_EEES9_SG_JZNS1_25segmented_radix_sort_implINS0_14default_configELb1EPKfPfPKlPlN2at6native12_GLOBAL__N_18offset_tEEE10hipError_tPvRmT1_PNSt15iterator_traitsISY_E10value_typeET2_T3_PNSZ_IS14_E10value_typeET4_jRbjT5_S1A_jjP12ihipStream_tbEUljE_EEESV_SW_SX_S14_S18_S1A_T6_T7_T9_mT8_S1C_bDpT10_ENKUlT_T0_E_clISt17integral_constantIbLb0EES1O_IbLb1EEEEDaS1K_S1L_EUlS1K_E_NS1_11comp_targetILNS1_3genE2ELNS1_11target_archE906ELNS1_3gpuE6ELNS1_3repE0EEENS1_30default_config_static_selectorELNS0_4arch9wavefront6targetE1EEEvSY_
                                        ; -- End function
	.section	.AMDGPU.csdata,"",@progbits
; Kernel info:
; codeLenInByte = 0
; NumSgprs: 4
; NumVgprs: 0
; NumAgprs: 0
; TotalNumVgprs: 0
; ScratchSize: 0
; MemoryBound: 0
; FloatMode: 240
; IeeeMode: 1
; LDSByteSize: 0 bytes/workgroup (compile time only)
; SGPRBlocks: 0
; VGPRBlocks: 0
; NumSGPRsForWavesPerEU: 4
; NumVGPRsForWavesPerEU: 1
; AccumOffset: 4
; Occupancy: 8
; WaveLimiterHint : 0
; COMPUTE_PGM_RSRC2:SCRATCH_EN: 0
; COMPUTE_PGM_RSRC2:USER_SGPR: 6
; COMPUTE_PGM_RSRC2:TRAP_HANDLER: 0
; COMPUTE_PGM_RSRC2:TGID_X_EN: 1
; COMPUTE_PGM_RSRC2:TGID_Y_EN: 0
; COMPUTE_PGM_RSRC2:TGID_Z_EN: 0
; COMPUTE_PGM_RSRC2:TIDIG_COMP_CNT: 0
; COMPUTE_PGM_RSRC3_GFX90A:ACCUM_OFFSET: 0
; COMPUTE_PGM_RSRC3_GFX90A:TG_SPLIT: 0
	.section	.text._ZN7rocprim17ROCPRIM_400000_NS6detail17trampoline_kernelINS0_13select_configILj256ELj13ELNS0_17block_load_methodE3ELS4_3ELS4_3ELNS0_20block_scan_algorithmE0ELj4294967295EEENS1_25partition_config_selectorILNS1_17partition_subalgoE3EjNS0_10empty_typeEbEEZZNS1_14partition_implILS8_3ELb0ES6_jNS0_17counting_iteratorIjlEEPS9_SE_NS0_5tupleIJPjSE_EEENSF_IJSE_SE_EEES9_SG_JZNS1_25segmented_radix_sort_implINS0_14default_configELb1EPKfPfPKlPlN2at6native12_GLOBAL__N_18offset_tEEE10hipError_tPvRmT1_PNSt15iterator_traitsISY_E10value_typeET2_T3_PNSZ_IS14_E10value_typeET4_jRbjT5_S1A_jjP12ihipStream_tbEUljE_EEESV_SW_SX_S14_S18_S1A_T6_T7_T9_mT8_S1C_bDpT10_ENKUlT_T0_E_clISt17integral_constantIbLb0EES1O_IbLb1EEEEDaS1K_S1L_EUlS1K_E_NS1_11comp_targetILNS1_3genE10ELNS1_11target_archE1200ELNS1_3gpuE4ELNS1_3repE0EEENS1_30default_config_static_selectorELNS0_4arch9wavefront6targetE1EEEvSY_,"axG",@progbits,_ZN7rocprim17ROCPRIM_400000_NS6detail17trampoline_kernelINS0_13select_configILj256ELj13ELNS0_17block_load_methodE3ELS4_3ELS4_3ELNS0_20block_scan_algorithmE0ELj4294967295EEENS1_25partition_config_selectorILNS1_17partition_subalgoE3EjNS0_10empty_typeEbEEZZNS1_14partition_implILS8_3ELb0ES6_jNS0_17counting_iteratorIjlEEPS9_SE_NS0_5tupleIJPjSE_EEENSF_IJSE_SE_EEES9_SG_JZNS1_25segmented_radix_sort_implINS0_14default_configELb1EPKfPfPKlPlN2at6native12_GLOBAL__N_18offset_tEEE10hipError_tPvRmT1_PNSt15iterator_traitsISY_E10value_typeET2_T3_PNSZ_IS14_E10value_typeET4_jRbjT5_S1A_jjP12ihipStream_tbEUljE_EEESV_SW_SX_S14_S18_S1A_T6_T7_T9_mT8_S1C_bDpT10_ENKUlT_T0_E_clISt17integral_constantIbLb0EES1O_IbLb1EEEEDaS1K_S1L_EUlS1K_E_NS1_11comp_targetILNS1_3genE10ELNS1_11target_archE1200ELNS1_3gpuE4ELNS1_3repE0EEENS1_30default_config_static_selectorELNS0_4arch9wavefront6targetE1EEEvSY_,comdat
	.globl	_ZN7rocprim17ROCPRIM_400000_NS6detail17trampoline_kernelINS0_13select_configILj256ELj13ELNS0_17block_load_methodE3ELS4_3ELS4_3ELNS0_20block_scan_algorithmE0ELj4294967295EEENS1_25partition_config_selectorILNS1_17partition_subalgoE3EjNS0_10empty_typeEbEEZZNS1_14partition_implILS8_3ELb0ES6_jNS0_17counting_iteratorIjlEEPS9_SE_NS0_5tupleIJPjSE_EEENSF_IJSE_SE_EEES9_SG_JZNS1_25segmented_radix_sort_implINS0_14default_configELb1EPKfPfPKlPlN2at6native12_GLOBAL__N_18offset_tEEE10hipError_tPvRmT1_PNSt15iterator_traitsISY_E10value_typeET2_T3_PNSZ_IS14_E10value_typeET4_jRbjT5_S1A_jjP12ihipStream_tbEUljE_EEESV_SW_SX_S14_S18_S1A_T6_T7_T9_mT8_S1C_bDpT10_ENKUlT_T0_E_clISt17integral_constantIbLb0EES1O_IbLb1EEEEDaS1K_S1L_EUlS1K_E_NS1_11comp_targetILNS1_3genE10ELNS1_11target_archE1200ELNS1_3gpuE4ELNS1_3repE0EEENS1_30default_config_static_selectorELNS0_4arch9wavefront6targetE1EEEvSY_ ; -- Begin function _ZN7rocprim17ROCPRIM_400000_NS6detail17trampoline_kernelINS0_13select_configILj256ELj13ELNS0_17block_load_methodE3ELS4_3ELS4_3ELNS0_20block_scan_algorithmE0ELj4294967295EEENS1_25partition_config_selectorILNS1_17partition_subalgoE3EjNS0_10empty_typeEbEEZZNS1_14partition_implILS8_3ELb0ES6_jNS0_17counting_iteratorIjlEEPS9_SE_NS0_5tupleIJPjSE_EEENSF_IJSE_SE_EEES9_SG_JZNS1_25segmented_radix_sort_implINS0_14default_configELb1EPKfPfPKlPlN2at6native12_GLOBAL__N_18offset_tEEE10hipError_tPvRmT1_PNSt15iterator_traitsISY_E10value_typeET2_T3_PNSZ_IS14_E10value_typeET4_jRbjT5_S1A_jjP12ihipStream_tbEUljE_EEESV_SW_SX_S14_S18_S1A_T6_T7_T9_mT8_S1C_bDpT10_ENKUlT_T0_E_clISt17integral_constantIbLb0EES1O_IbLb1EEEEDaS1K_S1L_EUlS1K_E_NS1_11comp_targetILNS1_3genE10ELNS1_11target_archE1200ELNS1_3gpuE4ELNS1_3repE0EEENS1_30default_config_static_selectorELNS0_4arch9wavefront6targetE1EEEvSY_
	.p2align	8
	.type	_ZN7rocprim17ROCPRIM_400000_NS6detail17trampoline_kernelINS0_13select_configILj256ELj13ELNS0_17block_load_methodE3ELS4_3ELS4_3ELNS0_20block_scan_algorithmE0ELj4294967295EEENS1_25partition_config_selectorILNS1_17partition_subalgoE3EjNS0_10empty_typeEbEEZZNS1_14partition_implILS8_3ELb0ES6_jNS0_17counting_iteratorIjlEEPS9_SE_NS0_5tupleIJPjSE_EEENSF_IJSE_SE_EEES9_SG_JZNS1_25segmented_radix_sort_implINS0_14default_configELb1EPKfPfPKlPlN2at6native12_GLOBAL__N_18offset_tEEE10hipError_tPvRmT1_PNSt15iterator_traitsISY_E10value_typeET2_T3_PNSZ_IS14_E10value_typeET4_jRbjT5_S1A_jjP12ihipStream_tbEUljE_EEESV_SW_SX_S14_S18_S1A_T6_T7_T9_mT8_S1C_bDpT10_ENKUlT_T0_E_clISt17integral_constantIbLb0EES1O_IbLb1EEEEDaS1K_S1L_EUlS1K_E_NS1_11comp_targetILNS1_3genE10ELNS1_11target_archE1200ELNS1_3gpuE4ELNS1_3repE0EEENS1_30default_config_static_selectorELNS0_4arch9wavefront6targetE1EEEvSY_,@function
_ZN7rocprim17ROCPRIM_400000_NS6detail17trampoline_kernelINS0_13select_configILj256ELj13ELNS0_17block_load_methodE3ELS4_3ELS4_3ELNS0_20block_scan_algorithmE0ELj4294967295EEENS1_25partition_config_selectorILNS1_17partition_subalgoE3EjNS0_10empty_typeEbEEZZNS1_14partition_implILS8_3ELb0ES6_jNS0_17counting_iteratorIjlEEPS9_SE_NS0_5tupleIJPjSE_EEENSF_IJSE_SE_EEES9_SG_JZNS1_25segmented_radix_sort_implINS0_14default_configELb1EPKfPfPKlPlN2at6native12_GLOBAL__N_18offset_tEEE10hipError_tPvRmT1_PNSt15iterator_traitsISY_E10value_typeET2_T3_PNSZ_IS14_E10value_typeET4_jRbjT5_S1A_jjP12ihipStream_tbEUljE_EEESV_SW_SX_S14_S18_S1A_T6_T7_T9_mT8_S1C_bDpT10_ENKUlT_T0_E_clISt17integral_constantIbLb0EES1O_IbLb1EEEEDaS1K_S1L_EUlS1K_E_NS1_11comp_targetILNS1_3genE10ELNS1_11target_archE1200ELNS1_3gpuE4ELNS1_3repE0EEENS1_30default_config_static_selectorELNS0_4arch9wavefront6targetE1EEEvSY_: ; @_ZN7rocprim17ROCPRIM_400000_NS6detail17trampoline_kernelINS0_13select_configILj256ELj13ELNS0_17block_load_methodE3ELS4_3ELS4_3ELNS0_20block_scan_algorithmE0ELj4294967295EEENS1_25partition_config_selectorILNS1_17partition_subalgoE3EjNS0_10empty_typeEbEEZZNS1_14partition_implILS8_3ELb0ES6_jNS0_17counting_iteratorIjlEEPS9_SE_NS0_5tupleIJPjSE_EEENSF_IJSE_SE_EEES9_SG_JZNS1_25segmented_radix_sort_implINS0_14default_configELb1EPKfPfPKlPlN2at6native12_GLOBAL__N_18offset_tEEE10hipError_tPvRmT1_PNSt15iterator_traitsISY_E10value_typeET2_T3_PNSZ_IS14_E10value_typeET4_jRbjT5_S1A_jjP12ihipStream_tbEUljE_EEESV_SW_SX_S14_S18_S1A_T6_T7_T9_mT8_S1C_bDpT10_ENKUlT_T0_E_clISt17integral_constantIbLb0EES1O_IbLb1EEEEDaS1K_S1L_EUlS1K_E_NS1_11comp_targetILNS1_3genE10ELNS1_11target_archE1200ELNS1_3gpuE4ELNS1_3repE0EEENS1_30default_config_static_selectorELNS0_4arch9wavefront6targetE1EEEvSY_
; %bb.0:
	.section	.rodata,"a",@progbits
	.p2align	6, 0x0
	.amdhsa_kernel _ZN7rocprim17ROCPRIM_400000_NS6detail17trampoline_kernelINS0_13select_configILj256ELj13ELNS0_17block_load_methodE3ELS4_3ELS4_3ELNS0_20block_scan_algorithmE0ELj4294967295EEENS1_25partition_config_selectorILNS1_17partition_subalgoE3EjNS0_10empty_typeEbEEZZNS1_14partition_implILS8_3ELb0ES6_jNS0_17counting_iteratorIjlEEPS9_SE_NS0_5tupleIJPjSE_EEENSF_IJSE_SE_EEES9_SG_JZNS1_25segmented_radix_sort_implINS0_14default_configELb1EPKfPfPKlPlN2at6native12_GLOBAL__N_18offset_tEEE10hipError_tPvRmT1_PNSt15iterator_traitsISY_E10value_typeET2_T3_PNSZ_IS14_E10value_typeET4_jRbjT5_S1A_jjP12ihipStream_tbEUljE_EEESV_SW_SX_S14_S18_S1A_T6_T7_T9_mT8_S1C_bDpT10_ENKUlT_T0_E_clISt17integral_constantIbLb0EES1O_IbLb1EEEEDaS1K_S1L_EUlS1K_E_NS1_11comp_targetILNS1_3genE10ELNS1_11target_archE1200ELNS1_3gpuE4ELNS1_3repE0EEENS1_30default_config_static_selectorELNS0_4arch9wavefront6targetE1EEEvSY_
		.amdhsa_group_segment_fixed_size 0
		.amdhsa_private_segment_fixed_size 0
		.amdhsa_kernarg_size 152
		.amdhsa_user_sgpr_count 6
		.amdhsa_user_sgpr_private_segment_buffer 1
		.amdhsa_user_sgpr_dispatch_ptr 0
		.amdhsa_user_sgpr_queue_ptr 0
		.amdhsa_user_sgpr_kernarg_segment_ptr 1
		.amdhsa_user_sgpr_dispatch_id 0
		.amdhsa_user_sgpr_flat_scratch_init 0
		.amdhsa_user_sgpr_kernarg_preload_length 0
		.amdhsa_user_sgpr_kernarg_preload_offset 0
		.amdhsa_user_sgpr_private_segment_size 0
		.amdhsa_uses_dynamic_stack 0
		.amdhsa_system_sgpr_private_segment_wavefront_offset 0
		.amdhsa_system_sgpr_workgroup_id_x 1
		.amdhsa_system_sgpr_workgroup_id_y 0
		.amdhsa_system_sgpr_workgroup_id_z 0
		.amdhsa_system_sgpr_workgroup_info 0
		.amdhsa_system_vgpr_workitem_id 0
		.amdhsa_next_free_vgpr 1
		.amdhsa_next_free_sgpr 0
		.amdhsa_accum_offset 4
		.amdhsa_reserve_vcc 0
		.amdhsa_reserve_flat_scratch 0
		.amdhsa_float_round_mode_32 0
		.amdhsa_float_round_mode_16_64 0
		.amdhsa_float_denorm_mode_32 3
		.amdhsa_float_denorm_mode_16_64 3
		.amdhsa_dx10_clamp 1
		.amdhsa_ieee_mode 1
		.amdhsa_fp16_overflow 0
		.amdhsa_tg_split 0
		.amdhsa_exception_fp_ieee_invalid_op 0
		.amdhsa_exception_fp_denorm_src 0
		.amdhsa_exception_fp_ieee_div_zero 0
		.amdhsa_exception_fp_ieee_overflow 0
		.amdhsa_exception_fp_ieee_underflow 0
		.amdhsa_exception_fp_ieee_inexact 0
		.amdhsa_exception_int_div_zero 0
	.end_amdhsa_kernel
	.section	.text._ZN7rocprim17ROCPRIM_400000_NS6detail17trampoline_kernelINS0_13select_configILj256ELj13ELNS0_17block_load_methodE3ELS4_3ELS4_3ELNS0_20block_scan_algorithmE0ELj4294967295EEENS1_25partition_config_selectorILNS1_17partition_subalgoE3EjNS0_10empty_typeEbEEZZNS1_14partition_implILS8_3ELb0ES6_jNS0_17counting_iteratorIjlEEPS9_SE_NS0_5tupleIJPjSE_EEENSF_IJSE_SE_EEES9_SG_JZNS1_25segmented_radix_sort_implINS0_14default_configELb1EPKfPfPKlPlN2at6native12_GLOBAL__N_18offset_tEEE10hipError_tPvRmT1_PNSt15iterator_traitsISY_E10value_typeET2_T3_PNSZ_IS14_E10value_typeET4_jRbjT5_S1A_jjP12ihipStream_tbEUljE_EEESV_SW_SX_S14_S18_S1A_T6_T7_T9_mT8_S1C_bDpT10_ENKUlT_T0_E_clISt17integral_constantIbLb0EES1O_IbLb1EEEEDaS1K_S1L_EUlS1K_E_NS1_11comp_targetILNS1_3genE10ELNS1_11target_archE1200ELNS1_3gpuE4ELNS1_3repE0EEENS1_30default_config_static_selectorELNS0_4arch9wavefront6targetE1EEEvSY_,"axG",@progbits,_ZN7rocprim17ROCPRIM_400000_NS6detail17trampoline_kernelINS0_13select_configILj256ELj13ELNS0_17block_load_methodE3ELS4_3ELS4_3ELNS0_20block_scan_algorithmE0ELj4294967295EEENS1_25partition_config_selectorILNS1_17partition_subalgoE3EjNS0_10empty_typeEbEEZZNS1_14partition_implILS8_3ELb0ES6_jNS0_17counting_iteratorIjlEEPS9_SE_NS0_5tupleIJPjSE_EEENSF_IJSE_SE_EEES9_SG_JZNS1_25segmented_radix_sort_implINS0_14default_configELb1EPKfPfPKlPlN2at6native12_GLOBAL__N_18offset_tEEE10hipError_tPvRmT1_PNSt15iterator_traitsISY_E10value_typeET2_T3_PNSZ_IS14_E10value_typeET4_jRbjT5_S1A_jjP12ihipStream_tbEUljE_EEESV_SW_SX_S14_S18_S1A_T6_T7_T9_mT8_S1C_bDpT10_ENKUlT_T0_E_clISt17integral_constantIbLb0EES1O_IbLb1EEEEDaS1K_S1L_EUlS1K_E_NS1_11comp_targetILNS1_3genE10ELNS1_11target_archE1200ELNS1_3gpuE4ELNS1_3repE0EEENS1_30default_config_static_selectorELNS0_4arch9wavefront6targetE1EEEvSY_,comdat
.Lfunc_end1320:
	.size	_ZN7rocprim17ROCPRIM_400000_NS6detail17trampoline_kernelINS0_13select_configILj256ELj13ELNS0_17block_load_methodE3ELS4_3ELS4_3ELNS0_20block_scan_algorithmE0ELj4294967295EEENS1_25partition_config_selectorILNS1_17partition_subalgoE3EjNS0_10empty_typeEbEEZZNS1_14partition_implILS8_3ELb0ES6_jNS0_17counting_iteratorIjlEEPS9_SE_NS0_5tupleIJPjSE_EEENSF_IJSE_SE_EEES9_SG_JZNS1_25segmented_radix_sort_implINS0_14default_configELb1EPKfPfPKlPlN2at6native12_GLOBAL__N_18offset_tEEE10hipError_tPvRmT1_PNSt15iterator_traitsISY_E10value_typeET2_T3_PNSZ_IS14_E10value_typeET4_jRbjT5_S1A_jjP12ihipStream_tbEUljE_EEESV_SW_SX_S14_S18_S1A_T6_T7_T9_mT8_S1C_bDpT10_ENKUlT_T0_E_clISt17integral_constantIbLb0EES1O_IbLb1EEEEDaS1K_S1L_EUlS1K_E_NS1_11comp_targetILNS1_3genE10ELNS1_11target_archE1200ELNS1_3gpuE4ELNS1_3repE0EEENS1_30default_config_static_selectorELNS0_4arch9wavefront6targetE1EEEvSY_, .Lfunc_end1320-_ZN7rocprim17ROCPRIM_400000_NS6detail17trampoline_kernelINS0_13select_configILj256ELj13ELNS0_17block_load_methodE3ELS4_3ELS4_3ELNS0_20block_scan_algorithmE0ELj4294967295EEENS1_25partition_config_selectorILNS1_17partition_subalgoE3EjNS0_10empty_typeEbEEZZNS1_14partition_implILS8_3ELb0ES6_jNS0_17counting_iteratorIjlEEPS9_SE_NS0_5tupleIJPjSE_EEENSF_IJSE_SE_EEES9_SG_JZNS1_25segmented_radix_sort_implINS0_14default_configELb1EPKfPfPKlPlN2at6native12_GLOBAL__N_18offset_tEEE10hipError_tPvRmT1_PNSt15iterator_traitsISY_E10value_typeET2_T3_PNSZ_IS14_E10value_typeET4_jRbjT5_S1A_jjP12ihipStream_tbEUljE_EEESV_SW_SX_S14_S18_S1A_T6_T7_T9_mT8_S1C_bDpT10_ENKUlT_T0_E_clISt17integral_constantIbLb0EES1O_IbLb1EEEEDaS1K_S1L_EUlS1K_E_NS1_11comp_targetILNS1_3genE10ELNS1_11target_archE1200ELNS1_3gpuE4ELNS1_3repE0EEENS1_30default_config_static_selectorELNS0_4arch9wavefront6targetE1EEEvSY_
                                        ; -- End function
	.section	.AMDGPU.csdata,"",@progbits
; Kernel info:
; codeLenInByte = 0
; NumSgprs: 4
; NumVgprs: 0
; NumAgprs: 0
; TotalNumVgprs: 0
; ScratchSize: 0
; MemoryBound: 0
; FloatMode: 240
; IeeeMode: 1
; LDSByteSize: 0 bytes/workgroup (compile time only)
; SGPRBlocks: 0
; VGPRBlocks: 0
; NumSGPRsForWavesPerEU: 4
; NumVGPRsForWavesPerEU: 1
; AccumOffset: 4
; Occupancy: 8
; WaveLimiterHint : 0
; COMPUTE_PGM_RSRC2:SCRATCH_EN: 0
; COMPUTE_PGM_RSRC2:USER_SGPR: 6
; COMPUTE_PGM_RSRC2:TRAP_HANDLER: 0
; COMPUTE_PGM_RSRC2:TGID_X_EN: 1
; COMPUTE_PGM_RSRC2:TGID_Y_EN: 0
; COMPUTE_PGM_RSRC2:TGID_Z_EN: 0
; COMPUTE_PGM_RSRC2:TIDIG_COMP_CNT: 0
; COMPUTE_PGM_RSRC3_GFX90A:ACCUM_OFFSET: 0
; COMPUTE_PGM_RSRC3_GFX90A:TG_SPLIT: 0
	.section	.text._ZN7rocprim17ROCPRIM_400000_NS6detail17trampoline_kernelINS0_13select_configILj256ELj13ELNS0_17block_load_methodE3ELS4_3ELS4_3ELNS0_20block_scan_algorithmE0ELj4294967295EEENS1_25partition_config_selectorILNS1_17partition_subalgoE3EjNS0_10empty_typeEbEEZZNS1_14partition_implILS8_3ELb0ES6_jNS0_17counting_iteratorIjlEEPS9_SE_NS0_5tupleIJPjSE_EEENSF_IJSE_SE_EEES9_SG_JZNS1_25segmented_radix_sort_implINS0_14default_configELb1EPKfPfPKlPlN2at6native12_GLOBAL__N_18offset_tEEE10hipError_tPvRmT1_PNSt15iterator_traitsISY_E10value_typeET2_T3_PNSZ_IS14_E10value_typeET4_jRbjT5_S1A_jjP12ihipStream_tbEUljE_EEESV_SW_SX_S14_S18_S1A_T6_T7_T9_mT8_S1C_bDpT10_ENKUlT_T0_E_clISt17integral_constantIbLb0EES1O_IbLb1EEEEDaS1K_S1L_EUlS1K_E_NS1_11comp_targetILNS1_3genE9ELNS1_11target_archE1100ELNS1_3gpuE3ELNS1_3repE0EEENS1_30default_config_static_selectorELNS0_4arch9wavefront6targetE1EEEvSY_,"axG",@progbits,_ZN7rocprim17ROCPRIM_400000_NS6detail17trampoline_kernelINS0_13select_configILj256ELj13ELNS0_17block_load_methodE3ELS4_3ELS4_3ELNS0_20block_scan_algorithmE0ELj4294967295EEENS1_25partition_config_selectorILNS1_17partition_subalgoE3EjNS0_10empty_typeEbEEZZNS1_14partition_implILS8_3ELb0ES6_jNS0_17counting_iteratorIjlEEPS9_SE_NS0_5tupleIJPjSE_EEENSF_IJSE_SE_EEES9_SG_JZNS1_25segmented_radix_sort_implINS0_14default_configELb1EPKfPfPKlPlN2at6native12_GLOBAL__N_18offset_tEEE10hipError_tPvRmT1_PNSt15iterator_traitsISY_E10value_typeET2_T3_PNSZ_IS14_E10value_typeET4_jRbjT5_S1A_jjP12ihipStream_tbEUljE_EEESV_SW_SX_S14_S18_S1A_T6_T7_T9_mT8_S1C_bDpT10_ENKUlT_T0_E_clISt17integral_constantIbLb0EES1O_IbLb1EEEEDaS1K_S1L_EUlS1K_E_NS1_11comp_targetILNS1_3genE9ELNS1_11target_archE1100ELNS1_3gpuE3ELNS1_3repE0EEENS1_30default_config_static_selectorELNS0_4arch9wavefront6targetE1EEEvSY_,comdat
	.globl	_ZN7rocprim17ROCPRIM_400000_NS6detail17trampoline_kernelINS0_13select_configILj256ELj13ELNS0_17block_load_methodE3ELS4_3ELS4_3ELNS0_20block_scan_algorithmE0ELj4294967295EEENS1_25partition_config_selectorILNS1_17partition_subalgoE3EjNS0_10empty_typeEbEEZZNS1_14partition_implILS8_3ELb0ES6_jNS0_17counting_iteratorIjlEEPS9_SE_NS0_5tupleIJPjSE_EEENSF_IJSE_SE_EEES9_SG_JZNS1_25segmented_radix_sort_implINS0_14default_configELb1EPKfPfPKlPlN2at6native12_GLOBAL__N_18offset_tEEE10hipError_tPvRmT1_PNSt15iterator_traitsISY_E10value_typeET2_T3_PNSZ_IS14_E10value_typeET4_jRbjT5_S1A_jjP12ihipStream_tbEUljE_EEESV_SW_SX_S14_S18_S1A_T6_T7_T9_mT8_S1C_bDpT10_ENKUlT_T0_E_clISt17integral_constantIbLb0EES1O_IbLb1EEEEDaS1K_S1L_EUlS1K_E_NS1_11comp_targetILNS1_3genE9ELNS1_11target_archE1100ELNS1_3gpuE3ELNS1_3repE0EEENS1_30default_config_static_selectorELNS0_4arch9wavefront6targetE1EEEvSY_ ; -- Begin function _ZN7rocprim17ROCPRIM_400000_NS6detail17trampoline_kernelINS0_13select_configILj256ELj13ELNS0_17block_load_methodE3ELS4_3ELS4_3ELNS0_20block_scan_algorithmE0ELj4294967295EEENS1_25partition_config_selectorILNS1_17partition_subalgoE3EjNS0_10empty_typeEbEEZZNS1_14partition_implILS8_3ELb0ES6_jNS0_17counting_iteratorIjlEEPS9_SE_NS0_5tupleIJPjSE_EEENSF_IJSE_SE_EEES9_SG_JZNS1_25segmented_radix_sort_implINS0_14default_configELb1EPKfPfPKlPlN2at6native12_GLOBAL__N_18offset_tEEE10hipError_tPvRmT1_PNSt15iterator_traitsISY_E10value_typeET2_T3_PNSZ_IS14_E10value_typeET4_jRbjT5_S1A_jjP12ihipStream_tbEUljE_EEESV_SW_SX_S14_S18_S1A_T6_T7_T9_mT8_S1C_bDpT10_ENKUlT_T0_E_clISt17integral_constantIbLb0EES1O_IbLb1EEEEDaS1K_S1L_EUlS1K_E_NS1_11comp_targetILNS1_3genE9ELNS1_11target_archE1100ELNS1_3gpuE3ELNS1_3repE0EEENS1_30default_config_static_selectorELNS0_4arch9wavefront6targetE1EEEvSY_
	.p2align	8
	.type	_ZN7rocprim17ROCPRIM_400000_NS6detail17trampoline_kernelINS0_13select_configILj256ELj13ELNS0_17block_load_methodE3ELS4_3ELS4_3ELNS0_20block_scan_algorithmE0ELj4294967295EEENS1_25partition_config_selectorILNS1_17partition_subalgoE3EjNS0_10empty_typeEbEEZZNS1_14partition_implILS8_3ELb0ES6_jNS0_17counting_iteratorIjlEEPS9_SE_NS0_5tupleIJPjSE_EEENSF_IJSE_SE_EEES9_SG_JZNS1_25segmented_radix_sort_implINS0_14default_configELb1EPKfPfPKlPlN2at6native12_GLOBAL__N_18offset_tEEE10hipError_tPvRmT1_PNSt15iterator_traitsISY_E10value_typeET2_T3_PNSZ_IS14_E10value_typeET4_jRbjT5_S1A_jjP12ihipStream_tbEUljE_EEESV_SW_SX_S14_S18_S1A_T6_T7_T9_mT8_S1C_bDpT10_ENKUlT_T0_E_clISt17integral_constantIbLb0EES1O_IbLb1EEEEDaS1K_S1L_EUlS1K_E_NS1_11comp_targetILNS1_3genE9ELNS1_11target_archE1100ELNS1_3gpuE3ELNS1_3repE0EEENS1_30default_config_static_selectorELNS0_4arch9wavefront6targetE1EEEvSY_,@function
_ZN7rocprim17ROCPRIM_400000_NS6detail17trampoline_kernelINS0_13select_configILj256ELj13ELNS0_17block_load_methodE3ELS4_3ELS4_3ELNS0_20block_scan_algorithmE0ELj4294967295EEENS1_25partition_config_selectorILNS1_17partition_subalgoE3EjNS0_10empty_typeEbEEZZNS1_14partition_implILS8_3ELb0ES6_jNS0_17counting_iteratorIjlEEPS9_SE_NS0_5tupleIJPjSE_EEENSF_IJSE_SE_EEES9_SG_JZNS1_25segmented_radix_sort_implINS0_14default_configELb1EPKfPfPKlPlN2at6native12_GLOBAL__N_18offset_tEEE10hipError_tPvRmT1_PNSt15iterator_traitsISY_E10value_typeET2_T3_PNSZ_IS14_E10value_typeET4_jRbjT5_S1A_jjP12ihipStream_tbEUljE_EEESV_SW_SX_S14_S18_S1A_T6_T7_T9_mT8_S1C_bDpT10_ENKUlT_T0_E_clISt17integral_constantIbLb0EES1O_IbLb1EEEEDaS1K_S1L_EUlS1K_E_NS1_11comp_targetILNS1_3genE9ELNS1_11target_archE1100ELNS1_3gpuE3ELNS1_3repE0EEENS1_30default_config_static_selectorELNS0_4arch9wavefront6targetE1EEEvSY_: ; @_ZN7rocprim17ROCPRIM_400000_NS6detail17trampoline_kernelINS0_13select_configILj256ELj13ELNS0_17block_load_methodE3ELS4_3ELS4_3ELNS0_20block_scan_algorithmE0ELj4294967295EEENS1_25partition_config_selectorILNS1_17partition_subalgoE3EjNS0_10empty_typeEbEEZZNS1_14partition_implILS8_3ELb0ES6_jNS0_17counting_iteratorIjlEEPS9_SE_NS0_5tupleIJPjSE_EEENSF_IJSE_SE_EEES9_SG_JZNS1_25segmented_radix_sort_implINS0_14default_configELb1EPKfPfPKlPlN2at6native12_GLOBAL__N_18offset_tEEE10hipError_tPvRmT1_PNSt15iterator_traitsISY_E10value_typeET2_T3_PNSZ_IS14_E10value_typeET4_jRbjT5_S1A_jjP12ihipStream_tbEUljE_EEESV_SW_SX_S14_S18_S1A_T6_T7_T9_mT8_S1C_bDpT10_ENKUlT_T0_E_clISt17integral_constantIbLb0EES1O_IbLb1EEEEDaS1K_S1L_EUlS1K_E_NS1_11comp_targetILNS1_3genE9ELNS1_11target_archE1100ELNS1_3gpuE3ELNS1_3repE0EEENS1_30default_config_static_selectorELNS0_4arch9wavefront6targetE1EEEvSY_
; %bb.0:
	.section	.rodata,"a",@progbits
	.p2align	6, 0x0
	.amdhsa_kernel _ZN7rocprim17ROCPRIM_400000_NS6detail17trampoline_kernelINS0_13select_configILj256ELj13ELNS0_17block_load_methodE3ELS4_3ELS4_3ELNS0_20block_scan_algorithmE0ELj4294967295EEENS1_25partition_config_selectorILNS1_17partition_subalgoE3EjNS0_10empty_typeEbEEZZNS1_14partition_implILS8_3ELb0ES6_jNS0_17counting_iteratorIjlEEPS9_SE_NS0_5tupleIJPjSE_EEENSF_IJSE_SE_EEES9_SG_JZNS1_25segmented_radix_sort_implINS0_14default_configELb1EPKfPfPKlPlN2at6native12_GLOBAL__N_18offset_tEEE10hipError_tPvRmT1_PNSt15iterator_traitsISY_E10value_typeET2_T3_PNSZ_IS14_E10value_typeET4_jRbjT5_S1A_jjP12ihipStream_tbEUljE_EEESV_SW_SX_S14_S18_S1A_T6_T7_T9_mT8_S1C_bDpT10_ENKUlT_T0_E_clISt17integral_constantIbLb0EES1O_IbLb1EEEEDaS1K_S1L_EUlS1K_E_NS1_11comp_targetILNS1_3genE9ELNS1_11target_archE1100ELNS1_3gpuE3ELNS1_3repE0EEENS1_30default_config_static_selectorELNS0_4arch9wavefront6targetE1EEEvSY_
		.amdhsa_group_segment_fixed_size 0
		.amdhsa_private_segment_fixed_size 0
		.amdhsa_kernarg_size 152
		.amdhsa_user_sgpr_count 6
		.amdhsa_user_sgpr_private_segment_buffer 1
		.amdhsa_user_sgpr_dispatch_ptr 0
		.amdhsa_user_sgpr_queue_ptr 0
		.amdhsa_user_sgpr_kernarg_segment_ptr 1
		.amdhsa_user_sgpr_dispatch_id 0
		.amdhsa_user_sgpr_flat_scratch_init 0
		.amdhsa_user_sgpr_kernarg_preload_length 0
		.amdhsa_user_sgpr_kernarg_preload_offset 0
		.amdhsa_user_sgpr_private_segment_size 0
		.amdhsa_uses_dynamic_stack 0
		.amdhsa_system_sgpr_private_segment_wavefront_offset 0
		.amdhsa_system_sgpr_workgroup_id_x 1
		.amdhsa_system_sgpr_workgroup_id_y 0
		.amdhsa_system_sgpr_workgroup_id_z 0
		.amdhsa_system_sgpr_workgroup_info 0
		.amdhsa_system_vgpr_workitem_id 0
		.amdhsa_next_free_vgpr 1
		.amdhsa_next_free_sgpr 0
		.amdhsa_accum_offset 4
		.amdhsa_reserve_vcc 0
		.amdhsa_reserve_flat_scratch 0
		.amdhsa_float_round_mode_32 0
		.amdhsa_float_round_mode_16_64 0
		.amdhsa_float_denorm_mode_32 3
		.amdhsa_float_denorm_mode_16_64 3
		.amdhsa_dx10_clamp 1
		.amdhsa_ieee_mode 1
		.amdhsa_fp16_overflow 0
		.amdhsa_tg_split 0
		.amdhsa_exception_fp_ieee_invalid_op 0
		.amdhsa_exception_fp_denorm_src 0
		.amdhsa_exception_fp_ieee_div_zero 0
		.amdhsa_exception_fp_ieee_overflow 0
		.amdhsa_exception_fp_ieee_underflow 0
		.amdhsa_exception_fp_ieee_inexact 0
		.amdhsa_exception_int_div_zero 0
	.end_amdhsa_kernel
	.section	.text._ZN7rocprim17ROCPRIM_400000_NS6detail17trampoline_kernelINS0_13select_configILj256ELj13ELNS0_17block_load_methodE3ELS4_3ELS4_3ELNS0_20block_scan_algorithmE0ELj4294967295EEENS1_25partition_config_selectorILNS1_17partition_subalgoE3EjNS0_10empty_typeEbEEZZNS1_14partition_implILS8_3ELb0ES6_jNS0_17counting_iteratorIjlEEPS9_SE_NS0_5tupleIJPjSE_EEENSF_IJSE_SE_EEES9_SG_JZNS1_25segmented_radix_sort_implINS0_14default_configELb1EPKfPfPKlPlN2at6native12_GLOBAL__N_18offset_tEEE10hipError_tPvRmT1_PNSt15iterator_traitsISY_E10value_typeET2_T3_PNSZ_IS14_E10value_typeET4_jRbjT5_S1A_jjP12ihipStream_tbEUljE_EEESV_SW_SX_S14_S18_S1A_T6_T7_T9_mT8_S1C_bDpT10_ENKUlT_T0_E_clISt17integral_constantIbLb0EES1O_IbLb1EEEEDaS1K_S1L_EUlS1K_E_NS1_11comp_targetILNS1_3genE9ELNS1_11target_archE1100ELNS1_3gpuE3ELNS1_3repE0EEENS1_30default_config_static_selectorELNS0_4arch9wavefront6targetE1EEEvSY_,"axG",@progbits,_ZN7rocprim17ROCPRIM_400000_NS6detail17trampoline_kernelINS0_13select_configILj256ELj13ELNS0_17block_load_methodE3ELS4_3ELS4_3ELNS0_20block_scan_algorithmE0ELj4294967295EEENS1_25partition_config_selectorILNS1_17partition_subalgoE3EjNS0_10empty_typeEbEEZZNS1_14partition_implILS8_3ELb0ES6_jNS0_17counting_iteratorIjlEEPS9_SE_NS0_5tupleIJPjSE_EEENSF_IJSE_SE_EEES9_SG_JZNS1_25segmented_radix_sort_implINS0_14default_configELb1EPKfPfPKlPlN2at6native12_GLOBAL__N_18offset_tEEE10hipError_tPvRmT1_PNSt15iterator_traitsISY_E10value_typeET2_T3_PNSZ_IS14_E10value_typeET4_jRbjT5_S1A_jjP12ihipStream_tbEUljE_EEESV_SW_SX_S14_S18_S1A_T6_T7_T9_mT8_S1C_bDpT10_ENKUlT_T0_E_clISt17integral_constantIbLb0EES1O_IbLb1EEEEDaS1K_S1L_EUlS1K_E_NS1_11comp_targetILNS1_3genE9ELNS1_11target_archE1100ELNS1_3gpuE3ELNS1_3repE0EEENS1_30default_config_static_selectorELNS0_4arch9wavefront6targetE1EEEvSY_,comdat
.Lfunc_end1321:
	.size	_ZN7rocprim17ROCPRIM_400000_NS6detail17trampoline_kernelINS0_13select_configILj256ELj13ELNS0_17block_load_methodE3ELS4_3ELS4_3ELNS0_20block_scan_algorithmE0ELj4294967295EEENS1_25partition_config_selectorILNS1_17partition_subalgoE3EjNS0_10empty_typeEbEEZZNS1_14partition_implILS8_3ELb0ES6_jNS0_17counting_iteratorIjlEEPS9_SE_NS0_5tupleIJPjSE_EEENSF_IJSE_SE_EEES9_SG_JZNS1_25segmented_radix_sort_implINS0_14default_configELb1EPKfPfPKlPlN2at6native12_GLOBAL__N_18offset_tEEE10hipError_tPvRmT1_PNSt15iterator_traitsISY_E10value_typeET2_T3_PNSZ_IS14_E10value_typeET4_jRbjT5_S1A_jjP12ihipStream_tbEUljE_EEESV_SW_SX_S14_S18_S1A_T6_T7_T9_mT8_S1C_bDpT10_ENKUlT_T0_E_clISt17integral_constantIbLb0EES1O_IbLb1EEEEDaS1K_S1L_EUlS1K_E_NS1_11comp_targetILNS1_3genE9ELNS1_11target_archE1100ELNS1_3gpuE3ELNS1_3repE0EEENS1_30default_config_static_selectorELNS0_4arch9wavefront6targetE1EEEvSY_, .Lfunc_end1321-_ZN7rocprim17ROCPRIM_400000_NS6detail17trampoline_kernelINS0_13select_configILj256ELj13ELNS0_17block_load_methodE3ELS4_3ELS4_3ELNS0_20block_scan_algorithmE0ELj4294967295EEENS1_25partition_config_selectorILNS1_17partition_subalgoE3EjNS0_10empty_typeEbEEZZNS1_14partition_implILS8_3ELb0ES6_jNS0_17counting_iteratorIjlEEPS9_SE_NS0_5tupleIJPjSE_EEENSF_IJSE_SE_EEES9_SG_JZNS1_25segmented_radix_sort_implINS0_14default_configELb1EPKfPfPKlPlN2at6native12_GLOBAL__N_18offset_tEEE10hipError_tPvRmT1_PNSt15iterator_traitsISY_E10value_typeET2_T3_PNSZ_IS14_E10value_typeET4_jRbjT5_S1A_jjP12ihipStream_tbEUljE_EEESV_SW_SX_S14_S18_S1A_T6_T7_T9_mT8_S1C_bDpT10_ENKUlT_T0_E_clISt17integral_constantIbLb0EES1O_IbLb1EEEEDaS1K_S1L_EUlS1K_E_NS1_11comp_targetILNS1_3genE9ELNS1_11target_archE1100ELNS1_3gpuE3ELNS1_3repE0EEENS1_30default_config_static_selectorELNS0_4arch9wavefront6targetE1EEEvSY_
                                        ; -- End function
	.section	.AMDGPU.csdata,"",@progbits
; Kernel info:
; codeLenInByte = 0
; NumSgprs: 4
; NumVgprs: 0
; NumAgprs: 0
; TotalNumVgprs: 0
; ScratchSize: 0
; MemoryBound: 0
; FloatMode: 240
; IeeeMode: 1
; LDSByteSize: 0 bytes/workgroup (compile time only)
; SGPRBlocks: 0
; VGPRBlocks: 0
; NumSGPRsForWavesPerEU: 4
; NumVGPRsForWavesPerEU: 1
; AccumOffset: 4
; Occupancy: 8
; WaveLimiterHint : 0
; COMPUTE_PGM_RSRC2:SCRATCH_EN: 0
; COMPUTE_PGM_RSRC2:USER_SGPR: 6
; COMPUTE_PGM_RSRC2:TRAP_HANDLER: 0
; COMPUTE_PGM_RSRC2:TGID_X_EN: 1
; COMPUTE_PGM_RSRC2:TGID_Y_EN: 0
; COMPUTE_PGM_RSRC2:TGID_Z_EN: 0
; COMPUTE_PGM_RSRC2:TIDIG_COMP_CNT: 0
; COMPUTE_PGM_RSRC3_GFX90A:ACCUM_OFFSET: 0
; COMPUTE_PGM_RSRC3_GFX90A:TG_SPLIT: 0
	.section	.text._ZN7rocprim17ROCPRIM_400000_NS6detail17trampoline_kernelINS0_13select_configILj256ELj13ELNS0_17block_load_methodE3ELS4_3ELS4_3ELNS0_20block_scan_algorithmE0ELj4294967295EEENS1_25partition_config_selectorILNS1_17partition_subalgoE3EjNS0_10empty_typeEbEEZZNS1_14partition_implILS8_3ELb0ES6_jNS0_17counting_iteratorIjlEEPS9_SE_NS0_5tupleIJPjSE_EEENSF_IJSE_SE_EEES9_SG_JZNS1_25segmented_radix_sort_implINS0_14default_configELb1EPKfPfPKlPlN2at6native12_GLOBAL__N_18offset_tEEE10hipError_tPvRmT1_PNSt15iterator_traitsISY_E10value_typeET2_T3_PNSZ_IS14_E10value_typeET4_jRbjT5_S1A_jjP12ihipStream_tbEUljE_EEESV_SW_SX_S14_S18_S1A_T6_T7_T9_mT8_S1C_bDpT10_ENKUlT_T0_E_clISt17integral_constantIbLb0EES1O_IbLb1EEEEDaS1K_S1L_EUlS1K_E_NS1_11comp_targetILNS1_3genE8ELNS1_11target_archE1030ELNS1_3gpuE2ELNS1_3repE0EEENS1_30default_config_static_selectorELNS0_4arch9wavefront6targetE1EEEvSY_,"axG",@progbits,_ZN7rocprim17ROCPRIM_400000_NS6detail17trampoline_kernelINS0_13select_configILj256ELj13ELNS0_17block_load_methodE3ELS4_3ELS4_3ELNS0_20block_scan_algorithmE0ELj4294967295EEENS1_25partition_config_selectorILNS1_17partition_subalgoE3EjNS0_10empty_typeEbEEZZNS1_14partition_implILS8_3ELb0ES6_jNS0_17counting_iteratorIjlEEPS9_SE_NS0_5tupleIJPjSE_EEENSF_IJSE_SE_EEES9_SG_JZNS1_25segmented_radix_sort_implINS0_14default_configELb1EPKfPfPKlPlN2at6native12_GLOBAL__N_18offset_tEEE10hipError_tPvRmT1_PNSt15iterator_traitsISY_E10value_typeET2_T3_PNSZ_IS14_E10value_typeET4_jRbjT5_S1A_jjP12ihipStream_tbEUljE_EEESV_SW_SX_S14_S18_S1A_T6_T7_T9_mT8_S1C_bDpT10_ENKUlT_T0_E_clISt17integral_constantIbLb0EES1O_IbLb1EEEEDaS1K_S1L_EUlS1K_E_NS1_11comp_targetILNS1_3genE8ELNS1_11target_archE1030ELNS1_3gpuE2ELNS1_3repE0EEENS1_30default_config_static_selectorELNS0_4arch9wavefront6targetE1EEEvSY_,comdat
	.globl	_ZN7rocprim17ROCPRIM_400000_NS6detail17trampoline_kernelINS0_13select_configILj256ELj13ELNS0_17block_load_methodE3ELS4_3ELS4_3ELNS0_20block_scan_algorithmE0ELj4294967295EEENS1_25partition_config_selectorILNS1_17partition_subalgoE3EjNS0_10empty_typeEbEEZZNS1_14partition_implILS8_3ELb0ES6_jNS0_17counting_iteratorIjlEEPS9_SE_NS0_5tupleIJPjSE_EEENSF_IJSE_SE_EEES9_SG_JZNS1_25segmented_radix_sort_implINS0_14default_configELb1EPKfPfPKlPlN2at6native12_GLOBAL__N_18offset_tEEE10hipError_tPvRmT1_PNSt15iterator_traitsISY_E10value_typeET2_T3_PNSZ_IS14_E10value_typeET4_jRbjT5_S1A_jjP12ihipStream_tbEUljE_EEESV_SW_SX_S14_S18_S1A_T6_T7_T9_mT8_S1C_bDpT10_ENKUlT_T0_E_clISt17integral_constantIbLb0EES1O_IbLb1EEEEDaS1K_S1L_EUlS1K_E_NS1_11comp_targetILNS1_3genE8ELNS1_11target_archE1030ELNS1_3gpuE2ELNS1_3repE0EEENS1_30default_config_static_selectorELNS0_4arch9wavefront6targetE1EEEvSY_ ; -- Begin function _ZN7rocprim17ROCPRIM_400000_NS6detail17trampoline_kernelINS0_13select_configILj256ELj13ELNS0_17block_load_methodE3ELS4_3ELS4_3ELNS0_20block_scan_algorithmE0ELj4294967295EEENS1_25partition_config_selectorILNS1_17partition_subalgoE3EjNS0_10empty_typeEbEEZZNS1_14partition_implILS8_3ELb0ES6_jNS0_17counting_iteratorIjlEEPS9_SE_NS0_5tupleIJPjSE_EEENSF_IJSE_SE_EEES9_SG_JZNS1_25segmented_radix_sort_implINS0_14default_configELb1EPKfPfPKlPlN2at6native12_GLOBAL__N_18offset_tEEE10hipError_tPvRmT1_PNSt15iterator_traitsISY_E10value_typeET2_T3_PNSZ_IS14_E10value_typeET4_jRbjT5_S1A_jjP12ihipStream_tbEUljE_EEESV_SW_SX_S14_S18_S1A_T6_T7_T9_mT8_S1C_bDpT10_ENKUlT_T0_E_clISt17integral_constantIbLb0EES1O_IbLb1EEEEDaS1K_S1L_EUlS1K_E_NS1_11comp_targetILNS1_3genE8ELNS1_11target_archE1030ELNS1_3gpuE2ELNS1_3repE0EEENS1_30default_config_static_selectorELNS0_4arch9wavefront6targetE1EEEvSY_
	.p2align	8
	.type	_ZN7rocprim17ROCPRIM_400000_NS6detail17trampoline_kernelINS0_13select_configILj256ELj13ELNS0_17block_load_methodE3ELS4_3ELS4_3ELNS0_20block_scan_algorithmE0ELj4294967295EEENS1_25partition_config_selectorILNS1_17partition_subalgoE3EjNS0_10empty_typeEbEEZZNS1_14partition_implILS8_3ELb0ES6_jNS0_17counting_iteratorIjlEEPS9_SE_NS0_5tupleIJPjSE_EEENSF_IJSE_SE_EEES9_SG_JZNS1_25segmented_radix_sort_implINS0_14default_configELb1EPKfPfPKlPlN2at6native12_GLOBAL__N_18offset_tEEE10hipError_tPvRmT1_PNSt15iterator_traitsISY_E10value_typeET2_T3_PNSZ_IS14_E10value_typeET4_jRbjT5_S1A_jjP12ihipStream_tbEUljE_EEESV_SW_SX_S14_S18_S1A_T6_T7_T9_mT8_S1C_bDpT10_ENKUlT_T0_E_clISt17integral_constantIbLb0EES1O_IbLb1EEEEDaS1K_S1L_EUlS1K_E_NS1_11comp_targetILNS1_3genE8ELNS1_11target_archE1030ELNS1_3gpuE2ELNS1_3repE0EEENS1_30default_config_static_selectorELNS0_4arch9wavefront6targetE1EEEvSY_,@function
_ZN7rocprim17ROCPRIM_400000_NS6detail17trampoline_kernelINS0_13select_configILj256ELj13ELNS0_17block_load_methodE3ELS4_3ELS4_3ELNS0_20block_scan_algorithmE0ELj4294967295EEENS1_25partition_config_selectorILNS1_17partition_subalgoE3EjNS0_10empty_typeEbEEZZNS1_14partition_implILS8_3ELb0ES6_jNS0_17counting_iteratorIjlEEPS9_SE_NS0_5tupleIJPjSE_EEENSF_IJSE_SE_EEES9_SG_JZNS1_25segmented_radix_sort_implINS0_14default_configELb1EPKfPfPKlPlN2at6native12_GLOBAL__N_18offset_tEEE10hipError_tPvRmT1_PNSt15iterator_traitsISY_E10value_typeET2_T3_PNSZ_IS14_E10value_typeET4_jRbjT5_S1A_jjP12ihipStream_tbEUljE_EEESV_SW_SX_S14_S18_S1A_T6_T7_T9_mT8_S1C_bDpT10_ENKUlT_T0_E_clISt17integral_constantIbLb0EES1O_IbLb1EEEEDaS1K_S1L_EUlS1K_E_NS1_11comp_targetILNS1_3genE8ELNS1_11target_archE1030ELNS1_3gpuE2ELNS1_3repE0EEENS1_30default_config_static_selectorELNS0_4arch9wavefront6targetE1EEEvSY_: ; @_ZN7rocprim17ROCPRIM_400000_NS6detail17trampoline_kernelINS0_13select_configILj256ELj13ELNS0_17block_load_methodE3ELS4_3ELS4_3ELNS0_20block_scan_algorithmE0ELj4294967295EEENS1_25partition_config_selectorILNS1_17partition_subalgoE3EjNS0_10empty_typeEbEEZZNS1_14partition_implILS8_3ELb0ES6_jNS0_17counting_iteratorIjlEEPS9_SE_NS0_5tupleIJPjSE_EEENSF_IJSE_SE_EEES9_SG_JZNS1_25segmented_radix_sort_implINS0_14default_configELb1EPKfPfPKlPlN2at6native12_GLOBAL__N_18offset_tEEE10hipError_tPvRmT1_PNSt15iterator_traitsISY_E10value_typeET2_T3_PNSZ_IS14_E10value_typeET4_jRbjT5_S1A_jjP12ihipStream_tbEUljE_EEESV_SW_SX_S14_S18_S1A_T6_T7_T9_mT8_S1C_bDpT10_ENKUlT_T0_E_clISt17integral_constantIbLb0EES1O_IbLb1EEEEDaS1K_S1L_EUlS1K_E_NS1_11comp_targetILNS1_3genE8ELNS1_11target_archE1030ELNS1_3gpuE2ELNS1_3repE0EEENS1_30default_config_static_selectorELNS0_4arch9wavefront6targetE1EEEvSY_
; %bb.0:
	.section	.rodata,"a",@progbits
	.p2align	6, 0x0
	.amdhsa_kernel _ZN7rocprim17ROCPRIM_400000_NS6detail17trampoline_kernelINS0_13select_configILj256ELj13ELNS0_17block_load_methodE3ELS4_3ELS4_3ELNS0_20block_scan_algorithmE0ELj4294967295EEENS1_25partition_config_selectorILNS1_17partition_subalgoE3EjNS0_10empty_typeEbEEZZNS1_14partition_implILS8_3ELb0ES6_jNS0_17counting_iteratorIjlEEPS9_SE_NS0_5tupleIJPjSE_EEENSF_IJSE_SE_EEES9_SG_JZNS1_25segmented_radix_sort_implINS0_14default_configELb1EPKfPfPKlPlN2at6native12_GLOBAL__N_18offset_tEEE10hipError_tPvRmT1_PNSt15iterator_traitsISY_E10value_typeET2_T3_PNSZ_IS14_E10value_typeET4_jRbjT5_S1A_jjP12ihipStream_tbEUljE_EEESV_SW_SX_S14_S18_S1A_T6_T7_T9_mT8_S1C_bDpT10_ENKUlT_T0_E_clISt17integral_constantIbLb0EES1O_IbLb1EEEEDaS1K_S1L_EUlS1K_E_NS1_11comp_targetILNS1_3genE8ELNS1_11target_archE1030ELNS1_3gpuE2ELNS1_3repE0EEENS1_30default_config_static_selectorELNS0_4arch9wavefront6targetE1EEEvSY_
		.amdhsa_group_segment_fixed_size 0
		.amdhsa_private_segment_fixed_size 0
		.amdhsa_kernarg_size 152
		.amdhsa_user_sgpr_count 6
		.amdhsa_user_sgpr_private_segment_buffer 1
		.amdhsa_user_sgpr_dispatch_ptr 0
		.amdhsa_user_sgpr_queue_ptr 0
		.amdhsa_user_sgpr_kernarg_segment_ptr 1
		.amdhsa_user_sgpr_dispatch_id 0
		.amdhsa_user_sgpr_flat_scratch_init 0
		.amdhsa_user_sgpr_kernarg_preload_length 0
		.amdhsa_user_sgpr_kernarg_preload_offset 0
		.amdhsa_user_sgpr_private_segment_size 0
		.amdhsa_uses_dynamic_stack 0
		.amdhsa_system_sgpr_private_segment_wavefront_offset 0
		.amdhsa_system_sgpr_workgroup_id_x 1
		.amdhsa_system_sgpr_workgroup_id_y 0
		.amdhsa_system_sgpr_workgroup_id_z 0
		.amdhsa_system_sgpr_workgroup_info 0
		.amdhsa_system_vgpr_workitem_id 0
		.amdhsa_next_free_vgpr 1
		.amdhsa_next_free_sgpr 0
		.amdhsa_accum_offset 4
		.amdhsa_reserve_vcc 0
		.amdhsa_reserve_flat_scratch 0
		.amdhsa_float_round_mode_32 0
		.amdhsa_float_round_mode_16_64 0
		.amdhsa_float_denorm_mode_32 3
		.amdhsa_float_denorm_mode_16_64 3
		.amdhsa_dx10_clamp 1
		.amdhsa_ieee_mode 1
		.amdhsa_fp16_overflow 0
		.amdhsa_tg_split 0
		.amdhsa_exception_fp_ieee_invalid_op 0
		.amdhsa_exception_fp_denorm_src 0
		.amdhsa_exception_fp_ieee_div_zero 0
		.amdhsa_exception_fp_ieee_overflow 0
		.amdhsa_exception_fp_ieee_underflow 0
		.amdhsa_exception_fp_ieee_inexact 0
		.amdhsa_exception_int_div_zero 0
	.end_amdhsa_kernel
	.section	.text._ZN7rocprim17ROCPRIM_400000_NS6detail17trampoline_kernelINS0_13select_configILj256ELj13ELNS0_17block_load_methodE3ELS4_3ELS4_3ELNS0_20block_scan_algorithmE0ELj4294967295EEENS1_25partition_config_selectorILNS1_17partition_subalgoE3EjNS0_10empty_typeEbEEZZNS1_14partition_implILS8_3ELb0ES6_jNS0_17counting_iteratorIjlEEPS9_SE_NS0_5tupleIJPjSE_EEENSF_IJSE_SE_EEES9_SG_JZNS1_25segmented_radix_sort_implINS0_14default_configELb1EPKfPfPKlPlN2at6native12_GLOBAL__N_18offset_tEEE10hipError_tPvRmT1_PNSt15iterator_traitsISY_E10value_typeET2_T3_PNSZ_IS14_E10value_typeET4_jRbjT5_S1A_jjP12ihipStream_tbEUljE_EEESV_SW_SX_S14_S18_S1A_T6_T7_T9_mT8_S1C_bDpT10_ENKUlT_T0_E_clISt17integral_constantIbLb0EES1O_IbLb1EEEEDaS1K_S1L_EUlS1K_E_NS1_11comp_targetILNS1_3genE8ELNS1_11target_archE1030ELNS1_3gpuE2ELNS1_3repE0EEENS1_30default_config_static_selectorELNS0_4arch9wavefront6targetE1EEEvSY_,"axG",@progbits,_ZN7rocprim17ROCPRIM_400000_NS6detail17trampoline_kernelINS0_13select_configILj256ELj13ELNS0_17block_load_methodE3ELS4_3ELS4_3ELNS0_20block_scan_algorithmE0ELj4294967295EEENS1_25partition_config_selectorILNS1_17partition_subalgoE3EjNS0_10empty_typeEbEEZZNS1_14partition_implILS8_3ELb0ES6_jNS0_17counting_iteratorIjlEEPS9_SE_NS0_5tupleIJPjSE_EEENSF_IJSE_SE_EEES9_SG_JZNS1_25segmented_radix_sort_implINS0_14default_configELb1EPKfPfPKlPlN2at6native12_GLOBAL__N_18offset_tEEE10hipError_tPvRmT1_PNSt15iterator_traitsISY_E10value_typeET2_T3_PNSZ_IS14_E10value_typeET4_jRbjT5_S1A_jjP12ihipStream_tbEUljE_EEESV_SW_SX_S14_S18_S1A_T6_T7_T9_mT8_S1C_bDpT10_ENKUlT_T0_E_clISt17integral_constantIbLb0EES1O_IbLb1EEEEDaS1K_S1L_EUlS1K_E_NS1_11comp_targetILNS1_3genE8ELNS1_11target_archE1030ELNS1_3gpuE2ELNS1_3repE0EEENS1_30default_config_static_selectorELNS0_4arch9wavefront6targetE1EEEvSY_,comdat
.Lfunc_end1322:
	.size	_ZN7rocprim17ROCPRIM_400000_NS6detail17trampoline_kernelINS0_13select_configILj256ELj13ELNS0_17block_load_methodE3ELS4_3ELS4_3ELNS0_20block_scan_algorithmE0ELj4294967295EEENS1_25partition_config_selectorILNS1_17partition_subalgoE3EjNS0_10empty_typeEbEEZZNS1_14partition_implILS8_3ELb0ES6_jNS0_17counting_iteratorIjlEEPS9_SE_NS0_5tupleIJPjSE_EEENSF_IJSE_SE_EEES9_SG_JZNS1_25segmented_radix_sort_implINS0_14default_configELb1EPKfPfPKlPlN2at6native12_GLOBAL__N_18offset_tEEE10hipError_tPvRmT1_PNSt15iterator_traitsISY_E10value_typeET2_T3_PNSZ_IS14_E10value_typeET4_jRbjT5_S1A_jjP12ihipStream_tbEUljE_EEESV_SW_SX_S14_S18_S1A_T6_T7_T9_mT8_S1C_bDpT10_ENKUlT_T0_E_clISt17integral_constantIbLb0EES1O_IbLb1EEEEDaS1K_S1L_EUlS1K_E_NS1_11comp_targetILNS1_3genE8ELNS1_11target_archE1030ELNS1_3gpuE2ELNS1_3repE0EEENS1_30default_config_static_selectorELNS0_4arch9wavefront6targetE1EEEvSY_, .Lfunc_end1322-_ZN7rocprim17ROCPRIM_400000_NS6detail17trampoline_kernelINS0_13select_configILj256ELj13ELNS0_17block_load_methodE3ELS4_3ELS4_3ELNS0_20block_scan_algorithmE0ELj4294967295EEENS1_25partition_config_selectorILNS1_17partition_subalgoE3EjNS0_10empty_typeEbEEZZNS1_14partition_implILS8_3ELb0ES6_jNS0_17counting_iteratorIjlEEPS9_SE_NS0_5tupleIJPjSE_EEENSF_IJSE_SE_EEES9_SG_JZNS1_25segmented_radix_sort_implINS0_14default_configELb1EPKfPfPKlPlN2at6native12_GLOBAL__N_18offset_tEEE10hipError_tPvRmT1_PNSt15iterator_traitsISY_E10value_typeET2_T3_PNSZ_IS14_E10value_typeET4_jRbjT5_S1A_jjP12ihipStream_tbEUljE_EEESV_SW_SX_S14_S18_S1A_T6_T7_T9_mT8_S1C_bDpT10_ENKUlT_T0_E_clISt17integral_constantIbLb0EES1O_IbLb1EEEEDaS1K_S1L_EUlS1K_E_NS1_11comp_targetILNS1_3genE8ELNS1_11target_archE1030ELNS1_3gpuE2ELNS1_3repE0EEENS1_30default_config_static_selectorELNS0_4arch9wavefront6targetE1EEEvSY_
                                        ; -- End function
	.section	.AMDGPU.csdata,"",@progbits
; Kernel info:
; codeLenInByte = 0
; NumSgprs: 4
; NumVgprs: 0
; NumAgprs: 0
; TotalNumVgprs: 0
; ScratchSize: 0
; MemoryBound: 0
; FloatMode: 240
; IeeeMode: 1
; LDSByteSize: 0 bytes/workgroup (compile time only)
; SGPRBlocks: 0
; VGPRBlocks: 0
; NumSGPRsForWavesPerEU: 4
; NumVGPRsForWavesPerEU: 1
; AccumOffset: 4
; Occupancy: 8
; WaveLimiterHint : 0
; COMPUTE_PGM_RSRC2:SCRATCH_EN: 0
; COMPUTE_PGM_RSRC2:USER_SGPR: 6
; COMPUTE_PGM_RSRC2:TRAP_HANDLER: 0
; COMPUTE_PGM_RSRC2:TGID_X_EN: 1
; COMPUTE_PGM_RSRC2:TGID_Y_EN: 0
; COMPUTE_PGM_RSRC2:TGID_Z_EN: 0
; COMPUTE_PGM_RSRC2:TIDIG_COMP_CNT: 0
; COMPUTE_PGM_RSRC3_GFX90A:ACCUM_OFFSET: 0
; COMPUTE_PGM_RSRC3_GFX90A:TG_SPLIT: 0
	.section	.text._ZN7rocprim17ROCPRIM_400000_NS6detail17trampoline_kernelINS0_14default_configENS1_36segmented_radix_sort_config_selectorIflEEZNS1_25segmented_radix_sort_implIS3_Lb1EPKfPfPKlPlN2at6native12_GLOBAL__N_18offset_tEEE10hipError_tPvRmT1_PNSt15iterator_traitsISK_E10value_typeET2_T3_PNSL_ISQ_E10value_typeET4_jRbjT5_SW_jjP12ihipStream_tbEUlT_E_NS1_11comp_targetILNS1_3genE0ELNS1_11target_archE4294967295ELNS1_3gpuE0ELNS1_3repE0EEENS1_30default_config_static_selectorELNS0_4arch9wavefront6targetE1EEEvSK_,"axG",@progbits,_ZN7rocprim17ROCPRIM_400000_NS6detail17trampoline_kernelINS0_14default_configENS1_36segmented_radix_sort_config_selectorIflEEZNS1_25segmented_radix_sort_implIS3_Lb1EPKfPfPKlPlN2at6native12_GLOBAL__N_18offset_tEEE10hipError_tPvRmT1_PNSt15iterator_traitsISK_E10value_typeET2_T3_PNSL_ISQ_E10value_typeET4_jRbjT5_SW_jjP12ihipStream_tbEUlT_E_NS1_11comp_targetILNS1_3genE0ELNS1_11target_archE4294967295ELNS1_3gpuE0ELNS1_3repE0EEENS1_30default_config_static_selectorELNS0_4arch9wavefront6targetE1EEEvSK_,comdat
	.globl	_ZN7rocprim17ROCPRIM_400000_NS6detail17trampoline_kernelINS0_14default_configENS1_36segmented_radix_sort_config_selectorIflEEZNS1_25segmented_radix_sort_implIS3_Lb1EPKfPfPKlPlN2at6native12_GLOBAL__N_18offset_tEEE10hipError_tPvRmT1_PNSt15iterator_traitsISK_E10value_typeET2_T3_PNSL_ISQ_E10value_typeET4_jRbjT5_SW_jjP12ihipStream_tbEUlT_E_NS1_11comp_targetILNS1_3genE0ELNS1_11target_archE4294967295ELNS1_3gpuE0ELNS1_3repE0EEENS1_30default_config_static_selectorELNS0_4arch9wavefront6targetE1EEEvSK_ ; -- Begin function _ZN7rocprim17ROCPRIM_400000_NS6detail17trampoline_kernelINS0_14default_configENS1_36segmented_radix_sort_config_selectorIflEEZNS1_25segmented_radix_sort_implIS3_Lb1EPKfPfPKlPlN2at6native12_GLOBAL__N_18offset_tEEE10hipError_tPvRmT1_PNSt15iterator_traitsISK_E10value_typeET2_T3_PNSL_ISQ_E10value_typeET4_jRbjT5_SW_jjP12ihipStream_tbEUlT_E_NS1_11comp_targetILNS1_3genE0ELNS1_11target_archE4294967295ELNS1_3gpuE0ELNS1_3repE0EEENS1_30default_config_static_selectorELNS0_4arch9wavefront6targetE1EEEvSK_
	.p2align	8
	.type	_ZN7rocprim17ROCPRIM_400000_NS6detail17trampoline_kernelINS0_14default_configENS1_36segmented_radix_sort_config_selectorIflEEZNS1_25segmented_radix_sort_implIS3_Lb1EPKfPfPKlPlN2at6native12_GLOBAL__N_18offset_tEEE10hipError_tPvRmT1_PNSt15iterator_traitsISK_E10value_typeET2_T3_PNSL_ISQ_E10value_typeET4_jRbjT5_SW_jjP12ihipStream_tbEUlT_E_NS1_11comp_targetILNS1_3genE0ELNS1_11target_archE4294967295ELNS1_3gpuE0ELNS1_3repE0EEENS1_30default_config_static_selectorELNS0_4arch9wavefront6targetE1EEEvSK_,@function
_ZN7rocprim17ROCPRIM_400000_NS6detail17trampoline_kernelINS0_14default_configENS1_36segmented_radix_sort_config_selectorIflEEZNS1_25segmented_radix_sort_implIS3_Lb1EPKfPfPKlPlN2at6native12_GLOBAL__N_18offset_tEEE10hipError_tPvRmT1_PNSt15iterator_traitsISK_E10value_typeET2_T3_PNSL_ISQ_E10value_typeET4_jRbjT5_SW_jjP12ihipStream_tbEUlT_E_NS1_11comp_targetILNS1_3genE0ELNS1_11target_archE4294967295ELNS1_3gpuE0ELNS1_3repE0EEENS1_30default_config_static_selectorELNS0_4arch9wavefront6targetE1EEEvSK_: ; @_ZN7rocprim17ROCPRIM_400000_NS6detail17trampoline_kernelINS0_14default_configENS1_36segmented_radix_sort_config_selectorIflEEZNS1_25segmented_radix_sort_implIS3_Lb1EPKfPfPKlPlN2at6native12_GLOBAL__N_18offset_tEEE10hipError_tPvRmT1_PNSt15iterator_traitsISK_E10value_typeET2_T3_PNSL_ISQ_E10value_typeET4_jRbjT5_SW_jjP12ihipStream_tbEUlT_E_NS1_11comp_targetILNS1_3genE0ELNS1_11target_archE4294967295ELNS1_3gpuE0ELNS1_3repE0EEENS1_30default_config_static_selectorELNS0_4arch9wavefront6targetE1EEEvSK_
; %bb.0:
	.section	.rodata,"a",@progbits
	.p2align	6, 0x0
	.amdhsa_kernel _ZN7rocprim17ROCPRIM_400000_NS6detail17trampoline_kernelINS0_14default_configENS1_36segmented_radix_sort_config_selectorIflEEZNS1_25segmented_radix_sort_implIS3_Lb1EPKfPfPKlPlN2at6native12_GLOBAL__N_18offset_tEEE10hipError_tPvRmT1_PNSt15iterator_traitsISK_E10value_typeET2_T3_PNSL_ISQ_E10value_typeET4_jRbjT5_SW_jjP12ihipStream_tbEUlT_E_NS1_11comp_targetILNS1_3genE0ELNS1_11target_archE4294967295ELNS1_3gpuE0ELNS1_3repE0EEENS1_30default_config_static_selectorELNS0_4arch9wavefront6targetE1EEEvSK_
		.amdhsa_group_segment_fixed_size 0
		.amdhsa_private_segment_fixed_size 0
		.amdhsa_kernarg_size 96
		.amdhsa_user_sgpr_count 6
		.amdhsa_user_sgpr_private_segment_buffer 1
		.amdhsa_user_sgpr_dispatch_ptr 0
		.amdhsa_user_sgpr_queue_ptr 0
		.amdhsa_user_sgpr_kernarg_segment_ptr 1
		.amdhsa_user_sgpr_dispatch_id 0
		.amdhsa_user_sgpr_flat_scratch_init 0
		.amdhsa_user_sgpr_kernarg_preload_length 0
		.amdhsa_user_sgpr_kernarg_preload_offset 0
		.amdhsa_user_sgpr_private_segment_size 0
		.amdhsa_uses_dynamic_stack 0
		.amdhsa_system_sgpr_private_segment_wavefront_offset 0
		.amdhsa_system_sgpr_workgroup_id_x 1
		.amdhsa_system_sgpr_workgroup_id_y 0
		.amdhsa_system_sgpr_workgroup_id_z 0
		.amdhsa_system_sgpr_workgroup_info 0
		.amdhsa_system_vgpr_workitem_id 0
		.amdhsa_next_free_vgpr 1
		.amdhsa_next_free_sgpr 0
		.amdhsa_accum_offset 4
		.amdhsa_reserve_vcc 0
		.amdhsa_reserve_flat_scratch 0
		.amdhsa_float_round_mode_32 0
		.amdhsa_float_round_mode_16_64 0
		.amdhsa_float_denorm_mode_32 3
		.amdhsa_float_denorm_mode_16_64 3
		.amdhsa_dx10_clamp 1
		.amdhsa_ieee_mode 1
		.amdhsa_fp16_overflow 0
		.amdhsa_tg_split 0
		.amdhsa_exception_fp_ieee_invalid_op 0
		.amdhsa_exception_fp_denorm_src 0
		.amdhsa_exception_fp_ieee_div_zero 0
		.amdhsa_exception_fp_ieee_overflow 0
		.amdhsa_exception_fp_ieee_underflow 0
		.amdhsa_exception_fp_ieee_inexact 0
		.amdhsa_exception_int_div_zero 0
	.end_amdhsa_kernel
	.section	.text._ZN7rocprim17ROCPRIM_400000_NS6detail17trampoline_kernelINS0_14default_configENS1_36segmented_radix_sort_config_selectorIflEEZNS1_25segmented_radix_sort_implIS3_Lb1EPKfPfPKlPlN2at6native12_GLOBAL__N_18offset_tEEE10hipError_tPvRmT1_PNSt15iterator_traitsISK_E10value_typeET2_T3_PNSL_ISQ_E10value_typeET4_jRbjT5_SW_jjP12ihipStream_tbEUlT_E_NS1_11comp_targetILNS1_3genE0ELNS1_11target_archE4294967295ELNS1_3gpuE0ELNS1_3repE0EEENS1_30default_config_static_selectorELNS0_4arch9wavefront6targetE1EEEvSK_,"axG",@progbits,_ZN7rocprim17ROCPRIM_400000_NS6detail17trampoline_kernelINS0_14default_configENS1_36segmented_radix_sort_config_selectorIflEEZNS1_25segmented_radix_sort_implIS3_Lb1EPKfPfPKlPlN2at6native12_GLOBAL__N_18offset_tEEE10hipError_tPvRmT1_PNSt15iterator_traitsISK_E10value_typeET2_T3_PNSL_ISQ_E10value_typeET4_jRbjT5_SW_jjP12ihipStream_tbEUlT_E_NS1_11comp_targetILNS1_3genE0ELNS1_11target_archE4294967295ELNS1_3gpuE0ELNS1_3repE0EEENS1_30default_config_static_selectorELNS0_4arch9wavefront6targetE1EEEvSK_,comdat
.Lfunc_end1323:
	.size	_ZN7rocprim17ROCPRIM_400000_NS6detail17trampoline_kernelINS0_14default_configENS1_36segmented_radix_sort_config_selectorIflEEZNS1_25segmented_radix_sort_implIS3_Lb1EPKfPfPKlPlN2at6native12_GLOBAL__N_18offset_tEEE10hipError_tPvRmT1_PNSt15iterator_traitsISK_E10value_typeET2_T3_PNSL_ISQ_E10value_typeET4_jRbjT5_SW_jjP12ihipStream_tbEUlT_E_NS1_11comp_targetILNS1_3genE0ELNS1_11target_archE4294967295ELNS1_3gpuE0ELNS1_3repE0EEENS1_30default_config_static_selectorELNS0_4arch9wavefront6targetE1EEEvSK_, .Lfunc_end1323-_ZN7rocprim17ROCPRIM_400000_NS6detail17trampoline_kernelINS0_14default_configENS1_36segmented_radix_sort_config_selectorIflEEZNS1_25segmented_radix_sort_implIS3_Lb1EPKfPfPKlPlN2at6native12_GLOBAL__N_18offset_tEEE10hipError_tPvRmT1_PNSt15iterator_traitsISK_E10value_typeET2_T3_PNSL_ISQ_E10value_typeET4_jRbjT5_SW_jjP12ihipStream_tbEUlT_E_NS1_11comp_targetILNS1_3genE0ELNS1_11target_archE4294967295ELNS1_3gpuE0ELNS1_3repE0EEENS1_30default_config_static_selectorELNS0_4arch9wavefront6targetE1EEEvSK_
                                        ; -- End function
	.section	.AMDGPU.csdata,"",@progbits
; Kernel info:
; codeLenInByte = 0
; NumSgprs: 4
; NumVgprs: 0
; NumAgprs: 0
; TotalNumVgprs: 0
; ScratchSize: 0
; MemoryBound: 0
; FloatMode: 240
; IeeeMode: 1
; LDSByteSize: 0 bytes/workgroup (compile time only)
; SGPRBlocks: 0
; VGPRBlocks: 0
; NumSGPRsForWavesPerEU: 4
; NumVGPRsForWavesPerEU: 1
; AccumOffset: 4
; Occupancy: 8
; WaveLimiterHint : 0
; COMPUTE_PGM_RSRC2:SCRATCH_EN: 0
; COMPUTE_PGM_RSRC2:USER_SGPR: 6
; COMPUTE_PGM_RSRC2:TRAP_HANDLER: 0
; COMPUTE_PGM_RSRC2:TGID_X_EN: 1
; COMPUTE_PGM_RSRC2:TGID_Y_EN: 0
; COMPUTE_PGM_RSRC2:TGID_Z_EN: 0
; COMPUTE_PGM_RSRC2:TIDIG_COMP_CNT: 0
; COMPUTE_PGM_RSRC3_GFX90A:ACCUM_OFFSET: 0
; COMPUTE_PGM_RSRC3_GFX90A:TG_SPLIT: 0
	.section	.text._ZN7rocprim17ROCPRIM_400000_NS6detail17trampoline_kernelINS0_14default_configENS1_36segmented_radix_sort_config_selectorIflEEZNS1_25segmented_radix_sort_implIS3_Lb1EPKfPfPKlPlN2at6native12_GLOBAL__N_18offset_tEEE10hipError_tPvRmT1_PNSt15iterator_traitsISK_E10value_typeET2_T3_PNSL_ISQ_E10value_typeET4_jRbjT5_SW_jjP12ihipStream_tbEUlT_E_NS1_11comp_targetILNS1_3genE5ELNS1_11target_archE942ELNS1_3gpuE9ELNS1_3repE0EEENS1_30default_config_static_selectorELNS0_4arch9wavefront6targetE1EEEvSK_,"axG",@progbits,_ZN7rocprim17ROCPRIM_400000_NS6detail17trampoline_kernelINS0_14default_configENS1_36segmented_radix_sort_config_selectorIflEEZNS1_25segmented_radix_sort_implIS3_Lb1EPKfPfPKlPlN2at6native12_GLOBAL__N_18offset_tEEE10hipError_tPvRmT1_PNSt15iterator_traitsISK_E10value_typeET2_T3_PNSL_ISQ_E10value_typeET4_jRbjT5_SW_jjP12ihipStream_tbEUlT_E_NS1_11comp_targetILNS1_3genE5ELNS1_11target_archE942ELNS1_3gpuE9ELNS1_3repE0EEENS1_30default_config_static_selectorELNS0_4arch9wavefront6targetE1EEEvSK_,comdat
	.globl	_ZN7rocprim17ROCPRIM_400000_NS6detail17trampoline_kernelINS0_14default_configENS1_36segmented_radix_sort_config_selectorIflEEZNS1_25segmented_radix_sort_implIS3_Lb1EPKfPfPKlPlN2at6native12_GLOBAL__N_18offset_tEEE10hipError_tPvRmT1_PNSt15iterator_traitsISK_E10value_typeET2_T3_PNSL_ISQ_E10value_typeET4_jRbjT5_SW_jjP12ihipStream_tbEUlT_E_NS1_11comp_targetILNS1_3genE5ELNS1_11target_archE942ELNS1_3gpuE9ELNS1_3repE0EEENS1_30default_config_static_selectorELNS0_4arch9wavefront6targetE1EEEvSK_ ; -- Begin function _ZN7rocprim17ROCPRIM_400000_NS6detail17trampoline_kernelINS0_14default_configENS1_36segmented_radix_sort_config_selectorIflEEZNS1_25segmented_radix_sort_implIS3_Lb1EPKfPfPKlPlN2at6native12_GLOBAL__N_18offset_tEEE10hipError_tPvRmT1_PNSt15iterator_traitsISK_E10value_typeET2_T3_PNSL_ISQ_E10value_typeET4_jRbjT5_SW_jjP12ihipStream_tbEUlT_E_NS1_11comp_targetILNS1_3genE5ELNS1_11target_archE942ELNS1_3gpuE9ELNS1_3repE0EEENS1_30default_config_static_selectorELNS0_4arch9wavefront6targetE1EEEvSK_
	.p2align	8
	.type	_ZN7rocprim17ROCPRIM_400000_NS6detail17trampoline_kernelINS0_14default_configENS1_36segmented_radix_sort_config_selectorIflEEZNS1_25segmented_radix_sort_implIS3_Lb1EPKfPfPKlPlN2at6native12_GLOBAL__N_18offset_tEEE10hipError_tPvRmT1_PNSt15iterator_traitsISK_E10value_typeET2_T3_PNSL_ISQ_E10value_typeET4_jRbjT5_SW_jjP12ihipStream_tbEUlT_E_NS1_11comp_targetILNS1_3genE5ELNS1_11target_archE942ELNS1_3gpuE9ELNS1_3repE0EEENS1_30default_config_static_selectorELNS0_4arch9wavefront6targetE1EEEvSK_,@function
_ZN7rocprim17ROCPRIM_400000_NS6detail17trampoline_kernelINS0_14default_configENS1_36segmented_radix_sort_config_selectorIflEEZNS1_25segmented_radix_sort_implIS3_Lb1EPKfPfPKlPlN2at6native12_GLOBAL__N_18offset_tEEE10hipError_tPvRmT1_PNSt15iterator_traitsISK_E10value_typeET2_T3_PNSL_ISQ_E10value_typeET4_jRbjT5_SW_jjP12ihipStream_tbEUlT_E_NS1_11comp_targetILNS1_3genE5ELNS1_11target_archE942ELNS1_3gpuE9ELNS1_3repE0EEENS1_30default_config_static_selectorELNS0_4arch9wavefront6targetE1EEEvSK_: ; @_ZN7rocprim17ROCPRIM_400000_NS6detail17trampoline_kernelINS0_14default_configENS1_36segmented_radix_sort_config_selectorIflEEZNS1_25segmented_radix_sort_implIS3_Lb1EPKfPfPKlPlN2at6native12_GLOBAL__N_18offset_tEEE10hipError_tPvRmT1_PNSt15iterator_traitsISK_E10value_typeET2_T3_PNSL_ISQ_E10value_typeET4_jRbjT5_SW_jjP12ihipStream_tbEUlT_E_NS1_11comp_targetILNS1_3genE5ELNS1_11target_archE942ELNS1_3gpuE9ELNS1_3repE0EEENS1_30default_config_static_selectorELNS0_4arch9wavefront6targetE1EEEvSK_
; %bb.0:
	.section	.rodata,"a",@progbits
	.p2align	6, 0x0
	.amdhsa_kernel _ZN7rocprim17ROCPRIM_400000_NS6detail17trampoline_kernelINS0_14default_configENS1_36segmented_radix_sort_config_selectorIflEEZNS1_25segmented_radix_sort_implIS3_Lb1EPKfPfPKlPlN2at6native12_GLOBAL__N_18offset_tEEE10hipError_tPvRmT1_PNSt15iterator_traitsISK_E10value_typeET2_T3_PNSL_ISQ_E10value_typeET4_jRbjT5_SW_jjP12ihipStream_tbEUlT_E_NS1_11comp_targetILNS1_3genE5ELNS1_11target_archE942ELNS1_3gpuE9ELNS1_3repE0EEENS1_30default_config_static_selectorELNS0_4arch9wavefront6targetE1EEEvSK_
		.amdhsa_group_segment_fixed_size 0
		.amdhsa_private_segment_fixed_size 0
		.amdhsa_kernarg_size 96
		.amdhsa_user_sgpr_count 6
		.amdhsa_user_sgpr_private_segment_buffer 1
		.amdhsa_user_sgpr_dispatch_ptr 0
		.amdhsa_user_sgpr_queue_ptr 0
		.amdhsa_user_sgpr_kernarg_segment_ptr 1
		.amdhsa_user_sgpr_dispatch_id 0
		.amdhsa_user_sgpr_flat_scratch_init 0
		.amdhsa_user_sgpr_kernarg_preload_length 0
		.amdhsa_user_sgpr_kernarg_preload_offset 0
		.amdhsa_user_sgpr_private_segment_size 0
		.amdhsa_uses_dynamic_stack 0
		.amdhsa_system_sgpr_private_segment_wavefront_offset 0
		.amdhsa_system_sgpr_workgroup_id_x 1
		.amdhsa_system_sgpr_workgroup_id_y 0
		.amdhsa_system_sgpr_workgroup_id_z 0
		.amdhsa_system_sgpr_workgroup_info 0
		.amdhsa_system_vgpr_workitem_id 0
		.amdhsa_next_free_vgpr 1
		.amdhsa_next_free_sgpr 0
		.amdhsa_accum_offset 4
		.amdhsa_reserve_vcc 0
		.amdhsa_reserve_flat_scratch 0
		.amdhsa_float_round_mode_32 0
		.amdhsa_float_round_mode_16_64 0
		.amdhsa_float_denorm_mode_32 3
		.amdhsa_float_denorm_mode_16_64 3
		.amdhsa_dx10_clamp 1
		.amdhsa_ieee_mode 1
		.amdhsa_fp16_overflow 0
		.amdhsa_tg_split 0
		.amdhsa_exception_fp_ieee_invalid_op 0
		.amdhsa_exception_fp_denorm_src 0
		.amdhsa_exception_fp_ieee_div_zero 0
		.amdhsa_exception_fp_ieee_overflow 0
		.amdhsa_exception_fp_ieee_underflow 0
		.amdhsa_exception_fp_ieee_inexact 0
		.amdhsa_exception_int_div_zero 0
	.end_amdhsa_kernel
	.section	.text._ZN7rocprim17ROCPRIM_400000_NS6detail17trampoline_kernelINS0_14default_configENS1_36segmented_radix_sort_config_selectorIflEEZNS1_25segmented_radix_sort_implIS3_Lb1EPKfPfPKlPlN2at6native12_GLOBAL__N_18offset_tEEE10hipError_tPvRmT1_PNSt15iterator_traitsISK_E10value_typeET2_T3_PNSL_ISQ_E10value_typeET4_jRbjT5_SW_jjP12ihipStream_tbEUlT_E_NS1_11comp_targetILNS1_3genE5ELNS1_11target_archE942ELNS1_3gpuE9ELNS1_3repE0EEENS1_30default_config_static_selectorELNS0_4arch9wavefront6targetE1EEEvSK_,"axG",@progbits,_ZN7rocprim17ROCPRIM_400000_NS6detail17trampoline_kernelINS0_14default_configENS1_36segmented_radix_sort_config_selectorIflEEZNS1_25segmented_radix_sort_implIS3_Lb1EPKfPfPKlPlN2at6native12_GLOBAL__N_18offset_tEEE10hipError_tPvRmT1_PNSt15iterator_traitsISK_E10value_typeET2_T3_PNSL_ISQ_E10value_typeET4_jRbjT5_SW_jjP12ihipStream_tbEUlT_E_NS1_11comp_targetILNS1_3genE5ELNS1_11target_archE942ELNS1_3gpuE9ELNS1_3repE0EEENS1_30default_config_static_selectorELNS0_4arch9wavefront6targetE1EEEvSK_,comdat
.Lfunc_end1324:
	.size	_ZN7rocprim17ROCPRIM_400000_NS6detail17trampoline_kernelINS0_14default_configENS1_36segmented_radix_sort_config_selectorIflEEZNS1_25segmented_radix_sort_implIS3_Lb1EPKfPfPKlPlN2at6native12_GLOBAL__N_18offset_tEEE10hipError_tPvRmT1_PNSt15iterator_traitsISK_E10value_typeET2_T3_PNSL_ISQ_E10value_typeET4_jRbjT5_SW_jjP12ihipStream_tbEUlT_E_NS1_11comp_targetILNS1_3genE5ELNS1_11target_archE942ELNS1_3gpuE9ELNS1_3repE0EEENS1_30default_config_static_selectorELNS0_4arch9wavefront6targetE1EEEvSK_, .Lfunc_end1324-_ZN7rocprim17ROCPRIM_400000_NS6detail17trampoline_kernelINS0_14default_configENS1_36segmented_radix_sort_config_selectorIflEEZNS1_25segmented_radix_sort_implIS3_Lb1EPKfPfPKlPlN2at6native12_GLOBAL__N_18offset_tEEE10hipError_tPvRmT1_PNSt15iterator_traitsISK_E10value_typeET2_T3_PNSL_ISQ_E10value_typeET4_jRbjT5_SW_jjP12ihipStream_tbEUlT_E_NS1_11comp_targetILNS1_3genE5ELNS1_11target_archE942ELNS1_3gpuE9ELNS1_3repE0EEENS1_30default_config_static_selectorELNS0_4arch9wavefront6targetE1EEEvSK_
                                        ; -- End function
	.section	.AMDGPU.csdata,"",@progbits
; Kernel info:
; codeLenInByte = 0
; NumSgprs: 4
; NumVgprs: 0
; NumAgprs: 0
; TotalNumVgprs: 0
; ScratchSize: 0
; MemoryBound: 0
; FloatMode: 240
; IeeeMode: 1
; LDSByteSize: 0 bytes/workgroup (compile time only)
; SGPRBlocks: 0
; VGPRBlocks: 0
; NumSGPRsForWavesPerEU: 4
; NumVGPRsForWavesPerEU: 1
; AccumOffset: 4
; Occupancy: 8
; WaveLimiterHint : 0
; COMPUTE_PGM_RSRC2:SCRATCH_EN: 0
; COMPUTE_PGM_RSRC2:USER_SGPR: 6
; COMPUTE_PGM_RSRC2:TRAP_HANDLER: 0
; COMPUTE_PGM_RSRC2:TGID_X_EN: 1
; COMPUTE_PGM_RSRC2:TGID_Y_EN: 0
; COMPUTE_PGM_RSRC2:TGID_Z_EN: 0
; COMPUTE_PGM_RSRC2:TIDIG_COMP_CNT: 0
; COMPUTE_PGM_RSRC3_GFX90A:ACCUM_OFFSET: 0
; COMPUTE_PGM_RSRC3_GFX90A:TG_SPLIT: 0
	.text
	.p2align	2                               ; -- Begin function _ZN7rocprim17ROCPRIM_400000_NS6detail40segmented_radix_sort_single_block_helperIflLj256ELj8ELb1EE4sortIPKfPfPKlPlEEbT_T0_T1_T2_jjjjRNS3_12storage_typeE
	.type	_ZN7rocprim17ROCPRIM_400000_NS6detail40segmented_radix_sort_single_block_helperIflLj256ELj8ELb1EE4sortIPKfPfPKlPlEEbT_T0_T1_T2_jjjjRNS3_12storage_typeE,@function
_ZN7rocprim17ROCPRIM_400000_NS6detail40segmented_radix_sort_single_block_helperIflLj256ELj8ELb1EE4sortIPKfPfPKlPlEEbT_T0_T1_T2_jjjjRNS3_12storage_typeE: ; @_ZN7rocprim17ROCPRIM_400000_NS6detail40segmented_radix_sort_single_block_helperIflLj256ELj8ELb1EE4sortIPKfPfPKlPlEEbT_T0_T1_T2_jjjjRNS3_12storage_typeE
; %bb.0:
	s_waitcnt vmcnt(0) expcnt(0) lgkmcnt(0)
	s_or_saveexec_b64 s[4:5], -1
	buffer_store_dword v40, off, s[0:3], s32 ; 4-byte Folded Spill
	s_mov_b64 exec, s[4:5]
	v_writelane_b32 v40, s34, 0
	v_writelane_b32 v40, s35, 1
	;; [unrolled: 1-line block ×16, first 2 shown]
	v_sub_u32_e32 v150, v9, v8
	s_movk_i32 s4, 0x801
	v_cmp_gt_u32_e32 vcc, s4, v150
	s_and_saveexec_b64 s[38:39], vcc
	s_cbranch_execz .LBB1325_199
; %bb.1:
	s_movk_i32 s4, 0x400
	v_cmp_lt_u32_e32 vcc, s4, v150
	v_bfe_u32 v14, v31, 10, 10
	v_bfe_u32 v16, v31, 20, 10
	v_mbcnt_lo_u32_b32 v15, -1, 0
	s_and_saveexec_b64 s[4:5], vcc
	s_xor_b64 s[40:41], exec, s[4:5]
	s_cbranch_execz .LBB1325_79
; %bb.2:
	s_load_dwordx2 s[4:5], s[8:9], 0x0
	v_mov_b32_e32 v9, 0
	v_and_b32_e32 v24, 0x3ff, v31
	v_mbcnt_hi_u32_b32 v31, -1, v15
	v_lshlrev_b64 v[22:23], 2, v[8:9]
	s_waitcnt lgkmcnt(0)
	s_cmp_lt_u32 s12, s4
	s_cselect_b32 s6, 12, 18
	s_cmp_lt_u32 s13, s5
	s_cselect_b32 s4, 14, 20
	s_add_u32 s4, s8, s4
	s_addc_u32 s5, s9, 0
	s_add_u32 s6, s8, s6
	global_load_ushort v17, v9, s[4:5]
	s_addc_u32 s7, s9, 0
	global_load_ushort v18, v9, s[6:7]
	v_and_b32_e32 v30, 63, v31
	v_add_co_u32_e32 v0, vcc, v0, v22
	v_addc_co_u32_e32 v1, vcc, v1, v23, vcc
	v_lshlrev_b32_e32 v15, 2, v30
	v_add_co_u32_e32 v19, vcc, v0, v15
	v_addc_co_u32_e32 v20, vcc, 0, v1, vcc
	v_mov_b32_e32 v27, v9
	s_mov_b32 s16, -1
	s_mov_b32 s17, s16
	s_mov_b32 s18, s16
	;; [unrolled: 1-line block ×7, first 2 shown]
	s_waitcnt vmcnt(1)
	v_mad_u32_u24 v0, v16, v17, v14
	s_waitcnt vmcnt(0)
	v_mad_u64_u32 v[0:1], s[4:5], v0, v18, v[24:25]
	v_lshlrev_b32_e32 v1, 3, v0
	v_and_b32_e32 v26, 0xfffffe00, v1
	v_lshlrev_b64 v[14:15], 2, v[26:27]
	v_add_co_u32_e32 v28, vcc, v19, v14
	v_or_b32_e32 v1, v26, v30
	v_addc_co_u32_e32 v29, vcc, v20, v15, vcc
	v_pk_mov_b32 v[14:15], s[16:17], s[16:17] op_sel:[0,1]
	v_cmp_lt_u32_e32 vcc, v1, v150
	v_pk_mov_b32 v[16:17], s[18:19], s[18:19] op_sel:[0,1]
	v_pk_mov_b32 v[18:19], s[20:21], s[20:21] op_sel:[0,1]
	;; [unrolled: 1-line block ×3, first 2 shown]
	s_and_saveexec_b64 s[4:5], vcc
	s_cbranch_execz .LBB1325_4
; %bb.3:
	flat_load_dword v14, v[28:29]
	v_mov_b32_e32 v15, -1
	v_mov_b32_e32 v16, v15
	v_mov_b32_e32 v17, v15
	;; [unrolled: 1-line block ×6, first 2 shown]
.LBB1325_4:
	s_or_b64 exec, exec, s[4:5]
	v_or_b32_e32 v25, 64, v1
	v_cmp_lt_u32_e64 s[4:5], v25, v150
	s_and_saveexec_b64 s[6:7], s[4:5]
	s_cbranch_execz .LBB1325_6
; %bb.5:
	flat_load_dword v15, v[28:29] offset:256
.LBB1325_6:
	s_or_b64 exec, exec, s[6:7]
	v_or_b32_e32 v25, 0x80, v1
	v_cmp_lt_u32_e64 s[6:7], v25, v150
	s_and_saveexec_b64 s[10:11], s[6:7]
	s_cbranch_execz .LBB1325_8
; %bb.7:
	flat_load_dword v16, v[28:29] offset:512
.LBB1325_8:
	;; [unrolled: 8-line block ×7, first 2 shown]
	s_or_b64 exec, exec, s[22:23]
	v_lshlrev_b64 v[8:9], 3, v[8:9]
	v_add_co_u32_e64 v1, s[22:23], v4, v8
	v_addc_co_u32_e64 v4, s[22:23], v5, v9, s[22:23]
	v_lshlrev_b32_e32 v5, 3, v30
	v_add_co_u32_e64 v1, s[22:23], v1, v5
	v_addc_co_u32_e64 v25, s[22:23], 0, v4, s[22:23]
	v_lshlrev_b64 v[4:5], 3, v[26:27]
	v_add_co_u32_e64 v4, s[22:23], v1, v4
	v_addc_co_u32_e64 v5, s[22:23], v25, v5, s[22:23]
                                        ; implicit-def: $vgpr66_vgpr67
	s_and_saveexec_b64 s[22:23], vcc
	s_cbranch_execnz .LBB1325_112
; %bb.19:
	s_or_b64 exec, exec, s[22:23]
                                        ; implicit-def: $vgpr68_vgpr69
	s_and_saveexec_b64 s[22:23], s[4:5]
	s_cbranch_execnz .LBB1325_113
.LBB1325_20:
	s_or_b64 exec, exec, s[22:23]
                                        ; implicit-def: $vgpr70_vgpr71
	s_and_saveexec_b64 s[4:5], s[6:7]
	s_cbranch_execnz .LBB1325_114
.LBB1325_21:
	s_or_b64 exec, exec, s[4:5]
                                        ; implicit-def: $vgpr80_vgpr81
	s_and_saveexec_b64 s[4:5], s[10:11]
	s_cbranch_execnz .LBB1325_115
.LBB1325_22:
	s_or_b64 exec, exec, s[4:5]
                                        ; implicit-def: $vgpr100_vgpr101
	s_and_saveexec_b64 s[4:5], s[20:21]
	s_cbranch_execnz .LBB1325_116
.LBB1325_23:
	s_or_b64 exec, exec, s[4:5]
                                        ; implicit-def: $vgpr132_vgpr133
	s_and_saveexec_b64 s[4:5], s[14:15]
	s_cbranch_execnz .LBB1325_117
.LBB1325_24:
	s_or_b64 exec, exec, s[4:5]
                                        ; implicit-def: $vgpr146_vgpr147
	s_and_saveexec_b64 s[4:5], s[16:17]
	s_cbranch_execnz .LBB1325_118
.LBB1325_25:
	s_or_b64 exec, exec, s[4:5]
                                        ; implicit-def: $vgpr148_vgpr149
	s_and_saveexec_b64 s[4:5], s[18:19]
	s_cbranch_execz .LBB1325_27
.LBB1325_26:
	flat_load_dwordx2 v[148:149], v[4:5] offset:3584
.LBB1325_27:
	s_or_b64 exec, exec, s[4:5]
	v_bfrev_b32_e32 v25, -2
	s_waitcnt vmcnt(0) lgkmcnt(0)
	v_cmp_gt_i32_e32 vcc, 0, v14
	v_cndmask_b32_e64 v1, v25, 0, vcc
	v_cmp_gt_i32_e32 vcc, 0, v15
	v_xor_b32_e32 v180, v1, v14
	v_cndmask_b32_e64 v1, v25, 0, vcc
	v_cmp_gt_i32_e32 vcc, 0, v16
	v_xor_b32_e32 v15, v1, v15
	;; [unrolled: 3-line block ×7, first 2 shown]
	v_cndmask_b32_e64 v1, v25, 0, vcc
	v_add_co_u32_e32 v151, vcc, 16, v12
	v_addc_co_u32_e32 v160, vcc, 0, v13, vcc
	v_lshlrev_b32_e32 v4, 4, v24
	v_add_co_u32_e32 v20, vcc, v12, v4
	v_xor_b32_e32 v194, v1, v21
	s_getpc_b64 s[4:5]
	s_add_u32 s4, s4, _ZN7rocprim17ROCPRIM_400000_NS16block_radix_sortIfLj256ELj8ElLj1ELj1ELj8ELNS0_26block_radix_rank_algorithmE2ELNS0_18block_padding_hintE2ELNS0_4arch9wavefront6targetE1EE19radix_bits_per_passE@rel32@lo+4
	s_addc_u32 s5, s5, _ZN7rocprim17ROCPRIM_400000_NS16block_radix_sortIfLj256ELj8ElLj1ELj1ELj8ELNS0_26block_radix_rank_algorithmE2ELNS0_18block_padding_hintE2ELNS0_4arch9wavefront6targetE1EE19radix_bits_per_passE@rel32@hi+12
	v_addc_co_u32_e32 v21, vcc, 0, v13, vcc
	v_and_b32_e32 v4, 15, v31
	s_load_dword s46, s[4:5], 0x0
	v_cmp_eq_u32_e32 vcc, 0, v4
	v_cmp_lt_u32_e64 s[4:5], 1, v4
	v_cmp_lt_u32_e64 s[6:7], 3, v4
	;; [unrolled: 1-line block ×3, first 2 shown]
	v_and_b32_e32 v4, 16, v31
	v_cmp_eq_u32_e64 s[30:31], 0, v4
	v_and_b32_e32 v4, 0x3c0, v24
	v_min_u32_e32 v4, 0xc0, v4
	v_or_b32_e32 v4, 63, v4
	v_cmp_eq_u32_e64 s[16:17], v4, v24
	v_add_u32_e32 v4, -1, v31
	v_and_b32_e32 v5, 64, v31
	v_cmp_lt_i32_e64 s[22:23], v4, v5
	v_lshrrev_b32_e32 v16, 6, v24
	v_cndmask_b32_e64 v4, v4, v31, s[22:23]
	v_lshlrev_b32_e32 v162, 2, v4
	v_lshlrev_b32_e32 v4, 2, v16
	v_add_co_u32_e64 v38, s[26:27], v12, v4
	v_lshlrev_b32_e32 v1, 2, v24
	v_addc_co_u32_e64 v39, s[26:27], 0, v13, s[26:27]
	v_add_co_u32_e64 v4, s[26:27], v12, v1
	v_mov_b32_e32 v14, 0
	v_addc_co_u32_e64 v5, s[26:27], 0, v13, s[26:27]
	v_and_b32_e32 v17, 3, v31
	v_cmp_eq_u32_e64 s[26:27], 0, v17
	v_cmp_lt_u32_e64 s[28:29], 1, v17
	v_add_u32_e32 v16, -1, v16
	v_mov_b32_e32 v17, v14
	v_lshlrev_b64 v[16:17], 2, v[16:17]
	v_add_co_u32_e64 v52, s[34:35], v12, v16
	v_addc_co_u32_e64 v53, s[34:35], v13, v17, s[34:35]
	v_lshlrev_b32_e32 v16, 3, v24
	s_movk_i32 s34, 0x1e00
	v_and_or_b32 v16, v16, s34, v30
	v_lshlrev_b32_e32 v16, 2, v16
	v_add_co_u32_e64 v54, s[34:35], v12, v16
	v_addc_co_u32_e64 v55, s[34:35], 0, v13, s[34:35]
	v_add_co_u32_e64 v64, s[34:35], v54, v16
	v_lshrrev_b32_e32 v161, 6, v0
	v_cmp_lt_u32_e64 s[14:15], 31, v31
	v_cmp_gt_u32_e64 s[18:19], 4, v24
	v_cmp_lt_u32_e64 s[20:21], 63, v24
	v_cmp_eq_u32_e64 s[22:23], 0, v31
	v_cmp_eq_u32_e64 s[24:25], 0, v24
	v_addc_co_u32_e64 v65, s[34:35], 0, v55, s[34:35]
	v_sub_u32_e32 v163, v11, v10
	s_mov_b64 s[42:43], 0
	s_brev_b32 s47, 1
	s_waitcnt lgkmcnt(0)
	s_barrier
	s_branch .LBB1325_29
.LBB1325_28:                            ;   in Loop: Header=BB1325_29 Depth=1
	s_or_b64 exec, exec, s[36:37]
	s_and_b64 s[34:35], exec, s[44:45]
	s_or_b64 s[42:43], s[34:35], s[42:43]
	s_andn2_b64 exec, exec, s[42:43]
	s_cbranch_execz .LBB1325_53
.LBB1325_29:                            ; =>This Inner Loop Header: Depth=1
	s_waitcnt vmcnt(0)
	v_mov_b32_e32 v178, v15
	v_mov_b32_e32 v179, v180
	v_min_u32_e32 v18, s46, v163
	v_mov_b32_e32 v15, v14
	v_mov_b32_e32 v16, v14
	;; [unrolled: 1-line block ×3, first 2 shown]
	flat_store_dwordx4 v[20:21], v[14:17] offset:16
	v_cmp_ne_u32_e64 s[34:35], s47, v179
	v_lshlrev_b32_e64 v15, v18, -1
	v_not_b32_e32 v18, v15
	v_cndmask_b32_e64 v15, v25, v179, s[34:35]
	v_lshrrev_b32_e32 v15, v10, v15
	v_and_b32_e32 v19, v15, v18
	v_lshl_add_u32 v16, v19, 2, v161
	v_lshlrev_b64 v[16:17], 2, v[16:17]
	v_pk_mov_b32 v[50:51], v[66:67], v[66:67] op_sel:[0,1]
	v_add_co_u32_e64 v66, s[34:35], v151, v16
	v_addc_co_u32_e64 v67, s[34:35], v160, v17, s[34:35]
	v_and_b32_e32 v15, 1, v19
	v_add_co_u32_e64 v16, s[34:35], -1, v15
	v_addc_co_u32_e64 v17, s[34:35], 0, -1, s[34:35]
	v_cmp_ne_u32_e64 s[34:35], 0, v15
	v_xor_b32_e32 v15, s35, v17
	v_and_b32_e32 v17, exec_hi, v15
	v_lshlrev_b32_e32 v15, 30, v19
	v_xor_b32_e32 v16, s34, v16
	v_cmp_gt_i64_e64 s[34:35], 0, v[14:15]
	v_not_b32_e32 v15, v15
	v_ashrrev_i32_e32 v15, 31, v15
	v_pk_mov_b32 v[48:49], v[68:69], v[68:69] op_sel:[0,1]
	v_and_b32_e32 v16, exec_lo, v16
	v_xor_b32_e32 v68, s35, v15
	v_xor_b32_e32 v15, s34, v15
	v_and_b32_e32 v16, v16, v15
	v_lshlrev_b32_e32 v15, 29, v19
	v_cmp_gt_i64_e64 s[34:35], 0, v[14:15]
	v_not_b32_e32 v15, v15
	v_ashrrev_i32_e32 v15, 31, v15
	v_and_b32_e32 v17, v17, v68
	v_xor_b32_e32 v68, s35, v15
	v_xor_b32_e32 v15, s34, v15
	v_and_b32_e32 v16, v16, v15
	v_lshlrev_b32_e32 v15, 28, v19
	v_cmp_gt_i64_e64 s[34:35], 0, v[14:15]
	v_not_b32_e32 v15, v15
	v_ashrrev_i32_e32 v15, 31, v15
	v_and_b32_e32 v17, v17, v68
	;; [unrolled: 8-line block ×5, first 2 shown]
	v_xor_b32_e32 v68, s35, v15
	v_xor_b32_e32 v15, s34, v15
	v_and_b32_e32 v16, v16, v15
	v_lshlrev_b32_e32 v15, 24, v19
	v_cmp_gt_i64_e64 s[34:35], 0, v[14:15]
	v_not_b32_e32 v15, v15
	v_ashrrev_i32_e32 v15, 31, v15
	v_xor_b32_e32 v19, s35, v15
	v_xor_b32_e32 v15, s34, v15
	v_and_b32_e32 v17, v17, v68
	v_and_b32_e32 v16, v16, v15
	;; [unrolled: 1-line block ×3, first 2 shown]
	v_mbcnt_lo_u32_b32 v15, v16, 0
	v_mbcnt_hi_u32_b32 v98, v17, v15
	v_cmp_eq_u32_e64 s[34:35], 0, v98
	v_cmp_ne_u64_e64 s[36:37], 0, v[16:17]
	v_mov_b32_e32 v164, v194
	v_mov_b32_e32 v165, v193
	;; [unrolled: 1-line block ×6, first 2 shown]
	v_pk_mov_b32 v[36:37], v[70:71], v[70:71] op_sel:[0,1]
	v_pk_mov_b32 v[34:35], v[80:81], v[80:81] op_sel:[0,1]
	;; [unrolled: 1-line block ×6, first 2 shown]
	s_and_b64 s[36:37], s[36:37], s[34:35]
	s_waitcnt lgkmcnt(0)
	s_barrier
	s_waitcnt lgkmcnt(0)
	; wave barrier
	s_and_saveexec_b64 s[34:35], s[36:37]
	s_cbranch_execz .LBB1325_31
; %bb.30:                               ;   in Loop: Header=BB1325_29 Depth=1
	v_bcnt_u32_b32 v15, v16, 0
	v_bcnt_u32_b32 v15, v17, v15
	flat_store_dword v[66:67], v15
.LBB1325_31:                            ;   in Loop: Header=BB1325_29 Depth=1
	s_or_b64 exec, exec, s[34:35]
	v_cmp_ne_u32_e64 s[34:35], s47, v178
	v_cndmask_b32_e64 v15, v25, v178, s[34:35]
	v_lshrrev_b32_e32 v15, v10, v15
	v_and_b32_e32 v19, v15, v18
	v_lshl_add_u32 v16, v19, 2, v161
	v_mov_b32_e32 v17, v14
	v_lshlrev_b64 v[16:17], 2, v[16:17]
	v_add_co_u32_e64 v68, s[34:35], v151, v16
	v_addc_co_u32_e64 v69, s[34:35], v160, v17, s[34:35]
	; wave barrier
	flat_load_dword v99, v[68:69]
	v_and_b32_e32 v15, 1, v19
	v_add_co_u32_e64 v16, s[34:35], -1, v15
	v_addc_co_u32_e64 v17, s[34:35], 0, -1, s[34:35]
	v_cmp_ne_u32_e64 s[34:35], 0, v15
	v_xor_b32_e32 v15, s35, v17
	v_and_b32_e32 v17, exec_hi, v15
	v_lshlrev_b32_e32 v15, 30, v19
	v_xor_b32_e32 v16, s34, v16
	v_cmp_gt_i64_e64 s[34:35], 0, v[14:15]
	v_not_b32_e32 v15, v15
	v_ashrrev_i32_e32 v15, 31, v15
	v_and_b32_e32 v16, exec_lo, v16
	v_xor_b32_e32 v70, s35, v15
	v_xor_b32_e32 v15, s34, v15
	v_and_b32_e32 v16, v16, v15
	v_lshlrev_b32_e32 v15, 29, v19
	v_cmp_gt_i64_e64 s[34:35], 0, v[14:15]
	v_not_b32_e32 v15, v15
	v_ashrrev_i32_e32 v15, 31, v15
	v_and_b32_e32 v17, v17, v70
	v_xor_b32_e32 v70, s35, v15
	v_xor_b32_e32 v15, s34, v15
	v_and_b32_e32 v16, v16, v15
	v_lshlrev_b32_e32 v15, 28, v19
	v_cmp_gt_i64_e64 s[34:35], 0, v[14:15]
	v_not_b32_e32 v15, v15
	v_ashrrev_i32_e32 v15, 31, v15
	v_and_b32_e32 v17, v17, v70
	;; [unrolled: 8-line block ×5, first 2 shown]
	v_xor_b32_e32 v70, s35, v15
	v_xor_b32_e32 v15, s34, v15
	v_and_b32_e32 v16, v16, v15
	v_lshlrev_b32_e32 v15, 24, v19
	v_cmp_gt_i64_e64 s[34:35], 0, v[14:15]
	v_not_b32_e32 v15, v15
	v_ashrrev_i32_e32 v15, 31, v15
	v_xor_b32_e32 v19, s35, v15
	v_xor_b32_e32 v15, s34, v15
	v_and_b32_e32 v17, v17, v70
	v_and_b32_e32 v16, v16, v15
	;; [unrolled: 1-line block ×3, first 2 shown]
	v_mbcnt_lo_u32_b32 v15, v16, 0
	v_mbcnt_hi_u32_b32 v100, v17, v15
	v_cmp_eq_u32_e64 s[34:35], 0, v100
	v_cmp_ne_u64_e64 s[36:37], 0, v[16:17]
	s_and_b64 s[36:37], s[36:37], s[34:35]
	; wave barrier
	s_and_saveexec_b64 s[34:35], s[36:37]
	s_cbranch_execz .LBB1325_33
; %bb.32:                               ;   in Loop: Header=BB1325_29 Depth=1
	v_bcnt_u32_b32 v15, v16, 0
	v_bcnt_u32_b32 v15, v17, v15
	s_waitcnt vmcnt(0) lgkmcnt(0)
	v_add_u32_e32 v15, v99, v15
	flat_store_dword v[68:69], v15
.LBB1325_33:                            ;   in Loop: Header=BB1325_29 Depth=1
	s_or_b64 exec, exec, s[34:35]
	v_cmp_ne_u32_e64 s[34:35], s47, v177
	v_cndmask_b32_e64 v15, v25, v177, s[34:35]
	v_lshrrev_b32_e32 v15, v10, v15
	v_and_b32_e32 v19, v15, v18
	v_lshl_add_u32 v16, v19, 2, v161
	v_mov_b32_e32 v17, v14
	v_lshlrev_b64 v[16:17], 2, v[16:17]
	v_add_co_u32_e64 v70, s[34:35], v151, v16
	v_addc_co_u32_e64 v71, s[34:35], v160, v17, s[34:35]
	; wave barrier
	flat_load_dword v101, v[70:71]
	v_and_b32_e32 v15, 1, v19
	v_add_co_u32_e64 v16, s[34:35], -1, v15
	v_addc_co_u32_e64 v17, s[34:35], 0, -1, s[34:35]
	v_cmp_ne_u32_e64 s[34:35], 0, v15
	v_xor_b32_e32 v15, s35, v17
	v_and_b32_e32 v17, exec_hi, v15
	v_lshlrev_b32_e32 v15, 30, v19
	v_xor_b32_e32 v16, s34, v16
	v_cmp_gt_i64_e64 s[34:35], 0, v[14:15]
	v_not_b32_e32 v15, v15
	v_ashrrev_i32_e32 v15, 31, v15
	v_and_b32_e32 v16, exec_lo, v16
	v_xor_b32_e32 v80, s35, v15
	v_xor_b32_e32 v15, s34, v15
	v_and_b32_e32 v16, v16, v15
	v_lshlrev_b32_e32 v15, 29, v19
	v_cmp_gt_i64_e64 s[34:35], 0, v[14:15]
	v_not_b32_e32 v15, v15
	v_ashrrev_i32_e32 v15, 31, v15
	v_and_b32_e32 v17, v17, v80
	v_xor_b32_e32 v80, s35, v15
	v_xor_b32_e32 v15, s34, v15
	v_and_b32_e32 v16, v16, v15
	v_lshlrev_b32_e32 v15, 28, v19
	v_cmp_gt_i64_e64 s[34:35], 0, v[14:15]
	v_not_b32_e32 v15, v15
	v_ashrrev_i32_e32 v15, 31, v15
	v_and_b32_e32 v17, v17, v80
	;; [unrolled: 8-line block ×5, first 2 shown]
	v_xor_b32_e32 v80, s35, v15
	v_xor_b32_e32 v15, s34, v15
	v_and_b32_e32 v16, v16, v15
	v_lshlrev_b32_e32 v15, 24, v19
	v_cmp_gt_i64_e64 s[34:35], 0, v[14:15]
	v_not_b32_e32 v15, v15
	v_ashrrev_i32_e32 v15, 31, v15
	v_xor_b32_e32 v19, s35, v15
	v_xor_b32_e32 v15, s34, v15
	v_and_b32_e32 v17, v17, v80
	v_and_b32_e32 v16, v16, v15
	;; [unrolled: 1-line block ×3, first 2 shown]
	v_mbcnt_lo_u32_b32 v15, v16, 0
	v_mbcnt_hi_u32_b32 v102, v17, v15
	v_cmp_eq_u32_e64 s[34:35], 0, v102
	v_cmp_ne_u64_e64 s[36:37], 0, v[16:17]
	s_and_b64 s[36:37], s[36:37], s[34:35]
	; wave barrier
	s_and_saveexec_b64 s[34:35], s[36:37]
	s_cbranch_execz .LBB1325_35
; %bb.34:                               ;   in Loop: Header=BB1325_29 Depth=1
	v_bcnt_u32_b32 v15, v16, 0
	v_bcnt_u32_b32 v15, v17, v15
	s_waitcnt vmcnt(0) lgkmcnt(0)
	v_add_u32_e32 v15, v101, v15
	flat_store_dword v[70:71], v15
.LBB1325_35:                            ;   in Loop: Header=BB1325_29 Depth=1
	s_or_b64 exec, exec, s[34:35]
	v_cmp_ne_u32_e64 s[34:35], s47, v176
	v_cndmask_b32_e64 v15, v25, v176, s[34:35]
	v_lshrrev_b32_e32 v15, v10, v15
	v_and_b32_e32 v19, v15, v18
	v_lshl_add_u32 v16, v19, 2, v161
	v_mov_b32_e32 v17, v14
	v_lshlrev_b64 v[16:17], 2, v[16:17]
	v_add_co_u32_e64 v80, s[34:35], v151, v16
	v_addc_co_u32_e64 v81, s[34:35], v160, v17, s[34:35]
	; wave barrier
	flat_load_dword v103, v[80:81]
	v_and_b32_e32 v15, 1, v19
	v_add_co_u32_e64 v16, s[34:35], -1, v15
	v_addc_co_u32_e64 v17, s[34:35], 0, -1, s[34:35]
	v_cmp_ne_u32_e64 s[34:35], 0, v15
	v_xor_b32_e32 v15, s35, v17
	v_and_b32_e32 v17, exec_hi, v15
	v_lshlrev_b32_e32 v15, 30, v19
	v_xor_b32_e32 v16, s34, v16
	v_cmp_gt_i64_e64 s[34:35], 0, v[14:15]
	v_not_b32_e32 v15, v15
	v_ashrrev_i32_e32 v15, 31, v15
	v_and_b32_e32 v16, exec_lo, v16
	v_xor_b32_e32 v82, s35, v15
	v_xor_b32_e32 v15, s34, v15
	v_and_b32_e32 v16, v16, v15
	v_lshlrev_b32_e32 v15, 29, v19
	v_cmp_gt_i64_e64 s[34:35], 0, v[14:15]
	v_not_b32_e32 v15, v15
	v_ashrrev_i32_e32 v15, 31, v15
	v_and_b32_e32 v17, v17, v82
	v_xor_b32_e32 v82, s35, v15
	v_xor_b32_e32 v15, s34, v15
	v_and_b32_e32 v16, v16, v15
	v_lshlrev_b32_e32 v15, 28, v19
	v_cmp_gt_i64_e64 s[34:35], 0, v[14:15]
	v_not_b32_e32 v15, v15
	v_ashrrev_i32_e32 v15, 31, v15
	v_and_b32_e32 v17, v17, v82
	;; [unrolled: 8-line block ×5, first 2 shown]
	v_xor_b32_e32 v82, s35, v15
	v_xor_b32_e32 v15, s34, v15
	v_and_b32_e32 v16, v16, v15
	v_lshlrev_b32_e32 v15, 24, v19
	v_cmp_gt_i64_e64 s[34:35], 0, v[14:15]
	v_not_b32_e32 v15, v15
	v_ashrrev_i32_e32 v15, 31, v15
	v_xor_b32_e32 v19, s35, v15
	v_xor_b32_e32 v15, s34, v15
	v_and_b32_e32 v17, v17, v82
	v_and_b32_e32 v16, v16, v15
	;; [unrolled: 1-line block ×3, first 2 shown]
	v_mbcnt_lo_u32_b32 v15, v16, 0
	v_mbcnt_hi_u32_b32 v112, v17, v15
	v_cmp_eq_u32_e64 s[34:35], 0, v112
	v_cmp_ne_u64_e64 s[36:37], 0, v[16:17]
	s_and_b64 s[36:37], s[36:37], s[34:35]
	; wave barrier
	s_and_saveexec_b64 s[34:35], s[36:37]
	s_cbranch_execz .LBB1325_37
; %bb.36:                               ;   in Loop: Header=BB1325_29 Depth=1
	v_bcnt_u32_b32 v15, v16, 0
	v_bcnt_u32_b32 v15, v17, v15
	s_waitcnt vmcnt(0) lgkmcnt(0)
	v_add_u32_e32 v15, v103, v15
	flat_store_dword v[80:81], v15
.LBB1325_37:                            ;   in Loop: Header=BB1325_29 Depth=1
	s_or_b64 exec, exec, s[34:35]
	v_cmp_ne_u32_e64 s[34:35], s47, v167
	v_cndmask_b32_e64 v15, v25, v167, s[34:35]
	v_lshrrev_b32_e32 v15, v10, v15
	v_and_b32_e32 v19, v15, v18
	v_lshl_add_u32 v16, v19, 2, v161
	v_mov_b32_e32 v17, v14
	v_lshlrev_b64 v[16:17], 2, v[16:17]
	v_add_co_u32_e64 v82, s[34:35], v151, v16
	v_addc_co_u32_e64 v83, s[34:35], v160, v17, s[34:35]
	; wave barrier
	flat_load_dword v113, v[82:83]
	v_and_b32_e32 v15, 1, v19
	v_add_co_u32_e64 v16, s[34:35], -1, v15
	v_addc_co_u32_e64 v17, s[34:35], 0, -1, s[34:35]
	v_cmp_ne_u32_e64 s[34:35], 0, v15
	v_xor_b32_e32 v15, s35, v17
	v_and_b32_e32 v17, exec_hi, v15
	v_lshlrev_b32_e32 v15, 30, v19
	v_xor_b32_e32 v16, s34, v16
	v_cmp_gt_i64_e64 s[34:35], 0, v[14:15]
	v_not_b32_e32 v15, v15
	v_ashrrev_i32_e32 v15, 31, v15
	v_and_b32_e32 v16, exec_lo, v16
	v_xor_b32_e32 v84, s35, v15
	v_xor_b32_e32 v15, s34, v15
	v_and_b32_e32 v16, v16, v15
	v_lshlrev_b32_e32 v15, 29, v19
	v_cmp_gt_i64_e64 s[34:35], 0, v[14:15]
	v_not_b32_e32 v15, v15
	v_ashrrev_i32_e32 v15, 31, v15
	v_and_b32_e32 v17, v17, v84
	v_xor_b32_e32 v84, s35, v15
	v_xor_b32_e32 v15, s34, v15
	v_and_b32_e32 v16, v16, v15
	v_lshlrev_b32_e32 v15, 28, v19
	v_cmp_gt_i64_e64 s[34:35], 0, v[14:15]
	v_not_b32_e32 v15, v15
	v_ashrrev_i32_e32 v15, 31, v15
	v_and_b32_e32 v17, v17, v84
	;; [unrolled: 8-line block ×5, first 2 shown]
	v_xor_b32_e32 v84, s35, v15
	v_xor_b32_e32 v15, s34, v15
	v_and_b32_e32 v16, v16, v15
	v_lshlrev_b32_e32 v15, 24, v19
	v_cmp_gt_i64_e64 s[34:35], 0, v[14:15]
	v_not_b32_e32 v15, v15
	v_ashrrev_i32_e32 v15, 31, v15
	v_xor_b32_e32 v19, s35, v15
	v_xor_b32_e32 v15, s34, v15
	v_and_b32_e32 v17, v17, v84
	v_and_b32_e32 v16, v16, v15
	;; [unrolled: 1-line block ×3, first 2 shown]
	v_mbcnt_lo_u32_b32 v15, v16, 0
	v_mbcnt_hi_u32_b32 v114, v17, v15
	v_cmp_eq_u32_e64 s[34:35], 0, v114
	v_cmp_ne_u64_e64 s[36:37], 0, v[16:17]
	s_and_b64 s[36:37], s[36:37], s[34:35]
	; wave barrier
	s_and_saveexec_b64 s[34:35], s[36:37]
	s_cbranch_execz .LBB1325_39
; %bb.38:                               ;   in Loop: Header=BB1325_29 Depth=1
	v_bcnt_u32_b32 v15, v16, 0
	v_bcnt_u32_b32 v15, v17, v15
	s_waitcnt vmcnt(0) lgkmcnt(0)
	v_add_u32_e32 v15, v113, v15
	flat_store_dword v[82:83], v15
.LBB1325_39:                            ;   in Loop: Header=BB1325_29 Depth=1
	s_or_b64 exec, exec, s[34:35]
	v_cmp_ne_u32_e64 s[34:35], s47, v166
	v_cndmask_b32_e64 v15, v25, v166, s[34:35]
	v_lshrrev_b32_e32 v15, v10, v15
	v_and_b32_e32 v19, v15, v18
	v_lshl_add_u32 v16, v19, 2, v161
	v_mov_b32_e32 v17, v14
	v_lshlrev_b64 v[16:17], 2, v[16:17]
	v_add_co_u32_e64 v84, s[34:35], v151, v16
	v_addc_co_u32_e64 v85, s[34:35], v160, v17, s[34:35]
	; wave barrier
	flat_load_dword v115, v[84:85]
	v_and_b32_e32 v15, 1, v19
	v_add_co_u32_e64 v16, s[34:35], -1, v15
	v_addc_co_u32_e64 v17, s[34:35], 0, -1, s[34:35]
	v_cmp_ne_u32_e64 s[34:35], 0, v15
	v_xor_b32_e32 v15, s35, v17
	v_and_b32_e32 v17, exec_hi, v15
	v_lshlrev_b32_e32 v15, 30, v19
	v_xor_b32_e32 v16, s34, v16
	v_cmp_gt_i64_e64 s[34:35], 0, v[14:15]
	v_not_b32_e32 v15, v15
	v_ashrrev_i32_e32 v15, 31, v15
	v_and_b32_e32 v16, exec_lo, v16
	v_xor_b32_e32 v86, s35, v15
	v_xor_b32_e32 v15, s34, v15
	v_and_b32_e32 v16, v16, v15
	v_lshlrev_b32_e32 v15, 29, v19
	v_cmp_gt_i64_e64 s[34:35], 0, v[14:15]
	v_not_b32_e32 v15, v15
	v_ashrrev_i32_e32 v15, 31, v15
	v_and_b32_e32 v17, v17, v86
	v_xor_b32_e32 v86, s35, v15
	v_xor_b32_e32 v15, s34, v15
	v_and_b32_e32 v16, v16, v15
	v_lshlrev_b32_e32 v15, 28, v19
	v_cmp_gt_i64_e64 s[34:35], 0, v[14:15]
	v_not_b32_e32 v15, v15
	v_ashrrev_i32_e32 v15, 31, v15
	v_and_b32_e32 v17, v17, v86
	;; [unrolled: 8-line block ×5, first 2 shown]
	v_xor_b32_e32 v86, s35, v15
	v_xor_b32_e32 v15, s34, v15
	v_and_b32_e32 v16, v16, v15
	v_lshlrev_b32_e32 v15, 24, v19
	v_cmp_gt_i64_e64 s[34:35], 0, v[14:15]
	v_not_b32_e32 v15, v15
	v_ashrrev_i32_e32 v15, 31, v15
	v_xor_b32_e32 v19, s35, v15
	v_xor_b32_e32 v15, s34, v15
	v_and_b32_e32 v17, v17, v86
	v_and_b32_e32 v16, v16, v15
	;; [unrolled: 1-line block ×3, first 2 shown]
	v_mbcnt_lo_u32_b32 v15, v16, 0
	v_mbcnt_hi_u32_b32 v116, v17, v15
	v_cmp_eq_u32_e64 s[34:35], 0, v116
	v_cmp_ne_u64_e64 s[36:37], 0, v[16:17]
	s_and_b64 s[36:37], s[36:37], s[34:35]
	; wave barrier
	s_and_saveexec_b64 s[34:35], s[36:37]
	s_cbranch_execz .LBB1325_41
; %bb.40:                               ;   in Loop: Header=BB1325_29 Depth=1
	v_bcnt_u32_b32 v15, v16, 0
	v_bcnt_u32_b32 v15, v17, v15
	s_waitcnt vmcnt(0) lgkmcnt(0)
	v_add_u32_e32 v15, v115, v15
	flat_store_dword v[84:85], v15
.LBB1325_41:                            ;   in Loop: Header=BB1325_29 Depth=1
	s_or_b64 exec, exec, s[34:35]
	v_cmp_ne_u32_e64 s[34:35], s47, v165
	v_cndmask_b32_e64 v15, v25, v165, s[34:35]
	v_lshrrev_b32_e32 v15, v10, v15
	v_and_b32_e32 v19, v15, v18
	v_lshl_add_u32 v16, v19, 2, v161
	v_mov_b32_e32 v17, v14
	v_lshlrev_b64 v[16:17], 2, v[16:17]
	v_add_co_u32_e64 v86, s[34:35], v151, v16
	v_addc_co_u32_e64 v87, s[34:35], v160, v17, s[34:35]
	; wave barrier
	flat_load_dword v117, v[86:87]
	v_and_b32_e32 v15, 1, v19
	v_add_co_u32_e64 v16, s[34:35], -1, v15
	v_addc_co_u32_e64 v17, s[34:35], 0, -1, s[34:35]
	v_cmp_ne_u32_e64 s[34:35], 0, v15
	v_xor_b32_e32 v15, s35, v17
	v_and_b32_e32 v17, exec_hi, v15
	v_lshlrev_b32_e32 v15, 30, v19
	v_xor_b32_e32 v16, s34, v16
	v_cmp_gt_i64_e64 s[34:35], 0, v[14:15]
	v_not_b32_e32 v15, v15
	v_ashrrev_i32_e32 v15, 31, v15
	v_and_b32_e32 v16, exec_lo, v16
	v_xor_b32_e32 v96, s35, v15
	v_xor_b32_e32 v15, s34, v15
	v_and_b32_e32 v16, v16, v15
	v_lshlrev_b32_e32 v15, 29, v19
	v_cmp_gt_i64_e64 s[34:35], 0, v[14:15]
	v_not_b32_e32 v15, v15
	v_ashrrev_i32_e32 v15, 31, v15
	v_and_b32_e32 v17, v17, v96
	v_xor_b32_e32 v96, s35, v15
	v_xor_b32_e32 v15, s34, v15
	v_and_b32_e32 v16, v16, v15
	v_lshlrev_b32_e32 v15, 28, v19
	v_cmp_gt_i64_e64 s[34:35], 0, v[14:15]
	v_not_b32_e32 v15, v15
	v_ashrrev_i32_e32 v15, 31, v15
	v_and_b32_e32 v17, v17, v96
	;; [unrolled: 8-line block ×5, first 2 shown]
	v_xor_b32_e32 v96, s35, v15
	v_xor_b32_e32 v15, s34, v15
	v_and_b32_e32 v16, v16, v15
	v_lshlrev_b32_e32 v15, 24, v19
	v_cmp_gt_i64_e64 s[34:35], 0, v[14:15]
	v_not_b32_e32 v15, v15
	v_ashrrev_i32_e32 v15, 31, v15
	v_xor_b32_e32 v19, s35, v15
	v_xor_b32_e32 v15, s34, v15
	v_and_b32_e32 v17, v17, v96
	v_and_b32_e32 v16, v16, v15
	;; [unrolled: 1-line block ×3, first 2 shown]
	v_mbcnt_lo_u32_b32 v15, v16, 0
	v_mbcnt_hi_u32_b32 v118, v17, v15
	v_cmp_eq_u32_e64 s[34:35], 0, v118
	v_cmp_ne_u64_e64 s[36:37], 0, v[16:17]
	s_and_b64 s[36:37], s[36:37], s[34:35]
	; wave barrier
	s_and_saveexec_b64 s[34:35], s[36:37]
	s_cbranch_execz .LBB1325_43
; %bb.42:                               ;   in Loop: Header=BB1325_29 Depth=1
	v_bcnt_u32_b32 v15, v16, 0
	v_bcnt_u32_b32 v15, v17, v15
	s_waitcnt vmcnt(0) lgkmcnt(0)
	v_add_u32_e32 v15, v117, v15
	flat_store_dword v[86:87], v15
.LBB1325_43:                            ;   in Loop: Header=BB1325_29 Depth=1
	s_or_b64 exec, exec, s[34:35]
	v_cmp_ne_u32_e64 s[34:35], s47, v164
	v_cndmask_b32_e64 v15, v25, v164, s[34:35]
	v_lshrrev_b32_e32 v15, v10, v15
	v_and_b32_e32 v18, v15, v18
	v_lshl_add_u32 v16, v18, 2, v161
	v_mov_b32_e32 v17, v14
	v_lshlrev_b64 v[16:17], 2, v[16:17]
	v_add_co_u32_e64 v96, s[34:35], v151, v16
	v_addc_co_u32_e64 v97, s[34:35], v160, v17, s[34:35]
	; wave barrier
	flat_load_dword v119, v[96:97]
	v_and_b32_e32 v15, 1, v18
	v_add_co_u32_e64 v16, s[34:35], -1, v15
	v_addc_co_u32_e64 v17, s[34:35], 0, -1, s[34:35]
	v_cmp_ne_u32_e64 s[34:35], 0, v15
	v_xor_b32_e32 v15, s35, v17
	v_and_b32_e32 v17, exec_hi, v15
	v_lshlrev_b32_e32 v15, 30, v18
	v_xor_b32_e32 v16, s34, v16
	v_cmp_gt_i64_e64 s[34:35], 0, v[14:15]
	v_not_b32_e32 v15, v15
	v_ashrrev_i32_e32 v15, 31, v15
	v_and_b32_e32 v16, exec_lo, v16
	v_xor_b32_e32 v19, s35, v15
	v_xor_b32_e32 v15, s34, v15
	v_and_b32_e32 v16, v16, v15
	v_lshlrev_b32_e32 v15, 29, v18
	v_cmp_gt_i64_e64 s[34:35], 0, v[14:15]
	v_not_b32_e32 v15, v15
	v_ashrrev_i32_e32 v15, 31, v15
	v_and_b32_e32 v17, v17, v19
	v_xor_b32_e32 v19, s35, v15
	v_xor_b32_e32 v15, s34, v15
	v_and_b32_e32 v16, v16, v15
	v_lshlrev_b32_e32 v15, 28, v18
	v_cmp_gt_i64_e64 s[34:35], 0, v[14:15]
	v_not_b32_e32 v15, v15
	v_ashrrev_i32_e32 v15, 31, v15
	v_and_b32_e32 v17, v17, v19
	;; [unrolled: 8-line block ×5, first 2 shown]
	v_xor_b32_e32 v19, s35, v15
	v_xor_b32_e32 v15, s34, v15
	v_and_b32_e32 v16, v16, v15
	v_lshlrev_b32_e32 v15, 24, v18
	v_cmp_gt_i64_e64 s[34:35], 0, v[14:15]
	v_not_b32_e32 v15, v15
	v_ashrrev_i32_e32 v15, 31, v15
	v_xor_b32_e32 v18, s35, v15
	v_xor_b32_e32 v15, s34, v15
	v_and_b32_e32 v17, v17, v19
	v_and_b32_e32 v16, v16, v15
	;; [unrolled: 1-line block ×3, first 2 shown]
	v_mbcnt_lo_u32_b32 v15, v16, 0
	v_mbcnt_hi_u32_b32 v15, v17, v15
	v_cmp_eq_u32_e64 s[34:35], 0, v15
	v_cmp_ne_u64_e64 s[36:37], 0, v[16:17]
	s_and_b64 s[36:37], s[36:37], s[34:35]
	; wave barrier
	s_and_saveexec_b64 s[34:35], s[36:37]
	s_cbranch_execz .LBB1325_45
; %bb.44:                               ;   in Loop: Header=BB1325_29 Depth=1
	v_bcnt_u32_b32 v16, v16, 0
	v_bcnt_u32_b32 v16, v17, v16
	s_waitcnt vmcnt(0) lgkmcnt(0)
	v_add_u32_e32 v16, v119, v16
	flat_store_dword v[96:97], v16
.LBB1325_45:                            ;   in Loop: Header=BB1325_29 Depth=1
	s_or_b64 exec, exec, s[34:35]
	; wave barrier
	s_waitcnt lgkmcnt(0)
	s_barrier
	flat_load_dwordx4 v[16:19], v[20:21] offset:16
	s_waitcnt vmcnt(0) lgkmcnt(0)
	v_add_u32_e32 v128, v17, v16
	v_add3_u32 v19, v128, v18, v19
	s_nop 1
	v_mov_b32_dpp v128, v19 row_shr:1 row_mask:0xf bank_mask:0xf
	v_cndmask_b32_e64 v128, v128, 0, vcc
	v_add_u32_e32 v19, v128, v19
	s_nop 1
	v_mov_b32_dpp v128, v19 row_shr:2 row_mask:0xf bank_mask:0xf
	v_cndmask_b32_e64 v128, 0, v128, s[4:5]
	v_add_u32_e32 v19, v19, v128
	s_nop 1
	v_mov_b32_dpp v128, v19 row_shr:4 row_mask:0xf bank_mask:0xf
	v_cndmask_b32_e64 v128, 0, v128, s[6:7]
	;; [unrolled: 4-line block ×3, first 2 shown]
	v_add_u32_e32 v19, v19, v128
	s_nop 1
	v_mov_b32_dpp v128, v19 row_bcast:15 row_mask:0xf bank_mask:0xf
	v_cndmask_b32_e64 v128, v128, 0, s[30:31]
	v_add_u32_e32 v19, v19, v128
	s_nop 1
	v_mov_b32_dpp v128, v19 row_bcast:31 row_mask:0xf bank_mask:0xf
	v_cndmask_b32_e64 v128, 0, v128, s[14:15]
	v_add_u32_e32 v19, v19, v128
	s_and_saveexec_b64 s[34:35], s[16:17]
	s_cbranch_execz .LBB1325_47
; %bb.46:                               ;   in Loop: Header=BB1325_29 Depth=1
	flat_store_dword v[38:39], v19
.LBB1325_47:                            ;   in Loop: Header=BB1325_29 Depth=1
	s_or_b64 exec, exec, s[34:35]
	s_waitcnt lgkmcnt(0)
	s_barrier
	s_and_saveexec_b64 s[34:35], s[18:19]
	s_cbranch_execz .LBB1325_49
; %bb.48:                               ;   in Loop: Header=BB1325_29 Depth=1
	flat_load_dword v128, v[4:5]
	s_waitcnt vmcnt(0) lgkmcnt(0)
	s_nop 0
	v_mov_b32_dpp v129, v128 row_shr:1 row_mask:0xf bank_mask:0xf
	v_cndmask_b32_e64 v129, v129, 0, s[26:27]
	v_add_u32_e32 v128, v129, v128
	s_nop 1
	v_mov_b32_dpp v129, v128 row_shr:2 row_mask:0xf bank_mask:0xf
	v_cndmask_b32_e64 v129, 0, v129, s[28:29]
	v_add_u32_e32 v128, v128, v129
	flat_store_dword v[4:5], v128
.LBB1325_49:                            ;   in Loop: Header=BB1325_29 Depth=1
	s_or_b64 exec, exec, s[34:35]
	v_mov_b32_e32 v128, 0
	s_waitcnt lgkmcnt(0)
	s_barrier
	s_and_saveexec_b64 s[34:35], s[20:21]
	s_cbranch_execz .LBB1325_51
; %bb.50:                               ;   in Loop: Header=BB1325_29 Depth=1
	flat_load_dword v128, v[52:53]
.LBB1325_51:                            ;   in Loop: Header=BB1325_29 Depth=1
	s_or_b64 exec, exec, s[34:35]
	s_waitcnt vmcnt(0) lgkmcnt(0)
	v_add_u32_e32 v19, v128, v19
	ds_bpermute_b32 v19, v162, v19
	v_add_u32_e32 v10, 8, v10
	v_cmp_lt_u32_e64 s[34:35], v10, v11
	s_mov_b64 s[44:45], -1
                                        ; implicit-def: $vgpr194
                                        ; implicit-def: $vgpr193
                                        ; implicit-def: $vgpr192
                                        ; implicit-def: $vgpr183
                                        ; implicit-def: $vgpr182
                                        ; implicit-def: $vgpr181
                                        ; implicit-def: $vgpr180
                                        ; implicit-def: $vgpr146_vgpr147
                                        ; implicit-def: $vgpr148_vgpr149
	s_waitcnt lgkmcnt(0)
	v_cndmask_b32_e64 v19, v19, v128, s[22:23]
	v_cndmask_b32_e64 v128, v19, 0, s[24:25]
	v_add_u32_e32 v129, v128, v16
	v_add_u32_e32 v130, v129, v17
	;; [unrolled: 1-line block ×3, first 2 shown]
	flat_store_dwordx4 v[20:21], v[128:131] offset:16
	s_waitcnt lgkmcnt(0)
	s_barrier
	flat_load_dword v16, v[66:67]
	flat_load_dword v18, v[68:69]
	;; [unrolled: 1-line block ×8, first 2 shown]
	v_mov_b32_e32 v17, v14
	v_mov_b32_e32 v19, v14
	;; [unrolled: 1-line block ×8, first 2 shown]
	s_waitcnt vmcnt(0) lgkmcnt(0)
	v_add_u32_e32 v16, v16, v98
	v_add3_u32 v18, v100, v99, v18
	v_add3_u32 v66, v102, v101, v128
	;; [unrolled: 1-line block ×3, first 2 shown]
	v_lshlrev_b64 v[128:129], 2, v[16:17]
	v_add_co_u32_e64 v144, s[36:37], v12, v128
	v_add3_u32 v80, v116, v115, v132
	v_add3_u32 v86, v118, v117, v133
	v_lshlrev_b64 v[116:117], 2, v[18:19]
	v_addc_co_u32_e64 v145, s[36:37], v13, v129, s[36:37]
	v_add3_u32 v70, v114, v113, v130
	v_add3_u32 v130, v15, v119, v134
	v_add_co_u32_e64 v134, s[36:37], v12, v116
	v_lshlrev_b64 v[102:103], 2, v[66:67]
	v_addc_co_u32_e64 v135, s[36:37], v13, v117, s[36:37]
	v_lshlrev_b64 v[16:17], 2, v[130:131]
	v_add_co_u32_e64 v130, s[36:37], v12, v102
	v_lshlrev_b64 v[96:97], 2, v[68:69]
	v_addc_co_u32_e64 v131, s[36:37], v13, v103, s[36:37]
	v_add_co_u32_e64 v118, s[36:37], v12, v96
	v_lshlrev_b64 v[84:85], 2, v[70:71]
	v_addc_co_u32_e64 v119, s[36:37], v13, v97, s[36:37]
	;; [unrolled: 3-line block ×4, first 2 shown]
	v_add_co_u32_e64 v98, s[36:37], v12, v18
	v_addc_co_u32_e64 v99, s[36:37], v13, v19, s[36:37]
	v_add_co_u32_e64 v86, s[36:37], v12, v16
	v_addc_co_u32_e64 v87, s[36:37], v13, v17, s[36:37]
                                        ; implicit-def: $vgpr15
                                        ; implicit-def: $vgpr66_vgpr67
                                        ; implicit-def: $vgpr68_vgpr69
                                        ; implicit-def: $vgpr70_vgpr71
                                        ; implicit-def: $vgpr80_vgpr81
                                        ; implicit-def: $vgpr100_vgpr101
                                        ; implicit-def: $vgpr132_vgpr133
	s_and_saveexec_b64 s[36:37], s[34:35]
	s_cbranch_execz .LBB1325_28
; %bb.52:                               ;   in Loop: Header=BB1325_29 Depth=1
	v_add_co_u32_e64 v66, s[34:35], v144, v128
	v_addc_co_u32_e64 v67, s[34:35], v145, v129, s[34:35]
	s_barrier
	flat_store_dword v[144:145], v179
	flat_store_dword v[134:135], v178
	;; [unrolled: 1-line block ×8, first 2 shown]
	s_waitcnt lgkmcnt(0)
	s_barrier
	flat_load_dword v180, v[54:55]
	flat_load_dword v15, v[54:55] offset:256
	flat_load_dword v181, v[54:55] offset:512
	;; [unrolled: 1-line block ×7, first 2 shown]
	s_waitcnt lgkmcnt(0)
	s_barrier
	flat_store_dwordx2 v[66:67], v[50:51]
	v_add_co_u32_e64 v66, s[34:35], v134, v116
	v_addc_co_u32_e64 v67, s[34:35], v135, v117, s[34:35]
	flat_store_dwordx2 v[66:67], v[48:49]
	v_add_co_u32_e64 v66, s[34:35], v130, v102
	v_addc_co_u32_e64 v67, s[34:35], v131, v103, s[34:35]
	;; [unrolled: 3-line block ×7, first 2 shown]
	flat_store_dwordx2 v[66:67], v[26:27]
	s_waitcnt lgkmcnt(0)
	s_barrier
	flat_load_dwordx2 v[66:67], v[64:65]
	flat_load_dwordx2 v[68:69], v[64:65] offset:512
	flat_load_dwordx2 v[70:71], v[64:65] offset:1024
	;; [unrolled: 1-line block ×7, first 2 shown]
	v_add_u32_e32 v163, -8, v163
	s_xor_b64 s[44:45], exec, -1
	s_waitcnt lgkmcnt(0)
	s_barrier
	s_branch .LBB1325_28
.LBB1325_53:
	s_or_b64 exec, exec, s[42:43]
	s_waitcnt vmcnt(0)
	v_or_b32_e32 v66, 0x1000, v1
	v_add_co_u32_e32 v10, vcc, v12, v66
	v_addc_co_u32_e32 v11, vcc, 0, v13, vcc
	s_movk_i32 s5, 0x1400
	v_add_co_u32_e32 v67, vcc, s5, v4
	s_movk_i32 s4, 0x1000
	v_addc_co_u32_e32 v68, vcc, 0, v5, vcc
	v_add_co_u32_e32 v14, vcc, s4, v4
	v_addc_co_u32_e32 v15, vcc, 0, v5, vcc
	s_movk_i32 s5, 0x1800
	v_add_co_u32_e32 v69, vcc, s5, v4
	v_addc_co_u32_e32 v70, vcc, 0, v5, vcc
	s_movk_i32 s5, 0x1c00
	v_add_co_u32_e32 v71, vcc, s5, v4
	v_addc_co_u32_e32 v80, vcc, 0, v5, vcc
	s_barrier
	flat_store_dword v[144:145], v179
	flat_store_dword v[134:135], v178
	;; [unrolled: 1-line block ×8, first 2 shown]
	s_waitcnt lgkmcnt(0)
	s_barrier
	flat_load_dword v65, v[4:5]
	flat_load_dword v64, v[4:5] offset:1024
	flat_load_dword v55, v[4:5] offset:2048
	;; [unrolled: 1-line block ×3, first 2 shown]
	flat_load_dword v53, v[10:11]
	flat_load_dword v52, v[14:15] offset:1024
	flat_load_dword v39, v[14:15] offset:2048
	;; [unrolled: 1-line block ×3, first 2 shown]
	v_add_co_u32_e32 v4, vcc, v144, v128
	v_addc_co_u32_e32 v5, vcc, v145, v129, vcc
	s_waitcnt lgkmcnt(0)
	s_barrier
	flat_store_dwordx2 v[4:5], v[50:51]
	v_add_co_u32_e32 v4, vcc, v134, v116
	v_addc_co_u32_e32 v5, vcc, v135, v117, vcc
	flat_store_dwordx2 v[4:5], v[48:49]
	v_add_co_u32_e32 v4, vcc, v130, v102
	v_addc_co_u32_e32 v5, vcc, v131, v103, vcc
	;; [unrolled: 3-line block ×7, first 2 shown]
	flat_store_dwordx2 v[4:5], v[26:27]
	v_lshlrev_b32_e32 v4, 3, v24
	v_add_co_u32_e32 v4, vcc, v12, v4
	v_addc_co_u32_e32 v5, vcc, 0, v13, vcc
	v_add_co_u32_e32 v12, vcc, s4, v4
	v_addc_co_u32_e32 v13, vcc, 0, v5, vcc
	v_add_co_u32_e32 v26, vcc, v10, v66
	s_waitcnt lgkmcnt(0)
	s_barrier
	flat_load_dwordx2 v[24:25], v[4:5]
	flat_load_dwordx2 v[20:21], v[4:5] offset:2048
	flat_load_dwordx2 v[18:19], v[12:13]
	flat_load_dwordx2 v[14:15], v[12:13] offset:2048
	v_addc_co_u32_e32 v27, vcc, 0, v11, vcc
	v_add_u32_e32 v4, 0x1400, v1
	v_add_co_u32_e32 v28, vcc, v67, v4
	v_addc_co_u32_e32 v29, vcc, 0, v68, vcc
	v_add_u32_e32 v4, 0x1800, v1
	v_add_co_u32_e32 v30, vcc, v69, v4
	;; [unrolled: 3-line block ×3, first 2 shown]
	v_addc_co_u32_e32 v33, vcc, 0, v80, vcc
	flat_load_dwordx2 v[16:17], v[26:27]
	flat_load_dwordx2 v[12:13], v[28:29]
	;; [unrolled: 1-line block ×4, first 2 shown]
	v_mov_b32_e32 v1, 0
	v_add_co_u32_e32 v22, vcc, v2, v22
	v_addc_co_u32_e32 v23, vcc, v3, v23, vcc
	v_lshlrev_b64 v[2:3], 2, v[0:1]
	v_add_co_u32_e32 v2, vcc, v22, v2
	v_addc_co_u32_e32 v3, vcc, v23, v3, vcc
	v_cmp_lt_u32_e64 s[4:5], v0, v150
	s_waitcnt lgkmcnt(0)
	s_barrier
	s_and_saveexec_b64 s[6:7], s[4:5]
	s_cbranch_execz .LBB1325_55
; %bb.54:
	v_bfrev_b32_e32 v22, -2
	s_waitcnt vmcnt(0)
	v_cmp_gt_i32_e32 vcc, 0, v65
	v_cndmask_b32_e64 v22, v22, 0, vcc
	v_xor_b32_e32 v22, v22, v65
	flat_store_dword v[2:3], v22
.LBB1325_55:
	s_or_b64 exec, exec, s[6:7]
	v_add_u32_e32 v22, 0x100, v0
	v_cmp_lt_u32_e64 s[6:7], v22, v150
	s_and_saveexec_b64 s[10:11], s[6:7]
	s_cbranch_execz .LBB1325_57
; %bb.56:
	v_bfrev_b32_e32 v22, -2
	s_waitcnt vmcnt(0)
	v_cmp_gt_i32_e32 vcc, 0, v64
	v_cndmask_b32_e64 v22, v22, 0, vcc
	v_xor_b32_e32 v22, v22, v64
	flat_store_dword v[2:3], v22 offset:1024
.LBB1325_57:
	s_or_b64 exec, exec, s[10:11]
	v_add_u32_e32 v22, 0x200, v0
	v_cmp_lt_u32_e64 s[10:11], v22, v150
	s_and_saveexec_b64 s[14:15], s[10:11]
	s_cbranch_execz .LBB1325_59
; %bb.58:
	v_bfrev_b32_e32 v22, -2
	s_waitcnt vmcnt(0)
	v_cmp_gt_i32_e32 vcc, 0, v55
	v_cndmask_b32_e64 v22, v22, 0, vcc
	v_xor_b32_e32 v22, v22, v55
	flat_store_dword v[2:3], v22 offset:2048
.LBB1325_59:
	;; [unrolled: 13-line block ×3, first 2 shown]
	s_or_b64 exec, exec, s[14:15]
	v_add_u32_e32 v22, 0x400, v0
	v_cmp_lt_u32_e64 s[14:15], v22, v150
	s_and_saveexec_b64 s[16:17], s[14:15]
	s_cbranch_execz .LBB1325_63
; %bb.62:
	v_bfrev_b32_e32 v22, -2
	s_waitcnt vmcnt(0)
	v_cmp_gt_i32_e32 vcc, 0, v53
	v_cndmask_b32_e64 v22, v22, 0, vcc
	v_xor_b32_e32 v26, v22, v53
	v_add_co_u32_e32 v22, vcc, 0x1000, v2
	v_addc_co_u32_e32 v23, vcc, 0, v3, vcc
	flat_store_dword v[22:23], v26
.LBB1325_63:
	s_or_b64 exec, exec, s[16:17]
	v_add_u32_e32 v22, 0x500, v0
	v_cmp_lt_u32_e64 s[16:17], v22, v150
	s_and_saveexec_b64 s[18:19], s[16:17]
	s_cbranch_execz .LBB1325_65
; %bb.64:
	v_bfrev_b32_e32 v22, -2
	s_waitcnt vmcnt(0)
	v_cmp_gt_i32_e32 vcc, 0, v52
	v_cndmask_b32_e64 v22, v22, 0, vcc
	v_xor_b32_e32 v26, v22, v52
	v_add_co_u32_e32 v22, vcc, 0x1000, v2
	v_addc_co_u32_e32 v23, vcc, 0, v3, vcc
	flat_store_dword v[22:23], v26 offset:1024
.LBB1325_65:
	s_or_b64 exec, exec, s[18:19]
	v_add_u32_e32 v22, 0x600, v0
	v_cmp_lt_u32_e64 s[18:19], v22, v150
	s_and_saveexec_b64 s[20:21], s[18:19]
	s_cbranch_execz .LBB1325_67
; %bb.66:
	v_bfrev_b32_e32 v22, -2
	s_waitcnt vmcnt(0)
	v_cmp_gt_i32_e32 vcc, 0, v39
	v_cndmask_b32_e64 v22, v22, 0, vcc
	v_xor_b32_e32 v26, v22, v39
	v_add_co_u32_e32 v22, vcc, 0x1000, v2
	v_addc_co_u32_e32 v23, vcc, 0, v3, vcc
	flat_store_dword v[22:23], v26 offset:2048
.LBB1325_67:
	s_or_b64 exec, exec, s[20:21]
	v_add_u32_e32 v22, 0x700, v0
	v_cmp_lt_u32_e64 s[20:21], v22, v150
	s_and_saveexec_b64 s[24:25], s[20:21]
	s_cbranch_execz .LBB1325_69
; %bb.68:
	v_bfrev_b32_e32 v22, -2
	s_waitcnt vmcnt(0)
	v_cmp_gt_i32_e32 vcc, 0, v38
	v_cndmask_b32_e64 v22, v22, 0, vcc
	v_add_co_u32_e32 v2, vcc, 0x1000, v2
	v_xor_b32_e32 v22, v22, v38
	v_addc_co_u32_e32 v3, vcc, 0, v3, vcc
	flat_store_dword v[2:3], v22 offset:3072
.LBB1325_69:
	s_or_b64 exec, exec, s[24:25]
	v_add_co_u32_e32 v2, vcc, v6, v8
	v_addc_co_u32_e32 v3, vcc, v7, v9, vcc
	v_lshlrev_b64 v[0:1], 3, v[0:1]
	v_add_co_u32_e32 v0, vcc, v2, v0
	v_addc_co_u32_e32 v1, vcc, v3, v1, vcc
	s_and_saveexec_b64 s[24:25], s[4:5]
	s_cbranch_execnz .LBB1325_119
; %bb.70:
	s_or_b64 exec, exec, s[24:25]
	s_and_saveexec_b64 s[4:5], s[6:7]
	s_cbranch_execnz .LBB1325_120
.LBB1325_71:
	s_or_b64 exec, exec, s[4:5]
	s_and_saveexec_b64 s[4:5], s[10:11]
	s_cbranch_execnz .LBB1325_121
.LBB1325_72:
	s_or_b64 exec, exec, s[4:5]
	s_and_saveexec_b64 s[4:5], s[22:23]
	s_cbranch_execnz .LBB1325_122
.LBB1325_73:
	s_or_b64 exec, exec, s[4:5]
	s_and_saveexec_b64 s[4:5], s[14:15]
	s_cbranch_execnz .LBB1325_123
.LBB1325_74:
	s_or_b64 exec, exec, s[4:5]
	s_and_saveexec_b64 s[4:5], s[16:17]
	s_cbranch_execnz .LBB1325_124
.LBB1325_75:
	s_or_b64 exec, exec, s[4:5]
	s_and_saveexec_b64 s[4:5], s[18:19]
	s_cbranch_execnz .LBB1325_125
.LBB1325_76:
	s_or_b64 exec, exec, s[4:5]
	s_and_saveexec_b64 s[4:5], s[20:21]
	s_cbranch_execz .LBB1325_78
.LBB1325_77:
	v_add_co_u32_e32 v0, vcc, 0x3000, v0
	v_addc_co_u32_e32 v1, vcc, 0, v1, vcc
	s_waitcnt vmcnt(0)
	flat_store_dwordx2 v[0:1], v[4:5] offset:2048
.LBB1325_78:
	s_or_b64 exec, exec, s[4:5]
                                        ; implicit-def: $vgpr150
                                        ; implicit-def: $vgpr0
                                        ; implicit-def: $vgpr1
                                        ; implicit-def: $vgpr2
                                        ; implicit-def: $vgpr3
                                        ; implicit-def: $vgpr4
                                        ; implicit-def: $vgpr5
                                        ; implicit-def: $vgpr6
                                        ; implicit-def: $vgpr7
                                        ; implicit-def: $vgpr8
                                        ; implicit-def: $vgpr10
                                        ; implicit-def: $vgpr11
                                        ; implicit-def: $vgpr12
                                        ; implicit-def: $vgpr13
                                        ; implicit-def: $vgpr31
                                        ; implicit-def: $vgpr14
                                        ; implicit-def: $vgpr16
                                        ; implicit-def: $vgpr15
.LBB1325_79:
	s_andn2_saveexec_b64 s[4:5], s[40:41]
	s_cbranch_execz .LBB1325_199
; %bb.80:
	s_movk_i32 s4, 0x200
	v_cmp_lt_u32_e32 vcc, s4, v150
	s_and_saveexec_b64 s[4:5], vcc
	s_xor_b64 s[40:41], exec, s[4:5]
	s_cbranch_execz .LBB1325_140
; %bb.81:
	s_load_dwordx2 s[4:5], s[8:9], 0x0
	v_mov_b32_e32 v9, 0
	s_waitcnt vmcnt(0)
	v_mbcnt_hi_u32_b32 v32, -1, v15
	v_lshlrev_b64 v[22:23], 2, v[8:9]
	v_and_b32_e32 v34, 63, v32
	s_waitcnt lgkmcnt(0)
	s_cmp_lt_u32 s12, s4
	s_cselect_b32 s6, 12, 18
	s_cmp_lt_u32 s13, s5
	s_cselect_b32 s4, 14, 20
	s_add_u32 s4, s8, s4
	s_addc_u32 s5, s9, 0
	s_add_u32 s6, s8, s6
	global_load_ushort v17, v9, s[4:5]
	s_addc_u32 s7, s9, 0
	global_load_ushort v18, v9, s[6:7]
	v_add_co_u32_e32 v0, vcc, v0, v22
	v_addc_co_u32_e32 v1, vcc, v1, v23, vcc
	v_lshlrev_b32_e32 v15, 2, v34
	v_and_b32_e32 v24, 0x3ff, v31
	v_add_co_u32_e32 v20, vcc, v0, v15
	v_addc_co_u32_e32 v21, vcc, 0, v1, vcc
	v_mov_b32_e32 v19, v9
	s_mov_b32 s4, -1
	s_mov_b32 s6, s4
	s_mov_b32 s7, s4
	;; [unrolled: 1-line block ×3, first 2 shown]
	s_waitcnt vmcnt(1)
	v_mad_u32_u24 v0, v16, v17, v14
	s_waitcnt vmcnt(0)
	v_mad_u64_u32 v[0:1], s[10:11], v0, v18, v[24:25]
	v_lshlrev_b32_e32 v1, 2, v0
	v_and_b32_e32 v18, 0xffffff00, v1
	v_lshlrev_b64 v[14:15], 2, v[18:19]
	v_add_co_u32_e32 v20, vcc, v20, v14
	v_or_b32_e32 v1, v18, v34
	v_addc_co_u32_e32 v21, vcc, v21, v15, vcc
	v_pk_mov_b32 v[16:17], s[6:7], s[6:7] op_sel:[0,1]
	v_cmp_lt_u32_e32 vcc, v1, v150
	v_pk_mov_b32 v[14:15], s[4:5], s[4:5] op_sel:[0,1]
	s_and_saveexec_b64 s[4:5], vcc
	s_cbranch_execz .LBB1325_83
; %bb.82:
	flat_load_dword v14, v[20:21]
	v_mov_b32_e32 v15, -1
	v_mov_b32_e32 v16, v15
	v_mov_b32_e32 v17, v15
.LBB1325_83:
	s_or_b64 exec, exec, s[4:5]
	v_or_b32_e32 v25, 64, v1
	v_cmp_lt_u32_e64 s[4:5], v25, v150
	s_and_saveexec_b64 s[6:7], s[4:5]
	s_cbranch_execz .LBB1325_85
; %bb.84:
	flat_load_dword v15, v[20:21] offset:256
.LBB1325_85:
	s_or_b64 exec, exec, s[6:7]
	v_or_b32_e32 v25, 0x80, v1
	v_cmp_lt_u32_e64 s[6:7], v25, v150
	s_and_saveexec_b64 s[10:11], s[6:7]
	s_cbranch_execz .LBB1325_87
; %bb.86:
	flat_load_dword v16, v[20:21] offset:512
.LBB1325_87:
	;; [unrolled: 8-line block ×3, first 2 shown]
	s_or_b64 exec, exec, s[14:15]
	v_lshlrev_b64 v[8:9], 3, v[8:9]
	v_add_co_u32_e64 v1, s[14:15], v4, v8
	v_addc_co_u32_e64 v4, s[14:15], v5, v9, s[14:15]
	v_lshlrev_b32_e32 v5, 3, v34
	v_add_co_u32_e64 v1, s[14:15], v1, v5
	v_addc_co_u32_e64 v20, s[14:15], 0, v4, s[14:15]
	v_lshlrev_b64 v[4:5], 3, v[18:19]
	v_add_co_u32_e64 v4, s[14:15], v1, v4
	v_addc_co_u32_e64 v5, s[14:15], v20, v5, s[14:15]
                                        ; implicit-def: $vgpr18_vgpr19
	s_and_saveexec_b64 s[14:15], vcc
	s_cbranch_execnz .LBB1325_164
; %bb.90:
	s_or_b64 exec, exec, s[14:15]
                                        ; implicit-def: $vgpr20_vgpr21
	s_and_saveexec_b64 s[14:15], s[4:5]
	s_cbranch_execnz .LBB1325_165
.LBB1325_91:
	s_or_b64 exec, exec, s[14:15]
                                        ; implicit-def: $vgpr54_vgpr55
	s_and_saveexec_b64 s[4:5], s[6:7]
	s_cbranch_execnz .LBB1325_166
.LBB1325_92:
	s_or_b64 exec, exec, s[4:5]
                                        ; implicit-def: $vgpr64_vgpr65
	s_and_saveexec_b64 s[4:5], s[10:11]
	s_cbranch_execz .LBB1325_94
.LBB1325_93:
	flat_load_dwordx2 v[64:65], v[4:5] offset:1536
.LBB1325_94:
	s_or_b64 exec, exec, s[4:5]
	v_bfrev_b32_e32 v1, -2
	s_waitcnt vmcnt(0) lgkmcnt(0)
	v_cmp_gt_i32_e32 vcc, 0, v14
	v_cndmask_b32_e64 v4, v1, 0, vcc
	v_cmp_gt_i32_e32 vcc, 0, v15
	v_xor_b32_e32 v114, v4, v14
	v_cndmask_b32_e64 v4, v1, 0, vcc
	v_cmp_gt_i32_e32 vcc, 0, v16
	v_xor_b32_e32 v115, v4, v15
	;; [unrolled: 3-line block ×3, first 2 shown]
	v_cndmask_b32_e64 v4, v1, 0, vcc
	v_add_co_u32_e32 v25, vcc, 16, v12
	v_and_b32_e32 v14, 0x3c0, v24
	v_xor_b32_e32 v117, v4, v17
	v_addc_co_u32_e32 v98, vcc, 0, v13, vcc
	v_lshlrev_b32_e32 v4, 4, v24
	v_min_u32_e32 v14, 0xc0, v14
	v_add_co_u32_e32 v26, vcc, v12, v4
	v_or_b32_e32 v14, 63, v14
	s_getpc_b64 s[4:5]
	s_add_u32 s4, s4, _ZN7rocprim17ROCPRIM_400000_NS16block_radix_sortIfLj256ELj4ElLj1ELj1ELj8ELNS0_26block_radix_rank_algorithmE2ELNS0_18block_padding_hintE2ELNS0_4arch9wavefront6targetE1EE19radix_bits_per_passE@rel32@lo+4
	s_addc_u32 s5, s5, _ZN7rocprim17ROCPRIM_400000_NS16block_radix_sortIfLj256ELj4ElLj1ELj1ELj8ELNS0_26block_radix_rank_algorithmE2ELNS0_18block_padding_hintE2ELNS0_4arch9wavefront6targetE1EE19radix_bits_per_passE@rel32@hi+12
	v_addc_co_u32_e32 v27, vcc, 0, v13, vcc
	v_and_b32_e32 v4, 15, v32
	v_cmp_eq_u32_e64 s[16:17], v14, v24
	v_add_u32_e32 v14, -1, v32
	v_and_b32_e32 v15, 64, v32
	s_load_dword s46, s[4:5], 0x0
	v_cmp_eq_u32_e32 vcc, 0, v4
	v_cmp_lt_u32_e64 s[4:5], 1, v4
	v_cmp_lt_u32_e64 s[6:7], 3, v4
	;; [unrolled: 1-line block ×3, first 2 shown]
	v_and_b32_e32 v4, 16, v32
	v_cmp_lt_i32_e64 s[22:23], v14, v15
	v_cmp_eq_u32_e64 s[30:31], 0, v4
	v_lshrrev_b32_e32 v4, 6, v24
	v_cndmask_b32_e64 v14, v14, v32, s[22:23]
	v_lshlrev_b32_e32 v100, 2, v14
	v_lshlrev_b32_e32 v14, 2, v4
	v_add_co_u32_e64 v30, s[26:27], v12, v14
	v_lshlrev_b32_e32 v16, 2, v24
	v_addc_co_u32_e64 v31, s[26:27], 0, v13, s[26:27]
	v_add_co_u32_e64 v28, s[26:27], v12, v16
	v_mov_b32_e32 v5, 0
	v_addc_co_u32_e64 v29, s[26:27], 0, v13, s[26:27]
	v_and_b32_e32 v14, 3, v32
	v_add_u32_e32 v4, -1, v4
	v_cmp_eq_u32_e64 s[26:27], 0, v14
	v_cmp_lt_u32_e64 s[28:29], 1, v14
	v_lshlrev_b64 v[14:15], 2, v[4:5]
	v_cmp_lt_u32_e64 s[14:15], 31, v32
	v_cmp_eq_u32_e64 s[22:23], 0, v32
	v_add_co_u32_e64 v32, s[34:35], v12, v14
	v_addc_co_u32_e64 v33, s[34:35], v13, v15, s[34:35]
	s_movk_i32 s34, 0xf00
	v_and_or_b32 v4, v16, s34, v34
	v_lshlrev_b32_e32 v4, 2, v4
	v_add_co_u32_e64 v36, s[34:35], v12, v4
	v_addc_co_u32_e64 v37, s[34:35], 0, v13, s[34:35]
	v_add_co_u32_e64 v48, s[34:35], v36, v4
	v_lshrrev_b32_e32 v99, 6, v0
	v_cmp_gt_u32_e64 s[18:19], 4, v24
	v_cmp_lt_u32_e64 s[20:21], 63, v24
	v_cmp_eq_u32_e64 s[24:25], 0, v24
	v_addc_co_u32_e64 v49, s[34:35], 0, v37, s[34:35]
	v_sub_u32_e32 v101, v11, v10
	s_mov_b64 s[42:43], 0
	s_brev_b32 s47, 1
	v_mov_b32_e32 v14, v5
	v_mov_b32_e32 v15, v5
	;; [unrolled: 1-line block ×4, first 2 shown]
	s_waitcnt lgkmcnt(0)
	s_barrier
	s_branch .LBB1325_96
.LBB1325_95:                            ;   in Loop: Header=BB1325_96 Depth=1
	s_or_b64 exec, exec, s[36:37]
	s_and_b64 s[34:35], exec, s[44:45]
	s_or_b64 s[42:43], s[34:35], s[42:43]
	s_andn2_b64 exec, exec, s[42:43]
	s_cbranch_execz .LBB1325_126
.LBB1325_96:                            ; =>This Inner Loop Header: Depth=1
	s_waitcnt vmcnt(0)
	v_mov_b32_e32 v113, v114
	v_min_u32_e32 v4, s46, v101
	v_lshlrev_b32_e64 v4, v4, -1
	v_cmp_ne_u32_e64 s[34:35], s47, v113
	v_pk_mov_b32 v[50:51], v[20:21], v[20:21] op_sel:[0,1]
	v_not_b32_e32 v20, v4
	v_cndmask_b32_e64 v4, v1, v113, s[34:35]
	v_lshrrev_b32_e32 v4, v10, v4
	v_and_b32_e32 v21, v4, v20
	v_lshl_add_u32 v4, v21, 2, v99
	v_pk_mov_b32 v[52:53], v[18:19], v[18:19] op_sel:[0,1]
	v_lshlrev_b64 v[18:19], 2, v[4:5]
	v_pk_mov_b32 v[38:39], v[54:55], v[54:55] op_sel:[0,1]
	v_add_co_u32_e64 v54, s[34:35], v25, v18
	v_addc_co_u32_e64 v55, s[34:35], v98, v19, s[34:35]
	v_and_b32_e32 v4, 1, v21
	v_add_co_u32_e64 v18, s[34:35], -1, v4
	v_addc_co_u32_e64 v19, s[34:35], 0, -1, s[34:35]
	v_cmp_ne_u32_e64 s[34:35], 0, v4
	v_xor_b32_e32 v18, s34, v18
	v_pk_mov_b32 v[34:35], v[64:65], v[64:65] op_sel:[0,1]
	v_xor_b32_e32 v4, s35, v19
	v_and_b32_e32 v64, exec_lo, v18
	v_lshlrev_b32_e32 v19, 30, v21
	v_mov_b32_e32 v18, v5
	v_cmp_gt_i64_e64 s[34:35], 0, v[18:19]
	v_not_b32_e32 v18, v19
	v_ashrrev_i32_e32 v18, 31, v18
	v_and_b32_e32 v4, exec_hi, v4
	v_xor_b32_e32 v19, s35, v18
	v_xor_b32_e32 v18, s34, v18
	v_and_b32_e32 v4, v4, v19
	v_and_b32_e32 v64, v64, v18
	v_lshlrev_b32_e32 v19, 29, v21
	v_mov_b32_e32 v18, v5
	v_cmp_gt_i64_e64 s[34:35], 0, v[18:19]
	v_not_b32_e32 v18, v19
	v_ashrrev_i32_e32 v18, 31, v18
	v_xor_b32_e32 v19, s35, v18
	v_xor_b32_e32 v18, s34, v18
	v_and_b32_e32 v4, v4, v19
	v_and_b32_e32 v64, v64, v18
	v_lshlrev_b32_e32 v19, 28, v21
	v_mov_b32_e32 v18, v5
	v_cmp_gt_i64_e64 s[34:35], 0, v[18:19]
	v_not_b32_e32 v18, v19
	v_ashrrev_i32_e32 v18, 31, v18
	;; [unrolled: 9-line block ×6, first 2 shown]
	v_xor_b32_e32 v19, s35, v18
	v_xor_b32_e32 v18, s34, v18
	v_and_b32_e32 v18, v64, v18
	v_and_b32_e32 v19, v4, v19
	v_mbcnt_lo_u32_b32 v4, v18, 0
	v_mbcnt_hi_u32_b32 v70, v19, v4
	v_cmp_eq_u32_e64 s[34:35], 0, v70
	v_cmp_ne_u64_e64 s[36:37], 0, v[18:19]
	v_mov_b32_e32 v102, v117
	v_mov_b32_e32 v103, v116
	;; [unrolled: 1-line block ×3, first 2 shown]
	s_and_b64 s[36:37], s[36:37], s[34:35]
	flat_store_dwordx4 v[26:27], v[14:17] offset:16
	s_waitcnt lgkmcnt(0)
	s_barrier
	s_waitcnt lgkmcnt(0)
	; wave barrier
	s_and_saveexec_b64 s[34:35], s[36:37]
	s_cbranch_execz .LBB1325_98
; %bb.97:                               ;   in Loop: Header=BB1325_96 Depth=1
	v_bcnt_u32_b32 v4, v18, 0
	v_bcnt_u32_b32 v4, v19, v4
	flat_store_dword v[54:55], v4
.LBB1325_98:                            ;   in Loop: Header=BB1325_96 Depth=1
	s_or_b64 exec, exec, s[34:35]
	v_cmp_ne_u32_e64 s[34:35], s47, v112
	v_cndmask_b32_e64 v4, v1, v112, s[34:35]
	v_lshrrev_b32_e32 v4, v10, v4
	v_and_b32_e32 v21, v4, v20
	v_lshl_add_u32 v4, v21, 2, v99
	v_lshlrev_b64 v[18:19], 2, v[4:5]
	v_add_co_u32_e64 v64, s[34:35], v25, v18
	v_addc_co_u32_e64 v65, s[34:35], v98, v19, s[34:35]
	; wave barrier
	flat_load_dword v71, v[64:65]
	v_and_b32_e32 v4, 1, v21
	v_add_co_u32_e64 v18, s[34:35], -1, v4
	v_addc_co_u32_e64 v19, s[34:35], 0, -1, s[34:35]
	v_cmp_ne_u32_e64 s[34:35], 0, v4
	v_xor_b32_e32 v18, s34, v18
	v_xor_b32_e32 v4, s35, v19
	v_and_b32_e32 v66, exec_lo, v18
	v_lshlrev_b32_e32 v19, 30, v21
	v_mov_b32_e32 v18, v5
	v_cmp_gt_i64_e64 s[34:35], 0, v[18:19]
	v_not_b32_e32 v18, v19
	v_ashrrev_i32_e32 v18, 31, v18
	v_and_b32_e32 v4, exec_hi, v4
	v_xor_b32_e32 v19, s35, v18
	v_xor_b32_e32 v18, s34, v18
	v_and_b32_e32 v4, v4, v19
	v_and_b32_e32 v66, v66, v18
	v_lshlrev_b32_e32 v19, 29, v21
	v_mov_b32_e32 v18, v5
	v_cmp_gt_i64_e64 s[34:35], 0, v[18:19]
	v_not_b32_e32 v18, v19
	v_ashrrev_i32_e32 v18, 31, v18
	v_xor_b32_e32 v19, s35, v18
	v_xor_b32_e32 v18, s34, v18
	v_and_b32_e32 v4, v4, v19
	v_and_b32_e32 v66, v66, v18
	v_lshlrev_b32_e32 v19, 28, v21
	v_mov_b32_e32 v18, v5
	v_cmp_gt_i64_e64 s[34:35], 0, v[18:19]
	v_not_b32_e32 v18, v19
	v_ashrrev_i32_e32 v18, 31, v18
	;; [unrolled: 9-line block ×6, first 2 shown]
	v_xor_b32_e32 v19, s35, v18
	v_xor_b32_e32 v18, s34, v18
	v_and_b32_e32 v18, v66, v18
	v_and_b32_e32 v19, v4, v19
	v_mbcnt_lo_u32_b32 v4, v18, 0
	v_mbcnt_hi_u32_b32 v80, v19, v4
	v_cmp_eq_u32_e64 s[34:35], 0, v80
	v_cmp_ne_u64_e64 s[36:37], 0, v[18:19]
	s_and_b64 s[36:37], s[36:37], s[34:35]
	; wave barrier
	s_and_saveexec_b64 s[34:35], s[36:37]
	s_cbranch_execz .LBB1325_100
; %bb.99:                               ;   in Loop: Header=BB1325_96 Depth=1
	v_bcnt_u32_b32 v4, v18, 0
	v_bcnt_u32_b32 v4, v19, v4
	s_waitcnt vmcnt(0) lgkmcnt(0)
	v_add_u32_e32 v4, v71, v4
	flat_store_dword v[64:65], v4
.LBB1325_100:                           ;   in Loop: Header=BB1325_96 Depth=1
	s_or_b64 exec, exec, s[34:35]
	v_cmp_ne_u32_e64 s[34:35], s47, v103
	v_cndmask_b32_e64 v4, v1, v103, s[34:35]
	v_lshrrev_b32_e32 v4, v10, v4
	v_and_b32_e32 v21, v4, v20
	v_lshl_add_u32 v4, v21, 2, v99
	v_lshlrev_b64 v[18:19], 2, v[4:5]
	v_add_co_u32_e64 v66, s[34:35], v25, v18
	v_addc_co_u32_e64 v67, s[34:35], v98, v19, s[34:35]
	; wave barrier
	flat_load_dword v81, v[66:67]
	v_and_b32_e32 v4, 1, v21
	v_add_co_u32_e64 v18, s[34:35], -1, v4
	v_addc_co_u32_e64 v19, s[34:35], 0, -1, s[34:35]
	v_cmp_ne_u32_e64 s[34:35], 0, v4
	v_xor_b32_e32 v18, s34, v18
	v_xor_b32_e32 v4, s35, v19
	v_and_b32_e32 v68, exec_lo, v18
	v_lshlrev_b32_e32 v19, 30, v21
	v_mov_b32_e32 v18, v5
	v_cmp_gt_i64_e64 s[34:35], 0, v[18:19]
	v_not_b32_e32 v18, v19
	v_ashrrev_i32_e32 v18, 31, v18
	v_and_b32_e32 v4, exec_hi, v4
	v_xor_b32_e32 v19, s35, v18
	v_xor_b32_e32 v18, s34, v18
	v_and_b32_e32 v4, v4, v19
	v_and_b32_e32 v68, v68, v18
	v_lshlrev_b32_e32 v19, 29, v21
	v_mov_b32_e32 v18, v5
	v_cmp_gt_i64_e64 s[34:35], 0, v[18:19]
	v_not_b32_e32 v18, v19
	v_ashrrev_i32_e32 v18, 31, v18
	v_xor_b32_e32 v19, s35, v18
	v_xor_b32_e32 v18, s34, v18
	v_and_b32_e32 v4, v4, v19
	v_and_b32_e32 v68, v68, v18
	v_lshlrev_b32_e32 v19, 28, v21
	v_mov_b32_e32 v18, v5
	v_cmp_gt_i64_e64 s[34:35], 0, v[18:19]
	v_not_b32_e32 v18, v19
	v_ashrrev_i32_e32 v18, 31, v18
	;; [unrolled: 9-line block ×6, first 2 shown]
	v_xor_b32_e32 v19, s35, v18
	v_xor_b32_e32 v18, s34, v18
	v_and_b32_e32 v18, v68, v18
	v_and_b32_e32 v19, v4, v19
	v_mbcnt_lo_u32_b32 v4, v18, 0
	v_mbcnt_hi_u32_b32 v82, v19, v4
	v_cmp_eq_u32_e64 s[34:35], 0, v82
	v_cmp_ne_u64_e64 s[36:37], 0, v[18:19]
	s_and_b64 s[36:37], s[36:37], s[34:35]
	; wave barrier
	s_and_saveexec_b64 s[34:35], s[36:37]
	s_cbranch_execz .LBB1325_102
; %bb.101:                              ;   in Loop: Header=BB1325_96 Depth=1
	v_bcnt_u32_b32 v4, v18, 0
	v_bcnt_u32_b32 v4, v19, v4
	s_waitcnt vmcnt(0) lgkmcnt(0)
	v_add_u32_e32 v4, v81, v4
	flat_store_dword v[66:67], v4
.LBB1325_102:                           ;   in Loop: Header=BB1325_96 Depth=1
	s_or_b64 exec, exec, s[34:35]
	v_cmp_ne_u32_e64 s[34:35], s47, v102
	v_cndmask_b32_e64 v4, v1, v102, s[34:35]
	v_lshrrev_b32_e32 v4, v10, v4
	v_and_b32_e32 v20, v4, v20
	v_lshl_add_u32 v4, v20, 2, v99
	v_lshlrev_b64 v[18:19], 2, v[4:5]
	v_add_co_u32_e64 v68, s[34:35], v25, v18
	v_addc_co_u32_e64 v69, s[34:35], v98, v19, s[34:35]
	; wave barrier
	flat_load_dword v83, v[68:69]
	v_and_b32_e32 v4, 1, v20
	v_add_co_u32_e64 v18, s[34:35], -1, v4
	v_addc_co_u32_e64 v19, s[34:35], 0, -1, s[34:35]
	v_cmp_ne_u32_e64 s[34:35], 0, v4
	v_xor_b32_e32 v18, s34, v18
	v_xor_b32_e32 v4, s35, v19
	v_and_b32_e32 v21, exec_lo, v18
	v_lshlrev_b32_e32 v19, 30, v20
	v_mov_b32_e32 v18, v5
	v_cmp_gt_i64_e64 s[34:35], 0, v[18:19]
	v_not_b32_e32 v18, v19
	v_ashrrev_i32_e32 v18, 31, v18
	v_and_b32_e32 v4, exec_hi, v4
	v_xor_b32_e32 v19, s35, v18
	v_xor_b32_e32 v18, s34, v18
	v_and_b32_e32 v4, v4, v19
	v_and_b32_e32 v21, v21, v18
	v_lshlrev_b32_e32 v19, 29, v20
	v_mov_b32_e32 v18, v5
	v_cmp_gt_i64_e64 s[34:35], 0, v[18:19]
	v_not_b32_e32 v18, v19
	v_ashrrev_i32_e32 v18, 31, v18
	v_xor_b32_e32 v19, s35, v18
	v_xor_b32_e32 v18, s34, v18
	v_and_b32_e32 v4, v4, v19
	v_and_b32_e32 v21, v21, v18
	v_lshlrev_b32_e32 v19, 28, v20
	v_mov_b32_e32 v18, v5
	v_cmp_gt_i64_e64 s[34:35], 0, v[18:19]
	v_not_b32_e32 v18, v19
	v_ashrrev_i32_e32 v18, 31, v18
	;; [unrolled: 9-line block ×6, first 2 shown]
	v_xor_b32_e32 v19, s35, v18
	v_xor_b32_e32 v18, s34, v18
	v_and_b32_e32 v18, v21, v18
	v_and_b32_e32 v19, v4, v19
	v_mbcnt_lo_u32_b32 v4, v18, 0
	v_mbcnt_hi_u32_b32 v84, v19, v4
	v_cmp_eq_u32_e64 s[34:35], 0, v84
	v_cmp_ne_u64_e64 s[36:37], 0, v[18:19]
	s_and_b64 s[36:37], s[36:37], s[34:35]
	; wave barrier
	s_and_saveexec_b64 s[34:35], s[36:37]
	s_cbranch_execz .LBB1325_104
; %bb.103:                              ;   in Loop: Header=BB1325_96 Depth=1
	v_bcnt_u32_b32 v4, v18, 0
	v_bcnt_u32_b32 v4, v19, v4
	s_waitcnt vmcnt(0) lgkmcnt(0)
	v_add_u32_e32 v4, v83, v4
	flat_store_dword v[68:69], v4
.LBB1325_104:                           ;   in Loop: Header=BB1325_96 Depth=1
	s_or_b64 exec, exec, s[34:35]
	; wave barrier
	s_waitcnt lgkmcnt(0)
	s_barrier
	flat_load_dwordx4 v[18:21], v[26:27] offset:16
	s_waitcnt vmcnt(0) lgkmcnt(0)
	v_add_u32_e32 v4, v19, v18
	v_add3_u32 v4, v4, v20, v21
	s_nop 1
	v_mov_b32_dpp v21, v4 row_shr:1 row_mask:0xf bank_mask:0xf
	v_cndmask_b32_e64 v21, v21, 0, vcc
	v_add_u32_e32 v4, v21, v4
	s_nop 1
	v_mov_b32_dpp v21, v4 row_shr:2 row_mask:0xf bank_mask:0xf
	v_cndmask_b32_e64 v21, 0, v21, s[4:5]
	v_add_u32_e32 v4, v4, v21
	s_nop 1
	v_mov_b32_dpp v21, v4 row_shr:4 row_mask:0xf bank_mask:0xf
	v_cndmask_b32_e64 v21, 0, v21, s[6:7]
	;; [unrolled: 4-line block ×3, first 2 shown]
	v_add_u32_e32 v4, v4, v21
	s_nop 1
	v_mov_b32_dpp v21, v4 row_bcast:15 row_mask:0xf bank_mask:0xf
	v_cndmask_b32_e64 v21, v21, 0, s[30:31]
	v_add_u32_e32 v4, v4, v21
	s_nop 1
	v_mov_b32_dpp v21, v4 row_bcast:31 row_mask:0xf bank_mask:0xf
	v_cndmask_b32_e64 v21, 0, v21, s[14:15]
	v_add_u32_e32 v4, v4, v21
	s_and_saveexec_b64 s[34:35], s[16:17]
	s_cbranch_execz .LBB1325_106
; %bb.105:                              ;   in Loop: Header=BB1325_96 Depth=1
	flat_store_dword v[30:31], v4
.LBB1325_106:                           ;   in Loop: Header=BB1325_96 Depth=1
	s_or_b64 exec, exec, s[34:35]
	s_waitcnt lgkmcnt(0)
	s_barrier
	s_and_saveexec_b64 s[34:35], s[18:19]
	s_cbranch_execz .LBB1325_108
; %bb.107:                              ;   in Loop: Header=BB1325_96 Depth=1
	flat_load_dword v21, v[28:29]
	s_waitcnt vmcnt(0) lgkmcnt(0)
	s_nop 0
	v_mov_b32_dpp v85, v21 row_shr:1 row_mask:0xf bank_mask:0xf
	v_cndmask_b32_e64 v85, v85, 0, s[26:27]
	v_add_u32_e32 v21, v85, v21
	s_nop 1
	v_mov_b32_dpp v85, v21 row_shr:2 row_mask:0xf bank_mask:0xf
	v_cndmask_b32_e64 v85, 0, v85, s[28:29]
	v_add_u32_e32 v21, v21, v85
	flat_store_dword v[28:29], v21
.LBB1325_108:                           ;   in Loop: Header=BB1325_96 Depth=1
	s_or_b64 exec, exec, s[34:35]
	v_mov_b32_e32 v21, 0
	s_waitcnt lgkmcnt(0)
	s_barrier
	s_and_saveexec_b64 s[34:35], s[20:21]
	s_cbranch_execz .LBB1325_110
; %bb.109:                              ;   in Loop: Header=BB1325_96 Depth=1
	flat_load_dword v21, v[32:33]
.LBB1325_110:                           ;   in Loop: Header=BB1325_96 Depth=1
	s_or_b64 exec, exec, s[34:35]
	s_waitcnt vmcnt(0) lgkmcnt(0)
	v_add_u32_e32 v4, v21, v4
	ds_bpermute_b32 v4, v100, v4
	v_add_u32_e32 v10, 8, v10
	v_cmp_lt_u32_e64 s[34:35], v10, v11
	s_mov_b64 s[44:45], -1
	s_waitcnt lgkmcnt(0)
	v_cndmask_b32_e64 v4, v4, v21, s[22:23]
	v_cndmask_b32_e64 v114, v4, 0, s[24:25]
	v_add_u32_e32 v115, v114, v18
	v_add_u32_e32 v116, v115, v19
	;; [unrolled: 1-line block ×3, first 2 shown]
	flat_store_dwordx4 v[26:27], v[114:117] offset:16
	s_waitcnt lgkmcnt(0)
	s_barrier
	flat_load_dword v4, v[54:55]
	flat_load_dword v18, v[64:65]
	;; [unrolled: 1-line block ×4, first 2 shown]
	v_mov_b32_e32 v19, v5
	v_mov_b32_e32 v21, v5
	;; [unrolled: 1-line block ×3, first 2 shown]
	s_waitcnt lgkmcnt(0)
                                        ; implicit-def: $vgpr117
                                        ; implicit-def: $vgpr116
                                        ; implicit-def: $vgpr115
                                        ; implicit-def: $vgpr114
                                        ; implicit-def: $vgpr64_vgpr65
	s_waitcnt vmcnt(0) lgkmcnt(0)
	v_add_u32_e32 v4, v4, v70
	v_add3_u32 v18, v80, v71, v18
	v_add3_u32 v20, v82, v81, v20
	;; [unrolled: 1-line block ×3, first 2 shown]
	v_lshlrev_b64 v[84:85], 2, v[4:5]
	v_add_co_u32_e64 v96, s[36:37], v12, v84
	v_lshlrev_b64 v[80:81], 2, v[18:19]
	v_addc_co_u32_e64 v97, s[36:37], v13, v85, s[36:37]
	v_add_co_u32_e64 v86, s[36:37], v12, v80
	v_lshlrev_b64 v[68:69], 2, v[20:21]
	v_addc_co_u32_e64 v87, s[36:37], v13, v81, s[36:37]
	;; [unrolled: 3-line block ×3, first 2 shown]
	v_add_co_u32_e64 v70, s[36:37], v12, v66
	v_addc_co_u32_e64 v71, s[36:37], v13, v67, s[36:37]
                                        ; implicit-def: $vgpr18_vgpr19
                                        ; implicit-def: $vgpr20_vgpr21
                                        ; implicit-def: $vgpr54_vgpr55
	s_and_saveexec_b64 s[36:37], s[34:35]
	s_cbranch_execz .LBB1325_95
; %bb.111:                              ;   in Loop: Header=BB1325_96 Depth=1
	v_add_co_u32_e64 v18, s[34:35], v96, v84
	v_addc_co_u32_e64 v19, s[34:35], v97, v85, s[34:35]
	s_barrier
	flat_store_dword v[96:97], v113
	flat_store_dword v[86:87], v112
	;; [unrolled: 1-line block ×4, first 2 shown]
	s_waitcnt lgkmcnt(0)
	s_barrier
	flat_load_dword v114, v[36:37]
	flat_load_dword v115, v[36:37] offset:256
	flat_load_dword v116, v[36:37] offset:512
	flat_load_dword v117, v[36:37] offset:768
	s_waitcnt lgkmcnt(0)
	s_barrier
	flat_store_dwordx2 v[18:19], v[52:53]
	v_add_co_u32_e64 v18, s[34:35], v86, v80
	v_addc_co_u32_e64 v19, s[34:35], v87, v81, s[34:35]
	flat_store_dwordx2 v[18:19], v[50:51]
	v_add_co_u32_e64 v18, s[34:35], v82, v68
	v_addc_co_u32_e64 v19, s[34:35], v83, v69, s[34:35]
	;; [unrolled: 3-line block ×3, first 2 shown]
	flat_store_dwordx2 v[18:19], v[34:35]
	s_waitcnt lgkmcnt(0)
	s_barrier
	flat_load_dwordx2 v[18:19], v[48:49]
	flat_load_dwordx2 v[20:21], v[48:49] offset:512
	flat_load_dwordx2 v[54:55], v[48:49] offset:1024
	;; [unrolled: 1-line block ×3, first 2 shown]
	v_add_u32_e32 v101, -8, v101
	s_xor_b64 s[44:45], exec, -1
	s_waitcnt lgkmcnt(0)
	s_barrier
	s_branch .LBB1325_95
.LBB1325_112:
	flat_load_dwordx2 v[66:67], v[4:5]
	s_or_b64 exec, exec, s[22:23]
                                        ; implicit-def: $vgpr68_vgpr69
	s_and_saveexec_b64 s[22:23], s[4:5]
	s_cbranch_execz .LBB1325_20
.LBB1325_113:
	flat_load_dwordx2 v[68:69], v[4:5] offset:512
	s_or_b64 exec, exec, s[22:23]
                                        ; implicit-def: $vgpr70_vgpr71
	s_and_saveexec_b64 s[4:5], s[6:7]
	s_cbranch_execz .LBB1325_21
.LBB1325_114:
	flat_load_dwordx2 v[70:71], v[4:5] offset:1024
	s_or_b64 exec, exec, s[4:5]
                                        ; implicit-def: $vgpr80_vgpr81
	s_and_saveexec_b64 s[4:5], s[10:11]
	s_cbranch_execz .LBB1325_22
.LBB1325_115:
	flat_load_dwordx2 v[80:81], v[4:5] offset:1536
	s_or_b64 exec, exec, s[4:5]
                                        ; implicit-def: $vgpr100_vgpr101
	s_and_saveexec_b64 s[4:5], s[20:21]
	s_cbranch_execz .LBB1325_23
.LBB1325_116:
	flat_load_dwordx2 v[100:101], v[4:5] offset:2048
	s_or_b64 exec, exec, s[4:5]
                                        ; implicit-def: $vgpr132_vgpr133
	s_and_saveexec_b64 s[4:5], s[14:15]
	s_cbranch_execz .LBB1325_24
.LBB1325_117:
	flat_load_dwordx2 v[132:133], v[4:5] offset:2560
	s_or_b64 exec, exec, s[4:5]
                                        ; implicit-def: $vgpr146_vgpr147
	s_and_saveexec_b64 s[4:5], s[16:17]
	s_cbranch_execz .LBB1325_25
.LBB1325_118:
	flat_load_dwordx2 v[146:147], v[4:5] offset:3072
	s_or_b64 exec, exec, s[4:5]
                                        ; implicit-def: $vgpr148_vgpr149
	s_and_saveexec_b64 s[4:5], s[18:19]
	s_cbranch_execnz .LBB1325_26
	s_branch .LBB1325_27
.LBB1325_119:
	s_waitcnt vmcnt(0)
	flat_store_dwordx2 v[0:1], v[24:25]
	s_or_b64 exec, exec, s[24:25]
	s_and_saveexec_b64 s[4:5], s[6:7]
	s_cbranch_execz .LBB1325_71
.LBB1325_120:
	s_waitcnt vmcnt(0)
	flat_store_dwordx2 v[0:1], v[20:21] offset:2048
	s_or_b64 exec, exec, s[4:5]
	s_and_saveexec_b64 s[4:5], s[10:11]
	s_cbranch_execz .LBB1325_72
.LBB1325_121:
	v_add_co_u32_e32 v2, vcc, 0x1000, v0
	v_addc_co_u32_e32 v3, vcc, 0, v1, vcc
	s_waitcnt vmcnt(0)
	flat_store_dwordx2 v[2:3], v[18:19]
	s_or_b64 exec, exec, s[4:5]
	s_and_saveexec_b64 s[4:5], s[22:23]
	s_cbranch_execz .LBB1325_73
.LBB1325_122:
	v_add_co_u32_e32 v2, vcc, 0x1000, v0
	v_addc_co_u32_e32 v3, vcc, 0, v1, vcc
	s_waitcnt vmcnt(0)
	flat_store_dwordx2 v[2:3], v[14:15] offset:2048
	s_or_b64 exec, exec, s[4:5]
	s_and_saveexec_b64 s[4:5], s[14:15]
	s_cbranch_execz .LBB1325_74
.LBB1325_123:
	v_add_co_u32_e32 v2, vcc, 0x2000, v0
	v_addc_co_u32_e32 v3, vcc, 0, v1, vcc
	s_waitcnt vmcnt(0)
	flat_store_dwordx2 v[2:3], v[16:17]
	s_or_b64 exec, exec, s[4:5]
	s_and_saveexec_b64 s[4:5], s[16:17]
	s_cbranch_execz .LBB1325_75
.LBB1325_124:
	v_add_co_u32_e32 v2, vcc, 0x2000, v0
	v_addc_co_u32_e32 v3, vcc, 0, v1, vcc
	s_waitcnt vmcnt(0)
	flat_store_dwordx2 v[2:3], v[12:13] offset:2048
	s_or_b64 exec, exec, s[4:5]
	s_and_saveexec_b64 s[4:5], s[18:19]
	s_cbranch_execz .LBB1325_76
.LBB1325_125:
	v_add_co_u32_e32 v2, vcc, 0x3000, v0
	v_addc_co_u32_e32 v3, vcc, 0, v1, vcc
	s_waitcnt vmcnt(0)
	flat_store_dwordx2 v[2:3], v[10:11]
	s_or_b64 exec, exec, s[4:5]
	s_and_saveexec_b64 s[4:5], s[20:21]
	s_cbranch_execnz .LBB1325_77
	s_branch .LBB1325_78
.LBB1325_126:
	s_or_b64 exec, exec, s[42:43]
	v_add_co_u32_e32 v4, vcc, v96, v84
	v_addc_co_u32_e32 v5, vcc, v97, v85, vcc
	s_barrier
	flat_store_dword v[96:97], v113
	flat_store_dword v[86:87], v112
	;; [unrolled: 1-line block ×4, first 2 shown]
	s_waitcnt lgkmcnt(0)
	s_barrier
	s_waitcnt vmcnt(0)
	flat_load_dword v19, v[28:29]
	flat_load_dword v18, v[28:29] offset:1024
	flat_load_dword v17, v[28:29] offset:2048
	flat_load_dword v16, v[28:29] offset:3072
	s_waitcnt lgkmcnt(0)
	s_barrier
	flat_store_dwordx2 v[4:5], v[52:53]
	v_add_co_u32_e32 v4, vcc, v86, v80
	v_addc_co_u32_e32 v5, vcc, v87, v81, vcc
	flat_store_dwordx2 v[4:5], v[50:51]
	v_add_co_u32_e32 v4, vcc, v82, v68
	v_addc_co_u32_e32 v5, vcc, v83, v69, vcc
	;; [unrolled: 3-line block ×3, first 2 shown]
	v_lshlrev_b32_e32 v1, 3, v24
	v_add_co_u32_e32 v20, vcc, v12, v1
	v_addc_co_u32_e32 v21, vcc, 0, v13, vcc
	s_movk_i32 s4, 0x1000
	v_add_co_u32_e32 v24, vcc, s4, v20
	flat_store_dwordx2 v[4:5], v[34:35]
	s_waitcnt lgkmcnt(0)
	s_barrier
	v_addc_co_u32_e32 v25, vcc, 0, v21, vcc
	flat_load_dwordx2 v[14:15], v[20:21]
	flat_load_dwordx2 v[12:13], v[20:21] offset:2048
	flat_load_dwordx2 v[10:11], v[24:25]
	flat_load_dwordx2 v[4:5], v[24:25] offset:2048
	v_mov_b32_e32 v1, 0
	v_add_co_u32_e32 v20, vcc, v2, v22
	v_addc_co_u32_e32 v21, vcc, v3, v23, vcc
	v_lshlrev_b64 v[2:3], 2, v[0:1]
	v_add_co_u32_e32 v2, vcc, v20, v2
	v_addc_co_u32_e32 v3, vcc, v21, v3, vcc
	v_cmp_lt_u32_e32 vcc, v0, v150
	s_waitcnt lgkmcnt(0)
	s_barrier
	s_and_saveexec_b64 s[6:7], vcc
	s_cbranch_execz .LBB1325_128
; %bb.127:
	v_bfrev_b32_e32 v20, -2
	s_waitcnt vmcnt(0)
	v_cmp_gt_i32_e64 s[4:5], 0, v19
	v_cndmask_b32_e64 v20, v20, 0, s[4:5]
	v_xor_b32_e32 v19, v20, v19
	flat_store_dword v[2:3], v19
.LBB1325_128:
	s_or_b64 exec, exec, s[6:7]
	s_waitcnt vmcnt(0)
	v_add_u32_e32 v19, 0x100, v0
	v_cmp_lt_u32_e64 s[4:5], v19, v150
	s_and_saveexec_b64 s[10:11], s[4:5]
	s_cbranch_execz .LBB1325_130
; %bb.129:
	v_bfrev_b32_e32 v19, -2
	v_cmp_gt_i32_e64 s[6:7], 0, v18
	v_cndmask_b32_e64 v19, v19, 0, s[6:7]
	v_xor_b32_e32 v18, v19, v18
	flat_store_dword v[2:3], v18 offset:1024
.LBB1325_130:
	s_or_b64 exec, exec, s[10:11]
	v_add_u32_e32 v18, 0x200, v0
	v_cmp_lt_u32_e64 s[6:7], v18, v150
	s_and_saveexec_b64 s[14:15], s[6:7]
	s_cbranch_execz .LBB1325_132
; %bb.131:
	v_bfrev_b32_e32 v18, -2
	v_cmp_gt_i32_e64 s[10:11], 0, v17
	v_cndmask_b32_e64 v18, v18, 0, s[10:11]
	v_xor_b32_e32 v17, v18, v17
	flat_store_dword v[2:3], v17 offset:2048
.LBB1325_132:
	s_or_b64 exec, exec, s[14:15]
	;; [unrolled: 12-line block ×3, first 2 shown]
	v_add_co_u32_e64 v2, s[14:15], v6, v8
	v_addc_co_u32_e64 v3, s[14:15], v7, v9, s[14:15]
	v_lshlrev_b64 v[0:1], 3, v[0:1]
	v_add_co_u32_e64 v0, s[14:15], v2, v0
	v_addc_co_u32_e64 v1, s[14:15], v3, v1, s[14:15]
	s_and_saveexec_b64 s[14:15], vcc
	s_cbranch_execnz .LBB1325_167
; %bb.135:
	s_or_b64 exec, exec, s[14:15]
	s_and_saveexec_b64 s[14:15], s[4:5]
	s_cbranch_execnz .LBB1325_168
.LBB1325_136:
	s_or_b64 exec, exec, s[14:15]
	s_and_saveexec_b64 s[4:5], s[6:7]
	s_cbranch_execnz .LBB1325_169
.LBB1325_137:
	s_or_b64 exec, exec, s[4:5]
	s_and_saveexec_b64 s[4:5], s[10:11]
	s_cbranch_execz .LBB1325_139
.LBB1325_138:
	v_add_co_u32_e32 v0, vcc, 0x1000, v0
	v_addc_co_u32_e32 v1, vcc, 0, v1, vcc
	flat_store_dwordx2 v[0:1], v[4:5] offset:2048
.LBB1325_139:
	s_or_b64 exec, exec, s[4:5]
                                        ; implicit-def: $vgpr150
                                        ; implicit-def: $vgpr0
                                        ; implicit-def: $vgpr1
                                        ; implicit-def: $vgpr2
                                        ; implicit-def: $vgpr3
                                        ; implicit-def: $vgpr4
                                        ; implicit-def: $vgpr5
                                        ; implicit-def: $vgpr6
                                        ; implicit-def: $vgpr7
                                        ; implicit-def: $vgpr8
                                        ; implicit-def: $vgpr10
                                        ; implicit-def: $vgpr11
                                        ; implicit-def: $vgpr12
                                        ; implicit-def: $vgpr13
                                        ; implicit-def: $vgpr31
                                        ; implicit-def: $vgpr14
                                        ; implicit-def: $vgpr16
                                        ; implicit-def: $vgpr15
.LBB1325_140:
	s_andn2_saveexec_b64 s[4:5], s[40:41]
	s_cbranch_execz .LBB1325_199
; %bb.141:
	s_load_dwordx2 s[4:5], s[8:9], 0x0
	v_mov_b32_e32 v9, 0
	v_and_b32_e32 v26, 0x3ff, v31
	s_waitcnt vmcnt(0)
	v_lshlrev_b64 v[24:25], 2, v[8:9]
	s_waitcnt lgkmcnt(0)
	s_cmp_lt_u32 s12, s4
	s_cselect_b32 s6, 12, 18
	s_cmp_lt_u32 s13, s5
	s_cselect_b32 s4, 14, 20
	s_add_u32 s4, s8, s4
	s_addc_u32 s5, s9, 0
	s_add_u32 s6, s8, s6
	global_load_ushort v17, v9, s[4:5]
	s_addc_u32 s7, s9, 0
	global_load_ushort v18, v9, s[6:7]
	s_movk_i32 s4, 0x100
	v_cmp_lt_u32_e32 vcc, s4, v150
	s_waitcnt vmcnt(1)
	v_mad_u32_u24 v14, v16, v17, v14
	s_waitcnt vmcnt(0)
	v_mad_u64_u32 v[22:23], s[4:5], v14, v18, v[26:27]
	s_and_saveexec_b64 s[4:5], vcc
	s_xor_b64 s[34:35], exec, s[4:5]
	s_cbranch_execz .LBB1325_179
; %bb.142:
	v_mbcnt_hi_u32_b32 v32, -1, v15
	v_add_co_u32_e32 v0, vcc, v0, v24
	v_and_b32_e32 v34, 63, v32
	v_lshlrev_b32_e32 v14, 1, v22
	v_addc_co_u32_e32 v1, vcc, v1, v25, vcc
	v_and_b32_e32 v16, 0xffffff80, v14
	v_lshlrev_b32_e32 v14, 2, v34
	v_add_co_u32_e32 v14, vcc, v0, v14
	v_mov_b32_e32 v17, v9
	v_addc_co_u32_e32 v15, vcc, 0, v1, vcc
	v_lshlrev_b64 v[0:1], 2, v[16:17]
	s_mov_b32 s4, -1
	v_add_co_u32_e32 v0, vcc, v14, v0
	v_addc_co_u32_e32 v1, vcc, v15, v1, vcc
	v_or_b32_e32 v18, v34, v16
	s_mov_b32 s5, s4
	v_cmp_lt_u32_e32 vcc, v18, v150
	v_pk_mov_b32 v[14:15], s[4:5], s[4:5] op_sel:[0,1]
	s_and_saveexec_b64 s[4:5], vcc
	s_cbranch_execz .LBB1325_144
; %bb.143:
	flat_load_dword v14, v[0:1]
	v_mov_b32_e32 v15, -1
.LBB1325_144:
	s_or_b64 exec, exec, s[4:5]
	v_or_b32_e32 v18, 64, v18
	v_cmp_lt_u32_e64 s[4:5], v18, v150
	s_and_saveexec_b64 s[6:7], s[4:5]
	s_cbranch_execz .LBB1325_146
; %bb.145:
	flat_load_dword v15, v[0:1] offset:256
.LBB1325_146:
	s_or_b64 exec, exec, s[6:7]
	v_lshlrev_b64 v[0:1], 3, v[8:9]
	v_add_co_u32_e64 v4, s[6:7], v4, v0
	v_addc_co_u32_e64 v5, s[6:7], v5, v1, s[6:7]
	v_lshlrev_b32_e32 v8, 3, v34
	v_add_co_u32_e64 v8, s[6:7], v4, v8
	v_addc_co_u32_e64 v9, s[6:7], 0, v5, s[6:7]
	v_lshlrev_b64 v[4:5], 3, v[16:17]
	v_add_co_u32_e64 v4, s[6:7], v8, v4
	v_addc_co_u32_e64 v5, s[6:7], v9, v5, s[6:7]
                                        ; implicit-def: $vgpr18_vgpr19
	s_and_saveexec_b64 s[6:7], vcc
	s_cbranch_execz .LBB1325_148
; %bb.147:
	flat_load_dwordx2 v[18:19], v[4:5]
.LBB1325_148:
	s_or_b64 exec, exec, s[6:7]
                                        ; implicit-def: $vgpr20_vgpr21
	s_and_saveexec_b64 s[6:7], s[4:5]
	s_cbranch_execz .LBB1325_150
; %bb.149:
	flat_load_dwordx2 v[20:21], v[4:5] offset:512
.LBB1325_150:
	s_or_b64 exec, exec, s[6:7]
	v_bfrev_b32_e32 v23, -2
	s_waitcnt vmcnt(0) lgkmcnt(0)
	v_cmp_gt_i32_e32 vcc, 0, v14
	v_cndmask_b32_e64 v4, v23, 0, vcc
	v_cmp_gt_i32_e32 vcc, 0, v15
	v_xor_b32_e32 v80, v4, v14
	v_cndmask_b32_e64 v4, v23, 0, vcc
	v_xor_b32_e32 v81, v4, v15
	v_add_co_u32_e32 v27, vcc, 16, v12
	v_and_b32_e32 v15, 0x3c0, v26
	v_addc_co_u32_e32 v66, vcc, 0, v13, vcc
	v_lshlrev_b32_e32 v8, 4, v26
	v_min_u32_e32 v15, 0xc0, v15
	v_add_co_u32_e32 v8, vcc, v12, v8
	v_or_b32_e32 v15, 63, v15
	s_getpc_b64 s[4:5]
	s_add_u32 s4, s4, _ZN7rocprim17ROCPRIM_400000_NS16block_radix_sortIfLj256ELj2ElLj1ELj1ELj8ELNS0_26block_radix_rank_algorithmE2ELNS0_18block_padding_hintE2ELNS0_4arch9wavefront6targetE1EE19radix_bits_per_passE@rel32@lo+4
	s_addc_u32 s5, s5, _ZN7rocprim17ROCPRIM_400000_NS16block_radix_sortIfLj256ELj2ElLj1ELj1ELj8ELNS0_26block_radix_rank_algorithmE2ELNS0_18block_padding_hintE2ELNS0_4arch9wavefront6targetE1EE19radix_bits_per_passE@rel32@hi+12
	v_addc_co_u32_e32 v9, vcc, 0, v13, vcc
	v_and_b32_e32 v14, 15, v32
	v_cmp_eq_u32_e64 s[14:15], v15, v26
	v_add_u32_e32 v15, -1, v32
	v_and_b32_e32 v16, 64, v32
	s_load_dword s42, s[4:5], 0x0
	v_cmp_eq_u32_e32 vcc, 0, v14
	v_cmp_lt_u32_e64 s[4:5], 1, v14
	v_cmp_lt_u32_e64 s[6:7], 3, v14
	v_cmp_lt_u32_e64 s[8:9], 7, v14
	v_and_b32_e32 v14, 16, v32
	v_cmp_lt_i32_e64 s[20:21], v15, v16
	v_cmp_eq_u32_e64 s[10:11], 0, v14
	v_lshrrev_b32_e32 v14, 6, v26
	v_cndmask_b32_e64 v15, v15, v32, s[20:21]
	v_lshlrev_b32_e32 v68, 2, v15
	v_lshlrev_b32_e32 v15, 2, v14
	v_add_co_u32_e64 v30, s[24:25], v12, v15
	v_lshlrev_b32_e32 v4, 2, v26
	v_addc_co_u32_e64 v31, s[24:25], 0, v13, s[24:25]
	v_add_co_u32_e64 v28, s[24:25], v12, v4
	v_addc_co_u32_e64 v29, s[24:25], 0, v13, s[24:25]
	v_and_b32_e32 v4, 3, v32
	v_mov_b32_e32 v5, 0
	v_cmp_eq_u32_e64 s[24:25], 0, v4
	v_cmp_lt_u32_e64 s[26:27], 1, v4
	v_add_u32_e32 v4, -1, v14
	v_lshlrev_b64 v[14:15], 2, v[4:5]
	v_cmp_lt_u32_e64 s[12:13], 31, v32
	v_cmp_eq_u32_e64 s[20:21], 0, v32
	v_add_co_u32_e64 v32, s[28:29], v12, v14
	v_addc_co_u32_e64 v33, s[28:29], v13, v15, s[28:29]
	v_lshlrev_b32_e32 v4, 1, v26
	s_movk_i32 s28, 0x780
	v_and_or_b32 v4, v4, s28, v34
	v_lshlrev_b32_e32 v4, 2, v4
	v_add_co_u32_e64 v34, s[28:29], v12, v4
	v_addc_co_u32_e64 v35, s[28:29], 0, v13, s[28:29]
	v_add_co_u32_e64 v38, s[28:29], v34, v4
	v_lshrrev_b32_e32 v67, 6, v22
	v_cmp_gt_u32_e64 s[16:17], 4, v26
	v_cmp_lt_u32_e64 s[18:19], 63, v26
	v_cmp_eq_u32_e64 s[22:23], 0, v26
	v_addc_co_u32_e64 v39, s[28:29], 0, v35, s[28:29]
	v_sub_u32_e32 v69, v11, v10
	s_mov_b64 s[36:37], 0
	s_brev_b32 s43, 1
	v_mov_b32_e32 v14, v5
	v_mov_b32_e32 v15, v5
	;; [unrolled: 1-line block ×4, first 2 shown]
	s_waitcnt lgkmcnt(0)
	s_barrier
	s_branch .LBB1325_152
.LBB1325_151:                           ;   in Loop: Header=BB1325_152 Depth=1
	s_or_b64 exec, exec, s[30:31]
	s_and_b64 s[28:29], exec, s[40:41]
	s_or_b64 s[36:37], s[28:29], s[36:37]
	s_andn2_b64 exec, exec, s[36:37]
	s_cbranch_execz .LBB1325_170
.LBB1325_152:                           ; =>This Inner Loop Header: Depth=1
	s_waitcnt vmcnt(0)
	v_mov_b32_e32 v71, v80
	v_min_u32_e32 v4, s42, v69
	v_lshlrev_b32_e64 v4, v4, -1
	v_cmp_ne_u32_e64 s[28:29], s43, v71
	v_pk_mov_b32 v[36:37], v[20:21], v[20:21] op_sel:[0,1]
	v_not_b32_e32 v20, v4
	v_cndmask_b32_e64 v4, v23, v71, s[28:29]
	v_lshrrev_b32_e32 v4, v10, v4
	v_and_b32_e32 v21, v4, v20
	v_lshl_add_u32 v4, v21, 2, v67
	v_pk_mov_b32 v[48:49], v[18:19], v[18:19] op_sel:[0,1]
	v_lshlrev_b64 v[18:19], 2, v[4:5]
	v_add_co_u32_e64 v50, s[28:29], v27, v18
	v_addc_co_u32_e64 v51, s[28:29], v66, v19, s[28:29]
	v_and_b32_e32 v4, 1, v21
	v_add_co_u32_e64 v18, s[28:29], -1, v4
	v_addc_co_u32_e64 v19, s[28:29], 0, -1, s[28:29]
	v_cmp_ne_u32_e64 s[28:29], 0, v4
	v_xor_b32_e32 v18, s28, v18
	v_xor_b32_e32 v4, s29, v19
	v_and_b32_e32 v52, exec_lo, v18
	v_lshlrev_b32_e32 v19, 30, v21
	v_mov_b32_e32 v18, v5
	v_cmp_gt_i64_e64 s[28:29], 0, v[18:19]
	v_not_b32_e32 v18, v19
	v_ashrrev_i32_e32 v18, 31, v18
	v_and_b32_e32 v4, exec_hi, v4
	v_xor_b32_e32 v19, s29, v18
	v_xor_b32_e32 v18, s28, v18
	v_and_b32_e32 v4, v4, v19
	v_and_b32_e32 v52, v52, v18
	v_lshlrev_b32_e32 v19, 29, v21
	v_mov_b32_e32 v18, v5
	v_cmp_gt_i64_e64 s[28:29], 0, v[18:19]
	v_not_b32_e32 v18, v19
	v_ashrrev_i32_e32 v18, 31, v18
	v_xor_b32_e32 v19, s29, v18
	v_xor_b32_e32 v18, s28, v18
	v_and_b32_e32 v4, v4, v19
	v_and_b32_e32 v52, v52, v18
	v_lshlrev_b32_e32 v19, 28, v21
	v_mov_b32_e32 v18, v5
	v_cmp_gt_i64_e64 s[28:29], 0, v[18:19]
	v_not_b32_e32 v18, v19
	v_ashrrev_i32_e32 v18, 31, v18
	;; [unrolled: 9-line block ×6, first 2 shown]
	v_xor_b32_e32 v19, s29, v18
	v_xor_b32_e32 v18, s28, v18
	v_and_b32_e32 v18, v52, v18
	v_and_b32_e32 v19, v4, v19
	v_mbcnt_lo_u32_b32 v4, v18, 0
	v_mbcnt_hi_u32_b32 v54, v19, v4
	v_cmp_eq_u32_e64 s[28:29], 0, v54
	v_cmp_ne_u64_e64 s[30:31], 0, v[18:19]
	v_mov_b32_e32 v70, v81
	s_and_b64 s[30:31], s[30:31], s[28:29]
	flat_store_dwordx4 v[8:9], v[14:17] offset:16
	s_waitcnt lgkmcnt(0)
	s_barrier
	s_waitcnt lgkmcnt(0)
	; wave barrier
	s_and_saveexec_b64 s[28:29], s[30:31]
	s_cbranch_execz .LBB1325_154
; %bb.153:                              ;   in Loop: Header=BB1325_152 Depth=1
	v_bcnt_u32_b32 v4, v18, 0
	v_bcnt_u32_b32 v4, v19, v4
	flat_store_dword v[50:51], v4
.LBB1325_154:                           ;   in Loop: Header=BB1325_152 Depth=1
	s_or_b64 exec, exec, s[28:29]
	v_cmp_ne_u32_e64 s[28:29], s43, v70
	v_cndmask_b32_e64 v4, v23, v70, s[28:29]
	v_lshrrev_b32_e32 v4, v10, v4
	v_and_b32_e32 v20, v4, v20
	v_lshl_add_u32 v4, v20, 2, v67
	v_lshlrev_b64 v[18:19], 2, v[4:5]
	v_add_co_u32_e64 v52, s[28:29], v27, v18
	v_addc_co_u32_e64 v53, s[28:29], v66, v19, s[28:29]
	; wave barrier
	flat_load_dword v55, v[52:53]
	v_and_b32_e32 v4, 1, v20
	v_add_co_u32_e64 v18, s[28:29], -1, v4
	v_addc_co_u32_e64 v19, s[28:29], 0, -1, s[28:29]
	v_cmp_ne_u32_e64 s[28:29], 0, v4
	v_xor_b32_e32 v18, s28, v18
	v_xor_b32_e32 v4, s29, v19
	v_and_b32_e32 v21, exec_lo, v18
	v_lshlrev_b32_e32 v19, 30, v20
	v_mov_b32_e32 v18, v5
	v_cmp_gt_i64_e64 s[28:29], 0, v[18:19]
	v_not_b32_e32 v18, v19
	v_ashrrev_i32_e32 v18, 31, v18
	v_and_b32_e32 v4, exec_hi, v4
	v_xor_b32_e32 v19, s29, v18
	v_xor_b32_e32 v18, s28, v18
	v_and_b32_e32 v4, v4, v19
	v_and_b32_e32 v21, v21, v18
	v_lshlrev_b32_e32 v19, 29, v20
	v_mov_b32_e32 v18, v5
	v_cmp_gt_i64_e64 s[28:29], 0, v[18:19]
	v_not_b32_e32 v18, v19
	v_ashrrev_i32_e32 v18, 31, v18
	v_xor_b32_e32 v19, s29, v18
	v_xor_b32_e32 v18, s28, v18
	v_and_b32_e32 v4, v4, v19
	v_and_b32_e32 v21, v21, v18
	v_lshlrev_b32_e32 v19, 28, v20
	v_mov_b32_e32 v18, v5
	v_cmp_gt_i64_e64 s[28:29], 0, v[18:19]
	v_not_b32_e32 v18, v19
	v_ashrrev_i32_e32 v18, 31, v18
	;; [unrolled: 9-line block ×6, first 2 shown]
	v_xor_b32_e32 v19, s29, v18
	v_xor_b32_e32 v18, s28, v18
	v_and_b32_e32 v18, v21, v18
	v_and_b32_e32 v19, v4, v19
	v_mbcnt_lo_u32_b32 v4, v18, 0
	v_mbcnt_hi_u32_b32 v64, v19, v4
	v_cmp_eq_u32_e64 s[28:29], 0, v64
	v_cmp_ne_u64_e64 s[30:31], 0, v[18:19]
	s_and_b64 s[30:31], s[30:31], s[28:29]
	; wave barrier
	s_and_saveexec_b64 s[28:29], s[30:31]
	s_cbranch_execz .LBB1325_156
; %bb.155:                              ;   in Loop: Header=BB1325_152 Depth=1
	v_bcnt_u32_b32 v4, v18, 0
	v_bcnt_u32_b32 v4, v19, v4
	s_waitcnt vmcnt(0) lgkmcnt(0)
	v_add_u32_e32 v4, v55, v4
	flat_store_dword v[52:53], v4
.LBB1325_156:                           ;   in Loop: Header=BB1325_152 Depth=1
	s_or_b64 exec, exec, s[28:29]
	; wave barrier
	s_waitcnt lgkmcnt(0)
	s_barrier
	flat_load_dwordx4 v[18:21], v[8:9] offset:16
	s_waitcnt vmcnt(0) lgkmcnt(0)
	v_add_u32_e32 v4, v19, v18
	v_add3_u32 v4, v4, v20, v21
	s_nop 1
	v_mov_b32_dpp v21, v4 row_shr:1 row_mask:0xf bank_mask:0xf
	v_cndmask_b32_e64 v21, v21, 0, vcc
	v_add_u32_e32 v4, v21, v4
	s_nop 1
	v_mov_b32_dpp v21, v4 row_shr:2 row_mask:0xf bank_mask:0xf
	v_cndmask_b32_e64 v21, 0, v21, s[4:5]
	v_add_u32_e32 v4, v4, v21
	s_nop 1
	v_mov_b32_dpp v21, v4 row_shr:4 row_mask:0xf bank_mask:0xf
	v_cndmask_b32_e64 v21, 0, v21, s[6:7]
	;; [unrolled: 4-line block ×3, first 2 shown]
	v_add_u32_e32 v4, v4, v21
	s_nop 1
	v_mov_b32_dpp v21, v4 row_bcast:15 row_mask:0xf bank_mask:0xf
	v_cndmask_b32_e64 v21, v21, 0, s[10:11]
	v_add_u32_e32 v4, v4, v21
	s_nop 1
	v_mov_b32_dpp v21, v4 row_bcast:31 row_mask:0xf bank_mask:0xf
	v_cndmask_b32_e64 v21, 0, v21, s[12:13]
	v_add_u32_e32 v4, v4, v21
	s_and_saveexec_b64 s[28:29], s[14:15]
	s_cbranch_execz .LBB1325_158
; %bb.157:                              ;   in Loop: Header=BB1325_152 Depth=1
	flat_store_dword v[30:31], v4
.LBB1325_158:                           ;   in Loop: Header=BB1325_152 Depth=1
	s_or_b64 exec, exec, s[28:29]
	s_waitcnt lgkmcnt(0)
	s_barrier
	s_and_saveexec_b64 s[28:29], s[16:17]
	s_cbranch_execz .LBB1325_160
; %bb.159:                              ;   in Loop: Header=BB1325_152 Depth=1
	flat_load_dword v21, v[28:29]
	s_waitcnt vmcnt(0) lgkmcnt(0)
	s_nop 0
	v_mov_b32_dpp v65, v21 row_shr:1 row_mask:0xf bank_mask:0xf
	v_cndmask_b32_e64 v65, v65, 0, s[24:25]
	v_add_u32_e32 v21, v65, v21
	s_nop 1
	v_mov_b32_dpp v65, v21 row_shr:2 row_mask:0xf bank_mask:0xf
	v_cndmask_b32_e64 v65, 0, v65, s[26:27]
	v_add_u32_e32 v21, v21, v65
	flat_store_dword v[28:29], v21
.LBB1325_160:                           ;   in Loop: Header=BB1325_152 Depth=1
	s_or_b64 exec, exec, s[28:29]
	v_mov_b32_e32 v21, 0
	s_waitcnt lgkmcnt(0)
	s_barrier
	s_and_saveexec_b64 s[28:29], s[18:19]
	s_cbranch_execz .LBB1325_162
; %bb.161:                              ;   in Loop: Header=BB1325_152 Depth=1
	flat_load_dword v21, v[32:33]
.LBB1325_162:                           ;   in Loop: Header=BB1325_152 Depth=1
	s_or_b64 exec, exec, s[28:29]
	s_waitcnt vmcnt(0) lgkmcnt(0)
	v_add_u32_e32 v4, v21, v4
	ds_bpermute_b32 v4, v68, v4
	v_add_u32_e32 v10, 8, v10
	v_cmp_lt_u32_e64 s[28:29], v10, v11
	s_mov_b64 s[40:41], -1
	s_waitcnt lgkmcnt(0)
	v_cndmask_b32_e64 v4, v4, v21, s[20:21]
	v_cndmask_b32_e64 v80, v4, 0, s[22:23]
	v_add_u32_e32 v81, v80, v18
	v_add_u32_e32 v82, v81, v19
	v_add_u32_e32 v83, v82, v20
	flat_store_dwordx4 v[8:9], v[80:83] offset:16
	s_waitcnt lgkmcnt(0)
	s_barrier
	flat_load_dword v4, v[50:51]
	flat_load_dword v18, v[52:53]
	v_mov_b32_e32 v19, v5
	s_waitcnt lgkmcnt(0)
                                        ; implicit-def: $vgpr81
                                        ; implicit-def: $vgpr80
                                        ; implicit-def: $vgpr20_vgpr21
	s_waitcnt vmcnt(0) lgkmcnt(0)
	v_add_u32_e32 v4, v4, v54
	v_add3_u32 v18, v64, v55, v18
	v_lshlrev_b64 v[54:55], 2, v[4:5]
	v_add_co_u32_e64 v64, s[30:31], v12, v54
	v_lshlrev_b64 v[50:51], 2, v[18:19]
	v_addc_co_u32_e64 v65, s[30:31], v13, v55, s[30:31]
	v_add_co_u32_e64 v52, s[30:31], v12, v50
	v_addc_co_u32_e64 v53, s[30:31], v13, v51, s[30:31]
                                        ; implicit-def: $vgpr18_vgpr19
	s_and_saveexec_b64 s[30:31], s[28:29]
	s_cbranch_execz .LBB1325_151
; %bb.163:                              ;   in Loop: Header=BB1325_152 Depth=1
	v_add_co_u32_e64 v18, s[28:29], v64, v54
	v_addc_co_u32_e64 v19, s[28:29], v65, v55, s[28:29]
	s_barrier
	flat_store_dword v[64:65], v71
	flat_store_dword v[52:53], v70
	s_waitcnt lgkmcnt(0)
	s_barrier
	flat_load_dword v80, v[34:35]
	flat_load_dword v81, v[34:35] offset:256
	s_waitcnt lgkmcnt(0)
	s_barrier
	flat_store_dwordx2 v[18:19], v[48:49]
	v_add_co_u32_e64 v18, s[28:29], v52, v50
	v_addc_co_u32_e64 v19, s[28:29], v53, v51, s[28:29]
	flat_store_dwordx2 v[18:19], v[36:37]
	s_waitcnt lgkmcnt(0)
	s_barrier
	flat_load_dwordx2 v[18:19], v[38:39]
	flat_load_dwordx2 v[20:21], v[38:39] offset:512
	v_add_u32_e32 v69, -8, v69
	s_xor_b64 s[40:41], exec, -1
	s_waitcnt lgkmcnt(0)
	s_barrier
	s_branch .LBB1325_151
.LBB1325_164:
	flat_load_dwordx2 v[18:19], v[4:5]
	s_or_b64 exec, exec, s[14:15]
                                        ; implicit-def: $vgpr20_vgpr21
	s_and_saveexec_b64 s[14:15], s[4:5]
	s_cbranch_execz .LBB1325_91
.LBB1325_165:
	flat_load_dwordx2 v[20:21], v[4:5] offset:512
	s_or_b64 exec, exec, s[14:15]
                                        ; implicit-def: $vgpr54_vgpr55
	s_and_saveexec_b64 s[4:5], s[6:7]
	s_cbranch_execz .LBB1325_92
.LBB1325_166:
	flat_load_dwordx2 v[54:55], v[4:5] offset:1024
	s_or_b64 exec, exec, s[4:5]
                                        ; implicit-def: $vgpr64_vgpr65
	s_and_saveexec_b64 s[4:5], s[10:11]
	s_cbranch_execnz .LBB1325_93
	s_branch .LBB1325_94
.LBB1325_167:
	flat_store_dwordx2 v[0:1], v[14:15]
	s_or_b64 exec, exec, s[14:15]
	s_and_saveexec_b64 s[14:15], s[4:5]
	s_cbranch_execz .LBB1325_136
.LBB1325_168:
	flat_store_dwordx2 v[0:1], v[12:13] offset:2048
	s_or_b64 exec, exec, s[14:15]
	s_and_saveexec_b64 s[4:5], s[6:7]
	s_cbranch_execz .LBB1325_137
.LBB1325_169:
	v_add_co_u32_e32 v2, vcc, 0x1000, v0
	v_addc_co_u32_e32 v3, vcc, 0, v1, vcc
	flat_store_dwordx2 v[2:3], v[10:11]
	s_or_b64 exec, exec, s[4:5]
	s_and_saveexec_b64 s[4:5], s[10:11]
	s_cbranch_execnz .LBB1325_138
	s_branch .LBB1325_139
.LBB1325_170:
	s_or_b64 exec, exec, s[36:37]
	v_add_co_u32_e32 v4, vcc, v64, v54
	v_addc_co_u32_e32 v5, vcc, v65, v55, vcc
	s_barrier
	flat_store_dword v[64:65], v71
	flat_store_dword v[52:53], v70
	s_waitcnt lgkmcnt(0)
	s_barrier
	flat_load_dword v11, v[28:29]
	flat_load_dword v10, v[28:29] offset:1024
	s_waitcnt lgkmcnt(0)
	s_barrier
	flat_store_dwordx2 v[4:5], v[48:49]
	v_add_co_u32_e32 v4, vcc, v52, v50
	v_addc_co_u32_e32 v5, vcc, v53, v51, vcc
	flat_store_dwordx2 v[4:5], v[36:37]
	v_lshlrev_b32_e32 v4, 3, v26
	v_add_co_u32_e32 v12, vcc, v12, v4
	v_addc_co_u32_e32 v13, vcc, 0, v13, vcc
	s_waitcnt lgkmcnt(0)
	s_barrier
	flat_load_dwordx2 v[8:9], v[12:13]
	flat_load_dwordx2 v[4:5], v[12:13] offset:2048
	v_mov_b32_e32 v23, 0
	v_add_co_u32_e32 v12, vcc, v2, v24
	v_addc_co_u32_e32 v13, vcc, v3, v25, vcc
	v_lshlrev_b64 v[2:3], 2, v[22:23]
	v_add_co_u32_e32 v2, vcc, v12, v2
	v_addc_co_u32_e32 v3, vcc, v13, v3, vcc
	v_cmp_lt_u32_e32 vcc, v22, v150
	s_waitcnt lgkmcnt(0)
	s_barrier
	s_and_saveexec_b64 s[6:7], vcc
	s_cbranch_execz .LBB1325_172
; %bb.171:
	v_bfrev_b32_e32 v12, -2
	s_waitcnt vmcnt(0)
	v_cmp_gt_i32_e64 s[4:5], 0, v11
	v_cndmask_b32_e64 v12, v12, 0, s[4:5]
	v_xor_b32_e32 v11, v12, v11
	flat_store_dword v[2:3], v11
.LBB1325_172:
	s_or_b64 exec, exec, s[6:7]
	s_waitcnt vmcnt(0)
	v_add_u32_e32 v11, 0x100, v22
	v_cmp_lt_u32_e64 s[4:5], v11, v150
	s_and_saveexec_b64 s[8:9], s[4:5]
	s_cbranch_execz .LBB1325_174
; %bb.173:
	v_bfrev_b32_e32 v11, -2
	v_cmp_gt_i32_e64 s[6:7], 0, v10
	v_cndmask_b32_e64 v11, v11, 0, s[6:7]
	v_xor_b32_e32 v10, v11, v10
	flat_store_dword v[2:3], v10 offset:1024
.LBB1325_174:
	s_or_b64 exec, exec, s[8:9]
	v_add_co_u32_e64 v2, s[6:7], v6, v0
	v_addc_co_u32_e64 v3, s[6:7], v7, v1, s[6:7]
	v_lshlrev_b64 v[0:1], 3, v[22:23]
	v_add_co_u32_e64 v0, s[6:7], v2, v0
	v_addc_co_u32_e64 v1, s[6:7], v3, v1, s[6:7]
	s_and_saveexec_b64 s[6:7], vcc
	s_cbranch_execz .LBB1325_176
; %bb.175:
	flat_store_dwordx2 v[0:1], v[8:9]
.LBB1325_176:
	s_or_b64 exec, exec, s[6:7]
	s_and_saveexec_b64 s[6:7], s[4:5]
	s_cbranch_execz .LBB1325_178
; %bb.177:
	flat_store_dwordx2 v[0:1], v[4:5] offset:2048
.LBB1325_178:
	s_or_b64 exec, exec, s[6:7]
                                        ; implicit-def: $vgpr26
                                        ; implicit-def: $vgpr22_vgpr23
                                        ; implicit-def: $vgpr8_vgpr9
                                        ; implicit-def: $vgpr24_vgpr25
                                        ; implicit-def: $vgpr150
                                        ; implicit-def: $vgpr0
                                        ; implicit-def: $vgpr1
                                        ; implicit-def: $vgpr2
                                        ; implicit-def: $vgpr3
                                        ; implicit-def: $vgpr4
                                        ; implicit-def: $vgpr5
                                        ; implicit-def: $vgpr6
                                        ; implicit-def: $vgpr7
                                        ; implicit-def: $vgpr10
                                        ; implicit-def: $vgpr11
                                        ; implicit-def: $vgpr12
                                        ; implicit-def: $vgpr13
                                        ; implicit-def: $vgpr15
.LBB1325_179:
	s_andn2_saveexec_b64 s[4:5], s[34:35]
	s_cbranch_execz .LBB1325_199
; %bb.180:
	v_mbcnt_hi_u32_b32 v17, -1, v15
	v_bfi_b32 v15, 63, v17, v22
	v_and_b32_e32 v16, 63, v17
	v_and_b32_e32 v14, 0xffffffc0, v22
	v_cmp_lt_u32_e32 vcc, v15, v150
	v_mov_b32_e32 v20, -1
	s_and_saveexec_b64 s[6:7], vcc
	s_cbranch_execz .LBB1325_182
; %bb.181:
	v_add_co_u32_e64 v0, s[4:5], v0, v24
	v_addc_co_u32_e64 v1, s[4:5], v1, v25, s[4:5]
	v_lshlrev_b32_e32 v18, 2, v16
	v_mov_b32_e32 v15, 0
	v_add_co_u32_e64 v18, s[4:5], v0, v18
	v_addc_co_u32_e64 v19, s[4:5], 0, v1, s[4:5]
	v_lshlrev_b64 v[0:1], 2, v[14:15]
	v_add_co_u32_e64 v0, s[4:5], v18, v0
	v_addc_co_u32_e64 v1, s[4:5], v19, v1, s[4:5]
	flat_load_dword v20, v[0:1]
.LBB1325_182:
	s_or_b64 exec, exec, s[6:7]
	v_lshlrev_b64 v[0:1], 3, v[8:9]
                                        ; implicit-def: $vgpr18_vgpr19
	s_and_saveexec_b64 s[4:5], vcc
	s_cbranch_execz .LBB1325_184
; %bb.183:
	v_add_co_u32_e32 v4, vcc, v4, v0
	v_addc_co_u32_e32 v5, vcc, v5, v1, vcc
	v_lshlrev_b32_e32 v8, 3, v16
	v_mov_b32_e32 v15, 0
	v_add_co_u32_e32 v8, vcc, v4, v8
	v_addc_co_u32_e32 v9, vcc, 0, v5, vcc
	v_lshlrev_b64 v[4:5], 3, v[14:15]
	v_add_co_u32_e32 v4, vcc, v8, v4
	v_addc_co_u32_e32 v5, vcc, v9, v5, vcc
	flat_load_dwordx2 v[18:19], v[4:5]
.LBB1325_184:
	s_or_b64 exec, exec, s[4:5]
	v_bfrev_b32_e32 v23, -2
	s_waitcnt vmcnt(0) lgkmcnt(0)
	v_cmp_gt_i32_e32 vcc, 0, v20
	v_cndmask_b32_e64 v4, v23, 0, vcc
	v_xor_b32_e32 v55, v4, v20
	v_add_co_u32_e32 v27, vcc, 16, v12
	v_and_b32_e32 v20, 0x3c0, v26
	v_addc_co_u32_e32 v50, vcc, 0, v13, vcc
	v_lshlrev_b32_e32 v8, 4, v26
	v_min_u32_e32 v15, 0xc0, v20
	v_add_co_u32_e32 v8, vcc, v12, v8
	v_or_b32_e32 v15, 63, v15
	s_getpc_b64 s[4:5]
	s_add_u32 s4, s4, _ZN7rocprim17ROCPRIM_400000_NS16block_radix_sortIfLj256ELj1ElLj1ELj1ELj8ELNS0_26block_radix_rank_algorithmE2ELNS0_18block_padding_hintE2ELNS0_4arch9wavefront6targetE1EE19radix_bits_per_passE@rel32@lo+4
	s_addc_u32 s5, s5, _ZN7rocprim17ROCPRIM_400000_NS16block_radix_sortIfLj256ELj1ElLj1ELj1ELj8ELNS0_26block_radix_rank_algorithmE2ELNS0_18block_padding_hintE2ELNS0_4arch9wavefront6targetE1EE19radix_bits_per_passE@rel32@hi+12
	v_addc_co_u32_e32 v9, vcc, 0, v13, vcc
	v_and_b32_e32 v14, 15, v17
	v_cmp_eq_u32_e64 s[14:15], v15, v26
	v_add_u32_e32 v15, -1, v17
	v_and_b32_e32 v21, 64, v17
	s_load_dword s40, s[4:5], 0x0
	v_cmp_eq_u32_e32 vcc, 0, v14
	v_cmp_lt_u32_e64 s[4:5], 1, v14
	v_cmp_lt_u32_e64 s[6:7], 3, v14
	;; [unrolled: 1-line block ×3, first 2 shown]
	v_and_b32_e32 v14, 16, v17
	v_cmp_lt_i32_e64 s[20:21], v15, v21
	v_cmp_eq_u32_e64 s[10:11], 0, v14
	v_lshrrev_b32_e32 v14, 6, v26
	v_cndmask_b32_e64 v15, v15, v17, s[20:21]
	v_lshlrev_b32_e32 v52, 2, v15
	v_lshlrev_b32_e32 v15, 2, v14
	v_add_co_u32_e64 v30, s[24:25], v12, v15
	v_lshlrev_b32_e32 v4, 2, v26
	v_addc_co_u32_e64 v31, s[24:25], 0, v13, s[24:25]
	v_add_co_u32_e64 v28, s[24:25], v12, v4
	v_addc_co_u32_e64 v29, s[24:25], 0, v13, s[24:25]
	v_and_b32_e32 v4, 3, v17
	v_mov_b32_e32 v5, 0
	v_cmp_eq_u32_e64 s[24:25], 0, v4
	v_cmp_lt_u32_e64 s[26:27], 1, v4
	v_add_u32_e32 v4, -1, v14
	v_lshlrev_b64 v[14:15], 2, v[4:5]
	v_add_co_u32_e64 v32, s[28:29], v12, v14
	v_or_b32_e32 v4, v16, v20
	v_addc_co_u32_e64 v33, s[28:29], v13, v15, s[28:29]
	v_lshlrev_b32_e32 v4, 2, v4
	v_add_co_u32_e64 v34, s[28:29], v12, v4
	v_addc_co_u32_e64 v35, s[28:29], 0, v13, s[28:29]
	v_add_co_u32_e64 v36, s[28:29], v34, v4
	v_lshrrev_b32_e32 v51, 6, v22
	v_cmp_lt_u32_e64 s[12:13], 31, v17
	v_cmp_gt_u32_e64 s[16:17], 4, v26
	v_cmp_lt_u32_e64 s[18:19], 63, v26
	v_cmp_eq_u32_e64 s[20:21], 0, v17
	v_cmp_eq_u32_e64 s[22:23], 0, v26
	v_addc_co_u32_e64 v37, s[28:29], 0, v35, s[28:29]
	v_sub_u32_e32 v53, v11, v10
	s_mov_b64 s[34:35], 0
	v_mov_b32_e32 v14, v5
	v_mov_b32_e32 v15, v5
	;; [unrolled: 1-line block ×4, first 2 shown]
	s_brev_b32 s41, 1
	s_waitcnt lgkmcnt(0)
	s_barrier
	s_branch .LBB1325_186
.LBB1325_185:                           ;   in Loop: Header=BB1325_186 Depth=1
	s_or_b64 exec, exec, s[30:31]
	s_and_b64 s[28:29], exec, s[36:37]
	s_or_b64 s[34:35], s[28:29], s[34:35]
	s_andn2_b64 exec, exec, s[34:35]
	s_cbranch_execz .LBB1325_196
.LBB1325_186:                           ; =>This Inner Loop Header: Depth=1
	s_waitcnt vmcnt(0)
	v_mov_b32_e32 v54, v55
	v_cmp_ne_u32_e64 s[28:29], s41, v54
	v_pk_mov_b32 v[38:39], v[18:19], v[18:19] op_sel:[0,1]
	v_cndmask_b32_e64 v18, v23, v54, s[28:29]
	v_min_u32_e32 v4, s40, v53
	v_lshrrev_b32_e32 v18, v10, v18
	v_bfe_u32 v20, v18, 0, v4
	v_lshl_add_u32 v4, v20, 2, v51
	v_lshlrev_b64 v[18:19], 2, v[4:5]
	v_add_co_u32_e64 v48, s[28:29], v27, v18
	v_addc_co_u32_e64 v49, s[28:29], v50, v19, s[28:29]
	v_and_b32_e32 v4, 1, v20
	v_add_co_u32_e64 v18, s[28:29], -1, v4
	v_addc_co_u32_e64 v19, s[28:29], 0, -1, s[28:29]
	v_cmp_ne_u32_e64 s[28:29], 0, v4
	v_xor_b32_e32 v18, s28, v18
	v_xor_b32_e32 v4, s29, v19
	v_and_b32_e32 v21, exec_lo, v18
	v_lshlrev_b32_e32 v19, 30, v20
	v_mov_b32_e32 v18, v5
	v_cmp_gt_i64_e64 s[28:29], 0, v[18:19]
	v_not_b32_e32 v18, v19
	v_ashrrev_i32_e32 v18, 31, v18
	v_and_b32_e32 v4, exec_hi, v4
	v_xor_b32_e32 v19, s29, v18
	v_xor_b32_e32 v18, s28, v18
	v_and_b32_e32 v4, v4, v19
	v_and_b32_e32 v21, v21, v18
	v_lshlrev_b32_e32 v19, 29, v20
	v_mov_b32_e32 v18, v5
	v_cmp_gt_i64_e64 s[28:29], 0, v[18:19]
	v_not_b32_e32 v18, v19
	v_ashrrev_i32_e32 v18, 31, v18
	v_xor_b32_e32 v19, s29, v18
	v_xor_b32_e32 v18, s28, v18
	v_and_b32_e32 v4, v4, v19
	v_and_b32_e32 v21, v21, v18
	v_lshlrev_b32_e32 v19, 28, v20
	v_mov_b32_e32 v18, v5
	v_cmp_gt_i64_e64 s[28:29], 0, v[18:19]
	v_not_b32_e32 v18, v19
	v_ashrrev_i32_e32 v18, 31, v18
	;; [unrolled: 9-line block ×6, first 2 shown]
	v_xor_b32_e32 v19, s29, v18
	v_xor_b32_e32 v18, s28, v18
	v_and_b32_e32 v18, v21, v18
	v_and_b32_e32 v19, v4, v19
	v_mbcnt_lo_u32_b32 v4, v18, 0
	v_mbcnt_hi_u32_b32 v4, v19, v4
	v_cmp_eq_u32_e64 s[28:29], 0, v4
	v_cmp_ne_u64_e64 s[30:31], 0, v[18:19]
	s_and_b64 s[30:31], s[30:31], s[28:29]
	flat_store_dwordx4 v[8:9], v[14:17] offset:16
	s_waitcnt lgkmcnt(0)
	s_barrier
	s_waitcnt lgkmcnt(0)
	; wave barrier
	s_and_saveexec_b64 s[28:29], s[30:31]
	s_cbranch_execz .LBB1325_188
; %bb.187:                              ;   in Loop: Header=BB1325_186 Depth=1
	v_bcnt_u32_b32 v18, v18, 0
	v_bcnt_u32_b32 v18, v19, v18
	flat_store_dword v[48:49], v18
.LBB1325_188:                           ;   in Loop: Header=BB1325_186 Depth=1
	s_or_b64 exec, exec, s[28:29]
	; wave barrier
	s_waitcnt lgkmcnt(0)
	s_barrier
	flat_load_dwordx4 v[18:21], v[8:9] offset:16
	s_waitcnt vmcnt(0) lgkmcnt(0)
	v_add_u32_e32 v55, v19, v18
	v_add3_u32 v21, v55, v20, v21
	s_nop 1
	v_mov_b32_dpp v55, v21 row_shr:1 row_mask:0xf bank_mask:0xf
	v_cndmask_b32_e64 v55, v55, 0, vcc
	v_add_u32_e32 v21, v55, v21
	s_nop 1
	v_mov_b32_dpp v55, v21 row_shr:2 row_mask:0xf bank_mask:0xf
	v_cndmask_b32_e64 v55, 0, v55, s[4:5]
	v_add_u32_e32 v21, v21, v55
	s_nop 1
	v_mov_b32_dpp v55, v21 row_shr:4 row_mask:0xf bank_mask:0xf
	v_cndmask_b32_e64 v55, 0, v55, s[6:7]
	;; [unrolled: 4-line block ×3, first 2 shown]
	v_add_u32_e32 v21, v21, v55
	s_nop 1
	v_mov_b32_dpp v55, v21 row_bcast:15 row_mask:0xf bank_mask:0xf
	v_cndmask_b32_e64 v55, v55, 0, s[10:11]
	v_add_u32_e32 v21, v21, v55
	s_nop 1
	v_mov_b32_dpp v55, v21 row_bcast:31 row_mask:0xf bank_mask:0xf
	v_cndmask_b32_e64 v55, 0, v55, s[12:13]
	v_add_u32_e32 v21, v21, v55
	s_and_saveexec_b64 s[28:29], s[14:15]
	s_cbranch_execz .LBB1325_190
; %bb.189:                              ;   in Loop: Header=BB1325_186 Depth=1
	flat_store_dword v[30:31], v21
.LBB1325_190:                           ;   in Loop: Header=BB1325_186 Depth=1
	s_or_b64 exec, exec, s[28:29]
	s_waitcnt lgkmcnt(0)
	s_barrier
	s_and_saveexec_b64 s[28:29], s[16:17]
	s_cbranch_execz .LBB1325_192
; %bb.191:                              ;   in Loop: Header=BB1325_186 Depth=1
	flat_load_dword v55, v[28:29]
	s_waitcnt vmcnt(0) lgkmcnt(0)
	s_nop 0
	v_mov_b32_dpp v64, v55 row_shr:1 row_mask:0xf bank_mask:0xf
	v_cndmask_b32_e64 v64, v64, 0, s[24:25]
	v_add_u32_e32 v55, v64, v55
	s_nop 1
	v_mov_b32_dpp v64, v55 row_shr:2 row_mask:0xf bank_mask:0xf
	v_cndmask_b32_e64 v64, 0, v64, s[26:27]
	v_add_u32_e32 v55, v55, v64
	flat_store_dword v[28:29], v55
.LBB1325_192:                           ;   in Loop: Header=BB1325_186 Depth=1
	s_or_b64 exec, exec, s[28:29]
	v_mov_b32_e32 v55, 0
	s_waitcnt lgkmcnt(0)
	s_barrier
	s_and_saveexec_b64 s[28:29], s[18:19]
	s_cbranch_execz .LBB1325_194
; %bb.193:                              ;   in Loop: Header=BB1325_186 Depth=1
	flat_load_dword v55, v[32:33]
.LBB1325_194:                           ;   in Loop: Header=BB1325_186 Depth=1
	s_or_b64 exec, exec, s[28:29]
	s_waitcnt vmcnt(0) lgkmcnt(0)
	v_add_u32_e32 v21, v55, v21
	ds_bpermute_b32 v21, v52, v21
	v_add_u32_e32 v10, 8, v10
	v_cmp_lt_u32_e64 s[28:29], v10, v11
	s_mov_b64 s[36:37], -1
	s_waitcnt lgkmcnt(0)
	v_cndmask_b32_e64 v21, v21, v55, s[20:21]
	v_cndmask_b32_e64 v64, v21, 0, s[22:23]
	v_add_u32_e32 v65, v64, v18
	v_add_u32_e32 v66, v65, v19
	v_add_u32_e32 v67, v66, v20
	flat_store_dwordx4 v[8:9], v[64:67] offset:16
	s_waitcnt lgkmcnt(0)
	s_barrier
	flat_load_dword v18, v[48:49]
	s_waitcnt lgkmcnt(0)
                                        ; implicit-def: $vgpr55
	s_waitcnt vmcnt(0) lgkmcnt(0)
	v_add_u32_e32 v4, v18, v4
	v_lshlrev_b64 v[18:19], 2, v[4:5]
	v_add_co_u32_e64 v48, s[30:31], v12, v18
	v_addc_co_u32_e64 v49, s[30:31], v13, v19, s[30:31]
	v_add_co_u32_e64 v20, s[30:31], v48, v18
	v_addc_co_u32_e64 v21, s[30:31], v49, v19, s[30:31]
                                        ; implicit-def: $vgpr18_vgpr19
	s_and_saveexec_b64 s[30:31], s[28:29]
	s_cbranch_execz .LBB1325_185
; %bb.195:                              ;   in Loop: Header=BB1325_186 Depth=1
	s_barrier
	flat_store_dword v[48:49], v54
	s_waitcnt lgkmcnt(0)
	s_barrier
	flat_load_dword v55, v[34:35]
	s_waitcnt lgkmcnt(0)
	s_barrier
	flat_store_dwordx2 v[20:21], v[38:39]
	s_waitcnt lgkmcnt(0)
	s_barrier
	flat_load_dwordx2 v[18:19], v[36:37]
	v_add_u32_e32 v53, -8, v53
	s_xor_b64 s[36:37], exec, -1
	s_waitcnt lgkmcnt(0)
	s_barrier
	s_branch .LBB1325_185
.LBB1325_196:
	s_or_b64 exec, exec, s[34:35]
	v_lshlrev_b32_e32 v4, 3, v26
	v_add_co_u32_e32 v4, vcc, v12, v4
	v_addc_co_u32_e32 v5, vcc, 0, v13, vcc
	s_barrier
	flat_store_dword v[48:49], v54
	s_waitcnt lgkmcnt(0)
	s_barrier
	flat_load_dword v8, v[28:29]
	s_waitcnt lgkmcnt(0)
	s_barrier
	flat_store_dwordx2 v[20:21], v[38:39]
	s_waitcnt lgkmcnt(0)
	s_barrier
	flat_load_dwordx2 v[4:5], v[4:5]
	v_mov_b32_e32 v23, 0
	v_cmp_lt_u32_e32 vcc, v22, v150
	s_waitcnt lgkmcnt(0)
	s_barrier
	s_and_saveexec_b64 s[4:5], vcc
	s_cbranch_execz .LBB1325_198
; %bb.197:
	v_add_co_u32_e32 v6, vcc, v6, v0
	v_addc_co_u32_e32 v7, vcc, v7, v1, vcc
	v_lshlrev_b64 v[0:1], 3, v[22:23]
	v_add_co_u32_e32 v0, vcc, v6, v0
	v_addc_co_u32_e32 v1, vcc, v7, v1, vcc
	v_bfrev_b32_e32 v6, -2
	s_waitcnt vmcnt(0)
	v_cmp_gt_i32_e32 vcc, 0, v8
	v_cndmask_b32_e64 v6, v6, 0, vcc
	v_add_co_u32_e32 v7, vcc, v2, v24
	v_xor_b32_e32 v6, v6, v8
	v_addc_co_u32_e32 v8, vcc, v3, v25, vcc
	v_lshlrev_b64 v[2:3], 2, v[22:23]
	v_add_co_u32_e32 v2, vcc, v7, v2
	v_addc_co_u32_e32 v3, vcc, v8, v3, vcc
	flat_store_dword v[2:3], v6
	flat_store_dwordx2 v[0:1], v[4:5]
.LBB1325_198:
	s_or_b64 exec, exec, s[4:5]
.LBB1325_199:
	s_or_b64 exec, exec, s[38:39]
	v_readlane_b32 s30, v40, 14
	v_readlane_b32 s31, v40, 15
	v_readlane_b32 s47, v40, 13
	v_readlane_b32 s46, v40, 12
	v_readlane_b32 s45, v40, 11
	v_readlane_b32 s44, v40, 10
	v_readlane_b32 s43, v40, 9
	v_readlane_b32 s42, v40, 8
	v_readlane_b32 s41, v40, 7
	v_readlane_b32 s40, v40, 6
	v_readlane_b32 s39, v40, 5
	v_readlane_b32 s38, v40, 4
	v_readlane_b32 s37, v40, 3
	v_readlane_b32 s36, v40, 2
	v_readlane_b32 s35, v40, 1
	v_readlane_b32 s34, v40, 0
	s_or_saveexec_b64 s[4:5], -1
	buffer_load_dword v40, off, s[0:3], s32 ; 4-byte Folded Reload
	s_mov_b64 exec, s[4:5]
	s_waitcnt vmcnt(0) lgkmcnt(0)
	s_setpc_b64 s[30:31]
.Lfunc_end1325:
	.size	_ZN7rocprim17ROCPRIM_400000_NS6detail40segmented_radix_sort_single_block_helperIflLj256ELj8ELb1EE4sortIPKfPfPKlPlEEbT_T0_T1_T2_jjjjRNS3_12storage_typeE, .Lfunc_end1325-_ZN7rocprim17ROCPRIM_400000_NS6detail40segmented_radix_sort_single_block_helperIflLj256ELj8ELb1EE4sortIPKfPfPKlPlEEbT_T0_T1_T2_jjjjRNS3_12storage_typeE
                                        ; -- End function
	.section	.AMDGPU.csdata,"",@progbits
; Function info:
; codeLenInByte = 17156
; NumSgprs: 52
; NumVgprs: 195
; NumAgprs: 0
; TotalNumVgprs: 195
; ScratchSize: 8
; MemoryBound: 1
	.section	.text._ZN7rocprim17ROCPRIM_400000_NS6detail17trampoline_kernelINS0_14default_configENS1_36segmented_radix_sort_config_selectorIflEEZNS1_25segmented_radix_sort_implIS3_Lb1EPKfPfPKlPlN2at6native12_GLOBAL__N_18offset_tEEE10hipError_tPvRmT1_PNSt15iterator_traitsISK_E10value_typeET2_T3_PNSL_ISQ_E10value_typeET4_jRbjT5_SW_jjP12ihipStream_tbEUlT_E_NS1_11comp_targetILNS1_3genE4ELNS1_11target_archE910ELNS1_3gpuE8ELNS1_3repE0EEENS1_30default_config_static_selectorELNS0_4arch9wavefront6targetE1EEEvSK_,"axG",@progbits,_ZN7rocprim17ROCPRIM_400000_NS6detail17trampoline_kernelINS0_14default_configENS1_36segmented_radix_sort_config_selectorIflEEZNS1_25segmented_radix_sort_implIS3_Lb1EPKfPfPKlPlN2at6native12_GLOBAL__N_18offset_tEEE10hipError_tPvRmT1_PNSt15iterator_traitsISK_E10value_typeET2_T3_PNSL_ISQ_E10value_typeET4_jRbjT5_SW_jjP12ihipStream_tbEUlT_E_NS1_11comp_targetILNS1_3genE4ELNS1_11target_archE910ELNS1_3gpuE8ELNS1_3repE0EEENS1_30default_config_static_selectorELNS0_4arch9wavefront6targetE1EEEvSK_,comdat
	.globl	_ZN7rocprim17ROCPRIM_400000_NS6detail17trampoline_kernelINS0_14default_configENS1_36segmented_radix_sort_config_selectorIflEEZNS1_25segmented_radix_sort_implIS3_Lb1EPKfPfPKlPlN2at6native12_GLOBAL__N_18offset_tEEE10hipError_tPvRmT1_PNSt15iterator_traitsISK_E10value_typeET2_T3_PNSL_ISQ_E10value_typeET4_jRbjT5_SW_jjP12ihipStream_tbEUlT_E_NS1_11comp_targetILNS1_3genE4ELNS1_11target_archE910ELNS1_3gpuE8ELNS1_3repE0EEENS1_30default_config_static_selectorELNS0_4arch9wavefront6targetE1EEEvSK_ ; -- Begin function _ZN7rocprim17ROCPRIM_400000_NS6detail17trampoline_kernelINS0_14default_configENS1_36segmented_radix_sort_config_selectorIflEEZNS1_25segmented_radix_sort_implIS3_Lb1EPKfPfPKlPlN2at6native12_GLOBAL__N_18offset_tEEE10hipError_tPvRmT1_PNSt15iterator_traitsISK_E10value_typeET2_T3_PNSL_ISQ_E10value_typeET4_jRbjT5_SW_jjP12ihipStream_tbEUlT_E_NS1_11comp_targetILNS1_3genE4ELNS1_11target_archE910ELNS1_3gpuE8ELNS1_3repE0EEENS1_30default_config_static_selectorELNS0_4arch9wavefront6targetE1EEEvSK_
	.p2align	8
	.type	_ZN7rocprim17ROCPRIM_400000_NS6detail17trampoline_kernelINS0_14default_configENS1_36segmented_radix_sort_config_selectorIflEEZNS1_25segmented_radix_sort_implIS3_Lb1EPKfPfPKlPlN2at6native12_GLOBAL__N_18offset_tEEE10hipError_tPvRmT1_PNSt15iterator_traitsISK_E10value_typeET2_T3_PNSL_ISQ_E10value_typeET4_jRbjT5_SW_jjP12ihipStream_tbEUlT_E_NS1_11comp_targetILNS1_3genE4ELNS1_11target_archE910ELNS1_3gpuE8ELNS1_3repE0EEENS1_30default_config_static_selectorELNS0_4arch9wavefront6targetE1EEEvSK_,@function
_ZN7rocprim17ROCPRIM_400000_NS6detail17trampoline_kernelINS0_14default_configENS1_36segmented_radix_sort_config_selectorIflEEZNS1_25segmented_radix_sort_implIS3_Lb1EPKfPfPKlPlN2at6native12_GLOBAL__N_18offset_tEEE10hipError_tPvRmT1_PNSt15iterator_traitsISK_E10value_typeET2_T3_PNSL_ISQ_E10value_typeET4_jRbjT5_SW_jjP12ihipStream_tbEUlT_E_NS1_11comp_targetILNS1_3genE4ELNS1_11target_archE910ELNS1_3gpuE8ELNS1_3repE0EEENS1_30default_config_static_selectorELNS0_4arch9wavefront6targetE1EEEvSK_: ; @_ZN7rocprim17ROCPRIM_400000_NS6detail17trampoline_kernelINS0_14default_configENS1_36segmented_radix_sort_config_selectorIflEEZNS1_25segmented_radix_sort_implIS3_Lb1EPKfPfPKlPlN2at6native12_GLOBAL__N_18offset_tEEE10hipError_tPvRmT1_PNSt15iterator_traitsISK_E10value_typeET2_T3_PNSL_ISQ_E10value_typeET4_jRbjT5_SW_jjP12ihipStream_tbEUlT_E_NS1_11comp_targetILNS1_3genE4ELNS1_11target_archE910ELNS1_3gpuE8ELNS1_3repE0EEENS1_30default_config_static_selectorELNS0_4arch9wavefront6targetE1EEEvSK_
; %bb.0:
	s_add_u32 flat_scratch_lo, s6, s10
	s_addc_u32 flat_scratch_hi, s7, 0
	s_mov_b32 s33, s9
	s_mov_b64 s[48:49], s[4:5]
	s_mov_b32 s50, s8
	s_load_dwordx2 s[8:9], s[4:5], 0x38
	s_nop 0
	s_load_dwordx4 s[4:7], s[4:5], 0x40
	s_add_u32 s0, s0, s10
	s_mov_b32 s11, 0
	s_mov_b32 s10, s50
	s_addc_u32 s1, s1, 0
	s_lshl_b64 s[10:11], s[10:11], 2
	s_waitcnt lgkmcnt(0)
	s_add_u32 s8, s8, s10
	s_addc_u32 s9, s9, s11
	s_load_dword s8, s[8:9], 0x0
	s_mov_b32 s32, 0
	s_waitcnt lgkmcnt(0)
	s_add_i32 s51, s8, s5
	s_add_i32 s84, s8, s7
	s_mul_i32 s51, s51, s4
	s_mul_i32 s84, s84, s6
	s_cmp_le_u32 s84, s51
	s_cbranch_scc1 .LBB1326_678
; %bb.1:
	s_load_dword s4, s[48:49], 0x30
	s_load_dwordx4 s[72:75], s[48:49], 0x20
	s_load_dwordx4 s[76:79], s[48:49], 0x50
	s_load_dwordx8 s[56:63], s[48:49], 0x0
	s_waitcnt lgkmcnt(0)
	s_bitcmp1_b32 s4, 0
	s_cselect_b64 s[54:55], -1, 0
	s_sub_i32 s79, s84, s51
	s_cmpk_lt_u32 s79, 0x801
	s_mov_b64 s[4:5], -1
	s_cbranch_scc0 .LBB1326_7
; %bb.2:
	s_and_b32 s4, s76, 1
	v_cndmask_b32_e64 v1, 0, 1, s[54:55]
	v_cmp_ne_u32_e32 vcc, s4, v1
	s_mov_b64 s[4:5], -1
	s_cbranch_vccnz .LBB1326_4
; %bb.3:
	s_add_u32 s8, s48, 0x60
	s_mov_b64 s[4:5], src_shared_base
	s_addc_u32 s9, s49, 0
	s_mov_b32 s12, s50
	s_mov_b32 s13, s33
	v_mov_b32_e32 v31, v0
	v_mov_b32_e32 v41, v0
	;; [unrolled: 1-line block ×16, first 2 shown]
	s_getpc_b64 s[6:7]
	s_add_u32 s6, s6, _ZN7rocprim17ROCPRIM_400000_NS6detail40segmented_radix_sort_single_block_helperIflLj256ELj8ELb1EE4sortIPKfPfPKlPlEEbT_T0_T1_T2_jjjjRNS3_12storage_typeE@rel32@lo+4
	s_addc_u32 s7, s7, _ZN7rocprim17ROCPRIM_400000_NS6detail40segmented_radix_sort_single_block_helperIflLj256ELj8ELb1EE4sortIPKfPfPKlPlEEbT_T0_T1_T2_jjjjRNS3_12storage_typeE@rel32@hi+12
	s_swappc_b64 s[30:31], s[6:7]
	v_mov_b32_e32 v0, v41
	s_mov_b64 s[4:5], 0
.LBB1326_4:
	s_andn2_b64 vcc, exec, s[4:5]
	s_cbranch_vccnz .LBB1326_6
; %bb.5:
	s_add_u32 s8, s48, 0x60
	s_mov_b64 s[4:5], src_shared_base
	s_addc_u32 s9, s49, 0
	s_mov_b32 s12, s50
	s_mov_b32 s13, s33
	v_mov_b32_e32 v31, v0
	v_mov_b32_e32 v41, v0
	;; [unrolled: 1-line block ×16, first 2 shown]
	s_getpc_b64 s[6:7]
	s_add_u32 s6, s6, _ZN7rocprim17ROCPRIM_400000_NS6detail40segmented_radix_sort_single_block_helperIflLj256ELj8ELb1EE4sortIPKfPfPKlPlEEbT_T0_T1_T2_jjjjRNS3_12storage_typeE@rel32@lo+4
	s_addc_u32 s7, s7, _ZN7rocprim17ROCPRIM_400000_NS6detail40segmented_radix_sort_single_block_helperIflLj256ELj8ELb1EE4sortIPKfPfPKlPlEEbT_T0_T1_T2_jjjjRNS3_12storage_typeE@rel32@hi+12
	s_swappc_b64 s[30:31], s[6:7]
	v_mov_b32_e32 v0, v41
.LBB1326_6:
	s_mov_b64 s[4:5], 0
.LBB1326_7:
	s_andn2_b64 vcc, exec, s[4:5]
	s_cbranch_vccnz .LBB1326_678
; %bb.8:
	s_cmp_ge_u32 s77, s78
	s_cbranch_scc1 .LBB1326_678
; %bb.9:
	v_and_b32_e32 v18, 0x3ff, v0
	v_lshlrev_b32_e32 v19, 2, v18
	v_mov_b32_e32 v1, s61
	v_add_co_u32_e32 v40, vcc, s60, v19
	v_addc_co_u32_e32 v41, vcc, 0, v1, vcc
	v_or_b32_e32 v1, 63, v18
	v_cmp_eq_u32_e64 s[6:7], v1, v18
	v_lshrrev_b32_e32 v1, 4, v18
	v_mad_u32_u24 v42, v18, 12, v19
	v_and_b32_e32 v43, 12, v1
	v_lshlrev_b32_e32 v1, 3, v18
	v_bfe_u32 v48, v0, 20, 10
	v_bfe_u32 v49, v0, 10, 10
	v_mul_u32_u24_e32 v0, 5, v18
	v_mov_b32_e32 v51, 0x410
	v_and_b32_e32 v47, 0x600, v1
	v_add_u32_e32 v50, v42, v19
	v_lshl_add_u32 v52, v0, 2, v51
	v_lshlrev_b32_e32 v0, 4, v18
	v_sub_u32_e32 v53, v50, v0
	v_lshlrev_b32_e32 v0, 3, v47
	v_mov_b32_e32 v1, s75
	v_add_co_u32_e32 v54, vcc, s74, v0
	v_addc_co_u32_e32 v55, vcc, 0, v1, vcc
	v_lshlrev_b32_e32 v1, 2, v47
	v_mov_b32_e32 v2, s61
	v_add_co_u32_e32 v56, vcc, s60, v1
	v_addc_co_u32_e32 v57, vcc, 0, v2, vcc
	v_mov_b32_e32 v2, s59
	v_add_co_u32_e32 v59, vcc, s58, v19
	v_addc_co_u32_e32 v60, vcc, 0, v2, vcc
	;; [unrolled: 3-line block ×6, first 2 shown]
	v_mov_b32_e32 v0, s57
	v_add_co_u32_e32 v69, vcc, s56, v1
	s_movk_i32 s4, 0x100
	s_add_u32 s82, s48, 0x60
	s_movk_i32 s14, 0xff
	v_addc_co_u32_e32 v70, vcc, 0, v0, vcc
	v_mbcnt_lo_u32_b32 v0, -1, 0
	s_mov_b32 s81, 0
	v_mov_b32_e32 v20, 0
	v_or_b32_e32 v23, 0x100, v18
	v_or_b32_e32 v25, 0x200, v18
	;; [unrolled: 1-line block ×3, first 2 shown]
	v_and_b32_e32 v29, 3, v18
	v_or_b32_e32 v22, 0x400, v18
	v_or_b32_e32 v24, 0x500, v18
	;; [unrolled: 1-line block ×4, first 2 shown]
	v_cmp_gt_u32_e64 s[4:5], s4, v18
	v_or_b32_e32 v44, 0x4400, v43
	v_cmp_gt_u32_e64 s[8:9], 4, v18
	v_add_u32_e32 v45, 0x4400, v19
	v_cmp_lt_u32_e64 s[10:11], 63, v18
	v_add_u32_e32 v46, 0x43fc, v43
	s_addc_u32 s83, s49, 0
	v_cmp_eq_u32_e64 s[12:13], 0, v18
	v_cmp_ne_u32_e64 s[14:15], s14, v18
	v_add_u32_e32 v58, 0x400, v19
	s_mov_b32 s64, -1
	s_brev_b32 s76, 1
	v_mov_b32_e32 v71, 1
	v_lshlrev_b32_e32 v72, 2, v18
	v_bfrev_b32_e32 v73, -2
	v_mbcnt_hi_u32_b32 v74, -1, v0
	v_mov_b32_e32 v1, -1
	s_mov_b32 s85, s77
	s_branch .LBB1326_12
.LBB1326_10:                            ;   in Loop: Header=BB1326_12 Depth=1
	s_waitcnt lgkmcnt(0)
	s_barrier
.LBB1326_11:                            ;   in Loop: Header=BB1326_12 Depth=1
	s_add_i32 s85, s85, 8
	s_cmp_ge_u32 s85, s78
	s_cbranch_scc1 .LBB1326_678
.LBB1326_12:                            ; =>This Loop Header: Depth=1
                                        ;     Child Loop BB1326_16 Depth 2
                                        ;     Child Loop BB1326_66 Depth 2
	;; [unrolled: 1-line block ×8, first 2 shown]
	s_sub_i32 s16, s78, s85
	s_min_u32 s16, s16, 8
	s_lshl_b32 s16, -1, s16
	s_xor_b64 s[54:55], s[54:55], -1
	s_not_b32 s86, s16
	s_cmp_lg_u32 s85, s77
	s_mov_b64 s[16:17], -1
	ds_write2st64_b32 v19, v20, v20 offset1:4
	ds_write2st64_b32 v19, v20, v20 offset0:8 offset1:12
	s_waitcnt lgkmcnt(0)
	s_cbranch_scc0 .LBB1326_346
; %bb.13:                               ;   in Loop: Header=BB1326_12 Depth=1
	s_and_b64 vcc, exec, s[54:55]
	s_cbranch_vccz .LBB1326_179
; %bb.14:                               ;   in Loop: Header=BB1326_12 Depth=1
	s_mov_b32 s22, s79
	s_mov_b32 s80, s51
	s_barrier
	s_waitcnt lgkmcnt(0)
                                        ; implicit-def: $vgpr2_vgpr3_vgpr4_vgpr5_vgpr6_vgpr7_vgpr8_vgpr9
	s_branch .LBB1326_16
.LBB1326_15:                            ;   in Loop: Header=BB1326_16 Depth=2
	s_or_b64 exec, exec, s[16:17]
	s_addk_i32 s22, 0xf800
	s_cmp_ge_u32 s23, s84
	s_mov_b32 s80, s23
	s_cbranch_scc1 .LBB1326_54
.LBB1326_16:                            ;   Parent Loop BB1326_12 Depth=1
                                        ; =>  This Inner Loop Header: Depth=2
	s_add_i32 s23, s80, 0x800
	s_cmp_gt_u32 s23, s84
	s_cbranch_scc1 .LBB1326_19
; %bb.17:                               ;   in Loop: Header=BB1326_16 Depth=2
	s_lshl_b64 s[16:17], s[80:81], 2
	v_mov_b32_e32 v0, s17
	v_add_co_u32_e32 v30, vcc, s16, v40
	v_addc_co_u32_e32 v31, vcc, v41, v0, vcc
	v_add_co_u32_e32 v32, vcc, 0x1000, v30
	v_addc_co_u32_e32 v33, vcc, 0, v31, vcc
	global_load_dword v10, v[30:31], off
	global_load_dword v11, v[30:31], off offset:1024
	global_load_dword v12, v[30:31], off offset:2048
	;; [unrolled: 1-line block ×3, first 2 shown]
	global_load_dword v14, v[32:33], off
	global_load_dword v15, v[32:33], off offset:1024
	global_load_dword v16, v[32:33], off offset:2048
	v_add_co_u32_e32 v30, vcc, 0x1c00, v30
	v_addc_co_u32_e32 v31, vcc, 0, v31, vcc
	s_mov_b64 s[16:17], -1
	s_movk_i32 s24, 0x800
	s_cbranch_execz .LBB1326_20
; %bb.18:                               ;   in Loop: Header=BB1326_16 Depth=2
                                        ; implicit-def: $vgpr2_vgpr3_vgpr4_vgpr5_vgpr6_vgpr7_vgpr8_vgpr9
	v_mov_b32_e32 v0, s22
	s_and_saveexec_b64 s[18:19], s[16:17]
	s_cbranch_execnz .LBB1326_31
	s_branch .LBB1326_32
.LBB1326_19:                            ;   in Loop: Header=BB1326_16 Depth=2
	s_mov_b64 s[16:17], 0
                                        ; implicit-def: $sgpr24
                                        ; implicit-def: $vgpr10_vgpr11_vgpr12_vgpr13_vgpr14_vgpr15_vgpr16_vgpr17
                                        ; implicit-def: $vgpr30_vgpr31
.LBB1326_20:                            ;   in Loop: Header=BB1326_16 Depth=2
	s_lshl_b64 s[18:19], s[80:81], 2
	s_add_u32 s18, s60, s18
	s_addc_u32 s19, s61, s19
	v_cmp_gt_u32_e32 vcc, s22, v18
	s_and_saveexec_b64 s[20:21], vcc
	s_cbranch_execz .LBB1326_48
; %bb.21:                               ;   in Loop: Header=BB1326_16 Depth=2
	global_load_dword v2, v72, s[18:19]
	s_or_b64 exec, exec, s[20:21]
	v_cmp_gt_u32_e32 vcc, s22, v23
	s_and_saveexec_b64 s[20:21], vcc
	s_cbranch_execnz .LBB1326_49
.LBB1326_22:                            ;   in Loop: Header=BB1326_16 Depth=2
	s_or_b64 exec, exec, s[20:21]
	v_cmp_gt_u32_e32 vcc, s22, v25
	s_and_saveexec_b64 s[20:21], vcc
	s_cbranch_execz .LBB1326_50
.LBB1326_23:                            ;   in Loop: Header=BB1326_16 Depth=2
	global_load_dword v4, v72, s[18:19] offset:2048
	s_or_b64 exec, exec, s[20:21]
	v_cmp_gt_u32_e32 vcc, s22, v27
	s_and_saveexec_b64 s[20:21], vcc
	s_cbranch_execnz .LBB1326_51
.LBB1326_24:                            ;   in Loop: Header=BB1326_16 Depth=2
	s_or_b64 exec, exec, s[20:21]
	v_cmp_gt_u32_e32 vcc, s22, v22
	s_and_saveexec_b64 s[20:21], vcc
	s_cbranch_execz .LBB1326_52
.LBB1326_25:                            ;   in Loop: Header=BB1326_16 Depth=2
	v_lshlrev_b32_e32 v0, 2, v22
	global_load_dword v6, v0, s[18:19]
	s_or_b64 exec, exec, s[20:21]
	v_cmp_gt_u32_e32 vcc, s22, v24
	s_and_saveexec_b64 s[20:21], vcc
	s_cbranch_execnz .LBB1326_53
.LBB1326_26:                            ;   in Loop: Header=BB1326_16 Depth=2
	s_or_b64 exec, exec, s[20:21]
	v_cmp_gt_u32_e32 vcc, s22, v26
	s_and_saveexec_b64 s[20:21], vcc
	s_cbranch_execz .LBB1326_28
.LBB1326_27:                            ;   in Loop: Header=BB1326_16 Depth=2
	v_lshlrev_b32_e32 v0, 2, v26
	global_load_dword v8, v0, s[18:19]
.LBB1326_28:                            ;   in Loop: Header=BB1326_16 Depth=2
	s_or_b64 exec, exec, s[20:21]
	v_cmp_gt_u32_e32 vcc, s22, v28
                                        ; implicit-def: $sgpr24
                                        ; implicit-def: $vgpr30_vgpr31
	s_and_saveexec_b64 s[20:21], vcc
	s_cbranch_execz .LBB1326_30
; %bb.29:                               ;   in Loop: Header=BB1326_16 Depth=2
	v_lshlrev_b32_e32 v0, 2, v28
	s_waitcnt vmcnt(6)
	v_mov_b32_e32 v10, s19
	v_add_co_u32_e32 v30, vcc, s18, v0
	s_sub_i32 s24, s84, s80
	v_addc_co_u32_e32 v31, vcc, 0, v10, vcc
	s_or_b64 s[16:17], s[16:17], exec
.LBB1326_30:                            ;   in Loop: Header=BB1326_16 Depth=2
	s_or_b64 exec, exec, s[20:21]
	s_waitcnt vmcnt(0)
	v_pk_mov_b32 v[16:17], v[8:9], v[8:9] op_sel:[0,1]
	v_pk_mov_b32 v[14:15], v[6:7], v[6:7] op_sel:[0,1]
	v_pk_mov_b32 v[12:13], v[4:5], v[4:5] op_sel:[0,1]
	v_pk_mov_b32 v[10:11], v[2:3], v[2:3] op_sel:[0,1]
	v_mov_b32_e32 v0, s22
	s_and_saveexec_b64 s[18:19], s[16:17]
	s_cbranch_execz .LBB1326_32
.LBB1326_31:                            ;   in Loop: Header=BB1326_16 Depth=2
	global_load_dword v17, v[30:31], off
	s_waitcnt vmcnt(0)
	v_pk_mov_b32 v[2:3], v[10:11], v[10:11] op_sel:[0,1]
	v_mov_b32_e32 v0, s24
	v_pk_mov_b32 v[4:5], v[12:13], v[12:13] op_sel:[0,1]
	v_pk_mov_b32 v[6:7], v[14:15], v[14:15] op_sel:[0,1]
	;; [unrolled: 1-line block ×3, first 2 shown]
.LBB1326_32:                            ;   in Loop: Header=BB1326_16 Depth=2
	s_or_b64 exec, exec, s[18:19]
	v_cmp_lt_u32_e32 vcc, v18, v0
	s_and_saveexec_b64 s[16:17], vcc
	s_cbranch_execz .LBB1326_40
; %bb.33:                               ;   in Loop: Header=BB1326_16 Depth=2
	v_cmp_gt_i32_e32 vcc, 0, v2
	s_waitcnt vmcnt(6)
	v_cndmask_b32_e64 v10, v73, 0, vcc
	v_xor_b32_e32 v10, v10, v2
	v_cmp_ne_u32_e32 vcc, s76, v10
	v_cndmask_b32_e32 v10, v73, v10, vcc
	v_lshrrev_b32_e32 v10, s85, v10
	v_and_b32_e32 v10, s86, v10
	s_waitcnt vmcnt(5)
	v_lshlrev_b32_e32 v11, 2, v29
	v_lshl_or_b32 v10, v10, 4, v11
	ds_add_u32 v10, v71
	s_or_b64 exec, exec, s[16:17]
	v_cmp_lt_u32_e32 vcc, v23, v0
	s_and_saveexec_b64 s[16:17], vcc
	s_cbranch_execnz .LBB1326_41
.LBB1326_34:                            ;   in Loop: Header=BB1326_16 Depth=2
	s_or_b64 exec, exec, s[16:17]
	v_cmp_lt_u32_e32 vcc, v25, v0
	s_and_saveexec_b64 s[16:17], vcc
	s_cbranch_execz .LBB1326_42
.LBB1326_35:                            ;   in Loop: Header=BB1326_16 Depth=2
	v_cmp_gt_i32_e32 vcc, 0, v4
	s_waitcnt vmcnt(6)
	v_cndmask_b32_e64 v10, v73, 0, vcc
	v_xor_b32_e32 v10, v10, v4
	v_cmp_ne_u32_e32 vcc, s76, v10
	v_cndmask_b32_e32 v10, v73, v10, vcc
	v_lshrrev_b32_e32 v10, s85, v10
	v_and_b32_e32 v10, s86, v10
	s_waitcnt vmcnt(5)
	v_lshlrev_b32_e32 v11, 2, v29
	v_lshl_or_b32 v10, v10, 4, v11
	ds_add_u32 v10, v71
	s_or_b64 exec, exec, s[16:17]
	v_cmp_lt_u32_e32 vcc, v27, v0
	s_and_saveexec_b64 s[16:17], vcc
	s_cbranch_execnz .LBB1326_43
.LBB1326_36:                            ;   in Loop: Header=BB1326_16 Depth=2
	s_or_b64 exec, exec, s[16:17]
	v_cmp_lt_u32_e32 vcc, v22, v0
	s_and_saveexec_b64 s[16:17], vcc
	s_cbranch_execz .LBB1326_44
.LBB1326_37:                            ;   in Loop: Header=BB1326_16 Depth=2
	v_cmp_gt_i32_e32 vcc, 0, v6
	s_waitcnt vmcnt(6)
	v_cndmask_b32_e64 v10, v73, 0, vcc
	v_xor_b32_e32 v10, v10, v6
	v_cmp_ne_u32_e32 vcc, s76, v10
	v_cndmask_b32_e32 v10, v73, v10, vcc
	v_lshrrev_b32_e32 v10, s85, v10
	v_and_b32_e32 v10, s86, v10
	s_waitcnt vmcnt(5)
	v_lshlrev_b32_e32 v11, 2, v29
	v_lshl_or_b32 v10, v10, 4, v11
	ds_add_u32 v10, v71
	s_or_b64 exec, exec, s[16:17]
	v_cmp_lt_u32_e32 vcc, v24, v0
	s_and_saveexec_b64 s[16:17], vcc
	s_cbranch_execnz .LBB1326_45
.LBB1326_38:                            ;   in Loop: Header=BB1326_16 Depth=2
	s_or_b64 exec, exec, s[16:17]
	v_cmp_lt_u32_e32 vcc, v26, v0
	s_and_saveexec_b64 s[16:17], vcc
	s_cbranch_execz .LBB1326_46
.LBB1326_39:                            ;   in Loop: Header=BB1326_16 Depth=2
	v_cmp_gt_i32_e32 vcc, 0, v8
	s_waitcnt vmcnt(6)
	v_cndmask_b32_e64 v10, v73, 0, vcc
	v_xor_b32_e32 v10, v10, v8
	v_cmp_ne_u32_e32 vcc, s76, v10
	v_cndmask_b32_e32 v10, v73, v10, vcc
	v_lshrrev_b32_e32 v10, s85, v10
	v_and_b32_e32 v10, s86, v10
	s_waitcnt vmcnt(5)
	v_lshlrev_b32_e32 v11, 2, v29
	v_lshl_or_b32 v10, v10, 4, v11
	ds_add_u32 v10, v71
	s_or_b64 exec, exec, s[16:17]
	v_cmp_lt_u32_e32 vcc, v28, v0
	s_and_saveexec_b64 s[16:17], vcc
	s_cbranch_execz .LBB1326_15
	s_branch .LBB1326_47
.LBB1326_40:                            ;   in Loop: Header=BB1326_16 Depth=2
	s_or_b64 exec, exec, s[16:17]
	v_cmp_lt_u32_e32 vcc, v23, v0
	s_and_saveexec_b64 s[16:17], vcc
	s_cbranch_execz .LBB1326_34
.LBB1326_41:                            ;   in Loop: Header=BB1326_16 Depth=2
	v_cmp_gt_i32_e32 vcc, 0, v3
	s_waitcnt vmcnt(6)
	v_cndmask_b32_e64 v10, v73, 0, vcc
	v_xor_b32_e32 v10, v10, v3
	v_cmp_ne_u32_e32 vcc, s76, v10
	v_cndmask_b32_e32 v10, v73, v10, vcc
	v_lshrrev_b32_e32 v10, s85, v10
	v_and_b32_e32 v10, s86, v10
	s_waitcnt vmcnt(5)
	v_lshlrev_b32_e32 v11, 2, v29
	v_lshl_or_b32 v10, v10, 4, v11
	ds_add_u32 v10, v71
	s_or_b64 exec, exec, s[16:17]
	v_cmp_lt_u32_e32 vcc, v25, v0
	s_and_saveexec_b64 s[16:17], vcc
	s_cbranch_execnz .LBB1326_35
.LBB1326_42:                            ;   in Loop: Header=BB1326_16 Depth=2
	s_or_b64 exec, exec, s[16:17]
	v_cmp_lt_u32_e32 vcc, v27, v0
	s_and_saveexec_b64 s[16:17], vcc
	s_cbranch_execz .LBB1326_36
.LBB1326_43:                            ;   in Loop: Header=BB1326_16 Depth=2
	v_cmp_gt_i32_e32 vcc, 0, v5
	s_waitcnt vmcnt(6)
	v_cndmask_b32_e64 v10, v73, 0, vcc
	v_xor_b32_e32 v10, v10, v5
	v_cmp_ne_u32_e32 vcc, s76, v10
	v_cndmask_b32_e32 v10, v73, v10, vcc
	v_lshrrev_b32_e32 v10, s85, v10
	v_and_b32_e32 v10, s86, v10
	s_waitcnt vmcnt(5)
	v_lshlrev_b32_e32 v11, 2, v29
	v_lshl_or_b32 v10, v10, 4, v11
	ds_add_u32 v10, v71
	s_or_b64 exec, exec, s[16:17]
	v_cmp_lt_u32_e32 vcc, v22, v0
	s_and_saveexec_b64 s[16:17], vcc
	s_cbranch_execnz .LBB1326_37
.LBB1326_44:                            ;   in Loop: Header=BB1326_16 Depth=2
	s_or_b64 exec, exec, s[16:17]
	v_cmp_lt_u32_e32 vcc, v24, v0
	s_and_saveexec_b64 s[16:17], vcc
	s_cbranch_execz .LBB1326_38
.LBB1326_45:                            ;   in Loop: Header=BB1326_16 Depth=2
	v_cmp_gt_i32_e32 vcc, 0, v7
	s_waitcnt vmcnt(6)
	v_cndmask_b32_e64 v10, v73, 0, vcc
	v_xor_b32_e32 v10, v10, v7
	v_cmp_ne_u32_e32 vcc, s76, v10
	v_cndmask_b32_e32 v10, v73, v10, vcc
	v_lshrrev_b32_e32 v10, s85, v10
	v_and_b32_e32 v10, s86, v10
	s_waitcnt vmcnt(5)
	v_lshlrev_b32_e32 v11, 2, v29
	v_lshl_or_b32 v10, v10, 4, v11
	ds_add_u32 v10, v71
	s_or_b64 exec, exec, s[16:17]
	v_cmp_lt_u32_e32 vcc, v26, v0
	s_and_saveexec_b64 s[16:17], vcc
	s_cbranch_execnz .LBB1326_39
.LBB1326_46:                            ;   in Loop: Header=BB1326_16 Depth=2
	s_or_b64 exec, exec, s[16:17]
	v_cmp_lt_u32_e32 vcc, v28, v0
	s_and_saveexec_b64 s[16:17], vcc
	s_cbranch_execz .LBB1326_15
.LBB1326_47:                            ;   in Loop: Header=BB1326_16 Depth=2
	v_cmp_gt_i32_e32 vcc, 0, v9
	v_cndmask_b32_e64 v0, v73, 0, vcc
	v_xor_b32_e32 v0, v0, v9
	v_cmp_ne_u32_e32 vcc, s76, v0
	v_cndmask_b32_e32 v0, v73, v0, vcc
	v_lshrrev_b32_e32 v0, s85, v0
	v_and_b32_e32 v0, s86, v0
	s_waitcnt vmcnt(6)
	v_lshlrev_b32_e32 v10, 2, v29
	v_lshl_or_b32 v0, v0, 4, v10
	ds_add_u32 v0, v71
	s_branch .LBB1326_15
.LBB1326_48:                            ;   in Loop: Header=BB1326_16 Depth=2
	s_or_b64 exec, exec, s[20:21]
	v_cmp_gt_u32_e32 vcc, s22, v23
	s_and_saveexec_b64 s[20:21], vcc
	s_cbranch_execz .LBB1326_22
.LBB1326_49:                            ;   in Loop: Header=BB1326_16 Depth=2
	global_load_dword v3, v72, s[18:19] offset:1024
	s_or_b64 exec, exec, s[20:21]
	v_cmp_gt_u32_e32 vcc, s22, v25
	s_and_saveexec_b64 s[20:21], vcc
	s_cbranch_execnz .LBB1326_23
.LBB1326_50:                            ;   in Loop: Header=BB1326_16 Depth=2
	s_or_b64 exec, exec, s[20:21]
	v_cmp_gt_u32_e32 vcc, s22, v27
	s_and_saveexec_b64 s[20:21], vcc
	s_cbranch_execz .LBB1326_24
.LBB1326_51:                            ;   in Loop: Header=BB1326_16 Depth=2
	global_load_dword v5, v72, s[18:19] offset:3072
	s_or_b64 exec, exec, s[20:21]
	v_cmp_gt_u32_e32 vcc, s22, v22
	s_and_saveexec_b64 s[20:21], vcc
	s_cbranch_execnz .LBB1326_25
.LBB1326_52:                            ;   in Loop: Header=BB1326_16 Depth=2
	s_or_b64 exec, exec, s[20:21]
	v_cmp_gt_u32_e32 vcc, s22, v24
	s_and_saveexec_b64 s[20:21], vcc
	s_cbranch_execz .LBB1326_26
.LBB1326_53:                            ;   in Loop: Header=BB1326_16 Depth=2
	v_lshlrev_b32_e32 v0, 2, v24
	global_load_dword v7, v0, s[18:19]
	s_or_b64 exec, exec, s[20:21]
	v_cmp_gt_u32_e32 vcc, s22, v26
	s_and_saveexec_b64 s[20:21], vcc
	s_cbranch_execz .LBB1326_28
	s_branch .LBB1326_27
.LBB1326_54:                            ;   in Loop: Header=BB1326_12 Depth=1
	v_mov_b32_e32 v0, 0
	s_waitcnt lgkmcnt(0)
	s_barrier
	s_and_saveexec_b64 s[16:17], s[4:5]
	s_cbranch_execz .LBB1326_56
; %bb.55:                               ;   in Loop: Header=BB1326_12 Depth=1
	ds_read2_b64 v[2:5], v42 offset1:1
	s_waitcnt lgkmcnt(0)
	v_add_u32_e32 v0, v3, v2
	v_add3_u32 v0, v0, v4, v5
.LBB1326_56:                            ;   in Loop: Header=BB1326_12 Depth=1
	s_or_b64 exec, exec, s[16:17]
	v_and_b32_e32 v2, 15, v74
	v_mov_b32_dpp v3, v0 row_shr:1 row_mask:0xf bank_mask:0xf
	v_cmp_eq_u32_e64 s[16:17], 0, v2
	v_cndmask_b32_e64 v3, v3, 0, s[16:17]
	v_add_u32_e32 v0, v3, v0
	v_cmp_lt_u32_e64 s[18:19], 1, v2
	v_cmp_lt_u32_e64 s[20:21], 3, v2
	v_mov_b32_dpp v3, v0 row_shr:2 row_mask:0xf bank_mask:0xf
	v_cndmask_b32_e64 v3, 0, v3, s[18:19]
	v_add_u32_e32 v0, v0, v3
	v_cmp_lt_u32_e64 s[22:23], 7, v2
	v_cmp_lt_u32_e64 s[26:27], 31, v74
	v_mov_b32_dpp v3, v0 row_shr:4 row_mask:0xf bank_mask:0xf
	v_cndmask_b32_e64 v3, 0, v3, s[20:21]
	v_add_u32_e32 v0, v0, v3
	v_and_b32_e32 v4, 16, v74
	v_cmp_eq_u32_e64 s[24:25], 0, v4
	v_mov_b32_dpp v3, v0 row_shr:8 row_mask:0xf bank_mask:0xf
	v_cndmask_b32_e64 v2, 0, v3, s[22:23]
	v_add_u32_e32 v0, v0, v2
	v_bfe_i32 v3, v74, 4, 1
	s_nop 0
	v_mov_b32_dpp v2, v0 row_bcast:15 row_mask:0xf bank_mask:0xf
	v_and_b32_e32 v2, v3, v2
	v_add_u32_e32 v0, v0, v2
	s_nop 1
	v_mov_b32_dpp v2, v0 row_bcast:31 row_mask:0xf bank_mask:0xf
	v_cndmask_b32_e64 v2, 0, v2, s[26:27]
	v_add_u32_e32 v2, v0, v2
	s_and_saveexec_b64 s[28:29], s[6:7]
	s_cbranch_execz .LBB1326_58
; %bb.57:                               ;   in Loop: Header=BB1326_12 Depth=1
	ds_write_b32 v44, v2
.LBB1326_58:                            ;   in Loop: Header=BB1326_12 Depth=1
	s_or_b64 exec, exec, s[28:29]
	v_and_b32_e32 v0, 3, v74
	s_waitcnt lgkmcnt(0)
	s_barrier
	s_and_saveexec_b64 s[28:29], s[8:9]
	s_cbranch_execz .LBB1326_60
; %bb.59:                               ;   in Loop: Header=BB1326_12 Depth=1
	ds_read_b32 v3, v45
	v_cmp_ne_u32_e32 vcc, 0, v0
	s_waitcnt lgkmcnt(0)
	v_mov_b32_dpp v4, v3 row_shr:1 row_mask:0xf bank_mask:0xf
	v_cndmask_b32_e32 v4, 0, v4, vcc
	v_add_u32_e32 v3, v4, v3
	v_cmp_lt_u32_e32 vcc, 1, v0
	s_nop 0
	v_mov_b32_dpp v4, v3 row_shr:2 row_mask:0xf bank_mask:0xf
	v_cndmask_b32_e32 v4, 0, v4, vcc
	v_add_u32_e32 v3, v3, v4
	ds_write_b32 v45, v3
.LBB1326_60:                            ;   in Loop: Header=BB1326_12 Depth=1
	s_or_b64 exec, exec, s[28:29]
	v_mov_b32_e32 v3, 0
	s_waitcnt lgkmcnt(0)
	s_barrier
	s_and_saveexec_b64 s[28:29], s[10:11]
	s_cbranch_execz .LBB1326_62
; %bb.61:                               ;   in Loop: Header=BB1326_12 Depth=1
	ds_read_b32 v3, v46
.LBB1326_62:                            ;   in Loop: Header=BB1326_12 Depth=1
	s_or_b64 exec, exec, s[28:29]
	v_add_u32_e32 v4, -1, v74
	v_and_b32_e32 v5, 64, v74
	v_cmp_lt_i32_e32 vcc, v4, v5
	v_cndmask_b32_e32 v4, v4, v74, vcc
	s_waitcnt lgkmcnt(0)
	v_add_u32_e32 v2, v3, v2
	v_lshlrev_b32_e32 v75, 2, v4
	ds_bpermute_b32 v2, v75, v2
	v_cmp_eq_u32_e64 s[28:29], 0, v74
	s_waitcnt lgkmcnt(0)
	s_barrier
	s_and_saveexec_b64 s[30:31], s[4:5]
	s_cbranch_execz .LBB1326_64
; %bb.63:                               ;   in Loop: Header=BB1326_12 Depth=1
	v_cndmask_b32_e64 v2, v2, v3, s[28:29]
	v_add_u32_e32 v2, s51, v2
	ds_write_b32 v19, v2
.LBB1326_64:                            ;   in Loop: Header=BB1326_12 Depth=1
	s_or_b64 exec, exec, s[30:31]
	s_load_dword s30, s[82:83], 0x4
	s_load_dword s36, s[82:83], 0xc
	v_cmp_lt_u32_e64 s[34:35], 1, v0
	s_mov_b32 s87, s79
	s_mov_b32 s80, s51
	s_waitcnt lgkmcnt(0)
	s_cmp_lt_u32 s33, s30
	s_cselect_b32 s30, 14, 20
	s_add_u32 s30, s82, s30
	s_addc_u32 s31, s83, 0
	global_load_ushort v2, v20, s[30:31]
	v_cmp_eq_u32_e64 s[30:31], 0, v0
	v_and_b32_e32 v0, 63, v74
	v_lshlrev_b32_e32 v3, 3, v0
	v_add_co_u32_e32 v83, vcc, v54, v3
	v_or_b32_e32 v80, v0, v47
	v_lshlrev_b32_e32 v0, 2, v0
	v_addc_co_u32_e32 v85, vcc, 0, v55, vcc
	v_add_co_u32_e32 v94, vcc, v56, v0
	v_addc_co_u32_e32 v95, vcc, 0, v57, vcc
	s_and_b32 s36, s36, 0xffff
	v_add_co_u32_e32 v96, vcc, 0x700, v94
	v_or_b32_e32 v87, 64, v80
	v_or_b32_e32 v88, 0x80, v80
	;; [unrolled: 1-line block ×7, first 2 shown]
	v_addc_co_u32_e32 v97, vcc, 0, v95, vcc
                                        ; implicit-def: $vgpr10_vgpr11
                                        ; implicit-def: $vgpr12_vgpr13
                                        ; implicit-def: $vgpr14_vgpr15
                                        ; implicit-def: $vgpr16_vgpr17
                                        ; implicit-def: $vgpr30_vgpr31
                                        ; implicit-def: $vgpr32_vgpr33
                                        ; implicit-def: $vgpr34_vgpr35
                                        ; implicit-def: $vgpr36_vgpr37
                                        ; implicit-def: $vgpr76
                                        ; implicit-def: $vgpr77
                                        ; implicit-def: $vgpr78
                                        ; implicit-def: $vgpr79
                                        ; implicit-def: $vgpr81
                                        ; implicit-def: $vgpr82
                                        ; implicit-def: $vgpr84
                                        ; implicit-def: $vgpr86
	s_waitcnt vmcnt(0)
	v_mad_u32_u24 v0, v48, v2, v49
	v_mad_u64_u32 v[2:3], s[36:37], v0, s36, v[18:19]
	v_lshrrev_b32_e32 v98, 6, v2
	s_branch .LBB1326_66
.LBB1326_65:                            ;   in Loop: Header=BB1326_66 Depth=2
	s_or_b64 exec, exec, s[36:37]
	s_addk_i32 s87, 0xf800
	s_cmp_lt_u32 s88, s84
	s_mov_b32 s80, s88
	s_cbranch_scc0 .LBB1326_178
.LBB1326_66:                            ;   Parent Loop BB1326_12 Depth=1
                                        ; =>  This Inner Loop Header: Depth=2
	s_add_i32 s88, s80, 0x800
	s_cmp_gt_u32 s88, s84
	s_cbranch_scc1 .LBB1326_68
; %bb.67:                               ;   in Loop: Header=BB1326_66 Depth=2
	s_lshl_b64 s[36:37], s[80:81], 2
	v_mov_b32_e32 v0, s37
	v_add_co_u32_e32 v8, vcc, s36, v94
	v_addc_co_u32_e32 v9, vcc, v95, v0, vcc
	global_load_dword v2, v[8:9], off
	global_load_dword v3, v[8:9], off offset:256
	global_load_dword v4, v[8:9], off offset:512
	;; [unrolled: 1-line block ×5, first 2 shown]
	s_nop 0
	global_load_dword v8, v[8:9], off offset:1536
	s_mov_b64 s[36:37], -1
	s_movk_i32 s40, 0x800
	s_cbranch_execz .LBB1326_69
	s_branch .LBB1326_78
.LBB1326_68:                            ;   in Loop: Header=BB1326_66 Depth=2
	s_mov_b64 s[36:37], 0
                                        ; implicit-def: $sgpr40
                                        ; implicit-def: $vgpr2_vgpr3_vgpr4_vgpr5_vgpr6_vgpr7_vgpr8_vgpr9
.LBB1326_69:                            ;   in Loop: Header=BB1326_66 Depth=2
	s_lshl_b64 s[36:37], s[80:81], 2
	v_mov_b32_e32 v0, s37
	v_add_co_u32_e32 v38, vcc, s36, v94
	s_mov_b32 s65, s64
	v_addc_co_u32_e32 v39, vcc, v95, v0, vcc
	s_mov_b32 s66, s64
	s_mov_b32 s67, s64
	;; [unrolled: 1-line block ×6, first 2 shown]
	s_waitcnt vmcnt(0)
	v_pk_mov_b32 v[2:3], s[64:65], s[64:65] op_sel:[0,1]
	v_cmp_gt_u32_e32 vcc, s87, v80
	v_pk_mov_b32 v[4:5], s[66:67], s[66:67] op_sel:[0,1]
	v_pk_mov_b32 v[6:7], s[68:69], s[68:69] op_sel:[0,1]
	;; [unrolled: 1-line block ×3, first 2 shown]
	s_and_saveexec_b64 s[36:37], vcc
	s_cbranch_execz .LBB1326_172
; %bb.70:                               ;   in Loop: Header=BB1326_66 Depth=2
	global_load_dword v0, v[38:39], off
	v_mov_b32_e32 v2, v1
	v_mov_b32_e32 v3, v1
	;; [unrolled: 1-line block ×6, first 2 shown]
	s_waitcnt vmcnt(0)
	v_pk_mov_b32 v[8:9], v[6:7], v[6:7] op_sel:[0,1]
	v_pk_mov_b32 v[6:7], v[4:5], v[4:5] op_sel:[0,1]
	;; [unrolled: 1-line block ×4, first 2 shown]
	s_or_b64 exec, exec, s[36:37]
	v_cmp_gt_u32_e32 vcc, s87, v87
	s_and_saveexec_b64 s[36:37], vcc
	s_cbranch_execnz .LBB1326_173
.LBB1326_71:                            ;   in Loop: Header=BB1326_66 Depth=2
	s_or_b64 exec, exec, s[36:37]
	v_cmp_gt_u32_e32 vcc, s87, v88
	s_and_saveexec_b64 s[36:37], vcc
	s_cbranch_execz .LBB1326_174
.LBB1326_72:                            ;   in Loop: Header=BB1326_66 Depth=2
	global_load_dword v4, v[38:39], off offset:512
	s_or_b64 exec, exec, s[36:37]
	v_cmp_gt_u32_e32 vcc, s87, v89
	s_and_saveexec_b64 s[36:37], vcc
	s_cbranch_execnz .LBB1326_175
.LBB1326_73:                            ;   in Loop: Header=BB1326_66 Depth=2
	s_or_b64 exec, exec, s[36:37]
	v_cmp_gt_u32_e32 vcc, s87, v90
	s_and_saveexec_b64 s[36:37], vcc
	s_cbranch_execz .LBB1326_176
.LBB1326_74:                            ;   in Loop: Header=BB1326_66 Depth=2
	global_load_dword v6, v[38:39], off offset:1024
	s_or_b64 exec, exec, s[36:37]
	v_cmp_gt_u32_e32 vcc, s87, v91
	s_and_saveexec_b64 s[36:37], vcc
	s_cbranch_execnz .LBB1326_177
.LBB1326_75:                            ;   in Loop: Header=BB1326_66 Depth=2
	s_or_b64 exec, exec, s[36:37]
	v_cmp_gt_u32_e32 vcc, s87, v92
	s_and_saveexec_b64 s[36:37], vcc
	s_cbranch_execz .LBB1326_77
.LBB1326_76:                            ;   in Loop: Header=BB1326_66 Depth=2
	global_load_dword v8, v[38:39], off offset:1536
.LBB1326_77:                            ;   in Loop: Header=BB1326_66 Depth=2
	s_or_b64 exec, exec, s[36:37]
	s_sub_i32 s40, s84, s80
	v_cmp_gt_u32_e64 s[36:37], s87, v93
.LBB1326_78:                            ;   in Loop: Header=BB1326_66 Depth=2
	v_mov_b32_e32 v0, s87
	s_and_saveexec_b64 s[38:39], s[36:37]
	s_cbranch_execz .LBB1326_80
; %bb.79:                               ;   in Loop: Header=BB1326_66 Depth=2
	s_lshl_b64 s[36:37], s[80:81], 2
	v_mov_b32_e32 v0, s37
	v_add_co_u32_e32 v38, vcc, s36, v96
	v_addc_co_u32_e32 v39, vcc, v97, v0, vcc
	global_load_dword v9, v[38:39], off
	v_mov_b32_e32 v0, s40
.LBB1326_80:                            ;   in Loop: Header=BB1326_66 Depth=2
	s_or_b64 exec, exec, s[38:39]
	s_waitcnt vmcnt(6)
	v_cmp_gt_i32_e32 vcc, 0, v2
	v_cndmask_b32_e64 v21, v73, 0, vcc
	v_xor_b32_e32 v99, v21, v2
	v_add_u32_e32 v2, 0x410, v50
	v_cmp_ne_u32_e32 vcc, s76, v99
	ds_write2_b32 v2, v20, v20 offset1:1
	ds_write2_b32 v52, v20, v20 offset0:2 offset1:3
	ds_write_b32 v52, v20 offset:16
	v_cndmask_b32_e32 v2, v73, v99, vcc
	v_lshrrev_b32_e32 v2, s85, v2
	v_and_b32_e32 v2, s86, v2
	v_mad_u32_u24 v21, v2, 5, v98
	v_lshl_add_u32 v100, v21, 2, v51
	v_and_b32_e32 v21, 1, v2
	v_add_co_u32_e32 v38, vcc, -1, v21
	v_addc_co_u32_e64 v39, s[36:37], 0, -1, vcc
	v_cmp_ne_u32_e32 vcc, 0, v21
	v_xor_b32_e32 v21, vcc_hi, v39
	v_and_b32_e32 v39, exec_hi, v21
	v_lshlrev_b32_e32 v21, 30, v2
	v_xor_b32_e32 v38, vcc_lo, v38
	v_cmp_gt_i64_e32 vcc, 0, v[20:21]
	v_not_b32_e32 v21, v21
	v_ashrrev_i32_e32 v21, 31, v21
	v_and_b32_e32 v38, exec_lo, v38
	v_xor_b32_e32 v101, vcc_hi, v21
	v_xor_b32_e32 v21, vcc_lo, v21
	v_and_b32_e32 v38, v38, v21
	v_lshlrev_b32_e32 v21, 29, v2
	v_cmp_gt_i64_e32 vcc, 0, v[20:21]
	v_not_b32_e32 v21, v21
	v_ashrrev_i32_e32 v21, 31, v21
	v_and_b32_e32 v39, v39, v101
	v_xor_b32_e32 v101, vcc_hi, v21
	v_xor_b32_e32 v21, vcc_lo, v21
	v_and_b32_e32 v38, v38, v21
	v_lshlrev_b32_e32 v21, 28, v2
	v_cmp_gt_i64_e32 vcc, 0, v[20:21]
	v_not_b32_e32 v21, v21
	v_ashrrev_i32_e32 v21, 31, v21
	v_and_b32_e32 v39, v39, v101
	;; [unrolled: 8-line block ×5, first 2 shown]
	v_xor_b32_e32 v101, vcc_hi, v21
	v_xor_b32_e32 v21, vcc_lo, v21
	v_and_b32_e32 v38, v38, v21
	v_lshlrev_b32_e32 v21, 24, v2
	v_not_b32_e32 v2, v21
	v_cmp_gt_i64_e32 vcc, 0, v[20:21]
	v_ashrrev_i32_e32 v2, 31, v2
	v_xor_b32_e32 v21, vcc_hi, v2
	v_xor_b32_e32 v2, vcc_lo, v2
	v_and_b32_e32 v39, v39, v101
	v_and_b32_e32 v38, v38, v2
	;; [unrolled: 1-line block ×3, first 2 shown]
	v_mbcnt_lo_u32_b32 v2, v38, 0
	v_mbcnt_hi_u32_b32 v101, v39, v2
	v_cmp_eq_u32_e32 vcc, 0, v101
	v_cmp_ne_u64_e64 s[36:37], 0, v[38:39]
	s_and_b64 s[38:39], s[36:37], vcc
	s_waitcnt lgkmcnt(0)
	s_barrier
	s_waitcnt lgkmcnt(0)
	; wave barrier
	s_and_saveexec_b64 s[36:37], s[38:39]
	s_cbranch_execz .LBB1326_82
; %bb.81:                               ;   in Loop: Header=BB1326_66 Depth=2
	v_bcnt_u32_b32 v2, v38, 0
	v_bcnt_u32_b32 v2, v39, v2
	ds_write_b32 v100, v2
.LBB1326_82:                            ;   in Loop: Header=BB1326_66 Depth=2
	s_or_b64 exec, exec, s[36:37]
	s_waitcnt vmcnt(0)
	v_cmp_gt_i32_e32 vcc, 0, v3
	v_cndmask_b32_e64 v2, v73, 0, vcc
	v_xor_b32_e32 v38, v2, v3
	v_cmp_ne_u32_e32 vcc, s76, v38
	v_cndmask_b32_e32 v2, v73, v38, vcc
	v_lshrrev_b32_e32 v2, s85, v2
	v_and_b32_e32 v2, s86, v2
	v_mul_u32_u24_e32 v3, 5, v2
	v_add_lshl_u32 v3, v3, v98, 2
	; wave barrier
	v_add_u32_e32 v102, 0x410, v3
	ds_read_b32 v39, v3 offset:1040
	v_and_b32_e32 v3, 1, v2
	v_add_co_u32_e32 v21, vcc, -1, v3
	v_addc_co_u32_e64 v103, s[36:37], 0, -1, vcc
	v_cmp_ne_u32_e32 vcc, 0, v3
	v_xor_b32_e32 v21, vcc_lo, v21
	v_xor_b32_e32 v3, vcc_hi, v103
	v_and_b32_e32 v103, exec_lo, v21
	v_lshlrev_b32_e32 v21, 30, v2
	v_cmp_gt_i64_e32 vcc, 0, v[20:21]
	v_not_b32_e32 v21, v21
	v_ashrrev_i32_e32 v21, 31, v21
	v_xor_b32_e32 v104, vcc_hi, v21
	v_xor_b32_e32 v21, vcc_lo, v21
	v_and_b32_e32 v103, v103, v21
	v_lshlrev_b32_e32 v21, 29, v2
	v_cmp_gt_i64_e32 vcc, 0, v[20:21]
	v_not_b32_e32 v21, v21
	v_and_b32_e32 v3, exec_hi, v3
	v_ashrrev_i32_e32 v21, 31, v21
	v_and_b32_e32 v3, v3, v104
	v_xor_b32_e32 v104, vcc_hi, v21
	v_xor_b32_e32 v21, vcc_lo, v21
	v_and_b32_e32 v103, v103, v21
	v_lshlrev_b32_e32 v21, 28, v2
	v_cmp_gt_i64_e32 vcc, 0, v[20:21]
	v_not_b32_e32 v21, v21
	v_ashrrev_i32_e32 v21, 31, v21
	v_and_b32_e32 v3, v3, v104
	v_xor_b32_e32 v104, vcc_hi, v21
	v_xor_b32_e32 v21, vcc_lo, v21
	v_and_b32_e32 v103, v103, v21
	v_lshlrev_b32_e32 v21, 27, v2
	v_cmp_gt_i64_e32 vcc, 0, v[20:21]
	v_not_b32_e32 v21, v21
	;; [unrolled: 8-line block ×4, first 2 shown]
	v_ashrrev_i32_e32 v21, 31, v21
	v_and_b32_e32 v3, v3, v104
	v_xor_b32_e32 v104, vcc_hi, v21
	v_xor_b32_e32 v21, vcc_lo, v21
	v_and_b32_e32 v103, v103, v21
	v_lshlrev_b32_e32 v21, 24, v2
	v_not_b32_e32 v2, v21
	v_cmp_gt_i64_e32 vcc, 0, v[20:21]
	v_ashrrev_i32_e32 v2, 31, v2
	v_xor_b32_e32 v21, vcc_hi, v2
	v_xor_b32_e32 v2, vcc_lo, v2
	v_and_b32_e32 v3, v3, v104
	v_and_b32_e32 v2, v103, v2
	;; [unrolled: 1-line block ×3, first 2 shown]
	v_mbcnt_lo_u32_b32 v21, v2, 0
	v_mbcnt_hi_u32_b32 v103, v3, v21
	v_cmp_eq_u32_e32 vcc, 0, v103
	v_cmp_ne_u64_e64 s[36:37], 0, v[2:3]
	s_and_b64 s[38:39], s[36:37], vcc
	; wave barrier
	s_and_saveexec_b64 s[36:37], s[38:39]
	s_cbranch_execz .LBB1326_84
; %bb.83:                               ;   in Loop: Header=BB1326_66 Depth=2
	v_bcnt_u32_b32 v2, v2, 0
	v_bcnt_u32_b32 v2, v3, v2
	s_waitcnt lgkmcnt(0)
	v_add_u32_e32 v2, v39, v2
	ds_write_b32 v102, v2
.LBB1326_84:                            ;   in Loop: Header=BB1326_66 Depth=2
	s_or_b64 exec, exec, s[36:37]
	v_cmp_gt_i32_e32 vcc, 0, v4
	v_cndmask_b32_e64 v2, v73, 0, vcc
	v_xor_b32_e32 v104, v2, v4
	v_cmp_ne_u32_e32 vcc, s76, v104
	v_cndmask_b32_e32 v2, v73, v104, vcc
	v_lshrrev_b32_e32 v2, s85, v2
	v_and_b32_e32 v2, s86, v2
	v_mul_u32_u24_e32 v3, 5, v2
	v_add_lshl_u32 v3, v3, v98, 2
	; wave barrier
	v_add_u32_e32 v106, 0x410, v3
	ds_read_b32 v105, v3 offset:1040
	v_and_b32_e32 v3, 1, v2
	v_add_co_u32_e32 v4, vcc, -1, v3
	v_addc_co_u32_e64 v21, s[36:37], 0, -1, vcc
	v_cmp_ne_u32_e32 vcc, 0, v3
	v_xor_b32_e32 v3, vcc_hi, v21
	v_lshlrev_b32_e32 v21, 30, v2
	v_xor_b32_e32 v4, vcc_lo, v4
	v_cmp_gt_i64_e32 vcc, 0, v[20:21]
	v_not_b32_e32 v21, v21
	v_ashrrev_i32_e32 v21, 31, v21
	v_and_b32_e32 v4, exec_lo, v4
	v_xor_b32_e32 v107, vcc_hi, v21
	v_xor_b32_e32 v21, vcc_lo, v21
	v_and_b32_e32 v4, v4, v21
	v_lshlrev_b32_e32 v21, 29, v2
	v_cmp_gt_i64_e32 vcc, 0, v[20:21]
	v_not_b32_e32 v21, v21
	v_and_b32_e32 v3, exec_hi, v3
	v_ashrrev_i32_e32 v21, 31, v21
	v_and_b32_e32 v3, v3, v107
	v_xor_b32_e32 v107, vcc_hi, v21
	v_xor_b32_e32 v21, vcc_lo, v21
	v_and_b32_e32 v4, v4, v21
	v_lshlrev_b32_e32 v21, 28, v2
	v_cmp_gt_i64_e32 vcc, 0, v[20:21]
	v_not_b32_e32 v21, v21
	v_ashrrev_i32_e32 v21, 31, v21
	v_and_b32_e32 v3, v3, v107
	v_xor_b32_e32 v107, vcc_hi, v21
	v_xor_b32_e32 v21, vcc_lo, v21
	v_and_b32_e32 v4, v4, v21
	v_lshlrev_b32_e32 v21, 27, v2
	v_cmp_gt_i64_e32 vcc, 0, v[20:21]
	v_not_b32_e32 v21, v21
	;; [unrolled: 8-line block ×4, first 2 shown]
	v_ashrrev_i32_e32 v21, 31, v21
	v_and_b32_e32 v3, v3, v107
	v_xor_b32_e32 v107, vcc_hi, v21
	v_xor_b32_e32 v21, vcc_lo, v21
	v_and_b32_e32 v4, v4, v21
	v_lshlrev_b32_e32 v21, 24, v2
	v_not_b32_e32 v2, v21
	v_cmp_gt_i64_e32 vcc, 0, v[20:21]
	v_ashrrev_i32_e32 v2, 31, v2
	v_xor_b32_e32 v21, vcc_hi, v2
	v_xor_b32_e32 v2, vcc_lo, v2
	v_and_b32_e32 v3, v3, v107
	v_and_b32_e32 v2, v4, v2
	;; [unrolled: 1-line block ×3, first 2 shown]
	v_mbcnt_lo_u32_b32 v4, v2, 0
	v_mbcnt_hi_u32_b32 v107, v3, v4
	v_cmp_eq_u32_e32 vcc, 0, v107
	v_cmp_ne_u64_e64 s[36:37], 0, v[2:3]
	s_and_b64 s[38:39], s[36:37], vcc
	; wave barrier
	s_and_saveexec_b64 s[36:37], s[38:39]
	s_cbranch_execz .LBB1326_86
; %bb.85:                               ;   in Loop: Header=BB1326_66 Depth=2
	v_bcnt_u32_b32 v2, v2, 0
	v_bcnt_u32_b32 v2, v3, v2
	s_waitcnt lgkmcnt(0)
	v_add_u32_e32 v2, v105, v2
	ds_write_b32 v106, v2
.LBB1326_86:                            ;   in Loop: Header=BB1326_66 Depth=2
	s_or_b64 exec, exec, s[36:37]
	v_cmp_gt_i32_e32 vcc, 0, v5
	v_cndmask_b32_e64 v2, v73, 0, vcc
	v_xor_b32_e32 v108, v2, v5
	v_cmp_ne_u32_e32 vcc, s76, v108
	v_cndmask_b32_e32 v2, v73, v108, vcc
	v_lshrrev_b32_e32 v2, s85, v2
	v_and_b32_e32 v2, s86, v2
	v_mul_u32_u24_e32 v3, 5, v2
	v_add_lshl_u32 v3, v3, v98, 2
	; wave barrier
	v_add_u32_e32 v110, 0x410, v3
	ds_read_b32 v109, v3 offset:1040
	v_and_b32_e32 v3, 1, v2
	v_add_co_u32_e32 v4, vcc, -1, v3
	v_addc_co_u32_e64 v5, s[36:37], 0, -1, vcc
	v_cmp_ne_u32_e32 vcc, 0, v3
	v_lshlrev_b32_e32 v21, 30, v2
	v_xor_b32_e32 v3, vcc_hi, v5
	v_not_b32_e32 v5, v21
	v_xor_b32_e32 v4, vcc_lo, v4
	v_cmp_gt_i64_e32 vcc, 0, v[20:21]
	v_ashrrev_i32_e32 v5, 31, v5
	v_and_b32_e32 v3, exec_hi, v3
	v_xor_b32_e32 v21, vcc_hi, v5
	v_and_b32_e32 v4, exec_lo, v4
	v_xor_b32_e32 v5, vcc_lo, v5
	v_and_b32_e32 v3, v3, v21
	v_lshlrev_b32_e32 v21, 29, v2
	v_and_b32_e32 v4, v4, v5
	v_not_b32_e32 v5, v21
	v_cmp_gt_i64_e32 vcc, 0, v[20:21]
	v_ashrrev_i32_e32 v5, 31, v5
	v_xor_b32_e32 v21, vcc_hi, v5
	v_xor_b32_e32 v5, vcc_lo, v5
	v_and_b32_e32 v3, v3, v21
	v_lshlrev_b32_e32 v21, 28, v2
	v_and_b32_e32 v4, v4, v5
	v_not_b32_e32 v5, v21
	v_cmp_gt_i64_e32 vcc, 0, v[20:21]
	v_ashrrev_i32_e32 v5, 31, v5
	v_xor_b32_e32 v21, vcc_hi, v5
	;; [unrolled: 8-line block ×5, first 2 shown]
	v_and_b32_e32 v3, v3, v21
	v_lshlrev_b32_e32 v21, 24, v2
	v_not_b32_e32 v2, v21
	v_xor_b32_e32 v5, vcc_lo, v5
	v_cmp_gt_i64_e32 vcc, 0, v[20:21]
	v_ashrrev_i32_e32 v2, 31, v2
	v_and_b32_e32 v4, v4, v5
	v_xor_b32_e32 v5, vcc_hi, v2
	v_xor_b32_e32 v2, vcc_lo, v2
	v_and_b32_e32 v2, v4, v2
	v_and_b32_e32 v3, v3, v5
	v_mbcnt_lo_u32_b32 v4, v2, 0
	v_mbcnt_hi_u32_b32 v111, v3, v4
	v_cmp_eq_u32_e32 vcc, 0, v111
	v_cmp_ne_u64_e64 s[36:37], 0, v[2:3]
	s_and_b64 s[38:39], s[36:37], vcc
	; wave barrier
	s_and_saveexec_b64 s[36:37], s[38:39]
	s_cbranch_execz .LBB1326_88
; %bb.87:                               ;   in Loop: Header=BB1326_66 Depth=2
	v_bcnt_u32_b32 v2, v2, 0
	v_bcnt_u32_b32 v2, v3, v2
	s_waitcnt lgkmcnt(0)
	v_add_u32_e32 v2, v109, v2
	ds_write_b32 v110, v2
.LBB1326_88:                            ;   in Loop: Header=BB1326_66 Depth=2
	s_or_b64 exec, exec, s[36:37]
	v_cmp_gt_i32_e32 vcc, 0, v6
	v_cndmask_b32_e64 v2, v73, 0, vcc
	v_xor_b32_e32 v112, v2, v6
	v_cmp_ne_u32_e32 vcc, s76, v112
	v_cndmask_b32_e32 v2, v73, v112, vcc
	v_lshrrev_b32_e32 v2, s85, v2
	v_and_b32_e32 v2, s86, v2
	v_mul_u32_u24_e32 v3, 5, v2
	v_add_lshl_u32 v3, v3, v98, 2
	; wave barrier
	v_add_u32_e32 v113, 0x410, v3
	ds_read_b32 v6, v3 offset:1040
	v_and_b32_e32 v3, 1, v2
	v_add_co_u32_e32 v4, vcc, -1, v3
	v_addc_co_u32_e64 v5, s[36:37], 0, -1, vcc
	v_cmp_ne_u32_e32 vcc, 0, v3
	v_lshlrev_b32_e32 v21, 30, v2
	v_xor_b32_e32 v3, vcc_hi, v5
	v_not_b32_e32 v5, v21
	v_xor_b32_e32 v4, vcc_lo, v4
	v_cmp_gt_i64_e32 vcc, 0, v[20:21]
	v_ashrrev_i32_e32 v5, 31, v5
	v_and_b32_e32 v3, exec_hi, v3
	v_xor_b32_e32 v21, vcc_hi, v5
	v_and_b32_e32 v4, exec_lo, v4
	v_xor_b32_e32 v5, vcc_lo, v5
	v_and_b32_e32 v3, v3, v21
	v_lshlrev_b32_e32 v21, 29, v2
	v_and_b32_e32 v4, v4, v5
	v_not_b32_e32 v5, v21
	v_cmp_gt_i64_e32 vcc, 0, v[20:21]
	v_ashrrev_i32_e32 v5, 31, v5
	v_xor_b32_e32 v21, vcc_hi, v5
	v_xor_b32_e32 v5, vcc_lo, v5
	v_and_b32_e32 v3, v3, v21
	v_lshlrev_b32_e32 v21, 28, v2
	v_and_b32_e32 v4, v4, v5
	v_not_b32_e32 v5, v21
	v_cmp_gt_i64_e32 vcc, 0, v[20:21]
	v_ashrrev_i32_e32 v5, 31, v5
	v_xor_b32_e32 v21, vcc_hi, v5
	;; [unrolled: 8-line block ×5, first 2 shown]
	v_and_b32_e32 v3, v3, v21
	v_lshlrev_b32_e32 v21, 24, v2
	v_not_b32_e32 v2, v21
	v_xor_b32_e32 v5, vcc_lo, v5
	v_cmp_gt_i64_e32 vcc, 0, v[20:21]
	v_ashrrev_i32_e32 v2, 31, v2
	v_and_b32_e32 v4, v4, v5
	v_xor_b32_e32 v5, vcc_hi, v2
	v_xor_b32_e32 v2, vcc_lo, v2
	v_and_b32_e32 v2, v4, v2
	v_and_b32_e32 v3, v3, v5
	v_mbcnt_lo_u32_b32 v4, v2, 0
	v_mbcnt_hi_u32_b32 v114, v3, v4
	v_cmp_eq_u32_e32 vcc, 0, v114
	v_cmp_ne_u64_e64 s[36:37], 0, v[2:3]
	s_and_b64 s[38:39], s[36:37], vcc
	; wave barrier
	s_and_saveexec_b64 s[36:37], s[38:39]
	s_cbranch_execz .LBB1326_90
; %bb.89:                               ;   in Loop: Header=BB1326_66 Depth=2
	v_bcnt_u32_b32 v2, v2, 0
	v_bcnt_u32_b32 v2, v3, v2
	s_waitcnt lgkmcnt(0)
	v_add_u32_e32 v2, v6, v2
	ds_write_b32 v113, v2
.LBB1326_90:                            ;   in Loop: Header=BB1326_66 Depth=2
	s_or_b64 exec, exec, s[36:37]
	v_cmp_gt_i32_e32 vcc, 0, v7
	v_cndmask_b32_e64 v2, v73, 0, vcc
	v_xor_b32_e32 v115, v2, v7
	v_cmp_ne_u32_e32 vcc, s76, v115
	v_cndmask_b32_e32 v2, v73, v115, vcc
	v_lshrrev_b32_e32 v2, s85, v2
	v_and_b32_e32 v2, s86, v2
	v_mul_u32_u24_e32 v3, 5, v2
	v_add_lshl_u32 v3, v3, v98, 2
	; wave barrier
	v_add_u32_e32 v116, 0x410, v3
	ds_read_b32 v7, v3 offset:1040
	v_and_b32_e32 v3, 1, v2
	v_add_co_u32_e32 v4, vcc, -1, v3
	v_addc_co_u32_e64 v5, s[36:37], 0, -1, vcc
	v_cmp_ne_u32_e32 vcc, 0, v3
	v_lshlrev_b32_e32 v21, 30, v2
	v_xor_b32_e32 v3, vcc_hi, v5
	v_not_b32_e32 v5, v21
	v_xor_b32_e32 v4, vcc_lo, v4
	v_cmp_gt_i64_e32 vcc, 0, v[20:21]
	v_ashrrev_i32_e32 v5, 31, v5
	v_and_b32_e32 v3, exec_hi, v3
	v_xor_b32_e32 v21, vcc_hi, v5
	v_and_b32_e32 v4, exec_lo, v4
	v_xor_b32_e32 v5, vcc_lo, v5
	v_and_b32_e32 v3, v3, v21
	v_lshlrev_b32_e32 v21, 29, v2
	v_and_b32_e32 v4, v4, v5
	v_not_b32_e32 v5, v21
	v_cmp_gt_i64_e32 vcc, 0, v[20:21]
	v_ashrrev_i32_e32 v5, 31, v5
	v_xor_b32_e32 v21, vcc_hi, v5
	v_xor_b32_e32 v5, vcc_lo, v5
	v_and_b32_e32 v3, v3, v21
	v_lshlrev_b32_e32 v21, 28, v2
	v_and_b32_e32 v4, v4, v5
	v_not_b32_e32 v5, v21
	v_cmp_gt_i64_e32 vcc, 0, v[20:21]
	v_ashrrev_i32_e32 v5, 31, v5
	v_xor_b32_e32 v21, vcc_hi, v5
	;; [unrolled: 8-line block ×5, first 2 shown]
	v_and_b32_e32 v3, v3, v21
	v_lshlrev_b32_e32 v21, 24, v2
	v_not_b32_e32 v2, v21
	v_xor_b32_e32 v5, vcc_lo, v5
	v_cmp_gt_i64_e32 vcc, 0, v[20:21]
	v_ashrrev_i32_e32 v2, 31, v2
	v_and_b32_e32 v4, v4, v5
	v_xor_b32_e32 v5, vcc_hi, v2
	v_xor_b32_e32 v2, vcc_lo, v2
	v_and_b32_e32 v2, v4, v2
	v_and_b32_e32 v3, v3, v5
	v_mbcnt_lo_u32_b32 v4, v2, 0
	v_mbcnt_hi_u32_b32 v117, v3, v4
	v_cmp_eq_u32_e32 vcc, 0, v117
	v_cmp_ne_u64_e64 s[36:37], 0, v[2:3]
	s_and_b64 s[38:39], s[36:37], vcc
	; wave barrier
	s_and_saveexec_b64 s[36:37], s[38:39]
	s_cbranch_execz .LBB1326_92
; %bb.91:                               ;   in Loop: Header=BB1326_66 Depth=2
	v_bcnt_u32_b32 v2, v2, 0
	v_bcnt_u32_b32 v2, v3, v2
	s_waitcnt lgkmcnt(0)
	v_add_u32_e32 v2, v7, v2
	ds_write_b32 v116, v2
.LBB1326_92:                            ;   in Loop: Header=BB1326_66 Depth=2
	s_or_b64 exec, exec, s[36:37]
	v_cmp_gt_i32_e32 vcc, 0, v8
	v_cndmask_b32_e64 v2, v73, 0, vcc
	v_xor_b32_e32 v118, v2, v8
	v_cmp_ne_u32_e32 vcc, s76, v118
	v_cndmask_b32_e32 v2, v73, v118, vcc
	v_lshrrev_b32_e32 v2, s85, v2
	v_and_b32_e32 v2, s86, v2
	v_mul_u32_u24_e32 v3, 5, v2
	v_add_lshl_u32 v3, v3, v98, 2
	; wave barrier
	v_add_u32_e32 v8, 0x410, v3
	ds_read_b32 v119, v3 offset:1040
	v_and_b32_e32 v3, 1, v2
	v_add_co_u32_e32 v4, vcc, -1, v3
	v_addc_co_u32_e64 v5, s[36:37], 0, -1, vcc
	v_cmp_ne_u32_e32 vcc, 0, v3
	v_lshlrev_b32_e32 v21, 30, v2
	v_xor_b32_e32 v3, vcc_hi, v5
	v_not_b32_e32 v5, v21
	v_xor_b32_e32 v4, vcc_lo, v4
	v_cmp_gt_i64_e32 vcc, 0, v[20:21]
	v_ashrrev_i32_e32 v5, 31, v5
	v_and_b32_e32 v3, exec_hi, v3
	v_xor_b32_e32 v21, vcc_hi, v5
	v_and_b32_e32 v4, exec_lo, v4
	v_xor_b32_e32 v5, vcc_lo, v5
	v_and_b32_e32 v3, v3, v21
	v_lshlrev_b32_e32 v21, 29, v2
	v_and_b32_e32 v4, v4, v5
	v_not_b32_e32 v5, v21
	v_cmp_gt_i64_e32 vcc, 0, v[20:21]
	v_ashrrev_i32_e32 v5, 31, v5
	v_xor_b32_e32 v21, vcc_hi, v5
	v_xor_b32_e32 v5, vcc_lo, v5
	v_and_b32_e32 v3, v3, v21
	v_lshlrev_b32_e32 v21, 28, v2
	v_and_b32_e32 v4, v4, v5
	v_not_b32_e32 v5, v21
	v_cmp_gt_i64_e32 vcc, 0, v[20:21]
	v_ashrrev_i32_e32 v5, 31, v5
	v_xor_b32_e32 v21, vcc_hi, v5
	;; [unrolled: 8-line block ×5, first 2 shown]
	v_and_b32_e32 v3, v3, v21
	v_lshlrev_b32_e32 v21, 24, v2
	v_not_b32_e32 v2, v21
	v_xor_b32_e32 v5, vcc_lo, v5
	v_cmp_gt_i64_e32 vcc, 0, v[20:21]
	v_ashrrev_i32_e32 v2, 31, v2
	v_and_b32_e32 v4, v4, v5
	v_xor_b32_e32 v5, vcc_hi, v2
	v_xor_b32_e32 v2, vcc_lo, v2
	v_and_b32_e32 v2, v4, v2
	v_and_b32_e32 v3, v3, v5
	v_mbcnt_lo_u32_b32 v4, v2, 0
	v_mbcnt_hi_u32_b32 v120, v3, v4
	v_cmp_eq_u32_e32 vcc, 0, v120
	v_cmp_ne_u64_e64 s[36:37], 0, v[2:3]
	s_and_b64 s[38:39], s[36:37], vcc
	; wave barrier
	s_and_saveexec_b64 s[36:37], s[38:39]
	s_cbranch_execz .LBB1326_94
; %bb.93:                               ;   in Loop: Header=BB1326_66 Depth=2
	v_bcnt_u32_b32 v2, v2, 0
	v_bcnt_u32_b32 v2, v3, v2
	s_waitcnt lgkmcnt(0)
	v_add_u32_e32 v2, v119, v2
	ds_write_b32 v8, v2
.LBB1326_94:                            ;   in Loop: Header=BB1326_66 Depth=2
	s_or_b64 exec, exec, s[36:37]
	v_cmp_gt_i32_e32 vcc, 0, v9
	v_cndmask_b32_e64 v2, v73, 0, vcc
	v_xor_b32_e32 v121, v2, v9
	v_cmp_ne_u32_e32 vcc, s76, v121
	v_cndmask_b32_e32 v2, v73, v121, vcc
	v_lshrrev_b32_e32 v2, s85, v2
	v_and_b32_e32 v2, s86, v2
	v_mul_u32_u24_e32 v3, 5, v2
	v_add_lshl_u32 v3, v3, v98, 2
	; wave barrier
	v_add_u32_e32 v9, 0x410, v3
	ds_read_b32 v122, v3 offset:1040
	v_and_b32_e32 v3, 1, v2
	v_add_co_u32_e32 v4, vcc, -1, v3
	v_addc_co_u32_e64 v5, s[36:37], 0, -1, vcc
	v_cmp_ne_u32_e32 vcc, 0, v3
	v_lshlrev_b32_e32 v21, 30, v2
	v_xor_b32_e32 v3, vcc_hi, v5
	v_not_b32_e32 v5, v21
	v_xor_b32_e32 v4, vcc_lo, v4
	v_cmp_gt_i64_e32 vcc, 0, v[20:21]
	v_ashrrev_i32_e32 v5, 31, v5
	v_and_b32_e32 v3, exec_hi, v3
	v_xor_b32_e32 v21, vcc_hi, v5
	v_and_b32_e32 v4, exec_lo, v4
	v_xor_b32_e32 v5, vcc_lo, v5
	v_and_b32_e32 v3, v3, v21
	v_lshlrev_b32_e32 v21, 29, v2
	v_and_b32_e32 v4, v4, v5
	v_not_b32_e32 v5, v21
	v_cmp_gt_i64_e32 vcc, 0, v[20:21]
	v_ashrrev_i32_e32 v5, 31, v5
	v_xor_b32_e32 v21, vcc_hi, v5
	v_xor_b32_e32 v5, vcc_lo, v5
	v_and_b32_e32 v3, v3, v21
	v_lshlrev_b32_e32 v21, 28, v2
	v_and_b32_e32 v4, v4, v5
	v_not_b32_e32 v5, v21
	v_cmp_gt_i64_e32 vcc, 0, v[20:21]
	v_ashrrev_i32_e32 v5, 31, v5
	v_xor_b32_e32 v21, vcc_hi, v5
	;; [unrolled: 8-line block ×5, first 2 shown]
	v_and_b32_e32 v3, v3, v21
	v_lshlrev_b32_e32 v21, 24, v2
	v_not_b32_e32 v2, v21
	v_xor_b32_e32 v5, vcc_lo, v5
	v_cmp_gt_i64_e32 vcc, 0, v[20:21]
	v_ashrrev_i32_e32 v2, 31, v2
	v_and_b32_e32 v4, v4, v5
	v_xor_b32_e32 v5, vcc_hi, v2
	v_xor_b32_e32 v2, vcc_lo, v2
	v_and_b32_e32 v2, v4, v2
	v_and_b32_e32 v3, v3, v5
	v_mbcnt_lo_u32_b32 v4, v2, 0
	v_mbcnt_hi_u32_b32 v123, v3, v4
	v_cmp_eq_u32_e32 vcc, 0, v123
	v_cmp_ne_u64_e64 s[36:37], 0, v[2:3]
	s_and_b64 s[38:39], s[36:37], vcc
	; wave barrier
	s_and_saveexec_b64 s[36:37], s[38:39]
	s_cbranch_execz .LBB1326_96
; %bb.95:                               ;   in Loop: Header=BB1326_66 Depth=2
	v_bcnt_u32_b32 v2, v2, 0
	v_bcnt_u32_b32 v2, v3, v2
	s_waitcnt lgkmcnt(0)
	v_add_u32_e32 v2, v122, v2
	ds_write_b32 v9, v2
.LBB1326_96:                            ;   in Loop: Header=BB1326_66 Depth=2
	s_or_b64 exec, exec, s[36:37]
	; wave barrier
	s_waitcnt lgkmcnt(0)
	s_barrier
	ds_read_b32 v21, v50 offset:1040
	ds_read2_b32 v[4:5], v52 offset0:1 offset1:2
	ds_read2_b32 v[2:3], v52 offset0:3 offset1:4
	s_waitcnt lgkmcnt(1)
	v_add3_u32 v124, v4, v21, v5
	s_waitcnt lgkmcnt(0)
	v_add3_u32 v3, v124, v2, v3
	s_nop 1
	v_mov_b32_dpp v124, v3 row_shr:1 row_mask:0xf bank_mask:0xf
	v_cndmask_b32_e64 v124, v124, 0, s[16:17]
	v_add_u32_e32 v3, v124, v3
	s_nop 1
	v_mov_b32_dpp v124, v3 row_shr:2 row_mask:0xf bank_mask:0xf
	v_cndmask_b32_e64 v124, 0, v124, s[18:19]
	v_add_u32_e32 v3, v3, v124
	;; [unrolled: 4-line block ×4, first 2 shown]
	s_nop 1
	v_mov_b32_dpp v124, v3 row_bcast:15 row_mask:0xf bank_mask:0xf
	v_cndmask_b32_e64 v124, v124, 0, s[24:25]
	v_add_u32_e32 v3, v3, v124
	s_nop 1
	v_mov_b32_dpp v124, v3 row_bcast:31 row_mask:0xf bank_mask:0xf
	v_cndmask_b32_e64 v124, 0, v124, s[26:27]
	v_add_u32_e32 v3, v3, v124
	s_and_saveexec_b64 s[36:37], s[6:7]
	s_cbranch_execz .LBB1326_98
; %bb.97:                               ;   in Loop: Header=BB1326_66 Depth=2
	ds_write_b32 v43, v3 offset:1024
.LBB1326_98:                            ;   in Loop: Header=BB1326_66 Depth=2
	s_or_b64 exec, exec, s[36:37]
	s_waitcnt lgkmcnt(0)
	s_barrier
	s_and_saveexec_b64 s[36:37], s[8:9]
	s_cbranch_execz .LBB1326_100
; %bb.99:                               ;   in Loop: Header=BB1326_66 Depth=2
	ds_read_b32 v124, v53 offset:1024
	s_waitcnt lgkmcnt(0)
	s_nop 0
	v_mov_b32_dpp v125, v124 row_shr:1 row_mask:0xf bank_mask:0xf
	v_cndmask_b32_e64 v125, v125, 0, s[30:31]
	v_add_u32_e32 v124, v125, v124
	s_nop 1
	v_mov_b32_dpp v125, v124 row_shr:2 row_mask:0xf bank_mask:0xf
	v_cndmask_b32_e64 v125, 0, v125, s[34:35]
	v_add_u32_e32 v124, v124, v125
	ds_write_b32 v53, v124 offset:1024
.LBB1326_100:                           ;   in Loop: Header=BB1326_66 Depth=2
	s_or_b64 exec, exec, s[36:37]
	v_mov_b32_e32 v124, 0
	s_waitcnt lgkmcnt(0)
	s_barrier
	s_and_saveexec_b64 s[36:37], s[10:11]
	s_cbranch_execz .LBB1326_102
; %bb.101:                              ;   in Loop: Header=BB1326_66 Depth=2
	ds_read_b32 v124, v43 offset:1020
.LBB1326_102:                           ;   in Loop: Header=BB1326_66 Depth=2
	s_or_b64 exec, exec, s[36:37]
	s_waitcnt lgkmcnt(0)
	v_add_u32_e32 v3, v124, v3
	ds_bpermute_b32 v3, v75, v3
	s_waitcnt lgkmcnt(0)
	v_cndmask_b32_e64 v3, v3, v124, s[28:29]
	v_cndmask_b32_e64 v3, v3, 0, s[12:13]
	v_add_u32_e32 v21, v3, v21
	ds_write_b32 v50, v3 offset:1040
	v_add_u32_e32 v3, v21, v4
	v_add_u32_e32 v4, v3, v5
	;; [unrolled: 1-line block ×3, first 2 shown]
	ds_write2_b32 v52, v21, v3 offset0:1 offset1:2
	ds_write2_b32 v52, v4, v2 offset0:3 offset1:4
	s_waitcnt lgkmcnt(0)
	s_barrier
	ds_read_b32 v2, v102
	ds_read_b32 v3, v106
	;; [unrolled: 1-line block ×8, first 2 shown]
	ds_read_b32 v9, v50 offset:1040
	v_mov_b32_e32 v4, 0x800
	s_and_saveexec_b64 s[36:37], s[14:15]
	s_cbranch_execz .LBB1326_104
; %bb.103:                              ;   in Loop: Header=BB1326_66 Depth=2
	ds_read_b32 v4, v50 offset:1060
.LBB1326_104:                           ;   in Loop: Header=BB1326_66 Depth=2
	s_or_b64 exec, exec, s[36:37]
	s_waitcnt lgkmcnt(0)
	s_barrier
	s_and_saveexec_b64 s[36:37], s[4:5]
	s_cbranch_execz .LBB1326_106
; %bb.105:                              ;   in Loop: Header=BB1326_66 Depth=2
	ds_read_b32 v21, v19
	s_waitcnt lgkmcnt(0)
	v_sub_u32_e32 v9, v21, v9
	ds_write_b32 v19, v9
.LBB1326_106:                           ;   in Loop: Header=BB1326_66 Depth=2
	s_or_b64 exec, exec, s[36:37]
	v_add_u32_e32 v100, v8, v101
	v_add3_u32 v39, v103, v39, v2
	v_lshlrev_b32_e32 v2, 2, v100
	v_add3_u32 v21, v107, v105, v3
	ds_write_b32 v2, v99 offset:1024
	v_lshlrev_b32_e32 v2, 2, v39
	v_add3_u32 v9, v111, v109, v5
	ds_write_b32 v2, v38 offset:1024
	;; [unrolled: 3-line block ×6, first 2 shown]
	v_lshlrev_b32_e32 v2, 2, v6
	ds_write_b32 v2, v118 offset:1024
	v_lshlrev_b32_e32 v2, 2, v5
	v_cmp_lt_u32_e32 vcc, v18, v0
	ds_write_b32 v2, v121 offset:1024
	s_waitcnt lgkmcnt(0)
	s_barrier
	s_and_saveexec_b64 s[38:39], vcc
	s_cbranch_execz .LBB1326_114
; %bb.107:                              ;   in Loop: Header=BB1326_66 Depth=2
	ds_read_b32 v2, v53 offset:1024
	v_mov_b32_e32 v3, v20
	v_mov_b32_e32 v99, s59
	s_waitcnt lgkmcnt(0)
	v_cmp_ne_u32_e64 s[36:37], s76, v2
	v_cndmask_b32_e64 v38, v73, v2, s[36:37]
	v_lshrrev_b32_e32 v38, s85, v38
	v_and_b32_e32 v38, s86, v38
	v_lshlrev_b32_e32 v38, 2, v38
	ds_read_b32 v38, v38
	v_cmp_gt_i32_e64 s[36:37], 0, v2
	v_cndmask_b32_e64 v101, v73, 0, s[36:37]
	v_xor_b32_e32 v101, v101, v2
	s_waitcnt lgkmcnt(0)
	v_add_u32_e32 v2, v38, v18
	v_lshlrev_b64 v[2:3], 2, v[2:3]
	v_add_co_u32_e64 v2, s[36:37], s58, v2
	v_addc_co_u32_e64 v3, s[36:37], v99, v3, s[36:37]
	global_store_dword v[2:3], v101, off
	s_or_b64 exec, exec, s[38:39]
	v_cmp_lt_u32_e64 s[36:37], v23, v0
	s_and_saveexec_b64 s[40:41], s[36:37]
	s_cbranch_execnz .LBB1326_115
.LBB1326_108:                           ;   in Loop: Header=BB1326_66 Depth=2
	s_or_b64 exec, exec, s[40:41]
	v_cmp_lt_u32_e64 s[38:39], v25, v0
	s_and_saveexec_b64 s[42:43], s[38:39]
	s_cbranch_execz .LBB1326_116
.LBB1326_109:                           ;   in Loop: Header=BB1326_66 Depth=2
	ds_read_b32 v2, v58 offset:2048
	v_mov_b32_e32 v3, v20
	v_mov_b32_e32 v99, s59
	s_waitcnt lgkmcnt(0)
	v_cmp_ne_u32_e64 s[40:41], s76, v2
	v_cndmask_b32_e64 v38, v73, v2, s[40:41]
	v_lshrrev_b32_e32 v38, s85, v38
	v_and_b32_e32 v38, s86, v38
	v_lshlrev_b32_e32 v38, 2, v38
	ds_read_b32 v38, v38
	v_cmp_gt_i32_e64 s[40:41], 0, v2
	v_cndmask_b32_e64 v101, v73, 0, s[40:41]
	v_xor_b32_e32 v101, v101, v2
	s_waitcnt lgkmcnt(0)
	v_add_u32_e32 v2, v38, v25
	v_lshlrev_b64 v[2:3], 2, v[2:3]
	v_add_co_u32_e64 v2, s[40:41], s58, v2
	v_addc_co_u32_e64 v3, s[40:41], v99, v3, s[40:41]
	global_store_dword v[2:3], v101, off
	s_or_b64 exec, exec, s[42:43]
	v_cmp_lt_u32_e64 s[40:41], v27, v0
	s_and_saveexec_b64 s[44:45], s[40:41]
	s_cbranch_execnz .LBB1326_117
.LBB1326_110:                           ;   in Loop: Header=BB1326_66 Depth=2
	s_or_b64 exec, exec, s[44:45]
	v_cmp_lt_u32_e64 s[42:43], v22, v0
	s_and_saveexec_b64 s[46:47], s[42:43]
	s_cbranch_execz .LBB1326_118
.LBB1326_111:                           ;   in Loop: Header=BB1326_66 Depth=2
	ds_read_b32 v2, v58 offset:4096
	v_mov_b32_e32 v3, v20
	v_mov_b32_e32 v99, s59
	s_waitcnt lgkmcnt(0)
	v_cmp_ne_u32_e64 s[44:45], s76, v2
	v_cndmask_b32_e64 v38, v73, v2, s[44:45]
	v_lshrrev_b32_e32 v38, s85, v38
	v_and_b32_e32 v38, s86, v38
	v_lshlrev_b32_e32 v38, 2, v38
	ds_read_b32 v38, v38
	v_cmp_gt_i32_e64 s[44:45], 0, v2
	v_cndmask_b32_e64 v101, v73, 0, s[44:45]
	v_xor_b32_e32 v101, v101, v2
	s_waitcnt lgkmcnt(0)
	v_add_u32_e32 v2, v38, v22
	v_lshlrev_b64 v[2:3], 2, v[2:3]
	v_add_co_u32_e64 v2, s[44:45], s58, v2
	v_addc_co_u32_e64 v3, s[44:45], v99, v3, s[44:45]
	global_store_dword v[2:3], v101, off
	s_or_b64 exec, exec, s[46:47]
	v_cmp_lt_u32_e64 s[44:45], v24, v0
	s_and_saveexec_b64 s[48:49], s[44:45]
	s_cbranch_execnz .LBB1326_119
.LBB1326_112:                           ;   in Loop: Header=BB1326_66 Depth=2
	s_or_b64 exec, exec, s[48:49]
	v_cmp_lt_u32_e64 s[46:47], v26, v0
	s_and_saveexec_b64 s[52:53], s[46:47]
	s_cbranch_execz .LBB1326_120
.LBB1326_113:                           ;   in Loop: Header=BB1326_66 Depth=2
	ds_read_b32 v2, v58 offset:6144
	v_mov_b32_e32 v3, v20
	v_mov_b32_e32 v99, s59
	s_waitcnt lgkmcnt(0)
	v_cmp_ne_u32_e64 s[48:49], s76, v2
	v_cndmask_b32_e64 v38, v73, v2, s[48:49]
	v_lshrrev_b32_e32 v38, s85, v38
	v_and_b32_e32 v38, s86, v38
	v_lshlrev_b32_e32 v38, 2, v38
	ds_read_b32 v38, v38
	v_cmp_gt_i32_e64 s[48:49], 0, v2
	v_cndmask_b32_e64 v101, v73, 0, s[48:49]
	v_xor_b32_e32 v101, v101, v2
	s_waitcnt lgkmcnt(0)
	v_add_u32_e32 v2, v38, v26
	v_lshlrev_b64 v[2:3], 2, v[2:3]
	v_add_co_u32_e64 v2, s[48:49], s58, v2
	v_addc_co_u32_e64 v3, s[48:49], v99, v3, s[48:49]
	global_store_dword v[2:3], v101, off
	s_or_b64 exec, exec, s[52:53]
	v_cmp_lt_u32_e64 s[48:49], v28, v0
	s_and_saveexec_b64 s[62:63], s[48:49]
	s_cbranch_execnz .LBB1326_121
	s_branch .LBB1326_122
.LBB1326_114:                           ;   in Loop: Header=BB1326_66 Depth=2
	s_or_b64 exec, exec, s[38:39]
	v_cmp_lt_u32_e64 s[36:37], v23, v0
	s_and_saveexec_b64 s[40:41], s[36:37]
	s_cbranch_execz .LBB1326_108
.LBB1326_115:                           ;   in Loop: Header=BB1326_66 Depth=2
	ds_read_b32 v2, v58 offset:1024
	v_mov_b32_e32 v3, v20
	v_mov_b32_e32 v99, s59
	s_waitcnt lgkmcnt(0)
	v_cmp_ne_u32_e64 s[38:39], s76, v2
	v_cndmask_b32_e64 v38, v73, v2, s[38:39]
	v_lshrrev_b32_e32 v38, s85, v38
	v_and_b32_e32 v38, s86, v38
	v_lshlrev_b32_e32 v38, 2, v38
	ds_read_b32 v38, v38
	v_cmp_gt_i32_e64 s[38:39], 0, v2
	v_cndmask_b32_e64 v101, v73, 0, s[38:39]
	v_xor_b32_e32 v101, v101, v2
	s_waitcnt lgkmcnt(0)
	v_add_u32_e32 v2, v38, v23
	v_lshlrev_b64 v[2:3], 2, v[2:3]
	v_add_co_u32_e64 v2, s[38:39], s58, v2
	v_addc_co_u32_e64 v3, s[38:39], v99, v3, s[38:39]
	global_store_dword v[2:3], v101, off
	s_or_b64 exec, exec, s[40:41]
	v_cmp_lt_u32_e64 s[38:39], v25, v0
	s_and_saveexec_b64 s[42:43], s[38:39]
	s_cbranch_execnz .LBB1326_109
.LBB1326_116:                           ;   in Loop: Header=BB1326_66 Depth=2
	s_or_b64 exec, exec, s[42:43]
	v_cmp_lt_u32_e64 s[40:41], v27, v0
	s_and_saveexec_b64 s[44:45], s[40:41]
	s_cbranch_execz .LBB1326_110
.LBB1326_117:                           ;   in Loop: Header=BB1326_66 Depth=2
	ds_read_b32 v2, v58 offset:3072
	v_mov_b32_e32 v3, v20
	v_mov_b32_e32 v99, s59
	s_waitcnt lgkmcnt(0)
	v_cmp_ne_u32_e64 s[42:43], s76, v2
	v_cndmask_b32_e64 v38, v73, v2, s[42:43]
	v_lshrrev_b32_e32 v38, s85, v38
	v_and_b32_e32 v38, s86, v38
	v_lshlrev_b32_e32 v38, 2, v38
	ds_read_b32 v38, v38
	v_cmp_gt_i32_e64 s[42:43], 0, v2
	v_cndmask_b32_e64 v101, v73, 0, s[42:43]
	v_xor_b32_e32 v101, v101, v2
	s_waitcnt lgkmcnt(0)
	v_add_u32_e32 v2, v38, v27
	v_lshlrev_b64 v[2:3], 2, v[2:3]
	v_add_co_u32_e64 v2, s[42:43], s58, v2
	v_addc_co_u32_e64 v3, s[42:43], v99, v3, s[42:43]
	global_store_dword v[2:3], v101, off
	s_or_b64 exec, exec, s[44:45]
	v_cmp_lt_u32_e64 s[42:43], v22, v0
	s_and_saveexec_b64 s[46:47], s[42:43]
	s_cbranch_execnz .LBB1326_111
.LBB1326_118:                           ;   in Loop: Header=BB1326_66 Depth=2
	s_or_b64 exec, exec, s[46:47]
	v_cmp_lt_u32_e64 s[44:45], v24, v0
	s_and_saveexec_b64 s[48:49], s[44:45]
	s_cbranch_execz .LBB1326_112
.LBB1326_119:                           ;   in Loop: Header=BB1326_66 Depth=2
	ds_read_b32 v2, v58 offset:5120
	v_mov_b32_e32 v3, v20
	v_mov_b32_e32 v99, s59
	s_waitcnt lgkmcnt(0)
	v_cmp_ne_u32_e64 s[46:47], s76, v2
	v_cndmask_b32_e64 v38, v73, v2, s[46:47]
	v_lshrrev_b32_e32 v38, s85, v38
	v_and_b32_e32 v38, s86, v38
	v_lshlrev_b32_e32 v38, 2, v38
	ds_read_b32 v38, v38
	v_cmp_gt_i32_e64 s[46:47], 0, v2
	v_cndmask_b32_e64 v101, v73, 0, s[46:47]
	v_xor_b32_e32 v101, v101, v2
	s_waitcnt lgkmcnt(0)
	v_add_u32_e32 v2, v38, v24
	v_lshlrev_b64 v[2:3], 2, v[2:3]
	v_add_co_u32_e64 v2, s[46:47], s58, v2
	v_addc_co_u32_e64 v3, s[46:47], v99, v3, s[46:47]
	global_store_dword v[2:3], v101, off
	s_or_b64 exec, exec, s[48:49]
	v_cmp_lt_u32_e64 s[46:47], v26, v0
	s_and_saveexec_b64 s[52:53], s[46:47]
	s_cbranch_execnz .LBB1326_113
.LBB1326_120:                           ;   in Loop: Header=BB1326_66 Depth=2
	s_or_b64 exec, exec, s[52:53]
	v_cmp_lt_u32_e64 s[48:49], v28, v0
	s_and_saveexec_b64 s[62:63], s[48:49]
	s_cbranch_execz .LBB1326_122
.LBB1326_121:                           ;   in Loop: Header=BB1326_66 Depth=2
	ds_read_b32 v2, v58 offset:7168
	v_mov_b32_e32 v3, v20
	v_mov_b32_e32 v99, s59
	s_waitcnt lgkmcnt(0)
	v_cmp_ne_u32_e64 s[52:53], s76, v2
	v_cndmask_b32_e64 v38, v73, v2, s[52:53]
	v_lshrrev_b32_e32 v38, s85, v38
	v_and_b32_e32 v38, s86, v38
	v_lshlrev_b32_e32 v38, 2, v38
	ds_read_b32 v38, v38
	v_cmp_gt_i32_e64 s[52:53], 0, v2
	v_cndmask_b32_e64 v101, v73, 0, s[52:53]
	v_xor_b32_e32 v101, v101, v2
	s_waitcnt lgkmcnt(0)
	v_add_u32_e32 v2, v38, v28
	v_lshlrev_b64 v[2:3], 2, v[2:3]
	v_add_co_u32_e64 v2, s[52:53], s58, v2
	v_addc_co_u32_e64 v3, s[52:53], v99, v3, s[52:53]
	global_store_dword v[2:3], v101, off
.LBB1326_122:                           ;   in Loop: Header=BB1326_66 Depth=2
	s_or_b64 exec, exec, s[62:63]
	s_lshl_b64 s[52:53], s[80:81], 3
	v_mov_b32_e32 v3, s53
	v_add_co_u32_e64 v2, s[52:53], s52, v83
	v_addc_co_u32_e64 v3, s[52:53], v85, v3, s[52:53]
	v_cmp_lt_u32_e64 s[52:53], v80, v0
	s_and_saveexec_b64 s[62:63], s[52:53]
	s_xor_b64 s[52:53], exec, s[62:63]
	s_cbranch_execz .LBB1326_138
; %bb.123:                              ;   in Loop: Header=BB1326_66 Depth=2
	global_load_dwordx2 v[36:37], v[2:3], off
	s_or_b64 exec, exec, s[52:53]
	v_cmp_lt_u32_e64 s[52:53], v87, v0
	s_and_saveexec_b64 s[62:63], s[52:53]
	s_cbranch_execnz .LBB1326_139
.LBB1326_124:                           ;   in Loop: Header=BB1326_66 Depth=2
	s_or_b64 exec, exec, s[62:63]
	v_cmp_lt_u32_e64 s[52:53], v88, v0
	s_and_saveexec_b64 s[62:63], s[52:53]
	s_cbranch_execz .LBB1326_140
.LBB1326_125:                           ;   in Loop: Header=BB1326_66 Depth=2
	global_load_dwordx2 v[32:33], v[2:3], off offset:1024
	s_or_b64 exec, exec, s[62:63]
	v_cmp_lt_u32_e64 s[52:53], v89, v0
	s_and_saveexec_b64 s[62:63], s[52:53]
	s_cbranch_execnz .LBB1326_141
.LBB1326_126:                           ;   in Loop: Header=BB1326_66 Depth=2
	s_or_b64 exec, exec, s[62:63]
	v_cmp_lt_u32_e64 s[52:53], v90, v0
	s_and_saveexec_b64 s[62:63], s[52:53]
	s_cbranch_execz .LBB1326_142
.LBB1326_127:                           ;   in Loop: Header=BB1326_66 Depth=2
	global_load_dwordx2 v[16:17], v[2:3], off offset:2048
	s_or_b64 exec, exec, s[62:63]
	v_cmp_lt_u32_e64 s[52:53], v91, v0
	s_and_saveexec_b64 s[62:63], s[52:53]
	s_cbranch_execnz .LBB1326_143
.LBB1326_128:                           ;   in Loop: Header=BB1326_66 Depth=2
	s_or_b64 exec, exec, s[62:63]
	v_cmp_lt_u32_e64 s[52:53], v92, v0
	s_and_saveexec_b64 s[62:63], s[52:53]
	s_cbranch_execz .LBB1326_144
.LBB1326_129:                           ;   in Loop: Header=BB1326_66 Depth=2
	global_load_dwordx2 v[12:13], v[2:3], off offset:3072
	s_or_b64 exec, exec, s[62:63]
	v_cmp_lt_u32_e64 s[52:53], v93, v0
	s_and_saveexec_b64 s[62:63], s[52:53]
	s_cbranch_execnz .LBB1326_145
.LBB1326_130:                           ;   in Loop: Header=BB1326_66 Depth=2
	s_or_b64 exec, exec, s[62:63]
	s_and_saveexec_b64 s[62:63], vcc
	s_cbranch_execz .LBB1326_146
.LBB1326_131:                           ;   in Loop: Header=BB1326_66 Depth=2
	ds_read_b32 v0, v53 offset:1024
	s_waitcnt lgkmcnt(0)
	v_cmp_ne_u32_e64 s[52:53], s76, v0
	v_cndmask_b32_e64 v0, v73, v0, s[52:53]
	v_lshrrev_b32_e32 v0, s85, v0
	v_and_b32_e32 v86, s86, v0
	s_or_b64 exec, exec, s[62:63]
	s_and_saveexec_b64 s[62:63], s[36:37]
	s_cbranch_execnz .LBB1326_147
.LBB1326_132:                           ;   in Loop: Header=BB1326_66 Depth=2
	s_or_b64 exec, exec, s[62:63]
	s_and_saveexec_b64 s[62:63], s[38:39]
	s_cbranch_execz .LBB1326_148
.LBB1326_133:                           ;   in Loop: Header=BB1326_66 Depth=2
	ds_read_b32 v0, v58 offset:2048
	s_waitcnt lgkmcnt(0)
	v_cmp_ne_u32_e64 s[52:53], s76, v0
	v_cndmask_b32_e64 v0, v73, v0, s[52:53]
	v_lshrrev_b32_e32 v0, s85, v0
	v_and_b32_e32 v82, s86, v0
	s_or_b64 exec, exec, s[62:63]
	s_and_saveexec_b64 s[62:63], s[40:41]
	s_cbranch_execnz .LBB1326_149
.LBB1326_134:                           ;   in Loop: Header=BB1326_66 Depth=2
	s_or_b64 exec, exec, s[62:63]
	s_and_saveexec_b64 s[62:63], s[42:43]
	s_cbranch_execz .LBB1326_150
.LBB1326_135:                           ;   in Loop: Header=BB1326_66 Depth=2
	ds_read_b32 v0, v58 offset:4096
	s_waitcnt lgkmcnt(0)
	v_cmp_ne_u32_e64 s[52:53], s76, v0
	v_cndmask_b32_e64 v0, v73, v0, s[52:53]
	v_lshrrev_b32_e32 v0, s85, v0
	v_and_b32_e32 v79, s86, v0
	s_or_b64 exec, exec, s[62:63]
	s_and_saveexec_b64 s[62:63], s[44:45]
	s_cbranch_execnz .LBB1326_151
.LBB1326_136:                           ;   in Loop: Header=BB1326_66 Depth=2
	s_or_b64 exec, exec, s[62:63]
	s_and_saveexec_b64 s[62:63], s[46:47]
	s_cbranch_execz .LBB1326_152
.LBB1326_137:                           ;   in Loop: Header=BB1326_66 Depth=2
	ds_read_b32 v0, v58 offset:6144
	s_waitcnt lgkmcnt(0)
	v_cmp_ne_u32_e64 s[52:53], s76, v0
	v_cndmask_b32_e64 v0, v73, v0, s[52:53]
	v_lshrrev_b32_e32 v0, s85, v0
	v_and_b32_e32 v77, s86, v0
	s_or_b64 exec, exec, s[62:63]
	s_and_saveexec_b64 s[62:63], s[48:49]
	s_cbranch_execnz .LBB1326_153
	s_branch .LBB1326_154
.LBB1326_138:                           ;   in Loop: Header=BB1326_66 Depth=2
	s_or_b64 exec, exec, s[52:53]
	v_cmp_lt_u32_e64 s[52:53], v87, v0
	s_and_saveexec_b64 s[62:63], s[52:53]
	s_cbranch_execz .LBB1326_124
.LBB1326_139:                           ;   in Loop: Header=BB1326_66 Depth=2
	global_load_dwordx2 v[34:35], v[2:3], off offset:512
	s_or_b64 exec, exec, s[62:63]
	v_cmp_lt_u32_e64 s[52:53], v88, v0
	s_and_saveexec_b64 s[62:63], s[52:53]
	s_cbranch_execnz .LBB1326_125
.LBB1326_140:                           ;   in Loop: Header=BB1326_66 Depth=2
	s_or_b64 exec, exec, s[62:63]
	v_cmp_lt_u32_e64 s[52:53], v89, v0
	s_and_saveexec_b64 s[62:63], s[52:53]
	s_cbranch_execz .LBB1326_126
.LBB1326_141:                           ;   in Loop: Header=BB1326_66 Depth=2
	global_load_dwordx2 v[30:31], v[2:3], off offset:1536
	s_or_b64 exec, exec, s[62:63]
	v_cmp_lt_u32_e64 s[52:53], v90, v0
	s_and_saveexec_b64 s[62:63], s[52:53]
	s_cbranch_execnz .LBB1326_127
.LBB1326_142:                           ;   in Loop: Header=BB1326_66 Depth=2
	s_or_b64 exec, exec, s[62:63]
	v_cmp_lt_u32_e64 s[52:53], v91, v0
	s_and_saveexec_b64 s[62:63], s[52:53]
	s_cbranch_execz .LBB1326_128
.LBB1326_143:                           ;   in Loop: Header=BB1326_66 Depth=2
	global_load_dwordx2 v[14:15], v[2:3], off offset:2560
	s_or_b64 exec, exec, s[62:63]
	v_cmp_lt_u32_e64 s[52:53], v92, v0
	s_and_saveexec_b64 s[62:63], s[52:53]
	s_cbranch_execnz .LBB1326_129
.LBB1326_144:                           ;   in Loop: Header=BB1326_66 Depth=2
	s_or_b64 exec, exec, s[62:63]
	v_cmp_lt_u32_e64 s[52:53], v93, v0
	s_and_saveexec_b64 s[62:63], s[52:53]
	s_cbranch_execz .LBB1326_130
.LBB1326_145:                           ;   in Loop: Header=BB1326_66 Depth=2
	global_load_dwordx2 v[10:11], v[2:3], off offset:3584
	s_or_b64 exec, exec, s[62:63]
	s_and_saveexec_b64 s[62:63], vcc
	s_cbranch_execnz .LBB1326_131
.LBB1326_146:                           ;   in Loop: Header=BB1326_66 Depth=2
	s_or_b64 exec, exec, s[62:63]
	s_and_saveexec_b64 s[62:63], s[36:37]
	s_cbranch_execz .LBB1326_132
.LBB1326_147:                           ;   in Loop: Header=BB1326_66 Depth=2
	ds_read_b32 v0, v58 offset:1024
	s_waitcnt lgkmcnt(0)
	v_cmp_ne_u32_e64 s[52:53], s76, v0
	v_cndmask_b32_e64 v0, v73, v0, s[52:53]
	v_lshrrev_b32_e32 v0, s85, v0
	v_and_b32_e32 v84, s86, v0
	s_or_b64 exec, exec, s[62:63]
	s_and_saveexec_b64 s[62:63], s[38:39]
	s_cbranch_execnz .LBB1326_133
.LBB1326_148:                           ;   in Loop: Header=BB1326_66 Depth=2
	s_or_b64 exec, exec, s[62:63]
	s_and_saveexec_b64 s[62:63], s[40:41]
	s_cbranch_execz .LBB1326_134
.LBB1326_149:                           ;   in Loop: Header=BB1326_66 Depth=2
	ds_read_b32 v0, v58 offset:3072
	s_waitcnt lgkmcnt(0)
	v_cmp_ne_u32_e64 s[52:53], s76, v0
	v_cndmask_b32_e64 v0, v73, v0, s[52:53]
	v_lshrrev_b32_e32 v0, s85, v0
	v_and_b32_e32 v81, s86, v0
	s_or_b64 exec, exec, s[62:63]
	s_and_saveexec_b64 s[62:63], s[42:43]
	s_cbranch_execnz .LBB1326_135
.LBB1326_150:                           ;   in Loop: Header=BB1326_66 Depth=2
	s_or_b64 exec, exec, s[62:63]
	s_and_saveexec_b64 s[62:63], s[44:45]
	s_cbranch_execz .LBB1326_136
.LBB1326_151:                           ;   in Loop: Header=BB1326_66 Depth=2
	ds_read_b32 v0, v58 offset:5120
	s_waitcnt lgkmcnt(0)
	v_cmp_ne_u32_e64 s[52:53], s76, v0
	v_cndmask_b32_e64 v0, v73, v0, s[52:53]
	v_lshrrev_b32_e32 v0, s85, v0
	v_and_b32_e32 v78, s86, v0
	s_or_b64 exec, exec, s[62:63]
	s_and_saveexec_b64 s[62:63], s[46:47]
	s_cbranch_execnz .LBB1326_137
.LBB1326_152:                           ;   in Loop: Header=BB1326_66 Depth=2
	s_or_b64 exec, exec, s[62:63]
	s_and_saveexec_b64 s[62:63], s[48:49]
	s_cbranch_execz .LBB1326_154
.LBB1326_153:                           ;   in Loop: Header=BB1326_66 Depth=2
	ds_read_b32 v0, v58 offset:7168
	s_waitcnt lgkmcnt(0)
	v_cmp_ne_u32_e64 s[52:53], s76, v0
	v_cndmask_b32_e64 v0, v73, v0, s[52:53]
	v_lshrrev_b32_e32 v0, s85, v0
	v_and_b32_e32 v76, s86, v0
.LBB1326_154:                           ;   in Loop: Header=BB1326_66 Depth=2
	s_or_b64 exec, exec, s[62:63]
	v_lshlrev_b32_e32 v0, 3, v100
	s_barrier
	s_waitcnt vmcnt(0)
	ds_write_b64 v0, v[36:37] offset:1024
	v_lshlrev_b32_e32 v0, 3, v39
	ds_write_b64 v0, v[34:35] offset:1024
	v_lshlrev_b32_e32 v0, 3, v21
	;; [unrolled: 2-line block ×7, first 2 shown]
	ds_write_b64 v0, v[10:11] offset:1024
	s_waitcnt lgkmcnt(0)
	s_barrier
	s_and_saveexec_b64 s[52:53], vcc
	s_cbranch_execz .LBB1326_162
; %bb.155:                              ;   in Loop: Header=BB1326_66 Depth=2
	v_lshlrev_b32_e32 v0, 2, v86
	ds_read_b32 v0, v0
	v_add_u32_e32 v2, v53, v19
	ds_read_b64 v[2:3], v2 offset:1024
	v_mov_b32_e32 v7, v20
	v_mov_b32_e32 v5, s73
	s_waitcnt lgkmcnt(1)
	v_add_u32_e32 v6, v0, v18
	v_lshlrev_b64 v[6:7], 3, v[6:7]
	v_add_co_u32_e32 v6, vcc, s72, v6
	v_addc_co_u32_e32 v7, vcc, v5, v7, vcc
	s_waitcnt lgkmcnt(0)
	global_store_dwordx2 v[6:7], v[2:3], off
	s_or_b64 exec, exec, s[52:53]
	s_and_saveexec_b64 s[52:53], s[36:37]
	s_cbranch_execnz .LBB1326_163
.LBB1326_156:                           ;   in Loop: Header=BB1326_66 Depth=2
	s_or_b64 exec, exec, s[52:53]
	s_and_saveexec_b64 s[36:37], s[38:39]
	s_cbranch_execz .LBB1326_164
.LBB1326_157:                           ;   in Loop: Header=BB1326_66 Depth=2
	v_lshlrev_b32_e32 v0, 2, v82
	ds_read_b32 v0, v0
	v_add_u32_e32 v2, v58, v19
	ds_read_b64 v[2:3], v2 offset:4096
	v_mov_b32_e32 v7, v20
	v_mov_b32_e32 v5, s73
	s_waitcnt lgkmcnt(1)
	v_add_u32_e32 v6, v0, v25
	v_lshlrev_b64 v[6:7], 3, v[6:7]
	v_add_co_u32_e32 v6, vcc, s72, v6
	v_addc_co_u32_e32 v7, vcc, v5, v7, vcc
	s_waitcnt lgkmcnt(0)
	global_store_dwordx2 v[6:7], v[2:3], off
	s_or_b64 exec, exec, s[36:37]
	s_and_saveexec_b64 s[36:37], s[40:41]
	s_cbranch_execnz .LBB1326_165
.LBB1326_158:                           ;   in Loop: Header=BB1326_66 Depth=2
	s_or_b64 exec, exec, s[36:37]
	s_and_saveexec_b64 s[36:37], s[42:43]
	s_cbranch_execz .LBB1326_166
.LBB1326_159:                           ;   in Loop: Header=BB1326_66 Depth=2
	v_lshlrev_b32_e32 v0, 2, v79
	ds_read_b32 v0, v0
	v_add_u32_e32 v2, v58, v19
	ds_read_b64 v[2:3], v2 offset:8192
	v_mov_b32_e32 v7, v20
	v_mov_b32_e32 v5, s73
	s_waitcnt lgkmcnt(1)
	v_add_u32_e32 v6, v0, v22
	v_lshlrev_b64 v[6:7], 3, v[6:7]
	v_add_co_u32_e32 v6, vcc, s72, v6
	v_addc_co_u32_e32 v7, vcc, v5, v7, vcc
	s_waitcnt lgkmcnt(0)
	global_store_dwordx2 v[6:7], v[2:3], off
	s_or_b64 exec, exec, s[36:37]
	s_and_saveexec_b64 s[36:37], s[44:45]
	s_cbranch_execnz .LBB1326_167
.LBB1326_160:                           ;   in Loop: Header=BB1326_66 Depth=2
	s_or_b64 exec, exec, s[36:37]
	s_and_saveexec_b64 s[36:37], s[46:47]
	s_cbranch_execz .LBB1326_168
.LBB1326_161:                           ;   in Loop: Header=BB1326_66 Depth=2
	v_lshlrev_b32_e32 v0, 2, v77
	ds_read_b32 v0, v0
	v_add_u32_e32 v2, v58, v19
	ds_read_b64 v[2:3], v2 offset:12288
	v_mov_b32_e32 v7, v20
	v_mov_b32_e32 v5, s73
	s_waitcnt lgkmcnt(1)
	v_add_u32_e32 v6, v0, v26
	v_lshlrev_b64 v[6:7], 3, v[6:7]
	v_add_co_u32_e32 v6, vcc, s72, v6
	v_addc_co_u32_e32 v7, vcc, v5, v7, vcc
	s_waitcnt lgkmcnt(0)
	global_store_dwordx2 v[6:7], v[2:3], off
	s_or_b64 exec, exec, s[36:37]
	s_and_saveexec_b64 s[36:37], s[48:49]
	s_cbranch_execnz .LBB1326_169
	s_branch .LBB1326_170
.LBB1326_162:                           ;   in Loop: Header=BB1326_66 Depth=2
	s_or_b64 exec, exec, s[52:53]
	s_and_saveexec_b64 s[52:53], s[36:37]
	s_cbranch_execz .LBB1326_156
.LBB1326_163:                           ;   in Loop: Header=BB1326_66 Depth=2
	v_lshlrev_b32_e32 v0, 2, v84
	ds_read_b32 v0, v0
	v_add_u32_e32 v2, v58, v19
	ds_read_b64 v[2:3], v2 offset:2048
	v_mov_b32_e32 v7, v20
	v_mov_b32_e32 v5, s73
	s_waitcnt lgkmcnt(1)
	v_add_u32_e32 v6, v0, v23
	v_lshlrev_b64 v[6:7], 3, v[6:7]
	v_add_co_u32_e32 v6, vcc, s72, v6
	v_addc_co_u32_e32 v7, vcc, v5, v7, vcc
	s_waitcnt lgkmcnt(0)
	global_store_dwordx2 v[6:7], v[2:3], off
	s_or_b64 exec, exec, s[52:53]
	s_and_saveexec_b64 s[36:37], s[38:39]
	s_cbranch_execnz .LBB1326_157
.LBB1326_164:                           ;   in Loop: Header=BB1326_66 Depth=2
	s_or_b64 exec, exec, s[36:37]
	s_and_saveexec_b64 s[36:37], s[40:41]
	s_cbranch_execz .LBB1326_158
.LBB1326_165:                           ;   in Loop: Header=BB1326_66 Depth=2
	v_lshlrev_b32_e32 v0, 2, v81
	ds_read_b32 v0, v0
	v_add_u32_e32 v2, v58, v19
	ds_read_b64 v[2:3], v2 offset:6144
	v_mov_b32_e32 v7, v20
	v_mov_b32_e32 v5, s73
	s_waitcnt lgkmcnt(1)
	v_add_u32_e32 v6, v0, v27
	v_lshlrev_b64 v[6:7], 3, v[6:7]
	v_add_co_u32_e32 v6, vcc, s72, v6
	v_addc_co_u32_e32 v7, vcc, v5, v7, vcc
	s_waitcnt lgkmcnt(0)
	global_store_dwordx2 v[6:7], v[2:3], off
	s_or_b64 exec, exec, s[36:37]
	s_and_saveexec_b64 s[36:37], s[42:43]
	s_cbranch_execnz .LBB1326_159
.LBB1326_166:                           ;   in Loop: Header=BB1326_66 Depth=2
	s_or_b64 exec, exec, s[36:37]
	s_and_saveexec_b64 s[36:37], s[44:45]
	s_cbranch_execz .LBB1326_160
.LBB1326_167:                           ;   in Loop: Header=BB1326_66 Depth=2
	v_lshlrev_b32_e32 v0, 2, v78
	ds_read_b32 v0, v0
	v_add_u32_e32 v2, v58, v19
	ds_read_b64 v[2:3], v2 offset:10240
	v_mov_b32_e32 v7, v20
	v_mov_b32_e32 v5, s73
	s_waitcnt lgkmcnt(1)
	v_add_u32_e32 v6, v0, v24
	v_lshlrev_b64 v[6:7], 3, v[6:7]
	v_add_co_u32_e32 v6, vcc, s72, v6
	v_addc_co_u32_e32 v7, vcc, v5, v7, vcc
	s_waitcnt lgkmcnt(0)
	global_store_dwordx2 v[6:7], v[2:3], off
	s_or_b64 exec, exec, s[36:37]
	s_and_saveexec_b64 s[36:37], s[46:47]
	s_cbranch_execnz .LBB1326_161
.LBB1326_168:                           ;   in Loop: Header=BB1326_66 Depth=2
	s_or_b64 exec, exec, s[36:37]
	s_and_saveexec_b64 s[36:37], s[48:49]
	s_cbranch_execz .LBB1326_170
.LBB1326_169:                           ;   in Loop: Header=BB1326_66 Depth=2
	v_lshlrev_b32_e32 v0, 2, v76
	ds_read_b32 v0, v0
	v_add_u32_e32 v2, v58, v19
	ds_read_b64 v[2:3], v2 offset:14336
	v_mov_b32_e32 v7, v20
	v_mov_b32_e32 v5, s73
	s_waitcnt lgkmcnt(1)
	v_add_u32_e32 v6, v0, v28
	v_lshlrev_b64 v[6:7], 3, v[6:7]
	v_add_co_u32_e32 v6, vcc, s72, v6
	v_addc_co_u32_e32 v7, vcc, v5, v7, vcc
	s_waitcnt lgkmcnt(0)
	global_store_dwordx2 v[6:7], v[2:3], off
.LBB1326_170:                           ;   in Loop: Header=BB1326_66 Depth=2
	s_or_b64 exec, exec, s[36:37]
	s_barrier
	s_and_saveexec_b64 s[36:37], s[4:5]
	s_cbranch_execz .LBB1326_65
; %bb.171:                              ;   in Loop: Header=BB1326_66 Depth=2
	ds_read_b32 v0, v19
	s_waitcnt lgkmcnt(0)
	v_add_u32_e32 v0, v0, v4
	ds_write_b32 v19, v0
	s_branch .LBB1326_65
.LBB1326_172:                           ;   in Loop: Header=BB1326_66 Depth=2
	s_or_b64 exec, exec, s[36:37]
	v_cmp_gt_u32_e32 vcc, s87, v87
	s_and_saveexec_b64 s[36:37], vcc
	s_cbranch_execz .LBB1326_71
.LBB1326_173:                           ;   in Loop: Header=BB1326_66 Depth=2
	global_load_dword v3, v[38:39], off offset:256
	s_or_b64 exec, exec, s[36:37]
	v_cmp_gt_u32_e32 vcc, s87, v88
	s_and_saveexec_b64 s[36:37], vcc
	s_cbranch_execnz .LBB1326_72
.LBB1326_174:                           ;   in Loop: Header=BB1326_66 Depth=2
	s_or_b64 exec, exec, s[36:37]
	v_cmp_gt_u32_e32 vcc, s87, v89
	s_and_saveexec_b64 s[36:37], vcc
	s_cbranch_execz .LBB1326_73
.LBB1326_175:                           ;   in Loop: Header=BB1326_66 Depth=2
	global_load_dword v5, v[38:39], off offset:768
	s_or_b64 exec, exec, s[36:37]
	v_cmp_gt_u32_e32 vcc, s87, v90
	s_and_saveexec_b64 s[36:37], vcc
	s_cbranch_execnz .LBB1326_74
.LBB1326_176:                           ;   in Loop: Header=BB1326_66 Depth=2
	s_or_b64 exec, exec, s[36:37]
	v_cmp_gt_u32_e32 vcc, s87, v91
	s_and_saveexec_b64 s[36:37], vcc
	s_cbranch_execz .LBB1326_75
.LBB1326_177:                           ;   in Loop: Header=BB1326_66 Depth=2
	global_load_dword v7, v[38:39], off offset:1280
	s_or_b64 exec, exec, s[36:37]
	v_cmp_gt_u32_e32 vcc, s87, v92
	s_and_saveexec_b64 s[36:37], vcc
	s_cbranch_execnz .LBB1326_76
	s_branch .LBB1326_77
.LBB1326_178:                           ;   in Loop: Header=BB1326_12 Depth=1
	s_waitcnt lgkmcnt(0)
	s_barrier
	s_mov_b64 s[16:17], 0
.LBB1326_179:                           ;   in Loop: Header=BB1326_12 Depth=1
	s_and_b64 vcc, exec, s[16:17]
	s_cbranch_vccz .LBB1326_345
; %bb.180:                              ;   in Loop: Header=BB1326_12 Depth=1
	s_mov_b32 s22, s79
	s_mov_b32 s80, s51
	s_barrier
	s_waitcnt lgkmcnt(0)
                                        ; implicit-def: $vgpr2_vgpr3_vgpr4_vgpr5_vgpr6_vgpr7_vgpr8_vgpr9
	s_branch .LBB1326_182
.LBB1326_181:                           ;   in Loop: Header=BB1326_182 Depth=2
	s_or_b64 exec, exec, s[16:17]
	s_addk_i32 s22, 0xf800
	s_cmp_ge_u32 s23, s84
	s_mov_b32 s80, s23
	s_cbranch_scc1 .LBB1326_220
.LBB1326_182:                           ;   Parent Loop BB1326_12 Depth=1
                                        ; =>  This Inner Loop Header: Depth=2
	s_add_i32 s23, s80, 0x800
	s_cmp_gt_u32 s23, s84
	s_cbranch_scc1 .LBB1326_185
; %bb.183:                              ;   in Loop: Header=BB1326_182 Depth=2
	s_lshl_b64 s[16:17], s[80:81], 2
	v_mov_b32_e32 v0, s17
	v_add_co_u32_e32 v30, vcc, s16, v59
	v_addc_co_u32_e32 v31, vcc, v60, v0, vcc
	v_add_co_u32_e32 v32, vcc, 0x1000, v30
	v_addc_co_u32_e32 v33, vcc, 0, v31, vcc
	global_load_dword v10, v[30:31], off
	global_load_dword v11, v[30:31], off offset:1024
	global_load_dword v12, v[30:31], off offset:2048
	;; [unrolled: 1-line block ×3, first 2 shown]
	global_load_dword v14, v[32:33], off
	global_load_dword v15, v[32:33], off offset:1024
	global_load_dword v16, v[32:33], off offset:2048
	v_add_co_u32_e32 v30, vcc, 0x1c00, v30
	v_addc_co_u32_e32 v31, vcc, 0, v31, vcc
	s_mov_b64 s[16:17], -1
	s_movk_i32 s24, 0x800
	s_cbranch_execz .LBB1326_186
; %bb.184:                              ;   in Loop: Header=BB1326_182 Depth=2
                                        ; implicit-def: $vgpr2_vgpr3_vgpr4_vgpr5_vgpr6_vgpr7_vgpr8_vgpr9
	v_mov_b32_e32 v0, s22
	s_and_saveexec_b64 s[18:19], s[16:17]
	s_cbranch_execnz .LBB1326_197
	s_branch .LBB1326_198
.LBB1326_185:                           ;   in Loop: Header=BB1326_182 Depth=2
	s_mov_b64 s[16:17], 0
                                        ; implicit-def: $sgpr24
                                        ; implicit-def: $vgpr10_vgpr11_vgpr12_vgpr13_vgpr14_vgpr15_vgpr16_vgpr17
                                        ; implicit-def: $vgpr30_vgpr31
.LBB1326_186:                           ;   in Loop: Header=BB1326_182 Depth=2
	s_lshl_b64 s[18:19], s[80:81], 2
	s_add_u32 s18, s58, s18
	s_addc_u32 s19, s59, s19
	v_cmp_gt_u32_e32 vcc, s22, v18
	s_and_saveexec_b64 s[20:21], vcc
	s_cbranch_execz .LBB1326_214
; %bb.187:                              ;   in Loop: Header=BB1326_182 Depth=2
	global_load_dword v2, v72, s[18:19]
	s_or_b64 exec, exec, s[20:21]
	v_cmp_gt_u32_e32 vcc, s22, v23
	s_and_saveexec_b64 s[20:21], vcc
	s_cbranch_execnz .LBB1326_215
.LBB1326_188:                           ;   in Loop: Header=BB1326_182 Depth=2
	s_or_b64 exec, exec, s[20:21]
	v_cmp_gt_u32_e32 vcc, s22, v25
	s_and_saveexec_b64 s[20:21], vcc
	s_cbranch_execz .LBB1326_216
.LBB1326_189:                           ;   in Loop: Header=BB1326_182 Depth=2
	global_load_dword v4, v72, s[18:19] offset:2048
	s_or_b64 exec, exec, s[20:21]
	v_cmp_gt_u32_e32 vcc, s22, v27
	s_and_saveexec_b64 s[20:21], vcc
	s_cbranch_execnz .LBB1326_217
.LBB1326_190:                           ;   in Loop: Header=BB1326_182 Depth=2
	s_or_b64 exec, exec, s[20:21]
	v_cmp_gt_u32_e32 vcc, s22, v22
	s_and_saveexec_b64 s[20:21], vcc
	s_cbranch_execz .LBB1326_218
.LBB1326_191:                           ;   in Loop: Header=BB1326_182 Depth=2
	v_lshlrev_b32_e32 v0, 2, v22
	global_load_dword v6, v0, s[18:19]
	s_or_b64 exec, exec, s[20:21]
	v_cmp_gt_u32_e32 vcc, s22, v24
	s_and_saveexec_b64 s[20:21], vcc
	s_cbranch_execnz .LBB1326_219
.LBB1326_192:                           ;   in Loop: Header=BB1326_182 Depth=2
	s_or_b64 exec, exec, s[20:21]
	v_cmp_gt_u32_e32 vcc, s22, v26
	s_and_saveexec_b64 s[20:21], vcc
	s_cbranch_execz .LBB1326_194
.LBB1326_193:                           ;   in Loop: Header=BB1326_182 Depth=2
	v_lshlrev_b32_e32 v0, 2, v26
	global_load_dword v8, v0, s[18:19]
.LBB1326_194:                           ;   in Loop: Header=BB1326_182 Depth=2
	s_or_b64 exec, exec, s[20:21]
	v_cmp_gt_u32_e32 vcc, s22, v28
                                        ; implicit-def: $sgpr24
                                        ; implicit-def: $vgpr30_vgpr31
	s_and_saveexec_b64 s[20:21], vcc
	s_cbranch_execz .LBB1326_196
; %bb.195:                              ;   in Loop: Header=BB1326_182 Depth=2
	v_lshlrev_b32_e32 v0, 2, v28
	s_waitcnt vmcnt(6)
	v_mov_b32_e32 v10, s19
	v_add_co_u32_e32 v30, vcc, s18, v0
	s_sub_i32 s24, s84, s80
	v_addc_co_u32_e32 v31, vcc, 0, v10, vcc
	s_or_b64 s[16:17], s[16:17], exec
.LBB1326_196:                           ;   in Loop: Header=BB1326_182 Depth=2
	s_or_b64 exec, exec, s[20:21]
	s_waitcnt vmcnt(0)
	v_pk_mov_b32 v[16:17], v[8:9], v[8:9] op_sel:[0,1]
	v_pk_mov_b32 v[14:15], v[6:7], v[6:7] op_sel:[0,1]
	;; [unrolled: 1-line block ×4, first 2 shown]
	v_mov_b32_e32 v0, s22
	s_and_saveexec_b64 s[18:19], s[16:17]
	s_cbranch_execz .LBB1326_198
.LBB1326_197:                           ;   in Loop: Header=BB1326_182 Depth=2
	global_load_dword v17, v[30:31], off
	s_waitcnt vmcnt(0)
	v_pk_mov_b32 v[2:3], v[10:11], v[10:11] op_sel:[0,1]
	v_mov_b32_e32 v0, s24
	v_pk_mov_b32 v[4:5], v[12:13], v[12:13] op_sel:[0,1]
	v_pk_mov_b32 v[6:7], v[14:15], v[14:15] op_sel:[0,1]
	v_pk_mov_b32 v[8:9], v[16:17], v[16:17] op_sel:[0,1]
.LBB1326_198:                           ;   in Loop: Header=BB1326_182 Depth=2
	s_or_b64 exec, exec, s[18:19]
	v_cmp_lt_u32_e32 vcc, v18, v0
	s_and_saveexec_b64 s[16:17], vcc
	s_cbranch_execz .LBB1326_206
; %bb.199:                              ;   in Loop: Header=BB1326_182 Depth=2
	v_cmp_gt_i32_e32 vcc, 0, v2
	s_waitcnt vmcnt(6)
	v_cndmask_b32_e64 v10, v73, 0, vcc
	v_xor_b32_e32 v10, v10, v2
	v_cmp_ne_u32_e32 vcc, s76, v10
	v_cndmask_b32_e32 v10, v73, v10, vcc
	v_lshrrev_b32_e32 v10, s85, v10
	v_and_b32_e32 v10, s86, v10
	s_waitcnt vmcnt(5)
	v_lshlrev_b32_e32 v11, 2, v29
	v_lshl_or_b32 v10, v10, 4, v11
	ds_add_u32 v10, v71
	s_or_b64 exec, exec, s[16:17]
	v_cmp_lt_u32_e32 vcc, v23, v0
	s_and_saveexec_b64 s[16:17], vcc
	s_cbranch_execnz .LBB1326_207
.LBB1326_200:                           ;   in Loop: Header=BB1326_182 Depth=2
	s_or_b64 exec, exec, s[16:17]
	v_cmp_lt_u32_e32 vcc, v25, v0
	s_and_saveexec_b64 s[16:17], vcc
	s_cbranch_execz .LBB1326_208
.LBB1326_201:                           ;   in Loop: Header=BB1326_182 Depth=2
	v_cmp_gt_i32_e32 vcc, 0, v4
	s_waitcnt vmcnt(6)
	v_cndmask_b32_e64 v10, v73, 0, vcc
	v_xor_b32_e32 v10, v10, v4
	v_cmp_ne_u32_e32 vcc, s76, v10
	v_cndmask_b32_e32 v10, v73, v10, vcc
	v_lshrrev_b32_e32 v10, s85, v10
	v_and_b32_e32 v10, s86, v10
	s_waitcnt vmcnt(5)
	v_lshlrev_b32_e32 v11, 2, v29
	v_lshl_or_b32 v10, v10, 4, v11
	ds_add_u32 v10, v71
	s_or_b64 exec, exec, s[16:17]
	v_cmp_lt_u32_e32 vcc, v27, v0
	s_and_saveexec_b64 s[16:17], vcc
	s_cbranch_execnz .LBB1326_209
.LBB1326_202:                           ;   in Loop: Header=BB1326_182 Depth=2
	s_or_b64 exec, exec, s[16:17]
	v_cmp_lt_u32_e32 vcc, v22, v0
	s_and_saveexec_b64 s[16:17], vcc
	s_cbranch_execz .LBB1326_210
.LBB1326_203:                           ;   in Loop: Header=BB1326_182 Depth=2
	v_cmp_gt_i32_e32 vcc, 0, v6
	s_waitcnt vmcnt(6)
	v_cndmask_b32_e64 v10, v73, 0, vcc
	v_xor_b32_e32 v10, v10, v6
	v_cmp_ne_u32_e32 vcc, s76, v10
	v_cndmask_b32_e32 v10, v73, v10, vcc
	v_lshrrev_b32_e32 v10, s85, v10
	v_and_b32_e32 v10, s86, v10
	s_waitcnt vmcnt(5)
	v_lshlrev_b32_e32 v11, 2, v29
	v_lshl_or_b32 v10, v10, 4, v11
	ds_add_u32 v10, v71
	s_or_b64 exec, exec, s[16:17]
	v_cmp_lt_u32_e32 vcc, v24, v0
	s_and_saveexec_b64 s[16:17], vcc
	s_cbranch_execnz .LBB1326_211
.LBB1326_204:                           ;   in Loop: Header=BB1326_182 Depth=2
	s_or_b64 exec, exec, s[16:17]
	v_cmp_lt_u32_e32 vcc, v26, v0
	s_and_saveexec_b64 s[16:17], vcc
	s_cbranch_execz .LBB1326_212
.LBB1326_205:                           ;   in Loop: Header=BB1326_182 Depth=2
	v_cmp_gt_i32_e32 vcc, 0, v8
	s_waitcnt vmcnt(6)
	v_cndmask_b32_e64 v10, v73, 0, vcc
	v_xor_b32_e32 v10, v10, v8
	v_cmp_ne_u32_e32 vcc, s76, v10
	v_cndmask_b32_e32 v10, v73, v10, vcc
	v_lshrrev_b32_e32 v10, s85, v10
	v_and_b32_e32 v10, s86, v10
	s_waitcnt vmcnt(5)
	v_lshlrev_b32_e32 v11, 2, v29
	v_lshl_or_b32 v10, v10, 4, v11
	ds_add_u32 v10, v71
	s_or_b64 exec, exec, s[16:17]
	v_cmp_lt_u32_e32 vcc, v28, v0
	s_and_saveexec_b64 s[16:17], vcc
	s_cbranch_execz .LBB1326_181
	s_branch .LBB1326_213
.LBB1326_206:                           ;   in Loop: Header=BB1326_182 Depth=2
	s_or_b64 exec, exec, s[16:17]
	v_cmp_lt_u32_e32 vcc, v23, v0
	s_and_saveexec_b64 s[16:17], vcc
	s_cbranch_execz .LBB1326_200
.LBB1326_207:                           ;   in Loop: Header=BB1326_182 Depth=2
	v_cmp_gt_i32_e32 vcc, 0, v3
	s_waitcnt vmcnt(6)
	v_cndmask_b32_e64 v10, v73, 0, vcc
	v_xor_b32_e32 v10, v10, v3
	v_cmp_ne_u32_e32 vcc, s76, v10
	v_cndmask_b32_e32 v10, v73, v10, vcc
	v_lshrrev_b32_e32 v10, s85, v10
	v_and_b32_e32 v10, s86, v10
	s_waitcnt vmcnt(5)
	v_lshlrev_b32_e32 v11, 2, v29
	v_lshl_or_b32 v10, v10, 4, v11
	ds_add_u32 v10, v71
	s_or_b64 exec, exec, s[16:17]
	v_cmp_lt_u32_e32 vcc, v25, v0
	s_and_saveexec_b64 s[16:17], vcc
	s_cbranch_execnz .LBB1326_201
.LBB1326_208:                           ;   in Loop: Header=BB1326_182 Depth=2
	s_or_b64 exec, exec, s[16:17]
	v_cmp_lt_u32_e32 vcc, v27, v0
	s_and_saveexec_b64 s[16:17], vcc
	s_cbranch_execz .LBB1326_202
.LBB1326_209:                           ;   in Loop: Header=BB1326_182 Depth=2
	v_cmp_gt_i32_e32 vcc, 0, v5
	s_waitcnt vmcnt(6)
	v_cndmask_b32_e64 v10, v73, 0, vcc
	v_xor_b32_e32 v10, v10, v5
	v_cmp_ne_u32_e32 vcc, s76, v10
	v_cndmask_b32_e32 v10, v73, v10, vcc
	v_lshrrev_b32_e32 v10, s85, v10
	v_and_b32_e32 v10, s86, v10
	s_waitcnt vmcnt(5)
	v_lshlrev_b32_e32 v11, 2, v29
	v_lshl_or_b32 v10, v10, 4, v11
	ds_add_u32 v10, v71
	s_or_b64 exec, exec, s[16:17]
	v_cmp_lt_u32_e32 vcc, v22, v0
	s_and_saveexec_b64 s[16:17], vcc
	s_cbranch_execnz .LBB1326_203
.LBB1326_210:                           ;   in Loop: Header=BB1326_182 Depth=2
	s_or_b64 exec, exec, s[16:17]
	v_cmp_lt_u32_e32 vcc, v24, v0
	s_and_saveexec_b64 s[16:17], vcc
	s_cbranch_execz .LBB1326_204
.LBB1326_211:                           ;   in Loop: Header=BB1326_182 Depth=2
	v_cmp_gt_i32_e32 vcc, 0, v7
	s_waitcnt vmcnt(6)
	v_cndmask_b32_e64 v10, v73, 0, vcc
	v_xor_b32_e32 v10, v10, v7
	v_cmp_ne_u32_e32 vcc, s76, v10
	v_cndmask_b32_e32 v10, v73, v10, vcc
	v_lshrrev_b32_e32 v10, s85, v10
	v_and_b32_e32 v10, s86, v10
	s_waitcnt vmcnt(5)
	v_lshlrev_b32_e32 v11, 2, v29
	v_lshl_or_b32 v10, v10, 4, v11
	ds_add_u32 v10, v71
	s_or_b64 exec, exec, s[16:17]
	v_cmp_lt_u32_e32 vcc, v26, v0
	s_and_saveexec_b64 s[16:17], vcc
	s_cbranch_execnz .LBB1326_205
.LBB1326_212:                           ;   in Loop: Header=BB1326_182 Depth=2
	s_or_b64 exec, exec, s[16:17]
	v_cmp_lt_u32_e32 vcc, v28, v0
	s_and_saveexec_b64 s[16:17], vcc
	s_cbranch_execz .LBB1326_181
.LBB1326_213:                           ;   in Loop: Header=BB1326_182 Depth=2
	v_cmp_gt_i32_e32 vcc, 0, v9
	v_cndmask_b32_e64 v0, v73, 0, vcc
	v_xor_b32_e32 v0, v0, v9
	v_cmp_ne_u32_e32 vcc, s76, v0
	v_cndmask_b32_e32 v0, v73, v0, vcc
	v_lshrrev_b32_e32 v0, s85, v0
	v_and_b32_e32 v0, s86, v0
	s_waitcnt vmcnt(6)
	v_lshlrev_b32_e32 v10, 2, v29
	v_lshl_or_b32 v0, v0, 4, v10
	ds_add_u32 v0, v71
	s_branch .LBB1326_181
.LBB1326_214:                           ;   in Loop: Header=BB1326_182 Depth=2
	s_or_b64 exec, exec, s[20:21]
	v_cmp_gt_u32_e32 vcc, s22, v23
	s_and_saveexec_b64 s[20:21], vcc
	s_cbranch_execz .LBB1326_188
.LBB1326_215:                           ;   in Loop: Header=BB1326_182 Depth=2
	global_load_dword v3, v72, s[18:19] offset:1024
	s_or_b64 exec, exec, s[20:21]
	v_cmp_gt_u32_e32 vcc, s22, v25
	s_and_saveexec_b64 s[20:21], vcc
	s_cbranch_execnz .LBB1326_189
.LBB1326_216:                           ;   in Loop: Header=BB1326_182 Depth=2
	s_or_b64 exec, exec, s[20:21]
	v_cmp_gt_u32_e32 vcc, s22, v27
	s_and_saveexec_b64 s[20:21], vcc
	s_cbranch_execz .LBB1326_190
.LBB1326_217:                           ;   in Loop: Header=BB1326_182 Depth=2
	global_load_dword v5, v72, s[18:19] offset:3072
	s_or_b64 exec, exec, s[20:21]
	v_cmp_gt_u32_e32 vcc, s22, v22
	s_and_saveexec_b64 s[20:21], vcc
	s_cbranch_execnz .LBB1326_191
.LBB1326_218:                           ;   in Loop: Header=BB1326_182 Depth=2
	s_or_b64 exec, exec, s[20:21]
	v_cmp_gt_u32_e32 vcc, s22, v24
	s_and_saveexec_b64 s[20:21], vcc
	s_cbranch_execz .LBB1326_192
.LBB1326_219:                           ;   in Loop: Header=BB1326_182 Depth=2
	v_lshlrev_b32_e32 v0, 2, v24
	global_load_dword v7, v0, s[18:19]
	s_or_b64 exec, exec, s[20:21]
	v_cmp_gt_u32_e32 vcc, s22, v26
	s_and_saveexec_b64 s[20:21], vcc
	s_cbranch_execz .LBB1326_194
	s_branch .LBB1326_193
.LBB1326_220:                           ;   in Loop: Header=BB1326_12 Depth=1
	v_mov_b32_e32 v0, 0
	s_waitcnt lgkmcnt(0)
	s_barrier
	s_and_saveexec_b64 s[16:17], s[4:5]
	s_cbranch_execz .LBB1326_222
; %bb.221:                              ;   in Loop: Header=BB1326_12 Depth=1
	ds_read2_b64 v[2:5], v42 offset1:1
	s_waitcnt lgkmcnt(0)
	v_add_u32_e32 v0, v3, v2
	v_add3_u32 v0, v0, v4, v5
.LBB1326_222:                           ;   in Loop: Header=BB1326_12 Depth=1
	s_or_b64 exec, exec, s[16:17]
	v_and_b32_e32 v2, 15, v74
	v_mov_b32_dpp v3, v0 row_shr:1 row_mask:0xf bank_mask:0xf
	v_cmp_eq_u32_e64 s[16:17], 0, v2
	v_cndmask_b32_e64 v3, v3, 0, s[16:17]
	v_add_u32_e32 v0, v3, v0
	v_cmp_lt_u32_e64 s[18:19], 1, v2
	v_cmp_lt_u32_e64 s[20:21], 3, v2
	v_mov_b32_dpp v3, v0 row_shr:2 row_mask:0xf bank_mask:0xf
	v_cndmask_b32_e64 v3, 0, v3, s[18:19]
	v_add_u32_e32 v0, v0, v3
	v_cmp_lt_u32_e64 s[22:23], 7, v2
	v_cmp_lt_u32_e64 s[26:27], 31, v74
	v_mov_b32_dpp v3, v0 row_shr:4 row_mask:0xf bank_mask:0xf
	v_cndmask_b32_e64 v3, 0, v3, s[20:21]
	v_add_u32_e32 v0, v0, v3
	v_and_b32_e32 v4, 16, v74
	v_cmp_eq_u32_e64 s[24:25], 0, v4
	v_mov_b32_dpp v3, v0 row_shr:8 row_mask:0xf bank_mask:0xf
	v_cndmask_b32_e64 v2, 0, v3, s[22:23]
	v_add_u32_e32 v0, v0, v2
	v_bfe_i32 v3, v74, 4, 1
	s_nop 0
	v_mov_b32_dpp v2, v0 row_bcast:15 row_mask:0xf bank_mask:0xf
	v_and_b32_e32 v2, v3, v2
	v_add_u32_e32 v0, v0, v2
	s_nop 1
	v_mov_b32_dpp v2, v0 row_bcast:31 row_mask:0xf bank_mask:0xf
	v_cndmask_b32_e64 v2, 0, v2, s[26:27]
	v_add_u32_e32 v2, v0, v2
	s_and_saveexec_b64 s[28:29], s[6:7]
	s_cbranch_execz .LBB1326_224
; %bb.223:                              ;   in Loop: Header=BB1326_12 Depth=1
	ds_write_b32 v44, v2
.LBB1326_224:                           ;   in Loop: Header=BB1326_12 Depth=1
	s_or_b64 exec, exec, s[28:29]
	v_and_b32_e32 v0, 3, v74
	s_waitcnt lgkmcnt(0)
	s_barrier
	s_and_saveexec_b64 s[28:29], s[8:9]
	s_cbranch_execz .LBB1326_226
; %bb.225:                              ;   in Loop: Header=BB1326_12 Depth=1
	ds_read_b32 v3, v45
	v_cmp_ne_u32_e32 vcc, 0, v0
	s_waitcnt lgkmcnt(0)
	v_mov_b32_dpp v4, v3 row_shr:1 row_mask:0xf bank_mask:0xf
	v_cndmask_b32_e32 v4, 0, v4, vcc
	v_add_u32_e32 v3, v4, v3
	v_cmp_lt_u32_e32 vcc, 1, v0
	s_nop 0
	v_mov_b32_dpp v4, v3 row_shr:2 row_mask:0xf bank_mask:0xf
	v_cndmask_b32_e32 v4, 0, v4, vcc
	v_add_u32_e32 v3, v3, v4
	ds_write_b32 v45, v3
.LBB1326_226:                           ;   in Loop: Header=BB1326_12 Depth=1
	s_or_b64 exec, exec, s[28:29]
	v_mov_b32_e32 v3, 0
	s_waitcnt lgkmcnt(0)
	s_barrier
	s_and_saveexec_b64 s[28:29], s[10:11]
	s_cbranch_execz .LBB1326_228
; %bb.227:                              ;   in Loop: Header=BB1326_12 Depth=1
	ds_read_b32 v3, v46
.LBB1326_228:                           ;   in Loop: Header=BB1326_12 Depth=1
	s_or_b64 exec, exec, s[28:29]
	v_add_u32_e32 v4, -1, v74
	v_and_b32_e32 v5, 64, v74
	v_cmp_lt_i32_e32 vcc, v4, v5
	v_cndmask_b32_e32 v4, v4, v74, vcc
	s_waitcnt lgkmcnt(0)
	v_add_u32_e32 v2, v3, v2
	v_lshlrev_b32_e32 v75, 2, v4
	ds_bpermute_b32 v2, v75, v2
	v_cmp_eq_u32_e64 s[28:29], 0, v74
	s_waitcnt lgkmcnt(0)
	s_barrier
	s_and_saveexec_b64 s[30:31], s[4:5]
	s_cbranch_execz .LBB1326_230
; %bb.229:                              ;   in Loop: Header=BB1326_12 Depth=1
	v_cndmask_b32_e64 v2, v2, v3, s[28:29]
	v_add_u32_e32 v2, s51, v2
	ds_write_b32 v19, v2
.LBB1326_230:                           ;   in Loop: Header=BB1326_12 Depth=1
	s_or_b64 exec, exec, s[30:31]
	s_load_dwordx2 s[30:31], s[82:83], 0x0
	s_mov_b32 s87, s79
	s_mov_b32 s80, s51
                                        ; implicit-def: $vgpr10_vgpr11
                                        ; implicit-def: $vgpr12_vgpr13
                                        ; implicit-def: $vgpr14_vgpr15
                                        ; implicit-def: $vgpr16_vgpr17
                                        ; implicit-def: $vgpr30_vgpr31
                                        ; implicit-def: $vgpr32_vgpr33
                                        ; implicit-def: $vgpr34_vgpr35
                                        ; implicit-def: $vgpr36_vgpr37
                                        ; implicit-def: $vgpr76
                                        ; implicit-def: $vgpr77
                                        ; implicit-def: $vgpr78
                                        ; implicit-def: $vgpr79
                                        ; implicit-def: $vgpr81
                                        ; implicit-def: $vgpr82
                                        ; implicit-def: $vgpr84
                                        ; implicit-def: $vgpr86
	s_waitcnt lgkmcnt(0)
	s_cmp_lt_u32 s50, s30
	s_cselect_b32 s34, 12, 18
	s_cmp_lt_u32 s33, s31
	s_cselect_b32 s30, 14, 20
	s_add_u32 s30, s82, s30
	s_addc_u32 s31, s83, 0
	s_add_u32 s34, s82, s34
	global_load_ushort v2, v20, s[30:31]
	s_addc_u32 s35, s83, 0
	global_load_ushort v3, v20, s[34:35]
	v_cmp_eq_u32_e64 s[30:31], 0, v0
	v_cmp_lt_u32_e64 s[34:35], 1, v0
	v_and_b32_e32 v0, 63, v74
	v_lshlrev_b32_e32 v4, 3, v0
	v_add_co_u32_e32 v83, vcc, v61, v4
	v_or_b32_e32 v80, v0, v47
	v_lshlrev_b32_e32 v0, 2, v0
	v_addc_co_u32_e32 v85, vcc, 0, v62, vcc
	v_add_co_u32_e32 v94, vcc, v63, v0
	v_addc_co_u32_e32 v95, vcc, 0, v64, vcc
	v_add_co_u32_e32 v96, vcc, 0x700, v94
	v_or_b32_e32 v87, 64, v80
	v_or_b32_e32 v88, 0x80, v80
	;; [unrolled: 1-line block ×7, first 2 shown]
	v_addc_co_u32_e32 v97, vcc, 0, v95, vcc
	s_waitcnt vmcnt(1)
	v_mad_u32_u24 v0, v48, v2, v49
	s_waitcnt vmcnt(0)
	v_mad_u64_u32 v[2:3], s[36:37], v0, v3, v[18:19]
	v_lshrrev_b32_e32 v98, 6, v2
	s_branch .LBB1326_232
.LBB1326_231:                           ;   in Loop: Header=BB1326_232 Depth=2
	s_or_b64 exec, exec, s[36:37]
	s_addk_i32 s87, 0xf800
	s_cmp_lt_u32 s88, s84
	s_mov_b32 s80, s88
	s_cbranch_scc0 .LBB1326_344
.LBB1326_232:                           ;   Parent Loop BB1326_12 Depth=1
                                        ; =>  This Inner Loop Header: Depth=2
	s_add_i32 s88, s80, 0x800
	s_cmp_gt_u32 s88, s84
	s_cbranch_scc1 .LBB1326_234
; %bb.233:                              ;   in Loop: Header=BB1326_232 Depth=2
	s_lshl_b64 s[36:37], s[80:81], 2
	v_mov_b32_e32 v0, s37
	v_add_co_u32_e32 v8, vcc, s36, v94
	v_addc_co_u32_e32 v9, vcc, v95, v0, vcc
	global_load_dword v2, v[8:9], off
	global_load_dword v3, v[8:9], off offset:256
	global_load_dword v4, v[8:9], off offset:512
	;; [unrolled: 1-line block ×5, first 2 shown]
	s_nop 0
	global_load_dword v8, v[8:9], off offset:1536
	s_mov_b64 s[36:37], -1
	s_movk_i32 s40, 0x800
	s_cbranch_execz .LBB1326_235
	s_branch .LBB1326_244
.LBB1326_234:                           ;   in Loop: Header=BB1326_232 Depth=2
	s_mov_b64 s[36:37], 0
                                        ; implicit-def: $sgpr40
                                        ; implicit-def: $vgpr2_vgpr3_vgpr4_vgpr5_vgpr6_vgpr7_vgpr8_vgpr9
.LBB1326_235:                           ;   in Loop: Header=BB1326_232 Depth=2
	s_lshl_b64 s[36:37], s[80:81], 2
	v_mov_b32_e32 v0, s37
	v_add_co_u32_e32 v38, vcc, s36, v94
	s_mov_b32 s65, s64
	v_addc_co_u32_e32 v39, vcc, v95, v0, vcc
	s_mov_b32 s66, s64
	s_mov_b32 s67, s64
	;; [unrolled: 1-line block ×6, first 2 shown]
	s_waitcnt vmcnt(0)
	v_pk_mov_b32 v[2:3], s[64:65], s[64:65] op_sel:[0,1]
	v_cmp_gt_u32_e32 vcc, s87, v80
	v_pk_mov_b32 v[4:5], s[66:67], s[66:67] op_sel:[0,1]
	v_pk_mov_b32 v[6:7], s[68:69], s[68:69] op_sel:[0,1]
	;; [unrolled: 1-line block ×3, first 2 shown]
	s_and_saveexec_b64 s[36:37], vcc
	s_cbranch_execz .LBB1326_338
; %bb.236:                              ;   in Loop: Header=BB1326_232 Depth=2
	global_load_dword v0, v[38:39], off
	v_mov_b32_e32 v2, v1
	v_mov_b32_e32 v3, v1
	v_mov_b32_e32 v4, v1
	v_mov_b32_e32 v5, v1
	v_mov_b32_e32 v6, v1
	v_mov_b32_e32 v7, v1
	s_waitcnt vmcnt(0)
	v_pk_mov_b32 v[8:9], v[6:7], v[6:7] op_sel:[0,1]
	v_pk_mov_b32 v[6:7], v[4:5], v[4:5] op_sel:[0,1]
	;; [unrolled: 1-line block ×4, first 2 shown]
	s_or_b64 exec, exec, s[36:37]
	v_cmp_gt_u32_e32 vcc, s87, v87
	s_and_saveexec_b64 s[36:37], vcc
	s_cbranch_execnz .LBB1326_339
.LBB1326_237:                           ;   in Loop: Header=BB1326_232 Depth=2
	s_or_b64 exec, exec, s[36:37]
	v_cmp_gt_u32_e32 vcc, s87, v88
	s_and_saveexec_b64 s[36:37], vcc
	s_cbranch_execz .LBB1326_340
.LBB1326_238:                           ;   in Loop: Header=BB1326_232 Depth=2
	global_load_dword v4, v[38:39], off offset:512
	s_or_b64 exec, exec, s[36:37]
	v_cmp_gt_u32_e32 vcc, s87, v89
	s_and_saveexec_b64 s[36:37], vcc
	s_cbranch_execnz .LBB1326_341
.LBB1326_239:                           ;   in Loop: Header=BB1326_232 Depth=2
	s_or_b64 exec, exec, s[36:37]
	v_cmp_gt_u32_e32 vcc, s87, v90
	s_and_saveexec_b64 s[36:37], vcc
	s_cbranch_execz .LBB1326_342
.LBB1326_240:                           ;   in Loop: Header=BB1326_232 Depth=2
	global_load_dword v6, v[38:39], off offset:1024
	s_or_b64 exec, exec, s[36:37]
	v_cmp_gt_u32_e32 vcc, s87, v91
	s_and_saveexec_b64 s[36:37], vcc
	s_cbranch_execnz .LBB1326_343
.LBB1326_241:                           ;   in Loop: Header=BB1326_232 Depth=2
	s_or_b64 exec, exec, s[36:37]
	v_cmp_gt_u32_e32 vcc, s87, v92
	s_and_saveexec_b64 s[36:37], vcc
	s_cbranch_execz .LBB1326_243
.LBB1326_242:                           ;   in Loop: Header=BB1326_232 Depth=2
	global_load_dword v8, v[38:39], off offset:1536
.LBB1326_243:                           ;   in Loop: Header=BB1326_232 Depth=2
	s_or_b64 exec, exec, s[36:37]
	s_sub_i32 s40, s84, s80
	v_cmp_gt_u32_e64 s[36:37], s87, v93
.LBB1326_244:                           ;   in Loop: Header=BB1326_232 Depth=2
	v_mov_b32_e32 v0, s87
	s_and_saveexec_b64 s[38:39], s[36:37]
	s_cbranch_execz .LBB1326_246
; %bb.245:                              ;   in Loop: Header=BB1326_232 Depth=2
	s_lshl_b64 s[36:37], s[80:81], 2
	v_mov_b32_e32 v0, s37
	v_add_co_u32_e32 v38, vcc, s36, v96
	v_addc_co_u32_e32 v39, vcc, v97, v0, vcc
	global_load_dword v9, v[38:39], off
	v_mov_b32_e32 v0, s40
.LBB1326_246:                           ;   in Loop: Header=BB1326_232 Depth=2
	s_or_b64 exec, exec, s[38:39]
	s_waitcnt vmcnt(6)
	v_cmp_gt_i32_e32 vcc, 0, v2
	v_cndmask_b32_e64 v21, v73, 0, vcc
	v_xor_b32_e32 v99, v21, v2
	v_add_u32_e32 v2, 0x410, v50
	v_cmp_ne_u32_e32 vcc, s76, v99
	ds_write2_b32 v2, v20, v20 offset1:1
	ds_write2_b32 v52, v20, v20 offset0:2 offset1:3
	ds_write_b32 v52, v20 offset:16
	v_cndmask_b32_e32 v2, v73, v99, vcc
	v_lshrrev_b32_e32 v2, s85, v2
	v_and_b32_e32 v2, s86, v2
	v_mad_u32_u24 v21, v2, 5, v98
	v_lshl_add_u32 v100, v21, 2, v51
	v_and_b32_e32 v21, 1, v2
	v_add_co_u32_e32 v38, vcc, -1, v21
	v_addc_co_u32_e64 v39, s[36:37], 0, -1, vcc
	v_cmp_ne_u32_e32 vcc, 0, v21
	v_xor_b32_e32 v21, vcc_hi, v39
	v_and_b32_e32 v39, exec_hi, v21
	v_lshlrev_b32_e32 v21, 30, v2
	v_xor_b32_e32 v38, vcc_lo, v38
	v_cmp_gt_i64_e32 vcc, 0, v[20:21]
	v_not_b32_e32 v21, v21
	v_ashrrev_i32_e32 v21, 31, v21
	v_and_b32_e32 v38, exec_lo, v38
	v_xor_b32_e32 v101, vcc_hi, v21
	v_xor_b32_e32 v21, vcc_lo, v21
	v_and_b32_e32 v38, v38, v21
	v_lshlrev_b32_e32 v21, 29, v2
	v_cmp_gt_i64_e32 vcc, 0, v[20:21]
	v_not_b32_e32 v21, v21
	v_ashrrev_i32_e32 v21, 31, v21
	v_and_b32_e32 v39, v39, v101
	v_xor_b32_e32 v101, vcc_hi, v21
	v_xor_b32_e32 v21, vcc_lo, v21
	v_and_b32_e32 v38, v38, v21
	v_lshlrev_b32_e32 v21, 28, v2
	v_cmp_gt_i64_e32 vcc, 0, v[20:21]
	v_not_b32_e32 v21, v21
	v_ashrrev_i32_e32 v21, 31, v21
	v_and_b32_e32 v39, v39, v101
	;; [unrolled: 8-line block ×5, first 2 shown]
	v_xor_b32_e32 v101, vcc_hi, v21
	v_xor_b32_e32 v21, vcc_lo, v21
	v_and_b32_e32 v38, v38, v21
	v_lshlrev_b32_e32 v21, 24, v2
	v_not_b32_e32 v2, v21
	v_cmp_gt_i64_e32 vcc, 0, v[20:21]
	v_ashrrev_i32_e32 v2, 31, v2
	v_xor_b32_e32 v21, vcc_hi, v2
	v_xor_b32_e32 v2, vcc_lo, v2
	v_and_b32_e32 v39, v39, v101
	v_and_b32_e32 v38, v38, v2
	;; [unrolled: 1-line block ×3, first 2 shown]
	v_mbcnt_lo_u32_b32 v2, v38, 0
	v_mbcnt_hi_u32_b32 v101, v39, v2
	v_cmp_eq_u32_e32 vcc, 0, v101
	v_cmp_ne_u64_e64 s[36:37], 0, v[38:39]
	s_and_b64 s[38:39], s[36:37], vcc
	s_waitcnt lgkmcnt(0)
	s_barrier
	s_waitcnt lgkmcnt(0)
	; wave barrier
	s_and_saveexec_b64 s[36:37], s[38:39]
	s_cbranch_execz .LBB1326_248
; %bb.247:                              ;   in Loop: Header=BB1326_232 Depth=2
	v_bcnt_u32_b32 v2, v38, 0
	v_bcnt_u32_b32 v2, v39, v2
	ds_write_b32 v100, v2
.LBB1326_248:                           ;   in Loop: Header=BB1326_232 Depth=2
	s_or_b64 exec, exec, s[36:37]
	s_waitcnt vmcnt(0)
	v_cmp_gt_i32_e32 vcc, 0, v3
	v_cndmask_b32_e64 v2, v73, 0, vcc
	v_xor_b32_e32 v38, v2, v3
	v_cmp_ne_u32_e32 vcc, s76, v38
	v_cndmask_b32_e32 v2, v73, v38, vcc
	v_lshrrev_b32_e32 v2, s85, v2
	v_and_b32_e32 v2, s86, v2
	v_mul_u32_u24_e32 v3, 5, v2
	v_add_lshl_u32 v3, v3, v98, 2
	; wave barrier
	v_add_u32_e32 v102, 0x410, v3
	ds_read_b32 v39, v3 offset:1040
	v_and_b32_e32 v3, 1, v2
	v_add_co_u32_e32 v21, vcc, -1, v3
	v_addc_co_u32_e64 v103, s[36:37], 0, -1, vcc
	v_cmp_ne_u32_e32 vcc, 0, v3
	v_xor_b32_e32 v21, vcc_lo, v21
	v_xor_b32_e32 v3, vcc_hi, v103
	v_and_b32_e32 v103, exec_lo, v21
	v_lshlrev_b32_e32 v21, 30, v2
	v_cmp_gt_i64_e32 vcc, 0, v[20:21]
	v_not_b32_e32 v21, v21
	v_ashrrev_i32_e32 v21, 31, v21
	v_xor_b32_e32 v104, vcc_hi, v21
	v_xor_b32_e32 v21, vcc_lo, v21
	v_and_b32_e32 v103, v103, v21
	v_lshlrev_b32_e32 v21, 29, v2
	v_cmp_gt_i64_e32 vcc, 0, v[20:21]
	v_not_b32_e32 v21, v21
	v_and_b32_e32 v3, exec_hi, v3
	v_ashrrev_i32_e32 v21, 31, v21
	v_and_b32_e32 v3, v3, v104
	v_xor_b32_e32 v104, vcc_hi, v21
	v_xor_b32_e32 v21, vcc_lo, v21
	v_and_b32_e32 v103, v103, v21
	v_lshlrev_b32_e32 v21, 28, v2
	v_cmp_gt_i64_e32 vcc, 0, v[20:21]
	v_not_b32_e32 v21, v21
	v_ashrrev_i32_e32 v21, 31, v21
	v_and_b32_e32 v3, v3, v104
	v_xor_b32_e32 v104, vcc_hi, v21
	v_xor_b32_e32 v21, vcc_lo, v21
	v_and_b32_e32 v103, v103, v21
	v_lshlrev_b32_e32 v21, 27, v2
	v_cmp_gt_i64_e32 vcc, 0, v[20:21]
	v_not_b32_e32 v21, v21
	;; [unrolled: 8-line block ×4, first 2 shown]
	v_ashrrev_i32_e32 v21, 31, v21
	v_and_b32_e32 v3, v3, v104
	v_xor_b32_e32 v104, vcc_hi, v21
	v_xor_b32_e32 v21, vcc_lo, v21
	v_and_b32_e32 v103, v103, v21
	v_lshlrev_b32_e32 v21, 24, v2
	v_not_b32_e32 v2, v21
	v_cmp_gt_i64_e32 vcc, 0, v[20:21]
	v_ashrrev_i32_e32 v2, 31, v2
	v_xor_b32_e32 v21, vcc_hi, v2
	v_xor_b32_e32 v2, vcc_lo, v2
	v_and_b32_e32 v3, v3, v104
	v_and_b32_e32 v2, v103, v2
	;; [unrolled: 1-line block ×3, first 2 shown]
	v_mbcnt_lo_u32_b32 v21, v2, 0
	v_mbcnt_hi_u32_b32 v103, v3, v21
	v_cmp_eq_u32_e32 vcc, 0, v103
	v_cmp_ne_u64_e64 s[36:37], 0, v[2:3]
	s_and_b64 s[38:39], s[36:37], vcc
	; wave barrier
	s_and_saveexec_b64 s[36:37], s[38:39]
	s_cbranch_execz .LBB1326_250
; %bb.249:                              ;   in Loop: Header=BB1326_232 Depth=2
	v_bcnt_u32_b32 v2, v2, 0
	v_bcnt_u32_b32 v2, v3, v2
	s_waitcnt lgkmcnt(0)
	v_add_u32_e32 v2, v39, v2
	ds_write_b32 v102, v2
.LBB1326_250:                           ;   in Loop: Header=BB1326_232 Depth=2
	s_or_b64 exec, exec, s[36:37]
	v_cmp_gt_i32_e32 vcc, 0, v4
	v_cndmask_b32_e64 v2, v73, 0, vcc
	v_xor_b32_e32 v104, v2, v4
	v_cmp_ne_u32_e32 vcc, s76, v104
	v_cndmask_b32_e32 v2, v73, v104, vcc
	v_lshrrev_b32_e32 v2, s85, v2
	v_and_b32_e32 v2, s86, v2
	v_mul_u32_u24_e32 v3, 5, v2
	v_add_lshl_u32 v3, v3, v98, 2
	; wave barrier
	v_add_u32_e32 v106, 0x410, v3
	ds_read_b32 v105, v3 offset:1040
	v_and_b32_e32 v3, 1, v2
	v_add_co_u32_e32 v4, vcc, -1, v3
	v_addc_co_u32_e64 v21, s[36:37], 0, -1, vcc
	v_cmp_ne_u32_e32 vcc, 0, v3
	v_xor_b32_e32 v3, vcc_hi, v21
	v_lshlrev_b32_e32 v21, 30, v2
	v_xor_b32_e32 v4, vcc_lo, v4
	v_cmp_gt_i64_e32 vcc, 0, v[20:21]
	v_not_b32_e32 v21, v21
	v_ashrrev_i32_e32 v21, 31, v21
	v_and_b32_e32 v4, exec_lo, v4
	v_xor_b32_e32 v107, vcc_hi, v21
	v_xor_b32_e32 v21, vcc_lo, v21
	v_and_b32_e32 v4, v4, v21
	v_lshlrev_b32_e32 v21, 29, v2
	v_cmp_gt_i64_e32 vcc, 0, v[20:21]
	v_not_b32_e32 v21, v21
	v_and_b32_e32 v3, exec_hi, v3
	v_ashrrev_i32_e32 v21, 31, v21
	v_and_b32_e32 v3, v3, v107
	v_xor_b32_e32 v107, vcc_hi, v21
	v_xor_b32_e32 v21, vcc_lo, v21
	v_and_b32_e32 v4, v4, v21
	v_lshlrev_b32_e32 v21, 28, v2
	v_cmp_gt_i64_e32 vcc, 0, v[20:21]
	v_not_b32_e32 v21, v21
	v_ashrrev_i32_e32 v21, 31, v21
	v_and_b32_e32 v3, v3, v107
	v_xor_b32_e32 v107, vcc_hi, v21
	v_xor_b32_e32 v21, vcc_lo, v21
	v_and_b32_e32 v4, v4, v21
	v_lshlrev_b32_e32 v21, 27, v2
	v_cmp_gt_i64_e32 vcc, 0, v[20:21]
	v_not_b32_e32 v21, v21
	;; [unrolled: 8-line block ×4, first 2 shown]
	v_ashrrev_i32_e32 v21, 31, v21
	v_and_b32_e32 v3, v3, v107
	v_xor_b32_e32 v107, vcc_hi, v21
	v_xor_b32_e32 v21, vcc_lo, v21
	v_and_b32_e32 v4, v4, v21
	v_lshlrev_b32_e32 v21, 24, v2
	v_not_b32_e32 v2, v21
	v_cmp_gt_i64_e32 vcc, 0, v[20:21]
	v_ashrrev_i32_e32 v2, 31, v2
	v_xor_b32_e32 v21, vcc_hi, v2
	v_xor_b32_e32 v2, vcc_lo, v2
	v_and_b32_e32 v3, v3, v107
	v_and_b32_e32 v2, v4, v2
	;; [unrolled: 1-line block ×3, first 2 shown]
	v_mbcnt_lo_u32_b32 v4, v2, 0
	v_mbcnt_hi_u32_b32 v107, v3, v4
	v_cmp_eq_u32_e32 vcc, 0, v107
	v_cmp_ne_u64_e64 s[36:37], 0, v[2:3]
	s_and_b64 s[38:39], s[36:37], vcc
	; wave barrier
	s_and_saveexec_b64 s[36:37], s[38:39]
	s_cbranch_execz .LBB1326_252
; %bb.251:                              ;   in Loop: Header=BB1326_232 Depth=2
	v_bcnt_u32_b32 v2, v2, 0
	v_bcnt_u32_b32 v2, v3, v2
	s_waitcnt lgkmcnt(0)
	v_add_u32_e32 v2, v105, v2
	ds_write_b32 v106, v2
.LBB1326_252:                           ;   in Loop: Header=BB1326_232 Depth=2
	s_or_b64 exec, exec, s[36:37]
	v_cmp_gt_i32_e32 vcc, 0, v5
	v_cndmask_b32_e64 v2, v73, 0, vcc
	v_xor_b32_e32 v108, v2, v5
	v_cmp_ne_u32_e32 vcc, s76, v108
	v_cndmask_b32_e32 v2, v73, v108, vcc
	v_lshrrev_b32_e32 v2, s85, v2
	v_and_b32_e32 v2, s86, v2
	v_mul_u32_u24_e32 v3, 5, v2
	v_add_lshl_u32 v3, v3, v98, 2
	; wave barrier
	v_add_u32_e32 v110, 0x410, v3
	ds_read_b32 v109, v3 offset:1040
	v_and_b32_e32 v3, 1, v2
	v_add_co_u32_e32 v4, vcc, -1, v3
	v_addc_co_u32_e64 v5, s[36:37], 0, -1, vcc
	v_cmp_ne_u32_e32 vcc, 0, v3
	v_lshlrev_b32_e32 v21, 30, v2
	v_xor_b32_e32 v3, vcc_hi, v5
	v_not_b32_e32 v5, v21
	v_xor_b32_e32 v4, vcc_lo, v4
	v_cmp_gt_i64_e32 vcc, 0, v[20:21]
	v_ashrrev_i32_e32 v5, 31, v5
	v_and_b32_e32 v3, exec_hi, v3
	v_xor_b32_e32 v21, vcc_hi, v5
	v_and_b32_e32 v4, exec_lo, v4
	v_xor_b32_e32 v5, vcc_lo, v5
	v_and_b32_e32 v3, v3, v21
	v_lshlrev_b32_e32 v21, 29, v2
	v_and_b32_e32 v4, v4, v5
	v_not_b32_e32 v5, v21
	v_cmp_gt_i64_e32 vcc, 0, v[20:21]
	v_ashrrev_i32_e32 v5, 31, v5
	v_xor_b32_e32 v21, vcc_hi, v5
	v_xor_b32_e32 v5, vcc_lo, v5
	v_and_b32_e32 v3, v3, v21
	v_lshlrev_b32_e32 v21, 28, v2
	v_and_b32_e32 v4, v4, v5
	v_not_b32_e32 v5, v21
	v_cmp_gt_i64_e32 vcc, 0, v[20:21]
	v_ashrrev_i32_e32 v5, 31, v5
	v_xor_b32_e32 v21, vcc_hi, v5
	;; [unrolled: 8-line block ×5, first 2 shown]
	v_and_b32_e32 v3, v3, v21
	v_lshlrev_b32_e32 v21, 24, v2
	v_not_b32_e32 v2, v21
	v_xor_b32_e32 v5, vcc_lo, v5
	v_cmp_gt_i64_e32 vcc, 0, v[20:21]
	v_ashrrev_i32_e32 v2, 31, v2
	v_and_b32_e32 v4, v4, v5
	v_xor_b32_e32 v5, vcc_hi, v2
	v_xor_b32_e32 v2, vcc_lo, v2
	v_and_b32_e32 v2, v4, v2
	v_and_b32_e32 v3, v3, v5
	v_mbcnt_lo_u32_b32 v4, v2, 0
	v_mbcnt_hi_u32_b32 v111, v3, v4
	v_cmp_eq_u32_e32 vcc, 0, v111
	v_cmp_ne_u64_e64 s[36:37], 0, v[2:3]
	s_and_b64 s[38:39], s[36:37], vcc
	; wave barrier
	s_and_saveexec_b64 s[36:37], s[38:39]
	s_cbranch_execz .LBB1326_254
; %bb.253:                              ;   in Loop: Header=BB1326_232 Depth=2
	v_bcnt_u32_b32 v2, v2, 0
	v_bcnt_u32_b32 v2, v3, v2
	s_waitcnt lgkmcnt(0)
	v_add_u32_e32 v2, v109, v2
	ds_write_b32 v110, v2
.LBB1326_254:                           ;   in Loop: Header=BB1326_232 Depth=2
	s_or_b64 exec, exec, s[36:37]
	v_cmp_gt_i32_e32 vcc, 0, v6
	v_cndmask_b32_e64 v2, v73, 0, vcc
	v_xor_b32_e32 v112, v2, v6
	v_cmp_ne_u32_e32 vcc, s76, v112
	v_cndmask_b32_e32 v2, v73, v112, vcc
	v_lshrrev_b32_e32 v2, s85, v2
	v_and_b32_e32 v2, s86, v2
	v_mul_u32_u24_e32 v3, 5, v2
	v_add_lshl_u32 v3, v3, v98, 2
	; wave barrier
	v_add_u32_e32 v113, 0x410, v3
	ds_read_b32 v6, v3 offset:1040
	v_and_b32_e32 v3, 1, v2
	v_add_co_u32_e32 v4, vcc, -1, v3
	v_addc_co_u32_e64 v5, s[36:37], 0, -1, vcc
	v_cmp_ne_u32_e32 vcc, 0, v3
	v_lshlrev_b32_e32 v21, 30, v2
	v_xor_b32_e32 v3, vcc_hi, v5
	v_not_b32_e32 v5, v21
	v_xor_b32_e32 v4, vcc_lo, v4
	v_cmp_gt_i64_e32 vcc, 0, v[20:21]
	v_ashrrev_i32_e32 v5, 31, v5
	v_and_b32_e32 v3, exec_hi, v3
	v_xor_b32_e32 v21, vcc_hi, v5
	v_and_b32_e32 v4, exec_lo, v4
	v_xor_b32_e32 v5, vcc_lo, v5
	v_and_b32_e32 v3, v3, v21
	v_lshlrev_b32_e32 v21, 29, v2
	v_and_b32_e32 v4, v4, v5
	v_not_b32_e32 v5, v21
	v_cmp_gt_i64_e32 vcc, 0, v[20:21]
	v_ashrrev_i32_e32 v5, 31, v5
	v_xor_b32_e32 v21, vcc_hi, v5
	v_xor_b32_e32 v5, vcc_lo, v5
	v_and_b32_e32 v3, v3, v21
	v_lshlrev_b32_e32 v21, 28, v2
	v_and_b32_e32 v4, v4, v5
	v_not_b32_e32 v5, v21
	v_cmp_gt_i64_e32 vcc, 0, v[20:21]
	v_ashrrev_i32_e32 v5, 31, v5
	v_xor_b32_e32 v21, vcc_hi, v5
	;; [unrolled: 8-line block ×5, first 2 shown]
	v_and_b32_e32 v3, v3, v21
	v_lshlrev_b32_e32 v21, 24, v2
	v_not_b32_e32 v2, v21
	v_xor_b32_e32 v5, vcc_lo, v5
	v_cmp_gt_i64_e32 vcc, 0, v[20:21]
	v_ashrrev_i32_e32 v2, 31, v2
	v_and_b32_e32 v4, v4, v5
	v_xor_b32_e32 v5, vcc_hi, v2
	v_xor_b32_e32 v2, vcc_lo, v2
	v_and_b32_e32 v2, v4, v2
	v_and_b32_e32 v3, v3, v5
	v_mbcnt_lo_u32_b32 v4, v2, 0
	v_mbcnt_hi_u32_b32 v114, v3, v4
	v_cmp_eq_u32_e32 vcc, 0, v114
	v_cmp_ne_u64_e64 s[36:37], 0, v[2:3]
	s_and_b64 s[38:39], s[36:37], vcc
	; wave barrier
	s_and_saveexec_b64 s[36:37], s[38:39]
	s_cbranch_execz .LBB1326_256
; %bb.255:                              ;   in Loop: Header=BB1326_232 Depth=2
	v_bcnt_u32_b32 v2, v2, 0
	v_bcnt_u32_b32 v2, v3, v2
	s_waitcnt lgkmcnt(0)
	v_add_u32_e32 v2, v6, v2
	ds_write_b32 v113, v2
.LBB1326_256:                           ;   in Loop: Header=BB1326_232 Depth=2
	s_or_b64 exec, exec, s[36:37]
	v_cmp_gt_i32_e32 vcc, 0, v7
	v_cndmask_b32_e64 v2, v73, 0, vcc
	v_xor_b32_e32 v115, v2, v7
	v_cmp_ne_u32_e32 vcc, s76, v115
	v_cndmask_b32_e32 v2, v73, v115, vcc
	v_lshrrev_b32_e32 v2, s85, v2
	v_and_b32_e32 v2, s86, v2
	v_mul_u32_u24_e32 v3, 5, v2
	v_add_lshl_u32 v3, v3, v98, 2
	; wave barrier
	v_add_u32_e32 v116, 0x410, v3
	ds_read_b32 v7, v3 offset:1040
	v_and_b32_e32 v3, 1, v2
	v_add_co_u32_e32 v4, vcc, -1, v3
	v_addc_co_u32_e64 v5, s[36:37], 0, -1, vcc
	v_cmp_ne_u32_e32 vcc, 0, v3
	v_lshlrev_b32_e32 v21, 30, v2
	v_xor_b32_e32 v3, vcc_hi, v5
	v_not_b32_e32 v5, v21
	v_xor_b32_e32 v4, vcc_lo, v4
	v_cmp_gt_i64_e32 vcc, 0, v[20:21]
	v_ashrrev_i32_e32 v5, 31, v5
	v_and_b32_e32 v3, exec_hi, v3
	v_xor_b32_e32 v21, vcc_hi, v5
	v_and_b32_e32 v4, exec_lo, v4
	v_xor_b32_e32 v5, vcc_lo, v5
	v_and_b32_e32 v3, v3, v21
	v_lshlrev_b32_e32 v21, 29, v2
	v_and_b32_e32 v4, v4, v5
	v_not_b32_e32 v5, v21
	v_cmp_gt_i64_e32 vcc, 0, v[20:21]
	v_ashrrev_i32_e32 v5, 31, v5
	v_xor_b32_e32 v21, vcc_hi, v5
	v_xor_b32_e32 v5, vcc_lo, v5
	v_and_b32_e32 v3, v3, v21
	v_lshlrev_b32_e32 v21, 28, v2
	v_and_b32_e32 v4, v4, v5
	v_not_b32_e32 v5, v21
	v_cmp_gt_i64_e32 vcc, 0, v[20:21]
	v_ashrrev_i32_e32 v5, 31, v5
	v_xor_b32_e32 v21, vcc_hi, v5
	v_xor_b32_e32 v5, vcc_lo, v5
	v_and_b32_e32 v3, v3, v21
	v_lshlrev_b32_e32 v21, 27, v2
	v_and_b32_e32 v4, v4, v5
	v_not_b32_e32 v5, v21
	v_cmp_gt_i64_e32 vcc, 0, v[20:21]
	v_ashrrev_i32_e32 v5, 31, v5
	v_xor_b32_e32 v21, vcc_hi, v5
	v_xor_b32_e32 v5, vcc_lo, v5
	v_and_b32_e32 v3, v3, v21
	v_lshlrev_b32_e32 v21, 26, v2
	v_and_b32_e32 v4, v4, v5
	v_not_b32_e32 v5, v21
	v_cmp_gt_i64_e32 vcc, 0, v[20:21]
	v_ashrrev_i32_e32 v5, 31, v5
	v_xor_b32_e32 v21, vcc_hi, v5
	v_xor_b32_e32 v5, vcc_lo, v5
	v_and_b32_e32 v3, v3, v21
	v_lshlrev_b32_e32 v21, 25, v2
	v_and_b32_e32 v4, v4, v5
	v_not_b32_e32 v5, v21
	v_cmp_gt_i64_e32 vcc, 0, v[20:21]
	v_ashrrev_i32_e32 v5, 31, v5
	v_xor_b32_e32 v21, vcc_hi, v5
	v_and_b32_e32 v3, v3, v21
	v_lshlrev_b32_e32 v21, 24, v2
	v_not_b32_e32 v2, v21
	v_xor_b32_e32 v5, vcc_lo, v5
	v_cmp_gt_i64_e32 vcc, 0, v[20:21]
	v_ashrrev_i32_e32 v2, 31, v2
	v_and_b32_e32 v4, v4, v5
	v_xor_b32_e32 v5, vcc_hi, v2
	v_xor_b32_e32 v2, vcc_lo, v2
	v_and_b32_e32 v2, v4, v2
	v_and_b32_e32 v3, v3, v5
	v_mbcnt_lo_u32_b32 v4, v2, 0
	v_mbcnt_hi_u32_b32 v117, v3, v4
	v_cmp_eq_u32_e32 vcc, 0, v117
	v_cmp_ne_u64_e64 s[36:37], 0, v[2:3]
	s_and_b64 s[38:39], s[36:37], vcc
	; wave barrier
	s_and_saveexec_b64 s[36:37], s[38:39]
	s_cbranch_execz .LBB1326_258
; %bb.257:                              ;   in Loop: Header=BB1326_232 Depth=2
	v_bcnt_u32_b32 v2, v2, 0
	v_bcnt_u32_b32 v2, v3, v2
	s_waitcnt lgkmcnt(0)
	v_add_u32_e32 v2, v7, v2
	ds_write_b32 v116, v2
.LBB1326_258:                           ;   in Loop: Header=BB1326_232 Depth=2
	s_or_b64 exec, exec, s[36:37]
	v_cmp_gt_i32_e32 vcc, 0, v8
	v_cndmask_b32_e64 v2, v73, 0, vcc
	v_xor_b32_e32 v118, v2, v8
	v_cmp_ne_u32_e32 vcc, s76, v118
	v_cndmask_b32_e32 v2, v73, v118, vcc
	v_lshrrev_b32_e32 v2, s85, v2
	v_and_b32_e32 v2, s86, v2
	v_mul_u32_u24_e32 v3, 5, v2
	v_add_lshl_u32 v3, v3, v98, 2
	; wave barrier
	v_add_u32_e32 v8, 0x410, v3
	ds_read_b32 v119, v3 offset:1040
	v_and_b32_e32 v3, 1, v2
	v_add_co_u32_e32 v4, vcc, -1, v3
	v_addc_co_u32_e64 v5, s[36:37], 0, -1, vcc
	v_cmp_ne_u32_e32 vcc, 0, v3
	v_lshlrev_b32_e32 v21, 30, v2
	v_xor_b32_e32 v3, vcc_hi, v5
	v_not_b32_e32 v5, v21
	v_xor_b32_e32 v4, vcc_lo, v4
	v_cmp_gt_i64_e32 vcc, 0, v[20:21]
	v_ashrrev_i32_e32 v5, 31, v5
	v_and_b32_e32 v3, exec_hi, v3
	v_xor_b32_e32 v21, vcc_hi, v5
	v_and_b32_e32 v4, exec_lo, v4
	v_xor_b32_e32 v5, vcc_lo, v5
	v_and_b32_e32 v3, v3, v21
	v_lshlrev_b32_e32 v21, 29, v2
	v_and_b32_e32 v4, v4, v5
	v_not_b32_e32 v5, v21
	v_cmp_gt_i64_e32 vcc, 0, v[20:21]
	v_ashrrev_i32_e32 v5, 31, v5
	v_xor_b32_e32 v21, vcc_hi, v5
	v_xor_b32_e32 v5, vcc_lo, v5
	v_and_b32_e32 v3, v3, v21
	v_lshlrev_b32_e32 v21, 28, v2
	v_and_b32_e32 v4, v4, v5
	v_not_b32_e32 v5, v21
	v_cmp_gt_i64_e32 vcc, 0, v[20:21]
	v_ashrrev_i32_e32 v5, 31, v5
	v_xor_b32_e32 v21, vcc_hi, v5
	;; [unrolled: 8-line block ×5, first 2 shown]
	v_and_b32_e32 v3, v3, v21
	v_lshlrev_b32_e32 v21, 24, v2
	v_not_b32_e32 v2, v21
	v_xor_b32_e32 v5, vcc_lo, v5
	v_cmp_gt_i64_e32 vcc, 0, v[20:21]
	v_ashrrev_i32_e32 v2, 31, v2
	v_and_b32_e32 v4, v4, v5
	v_xor_b32_e32 v5, vcc_hi, v2
	v_xor_b32_e32 v2, vcc_lo, v2
	v_and_b32_e32 v2, v4, v2
	v_and_b32_e32 v3, v3, v5
	v_mbcnt_lo_u32_b32 v4, v2, 0
	v_mbcnt_hi_u32_b32 v120, v3, v4
	v_cmp_eq_u32_e32 vcc, 0, v120
	v_cmp_ne_u64_e64 s[36:37], 0, v[2:3]
	s_and_b64 s[38:39], s[36:37], vcc
	; wave barrier
	s_and_saveexec_b64 s[36:37], s[38:39]
	s_cbranch_execz .LBB1326_260
; %bb.259:                              ;   in Loop: Header=BB1326_232 Depth=2
	v_bcnt_u32_b32 v2, v2, 0
	v_bcnt_u32_b32 v2, v3, v2
	s_waitcnt lgkmcnt(0)
	v_add_u32_e32 v2, v119, v2
	ds_write_b32 v8, v2
.LBB1326_260:                           ;   in Loop: Header=BB1326_232 Depth=2
	s_or_b64 exec, exec, s[36:37]
	v_cmp_gt_i32_e32 vcc, 0, v9
	v_cndmask_b32_e64 v2, v73, 0, vcc
	v_xor_b32_e32 v121, v2, v9
	v_cmp_ne_u32_e32 vcc, s76, v121
	v_cndmask_b32_e32 v2, v73, v121, vcc
	v_lshrrev_b32_e32 v2, s85, v2
	v_and_b32_e32 v2, s86, v2
	v_mul_u32_u24_e32 v3, 5, v2
	v_add_lshl_u32 v3, v3, v98, 2
	; wave barrier
	v_add_u32_e32 v9, 0x410, v3
	ds_read_b32 v122, v3 offset:1040
	v_and_b32_e32 v3, 1, v2
	v_add_co_u32_e32 v4, vcc, -1, v3
	v_addc_co_u32_e64 v5, s[36:37], 0, -1, vcc
	v_cmp_ne_u32_e32 vcc, 0, v3
	v_lshlrev_b32_e32 v21, 30, v2
	v_xor_b32_e32 v3, vcc_hi, v5
	v_not_b32_e32 v5, v21
	v_xor_b32_e32 v4, vcc_lo, v4
	v_cmp_gt_i64_e32 vcc, 0, v[20:21]
	v_ashrrev_i32_e32 v5, 31, v5
	v_and_b32_e32 v3, exec_hi, v3
	v_xor_b32_e32 v21, vcc_hi, v5
	v_and_b32_e32 v4, exec_lo, v4
	v_xor_b32_e32 v5, vcc_lo, v5
	v_and_b32_e32 v3, v3, v21
	v_lshlrev_b32_e32 v21, 29, v2
	v_and_b32_e32 v4, v4, v5
	v_not_b32_e32 v5, v21
	v_cmp_gt_i64_e32 vcc, 0, v[20:21]
	v_ashrrev_i32_e32 v5, 31, v5
	v_xor_b32_e32 v21, vcc_hi, v5
	v_xor_b32_e32 v5, vcc_lo, v5
	v_and_b32_e32 v3, v3, v21
	v_lshlrev_b32_e32 v21, 28, v2
	v_and_b32_e32 v4, v4, v5
	v_not_b32_e32 v5, v21
	v_cmp_gt_i64_e32 vcc, 0, v[20:21]
	v_ashrrev_i32_e32 v5, 31, v5
	v_xor_b32_e32 v21, vcc_hi, v5
	;; [unrolled: 8-line block ×5, first 2 shown]
	v_and_b32_e32 v3, v3, v21
	v_lshlrev_b32_e32 v21, 24, v2
	v_not_b32_e32 v2, v21
	v_xor_b32_e32 v5, vcc_lo, v5
	v_cmp_gt_i64_e32 vcc, 0, v[20:21]
	v_ashrrev_i32_e32 v2, 31, v2
	v_and_b32_e32 v4, v4, v5
	v_xor_b32_e32 v5, vcc_hi, v2
	v_xor_b32_e32 v2, vcc_lo, v2
	v_and_b32_e32 v2, v4, v2
	v_and_b32_e32 v3, v3, v5
	v_mbcnt_lo_u32_b32 v4, v2, 0
	v_mbcnt_hi_u32_b32 v123, v3, v4
	v_cmp_eq_u32_e32 vcc, 0, v123
	v_cmp_ne_u64_e64 s[36:37], 0, v[2:3]
	s_and_b64 s[38:39], s[36:37], vcc
	; wave barrier
	s_and_saveexec_b64 s[36:37], s[38:39]
	s_cbranch_execz .LBB1326_262
; %bb.261:                              ;   in Loop: Header=BB1326_232 Depth=2
	v_bcnt_u32_b32 v2, v2, 0
	v_bcnt_u32_b32 v2, v3, v2
	s_waitcnt lgkmcnt(0)
	v_add_u32_e32 v2, v122, v2
	ds_write_b32 v9, v2
.LBB1326_262:                           ;   in Loop: Header=BB1326_232 Depth=2
	s_or_b64 exec, exec, s[36:37]
	; wave barrier
	s_waitcnt lgkmcnt(0)
	s_barrier
	ds_read_b32 v21, v50 offset:1040
	ds_read2_b32 v[4:5], v52 offset0:1 offset1:2
	ds_read2_b32 v[2:3], v52 offset0:3 offset1:4
	s_waitcnt lgkmcnt(1)
	v_add3_u32 v124, v4, v21, v5
	s_waitcnt lgkmcnt(0)
	v_add3_u32 v3, v124, v2, v3
	s_nop 1
	v_mov_b32_dpp v124, v3 row_shr:1 row_mask:0xf bank_mask:0xf
	v_cndmask_b32_e64 v124, v124, 0, s[16:17]
	v_add_u32_e32 v3, v124, v3
	s_nop 1
	v_mov_b32_dpp v124, v3 row_shr:2 row_mask:0xf bank_mask:0xf
	v_cndmask_b32_e64 v124, 0, v124, s[18:19]
	v_add_u32_e32 v3, v3, v124
	;; [unrolled: 4-line block ×4, first 2 shown]
	s_nop 1
	v_mov_b32_dpp v124, v3 row_bcast:15 row_mask:0xf bank_mask:0xf
	v_cndmask_b32_e64 v124, v124, 0, s[24:25]
	v_add_u32_e32 v3, v3, v124
	s_nop 1
	v_mov_b32_dpp v124, v3 row_bcast:31 row_mask:0xf bank_mask:0xf
	v_cndmask_b32_e64 v124, 0, v124, s[26:27]
	v_add_u32_e32 v3, v3, v124
	s_and_saveexec_b64 s[36:37], s[6:7]
	s_cbranch_execz .LBB1326_264
; %bb.263:                              ;   in Loop: Header=BB1326_232 Depth=2
	ds_write_b32 v43, v3 offset:1024
.LBB1326_264:                           ;   in Loop: Header=BB1326_232 Depth=2
	s_or_b64 exec, exec, s[36:37]
	s_waitcnt lgkmcnt(0)
	s_barrier
	s_and_saveexec_b64 s[36:37], s[8:9]
	s_cbranch_execz .LBB1326_266
; %bb.265:                              ;   in Loop: Header=BB1326_232 Depth=2
	ds_read_b32 v124, v53 offset:1024
	s_waitcnt lgkmcnt(0)
	s_nop 0
	v_mov_b32_dpp v125, v124 row_shr:1 row_mask:0xf bank_mask:0xf
	v_cndmask_b32_e64 v125, v125, 0, s[30:31]
	v_add_u32_e32 v124, v125, v124
	s_nop 1
	v_mov_b32_dpp v125, v124 row_shr:2 row_mask:0xf bank_mask:0xf
	v_cndmask_b32_e64 v125, 0, v125, s[34:35]
	v_add_u32_e32 v124, v124, v125
	ds_write_b32 v53, v124 offset:1024
.LBB1326_266:                           ;   in Loop: Header=BB1326_232 Depth=2
	s_or_b64 exec, exec, s[36:37]
	v_mov_b32_e32 v124, 0
	s_waitcnt lgkmcnt(0)
	s_barrier
	s_and_saveexec_b64 s[36:37], s[10:11]
	s_cbranch_execz .LBB1326_268
; %bb.267:                              ;   in Loop: Header=BB1326_232 Depth=2
	ds_read_b32 v124, v43 offset:1020
.LBB1326_268:                           ;   in Loop: Header=BB1326_232 Depth=2
	s_or_b64 exec, exec, s[36:37]
	s_waitcnt lgkmcnt(0)
	v_add_u32_e32 v3, v124, v3
	ds_bpermute_b32 v3, v75, v3
	s_waitcnt lgkmcnt(0)
	v_cndmask_b32_e64 v3, v3, v124, s[28:29]
	v_cndmask_b32_e64 v3, v3, 0, s[12:13]
	v_add_u32_e32 v21, v3, v21
	ds_write_b32 v50, v3 offset:1040
	v_add_u32_e32 v3, v21, v4
	v_add_u32_e32 v4, v3, v5
	;; [unrolled: 1-line block ×3, first 2 shown]
	ds_write2_b32 v52, v21, v3 offset0:1 offset1:2
	ds_write2_b32 v52, v4, v2 offset0:3 offset1:4
	s_waitcnt lgkmcnt(0)
	s_barrier
	ds_read_b32 v2, v102
	ds_read_b32 v3, v106
	;; [unrolled: 1-line block ×8, first 2 shown]
	ds_read_b32 v9, v50 offset:1040
	v_mov_b32_e32 v4, 0x800
	s_and_saveexec_b64 s[36:37], s[14:15]
	s_cbranch_execz .LBB1326_270
; %bb.269:                              ;   in Loop: Header=BB1326_232 Depth=2
	ds_read_b32 v4, v50 offset:1060
.LBB1326_270:                           ;   in Loop: Header=BB1326_232 Depth=2
	s_or_b64 exec, exec, s[36:37]
	s_waitcnt lgkmcnt(0)
	s_barrier
	s_and_saveexec_b64 s[36:37], s[4:5]
	s_cbranch_execz .LBB1326_272
; %bb.271:                              ;   in Loop: Header=BB1326_232 Depth=2
	ds_read_b32 v21, v19
	s_waitcnt lgkmcnt(0)
	v_sub_u32_e32 v9, v21, v9
	ds_write_b32 v19, v9
.LBB1326_272:                           ;   in Loop: Header=BB1326_232 Depth=2
	s_or_b64 exec, exec, s[36:37]
	v_add_u32_e32 v100, v8, v101
	v_add3_u32 v39, v103, v39, v2
	v_lshlrev_b32_e32 v2, 2, v100
	v_add3_u32 v21, v107, v105, v3
	ds_write_b32 v2, v99 offset:1024
	v_lshlrev_b32_e32 v2, 2, v39
	v_add3_u32 v9, v111, v109, v5
	ds_write_b32 v2, v38 offset:1024
	;; [unrolled: 3-line block ×6, first 2 shown]
	v_lshlrev_b32_e32 v2, 2, v6
	ds_write_b32 v2, v118 offset:1024
	v_lshlrev_b32_e32 v2, 2, v5
	v_cmp_lt_u32_e32 vcc, v18, v0
	ds_write_b32 v2, v121 offset:1024
	s_waitcnt lgkmcnt(0)
	s_barrier
	s_and_saveexec_b64 s[38:39], vcc
	s_cbranch_execz .LBB1326_280
; %bb.273:                              ;   in Loop: Header=BB1326_232 Depth=2
	ds_read_b32 v2, v53 offset:1024
	v_mov_b32_e32 v3, v20
	v_mov_b32_e32 v99, s61
	s_waitcnt lgkmcnt(0)
	v_cmp_ne_u32_e64 s[36:37], s76, v2
	v_cndmask_b32_e64 v38, v73, v2, s[36:37]
	v_lshrrev_b32_e32 v38, s85, v38
	v_and_b32_e32 v38, s86, v38
	v_lshlrev_b32_e32 v38, 2, v38
	ds_read_b32 v38, v38
	v_cmp_gt_i32_e64 s[36:37], 0, v2
	v_cndmask_b32_e64 v101, v73, 0, s[36:37]
	v_xor_b32_e32 v101, v101, v2
	s_waitcnt lgkmcnt(0)
	v_add_u32_e32 v2, v38, v18
	v_lshlrev_b64 v[2:3], 2, v[2:3]
	v_add_co_u32_e64 v2, s[36:37], s60, v2
	v_addc_co_u32_e64 v3, s[36:37], v99, v3, s[36:37]
	global_store_dword v[2:3], v101, off
	s_or_b64 exec, exec, s[38:39]
	v_cmp_lt_u32_e64 s[36:37], v23, v0
	s_and_saveexec_b64 s[40:41], s[36:37]
	s_cbranch_execnz .LBB1326_281
.LBB1326_274:                           ;   in Loop: Header=BB1326_232 Depth=2
	s_or_b64 exec, exec, s[40:41]
	v_cmp_lt_u32_e64 s[38:39], v25, v0
	s_and_saveexec_b64 s[42:43], s[38:39]
	s_cbranch_execz .LBB1326_282
.LBB1326_275:                           ;   in Loop: Header=BB1326_232 Depth=2
	ds_read_b32 v2, v58 offset:2048
	v_mov_b32_e32 v3, v20
	v_mov_b32_e32 v99, s61
	s_waitcnt lgkmcnt(0)
	v_cmp_ne_u32_e64 s[40:41], s76, v2
	v_cndmask_b32_e64 v38, v73, v2, s[40:41]
	v_lshrrev_b32_e32 v38, s85, v38
	v_and_b32_e32 v38, s86, v38
	v_lshlrev_b32_e32 v38, 2, v38
	ds_read_b32 v38, v38
	v_cmp_gt_i32_e64 s[40:41], 0, v2
	v_cndmask_b32_e64 v101, v73, 0, s[40:41]
	v_xor_b32_e32 v101, v101, v2
	s_waitcnt lgkmcnt(0)
	v_add_u32_e32 v2, v38, v25
	v_lshlrev_b64 v[2:3], 2, v[2:3]
	v_add_co_u32_e64 v2, s[40:41], s60, v2
	v_addc_co_u32_e64 v3, s[40:41], v99, v3, s[40:41]
	global_store_dword v[2:3], v101, off
	s_or_b64 exec, exec, s[42:43]
	v_cmp_lt_u32_e64 s[40:41], v27, v0
	s_and_saveexec_b64 s[44:45], s[40:41]
	s_cbranch_execnz .LBB1326_283
.LBB1326_276:                           ;   in Loop: Header=BB1326_232 Depth=2
	s_or_b64 exec, exec, s[44:45]
	v_cmp_lt_u32_e64 s[42:43], v22, v0
	s_and_saveexec_b64 s[46:47], s[42:43]
	s_cbranch_execz .LBB1326_284
.LBB1326_277:                           ;   in Loop: Header=BB1326_232 Depth=2
	ds_read_b32 v2, v58 offset:4096
	v_mov_b32_e32 v3, v20
	v_mov_b32_e32 v99, s61
	s_waitcnt lgkmcnt(0)
	v_cmp_ne_u32_e64 s[44:45], s76, v2
	v_cndmask_b32_e64 v38, v73, v2, s[44:45]
	v_lshrrev_b32_e32 v38, s85, v38
	v_and_b32_e32 v38, s86, v38
	v_lshlrev_b32_e32 v38, 2, v38
	ds_read_b32 v38, v38
	v_cmp_gt_i32_e64 s[44:45], 0, v2
	v_cndmask_b32_e64 v101, v73, 0, s[44:45]
	v_xor_b32_e32 v101, v101, v2
	s_waitcnt lgkmcnt(0)
	v_add_u32_e32 v2, v38, v22
	v_lshlrev_b64 v[2:3], 2, v[2:3]
	v_add_co_u32_e64 v2, s[44:45], s60, v2
	v_addc_co_u32_e64 v3, s[44:45], v99, v3, s[44:45]
	global_store_dword v[2:3], v101, off
	s_or_b64 exec, exec, s[46:47]
	v_cmp_lt_u32_e64 s[44:45], v24, v0
	s_and_saveexec_b64 s[48:49], s[44:45]
	s_cbranch_execnz .LBB1326_285
.LBB1326_278:                           ;   in Loop: Header=BB1326_232 Depth=2
	s_or_b64 exec, exec, s[48:49]
	v_cmp_lt_u32_e64 s[46:47], v26, v0
	s_and_saveexec_b64 s[52:53], s[46:47]
	s_cbranch_execz .LBB1326_286
.LBB1326_279:                           ;   in Loop: Header=BB1326_232 Depth=2
	ds_read_b32 v2, v58 offset:6144
	v_mov_b32_e32 v3, v20
	v_mov_b32_e32 v99, s61
	s_waitcnt lgkmcnt(0)
	v_cmp_ne_u32_e64 s[48:49], s76, v2
	v_cndmask_b32_e64 v38, v73, v2, s[48:49]
	v_lshrrev_b32_e32 v38, s85, v38
	v_and_b32_e32 v38, s86, v38
	v_lshlrev_b32_e32 v38, 2, v38
	ds_read_b32 v38, v38
	v_cmp_gt_i32_e64 s[48:49], 0, v2
	v_cndmask_b32_e64 v101, v73, 0, s[48:49]
	v_xor_b32_e32 v101, v101, v2
	s_waitcnt lgkmcnt(0)
	v_add_u32_e32 v2, v38, v26
	v_lshlrev_b64 v[2:3], 2, v[2:3]
	v_add_co_u32_e64 v2, s[48:49], s60, v2
	v_addc_co_u32_e64 v3, s[48:49], v99, v3, s[48:49]
	global_store_dword v[2:3], v101, off
	s_or_b64 exec, exec, s[52:53]
	v_cmp_lt_u32_e64 s[48:49], v28, v0
	s_and_saveexec_b64 s[62:63], s[48:49]
	s_cbranch_execnz .LBB1326_287
	s_branch .LBB1326_288
.LBB1326_280:                           ;   in Loop: Header=BB1326_232 Depth=2
	s_or_b64 exec, exec, s[38:39]
	v_cmp_lt_u32_e64 s[36:37], v23, v0
	s_and_saveexec_b64 s[40:41], s[36:37]
	s_cbranch_execz .LBB1326_274
.LBB1326_281:                           ;   in Loop: Header=BB1326_232 Depth=2
	ds_read_b32 v2, v58 offset:1024
	v_mov_b32_e32 v3, v20
	v_mov_b32_e32 v99, s61
	s_waitcnt lgkmcnt(0)
	v_cmp_ne_u32_e64 s[38:39], s76, v2
	v_cndmask_b32_e64 v38, v73, v2, s[38:39]
	v_lshrrev_b32_e32 v38, s85, v38
	v_and_b32_e32 v38, s86, v38
	v_lshlrev_b32_e32 v38, 2, v38
	ds_read_b32 v38, v38
	v_cmp_gt_i32_e64 s[38:39], 0, v2
	v_cndmask_b32_e64 v101, v73, 0, s[38:39]
	v_xor_b32_e32 v101, v101, v2
	s_waitcnt lgkmcnt(0)
	v_add_u32_e32 v2, v38, v23
	v_lshlrev_b64 v[2:3], 2, v[2:3]
	v_add_co_u32_e64 v2, s[38:39], s60, v2
	v_addc_co_u32_e64 v3, s[38:39], v99, v3, s[38:39]
	global_store_dword v[2:3], v101, off
	s_or_b64 exec, exec, s[40:41]
	v_cmp_lt_u32_e64 s[38:39], v25, v0
	s_and_saveexec_b64 s[42:43], s[38:39]
	s_cbranch_execnz .LBB1326_275
.LBB1326_282:                           ;   in Loop: Header=BB1326_232 Depth=2
	s_or_b64 exec, exec, s[42:43]
	v_cmp_lt_u32_e64 s[40:41], v27, v0
	s_and_saveexec_b64 s[44:45], s[40:41]
	s_cbranch_execz .LBB1326_276
.LBB1326_283:                           ;   in Loop: Header=BB1326_232 Depth=2
	ds_read_b32 v2, v58 offset:3072
	v_mov_b32_e32 v3, v20
	v_mov_b32_e32 v99, s61
	s_waitcnt lgkmcnt(0)
	v_cmp_ne_u32_e64 s[42:43], s76, v2
	v_cndmask_b32_e64 v38, v73, v2, s[42:43]
	v_lshrrev_b32_e32 v38, s85, v38
	v_and_b32_e32 v38, s86, v38
	v_lshlrev_b32_e32 v38, 2, v38
	ds_read_b32 v38, v38
	v_cmp_gt_i32_e64 s[42:43], 0, v2
	v_cndmask_b32_e64 v101, v73, 0, s[42:43]
	v_xor_b32_e32 v101, v101, v2
	s_waitcnt lgkmcnt(0)
	v_add_u32_e32 v2, v38, v27
	v_lshlrev_b64 v[2:3], 2, v[2:3]
	v_add_co_u32_e64 v2, s[42:43], s60, v2
	v_addc_co_u32_e64 v3, s[42:43], v99, v3, s[42:43]
	global_store_dword v[2:3], v101, off
	s_or_b64 exec, exec, s[44:45]
	v_cmp_lt_u32_e64 s[42:43], v22, v0
	s_and_saveexec_b64 s[46:47], s[42:43]
	s_cbranch_execnz .LBB1326_277
.LBB1326_284:                           ;   in Loop: Header=BB1326_232 Depth=2
	s_or_b64 exec, exec, s[46:47]
	v_cmp_lt_u32_e64 s[44:45], v24, v0
	s_and_saveexec_b64 s[48:49], s[44:45]
	s_cbranch_execz .LBB1326_278
.LBB1326_285:                           ;   in Loop: Header=BB1326_232 Depth=2
	ds_read_b32 v2, v58 offset:5120
	v_mov_b32_e32 v3, v20
	v_mov_b32_e32 v99, s61
	s_waitcnt lgkmcnt(0)
	v_cmp_ne_u32_e64 s[46:47], s76, v2
	v_cndmask_b32_e64 v38, v73, v2, s[46:47]
	v_lshrrev_b32_e32 v38, s85, v38
	v_and_b32_e32 v38, s86, v38
	v_lshlrev_b32_e32 v38, 2, v38
	ds_read_b32 v38, v38
	v_cmp_gt_i32_e64 s[46:47], 0, v2
	v_cndmask_b32_e64 v101, v73, 0, s[46:47]
	v_xor_b32_e32 v101, v101, v2
	s_waitcnt lgkmcnt(0)
	v_add_u32_e32 v2, v38, v24
	v_lshlrev_b64 v[2:3], 2, v[2:3]
	v_add_co_u32_e64 v2, s[46:47], s60, v2
	v_addc_co_u32_e64 v3, s[46:47], v99, v3, s[46:47]
	global_store_dword v[2:3], v101, off
	s_or_b64 exec, exec, s[48:49]
	v_cmp_lt_u32_e64 s[46:47], v26, v0
	s_and_saveexec_b64 s[52:53], s[46:47]
	s_cbranch_execnz .LBB1326_279
.LBB1326_286:                           ;   in Loop: Header=BB1326_232 Depth=2
	s_or_b64 exec, exec, s[52:53]
	v_cmp_lt_u32_e64 s[48:49], v28, v0
	s_and_saveexec_b64 s[62:63], s[48:49]
	s_cbranch_execz .LBB1326_288
.LBB1326_287:                           ;   in Loop: Header=BB1326_232 Depth=2
	ds_read_b32 v2, v58 offset:7168
	v_mov_b32_e32 v3, v20
	v_mov_b32_e32 v99, s61
	s_waitcnt lgkmcnt(0)
	v_cmp_ne_u32_e64 s[52:53], s76, v2
	v_cndmask_b32_e64 v38, v73, v2, s[52:53]
	v_lshrrev_b32_e32 v38, s85, v38
	v_and_b32_e32 v38, s86, v38
	v_lshlrev_b32_e32 v38, 2, v38
	ds_read_b32 v38, v38
	v_cmp_gt_i32_e64 s[52:53], 0, v2
	v_cndmask_b32_e64 v101, v73, 0, s[52:53]
	v_xor_b32_e32 v101, v101, v2
	s_waitcnt lgkmcnt(0)
	v_add_u32_e32 v2, v38, v28
	v_lshlrev_b64 v[2:3], 2, v[2:3]
	v_add_co_u32_e64 v2, s[52:53], s60, v2
	v_addc_co_u32_e64 v3, s[52:53], v99, v3, s[52:53]
	global_store_dword v[2:3], v101, off
.LBB1326_288:                           ;   in Loop: Header=BB1326_232 Depth=2
	s_or_b64 exec, exec, s[62:63]
	s_lshl_b64 s[52:53], s[80:81], 3
	v_mov_b32_e32 v3, s53
	v_add_co_u32_e64 v2, s[52:53], s52, v83
	v_addc_co_u32_e64 v3, s[52:53], v85, v3, s[52:53]
	v_cmp_lt_u32_e64 s[52:53], v80, v0
	s_and_saveexec_b64 s[62:63], s[52:53]
	s_xor_b64 s[52:53], exec, s[62:63]
	s_cbranch_execz .LBB1326_304
; %bb.289:                              ;   in Loop: Header=BB1326_232 Depth=2
	global_load_dwordx2 v[36:37], v[2:3], off
	s_or_b64 exec, exec, s[52:53]
	v_cmp_lt_u32_e64 s[52:53], v87, v0
	s_and_saveexec_b64 s[62:63], s[52:53]
	s_cbranch_execnz .LBB1326_305
.LBB1326_290:                           ;   in Loop: Header=BB1326_232 Depth=2
	s_or_b64 exec, exec, s[62:63]
	v_cmp_lt_u32_e64 s[52:53], v88, v0
	s_and_saveexec_b64 s[62:63], s[52:53]
	s_cbranch_execz .LBB1326_306
.LBB1326_291:                           ;   in Loop: Header=BB1326_232 Depth=2
	global_load_dwordx2 v[32:33], v[2:3], off offset:1024
	s_or_b64 exec, exec, s[62:63]
	v_cmp_lt_u32_e64 s[52:53], v89, v0
	s_and_saveexec_b64 s[62:63], s[52:53]
	s_cbranch_execnz .LBB1326_307
.LBB1326_292:                           ;   in Loop: Header=BB1326_232 Depth=2
	s_or_b64 exec, exec, s[62:63]
	v_cmp_lt_u32_e64 s[52:53], v90, v0
	s_and_saveexec_b64 s[62:63], s[52:53]
	s_cbranch_execz .LBB1326_308
.LBB1326_293:                           ;   in Loop: Header=BB1326_232 Depth=2
	global_load_dwordx2 v[16:17], v[2:3], off offset:2048
	s_or_b64 exec, exec, s[62:63]
	v_cmp_lt_u32_e64 s[52:53], v91, v0
	s_and_saveexec_b64 s[62:63], s[52:53]
	s_cbranch_execnz .LBB1326_309
.LBB1326_294:                           ;   in Loop: Header=BB1326_232 Depth=2
	s_or_b64 exec, exec, s[62:63]
	v_cmp_lt_u32_e64 s[52:53], v92, v0
	s_and_saveexec_b64 s[62:63], s[52:53]
	s_cbranch_execz .LBB1326_310
.LBB1326_295:                           ;   in Loop: Header=BB1326_232 Depth=2
	global_load_dwordx2 v[12:13], v[2:3], off offset:3072
	s_or_b64 exec, exec, s[62:63]
	v_cmp_lt_u32_e64 s[52:53], v93, v0
	s_and_saveexec_b64 s[62:63], s[52:53]
	s_cbranch_execnz .LBB1326_311
.LBB1326_296:                           ;   in Loop: Header=BB1326_232 Depth=2
	s_or_b64 exec, exec, s[62:63]
	s_and_saveexec_b64 s[62:63], vcc
	s_cbranch_execz .LBB1326_312
.LBB1326_297:                           ;   in Loop: Header=BB1326_232 Depth=2
	ds_read_b32 v0, v53 offset:1024
	s_waitcnt lgkmcnt(0)
	v_cmp_ne_u32_e64 s[52:53], s76, v0
	v_cndmask_b32_e64 v0, v73, v0, s[52:53]
	v_lshrrev_b32_e32 v0, s85, v0
	v_and_b32_e32 v86, s86, v0
	s_or_b64 exec, exec, s[62:63]
	s_and_saveexec_b64 s[62:63], s[36:37]
	s_cbranch_execnz .LBB1326_313
.LBB1326_298:                           ;   in Loop: Header=BB1326_232 Depth=2
	s_or_b64 exec, exec, s[62:63]
	s_and_saveexec_b64 s[62:63], s[38:39]
	s_cbranch_execz .LBB1326_314
.LBB1326_299:                           ;   in Loop: Header=BB1326_232 Depth=2
	ds_read_b32 v0, v58 offset:2048
	s_waitcnt lgkmcnt(0)
	v_cmp_ne_u32_e64 s[52:53], s76, v0
	v_cndmask_b32_e64 v0, v73, v0, s[52:53]
	v_lshrrev_b32_e32 v0, s85, v0
	v_and_b32_e32 v82, s86, v0
	s_or_b64 exec, exec, s[62:63]
	s_and_saveexec_b64 s[62:63], s[40:41]
	s_cbranch_execnz .LBB1326_315
.LBB1326_300:                           ;   in Loop: Header=BB1326_232 Depth=2
	s_or_b64 exec, exec, s[62:63]
	s_and_saveexec_b64 s[62:63], s[42:43]
	s_cbranch_execz .LBB1326_316
.LBB1326_301:                           ;   in Loop: Header=BB1326_232 Depth=2
	ds_read_b32 v0, v58 offset:4096
	s_waitcnt lgkmcnt(0)
	v_cmp_ne_u32_e64 s[52:53], s76, v0
	v_cndmask_b32_e64 v0, v73, v0, s[52:53]
	v_lshrrev_b32_e32 v0, s85, v0
	v_and_b32_e32 v79, s86, v0
	s_or_b64 exec, exec, s[62:63]
	s_and_saveexec_b64 s[62:63], s[44:45]
	s_cbranch_execnz .LBB1326_317
.LBB1326_302:                           ;   in Loop: Header=BB1326_232 Depth=2
	s_or_b64 exec, exec, s[62:63]
	s_and_saveexec_b64 s[62:63], s[46:47]
	s_cbranch_execz .LBB1326_318
.LBB1326_303:                           ;   in Loop: Header=BB1326_232 Depth=2
	ds_read_b32 v0, v58 offset:6144
	s_waitcnt lgkmcnt(0)
	v_cmp_ne_u32_e64 s[52:53], s76, v0
	v_cndmask_b32_e64 v0, v73, v0, s[52:53]
	v_lshrrev_b32_e32 v0, s85, v0
	v_and_b32_e32 v77, s86, v0
	s_or_b64 exec, exec, s[62:63]
	s_and_saveexec_b64 s[62:63], s[48:49]
	s_cbranch_execnz .LBB1326_319
	s_branch .LBB1326_320
.LBB1326_304:                           ;   in Loop: Header=BB1326_232 Depth=2
	s_or_b64 exec, exec, s[52:53]
	v_cmp_lt_u32_e64 s[52:53], v87, v0
	s_and_saveexec_b64 s[62:63], s[52:53]
	s_cbranch_execz .LBB1326_290
.LBB1326_305:                           ;   in Loop: Header=BB1326_232 Depth=2
	global_load_dwordx2 v[34:35], v[2:3], off offset:512
	s_or_b64 exec, exec, s[62:63]
	v_cmp_lt_u32_e64 s[52:53], v88, v0
	s_and_saveexec_b64 s[62:63], s[52:53]
	s_cbranch_execnz .LBB1326_291
.LBB1326_306:                           ;   in Loop: Header=BB1326_232 Depth=2
	s_or_b64 exec, exec, s[62:63]
	v_cmp_lt_u32_e64 s[52:53], v89, v0
	s_and_saveexec_b64 s[62:63], s[52:53]
	s_cbranch_execz .LBB1326_292
.LBB1326_307:                           ;   in Loop: Header=BB1326_232 Depth=2
	global_load_dwordx2 v[30:31], v[2:3], off offset:1536
	s_or_b64 exec, exec, s[62:63]
	v_cmp_lt_u32_e64 s[52:53], v90, v0
	s_and_saveexec_b64 s[62:63], s[52:53]
	s_cbranch_execnz .LBB1326_293
.LBB1326_308:                           ;   in Loop: Header=BB1326_232 Depth=2
	s_or_b64 exec, exec, s[62:63]
	v_cmp_lt_u32_e64 s[52:53], v91, v0
	s_and_saveexec_b64 s[62:63], s[52:53]
	s_cbranch_execz .LBB1326_294
.LBB1326_309:                           ;   in Loop: Header=BB1326_232 Depth=2
	global_load_dwordx2 v[14:15], v[2:3], off offset:2560
	s_or_b64 exec, exec, s[62:63]
	v_cmp_lt_u32_e64 s[52:53], v92, v0
	s_and_saveexec_b64 s[62:63], s[52:53]
	s_cbranch_execnz .LBB1326_295
.LBB1326_310:                           ;   in Loop: Header=BB1326_232 Depth=2
	s_or_b64 exec, exec, s[62:63]
	v_cmp_lt_u32_e64 s[52:53], v93, v0
	s_and_saveexec_b64 s[62:63], s[52:53]
	s_cbranch_execz .LBB1326_296
.LBB1326_311:                           ;   in Loop: Header=BB1326_232 Depth=2
	global_load_dwordx2 v[10:11], v[2:3], off offset:3584
	s_or_b64 exec, exec, s[62:63]
	s_and_saveexec_b64 s[62:63], vcc
	s_cbranch_execnz .LBB1326_297
.LBB1326_312:                           ;   in Loop: Header=BB1326_232 Depth=2
	s_or_b64 exec, exec, s[62:63]
	s_and_saveexec_b64 s[62:63], s[36:37]
	s_cbranch_execz .LBB1326_298
.LBB1326_313:                           ;   in Loop: Header=BB1326_232 Depth=2
	ds_read_b32 v0, v58 offset:1024
	s_waitcnt lgkmcnt(0)
	v_cmp_ne_u32_e64 s[52:53], s76, v0
	v_cndmask_b32_e64 v0, v73, v0, s[52:53]
	v_lshrrev_b32_e32 v0, s85, v0
	v_and_b32_e32 v84, s86, v0
	s_or_b64 exec, exec, s[62:63]
	s_and_saveexec_b64 s[62:63], s[38:39]
	s_cbranch_execnz .LBB1326_299
.LBB1326_314:                           ;   in Loop: Header=BB1326_232 Depth=2
	s_or_b64 exec, exec, s[62:63]
	s_and_saveexec_b64 s[62:63], s[40:41]
	s_cbranch_execz .LBB1326_300
.LBB1326_315:                           ;   in Loop: Header=BB1326_232 Depth=2
	ds_read_b32 v0, v58 offset:3072
	s_waitcnt lgkmcnt(0)
	v_cmp_ne_u32_e64 s[52:53], s76, v0
	v_cndmask_b32_e64 v0, v73, v0, s[52:53]
	v_lshrrev_b32_e32 v0, s85, v0
	v_and_b32_e32 v81, s86, v0
	s_or_b64 exec, exec, s[62:63]
	s_and_saveexec_b64 s[62:63], s[42:43]
	s_cbranch_execnz .LBB1326_301
.LBB1326_316:                           ;   in Loop: Header=BB1326_232 Depth=2
	s_or_b64 exec, exec, s[62:63]
	s_and_saveexec_b64 s[62:63], s[44:45]
	s_cbranch_execz .LBB1326_302
.LBB1326_317:                           ;   in Loop: Header=BB1326_232 Depth=2
	ds_read_b32 v0, v58 offset:5120
	s_waitcnt lgkmcnt(0)
	v_cmp_ne_u32_e64 s[52:53], s76, v0
	v_cndmask_b32_e64 v0, v73, v0, s[52:53]
	v_lshrrev_b32_e32 v0, s85, v0
	v_and_b32_e32 v78, s86, v0
	s_or_b64 exec, exec, s[62:63]
	s_and_saveexec_b64 s[62:63], s[46:47]
	s_cbranch_execnz .LBB1326_303
.LBB1326_318:                           ;   in Loop: Header=BB1326_232 Depth=2
	s_or_b64 exec, exec, s[62:63]
	s_and_saveexec_b64 s[62:63], s[48:49]
	s_cbranch_execz .LBB1326_320
.LBB1326_319:                           ;   in Loop: Header=BB1326_232 Depth=2
	ds_read_b32 v0, v58 offset:7168
	s_waitcnt lgkmcnt(0)
	v_cmp_ne_u32_e64 s[52:53], s76, v0
	v_cndmask_b32_e64 v0, v73, v0, s[52:53]
	v_lshrrev_b32_e32 v0, s85, v0
	v_and_b32_e32 v76, s86, v0
.LBB1326_320:                           ;   in Loop: Header=BB1326_232 Depth=2
	s_or_b64 exec, exec, s[62:63]
	v_lshlrev_b32_e32 v0, 3, v100
	s_barrier
	s_waitcnt vmcnt(0)
	ds_write_b64 v0, v[36:37] offset:1024
	v_lshlrev_b32_e32 v0, 3, v39
	ds_write_b64 v0, v[34:35] offset:1024
	v_lshlrev_b32_e32 v0, 3, v21
	;; [unrolled: 2-line block ×7, first 2 shown]
	ds_write_b64 v0, v[10:11] offset:1024
	s_waitcnt lgkmcnt(0)
	s_barrier
	s_and_saveexec_b64 s[52:53], vcc
	s_cbranch_execz .LBB1326_328
; %bb.321:                              ;   in Loop: Header=BB1326_232 Depth=2
	v_lshlrev_b32_e32 v0, 2, v86
	ds_read_b32 v0, v0
	v_add_u32_e32 v2, v53, v19
	ds_read_b64 v[2:3], v2 offset:1024
	v_mov_b32_e32 v7, v20
	v_mov_b32_e32 v5, s75
	s_waitcnt lgkmcnt(1)
	v_add_u32_e32 v6, v0, v18
	v_lshlrev_b64 v[6:7], 3, v[6:7]
	v_add_co_u32_e32 v6, vcc, s74, v6
	v_addc_co_u32_e32 v7, vcc, v5, v7, vcc
	s_waitcnt lgkmcnt(0)
	global_store_dwordx2 v[6:7], v[2:3], off
	s_or_b64 exec, exec, s[52:53]
	s_and_saveexec_b64 s[52:53], s[36:37]
	s_cbranch_execnz .LBB1326_329
.LBB1326_322:                           ;   in Loop: Header=BB1326_232 Depth=2
	s_or_b64 exec, exec, s[52:53]
	s_and_saveexec_b64 s[36:37], s[38:39]
	s_cbranch_execz .LBB1326_330
.LBB1326_323:                           ;   in Loop: Header=BB1326_232 Depth=2
	v_lshlrev_b32_e32 v0, 2, v82
	ds_read_b32 v0, v0
	v_add_u32_e32 v2, v58, v19
	ds_read_b64 v[2:3], v2 offset:4096
	v_mov_b32_e32 v7, v20
	v_mov_b32_e32 v5, s75
	s_waitcnt lgkmcnt(1)
	v_add_u32_e32 v6, v0, v25
	v_lshlrev_b64 v[6:7], 3, v[6:7]
	v_add_co_u32_e32 v6, vcc, s74, v6
	v_addc_co_u32_e32 v7, vcc, v5, v7, vcc
	s_waitcnt lgkmcnt(0)
	global_store_dwordx2 v[6:7], v[2:3], off
	s_or_b64 exec, exec, s[36:37]
	s_and_saveexec_b64 s[36:37], s[40:41]
	s_cbranch_execnz .LBB1326_331
.LBB1326_324:                           ;   in Loop: Header=BB1326_232 Depth=2
	s_or_b64 exec, exec, s[36:37]
	s_and_saveexec_b64 s[36:37], s[42:43]
	s_cbranch_execz .LBB1326_332
.LBB1326_325:                           ;   in Loop: Header=BB1326_232 Depth=2
	v_lshlrev_b32_e32 v0, 2, v79
	ds_read_b32 v0, v0
	v_add_u32_e32 v2, v58, v19
	ds_read_b64 v[2:3], v2 offset:8192
	v_mov_b32_e32 v7, v20
	v_mov_b32_e32 v5, s75
	s_waitcnt lgkmcnt(1)
	v_add_u32_e32 v6, v0, v22
	v_lshlrev_b64 v[6:7], 3, v[6:7]
	v_add_co_u32_e32 v6, vcc, s74, v6
	v_addc_co_u32_e32 v7, vcc, v5, v7, vcc
	s_waitcnt lgkmcnt(0)
	global_store_dwordx2 v[6:7], v[2:3], off
	s_or_b64 exec, exec, s[36:37]
	s_and_saveexec_b64 s[36:37], s[44:45]
	s_cbranch_execnz .LBB1326_333
.LBB1326_326:                           ;   in Loop: Header=BB1326_232 Depth=2
	s_or_b64 exec, exec, s[36:37]
	s_and_saveexec_b64 s[36:37], s[46:47]
	s_cbranch_execz .LBB1326_334
.LBB1326_327:                           ;   in Loop: Header=BB1326_232 Depth=2
	v_lshlrev_b32_e32 v0, 2, v77
	ds_read_b32 v0, v0
	v_add_u32_e32 v2, v58, v19
	ds_read_b64 v[2:3], v2 offset:12288
	v_mov_b32_e32 v7, v20
	v_mov_b32_e32 v5, s75
	s_waitcnt lgkmcnt(1)
	v_add_u32_e32 v6, v0, v26
	v_lshlrev_b64 v[6:7], 3, v[6:7]
	v_add_co_u32_e32 v6, vcc, s74, v6
	v_addc_co_u32_e32 v7, vcc, v5, v7, vcc
	s_waitcnt lgkmcnt(0)
	global_store_dwordx2 v[6:7], v[2:3], off
	s_or_b64 exec, exec, s[36:37]
	s_and_saveexec_b64 s[36:37], s[48:49]
	s_cbranch_execnz .LBB1326_335
	s_branch .LBB1326_336
.LBB1326_328:                           ;   in Loop: Header=BB1326_232 Depth=2
	s_or_b64 exec, exec, s[52:53]
	s_and_saveexec_b64 s[52:53], s[36:37]
	s_cbranch_execz .LBB1326_322
.LBB1326_329:                           ;   in Loop: Header=BB1326_232 Depth=2
	v_lshlrev_b32_e32 v0, 2, v84
	ds_read_b32 v0, v0
	v_add_u32_e32 v2, v58, v19
	ds_read_b64 v[2:3], v2 offset:2048
	v_mov_b32_e32 v7, v20
	v_mov_b32_e32 v5, s75
	s_waitcnt lgkmcnt(1)
	v_add_u32_e32 v6, v0, v23
	v_lshlrev_b64 v[6:7], 3, v[6:7]
	v_add_co_u32_e32 v6, vcc, s74, v6
	v_addc_co_u32_e32 v7, vcc, v5, v7, vcc
	s_waitcnt lgkmcnt(0)
	global_store_dwordx2 v[6:7], v[2:3], off
	s_or_b64 exec, exec, s[52:53]
	s_and_saveexec_b64 s[36:37], s[38:39]
	s_cbranch_execnz .LBB1326_323
.LBB1326_330:                           ;   in Loop: Header=BB1326_232 Depth=2
	s_or_b64 exec, exec, s[36:37]
	s_and_saveexec_b64 s[36:37], s[40:41]
	s_cbranch_execz .LBB1326_324
.LBB1326_331:                           ;   in Loop: Header=BB1326_232 Depth=2
	v_lshlrev_b32_e32 v0, 2, v81
	ds_read_b32 v0, v0
	v_add_u32_e32 v2, v58, v19
	ds_read_b64 v[2:3], v2 offset:6144
	v_mov_b32_e32 v7, v20
	v_mov_b32_e32 v5, s75
	s_waitcnt lgkmcnt(1)
	v_add_u32_e32 v6, v0, v27
	v_lshlrev_b64 v[6:7], 3, v[6:7]
	v_add_co_u32_e32 v6, vcc, s74, v6
	v_addc_co_u32_e32 v7, vcc, v5, v7, vcc
	s_waitcnt lgkmcnt(0)
	global_store_dwordx2 v[6:7], v[2:3], off
	s_or_b64 exec, exec, s[36:37]
	s_and_saveexec_b64 s[36:37], s[42:43]
	s_cbranch_execnz .LBB1326_325
.LBB1326_332:                           ;   in Loop: Header=BB1326_232 Depth=2
	s_or_b64 exec, exec, s[36:37]
	s_and_saveexec_b64 s[36:37], s[44:45]
	s_cbranch_execz .LBB1326_326
.LBB1326_333:                           ;   in Loop: Header=BB1326_232 Depth=2
	v_lshlrev_b32_e32 v0, 2, v78
	ds_read_b32 v0, v0
	v_add_u32_e32 v2, v58, v19
	ds_read_b64 v[2:3], v2 offset:10240
	v_mov_b32_e32 v7, v20
	v_mov_b32_e32 v5, s75
	s_waitcnt lgkmcnt(1)
	v_add_u32_e32 v6, v0, v24
	v_lshlrev_b64 v[6:7], 3, v[6:7]
	v_add_co_u32_e32 v6, vcc, s74, v6
	v_addc_co_u32_e32 v7, vcc, v5, v7, vcc
	s_waitcnt lgkmcnt(0)
	global_store_dwordx2 v[6:7], v[2:3], off
	s_or_b64 exec, exec, s[36:37]
	s_and_saveexec_b64 s[36:37], s[46:47]
	s_cbranch_execnz .LBB1326_327
.LBB1326_334:                           ;   in Loop: Header=BB1326_232 Depth=2
	s_or_b64 exec, exec, s[36:37]
	s_and_saveexec_b64 s[36:37], s[48:49]
	s_cbranch_execz .LBB1326_336
.LBB1326_335:                           ;   in Loop: Header=BB1326_232 Depth=2
	v_lshlrev_b32_e32 v0, 2, v76
	ds_read_b32 v0, v0
	v_add_u32_e32 v2, v58, v19
	ds_read_b64 v[2:3], v2 offset:14336
	v_mov_b32_e32 v7, v20
	v_mov_b32_e32 v5, s75
	s_waitcnt lgkmcnt(1)
	v_add_u32_e32 v6, v0, v28
	v_lshlrev_b64 v[6:7], 3, v[6:7]
	v_add_co_u32_e32 v6, vcc, s74, v6
	v_addc_co_u32_e32 v7, vcc, v5, v7, vcc
	s_waitcnt lgkmcnt(0)
	global_store_dwordx2 v[6:7], v[2:3], off
.LBB1326_336:                           ;   in Loop: Header=BB1326_232 Depth=2
	s_or_b64 exec, exec, s[36:37]
	s_barrier
	s_and_saveexec_b64 s[36:37], s[4:5]
	s_cbranch_execz .LBB1326_231
; %bb.337:                              ;   in Loop: Header=BB1326_232 Depth=2
	ds_read_b32 v0, v19
	s_waitcnt lgkmcnt(0)
	v_add_u32_e32 v0, v0, v4
	ds_write_b32 v19, v0
	s_branch .LBB1326_231
.LBB1326_338:                           ;   in Loop: Header=BB1326_232 Depth=2
	s_or_b64 exec, exec, s[36:37]
	v_cmp_gt_u32_e32 vcc, s87, v87
	s_and_saveexec_b64 s[36:37], vcc
	s_cbranch_execz .LBB1326_237
.LBB1326_339:                           ;   in Loop: Header=BB1326_232 Depth=2
	global_load_dword v3, v[38:39], off offset:256
	s_or_b64 exec, exec, s[36:37]
	v_cmp_gt_u32_e32 vcc, s87, v88
	s_and_saveexec_b64 s[36:37], vcc
	s_cbranch_execnz .LBB1326_238
.LBB1326_340:                           ;   in Loop: Header=BB1326_232 Depth=2
	s_or_b64 exec, exec, s[36:37]
	v_cmp_gt_u32_e32 vcc, s87, v89
	s_and_saveexec_b64 s[36:37], vcc
	s_cbranch_execz .LBB1326_239
.LBB1326_341:                           ;   in Loop: Header=BB1326_232 Depth=2
	global_load_dword v5, v[38:39], off offset:768
	s_or_b64 exec, exec, s[36:37]
	v_cmp_gt_u32_e32 vcc, s87, v90
	s_and_saveexec_b64 s[36:37], vcc
	s_cbranch_execnz .LBB1326_240
.LBB1326_342:                           ;   in Loop: Header=BB1326_232 Depth=2
	s_or_b64 exec, exec, s[36:37]
	v_cmp_gt_u32_e32 vcc, s87, v91
	s_and_saveexec_b64 s[36:37], vcc
	s_cbranch_execz .LBB1326_241
.LBB1326_343:                           ;   in Loop: Header=BB1326_232 Depth=2
	global_load_dword v7, v[38:39], off offset:1280
	s_or_b64 exec, exec, s[36:37]
	v_cmp_gt_u32_e32 vcc, s87, v92
	s_and_saveexec_b64 s[36:37], vcc
	s_cbranch_execnz .LBB1326_242
	s_branch .LBB1326_243
.LBB1326_344:                           ;   in Loop: Header=BB1326_12 Depth=1
	s_waitcnt lgkmcnt(0)
	s_barrier
.LBB1326_345:                           ;   in Loop: Header=BB1326_12 Depth=1
	s_mov_b64 s[16:17], 0
.LBB1326_346:                           ;   in Loop: Header=BB1326_12 Depth=1
	s_andn2_b64 vcc, exec, s[16:17]
	s_cbranch_vccnz .LBB1326_11
; %bb.347:                              ;   in Loop: Header=BB1326_12 Depth=1
	s_mov_b64 s[16:17], -1
	s_and_b64 vcc, exec, s[54:55]
	s_cbranch_vccz .LBB1326_513
; %bb.348:                              ;   in Loop: Header=BB1326_12 Depth=1
	s_mov_b32 s22, s79
	s_mov_b32 s80, s51
	s_barrier
	s_waitcnt lgkmcnt(0)
                                        ; implicit-def: $vgpr2_vgpr3_vgpr4_vgpr5_vgpr6_vgpr7_vgpr8_vgpr9
	s_branch .LBB1326_350
.LBB1326_349:                           ;   in Loop: Header=BB1326_350 Depth=2
	s_or_b64 exec, exec, s[16:17]
	s_addk_i32 s22, 0xf800
	s_cmp_ge_u32 s23, s84
	s_mov_b32 s80, s23
	s_cbranch_scc1 .LBB1326_388
.LBB1326_350:                           ;   Parent Loop BB1326_12 Depth=1
                                        ; =>  This Inner Loop Header: Depth=2
	s_add_i32 s23, s80, 0x800
	s_cmp_gt_u32 s23, s84
	s_cbranch_scc1 .LBB1326_353
; %bb.351:                              ;   in Loop: Header=BB1326_350 Depth=2
	s_lshl_b64 s[16:17], s[80:81], 2
	v_mov_b32_e32 v0, s17
	v_add_co_u32_e32 v30, vcc, s16, v65
	v_addc_co_u32_e32 v31, vcc, v66, v0, vcc
	v_add_co_u32_e32 v32, vcc, 0x1000, v30
	v_addc_co_u32_e32 v33, vcc, 0, v31, vcc
	global_load_dword v10, v[30:31], off
	global_load_dword v11, v[30:31], off offset:1024
	global_load_dword v12, v[30:31], off offset:2048
	;; [unrolled: 1-line block ×3, first 2 shown]
	global_load_dword v14, v[32:33], off
	global_load_dword v15, v[32:33], off offset:1024
	global_load_dword v16, v[32:33], off offset:2048
	v_add_co_u32_e32 v30, vcc, 0x1c00, v30
	v_addc_co_u32_e32 v31, vcc, 0, v31, vcc
	s_mov_b64 s[16:17], -1
	s_movk_i32 s24, 0x800
	s_cbranch_execz .LBB1326_354
; %bb.352:                              ;   in Loop: Header=BB1326_350 Depth=2
                                        ; implicit-def: $vgpr2_vgpr3_vgpr4_vgpr5_vgpr6_vgpr7_vgpr8_vgpr9
	v_mov_b32_e32 v0, s22
	s_and_saveexec_b64 s[18:19], s[16:17]
	s_cbranch_execnz .LBB1326_365
	s_branch .LBB1326_366
.LBB1326_353:                           ;   in Loop: Header=BB1326_350 Depth=2
	s_mov_b64 s[16:17], 0
                                        ; implicit-def: $sgpr24
                                        ; implicit-def: $vgpr10_vgpr11_vgpr12_vgpr13_vgpr14_vgpr15_vgpr16_vgpr17
                                        ; implicit-def: $vgpr30_vgpr31
.LBB1326_354:                           ;   in Loop: Header=BB1326_350 Depth=2
	s_lshl_b64 s[18:19], s[80:81], 2
	s_add_u32 s18, s56, s18
	s_addc_u32 s19, s57, s19
	v_cmp_gt_u32_e32 vcc, s22, v18
	s_and_saveexec_b64 s[20:21], vcc
	s_cbranch_execz .LBB1326_382
; %bb.355:                              ;   in Loop: Header=BB1326_350 Depth=2
	global_load_dword v2, v72, s[18:19]
	s_or_b64 exec, exec, s[20:21]
	v_cmp_gt_u32_e32 vcc, s22, v23
	s_and_saveexec_b64 s[20:21], vcc
	s_cbranch_execnz .LBB1326_383
.LBB1326_356:                           ;   in Loop: Header=BB1326_350 Depth=2
	s_or_b64 exec, exec, s[20:21]
	v_cmp_gt_u32_e32 vcc, s22, v25
	s_and_saveexec_b64 s[20:21], vcc
	s_cbranch_execz .LBB1326_384
.LBB1326_357:                           ;   in Loop: Header=BB1326_350 Depth=2
	global_load_dword v4, v72, s[18:19] offset:2048
	s_or_b64 exec, exec, s[20:21]
	v_cmp_gt_u32_e32 vcc, s22, v27
	s_and_saveexec_b64 s[20:21], vcc
	s_cbranch_execnz .LBB1326_385
.LBB1326_358:                           ;   in Loop: Header=BB1326_350 Depth=2
	s_or_b64 exec, exec, s[20:21]
	v_cmp_gt_u32_e32 vcc, s22, v22
	s_and_saveexec_b64 s[20:21], vcc
	s_cbranch_execz .LBB1326_386
.LBB1326_359:                           ;   in Loop: Header=BB1326_350 Depth=2
	v_lshlrev_b32_e32 v0, 2, v22
	global_load_dword v6, v0, s[18:19]
	s_or_b64 exec, exec, s[20:21]
	v_cmp_gt_u32_e32 vcc, s22, v24
	s_and_saveexec_b64 s[20:21], vcc
	s_cbranch_execnz .LBB1326_387
.LBB1326_360:                           ;   in Loop: Header=BB1326_350 Depth=2
	s_or_b64 exec, exec, s[20:21]
	v_cmp_gt_u32_e32 vcc, s22, v26
	s_and_saveexec_b64 s[20:21], vcc
	s_cbranch_execz .LBB1326_362
.LBB1326_361:                           ;   in Loop: Header=BB1326_350 Depth=2
	v_lshlrev_b32_e32 v0, 2, v26
	global_load_dword v8, v0, s[18:19]
.LBB1326_362:                           ;   in Loop: Header=BB1326_350 Depth=2
	s_or_b64 exec, exec, s[20:21]
	v_cmp_gt_u32_e32 vcc, s22, v28
                                        ; implicit-def: $sgpr24
                                        ; implicit-def: $vgpr30_vgpr31
	s_and_saveexec_b64 s[20:21], vcc
	s_cbranch_execz .LBB1326_364
; %bb.363:                              ;   in Loop: Header=BB1326_350 Depth=2
	v_lshlrev_b32_e32 v0, 2, v28
	s_waitcnt vmcnt(6)
	v_mov_b32_e32 v10, s19
	v_add_co_u32_e32 v30, vcc, s18, v0
	s_sub_i32 s24, s84, s80
	v_addc_co_u32_e32 v31, vcc, 0, v10, vcc
	s_or_b64 s[16:17], s[16:17], exec
.LBB1326_364:                           ;   in Loop: Header=BB1326_350 Depth=2
	s_or_b64 exec, exec, s[20:21]
	s_waitcnt vmcnt(0)
	v_pk_mov_b32 v[16:17], v[8:9], v[8:9] op_sel:[0,1]
	v_pk_mov_b32 v[14:15], v[6:7], v[6:7] op_sel:[0,1]
	;; [unrolled: 1-line block ×4, first 2 shown]
	v_mov_b32_e32 v0, s22
	s_and_saveexec_b64 s[18:19], s[16:17]
	s_cbranch_execz .LBB1326_366
.LBB1326_365:                           ;   in Loop: Header=BB1326_350 Depth=2
	global_load_dword v17, v[30:31], off
	s_waitcnt vmcnt(0)
	v_pk_mov_b32 v[2:3], v[10:11], v[10:11] op_sel:[0,1]
	v_mov_b32_e32 v0, s24
	v_pk_mov_b32 v[4:5], v[12:13], v[12:13] op_sel:[0,1]
	v_pk_mov_b32 v[6:7], v[14:15], v[14:15] op_sel:[0,1]
	;; [unrolled: 1-line block ×3, first 2 shown]
.LBB1326_366:                           ;   in Loop: Header=BB1326_350 Depth=2
	s_or_b64 exec, exec, s[18:19]
	v_cmp_lt_u32_e32 vcc, v18, v0
	s_and_saveexec_b64 s[16:17], vcc
	s_cbranch_execz .LBB1326_374
; %bb.367:                              ;   in Loop: Header=BB1326_350 Depth=2
	v_cmp_gt_i32_e32 vcc, 0, v2
	s_waitcnt vmcnt(6)
	v_cndmask_b32_e64 v10, v73, 0, vcc
	v_xor_b32_e32 v10, v10, v2
	v_cmp_ne_u32_e32 vcc, s76, v10
	v_cndmask_b32_e32 v10, v73, v10, vcc
	v_lshrrev_b32_e32 v10, s77, v10
	v_and_b32_e32 v10, s86, v10
	s_waitcnt vmcnt(5)
	v_lshlrev_b32_e32 v11, 2, v29
	v_lshl_or_b32 v10, v10, 4, v11
	ds_add_u32 v10, v71
	s_or_b64 exec, exec, s[16:17]
	v_cmp_lt_u32_e32 vcc, v23, v0
	s_and_saveexec_b64 s[16:17], vcc
	s_cbranch_execnz .LBB1326_375
.LBB1326_368:                           ;   in Loop: Header=BB1326_350 Depth=2
	s_or_b64 exec, exec, s[16:17]
	v_cmp_lt_u32_e32 vcc, v25, v0
	s_and_saveexec_b64 s[16:17], vcc
	s_cbranch_execz .LBB1326_376
.LBB1326_369:                           ;   in Loop: Header=BB1326_350 Depth=2
	v_cmp_gt_i32_e32 vcc, 0, v4
	s_waitcnt vmcnt(6)
	v_cndmask_b32_e64 v10, v73, 0, vcc
	v_xor_b32_e32 v10, v10, v4
	v_cmp_ne_u32_e32 vcc, s76, v10
	v_cndmask_b32_e32 v10, v73, v10, vcc
	v_lshrrev_b32_e32 v10, s77, v10
	v_and_b32_e32 v10, s86, v10
	s_waitcnt vmcnt(5)
	v_lshlrev_b32_e32 v11, 2, v29
	v_lshl_or_b32 v10, v10, 4, v11
	ds_add_u32 v10, v71
	s_or_b64 exec, exec, s[16:17]
	v_cmp_lt_u32_e32 vcc, v27, v0
	s_and_saveexec_b64 s[16:17], vcc
	s_cbranch_execnz .LBB1326_377
.LBB1326_370:                           ;   in Loop: Header=BB1326_350 Depth=2
	s_or_b64 exec, exec, s[16:17]
	v_cmp_lt_u32_e32 vcc, v22, v0
	s_and_saveexec_b64 s[16:17], vcc
	s_cbranch_execz .LBB1326_378
.LBB1326_371:                           ;   in Loop: Header=BB1326_350 Depth=2
	v_cmp_gt_i32_e32 vcc, 0, v6
	s_waitcnt vmcnt(6)
	v_cndmask_b32_e64 v10, v73, 0, vcc
	v_xor_b32_e32 v10, v10, v6
	v_cmp_ne_u32_e32 vcc, s76, v10
	v_cndmask_b32_e32 v10, v73, v10, vcc
	v_lshrrev_b32_e32 v10, s77, v10
	v_and_b32_e32 v10, s86, v10
	s_waitcnt vmcnt(5)
	v_lshlrev_b32_e32 v11, 2, v29
	v_lshl_or_b32 v10, v10, 4, v11
	ds_add_u32 v10, v71
	s_or_b64 exec, exec, s[16:17]
	v_cmp_lt_u32_e32 vcc, v24, v0
	s_and_saveexec_b64 s[16:17], vcc
	s_cbranch_execnz .LBB1326_379
.LBB1326_372:                           ;   in Loop: Header=BB1326_350 Depth=2
	s_or_b64 exec, exec, s[16:17]
	v_cmp_lt_u32_e32 vcc, v26, v0
	s_and_saveexec_b64 s[16:17], vcc
	s_cbranch_execz .LBB1326_380
.LBB1326_373:                           ;   in Loop: Header=BB1326_350 Depth=2
	v_cmp_gt_i32_e32 vcc, 0, v8
	s_waitcnt vmcnt(6)
	v_cndmask_b32_e64 v10, v73, 0, vcc
	v_xor_b32_e32 v10, v10, v8
	v_cmp_ne_u32_e32 vcc, s76, v10
	v_cndmask_b32_e32 v10, v73, v10, vcc
	v_lshrrev_b32_e32 v10, s77, v10
	v_and_b32_e32 v10, s86, v10
	s_waitcnt vmcnt(5)
	v_lshlrev_b32_e32 v11, 2, v29
	v_lshl_or_b32 v10, v10, 4, v11
	ds_add_u32 v10, v71
	s_or_b64 exec, exec, s[16:17]
	v_cmp_lt_u32_e32 vcc, v28, v0
	s_and_saveexec_b64 s[16:17], vcc
	s_cbranch_execz .LBB1326_349
	s_branch .LBB1326_381
.LBB1326_374:                           ;   in Loop: Header=BB1326_350 Depth=2
	s_or_b64 exec, exec, s[16:17]
	v_cmp_lt_u32_e32 vcc, v23, v0
	s_and_saveexec_b64 s[16:17], vcc
	s_cbranch_execz .LBB1326_368
.LBB1326_375:                           ;   in Loop: Header=BB1326_350 Depth=2
	v_cmp_gt_i32_e32 vcc, 0, v3
	s_waitcnt vmcnt(6)
	v_cndmask_b32_e64 v10, v73, 0, vcc
	v_xor_b32_e32 v10, v10, v3
	v_cmp_ne_u32_e32 vcc, s76, v10
	v_cndmask_b32_e32 v10, v73, v10, vcc
	v_lshrrev_b32_e32 v10, s77, v10
	v_and_b32_e32 v10, s86, v10
	s_waitcnt vmcnt(5)
	v_lshlrev_b32_e32 v11, 2, v29
	v_lshl_or_b32 v10, v10, 4, v11
	ds_add_u32 v10, v71
	s_or_b64 exec, exec, s[16:17]
	v_cmp_lt_u32_e32 vcc, v25, v0
	s_and_saveexec_b64 s[16:17], vcc
	s_cbranch_execnz .LBB1326_369
.LBB1326_376:                           ;   in Loop: Header=BB1326_350 Depth=2
	s_or_b64 exec, exec, s[16:17]
	v_cmp_lt_u32_e32 vcc, v27, v0
	s_and_saveexec_b64 s[16:17], vcc
	s_cbranch_execz .LBB1326_370
.LBB1326_377:                           ;   in Loop: Header=BB1326_350 Depth=2
	v_cmp_gt_i32_e32 vcc, 0, v5
	s_waitcnt vmcnt(6)
	v_cndmask_b32_e64 v10, v73, 0, vcc
	v_xor_b32_e32 v10, v10, v5
	v_cmp_ne_u32_e32 vcc, s76, v10
	v_cndmask_b32_e32 v10, v73, v10, vcc
	v_lshrrev_b32_e32 v10, s77, v10
	v_and_b32_e32 v10, s86, v10
	s_waitcnt vmcnt(5)
	v_lshlrev_b32_e32 v11, 2, v29
	v_lshl_or_b32 v10, v10, 4, v11
	ds_add_u32 v10, v71
	s_or_b64 exec, exec, s[16:17]
	v_cmp_lt_u32_e32 vcc, v22, v0
	s_and_saveexec_b64 s[16:17], vcc
	s_cbranch_execnz .LBB1326_371
.LBB1326_378:                           ;   in Loop: Header=BB1326_350 Depth=2
	s_or_b64 exec, exec, s[16:17]
	v_cmp_lt_u32_e32 vcc, v24, v0
	s_and_saveexec_b64 s[16:17], vcc
	s_cbranch_execz .LBB1326_372
.LBB1326_379:                           ;   in Loop: Header=BB1326_350 Depth=2
	v_cmp_gt_i32_e32 vcc, 0, v7
	s_waitcnt vmcnt(6)
	v_cndmask_b32_e64 v10, v73, 0, vcc
	v_xor_b32_e32 v10, v10, v7
	v_cmp_ne_u32_e32 vcc, s76, v10
	v_cndmask_b32_e32 v10, v73, v10, vcc
	v_lshrrev_b32_e32 v10, s77, v10
	v_and_b32_e32 v10, s86, v10
	s_waitcnt vmcnt(5)
	v_lshlrev_b32_e32 v11, 2, v29
	v_lshl_or_b32 v10, v10, 4, v11
	ds_add_u32 v10, v71
	s_or_b64 exec, exec, s[16:17]
	v_cmp_lt_u32_e32 vcc, v26, v0
	s_and_saveexec_b64 s[16:17], vcc
	s_cbranch_execnz .LBB1326_373
.LBB1326_380:                           ;   in Loop: Header=BB1326_350 Depth=2
	s_or_b64 exec, exec, s[16:17]
	v_cmp_lt_u32_e32 vcc, v28, v0
	s_and_saveexec_b64 s[16:17], vcc
	s_cbranch_execz .LBB1326_349
.LBB1326_381:                           ;   in Loop: Header=BB1326_350 Depth=2
	v_cmp_gt_i32_e32 vcc, 0, v9
	v_cndmask_b32_e64 v0, v73, 0, vcc
	v_xor_b32_e32 v0, v0, v9
	v_cmp_ne_u32_e32 vcc, s76, v0
	v_cndmask_b32_e32 v0, v73, v0, vcc
	v_lshrrev_b32_e32 v0, s77, v0
	v_and_b32_e32 v0, s86, v0
	s_waitcnt vmcnt(6)
	v_lshlrev_b32_e32 v10, 2, v29
	v_lshl_or_b32 v0, v0, 4, v10
	ds_add_u32 v0, v71
	s_branch .LBB1326_349
.LBB1326_382:                           ;   in Loop: Header=BB1326_350 Depth=2
	s_or_b64 exec, exec, s[20:21]
	v_cmp_gt_u32_e32 vcc, s22, v23
	s_and_saveexec_b64 s[20:21], vcc
	s_cbranch_execz .LBB1326_356
.LBB1326_383:                           ;   in Loop: Header=BB1326_350 Depth=2
	global_load_dword v3, v72, s[18:19] offset:1024
	s_or_b64 exec, exec, s[20:21]
	v_cmp_gt_u32_e32 vcc, s22, v25
	s_and_saveexec_b64 s[20:21], vcc
	s_cbranch_execnz .LBB1326_357
.LBB1326_384:                           ;   in Loop: Header=BB1326_350 Depth=2
	s_or_b64 exec, exec, s[20:21]
	v_cmp_gt_u32_e32 vcc, s22, v27
	s_and_saveexec_b64 s[20:21], vcc
	s_cbranch_execz .LBB1326_358
.LBB1326_385:                           ;   in Loop: Header=BB1326_350 Depth=2
	global_load_dword v5, v72, s[18:19] offset:3072
	s_or_b64 exec, exec, s[20:21]
	v_cmp_gt_u32_e32 vcc, s22, v22
	s_and_saveexec_b64 s[20:21], vcc
	s_cbranch_execnz .LBB1326_359
.LBB1326_386:                           ;   in Loop: Header=BB1326_350 Depth=2
	s_or_b64 exec, exec, s[20:21]
	v_cmp_gt_u32_e32 vcc, s22, v24
	s_and_saveexec_b64 s[20:21], vcc
	s_cbranch_execz .LBB1326_360
.LBB1326_387:                           ;   in Loop: Header=BB1326_350 Depth=2
	v_lshlrev_b32_e32 v0, 2, v24
	global_load_dword v7, v0, s[18:19]
	s_or_b64 exec, exec, s[20:21]
	v_cmp_gt_u32_e32 vcc, s22, v26
	s_and_saveexec_b64 s[20:21], vcc
	s_cbranch_execz .LBB1326_362
	s_branch .LBB1326_361
.LBB1326_388:                           ;   in Loop: Header=BB1326_12 Depth=1
	v_mov_b32_e32 v0, 0
	s_waitcnt lgkmcnt(0)
	s_barrier
	s_and_saveexec_b64 s[16:17], s[4:5]
	s_cbranch_execz .LBB1326_390
; %bb.389:                              ;   in Loop: Header=BB1326_12 Depth=1
	ds_read2_b64 v[2:5], v42 offset1:1
	s_waitcnt lgkmcnt(0)
	v_add_u32_e32 v0, v3, v2
	v_add3_u32 v0, v0, v4, v5
.LBB1326_390:                           ;   in Loop: Header=BB1326_12 Depth=1
	s_or_b64 exec, exec, s[16:17]
	v_and_b32_e32 v2, 15, v74
	v_mov_b32_dpp v3, v0 row_shr:1 row_mask:0xf bank_mask:0xf
	v_cmp_eq_u32_e64 s[16:17], 0, v2
	v_cndmask_b32_e64 v3, v3, 0, s[16:17]
	v_add_u32_e32 v0, v3, v0
	v_cmp_lt_u32_e64 s[18:19], 1, v2
	v_cmp_lt_u32_e64 s[20:21], 3, v2
	v_mov_b32_dpp v3, v0 row_shr:2 row_mask:0xf bank_mask:0xf
	v_cndmask_b32_e64 v3, 0, v3, s[18:19]
	v_add_u32_e32 v0, v0, v3
	v_cmp_lt_u32_e64 s[22:23], 7, v2
	v_cmp_lt_u32_e64 s[26:27], 31, v74
	v_mov_b32_dpp v3, v0 row_shr:4 row_mask:0xf bank_mask:0xf
	v_cndmask_b32_e64 v3, 0, v3, s[20:21]
	v_add_u32_e32 v0, v0, v3
	v_and_b32_e32 v4, 16, v74
	v_cmp_eq_u32_e64 s[24:25], 0, v4
	v_mov_b32_dpp v3, v0 row_shr:8 row_mask:0xf bank_mask:0xf
	v_cndmask_b32_e64 v2, 0, v3, s[22:23]
	v_add_u32_e32 v0, v0, v2
	v_bfe_i32 v3, v74, 4, 1
	s_nop 0
	v_mov_b32_dpp v2, v0 row_bcast:15 row_mask:0xf bank_mask:0xf
	v_and_b32_e32 v2, v3, v2
	v_add_u32_e32 v0, v0, v2
	s_nop 1
	v_mov_b32_dpp v2, v0 row_bcast:31 row_mask:0xf bank_mask:0xf
	v_cndmask_b32_e64 v2, 0, v2, s[26:27]
	v_add_u32_e32 v2, v0, v2
	s_and_saveexec_b64 s[28:29], s[6:7]
	s_cbranch_execz .LBB1326_392
; %bb.391:                              ;   in Loop: Header=BB1326_12 Depth=1
	ds_write_b32 v44, v2
.LBB1326_392:                           ;   in Loop: Header=BB1326_12 Depth=1
	s_or_b64 exec, exec, s[28:29]
	v_and_b32_e32 v0, 3, v74
	s_waitcnt lgkmcnt(0)
	s_barrier
	s_and_saveexec_b64 s[28:29], s[8:9]
	s_cbranch_execz .LBB1326_394
; %bb.393:                              ;   in Loop: Header=BB1326_12 Depth=1
	ds_read_b32 v3, v45
	v_cmp_ne_u32_e32 vcc, 0, v0
	s_waitcnt lgkmcnt(0)
	v_mov_b32_dpp v4, v3 row_shr:1 row_mask:0xf bank_mask:0xf
	v_cndmask_b32_e32 v4, 0, v4, vcc
	v_add_u32_e32 v3, v4, v3
	v_cmp_lt_u32_e32 vcc, 1, v0
	s_nop 0
	v_mov_b32_dpp v4, v3 row_shr:2 row_mask:0xf bank_mask:0xf
	v_cndmask_b32_e32 v4, 0, v4, vcc
	v_add_u32_e32 v3, v3, v4
	ds_write_b32 v45, v3
.LBB1326_394:                           ;   in Loop: Header=BB1326_12 Depth=1
	s_or_b64 exec, exec, s[28:29]
	v_mov_b32_e32 v3, 0
	s_waitcnt lgkmcnt(0)
	s_barrier
	s_and_saveexec_b64 s[28:29], s[10:11]
	s_cbranch_execz .LBB1326_396
; %bb.395:                              ;   in Loop: Header=BB1326_12 Depth=1
	ds_read_b32 v3, v46
.LBB1326_396:                           ;   in Loop: Header=BB1326_12 Depth=1
	s_or_b64 exec, exec, s[28:29]
	v_add_u32_e32 v4, -1, v74
	v_and_b32_e32 v5, 64, v74
	v_cmp_lt_i32_e32 vcc, v4, v5
	v_cndmask_b32_e32 v4, v4, v74, vcc
	s_waitcnt lgkmcnt(0)
	v_add_u32_e32 v2, v3, v2
	v_lshlrev_b32_e32 v75, 2, v4
	ds_bpermute_b32 v2, v75, v2
	v_cmp_eq_u32_e64 s[28:29], 0, v74
	s_waitcnt lgkmcnt(0)
	s_barrier
	s_and_saveexec_b64 s[30:31], s[4:5]
	s_cbranch_execz .LBB1326_398
; %bb.397:                              ;   in Loop: Header=BB1326_12 Depth=1
	v_cndmask_b32_e64 v2, v2, v3, s[28:29]
	v_add_u32_e32 v2, s51, v2
	ds_write_b32 v19, v2
.LBB1326_398:                           ;   in Loop: Header=BB1326_12 Depth=1
	s_or_b64 exec, exec, s[30:31]
	s_load_dwordx2 s[30:31], s[82:83], 0x0
	s_mov_b32 s87, s79
	s_mov_b32 s80, s51
                                        ; implicit-def: $vgpr10_vgpr11
                                        ; implicit-def: $vgpr12_vgpr13
                                        ; implicit-def: $vgpr14_vgpr15
                                        ; implicit-def: $vgpr16_vgpr17
                                        ; implicit-def: $vgpr30_vgpr31
                                        ; implicit-def: $vgpr32_vgpr33
                                        ; implicit-def: $vgpr34_vgpr35
                                        ; implicit-def: $vgpr36_vgpr37
                                        ; implicit-def: $vgpr76
                                        ; implicit-def: $vgpr77
                                        ; implicit-def: $vgpr78
                                        ; implicit-def: $vgpr79
                                        ; implicit-def: $vgpr81
                                        ; implicit-def: $vgpr82
                                        ; implicit-def: $vgpr84
                                        ; implicit-def: $vgpr86
	s_waitcnt lgkmcnt(0)
	s_cmp_lt_u32 s50, s30
	s_cselect_b32 s34, 12, 18
	s_cmp_lt_u32 s33, s31
	s_cselect_b32 s30, 14, 20
	s_add_u32 s30, s82, s30
	s_addc_u32 s31, s83, 0
	s_add_u32 s34, s82, s34
	global_load_ushort v2, v20, s[30:31]
	s_addc_u32 s35, s83, 0
	global_load_ushort v3, v20, s[34:35]
	v_cmp_eq_u32_e64 s[30:31], 0, v0
	v_cmp_lt_u32_e64 s[34:35], 1, v0
	v_and_b32_e32 v0, 63, v74
	v_lshlrev_b32_e32 v4, 3, v0
	v_add_co_u32_e32 v83, vcc, v67, v4
	v_or_b32_e32 v80, v0, v47
	v_lshlrev_b32_e32 v0, 2, v0
	v_addc_co_u32_e32 v85, vcc, 0, v68, vcc
	v_add_co_u32_e32 v94, vcc, v69, v0
	v_addc_co_u32_e32 v95, vcc, 0, v70, vcc
	v_add_co_u32_e32 v96, vcc, 0x700, v94
	v_or_b32_e32 v87, 64, v80
	v_or_b32_e32 v88, 0x80, v80
	;; [unrolled: 1-line block ×7, first 2 shown]
	v_addc_co_u32_e32 v97, vcc, 0, v95, vcc
	s_waitcnt vmcnt(1)
	v_mad_u32_u24 v0, v48, v2, v49
	s_waitcnt vmcnt(0)
	v_mad_u64_u32 v[2:3], s[36:37], v0, v3, v[18:19]
	v_lshrrev_b32_e32 v98, 6, v2
	s_branch .LBB1326_400
.LBB1326_399:                           ;   in Loop: Header=BB1326_400 Depth=2
	s_or_b64 exec, exec, s[36:37]
	s_addk_i32 s87, 0xf800
	s_cmp_lt_u32 s88, s84
	s_mov_b32 s80, s88
	s_cbranch_scc0 .LBB1326_512
.LBB1326_400:                           ;   Parent Loop BB1326_12 Depth=1
                                        ; =>  This Inner Loop Header: Depth=2
	s_add_i32 s88, s80, 0x800
	s_cmp_gt_u32 s88, s84
	s_cbranch_scc1 .LBB1326_402
; %bb.401:                              ;   in Loop: Header=BB1326_400 Depth=2
	s_lshl_b64 s[36:37], s[80:81], 2
	v_mov_b32_e32 v0, s37
	v_add_co_u32_e32 v8, vcc, s36, v94
	v_addc_co_u32_e32 v9, vcc, v95, v0, vcc
	global_load_dword v2, v[8:9], off
	global_load_dword v3, v[8:9], off offset:256
	global_load_dword v4, v[8:9], off offset:512
	global_load_dword v5, v[8:9], off offset:768
	global_load_dword v6, v[8:9], off offset:1024
	global_load_dword v7, v[8:9], off offset:1280
	s_nop 0
	global_load_dword v8, v[8:9], off offset:1536
	s_mov_b64 s[36:37], -1
	s_movk_i32 s40, 0x800
	s_cbranch_execz .LBB1326_403
	s_branch .LBB1326_412
.LBB1326_402:                           ;   in Loop: Header=BB1326_400 Depth=2
	s_mov_b64 s[36:37], 0
                                        ; implicit-def: $sgpr40
                                        ; implicit-def: $vgpr2_vgpr3_vgpr4_vgpr5_vgpr6_vgpr7_vgpr8_vgpr9
.LBB1326_403:                           ;   in Loop: Header=BB1326_400 Depth=2
	s_lshl_b64 s[36:37], s[80:81], 2
	v_mov_b32_e32 v0, s37
	v_add_co_u32_e32 v38, vcc, s36, v94
	s_mov_b32 s65, s64
	v_addc_co_u32_e32 v39, vcc, v95, v0, vcc
	s_mov_b32 s66, s64
	s_mov_b32 s67, s64
	;; [unrolled: 1-line block ×6, first 2 shown]
	s_waitcnt vmcnt(0)
	v_pk_mov_b32 v[2:3], s[64:65], s[64:65] op_sel:[0,1]
	v_cmp_gt_u32_e32 vcc, s87, v80
	v_pk_mov_b32 v[4:5], s[66:67], s[66:67] op_sel:[0,1]
	v_pk_mov_b32 v[6:7], s[68:69], s[68:69] op_sel:[0,1]
	;; [unrolled: 1-line block ×3, first 2 shown]
	s_and_saveexec_b64 s[36:37], vcc
	s_cbranch_execz .LBB1326_506
; %bb.404:                              ;   in Loop: Header=BB1326_400 Depth=2
	global_load_dword v0, v[38:39], off
	v_mov_b32_e32 v2, v1
	v_mov_b32_e32 v3, v1
	;; [unrolled: 1-line block ×6, first 2 shown]
	s_waitcnt vmcnt(0)
	v_pk_mov_b32 v[8:9], v[6:7], v[6:7] op_sel:[0,1]
	v_pk_mov_b32 v[6:7], v[4:5], v[4:5] op_sel:[0,1]
	;; [unrolled: 1-line block ×4, first 2 shown]
	s_or_b64 exec, exec, s[36:37]
	v_cmp_gt_u32_e32 vcc, s87, v87
	s_and_saveexec_b64 s[36:37], vcc
	s_cbranch_execnz .LBB1326_507
.LBB1326_405:                           ;   in Loop: Header=BB1326_400 Depth=2
	s_or_b64 exec, exec, s[36:37]
	v_cmp_gt_u32_e32 vcc, s87, v88
	s_and_saveexec_b64 s[36:37], vcc
	s_cbranch_execz .LBB1326_508
.LBB1326_406:                           ;   in Loop: Header=BB1326_400 Depth=2
	global_load_dword v4, v[38:39], off offset:512
	s_or_b64 exec, exec, s[36:37]
	v_cmp_gt_u32_e32 vcc, s87, v89
	s_and_saveexec_b64 s[36:37], vcc
	s_cbranch_execnz .LBB1326_509
.LBB1326_407:                           ;   in Loop: Header=BB1326_400 Depth=2
	s_or_b64 exec, exec, s[36:37]
	v_cmp_gt_u32_e32 vcc, s87, v90
	s_and_saveexec_b64 s[36:37], vcc
	s_cbranch_execz .LBB1326_510
.LBB1326_408:                           ;   in Loop: Header=BB1326_400 Depth=2
	global_load_dword v6, v[38:39], off offset:1024
	s_or_b64 exec, exec, s[36:37]
	v_cmp_gt_u32_e32 vcc, s87, v91
	s_and_saveexec_b64 s[36:37], vcc
	s_cbranch_execnz .LBB1326_511
.LBB1326_409:                           ;   in Loop: Header=BB1326_400 Depth=2
	s_or_b64 exec, exec, s[36:37]
	v_cmp_gt_u32_e32 vcc, s87, v92
	s_and_saveexec_b64 s[36:37], vcc
	s_cbranch_execz .LBB1326_411
.LBB1326_410:                           ;   in Loop: Header=BB1326_400 Depth=2
	global_load_dword v8, v[38:39], off offset:1536
.LBB1326_411:                           ;   in Loop: Header=BB1326_400 Depth=2
	s_or_b64 exec, exec, s[36:37]
	s_sub_i32 s40, s84, s80
	v_cmp_gt_u32_e64 s[36:37], s87, v93
.LBB1326_412:                           ;   in Loop: Header=BB1326_400 Depth=2
	v_mov_b32_e32 v0, s87
	s_and_saveexec_b64 s[38:39], s[36:37]
	s_cbranch_execz .LBB1326_414
; %bb.413:                              ;   in Loop: Header=BB1326_400 Depth=2
	s_lshl_b64 s[36:37], s[80:81], 2
	v_mov_b32_e32 v0, s37
	v_add_co_u32_e32 v38, vcc, s36, v96
	v_addc_co_u32_e32 v39, vcc, v97, v0, vcc
	global_load_dword v9, v[38:39], off
	v_mov_b32_e32 v0, s40
.LBB1326_414:                           ;   in Loop: Header=BB1326_400 Depth=2
	s_or_b64 exec, exec, s[38:39]
	s_waitcnt vmcnt(6)
	v_cmp_gt_i32_e32 vcc, 0, v2
	v_cndmask_b32_e64 v21, v73, 0, vcc
	v_xor_b32_e32 v99, v21, v2
	v_add_u32_e32 v2, 0x410, v50
	v_cmp_ne_u32_e32 vcc, s76, v99
	ds_write2_b32 v2, v20, v20 offset1:1
	ds_write2_b32 v52, v20, v20 offset0:2 offset1:3
	ds_write_b32 v52, v20 offset:16
	v_cndmask_b32_e32 v2, v73, v99, vcc
	v_lshrrev_b32_e32 v2, s77, v2
	v_and_b32_e32 v2, s86, v2
	v_mad_u32_u24 v21, v2, 5, v98
	v_lshl_add_u32 v100, v21, 2, v51
	v_and_b32_e32 v21, 1, v2
	v_add_co_u32_e32 v38, vcc, -1, v21
	v_addc_co_u32_e64 v39, s[36:37], 0, -1, vcc
	v_cmp_ne_u32_e32 vcc, 0, v21
	v_xor_b32_e32 v21, vcc_hi, v39
	v_and_b32_e32 v39, exec_hi, v21
	v_lshlrev_b32_e32 v21, 30, v2
	v_xor_b32_e32 v38, vcc_lo, v38
	v_cmp_gt_i64_e32 vcc, 0, v[20:21]
	v_not_b32_e32 v21, v21
	v_ashrrev_i32_e32 v21, 31, v21
	v_and_b32_e32 v38, exec_lo, v38
	v_xor_b32_e32 v101, vcc_hi, v21
	v_xor_b32_e32 v21, vcc_lo, v21
	v_and_b32_e32 v38, v38, v21
	v_lshlrev_b32_e32 v21, 29, v2
	v_cmp_gt_i64_e32 vcc, 0, v[20:21]
	v_not_b32_e32 v21, v21
	v_ashrrev_i32_e32 v21, 31, v21
	v_and_b32_e32 v39, v39, v101
	v_xor_b32_e32 v101, vcc_hi, v21
	v_xor_b32_e32 v21, vcc_lo, v21
	v_and_b32_e32 v38, v38, v21
	v_lshlrev_b32_e32 v21, 28, v2
	v_cmp_gt_i64_e32 vcc, 0, v[20:21]
	v_not_b32_e32 v21, v21
	v_ashrrev_i32_e32 v21, 31, v21
	v_and_b32_e32 v39, v39, v101
	;; [unrolled: 8-line block ×5, first 2 shown]
	v_xor_b32_e32 v101, vcc_hi, v21
	v_xor_b32_e32 v21, vcc_lo, v21
	v_and_b32_e32 v38, v38, v21
	v_lshlrev_b32_e32 v21, 24, v2
	v_not_b32_e32 v2, v21
	v_cmp_gt_i64_e32 vcc, 0, v[20:21]
	v_ashrrev_i32_e32 v2, 31, v2
	v_xor_b32_e32 v21, vcc_hi, v2
	v_xor_b32_e32 v2, vcc_lo, v2
	v_and_b32_e32 v39, v39, v101
	v_and_b32_e32 v38, v38, v2
	;; [unrolled: 1-line block ×3, first 2 shown]
	v_mbcnt_lo_u32_b32 v2, v38, 0
	v_mbcnt_hi_u32_b32 v101, v39, v2
	v_cmp_eq_u32_e32 vcc, 0, v101
	v_cmp_ne_u64_e64 s[36:37], 0, v[38:39]
	s_and_b64 s[38:39], s[36:37], vcc
	s_waitcnt lgkmcnt(0)
	s_barrier
	s_waitcnt lgkmcnt(0)
	; wave barrier
	s_and_saveexec_b64 s[36:37], s[38:39]
	s_cbranch_execz .LBB1326_416
; %bb.415:                              ;   in Loop: Header=BB1326_400 Depth=2
	v_bcnt_u32_b32 v2, v38, 0
	v_bcnt_u32_b32 v2, v39, v2
	ds_write_b32 v100, v2
.LBB1326_416:                           ;   in Loop: Header=BB1326_400 Depth=2
	s_or_b64 exec, exec, s[36:37]
	s_waitcnt vmcnt(0)
	v_cmp_gt_i32_e32 vcc, 0, v3
	v_cndmask_b32_e64 v2, v73, 0, vcc
	v_xor_b32_e32 v38, v2, v3
	v_cmp_ne_u32_e32 vcc, s76, v38
	v_cndmask_b32_e32 v2, v73, v38, vcc
	v_lshrrev_b32_e32 v2, s77, v2
	v_and_b32_e32 v2, s86, v2
	v_mul_u32_u24_e32 v3, 5, v2
	v_add_lshl_u32 v3, v3, v98, 2
	; wave barrier
	v_add_u32_e32 v102, 0x410, v3
	ds_read_b32 v39, v3 offset:1040
	v_and_b32_e32 v3, 1, v2
	v_add_co_u32_e32 v21, vcc, -1, v3
	v_addc_co_u32_e64 v103, s[36:37], 0, -1, vcc
	v_cmp_ne_u32_e32 vcc, 0, v3
	v_xor_b32_e32 v21, vcc_lo, v21
	v_xor_b32_e32 v3, vcc_hi, v103
	v_and_b32_e32 v103, exec_lo, v21
	v_lshlrev_b32_e32 v21, 30, v2
	v_cmp_gt_i64_e32 vcc, 0, v[20:21]
	v_not_b32_e32 v21, v21
	v_ashrrev_i32_e32 v21, 31, v21
	v_xor_b32_e32 v104, vcc_hi, v21
	v_xor_b32_e32 v21, vcc_lo, v21
	v_and_b32_e32 v103, v103, v21
	v_lshlrev_b32_e32 v21, 29, v2
	v_cmp_gt_i64_e32 vcc, 0, v[20:21]
	v_not_b32_e32 v21, v21
	v_and_b32_e32 v3, exec_hi, v3
	v_ashrrev_i32_e32 v21, 31, v21
	v_and_b32_e32 v3, v3, v104
	v_xor_b32_e32 v104, vcc_hi, v21
	v_xor_b32_e32 v21, vcc_lo, v21
	v_and_b32_e32 v103, v103, v21
	v_lshlrev_b32_e32 v21, 28, v2
	v_cmp_gt_i64_e32 vcc, 0, v[20:21]
	v_not_b32_e32 v21, v21
	v_ashrrev_i32_e32 v21, 31, v21
	v_and_b32_e32 v3, v3, v104
	v_xor_b32_e32 v104, vcc_hi, v21
	v_xor_b32_e32 v21, vcc_lo, v21
	v_and_b32_e32 v103, v103, v21
	v_lshlrev_b32_e32 v21, 27, v2
	v_cmp_gt_i64_e32 vcc, 0, v[20:21]
	v_not_b32_e32 v21, v21
	;; [unrolled: 8-line block ×4, first 2 shown]
	v_ashrrev_i32_e32 v21, 31, v21
	v_and_b32_e32 v3, v3, v104
	v_xor_b32_e32 v104, vcc_hi, v21
	v_xor_b32_e32 v21, vcc_lo, v21
	v_and_b32_e32 v103, v103, v21
	v_lshlrev_b32_e32 v21, 24, v2
	v_not_b32_e32 v2, v21
	v_cmp_gt_i64_e32 vcc, 0, v[20:21]
	v_ashrrev_i32_e32 v2, 31, v2
	v_xor_b32_e32 v21, vcc_hi, v2
	v_xor_b32_e32 v2, vcc_lo, v2
	v_and_b32_e32 v3, v3, v104
	v_and_b32_e32 v2, v103, v2
	;; [unrolled: 1-line block ×3, first 2 shown]
	v_mbcnt_lo_u32_b32 v21, v2, 0
	v_mbcnt_hi_u32_b32 v103, v3, v21
	v_cmp_eq_u32_e32 vcc, 0, v103
	v_cmp_ne_u64_e64 s[36:37], 0, v[2:3]
	s_and_b64 s[38:39], s[36:37], vcc
	; wave barrier
	s_and_saveexec_b64 s[36:37], s[38:39]
	s_cbranch_execz .LBB1326_418
; %bb.417:                              ;   in Loop: Header=BB1326_400 Depth=2
	v_bcnt_u32_b32 v2, v2, 0
	v_bcnt_u32_b32 v2, v3, v2
	s_waitcnt lgkmcnt(0)
	v_add_u32_e32 v2, v39, v2
	ds_write_b32 v102, v2
.LBB1326_418:                           ;   in Loop: Header=BB1326_400 Depth=2
	s_or_b64 exec, exec, s[36:37]
	v_cmp_gt_i32_e32 vcc, 0, v4
	v_cndmask_b32_e64 v2, v73, 0, vcc
	v_xor_b32_e32 v104, v2, v4
	v_cmp_ne_u32_e32 vcc, s76, v104
	v_cndmask_b32_e32 v2, v73, v104, vcc
	v_lshrrev_b32_e32 v2, s77, v2
	v_and_b32_e32 v2, s86, v2
	v_mul_u32_u24_e32 v3, 5, v2
	v_add_lshl_u32 v3, v3, v98, 2
	; wave barrier
	v_add_u32_e32 v106, 0x410, v3
	ds_read_b32 v105, v3 offset:1040
	v_and_b32_e32 v3, 1, v2
	v_add_co_u32_e32 v4, vcc, -1, v3
	v_addc_co_u32_e64 v21, s[36:37], 0, -1, vcc
	v_cmp_ne_u32_e32 vcc, 0, v3
	v_xor_b32_e32 v3, vcc_hi, v21
	v_lshlrev_b32_e32 v21, 30, v2
	v_xor_b32_e32 v4, vcc_lo, v4
	v_cmp_gt_i64_e32 vcc, 0, v[20:21]
	v_not_b32_e32 v21, v21
	v_ashrrev_i32_e32 v21, 31, v21
	v_and_b32_e32 v4, exec_lo, v4
	v_xor_b32_e32 v107, vcc_hi, v21
	v_xor_b32_e32 v21, vcc_lo, v21
	v_and_b32_e32 v4, v4, v21
	v_lshlrev_b32_e32 v21, 29, v2
	v_cmp_gt_i64_e32 vcc, 0, v[20:21]
	v_not_b32_e32 v21, v21
	v_and_b32_e32 v3, exec_hi, v3
	v_ashrrev_i32_e32 v21, 31, v21
	v_and_b32_e32 v3, v3, v107
	v_xor_b32_e32 v107, vcc_hi, v21
	v_xor_b32_e32 v21, vcc_lo, v21
	v_and_b32_e32 v4, v4, v21
	v_lshlrev_b32_e32 v21, 28, v2
	v_cmp_gt_i64_e32 vcc, 0, v[20:21]
	v_not_b32_e32 v21, v21
	v_ashrrev_i32_e32 v21, 31, v21
	v_and_b32_e32 v3, v3, v107
	v_xor_b32_e32 v107, vcc_hi, v21
	v_xor_b32_e32 v21, vcc_lo, v21
	v_and_b32_e32 v4, v4, v21
	v_lshlrev_b32_e32 v21, 27, v2
	v_cmp_gt_i64_e32 vcc, 0, v[20:21]
	v_not_b32_e32 v21, v21
	;; [unrolled: 8-line block ×4, first 2 shown]
	v_ashrrev_i32_e32 v21, 31, v21
	v_and_b32_e32 v3, v3, v107
	v_xor_b32_e32 v107, vcc_hi, v21
	v_xor_b32_e32 v21, vcc_lo, v21
	v_and_b32_e32 v4, v4, v21
	v_lshlrev_b32_e32 v21, 24, v2
	v_not_b32_e32 v2, v21
	v_cmp_gt_i64_e32 vcc, 0, v[20:21]
	v_ashrrev_i32_e32 v2, 31, v2
	v_xor_b32_e32 v21, vcc_hi, v2
	v_xor_b32_e32 v2, vcc_lo, v2
	v_and_b32_e32 v3, v3, v107
	v_and_b32_e32 v2, v4, v2
	;; [unrolled: 1-line block ×3, first 2 shown]
	v_mbcnt_lo_u32_b32 v4, v2, 0
	v_mbcnt_hi_u32_b32 v107, v3, v4
	v_cmp_eq_u32_e32 vcc, 0, v107
	v_cmp_ne_u64_e64 s[36:37], 0, v[2:3]
	s_and_b64 s[38:39], s[36:37], vcc
	; wave barrier
	s_and_saveexec_b64 s[36:37], s[38:39]
	s_cbranch_execz .LBB1326_420
; %bb.419:                              ;   in Loop: Header=BB1326_400 Depth=2
	v_bcnt_u32_b32 v2, v2, 0
	v_bcnt_u32_b32 v2, v3, v2
	s_waitcnt lgkmcnt(0)
	v_add_u32_e32 v2, v105, v2
	ds_write_b32 v106, v2
.LBB1326_420:                           ;   in Loop: Header=BB1326_400 Depth=2
	s_or_b64 exec, exec, s[36:37]
	v_cmp_gt_i32_e32 vcc, 0, v5
	v_cndmask_b32_e64 v2, v73, 0, vcc
	v_xor_b32_e32 v108, v2, v5
	v_cmp_ne_u32_e32 vcc, s76, v108
	v_cndmask_b32_e32 v2, v73, v108, vcc
	v_lshrrev_b32_e32 v2, s77, v2
	v_and_b32_e32 v2, s86, v2
	v_mul_u32_u24_e32 v3, 5, v2
	v_add_lshl_u32 v3, v3, v98, 2
	; wave barrier
	v_add_u32_e32 v110, 0x410, v3
	ds_read_b32 v109, v3 offset:1040
	v_and_b32_e32 v3, 1, v2
	v_add_co_u32_e32 v4, vcc, -1, v3
	v_addc_co_u32_e64 v5, s[36:37], 0, -1, vcc
	v_cmp_ne_u32_e32 vcc, 0, v3
	v_lshlrev_b32_e32 v21, 30, v2
	v_xor_b32_e32 v3, vcc_hi, v5
	v_not_b32_e32 v5, v21
	v_xor_b32_e32 v4, vcc_lo, v4
	v_cmp_gt_i64_e32 vcc, 0, v[20:21]
	v_ashrrev_i32_e32 v5, 31, v5
	v_and_b32_e32 v3, exec_hi, v3
	v_xor_b32_e32 v21, vcc_hi, v5
	v_and_b32_e32 v4, exec_lo, v4
	v_xor_b32_e32 v5, vcc_lo, v5
	v_and_b32_e32 v3, v3, v21
	v_lshlrev_b32_e32 v21, 29, v2
	v_and_b32_e32 v4, v4, v5
	v_not_b32_e32 v5, v21
	v_cmp_gt_i64_e32 vcc, 0, v[20:21]
	v_ashrrev_i32_e32 v5, 31, v5
	v_xor_b32_e32 v21, vcc_hi, v5
	v_xor_b32_e32 v5, vcc_lo, v5
	v_and_b32_e32 v3, v3, v21
	v_lshlrev_b32_e32 v21, 28, v2
	v_and_b32_e32 v4, v4, v5
	v_not_b32_e32 v5, v21
	v_cmp_gt_i64_e32 vcc, 0, v[20:21]
	v_ashrrev_i32_e32 v5, 31, v5
	v_xor_b32_e32 v21, vcc_hi, v5
	;; [unrolled: 8-line block ×5, first 2 shown]
	v_and_b32_e32 v3, v3, v21
	v_lshlrev_b32_e32 v21, 24, v2
	v_not_b32_e32 v2, v21
	v_xor_b32_e32 v5, vcc_lo, v5
	v_cmp_gt_i64_e32 vcc, 0, v[20:21]
	v_ashrrev_i32_e32 v2, 31, v2
	v_and_b32_e32 v4, v4, v5
	v_xor_b32_e32 v5, vcc_hi, v2
	v_xor_b32_e32 v2, vcc_lo, v2
	v_and_b32_e32 v2, v4, v2
	v_and_b32_e32 v3, v3, v5
	v_mbcnt_lo_u32_b32 v4, v2, 0
	v_mbcnt_hi_u32_b32 v111, v3, v4
	v_cmp_eq_u32_e32 vcc, 0, v111
	v_cmp_ne_u64_e64 s[36:37], 0, v[2:3]
	s_and_b64 s[38:39], s[36:37], vcc
	; wave barrier
	s_and_saveexec_b64 s[36:37], s[38:39]
	s_cbranch_execz .LBB1326_422
; %bb.421:                              ;   in Loop: Header=BB1326_400 Depth=2
	v_bcnt_u32_b32 v2, v2, 0
	v_bcnt_u32_b32 v2, v3, v2
	s_waitcnt lgkmcnt(0)
	v_add_u32_e32 v2, v109, v2
	ds_write_b32 v110, v2
.LBB1326_422:                           ;   in Loop: Header=BB1326_400 Depth=2
	s_or_b64 exec, exec, s[36:37]
	v_cmp_gt_i32_e32 vcc, 0, v6
	v_cndmask_b32_e64 v2, v73, 0, vcc
	v_xor_b32_e32 v112, v2, v6
	v_cmp_ne_u32_e32 vcc, s76, v112
	v_cndmask_b32_e32 v2, v73, v112, vcc
	v_lshrrev_b32_e32 v2, s77, v2
	v_and_b32_e32 v2, s86, v2
	v_mul_u32_u24_e32 v3, 5, v2
	v_add_lshl_u32 v3, v3, v98, 2
	; wave barrier
	v_add_u32_e32 v113, 0x410, v3
	ds_read_b32 v6, v3 offset:1040
	v_and_b32_e32 v3, 1, v2
	v_add_co_u32_e32 v4, vcc, -1, v3
	v_addc_co_u32_e64 v5, s[36:37], 0, -1, vcc
	v_cmp_ne_u32_e32 vcc, 0, v3
	v_lshlrev_b32_e32 v21, 30, v2
	v_xor_b32_e32 v3, vcc_hi, v5
	v_not_b32_e32 v5, v21
	v_xor_b32_e32 v4, vcc_lo, v4
	v_cmp_gt_i64_e32 vcc, 0, v[20:21]
	v_ashrrev_i32_e32 v5, 31, v5
	v_and_b32_e32 v3, exec_hi, v3
	v_xor_b32_e32 v21, vcc_hi, v5
	v_and_b32_e32 v4, exec_lo, v4
	v_xor_b32_e32 v5, vcc_lo, v5
	v_and_b32_e32 v3, v3, v21
	v_lshlrev_b32_e32 v21, 29, v2
	v_and_b32_e32 v4, v4, v5
	v_not_b32_e32 v5, v21
	v_cmp_gt_i64_e32 vcc, 0, v[20:21]
	v_ashrrev_i32_e32 v5, 31, v5
	v_xor_b32_e32 v21, vcc_hi, v5
	v_xor_b32_e32 v5, vcc_lo, v5
	v_and_b32_e32 v3, v3, v21
	v_lshlrev_b32_e32 v21, 28, v2
	v_and_b32_e32 v4, v4, v5
	v_not_b32_e32 v5, v21
	v_cmp_gt_i64_e32 vcc, 0, v[20:21]
	v_ashrrev_i32_e32 v5, 31, v5
	v_xor_b32_e32 v21, vcc_hi, v5
	v_xor_b32_e32 v5, vcc_lo, v5
	v_and_b32_e32 v3, v3, v21
	v_lshlrev_b32_e32 v21, 27, v2
	v_and_b32_e32 v4, v4, v5
	v_not_b32_e32 v5, v21
	v_cmp_gt_i64_e32 vcc, 0, v[20:21]
	v_ashrrev_i32_e32 v5, 31, v5
	v_xor_b32_e32 v21, vcc_hi, v5
	v_xor_b32_e32 v5, vcc_lo, v5
	v_and_b32_e32 v3, v3, v21
	v_lshlrev_b32_e32 v21, 26, v2
	v_and_b32_e32 v4, v4, v5
	v_not_b32_e32 v5, v21
	v_cmp_gt_i64_e32 vcc, 0, v[20:21]
	v_ashrrev_i32_e32 v5, 31, v5
	v_xor_b32_e32 v21, vcc_hi, v5
	v_xor_b32_e32 v5, vcc_lo, v5
	v_and_b32_e32 v3, v3, v21
	v_lshlrev_b32_e32 v21, 25, v2
	v_and_b32_e32 v4, v4, v5
	v_not_b32_e32 v5, v21
	v_cmp_gt_i64_e32 vcc, 0, v[20:21]
	v_ashrrev_i32_e32 v5, 31, v5
	v_xor_b32_e32 v21, vcc_hi, v5
	v_and_b32_e32 v3, v3, v21
	v_lshlrev_b32_e32 v21, 24, v2
	v_not_b32_e32 v2, v21
	v_xor_b32_e32 v5, vcc_lo, v5
	v_cmp_gt_i64_e32 vcc, 0, v[20:21]
	v_ashrrev_i32_e32 v2, 31, v2
	v_and_b32_e32 v4, v4, v5
	v_xor_b32_e32 v5, vcc_hi, v2
	v_xor_b32_e32 v2, vcc_lo, v2
	v_and_b32_e32 v2, v4, v2
	v_and_b32_e32 v3, v3, v5
	v_mbcnt_lo_u32_b32 v4, v2, 0
	v_mbcnt_hi_u32_b32 v114, v3, v4
	v_cmp_eq_u32_e32 vcc, 0, v114
	v_cmp_ne_u64_e64 s[36:37], 0, v[2:3]
	s_and_b64 s[38:39], s[36:37], vcc
	; wave barrier
	s_and_saveexec_b64 s[36:37], s[38:39]
	s_cbranch_execz .LBB1326_424
; %bb.423:                              ;   in Loop: Header=BB1326_400 Depth=2
	v_bcnt_u32_b32 v2, v2, 0
	v_bcnt_u32_b32 v2, v3, v2
	s_waitcnt lgkmcnt(0)
	v_add_u32_e32 v2, v6, v2
	ds_write_b32 v113, v2
.LBB1326_424:                           ;   in Loop: Header=BB1326_400 Depth=2
	s_or_b64 exec, exec, s[36:37]
	v_cmp_gt_i32_e32 vcc, 0, v7
	v_cndmask_b32_e64 v2, v73, 0, vcc
	v_xor_b32_e32 v115, v2, v7
	v_cmp_ne_u32_e32 vcc, s76, v115
	v_cndmask_b32_e32 v2, v73, v115, vcc
	v_lshrrev_b32_e32 v2, s77, v2
	v_and_b32_e32 v2, s86, v2
	v_mul_u32_u24_e32 v3, 5, v2
	v_add_lshl_u32 v3, v3, v98, 2
	; wave barrier
	v_add_u32_e32 v116, 0x410, v3
	ds_read_b32 v7, v3 offset:1040
	v_and_b32_e32 v3, 1, v2
	v_add_co_u32_e32 v4, vcc, -1, v3
	v_addc_co_u32_e64 v5, s[36:37], 0, -1, vcc
	v_cmp_ne_u32_e32 vcc, 0, v3
	v_lshlrev_b32_e32 v21, 30, v2
	v_xor_b32_e32 v3, vcc_hi, v5
	v_not_b32_e32 v5, v21
	v_xor_b32_e32 v4, vcc_lo, v4
	v_cmp_gt_i64_e32 vcc, 0, v[20:21]
	v_ashrrev_i32_e32 v5, 31, v5
	v_and_b32_e32 v3, exec_hi, v3
	v_xor_b32_e32 v21, vcc_hi, v5
	v_and_b32_e32 v4, exec_lo, v4
	v_xor_b32_e32 v5, vcc_lo, v5
	v_and_b32_e32 v3, v3, v21
	v_lshlrev_b32_e32 v21, 29, v2
	v_and_b32_e32 v4, v4, v5
	v_not_b32_e32 v5, v21
	v_cmp_gt_i64_e32 vcc, 0, v[20:21]
	v_ashrrev_i32_e32 v5, 31, v5
	v_xor_b32_e32 v21, vcc_hi, v5
	v_xor_b32_e32 v5, vcc_lo, v5
	v_and_b32_e32 v3, v3, v21
	v_lshlrev_b32_e32 v21, 28, v2
	v_and_b32_e32 v4, v4, v5
	v_not_b32_e32 v5, v21
	v_cmp_gt_i64_e32 vcc, 0, v[20:21]
	v_ashrrev_i32_e32 v5, 31, v5
	v_xor_b32_e32 v21, vcc_hi, v5
	;; [unrolled: 8-line block ×5, first 2 shown]
	v_and_b32_e32 v3, v3, v21
	v_lshlrev_b32_e32 v21, 24, v2
	v_not_b32_e32 v2, v21
	v_xor_b32_e32 v5, vcc_lo, v5
	v_cmp_gt_i64_e32 vcc, 0, v[20:21]
	v_ashrrev_i32_e32 v2, 31, v2
	v_and_b32_e32 v4, v4, v5
	v_xor_b32_e32 v5, vcc_hi, v2
	v_xor_b32_e32 v2, vcc_lo, v2
	v_and_b32_e32 v2, v4, v2
	v_and_b32_e32 v3, v3, v5
	v_mbcnt_lo_u32_b32 v4, v2, 0
	v_mbcnt_hi_u32_b32 v117, v3, v4
	v_cmp_eq_u32_e32 vcc, 0, v117
	v_cmp_ne_u64_e64 s[36:37], 0, v[2:3]
	s_and_b64 s[38:39], s[36:37], vcc
	; wave barrier
	s_and_saveexec_b64 s[36:37], s[38:39]
	s_cbranch_execz .LBB1326_426
; %bb.425:                              ;   in Loop: Header=BB1326_400 Depth=2
	v_bcnt_u32_b32 v2, v2, 0
	v_bcnt_u32_b32 v2, v3, v2
	s_waitcnt lgkmcnt(0)
	v_add_u32_e32 v2, v7, v2
	ds_write_b32 v116, v2
.LBB1326_426:                           ;   in Loop: Header=BB1326_400 Depth=2
	s_or_b64 exec, exec, s[36:37]
	v_cmp_gt_i32_e32 vcc, 0, v8
	v_cndmask_b32_e64 v2, v73, 0, vcc
	v_xor_b32_e32 v118, v2, v8
	v_cmp_ne_u32_e32 vcc, s76, v118
	v_cndmask_b32_e32 v2, v73, v118, vcc
	v_lshrrev_b32_e32 v2, s77, v2
	v_and_b32_e32 v2, s86, v2
	v_mul_u32_u24_e32 v3, 5, v2
	v_add_lshl_u32 v3, v3, v98, 2
	; wave barrier
	v_add_u32_e32 v8, 0x410, v3
	ds_read_b32 v119, v3 offset:1040
	v_and_b32_e32 v3, 1, v2
	v_add_co_u32_e32 v4, vcc, -1, v3
	v_addc_co_u32_e64 v5, s[36:37], 0, -1, vcc
	v_cmp_ne_u32_e32 vcc, 0, v3
	v_lshlrev_b32_e32 v21, 30, v2
	v_xor_b32_e32 v3, vcc_hi, v5
	v_not_b32_e32 v5, v21
	v_xor_b32_e32 v4, vcc_lo, v4
	v_cmp_gt_i64_e32 vcc, 0, v[20:21]
	v_ashrrev_i32_e32 v5, 31, v5
	v_and_b32_e32 v3, exec_hi, v3
	v_xor_b32_e32 v21, vcc_hi, v5
	v_and_b32_e32 v4, exec_lo, v4
	v_xor_b32_e32 v5, vcc_lo, v5
	v_and_b32_e32 v3, v3, v21
	v_lshlrev_b32_e32 v21, 29, v2
	v_and_b32_e32 v4, v4, v5
	v_not_b32_e32 v5, v21
	v_cmp_gt_i64_e32 vcc, 0, v[20:21]
	v_ashrrev_i32_e32 v5, 31, v5
	v_xor_b32_e32 v21, vcc_hi, v5
	v_xor_b32_e32 v5, vcc_lo, v5
	v_and_b32_e32 v3, v3, v21
	v_lshlrev_b32_e32 v21, 28, v2
	v_and_b32_e32 v4, v4, v5
	v_not_b32_e32 v5, v21
	v_cmp_gt_i64_e32 vcc, 0, v[20:21]
	v_ashrrev_i32_e32 v5, 31, v5
	v_xor_b32_e32 v21, vcc_hi, v5
	;; [unrolled: 8-line block ×5, first 2 shown]
	v_and_b32_e32 v3, v3, v21
	v_lshlrev_b32_e32 v21, 24, v2
	v_not_b32_e32 v2, v21
	v_xor_b32_e32 v5, vcc_lo, v5
	v_cmp_gt_i64_e32 vcc, 0, v[20:21]
	v_ashrrev_i32_e32 v2, 31, v2
	v_and_b32_e32 v4, v4, v5
	v_xor_b32_e32 v5, vcc_hi, v2
	v_xor_b32_e32 v2, vcc_lo, v2
	v_and_b32_e32 v2, v4, v2
	v_and_b32_e32 v3, v3, v5
	v_mbcnt_lo_u32_b32 v4, v2, 0
	v_mbcnt_hi_u32_b32 v120, v3, v4
	v_cmp_eq_u32_e32 vcc, 0, v120
	v_cmp_ne_u64_e64 s[36:37], 0, v[2:3]
	s_and_b64 s[38:39], s[36:37], vcc
	; wave barrier
	s_and_saveexec_b64 s[36:37], s[38:39]
	s_cbranch_execz .LBB1326_428
; %bb.427:                              ;   in Loop: Header=BB1326_400 Depth=2
	v_bcnt_u32_b32 v2, v2, 0
	v_bcnt_u32_b32 v2, v3, v2
	s_waitcnt lgkmcnt(0)
	v_add_u32_e32 v2, v119, v2
	ds_write_b32 v8, v2
.LBB1326_428:                           ;   in Loop: Header=BB1326_400 Depth=2
	s_or_b64 exec, exec, s[36:37]
	v_cmp_gt_i32_e32 vcc, 0, v9
	v_cndmask_b32_e64 v2, v73, 0, vcc
	v_xor_b32_e32 v121, v2, v9
	v_cmp_ne_u32_e32 vcc, s76, v121
	v_cndmask_b32_e32 v2, v73, v121, vcc
	v_lshrrev_b32_e32 v2, s77, v2
	v_and_b32_e32 v2, s86, v2
	v_mul_u32_u24_e32 v3, 5, v2
	v_add_lshl_u32 v3, v3, v98, 2
	; wave barrier
	v_add_u32_e32 v9, 0x410, v3
	ds_read_b32 v122, v3 offset:1040
	v_and_b32_e32 v3, 1, v2
	v_add_co_u32_e32 v4, vcc, -1, v3
	v_addc_co_u32_e64 v5, s[36:37], 0, -1, vcc
	v_cmp_ne_u32_e32 vcc, 0, v3
	v_lshlrev_b32_e32 v21, 30, v2
	v_xor_b32_e32 v3, vcc_hi, v5
	v_not_b32_e32 v5, v21
	v_xor_b32_e32 v4, vcc_lo, v4
	v_cmp_gt_i64_e32 vcc, 0, v[20:21]
	v_ashrrev_i32_e32 v5, 31, v5
	v_and_b32_e32 v3, exec_hi, v3
	v_xor_b32_e32 v21, vcc_hi, v5
	v_and_b32_e32 v4, exec_lo, v4
	v_xor_b32_e32 v5, vcc_lo, v5
	v_and_b32_e32 v3, v3, v21
	v_lshlrev_b32_e32 v21, 29, v2
	v_and_b32_e32 v4, v4, v5
	v_not_b32_e32 v5, v21
	v_cmp_gt_i64_e32 vcc, 0, v[20:21]
	v_ashrrev_i32_e32 v5, 31, v5
	v_xor_b32_e32 v21, vcc_hi, v5
	v_xor_b32_e32 v5, vcc_lo, v5
	v_and_b32_e32 v3, v3, v21
	v_lshlrev_b32_e32 v21, 28, v2
	v_and_b32_e32 v4, v4, v5
	v_not_b32_e32 v5, v21
	v_cmp_gt_i64_e32 vcc, 0, v[20:21]
	v_ashrrev_i32_e32 v5, 31, v5
	v_xor_b32_e32 v21, vcc_hi, v5
	;; [unrolled: 8-line block ×5, first 2 shown]
	v_and_b32_e32 v3, v3, v21
	v_lshlrev_b32_e32 v21, 24, v2
	v_not_b32_e32 v2, v21
	v_xor_b32_e32 v5, vcc_lo, v5
	v_cmp_gt_i64_e32 vcc, 0, v[20:21]
	v_ashrrev_i32_e32 v2, 31, v2
	v_and_b32_e32 v4, v4, v5
	v_xor_b32_e32 v5, vcc_hi, v2
	v_xor_b32_e32 v2, vcc_lo, v2
	v_and_b32_e32 v2, v4, v2
	v_and_b32_e32 v3, v3, v5
	v_mbcnt_lo_u32_b32 v4, v2, 0
	v_mbcnt_hi_u32_b32 v123, v3, v4
	v_cmp_eq_u32_e32 vcc, 0, v123
	v_cmp_ne_u64_e64 s[36:37], 0, v[2:3]
	s_and_b64 s[38:39], s[36:37], vcc
	; wave barrier
	s_and_saveexec_b64 s[36:37], s[38:39]
	s_cbranch_execz .LBB1326_430
; %bb.429:                              ;   in Loop: Header=BB1326_400 Depth=2
	v_bcnt_u32_b32 v2, v2, 0
	v_bcnt_u32_b32 v2, v3, v2
	s_waitcnt lgkmcnt(0)
	v_add_u32_e32 v2, v122, v2
	ds_write_b32 v9, v2
.LBB1326_430:                           ;   in Loop: Header=BB1326_400 Depth=2
	s_or_b64 exec, exec, s[36:37]
	; wave barrier
	s_waitcnt lgkmcnt(0)
	s_barrier
	ds_read_b32 v21, v50 offset:1040
	ds_read2_b32 v[4:5], v52 offset0:1 offset1:2
	ds_read2_b32 v[2:3], v52 offset0:3 offset1:4
	s_waitcnt lgkmcnt(1)
	v_add3_u32 v124, v4, v21, v5
	s_waitcnt lgkmcnt(0)
	v_add3_u32 v3, v124, v2, v3
	s_nop 1
	v_mov_b32_dpp v124, v3 row_shr:1 row_mask:0xf bank_mask:0xf
	v_cndmask_b32_e64 v124, v124, 0, s[16:17]
	v_add_u32_e32 v3, v124, v3
	s_nop 1
	v_mov_b32_dpp v124, v3 row_shr:2 row_mask:0xf bank_mask:0xf
	v_cndmask_b32_e64 v124, 0, v124, s[18:19]
	v_add_u32_e32 v3, v3, v124
	;; [unrolled: 4-line block ×4, first 2 shown]
	s_nop 1
	v_mov_b32_dpp v124, v3 row_bcast:15 row_mask:0xf bank_mask:0xf
	v_cndmask_b32_e64 v124, v124, 0, s[24:25]
	v_add_u32_e32 v3, v3, v124
	s_nop 1
	v_mov_b32_dpp v124, v3 row_bcast:31 row_mask:0xf bank_mask:0xf
	v_cndmask_b32_e64 v124, 0, v124, s[26:27]
	v_add_u32_e32 v3, v3, v124
	s_and_saveexec_b64 s[36:37], s[6:7]
	s_cbranch_execz .LBB1326_432
; %bb.431:                              ;   in Loop: Header=BB1326_400 Depth=2
	ds_write_b32 v43, v3 offset:1024
.LBB1326_432:                           ;   in Loop: Header=BB1326_400 Depth=2
	s_or_b64 exec, exec, s[36:37]
	s_waitcnt lgkmcnt(0)
	s_barrier
	s_and_saveexec_b64 s[36:37], s[8:9]
	s_cbranch_execz .LBB1326_434
; %bb.433:                              ;   in Loop: Header=BB1326_400 Depth=2
	ds_read_b32 v124, v53 offset:1024
	s_waitcnt lgkmcnt(0)
	s_nop 0
	v_mov_b32_dpp v125, v124 row_shr:1 row_mask:0xf bank_mask:0xf
	v_cndmask_b32_e64 v125, v125, 0, s[30:31]
	v_add_u32_e32 v124, v125, v124
	s_nop 1
	v_mov_b32_dpp v125, v124 row_shr:2 row_mask:0xf bank_mask:0xf
	v_cndmask_b32_e64 v125, 0, v125, s[34:35]
	v_add_u32_e32 v124, v124, v125
	ds_write_b32 v53, v124 offset:1024
.LBB1326_434:                           ;   in Loop: Header=BB1326_400 Depth=2
	s_or_b64 exec, exec, s[36:37]
	v_mov_b32_e32 v124, 0
	s_waitcnt lgkmcnt(0)
	s_barrier
	s_and_saveexec_b64 s[36:37], s[10:11]
	s_cbranch_execz .LBB1326_436
; %bb.435:                              ;   in Loop: Header=BB1326_400 Depth=2
	ds_read_b32 v124, v43 offset:1020
.LBB1326_436:                           ;   in Loop: Header=BB1326_400 Depth=2
	s_or_b64 exec, exec, s[36:37]
	s_waitcnt lgkmcnt(0)
	v_add_u32_e32 v3, v124, v3
	ds_bpermute_b32 v3, v75, v3
	s_waitcnt lgkmcnt(0)
	v_cndmask_b32_e64 v3, v3, v124, s[28:29]
	v_cndmask_b32_e64 v3, v3, 0, s[12:13]
	v_add_u32_e32 v21, v3, v21
	ds_write_b32 v50, v3 offset:1040
	v_add_u32_e32 v3, v21, v4
	v_add_u32_e32 v4, v3, v5
	;; [unrolled: 1-line block ×3, first 2 shown]
	ds_write2_b32 v52, v21, v3 offset0:1 offset1:2
	ds_write2_b32 v52, v4, v2 offset0:3 offset1:4
	s_waitcnt lgkmcnt(0)
	s_barrier
	ds_read_b32 v2, v102
	ds_read_b32 v3, v106
	;; [unrolled: 1-line block ×8, first 2 shown]
	ds_read_b32 v9, v50 offset:1040
	v_mov_b32_e32 v4, 0x800
	s_and_saveexec_b64 s[36:37], s[14:15]
	s_cbranch_execz .LBB1326_438
; %bb.437:                              ;   in Loop: Header=BB1326_400 Depth=2
	ds_read_b32 v4, v50 offset:1060
.LBB1326_438:                           ;   in Loop: Header=BB1326_400 Depth=2
	s_or_b64 exec, exec, s[36:37]
	s_waitcnt lgkmcnt(0)
	s_barrier
	s_and_saveexec_b64 s[36:37], s[4:5]
	s_cbranch_execz .LBB1326_440
; %bb.439:                              ;   in Loop: Header=BB1326_400 Depth=2
	ds_read_b32 v21, v19
	s_waitcnt lgkmcnt(0)
	v_sub_u32_e32 v9, v21, v9
	ds_write_b32 v19, v9
.LBB1326_440:                           ;   in Loop: Header=BB1326_400 Depth=2
	s_or_b64 exec, exec, s[36:37]
	v_add_u32_e32 v100, v8, v101
	v_add3_u32 v39, v103, v39, v2
	v_lshlrev_b32_e32 v2, 2, v100
	v_add3_u32 v21, v107, v105, v3
	ds_write_b32 v2, v99 offset:1024
	v_lshlrev_b32_e32 v2, 2, v39
	v_add3_u32 v9, v111, v109, v5
	ds_write_b32 v2, v38 offset:1024
	;; [unrolled: 3-line block ×6, first 2 shown]
	v_lshlrev_b32_e32 v2, 2, v6
	ds_write_b32 v2, v118 offset:1024
	v_lshlrev_b32_e32 v2, 2, v5
	v_cmp_lt_u32_e32 vcc, v18, v0
	ds_write_b32 v2, v121 offset:1024
	s_waitcnt lgkmcnt(0)
	s_barrier
	s_and_saveexec_b64 s[38:39], vcc
	s_cbranch_execz .LBB1326_448
; %bb.441:                              ;   in Loop: Header=BB1326_400 Depth=2
	ds_read_b32 v2, v53 offset:1024
	v_mov_b32_e32 v3, v20
	v_mov_b32_e32 v99, s59
	s_waitcnt lgkmcnt(0)
	v_cmp_ne_u32_e64 s[36:37], s76, v2
	v_cndmask_b32_e64 v38, v73, v2, s[36:37]
	v_lshrrev_b32_e32 v38, s77, v38
	v_and_b32_e32 v38, s86, v38
	v_lshlrev_b32_e32 v38, 2, v38
	ds_read_b32 v38, v38
	v_cmp_gt_i32_e64 s[36:37], 0, v2
	v_cndmask_b32_e64 v101, v73, 0, s[36:37]
	v_xor_b32_e32 v101, v101, v2
	s_waitcnt lgkmcnt(0)
	v_add_u32_e32 v2, v38, v18
	v_lshlrev_b64 v[2:3], 2, v[2:3]
	v_add_co_u32_e64 v2, s[36:37], s58, v2
	v_addc_co_u32_e64 v3, s[36:37], v99, v3, s[36:37]
	global_store_dword v[2:3], v101, off
	s_or_b64 exec, exec, s[38:39]
	v_cmp_lt_u32_e64 s[36:37], v23, v0
	s_and_saveexec_b64 s[40:41], s[36:37]
	s_cbranch_execnz .LBB1326_449
.LBB1326_442:                           ;   in Loop: Header=BB1326_400 Depth=2
	s_or_b64 exec, exec, s[40:41]
	v_cmp_lt_u32_e64 s[38:39], v25, v0
	s_and_saveexec_b64 s[42:43], s[38:39]
	s_cbranch_execz .LBB1326_450
.LBB1326_443:                           ;   in Loop: Header=BB1326_400 Depth=2
	ds_read_b32 v2, v58 offset:2048
	v_mov_b32_e32 v3, v20
	v_mov_b32_e32 v99, s59
	s_waitcnt lgkmcnt(0)
	v_cmp_ne_u32_e64 s[40:41], s76, v2
	v_cndmask_b32_e64 v38, v73, v2, s[40:41]
	v_lshrrev_b32_e32 v38, s77, v38
	v_and_b32_e32 v38, s86, v38
	v_lshlrev_b32_e32 v38, 2, v38
	ds_read_b32 v38, v38
	v_cmp_gt_i32_e64 s[40:41], 0, v2
	v_cndmask_b32_e64 v101, v73, 0, s[40:41]
	v_xor_b32_e32 v101, v101, v2
	s_waitcnt lgkmcnt(0)
	v_add_u32_e32 v2, v38, v25
	v_lshlrev_b64 v[2:3], 2, v[2:3]
	v_add_co_u32_e64 v2, s[40:41], s58, v2
	v_addc_co_u32_e64 v3, s[40:41], v99, v3, s[40:41]
	global_store_dword v[2:3], v101, off
	s_or_b64 exec, exec, s[42:43]
	v_cmp_lt_u32_e64 s[40:41], v27, v0
	s_and_saveexec_b64 s[44:45], s[40:41]
	s_cbranch_execnz .LBB1326_451
.LBB1326_444:                           ;   in Loop: Header=BB1326_400 Depth=2
	s_or_b64 exec, exec, s[44:45]
	v_cmp_lt_u32_e64 s[42:43], v22, v0
	s_and_saveexec_b64 s[46:47], s[42:43]
	s_cbranch_execz .LBB1326_452
.LBB1326_445:                           ;   in Loop: Header=BB1326_400 Depth=2
	ds_read_b32 v2, v58 offset:4096
	v_mov_b32_e32 v3, v20
	v_mov_b32_e32 v99, s59
	s_waitcnt lgkmcnt(0)
	v_cmp_ne_u32_e64 s[44:45], s76, v2
	v_cndmask_b32_e64 v38, v73, v2, s[44:45]
	v_lshrrev_b32_e32 v38, s77, v38
	v_and_b32_e32 v38, s86, v38
	v_lshlrev_b32_e32 v38, 2, v38
	ds_read_b32 v38, v38
	v_cmp_gt_i32_e64 s[44:45], 0, v2
	v_cndmask_b32_e64 v101, v73, 0, s[44:45]
	v_xor_b32_e32 v101, v101, v2
	s_waitcnt lgkmcnt(0)
	v_add_u32_e32 v2, v38, v22
	v_lshlrev_b64 v[2:3], 2, v[2:3]
	v_add_co_u32_e64 v2, s[44:45], s58, v2
	v_addc_co_u32_e64 v3, s[44:45], v99, v3, s[44:45]
	global_store_dword v[2:3], v101, off
	s_or_b64 exec, exec, s[46:47]
	v_cmp_lt_u32_e64 s[44:45], v24, v0
	s_and_saveexec_b64 s[48:49], s[44:45]
	s_cbranch_execnz .LBB1326_453
.LBB1326_446:                           ;   in Loop: Header=BB1326_400 Depth=2
	s_or_b64 exec, exec, s[48:49]
	v_cmp_lt_u32_e64 s[46:47], v26, v0
	s_and_saveexec_b64 s[52:53], s[46:47]
	s_cbranch_execz .LBB1326_454
.LBB1326_447:                           ;   in Loop: Header=BB1326_400 Depth=2
	ds_read_b32 v2, v58 offset:6144
	v_mov_b32_e32 v3, v20
	v_mov_b32_e32 v99, s59
	s_waitcnt lgkmcnt(0)
	v_cmp_ne_u32_e64 s[48:49], s76, v2
	v_cndmask_b32_e64 v38, v73, v2, s[48:49]
	v_lshrrev_b32_e32 v38, s77, v38
	v_and_b32_e32 v38, s86, v38
	v_lshlrev_b32_e32 v38, 2, v38
	ds_read_b32 v38, v38
	v_cmp_gt_i32_e64 s[48:49], 0, v2
	v_cndmask_b32_e64 v101, v73, 0, s[48:49]
	v_xor_b32_e32 v101, v101, v2
	s_waitcnt lgkmcnt(0)
	v_add_u32_e32 v2, v38, v26
	v_lshlrev_b64 v[2:3], 2, v[2:3]
	v_add_co_u32_e64 v2, s[48:49], s58, v2
	v_addc_co_u32_e64 v3, s[48:49], v99, v3, s[48:49]
	global_store_dword v[2:3], v101, off
	s_or_b64 exec, exec, s[52:53]
	v_cmp_lt_u32_e64 s[48:49], v28, v0
	s_and_saveexec_b64 s[62:63], s[48:49]
	s_cbranch_execnz .LBB1326_455
	s_branch .LBB1326_456
.LBB1326_448:                           ;   in Loop: Header=BB1326_400 Depth=2
	s_or_b64 exec, exec, s[38:39]
	v_cmp_lt_u32_e64 s[36:37], v23, v0
	s_and_saveexec_b64 s[40:41], s[36:37]
	s_cbranch_execz .LBB1326_442
.LBB1326_449:                           ;   in Loop: Header=BB1326_400 Depth=2
	ds_read_b32 v2, v58 offset:1024
	v_mov_b32_e32 v3, v20
	v_mov_b32_e32 v99, s59
	s_waitcnt lgkmcnt(0)
	v_cmp_ne_u32_e64 s[38:39], s76, v2
	v_cndmask_b32_e64 v38, v73, v2, s[38:39]
	v_lshrrev_b32_e32 v38, s77, v38
	v_and_b32_e32 v38, s86, v38
	v_lshlrev_b32_e32 v38, 2, v38
	ds_read_b32 v38, v38
	v_cmp_gt_i32_e64 s[38:39], 0, v2
	v_cndmask_b32_e64 v101, v73, 0, s[38:39]
	v_xor_b32_e32 v101, v101, v2
	s_waitcnt lgkmcnt(0)
	v_add_u32_e32 v2, v38, v23
	v_lshlrev_b64 v[2:3], 2, v[2:3]
	v_add_co_u32_e64 v2, s[38:39], s58, v2
	v_addc_co_u32_e64 v3, s[38:39], v99, v3, s[38:39]
	global_store_dword v[2:3], v101, off
	s_or_b64 exec, exec, s[40:41]
	v_cmp_lt_u32_e64 s[38:39], v25, v0
	s_and_saveexec_b64 s[42:43], s[38:39]
	s_cbranch_execnz .LBB1326_443
.LBB1326_450:                           ;   in Loop: Header=BB1326_400 Depth=2
	s_or_b64 exec, exec, s[42:43]
	v_cmp_lt_u32_e64 s[40:41], v27, v0
	s_and_saveexec_b64 s[44:45], s[40:41]
	s_cbranch_execz .LBB1326_444
.LBB1326_451:                           ;   in Loop: Header=BB1326_400 Depth=2
	ds_read_b32 v2, v58 offset:3072
	v_mov_b32_e32 v3, v20
	v_mov_b32_e32 v99, s59
	s_waitcnt lgkmcnt(0)
	v_cmp_ne_u32_e64 s[42:43], s76, v2
	v_cndmask_b32_e64 v38, v73, v2, s[42:43]
	v_lshrrev_b32_e32 v38, s77, v38
	v_and_b32_e32 v38, s86, v38
	v_lshlrev_b32_e32 v38, 2, v38
	ds_read_b32 v38, v38
	v_cmp_gt_i32_e64 s[42:43], 0, v2
	v_cndmask_b32_e64 v101, v73, 0, s[42:43]
	v_xor_b32_e32 v101, v101, v2
	s_waitcnt lgkmcnt(0)
	v_add_u32_e32 v2, v38, v27
	v_lshlrev_b64 v[2:3], 2, v[2:3]
	v_add_co_u32_e64 v2, s[42:43], s58, v2
	v_addc_co_u32_e64 v3, s[42:43], v99, v3, s[42:43]
	global_store_dword v[2:3], v101, off
	s_or_b64 exec, exec, s[44:45]
	v_cmp_lt_u32_e64 s[42:43], v22, v0
	s_and_saveexec_b64 s[46:47], s[42:43]
	s_cbranch_execnz .LBB1326_445
.LBB1326_452:                           ;   in Loop: Header=BB1326_400 Depth=2
	s_or_b64 exec, exec, s[46:47]
	v_cmp_lt_u32_e64 s[44:45], v24, v0
	s_and_saveexec_b64 s[48:49], s[44:45]
	s_cbranch_execz .LBB1326_446
.LBB1326_453:                           ;   in Loop: Header=BB1326_400 Depth=2
	ds_read_b32 v2, v58 offset:5120
	v_mov_b32_e32 v3, v20
	v_mov_b32_e32 v99, s59
	s_waitcnt lgkmcnt(0)
	v_cmp_ne_u32_e64 s[46:47], s76, v2
	v_cndmask_b32_e64 v38, v73, v2, s[46:47]
	v_lshrrev_b32_e32 v38, s77, v38
	v_and_b32_e32 v38, s86, v38
	v_lshlrev_b32_e32 v38, 2, v38
	ds_read_b32 v38, v38
	v_cmp_gt_i32_e64 s[46:47], 0, v2
	v_cndmask_b32_e64 v101, v73, 0, s[46:47]
	v_xor_b32_e32 v101, v101, v2
	s_waitcnt lgkmcnt(0)
	v_add_u32_e32 v2, v38, v24
	v_lshlrev_b64 v[2:3], 2, v[2:3]
	v_add_co_u32_e64 v2, s[46:47], s58, v2
	v_addc_co_u32_e64 v3, s[46:47], v99, v3, s[46:47]
	global_store_dword v[2:3], v101, off
	s_or_b64 exec, exec, s[48:49]
	v_cmp_lt_u32_e64 s[46:47], v26, v0
	s_and_saveexec_b64 s[52:53], s[46:47]
	s_cbranch_execnz .LBB1326_447
.LBB1326_454:                           ;   in Loop: Header=BB1326_400 Depth=2
	s_or_b64 exec, exec, s[52:53]
	v_cmp_lt_u32_e64 s[48:49], v28, v0
	s_and_saveexec_b64 s[62:63], s[48:49]
	s_cbranch_execz .LBB1326_456
.LBB1326_455:                           ;   in Loop: Header=BB1326_400 Depth=2
	ds_read_b32 v2, v58 offset:7168
	v_mov_b32_e32 v3, v20
	v_mov_b32_e32 v99, s59
	s_waitcnt lgkmcnt(0)
	v_cmp_ne_u32_e64 s[52:53], s76, v2
	v_cndmask_b32_e64 v38, v73, v2, s[52:53]
	v_lshrrev_b32_e32 v38, s77, v38
	v_and_b32_e32 v38, s86, v38
	v_lshlrev_b32_e32 v38, 2, v38
	ds_read_b32 v38, v38
	v_cmp_gt_i32_e64 s[52:53], 0, v2
	v_cndmask_b32_e64 v101, v73, 0, s[52:53]
	v_xor_b32_e32 v101, v101, v2
	s_waitcnt lgkmcnt(0)
	v_add_u32_e32 v2, v38, v28
	v_lshlrev_b64 v[2:3], 2, v[2:3]
	v_add_co_u32_e64 v2, s[52:53], s58, v2
	v_addc_co_u32_e64 v3, s[52:53], v99, v3, s[52:53]
	global_store_dword v[2:3], v101, off
.LBB1326_456:                           ;   in Loop: Header=BB1326_400 Depth=2
	s_or_b64 exec, exec, s[62:63]
	s_lshl_b64 s[52:53], s[80:81], 3
	v_mov_b32_e32 v3, s53
	v_add_co_u32_e64 v2, s[52:53], s52, v83
	v_addc_co_u32_e64 v3, s[52:53], v85, v3, s[52:53]
	v_cmp_lt_u32_e64 s[52:53], v80, v0
	s_and_saveexec_b64 s[62:63], s[52:53]
	s_xor_b64 s[52:53], exec, s[62:63]
	s_cbranch_execz .LBB1326_472
; %bb.457:                              ;   in Loop: Header=BB1326_400 Depth=2
	global_load_dwordx2 v[36:37], v[2:3], off
	s_or_b64 exec, exec, s[52:53]
	v_cmp_lt_u32_e64 s[52:53], v87, v0
	s_and_saveexec_b64 s[62:63], s[52:53]
	s_cbranch_execnz .LBB1326_473
.LBB1326_458:                           ;   in Loop: Header=BB1326_400 Depth=2
	s_or_b64 exec, exec, s[62:63]
	v_cmp_lt_u32_e64 s[52:53], v88, v0
	s_and_saveexec_b64 s[62:63], s[52:53]
	s_cbranch_execz .LBB1326_474
.LBB1326_459:                           ;   in Loop: Header=BB1326_400 Depth=2
	global_load_dwordx2 v[32:33], v[2:3], off offset:1024
	s_or_b64 exec, exec, s[62:63]
	v_cmp_lt_u32_e64 s[52:53], v89, v0
	s_and_saveexec_b64 s[62:63], s[52:53]
	s_cbranch_execnz .LBB1326_475
.LBB1326_460:                           ;   in Loop: Header=BB1326_400 Depth=2
	s_or_b64 exec, exec, s[62:63]
	v_cmp_lt_u32_e64 s[52:53], v90, v0
	s_and_saveexec_b64 s[62:63], s[52:53]
	s_cbranch_execz .LBB1326_476
.LBB1326_461:                           ;   in Loop: Header=BB1326_400 Depth=2
	global_load_dwordx2 v[16:17], v[2:3], off offset:2048
	s_or_b64 exec, exec, s[62:63]
	v_cmp_lt_u32_e64 s[52:53], v91, v0
	s_and_saveexec_b64 s[62:63], s[52:53]
	s_cbranch_execnz .LBB1326_477
.LBB1326_462:                           ;   in Loop: Header=BB1326_400 Depth=2
	s_or_b64 exec, exec, s[62:63]
	v_cmp_lt_u32_e64 s[52:53], v92, v0
	s_and_saveexec_b64 s[62:63], s[52:53]
	s_cbranch_execz .LBB1326_478
.LBB1326_463:                           ;   in Loop: Header=BB1326_400 Depth=2
	global_load_dwordx2 v[12:13], v[2:3], off offset:3072
	s_or_b64 exec, exec, s[62:63]
	v_cmp_lt_u32_e64 s[52:53], v93, v0
	s_and_saveexec_b64 s[62:63], s[52:53]
	s_cbranch_execnz .LBB1326_479
.LBB1326_464:                           ;   in Loop: Header=BB1326_400 Depth=2
	s_or_b64 exec, exec, s[62:63]
	s_and_saveexec_b64 s[62:63], vcc
	s_cbranch_execz .LBB1326_480
.LBB1326_465:                           ;   in Loop: Header=BB1326_400 Depth=2
	ds_read_b32 v0, v53 offset:1024
	s_waitcnt lgkmcnt(0)
	v_cmp_ne_u32_e64 s[52:53], s76, v0
	v_cndmask_b32_e64 v0, v73, v0, s[52:53]
	v_lshrrev_b32_e32 v0, s77, v0
	v_and_b32_e32 v86, s86, v0
	s_or_b64 exec, exec, s[62:63]
	s_and_saveexec_b64 s[62:63], s[36:37]
	s_cbranch_execnz .LBB1326_481
.LBB1326_466:                           ;   in Loop: Header=BB1326_400 Depth=2
	s_or_b64 exec, exec, s[62:63]
	s_and_saveexec_b64 s[62:63], s[38:39]
	s_cbranch_execz .LBB1326_482
.LBB1326_467:                           ;   in Loop: Header=BB1326_400 Depth=2
	ds_read_b32 v0, v58 offset:2048
	s_waitcnt lgkmcnt(0)
	v_cmp_ne_u32_e64 s[52:53], s76, v0
	v_cndmask_b32_e64 v0, v73, v0, s[52:53]
	v_lshrrev_b32_e32 v0, s77, v0
	v_and_b32_e32 v82, s86, v0
	s_or_b64 exec, exec, s[62:63]
	s_and_saveexec_b64 s[62:63], s[40:41]
	s_cbranch_execnz .LBB1326_483
.LBB1326_468:                           ;   in Loop: Header=BB1326_400 Depth=2
	s_or_b64 exec, exec, s[62:63]
	s_and_saveexec_b64 s[62:63], s[42:43]
	s_cbranch_execz .LBB1326_484
.LBB1326_469:                           ;   in Loop: Header=BB1326_400 Depth=2
	ds_read_b32 v0, v58 offset:4096
	s_waitcnt lgkmcnt(0)
	v_cmp_ne_u32_e64 s[52:53], s76, v0
	v_cndmask_b32_e64 v0, v73, v0, s[52:53]
	v_lshrrev_b32_e32 v0, s77, v0
	v_and_b32_e32 v79, s86, v0
	s_or_b64 exec, exec, s[62:63]
	s_and_saveexec_b64 s[62:63], s[44:45]
	s_cbranch_execnz .LBB1326_485
.LBB1326_470:                           ;   in Loop: Header=BB1326_400 Depth=2
	s_or_b64 exec, exec, s[62:63]
	s_and_saveexec_b64 s[62:63], s[46:47]
	s_cbranch_execz .LBB1326_486
.LBB1326_471:                           ;   in Loop: Header=BB1326_400 Depth=2
	ds_read_b32 v0, v58 offset:6144
	s_waitcnt lgkmcnt(0)
	v_cmp_ne_u32_e64 s[52:53], s76, v0
	v_cndmask_b32_e64 v0, v73, v0, s[52:53]
	v_lshrrev_b32_e32 v0, s77, v0
	v_and_b32_e32 v77, s86, v0
	s_or_b64 exec, exec, s[62:63]
	s_and_saveexec_b64 s[62:63], s[48:49]
	s_cbranch_execnz .LBB1326_487
	s_branch .LBB1326_488
.LBB1326_472:                           ;   in Loop: Header=BB1326_400 Depth=2
	s_or_b64 exec, exec, s[52:53]
	v_cmp_lt_u32_e64 s[52:53], v87, v0
	s_and_saveexec_b64 s[62:63], s[52:53]
	s_cbranch_execz .LBB1326_458
.LBB1326_473:                           ;   in Loop: Header=BB1326_400 Depth=2
	global_load_dwordx2 v[34:35], v[2:3], off offset:512
	s_or_b64 exec, exec, s[62:63]
	v_cmp_lt_u32_e64 s[52:53], v88, v0
	s_and_saveexec_b64 s[62:63], s[52:53]
	s_cbranch_execnz .LBB1326_459
.LBB1326_474:                           ;   in Loop: Header=BB1326_400 Depth=2
	s_or_b64 exec, exec, s[62:63]
	v_cmp_lt_u32_e64 s[52:53], v89, v0
	s_and_saveexec_b64 s[62:63], s[52:53]
	s_cbranch_execz .LBB1326_460
.LBB1326_475:                           ;   in Loop: Header=BB1326_400 Depth=2
	global_load_dwordx2 v[30:31], v[2:3], off offset:1536
	s_or_b64 exec, exec, s[62:63]
	v_cmp_lt_u32_e64 s[52:53], v90, v0
	s_and_saveexec_b64 s[62:63], s[52:53]
	s_cbranch_execnz .LBB1326_461
.LBB1326_476:                           ;   in Loop: Header=BB1326_400 Depth=2
	s_or_b64 exec, exec, s[62:63]
	v_cmp_lt_u32_e64 s[52:53], v91, v0
	s_and_saveexec_b64 s[62:63], s[52:53]
	s_cbranch_execz .LBB1326_462
.LBB1326_477:                           ;   in Loop: Header=BB1326_400 Depth=2
	global_load_dwordx2 v[14:15], v[2:3], off offset:2560
	s_or_b64 exec, exec, s[62:63]
	v_cmp_lt_u32_e64 s[52:53], v92, v0
	s_and_saveexec_b64 s[62:63], s[52:53]
	s_cbranch_execnz .LBB1326_463
.LBB1326_478:                           ;   in Loop: Header=BB1326_400 Depth=2
	s_or_b64 exec, exec, s[62:63]
	v_cmp_lt_u32_e64 s[52:53], v93, v0
	s_and_saveexec_b64 s[62:63], s[52:53]
	s_cbranch_execz .LBB1326_464
.LBB1326_479:                           ;   in Loop: Header=BB1326_400 Depth=2
	global_load_dwordx2 v[10:11], v[2:3], off offset:3584
	s_or_b64 exec, exec, s[62:63]
	s_and_saveexec_b64 s[62:63], vcc
	s_cbranch_execnz .LBB1326_465
.LBB1326_480:                           ;   in Loop: Header=BB1326_400 Depth=2
	s_or_b64 exec, exec, s[62:63]
	s_and_saveexec_b64 s[62:63], s[36:37]
	s_cbranch_execz .LBB1326_466
.LBB1326_481:                           ;   in Loop: Header=BB1326_400 Depth=2
	ds_read_b32 v0, v58 offset:1024
	s_waitcnt lgkmcnt(0)
	v_cmp_ne_u32_e64 s[52:53], s76, v0
	v_cndmask_b32_e64 v0, v73, v0, s[52:53]
	v_lshrrev_b32_e32 v0, s77, v0
	v_and_b32_e32 v84, s86, v0
	s_or_b64 exec, exec, s[62:63]
	s_and_saveexec_b64 s[62:63], s[38:39]
	s_cbranch_execnz .LBB1326_467
.LBB1326_482:                           ;   in Loop: Header=BB1326_400 Depth=2
	s_or_b64 exec, exec, s[62:63]
	s_and_saveexec_b64 s[62:63], s[40:41]
	s_cbranch_execz .LBB1326_468
.LBB1326_483:                           ;   in Loop: Header=BB1326_400 Depth=2
	ds_read_b32 v0, v58 offset:3072
	s_waitcnt lgkmcnt(0)
	v_cmp_ne_u32_e64 s[52:53], s76, v0
	v_cndmask_b32_e64 v0, v73, v0, s[52:53]
	v_lshrrev_b32_e32 v0, s77, v0
	v_and_b32_e32 v81, s86, v0
	s_or_b64 exec, exec, s[62:63]
	s_and_saveexec_b64 s[62:63], s[42:43]
	s_cbranch_execnz .LBB1326_469
.LBB1326_484:                           ;   in Loop: Header=BB1326_400 Depth=2
	s_or_b64 exec, exec, s[62:63]
	s_and_saveexec_b64 s[62:63], s[44:45]
	s_cbranch_execz .LBB1326_470
.LBB1326_485:                           ;   in Loop: Header=BB1326_400 Depth=2
	ds_read_b32 v0, v58 offset:5120
	s_waitcnt lgkmcnt(0)
	v_cmp_ne_u32_e64 s[52:53], s76, v0
	v_cndmask_b32_e64 v0, v73, v0, s[52:53]
	v_lshrrev_b32_e32 v0, s77, v0
	v_and_b32_e32 v78, s86, v0
	s_or_b64 exec, exec, s[62:63]
	s_and_saveexec_b64 s[62:63], s[46:47]
	s_cbranch_execnz .LBB1326_471
.LBB1326_486:                           ;   in Loop: Header=BB1326_400 Depth=2
	s_or_b64 exec, exec, s[62:63]
	s_and_saveexec_b64 s[62:63], s[48:49]
	s_cbranch_execz .LBB1326_488
.LBB1326_487:                           ;   in Loop: Header=BB1326_400 Depth=2
	ds_read_b32 v0, v58 offset:7168
	s_waitcnt lgkmcnt(0)
	v_cmp_ne_u32_e64 s[52:53], s76, v0
	v_cndmask_b32_e64 v0, v73, v0, s[52:53]
	v_lshrrev_b32_e32 v0, s77, v0
	v_and_b32_e32 v76, s86, v0
.LBB1326_488:                           ;   in Loop: Header=BB1326_400 Depth=2
	s_or_b64 exec, exec, s[62:63]
	v_lshlrev_b32_e32 v0, 3, v100
	s_barrier
	s_waitcnt vmcnt(0)
	ds_write_b64 v0, v[36:37] offset:1024
	v_lshlrev_b32_e32 v0, 3, v39
	ds_write_b64 v0, v[34:35] offset:1024
	v_lshlrev_b32_e32 v0, 3, v21
	;; [unrolled: 2-line block ×7, first 2 shown]
	ds_write_b64 v0, v[10:11] offset:1024
	s_waitcnt lgkmcnt(0)
	s_barrier
	s_and_saveexec_b64 s[52:53], vcc
	s_cbranch_execz .LBB1326_496
; %bb.489:                              ;   in Loop: Header=BB1326_400 Depth=2
	v_lshlrev_b32_e32 v0, 2, v86
	ds_read_b32 v0, v0
	v_add_u32_e32 v2, v53, v19
	ds_read_b64 v[2:3], v2 offset:1024
	v_mov_b32_e32 v7, v20
	v_mov_b32_e32 v5, s73
	s_waitcnt lgkmcnt(1)
	v_add_u32_e32 v6, v0, v18
	v_lshlrev_b64 v[6:7], 3, v[6:7]
	v_add_co_u32_e32 v6, vcc, s72, v6
	v_addc_co_u32_e32 v7, vcc, v5, v7, vcc
	s_waitcnt lgkmcnt(0)
	global_store_dwordx2 v[6:7], v[2:3], off
	s_or_b64 exec, exec, s[52:53]
	s_and_saveexec_b64 s[52:53], s[36:37]
	s_cbranch_execnz .LBB1326_497
.LBB1326_490:                           ;   in Loop: Header=BB1326_400 Depth=2
	s_or_b64 exec, exec, s[52:53]
	s_and_saveexec_b64 s[36:37], s[38:39]
	s_cbranch_execz .LBB1326_498
.LBB1326_491:                           ;   in Loop: Header=BB1326_400 Depth=2
	v_lshlrev_b32_e32 v0, 2, v82
	ds_read_b32 v0, v0
	v_add_u32_e32 v2, v58, v19
	ds_read_b64 v[2:3], v2 offset:4096
	v_mov_b32_e32 v7, v20
	v_mov_b32_e32 v5, s73
	s_waitcnt lgkmcnt(1)
	v_add_u32_e32 v6, v0, v25
	v_lshlrev_b64 v[6:7], 3, v[6:7]
	v_add_co_u32_e32 v6, vcc, s72, v6
	v_addc_co_u32_e32 v7, vcc, v5, v7, vcc
	s_waitcnt lgkmcnt(0)
	global_store_dwordx2 v[6:7], v[2:3], off
	s_or_b64 exec, exec, s[36:37]
	s_and_saveexec_b64 s[36:37], s[40:41]
	s_cbranch_execnz .LBB1326_499
.LBB1326_492:                           ;   in Loop: Header=BB1326_400 Depth=2
	s_or_b64 exec, exec, s[36:37]
	s_and_saveexec_b64 s[36:37], s[42:43]
	s_cbranch_execz .LBB1326_500
.LBB1326_493:                           ;   in Loop: Header=BB1326_400 Depth=2
	v_lshlrev_b32_e32 v0, 2, v79
	ds_read_b32 v0, v0
	v_add_u32_e32 v2, v58, v19
	ds_read_b64 v[2:3], v2 offset:8192
	v_mov_b32_e32 v7, v20
	v_mov_b32_e32 v5, s73
	s_waitcnt lgkmcnt(1)
	v_add_u32_e32 v6, v0, v22
	v_lshlrev_b64 v[6:7], 3, v[6:7]
	v_add_co_u32_e32 v6, vcc, s72, v6
	v_addc_co_u32_e32 v7, vcc, v5, v7, vcc
	s_waitcnt lgkmcnt(0)
	global_store_dwordx2 v[6:7], v[2:3], off
	s_or_b64 exec, exec, s[36:37]
	s_and_saveexec_b64 s[36:37], s[44:45]
	s_cbranch_execnz .LBB1326_501
.LBB1326_494:                           ;   in Loop: Header=BB1326_400 Depth=2
	s_or_b64 exec, exec, s[36:37]
	s_and_saveexec_b64 s[36:37], s[46:47]
	s_cbranch_execz .LBB1326_502
.LBB1326_495:                           ;   in Loop: Header=BB1326_400 Depth=2
	v_lshlrev_b32_e32 v0, 2, v77
	ds_read_b32 v0, v0
	v_add_u32_e32 v2, v58, v19
	ds_read_b64 v[2:3], v2 offset:12288
	v_mov_b32_e32 v7, v20
	v_mov_b32_e32 v5, s73
	s_waitcnt lgkmcnt(1)
	v_add_u32_e32 v6, v0, v26
	v_lshlrev_b64 v[6:7], 3, v[6:7]
	v_add_co_u32_e32 v6, vcc, s72, v6
	v_addc_co_u32_e32 v7, vcc, v5, v7, vcc
	s_waitcnt lgkmcnt(0)
	global_store_dwordx2 v[6:7], v[2:3], off
	s_or_b64 exec, exec, s[36:37]
	s_and_saveexec_b64 s[36:37], s[48:49]
	s_cbranch_execnz .LBB1326_503
	s_branch .LBB1326_504
.LBB1326_496:                           ;   in Loop: Header=BB1326_400 Depth=2
	s_or_b64 exec, exec, s[52:53]
	s_and_saveexec_b64 s[52:53], s[36:37]
	s_cbranch_execz .LBB1326_490
.LBB1326_497:                           ;   in Loop: Header=BB1326_400 Depth=2
	v_lshlrev_b32_e32 v0, 2, v84
	ds_read_b32 v0, v0
	v_add_u32_e32 v2, v58, v19
	ds_read_b64 v[2:3], v2 offset:2048
	v_mov_b32_e32 v7, v20
	v_mov_b32_e32 v5, s73
	s_waitcnt lgkmcnt(1)
	v_add_u32_e32 v6, v0, v23
	v_lshlrev_b64 v[6:7], 3, v[6:7]
	v_add_co_u32_e32 v6, vcc, s72, v6
	v_addc_co_u32_e32 v7, vcc, v5, v7, vcc
	s_waitcnt lgkmcnt(0)
	global_store_dwordx2 v[6:7], v[2:3], off
	s_or_b64 exec, exec, s[52:53]
	s_and_saveexec_b64 s[36:37], s[38:39]
	s_cbranch_execnz .LBB1326_491
.LBB1326_498:                           ;   in Loop: Header=BB1326_400 Depth=2
	s_or_b64 exec, exec, s[36:37]
	s_and_saveexec_b64 s[36:37], s[40:41]
	s_cbranch_execz .LBB1326_492
.LBB1326_499:                           ;   in Loop: Header=BB1326_400 Depth=2
	v_lshlrev_b32_e32 v0, 2, v81
	ds_read_b32 v0, v0
	v_add_u32_e32 v2, v58, v19
	ds_read_b64 v[2:3], v2 offset:6144
	v_mov_b32_e32 v7, v20
	v_mov_b32_e32 v5, s73
	s_waitcnt lgkmcnt(1)
	v_add_u32_e32 v6, v0, v27
	v_lshlrev_b64 v[6:7], 3, v[6:7]
	v_add_co_u32_e32 v6, vcc, s72, v6
	v_addc_co_u32_e32 v7, vcc, v5, v7, vcc
	s_waitcnt lgkmcnt(0)
	global_store_dwordx2 v[6:7], v[2:3], off
	s_or_b64 exec, exec, s[36:37]
	s_and_saveexec_b64 s[36:37], s[42:43]
	s_cbranch_execnz .LBB1326_493
.LBB1326_500:                           ;   in Loop: Header=BB1326_400 Depth=2
	s_or_b64 exec, exec, s[36:37]
	s_and_saveexec_b64 s[36:37], s[44:45]
	s_cbranch_execz .LBB1326_494
.LBB1326_501:                           ;   in Loop: Header=BB1326_400 Depth=2
	v_lshlrev_b32_e32 v0, 2, v78
	ds_read_b32 v0, v0
	v_add_u32_e32 v2, v58, v19
	ds_read_b64 v[2:3], v2 offset:10240
	v_mov_b32_e32 v7, v20
	v_mov_b32_e32 v5, s73
	s_waitcnt lgkmcnt(1)
	v_add_u32_e32 v6, v0, v24
	v_lshlrev_b64 v[6:7], 3, v[6:7]
	v_add_co_u32_e32 v6, vcc, s72, v6
	v_addc_co_u32_e32 v7, vcc, v5, v7, vcc
	s_waitcnt lgkmcnt(0)
	global_store_dwordx2 v[6:7], v[2:3], off
	s_or_b64 exec, exec, s[36:37]
	s_and_saveexec_b64 s[36:37], s[46:47]
	s_cbranch_execnz .LBB1326_495
.LBB1326_502:                           ;   in Loop: Header=BB1326_400 Depth=2
	s_or_b64 exec, exec, s[36:37]
	s_and_saveexec_b64 s[36:37], s[48:49]
	s_cbranch_execz .LBB1326_504
.LBB1326_503:                           ;   in Loop: Header=BB1326_400 Depth=2
	v_lshlrev_b32_e32 v0, 2, v76
	ds_read_b32 v0, v0
	v_add_u32_e32 v2, v58, v19
	ds_read_b64 v[2:3], v2 offset:14336
	v_mov_b32_e32 v7, v20
	v_mov_b32_e32 v5, s73
	s_waitcnt lgkmcnt(1)
	v_add_u32_e32 v6, v0, v28
	v_lshlrev_b64 v[6:7], 3, v[6:7]
	v_add_co_u32_e32 v6, vcc, s72, v6
	v_addc_co_u32_e32 v7, vcc, v5, v7, vcc
	s_waitcnt lgkmcnt(0)
	global_store_dwordx2 v[6:7], v[2:3], off
.LBB1326_504:                           ;   in Loop: Header=BB1326_400 Depth=2
	s_or_b64 exec, exec, s[36:37]
	s_barrier
	s_and_saveexec_b64 s[36:37], s[4:5]
	s_cbranch_execz .LBB1326_399
; %bb.505:                              ;   in Loop: Header=BB1326_400 Depth=2
	ds_read_b32 v0, v19
	s_waitcnt lgkmcnt(0)
	v_add_u32_e32 v0, v0, v4
	ds_write_b32 v19, v0
	s_branch .LBB1326_399
.LBB1326_506:                           ;   in Loop: Header=BB1326_400 Depth=2
	s_or_b64 exec, exec, s[36:37]
	v_cmp_gt_u32_e32 vcc, s87, v87
	s_and_saveexec_b64 s[36:37], vcc
	s_cbranch_execz .LBB1326_405
.LBB1326_507:                           ;   in Loop: Header=BB1326_400 Depth=2
	global_load_dword v3, v[38:39], off offset:256
	s_or_b64 exec, exec, s[36:37]
	v_cmp_gt_u32_e32 vcc, s87, v88
	s_and_saveexec_b64 s[36:37], vcc
	s_cbranch_execnz .LBB1326_406
.LBB1326_508:                           ;   in Loop: Header=BB1326_400 Depth=2
	s_or_b64 exec, exec, s[36:37]
	v_cmp_gt_u32_e32 vcc, s87, v89
	s_and_saveexec_b64 s[36:37], vcc
	s_cbranch_execz .LBB1326_407
.LBB1326_509:                           ;   in Loop: Header=BB1326_400 Depth=2
	global_load_dword v5, v[38:39], off offset:768
	s_or_b64 exec, exec, s[36:37]
	v_cmp_gt_u32_e32 vcc, s87, v90
	s_and_saveexec_b64 s[36:37], vcc
	s_cbranch_execnz .LBB1326_408
.LBB1326_510:                           ;   in Loop: Header=BB1326_400 Depth=2
	s_or_b64 exec, exec, s[36:37]
	v_cmp_gt_u32_e32 vcc, s87, v91
	s_and_saveexec_b64 s[36:37], vcc
	s_cbranch_execz .LBB1326_409
.LBB1326_511:                           ;   in Loop: Header=BB1326_400 Depth=2
	global_load_dword v7, v[38:39], off offset:1280
	s_or_b64 exec, exec, s[36:37]
	v_cmp_gt_u32_e32 vcc, s87, v92
	s_and_saveexec_b64 s[36:37], vcc
	s_cbranch_execnz .LBB1326_410
	s_branch .LBB1326_411
.LBB1326_512:                           ;   in Loop: Header=BB1326_12 Depth=1
	s_waitcnt lgkmcnt(0)
	s_barrier
	s_mov_b64 s[16:17], 0
.LBB1326_513:                           ;   in Loop: Header=BB1326_12 Depth=1
	s_and_b64 vcc, exec, s[16:17]
	s_cbranch_vccz .LBB1326_11
; %bb.514:                              ;   in Loop: Header=BB1326_12 Depth=1
	s_mov_b32 s22, s79
	s_mov_b32 s80, s51
	s_barrier
	s_waitcnt lgkmcnt(0)
                                        ; implicit-def: $vgpr2_vgpr3_vgpr4_vgpr5_vgpr6_vgpr7_vgpr8_vgpr9
	s_branch .LBB1326_516
.LBB1326_515:                           ;   in Loop: Header=BB1326_516 Depth=2
	s_or_b64 exec, exec, s[16:17]
	s_addk_i32 s22, 0xf800
	s_cmp_ge_u32 s23, s84
	s_mov_b32 s80, s23
	s_cbranch_scc1 .LBB1326_554
.LBB1326_516:                           ;   Parent Loop BB1326_12 Depth=1
                                        ; =>  This Inner Loop Header: Depth=2
	s_add_i32 s23, s80, 0x800
	s_cmp_gt_u32 s23, s84
	s_cbranch_scc1 .LBB1326_519
; %bb.517:                              ;   in Loop: Header=BB1326_516 Depth=2
	s_lshl_b64 s[16:17], s[80:81], 2
	v_mov_b32_e32 v0, s17
	v_add_co_u32_e32 v30, vcc, s16, v65
	v_addc_co_u32_e32 v31, vcc, v66, v0, vcc
	v_add_co_u32_e32 v32, vcc, 0x1000, v30
	v_addc_co_u32_e32 v33, vcc, 0, v31, vcc
	global_load_dword v10, v[30:31], off
	global_load_dword v11, v[30:31], off offset:1024
	global_load_dword v12, v[30:31], off offset:2048
	;; [unrolled: 1-line block ×3, first 2 shown]
	global_load_dword v14, v[32:33], off
	global_load_dword v15, v[32:33], off offset:1024
	global_load_dword v16, v[32:33], off offset:2048
	v_add_co_u32_e32 v30, vcc, 0x1c00, v30
	v_addc_co_u32_e32 v31, vcc, 0, v31, vcc
	s_mov_b64 s[16:17], -1
	s_movk_i32 s24, 0x800
	s_cbranch_execz .LBB1326_520
; %bb.518:                              ;   in Loop: Header=BB1326_516 Depth=2
                                        ; implicit-def: $vgpr2_vgpr3_vgpr4_vgpr5_vgpr6_vgpr7_vgpr8_vgpr9
	v_mov_b32_e32 v0, s22
	s_and_saveexec_b64 s[18:19], s[16:17]
	s_cbranch_execnz .LBB1326_531
	s_branch .LBB1326_532
.LBB1326_519:                           ;   in Loop: Header=BB1326_516 Depth=2
	s_mov_b64 s[16:17], 0
                                        ; implicit-def: $sgpr24
                                        ; implicit-def: $vgpr10_vgpr11_vgpr12_vgpr13_vgpr14_vgpr15_vgpr16_vgpr17
                                        ; implicit-def: $vgpr30_vgpr31
.LBB1326_520:                           ;   in Loop: Header=BB1326_516 Depth=2
	s_lshl_b64 s[18:19], s[80:81], 2
	s_add_u32 s18, s56, s18
	s_addc_u32 s19, s57, s19
	v_cmp_gt_u32_e32 vcc, s22, v18
	s_and_saveexec_b64 s[20:21], vcc
	s_cbranch_execz .LBB1326_548
; %bb.521:                              ;   in Loop: Header=BB1326_516 Depth=2
	global_load_dword v2, v72, s[18:19]
	s_or_b64 exec, exec, s[20:21]
	v_cmp_gt_u32_e32 vcc, s22, v23
	s_and_saveexec_b64 s[20:21], vcc
	s_cbranch_execnz .LBB1326_549
.LBB1326_522:                           ;   in Loop: Header=BB1326_516 Depth=2
	s_or_b64 exec, exec, s[20:21]
	v_cmp_gt_u32_e32 vcc, s22, v25
	s_and_saveexec_b64 s[20:21], vcc
	s_cbranch_execz .LBB1326_550
.LBB1326_523:                           ;   in Loop: Header=BB1326_516 Depth=2
	global_load_dword v4, v72, s[18:19] offset:2048
	s_or_b64 exec, exec, s[20:21]
	v_cmp_gt_u32_e32 vcc, s22, v27
	s_and_saveexec_b64 s[20:21], vcc
	s_cbranch_execnz .LBB1326_551
.LBB1326_524:                           ;   in Loop: Header=BB1326_516 Depth=2
	s_or_b64 exec, exec, s[20:21]
	v_cmp_gt_u32_e32 vcc, s22, v22
	s_and_saveexec_b64 s[20:21], vcc
	s_cbranch_execz .LBB1326_552
.LBB1326_525:                           ;   in Loop: Header=BB1326_516 Depth=2
	v_lshlrev_b32_e32 v0, 2, v22
	global_load_dword v6, v0, s[18:19]
	s_or_b64 exec, exec, s[20:21]
	v_cmp_gt_u32_e32 vcc, s22, v24
	s_and_saveexec_b64 s[20:21], vcc
	s_cbranch_execnz .LBB1326_553
.LBB1326_526:                           ;   in Loop: Header=BB1326_516 Depth=2
	s_or_b64 exec, exec, s[20:21]
	v_cmp_gt_u32_e32 vcc, s22, v26
	s_and_saveexec_b64 s[20:21], vcc
	s_cbranch_execz .LBB1326_528
.LBB1326_527:                           ;   in Loop: Header=BB1326_516 Depth=2
	v_lshlrev_b32_e32 v0, 2, v26
	global_load_dword v8, v0, s[18:19]
.LBB1326_528:                           ;   in Loop: Header=BB1326_516 Depth=2
	s_or_b64 exec, exec, s[20:21]
	v_cmp_gt_u32_e32 vcc, s22, v28
                                        ; implicit-def: $sgpr24
                                        ; implicit-def: $vgpr30_vgpr31
	s_and_saveexec_b64 s[20:21], vcc
	s_cbranch_execz .LBB1326_530
; %bb.529:                              ;   in Loop: Header=BB1326_516 Depth=2
	v_lshlrev_b32_e32 v0, 2, v28
	s_waitcnt vmcnt(6)
	v_mov_b32_e32 v10, s19
	v_add_co_u32_e32 v30, vcc, s18, v0
	s_sub_i32 s24, s84, s80
	v_addc_co_u32_e32 v31, vcc, 0, v10, vcc
	s_or_b64 s[16:17], s[16:17], exec
.LBB1326_530:                           ;   in Loop: Header=BB1326_516 Depth=2
	s_or_b64 exec, exec, s[20:21]
	s_waitcnt vmcnt(0)
	v_pk_mov_b32 v[16:17], v[8:9], v[8:9] op_sel:[0,1]
	v_pk_mov_b32 v[14:15], v[6:7], v[6:7] op_sel:[0,1]
	;; [unrolled: 1-line block ×4, first 2 shown]
	v_mov_b32_e32 v0, s22
	s_and_saveexec_b64 s[18:19], s[16:17]
	s_cbranch_execz .LBB1326_532
.LBB1326_531:                           ;   in Loop: Header=BB1326_516 Depth=2
	global_load_dword v17, v[30:31], off
	s_waitcnt vmcnt(0)
	v_pk_mov_b32 v[2:3], v[10:11], v[10:11] op_sel:[0,1]
	v_mov_b32_e32 v0, s24
	v_pk_mov_b32 v[4:5], v[12:13], v[12:13] op_sel:[0,1]
	v_pk_mov_b32 v[6:7], v[14:15], v[14:15] op_sel:[0,1]
	;; [unrolled: 1-line block ×3, first 2 shown]
.LBB1326_532:                           ;   in Loop: Header=BB1326_516 Depth=2
	s_or_b64 exec, exec, s[18:19]
	v_cmp_lt_u32_e32 vcc, v18, v0
	s_waitcnt vmcnt(6)
	v_lshlrev_b32_e32 v10, 2, v29
	s_and_saveexec_b64 s[16:17], vcc
	s_cbranch_execz .LBB1326_540
; %bb.533:                              ;   in Loop: Header=BB1326_516 Depth=2
	v_cmp_gt_i32_e32 vcc, 0, v2
	s_waitcnt vmcnt(5)
	v_cndmask_b32_e64 v11, v73, 0, vcc
	v_xor_b32_e32 v11, v11, v2
	v_cmp_ne_u32_e32 vcc, s76, v11
	v_cndmask_b32_e32 v11, v73, v11, vcc
	v_lshrrev_b32_e32 v11, s77, v11
	v_and_b32_e32 v11, s86, v11
	v_lshl_or_b32 v11, v11, 4, v10
	ds_add_u32 v11, v71
	s_or_b64 exec, exec, s[16:17]
	v_cmp_lt_u32_e32 vcc, v23, v0
	s_and_saveexec_b64 s[16:17], vcc
	s_cbranch_execnz .LBB1326_541
.LBB1326_534:                           ;   in Loop: Header=BB1326_516 Depth=2
	s_or_b64 exec, exec, s[16:17]
	v_cmp_lt_u32_e32 vcc, v25, v0
	s_and_saveexec_b64 s[16:17], vcc
	s_cbranch_execz .LBB1326_542
.LBB1326_535:                           ;   in Loop: Header=BB1326_516 Depth=2
	v_cmp_gt_i32_e32 vcc, 0, v4
	s_waitcnt vmcnt(5)
	v_cndmask_b32_e64 v11, v73, 0, vcc
	v_xor_b32_e32 v11, v11, v4
	v_cmp_ne_u32_e32 vcc, s76, v11
	v_cndmask_b32_e32 v11, v73, v11, vcc
	v_lshrrev_b32_e32 v11, s77, v11
	v_and_b32_e32 v11, s86, v11
	v_lshl_or_b32 v11, v11, 4, v10
	ds_add_u32 v11, v71
	s_or_b64 exec, exec, s[16:17]
	v_cmp_lt_u32_e32 vcc, v27, v0
	s_and_saveexec_b64 s[16:17], vcc
	s_cbranch_execnz .LBB1326_543
.LBB1326_536:                           ;   in Loop: Header=BB1326_516 Depth=2
	s_or_b64 exec, exec, s[16:17]
	v_cmp_lt_u32_e32 vcc, v22, v0
	s_and_saveexec_b64 s[16:17], vcc
	s_cbranch_execz .LBB1326_544
.LBB1326_537:                           ;   in Loop: Header=BB1326_516 Depth=2
	v_cmp_gt_i32_e32 vcc, 0, v6
	s_waitcnt vmcnt(5)
	v_cndmask_b32_e64 v11, v73, 0, vcc
	v_xor_b32_e32 v11, v11, v6
	v_cmp_ne_u32_e32 vcc, s76, v11
	v_cndmask_b32_e32 v11, v73, v11, vcc
	v_lshrrev_b32_e32 v11, s77, v11
	v_and_b32_e32 v11, s86, v11
	v_lshl_or_b32 v11, v11, 4, v10
	ds_add_u32 v11, v71
	s_or_b64 exec, exec, s[16:17]
	v_cmp_lt_u32_e32 vcc, v24, v0
	s_and_saveexec_b64 s[16:17], vcc
	s_cbranch_execnz .LBB1326_545
.LBB1326_538:                           ;   in Loop: Header=BB1326_516 Depth=2
	s_or_b64 exec, exec, s[16:17]
	v_cmp_lt_u32_e32 vcc, v26, v0
	s_and_saveexec_b64 s[16:17], vcc
	s_cbranch_execz .LBB1326_546
.LBB1326_539:                           ;   in Loop: Header=BB1326_516 Depth=2
	v_cmp_gt_i32_e32 vcc, 0, v8
	s_waitcnt vmcnt(5)
	v_cndmask_b32_e64 v11, v73, 0, vcc
	v_xor_b32_e32 v11, v11, v8
	v_cmp_ne_u32_e32 vcc, s76, v11
	v_cndmask_b32_e32 v11, v73, v11, vcc
	v_lshrrev_b32_e32 v11, s77, v11
	v_and_b32_e32 v11, s86, v11
	v_lshl_or_b32 v11, v11, 4, v10
	ds_add_u32 v11, v71
	s_or_b64 exec, exec, s[16:17]
	v_cmp_lt_u32_e32 vcc, v28, v0
	s_and_saveexec_b64 s[16:17], vcc
	s_cbranch_execz .LBB1326_515
	s_branch .LBB1326_547
.LBB1326_540:                           ;   in Loop: Header=BB1326_516 Depth=2
	s_or_b64 exec, exec, s[16:17]
	v_cmp_lt_u32_e32 vcc, v23, v0
	s_and_saveexec_b64 s[16:17], vcc
	s_cbranch_execz .LBB1326_534
.LBB1326_541:                           ;   in Loop: Header=BB1326_516 Depth=2
	v_cmp_gt_i32_e32 vcc, 0, v3
	s_waitcnt vmcnt(5)
	v_cndmask_b32_e64 v11, v73, 0, vcc
	v_xor_b32_e32 v11, v11, v3
	v_cmp_ne_u32_e32 vcc, s76, v11
	v_cndmask_b32_e32 v11, v73, v11, vcc
	v_lshrrev_b32_e32 v11, s77, v11
	v_and_b32_e32 v11, s86, v11
	v_lshl_or_b32 v11, v11, 4, v10
	ds_add_u32 v11, v71
	s_or_b64 exec, exec, s[16:17]
	v_cmp_lt_u32_e32 vcc, v25, v0
	s_and_saveexec_b64 s[16:17], vcc
	s_cbranch_execnz .LBB1326_535
.LBB1326_542:                           ;   in Loop: Header=BB1326_516 Depth=2
	s_or_b64 exec, exec, s[16:17]
	v_cmp_lt_u32_e32 vcc, v27, v0
	s_and_saveexec_b64 s[16:17], vcc
	s_cbranch_execz .LBB1326_536
.LBB1326_543:                           ;   in Loop: Header=BB1326_516 Depth=2
	v_cmp_gt_i32_e32 vcc, 0, v5
	s_waitcnt vmcnt(5)
	v_cndmask_b32_e64 v11, v73, 0, vcc
	v_xor_b32_e32 v11, v11, v5
	v_cmp_ne_u32_e32 vcc, s76, v11
	v_cndmask_b32_e32 v11, v73, v11, vcc
	v_lshrrev_b32_e32 v11, s77, v11
	v_and_b32_e32 v11, s86, v11
	v_lshl_or_b32 v11, v11, 4, v10
	ds_add_u32 v11, v71
	s_or_b64 exec, exec, s[16:17]
	v_cmp_lt_u32_e32 vcc, v22, v0
	s_and_saveexec_b64 s[16:17], vcc
	s_cbranch_execnz .LBB1326_537
.LBB1326_544:                           ;   in Loop: Header=BB1326_516 Depth=2
	s_or_b64 exec, exec, s[16:17]
	v_cmp_lt_u32_e32 vcc, v24, v0
	s_and_saveexec_b64 s[16:17], vcc
	s_cbranch_execz .LBB1326_538
.LBB1326_545:                           ;   in Loop: Header=BB1326_516 Depth=2
	v_cmp_gt_i32_e32 vcc, 0, v7
	s_waitcnt vmcnt(5)
	v_cndmask_b32_e64 v11, v73, 0, vcc
	v_xor_b32_e32 v11, v11, v7
	v_cmp_ne_u32_e32 vcc, s76, v11
	v_cndmask_b32_e32 v11, v73, v11, vcc
	v_lshrrev_b32_e32 v11, s77, v11
	v_and_b32_e32 v11, s86, v11
	v_lshl_or_b32 v11, v11, 4, v10
	ds_add_u32 v11, v71
	s_or_b64 exec, exec, s[16:17]
	v_cmp_lt_u32_e32 vcc, v26, v0
	s_and_saveexec_b64 s[16:17], vcc
	s_cbranch_execnz .LBB1326_539
.LBB1326_546:                           ;   in Loop: Header=BB1326_516 Depth=2
	s_or_b64 exec, exec, s[16:17]
	v_cmp_lt_u32_e32 vcc, v28, v0
	s_and_saveexec_b64 s[16:17], vcc
	s_cbranch_execz .LBB1326_515
.LBB1326_547:                           ;   in Loop: Header=BB1326_516 Depth=2
	v_cmp_gt_i32_e32 vcc, 0, v9
	v_cndmask_b32_e64 v0, v73, 0, vcc
	v_xor_b32_e32 v0, v0, v9
	v_cmp_ne_u32_e32 vcc, s76, v0
	v_cndmask_b32_e32 v0, v73, v0, vcc
	v_lshrrev_b32_e32 v0, s77, v0
	v_and_b32_e32 v0, s86, v0
	v_lshl_or_b32 v0, v0, 4, v10
	ds_add_u32 v0, v71
	s_branch .LBB1326_515
.LBB1326_548:                           ;   in Loop: Header=BB1326_516 Depth=2
	s_or_b64 exec, exec, s[20:21]
	v_cmp_gt_u32_e32 vcc, s22, v23
	s_and_saveexec_b64 s[20:21], vcc
	s_cbranch_execz .LBB1326_522
.LBB1326_549:                           ;   in Loop: Header=BB1326_516 Depth=2
	global_load_dword v3, v72, s[18:19] offset:1024
	s_or_b64 exec, exec, s[20:21]
	v_cmp_gt_u32_e32 vcc, s22, v25
	s_and_saveexec_b64 s[20:21], vcc
	s_cbranch_execnz .LBB1326_523
.LBB1326_550:                           ;   in Loop: Header=BB1326_516 Depth=2
	s_or_b64 exec, exec, s[20:21]
	v_cmp_gt_u32_e32 vcc, s22, v27
	s_and_saveexec_b64 s[20:21], vcc
	s_cbranch_execz .LBB1326_524
.LBB1326_551:                           ;   in Loop: Header=BB1326_516 Depth=2
	global_load_dword v5, v72, s[18:19] offset:3072
	s_or_b64 exec, exec, s[20:21]
	v_cmp_gt_u32_e32 vcc, s22, v22
	s_and_saveexec_b64 s[20:21], vcc
	s_cbranch_execnz .LBB1326_525
.LBB1326_552:                           ;   in Loop: Header=BB1326_516 Depth=2
	s_or_b64 exec, exec, s[20:21]
	v_cmp_gt_u32_e32 vcc, s22, v24
	s_and_saveexec_b64 s[20:21], vcc
	s_cbranch_execz .LBB1326_526
.LBB1326_553:                           ;   in Loop: Header=BB1326_516 Depth=2
	v_lshlrev_b32_e32 v0, 2, v24
	global_load_dword v7, v0, s[18:19]
	s_or_b64 exec, exec, s[20:21]
	v_cmp_gt_u32_e32 vcc, s22, v26
	s_and_saveexec_b64 s[20:21], vcc
	s_cbranch_execz .LBB1326_528
	s_branch .LBB1326_527
.LBB1326_554:                           ;   in Loop: Header=BB1326_12 Depth=1
	v_mov_b32_e32 v0, 0
	s_waitcnt lgkmcnt(0)
	s_barrier
	s_and_saveexec_b64 s[16:17], s[4:5]
	s_cbranch_execz .LBB1326_556
; %bb.555:                              ;   in Loop: Header=BB1326_12 Depth=1
	ds_read2_b64 v[2:5], v42 offset1:1
	s_waitcnt lgkmcnt(0)
	v_add_u32_e32 v0, v3, v2
	v_add3_u32 v0, v0, v4, v5
.LBB1326_556:                           ;   in Loop: Header=BB1326_12 Depth=1
	s_or_b64 exec, exec, s[16:17]
	v_and_b32_e32 v2, 15, v74
	v_mov_b32_dpp v3, v0 row_shr:1 row_mask:0xf bank_mask:0xf
	v_cmp_eq_u32_e64 s[16:17], 0, v2
	v_cndmask_b32_e64 v3, v3, 0, s[16:17]
	v_add_u32_e32 v0, v3, v0
	v_cmp_lt_u32_e64 s[18:19], 1, v2
	v_cmp_lt_u32_e64 s[20:21], 3, v2
	v_mov_b32_dpp v3, v0 row_shr:2 row_mask:0xf bank_mask:0xf
	v_cndmask_b32_e64 v3, 0, v3, s[18:19]
	v_add_u32_e32 v0, v0, v3
	v_cmp_lt_u32_e64 s[22:23], 7, v2
	v_cmp_lt_u32_e64 s[26:27], 31, v74
	v_mov_b32_dpp v3, v0 row_shr:4 row_mask:0xf bank_mask:0xf
	v_cndmask_b32_e64 v3, 0, v3, s[20:21]
	v_add_u32_e32 v0, v0, v3
	v_and_b32_e32 v4, 16, v74
	v_cmp_eq_u32_e64 s[24:25], 0, v4
	v_mov_b32_dpp v3, v0 row_shr:8 row_mask:0xf bank_mask:0xf
	v_cndmask_b32_e64 v2, 0, v3, s[22:23]
	v_add_u32_e32 v0, v0, v2
	v_bfe_i32 v3, v74, 4, 1
	s_nop 0
	v_mov_b32_dpp v2, v0 row_bcast:15 row_mask:0xf bank_mask:0xf
	v_and_b32_e32 v2, v3, v2
	v_add_u32_e32 v0, v0, v2
	s_nop 1
	v_mov_b32_dpp v2, v0 row_bcast:31 row_mask:0xf bank_mask:0xf
	v_cndmask_b32_e64 v2, 0, v2, s[26:27]
	v_add_u32_e32 v2, v0, v2
	s_and_saveexec_b64 s[28:29], s[6:7]
	s_cbranch_execz .LBB1326_558
; %bb.557:                              ;   in Loop: Header=BB1326_12 Depth=1
	ds_write_b32 v44, v2
.LBB1326_558:                           ;   in Loop: Header=BB1326_12 Depth=1
	s_or_b64 exec, exec, s[28:29]
	v_and_b32_e32 v0, 3, v74
	s_waitcnt lgkmcnt(0)
	s_barrier
	s_and_saveexec_b64 s[28:29], s[8:9]
	s_cbranch_execz .LBB1326_560
; %bb.559:                              ;   in Loop: Header=BB1326_12 Depth=1
	ds_read_b32 v3, v45
	v_cmp_ne_u32_e32 vcc, 0, v0
	s_waitcnt lgkmcnt(0)
	v_mov_b32_dpp v4, v3 row_shr:1 row_mask:0xf bank_mask:0xf
	v_cndmask_b32_e32 v4, 0, v4, vcc
	v_add_u32_e32 v3, v4, v3
	v_cmp_lt_u32_e32 vcc, 1, v0
	s_nop 0
	v_mov_b32_dpp v4, v3 row_shr:2 row_mask:0xf bank_mask:0xf
	v_cndmask_b32_e32 v4, 0, v4, vcc
	v_add_u32_e32 v3, v3, v4
	ds_write_b32 v45, v3
.LBB1326_560:                           ;   in Loop: Header=BB1326_12 Depth=1
	s_or_b64 exec, exec, s[28:29]
	v_mov_b32_e32 v3, 0
	s_waitcnt lgkmcnt(0)
	s_barrier
	s_and_saveexec_b64 s[28:29], s[10:11]
	s_cbranch_execz .LBB1326_562
; %bb.561:                              ;   in Loop: Header=BB1326_12 Depth=1
	ds_read_b32 v3, v46
.LBB1326_562:                           ;   in Loop: Header=BB1326_12 Depth=1
	s_or_b64 exec, exec, s[28:29]
	v_add_u32_e32 v4, -1, v74
	v_and_b32_e32 v5, 64, v74
	v_cmp_lt_i32_e32 vcc, v4, v5
	v_cndmask_b32_e32 v4, v4, v74, vcc
	s_waitcnt lgkmcnt(0)
	v_add_u32_e32 v2, v3, v2
	v_lshlrev_b32_e32 v75, 2, v4
	ds_bpermute_b32 v2, v75, v2
	v_cmp_eq_u32_e64 s[28:29], 0, v74
	s_waitcnt lgkmcnt(0)
	s_barrier
	s_and_saveexec_b64 s[30:31], s[4:5]
	s_cbranch_execz .LBB1326_564
; %bb.563:                              ;   in Loop: Header=BB1326_12 Depth=1
	v_cndmask_b32_e64 v2, v2, v3, s[28:29]
	v_add_u32_e32 v2, s51, v2
	ds_write_b32 v19, v2
.LBB1326_564:                           ;   in Loop: Header=BB1326_12 Depth=1
	s_or_b64 exec, exec, s[30:31]
	s_load_dwordx2 s[30:31], s[82:83], 0x0
	s_mov_b32 s87, s79
	s_mov_b32 s80, s51
                                        ; implicit-def: $vgpr10_vgpr11
                                        ; implicit-def: $vgpr12_vgpr13
                                        ; implicit-def: $vgpr14_vgpr15
                                        ; implicit-def: $vgpr16_vgpr17
                                        ; implicit-def: $vgpr30_vgpr31
                                        ; implicit-def: $vgpr32_vgpr33
                                        ; implicit-def: $vgpr34_vgpr35
                                        ; implicit-def: $vgpr36_vgpr37
                                        ; implicit-def: $vgpr76
                                        ; implicit-def: $vgpr77
                                        ; implicit-def: $vgpr78
                                        ; implicit-def: $vgpr79
                                        ; implicit-def: $vgpr81
                                        ; implicit-def: $vgpr82
                                        ; implicit-def: $vgpr84
                                        ; implicit-def: $vgpr86
	s_waitcnt lgkmcnt(0)
	s_cmp_lt_u32 s50, s30
	s_cselect_b32 s34, 12, 18
	s_cmp_lt_u32 s33, s31
	s_cselect_b32 s30, 14, 20
	s_add_u32 s30, s82, s30
	s_addc_u32 s31, s83, 0
	s_add_u32 s34, s82, s34
	global_load_ushort v2, v20, s[30:31]
	s_addc_u32 s35, s83, 0
	global_load_ushort v3, v20, s[34:35]
	v_cmp_eq_u32_e64 s[30:31], 0, v0
	v_cmp_lt_u32_e64 s[34:35], 1, v0
	v_and_b32_e32 v0, 63, v74
	v_lshlrev_b32_e32 v4, 3, v0
	v_add_co_u32_e32 v83, vcc, v67, v4
	v_or_b32_e32 v80, v0, v47
	v_lshlrev_b32_e32 v0, 2, v0
	v_addc_co_u32_e32 v85, vcc, 0, v68, vcc
	v_add_co_u32_e32 v94, vcc, v69, v0
	v_addc_co_u32_e32 v95, vcc, 0, v70, vcc
	v_add_co_u32_e32 v96, vcc, 0x700, v94
	v_or_b32_e32 v87, 64, v80
	v_or_b32_e32 v88, 0x80, v80
	;; [unrolled: 1-line block ×7, first 2 shown]
	v_addc_co_u32_e32 v97, vcc, 0, v95, vcc
	s_waitcnt vmcnt(1)
	v_mad_u32_u24 v0, v48, v2, v49
	s_waitcnt vmcnt(0)
	v_mad_u64_u32 v[2:3], s[36:37], v0, v3, v[18:19]
	v_lshrrev_b32_e32 v98, 6, v2
	s_branch .LBB1326_566
.LBB1326_565:                           ;   in Loop: Header=BB1326_566 Depth=2
	s_or_b64 exec, exec, s[36:37]
	s_addk_i32 s87, 0xf800
	s_cmp_lt_u32 s88, s84
	s_mov_b32 s80, s88
	s_cbranch_scc0 .LBB1326_10
.LBB1326_566:                           ;   Parent Loop BB1326_12 Depth=1
                                        ; =>  This Inner Loop Header: Depth=2
	s_add_i32 s88, s80, 0x800
	s_cmp_gt_u32 s88, s84
	s_cbranch_scc1 .LBB1326_568
; %bb.567:                              ;   in Loop: Header=BB1326_566 Depth=2
	s_lshl_b64 s[36:37], s[80:81], 2
	v_mov_b32_e32 v0, s37
	v_add_co_u32_e32 v8, vcc, s36, v94
	v_addc_co_u32_e32 v9, vcc, v95, v0, vcc
	global_load_dword v2, v[8:9], off
	global_load_dword v3, v[8:9], off offset:256
	global_load_dword v4, v[8:9], off offset:512
	;; [unrolled: 1-line block ×5, first 2 shown]
	s_nop 0
	global_load_dword v8, v[8:9], off offset:1536
	s_mov_b64 s[36:37], -1
	s_movk_i32 s40, 0x800
	s_cbranch_execz .LBB1326_569
	s_branch .LBB1326_578
.LBB1326_568:                           ;   in Loop: Header=BB1326_566 Depth=2
	s_mov_b64 s[36:37], 0
                                        ; implicit-def: $sgpr40
                                        ; implicit-def: $vgpr2_vgpr3_vgpr4_vgpr5_vgpr6_vgpr7_vgpr8_vgpr9
.LBB1326_569:                           ;   in Loop: Header=BB1326_566 Depth=2
	s_lshl_b64 s[36:37], s[80:81], 2
	v_mov_b32_e32 v0, s37
	v_add_co_u32_e32 v38, vcc, s36, v94
	s_mov_b32 s65, s64
	v_addc_co_u32_e32 v39, vcc, v95, v0, vcc
	s_mov_b32 s66, s64
	s_mov_b32 s67, s64
	s_mov_b32 s68, s64
	s_mov_b32 s69, s64
	s_mov_b32 s70, s64
	s_mov_b32 s71, s64
	s_waitcnt vmcnt(0)
	v_pk_mov_b32 v[2:3], s[64:65], s[64:65] op_sel:[0,1]
	v_cmp_gt_u32_e32 vcc, s87, v80
	v_pk_mov_b32 v[4:5], s[66:67], s[66:67] op_sel:[0,1]
	v_pk_mov_b32 v[6:7], s[68:69], s[68:69] op_sel:[0,1]
	v_pk_mov_b32 v[8:9], s[70:71], s[70:71] op_sel:[0,1]
	s_and_saveexec_b64 s[36:37], vcc
	s_cbranch_execz .LBB1326_672
; %bb.570:                              ;   in Loop: Header=BB1326_566 Depth=2
	global_load_dword v0, v[38:39], off
	v_mov_b32_e32 v2, v1
	v_mov_b32_e32 v3, v1
	;; [unrolled: 1-line block ×6, first 2 shown]
	s_waitcnt vmcnt(0)
	v_pk_mov_b32 v[8:9], v[6:7], v[6:7] op_sel:[0,1]
	v_pk_mov_b32 v[6:7], v[4:5], v[4:5] op_sel:[0,1]
	;; [unrolled: 1-line block ×4, first 2 shown]
	s_or_b64 exec, exec, s[36:37]
	v_cmp_gt_u32_e32 vcc, s87, v87
	s_and_saveexec_b64 s[36:37], vcc
	s_cbranch_execnz .LBB1326_673
.LBB1326_571:                           ;   in Loop: Header=BB1326_566 Depth=2
	s_or_b64 exec, exec, s[36:37]
	v_cmp_gt_u32_e32 vcc, s87, v88
	s_and_saveexec_b64 s[36:37], vcc
	s_cbranch_execz .LBB1326_674
.LBB1326_572:                           ;   in Loop: Header=BB1326_566 Depth=2
	global_load_dword v4, v[38:39], off offset:512
	s_or_b64 exec, exec, s[36:37]
	v_cmp_gt_u32_e32 vcc, s87, v89
	s_and_saveexec_b64 s[36:37], vcc
	s_cbranch_execnz .LBB1326_675
.LBB1326_573:                           ;   in Loop: Header=BB1326_566 Depth=2
	s_or_b64 exec, exec, s[36:37]
	v_cmp_gt_u32_e32 vcc, s87, v90
	s_and_saveexec_b64 s[36:37], vcc
	s_cbranch_execz .LBB1326_676
.LBB1326_574:                           ;   in Loop: Header=BB1326_566 Depth=2
	global_load_dword v6, v[38:39], off offset:1024
	s_or_b64 exec, exec, s[36:37]
	v_cmp_gt_u32_e32 vcc, s87, v91
	s_and_saveexec_b64 s[36:37], vcc
	s_cbranch_execnz .LBB1326_677
.LBB1326_575:                           ;   in Loop: Header=BB1326_566 Depth=2
	s_or_b64 exec, exec, s[36:37]
	v_cmp_gt_u32_e32 vcc, s87, v92
	s_and_saveexec_b64 s[36:37], vcc
	s_cbranch_execz .LBB1326_577
.LBB1326_576:                           ;   in Loop: Header=BB1326_566 Depth=2
	global_load_dword v8, v[38:39], off offset:1536
.LBB1326_577:                           ;   in Loop: Header=BB1326_566 Depth=2
	s_or_b64 exec, exec, s[36:37]
	s_sub_i32 s40, s84, s80
	v_cmp_gt_u32_e64 s[36:37], s87, v93
.LBB1326_578:                           ;   in Loop: Header=BB1326_566 Depth=2
	v_mov_b32_e32 v0, s87
	s_and_saveexec_b64 s[38:39], s[36:37]
	s_cbranch_execz .LBB1326_580
; %bb.579:                              ;   in Loop: Header=BB1326_566 Depth=2
	s_lshl_b64 s[36:37], s[80:81], 2
	v_mov_b32_e32 v0, s37
	v_add_co_u32_e32 v38, vcc, s36, v96
	v_addc_co_u32_e32 v39, vcc, v97, v0, vcc
	global_load_dword v9, v[38:39], off
	v_mov_b32_e32 v0, s40
.LBB1326_580:                           ;   in Loop: Header=BB1326_566 Depth=2
	s_or_b64 exec, exec, s[38:39]
	s_waitcnt vmcnt(6)
	v_cmp_gt_i32_e32 vcc, 0, v2
	v_cndmask_b32_e64 v21, v73, 0, vcc
	v_xor_b32_e32 v99, v21, v2
	v_add_u32_e32 v2, 0x410, v50
	v_cmp_ne_u32_e32 vcc, s76, v99
	ds_write2_b32 v2, v20, v20 offset1:1
	ds_write2_b32 v52, v20, v20 offset0:2 offset1:3
	ds_write_b32 v52, v20 offset:16
	v_cndmask_b32_e32 v2, v73, v99, vcc
	v_lshrrev_b32_e32 v2, s77, v2
	v_and_b32_e32 v2, s86, v2
	v_mad_u32_u24 v21, v2, 5, v98
	v_lshl_add_u32 v100, v21, 2, v51
	v_and_b32_e32 v21, 1, v2
	v_add_co_u32_e32 v38, vcc, -1, v21
	v_addc_co_u32_e64 v39, s[36:37], 0, -1, vcc
	v_cmp_ne_u32_e32 vcc, 0, v21
	v_xor_b32_e32 v21, vcc_hi, v39
	v_and_b32_e32 v39, exec_hi, v21
	v_lshlrev_b32_e32 v21, 30, v2
	v_xor_b32_e32 v38, vcc_lo, v38
	v_cmp_gt_i64_e32 vcc, 0, v[20:21]
	v_not_b32_e32 v21, v21
	v_ashrrev_i32_e32 v21, 31, v21
	v_and_b32_e32 v38, exec_lo, v38
	v_xor_b32_e32 v101, vcc_hi, v21
	v_xor_b32_e32 v21, vcc_lo, v21
	v_and_b32_e32 v38, v38, v21
	v_lshlrev_b32_e32 v21, 29, v2
	v_cmp_gt_i64_e32 vcc, 0, v[20:21]
	v_not_b32_e32 v21, v21
	v_ashrrev_i32_e32 v21, 31, v21
	v_and_b32_e32 v39, v39, v101
	v_xor_b32_e32 v101, vcc_hi, v21
	v_xor_b32_e32 v21, vcc_lo, v21
	v_and_b32_e32 v38, v38, v21
	v_lshlrev_b32_e32 v21, 28, v2
	v_cmp_gt_i64_e32 vcc, 0, v[20:21]
	v_not_b32_e32 v21, v21
	v_ashrrev_i32_e32 v21, 31, v21
	v_and_b32_e32 v39, v39, v101
	v_xor_b32_e32 v101, vcc_hi, v21
	v_xor_b32_e32 v21, vcc_lo, v21
	v_and_b32_e32 v38, v38, v21
	v_lshlrev_b32_e32 v21, 27, v2
	v_cmp_gt_i64_e32 vcc, 0, v[20:21]
	v_not_b32_e32 v21, v21
	v_ashrrev_i32_e32 v21, 31, v21
	v_and_b32_e32 v39, v39, v101
	v_xor_b32_e32 v101, vcc_hi, v21
	v_xor_b32_e32 v21, vcc_lo, v21
	v_and_b32_e32 v38, v38, v21
	v_lshlrev_b32_e32 v21, 26, v2
	v_cmp_gt_i64_e32 vcc, 0, v[20:21]
	v_not_b32_e32 v21, v21
	v_ashrrev_i32_e32 v21, 31, v21
	v_and_b32_e32 v39, v39, v101
	v_xor_b32_e32 v101, vcc_hi, v21
	v_xor_b32_e32 v21, vcc_lo, v21
	v_and_b32_e32 v38, v38, v21
	v_lshlrev_b32_e32 v21, 25, v2
	v_cmp_gt_i64_e32 vcc, 0, v[20:21]
	v_not_b32_e32 v21, v21
	v_ashrrev_i32_e32 v21, 31, v21
	v_and_b32_e32 v39, v39, v101
	v_xor_b32_e32 v101, vcc_hi, v21
	v_xor_b32_e32 v21, vcc_lo, v21
	v_and_b32_e32 v38, v38, v21
	v_lshlrev_b32_e32 v21, 24, v2
	v_not_b32_e32 v2, v21
	v_cmp_gt_i64_e32 vcc, 0, v[20:21]
	v_ashrrev_i32_e32 v2, 31, v2
	v_xor_b32_e32 v21, vcc_hi, v2
	v_xor_b32_e32 v2, vcc_lo, v2
	v_and_b32_e32 v39, v39, v101
	v_and_b32_e32 v38, v38, v2
	;; [unrolled: 1-line block ×3, first 2 shown]
	v_mbcnt_lo_u32_b32 v2, v38, 0
	v_mbcnt_hi_u32_b32 v101, v39, v2
	v_cmp_eq_u32_e32 vcc, 0, v101
	v_cmp_ne_u64_e64 s[36:37], 0, v[38:39]
	s_and_b64 s[38:39], s[36:37], vcc
	s_waitcnt lgkmcnt(0)
	s_barrier
	s_waitcnt lgkmcnt(0)
	; wave barrier
	s_and_saveexec_b64 s[36:37], s[38:39]
	s_cbranch_execz .LBB1326_582
; %bb.581:                              ;   in Loop: Header=BB1326_566 Depth=2
	v_bcnt_u32_b32 v2, v38, 0
	v_bcnt_u32_b32 v2, v39, v2
	ds_write_b32 v100, v2
.LBB1326_582:                           ;   in Loop: Header=BB1326_566 Depth=2
	s_or_b64 exec, exec, s[36:37]
	s_waitcnt vmcnt(0)
	v_cmp_gt_i32_e32 vcc, 0, v3
	v_cndmask_b32_e64 v2, v73, 0, vcc
	v_xor_b32_e32 v38, v2, v3
	v_cmp_ne_u32_e32 vcc, s76, v38
	v_cndmask_b32_e32 v2, v73, v38, vcc
	v_lshrrev_b32_e32 v2, s77, v2
	v_and_b32_e32 v2, s86, v2
	v_mul_u32_u24_e32 v3, 5, v2
	v_add_lshl_u32 v3, v3, v98, 2
	; wave barrier
	v_add_u32_e32 v102, 0x410, v3
	ds_read_b32 v39, v3 offset:1040
	v_and_b32_e32 v3, 1, v2
	v_add_co_u32_e32 v21, vcc, -1, v3
	v_addc_co_u32_e64 v103, s[36:37], 0, -1, vcc
	v_cmp_ne_u32_e32 vcc, 0, v3
	v_xor_b32_e32 v21, vcc_lo, v21
	v_xor_b32_e32 v3, vcc_hi, v103
	v_and_b32_e32 v103, exec_lo, v21
	v_lshlrev_b32_e32 v21, 30, v2
	v_cmp_gt_i64_e32 vcc, 0, v[20:21]
	v_not_b32_e32 v21, v21
	v_ashrrev_i32_e32 v21, 31, v21
	v_xor_b32_e32 v104, vcc_hi, v21
	v_xor_b32_e32 v21, vcc_lo, v21
	v_and_b32_e32 v103, v103, v21
	v_lshlrev_b32_e32 v21, 29, v2
	v_cmp_gt_i64_e32 vcc, 0, v[20:21]
	v_not_b32_e32 v21, v21
	v_and_b32_e32 v3, exec_hi, v3
	v_ashrrev_i32_e32 v21, 31, v21
	v_and_b32_e32 v3, v3, v104
	v_xor_b32_e32 v104, vcc_hi, v21
	v_xor_b32_e32 v21, vcc_lo, v21
	v_and_b32_e32 v103, v103, v21
	v_lshlrev_b32_e32 v21, 28, v2
	v_cmp_gt_i64_e32 vcc, 0, v[20:21]
	v_not_b32_e32 v21, v21
	v_ashrrev_i32_e32 v21, 31, v21
	v_and_b32_e32 v3, v3, v104
	v_xor_b32_e32 v104, vcc_hi, v21
	v_xor_b32_e32 v21, vcc_lo, v21
	v_and_b32_e32 v103, v103, v21
	v_lshlrev_b32_e32 v21, 27, v2
	v_cmp_gt_i64_e32 vcc, 0, v[20:21]
	v_not_b32_e32 v21, v21
	;; [unrolled: 8-line block ×4, first 2 shown]
	v_ashrrev_i32_e32 v21, 31, v21
	v_and_b32_e32 v3, v3, v104
	v_xor_b32_e32 v104, vcc_hi, v21
	v_xor_b32_e32 v21, vcc_lo, v21
	v_and_b32_e32 v103, v103, v21
	v_lshlrev_b32_e32 v21, 24, v2
	v_not_b32_e32 v2, v21
	v_cmp_gt_i64_e32 vcc, 0, v[20:21]
	v_ashrrev_i32_e32 v2, 31, v2
	v_xor_b32_e32 v21, vcc_hi, v2
	v_xor_b32_e32 v2, vcc_lo, v2
	v_and_b32_e32 v3, v3, v104
	v_and_b32_e32 v2, v103, v2
	;; [unrolled: 1-line block ×3, first 2 shown]
	v_mbcnt_lo_u32_b32 v21, v2, 0
	v_mbcnt_hi_u32_b32 v103, v3, v21
	v_cmp_eq_u32_e32 vcc, 0, v103
	v_cmp_ne_u64_e64 s[36:37], 0, v[2:3]
	s_and_b64 s[38:39], s[36:37], vcc
	; wave barrier
	s_and_saveexec_b64 s[36:37], s[38:39]
	s_cbranch_execz .LBB1326_584
; %bb.583:                              ;   in Loop: Header=BB1326_566 Depth=2
	v_bcnt_u32_b32 v2, v2, 0
	v_bcnt_u32_b32 v2, v3, v2
	s_waitcnt lgkmcnt(0)
	v_add_u32_e32 v2, v39, v2
	ds_write_b32 v102, v2
.LBB1326_584:                           ;   in Loop: Header=BB1326_566 Depth=2
	s_or_b64 exec, exec, s[36:37]
	v_cmp_gt_i32_e32 vcc, 0, v4
	v_cndmask_b32_e64 v2, v73, 0, vcc
	v_xor_b32_e32 v104, v2, v4
	v_cmp_ne_u32_e32 vcc, s76, v104
	v_cndmask_b32_e32 v2, v73, v104, vcc
	v_lshrrev_b32_e32 v2, s77, v2
	v_and_b32_e32 v2, s86, v2
	v_mul_u32_u24_e32 v3, 5, v2
	v_add_lshl_u32 v3, v3, v98, 2
	; wave barrier
	v_add_u32_e32 v106, 0x410, v3
	ds_read_b32 v105, v3 offset:1040
	v_and_b32_e32 v3, 1, v2
	v_add_co_u32_e32 v4, vcc, -1, v3
	v_addc_co_u32_e64 v21, s[36:37], 0, -1, vcc
	v_cmp_ne_u32_e32 vcc, 0, v3
	v_xor_b32_e32 v3, vcc_hi, v21
	v_lshlrev_b32_e32 v21, 30, v2
	v_xor_b32_e32 v4, vcc_lo, v4
	v_cmp_gt_i64_e32 vcc, 0, v[20:21]
	v_not_b32_e32 v21, v21
	v_ashrrev_i32_e32 v21, 31, v21
	v_and_b32_e32 v4, exec_lo, v4
	v_xor_b32_e32 v107, vcc_hi, v21
	v_xor_b32_e32 v21, vcc_lo, v21
	v_and_b32_e32 v4, v4, v21
	v_lshlrev_b32_e32 v21, 29, v2
	v_cmp_gt_i64_e32 vcc, 0, v[20:21]
	v_not_b32_e32 v21, v21
	v_and_b32_e32 v3, exec_hi, v3
	v_ashrrev_i32_e32 v21, 31, v21
	v_and_b32_e32 v3, v3, v107
	v_xor_b32_e32 v107, vcc_hi, v21
	v_xor_b32_e32 v21, vcc_lo, v21
	v_and_b32_e32 v4, v4, v21
	v_lshlrev_b32_e32 v21, 28, v2
	v_cmp_gt_i64_e32 vcc, 0, v[20:21]
	v_not_b32_e32 v21, v21
	v_ashrrev_i32_e32 v21, 31, v21
	v_and_b32_e32 v3, v3, v107
	v_xor_b32_e32 v107, vcc_hi, v21
	v_xor_b32_e32 v21, vcc_lo, v21
	v_and_b32_e32 v4, v4, v21
	v_lshlrev_b32_e32 v21, 27, v2
	v_cmp_gt_i64_e32 vcc, 0, v[20:21]
	v_not_b32_e32 v21, v21
	;; [unrolled: 8-line block ×4, first 2 shown]
	v_ashrrev_i32_e32 v21, 31, v21
	v_and_b32_e32 v3, v3, v107
	v_xor_b32_e32 v107, vcc_hi, v21
	v_xor_b32_e32 v21, vcc_lo, v21
	v_and_b32_e32 v4, v4, v21
	v_lshlrev_b32_e32 v21, 24, v2
	v_not_b32_e32 v2, v21
	v_cmp_gt_i64_e32 vcc, 0, v[20:21]
	v_ashrrev_i32_e32 v2, 31, v2
	v_xor_b32_e32 v21, vcc_hi, v2
	v_xor_b32_e32 v2, vcc_lo, v2
	v_and_b32_e32 v3, v3, v107
	v_and_b32_e32 v2, v4, v2
	;; [unrolled: 1-line block ×3, first 2 shown]
	v_mbcnt_lo_u32_b32 v4, v2, 0
	v_mbcnt_hi_u32_b32 v107, v3, v4
	v_cmp_eq_u32_e32 vcc, 0, v107
	v_cmp_ne_u64_e64 s[36:37], 0, v[2:3]
	s_and_b64 s[38:39], s[36:37], vcc
	; wave barrier
	s_and_saveexec_b64 s[36:37], s[38:39]
	s_cbranch_execz .LBB1326_586
; %bb.585:                              ;   in Loop: Header=BB1326_566 Depth=2
	v_bcnt_u32_b32 v2, v2, 0
	v_bcnt_u32_b32 v2, v3, v2
	s_waitcnt lgkmcnt(0)
	v_add_u32_e32 v2, v105, v2
	ds_write_b32 v106, v2
.LBB1326_586:                           ;   in Loop: Header=BB1326_566 Depth=2
	s_or_b64 exec, exec, s[36:37]
	v_cmp_gt_i32_e32 vcc, 0, v5
	v_cndmask_b32_e64 v2, v73, 0, vcc
	v_xor_b32_e32 v108, v2, v5
	v_cmp_ne_u32_e32 vcc, s76, v108
	v_cndmask_b32_e32 v2, v73, v108, vcc
	v_lshrrev_b32_e32 v2, s77, v2
	v_and_b32_e32 v2, s86, v2
	v_mul_u32_u24_e32 v3, 5, v2
	v_add_lshl_u32 v3, v3, v98, 2
	; wave barrier
	v_add_u32_e32 v110, 0x410, v3
	ds_read_b32 v109, v3 offset:1040
	v_and_b32_e32 v3, 1, v2
	v_add_co_u32_e32 v4, vcc, -1, v3
	v_addc_co_u32_e64 v5, s[36:37], 0, -1, vcc
	v_cmp_ne_u32_e32 vcc, 0, v3
	v_lshlrev_b32_e32 v21, 30, v2
	v_xor_b32_e32 v3, vcc_hi, v5
	v_not_b32_e32 v5, v21
	v_xor_b32_e32 v4, vcc_lo, v4
	v_cmp_gt_i64_e32 vcc, 0, v[20:21]
	v_ashrrev_i32_e32 v5, 31, v5
	v_and_b32_e32 v3, exec_hi, v3
	v_xor_b32_e32 v21, vcc_hi, v5
	v_and_b32_e32 v4, exec_lo, v4
	v_xor_b32_e32 v5, vcc_lo, v5
	v_and_b32_e32 v3, v3, v21
	v_lshlrev_b32_e32 v21, 29, v2
	v_and_b32_e32 v4, v4, v5
	v_not_b32_e32 v5, v21
	v_cmp_gt_i64_e32 vcc, 0, v[20:21]
	v_ashrrev_i32_e32 v5, 31, v5
	v_xor_b32_e32 v21, vcc_hi, v5
	v_xor_b32_e32 v5, vcc_lo, v5
	v_and_b32_e32 v3, v3, v21
	v_lshlrev_b32_e32 v21, 28, v2
	v_and_b32_e32 v4, v4, v5
	v_not_b32_e32 v5, v21
	v_cmp_gt_i64_e32 vcc, 0, v[20:21]
	v_ashrrev_i32_e32 v5, 31, v5
	v_xor_b32_e32 v21, vcc_hi, v5
	;; [unrolled: 8-line block ×5, first 2 shown]
	v_and_b32_e32 v3, v3, v21
	v_lshlrev_b32_e32 v21, 24, v2
	v_not_b32_e32 v2, v21
	v_xor_b32_e32 v5, vcc_lo, v5
	v_cmp_gt_i64_e32 vcc, 0, v[20:21]
	v_ashrrev_i32_e32 v2, 31, v2
	v_and_b32_e32 v4, v4, v5
	v_xor_b32_e32 v5, vcc_hi, v2
	v_xor_b32_e32 v2, vcc_lo, v2
	v_and_b32_e32 v2, v4, v2
	v_and_b32_e32 v3, v3, v5
	v_mbcnt_lo_u32_b32 v4, v2, 0
	v_mbcnt_hi_u32_b32 v111, v3, v4
	v_cmp_eq_u32_e32 vcc, 0, v111
	v_cmp_ne_u64_e64 s[36:37], 0, v[2:3]
	s_and_b64 s[38:39], s[36:37], vcc
	; wave barrier
	s_and_saveexec_b64 s[36:37], s[38:39]
	s_cbranch_execz .LBB1326_588
; %bb.587:                              ;   in Loop: Header=BB1326_566 Depth=2
	v_bcnt_u32_b32 v2, v2, 0
	v_bcnt_u32_b32 v2, v3, v2
	s_waitcnt lgkmcnt(0)
	v_add_u32_e32 v2, v109, v2
	ds_write_b32 v110, v2
.LBB1326_588:                           ;   in Loop: Header=BB1326_566 Depth=2
	s_or_b64 exec, exec, s[36:37]
	v_cmp_gt_i32_e32 vcc, 0, v6
	v_cndmask_b32_e64 v2, v73, 0, vcc
	v_xor_b32_e32 v112, v2, v6
	v_cmp_ne_u32_e32 vcc, s76, v112
	v_cndmask_b32_e32 v2, v73, v112, vcc
	v_lshrrev_b32_e32 v2, s77, v2
	v_and_b32_e32 v2, s86, v2
	v_mul_u32_u24_e32 v3, 5, v2
	v_add_lshl_u32 v3, v3, v98, 2
	; wave barrier
	v_add_u32_e32 v113, 0x410, v3
	ds_read_b32 v6, v3 offset:1040
	v_and_b32_e32 v3, 1, v2
	v_add_co_u32_e32 v4, vcc, -1, v3
	v_addc_co_u32_e64 v5, s[36:37], 0, -1, vcc
	v_cmp_ne_u32_e32 vcc, 0, v3
	v_lshlrev_b32_e32 v21, 30, v2
	v_xor_b32_e32 v3, vcc_hi, v5
	v_not_b32_e32 v5, v21
	v_xor_b32_e32 v4, vcc_lo, v4
	v_cmp_gt_i64_e32 vcc, 0, v[20:21]
	v_ashrrev_i32_e32 v5, 31, v5
	v_and_b32_e32 v3, exec_hi, v3
	v_xor_b32_e32 v21, vcc_hi, v5
	v_and_b32_e32 v4, exec_lo, v4
	v_xor_b32_e32 v5, vcc_lo, v5
	v_and_b32_e32 v3, v3, v21
	v_lshlrev_b32_e32 v21, 29, v2
	v_and_b32_e32 v4, v4, v5
	v_not_b32_e32 v5, v21
	v_cmp_gt_i64_e32 vcc, 0, v[20:21]
	v_ashrrev_i32_e32 v5, 31, v5
	v_xor_b32_e32 v21, vcc_hi, v5
	v_xor_b32_e32 v5, vcc_lo, v5
	v_and_b32_e32 v3, v3, v21
	v_lshlrev_b32_e32 v21, 28, v2
	v_and_b32_e32 v4, v4, v5
	v_not_b32_e32 v5, v21
	v_cmp_gt_i64_e32 vcc, 0, v[20:21]
	v_ashrrev_i32_e32 v5, 31, v5
	v_xor_b32_e32 v21, vcc_hi, v5
	;; [unrolled: 8-line block ×5, first 2 shown]
	v_and_b32_e32 v3, v3, v21
	v_lshlrev_b32_e32 v21, 24, v2
	v_not_b32_e32 v2, v21
	v_xor_b32_e32 v5, vcc_lo, v5
	v_cmp_gt_i64_e32 vcc, 0, v[20:21]
	v_ashrrev_i32_e32 v2, 31, v2
	v_and_b32_e32 v4, v4, v5
	v_xor_b32_e32 v5, vcc_hi, v2
	v_xor_b32_e32 v2, vcc_lo, v2
	v_and_b32_e32 v2, v4, v2
	v_and_b32_e32 v3, v3, v5
	v_mbcnt_lo_u32_b32 v4, v2, 0
	v_mbcnt_hi_u32_b32 v114, v3, v4
	v_cmp_eq_u32_e32 vcc, 0, v114
	v_cmp_ne_u64_e64 s[36:37], 0, v[2:3]
	s_and_b64 s[38:39], s[36:37], vcc
	; wave barrier
	s_and_saveexec_b64 s[36:37], s[38:39]
	s_cbranch_execz .LBB1326_590
; %bb.589:                              ;   in Loop: Header=BB1326_566 Depth=2
	v_bcnt_u32_b32 v2, v2, 0
	v_bcnt_u32_b32 v2, v3, v2
	s_waitcnt lgkmcnt(0)
	v_add_u32_e32 v2, v6, v2
	ds_write_b32 v113, v2
.LBB1326_590:                           ;   in Loop: Header=BB1326_566 Depth=2
	s_or_b64 exec, exec, s[36:37]
	v_cmp_gt_i32_e32 vcc, 0, v7
	v_cndmask_b32_e64 v2, v73, 0, vcc
	v_xor_b32_e32 v115, v2, v7
	v_cmp_ne_u32_e32 vcc, s76, v115
	v_cndmask_b32_e32 v2, v73, v115, vcc
	v_lshrrev_b32_e32 v2, s77, v2
	v_and_b32_e32 v2, s86, v2
	v_mul_u32_u24_e32 v3, 5, v2
	v_add_lshl_u32 v3, v3, v98, 2
	; wave barrier
	v_add_u32_e32 v116, 0x410, v3
	ds_read_b32 v7, v3 offset:1040
	v_and_b32_e32 v3, 1, v2
	v_add_co_u32_e32 v4, vcc, -1, v3
	v_addc_co_u32_e64 v5, s[36:37], 0, -1, vcc
	v_cmp_ne_u32_e32 vcc, 0, v3
	v_lshlrev_b32_e32 v21, 30, v2
	v_xor_b32_e32 v3, vcc_hi, v5
	v_not_b32_e32 v5, v21
	v_xor_b32_e32 v4, vcc_lo, v4
	v_cmp_gt_i64_e32 vcc, 0, v[20:21]
	v_ashrrev_i32_e32 v5, 31, v5
	v_and_b32_e32 v3, exec_hi, v3
	v_xor_b32_e32 v21, vcc_hi, v5
	v_and_b32_e32 v4, exec_lo, v4
	v_xor_b32_e32 v5, vcc_lo, v5
	v_and_b32_e32 v3, v3, v21
	v_lshlrev_b32_e32 v21, 29, v2
	v_and_b32_e32 v4, v4, v5
	v_not_b32_e32 v5, v21
	v_cmp_gt_i64_e32 vcc, 0, v[20:21]
	v_ashrrev_i32_e32 v5, 31, v5
	v_xor_b32_e32 v21, vcc_hi, v5
	v_xor_b32_e32 v5, vcc_lo, v5
	v_and_b32_e32 v3, v3, v21
	v_lshlrev_b32_e32 v21, 28, v2
	v_and_b32_e32 v4, v4, v5
	v_not_b32_e32 v5, v21
	v_cmp_gt_i64_e32 vcc, 0, v[20:21]
	v_ashrrev_i32_e32 v5, 31, v5
	v_xor_b32_e32 v21, vcc_hi, v5
	;; [unrolled: 8-line block ×5, first 2 shown]
	v_and_b32_e32 v3, v3, v21
	v_lshlrev_b32_e32 v21, 24, v2
	v_not_b32_e32 v2, v21
	v_xor_b32_e32 v5, vcc_lo, v5
	v_cmp_gt_i64_e32 vcc, 0, v[20:21]
	v_ashrrev_i32_e32 v2, 31, v2
	v_and_b32_e32 v4, v4, v5
	v_xor_b32_e32 v5, vcc_hi, v2
	v_xor_b32_e32 v2, vcc_lo, v2
	v_and_b32_e32 v2, v4, v2
	v_and_b32_e32 v3, v3, v5
	v_mbcnt_lo_u32_b32 v4, v2, 0
	v_mbcnt_hi_u32_b32 v117, v3, v4
	v_cmp_eq_u32_e32 vcc, 0, v117
	v_cmp_ne_u64_e64 s[36:37], 0, v[2:3]
	s_and_b64 s[38:39], s[36:37], vcc
	; wave barrier
	s_and_saveexec_b64 s[36:37], s[38:39]
	s_cbranch_execz .LBB1326_592
; %bb.591:                              ;   in Loop: Header=BB1326_566 Depth=2
	v_bcnt_u32_b32 v2, v2, 0
	v_bcnt_u32_b32 v2, v3, v2
	s_waitcnt lgkmcnt(0)
	v_add_u32_e32 v2, v7, v2
	ds_write_b32 v116, v2
.LBB1326_592:                           ;   in Loop: Header=BB1326_566 Depth=2
	s_or_b64 exec, exec, s[36:37]
	v_cmp_gt_i32_e32 vcc, 0, v8
	v_cndmask_b32_e64 v2, v73, 0, vcc
	v_xor_b32_e32 v118, v2, v8
	v_cmp_ne_u32_e32 vcc, s76, v118
	v_cndmask_b32_e32 v2, v73, v118, vcc
	v_lshrrev_b32_e32 v2, s77, v2
	v_and_b32_e32 v2, s86, v2
	v_mul_u32_u24_e32 v3, 5, v2
	v_add_lshl_u32 v3, v3, v98, 2
	; wave barrier
	v_add_u32_e32 v8, 0x410, v3
	ds_read_b32 v119, v3 offset:1040
	v_and_b32_e32 v3, 1, v2
	v_add_co_u32_e32 v4, vcc, -1, v3
	v_addc_co_u32_e64 v5, s[36:37], 0, -1, vcc
	v_cmp_ne_u32_e32 vcc, 0, v3
	v_lshlrev_b32_e32 v21, 30, v2
	v_xor_b32_e32 v3, vcc_hi, v5
	v_not_b32_e32 v5, v21
	v_xor_b32_e32 v4, vcc_lo, v4
	v_cmp_gt_i64_e32 vcc, 0, v[20:21]
	v_ashrrev_i32_e32 v5, 31, v5
	v_and_b32_e32 v3, exec_hi, v3
	v_xor_b32_e32 v21, vcc_hi, v5
	v_and_b32_e32 v4, exec_lo, v4
	v_xor_b32_e32 v5, vcc_lo, v5
	v_and_b32_e32 v3, v3, v21
	v_lshlrev_b32_e32 v21, 29, v2
	v_and_b32_e32 v4, v4, v5
	v_not_b32_e32 v5, v21
	v_cmp_gt_i64_e32 vcc, 0, v[20:21]
	v_ashrrev_i32_e32 v5, 31, v5
	v_xor_b32_e32 v21, vcc_hi, v5
	v_xor_b32_e32 v5, vcc_lo, v5
	v_and_b32_e32 v3, v3, v21
	v_lshlrev_b32_e32 v21, 28, v2
	v_and_b32_e32 v4, v4, v5
	v_not_b32_e32 v5, v21
	v_cmp_gt_i64_e32 vcc, 0, v[20:21]
	v_ashrrev_i32_e32 v5, 31, v5
	v_xor_b32_e32 v21, vcc_hi, v5
	;; [unrolled: 8-line block ×5, first 2 shown]
	v_and_b32_e32 v3, v3, v21
	v_lshlrev_b32_e32 v21, 24, v2
	v_not_b32_e32 v2, v21
	v_xor_b32_e32 v5, vcc_lo, v5
	v_cmp_gt_i64_e32 vcc, 0, v[20:21]
	v_ashrrev_i32_e32 v2, 31, v2
	v_and_b32_e32 v4, v4, v5
	v_xor_b32_e32 v5, vcc_hi, v2
	v_xor_b32_e32 v2, vcc_lo, v2
	v_and_b32_e32 v2, v4, v2
	v_and_b32_e32 v3, v3, v5
	v_mbcnt_lo_u32_b32 v4, v2, 0
	v_mbcnt_hi_u32_b32 v120, v3, v4
	v_cmp_eq_u32_e32 vcc, 0, v120
	v_cmp_ne_u64_e64 s[36:37], 0, v[2:3]
	s_and_b64 s[38:39], s[36:37], vcc
	; wave barrier
	s_and_saveexec_b64 s[36:37], s[38:39]
	s_cbranch_execz .LBB1326_594
; %bb.593:                              ;   in Loop: Header=BB1326_566 Depth=2
	v_bcnt_u32_b32 v2, v2, 0
	v_bcnt_u32_b32 v2, v3, v2
	s_waitcnt lgkmcnt(0)
	v_add_u32_e32 v2, v119, v2
	ds_write_b32 v8, v2
.LBB1326_594:                           ;   in Loop: Header=BB1326_566 Depth=2
	s_or_b64 exec, exec, s[36:37]
	v_cmp_gt_i32_e32 vcc, 0, v9
	v_cndmask_b32_e64 v2, v73, 0, vcc
	v_xor_b32_e32 v121, v2, v9
	v_cmp_ne_u32_e32 vcc, s76, v121
	v_cndmask_b32_e32 v2, v73, v121, vcc
	v_lshrrev_b32_e32 v2, s77, v2
	v_and_b32_e32 v2, s86, v2
	v_mul_u32_u24_e32 v3, 5, v2
	v_add_lshl_u32 v3, v3, v98, 2
	; wave barrier
	v_add_u32_e32 v9, 0x410, v3
	ds_read_b32 v122, v3 offset:1040
	v_and_b32_e32 v3, 1, v2
	v_add_co_u32_e32 v4, vcc, -1, v3
	v_addc_co_u32_e64 v5, s[36:37], 0, -1, vcc
	v_cmp_ne_u32_e32 vcc, 0, v3
	v_lshlrev_b32_e32 v21, 30, v2
	v_xor_b32_e32 v3, vcc_hi, v5
	v_not_b32_e32 v5, v21
	v_xor_b32_e32 v4, vcc_lo, v4
	v_cmp_gt_i64_e32 vcc, 0, v[20:21]
	v_ashrrev_i32_e32 v5, 31, v5
	v_and_b32_e32 v3, exec_hi, v3
	v_xor_b32_e32 v21, vcc_hi, v5
	v_and_b32_e32 v4, exec_lo, v4
	v_xor_b32_e32 v5, vcc_lo, v5
	v_and_b32_e32 v3, v3, v21
	v_lshlrev_b32_e32 v21, 29, v2
	v_and_b32_e32 v4, v4, v5
	v_not_b32_e32 v5, v21
	v_cmp_gt_i64_e32 vcc, 0, v[20:21]
	v_ashrrev_i32_e32 v5, 31, v5
	v_xor_b32_e32 v21, vcc_hi, v5
	v_xor_b32_e32 v5, vcc_lo, v5
	v_and_b32_e32 v3, v3, v21
	v_lshlrev_b32_e32 v21, 28, v2
	v_and_b32_e32 v4, v4, v5
	v_not_b32_e32 v5, v21
	v_cmp_gt_i64_e32 vcc, 0, v[20:21]
	v_ashrrev_i32_e32 v5, 31, v5
	v_xor_b32_e32 v21, vcc_hi, v5
	;; [unrolled: 8-line block ×5, first 2 shown]
	v_and_b32_e32 v3, v3, v21
	v_lshlrev_b32_e32 v21, 24, v2
	v_not_b32_e32 v2, v21
	v_xor_b32_e32 v5, vcc_lo, v5
	v_cmp_gt_i64_e32 vcc, 0, v[20:21]
	v_ashrrev_i32_e32 v2, 31, v2
	v_and_b32_e32 v4, v4, v5
	v_xor_b32_e32 v5, vcc_hi, v2
	v_xor_b32_e32 v2, vcc_lo, v2
	v_and_b32_e32 v2, v4, v2
	v_and_b32_e32 v3, v3, v5
	v_mbcnt_lo_u32_b32 v4, v2, 0
	v_mbcnt_hi_u32_b32 v123, v3, v4
	v_cmp_eq_u32_e32 vcc, 0, v123
	v_cmp_ne_u64_e64 s[36:37], 0, v[2:3]
	s_and_b64 s[38:39], s[36:37], vcc
	; wave barrier
	s_and_saveexec_b64 s[36:37], s[38:39]
	s_cbranch_execz .LBB1326_596
; %bb.595:                              ;   in Loop: Header=BB1326_566 Depth=2
	v_bcnt_u32_b32 v2, v2, 0
	v_bcnt_u32_b32 v2, v3, v2
	s_waitcnt lgkmcnt(0)
	v_add_u32_e32 v2, v122, v2
	ds_write_b32 v9, v2
.LBB1326_596:                           ;   in Loop: Header=BB1326_566 Depth=2
	s_or_b64 exec, exec, s[36:37]
	; wave barrier
	s_waitcnt lgkmcnt(0)
	s_barrier
	ds_read_b32 v21, v50 offset:1040
	ds_read2_b32 v[4:5], v52 offset0:1 offset1:2
	ds_read2_b32 v[2:3], v52 offset0:3 offset1:4
	s_waitcnt lgkmcnt(1)
	v_add3_u32 v124, v4, v21, v5
	s_waitcnt lgkmcnt(0)
	v_add3_u32 v3, v124, v2, v3
	s_nop 1
	v_mov_b32_dpp v124, v3 row_shr:1 row_mask:0xf bank_mask:0xf
	v_cndmask_b32_e64 v124, v124, 0, s[16:17]
	v_add_u32_e32 v3, v124, v3
	s_nop 1
	v_mov_b32_dpp v124, v3 row_shr:2 row_mask:0xf bank_mask:0xf
	v_cndmask_b32_e64 v124, 0, v124, s[18:19]
	v_add_u32_e32 v3, v3, v124
	;; [unrolled: 4-line block ×4, first 2 shown]
	s_nop 1
	v_mov_b32_dpp v124, v3 row_bcast:15 row_mask:0xf bank_mask:0xf
	v_cndmask_b32_e64 v124, v124, 0, s[24:25]
	v_add_u32_e32 v3, v3, v124
	s_nop 1
	v_mov_b32_dpp v124, v3 row_bcast:31 row_mask:0xf bank_mask:0xf
	v_cndmask_b32_e64 v124, 0, v124, s[26:27]
	v_add_u32_e32 v3, v3, v124
	s_and_saveexec_b64 s[36:37], s[6:7]
	s_cbranch_execz .LBB1326_598
; %bb.597:                              ;   in Loop: Header=BB1326_566 Depth=2
	ds_write_b32 v43, v3 offset:1024
.LBB1326_598:                           ;   in Loop: Header=BB1326_566 Depth=2
	s_or_b64 exec, exec, s[36:37]
	s_waitcnt lgkmcnt(0)
	s_barrier
	s_and_saveexec_b64 s[36:37], s[8:9]
	s_cbranch_execz .LBB1326_600
; %bb.599:                              ;   in Loop: Header=BB1326_566 Depth=2
	ds_read_b32 v124, v53 offset:1024
	s_waitcnt lgkmcnt(0)
	s_nop 0
	v_mov_b32_dpp v125, v124 row_shr:1 row_mask:0xf bank_mask:0xf
	v_cndmask_b32_e64 v125, v125, 0, s[30:31]
	v_add_u32_e32 v124, v125, v124
	s_nop 1
	v_mov_b32_dpp v125, v124 row_shr:2 row_mask:0xf bank_mask:0xf
	v_cndmask_b32_e64 v125, 0, v125, s[34:35]
	v_add_u32_e32 v124, v124, v125
	ds_write_b32 v53, v124 offset:1024
.LBB1326_600:                           ;   in Loop: Header=BB1326_566 Depth=2
	s_or_b64 exec, exec, s[36:37]
	v_mov_b32_e32 v124, 0
	s_waitcnt lgkmcnt(0)
	s_barrier
	s_and_saveexec_b64 s[36:37], s[10:11]
	s_cbranch_execz .LBB1326_602
; %bb.601:                              ;   in Loop: Header=BB1326_566 Depth=2
	ds_read_b32 v124, v43 offset:1020
.LBB1326_602:                           ;   in Loop: Header=BB1326_566 Depth=2
	s_or_b64 exec, exec, s[36:37]
	s_waitcnt lgkmcnt(0)
	v_add_u32_e32 v3, v124, v3
	ds_bpermute_b32 v3, v75, v3
	s_waitcnt lgkmcnt(0)
	v_cndmask_b32_e64 v3, v3, v124, s[28:29]
	v_cndmask_b32_e64 v3, v3, 0, s[12:13]
	v_add_u32_e32 v21, v3, v21
	ds_write_b32 v50, v3 offset:1040
	v_add_u32_e32 v3, v21, v4
	v_add_u32_e32 v4, v3, v5
	;; [unrolled: 1-line block ×3, first 2 shown]
	ds_write2_b32 v52, v21, v3 offset0:1 offset1:2
	ds_write2_b32 v52, v4, v2 offset0:3 offset1:4
	s_waitcnt lgkmcnt(0)
	s_barrier
	ds_read_b32 v2, v102
	ds_read_b32 v3, v106
	;; [unrolled: 1-line block ×8, first 2 shown]
	ds_read_b32 v9, v50 offset:1040
	v_mov_b32_e32 v4, 0x800
	s_and_saveexec_b64 s[36:37], s[14:15]
	s_cbranch_execz .LBB1326_604
; %bb.603:                              ;   in Loop: Header=BB1326_566 Depth=2
	ds_read_b32 v4, v50 offset:1060
.LBB1326_604:                           ;   in Loop: Header=BB1326_566 Depth=2
	s_or_b64 exec, exec, s[36:37]
	s_waitcnt lgkmcnt(0)
	s_barrier
	s_and_saveexec_b64 s[36:37], s[4:5]
	s_cbranch_execz .LBB1326_606
; %bb.605:                              ;   in Loop: Header=BB1326_566 Depth=2
	ds_read_b32 v21, v19
	s_waitcnt lgkmcnt(0)
	v_sub_u32_e32 v9, v21, v9
	ds_write_b32 v19, v9
.LBB1326_606:                           ;   in Loop: Header=BB1326_566 Depth=2
	s_or_b64 exec, exec, s[36:37]
	v_add_u32_e32 v100, v8, v101
	v_add3_u32 v39, v103, v39, v2
	v_lshlrev_b32_e32 v2, 2, v100
	v_add3_u32 v21, v107, v105, v3
	ds_write_b32 v2, v99 offset:1024
	v_lshlrev_b32_e32 v2, 2, v39
	v_add3_u32 v9, v111, v109, v5
	ds_write_b32 v2, v38 offset:1024
	;; [unrolled: 3-line block ×6, first 2 shown]
	v_lshlrev_b32_e32 v2, 2, v6
	ds_write_b32 v2, v118 offset:1024
	v_lshlrev_b32_e32 v2, 2, v5
	v_cmp_lt_u32_e32 vcc, v18, v0
	ds_write_b32 v2, v121 offset:1024
	s_waitcnt lgkmcnt(0)
	s_barrier
	s_and_saveexec_b64 s[38:39], vcc
	s_cbranch_execz .LBB1326_614
; %bb.607:                              ;   in Loop: Header=BB1326_566 Depth=2
	ds_read_b32 v2, v53 offset:1024
	v_mov_b32_e32 v3, v20
	v_mov_b32_e32 v99, s61
	s_waitcnt lgkmcnt(0)
	v_cmp_ne_u32_e64 s[36:37], s76, v2
	v_cndmask_b32_e64 v38, v73, v2, s[36:37]
	v_lshrrev_b32_e32 v38, s77, v38
	v_and_b32_e32 v38, s86, v38
	v_lshlrev_b32_e32 v38, 2, v38
	ds_read_b32 v38, v38
	v_cmp_gt_i32_e64 s[36:37], 0, v2
	v_cndmask_b32_e64 v101, v73, 0, s[36:37]
	v_xor_b32_e32 v101, v101, v2
	s_waitcnt lgkmcnt(0)
	v_add_u32_e32 v2, v38, v18
	v_lshlrev_b64 v[2:3], 2, v[2:3]
	v_add_co_u32_e64 v2, s[36:37], s60, v2
	v_addc_co_u32_e64 v3, s[36:37], v99, v3, s[36:37]
	global_store_dword v[2:3], v101, off
	s_or_b64 exec, exec, s[38:39]
	v_cmp_lt_u32_e64 s[36:37], v23, v0
	s_and_saveexec_b64 s[40:41], s[36:37]
	s_cbranch_execnz .LBB1326_615
.LBB1326_608:                           ;   in Loop: Header=BB1326_566 Depth=2
	s_or_b64 exec, exec, s[40:41]
	v_cmp_lt_u32_e64 s[38:39], v25, v0
	s_and_saveexec_b64 s[42:43], s[38:39]
	s_cbranch_execz .LBB1326_616
.LBB1326_609:                           ;   in Loop: Header=BB1326_566 Depth=2
	ds_read_b32 v2, v58 offset:2048
	v_mov_b32_e32 v3, v20
	v_mov_b32_e32 v99, s61
	s_waitcnt lgkmcnt(0)
	v_cmp_ne_u32_e64 s[40:41], s76, v2
	v_cndmask_b32_e64 v38, v73, v2, s[40:41]
	v_lshrrev_b32_e32 v38, s77, v38
	v_and_b32_e32 v38, s86, v38
	v_lshlrev_b32_e32 v38, 2, v38
	ds_read_b32 v38, v38
	v_cmp_gt_i32_e64 s[40:41], 0, v2
	v_cndmask_b32_e64 v101, v73, 0, s[40:41]
	v_xor_b32_e32 v101, v101, v2
	s_waitcnt lgkmcnt(0)
	v_add_u32_e32 v2, v38, v25
	v_lshlrev_b64 v[2:3], 2, v[2:3]
	v_add_co_u32_e64 v2, s[40:41], s60, v2
	v_addc_co_u32_e64 v3, s[40:41], v99, v3, s[40:41]
	global_store_dword v[2:3], v101, off
	s_or_b64 exec, exec, s[42:43]
	v_cmp_lt_u32_e64 s[40:41], v27, v0
	s_and_saveexec_b64 s[44:45], s[40:41]
	s_cbranch_execnz .LBB1326_617
.LBB1326_610:                           ;   in Loop: Header=BB1326_566 Depth=2
	s_or_b64 exec, exec, s[44:45]
	v_cmp_lt_u32_e64 s[42:43], v22, v0
	s_and_saveexec_b64 s[46:47], s[42:43]
	s_cbranch_execz .LBB1326_618
.LBB1326_611:                           ;   in Loop: Header=BB1326_566 Depth=2
	ds_read_b32 v2, v58 offset:4096
	v_mov_b32_e32 v3, v20
	v_mov_b32_e32 v99, s61
	s_waitcnt lgkmcnt(0)
	v_cmp_ne_u32_e64 s[44:45], s76, v2
	v_cndmask_b32_e64 v38, v73, v2, s[44:45]
	v_lshrrev_b32_e32 v38, s77, v38
	v_and_b32_e32 v38, s86, v38
	v_lshlrev_b32_e32 v38, 2, v38
	ds_read_b32 v38, v38
	v_cmp_gt_i32_e64 s[44:45], 0, v2
	v_cndmask_b32_e64 v101, v73, 0, s[44:45]
	v_xor_b32_e32 v101, v101, v2
	s_waitcnt lgkmcnt(0)
	v_add_u32_e32 v2, v38, v22
	v_lshlrev_b64 v[2:3], 2, v[2:3]
	v_add_co_u32_e64 v2, s[44:45], s60, v2
	v_addc_co_u32_e64 v3, s[44:45], v99, v3, s[44:45]
	global_store_dword v[2:3], v101, off
	s_or_b64 exec, exec, s[46:47]
	v_cmp_lt_u32_e64 s[44:45], v24, v0
	s_and_saveexec_b64 s[48:49], s[44:45]
	s_cbranch_execnz .LBB1326_619
.LBB1326_612:                           ;   in Loop: Header=BB1326_566 Depth=2
	s_or_b64 exec, exec, s[48:49]
	v_cmp_lt_u32_e64 s[46:47], v26, v0
	s_and_saveexec_b64 s[52:53], s[46:47]
	s_cbranch_execz .LBB1326_620
.LBB1326_613:                           ;   in Loop: Header=BB1326_566 Depth=2
	ds_read_b32 v2, v58 offset:6144
	v_mov_b32_e32 v3, v20
	v_mov_b32_e32 v99, s61
	s_waitcnt lgkmcnt(0)
	v_cmp_ne_u32_e64 s[48:49], s76, v2
	v_cndmask_b32_e64 v38, v73, v2, s[48:49]
	v_lshrrev_b32_e32 v38, s77, v38
	v_and_b32_e32 v38, s86, v38
	v_lshlrev_b32_e32 v38, 2, v38
	ds_read_b32 v38, v38
	v_cmp_gt_i32_e64 s[48:49], 0, v2
	v_cndmask_b32_e64 v101, v73, 0, s[48:49]
	v_xor_b32_e32 v101, v101, v2
	s_waitcnt lgkmcnt(0)
	v_add_u32_e32 v2, v38, v26
	v_lshlrev_b64 v[2:3], 2, v[2:3]
	v_add_co_u32_e64 v2, s[48:49], s60, v2
	v_addc_co_u32_e64 v3, s[48:49], v99, v3, s[48:49]
	global_store_dword v[2:3], v101, off
	s_or_b64 exec, exec, s[52:53]
	v_cmp_lt_u32_e64 s[48:49], v28, v0
	s_and_saveexec_b64 s[62:63], s[48:49]
	s_cbranch_execnz .LBB1326_621
	s_branch .LBB1326_622
.LBB1326_614:                           ;   in Loop: Header=BB1326_566 Depth=2
	s_or_b64 exec, exec, s[38:39]
	v_cmp_lt_u32_e64 s[36:37], v23, v0
	s_and_saveexec_b64 s[40:41], s[36:37]
	s_cbranch_execz .LBB1326_608
.LBB1326_615:                           ;   in Loop: Header=BB1326_566 Depth=2
	ds_read_b32 v2, v58 offset:1024
	v_mov_b32_e32 v3, v20
	v_mov_b32_e32 v99, s61
	s_waitcnt lgkmcnt(0)
	v_cmp_ne_u32_e64 s[38:39], s76, v2
	v_cndmask_b32_e64 v38, v73, v2, s[38:39]
	v_lshrrev_b32_e32 v38, s77, v38
	v_and_b32_e32 v38, s86, v38
	v_lshlrev_b32_e32 v38, 2, v38
	ds_read_b32 v38, v38
	v_cmp_gt_i32_e64 s[38:39], 0, v2
	v_cndmask_b32_e64 v101, v73, 0, s[38:39]
	v_xor_b32_e32 v101, v101, v2
	s_waitcnt lgkmcnt(0)
	v_add_u32_e32 v2, v38, v23
	v_lshlrev_b64 v[2:3], 2, v[2:3]
	v_add_co_u32_e64 v2, s[38:39], s60, v2
	v_addc_co_u32_e64 v3, s[38:39], v99, v3, s[38:39]
	global_store_dword v[2:3], v101, off
	s_or_b64 exec, exec, s[40:41]
	v_cmp_lt_u32_e64 s[38:39], v25, v0
	s_and_saveexec_b64 s[42:43], s[38:39]
	s_cbranch_execnz .LBB1326_609
.LBB1326_616:                           ;   in Loop: Header=BB1326_566 Depth=2
	s_or_b64 exec, exec, s[42:43]
	v_cmp_lt_u32_e64 s[40:41], v27, v0
	s_and_saveexec_b64 s[44:45], s[40:41]
	s_cbranch_execz .LBB1326_610
.LBB1326_617:                           ;   in Loop: Header=BB1326_566 Depth=2
	ds_read_b32 v2, v58 offset:3072
	v_mov_b32_e32 v3, v20
	v_mov_b32_e32 v99, s61
	s_waitcnt lgkmcnt(0)
	v_cmp_ne_u32_e64 s[42:43], s76, v2
	v_cndmask_b32_e64 v38, v73, v2, s[42:43]
	v_lshrrev_b32_e32 v38, s77, v38
	v_and_b32_e32 v38, s86, v38
	v_lshlrev_b32_e32 v38, 2, v38
	ds_read_b32 v38, v38
	v_cmp_gt_i32_e64 s[42:43], 0, v2
	v_cndmask_b32_e64 v101, v73, 0, s[42:43]
	v_xor_b32_e32 v101, v101, v2
	s_waitcnt lgkmcnt(0)
	v_add_u32_e32 v2, v38, v27
	v_lshlrev_b64 v[2:3], 2, v[2:3]
	v_add_co_u32_e64 v2, s[42:43], s60, v2
	v_addc_co_u32_e64 v3, s[42:43], v99, v3, s[42:43]
	global_store_dword v[2:3], v101, off
	s_or_b64 exec, exec, s[44:45]
	v_cmp_lt_u32_e64 s[42:43], v22, v0
	s_and_saveexec_b64 s[46:47], s[42:43]
	s_cbranch_execnz .LBB1326_611
.LBB1326_618:                           ;   in Loop: Header=BB1326_566 Depth=2
	s_or_b64 exec, exec, s[46:47]
	v_cmp_lt_u32_e64 s[44:45], v24, v0
	s_and_saveexec_b64 s[48:49], s[44:45]
	s_cbranch_execz .LBB1326_612
.LBB1326_619:                           ;   in Loop: Header=BB1326_566 Depth=2
	ds_read_b32 v2, v58 offset:5120
	v_mov_b32_e32 v3, v20
	v_mov_b32_e32 v99, s61
	s_waitcnt lgkmcnt(0)
	v_cmp_ne_u32_e64 s[46:47], s76, v2
	v_cndmask_b32_e64 v38, v73, v2, s[46:47]
	v_lshrrev_b32_e32 v38, s77, v38
	v_and_b32_e32 v38, s86, v38
	v_lshlrev_b32_e32 v38, 2, v38
	ds_read_b32 v38, v38
	v_cmp_gt_i32_e64 s[46:47], 0, v2
	v_cndmask_b32_e64 v101, v73, 0, s[46:47]
	v_xor_b32_e32 v101, v101, v2
	s_waitcnt lgkmcnt(0)
	v_add_u32_e32 v2, v38, v24
	v_lshlrev_b64 v[2:3], 2, v[2:3]
	v_add_co_u32_e64 v2, s[46:47], s60, v2
	v_addc_co_u32_e64 v3, s[46:47], v99, v3, s[46:47]
	global_store_dword v[2:3], v101, off
	s_or_b64 exec, exec, s[48:49]
	v_cmp_lt_u32_e64 s[46:47], v26, v0
	s_and_saveexec_b64 s[52:53], s[46:47]
	s_cbranch_execnz .LBB1326_613
.LBB1326_620:                           ;   in Loop: Header=BB1326_566 Depth=2
	s_or_b64 exec, exec, s[52:53]
	v_cmp_lt_u32_e64 s[48:49], v28, v0
	s_and_saveexec_b64 s[62:63], s[48:49]
	s_cbranch_execz .LBB1326_622
.LBB1326_621:                           ;   in Loop: Header=BB1326_566 Depth=2
	ds_read_b32 v2, v58 offset:7168
	v_mov_b32_e32 v3, v20
	v_mov_b32_e32 v99, s61
	s_waitcnt lgkmcnt(0)
	v_cmp_ne_u32_e64 s[52:53], s76, v2
	v_cndmask_b32_e64 v38, v73, v2, s[52:53]
	v_lshrrev_b32_e32 v38, s77, v38
	v_and_b32_e32 v38, s86, v38
	v_lshlrev_b32_e32 v38, 2, v38
	ds_read_b32 v38, v38
	v_cmp_gt_i32_e64 s[52:53], 0, v2
	v_cndmask_b32_e64 v101, v73, 0, s[52:53]
	v_xor_b32_e32 v101, v101, v2
	s_waitcnt lgkmcnt(0)
	v_add_u32_e32 v2, v38, v28
	v_lshlrev_b64 v[2:3], 2, v[2:3]
	v_add_co_u32_e64 v2, s[52:53], s60, v2
	v_addc_co_u32_e64 v3, s[52:53], v99, v3, s[52:53]
	global_store_dword v[2:3], v101, off
.LBB1326_622:                           ;   in Loop: Header=BB1326_566 Depth=2
	s_or_b64 exec, exec, s[62:63]
	s_lshl_b64 s[52:53], s[80:81], 3
	v_mov_b32_e32 v3, s53
	v_add_co_u32_e64 v2, s[52:53], s52, v83
	v_addc_co_u32_e64 v3, s[52:53], v85, v3, s[52:53]
	v_cmp_lt_u32_e64 s[52:53], v80, v0
	s_and_saveexec_b64 s[62:63], s[52:53]
	s_xor_b64 s[52:53], exec, s[62:63]
	s_cbranch_execz .LBB1326_638
; %bb.623:                              ;   in Loop: Header=BB1326_566 Depth=2
	global_load_dwordx2 v[36:37], v[2:3], off
	s_or_b64 exec, exec, s[52:53]
	v_cmp_lt_u32_e64 s[52:53], v87, v0
	s_and_saveexec_b64 s[62:63], s[52:53]
	s_cbranch_execnz .LBB1326_639
.LBB1326_624:                           ;   in Loop: Header=BB1326_566 Depth=2
	s_or_b64 exec, exec, s[62:63]
	v_cmp_lt_u32_e64 s[52:53], v88, v0
	s_and_saveexec_b64 s[62:63], s[52:53]
	s_cbranch_execz .LBB1326_640
.LBB1326_625:                           ;   in Loop: Header=BB1326_566 Depth=2
	global_load_dwordx2 v[32:33], v[2:3], off offset:1024
	s_or_b64 exec, exec, s[62:63]
	v_cmp_lt_u32_e64 s[52:53], v89, v0
	s_and_saveexec_b64 s[62:63], s[52:53]
	s_cbranch_execnz .LBB1326_641
.LBB1326_626:                           ;   in Loop: Header=BB1326_566 Depth=2
	s_or_b64 exec, exec, s[62:63]
	v_cmp_lt_u32_e64 s[52:53], v90, v0
	s_and_saveexec_b64 s[62:63], s[52:53]
	s_cbranch_execz .LBB1326_642
.LBB1326_627:                           ;   in Loop: Header=BB1326_566 Depth=2
	global_load_dwordx2 v[16:17], v[2:3], off offset:2048
	s_or_b64 exec, exec, s[62:63]
	v_cmp_lt_u32_e64 s[52:53], v91, v0
	s_and_saveexec_b64 s[62:63], s[52:53]
	s_cbranch_execnz .LBB1326_643
.LBB1326_628:                           ;   in Loop: Header=BB1326_566 Depth=2
	s_or_b64 exec, exec, s[62:63]
	v_cmp_lt_u32_e64 s[52:53], v92, v0
	s_and_saveexec_b64 s[62:63], s[52:53]
	s_cbranch_execz .LBB1326_644
.LBB1326_629:                           ;   in Loop: Header=BB1326_566 Depth=2
	global_load_dwordx2 v[12:13], v[2:3], off offset:3072
	s_or_b64 exec, exec, s[62:63]
	v_cmp_lt_u32_e64 s[52:53], v93, v0
	s_and_saveexec_b64 s[62:63], s[52:53]
	s_cbranch_execnz .LBB1326_645
.LBB1326_630:                           ;   in Loop: Header=BB1326_566 Depth=2
	s_or_b64 exec, exec, s[62:63]
	s_and_saveexec_b64 s[62:63], vcc
	s_cbranch_execz .LBB1326_646
.LBB1326_631:                           ;   in Loop: Header=BB1326_566 Depth=2
	ds_read_b32 v0, v53 offset:1024
	s_waitcnt lgkmcnt(0)
	v_cmp_ne_u32_e64 s[52:53], s76, v0
	v_cndmask_b32_e64 v0, v73, v0, s[52:53]
	v_lshrrev_b32_e32 v0, s77, v0
	v_and_b32_e32 v86, s86, v0
	s_or_b64 exec, exec, s[62:63]
	s_and_saveexec_b64 s[62:63], s[36:37]
	s_cbranch_execnz .LBB1326_647
.LBB1326_632:                           ;   in Loop: Header=BB1326_566 Depth=2
	s_or_b64 exec, exec, s[62:63]
	s_and_saveexec_b64 s[62:63], s[38:39]
	s_cbranch_execz .LBB1326_648
.LBB1326_633:                           ;   in Loop: Header=BB1326_566 Depth=2
	ds_read_b32 v0, v58 offset:2048
	s_waitcnt lgkmcnt(0)
	v_cmp_ne_u32_e64 s[52:53], s76, v0
	v_cndmask_b32_e64 v0, v73, v0, s[52:53]
	v_lshrrev_b32_e32 v0, s77, v0
	v_and_b32_e32 v82, s86, v0
	s_or_b64 exec, exec, s[62:63]
	s_and_saveexec_b64 s[62:63], s[40:41]
	s_cbranch_execnz .LBB1326_649
.LBB1326_634:                           ;   in Loop: Header=BB1326_566 Depth=2
	s_or_b64 exec, exec, s[62:63]
	s_and_saveexec_b64 s[62:63], s[42:43]
	s_cbranch_execz .LBB1326_650
.LBB1326_635:                           ;   in Loop: Header=BB1326_566 Depth=2
	ds_read_b32 v0, v58 offset:4096
	s_waitcnt lgkmcnt(0)
	v_cmp_ne_u32_e64 s[52:53], s76, v0
	v_cndmask_b32_e64 v0, v73, v0, s[52:53]
	v_lshrrev_b32_e32 v0, s77, v0
	v_and_b32_e32 v79, s86, v0
	s_or_b64 exec, exec, s[62:63]
	s_and_saveexec_b64 s[62:63], s[44:45]
	s_cbranch_execnz .LBB1326_651
.LBB1326_636:                           ;   in Loop: Header=BB1326_566 Depth=2
	s_or_b64 exec, exec, s[62:63]
	s_and_saveexec_b64 s[62:63], s[46:47]
	s_cbranch_execz .LBB1326_652
.LBB1326_637:                           ;   in Loop: Header=BB1326_566 Depth=2
	ds_read_b32 v0, v58 offset:6144
	s_waitcnt lgkmcnt(0)
	v_cmp_ne_u32_e64 s[52:53], s76, v0
	v_cndmask_b32_e64 v0, v73, v0, s[52:53]
	v_lshrrev_b32_e32 v0, s77, v0
	v_and_b32_e32 v77, s86, v0
	s_or_b64 exec, exec, s[62:63]
	s_and_saveexec_b64 s[62:63], s[48:49]
	s_cbranch_execnz .LBB1326_653
	s_branch .LBB1326_654
.LBB1326_638:                           ;   in Loop: Header=BB1326_566 Depth=2
	s_or_b64 exec, exec, s[52:53]
	v_cmp_lt_u32_e64 s[52:53], v87, v0
	s_and_saveexec_b64 s[62:63], s[52:53]
	s_cbranch_execz .LBB1326_624
.LBB1326_639:                           ;   in Loop: Header=BB1326_566 Depth=2
	global_load_dwordx2 v[34:35], v[2:3], off offset:512
	s_or_b64 exec, exec, s[62:63]
	v_cmp_lt_u32_e64 s[52:53], v88, v0
	s_and_saveexec_b64 s[62:63], s[52:53]
	s_cbranch_execnz .LBB1326_625
.LBB1326_640:                           ;   in Loop: Header=BB1326_566 Depth=2
	s_or_b64 exec, exec, s[62:63]
	v_cmp_lt_u32_e64 s[52:53], v89, v0
	s_and_saveexec_b64 s[62:63], s[52:53]
	s_cbranch_execz .LBB1326_626
.LBB1326_641:                           ;   in Loop: Header=BB1326_566 Depth=2
	global_load_dwordx2 v[30:31], v[2:3], off offset:1536
	s_or_b64 exec, exec, s[62:63]
	v_cmp_lt_u32_e64 s[52:53], v90, v0
	s_and_saveexec_b64 s[62:63], s[52:53]
	s_cbranch_execnz .LBB1326_627
.LBB1326_642:                           ;   in Loop: Header=BB1326_566 Depth=2
	s_or_b64 exec, exec, s[62:63]
	v_cmp_lt_u32_e64 s[52:53], v91, v0
	s_and_saveexec_b64 s[62:63], s[52:53]
	s_cbranch_execz .LBB1326_628
.LBB1326_643:                           ;   in Loop: Header=BB1326_566 Depth=2
	global_load_dwordx2 v[14:15], v[2:3], off offset:2560
	s_or_b64 exec, exec, s[62:63]
	v_cmp_lt_u32_e64 s[52:53], v92, v0
	s_and_saveexec_b64 s[62:63], s[52:53]
	s_cbranch_execnz .LBB1326_629
.LBB1326_644:                           ;   in Loop: Header=BB1326_566 Depth=2
	s_or_b64 exec, exec, s[62:63]
	v_cmp_lt_u32_e64 s[52:53], v93, v0
	s_and_saveexec_b64 s[62:63], s[52:53]
	s_cbranch_execz .LBB1326_630
.LBB1326_645:                           ;   in Loop: Header=BB1326_566 Depth=2
	global_load_dwordx2 v[10:11], v[2:3], off offset:3584
	s_or_b64 exec, exec, s[62:63]
	s_and_saveexec_b64 s[62:63], vcc
	s_cbranch_execnz .LBB1326_631
.LBB1326_646:                           ;   in Loop: Header=BB1326_566 Depth=2
	s_or_b64 exec, exec, s[62:63]
	s_and_saveexec_b64 s[62:63], s[36:37]
	s_cbranch_execz .LBB1326_632
.LBB1326_647:                           ;   in Loop: Header=BB1326_566 Depth=2
	ds_read_b32 v0, v58 offset:1024
	s_waitcnt lgkmcnt(0)
	v_cmp_ne_u32_e64 s[52:53], s76, v0
	v_cndmask_b32_e64 v0, v73, v0, s[52:53]
	v_lshrrev_b32_e32 v0, s77, v0
	v_and_b32_e32 v84, s86, v0
	s_or_b64 exec, exec, s[62:63]
	s_and_saveexec_b64 s[62:63], s[38:39]
	s_cbranch_execnz .LBB1326_633
.LBB1326_648:                           ;   in Loop: Header=BB1326_566 Depth=2
	s_or_b64 exec, exec, s[62:63]
	s_and_saveexec_b64 s[62:63], s[40:41]
	s_cbranch_execz .LBB1326_634
.LBB1326_649:                           ;   in Loop: Header=BB1326_566 Depth=2
	ds_read_b32 v0, v58 offset:3072
	s_waitcnt lgkmcnt(0)
	v_cmp_ne_u32_e64 s[52:53], s76, v0
	v_cndmask_b32_e64 v0, v73, v0, s[52:53]
	v_lshrrev_b32_e32 v0, s77, v0
	v_and_b32_e32 v81, s86, v0
	s_or_b64 exec, exec, s[62:63]
	s_and_saveexec_b64 s[62:63], s[42:43]
	s_cbranch_execnz .LBB1326_635
.LBB1326_650:                           ;   in Loop: Header=BB1326_566 Depth=2
	s_or_b64 exec, exec, s[62:63]
	s_and_saveexec_b64 s[62:63], s[44:45]
	s_cbranch_execz .LBB1326_636
.LBB1326_651:                           ;   in Loop: Header=BB1326_566 Depth=2
	ds_read_b32 v0, v58 offset:5120
	s_waitcnt lgkmcnt(0)
	v_cmp_ne_u32_e64 s[52:53], s76, v0
	v_cndmask_b32_e64 v0, v73, v0, s[52:53]
	v_lshrrev_b32_e32 v0, s77, v0
	v_and_b32_e32 v78, s86, v0
	s_or_b64 exec, exec, s[62:63]
	s_and_saveexec_b64 s[62:63], s[46:47]
	s_cbranch_execnz .LBB1326_637
.LBB1326_652:                           ;   in Loop: Header=BB1326_566 Depth=2
	s_or_b64 exec, exec, s[62:63]
	s_and_saveexec_b64 s[62:63], s[48:49]
	s_cbranch_execz .LBB1326_654
.LBB1326_653:                           ;   in Loop: Header=BB1326_566 Depth=2
	ds_read_b32 v0, v58 offset:7168
	s_waitcnt lgkmcnt(0)
	v_cmp_ne_u32_e64 s[52:53], s76, v0
	v_cndmask_b32_e64 v0, v73, v0, s[52:53]
	v_lshrrev_b32_e32 v0, s77, v0
	v_and_b32_e32 v76, s86, v0
.LBB1326_654:                           ;   in Loop: Header=BB1326_566 Depth=2
	s_or_b64 exec, exec, s[62:63]
	v_lshlrev_b32_e32 v0, 3, v100
	s_barrier
	s_waitcnt vmcnt(0)
	ds_write_b64 v0, v[36:37] offset:1024
	v_lshlrev_b32_e32 v0, 3, v39
	ds_write_b64 v0, v[34:35] offset:1024
	v_lshlrev_b32_e32 v0, 3, v21
	;; [unrolled: 2-line block ×7, first 2 shown]
	ds_write_b64 v0, v[10:11] offset:1024
	s_waitcnt lgkmcnt(0)
	s_barrier
	s_and_saveexec_b64 s[52:53], vcc
	s_cbranch_execz .LBB1326_662
; %bb.655:                              ;   in Loop: Header=BB1326_566 Depth=2
	v_lshlrev_b32_e32 v0, 2, v86
	ds_read_b32 v0, v0
	v_add_u32_e32 v2, v53, v19
	ds_read_b64 v[2:3], v2 offset:1024
	v_mov_b32_e32 v7, v20
	v_mov_b32_e32 v5, s75
	s_waitcnt lgkmcnt(1)
	v_add_u32_e32 v6, v0, v18
	v_lshlrev_b64 v[6:7], 3, v[6:7]
	v_add_co_u32_e32 v6, vcc, s74, v6
	v_addc_co_u32_e32 v7, vcc, v5, v7, vcc
	s_waitcnt lgkmcnt(0)
	global_store_dwordx2 v[6:7], v[2:3], off
	s_or_b64 exec, exec, s[52:53]
	v_add_u32_e32 v0, v58, v19
	s_and_saveexec_b64 s[52:53], s[36:37]
	s_cbranch_execnz .LBB1326_663
.LBB1326_656:                           ;   in Loop: Header=BB1326_566 Depth=2
	s_or_b64 exec, exec, s[52:53]
	s_and_saveexec_b64 s[36:37], s[38:39]
	s_cbranch_execz .LBB1326_664
.LBB1326_657:                           ;   in Loop: Header=BB1326_566 Depth=2
	v_lshlrev_b32_e32 v2, 2, v82
	ds_read_b32 v5, v2
	ds_read_b64 v[2:3], v0 offset:4096
	v_mov_b32_e32 v7, v20
	v_mov_b32_e32 v8, s75
	s_waitcnt lgkmcnt(1)
	v_add_u32_e32 v6, v5, v25
	v_lshlrev_b64 v[6:7], 3, v[6:7]
	v_add_co_u32_e32 v6, vcc, s74, v6
	v_addc_co_u32_e32 v7, vcc, v8, v7, vcc
	s_waitcnt lgkmcnt(0)
	global_store_dwordx2 v[6:7], v[2:3], off
	s_or_b64 exec, exec, s[36:37]
	s_and_saveexec_b64 s[36:37], s[40:41]
	s_cbranch_execnz .LBB1326_665
.LBB1326_658:                           ;   in Loop: Header=BB1326_566 Depth=2
	s_or_b64 exec, exec, s[36:37]
	s_and_saveexec_b64 s[36:37], s[42:43]
	s_cbranch_execz .LBB1326_666
.LBB1326_659:                           ;   in Loop: Header=BB1326_566 Depth=2
	v_lshlrev_b32_e32 v2, 2, v79
	ds_read_b32 v5, v2
	ds_read_b64 v[2:3], v0 offset:8192
	v_mov_b32_e32 v7, v20
	v_mov_b32_e32 v8, s75
	s_waitcnt lgkmcnt(1)
	v_add_u32_e32 v6, v5, v22
	v_lshlrev_b64 v[6:7], 3, v[6:7]
	v_add_co_u32_e32 v6, vcc, s74, v6
	v_addc_co_u32_e32 v7, vcc, v8, v7, vcc
	s_waitcnt lgkmcnt(0)
	global_store_dwordx2 v[6:7], v[2:3], off
	s_or_b64 exec, exec, s[36:37]
	s_and_saveexec_b64 s[36:37], s[44:45]
	s_cbranch_execnz .LBB1326_667
.LBB1326_660:                           ;   in Loop: Header=BB1326_566 Depth=2
	s_or_b64 exec, exec, s[36:37]
	s_and_saveexec_b64 s[36:37], s[46:47]
	s_cbranch_execz .LBB1326_668
.LBB1326_661:                           ;   in Loop: Header=BB1326_566 Depth=2
	v_lshlrev_b32_e32 v2, 2, v77
	ds_read_b32 v5, v2
	ds_read_b64 v[2:3], v0 offset:12288
	v_mov_b32_e32 v7, v20
	v_mov_b32_e32 v8, s75
	s_waitcnt lgkmcnt(1)
	v_add_u32_e32 v6, v5, v26
	v_lshlrev_b64 v[6:7], 3, v[6:7]
	v_add_co_u32_e32 v6, vcc, s74, v6
	v_addc_co_u32_e32 v7, vcc, v8, v7, vcc
	s_waitcnt lgkmcnt(0)
	global_store_dwordx2 v[6:7], v[2:3], off
	s_or_b64 exec, exec, s[36:37]
	s_and_saveexec_b64 s[36:37], s[48:49]
	s_cbranch_execnz .LBB1326_669
	s_branch .LBB1326_670
.LBB1326_662:                           ;   in Loop: Header=BB1326_566 Depth=2
	s_or_b64 exec, exec, s[52:53]
	v_add_u32_e32 v0, v58, v19
	s_and_saveexec_b64 s[52:53], s[36:37]
	s_cbranch_execz .LBB1326_656
.LBB1326_663:                           ;   in Loop: Header=BB1326_566 Depth=2
	v_lshlrev_b32_e32 v2, 2, v84
	ds_read_b32 v5, v2
	ds_read_b64 v[2:3], v0 offset:2048
	v_mov_b32_e32 v7, v20
	v_mov_b32_e32 v8, s75
	s_waitcnt lgkmcnt(1)
	v_add_u32_e32 v6, v5, v23
	v_lshlrev_b64 v[6:7], 3, v[6:7]
	v_add_co_u32_e32 v6, vcc, s74, v6
	v_addc_co_u32_e32 v7, vcc, v8, v7, vcc
	s_waitcnt lgkmcnt(0)
	global_store_dwordx2 v[6:7], v[2:3], off
	s_or_b64 exec, exec, s[52:53]
	s_and_saveexec_b64 s[36:37], s[38:39]
	s_cbranch_execnz .LBB1326_657
.LBB1326_664:                           ;   in Loop: Header=BB1326_566 Depth=2
	s_or_b64 exec, exec, s[36:37]
	s_and_saveexec_b64 s[36:37], s[40:41]
	s_cbranch_execz .LBB1326_658
.LBB1326_665:                           ;   in Loop: Header=BB1326_566 Depth=2
	v_lshlrev_b32_e32 v2, 2, v81
	ds_read_b32 v5, v2
	ds_read_b64 v[2:3], v0 offset:6144
	v_mov_b32_e32 v7, v20
	v_mov_b32_e32 v8, s75
	s_waitcnt lgkmcnt(1)
	v_add_u32_e32 v6, v5, v27
	v_lshlrev_b64 v[6:7], 3, v[6:7]
	v_add_co_u32_e32 v6, vcc, s74, v6
	v_addc_co_u32_e32 v7, vcc, v8, v7, vcc
	s_waitcnt lgkmcnt(0)
	global_store_dwordx2 v[6:7], v[2:3], off
	s_or_b64 exec, exec, s[36:37]
	s_and_saveexec_b64 s[36:37], s[42:43]
	s_cbranch_execnz .LBB1326_659
.LBB1326_666:                           ;   in Loop: Header=BB1326_566 Depth=2
	s_or_b64 exec, exec, s[36:37]
	s_and_saveexec_b64 s[36:37], s[44:45]
	s_cbranch_execz .LBB1326_660
.LBB1326_667:                           ;   in Loop: Header=BB1326_566 Depth=2
	v_lshlrev_b32_e32 v2, 2, v78
	ds_read_b32 v5, v2
	ds_read_b64 v[2:3], v0 offset:10240
	v_mov_b32_e32 v7, v20
	v_mov_b32_e32 v8, s75
	s_waitcnt lgkmcnt(1)
	v_add_u32_e32 v6, v5, v24
	v_lshlrev_b64 v[6:7], 3, v[6:7]
	v_add_co_u32_e32 v6, vcc, s74, v6
	v_addc_co_u32_e32 v7, vcc, v8, v7, vcc
	s_waitcnt lgkmcnt(0)
	global_store_dwordx2 v[6:7], v[2:3], off
	s_or_b64 exec, exec, s[36:37]
	s_and_saveexec_b64 s[36:37], s[46:47]
	s_cbranch_execnz .LBB1326_661
.LBB1326_668:                           ;   in Loop: Header=BB1326_566 Depth=2
	s_or_b64 exec, exec, s[36:37]
	s_and_saveexec_b64 s[36:37], s[48:49]
	s_cbranch_execz .LBB1326_670
.LBB1326_669:                           ;   in Loop: Header=BB1326_566 Depth=2
	v_lshlrev_b32_e32 v2, 2, v76
	ds_read_b32 v5, v2
	ds_read_b64 v[2:3], v0 offset:14336
	v_mov_b32_e32 v7, v20
	v_mov_b32_e32 v0, s75
	s_waitcnt lgkmcnt(1)
	v_add_u32_e32 v6, v5, v28
	v_lshlrev_b64 v[6:7], 3, v[6:7]
	v_add_co_u32_e32 v6, vcc, s74, v6
	v_addc_co_u32_e32 v7, vcc, v0, v7, vcc
	s_waitcnt lgkmcnt(0)
	global_store_dwordx2 v[6:7], v[2:3], off
.LBB1326_670:                           ;   in Loop: Header=BB1326_566 Depth=2
	s_or_b64 exec, exec, s[36:37]
	s_barrier
	s_and_saveexec_b64 s[36:37], s[4:5]
	s_cbranch_execz .LBB1326_565
; %bb.671:                              ;   in Loop: Header=BB1326_566 Depth=2
	ds_read_b32 v0, v19
	s_waitcnt lgkmcnt(0)
	v_add_u32_e32 v0, v0, v4
	ds_write_b32 v19, v0
	s_branch .LBB1326_565
.LBB1326_672:                           ;   in Loop: Header=BB1326_566 Depth=2
	s_or_b64 exec, exec, s[36:37]
	v_cmp_gt_u32_e32 vcc, s87, v87
	s_and_saveexec_b64 s[36:37], vcc
	s_cbranch_execz .LBB1326_571
.LBB1326_673:                           ;   in Loop: Header=BB1326_566 Depth=2
	global_load_dword v3, v[38:39], off offset:256
	s_or_b64 exec, exec, s[36:37]
	v_cmp_gt_u32_e32 vcc, s87, v88
	s_and_saveexec_b64 s[36:37], vcc
	s_cbranch_execnz .LBB1326_572
.LBB1326_674:                           ;   in Loop: Header=BB1326_566 Depth=2
	s_or_b64 exec, exec, s[36:37]
	v_cmp_gt_u32_e32 vcc, s87, v89
	s_and_saveexec_b64 s[36:37], vcc
	s_cbranch_execz .LBB1326_573
.LBB1326_675:                           ;   in Loop: Header=BB1326_566 Depth=2
	global_load_dword v5, v[38:39], off offset:768
	s_or_b64 exec, exec, s[36:37]
	v_cmp_gt_u32_e32 vcc, s87, v90
	s_and_saveexec_b64 s[36:37], vcc
	s_cbranch_execnz .LBB1326_574
.LBB1326_676:                           ;   in Loop: Header=BB1326_566 Depth=2
	s_or_b64 exec, exec, s[36:37]
	v_cmp_gt_u32_e32 vcc, s87, v91
	s_and_saveexec_b64 s[36:37], vcc
	s_cbranch_execz .LBB1326_575
.LBB1326_677:                           ;   in Loop: Header=BB1326_566 Depth=2
	global_load_dword v7, v[38:39], off offset:1280
	s_or_b64 exec, exec, s[36:37]
	v_cmp_gt_u32_e32 vcc, s87, v92
	s_and_saveexec_b64 s[36:37], vcc
	s_cbranch_execnz .LBB1326_576
	s_branch .LBB1326_577
.LBB1326_678:
	s_endpgm
	.section	.rodata,"a",@progbits
	.p2align	6, 0x0
	.amdhsa_kernel _ZN7rocprim17ROCPRIM_400000_NS6detail17trampoline_kernelINS0_14default_configENS1_36segmented_radix_sort_config_selectorIflEEZNS1_25segmented_radix_sort_implIS3_Lb1EPKfPfPKlPlN2at6native12_GLOBAL__N_18offset_tEEE10hipError_tPvRmT1_PNSt15iterator_traitsISK_E10value_typeET2_T3_PNSL_ISQ_E10value_typeET4_jRbjT5_SW_jjP12ihipStream_tbEUlT_E_NS1_11comp_targetILNS1_3genE4ELNS1_11target_archE910ELNS1_3gpuE8ELNS1_3repE0EEENS1_30default_config_static_selectorELNS0_4arch9wavefront6targetE1EEEvSK_
		.amdhsa_group_segment_fixed_size 17424
		.amdhsa_private_segment_fixed_size 8
		.amdhsa_kernarg_size 352
		.amdhsa_user_sgpr_count 8
		.amdhsa_user_sgpr_private_segment_buffer 1
		.amdhsa_user_sgpr_dispatch_ptr 0
		.amdhsa_user_sgpr_queue_ptr 0
		.amdhsa_user_sgpr_kernarg_segment_ptr 1
		.amdhsa_user_sgpr_dispatch_id 0
		.amdhsa_user_sgpr_flat_scratch_init 1
		.amdhsa_user_sgpr_kernarg_preload_length 0
		.amdhsa_user_sgpr_kernarg_preload_offset 0
		.amdhsa_user_sgpr_private_segment_size 0
		.amdhsa_uses_dynamic_stack 0
		.amdhsa_system_sgpr_private_segment_wavefront_offset 1
		.amdhsa_system_sgpr_workgroup_id_x 1
		.amdhsa_system_sgpr_workgroup_id_y 1
		.amdhsa_system_sgpr_workgroup_id_z 0
		.amdhsa_system_sgpr_workgroup_info 0
		.amdhsa_system_vgpr_workitem_id 2
		.amdhsa_next_free_vgpr 195
		.amdhsa_next_free_sgpr 89
		.amdhsa_accum_offset 196
		.amdhsa_reserve_vcc 1
		.amdhsa_reserve_flat_scratch 1
		.amdhsa_float_round_mode_32 0
		.amdhsa_float_round_mode_16_64 0
		.amdhsa_float_denorm_mode_32 3
		.amdhsa_float_denorm_mode_16_64 3
		.amdhsa_dx10_clamp 1
		.amdhsa_ieee_mode 1
		.amdhsa_fp16_overflow 0
		.amdhsa_tg_split 0
		.amdhsa_exception_fp_ieee_invalid_op 0
		.amdhsa_exception_fp_denorm_src 0
		.amdhsa_exception_fp_ieee_div_zero 0
		.amdhsa_exception_fp_ieee_overflow 0
		.amdhsa_exception_fp_ieee_underflow 0
		.amdhsa_exception_fp_ieee_inexact 0
		.amdhsa_exception_int_div_zero 0
	.end_amdhsa_kernel
	.section	.text._ZN7rocprim17ROCPRIM_400000_NS6detail17trampoline_kernelINS0_14default_configENS1_36segmented_radix_sort_config_selectorIflEEZNS1_25segmented_radix_sort_implIS3_Lb1EPKfPfPKlPlN2at6native12_GLOBAL__N_18offset_tEEE10hipError_tPvRmT1_PNSt15iterator_traitsISK_E10value_typeET2_T3_PNSL_ISQ_E10value_typeET4_jRbjT5_SW_jjP12ihipStream_tbEUlT_E_NS1_11comp_targetILNS1_3genE4ELNS1_11target_archE910ELNS1_3gpuE8ELNS1_3repE0EEENS1_30default_config_static_selectorELNS0_4arch9wavefront6targetE1EEEvSK_,"axG",@progbits,_ZN7rocprim17ROCPRIM_400000_NS6detail17trampoline_kernelINS0_14default_configENS1_36segmented_radix_sort_config_selectorIflEEZNS1_25segmented_radix_sort_implIS3_Lb1EPKfPfPKlPlN2at6native12_GLOBAL__N_18offset_tEEE10hipError_tPvRmT1_PNSt15iterator_traitsISK_E10value_typeET2_T3_PNSL_ISQ_E10value_typeET4_jRbjT5_SW_jjP12ihipStream_tbEUlT_E_NS1_11comp_targetILNS1_3genE4ELNS1_11target_archE910ELNS1_3gpuE8ELNS1_3repE0EEENS1_30default_config_static_selectorELNS0_4arch9wavefront6targetE1EEEvSK_,comdat
.Lfunc_end1326:
	.size	_ZN7rocprim17ROCPRIM_400000_NS6detail17trampoline_kernelINS0_14default_configENS1_36segmented_radix_sort_config_selectorIflEEZNS1_25segmented_radix_sort_implIS3_Lb1EPKfPfPKlPlN2at6native12_GLOBAL__N_18offset_tEEE10hipError_tPvRmT1_PNSt15iterator_traitsISK_E10value_typeET2_T3_PNSL_ISQ_E10value_typeET4_jRbjT5_SW_jjP12ihipStream_tbEUlT_E_NS1_11comp_targetILNS1_3genE4ELNS1_11target_archE910ELNS1_3gpuE8ELNS1_3repE0EEENS1_30default_config_static_selectorELNS0_4arch9wavefront6targetE1EEEvSK_, .Lfunc_end1326-_ZN7rocprim17ROCPRIM_400000_NS6detail17trampoline_kernelINS0_14default_configENS1_36segmented_radix_sort_config_selectorIflEEZNS1_25segmented_radix_sort_implIS3_Lb1EPKfPfPKlPlN2at6native12_GLOBAL__N_18offset_tEEE10hipError_tPvRmT1_PNSt15iterator_traitsISK_E10value_typeET2_T3_PNSL_ISQ_E10value_typeET4_jRbjT5_SW_jjP12ihipStream_tbEUlT_E_NS1_11comp_targetILNS1_3genE4ELNS1_11target_archE910ELNS1_3gpuE8ELNS1_3repE0EEENS1_30default_config_static_selectorELNS0_4arch9wavefront6targetE1EEEvSK_
                                        ; -- End function
	.section	.AMDGPU.csdata,"",@progbits
; Kernel info:
; codeLenInByte = 39048
; NumSgprs: 95
; NumVgprs: 195
; NumAgprs: 0
; TotalNumVgprs: 195
; ScratchSize: 8
; MemoryBound: 0
; FloatMode: 240
; IeeeMode: 1
; LDSByteSize: 17424 bytes/workgroup (compile time only)
; SGPRBlocks: 11
; VGPRBlocks: 24
; NumSGPRsForWavesPerEU: 95
; NumVGPRsForWavesPerEU: 195
; AccumOffset: 196
; Occupancy: 2
; WaveLimiterHint : 1
; COMPUTE_PGM_RSRC2:SCRATCH_EN: 1
; COMPUTE_PGM_RSRC2:USER_SGPR: 8
; COMPUTE_PGM_RSRC2:TRAP_HANDLER: 0
; COMPUTE_PGM_RSRC2:TGID_X_EN: 1
; COMPUTE_PGM_RSRC2:TGID_Y_EN: 1
; COMPUTE_PGM_RSRC2:TGID_Z_EN: 0
; COMPUTE_PGM_RSRC2:TIDIG_COMP_CNT: 2
; COMPUTE_PGM_RSRC3_GFX90A:ACCUM_OFFSET: 48
; COMPUTE_PGM_RSRC3_GFX90A:TG_SPLIT: 0
	.section	.text._ZN7rocprim17ROCPRIM_400000_NS6detail17trampoline_kernelINS0_14default_configENS1_36segmented_radix_sort_config_selectorIflEEZNS1_25segmented_radix_sort_implIS3_Lb1EPKfPfPKlPlN2at6native12_GLOBAL__N_18offset_tEEE10hipError_tPvRmT1_PNSt15iterator_traitsISK_E10value_typeET2_T3_PNSL_ISQ_E10value_typeET4_jRbjT5_SW_jjP12ihipStream_tbEUlT_E_NS1_11comp_targetILNS1_3genE3ELNS1_11target_archE908ELNS1_3gpuE7ELNS1_3repE0EEENS1_30default_config_static_selectorELNS0_4arch9wavefront6targetE1EEEvSK_,"axG",@progbits,_ZN7rocprim17ROCPRIM_400000_NS6detail17trampoline_kernelINS0_14default_configENS1_36segmented_radix_sort_config_selectorIflEEZNS1_25segmented_radix_sort_implIS3_Lb1EPKfPfPKlPlN2at6native12_GLOBAL__N_18offset_tEEE10hipError_tPvRmT1_PNSt15iterator_traitsISK_E10value_typeET2_T3_PNSL_ISQ_E10value_typeET4_jRbjT5_SW_jjP12ihipStream_tbEUlT_E_NS1_11comp_targetILNS1_3genE3ELNS1_11target_archE908ELNS1_3gpuE7ELNS1_3repE0EEENS1_30default_config_static_selectorELNS0_4arch9wavefront6targetE1EEEvSK_,comdat
	.globl	_ZN7rocprim17ROCPRIM_400000_NS6detail17trampoline_kernelINS0_14default_configENS1_36segmented_radix_sort_config_selectorIflEEZNS1_25segmented_radix_sort_implIS3_Lb1EPKfPfPKlPlN2at6native12_GLOBAL__N_18offset_tEEE10hipError_tPvRmT1_PNSt15iterator_traitsISK_E10value_typeET2_T3_PNSL_ISQ_E10value_typeET4_jRbjT5_SW_jjP12ihipStream_tbEUlT_E_NS1_11comp_targetILNS1_3genE3ELNS1_11target_archE908ELNS1_3gpuE7ELNS1_3repE0EEENS1_30default_config_static_selectorELNS0_4arch9wavefront6targetE1EEEvSK_ ; -- Begin function _ZN7rocprim17ROCPRIM_400000_NS6detail17trampoline_kernelINS0_14default_configENS1_36segmented_radix_sort_config_selectorIflEEZNS1_25segmented_radix_sort_implIS3_Lb1EPKfPfPKlPlN2at6native12_GLOBAL__N_18offset_tEEE10hipError_tPvRmT1_PNSt15iterator_traitsISK_E10value_typeET2_T3_PNSL_ISQ_E10value_typeET4_jRbjT5_SW_jjP12ihipStream_tbEUlT_E_NS1_11comp_targetILNS1_3genE3ELNS1_11target_archE908ELNS1_3gpuE7ELNS1_3repE0EEENS1_30default_config_static_selectorELNS0_4arch9wavefront6targetE1EEEvSK_
	.p2align	8
	.type	_ZN7rocprim17ROCPRIM_400000_NS6detail17trampoline_kernelINS0_14default_configENS1_36segmented_radix_sort_config_selectorIflEEZNS1_25segmented_radix_sort_implIS3_Lb1EPKfPfPKlPlN2at6native12_GLOBAL__N_18offset_tEEE10hipError_tPvRmT1_PNSt15iterator_traitsISK_E10value_typeET2_T3_PNSL_ISQ_E10value_typeET4_jRbjT5_SW_jjP12ihipStream_tbEUlT_E_NS1_11comp_targetILNS1_3genE3ELNS1_11target_archE908ELNS1_3gpuE7ELNS1_3repE0EEENS1_30default_config_static_selectorELNS0_4arch9wavefront6targetE1EEEvSK_,@function
_ZN7rocprim17ROCPRIM_400000_NS6detail17trampoline_kernelINS0_14default_configENS1_36segmented_radix_sort_config_selectorIflEEZNS1_25segmented_radix_sort_implIS3_Lb1EPKfPfPKlPlN2at6native12_GLOBAL__N_18offset_tEEE10hipError_tPvRmT1_PNSt15iterator_traitsISK_E10value_typeET2_T3_PNSL_ISQ_E10value_typeET4_jRbjT5_SW_jjP12ihipStream_tbEUlT_E_NS1_11comp_targetILNS1_3genE3ELNS1_11target_archE908ELNS1_3gpuE7ELNS1_3repE0EEENS1_30default_config_static_selectorELNS0_4arch9wavefront6targetE1EEEvSK_: ; @_ZN7rocprim17ROCPRIM_400000_NS6detail17trampoline_kernelINS0_14default_configENS1_36segmented_radix_sort_config_selectorIflEEZNS1_25segmented_radix_sort_implIS3_Lb1EPKfPfPKlPlN2at6native12_GLOBAL__N_18offset_tEEE10hipError_tPvRmT1_PNSt15iterator_traitsISK_E10value_typeET2_T3_PNSL_ISQ_E10value_typeET4_jRbjT5_SW_jjP12ihipStream_tbEUlT_E_NS1_11comp_targetILNS1_3genE3ELNS1_11target_archE908ELNS1_3gpuE7ELNS1_3repE0EEENS1_30default_config_static_selectorELNS0_4arch9wavefront6targetE1EEEvSK_
; %bb.0:
	.section	.rodata,"a",@progbits
	.p2align	6, 0x0
	.amdhsa_kernel _ZN7rocprim17ROCPRIM_400000_NS6detail17trampoline_kernelINS0_14default_configENS1_36segmented_radix_sort_config_selectorIflEEZNS1_25segmented_radix_sort_implIS3_Lb1EPKfPfPKlPlN2at6native12_GLOBAL__N_18offset_tEEE10hipError_tPvRmT1_PNSt15iterator_traitsISK_E10value_typeET2_T3_PNSL_ISQ_E10value_typeET4_jRbjT5_SW_jjP12ihipStream_tbEUlT_E_NS1_11comp_targetILNS1_3genE3ELNS1_11target_archE908ELNS1_3gpuE7ELNS1_3repE0EEENS1_30default_config_static_selectorELNS0_4arch9wavefront6targetE1EEEvSK_
		.amdhsa_group_segment_fixed_size 0
		.amdhsa_private_segment_fixed_size 0
		.amdhsa_kernarg_size 96
		.amdhsa_user_sgpr_count 6
		.amdhsa_user_sgpr_private_segment_buffer 1
		.amdhsa_user_sgpr_dispatch_ptr 0
		.amdhsa_user_sgpr_queue_ptr 0
		.amdhsa_user_sgpr_kernarg_segment_ptr 1
		.amdhsa_user_sgpr_dispatch_id 0
		.amdhsa_user_sgpr_flat_scratch_init 0
		.amdhsa_user_sgpr_kernarg_preload_length 0
		.amdhsa_user_sgpr_kernarg_preload_offset 0
		.amdhsa_user_sgpr_private_segment_size 0
		.amdhsa_uses_dynamic_stack 0
		.amdhsa_system_sgpr_private_segment_wavefront_offset 0
		.amdhsa_system_sgpr_workgroup_id_x 1
		.amdhsa_system_sgpr_workgroup_id_y 0
		.amdhsa_system_sgpr_workgroup_id_z 0
		.amdhsa_system_sgpr_workgroup_info 0
		.amdhsa_system_vgpr_workitem_id 0
		.amdhsa_next_free_vgpr 1
		.amdhsa_next_free_sgpr 0
		.amdhsa_accum_offset 4
		.amdhsa_reserve_vcc 0
		.amdhsa_reserve_flat_scratch 0
		.amdhsa_float_round_mode_32 0
		.amdhsa_float_round_mode_16_64 0
		.amdhsa_float_denorm_mode_32 3
		.amdhsa_float_denorm_mode_16_64 3
		.amdhsa_dx10_clamp 1
		.amdhsa_ieee_mode 1
		.amdhsa_fp16_overflow 0
		.amdhsa_tg_split 0
		.amdhsa_exception_fp_ieee_invalid_op 0
		.amdhsa_exception_fp_denorm_src 0
		.amdhsa_exception_fp_ieee_div_zero 0
		.amdhsa_exception_fp_ieee_overflow 0
		.amdhsa_exception_fp_ieee_underflow 0
		.amdhsa_exception_fp_ieee_inexact 0
		.amdhsa_exception_int_div_zero 0
	.end_amdhsa_kernel
	.section	.text._ZN7rocprim17ROCPRIM_400000_NS6detail17trampoline_kernelINS0_14default_configENS1_36segmented_radix_sort_config_selectorIflEEZNS1_25segmented_radix_sort_implIS3_Lb1EPKfPfPKlPlN2at6native12_GLOBAL__N_18offset_tEEE10hipError_tPvRmT1_PNSt15iterator_traitsISK_E10value_typeET2_T3_PNSL_ISQ_E10value_typeET4_jRbjT5_SW_jjP12ihipStream_tbEUlT_E_NS1_11comp_targetILNS1_3genE3ELNS1_11target_archE908ELNS1_3gpuE7ELNS1_3repE0EEENS1_30default_config_static_selectorELNS0_4arch9wavefront6targetE1EEEvSK_,"axG",@progbits,_ZN7rocprim17ROCPRIM_400000_NS6detail17trampoline_kernelINS0_14default_configENS1_36segmented_radix_sort_config_selectorIflEEZNS1_25segmented_radix_sort_implIS3_Lb1EPKfPfPKlPlN2at6native12_GLOBAL__N_18offset_tEEE10hipError_tPvRmT1_PNSt15iterator_traitsISK_E10value_typeET2_T3_PNSL_ISQ_E10value_typeET4_jRbjT5_SW_jjP12ihipStream_tbEUlT_E_NS1_11comp_targetILNS1_3genE3ELNS1_11target_archE908ELNS1_3gpuE7ELNS1_3repE0EEENS1_30default_config_static_selectorELNS0_4arch9wavefront6targetE1EEEvSK_,comdat
.Lfunc_end1327:
	.size	_ZN7rocprim17ROCPRIM_400000_NS6detail17trampoline_kernelINS0_14default_configENS1_36segmented_radix_sort_config_selectorIflEEZNS1_25segmented_radix_sort_implIS3_Lb1EPKfPfPKlPlN2at6native12_GLOBAL__N_18offset_tEEE10hipError_tPvRmT1_PNSt15iterator_traitsISK_E10value_typeET2_T3_PNSL_ISQ_E10value_typeET4_jRbjT5_SW_jjP12ihipStream_tbEUlT_E_NS1_11comp_targetILNS1_3genE3ELNS1_11target_archE908ELNS1_3gpuE7ELNS1_3repE0EEENS1_30default_config_static_selectorELNS0_4arch9wavefront6targetE1EEEvSK_, .Lfunc_end1327-_ZN7rocprim17ROCPRIM_400000_NS6detail17trampoline_kernelINS0_14default_configENS1_36segmented_radix_sort_config_selectorIflEEZNS1_25segmented_radix_sort_implIS3_Lb1EPKfPfPKlPlN2at6native12_GLOBAL__N_18offset_tEEE10hipError_tPvRmT1_PNSt15iterator_traitsISK_E10value_typeET2_T3_PNSL_ISQ_E10value_typeET4_jRbjT5_SW_jjP12ihipStream_tbEUlT_E_NS1_11comp_targetILNS1_3genE3ELNS1_11target_archE908ELNS1_3gpuE7ELNS1_3repE0EEENS1_30default_config_static_selectorELNS0_4arch9wavefront6targetE1EEEvSK_
                                        ; -- End function
	.section	.AMDGPU.csdata,"",@progbits
; Kernel info:
; codeLenInByte = 0
; NumSgprs: 4
; NumVgprs: 0
; NumAgprs: 0
; TotalNumVgprs: 0
; ScratchSize: 0
; MemoryBound: 0
; FloatMode: 240
; IeeeMode: 1
; LDSByteSize: 0 bytes/workgroup (compile time only)
; SGPRBlocks: 0
; VGPRBlocks: 0
; NumSGPRsForWavesPerEU: 4
; NumVGPRsForWavesPerEU: 1
; AccumOffset: 4
; Occupancy: 8
; WaveLimiterHint : 0
; COMPUTE_PGM_RSRC2:SCRATCH_EN: 0
; COMPUTE_PGM_RSRC2:USER_SGPR: 6
; COMPUTE_PGM_RSRC2:TRAP_HANDLER: 0
; COMPUTE_PGM_RSRC2:TGID_X_EN: 1
; COMPUTE_PGM_RSRC2:TGID_Y_EN: 0
; COMPUTE_PGM_RSRC2:TGID_Z_EN: 0
; COMPUTE_PGM_RSRC2:TIDIG_COMP_CNT: 0
; COMPUTE_PGM_RSRC3_GFX90A:ACCUM_OFFSET: 0
; COMPUTE_PGM_RSRC3_GFX90A:TG_SPLIT: 0
	.section	.text._ZN7rocprim17ROCPRIM_400000_NS6detail17trampoline_kernelINS0_14default_configENS1_36segmented_radix_sort_config_selectorIflEEZNS1_25segmented_radix_sort_implIS3_Lb1EPKfPfPKlPlN2at6native12_GLOBAL__N_18offset_tEEE10hipError_tPvRmT1_PNSt15iterator_traitsISK_E10value_typeET2_T3_PNSL_ISQ_E10value_typeET4_jRbjT5_SW_jjP12ihipStream_tbEUlT_E_NS1_11comp_targetILNS1_3genE2ELNS1_11target_archE906ELNS1_3gpuE6ELNS1_3repE0EEENS1_30default_config_static_selectorELNS0_4arch9wavefront6targetE1EEEvSK_,"axG",@progbits,_ZN7rocprim17ROCPRIM_400000_NS6detail17trampoline_kernelINS0_14default_configENS1_36segmented_radix_sort_config_selectorIflEEZNS1_25segmented_radix_sort_implIS3_Lb1EPKfPfPKlPlN2at6native12_GLOBAL__N_18offset_tEEE10hipError_tPvRmT1_PNSt15iterator_traitsISK_E10value_typeET2_T3_PNSL_ISQ_E10value_typeET4_jRbjT5_SW_jjP12ihipStream_tbEUlT_E_NS1_11comp_targetILNS1_3genE2ELNS1_11target_archE906ELNS1_3gpuE6ELNS1_3repE0EEENS1_30default_config_static_selectorELNS0_4arch9wavefront6targetE1EEEvSK_,comdat
	.globl	_ZN7rocprim17ROCPRIM_400000_NS6detail17trampoline_kernelINS0_14default_configENS1_36segmented_radix_sort_config_selectorIflEEZNS1_25segmented_radix_sort_implIS3_Lb1EPKfPfPKlPlN2at6native12_GLOBAL__N_18offset_tEEE10hipError_tPvRmT1_PNSt15iterator_traitsISK_E10value_typeET2_T3_PNSL_ISQ_E10value_typeET4_jRbjT5_SW_jjP12ihipStream_tbEUlT_E_NS1_11comp_targetILNS1_3genE2ELNS1_11target_archE906ELNS1_3gpuE6ELNS1_3repE0EEENS1_30default_config_static_selectorELNS0_4arch9wavefront6targetE1EEEvSK_ ; -- Begin function _ZN7rocprim17ROCPRIM_400000_NS6detail17trampoline_kernelINS0_14default_configENS1_36segmented_radix_sort_config_selectorIflEEZNS1_25segmented_radix_sort_implIS3_Lb1EPKfPfPKlPlN2at6native12_GLOBAL__N_18offset_tEEE10hipError_tPvRmT1_PNSt15iterator_traitsISK_E10value_typeET2_T3_PNSL_ISQ_E10value_typeET4_jRbjT5_SW_jjP12ihipStream_tbEUlT_E_NS1_11comp_targetILNS1_3genE2ELNS1_11target_archE906ELNS1_3gpuE6ELNS1_3repE0EEENS1_30default_config_static_selectorELNS0_4arch9wavefront6targetE1EEEvSK_
	.p2align	8
	.type	_ZN7rocprim17ROCPRIM_400000_NS6detail17trampoline_kernelINS0_14default_configENS1_36segmented_radix_sort_config_selectorIflEEZNS1_25segmented_radix_sort_implIS3_Lb1EPKfPfPKlPlN2at6native12_GLOBAL__N_18offset_tEEE10hipError_tPvRmT1_PNSt15iterator_traitsISK_E10value_typeET2_T3_PNSL_ISQ_E10value_typeET4_jRbjT5_SW_jjP12ihipStream_tbEUlT_E_NS1_11comp_targetILNS1_3genE2ELNS1_11target_archE906ELNS1_3gpuE6ELNS1_3repE0EEENS1_30default_config_static_selectorELNS0_4arch9wavefront6targetE1EEEvSK_,@function
_ZN7rocprim17ROCPRIM_400000_NS6detail17trampoline_kernelINS0_14default_configENS1_36segmented_radix_sort_config_selectorIflEEZNS1_25segmented_radix_sort_implIS3_Lb1EPKfPfPKlPlN2at6native12_GLOBAL__N_18offset_tEEE10hipError_tPvRmT1_PNSt15iterator_traitsISK_E10value_typeET2_T3_PNSL_ISQ_E10value_typeET4_jRbjT5_SW_jjP12ihipStream_tbEUlT_E_NS1_11comp_targetILNS1_3genE2ELNS1_11target_archE906ELNS1_3gpuE6ELNS1_3repE0EEENS1_30default_config_static_selectorELNS0_4arch9wavefront6targetE1EEEvSK_: ; @_ZN7rocprim17ROCPRIM_400000_NS6detail17trampoline_kernelINS0_14default_configENS1_36segmented_radix_sort_config_selectorIflEEZNS1_25segmented_radix_sort_implIS3_Lb1EPKfPfPKlPlN2at6native12_GLOBAL__N_18offset_tEEE10hipError_tPvRmT1_PNSt15iterator_traitsISK_E10value_typeET2_T3_PNSL_ISQ_E10value_typeET4_jRbjT5_SW_jjP12ihipStream_tbEUlT_E_NS1_11comp_targetILNS1_3genE2ELNS1_11target_archE906ELNS1_3gpuE6ELNS1_3repE0EEENS1_30default_config_static_selectorELNS0_4arch9wavefront6targetE1EEEvSK_
; %bb.0:
	.section	.rodata,"a",@progbits
	.p2align	6, 0x0
	.amdhsa_kernel _ZN7rocprim17ROCPRIM_400000_NS6detail17trampoline_kernelINS0_14default_configENS1_36segmented_radix_sort_config_selectorIflEEZNS1_25segmented_radix_sort_implIS3_Lb1EPKfPfPKlPlN2at6native12_GLOBAL__N_18offset_tEEE10hipError_tPvRmT1_PNSt15iterator_traitsISK_E10value_typeET2_T3_PNSL_ISQ_E10value_typeET4_jRbjT5_SW_jjP12ihipStream_tbEUlT_E_NS1_11comp_targetILNS1_3genE2ELNS1_11target_archE906ELNS1_3gpuE6ELNS1_3repE0EEENS1_30default_config_static_selectorELNS0_4arch9wavefront6targetE1EEEvSK_
		.amdhsa_group_segment_fixed_size 0
		.amdhsa_private_segment_fixed_size 0
		.amdhsa_kernarg_size 96
		.amdhsa_user_sgpr_count 6
		.amdhsa_user_sgpr_private_segment_buffer 1
		.amdhsa_user_sgpr_dispatch_ptr 0
		.amdhsa_user_sgpr_queue_ptr 0
		.amdhsa_user_sgpr_kernarg_segment_ptr 1
		.amdhsa_user_sgpr_dispatch_id 0
		.amdhsa_user_sgpr_flat_scratch_init 0
		.amdhsa_user_sgpr_kernarg_preload_length 0
		.amdhsa_user_sgpr_kernarg_preload_offset 0
		.amdhsa_user_sgpr_private_segment_size 0
		.amdhsa_uses_dynamic_stack 0
		.amdhsa_system_sgpr_private_segment_wavefront_offset 0
		.amdhsa_system_sgpr_workgroup_id_x 1
		.amdhsa_system_sgpr_workgroup_id_y 0
		.amdhsa_system_sgpr_workgroup_id_z 0
		.amdhsa_system_sgpr_workgroup_info 0
		.amdhsa_system_vgpr_workitem_id 0
		.amdhsa_next_free_vgpr 1
		.amdhsa_next_free_sgpr 0
		.amdhsa_accum_offset 4
		.amdhsa_reserve_vcc 0
		.amdhsa_reserve_flat_scratch 0
		.amdhsa_float_round_mode_32 0
		.amdhsa_float_round_mode_16_64 0
		.amdhsa_float_denorm_mode_32 3
		.amdhsa_float_denorm_mode_16_64 3
		.amdhsa_dx10_clamp 1
		.amdhsa_ieee_mode 1
		.amdhsa_fp16_overflow 0
		.amdhsa_tg_split 0
		.amdhsa_exception_fp_ieee_invalid_op 0
		.amdhsa_exception_fp_denorm_src 0
		.amdhsa_exception_fp_ieee_div_zero 0
		.amdhsa_exception_fp_ieee_overflow 0
		.amdhsa_exception_fp_ieee_underflow 0
		.amdhsa_exception_fp_ieee_inexact 0
		.amdhsa_exception_int_div_zero 0
	.end_amdhsa_kernel
	.section	.text._ZN7rocprim17ROCPRIM_400000_NS6detail17trampoline_kernelINS0_14default_configENS1_36segmented_radix_sort_config_selectorIflEEZNS1_25segmented_radix_sort_implIS3_Lb1EPKfPfPKlPlN2at6native12_GLOBAL__N_18offset_tEEE10hipError_tPvRmT1_PNSt15iterator_traitsISK_E10value_typeET2_T3_PNSL_ISQ_E10value_typeET4_jRbjT5_SW_jjP12ihipStream_tbEUlT_E_NS1_11comp_targetILNS1_3genE2ELNS1_11target_archE906ELNS1_3gpuE6ELNS1_3repE0EEENS1_30default_config_static_selectorELNS0_4arch9wavefront6targetE1EEEvSK_,"axG",@progbits,_ZN7rocprim17ROCPRIM_400000_NS6detail17trampoline_kernelINS0_14default_configENS1_36segmented_radix_sort_config_selectorIflEEZNS1_25segmented_radix_sort_implIS3_Lb1EPKfPfPKlPlN2at6native12_GLOBAL__N_18offset_tEEE10hipError_tPvRmT1_PNSt15iterator_traitsISK_E10value_typeET2_T3_PNSL_ISQ_E10value_typeET4_jRbjT5_SW_jjP12ihipStream_tbEUlT_E_NS1_11comp_targetILNS1_3genE2ELNS1_11target_archE906ELNS1_3gpuE6ELNS1_3repE0EEENS1_30default_config_static_selectorELNS0_4arch9wavefront6targetE1EEEvSK_,comdat
.Lfunc_end1328:
	.size	_ZN7rocprim17ROCPRIM_400000_NS6detail17trampoline_kernelINS0_14default_configENS1_36segmented_radix_sort_config_selectorIflEEZNS1_25segmented_radix_sort_implIS3_Lb1EPKfPfPKlPlN2at6native12_GLOBAL__N_18offset_tEEE10hipError_tPvRmT1_PNSt15iterator_traitsISK_E10value_typeET2_T3_PNSL_ISQ_E10value_typeET4_jRbjT5_SW_jjP12ihipStream_tbEUlT_E_NS1_11comp_targetILNS1_3genE2ELNS1_11target_archE906ELNS1_3gpuE6ELNS1_3repE0EEENS1_30default_config_static_selectorELNS0_4arch9wavefront6targetE1EEEvSK_, .Lfunc_end1328-_ZN7rocprim17ROCPRIM_400000_NS6detail17trampoline_kernelINS0_14default_configENS1_36segmented_radix_sort_config_selectorIflEEZNS1_25segmented_radix_sort_implIS3_Lb1EPKfPfPKlPlN2at6native12_GLOBAL__N_18offset_tEEE10hipError_tPvRmT1_PNSt15iterator_traitsISK_E10value_typeET2_T3_PNSL_ISQ_E10value_typeET4_jRbjT5_SW_jjP12ihipStream_tbEUlT_E_NS1_11comp_targetILNS1_3genE2ELNS1_11target_archE906ELNS1_3gpuE6ELNS1_3repE0EEENS1_30default_config_static_selectorELNS0_4arch9wavefront6targetE1EEEvSK_
                                        ; -- End function
	.section	.AMDGPU.csdata,"",@progbits
; Kernel info:
; codeLenInByte = 0
; NumSgprs: 4
; NumVgprs: 0
; NumAgprs: 0
; TotalNumVgprs: 0
; ScratchSize: 0
; MemoryBound: 0
; FloatMode: 240
; IeeeMode: 1
; LDSByteSize: 0 bytes/workgroup (compile time only)
; SGPRBlocks: 0
; VGPRBlocks: 0
; NumSGPRsForWavesPerEU: 4
; NumVGPRsForWavesPerEU: 1
; AccumOffset: 4
; Occupancy: 8
; WaveLimiterHint : 0
; COMPUTE_PGM_RSRC2:SCRATCH_EN: 0
; COMPUTE_PGM_RSRC2:USER_SGPR: 6
; COMPUTE_PGM_RSRC2:TRAP_HANDLER: 0
; COMPUTE_PGM_RSRC2:TGID_X_EN: 1
; COMPUTE_PGM_RSRC2:TGID_Y_EN: 0
; COMPUTE_PGM_RSRC2:TGID_Z_EN: 0
; COMPUTE_PGM_RSRC2:TIDIG_COMP_CNT: 0
; COMPUTE_PGM_RSRC3_GFX90A:ACCUM_OFFSET: 0
; COMPUTE_PGM_RSRC3_GFX90A:TG_SPLIT: 0
	.section	.text._ZN7rocprim17ROCPRIM_400000_NS6detail17trampoline_kernelINS0_14default_configENS1_36segmented_radix_sort_config_selectorIflEEZNS1_25segmented_radix_sort_implIS3_Lb1EPKfPfPKlPlN2at6native12_GLOBAL__N_18offset_tEEE10hipError_tPvRmT1_PNSt15iterator_traitsISK_E10value_typeET2_T3_PNSL_ISQ_E10value_typeET4_jRbjT5_SW_jjP12ihipStream_tbEUlT_E_NS1_11comp_targetILNS1_3genE10ELNS1_11target_archE1201ELNS1_3gpuE5ELNS1_3repE0EEENS1_30default_config_static_selectorELNS0_4arch9wavefront6targetE1EEEvSK_,"axG",@progbits,_ZN7rocprim17ROCPRIM_400000_NS6detail17trampoline_kernelINS0_14default_configENS1_36segmented_radix_sort_config_selectorIflEEZNS1_25segmented_radix_sort_implIS3_Lb1EPKfPfPKlPlN2at6native12_GLOBAL__N_18offset_tEEE10hipError_tPvRmT1_PNSt15iterator_traitsISK_E10value_typeET2_T3_PNSL_ISQ_E10value_typeET4_jRbjT5_SW_jjP12ihipStream_tbEUlT_E_NS1_11comp_targetILNS1_3genE10ELNS1_11target_archE1201ELNS1_3gpuE5ELNS1_3repE0EEENS1_30default_config_static_selectorELNS0_4arch9wavefront6targetE1EEEvSK_,comdat
	.globl	_ZN7rocprim17ROCPRIM_400000_NS6detail17trampoline_kernelINS0_14default_configENS1_36segmented_radix_sort_config_selectorIflEEZNS1_25segmented_radix_sort_implIS3_Lb1EPKfPfPKlPlN2at6native12_GLOBAL__N_18offset_tEEE10hipError_tPvRmT1_PNSt15iterator_traitsISK_E10value_typeET2_T3_PNSL_ISQ_E10value_typeET4_jRbjT5_SW_jjP12ihipStream_tbEUlT_E_NS1_11comp_targetILNS1_3genE10ELNS1_11target_archE1201ELNS1_3gpuE5ELNS1_3repE0EEENS1_30default_config_static_selectorELNS0_4arch9wavefront6targetE1EEEvSK_ ; -- Begin function _ZN7rocprim17ROCPRIM_400000_NS6detail17trampoline_kernelINS0_14default_configENS1_36segmented_radix_sort_config_selectorIflEEZNS1_25segmented_radix_sort_implIS3_Lb1EPKfPfPKlPlN2at6native12_GLOBAL__N_18offset_tEEE10hipError_tPvRmT1_PNSt15iterator_traitsISK_E10value_typeET2_T3_PNSL_ISQ_E10value_typeET4_jRbjT5_SW_jjP12ihipStream_tbEUlT_E_NS1_11comp_targetILNS1_3genE10ELNS1_11target_archE1201ELNS1_3gpuE5ELNS1_3repE0EEENS1_30default_config_static_selectorELNS0_4arch9wavefront6targetE1EEEvSK_
	.p2align	8
	.type	_ZN7rocprim17ROCPRIM_400000_NS6detail17trampoline_kernelINS0_14default_configENS1_36segmented_radix_sort_config_selectorIflEEZNS1_25segmented_radix_sort_implIS3_Lb1EPKfPfPKlPlN2at6native12_GLOBAL__N_18offset_tEEE10hipError_tPvRmT1_PNSt15iterator_traitsISK_E10value_typeET2_T3_PNSL_ISQ_E10value_typeET4_jRbjT5_SW_jjP12ihipStream_tbEUlT_E_NS1_11comp_targetILNS1_3genE10ELNS1_11target_archE1201ELNS1_3gpuE5ELNS1_3repE0EEENS1_30default_config_static_selectorELNS0_4arch9wavefront6targetE1EEEvSK_,@function
_ZN7rocprim17ROCPRIM_400000_NS6detail17trampoline_kernelINS0_14default_configENS1_36segmented_radix_sort_config_selectorIflEEZNS1_25segmented_radix_sort_implIS3_Lb1EPKfPfPKlPlN2at6native12_GLOBAL__N_18offset_tEEE10hipError_tPvRmT1_PNSt15iterator_traitsISK_E10value_typeET2_T3_PNSL_ISQ_E10value_typeET4_jRbjT5_SW_jjP12ihipStream_tbEUlT_E_NS1_11comp_targetILNS1_3genE10ELNS1_11target_archE1201ELNS1_3gpuE5ELNS1_3repE0EEENS1_30default_config_static_selectorELNS0_4arch9wavefront6targetE1EEEvSK_: ; @_ZN7rocprim17ROCPRIM_400000_NS6detail17trampoline_kernelINS0_14default_configENS1_36segmented_radix_sort_config_selectorIflEEZNS1_25segmented_radix_sort_implIS3_Lb1EPKfPfPKlPlN2at6native12_GLOBAL__N_18offset_tEEE10hipError_tPvRmT1_PNSt15iterator_traitsISK_E10value_typeET2_T3_PNSL_ISQ_E10value_typeET4_jRbjT5_SW_jjP12ihipStream_tbEUlT_E_NS1_11comp_targetILNS1_3genE10ELNS1_11target_archE1201ELNS1_3gpuE5ELNS1_3repE0EEENS1_30default_config_static_selectorELNS0_4arch9wavefront6targetE1EEEvSK_
; %bb.0:
	.section	.rodata,"a",@progbits
	.p2align	6, 0x0
	.amdhsa_kernel _ZN7rocprim17ROCPRIM_400000_NS6detail17trampoline_kernelINS0_14default_configENS1_36segmented_radix_sort_config_selectorIflEEZNS1_25segmented_radix_sort_implIS3_Lb1EPKfPfPKlPlN2at6native12_GLOBAL__N_18offset_tEEE10hipError_tPvRmT1_PNSt15iterator_traitsISK_E10value_typeET2_T3_PNSL_ISQ_E10value_typeET4_jRbjT5_SW_jjP12ihipStream_tbEUlT_E_NS1_11comp_targetILNS1_3genE10ELNS1_11target_archE1201ELNS1_3gpuE5ELNS1_3repE0EEENS1_30default_config_static_selectorELNS0_4arch9wavefront6targetE1EEEvSK_
		.amdhsa_group_segment_fixed_size 0
		.amdhsa_private_segment_fixed_size 0
		.amdhsa_kernarg_size 96
		.amdhsa_user_sgpr_count 6
		.amdhsa_user_sgpr_private_segment_buffer 1
		.amdhsa_user_sgpr_dispatch_ptr 0
		.amdhsa_user_sgpr_queue_ptr 0
		.amdhsa_user_sgpr_kernarg_segment_ptr 1
		.amdhsa_user_sgpr_dispatch_id 0
		.amdhsa_user_sgpr_flat_scratch_init 0
		.amdhsa_user_sgpr_kernarg_preload_length 0
		.amdhsa_user_sgpr_kernarg_preload_offset 0
		.amdhsa_user_sgpr_private_segment_size 0
		.amdhsa_uses_dynamic_stack 0
		.amdhsa_system_sgpr_private_segment_wavefront_offset 0
		.amdhsa_system_sgpr_workgroup_id_x 1
		.amdhsa_system_sgpr_workgroup_id_y 0
		.amdhsa_system_sgpr_workgroup_id_z 0
		.amdhsa_system_sgpr_workgroup_info 0
		.amdhsa_system_vgpr_workitem_id 0
		.amdhsa_next_free_vgpr 1
		.amdhsa_next_free_sgpr 0
		.amdhsa_accum_offset 4
		.amdhsa_reserve_vcc 0
		.amdhsa_reserve_flat_scratch 0
		.amdhsa_float_round_mode_32 0
		.amdhsa_float_round_mode_16_64 0
		.amdhsa_float_denorm_mode_32 3
		.amdhsa_float_denorm_mode_16_64 3
		.amdhsa_dx10_clamp 1
		.amdhsa_ieee_mode 1
		.amdhsa_fp16_overflow 0
		.amdhsa_tg_split 0
		.amdhsa_exception_fp_ieee_invalid_op 0
		.amdhsa_exception_fp_denorm_src 0
		.amdhsa_exception_fp_ieee_div_zero 0
		.amdhsa_exception_fp_ieee_overflow 0
		.amdhsa_exception_fp_ieee_underflow 0
		.amdhsa_exception_fp_ieee_inexact 0
		.amdhsa_exception_int_div_zero 0
	.end_amdhsa_kernel
	.section	.text._ZN7rocprim17ROCPRIM_400000_NS6detail17trampoline_kernelINS0_14default_configENS1_36segmented_radix_sort_config_selectorIflEEZNS1_25segmented_radix_sort_implIS3_Lb1EPKfPfPKlPlN2at6native12_GLOBAL__N_18offset_tEEE10hipError_tPvRmT1_PNSt15iterator_traitsISK_E10value_typeET2_T3_PNSL_ISQ_E10value_typeET4_jRbjT5_SW_jjP12ihipStream_tbEUlT_E_NS1_11comp_targetILNS1_3genE10ELNS1_11target_archE1201ELNS1_3gpuE5ELNS1_3repE0EEENS1_30default_config_static_selectorELNS0_4arch9wavefront6targetE1EEEvSK_,"axG",@progbits,_ZN7rocprim17ROCPRIM_400000_NS6detail17trampoline_kernelINS0_14default_configENS1_36segmented_radix_sort_config_selectorIflEEZNS1_25segmented_radix_sort_implIS3_Lb1EPKfPfPKlPlN2at6native12_GLOBAL__N_18offset_tEEE10hipError_tPvRmT1_PNSt15iterator_traitsISK_E10value_typeET2_T3_PNSL_ISQ_E10value_typeET4_jRbjT5_SW_jjP12ihipStream_tbEUlT_E_NS1_11comp_targetILNS1_3genE10ELNS1_11target_archE1201ELNS1_3gpuE5ELNS1_3repE0EEENS1_30default_config_static_selectorELNS0_4arch9wavefront6targetE1EEEvSK_,comdat
.Lfunc_end1329:
	.size	_ZN7rocprim17ROCPRIM_400000_NS6detail17trampoline_kernelINS0_14default_configENS1_36segmented_radix_sort_config_selectorIflEEZNS1_25segmented_radix_sort_implIS3_Lb1EPKfPfPKlPlN2at6native12_GLOBAL__N_18offset_tEEE10hipError_tPvRmT1_PNSt15iterator_traitsISK_E10value_typeET2_T3_PNSL_ISQ_E10value_typeET4_jRbjT5_SW_jjP12ihipStream_tbEUlT_E_NS1_11comp_targetILNS1_3genE10ELNS1_11target_archE1201ELNS1_3gpuE5ELNS1_3repE0EEENS1_30default_config_static_selectorELNS0_4arch9wavefront6targetE1EEEvSK_, .Lfunc_end1329-_ZN7rocprim17ROCPRIM_400000_NS6detail17trampoline_kernelINS0_14default_configENS1_36segmented_radix_sort_config_selectorIflEEZNS1_25segmented_radix_sort_implIS3_Lb1EPKfPfPKlPlN2at6native12_GLOBAL__N_18offset_tEEE10hipError_tPvRmT1_PNSt15iterator_traitsISK_E10value_typeET2_T3_PNSL_ISQ_E10value_typeET4_jRbjT5_SW_jjP12ihipStream_tbEUlT_E_NS1_11comp_targetILNS1_3genE10ELNS1_11target_archE1201ELNS1_3gpuE5ELNS1_3repE0EEENS1_30default_config_static_selectorELNS0_4arch9wavefront6targetE1EEEvSK_
                                        ; -- End function
	.section	.AMDGPU.csdata,"",@progbits
; Kernel info:
; codeLenInByte = 0
; NumSgprs: 4
; NumVgprs: 0
; NumAgprs: 0
; TotalNumVgprs: 0
; ScratchSize: 0
; MemoryBound: 0
; FloatMode: 240
; IeeeMode: 1
; LDSByteSize: 0 bytes/workgroup (compile time only)
; SGPRBlocks: 0
; VGPRBlocks: 0
; NumSGPRsForWavesPerEU: 4
; NumVGPRsForWavesPerEU: 1
; AccumOffset: 4
; Occupancy: 8
; WaveLimiterHint : 0
; COMPUTE_PGM_RSRC2:SCRATCH_EN: 0
; COMPUTE_PGM_RSRC2:USER_SGPR: 6
; COMPUTE_PGM_RSRC2:TRAP_HANDLER: 0
; COMPUTE_PGM_RSRC2:TGID_X_EN: 1
; COMPUTE_PGM_RSRC2:TGID_Y_EN: 0
; COMPUTE_PGM_RSRC2:TGID_Z_EN: 0
; COMPUTE_PGM_RSRC2:TIDIG_COMP_CNT: 0
; COMPUTE_PGM_RSRC3_GFX90A:ACCUM_OFFSET: 0
; COMPUTE_PGM_RSRC3_GFX90A:TG_SPLIT: 0
	.section	.text._ZN7rocprim17ROCPRIM_400000_NS6detail17trampoline_kernelINS0_14default_configENS1_36segmented_radix_sort_config_selectorIflEEZNS1_25segmented_radix_sort_implIS3_Lb1EPKfPfPKlPlN2at6native12_GLOBAL__N_18offset_tEEE10hipError_tPvRmT1_PNSt15iterator_traitsISK_E10value_typeET2_T3_PNSL_ISQ_E10value_typeET4_jRbjT5_SW_jjP12ihipStream_tbEUlT_E_NS1_11comp_targetILNS1_3genE10ELNS1_11target_archE1200ELNS1_3gpuE4ELNS1_3repE0EEENS1_30default_config_static_selectorELNS0_4arch9wavefront6targetE1EEEvSK_,"axG",@progbits,_ZN7rocprim17ROCPRIM_400000_NS6detail17trampoline_kernelINS0_14default_configENS1_36segmented_radix_sort_config_selectorIflEEZNS1_25segmented_radix_sort_implIS3_Lb1EPKfPfPKlPlN2at6native12_GLOBAL__N_18offset_tEEE10hipError_tPvRmT1_PNSt15iterator_traitsISK_E10value_typeET2_T3_PNSL_ISQ_E10value_typeET4_jRbjT5_SW_jjP12ihipStream_tbEUlT_E_NS1_11comp_targetILNS1_3genE10ELNS1_11target_archE1200ELNS1_3gpuE4ELNS1_3repE0EEENS1_30default_config_static_selectorELNS0_4arch9wavefront6targetE1EEEvSK_,comdat
	.globl	_ZN7rocprim17ROCPRIM_400000_NS6detail17trampoline_kernelINS0_14default_configENS1_36segmented_radix_sort_config_selectorIflEEZNS1_25segmented_radix_sort_implIS3_Lb1EPKfPfPKlPlN2at6native12_GLOBAL__N_18offset_tEEE10hipError_tPvRmT1_PNSt15iterator_traitsISK_E10value_typeET2_T3_PNSL_ISQ_E10value_typeET4_jRbjT5_SW_jjP12ihipStream_tbEUlT_E_NS1_11comp_targetILNS1_3genE10ELNS1_11target_archE1200ELNS1_3gpuE4ELNS1_3repE0EEENS1_30default_config_static_selectorELNS0_4arch9wavefront6targetE1EEEvSK_ ; -- Begin function _ZN7rocprim17ROCPRIM_400000_NS6detail17trampoline_kernelINS0_14default_configENS1_36segmented_radix_sort_config_selectorIflEEZNS1_25segmented_radix_sort_implIS3_Lb1EPKfPfPKlPlN2at6native12_GLOBAL__N_18offset_tEEE10hipError_tPvRmT1_PNSt15iterator_traitsISK_E10value_typeET2_T3_PNSL_ISQ_E10value_typeET4_jRbjT5_SW_jjP12ihipStream_tbEUlT_E_NS1_11comp_targetILNS1_3genE10ELNS1_11target_archE1200ELNS1_3gpuE4ELNS1_3repE0EEENS1_30default_config_static_selectorELNS0_4arch9wavefront6targetE1EEEvSK_
	.p2align	8
	.type	_ZN7rocprim17ROCPRIM_400000_NS6detail17trampoline_kernelINS0_14default_configENS1_36segmented_radix_sort_config_selectorIflEEZNS1_25segmented_radix_sort_implIS3_Lb1EPKfPfPKlPlN2at6native12_GLOBAL__N_18offset_tEEE10hipError_tPvRmT1_PNSt15iterator_traitsISK_E10value_typeET2_T3_PNSL_ISQ_E10value_typeET4_jRbjT5_SW_jjP12ihipStream_tbEUlT_E_NS1_11comp_targetILNS1_3genE10ELNS1_11target_archE1200ELNS1_3gpuE4ELNS1_3repE0EEENS1_30default_config_static_selectorELNS0_4arch9wavefront6targetE1EEEvSK_,@function
_ZN7rocprim17ROCPRIM_400000_NS6detail17trampoline_kernelINS0_14default_configENS1_36segmented_radix_sort_config_selectorIflEEZNS1_25segmented_radix_sort_implIS3_Lb1EPKfPfPKlPlN2at6native12_GLOBAL__N_18offset_tEEE10hipError_tPvRmT1_PNSt15iterator_traitsISK_E10value_typeET2_T3_PNSL_ISQ_E10value_typeET4_jRbjT5_SW_jjP12ihipStream_tbEUlT_E_NS1_11comp_targetILNS1_3genE10ELNS1_11target_archE1200ELNS1_3gpuE4ELNS1_3repE0EEENS1_30default_config_static_selectorELNS0_4arch9wavefront6targetE1EEEvSK_: ; @_ZN7rocprim17ROCPRIM_400000_NS6detail17trampoline_kernelINS0_14default_configENS1_36segmented_radix_sort_config_selectorIflEEZNS1_25segmented_radix_sort_implIS3_Lb1EPKfPfPKlPlN2at6native12_GLOBAL__N_18offset_tEEE10hipError_tPvRmT1_PNSt15iterator_traitsISK_E10value_typeET2_T3_PNSL_ISQ_E10value_typeET4_jRbjT5_SW_jjP12ihipStream_tbEUlT_E_NS1_11comp_targetILNS1_3genE10ELNS1_11target_archE1200ELNS1_3gpuE4ELNS1_3repE0EEENS1_30default_config_static_selectorELNS0_4arch9wavefront6targetE1EEEvSK_
; %bb.0:
	.section	.rodata,"a",@progbits
	.p2align	6, 0x0
	.amdhsa_kernel _ZN7rocprim17ROCPRIM_400000_NS6detail17trampoline_kernelINS0_14default_configENS1_36segmented_radix_sort_config_selectorIflEEZNS1_25segmented_radix_sort_implIS3_Lb1EPKfPfPKlPlN2at6native12_GLOBAL__N_18offset_tEEE10hipError_tPvRmT1_PNSt15iterator_traitsISK_E10value_typeET2_T3_PNSL_ISQ_E10value_typeET4_jRbjT5_SW_jjP12ihipStream_tbEUlT_E_NS1_11comp_targetILNS1_3genE10ELNS1_11target_archE1200ELNS1_3gpuE4ELNS1_3repE0EEENS1_30default_config_static_selectorELNS0_4arch9wavefront6targetE1EEEvSK_
		.amdhsa_group_segment_fixed_size 0
		.amdhsa_private_segment_fixed_size 0
		.amdhsa_kernarg_size 96
		.amdhsa_user_sgpr_count 6
		.amdhsa_user_sgpr_private_segment_buffer 1
		.amdhsa_user_sgpr_dispatch_ptr 0
		.amdhsa_user_sgpr_queue_ptr 0
		.amdhsa_user_sgpr_kernarg_segment_ptr 1
		.amdhsa_user_sgpr_dispatch_id 0
		.amdhsa_user_sgpr_flat_scratch_init 0
		.amdhsa_user_sgpr_kernarg_preload_length 0
		.amdhsa_user_sgpr_kernarg_preload_offset 0
		.amdhsa_user_sgpr_private_segment_size 0
		.amdhsa_uses_dynamic_stack 0
		.amdhsa_system_sgpr_private_segment_wavefront_offset 0
		.amdhsa_system_sgpr_workgroup_id_x 1
		.amdhsa_system_sgpr_workgroup_id_y 0
		.amdhsa_system_sgpr_workgroup_id_z 0
		.amdhsa_system_sgpr_workgroup_info 0
		.amdhsa_system_vgpr_workitem_id 0
		.amdhsa_next_free_vgpr 1
		.amdhsa_next_free_sgpr 0
		.amdhsa_accum_offset 4
		.amdhsa_reserve_vcc 0
		.amdhsa_reserve_flat_scratch 0
		.amdhsa_float_round_mode_32 0
		.amdhsa_float_round_mode_16_64 0
		.amdhsa_float_denorm_mode_32 3
		.amdhsa_float_denorm_mode_16_64 3
		.amdhsa_dx10_clamp 1
		.amdhsa_ieee_mode 1
		.amdhsa_fp16_overflow 0
		.amdhsa_tg_split 0
		.amdhsa_exception_fp_ieee_invalid_op 0
		.amdhsa_exception_fp_denorm_src 0
		.amdhsa_exception_fp_ieee_div_zero 0
		.amdhsa_exception_fp_ieee_overflow 0
		.amdhsa_exception_fp_ieee_underflow 0
		.amdhsa_exception_fp_ieee_inexact 0
		.amdhsa_exception_int_div_zero 0
	.end_amdhsa_kernel
	.section	.text._ZN7rocprim17ROCPRIM_400000_NS6detail17trampoline_kernelINS0_14default_configENS1_36segmented_radix_sort_config_selectorIflEEZNS1_25segmented_radix_sort_implIS3_Lb1EPKfPfPKlPlN2at6native12_GLOBAL__N_18offset_tEEE10hipError_tPvRmT1_PNSt15iterator_traitsISK_E10value_typeET2_T3_PNSL_ISQ_E10value_typeET4_jRbjT5_SW_jjP12ihipStream_tbEUlT_E_NS1_11comp_targetILNS1_3genE10ELNS1_11target_archE1200ELNS1_3gpuE4ELNS1_3repE0EEENS1_30default_config_static_selectorELNS0_4arch9wavefront6targetE1EEEvSK_,"axG",@progbits,_ZN7rocprim17ROCPRIM_400000_NS6detail17trampoline_kernelINS0_14default_configENS1_36segmented_radix_sort_config_selectorIflEEZNS1_25segmented_radix_sort_implIS3_Lb1EPKfPfPKlPlN2at6native12_GLOBAL__N_18offset_tEEE10hipError_tPvRmT1_PNSt15iterator_traitsISK_E10value_typeET2_T3_PNSL_ISQ_E10value_typeET4_jRbjT5_SW_jjP12ihipStream_tbEUlT_E_NS1_11comp_targetILNS1_3genE10ELNS1_11target_archE1200ELNS1_3gpuE4ELNS1_3repE0EEENS1_30default_config_static_selectorELNS0_4arch9wavefront6targetE1EEEvSK_,comdat
.Lfunc_end1330:
	.size	_ZN7rocprim17ROCPRIM_400000_NS6detail17trampoline_kernelINS0_14default_configENS1_36segmented_radix_sort_config_selectorIflEEZNS1_25segmented_radix_sort_implIS3_Lb1EPKfPfPKlPlN2at6native12_GLOBAL__N_18offset_tEEE10hipError_tPvRmT1_PNSt15iterator_traitsISK_E10value_typeET2_T3_PNSL_ISQ_E10value_typeET4_jRbjT5_SW_jjP12ihipStream_tbEUlT_E_NS1_11comp_targetILNS1_3genE10ELNS1_11target_archE1200ELNS1_3gpuE4ELNS1_3repE0EEENS1_30default_config_static_selectorELNS0_4arch9wavefront6targetE1EEEvSK_, .Lfunc_end1330-_ZN7rocprim17ROCPRIM_400000_NS6detail17trampoline_kernelINS0_14default_configENS1_36segmented_radix_sort_config_selectorIflEEZNS1_25segmented_radix_sort_implIS3_Lb1EPKfPfPKlPlN2at6native12_GLOBAL__N_18offset_tEEE10hipError_tPvRmT1_PNSt15iterator_traitsISK_E10value_typeET2_T3_PNSL_ISQ_E10value_typeET4_jRbjT5_SW_jjP12ihipStream_tbEUlT_E_NS1_11comp_targetILNS1_3genE10ELNS1_11target_archE1200ELNS1_3gpuE4ELNS1_3repE0EEENS1_30default_config_static_selectorELNS0_4arch9wavefront6targetE1EEEvSK_
                                        ; -- End function
	.section	.AMDGPU.csdata,"",@progbits
; Kernel info:
; codeLenInByte = 0
; NumSgprs: 4
; NumVgprs: 0
; NumAgprs: 0
; TotalNumVgprs: 0
; ScratchSize: 0
; MemoryBound: 0
; FloatMode: 240
; IeeeMode: 1
; LDSByteSize: 0 bytes/workgroup (compile time only)
; SGPRBlocks: 0
; VGPRBlocks: 0
; NumSGPRsForWavesPerEU: 4
; NumVGPRsForWavesPerEU: 1
; AccumOffset: 4
; Occupancy: 8
; WaveLimiterHint : 0
; COMPUTE_PGM_RSRC2:SCRATCH_EN: 0
; COMPUTE_PGM_RSRC2:USER_SGPR: 6
; COMPUTE_PGM_RSRC2:TRAP_HANDLER: 0
; COMPUTE_PGM_RSRC2:TGID_X_EN: 1
; COMPUTE_PGM_RSRC2:TGID_Y_EN: 0
; COMPUTE_PGM_RSRC2:TGID_Z_EN: 0
; COMPUTE_PGM_RSRC2:TIDIG_COMP_CNT: 0
; COMPUTE_PGM_RSRC3_GFX90A:ACCUM_OFFSET: 0
; COMPUTE_PGM_RSRC3_GFX90A:TG_SPLIT: 0
	.section	.text._ZN7rocprim17ROCPRIM_400000_NS6detail17trampoline_kernelINS0_14default_configENS1_36segmented_radix_sort_config_selectorIflEEZNS1_25segmented_radix_sort_implIS3_Lb1EPKfPfPKlPlN2at6native12_GLOBAL__N_18offset_tEEE10hipError_tPvRmT1_PNSt15iterator_traitsISK_E10value_typeET2_T3_PNSL_ISQ_E10value_typeET4_jRbjT5_SW_jjP12ihipStream_tbEUlT_E_NS1_11comp_targetILNS1_3genE9ELNS1_11target_archE1100ELNS1_3gpuE3ELNS1_3repE0EEENS1_30default_config_static_selectorELNS0_4arch9wavefront6targetE1EEEvSK_,"axG",@progbits,_ZN7rocprim17ROCPRIM_400000_NS6detail17trampoline_kernelINS0_14default_configENS1_36segmented_radix_sort_config_selectorIflEEZNS1_25segmented_radix_sort_implIS3_Lb1EPKfPfPKlPlN2at6native12_GLOBAL__N_18offset_tEEE10hipError_tPvRmT1_PNSt15iterator_traitsISK_E10value_typeET2_T3_PNSL_ISQ_E10value_typeET4_jRbjT5_SW_jjP12ihipStream_tbEUlT_E_NS1_11comp_targetILNS1_3genE9ELNS1_11target_archE1100ELNS1_3gpuE3ELNS1_3repE0EEENS1_30default_config_static_selectorELNS0_4arch9wavefront6targetE1EEEvSK_,comdat
	.globl	_ZN7rocprim17ROCPRIM_400000_NS6detail17trampoline_kernelINS0_14default_configENS1_36segmented_radix_sort_config_selectorIflEEZNS1_25segmented_radix_sort_implIS3_Lb1EPKfPfPKlPlN2at6native12_GLOBAL__N_18offset_tEEE10hipError_tPvRmT1_PNSt15iterator_traitsISK_E10value_typeET2_T3_PNSL_ISQ_E10value_typeET4_jRbjT5_SW_jjP12ihipStream_tbEUlT_E_NS1_11comp_targetILNS1_3genE9ELNS1_11target_archE1100ELNS1_3gpuE3ELNS1_3repE0EEENS1_30default_config_static_selectorELNS0_4arch9wavefront6targetE1EEEvSK_ ; -- Begin function _ZN7rocprim17ROCPRIM_400000_NS6detail17trampoline_kernelINS0_14default_configENS1_36segmented_radix_sort_config_selectorIflEEZNS1_25segmented_radix_sort_implIS3_Lb1EPKfPfPKlPlN2at6native12_GLOBAL__N_18offset_tEEE10hipError_tPvRmT1_PNSt15iterator_traitsISK_E10value_typeET2_T3_PNSL_ISQ_E10value_typeET4_jRbjT5_SW_jjP12ihipStream_tbEUlT_E_NS1_11comp_targetILNS1_3genE9ELNS1_11target_archE1100ELNS1_3gpuE3ELNS1_3repE0EEENS1_30default_config_static_selectorELNS0_4arch9wavefront6targetE1EEEvSK_
	.p2align	8
	.type	_ZN7rocprim17ROCPRIM_400000_NS6detail17trampoline_kernelINS0_14default_configENS1_36segmented_radix_sort_config_selectorIflEEZNS1_25segmented_radix_sort_implIS3_Lb1EPKfPfPKlPlN2at6native12_GLOBAL__N_18offset_tEEE10hipError_tPvRmT1_PNSt15iterator_traitsISK_E10value_typeET2_T3_PNSL_ISQ_E10value_typeET4_jRbjT5_SW_jjP12ihipStream_tbEUlT_E_NS1_11comp_targetILNS1_3genE9ELNS1_11target_archE1100ELNS1_3gpuE3ELNS1_3repE0EEENS1_30default_config_static_selectorELNS0_4arch9wavefront6targetE1EEEvSK_,@function
_ZN7rocprim17ROCPRIM_400000_NS6detail17trampoline_kernelINS0_14default_configENS1_36segmented_radix_sort_config_selectorIflEEZNS1_25segmented_radix_sort_implIS3_Lb1EPKfPfPKlPlN2at6native12_GLOBAL__N_18offset_tEEE10hipError_tPvRmT1_PNSt15iterator_traitsISK_E10value_typeET2_T3_PNSL_ISQ_E10value_typeET4_jRbjT5_SW_jjP12ihipStream_tbEUlT_E_NS1_11comp_targetILNS1_3genE9ELNS1_11target_archE1100ELNS1_3gpuE3ELNS1_3repE0EEENS1_30default_config_static_selectorELNS0_4arch9wavefront6targetE1EEEvSK_: ; @_ZN7rocprim17ROCPRIM_400000_NS6detail17trampoline_kernelINS0_14default_configENS1_36segmented_radix_sort_config_selectorIflEEZNS1_25segmented_radix_sort_implIS3_Lb1EPKfPfPKlPlN2at6native12_GLOBAL__N_18offset_tEEE10hipError_tPvRmT1_PNSt15iterator_traitsISK_E10value_typeET2_T3_PNSL_ISQ_E10value_typeET4_jRbjT5_SW_jjP12ihipStream_tbEUlT_E_NS1_11comp_targetILNS1_3genE9ELNS1_11target_archE1100ELNS1_3gpuE3ELNS1_3repE0EEENS1_30default_config_static_selectorELNS0_4arch9wavefront6targetE1EEEvSK_
; %bb.0:
	.section	.rodata,"a",@progbits
	.p2align	6, 0x0
	.amdhsa_kernel _ZN7rocprim17ROCPRIM_400000_NS6detail17trampoline_kernelINS0_14default_configENS1_36segmented_radix_sort_config_selectorIflEEZNS1_25segmented_radix_sort_implIS3_Lb1EPKfPfPKlPlN2at6native12_GLOBAL__N_18offset_tEEE10hipError_tPvRmT1_PNSt15iterator_traitsISK_E10value_typeET2_T3_PNSL_ISQ_E10value_typeET4_jRbjT5_SW_jjP12ihipStream_tbEUlT_E_NS1_11comp_targetILNS1_3genE9ELNS1_11target_archE1100ELNS1_3gpuE3ELNS1_3repE0EEENS1_30default_config_static_selectorELNS0_4arch9wavefront6targetE1EEEvSK_
		.amdhsa_group_segment_fixed_size 0
		.amdhsa_private_segment_fixed_size 0
		.amdhsa_kernarg_size 96
		.amdhsa_user_sgpr_count 6
		.amdhsa_user_sgpr_private_segment_buffer 1
		.amdhsa_user_sgpr_dispatch_ptr 0
		.amdhsa_user_sgpr_queue_ptr 0
		.amdhsa_user_sgpr_kernarg_segment_ptr 1
		.amdhsa_user_sgpr_dispatch_id 0
		.amdhsa_user_sgpr_flat_scratch_init 0
		.amdhsa_user_sgpr_kernarg_preload_length 0
		.amdhsa_user_sgpr_kernarg_preload_offset 0
		.amdhsa_user_sgpr_private_segment_size 0
		.amdhsa_uses_dynamic_stack 0
		.amdhsa_system_sgpr_private_segment_wavefront_offset 0
		.amdhsa_system_sgpr_workgroup_id_x 1
		.amdhsa_system_sgpr_workgroup_id_y 0
		.amdhsa_system_sgpr_workgroup_id_z 0
		.amdhsa_system_sgpr_workgroup_info 0
		.amdhsa_system_vgpr_workitem_id 0
		.amdhsa_next_free_vgpr 1
		.amdhsa_next_free_sgpr 0
		.amdhsa_accum_offset 4
		.amdhsa_reserve_vcc 0
		.amdhsa_reserve_flat_scratch 0
		.amdhsa_float_round_mode_32 0
		.amdhsa_float_round_mode_16_64 0
		.amdhsa_float_denorm_mode_32 3
		.amdhsa_float_denorm_mode_16_64 3
		.amdhsa_dx10_clamp 1
		.amdhsa_ieee_mode 1
		.amdhsa_fp16_overflow 0
		.amdhsa_tg_split 0
		.amdhsa_exception_fp_ieee_invalid_op 0
		.amdhsa_exception_fp_denorm_src 0
		.amdhsa_exception_fp_ieee_div_zero 0
		.amdhsa_exception_fp_ieee_overflow 0
		.amdhsa_exception_fp_ieee_underflow 0
		.amdhsa_exception_fp_ieee_inexact 0
		.amdhsa_exception_int_div_zero 0
	.end_amdhsa_kernel
	.section	.text._ZN7rocprim17ROCPRIM_400000_NS6detail17trampoline_kernelINS0_14default_configENS1_36segmented_radix_sort_config_selectorIflEEZNS1_25segmented_radix_sort_implIS3_Lb1EPKfPfPKlPlN2at6native12_GLOBAL__N_18offset_tEEE10hipError_tPvRmT1_PNSt15iterator_traitsISK_E10value_typeET2_T3_PNSL_ISQ_E10value_typeET4_jRbjT5_SW_jjP12ihipStream_tbEUlT_E_NS1_11comp_targetILNS1_3genE9ELNS1_11target_archE1100ELNS1_3gpuE3ELNS1_3repE0EEENS1_30default_config_static_selectorELNS0_4arch9wavefront6targetE1EEEvSK_,"axG",@progbits,_ZN7rocprim17ROCPRIM_400000_NS6detail17trampoline_kernelINS0_14default_configENS1_36segmented_radix_sort_config_selectorIflEEZNS1_25segmented_radix_sort_implIS3_Lb1EPKfPfPKlPlN2at6native12_GLOBAL__N_18offset_tEEE10hipError_tPvRmT1_PNSt15iterator_traitsISK_E10value_typeET2_T3_PNSL_ISQ_E10value_typeET4_jRbjT5_SW_jjP12ihipStream_tbEUlT_E_NS1_11comp_targetILNS1_3genE9ELNS1_11target_archE1100ELNS1_3gpuE3ELNS1_3repE0EEENS1_30default_config_static_selectorELNS0_4arch9wavefront6targetE1EEEvSK_,comdat
.Lfunc_end1331:
	.size	_ZN7rocprim17ROCPRIM_400000_NS6detail17trampoline_kernelINS0_14default_configENS1_36segmented_radix_sort_config_selectorIflEEZNS1_25segmented_radix_sort_implIS3_Lb1EPKfPfPKlPlN2at6native12_GLOBAL__N_18offset_tEEE10hipError_tPvRmT1_PNSt15iterator_traitsISK_E10value_typeET2_T3_PNSL_ISQ_E10value_typeET4_jRbjT5_SW_jjP12ihipStream_tbEUlT_E_NS1_11comp_targetILNS1_3genE9ELNS1_11target_archE1100ELNS1_3gpuE3ELNS1_3repE0EEENS1_30default_config_static_selectorELNS0_4arch9wavefront6targetE1EEEvSK_, .Lfunc_end1331-_ZN7rocprim17ROCPRIM_400000_NS6detail17trampoline_kernelINS0_14default_configENS1_36segmented_radix_sort_config_selectorIflEEZNS1_25segmented_radix_sort_implIS3_Lb1EPKfPfPKlPlN2at6native12_GLOBAL__N_18offset_tEEE10hipError_tPvRmT1_PNSt15iterator_traitsISK_E10value_typeET2_T3_PNSL_ISQ_E10value_typeET4_jRbjT5_SW_jjP12ihipStream_tbEUlT_E_NS1_11comp_targetILNS1_3genE9ELNS1_11target_archE1100ELNS1_3gpuE3ELNS1_3repE0EEENS1_30default_config_static_selectorELNS0_4arch9wavefront6targetE1EEEvSK_
                                        ; -- End function
	.section	.AMDGPU.csdata,"",@progbits
; Kernel info:
; codeLenInByte = 0
; NumSgprs: 4
; NumVgprs: 0
; NumAgprs: 0
; TotalNumVgprs: 0
; ScratchSize: 0
; MemoryBound: 0
; FloatMode: 240
; IeeeMode: 1
; LDSByteSize: 0 bytes/workgroup (compile time only)
; SGPRBlocks: 0
; VGPRBlocks: 0
; NumSGPRsForWavesPerEU: 4
; NumVGPRsForWavesPerEU: 1
; AccumOffset: 4
; Occupancy: 8
; WaveLimiterHint : 0
; COMPUTE_PGM_RSRC2:SCRATCH_EN: 0
; COMPUTE_PGM_RSRC2:USER_SGPR: 6
; COMPUTE_PGM_RSRC2:TRAP_HANDLER: 0
; COMPUTE_PGM_RSRC2:TGID_X_EN: 1
; COMPUTE_PGM_RSRC2:TGID_Y_EN: 0
; COMPUTE_PGM_RSRC2:TGID_Z_EN: 0
; COMPUTE_PGM_RSRC2:TIDIG_COMP_CNT: 0
; COMPUTE_PGM_RSRC3_GFX90A:ACCUM_OFFSET: 0
; COMPUTE_PGM_RSRC3_GFX90A:TG_SPLIT: 0
	.section	.text._ZN7rocprim17ROCPRIM_400000_NS6detail17trampoline_kernelINS0_14default_configENS1_36segmented_radix_sort_config_selectorIflEEZNS1_25segmented_radix_sort_implIS3_Lb1EPKfPfPKlPlN2at6native12_GLOBAL__N_18offset_tEEE10hipError_tPvRmT1_PNSt15iterator_traitsISK_E10value_typeET2_T3_PNSL_ISQ_E10value_typeET4_jRbjT5_SW_jjP12ihipStream_tbEUlT_E_NS1_11comp_targetILNS1_3genE8ELNS1_11target_archE1030ELNS1_3gpuE2ELNS1_3repE0EEENS1_30default_config_static_selectorELNS0_4arch9wavefront6targetE1EEEvSK_,"axG",@progbits,_ZN7rocprim17ROCPRIM_400000_NS6detail17trampoline_kernelINS0_14default_configENS1_36segmented_radix_sort_config_selectorIflEEZNS1_25segmented_radix_sort_implIS3_Lb1EPKfPfPKlPlN2at6native12_GLOBAL__N_18offset_tEEE10hipError_tPvRmT1_PNSt15iterator_traitsISK_E10value_typeET2_T3_PNSL_ISQ_E10value_typeET4_jRbjT5_SW_jjP12ihipStream_tbEUlT_E_NS1_11comp_targetILNS1_3genE8ELNS1_11target_archE1030ELNS1_3gpuE2ELNS1_3repE0EEENS1_30default_config_static_selectorELNS0_4arch9wavefront6targetE1EEEvSK_,comdat
	.globl	_ZN7rocprim17ROCPRIM_400000_NS6detail17trampoline_kernelINS0_14default_configENS1_36segmented_radix_sort_config_selectorIflEEZNS1_25segmented_radix_sort_implIS3_Lb1EPKfPfPKlPlN2at6native12_GLOBAL__N_18offset_tEEE10hipError_tPvRmT1_PNSt15iterator_traitsISK_E10value_typeET2_T3_PNSL_ISQ_E10value_typeET4_jRbjT5_SW_jjP12ihipStream_tbEUlT_E_NS1_11comp_targetILNS1_3genE8ELNS1_11target_archE1030ELNS1_3gpuE2ELNS1_3repE0EEENS1_30default_config_static_selectorELNS0_4arch9wavefront6targetE1EEEvSK_ ; -- Begin function _ZN7rocprim17ROCPRIM_400000_NS6detail17trampoline_kernelINS0_14default_configENS1_36segmented_radix_sort_config_selectorIflEEZNS1_25segmented_radix_sort_implIS3_Lb1EPKfPfPKlPlN2at6native12_GLOBAL__N_18offset_tEEE10hipError_tPvRmT1_PNSt15iterator_traitsISK_E10value_typeET2_T3_PNSL_ISQ_E10value_typeET4_jRbjT5_SW_jjP12ihipStream_tbEUlT_E_NS1_11comp_targetILNS1_3genE8ELNS1_11target_archE1030ELNS1_3gpuE2ELNS1_3repE0EEENS1_30default_config_static_selectorELNS0_4arch9wavefront6targetE1EEEvSK_
	.p2align	8
	.type	_ZN7rocprim17ROCPRIM_400000_NS6detail17trampoline_kernelINS0_14default_configENS1_36segmented_radix_sort_config_selectorIflEEZNS1_25segmented_radix_sort_implIS3_Lb1EPKfPfPKlPlN2at6native12_GLOBAL__N_18offset_tEEE10hipError_tPvRmT1_PNSt15iterator_traitsISK_E10value_typeET2_T3_PNSL_ISQ_E10value_typeET4_jRbjT5_SW_jjP12ihipStream_tbEUlT_E_NS1_11comp_targetILNS1_3genE8ELNS1_11target_archE1030ELNS1_3gpuE2ELNS1_3repE0EEENS1_30default_config_static_selectorELNS0_4arch9wavefront6targetE1EEEvSK_,@function
_ZN7rocprim17ROCPRIM_400000_NS6detail17trampoline_kernelINS0_14default_configENS1_36segmented_radix_sort_config_selectorIflEEZNS1_25segmented_radix_sort_implIS3_Lb1EPKfPfPKlPlN2at6native12_GLOBAL__N_18offset_tEEE10hipError_tPvRmT1_PNSt15iterator_traitsISK_E10value_typeET2_T3_PNSL_ISQ_E10value_typeET4_jRbjT5_SW_jjP12ihipStream_tbEUlT_E_NS1_11comp_targetILNS1_3genE8ELNS1_11target_archE1030ELNS1_3gpuE2ELNS1_3repE0EEENS1_30default_config_static_selectorELNS0_4arch9wavefront6targetE1EEEvSK_: ; @_ZN7rocprim17ROCPRIM_400000_NS6detail17trampoline_kernelINS0_14default_configENS1_36segmented_radix_sort_config_selectorIflEEZNS1_25segmented_radix_sort_implIS3_Lb1EPKfPfPKlPlN2at6native12_GLOBAL__N_18offset_tEEE10hipError_tPvRmT1_PNSt15iterator_traitsISK_E10value_typeET2_T3_PNSL_ISQ_E10value_typeET4_jRbjT5_SW_jjP12ihipStream_tbEUlT_E_NS1_11comp_targetILNS1_3genE8ELNS1_11target_archE1030ELNS1_3gpuE2ELNS1_3repE0EEENS1_30default_config_static_selectorELNS0_4arch9wavefront6targetE1EEEvSK_
; %bb.0:
	.section	.rodata,"a",@progbits
	.p2align	6, 0x0
	.amdhsa_kernel _ZN7rocprim17ROCPRIM_400000_NS6detail17trampoline_kernelINS0_14default_configENS1_36segmented_radix_sort_config_selectorIflEEZNS1_25segmented_radix_sort_implIS3_Lb1EPKfPfPKlPlN2at6native12_GLOBAL__N_18offset_tEEE10hipError_tPvRmT1_PNSt15iterator_traitsISK_E10value_typeET2_T3_PNSL_ISQ_E10value_typeET4_jRbjT5_SW_jjP12ihipStream_tbEUlT_E_NS1_11comp_targetILNS1_3genE8ELNS1_11target_archE1030ELNS1_3gpuE2ELNS1_3repE0EEENS1_30default_config_static_selectorELNS0_4arch9wavefront6targetE1EEEvSK_
		.amdhsa_group_segment_fixed_size 0
		.amdhsa_private_segment_fixed_size 0
		.amdhsa_kernarg_size 96
		.amdhsa_user_sgpr_count 6
		.amdhsa_user_sgpr_private_segment_buffer 1
		.amdhsa_user_sgpr_dispatch_ptr 0
		.amdhsa_user_sgpr_queue_ptr 0
		.amdhsa_user_sgpr_kernarg_segment_ptr 1
		.amdhsa_user_sgpr_dispatch_id 0
		.amdhsa_user_sgpr_flat_scratch_init 0
		.amdhsa_user_sgpr_kernarg_preload_length 0
		.amdhsa_user_sgpr_kernarg_preload_offset 0
		.amdhsa_user_sgpr_private_segment_size 0
		.amdhsa_uses_dynamic_stack 0
		.amdhsa_system_sgpr_private_segment_wavefront_offset 0
		.amdhsa_system_sgpr_workgroup_id_x 1
		.amdhsa_system_sgpr_workgroup_id_y 0
		.amdhsa_system_sgpr_workgroup_id_z 0
		.amdhsa_system_sgpr_workgroup_info 0
		.amdhsa_system_vgpr_workitem_id 0
		.amdhsa_next_free_vgpr 1
		.amdhsa_next_free_sgpr 0
		.amdhsa_accum_offset 4
		.amdhsa_reserve_vcc 0
		.amdhsa_reserve_flat_scratch 0
		.amdhsa_float_round_mode_32 0
		.amdhsa_float_round_mode_16_64 0
		.amdhsa_float_denorm_mode_32 3
		.amdhsa_float_denorm_mode_16_64 3
		.amdhsa_dx10_clamp 1
		.amdhsa_ieee_mode 1
		.amdhsa_fp16_overflow 0
		.amdhsa_tg_split 0
		.amdhsa_exception_fp_ieee_invalid_op 0
		.amdhsa_exception_fp_denorm_src 0
		.amdhsa_exception_fp_ieee_div_zero 0
		.amdhsa_exception_fp_ieee_overflow 0
		.amdhsa_exception_fp_ieee_underflow 0
		.amdhsa_exception_fp_ieee_inexact 0
		.amdhsa_exception_int_div_zero 0
	.end_amdhsa_kernel
	.section	.text._ZN7rocprim17ROCPRIM_400000_NS6detail17trampoline_kernelINS0_14default_configENS1_36segmented_radix_sort_config_selectorIflEEZNS1_25segmented_radix_sort_implIS3_Lb1EPKfPfPKlPlN2at6native12_GLOBAL__N_18offset_tEEE10hipError_tPvRmT1_PNSt15iterator_traitsISK_E10value_typeET2_T3_PNSL_ISQ_E10value_typeET4_jRbjT5_SW_jjP12ihipStream_tbEUlT_E_NS1_11comp_targetILNS1_3genE8ELNS1_11target_archE1030ELNS1_3gpuE2ELNS1_3repE0EEENS1_30default_config_static_selectorELNS0_4arch9wavefront6targetE1EEEvSK_,"axG",@progbits,_ZN7rocprim17ROCPRIM_400000_NS6detail17trampoline_kernelINS0_14default_configENS1_36segmented_radix_sort_config_selectorIflEEZNS1_25segmented_radix_sort_implIS3_Lb1EPKfPfPKlPlN2at6native12_GLOBAL__N_18offset_tEEE10hipError_tPvRmT1_PNSt15iterator_traitsISK_E10value_typeET2_T3_PNSL_ISQ_E10value_typeET4_jRbjT5_SW_jjP12ihipStream_tbEUlT_E_NS1_11comp_targetILNS1_3genE8ELNS1_11target_archE1030ELNS1_3gpuE2ELNS1_3repE0EEENS1_30default_config_static_selectorELNS0_4arch9wavefront6targetE1EEEvSK_,comdat
.Lfunc_end1332:
	.size	_ZN7rocprim17ROCPRIM_400000_NS6detail17trampoline_kernelINS0_14default_configENS1_36segmented_radix_sort_config_selectorIflEEZNS1_25segmented_radix_sort_implIS3_Lb1EPKfPfPKlPlN2at6native12_GLOBAL__N_18offset_tEEE10hipError_tPvRmT1_PNSt15iterator_traitsISK_E10value_typeET2_T3_PNSL_ISQ_E10value_typeET4_jRbjT5_SW_jjP12ihipStream_tbEUlT_E_NS1_11comp_targetILNS1_3genE8ELNS1_11target_archE1030ELNS1_3gpuE2ELNS1_3repE0EEENS1_30default_config_static_selectorELNS0_4arch9wavefront6targetE1EEEvSK_, .Lfunc_end1332-_ZN7rocprim17ROCPRIM_400000_NS6detail17trampoline_kernelINS0_14default_configENS1_36segmented_radix_sort_config_selectorIflEEZNS1_25segmented_radix_sort_implIS3_Lb1EPKfPfPKlPlN2at6native12_GLOBAL__N_18offset_tEEE10hipError_tPvRmT1_PNSt15iterator_traitsISK_E10value_typeET2_T3_PNSL_ISQ_E10value_typeET4_jRbjT5_SW_jjP12ihipStream_tbEUlT_E_NS1_11comp_targetILNS1_3genE8ELNS1_11target_archE1030ELNS1_3gpuE2ELNS1_3repE0EEENS1_30default_config_static_selectorELNS0_4arch9wavefront6targetE1EEEvSK_
                                        ; -- End function
	.section	.AMDGPU.csdata,"",@progbits
; Kernel info:
; codeLenInByte = 0
; NumSgprs: 4
; NumVgprs: 0
; NumAgprs: 0
; TotalNumVgprs: 0
; ScratchSize: 0
; MemoryBound: 0
; FloatMode: 240
; IeeeMode: 1
; LDSByteSize: 0 bytes/workgroup (compile time only)
; SGPRBlocks: 0
; VGPRBlocks: 0
; NumSGPRsForWavesPerEU: 4
; NumVGPRsForWavesPerEU: 1
; AccumOffset: 4
; Occupancy: 8
; WaveLimiterHint : 0
; COMPUTE_PGM_RSRC2:SCRATCH_EN: 0
; COMPUTE_PGM_RSRC2:USER_SGPR: 6
; COMPUTE_PGM_RSRC2:TRAP_HANDLER: 0
; COMPUTE_PGM_RSRC2:TGID_X_EN: 1
; COMPUTE_PGM_RSRC2:TGID_Y_EN: 0
; COMPUTE_PGM_RSRC2:TGID_Z_EN: 0
; COMPUTE_PGM_RSRC2:TIDIG_COMP_CNT: 0
; COMPUTE_PGM_RSRC3_GFX90A:ACCUM_OFFSET: 0
; COMPUTE_PGM_RSRC3_GFX90A:TG_SPLIT: 0
	.section	.text._ZN7rocprim17ROCPRIM_400000_NS6detail17trampoline_kernelINS0_14default_configENS1_36segmented_radix_sort_config_selectorIflEEZNS1_25segmented_radix_sort_implIS3_Lb1EPKfPfPKlPlN2at6native12_GLOBAL__N_18offset_tEEE10hipError_tPvRmT1_PNSt15iterator_traitsISK_E10value_typeET2_T3_PNSL_ISQ_E10value_typeET4_jRbjT5_SW_jjP12ihipStream_tbEUlT_E0_NS1_11comp_targetILNS1_3genE0ELNS1_11target_archE4294967295ELNS1_3gpuE0ELNS1_3repE0EEENS1_60segmented_radix_sort_warp_sort_medium_config_static_selectorELNS0_4arch9wavefront6targetE1EEEvSK_,"axG",@progbits,_ZN7rocprim17ROCPRIM_400000_NS6detail17trampoline_kernelINS0_14default_configENS1_36segmented_radix_sort_config_selectorIflEEZNS1_25segmented_radix_sort_implIS3_Lb1EPKfPfPKlPlN2at6native12_GLOBAL__N_18offset_tEEE10hipError_tPvRmT1_PNSt15iterator_traitsISK_E10value_typeET2_T3_PNSL_ISQ_E10value_typeET4_jRbjT5_SW_jjP12ihipStream_tbEUlT_E0_NS1_11comp_targetILNS1_3genE0ELNS1_11target_archE4294967295ELNS1_3gpuE0ELNS1_3repE0EEENS1_60segmented_radix_sort_warp_sort_medium_config_static_selectorELNS0_4arch9wavefront6targetE1EEEvSK_,comdat
	.globl	_ZN7rocprim17ROCPRIM_400000_NS6detail17trampoline_kernelINS0_14default_configENS1_36segmented_radix_sort_config_selectorIflEEZNS1_25segmented_radix_sort_implIS3_Lb1EPKfPfPKlPlN2at6native12_GLOBAL__N_18offset_tEEE10hipError_tPvRmT1_PNSt15iterator_traitsISK_E10value_typeET2_T3_PNSL_ISQ_E10value_typeET4_jRbjT5_SW_jjP12ihipStream_tbEUlT_E0_NS1_11comp_targetILNS1_3genE0ELNS1_11target_archE4294967295ELNS1_3gpuE0ELNS1_3repE0EEENS1_60segmented_radix_sort_warp_sort_medium_config_static_selectorELNS0_4arch9wavefront6targetE1EEEvSK_ ; -- Begin function _ZN7rocprim17ROCPRIM_400000_NS6detail17trampoline_kernelINS0_14default_configENS1_36segmented_radix_sort_config_selectorIflEEZNS1_25segmented_radix_sort_implIS3_Lb1EPKfPfPKlPlN2at6native12_GLOBAL__N_18offset_tEEE10hipError_tPvRmT1_PNSt15iterator_traitsISK_E10value_typeET2_T3_PNSL_ISQ_E10value_typeET4_jRbjT5_SW_jjP12ihipStream_tbEUlT_E0_NS1_11comp_targetILNS1_3genE0ELNS1_11target_archE4294967295ELNS1_3gpuE0ELNS1_3repE0EEENS1_60segmented_radix_sort_warp_sort_medium_config_static_selectorELNS0_4arch9wavefront6targetE1EEEvSK_
	.p2align	8
	.type	_ZN7rocprim17ROCPRIM_400000_NS6detail17trampoline_kernelINS0_14default_configENS1_36segmented_radix_sort_config_selectorIflEEZNS1_25segmented_radix_sort_implIS3_Lb1EPKfPfPKlPlN2at6native12_GLOBAL__N_18offset_tEEE10hipError_tPvRmT1_PNSt15iterator_traitsISK_E10value_typeET2_T3_PNSL_ISQ_E10value_typeET4_jRbjT5_SW_jjP12ihipStream_tbEUlT_E0_NS1_11comp_targetILNS1_3genE0ELNS1_11target_archE4294967295ELNS1_3gpuE0ELNS1_3repE0EEENS1_60segmented_radix_sort_warp_sort_medium_config_static_selectorELNS0_4arch9wavefront6targetE1EEEvSK_,@function
_ZN7rocprim17ROCPRIM_400000_NS6detail17trampoline_kernelINS0_14default_configENS1_36segmented_radix_sort_config_selectorIflEEZNS1_25segmented_radix_sort_implIS3_Lb1EPKfPfPKlPlN2at6native12_GLOBAL__N_18offset_tEEE10hipError_tPvRmT1_PNSt15iterator_traitsISK_E10value_typeET2_T3_PNSL_ISQ_E10value_typeET4_jRbjT5_SW_jjP12ihipStream_tbEUlT_E0_NS1_11comp_targetILNS1_3genE0ELNS1_11target_archE4294967295ELNS1_3gpuE0ELNS1_3repE0EEENS1_60segmented_radix_sort_warp_sort_medium_config_static_selectorELNS0_4arch9wavefront6targetE1EEEvSK_: ; @_ZN7rocprim17ROCPRIM_400000_NS6detail17trampoline_kernelINS0_14default_configENS1_36segmented_radix_sort_config_selectorIflEEZNS1_25segmented_radix_sort_implIS3_Lb1EPKfPfPKlPlN2at6native12_GLOBAL__N_18offset_tEEE10hipError_tPvRmT1_PNSt15iterator_traitsISK_E10value_typeET2_T3_PNSL_ISQ_E10value_typeET4_jRbjT5_SW_jjP12ihipStream_tbEUlT_E0_NS1_11comp_targetILNS1_3genE0ELNS1_11target_archE4294967295ELNS1_3gpuE0ELNS1_3repE0EEENS1_60segmented_radix_sort_warp_sort_medium_config_static_selectorELNS0_4arch9wavefront6targetE1EEEvSK_
; %bb.0:
	.section	.rodata,"a",@progbits
	.p2align	6, 0x0
	.amdhsa_kernel _ZN7rocprim17ROCPRIM_400000_NS6detail17trampoline_kernelINS0_14default_configENS1_36segmented_radix_sort_config_selectorIflEEZNS1_25segmented_radix_sort_implIS3_Lb1EPKfPfPKlPlN2at6native12_GLOBAL__N_18offset_tEEE10hipError_tPvRmT1_PNSt15iterator_traitsISK_E10value_typeET2_T3_PNSL_ISQ_E10value_typeET4_jRbjT5_SW_jjP12ihipStream_tbEUlT_E0_NS1_11comp_targetILNS1_3genE0ELNS1_11target_archE4294967295ELNS1_3gpuE0ELNS1_3repE0EEENS1_60segmented_radix_sort_warp_sort_medium_config_static_selectorELNS0_4arch9wavefront6targetE1EEEvSK_
		.amdhsa_group_segment_fixed_size 0
		.amdhsa_private_segment_fixed_size 0
		.amdhsa_kernarg_size 88
		.amdhsa_user_sgpr_count 6
		.amdhsa_user_sgpr_private_segment_buffer 1
		.amdhsa_user_sgpr_dispatch_ptr 0
		.amdhsa_user_sgpr_queue_ptr 0
		.amdhsa_user_sgpr_kernarg_segment_ptr 1
		.amdhsa_user_sgpr_dispatch_id 0
		.amdhsa_user_sgpr_flat_scratch_init 0
		.amdhsa_user_sgpr_kernarg_preload_length 0
		.amdhsa_user_sgpr_kernarg_preload_offset 0
		.amdhsa_user_sgpr_private_segment_size 0
		.amdhsa_uses_dynamic_stack 0
		.amdhsa_system_sgpr_private_segment_wavefront_offset 0
		.amdhsa_system_sgpr_workgroup_id_x 1
		.amdhsa_system_sgpr_workgroup_id_y 0
		.amdhsa_system_sgpr_workgroup_id_z 0
		.amdhsa_system_sgpr_workgroup_info 0
		.amdhsa_system_vgpr_workitem_id 0
		.amdhsa_next_free_vgpr 1
		.amdhsa_next_free_sgpr 0
		.amdhsa_accum_offset 4
		.amdhsa_reserve_vcc 0
		.amdhsa_reserve_flat_scratch 0
		.amdhsa_float_round_mode_32 0
		.amdhsa_float_round_mode_16_64 0
		.amdhsa_float_denorm_mode_32 3
		.amdhsa_float_denorm_mode_16_64 3
		.amdhsa_dx10_clamp 1
		.amdhsa_ieee_mode 1
		.amdhsa_fp16_overflow 0
		.amdhsa_tg_split 0
		.amdhsa_exception_fp_ieee_invalid_op 0
		.amdhsa_exception_fp_denorm_src 0
		.amdhsa_exception_fp_ieee_div_zero 0
		.amdhsa_exception_fp_ieee_overflow 0
		.amdhsa_exception_fp_ieee_underflow 0
		.amdhsa_exception_fp_ieee_inexact 0
		.amdhsa_exception_int_div_zero 0
	.end_amdhsa_kernel
	.section	.text._ZN7rocprim17ROCPRIM_400000_NS6detail17trampoline_kernelINS0_14default_configENS1_36segmented_radix_sort_config_selectorIflEEZNS1_25segmented_radix_sort_implIS3_Lb1EPKfPfPKlPlN2at6native12_GLOBAL__N_18offset_tEEE10hipError_tPvRmT1_PNSt15iterator_traitsISK_E10value_typeET2_T3_PNSL_ISQ_E10value_typeET4_jRbjT5_SW_jjP12ihipStream_tbEUlT_E0_NS1_11comp_targetILNS1_3genE0ELNS1_11target_archE4294967295ELNS1_3gpuE0ELNS1_3repE0EEENS1_60segmented_radix_sort_warp_sort_medium_config_static_selectorELNS0_4arch9wavefront6targetE1EEEvSK_,"axG",@progbits,_ZN7rocprim17ROCPRIM_400000_NS6detail17trampoline_kernelINS0_14default_configENS1_36segmented_radix_sort_config_selectorIflEEZNS1_25segmented_radix_sort_implIS3_Lb1EPKfPfPKlPlN2at6native12_GLOBAL__N_18offset_tEEE10hipError_tPvRmT1_PNSt15iterator_traitsISK_E10value_typeET2_T3_PNSL_ISQ_E10value_typeET4_jRbjT5_SW_jjP12ihipStream_tbEUlT_E0_NS1_11comp_targetILNS1_3genE0ELNS1_11target_archE4294967295ELNS1_3gpuE0ELNS1_3repE0EEENS1_60segmented_radix_sort_warp_sort_medium_config_static_selectorELNS0_4arch9wavefront6targetE1EEEvSK_,comdat
.Lfunc_end1333:
	.size	_ZN7rocprim17ROCPRIM_400000_NS6detail17trampoline_kernelINS0_14default_configENS1_36segmented_radix_sort_config_selectorIflEEZNS1_25segmented_radix_sort_implIS3_Lb1EPKfPfPKlPlN2at6native12_GLOBAL__N_18offset_tEEE10hipError_tPvRmT1_PNSt15iterator_traitsISK_E10value_typeET2_T3_PNSL_ISQ_E10value_typeET4_jRbjT5_SW_jjP12ihipStream_tbEUlT_E0_NS1_11comp_targetILNS1_3genE0ELNS1_11target_archE4294967295ELNS1_3gpuE0ELNS1_3repE0EEENS1_60segmented_radix_sort_warp_sort_medium_config_static_selectorELNS0_4arch9wavefront6targetE1EEEvSK_, .Lfunc_end1333-_ZN7rocprim17ROCPRIM_400000_NS6detail17trampoline_kernelINS0_14default_configENS1_36segmented_radix_sort_config_selectorIflEEZNS1_25segmented_radix_sort_implIS3_Lb1EPKfPfPKlPlN2at6native12_GLOBAL__N_18offset_tEEE10hipError_tPvRmT1_PNSt15iterator_traitsISK_E10value_typeET2_T3_PNSL_ISQ_E10value_typeET4_jRbjT5_SW_jjP12ihipStream_tbEUlT_E0_NS1_11comp_targetILNS1_3genE0ELNS1_11target_archE4294967295ELNS1_3gpuE0ELNS1_3repE0EEENS1_60segmented_radix_sort_warp_sort_medium_config_static_selectorELNS0_4arch9wavefront6targetE1EEEvSK_
                                        ; -- End function
	.section	.AMDGPU.csdata,"",@progbits
; Kernel info:
; codeLenInByte = 0
; NumSgprs: 4
; NumVgprs: 0
; NumAgprs: 0
; TotalNumVgprs: 0
; ScratchSize: 0
; MemoryBound: 0
; FloatMode: 240
; IeeeMode: 1
; LDSByteSize: 0 bytes/workgroup (compile time only)
; SGPRBlocks: 0
; VGPRBlocks: 0
; NumSGPRsForWavesPerEU: 4
; NumVGPRsForWavesPerEU: 1
; AccumOffset: 4
; Occupancy: 8
; WaveLimiterHint : 0
; COMPUTE_PGM_RSRC2:SCRATCH_EN: 0
; COMPUTE_PGM_RSRC2:USER_SGPR: 6
; COMPUTE_PGM_RSRC2:TRAP_HANDLER: 0
; COMPUTE_PGM_RSRC2:TGID_X_EN: 1
; COMPUTE_PGM_RSRC2:TGID_Y_EN: 0
; COMPUTE_PGM_RSRC2:TGID_Z_EN: 0
; COMPUTE_PGM_RSRC2:TIDIG_COMP_CNT: 0
; COMPUTE_PGM_RSRC3_GFX90A:ACCUM_OFFSET: 0
; COMPUTE_PGM_RSRC3_GFX90A:TG_SPLIT: 0
	.section	.text._ZN7rocprim17ROCPRIM_400000_NS6detail17trampoline_kernelINS0_14default_configENS1_36segmented_radix_sort_config_selectorIflEEZNS1_25segmented_radix_sort_implIS3_Lb1EPKfPfPKlPlN2at6native12_GLOBAL__N_18offset_tEEE10hipError_tPvRmT1_PNSt15iterator_traitsISK_E10value_typeET2_T3_PNSL_ISQ_E10value_typeET4_jRbjT5_SW_jjP12ihipStream_tbEUlT_E0_NS1_11comp_targetILNS1_3genE5ELNS1_11target_archE942ELNS1_3gpuE9ELNS1_3repE0EEENS1_60segmented_radix_sort_warp_sort_medium_config_static_selectorELNS0_4arch9wavefront6targetE1EEEvSK_,"axG",@progbits,_ZN7rocprim17ROCPRIM_400000_NS6detail17trampoline_kernelINS0_14default_configENS1_36segmented_radix_sort_config_selectorIflEEZNS1_25segmented_radix_sort_implIS3_Lb1EPKfPfPKlPlN2at6native12_GLOBAL__N_18offset_tEEE10hipError_tPvRmT1_PNSt15iterator_traitsISK_E10value_typeET2_T3_PNSL_ISQ_E10value_typeET4_jRbjT5_SW_jjP12ihipStream_tbEUlT_E0_NS1_11comp_targetILNS1_3genE5ELNS1_11target_archE942ELNS1_3gpuE9ELNS1_3repE0EEENS1_60segmented_radix_sort_warp_sort_medium_config_static_selectorELNS0_4arch9wavefront6targetE1EEEvSK_,comdat
	.globl	_ZN7rocprim17ROCPRIM_400000_NS6detail17trampoline_kernelINS0_14default_configENS1_36segmented_radix_sort_config_selectorIflEEZNS1_25segmented_radix_sort_implIS3_Lb1EPKfPfPKlPlN2at6native12_GLOBAL__N_18offset_tEEE10hipError_tPvRmT1_PNSt15iterator_traitsISK_E10value_typeET2_T3_PNSL_ISQ_E10value_typeET4_jRbjT5_SW_jjP12ihipStream_tbEUlT_E0_NS1_11comp_targetILNS1_3genE5ELNS1_11target_archE942ELNS1_3gpuE9ELNS1_3repE0EEENS1_60segmented_radix_sort_warp_sort_medium_config_static_selectorELNS0_4arch9wavefront6targetE1EEEvSK_ ; -- Begin function _ZN7rocprim17ROCPRIM_400000_NS6detail17trampoline_kernelINS0_14default_configENS1_36segmented_radix_sort_config_selectorIflEEZNS1_25segmented_radix_sort_implIS3_Lb1EPKfPfPKlPlN2at6native12_GLOBAL__N_18offset_tEEE10hipError_tPvRmT1_PNSt15iterator_traitsISK_E10value_typeET2_T3_PNSL_ISQ_E10value_typeET4_jRbjT5_SW_jjP12ihipStream_tbEUlT_E0_NS1_11comp_targetILNS1_3genE5ELNS1_11target_archE942ELNS1_3gpuE9ELNS1_3repE0EEENS1_60segmented_radix_sort_warp_sort_medium_config_static_selectorELNS0_4arch9wavefront6targetE1EEEvSK_
	.p2align	8
	.type	_ZN7rocprim17ROCPRIM_400000_NS6detail17trampoline_kernelINS0_14default_configENS1_36segmented_radix_sort_config_selectorIflEEZNS1_25segmented_radix_sort_implIS3_Lb1EPKfPfPKlPlN2at6native12_GLOBAL__N_18offset_tEEE10hipError_tPvRmT1_PNSt15iterator_traitsISK_E10value_typeET2_T3_PNSL_ISQ_E10value_typeET4_jRbjT5_SW_jjP12ihipStream_tbEUlT_E0_NS1_11comp_targetILNS1_3genE5ELNS1_11target_archE942ELNS1_3gpuE9ELNS1_3repE0EEENS1_60segmented_radix_sort_warp_sort_medium_config_static_selectorELNS0_4arch9wavefront6targetE1EEEvSK_,@function
_ZN7rocprim17ROCPRIM_400000_NS6detail17trampoline_kernelINS0_14default_configENS1_36segmented_radix_sort_config_selectorIflEEZNS1_25segmented_radix_sort_implIS3_Lb1EPKfPfPKlPlN2at6native12_GLOBAL__N_18offset_tEEE10hipError_tPvRmT1_PNSt15iterator_traitsISK_E10value_typeET2_T3_PNSL_ISQ_E10value_typeET4_jRbjT5_SW_jjP12ihipStream_tbEUlT_E0_NS1_11comp_targetILNS1_3genE5ELNS1_11target_archE942ELNS1_3gpuE9ELNS1_3repE0EEENS1_60segmented_radix_sort_warp_sort_medium_config_static_selectorELNS0_4arch9wavefront6targetE1EEEvSK_: ; @_ZN7rocprim17ROCPRIM_400000_NS6detail17trampoline_kernelINS0_14default_configENS1_36segmented_radix_sort_config_selectorIflEEZNS1_25segmented_radix_sort_implIS3_Lb1EPKfPfPKlPlN2at6native12_GLOBAL__N_18offset_tEEE10hipError_tPvRmT1_PNSt15iterator_traitsISK_E10value_typeET2_T3_PNSL_ISQ_E10value_typeET4_jRbjT5_SW_jjP12ihipStream_tbEUlT_E0_NS1_11comp_targetILNS1_3genE5ELNS1_11target_archE942ELNS1_3gpuE9ELNS1_3repE0EEENS1_60segmented_radix_sort_warp_sort_medium_config_static_selectorELNS0_4arch9wavefront6targetE1EEEvSK_
; %bb.0:
	.section	.rodata,"a",@progbits
	.p2align	6, 0x0
	.amdhsa_kernel _ZN7rocprim17ROCPRIM_400000_NS6detail17trampoline_kernelINS0_14default_configENS1_36segmented_radix_sort_config_selectorIflEEZNS1_25segmented_radix_sort_implIS3_Lb1EPKfPfPKlPlN2at6native12_GLOBAL__N_18offset_tEEE10hipError_tPvRmT1_PNSt15iterator_traitsISK_E10value_typeET2_T3_PNSL_ISQ_E10value_typeET4_jRbjT5_SW_jjP12ihipStream_tbEUlT_E0_NS1_11comp_targetILNS1_3genE5ELNS1_11target_archE942ELNS1_3gpuE9ELNS1_3repE0EEENS1_60segmented_radix_sort_warp_sort_medium_config_static_selectorELNS0_4arch9wavefront6targetE1EEEvSK_
		.amdhsa_group_segment_fixed_size 0
		.amdhsa_private_segment_fixed_size 0
		.amdhsa_kernarg_size 88
		.amdhsa_user_sgpr_count 6
		.amdhsa_user_sgpr_private_segment_buffer 1
		.amdhsa_user_sgpr_dispatch_ptr 0
		.amdhsa_user_sgpr_queue_ptr 0
		.amdhsa_user_sgpr_kernarg_segment_ptr 1
		.amdhsa_user_sgpr_dispatch_id 0
		.amdhsa_user_sgpr_flat_scratch_init 0
		.amdhsa_user_sgpr_kernarg_preload_length 0
		.amdhsa_user_sgpr_kernarg_preload_offset 0
		.amdhsa_user_sgpr_private_segment_size 0
		.amdhsa_uses_dynamic_stack 0
		.amdhsa_system_sgpr_private_segment_wavefront_offset 0
		.amdhsa_system_sgpr_workgroup_id_x 1
		.amdhsa_system_sgpr_workgroup_id_y 0
		.amdhsa_system_sgpr_workgroup_id_z 0
		.amdhsa_system_sgpr_workgroup_info 0
		.amdhsa_system_vgpr_workitem_id 0
		.amdhsa_next_free_vgpr 1
		.amdhsa_next_free_sgpr 0
		.amdhsa_accum_offset 4
		.amdhsa_reserve_vcc 0
		.amdhsa_reserve_flat_scratch 0
		.amdhsa_float_round_mode_32 0
		.amdhsa_float_round_mode_16_64 0
		.amdhsa_float_denorm_mode_32 3
		.amdhsa_float_denorm_mode_16_64 3
		.amdhsa_dx10_clamp 1
		.amdhsa_ieee_mode 1
		.amdhsa_fp16_overflow 0
		.amdhsa_tg_split 0
		.amdhsa_exception_fp_ieee_invalid_op 0
		.amdhsa_exception_fp_denorm_src 0
		.amdhsa_exception_fp_ieee_div_zero 0
		.amdhsa_exception_fp_ieee_overflow 0
		.amdhsa_exception_fp_ieee_underflow 0
		.amdhsa_exception_fp_ieee_inexact 0
		.amdhsa_exception_int_div_zero 0
	.end_amdhsa_kernel
	.section	.text._ZN7rocprim17ROCPRIM_400000_NS6detail17trampoline_kernelINS0_14default_configENS1_36segmented_radix_sort_config_selectorIflEEZNS1_25segmented_radix_sort_implIS3_Lb1EPKfPfPKlPlN2at6native12_GLOBAL__N_18offset_tEEE10hipError_tPvRmT1_PNSt15iterator_traitsISK_E10value_typeET2_T3_PNSL_ISQ_E10value_typeET4_jRbjT5_SW_jjP12ihipStream_tbEUlT_E0_NS1_11comp_targetILNS1_3genE5ELNS1_11target_archE942ELNS1_3gpuE9ELNS1_3repE0EEENS1_60segmented_radix_sort_warp_sort_medium_config_static_selectorELNS0_4arch9wavefront6targetE1EEEvSK_,"axG",@progbits,_ZN7rocprim17ROCPRIM_400000_NS6detail17trampoline_kernelINS0_14default_configENS1_36segmented_radix_sort_config_selectorIflEEZNS1_25segmented_radix_sort_implIS3_Lb1EPKfPfPKlPlN2at6native12_GLOBAL__N_18offset_tEEE10hipError_tPvRmT1_PNSt15iterator_traitsISK_E10value_typeET2_T3_PNSL_ISQ_E10value_typeET4_jRbjT5_SW_jjP12ihipStream_tbEUlT_E0_NS1_11comp_targetILNS1_3genE5ELNS1_11target_archE942ELNS1_3gpuE9ELNS1_3repE0EEENS1_60segmented_radix_sort_warp_sort_medium_config_static_selectorELNS0_4arch9wavefront6targetE1EEEvSK_,comdat
.Lfunc_end1334:
	.size	_ZN7rocprim17ROCPRIM_400000_NS6detail17trampoline_kernelINS0_14default_configENS1_36segmented_radix_sort_config_selectorIflEEZNS1_25segmented_radix_sort_implIS3_Lb1EPKfPfPKlPlN2at6native12_GLOBAL__N_18offset_tEEE10hipError_tPvRmT1_PNSt15iterator_traitsISK_E10value_typeET2_T3_PNSL_ISQ_E10value_typeET4_jRbjT5_SW_jjP12ihipStream_tbEUlT_E0_NS1_11comp_targetILNS1_3genE5ELNS1_11target_archE942ELNS1_3gpuE9ELNS1_3repE0EEENS1_60segmented_radix_sort_warp_sort_medium_config_static_selectorELNS0_4arch9wavefront6targetE1EEEvSK_, .Lfunc_end1334-_ZN7rocprim17ROCPRIM_400000_NS6detail17trampoline_kernelINS0_14default_configENS1_36segmented_radix_sort_config_selectorIflEEZNS1_25segmented_radix_sort_implIS3_Lb1EPKfPfPKlPlN2at6native12_GLOBAL__N_18offset_tEEE10hipError_tPvRmT1_PNSt15iterator_traitsISK_E10value_typeET2_T3_PNSL_ISQ_E10value_typeET4_jRbjT5_SW_jjP12ihipStream_tbEUlT_E0_NS1_11comp_targetILNS1_3genE5ELNS1_11target_archE942ELNS1_3gpuE9ELNS1_3repE0EEENS1_60segmented_radix_sort_warp_sort_medium_config_static_selectorELNS0_4arch9wavefront6targetE1EEEvSK_
                                        ; -- End function
	.section	.AMDGPU.csdata,"",@progbits
; Kernel info:
; codeLenInByte = 0
; NumSgprs: 4
; NumVgprs: 0
; NumAgprs: 0
; TotalNumVgprs: 0
; ScratchSize: 0
; MemoryBound: 0
; FloatMode: 240
; IeeeMode: 1
; LDSByteSize: 0 bytes/workgroup (compile time only)
; SGPRBlocks: 0
; VGPRBlocks: 0
; NumSGPRsForWavesPerEU: 4
; NumVGPRsForWavesPerEU: 1
; AccumOffset: 4
; Occupancy: 8
; WaveLimiterHint : 0
; COMPUTE_PGM_RSRC2:SCRATCH_EN: 0
; COMPUTE_PGM_RSRC2:USER_SGPR: 6
; COMPUTE_PGM_RSRC2:TRAP_HANDLER: 0
; COMPUTE_PGM_RSRC2:TGID_X_EN: 1
; COMPUTE_PGM_RSRC2:TGID_Y_EN: 0
; COMPUTE_PGM_RSRC2:TGID_Z_EN: 0
; COMPUTE_PGM_RSRC2:TIDIG_COMP_CNT: 0
; COMPUTE_PGM_RSRC3_GFX90A:ACCUM_OFFSET: 0
; COMPUTE_PGM_RSRC3_GFX90A:TG_SPLIT: 0
	.text
	.p2align	2                               ; -- Begin function _ZN7rocprim17ROCPRIM_400000_NS6detail26segmented_warp_sort_helperINS1_20WarpSortHelperConfigILj16ELj8ELj256EEEflLi256ELb1EvE4sortIPKfPfPKlPlEEvT_T0_T1_T2_jjjjRNS5_12storage_typeE
	.type	_ZN7rocprim17ROCPRIM_400000_NS6detail26segmented_warp_sort_helperINS1_20WarpSortHelperConfigILj16ELj8ELj256EEEflLi256ELb1EvE4sortIPKfPfPKlPlEEvT_T0_T1_T2_jjjjRNS5_12storage_typeE,@function
_ZN7rocprim17ROCPRIM_400000_NS6detail26segmented_warp_sort_helperINS1_20WarpSortHelperConfigILj16ELj8ELj256EEEflLi256ELb1EvE4sortIPKfPfPKlPlEEvT_T0_T1_T2_jjjjRNS5_12storage_typeE: ; @_ZN7rocprim17ROCPRIM_400000_NS6detail26segmented_warp_sort_helperINS1_20WarpSortHelperConfigILj16ELj8ELj256EEEflLi256ELb1EvE4sortIPKfPfPKlPlEEvT_T0_T1_T2_jjjjRNS5_12storage_typeE
; %bb.0:
	s_waitcnt vmcnt(0) expcnt(0) lgkmcnt(0)
	s_or_saveexec_b64 s[4:5], -1
	buffer_store_dword v40, off, s[0:3], s32 ; 4-byte Folded Spill
	s_mov_b64 exec, s[4:5]
	v_writelane_b32 v40, s34, 0
	v_writelane_b32 v40, s35, 1
	;; [unrolled: 1-line block ×12, first 2 shown]
	v_mbcnt_lo_u32_b32 v11, -1, 0
	v_sub_u32_e32 v10, v9, v8
	v_mov_b32_e32 v9, 0
	v_mbcnt_hi_u32_b32 v11, -1, v11
	v_lshlrev_b64 v[54:55], 2, v[8:9]
	v_lshlrev_b32_e32 v97, 3, v11
	v_add_co_u32_e32 v0, vcc, v0, v54
	v_and_b32_e32 v96, 0x78, v97
	v_addc_co_u32_e32 v1, vcc, v1, v55, vcc
	s_mov_b32 s16, -1
	v_lshlrev_b32_e32 v86, 2, v96
	v_add_co_u32_e32 v0, vcc, v0, v86
	s_mov_b32 s17, s16
	v_addc_co_u32_e32 v1, vcc, 0, v1, vcc
	s_mov_b32 s18, s16
	s_mov_b32 s19, s16
	;; [unrolled: 1-line block ×6, first 2 shown]
	v_pk_mov_b32 v[16:17], s[16:17], s[16:17] op_sel:[0,1]
	v_cmp_lt_u32_e32 vcc, v96, v10
	v_pk_mov_b32 v[18:19], s[18:19], s[18:19] op_sel:[0,1]
	v_pk_mov_b32 v[20:21], s[20:21], s[20:21] op_sel:[0,1]
	;; [unrolled: 1-line block ×3, first 2 shown]
	s_and_saveexec_b64 s[4:5], vcc
	s_cbranch_execz .LBB1335_2
; %bb.1:
	flat_load_dword v16, v[0:1]
	v_mov_b32_e32 v17, -1
	v_mov_b32_e32 v18, v17
	v_mov_b32_e32 v19, v17
	;; [unrolled: 1-line block ×6, first 2 shown]
.LBB1335_2:
	s_or_b64 exec, exec, s[4:5]
	v_or_b32_e32 v11, 1, v96
	v_cmp_lt_u32_e64 s[4:5], v11, v10
	s_and_saveexec_b64 s[6:7], s[4:5]
	s_cbranch_execz .LBB1335_4
; %bb.3:
	flat_load_dword v17, v[0:1] offset:4
.LBB1335_4:
	s_or_b64 exec, exec, s[6:7]
	v_or_b32_e32 v11, 2, v96
	v_cmp_lt_u32_e64 s[6:7], v11, v10
	s_and_saveexec_b64 s[10:11], s[6:7]
	s_cbranch_execz .LBB1335_6
; %bb.5:
	flat_load_dword v18, v[0:1] offset:8
.LBB1335_6:
	;; [unrolled: 8-line block ×7, first 2 shown]
	s_or_b64 exec, exec, s[22:23]
	v_lshlrev_b64 v[0:1], 3, v[8:9]
	v_add_co_u32_e64 v4, s[22:23], v4, v0
	v_addc_co_u32_e64 v5, s[22:23], v5, v1, s[22:23]
	v_lshlrev_b32_e32 v87, 3, v96
	v_add_co_u32_e64 v8, s[22:23], v4, v87
	v_addc_co_u32_e64 v9, s[22:23], 0, v5, s[22:23]
	; wave barrier
                                        ; implicit-def: $vgpr4_vgpr5
	s_and_saveexec_b64 s[22:23], vcc
	s_cbranch_execnz .LBB1335_258
; %bb.17:
	s_or_b64 exec, exec, s[22:23]
	s_and_saveexec_b64 s[22:23], s[4:5]
                                        ; implicit-def: $vgpr32_vgpr33_vgpr34_vgpr35
	s_cbranch_execnz .LBB1335_259
.LBB1335_18:
	s_or_b64 exec, exec, s[22:23]
                                        ; implicit-def: $vgpr68_vgpr69
	s_and_saveexec_b64 s[22:23], s[6:7]
	s_cbranch_execnz .LBB1335_260
.LBB1335_19:
	s_or_b64 exec, exec, s[22:23]
	s_and_saveexec_b64 s[22:23], s[18:19]
                                        ; implicit-def: $vgpr50_vgpr51_vgpr52_vgpr53
	s_cbranch_execnz .LBB1335_261
.LBB1335_20:
	s_or_b64 exec, exec, s[22:23]
                                        ; implicit-def: $vgpr70_vgpr71
	s_and_saveexec_b64 s[22:23], s[10:11]
	s_cbranch_execnz .LBB1335_262
.LBB1335_21:
	s_or_b64 exec, exec, s[22:23]
	s_and_saveexec_b64 s[22:23], s[20:21]
                                        ; implicit-def: $vgpr64_vgpr65_vgpr66_vgpr67
	s_cbranch_execnz .LBB1335_263
.LBB1335_22:
	s_or_b64 exec, exec, s[22:23]
                                        ; implicit-def: $vgpr64_vgpr65
	s_and_saveexec_b64 s[22:23], s[14:15]
	s_cbranch_execnz .LBB1335_264
.LBB1335_23:
	s_or_b64 exec, exec, s[22:23]
	s_and_saveexec_b64 s[22:23], s[16:17]
                                        ; implicit-def: $vgpr48_vgpr49_vgpr50_vgpr51
	s_cbranch_execz .LBB1335_25
.LBB1335_24:
	flat_load_dwordx2 v[50:51], v[8:9] offset:56
.LBB1335_25:
	s_or_b64 exec, exec, s[22:23]
	; wave barrier
	s_load_dwordx2 s[22:23], s[8:9], 0x0
	v_mov_b32_e32 v8, 0
	v_bfe_u32 v11, v31, 20, 10
	v_and_b32_e32 v12, 0x3ff, v31
	s_waitcnt lgkmcnt(0)
	s_cmp_lt_u32 s12, s22
	s_cselect_b32 s22, 12, 18
	s_cmp_lt_u32 s13, s23
	s_cselect_b32 s12, 14, 20
	s_add_u32 s12, s8, s12
	s_addc_u32 s13, s9, 0
	s_add_u32 s8, s8, s22
	s_addc_u32 s9, s9, 0
	global_load_ushort v9, v8, s[12:13]
	global_load_ushort v10, v8, s[8:9]
	v_bfe_u32 v8, v31, 10, 10
	s_movk_i32 s8, 0x800
	s_waitcnt vmcnt(0)
	v_mad_u32_u24 v8, v11, v9, v8
	v_mul_lo_u32 v8, v8, v10
	v_add_lshl_u32 v98, v8, v12, 3
	v_pk_mov_b32 v[8:9], v[16:17], v[16:17] op_sel:[0,1]
	v_cmp_gt_u32_e64 s[8:9], s8, v98
	v_pk_mov_b32 v[10:11], v[18:19], v[18:19] op_sel:[0,1]
	v_pk_mov_b32 v[12:13], v[20:21], v[20:21] op_sel:[0,1]
	;; [unrolled: 1-line block ×3, first 2 shown]
	s_and_saveexec_b64 s[12:13], s[8:9]
	s_cbranch_execz .LBB1335_79
; %bb.26:
	v_pk_add_f32 v[8:9], v[16:17], 0 op_sel_hi:[1,0]
	v_ashrrev_i32_e32 v10, 31, v8
	v_ashrrev_i32_e32 v11, 31, v9
	v_or_b32_e32 v11, 0x80000000, v11
	v_or_b32_e32 v10, 0x80000000, v10
	v_xor_b32_e32 v8, v10, v8
	v_xor_b32_e32 v9, v11, v9
	v_pk_mov_b32 v[30:31], v[22:23], v[22:23] op_sel:[0,1]
	v_cmp_gt_u32_e64 s[8:9], v9, v8
	v_pk_mov_b32 v[80:81], v[34:35], v[34:35] op_sel:[0,1]
	v_pk_mov_b32 v[28:29], v[20:21], v[20:21] op_sel:[0,1]
	v_pk_mov_b32 v[26:27], v[18:19], v[18:19] op_sel:[0,1]
	v_pk_mov_b32 v[24:25], v[16:17], v[16:17] op_sel:[0,1]
	v_mov_b32_e32 v83, v16
	s_and_saveexec_b64 s[22:23], s[8:9]
	s_cbranch_execz .LBB1335_28
; %bb.27:
	v_mov_b32_e32 v24, v17
	v_mov_b32_e32 v25, v16
	v_mov_b32_e32 v26, v18
	v_mov_b32_e32 v27, v19
	v_mov_b32_e32 v28, v20
	v_mov_b32_e32 v29, v21
	v_mov_b32_e32 v30, v22
	v_mov_b32_e32 v31, v23
	v_pk_mov_b32 v[80:81], v[4:5], v[4:5] op_sel:[0,1]
	v_pk_mov_b32 v[4:5], v[34:35], v[34:35] op_sel:[0,1]
	v_mov_b32_e32 v83, v17
	v_mov_b32_e32 v17, v16
.LBB1335_28:
	s_or_b64 exec, exec, s[22:23]
	v_pk_add_f32 v[8:9], v[26:27], 0 op_sel_hi:[1,0]
	v_ashrrev_i32_e32 v10, 31, v8
	v_ashrrev_i32_e32 v11, 31, v9
	v_or_b32_e32 v11, 0x80000000, v11
	v_or_b32_e32 v10, 0x80000000, v10
	v_xor_b32_e32 v8, v10, v8
	v_xor_b32_e32 v9, v11, v9
	v_pk_mov_b32 v[38:39], v[30:31], v[30:31] op_sel:[0,1]
	v_cmp_gt_u32_e64 s[8:9], v9, v8
	v_pk_mov_b32 v[84:85], v[52:53], v[52:53] op_sel:[0,1]
	v_pk_mov_b32 v[36:37], v[28:29], v[28:29] op_sel:[0,1]
	v_pk_mov_b32 v[34:35], v[26:27], v[26:27] op_sel:[0,1]
	v_pk_mov_b32 v[32:33], v[24:25], v[24:25] op_sel:[0,1]
	v_mov_b32_e32 v48, v27
	s_and_saveexec_b64 s[22:23], s[8:9]
	s_cbranch_execz .LBB1335_30
; %bb.29:
	v_mov_b32_e32 v32, v24
	v_mov_b32_e32 v33, v25
	v_mov_b32_e32 v34, v27
	v_mov_b32_e32 v35, v26
	v_mov_b32_e32 v36, v28
	v_mov_b32_e32 v37, v29
	v_mov_b32_e32 v38, v30
	v_mov_b32_e32 v39, v31
	v_pk_mov_b32 v[84:85], v[68:69], v[68:69] op_sel:[0,1]
	v_pk_mov_b32 v[68:69], v[52:53], v[52:53] op_sel:[0,1]
	v_mov_b32_e32 v48, v26
	v_mov_b32_e32 v26, v27
.LBB1335_30:
	s_or_b64 exec, exec, s[22:23]
	;; [unrolled: 31-line block ×3, first 2 shown]
	v_pk_add_f32 v[8:9], v[24:25], 0 op_sel_hi:[1,0]
	v_ashrrev_i32_e32 v10, 31, v8
	v_ashrrev_i32_e32 v11, 31, v9
	v_or_b32_e32 v11, 0x80000000, v11
	v_or_b32_e32 v10, 0x80000000, v10
	v_xor_b32_e32 v8, v10, v8
	v_xor_b32_e32 v9, v11, v9
	v_cmp_gt_u32_e64 s[8:9], v9, v8
	v_pk_mov_b32 v[8:9], v[18:19], v[18:19] op_sel:[0,1]
	v_pk_mov_b32 v[32:33], v[64:65], v[64:65] op_sel:[0,1]
	;; [unrolled: 1-line block ×5, first 2 shown]
	v_mov_b32_e32 v30, v25
	s_and_saveexec_b64 s[22:23], s[8:9]
	s_cbranch_execz .LBB1335_34
; %bb.33:
	v_mov_b32_e32 v8, v18
	v_mov_b32_e32 v9, v19
	;; [unrolled: 1-line block ×8, first 2 shown]
	v_pk_mov_b32 v[32:33], v[50:51], v[50:51] op_sel:[0,1]
	v_pk_mov_b32 v[50:51], v[64:65], v[64:65] op_sel:[0,1]
	v_mov_b32_e32 v30, v24
	v_mov_b32_e32 v24, v25
.LBB1335_34:
	s_or_b64 exec, exec, s[22:23]
	v_mov_b32_e32 v27, v17
	v_pk_add_f32 v[18:19], v[26:27], 0 op_sel_hi:[1,0]
	v_ashrrev_i32_e32 v16, 31, v19
	v_ashrrev_i32_e32 v20, 31, v18
	v_or_b32_e32 v20, 0x80000000, v20
	v_or_b32_e32 v16, 0x80000000, v16
	v_xor_b32_e32 v16, v16, v19
	v_xor_b32_e32 v18, v20, v18
	v_cmp_gt_u32_e64 s[8:9], v18, v16
	v_pk_mov_b32 v[20:21], v[68:69], v[68:69] op_sel:[0,1]
	v_mov_b32_e32 v49, v26
	s_and_saveexec_b64 s[22:23], s[8:9]
	s_xor_b64 s[8:9], exec, s[22:23]
; %bb.35:
	v_mov_b32_e32 v9, v26
	v_mov_b32_e32 v10, v17
	v_pk_mov_b32 v[20:21], v[80:81], v[80:81] op_sel:[0,1]
	v_pk_mov_b32 v[80:81], v[68:69], v[68:69] op_sel:[0,1]
	v_mov_b32_e32 v49, v17
	v_mov_b32_e32 v17, v26
; %bb.36:
	s_or_b64 exec, exec, s[8:9]
	v_mov_b32_e32 v37, v48
	v_pk_add_f32 v[18:19], v[36:37], 0 op_sel_hi:[1,0]
	v_ashrrev_i32_e32 v16, 31, v19
	v_ashrrev_i32_e32 v22, 31, v18
	v_or_b32_e32 v22, 0x80000000, v22
	v_or_b32_e32 v16, 0x80000000, v16
	v_xor_b32_e32 v16, v16, v19
	v_xor_b32_e32 v18, v22, v18
	v_cmp_gt_u32_e64 s[8:9], v18, v16
	v_pk_mov_b32 v[18:19], v[84:85], v[84:85] op_sel:[0,1]
	v_mov_b32_e32 v29, v36
	s_and_saveexec_b64 s[22:23], s[8:9]
; %bb.37:
	v_mov_b32_e32 v11, v36
	v_mov_b32_e32 v12, v48
	v_pk_mov_b32 v[18:19], v[52:53], v[52:53] op_sel:[0,1]
	v_pk_mov_b32 v[52:53], v[84:85], v[84:85] op_sel:[0,1]
	v_mov_b32_e32 v29, v48
	v_mov_b32_e32 v48, v36
; %bb.38:
	s_or_b64 exec, exec, s[22:23]
	v_mov_b32_e32 v25, v28
	v_pk_add_f32 v[22:23], v[24:25], 0 op_sel_hi:[1,0]
	v_ashrrev_i32_e32 v16, 31, v23
	v_ashrrev_i32_e32 v25, 31, v22
	v_or_b32_e32 v25, 0x80000000, v25
	v_or_b32_e32 v16, 0x80000000, v16
	v_xor_b32_e32 v16, v16, v23
	v_xor_b32_e32 v22, v25, v22
	v_cmp_gt_u32_e64 s[8:9], v22, v16
	v_pk_mov_b32 v[22:23], v[66:67], v[66:67] op_sel:[0,1]
	v_mov_b32_e32 v31, v24
	s_and_saveexec_b64 s[22:23], s[8:9]
; %bb.39:
	v_mov_b32_e32 v13, v24
	v_mov_b32_e32 v14, v28
	v_pk_mov_b32 v[22:23], v[32:33], v[32:33] op_sel:[0,1]
	v_pk_mov_b32 v[32:33], v[66:67], v[66:67] op_sel:[0,1]
	v_mov_b32_e32 v31, v28
	v_mov_b32_e32 v28, v24
; %bb.40:
	s_or_b64 exec, exec, s[22:23]
	v_mov_b32_e32 v82, v17
	v_pk_add_f32 v[24:25], v[82:83], 0 op_sel_hi:[1,0]
	v_ashrrev_i32_e32 v16, 31, v25
	v_ashrrev_i32_e32 v26, 31, v24
	v_or_b32_e32 v26, 0x80000000, v26
	v_or_b32_e32 v16, 0x80000000, v16
	v_xor_b32_e32 v16, v16, v25
	v_xor_b32_e32 v24, v26, v24
	v_cmp_gt_u32_e64 s[8:9], v24, v16
	v_pk_mov_b32 v[24:25], v[80:81], v[80:81] op_sel:[0,1]
	v_mov_b32_e32 v39, v83
	s_and_saveexec_b64 s[22:23], s[8:9]
; %bb.41:
	v_mov_b32_e32 v8, v17
	v_mov_b32_e32 v9, v83
	v_pk_mov_b32 v[24:25], v[4:5], v[4:5] op_sel:[0,1]
	v_pk_mov_b32 v[4:5], v[80:81], v[80:81] op_sel:[0,1]
	v_mov_b32_e32 v39, v17
	v_mov_b32_e32 v17, v83
; %bb.42:
	s_or_b64 exec, exec, s[22:23]
	v_pk_add_f32 v[26:27], v[48:49], 0 op_sel_hi:[1,0]
	v_ashrrev_i32_e32 v16, 31, v27
	v_ashrrev_i32_e32 v34, 31, v26
	v_or_b32_e32 v34, 0x80000000, v34
	v_or_b32_e32 v16, 0x80000000, v16
	v_xor_b32_e32 v16, v16, v27
	v_xor_b32_e32 v26, v34, v26
	v_cmp_gt_u32_e64 s[8:9], v26, v16
	v_pk_mov_b32 v[36:37], v[18:19], v[18:19] op_sel:[0,1]
	v_mov_b32_e32 v67, v48
	s_and_saveexec_b64 s[22:23], s[8:9]
; %bb.43:
	v_mov_b32_e32 v10, v48
	v_mov_b32_e32 v11, v49
	v_pk_mov_b32 v[36:37], v[20:21], v[20:21] op_sel:[0,1]
	v_pk_mov_b32 v[20:21], v[18:19], v[18:19] op_sel:[0,1]
	v_mov_b32_e32 v67, v49
	v_mov_b32_e32 v49, v48
; %bb.44:
	s_or_b64 exec, exec, s[22:23]
	v_pk_add_f32 v[18:19], v[28:29], 0 op_sel_hi:[1,0]
	v_ashrrev_i32_e32 v16, 31, v19
	v_ashrrev_i32_e32 v26, 31, v18
	v_or_b32_e32 v26, 0x80000000, v26
	v_or_b32_e32 v16, 0x80000000, v16
	v_xor_b32_e32 v16, v16, v19
	v_xor_b32_e32 v18, v26, v18
	v_cmp_gt_u32_e64 s[8:9], v18, v16
	v_pk_mov_b32 v[26:27], v[52:53], v[52:53] op_sel:[0,1]
	v_mov_b32_e32 v65, v28
	s_and_saveexec_b64 s[22:23], s[8:9]
	;; [unrolled: 20-line block ×3, first 2 shown]
; %bb.47:
	v_mov_b32_e32 v14, v30
	v_mov_b32_e32 v15, v31
	v_pk_mov_b32 v[34:35], v[50:51], v[50:51] op_sel:[0,1]
	v_pk_mov_b32 v[50:51], v[32:33], v[32:33] op_sel:[0,1]
	v_mov_b32_e32 v18, v31
	v_mov_b32_e32 v31, v30
; %bb.48:
	s_or_b64 exec, exec, s[22:23]
	v_mov_b32_e32 v16, v49
	v_pk_add_f32 v[32:33], v[16:17], 0 op_sel_hi:[1,0]
	v_ashrrev_i32_e32 v16, 31, v33
	v_ashrrev_i32_e32 v19, 31, v32
	v_or_b32_e32 v19, 0x80000000, v19
	v_or_b32_e32 v16, 0x80000000, v16
	v_xor_b32_e32 v16, v16, v33
	v_xor_b32_e32 v19, v19, v32
	v_cmp_gt_u32_e64 s[8:9], v19, v16
	v_pk_mov_b32 v[32:33], v[20:21], v[20:21] op_sel:[0,1]
	v_mov_b32_e32 v53, v49
	s_and_saveexec_b64 s[22:23], s[8:9]
; %bb.49:
	v_mov_b32_e32 v9, v49
	v_mov_b32_e32 v10, v17
	v_pk_mov_b32 v[32:33], v[24:25], v[24:25] op_sel:[0,1]
	v_pk_mov_b32 v[24:25], v[20:21], v[20:21] op_sel:[0,1]
	v_mov_b32_e32 v53, v17
	v_mov_b32_e32 v17, v49
; %bb.50:
	s_or_b64 exec, exec, s[22:23]
	v_mov_b32_e32 v66, v29
	v_pk_add_f32 v[20:21], v[66:67], 0 op_sel_hi:[1,0]
	v_ashrrev_i32_e32 v16, 31, v21
	v_ashrrev_i32_e32 v19, 31, v20
	v_or_b32_e32 v19, 0x80000000, v19
	v_or_b32_e32 v16, 0x80000000, v16
	v_xor_b32_e32 v16, v16, v21
	v_xor_b32_e32 v19, v19, v20
	v_cmp_gt_u32_e64 s[8:9], v19, v16
	v_pk_mov_b32 v[70:71], v[36:37], v[36:37] op_sel:[0,1]
	v_mov_b32_e32 v21, v29
	s_and_saveexec_b64 s[22:23], s[8:9]
	;; [unrolled: 21-line block ×6, first 2 shown]
; %bb.59:
	v_mov_b32_e32 v12, v65
	v_mov_b32_e32 v13, v21
	v_pk_mov_b32 v[24:25], v[28:29], v[28:29] op_sel:[0,1]
	v_pk_mov_b32 v[28:29], v[26:27], v[26:27] op_sel:[0,1]
	v_mov_b32_e32 v39, v21
	v_mov_b32_e32 v21, v65
; %bb.60:
	s_or_b64 exec, exec, s[22:23]
	v_pk_add_f32 v[22:23], v[18:19], 0 op_sel_hi:[1,0]
	v_ashrrev_i32_e32 v16, 31, v23
	v_ashrrev_i32_e32 v20, 31, v22
	v_or_b32_e32 v20, 0x80000000, v20
	v_or_b32_e32 v16, 0x80000000, v16
	v_xor_b32_e32 v16, v16, v23
	v_xor_b32_e32 v20, v20, v22
	v_cmp_gt_u32_e64 s[8:9], v20, v16
	v_pk_mov_b32 v[22:23], v[34:35], v[34:35] op_sel:[0,1]
	v_mov_b32_e32 v20, v18
	s_and_saveexec_b64 s[22:23], s[8:9]
; %bb.61:
	v_mov_b32_e32 v14, v18
	v_mov_b32_e32 v15, v19
	v_pk_mov_b32 v[22:23], v[50:51], v[50:51] op_sel:[0,1]
	v_pk_mov_b32 v[50:51], v[34:35], v[34:35] op_sel:[0,1]
	v_mov_b32_e32 v20, v19
	v_mov_b32_e32 v19, v18
; %bb.62:
	s_or_b64 exec, exec, s[22:23]
	v_mov_b32_e32 v16, v53
	v_pk_add_f32 v[26:27], v[16:17], 0 op_sel_hi:[1,0]
	v_ashrrev_i32_e32 v16, 31, v27
	v_ashrrev_i32_e32 v18, 31, v26
	v_or_b32_e32 v18, 0x80000000, v18
	v_or_b32_e32 v16, 0x80000000, v16
	v_xor_b32_e32 v16, v16, v27
	v_xor_b32_e32 v18, v18, v26
	v_cmp_gt_u32_e64 s[8:9], v18, v16
	v_pk_mov_b32 v[26:27], v[32:33], v[32:33] op_sel:[0,1]
	v_mov_b32_e32 v65, v53
	s_and_saveexec_b64 s[22:23], s[8:9]
; %bb.63:
	v_mov_b32_e32 v9, v53
	v_mov_b32_e32 v10, v17
	v_pk_mov_b32 v[26:27], v[30:31], v[30:31] op_sel:[0,1]
	v_pk_mov_b32 v[30:31], v[32:33], v[32:33] op_sel:[0,1]
	v_mov_b32_e32 v65, v17
	v_mov_b32_e32 v17, v53
; %bb.64:
	s_or_b64 exec, exec, s[22:23]
	v_mov_b32_e32 v48, v21
	;; [unrolled: 21-line block ×6, first 2 shown]
	v_pk_add_f32 v[34:35], v[32:33], 0 op_sel_hi:[1,0]
	v_ashrrev_i32_e32 v30, 31, v35
	v_ashrrev_i32_e32 v32, 31, v34
	v_or_b32_e32 v32, 0x80000000, v32
	v_or_b32_e32 v30, 0x80000000, v30
	v_xor_b32_e32 v30, v30, v35
	v_xor_b32_e32 v32, v32, v34
	v_cmp_gt_u32_e64 s[8:9], v32, v30
	v_pk_mov_b32 v[36:37], v[24:25], v[24:25] op_sel:[0,1]
	v_mov_b32_e32 v32, v39
	s_and_saveexec_b64 s[22:23], s[8:9]
; %bb.73:
	v_mov_b32_e32 v12, v39
	v_mov_b32_e32 v13, v33
	v_pk_mov_b32 v[36:37], v[66:67], v[66:67] op_sel:[0,1]
	v_pk_mov_b32 v[66:67], v[24:25], v[24:25] op_sel:[0,1]
	v_mov_b32_e32 v32, v33
	v_mov_b32_e32 v33, v39
; %bb.74:
	s_or_b64 exec, exec, s[22:23]
	v_pk_add_f32 v[24:25], v[20:21], 0 op_sel_hi:[1,0]
	v_ashrrev_i32_e32 v30, 31, v24
	v_ashrrev_i32_e32 v34, 31, v25
	v_or_b32_e32 v34, 0x80000000, v34
	v_or_b32_e32 v30, 0x80000000, v30
	v_xor_b32_e32 v30, v30, v24
	v_xor_b32_e32 v38, v34, v25
	v_cmp_gt_u32_e64 s[8:9], v30, v38
	v_pk_mov_b32 v[24:25], v[22:23], v[22:23] op_sel:[0,1]
	s_and_saveexec_b64 s[22:23], s[8:9]
; %bb.75:
	v_mov_b32_e32 v14, v20
	v_mov_b32_e32 v15, v21
	;; [unrolled: 1-line block ×3, first 2 shown]
	v_pk_mov_b32 v[24:25], v[50:51], v[50:51] op_sel:[0,1]
	v_pk_mov_b32 v[50:51], v[22:23], v[22:23] op_sel:[0,1]
	v_mov_b32_e32 v21, v20
; %bb.76:
	s_or_b64 exec, exec, s[22:23]
	v_mov_b32_e32 v22, v65
	v_mov_b32_e32 v23, v17
	v_pk_add_f32 v[22:23], v[22:23], 0 op_sel_hi:[1,0]
	v_ashrrev_i32_e32 v20, 31, v23
	v_ashrrev_i32_e32 v30, 31, v22
	v_or_b32_e32 v30, 0x80000000, v30
	v_or_b32_e32 v20, 0x80000000, v20
	v_xor_b32_e32 v20, v20, v23
	v_xor_b32_e32 v22, v30, v22
	v_cmp_gt_u32_e64 s[8:9], v22, v20
	v_mov_b32_e32 v30, v33
	v_cndmask_b32_e64 v69, v27, v19, s[8:9]
	v_cndmask_b32_e64 v68, v26, v18, s[8:9]
	;; [unrolled: 1-line block ×4, first 2 shown]
	v_pk_add_f32 v[18:19], v[30:31], 0 op_sel_hi:[1,0]
	v_cndmask_b32_e64 v10, v10, v17, s[8:9]
	v_ashrrev_i32_e32 v17, 31, v19
	v_ashrrev_i32_e32 v20, 31, v18
	v_or_b32_e32 v20, 0x80000000, v20
	v_or_b32_e32 v17, 0x80000000, v17
	v_xor_b32_e32 v17, v17, v19
	v_xor_b32_e32 v18, v20, v18
	v_cndmask_b32_e64 v9, v9, v65, s[8:9]
	v_cmp_gt_u32_e64 s[8:9], v18, v17
	v_add_f32_e32 v17, 0, v32
	v_ashrrev_i32_e32 v18, 31, v17
	v_or_b32_e32 v18, 0x80000000, v18
	v_xor_b32_e32 v17, v18, v17
	v_cndmask_b32_e64 v53, v29, v37, s[8:9]
	v_cndmask_b32_e64 v52, v28, v36, s[8:9]
	v_cndmask_b32_e64 v71, v37, v29, s[8:9]
	v_cndmask_b32_e64 v70, v36, v28, s[8:9]
	v_cndmask_b32_e64 v12, v12, v31, s[8:9]
	v_cndmask_b32_e64 v11, v11, v33, s[8:9]
	v_cmp_gt_u32_e64 s[8:9], v38, v17
	v_pk_mov_b32 v[64:65], v[24:25], v[24:25] op_sel:[0,1]
	s_and_saveexec_b64 s[22:23], s[8:9]
; %bb.77:
	v_mov_b32_e32 v13, v21
	v_mov_b32_e32 v14, v32
	v_pk_mov_b32 v[64:65], v[66:67], v[66:67] op_sel:[0,1]
	v_pk_mov_b32 v[66:67], v[24:25], v[24:25] op_sel:[0,1]
; %bb.78:
	s_or_b64 exec, exec, s[22:23]
.LBB1335_79:
	s_or_b64 exec, exec, s[12:13]
	v_and_b32_e32 v17, 0xfffffe00, v98
	s_movk_i32 s8, 0x800
	v_lshlrev_b32_e32 v18, 2, v17
	v_sub_u32_e64 v19, s8, v17 clamp
	v_add_u32_e32 v17, v18, v18
	v_lshl_add_u32 v22, v97, 3, v17
	v_add_u32_e32 v20, 0x2000, v22
	v_add_u32_e32 v23, 0x2010, v22
	v_lshl_add_u32 v21, v97, 2, v18
	ds_write2_b64 v20, v[4:5], v[34:35] offset1:1
	ds_write2_b32 v21, v9, v10 offset0:1 offset1:2
	ds_write2_b64 v23, v[68:69], v[52:53] offset1:1
	ds_write2_b32 v21, v11, v12 offset0:3 offset1:4
	v_add_u32_e32 v23, 0x2020, v22
	ds_write2_b64 v23, v[70:71], v[66:67] offset1:1
	ds_write2_b32 v21, v13, v14 offset0:5 offset1:6
	v_add_u32_e32 v23, 0x2030, v22
	ds_write2_b32 v21, v16, v15 offset1:7
	ds_write2_b64 v23, v[64:65], v[50:51] offset1:1
	v_or_b32_e32 v16, 8, v97
	v_min_u32_e32 v16, v19, v16
	v_add_u32_e32 v23, 8, v16
	v_and_b32_e32 v26, 0x3f0, v97
	v_min_u32_e32 v23, v19, v23
	v_and_b32_e32 v24, 8, v97
	v_min_u32_e32 v27, v19, v24
	v_sub_u32_e32 v28, v16, v26
	v_sub_u32_e32 v25, v23, v16
	v_sub_u32_e64 v25, v27, v25 clamp
	v_min_u32_e32 v28, v27, v28
	v_lshl_add_u32 v24, v26, 2, v18
	v_cmp_lt_u32_e64 s[8:9], v25, v28
	; wave barrier
	s_and_saveexec_b64 s[12:13], s[8:9]
	s_cbranch_execz .LBB1335_83
; %bb.80:
	v_lshlrev_b32_e32 v29, 2, v16
	v_lshlrev_b32_e32 v30, 2, v27
	v_add3_u32 v29, v18, v29, v30
	s_mov_b64 s[22:23], 0
.LBB1335_81:                            ; =>This Inner Loop Header: Depth=1
	v_add_u32_e32 v30, v28, v25
	v_lshrrev_b32_e32 v32, 1, v30
	v_not_b32_e32 v30, v32
	v_lshl_add_u32 v31, v32, 2, v24
	v_lshl_add_u32 v30, v30, 2, v29
	ds_read_b32 v31, v31
	ds_read_b32 v30, v30
	v_add_u32_e32 v33, 1, v32
	s_waitcnt lgkmcnt(0)
	v_pk_add_f32 v[30:31], v[30:31], 0 op_sel_hi:[1,0]
	v_ashrrev_i32_e32 v36, 31, v31
	v_ashrrev_i32_e32 v37, 31, v30
	v_or_b32_e32 v37, 0x80000000, v37
	v_or_b32_e32 v36, 0x80000000, v36
	v_xor_b32_e32 v31, v36, v31
	v_xor_b32_e32 v30, v37, v30
	v_cmp_gt_u32_e64 s[8:9], v30, v31
	v_cndmask_b32_e64 v28, v28, v32, s[8:9]
	v_cndmask_b32_e64 v25, v33, v25, s[8:9]
	v_cmp_ge_u32_e64 s[8:9], v25, v28
	s_or_b64 s[22:23], s[8:9], s[22:23]
	s_andn2_b64 exec, exec, s[22:23]
	s_cbranch_execnz .LBB1335_81
; %bb.82:
	s_or_b64 exec, exec, s[22:23]
.LBB1335_83:
	s_or_b64 exec, exec, s[12:13]
	v_add_u32_e32 v27, v16, v27
	v_add_u32_e32 v26, v25, v26
	v_sub_u32_e32 v27, v27, v25
	v_cmp_le_u32_e64 s[8:9], v26, v16
	v_cmp_le_u32_e64 s[12:13], v27, v23
	s_or_b64 s[8:9], s[8:9], s[12:13]
	s_and_saveexec_b64 s[12:13], s[8:9]
	s_xor_b64 s[22:23], exec, s[12:13]
	s_cbranch_execz .LBB1335_119
; %bb.84:
	v_cmp_ge_u32_e64 s[8:9], v26, v16
	v_cmp_lt_u32_e64 s[12:13], v26, v16
                                        ; implicit-def: $vgpr9
	s_and_saveexec_b64 s[24:25], s[12:13]
	s_cbranch_execz .LBB1335_86
; %bb.85:
	v_lshl_add_u32 v4, v25, 2, v24
	ds_read_b32 v9, v4
.LBB1335_86:
	s_or_b64 exec, exec, s[24:25]
	v_cmp_ge_u32_e64 s[24:25], v27, v23
	v_cmp_lt_u32_e64 s[12:13], v27, v23
	s_and_saveexec_b64 s[26:27], s[12:13]
	s_cbranch_execz .LBB1335_88
; %bb.87:
	v_lshl_add_u32 v4, v27, 2, v18
	ds_read_b32 v8, v4
.LBB1335_88:
	s_or_b64 exec, exec, s[26:27]
	s_or_b64 s[8:9], s[8:9], s[24:25]
	s_mov_b64 s[12:13], -1
	s_xor_b64 s[8:9], s[8:9], -1
	s_and_saveexec_b64 s[26:27], s[8:9]
	s_cbranch_execz .LBB1335_90
; %bb.89:
	s_waitcnt lgkmcnt(0)
	v_pk_add_f32 v[4:5], v[8:9], 0 op_sel_hi:[1,0]
	v_ashrrev_i32_e32 v10, 31, v5
	v_ashrrev_i32_e32 v11, 31, v4
	v_or_b32_e32 v11, 0x80000000, v11
	v_or_b32_e32 v10, 0x80000000, v10
	v_xor_b32_e32 v5, v10, v5
	v_xor_b32_e32 v4, v11, v4
	v_cmp_le_u32_e64 s[8:9], v4, v5
	s_andn2_b64 s[24:25], s[24:25], exec
	s_and_b64 s[8:9], s[8:9], exec
	s_or_b64 s[24:25], s[24:25], s[8:9]
.LBB1335_90:
	s_or_b64 exec, exec, s[26:27]
	v_cndmask_b32_e64 v4, v27, v26, s[24:25]
	v_cndmask_b32_e64 v5, v23, v16, s[24:25]
	v_add_u32_e32 v12, 1, v4
	v_add_u32_e32 v5, -1, v5
	v_min_u32_e32 v5, v12, v5
	v_lshl_add_u32 v5, v5, 2, v18
	ds_read_b32 v11, v5
	v_lshl_add_u32 v4, v4, 3, v17
	ds_read_b64 v[4:5], v4 offset:8192
	v_cndmask_b32_e64 v14, v12, v27, s[24:25]
	v_cndmask_b32_e64 v15, v26, v12, s[24:25]
	s_waitcnt lgkmcnt(1)
	v_cndmask_b32_e64 v10, v11, v8, s[24:25]
	v_cndmask_b32_e64 v11, v9, v11, s[24:25]
	v_cmp_lt_u32_e64 s[8:9], v14, v23
	s_and_saveexec_b64 s[26:27], s[8:9]
	s_cbranch_execz .LBB1335_94
; %bb.91:
	v_cmp_lt_u32_e64 s[8:9], v15, v16
	s_mov_b64 s[28:29], 0
	s_and_saveexec_b64 s[12:13], s[8:9]
; %bb.92:
	v_add_f32_e32 v12, 0, v10
	v_ashrrev_i32_e32 v24, 31, v12
	v_add_f32_e32 v13, 0, v11
	v_or_b32_e32 v24, 0x80000000, v24
	v_xor_b32_e32 v12, v24, v12
	v_ashrrev_i32_e32 v24, 31, v13
	v_or_b32_e32 v24, 0x80000000, v24
	v_xor_b32_e32 v13, v24, v13
	v_cmp_le_u32_e64 s[8:9], v12, v13
	s_and_b64 s[28:29], s[8:9], exec
; %bb.93:
	s_or_b64 exec, exec, s[12:13]
	s_orn2_b64 s[12:13], s[28:29], exec
.LBB1335_94:
	s_or_b64 exec, exec, s[26:27]
	v_cndmask_b32_e64 v12, v14, v15, s[12:13]
	v_cndmask_b32_e64 v13, v23, v16, s[12:13]
	v_add_u32_e32 v25, 1, v12
	v_add_u32_e32 v13, -1, v13
	v_min_u32_e32 v13, v25, v13
	v_lshl_add_u32 v13, v13, 2, v18
	ds_read_b32 v13, v13
	v_lshl_add_u32 v12, v12, 3, v17
	ds_read_b64 v[34:35], v12 offset:8192
	v_cndmask_b32_e64 v24, v25, v14, s[12:13]
	v_cndmask_b32_e64 v25, v15, v25, s[12:13]
	s_waitcnt lgkmcnt(1)
	v_cndmask_b32_e64 v12, v13, v10, s[12:13]
	v_cndmask_b32_e64 v13, v11, v13, s[12:13]
	v_cmp_lt_u32_e64 s[8:9], v24, v23
	s_mov_b64 s[26:27], -1
	s_mov_b64 s[28:29], -1
	s_and_saveexec_b64 s[30:31], s[8:9]
	s_cbranch_execz .LBB1335_98
; %bb.95:
	v_cmp_lt_u32_e64 s[8:9], v25, v16
	s_mov_b64 s[34:35], 0
	s_and_saveexec_b64 s[28:29], s[8:9]
; %bb.96:
	v_add_f32_e32 v14, 0, v12
	v_ashrrev_i32_e32 v26, 31, v14
	v_add_f32_e32 v15, 0, v13
	v_or_b32_e32 v26, 0x80000000, v26
	v_xor_b32_e32 v14, v26, v14
	v_ashrrev_i32_e32 v26, 31, v15
	v_or_b32_e32 v26, 0x80000000, v26
	v_xor_b32_e32 v15, v26, v15
	v_cmp_le_u32_e64 s[8:9], v14, v15
	s_and_b64 s[34:35], s[8:9], exec
; %bb.97:
	s_or_b64 exec, exec, s[28:29]
	s_orn2_b64 s[28:29], s[34:35], exec
.LBB1335_98:
	s_or_b64 exec, exec, s[30:31]
	v_cndmask_b32_e64 v14, v24, v25, s[28:29]
	v_cndmask_b32_e64 v15, v23, v16, s[28:29]
	v_add_u32_e32 v27, 1, v14
	v_add_u32_e32 v15, -1, v15
	v_min_u32_e32 v15, v27, v15
	v_lshl_add_u32 v15, v15, 2, v18
	ds_read_b32 v15, v15
	v_lshl_add_u32 v14, v14, 3, v17
	ds_read_b64 v[68:69], v14 offset:8192
	v_cndmask_b32_e64 v26, v27, v24, s[28:29]
	v_cndmask_b32_e64 v27, v25, v27, s[28:29]
	s_waitcnt lgkmcnt(1)
	v_cndmask_b32_e64 v14, v15, v12, s[28:29]
	v_cndmask_b32_e64 v15, v13, v15, s[28:29]
	v_cmp_lt_u32_e64 s[8:9], v26, v23
	s_and_saveexec_b64 s[30:31], s[8:9]
	s_cbranch_execz .LBB1335_102
; %bb.99:
	v_cmp_lt_u32_e64 s[8:9], v27, v16
	s_mov_b64 s[34:35], 0
	s_and_saveexec_b64 s[26:27], s[8:9]
; %bb.100:
	v_add_f32_e32 v24, 0, v14
	v_ashrrev_i32_e32 v28, 31, v24
	v_add_f32_e32 v25, 0, v15
	v_or_b32_e32 v28, 0x80000000, v28
	v_xor_b32_e32 v24, v28, v24
	v_ashrrev_i32_e32 v28, 31, v25
	v_or_b32_e32 v28, 0x80000000, v28
	v_xor_b32_e32 v25, v28, v25
	v_cmp_le_u32_e64 s[8:9], v24, v25
	s_and_b64 s[34:35], s[8:9], exec
; %bb.101:
	s_or_b64 exec, exec, s[26:27]
	s_orn2_b64 s[26:27], s[34:35], exec
.LBB1335_102:
	s_or_b64 exec, exec, s[30:31]
	v_cndmask_b32_e64 v24, v26, v27, s[26:27]
	v_cndmask_b32_e64 v25, v23, v16, s[26:27]
	v_add_u32_e32 v29, 1, v24
	v_add_u32_e32 v25, -1, v25
	v_min_u32_e32 v25, v29, v25
	v_lshl_add_u32 v25, v25, 2, v18
	ds_read_b32 v25, v25
	v_lshl_add_u32 v24, v24, 3, v17
	ds_read_b64 v[52:53], v24 offset:8192
	v_cndmask_b32_e64 v28, v29, v26, s[26:27]
	v_cndmask_b32_e64 v29, v27, v29, s[26:27]
	s_waitcnt lgkmcnt(1)
	v_cndmask_b32_e64 v24, v25, v14, s[26:27]
	v_cndmask_b32_e64 v25, v15, v25, s[26:27]
	v_cmp_lt_u32_e64 s[8:9], v28, v23
	s_mov_b64 s[30:31], -1
	s_mov_b64 s[34:35], -1
	s_and_saveexec_b64 s[36:37], s[8:9]
	s_cbranch_execz .LBB1335_106
; %bb.103:
	v_cmp_lt_u32_e64 s[8:9], v29, v16
	s_mov_b64 s[38:39], 0
	s_and_saveexec_b64 s[34:35], s[8:9]
; %bb.104:
	v_add_f32_e32 v26, 0, v24
	v_ashrrev_i32_e32 v30, 31, v26
	v_add_f32_e32 v27, 0, v25
	v_or_b32_e32 v30, 0x80000000, v30
	v_xor_b32_e32 v26, v30, v26
	v_ashrrev_i32_e32 v30, 31, v27
	v_or_b32_e32 v30, 0x80000000, v30
	v_xor_b32_e32 v27, v30, v27
	v_cmp_le_u32_e64 s[8:9], v26, v27
	s_and_b64 s[38:39], s[8:9], exec
; %bb.105:
	s_or_b64 exec, exec, s[34:35]
	s_orn2_b64 s[34:35], s[38:39], exec
.LBB1335_106:
	s_or_b64 exec, exec, s[36:37]
	v_cndmask_b32_e64 v26, v28, v29, s[34:35]
	v_cndmask_b32_e64 v27, v23, v16, s[34:35]
	v_add_u32_e32 v31, 1, v26
	v_add_u32_e32 v27, -1, v27
	v_min_u32_e32 v27, v31, v27
	v_lshl_add_u32 v27, v27, 2, v18
	ds_read_b32 v27, v27
	v_lshl_add_u32 v26, v26, 3, v17
	ds_read_b64 v[70:71], v26 offset:8192
	v_cndmask_b32_e64 v30, v31, v28, s[34:35]
	v_cndmask_b32_e64 v31, v29, v31, s[34:35]
	s_waitcnt lgkmcnt(1)
	v_cndmask_b32_e64 v26, v27, v24, s[34:35]
	v_cndmask_b32_e64 v27, v25, v27, s[34:35]
	v_cmp_lt_u32_e64 s[8:9], v30, v23
	s_and_saveexec_b64 s[36:37], s[8:9]
	s_cbranch_execz .LBB1335_110
; %bb.107:
	v_cmp_lt_u32_e64 s[8:9], v31, v16
	s_mov_b64 s[38:39], 0
	s_and_saveexec_b64 s[30:31], s[8:9]
; %bb.108:
	v_add_f32_e32 v28, 0, v26
	v_ashrrev_i32_e32 v32, 31, v28
	v_add_f32_e32 v29, 0, v27
	v_or_b32_e32 v32, 0x80000000, v32
	v_xor_b32_e32 v28, v32, v28
	v_ashrrev_i32_e32 v32, 31, v29
	v_or_b32_e32 v32, 0x80000000, v32
	v_xor_b32_e32 v29, v32, v29
	v_cmp_le_u32_e64 s[8:9], v28, v29
	s_and_b64 s[38:39], s[8:9], exec
; %bb.109:
	s_or_b64 exec, exec, s[30:31]
	s_orn2_b64 s[30:31], s[38:39], exec
.LBB1335_110:
	s_or_b64 exec, exec, s[36:37]
	v_cndmask_b32_e64 v28, v30, v31, s[30:31]
	v_cndmask_b32_e64 v29, v23, v16, s[30:31]
	v_add_u32_e32 v33, 1, v28
	v_add_u32_e32 v29, -1, v29
	v_min_u32_e32 v29, v33, v29
	v_lshl_add_u32 v29, v29, 2, v18
	ds_read_b32 v29, v29
	v_lshl_add_u32 v28, v28, 3, v17
	ds_read_b64 v[66:67], v28 offset:8192
	v_cndmask_b32_e64 v32, v33, v30, s[30:31]
	v_cndmask_b32_e64 v33, v31, v33, s[30:31]
	s_waitcnt lgkmcnt(1)
	v_cndmask_b32_e64 v28, v29, v26, s[30:31]
	v_cndmask_b32_e64 v29, v27, v29, s[30:31]
	v_cmp_lt_u32_e64 s[8:9], v32, v23
	s_mov_b64 s[36:37], -1
	s_mov_b64 s[38:39], -1
	s_and_saveexec_b64 s[40:41], s[8:9]
	s_cbranch_execz .LBB1335_114
; %bb.111:
	v_cmp_lt_u32_e64 s[8:9], v33, v16
	s_mov_b64 s[42:43], 0
	s_and_saveexec_b64 s[38:39], s[8:9]
; %bb.112:
	v_add_f32_e32 v30, 0, v28
	v_ashrrev_i32_e32 v36, 31, v30
	v_add_f32_e32 v31, 0, v29
	v_or_b32_e32 v36, 0x80000000, v36
	v_xor_b32_e32 v30, v36, v30
	v_ashrrev_i32_e32 v36, 31, v31
	v_or_b32_e32 v36, 0x80000000, v36
	v_xor_b32_e32 v31, v36, v31
	v_cmp_le_u32_e64 s[8:9], v30, v31
	s_and_b64 s[42:43], s[8:9], exec
; %bb.113:
	s_or_b64 exec, exec, s[38:39]
	s_orn2_b64 s[38:39], s[42:43], exec
.LBB1335_114:
	s_or_b64 exec, exec, s[40:41]
	v_cndmask_b32_e64 v30, v32, v33, s[38:39]
	v_cndmask_b32_e64 v31, v23, v16, s[38:39]
	v_add_u32_e32 v36, 1, v30
	v_add_u32_e32 v31, -1, v31
	v_min_u32_e32 v31, v36, v31
	v_lshl_add_u32 v31, v31, 2, v18
	ds_read_b32 v31, v31
	v_lshl_add_u32 v30, v30, 3, v17
	ds_read_b64 v[64:65], v30 offset:8192
	v_cndmask_b32_e64 v32, v36, v32, s[38:39]
	v_cndmask_b32_e64 v33, v33, v36, s[38:39]
	s_waitcnt lgkmcnt(1)
	v_cndmask_b32_e64 v30, v31, v28, s[38:39]
	v_cndmask_b32_e64 v31, v29, v31, s[38:39]
	v_cmp_lt_u32_e64 s[8:9], v32, v23
	s_and_saveexec_b64 s[40:41], s[8:9]
	s_cbranch_execz .LBB1335_118
; %bb.115:
	v_cmp_lt_u32_e64 s[8:9], v33, v16
	s_mov_b64 s[42:43], 0
	s_and_saveexec_b64 s[36:37], s[8:9]
; %bb.116:
	v_add_f32_e32 v16, 0, v30
	v_ashrrev_i32_e32 v36, 31, v16
	v_add_f32_e32 v23, 0, v31
	v_or_b32_e32 v36, 0x80000000, v36
	v_xor_b32_e32 v16, v36, v16
	v_ashrrev_i32_e32 v36, 31, v23
	v_or_b32_e32 v36, 0x80000000, v36
	v_xor_b32_e32 v23, v36, v23
	v_cmp_le_u32_e64 s[8:9], v16, v23
	s_and_b64 s[42:43], s[8:9], exec
; %bb.117:
	s_or_b64 exec, exec, s[36:37]
	s_orn2_b64 s[36:37], s[42:43], exec
.LBB1335_118:
	s_or_b64 exec, exec, s[40:41]
	v_cndmask_b32_e64 v8, v8, v9, s[24:25]
	v_cndmask_b32_e64 v9, v10, v11, s[12:13]
	;; [unrolled: 1-line block ×4, first 2 shown]
	v_lshl_add_u32 v12, v12, 3, v17
	ds_read_b64 v[50:51], v12 offset:8192
	v_cndmask_b32_e64 v11, v14, v15, s[26:27]
	v_cndmask_b32_e64 v12, v24, v25, s[34:35]
	;; [unrolled: 1-line block ×5, first 2 shown]
.LBB1335_119:
	s_andn2_saveexec_b64 s[8:9], s[22:23]
	s_or_b64 exec, exec, s[8:9]
	v_add_u32_e32 v16, 0x2000, v22
	v_and_b32_e32 v26, 0x3e0, v97
	; wave barrier
	ds_write2_b64 v16, v[4:5], v[34:35] offset1:1
	ds_write2_b64 v21, v[8:9], v[10:11] offset1:1
	ds_write2_b64 v20, v[68:69], v[52:53] offset0:2 offset1:3
	ds_write2_b64 v20, v[70:71], v[66:67] offset0:4 offset1:5
	;; [unrolled: 1-line block ×3, first 2 shown]
	s_waitcnt lgkmcnt(5)
	ds_write2_b64 v20, v[64:65], v[50:51] offset0:6 offset1:7
	v_or_b32_e32 v16, 16, v26
	v_min_u32_e32 v16, v19, v16
	v_add_u32_e32 v23, 16, v16
	v_min_u32_e32 v23, v19, v23
	v_and_b32_e32 v24, 24, v97
	v_min_u32_e32 v27, v19, v24
	v_sub_u32_e32 v28, v16, v26
	v_sub_u32_e32 v25, v23, v16
	v_sub_u32_e64 v25, v27, v25 clamp
	v_min_u32_e32 v28, v27, v28
	v_lshl_add_u32 v24, v26, 2, v18
	v_cmp_lt_u32_e64 s[8:9], v25, v28
	; wave barrier
	s_and_saveexec_b64 s[12:13], s[8:9]
	s_cbranch_execz .LBB1335_123
; %bb.120:
	v_lshlrev_b32_e32 v29, 2, v16
	v_lshlrev_b32_e32 v30, 2, v27
	v_add3_u32 v29, v18, v29, v30
	s_mov_b64 s[22:23], 0
.LBB1335_121:                           ; =>This Inner Loop Header: Depth=1
	v_add_u32_e32 v30, v28, v25
	v_lshrrev_b32_e32 v32, 1, v30
	v_not_b32_e32 v30, v32
	v_lshl_add_u32 v31, v32, 2, v24
	v_lshl_add_u32 v30, v30, 2, v29
	ds_read_b32 v31, v31
	ds_read_b32 v30, v30
	v_add_u32_e32 v33, 1, v32
	s_waitcnt lgkmcnt(0)
	v_pk_add_f32 v[30:31], v[30:31], 0 op_sel_hi:[1,0]
	v_ashrrev_i32_e32 v36, 31, v31
	v_ashrrev_i32_e32 v37, 31, v30
	v_or_b32_e32 v37, 0x80000000, v37
	v_or_b32_e32 v36, 0x80000000, v36
	v_xor_b32_e32 v31, v36, v31
	v_xor_b32_e32 v30, v37, v30
	v_cmp_gt_u32_e64 s[8:9], v30, v31
	v_cndmask_b32_e64 v28, v28, v32, s[8:9]
	v_cndmask_b32_e64 v25, v33, v25, s[8:9]
	v_cmp_ge_u32_e64 s[8:9], v25, v28
	s_or_b64 s[22:23], s[8:9], s[22:23]
	s_andn2_b64 exec, exec, s[22:23]
	s_cbranch_execnz .LBB1335_121
; %bb.122:
	s_or_b64 exec, exec, s[22:23]
.LBB1335_123:
	s_or_b64 exec, exec, s[12:13]
	v_add_u32_e32 v27, v16, v27
	v_add_u32_e32 v26, v25, v26
	v_sub_u32_e32 v27, v27, v25
	v_cmp_le_u32_e64 s[8:9], v26, v16
	v_cmp_le_u32_e64 s[12:13], v27, v23
	s_or_b64 s[8:9], s[8:9], s[12:13]
	s_and_saveexec_b64 s[12:13], s[8:9]
	s_xor_b64 s[22:23], exec, s[12:13]
	s_cbranch_execz .LBB1335_159
; %bb.124:
	v_cmp_ge_u32_e64 s[8:9], v26, v16
	v_cmp_lt_u32_e64 s[12:13], v26, v16
                                        ; implicit-def: $vgpr9
	s_and_saveexec_b64 s[24:25], s[12:13]
	s_cbranch_execz .LBB1335_126
; %bb.125:
	v_lshl_add_u32 v4, v25, 2, v24
	ds_read_b32 v9, v4
.LBB1335_126:
	s_or_b64 exec, exec, s[24:25]
	v_cmp_ge_u32_e64 s[24:25], v27, v23
	v_cmp_lt_u32_e64 s[12:13], v27, v23
	s_and_saveexec_b64 s[26:27], s[12:13]
	s_cbranch_execz .LBB1335_128
; %bb.127:
	v_lshl_add_u32 v4, v27, 2, v18
	ds_read_b32 v8, v4
.LBB1335_128:
	s_or_b64 exec, exec, s[26:27]
	s_or_b64 s[8:9], s[8:9], s[24:25]
	s_mov_b64 s[12:13], -1
	s_xor_b64 s[8:9], s[8:9], -1
	s_and_saveexec_b64 s[26:27], s[8:9]
	s_cbranch_execz .LBB1335_130
; %bb.129:
	s_waitcnt lgkmcnt(0)
	v_pk_add_f32 v[4:5], v[8:9], 0 op_sel_hi:[1,0]
	v_ashrrev_i32_e32 v10, 31, v5
	v_ashrrev_i32_e32 v11, 31, v4
	v_or_b32_e32 v11, 0x80000000, v11
	v_or_b32_e32 v10, 0x80000000, v10
	v_xor_b32_e32 v5, v10, v5
	v_xor_b32_e32 v4, v11, v4
	v_cmp_le_u32_e64 s[8:9], v4, v5
	s_andn2_b64 s[24:25], s[24:25], exec
	s_and_b64 s[8:9], s[8:9], exec
	s_or_b64 s[24:25], s[24:25], s[8:9]
.LBB1335_130:
	s_or_b64 exec, exec, s[26:27]
	v_cndmask_b32_e64 v4, v27, v26, s[24:25]
	v_cndmask_b32_e64 v5, v23, v16, s[24:25]
	v_add_u32_e32 v12, 1, v4
	v_add_u32_e32 v5, -1, v5
	v_min_u32_e32 v5, v12, v5
	v_lshl_add_u32 v5, v5, 2, v18
	ds_read_b32 v11, v5
	v_lshl_add_u32 v4, v4, 3, v17
	ds_read_b64 v[4:5], v4 offset:8192
	v_cndmask_b32_e64 v14, v12, v27, s[24:25]
	v_cndmask_b32_e64 v15, v26, v12, s[24:25]
	s_waitcnt lgkmcnt(1)
	v_cndmask_b32_e64 v10, v11, v8, s[24:25]
	v_cndmask_b32_e64 v11, v9, v11, s[24:25]
	v_cmp_lt_u32_e64 s[8:9], v14, v23
	s_and_saveexec_b64 s[26:27], s[8:9]
	s_cbranch_execz .LBB1335_134
; %bb.131:
	v_cmp_lt_u32_e64 s[8:9], v15, v16
	s_mov_b64 s[28:29], 0
	s_and_saveexec_b64 s[12:13], s[8:9]
; %bb.132:
	v_add_f32_e32 v12, 0, v10
	v_ashrrev_i32_e32 v24, 31, v12
	v_add_f32_e32 v13, 0, v11
	v_or_b32_e32 v24, 0x80000000, v24
	v_xor_b32_e32 v12, v24, v12
	v_ashrrev_i32_e32 v24, 31, v13
	v_or_b32_e32 v24, 0x80000000, v24
	v_xor_b32_e32 v13, v24, v13
	v_cmp_le_u32_e64 s[8:9], v12, v13
	s_and_b64 s[28:29], s[8:9], exec
; %bb.133:
	s_or_b64 exec, exec, s[12:13]
	s_orn2_b64 s[12:13], s[28:29], exec
.LBB1335_134:
	s_or_b64 exec, exec, s[26:27]
	v_cndmask_b32_e64 v12, v14, v15, s[12:13]
	v_cndmask_b32_e64 v13, v23, v16, s[12:13]
	v_add_u32_e32 v25, 1, v12
	v_add_u32_e32 v13, -1, v13
	v_min_u32_e32 v13, v25, v13
	v_lshl_add_u32 v13, v13, 2, v18
	ds_read_b32 v13, v13
	v_lshl_add_u32 v12, v12, 3, v17
	ds_read_b64 v[34:35], v12 offset:8192
	v_cndmask_b32_e64 v24, v25, v14, s[12:13]
	v_cndmask_b32_e64 v25, v15, v25, s[12:13]
	s_waitcnt lgkmcnt(1)
	v_cndmask_b32_e64 v12, v13, v10, s[12:13]
	v_cndmask_b32_e64 v13, v11, v13, s[12:13]
	v_cmp_lt_u32_e64 s[8:9], v24, v23
	s_mov_b64 s[26:27], -1
	s_mov_b64 s[28:29], -1
	s_and_saveexec_b64 s[30:31], s[8:9]
	s_cbranch_execz .LBB1335_138
; %bb.135:
	v_cmp_lt_u32_e64 s[8:9], v25, v16
	s_mov_b64 s[34:35], 0
	s_and_saveexec_b64 s[28:29], s[8:9]
; %bb.136:
	v_add_f32_e32 v14, 0, v12
	v_ashrrev_i32_e32 v26, 31, v14
	v_add_f32_e32 v15, 0, v13
	v_or_b32_e32 v26, 0x80000000, v26
	v_xor_b32_e32 v14, v26, v14
	v_ashrrev_i32_e32 v26, 31, v15
	v_or_b32_e32 v26, 0x80000000, v26
	v_xor_b32_e32 v15, v26, v15
	v_cmp_le_u32_e64 s[8:9], v14, v15
	s_and_b64 s[34:35], s[8:9], exec
; %bb.137:
	s_or_b64 exec, exec, s[28:29]
	s_orn2_b64 s[28:29], s[34:35], exec
.LBB1335_138:
	s_or_b64 exec, exec, s[30:31]
	v_cndmask_b32_e64 v14, v24, v25, s[28:29]
	v_cndmask_b32_e64 v15, v23, v16, s[28:29]
	v_add_u32_e32 v27, 1, v14
	v_add_u32_e32 v15, -1, v15
	v_min_u32_e32 v15, v27, v15
	v_lshl_add_u32 v15, v15, 2, v18
	ds_read_b32 v15, v15
	v_lshl_add_u32 v14, v14, 3, v17
	ds_read_b64 v[68:69], v14 offset:8192
	v_cndmask_b32_e64 v26, v27, v24, s[28:29]
	v_cndmask_b32_e64 v27, v25, v27, s[28:29]
	s_waitcnt lgkmcnt(1)
	v_cndmask_b32_e64 v14, v15, v12, s[28:29]
	v_cndmask_b32_e64 v15, v13, v15, s[28:29]
	v_cmp_lt_u32_e64 s[8:9], v26, v23
	s_and_saveexec_b64 s[30:31], s[8:9]
	s_cbranch_execz .LBB1335_142
; %bb.139:
	v_cmp_lt_u32_e64 s[8:9], v27, v16
	s_mov_b64 s[34:35], 0
	s_and_saveexec_b64 s[26:27], s[8:9]
; %bb.140:
	v_add_f32_e32 v24, 0, v14
	v_ashrrev_i32_e32 v28, 31, v24
	v_add_f32_e32 v25, 0, v15
	v_or_b32_e32 v28, 0x80000000, v28
	v_xor_b32_e32 v24, v28, v24
	v_ashrrev_i32_e32 v28, 31, v25
	v_or_b32_e32 v28, 0x80000000, v28
	v_xor_b32_e32 v25, v28, v25
	v_cmp_le_u32_e64 s[8:9], v24, v25
	s_and_b64 s[34:35], s[8:9], exec
; %bb.141:
	s_or_b64 exec, exec, s[26:27]
	s_orn2_b64 s[26:27], s[34:35], exec
.LBB1335_142:
	s_or_b64 exec, exec, s[30:31]
	v_cndmask_b32_e64 v24, v26, v27, s[26:27]
	v_cndmask_b32_e64 v25, v23, v16, s[26:27]
	v_add_u32_e32 v29, 1, v24
	v_add_u32_e32 v25, -1, v25
	v_min_u32_e32 v25, v29, v25
	v_lshl_add_u32 v25, v25, 2, v18
	ds_read_b32 v25, v25
	v_lshl_add_u32 v24, v24, 3, v17
	ds_read_b64 v[52:53], v24 offset:8192
	v_cndmask_b32_e64 v28, v29, v26, s[26:27]
	v_cndmask_b32_e64 v29, v27, v29, s[26:27]
	s_waitcnt lgkmcnt(1)
	v_cndmask_b32_e64 v24, v25, v14, s[26:27]
	v_cndmask_b32_e64 v25, v15, v25, s[26:27]
	v_cmp_lt_u32_e64 s[8:9], v28, v23
	s_mov_b64 s[30:31], -1
	s_mov_b64 s[34:35], -1
	s_and_saveexec_b64 s[36:37], s[8:9]
	s_cbranch_execz .LBB1335_146
; %bb.143:
	v_cmp_lt_u32_e64 s[8:9], v29, v16
	s_mov_b64 s[38:39], 0
	s_and_saveexec_b64 s[34:35], s[8:9]
; %bb.144:
	v_add_f32_e32 v26, 0, v24
	v_ashrrev_i32_e32 v30, 31, v26
	v_add_f32_e32 v27, 0, v25
	v_or_b32_e32 v30, 0x80000000, v30
	v_xor_b32_e32 v26, v30, v26
	v_ashrrev_i32_e32 v30, 31, v27
	v_or_b32_e32 v30, 0x80000000, v30
	v_xor_b32_e32 v27, v30, v27
	v_cmp_le_u32_e64 s[8:9], v26, v27
	s_and_b64 s[38:39], s[8:9], exec
; %bb.145:
	s_or_b64 exec, exec, s[34:35]
	s_orn2_b64 s[34:35], s[38:39], exec
.LBB1335_146:
	s_or_b64 exec, exec, s[36:37]
	v_cndmask_b32_e64 v26, v28, v29, s[34:35]
	v_cndmask_b32_e64 v27, v23, v16, s[34:35]
	v_add_u32_e32 v31, 1, v26
	v_add_u32_e32 v27, -1, v27
	v_min_u32_e32 v27, v31, v27
	v_lshl_add_u32 v27, v27, 2, v18
	ds_read_b32 v27, v27
	v_lshl_add_u32 v26, v26, 3, v17
	ds_read_b64 v[70:71], v26 offset:8192
	v_cndmask_b32_e64 v30, v31, v28, s[34:35]
	v_cndmask_b32_e64 v31, v29, v31, s[34:35]
	s_waitcnt lgkmcnt(1)
	v_cndmask_b32_e64 v26, v27, v24, s[34:35]
	v_cndmask_b32_e64 v27, v25, v27, s[34:35]
	v_cmp_lt_u32_e64 s[8:9], v30, v23
	s_and_saveexec_b64 s[36:37], s[8:9]
	s_cbranch_execz .LBB1335_150
; %bb.147:
	v_cmp_lt_u32_e64 s[8:9], v31, v16
	s_mov_b64 s[38:39], 0
	s_and_saveexec_b64 s[30:31], s[8:9]
; %bb.148:
	v_add_f32_e32 v28, 0, v26
	v_ashrrev_i32_e32 v32, 31, v28
	v_add_f32_e32 v29, 0, v27
	v_or_b32_e32 v32, 0x80000000, v32
	v_xor_b32_e32 v28, v32, v28
	v_ashrrev_i32_e32 v32, 31, v29
	v_or_b32_e32 v32, 0x80000000, v32
	v_xor_b32_e32 v29, v32, v29
	v_cmp_le_u32_e64 s[8:9], v28, v29
	s_and_b64 s[38:39], s[8:9], exec
; %bb.149:
	s_or_b64 exec, exec, s[30:31]
	s_orn2_b64 s[30:31], s[38:39], exec
.LBB1335_150:
	s_or_b64 exec, exec, s[36:37]
	v_cndmask_b32_e64 v28, v30, v31, s[30:31]
	v_cndmask_b32_e64 v29, v23, v16, s[30:31]
	v_add_u32_e32 v33, 1, v28
	v_add_u32_e32 v29, -1, v29
	v_min_u32_e32 v29, v33, v29
	v_lshl_add_u32 v29, v29, 2, v18
	ds_read_b32 v29, v29
	v_lshl_add_u32 v28, v28, 3, v17
	ds_read_b64 v[66:67], v28 offset:8192
	v_cndmask_b32_e64 v32, v33, v30, s[30:31]
	v_cndmask_b32_e64 v33, v31, v33, s[30:31]
	s_waitcnt lgkmcnt(1)
	v_cndmask_b32_e64 v28, v29, v26, s[30:31]
	v_cndmask_b32_e64 v29, v27, v29, s[30:31]
	v_cmp_lt_u32_e64 s[8:9], v32, v23
	s_mov_b64 s[36:37], -1
	s_mov_b64 s[38:39], -1
	s_and_saveexec_b64 s[40:41], s[8:9]
	s_cbranch_execz .LBB1335_154
; %bb.151:
	v_cmp_lt_u32_e64 s[8:9], v33, v16
	s_mov_b64 s[42:43], 0
	s_and_saveexec_b64 s[38:39], s[8:9]
; %bb.152:
	v_add_f32_e32 v30, 0, v28
	v_ashrrev_i32_e32 v36, 31, v30
	v_add_f32_e32 v31, 0, v29
	v_or_b32_e32 v36, 0x80000000, v36
	v_xor_b32_e32 v30, v36, v30
	v_ashrrev_i32_e32 v36, 31, v31
	v_or_b32_e32 v36, 0x80000000, v36
	v_xor_b32_e32 v31, v36, v31
	v_cmp_le_u32_e64 s[8:9], v30, v31
	s_and_b64 s[42:43], s[8:9], exec
; %bb.153:
	s_or_b64 exec, exec, s[38:39]
	s_orn2_b64 s[38:39], s[42:43], exec
.LBB1335_154:
	s_or_b64 exec, exec, s[40:41]
	v_cndmask_b32_e64 v30, v32, v33, s[38:39]
	v_cndmask_b32_e64 v31, v23, v16, s[38:39]
	v_add_u32_e32 v36, 1, v30
	v_add_u32_e32 v31, -1, v31
	v_min_u32_e32 v31, v36, v31
	v_lshl_add_u32 v31, v31, 2, v18
	ds_read_b32 v31, v31
	v_lshl_add_u32 v30, v30, 3, v17
	ds_read_b64 v[64:65], v30 offset:8192
	v_cndmask_b32_e64 v32, v36, v32, s[38:39]
	v_cndmask_b32_e64 v33, v33, v36, s[38:39]
	s_waitcnt lgkmcnt(1)
	v_cndmask_b32_e64 v30, v31, v28, s[38:39]
	v_cndmask_b32_e64 v31, v29, v31, s[38:39]
	v_cmp_lt_u32_e64 s[8:9], v32, v23
	s_and_saveexec_b64 s[40:41], s[8:9]
	s_cbranch_execz .LBB1335_158
; %bb.155:
	v_cmp_lt_u32_e64 s[8:9], v33, v16
	s_mov_b64 s[42:43], 0
	s_and_saveexec_b64 s[36:37], s[8:9]
; %bb.156:
	v_add_f32_e32 v16, 0, v30
	v_ashrrev_i32_e32 v36, 31, v16
	v_add_f32_e32 v23, 0, v31
	v_or_b32_e32 v36, 0x80000000, v36
	v_xor_b32_e32 v16, v36, v16
	v_ashrrev_i32_e32 v36, 31, v23
	v_or_b32_e32 v36, 0x80000000, v36
	v_xor_b32_e32 v23, v36, v23
	v_cmp_le_u32_e64 s[8:9], v16, v23
	s_and_b64 s[42:43], s[8:9], exec
; %bb.157:
	s_or_b64 exec, exec, s[36:37]
	s_orn2_b64 s[36:37], s[42:43], exec
.LBB1335_158:
	s_or_b64 exec, exec, s[40:41]
	v_cndmask_b32_e64 v8, v8, v9, s[24:25]
	v_cndmask_b32_e64 v9, v10, v11, s[12:13]
	;; [unrolled: 1-line block ×4, first 2 shown]
	v_lshl_add_u32 v12, v12, 3, v17
	ds_read_b64 v[50:51], v12 offset:8192
	v_cndmask_b32_e64 v11, v14, v15, s[26:27]
	v_cndmask_b32_e64 v12, v24, v25, s[34:35]
	;; [unrolled: 1-line block ×5, first 2 shown]
.LBB1335_159:
	s_andn2_saveexec_b64 s[8:9], s[22:23]
	s_or_b64 exec, exec, s[8:9]
	v_add_u32_e32 v16, 0x2000, v22
	v_and_b32_e32 v26, 0x3c0, v97
	; wave barrier
	ds_write2_b64 v16, v[4:5], v[34:35] offset1:1
	ds_write2_b64 v21, v[8:9], v[10:11] offset1:1
	ds_write2_b64 v20, v[68:69], v[52:53] offset0:2 offset1:3
	ds_write2_b64 v20, v[70:71], v[66:67] offset0:4 offset1:5
	;; [unrolled: 1-line block ×3, first 2 shown]
	s_waitcnt lgkmcnt(5)
	ds_write2_b64 v20, v[64:65], v[50:51] offset0:6 offset1:7
	v_or_b32_e32 v16, 32, v26
	v_min_u32_e32 v16, v19, v16
	v_add_u32_e32 v23, 32, v16
	v_min_u32_e32 v23, v19, v23
	v_and_b32_e32 v24, 56, v97
	v_min_u32_e32 v27, v19, v24
	v_sub_u32_e32 v28, v16, v26
	v_sub_u32_e32 v25, v23, v16
	v_sub_u32_e64 v25, v27, v25 clamp
	v_min_u32_e32 v28, v27, v28
	v_lshl_add_u32 v24, v26, 2, v18
	v_cmp_lt_u32_e64 s[8:9], v25, v28
	; wave barrier
	s_and_saveexec_b64 s[12:13], s[8:9]
	s_cbranch_execz .LBB1335_163
; %bb.160:
	v_lshlrev_b32_e32 v29, 2, v16
	v_lshlrev_b32_e32 v30, 2, v27
	v_add3_u32 v29, v18, v29, v30
	s_mov_b64 s[22:23], 0
.LBB1335_161:                           ; =>This Inner Loop Header: Depth=1
	v_add_u32_e32 v30, v28, v25
	v_lshrrev_b32_e32 v32, 1, v30
	v_not_b32_e32 v30, v32
	v_lshl_add_u32 v31, v32, 2, v24
	v_lshl_add_u32 v30, v30, 2, v29
	ds_read_b32 v31, v31
	ds_read_b32 v30, v30
	v_add_u32_e32 v33, 1, v32
	s_waitcnt lgkmcnt(0)
	v_pk_add_f32 v[30:31], v[30:31], 0 op_sel_hi:[1,0]
	v_ashrrev_i32_e32 v36, 31, v31
	v_ashrrev_i32_e32 v37, 31, v30
	v_or_b32_e32 v37, 0x80000000, v37
	v_or_b32_e32 v36, 0x80000000, v36
	v_xor_b32_e32 v31, v36, v31
	v_xor_b32_e32 v30, v37, v30
	v_cmp_gt_u32_e64 s[8:9], v30, v31
	v_cndmask_b32_e64 v28, v28, v32, s[8:9]
	v_cndmask_b32_e64 v25, v33, v25, s[8:9]
	v_cmp_ge_u32_e64 s[8:9], v25, v28
	s_or_b64 s[22:23], s[8:9], s[22:23]
	s_andn2_b64 exec, exec, s[22:23]
	s_cbranch_execnz .LBB1335_161
; %bb.162:
	s_or_b64 exec, exec, s[22:23]
.LBB1335_163:
	s_or_b64 exec, exec, s[12:13]
	v_add_u32_e32 v27, v16, v27
	v_add_u32_e32 v26, v25, v26
	v_sub_u32_e32 v27, v27, v25
	v_cmp_le_u32_e64 s[8:9], v26, v16
	v_cmp_le_u32_e64 s[12:13], v27, v23
	s_or_b64 s[8:9], s[8:9], s[12:13]
	s_and_saveexec_b64 s[22:23], s[8:9]
	s_cbranch_execz .LBB1335_199
; %bb.164:
	v_cmp_ge_u32_e64 s[8:9], v26, v16
	v_cmp_lt_u32_e64 s[12:13], v26, v16
                                        ; implicit-def: $vgpr9
	s_and_saveexec_b64 s[24:25], s[12:13]
	s_cbranch_execz .LBB1335_166
; %bb.165:
	v_lshl_add_u32 v4, v25, 2, v24
	ds_read_b32 v9, v4
.LBB1335_166:
	s_or_b64 exec, exec, s[24:25]
	v_cmp_ge_u32_e64 s[24:25], v27, v23
	v_cmp_lt_u32_e64 s[12:13], v27, v23
	s_and_saveexec_b64 s[26:27], s[12:13]
	s_cbranch_execz .LBB1335_168
; %bb.167:
	v_lshl_add_u32 v4, v27, 2, v18
	ds_read_b32 v8, v4
.LBB1335_168:
	s_or_b64 exec, exec, s[26:27]
	s_or_b64 s[8:9], s[8:9], s[24:25]
	s_mov_b64 s[12:13], -1
	s_xor_b64 s[8:9], s[8:9], -1
	s_and_saveexec_b64 s[26:27], s[8:9]
	s_cbranch_execz .LBB1335_170
; %bb.169:
	s_waitcnt lgkmcnt(0)
	v_pk_add_f32 v[4:5], v[8:9], 0 op_sel_hi:[1,0]
	v_ashrrev_i32_e32 v10, 31, v5
	v_ashrrev_i32_e32 v11, 31, v4
	v_or_b32_e32 v11, 0x80000000, v11
	v_or_b32_e32 v10, 0x80000000, v10
	v_xor_b32_e32 v5, v10, v5
	v_xor_b32_e32 v4, v11, v4
	v_cmp_le_u32_e64 s[8:9], v4, v5
	s_andn2_b64 s[24:25], s[24:25], exec
	s_and_b64 s[8:9], s[8:9], exec
	s_or_b64 s[24:25], s[24:25], s[8:9]
.LBB1335_170:
	s_or_b64 exec, exec, s[26:27]
	v_cndmask_b32_e64 v4, v27, v26, s[24:25]
	v_cndmask_b32_e64 v5, v23, v16, s[24:25]
	v_add_u32_e32 v12, 1, v4
	v_add_u32_e32 v5, -1, v5
	v_min_u32_e32 v5, v12, v5
	v_lshl_add_u32 v5, v5, 2, v18
	ds_read_b32 v11, v5
	v_lshl_add_u32 v4, v4, 3, v17
	ds_read_b64 v[4:5], v4 offset:8192
	v_cndmask_b32_e64 v14, v12, v27, s[24:25]
	v_cndmask_b32_e64 v15, v26, v12, s[24:25]
	s_waitcnt lgkmcnt(1)
	v_cndmask_b32_e64 v10, v11, v8, s[24:25]
	v_cndmask_b32_e64 v11, v9, v11, s[24:25]
	v_cmp_lt_u32_e64 s[8:9], v14, v23
	s_and_saveexec_b64 s[26:27], s[8:9]
	s_cbranch_execz .LBB1335_174
; %bb.171:
	v_cmp_lt_u32_e64 s[8:9], v15, v16
	s_mov_b64 s[28:29], 0
	s_and_saveexec_b64 s[12:13], s[8:9]
; %bb.172:
	v_add_f32_e32 v12, 0, v10
	v_ashrrev_i32_e32 v24, 31, v12
	v_add_f32_e32 v13, 0, v11
	v_or_b32_e32 v24, 0x80000000, v24
	v_xor_b32_e32 v12, v24, v12
	v_ashrrev_i32_e32 v24, 31, v13
	v_or_b32_e32 v24, 0x80000000, v24
	v_xor_b32_e32 v13, v24, v13
	v_cmp_le_u32_e64 s[8:9], v12, v13
	s_and_b64 s[28:29], s[8:9], exec
; %bb.173:
	s_or_b64 exec, exec, s[12:13]
	s_orn2_b64 s[12:13], s[28:29], exec
.LBB1335_174:
	s_or_b64 exec, exec, s[26:27]
	v_cndmask_b32_e64 v12, v14, v15, s[12:13]
	v_cndmask_b32_e64 v13, v23, v16, s[12:13]
	v_add_u32_e32 v25, 1, v12
	v_add_u32_e32 v13, -1, v13
	v_min_u32_e32 v13, v25, v13
	v_lshl_add_u32 v13, v13, 2, v18
	ds_read_b32 v13, v13
	v_lshl_add_u32 v12, v12, 3, v17
	ds_read_b64 v[34:35], v12 offset:8192
	v_cndmask_b32_e64 v24, v25, v14, s[12:13]
	v_cndmask_b32_e64 v25, v15, v25, s[12:13]
	s_waitcnt lgkmcnt(1)
	v_cndmask_b32_e64 v12, v13, v10, s[12:13]
	v_cndmask_b32_e64 v13, v11, v13, s[12:13]
	v_cmp_lt_u32_e64 s[8:9], v24, v23
	s_mov_b64 s[26:27], -1
	s_mov_b64 s[28:29], -1
	s_and_saveexec_b64 s[30:31], s[8:9]
	s_cbranch_execz .LBB1335_178
; %bb.175:
	v_cmp_lt_u32_e64 s[8:9], v25, v16
	s_mov_b64 s[34:35], 0
	s_and_saveexec_b64 s[28:29], s[8:9]
; %bb.176:
	v_add_f32_e32 v14, 0, v12
	v_ashrrev_i32_e32 v26, 31, v14
	v_add_f32_e32 v15, 0, v13
	v_or_b32_e32 v26, 0x80000000, v26
	v_xor_b32_e32 v14, v26, v14
	v_ashrrev_i32_e32 v26, 31, v15
	v_or_b32_e32 v26, 0x80000000, v26
	v_xor_b32_e32 v15, v26, v15
	v_cmp_le_u32_e64 s[8:9], v14, v15
	s_and_b64 s[34:35], s[8:9], exec
; %bb.177:
	s_or_b64 exec, exec, s[28:29]
	s_orn2_b64 s[28:29], s[34:35], exec
.LBB1335_178:
	s_or_b64 exec, exec, s[30:31]
	v_cndmask_b32_e64 v14, v24, v25, s[28:29]
	v_cndmask_b32_e64 v15, v23, v16, s[28:29]
	v_add_u32_e32 v27, 1, v14
	v_add_u32_e32 v15, -1, v15
	v_min_u32_e32 v15, v27, v15
	v_lshl_add_u32 v15, v15, 2, v18
	ds_read_b32 v15, v15
	v_lshl_add_u32 v14, v14, 3, v17
	ds_read_b64 v[68:69], v14 offset:8192
	v_cndmask_b32_e64 v26, v27, v24, s[28:29]
	v_cndmask_b32_e64 v27, v25, v27, s[28:29]
	s_waitcnt lgkmcnt(1)
	v_cndmask_b32_e64 v14, v15, v12, s[28:29]
	v_cndmask_b32_e64 v15, v13, v15, s[28:29]
	v_cmp_lt_u32_e64 s[8:9], v26, v23
	s_and_saveexec_b64 s[30:31], s[8:9]
	s_cbranch_execz .LBB1335_182
; %bb.179:
	v_cmp_lt_u32_e64 s[8:9], v27, v16
	s_mov_b64 s[34:35], 0
	s_and_saveexec_b64 s[26:27], s[8:9]
; %bb.180:
	v_add_f32_e32 v24, 0, v14
	v_ashrrev_i32_e32 v28, 31, v24
	v_add_f32_e32 v25, 0, v15
	v_or_b32_e32 v28, 0x80000000, v28
	v_xor_b32_e32 v24, v28, v24
	v_ashrrev_i32_e32 v28, 31, v25
	v_or_b32_e32 v28, 0x80000000, v28
	v_xor_b32_e32 v25, v28, v25
	v_cmp_le_u32_e64 s[8:9], v24, v25
	s_and_b64 s[34:35], s[8:9], exec
; %bb.181:
	s_or_b64 exec, exec, s[26:27]
	s_orn2_b64 s[26:27], s[34:35], exec
.LBB1335_182:
	s_or_b64 exec, exec, s[30:31]
	v_cndmask_b32_e64 v24, v26, v27, s[26:27]
	v_cndmask_b32_e64 v25, v23, v16, s[26:27]
	v_add_u32_e32 v29, 1, v24
	v_add_u32_e32 v25, -1, v25
	v_min_u32_e32 v25, v29, v25
	v_lshl_add_u32 v25, v25, 2, v18
	ds_read_b32 v25, v25
	v_lshl_add_u32 v24, v24, 3, v17
	ds_read_b64 v[52:53], v24 offset:8192
	v_cndmask_b32_e64 v28, v29, v26, s[26:27]
	v_cndmask_b32_e64 v29, v27, v29, s[26:27]
	s_waitcnt lgkmcnt(1)
	v_cndmask_b32_e64 v24, v25, v14, s[26:27]
	v_cndmask_b32_e64 v25, v15, v25, s[26:27]
	v_cmp_lt_u32_e64 s[8:9], v28, v23
	s_mov_b64 s[30:31], -1
	s_mov_b64 s[34:35], -1
	s_and_saveexec_b64 s[36:37], s[8:9]
	s_cbranch_execz .LBB1335_186
; %bb.183:
	v_cmp_lt_u32_e64 s[8:9], v29, v16
	s_mov_b64 s[38:39], 0
	s_and_saveexec_b64 s[34:35], s[8:9]
; %bb.184:
	v_add_f32_e32 v26, 0, v24
	v_ashrrev_i32_e32 v30, 31, v26
	v_add_f32_e32 v27, 0, v25
	v_or_b32_e32 v30, 0x80000000, v30
	v_xor_b32_e32 v26, v30, v26
	v_ashrrev_i32_e32 v30, 31, v27
	v_or_b32_e32 v30, 0x80000000, v30
	v_xor_b32_e32 v27, v30, v27
	v_cmp_le_u32_e64 s[8:9], v26, v27
	s_and_b64 s[38:39], s[8:9], exec
; %bb.185:
	s_or_b64 exec, exec, s[34:35]
	s_orn2_b64 s[34:35], s[38:39], exec
.LBB1335_186:
	s_or_b64 exec, exec, s[36:37]
	v_cndmask_b32_e64 v26, v28, v29, s[34:35]
	v_cndmask_b32_e64 v27, v23, v16, s[34:35]
	v_add_u32_e32 v31, 1, v26
	v_add_u32_e32 v27, -1, v27
	v_min_u32_e32 v27, v31, v27
	v_lshl_add_u32 v27, v27, 2, v18
	ds_read_b32 v27, v27
	v_lshl_add_u32 v26, v26, 3, v17
	ds_read_b64 v[70:71], v26 offset:8192
	v_cndmask_b32_e64 v30, v31, v28, s[34:35]
	v_cndmask_b32_e64 v31, v29, v31, s[34:35]
	s_waitcnt lgkmcnt(1)
	v_cndmask_b32_e64 v26, v27, v24, s[34:35]
	v_cndmask_b32_e64 v27, v25, v27, s[34:35]
	v_cmp_lt_u32_e64 s[8:9], v30, v23
	s_and_saveexec_b64 s[36:37], s[8:9]
	s_cbranch_execz .LBB1335_190
; %bb.187:
	v_cmp_lt_u32_e64 s[8:9], v31, v16
	s_mov_b64 s[38:39], 0
	s_and_saveexec_b64 s[30:31], s[8:9]
; %bb.188:
	v_add_f32_e32 v28, 0, v26
	v_ashrrev_i32_e32 v32, 31, v28
	v_add_f32_e32 v29, 0, v27
	v_or_b32_e32 v32, 0x80000000, v32
	v_xor_b32_e32 v28, v32, v28
	v_ashrrev_i32_e32 v32, 31, v29
	v_or_b32_e32 v32, 0x80000000, v32
	v_xor_b32_e32 v29, v32, v29
	v_cmp_le_u32_e64 s[8:9], v28, v29
	s_and_b64 s[38:39], s[8:9], exec
; %bb.189:
	s_or_b64 exec, exec, s[30:31]
	s_orn2_b64 s[30:31], s[38:39], exec
.LBB1335_190:
	s_or_b64 exec, exec, s[36:37]
	v_cndmask_b32_e64 v28, v30, v31, s[30:31]
	v_cndmask_b32_e64 v29, v23, v16, s[30:31]
	v_add_u32_e32 v33, 1, v28
	v_add_u32_e32 v29, -1, v29
	v_min_u32_e32 v29, v33, v29
	v_lshl_add_u32 v29, v29, 2, v18
	ds_read_b32 v29, v29
	v_lshl_add_u32 v28, v28, 3, v17
	ds_read_b64 v[66:67], v28 offset:8192
	v_cndmask_b32_e64 v32, v33, v30, s[30:31]
	v_cndmask_b32_e64 v33, v31, v33, s[30:31]
	s_waitcnt lgkmcnt(1)
	v_cndmask_b32_e64 v28, v29, v26, s[30:31]
	v_cndmask_b32_e64 v29, v27, v29, s[30:31]
	v_cmp_lt_u32_e64 s[8:9], v32, v23
	s_mov_b64 s[36:37], -1
	s_mov_b64 s[38:39], -1
	s_and_saveexec_b64 s[40:41], s[8:9]
	s_cbranch_execz .LBB1335_194
; %bb.191:
	v_cmp_lt_u32_e64 s[8:9], v33, v16
	s_mov_b64 s[42:43], 0
	s_and_saveexec_b64 s[38:39], s[8:9]
; %bb.192:
	v_add_f32_e32 v30, 0, v28
	v_ashrrev_i32_e32 v36, 31, v30
	v_add_f32_e32 v31, 0, v29
	v_or_b32_e32 v36, 0x80000000, v36
	v_xor_b32_e32 v30, v36, v30
	v_ashrrev_i32_e32 v36, 31, v31
	v_or_b32_e32 v36, 0x80000000, v36
	v_xor_b32_e32 v31, v36, v31
	v_cmp_le_u32_e64 s[8:9], v30, v31
	s_and_b64 s[42:43], s[8:9], exec
; %bb.193:
	s_or_b64 exec, exec, s[38:39]
	s_orn2_b64 s[38:39], s[42:43], exec
.LBB1335_194:
	s_or_b64 exec, exec, s[40:41]
	v_cndmask_b32_e64 v30, v32, v33, s[38:39]
	v_cndmask_b32_e64 v31, v23, v16, s[38:39]
	v_add_u32_e32 v36, 1, v30
	v_add_u32_e32 v31, -1, v31
	v_min_u32_e32 v31, v36, v31
	v_lshl_add_u32 v31, v31, 2, v18
	ds_read_b32 v31, v31
	v_lshl_add_u32 v30, v30, 3, v17
	ds_read_b64 v[64:65], v30 offset:8192
	v_cndmask_b32_e64 v32, v36, v32, s[38:39]
	v_cndmask_b32_e64 v33, v33, v36, s[38:39]
	s_waitcnt lgkmcnt(1)
	v_cndmask_b32_e64 v30, v31, v28, s[38:39]
	v_cndmask_b32_e64 v31, v29, v31, s[38:39]
	v_cmp_lt_u32_e64 s[8:9], v32, v23
	s_and_saveexec_b64 s[40:41], s[8:9]
	s_cbranch_execz .LBB1335_198
; %bb.195:
	v_cmp_lt_u32_e64 s[8:9], v33, v16
	s_mov_b64 s[42:43], 0
	s_and_saveexec_b64 s[36:37], s[8:9]
; %bb.196:
	v_add_f32_e32 v16, 0, v30
	v_ashrrev_i32_e32 v36, 31, v16
	v_add_f32_e32 v23, 0, v31
	v_or_b32_e32 v36, 0x80000000, v36
	v_xor_b32_e32 v16, v36, v16
	v_ashrrev_i32_e32 v36, 31, v23
	v_or_b32_e32 v36, 0x80000000, v36
	v_xor_b32_e32 v23, v36, v23
	v_cmp_le_u32_e64 s[8:9], v16, v23
	s_and_b64 s[42:43], s[8:9], exec
; %bb.197:
	s_or_b64 exec, exec, s[36:37]
	s_orn2_b64 s[36:37], s[42:43], exec
.LBB1335_198:
	s_or_b64 exec, exec, s[40:41]
	v_cndmask_b32_e64 v8, v8, v9, s[24:25]
	v_cndmask_b32_e64 v9, v10, v11, s[12:13]
	;; [unrolled: 1-line block ×4, first 2 shown]
	v_lshl_add_u32 v12, v12, 3, v17
	ds_read_b64 v[50:51], v12 offset:8192
	v_cndmask_b32_e64 v11, v14, v15, s[26:27]
	v_cndmask_b32_e64 v12, v24, v25, s[34:35]
	;; [unrolled: 1-line block ×5, first 2 shown]
.LBB1335_199:
	s_or_b64 exec, exec, s[22:23]
	v_add_u32_e32 v16, 0x2000, v22
	v_and_b32_e32 v22, 0x380, v97
	; wave barrier
	ds_write2_b64 v16, v[4:5], v[34:35] offset1:1
	ds_write2_b64 v21, v[8:9], v[10:11] offset1:1
	ds_write2_b64 v20, v[68:69], v[52:53] offset0:2 offset1:3
	ds_write2_b64 v20, v[70:71], v[66:67] offset0:4 offset1:5
	;; [unrolled: 1-line block ×3, first 2 shown]
	s_waitcnt lgkmcnt(5)
	ds_write2_b64 v20, v[64:65], v[50:51] offset0:6 offset1:7
	v_or_b32_e32 v16, 64, v22
	v_min_u32_e32 v16, v19, v16
	v_add_u32_e32 v20, 64, v16
	v_min_u32_e32 v20, v19, v20
	v_min_u32_e32 v23, v19, v96
	v_sub_u32_e32 v24, v16, v22
	v_sub_u32_e32 v21, v20, v16
	v_sub_u32_e64 v21, v23, v21 clamp
	v_min_u32_e32 v24, v23, v24
	v_lshl_add_u32 v19, v22, 2, v18
	v_cmp_lt_u32_e64 s[8:9], v21, v24
	; wave barrier
	s_and_saveexec_b64 s[12:13], s[8:9]
	s_cbranch_execz .LBB1335_203
; %bb.200:
	v_lshlrev_b32_e32 v25, 2, v16
	v_lshlrev_b32_e32 v26, 2, v23
	v_add3_u32 v25, v18, v25, v26
	s_mov_b64 s[22:23], 0
.LBB1335_201:                           ; =>This Inner Loop Header: Depth=1
	v_add_u32_e32 v26, v24, v21
	v_lshrrev_b32_e32 v28, 1, v26
	v_not_b32_e32 v26, v28
	v_lshl_add_u32 v27, v28, 2, v19
	v_lshl_add_u32 v26, v26, 2, v25
	ds_read_b32 v27, v27
	ds_read_b32 v26, v26
	v_add_u32_e32 v29, 1, v28
	s_waitcnt lgkmcnt(0)
	v_pk_add_f32 v[26:27], v[26:27], 0 op_sel_hi:[1,0]
	v_ashrrev_i32_e32 v30, 31, v27
	v_ashrrev_i32_e32 v31, 31, v26
	v_or_b32_e32 v31, 0x80000000, v31
	v_or_b32_e32 v30, 0x80000000, v30
	v_xor_b32_e32 v27, v30, v27
	v_xor_b32_e32 v26, v31, v26
	v_cmp_gt_u32_e64 s[8:9], v26, v27
	v_cndmask_b32_e64 v24, v24, v28, s[8:9]
	v_cndmask_b32_e64 v21, v29, v21, s[8:9]
	v_cmp_ge_u32_e64 s[8:9], v21, v24
	s_or_b64 s[22:23], s[8:9], s[22:23]
	s_andn2_b64 exec, exec, s[22:23]
	s_cbranch_execnz .LBB1335_201
; %bb.202:
	s_or_b64 exec, exec, s[22:23]
.LBB1335_203:
	s_or_b64 exec, exec, s[12:13]
	v_add_u32_e32 v23, v16, v23
	v_add_u32_e32 v22, v21, v22
	v_sub_u32_e32 v23, v23, v21
	v_cmp_le_u32_e64 s[8:9], v22, v16
	v_cmp_le_u32_e64 s[12:13], v23, v20
	s_or_b64 s[8:9], s[8:9], s[12:13]
	s_and_saveexec_b64 s[22:23], s[8:9]
	s_cbranch_execz .LBB1335_239
; %bb.204:
	v_cmp_ge_u32_e64 s[8:9], v22, v16
	v_cmp_lt_u32_e64 s[12:13], v22, v16
                                        ; implicit-def: $vgpr9
	s_and_saveexec_b64 s[24:25], s[12:13]
	s_cbranch_execz .LBB1335_206
; %bb.205:
	v_lshl_add_u32 v4, v21, 2, v19
	ds_read_b32 v9, v4
.LBB1335_206:
	s_or_b64 exec, exec, s[24:25]
	v_cmp_ge_u32_e64 s[24:25], v23, v20
	v_cmp_lt_u32_e64 s[12:13], v23, v20
	s_and_saveexec_b64 s[26:27], s[12:13]
	s_cbranch_execz .LBB1335_208
; %bb.207:
	v_lshl_add_u32 v4, v23, 2, v18
	ds_read_b32 v8, v4
.LBB1335_208:
	s_or_b64 exec, exec, s[26:27]
	s_or_b64 s[8:9], s[8:9], s[24:25]
	s_mov_b64 s[12:13], -1
	s_xor_b64 s[8:9], s[8:9], -1
	s_and_saveexec_b64 s[26:27], s[8:9]
	s_cbranch_execz .LBB1335_210
; %bb.209:
	s_waitcnt lgkmcnt(0)
	v_pk_add_f32 v[4:5], v[8:9], 0 op_sel_hi:[1,0]
	v_ashrrev_i32_e32 v10, 31, v5
	v_ashrrev_i32_e32 v11, 31, v4
	v_or_b32_e32 v11, 0x80000000, v11
	v_or_b32_e32 v10, 0x80000000, v10
	v_xor_b32_e32 v5, v10, v5
	v_xor_b32_e32 v4, v11, v4
	v_cmp_le_u32_e64 s[8:9], v4, v5
	s_andn2_b64 s[24:25], s[24:25], exec
	s_and_b64 s[8:9], s[8:9], exec
	s_or_b64 s[24:25], s[24:25], s[8:9]
.LBB1335_210:
	s_or_b64 exec, exec, s[26:27]
	v_cndmask_b32_e64 v4, v23, v22, s[24:25]
	v_cndmask_b32_e64 v5, v20, v16, s[24:25]
	v_add_u32_e32 v12, 1, v4
	v_add_u32_e32 v5, -1, v5
	v_min_u32_e32 v5, v12, v5
	v_lshl_add_u32 v5, v5, 2, v18
	ds_read_b32 v11, v5
	v_lshl_add_u32 v4, v4, 3, v17
	ds_read_b64 v[4:5], v4 offset:8192
	v_cndmask_b32_e64 v14, v12, v23, s[24:25]
	v_cndmask_b32_e64 v15, v22, v12, s[24:25]
	s_waitcnt lgkmcnt(1)
	v_cndmask_b32_e64 v10, v11, v8, s[24:25]
	v_cndmask_b32_e64 v11, v9, v11, s[24:25]
	v_cmp_lt_u32_e64 s[8:9], v14, v20
	s_and_saveexec_b64 s[26:27], s[8:9]
	s_cbranch_execz .LBB1335_214
; %bb.211:
	v_cmp_lt_u32_e64 s[8:9], v15, v16
	s_mov_b64 s[28:29], 0
	s_and_saveexec_b64 s[12:13], s[8:9]
; %bb.212:
	v_add_f32_e32 v12, 0, v10
	v_ashrrev_i32_e32 v19, 31, v12
	v_add_f32_e32 v13, 0, v11
	v_or_b32_e32 v19, 0x80000000, v19
	v_xor_b32_e32 v12, v19, v12
	v_ashrrev_i32_e32 v19, 31, v13
	v_or_b32_e32 v19, 0x80000000, v19
	v_xor_b32_e32 v13, v19, v13
	v_cmp_le_u32_e64 s[8:9], v12, v13
	s_and_b64 s[28:29], s[8:9], exec
; %bb.213:
	s_or_b64 exec, exec, s[12:13]
	s_orn2_b64 s[12:13], s[28:29], exec
.LBB1335_214:
	s_or_b64 exec, exec, s[26:27]
	v_cndmask_b32_e64 v12, v14, v15, s[12:13]
	v_cndmask_b32_e64 v13, v20, v16, s[12:13]
	v_add_u32_e32 v21, 1, v12
	v_add_u32_e32 v13, -1, v13
	v_min_u32_e32 v13, v21, v13
	v_lshl_add_u32 v13, v13, 2, v18
	ds_read_b32 v13, v13
	v_lshl_add_u32 v12, v12, 3, v17
	ds_read_b64 v[34:35], v12 offset:8192
	v_cndmask_b32_e64 v19, v21, v14, s[12:13]
	v_cndmask_b32_e64 v21, v15, v21, s[12:13]
	s_waitcnt lgkmcnt(1)
	v_cndmask_b32_e64 v12, v13, v10, s[12:13]
	v_cndmask_b32_e64 v13, v11, v13, s[12:13]
	v_cmp_lt_u32_e64 s[8:9], v19, v20
	s_mov_b64 s[26:27], -1
	s_mov_b64 s[28:29], -1
	s_and_saveexec_b64 s[30:31], s[8:9]
	s_cbranch_execz .LBB1335_218
; %bb.215:
	v_cmp_lt_u32_e64 s[8:9], v21, v16
	s_mov_b64 s[34:35], 0
	s_and_saveexec_b64 s[28:29], s[8:9]
; %bb.216:
	v_add_f32_e32 v14, 0, v12
	v_ashrrev_i32_e32 v22, 31, v14
	v_add_f32_e32 v15, 0, v13
	v_or_b32_e32 v22, 0x80000000, v22
	v_xor_b32_e32 v14, v22, v14
	v_ashrrev_i32_e32 v22, 31, v15
	v_or_b32_e32 v22, 0x80000000, v22
	v_xor_b32_e32 v15, v22, v15
	v_cmp_le_u32_e64 s[8:9], v14, v15
	s_and_b64 s[34:35], s[8:9], exec
; %bb.217:
	s_or_b64 exec, exec, s[28:29]
	s_orn2_b64 s[28:29], s[34:35], exec
.LBB1335_218:
	s_or_b64 exec, exec, s[30:31]
	v_cndmask_b32_e64 v14, v19, v21, s[28:29]
	v_cndmask_b32_e64 v15, v20, v16, s[28:29]
	v_add_u32_e32 v23, 1, v14
	v_add_u32_e32 v15, -1, v15
	v_min_u32_e32 v15, v23, v15
	v_lshl_add_u32 v15, v15, 2, v18
	ds_read_b32 v15, v15
	v_lshl_add_u32 v14, v14, 3, v17
	ds_read_b64 v[68:69], v14 offset:8192
	v_cndmask_b32_e64 v22, v23, v19, s[28:29]
	v_cndmask_b32_e64 v23, v21, v23, s[28:29]
	s_waitcnt lgkmcnt(1)
	v_cndmask_b32_e64 v14, v15, v12, s[28:29]
	v_cndmask_b32_e64 v15, v13, v15, s[28:29]
	v_cmp_lt_u32_e64 s[8:9], v22, v20
	s_and_saveexec_b64 s[30:31], s[8:9]
	s_cbranch_execz .LBB1335_222
; %bb.219:
	v_cmp_lt_u32_e64 s[8:9], v23, v16
	s_mov_b64 s[34:35], 0
	s_and_saveexec_b64 s[26:27], s[8:9]
; %bb.220:
	v_add_f32_e32 v19, 0, v14
	v_ashrrev_i32_e32 v24, 31, v19
	v_add_f32_e32 v21, 0, v15
	v_or_b32_e32 v24, 0x80000000, v24
	v_xor_b32_e32 v19, v24, v19
	v_ashrrev_i32_e32 v24, 31, v21
	v_or_b32_e32 v24, 0x80000000, v24
	v_xor_b32_e32 v21, v24, v21
	v_cmp_le_u32_e64 s[8:9], v19, v21
	s_and_b64 s[34:35], s[8:9], exec
; %bb.221:
	s_or_b64 exec, exec, s[26:27]
	s_orn2_b64 s[26:27], s[34:35], exec
.LBB1335_222:
	s_or_b64 exec, exec, s[30:31]
	v_cndmask_b32_e64 v19, v22, v23, s[26:27]
	v_cndmask_b32_e64 v21, v20, v16, s[26:27]
	v_add_u32_e32 v25, 1, v19
	v_add_u32_e32 v21, -1, v21
	v_min_u32_e32 v21, v25, v21
	v_lshl_add_u32 v21, v21, 2, v18
	ds_read_b32 v21, v21
	v_lshl_add_u32 v19, v19, 3, v17
	ds_read_b64 v[52:53], v19 offset:8192
	v_cndmask_b32_e64 v24, v25, v22, s[26:27]
	v_cndmask_b32_e64 v25, v23, v25, s[26:27]
	s_waitcnt lgkmcnt(1)
	v_cndmask_b32_e64 v19, v21, v14, s[26:27]
	v_cndmask_b32_e64 v21, v15, v21, s[26:27]
	v_cmp_lt_u32_e64 s[8:9], v24, v20
	s_mov_b64 s[30:31], -1
	s_mov_b64 s[34:35], -1
	s_and_saveexec_b64 s[36:37], s[8:9]
	s_cbranch_execz .LBB1335_226
; %bb.223:
	v_cmp_lt_u32_e64 s[8:9], v25, v16
	s_mov_b64 s[38:39], 0
	s_and_saveexec_b64 s[34:35], s[8:9]
; %bb.224:
	v_add_f32_e32 v22, 0, v19
	v_ashrrev_i32_e32 v26, 31, v22
	v_add_f32_e32 v23, 0, v21
	v_or_b32_e32 v26, 0x80000000, v26
	v_xor_b32_e32 v22, v26, v22
	v_ashrrev_i32_e32 v26, 31, v23
	v_or_b32_e32 v26, 0x80000000, v26
	v_xor_b32_e32 v23, v26, v23
	v_cmp_le_u32_e64 s[8:9], v22, v23
	s_and_b64 s[38:39], s[8:9], exec
; %bb.225:
	s_or_b64 exec, exec, s[34:35]
	s_orn2_b64 s[34:35], s[38:39], exec
.LBB1335_226:
	s_or_b64 exec, exec, s[36:37]
	v_cndmask_b32_e64 v22, v24, v25, s[34:35]
	v_cndmask_b32_e64 v23, v20, v16, s[34:35]
	v_add_u32_e32 v27, 1, v22
	v_add_u32_e32 v23, -1, v23
	v_min_u32_e32 v23, v27, v23
	v_lshl_add_u32 v23, v23, 2, v18
	ds_read_b32 v23, v23
	v_lshl_add_u32 v22, v22, 3, v17
	ds_read_b64 v[70:71], v22 offset:8192
	v_cndmask_b32_e64 v26, v27, v24, s[34:35]
	v_cndmask_b32_e64 v28, v25, v27, s[34:35]
	s_waitcnt lgkmcnt(1)
	v_cndmask_b32_e64 v22, v23, v19, s[34:35]
	v_cndmask_b32_e64 v23, v21, v23, s[34:35]
	v_cmp_lt_u32_e64 s[8:9], v26, v20
	s_and_saveexec_b64 s[36:37], s[8:9]
	s_cbranch_execz .LBB1335_230
; %bb.227:
	v_cmp_lt_u32_e64 s[8:9], v28, v16
	s_mov_b64 s[38:39], 0
	s_and_saveexec_b64 s[30:31], s[8:9]
; %bb.228:
	v_add_f32_e32 v24, 0, v22
	v_ashrrev_i32_e32 v27, 31, v24
	v_add_f32_e32 v25, 0, v23
	v_or_b32_e32 v27, 0x80000000, v27
	v_xor_b32_e32 v24, v27, v24
	v_ashrrev_i32_e32 v27, 31, v25
	v_or_b32_e32 v27, 0x80000000, v27
	v_xor_b32_e32 v25, v27, v25
	v_cmp_le_u32_e64 s[8:9], v24, v25
	s_and_b64 s[38:39], s[8:9], exec
; %bb.229:
	s_or_b64 exec, exec, s[30:31]
	s_orn2_b64 s[30:31], s[38:39], exec
.LBB1335_230:
	s_or_b64 exec, exec, s[36:37]
	v_cndmask_b32_e64 v24, v26, v28, s[30:31]
	v_cndmask_b32_e64 v25, v20, v16, s[30:31]
	v_add_u32_e32 v29, 1, v24
	v_add_u32_e32 v25, -1, v25
	v_min_u32_e32 v25, v29, v25
	v_lshl_add_u32 v25, v25, 2, v18
	ds_read_b32 v25, v25
	v_lshl_add_u32 v24, v24, 3, v17
	ds_read_b64 v[66:67], v24 offset:8192
	v_cndmask_b32_e64 v27, v29, v26, s[30:31]
	v_cndmask_b32_e64 v28, v28, v29, s[30:31]
	s_waitcnt lgkmcnt(1)
	v_cndmask_b32_e64 v24, v25, v22, s[30:31]
	v_cndmask_b32_e64 v25, v23, v25, s[30:31]
	v_cmp_lt_u32_e64 s[8:9], v27, v20
	s_mov_b64 s[36:37], -1
	s_mov_b64 s[38:39], -1
	s_and_saveexec_b64 s[40:41], s[8:9]
	s_cbranch_execz .LBB1335_234
; %bb.231:
	v_cmp_lt_u32_e64 s[8:9], v28, v16
	s_mov_b64 s[42:43], 0
	s_and_saveexec_b64 s[38:39], s[8:9]
; %bb.232:
	v_add_f32_e32 v26, 0, v24
	v_ashrrev_i32_e32 v30, 31, v26
	v_add_f32_e32 v29, 0, v25
	v_or_b32_e32 v30, 0x80000000, v30
	v_xor_b32_e32 v26, v30, v26
	v_ashrrev_i32_e32 v30, 31, v29
	v_or_b32_e32 v30, 0x80000000, v30
	v_xor_b32_e32 v29, v30, v29
	v_cmp_le_u32_e64 s[8:9], v26, v29
	s_and_b64 s[42:43], s[8:9], exec
; %bb.233:
	s_or_b64 exec, exec, s[38:39]
	s_orn2_b64 s[38:39], s[42:43], exec
.LBB1335_234:
	s_or_b64 exec, exec, s[40:41]
	v_cndmask_b32_e64 v26, v27, v28, s[38:39]
	v_cndmask_b32_e64 v29, v20, v16, s[38:39]
	v_add_u32_e32 v30, 1, v26
	v_add_u32_e32 v29, -1, v29
	v_min_u32_e32 v29, v30, v29
	v_lshl_add_u32 v18, v29, 2, v18
	ds_read_b32 v29, v18
	v_lshl_add_u32 v18, v26, 3, v17
	ds_read_b64 v[64:65], v18 offset:8192
	v_cndmask_b32_e64 v27, v30, v27, s[38:39]
	v_cndmask_b32_e64 v28, v28, v30, s[38:39]
	s_waitcnt lgkmcnt(1)
	v_cndmask_b32_e64 v18, v29, v24, s[38:39]
	v_cndmask_b32_e64 v26, v25, v29, s[38:39]
	v_cmp_lt_u32_e64 s[8:9], v27, v20
	s_and_saveexec_b64 s[40:41], s[8:9]
	s_cbranch_execz .LBB1335_238
; %bb.235:
	v_cmp_lt_u32_e64 s[8:9], v28, v16
	s_mov_b64 s[42:43], 0
	s_and_saveexec_b64 s[36:37], s[8:9]
; %bb.236:
	v_add_f32_e32 v16, 0, v18
	v_ashrrev_i32_e32 v29, 31, v16
	v_add_f32_e32 v20, 0, v26
	v_or_b32_e32 v29, 0x80000000, v29
	v_xor_b32_e32 v16, v29, v16
	v_ashrrev_i32_e32 v29, 31, v20
	v_or_b32_e32 v29, 0x80000000, v29
	v_xor_b32_e32 v20, v29, v20
	v_cmp_le_u32_e64 s[8:9], v16, v20
	s_and_b64 s[42:43], s[8:9], exec
; %bb.237:
	s_or_b64 exec, exec, s[36:37]
	s_orn2_b64 s[36:37], s[42:43], exec
.LBB1335_238:
	s_or_b64 exec, exec, s[40:41]
	v_cndmask_b32_e64 v8, v8, v9, s[24:25]
	v_cndmask_b32_e64 v9, v10, v11, s[12:13]
	;; [unrolled: 1-line block ×4, first 2 shown]
	v_lshl_add_u32 v12, v12, 3, v17
	ds_read_b64 v[50:51], v12 offset:8192
	v_cndmask_b32_e64 v11, v14, v15, s[26:27]
	v_cndmask_b32_e64 v12, v19, v21, s[34:35]
	;; [unrolled: 1-line block ×5, first 2 shown]
.LBB1335_239:
	s_or_b64 exec, exec, s[22:23]
	v_add_co_u32_e64 v2, s[8:9], v2, v54
	v_addc_co_u32_e64 v3, s[8:9], v3, v55, s[8:9]
	v_add_co_u32_e64 v2, s[8:9], v2, v86
	v_addc_co_u32_e64 v3, s[8:9], 0, v3, s[8:9]
	; wave barrier
	s_waitcnt lgkmcnt(0)
	s_barrier
	s_waitcnt lgkmcnt(0)
	; wave barrier
	s_and_saveexec_b64 s[8:9], vcc
	s_cbranch_execnz .LBB1335_265
; %bb.240:
	s_or_b64 exec, exec, s[8:9]
	s_and_saveexec_b64 s[8:9], s[4:5]
	s_cbranch_execnz .LBB1335_266
.LBB1335_241:
	s_or_b64 exec, exec, s[8:9]
	s_and_saveexec_b64 s[8:9], s[6:7]
	s_cbranch_execnz .LBB1335_267
.LBB1335_242:
	s_or_b64 exec, exec, s[8:9]
	s_and_saveexec_b64 s[8:9], s[18:19]
	s_cbranch_execnz .LBB1335_268
.LBB1335_243:
	s_or_b64 exec, exec, s[8:9]
	s_and_saveexec_b64 s[8:9], s[10:11]
	s_cbranch_execnz .LBB1335_269
.LBB1335_244:
	s_or_b64 exec, exec, s[8:9]
	s_and_saveexec_b64 s[8:9], s[20:21]
	s_cbranch_execnz .LBB1335_270
.LBB1335_245:
	s_or_b64 exec, exec, s[8:9]
	s_and_saveexec_b64 s[8:9], s[14:15]
	s_cbranch_execnz .LBB1335_271
.LBB1335_246:
	s_or_b64 exec, exec, s[8:9]
	s_and_saveexec_b64 s[8:9], s[16:17]
	s_cbranch_execz .LBB1335_248
.LBB1335_247:
	flat_store_dword v[2:3], v15 offset:28
.LBB1335_248:
	s_or_b64 exec, exec, s[8:9]
	v_add_co_u32_e64 v0, s[8:9], v6, v0
	v_addc_co_u32_e64 v1, s[8:9], v7, v1, s[8:9]
	v_add_co_u32_e64 v0, s[8:9], v0, v87
	v_addc_co_u32_e64 v1, s[8:9], 0, v1, s[8:9]
	; wave barrier
	s_and_saveexec_b64 s[8:9], vcc
	s_cbranch_execnz .LBB1335_272
; %bb.249:
	s_or_b64 exec, exec, s[8:9]
	s_and_saveexec_b64 s[8:9], s[4:5]
	s_cbranch_execnz .LBB1335_273
.LBB1335_250:
	s_or_b64 exec, exec, s[8:9]
	s_and_saveexec_b64 s[4:5], s[6:7]
	s_cbranch_execnz .LBB1335_274
.LBB1335_251:
	s_or_b64 exec, exec, s[4:5]
	s_and_saveexec_b64 s[4:5], s[18:19]
	s_cbranch_execnz .LBB1335_275
.LBB1335_252:
	s_or_b64 exec, exec, s[4:5]
	s_and_saveexec_b64 s[4:5], s[10:11]
	s_cbranch_execnz .LBB1335_276
.LBB1335_253:
	s_or_b64 exec, exec, s[4:5]
	s_and_saveexec_b64 s[4:5], s[20:21]
	s_cbranch_execnz .LBB1335_277
.LBB1335_254:
	s_or_b64 exec, exec, s[4:5]
	s_and_saveexec_b64 s[4:5], s[14:15]
	s_cbranch_execnz .LBB1335_278
.LBB1335_255:
	s_or_b64 exec, exec, s[4:5]
	s_and_saveexec_b64 s[4:5], s[16:17]
	s_cbranch_execz .LBB1335_257
.LBB1335_256:
	flat_store_dwordx2 v[0:1], v[50:51] offset:56
.LBB1335_257:
	s_or_b64 exec, exec, s[4:5]
	v_readlane_b32 s30, v40, 10
	v_readlane_b32 s31, v40, 11
	;; [unrolled: 1-line block ×12, first 2 shown]
	s_or_saveexec_b64 s[4:5], -1
	buffer_load_dword v40, off, s[0:3], s32 ; 4-byte Folded Reload
	s_mov_b64 exec, s[4:5]
	s_waitcnt vmcnt(0) lgkmcnt(0)
	s_setpc_b64 s[30:31]
.LBB1335_258:
	flat_load_dwordx2 v[4:5], v[8:9]
	s_or_b64 exec, exec, s[22:23]
	s_and_saveexec_b64 s[22:23], s[4:5]
                                        ; implicit-def: $vgpr32_vgpr33_vgpr34_vgpr35
	s_cbranch_execz .LBB1335_18
.LBB1335_259:
	flat_load_dwordx2 v[34:35], v[8:9] offset:8
	s_or_b64 exec, exec, s[22:23]
                                        ; implicit-def: $vgpr68_vgpr69
	s_and_saveexec_b64 s[22:23], s[6:7]
	s_cbranch_execz .LBB1335_19
.LBB1335_260:
	flat_load_dwordx2 v[68:69], v[8:9] offset:16
	s_or_b64 exec, exec, s[22:23]
	s_and_saveexec_b64 s[22:23], s[18:19]
                                        ; implicit-def: $vgpr50_vgpr51_vgpr52_vgpr53
	s_cbranch_execz .LBB1335_20
.LBB1335_261:
	flat_load_dwordx2 v[52:53], v[8:9] offset:24
	s_or_b64 exec, exec, s[22:23]
                                        ; implicit-def: $vgpr70_vgpr71
	s_and_saveexec_b64 s[22:23], s[10:11]
	s_cbranch_execz .LBB1335_21
.LBB1335_262:
	flat_load_dwordx2 v[70:71], v[8:9] offset:32
	s_or_b64 exec, exec, s[22:23]
	s_and_saveexec_b64 s[22:23], s[20:21]
                                        ; implicit-def: $vgpr64_vgpr65_vgpr66_vgpr67
	s_cbranch_execz .LBB1335_22
.LBB1335_263:
	flat_load_dwordx2 v[66:67], v[8:9] offset:40
	s_or_b64 exec, exec, s[22:23]
                                        ; implicit-def: $vgpr64_vgpr65
	s_and_saveexec_b64 s[22:23], s[14:15]
	s_cbranch_execz .LBB1335_23
.LBB1335_264:
	flat_load_dwordx2 v[64:65], v[8:9] offset:48
	s_or_b64 exec, exec, s[22:23]
	s_and_saveexec_b64 s[22:23], s[16:17]
                                        ; implicit-def: $vgpr48_vgpr49_vgpr50_vgpr51
	s_cbranch_execnz .LBB1335_24
	s_branch .LBB1335_25
.LBB1335_265:
	flat_store_dword v[2:3], v8
	s_or_b64 exec, exec, s[8:9]
	s_and_saveexec_b64 s[8:9], s[4:5]
	s_cbranch_execz .LBB1335_241
.LBB1335_266:
	flat_store_dword v[2:3], v9 offset:4
	s_or_b64 exec, exec, s[8:9]
	s_and_saveexec_b64 s[8:9], s[6:7]
	s_cbranch_execz .LBB1335_242
.LBB1335_267:
	flat_store_dword v[2:3], v10 offset:8
	s_or_b64 exec, exec, s[8:9]
	s_and_saveexec_b64 s[8:9], s[18:19]
	s_cbranch_execz .LBB1335_243
.LBB1335_268:
	flat_store_dword v[2:3], v11 offset:12
	s_or_b64 exec, exec, s[8:9]
	s_and_saveexec_b64 s[8:9], s[10:11]
	s_cbranch_execz .LBB1335_244
.LBB1335_269:
	flat_store_dword v[2:3], v12 offset:16
	s_or_b64 exec, exec, s[8:9]
	s_and_saveexec_b64 s[8:9], s[20:21]
	s_cbranch_execz .LBB1335_245
.LBB1335_270:
	flat_store_dword v[2:3], v13 offset:20
	s_or_b64 exec, exec, s[8:9]
	s_and_saveexec_b64 s[8:9], s[14:15]
	s_cbranch_execz .LBB1335_246
.LBB1335_271:
	flat_store_dword v[2:3], v14 offset:24
	s_or_b64 exec, exec, s[8:9]
	s_and_saveexec_b64 s[8:9], s[16:17]
	s_cbranch_execnz .LBB1335_247
	s_branch .LBB1335_248
.LBB1335_272:
	flat_store_dwordx2 v[0:1], v[4:5]
	s_or_b64 exec, exec, s[8:9]
	s_and_saveexec_b64 s[8:9], s[4:5]
	s_cbranch_execz .LBB1335_250
.LBB1335_273:
	flat_store_dwordx2 v[0:1], v[34:35] offset:8
	s_or_b64 exec, exec, s[8:9]
	s_and_saveexec_b64 s[4:5], s[6:7]
	s_cbranch_execz .LBB1335_251
.LBB1335_274:
	flat_store_dwordx2 v[0:1], v[68:69] offset:16
	s_or_b64 exec, exec, s[4:5]
	s_and_saveexec_b64 s[4:5], s[18:19]
	s_cbranch_execz .LBB1335_252
.LBB1335_275:
	flat_store_dwordx2 v[0:1], v[52:53] offset:24
	s_or_b64 exec, exec, s[4:5]
	s_and_saveexec_b64 s[4:5], s[10:11]
	s_cbranch_execz .LBB1335_253
.LBB1335_276:
	flat_store_dwordx2 v[0:1], v[70:71] offset:32
	s_or_b64 exec, exec, s[4:5]
	s_and_saveexec_b64 s[4:5], s[20:21]
	s_cbranch_execz .LBB1335_254
.LBB1335_277:
	flat_store_dwordx2 v[0:1], v[66:67] offset:40
	s_or_b64 exec, exec, s[4:5]
	s_and_saveexec_b64 s[4:5], s[14:15]
	s_cbranch_execz .LBB1335_255
.LBB1335_278:
	flat_store_dwordx2 v[0:1], v[64:65] offset:48
	s_or_b64 exec, exec, s[4:5]
	s_and_saveexec_b64 s[4:5], s[16:17]
	s_cbranch_execnz .LBB1335_256
	s_branch .LBB1335_257
.Lfunc_end1335:
	.size	_ZN7rocprim17ROCPRIM_400000_NS6detail26segmented_warp_sort_helperINS1_20WarpSortHelperConfigILj16ELj8ELj256EEEflLi256ELb1EvE4sortIPKfPfPKlPlEEvT_T0_T1_T2_jjjjRNS5_12storage_typeE, .Lfunc_end1335-_ZN7rocprim17ROCPRIM_400000_NS6detail26segmented_warp_sort_helperINS1_20WarpSortHelperConfigILj16ELj8ELj256EEEflLi256ELb1EvE4sortIPKfPfPKlPlEEvT_T0_T1_T2_jjjjRNS5_12storage_typeE
                                        ; -- End function
	.section	.AMDGPU.csdata,"",@progbits
; Function info:
; codeLenInByte = 12748
; NumSgprs: 48
; NumVgprs: 99
; NumAgprs: 0
; TotalNumVgprs: 99
; ScratchSize: 8
; MemoryBound: 0
	.section	.text._ZN7rocprim17ROCPRIM_400000_NS6detail17trampoline_kernelINS0_14default_configENS1_36segmented_radix_sort_config_selectorIflEEZNS1_25segmented_radix_sort_implIS3_Lb1EPKfPfPKlPlN2at6native12_GLOBAL__N_18offset_tEEE10hipError_tPvRmT1_PNSt15iterator_traitsISK_E10value_typeET2_T3_PNSL_ISQ_E10value_typeET4_jRbjT5_SW_jjP12ihipStream_tbEUlT_E0_NS1_11comp_targetILNS1_3genE4ELNS1_11target_archE910ELNS1_3gpuE8ELNS1_3repE0EEENS1_60segmented_radix_sort_warp_sort_medium_config_static_selectorELNS0_4arch9wavefront6targetE1EEEvSK_,"axG",@progbits,_ZN7rocprim17ROCPRIM_400000_NS6detail17trampoline_kernelINS0_14default_configENS1_36segmented_radix_sort_config_selectorIflEEZNS1_25segmented_radix_sort_implIS3_Lb1EPKfPfPKlPlN2at6native12_GLOBAL__N_18offset_tEEE10hipError_tPvRmT1_PNSt15iterator_traitsISK_E10value_typeET2_T3_PNSL_ISQ_E10value_typeET4_jRbjT5_SW_jjP12ihipStream_tbEUlT_E0_NS1_11comp_targetILNS1_3genE4ELNS1_11target_archE910ELNS1_3gpuE8ELNS1_3repE0EEENS1_60segmented_radix_sort_warp_sort_medium_config_static_selectorELNS0_4arch9wavefront6targetE1EEEvSK_,comdat
	.globl	_ZN7rocprim17ROCPRIM_400000_NS6detail17trampoline_kernelINS0_14default_configENS1_36segmented_radix_sort_config_selectorIflEEZNS1_25segmented_radix_sort_implIS3_Lb1EPKfPfPKlPlN2at6native12_GLOBAL__N_18offset_tEEE10hipError_tPvRmT1_PNSt15iterator_traitsISK_E10value_typeET2_T3_PNSL_ISQ_E10value_typeET4_jRbjT5_SW_jjP12ihipStream_tbEUlT_E0_NS1_11comp_targetILNS1_3genE4ELNS1_11target_archE910ELNS1_3gpuE8ELNS1_3repE0EEENS1_60segmented_radix_sort_warp_sort_medium_config_static_selectorELNS0_4arch9wavefront6targetE1EEEvSK_ ; -- Begin function _ZN7rocprim17ROCPRIM_400000_NS6detail17trampoline_kernelINS0_14default_configENS1_36segmented_radix_sort_config_selectorIflEEZNS1_25segmented_radix_sort_implIS3_Lb1EPKfPfPKlPlN2at6native12_GLOBAL__N_18offset_tEEE10hipError_tPvRmT1_PNSt15iterator_traitsISK_E10value_typeET2_T3_PNSL_ISQ_E10value_typeET4_jRbjT5_SW_jjP12ihipStream_tbEUlT_E0_NS1_11comp_targetILNS1_3genE4ELNS1_11target_archE910ELNS1_3gpuE8ELNS1_3repE0EEENS1_60segmented_radix_sort_warp_sort_medium_config_static_selectorELNS0_4arch9wavefront6targetE1EEEvSK_
	.p2align	8
	.type	_ZN7rocprim17ROCPRIM_400000_NS6detail17trampoline_kernelINS0_14default_configENS1_36segmented_radix_sort_config_selectorIflEEZNS1_25segmented_radix_sort_implIS3_Lb1EPKfPfPKlPlN2at6native12_GLOBAL__N_18offset_tEEE10hipError_tPvRmT1_PNSt15iterator_traitsISK_E10value_typeET2_T3_PNSL_ISQ_E10value_typeET4_jRbjT5_SW_jjP12ihipStream_tbEUlT_E0_NS1_11comp_targetILNS1_3genE4ELNS1_11target_archE910ELNS1_3gpuE8ELNS1_3repE0EEENS1_60segmented_radix_sort_warp_sort_medium_config_static_selectorELNS0_4arch9wavefront6targetE1EEEvSK_,@function
_ZN7rocprim17ROCPRIM_400000_NS6detail17trampoline_kernelINS0_14default_configENS1_36segmented_radix_sort_config_selectorIflEEZNS1_25segmented_radix_sort_implIS3_Lb1EPKfPfPKlPlN2at6native12_GLOBAL__N_18offset_tEEE10hipError_tPvRmT1_PNSt15iterator_traitsISK_E10value_typeET2_T3_PNSL_ISQ_E10value_typeET4_jRbjT5_SW_jjP12ihipStream_tbEUlT_E0_NS1_11comp_targetILNS1_3genE4ELNS1_11target_archE910ELNS1_3gpuE8ELNS1_3repE0EEENS1_60segmented_radix_sort_warp_sort_medium_config_static_selectorELNS0_4arch9wavefront6targetE1EEEvSK_: ; @_ZN7rocprim17ROCPRIM_400000_NS6detail17trampoline_kernelINS0_14default_configENS1_36segmented_radix_sort_config_selectorIflEEZNS1_25segmented_radix_sort_implIS3_Lb1EPKfPfPKlPlN2at6native12_GLOBAL__N_18offset_tEEE10hipError_tPvRmT1_PNSt15iterator_traitsISK_E10value_typeET2_T3_PNSL_ISQ_E10value_typeET4_jRbjT5_SW_jjP12ihipStream_tbEUlT_E0_NS1_11comp_targetILNS1_3genE4ELNS1_11target_archE910ELNS1_3gpuE8ELNS1_3repE0EEENS1_60segmented_radix_sort_warp_sort_medium_config_static_selectorELNS0_4arch9wavefront6targetE1EEEvSK_
; %bb.0:
	s_add_u32 flat_scratch_lo, s6, s10
	s_addc_u32 flat_scratch_hi, s7, 0
	s_add_u32 s0, s0, s10
	s_load_dword s6, s[4:5], 0x64
	s_load_dword s10, s[4:5], 0x34
	s_addc_u32 s1, s1, 0
	v_bfe_u32 v1, v0, 10, 10
	v_bfe_u32 v2, v0, 20, 10
	s_waitcnt lgkmcnt(0)
	s_lshr_b32 s7, s6, 16
	s_and_b32 s6, s6, 0xffff
	v_mad_u32_u24 v1, v2, s7, v1
	v_and_b32_e32 v2, 0x3ff, v0
	v_mad_u64_u32 v[2:3], s[6:7], v1, s6, v[2:3]
	v_lshrrev_b32_e32 v1, 4, v2
	v_lshl_add_u32 v2, s8, 4, v1
	v_cmp_gt_u32_e32 vcc, s10, v2
	s_mov_b32 s32, 0
	s_and_saveexec_b64 s[6:7], vcc
	s_cbranch_execz .LBB1336_6
; %bb.1:
	s_load_dwordx2 s[6:7], s[4:5], 0x38
	s_load_dwordx4 s[12:15], s[4:5], 0x40
	v_mov_b32_e32 v3, 0
	v_lshlrev_b64 v[2:3], 2, v[2:3]
	s_waitcnt lgkmcnt(0)
	v_mov_b32_e32 v1, s7
	v_add_co_u32_e32 v2, vcc, s6, v2
	v_addc_co_u32_e32 v3, vcc, v1, v3, vcc
	global_load_dword v1, v[2:3], off
	s_waitcnt vmcnt(0)
	v_add_u32_e32 v2, s13, v1
	v_add_u32_e32 v1, s15, v1
	v_mul_lo_u32 v41, v2, s12
	v_mul_lo_u32 v42, v1, s14
	v_cmp_gt_u32_e32 vcc, v42, v41
	s_and_b64 exec, exec, vcc
	s_cbranch_execz .LBB1336_6
; %bb.2:
	s_load_dword s6, s[4:5], 0x30
	s_load_dwordx4 s[56:59], s[4:5], 0x20
	s_load_dwordx8 s[48:55], s[4:5], 0x0
	s_mov_b32 s44, s8
	s_mov_b32 s33, s9
	s_waitcnt lgkmcnt(0)
	s_bitcmp0_b32 s6, 0
	s_mov_b64 s[6:7], -1
	s_cbranch_scc0 .LBB1336_4
; %bb.3:
	s_add_u32 s8, s4, 0x58
	s_addc_u32 s9, s5, 0
	s_mov_b32 s12, s44
	s_mov_b32 s13, s33
	v_mov_b32_e32 v31, v0
	v_mov_b32_e32 v43, v0
	;; [unrolled: 1-line block ×12, first 2 shown]
	s_getpc_b64 s[6:7]
	s_add_u32 s6, s6, _ZN7rocprim17ROCPRIM_400000_NS6detail26segmented_warp_sort_helperINS1_20WarpSortHelperConfigILj16ELj8ELj256EEEflLi256ELb1EvE4sortIPKfPfPKlPlEEvT_T0_T1_T2_jjjjRNS5_12storage_typeE@rel32@lo+4
	s_addc_u32 s7, s7, _ZN7rocprim17ROCPRIM_400000_NS6detail26segmented_warp_sort_helperINS1_20WarpSortHelperConfigILj16ELj8ELj256EEEflLi256ELb1EvE4sortIPKfPfPKlPlEEvT_T0_T1_T2_jjjjRNS5_12storage_typeE@rel32@hi+12
	s_mov_b64 s[46:47], s[4:5]
	s_swappc_b64 s[30:31], s[6:7]
	v_mov_b32_e32 v0, v43
	s_mov_b64 s[4:5], s[46:47]
	s_mov_b64 s[6:7], 0
.LBB1336_4:
	s_andn2_b64 vcc, exec, s[6:7]
	s_cbranch_vccnz .LBB1336_6
; %bb.5:
	s_add_u32 s8, s4, 0x58
	s_addc_u32 s9, s5, 0
	s_mov_b32 s12, s44
	s_mov_b32 s13, s33
	v_mov_b32_e32 v31, v0
	v_mov_b32_e32 v0, s48
	v_mov_b32_e32 v1, s49
	v_mov_b32_e32 v2, s52
	v_mov_b32_e32 v3, s53
	v_mov_b32_e32 v4, s54
	v_mov_b32_e32 v5, s55
	v_mov_b32_e32 v6, s58
	v_mov_b32_e32 v7, s59
	v_mov_b32_e32 v8, v41
	v_mov_b32_e32 v9, v42
	s_getpc_b64 s[4:5]
	s_add_u32 s4, s4, _ZN7rocprim17ROCPRIM_400000_NS6detail26segmented_warp_sort_helperINS1_20WarpSortHelperConfigILj16ELj8ELj256EEEflLi256ELb1EvE4sortIPKfPfPKlPlEEvT_T0_T1_T2_jjjjRNS5_12storage_typeE@rel32@lo+4
	s_addc_u32 s5, s5, _ZN7rocprim17ROCPRIM_400000_NS6detail26segmented_warp_sort_helperINS1_20WarpSortHelperConfigILj16ELj8ELj256EEEflLi256ELb1EvE4sortIPKfPfPKlPlEEvT_T0_T1_T2_jjjjRNS5_12storage_typeE@rel32@hi+12
	s_swappc_b64 s[30:31], s[4:5]
.LBB1336_6:
	s_endpgm
	.section	.rodata,"a",@progbits
	.p2align	6, 0x0
	.amdhsa_kernel _ZN7rocprim17ROCPRIM_400000_NS6detail17trampoline_kernelINS0_14default_configENS1_36segmented_radix_sort_config_selectorIflEEZNS1_25segmented_radix_sort_implIS3_Lb1EPKfPfPKlPlN2at6native12_GLOBAL__N_18offset_tEEE10hipError_tPvRmT1_PNSt15iterator_traitsISK_E10value_typeET2_T3_PNSL_ISQ_E10value_typeET4_jRbjT5_SW_jjP12ihipStream_tbEUlT_E0_NS1_11comp_targetILNS1_3genE4ELNS1_11target_archE910ELNS1_3gpuE8ELNS1_3repE0EEENS1_60segmented_radix_sort_warp_sort_medium_config_static_selectorELNS0_4arch9wavefront6targetE1EEEvSK_
		.amdhsa_group_segment_fixed_size 24576
		.amdhsa_private_segment_fixed_size 8
		.amdhsa_kernarg_size 344
		.amdhsa_user_sgpr_count 8
		.amdhsa_user_sgpr_private_segment_buffer 1
		.amdhsa_user_sgpr_dispatch_ptr 0
		.amdhsa_user_sgpr_queue_ptr 0
		.amdhsa_user_sgpr_kernarg_segment_ptr 1
		.amdhsa_user_sgpr_dispatch_id 0
		.amdhsa_user_sgpr_flat_scratch_init 1
		.amdhsa_user_sgpr_kernarg_preload_length 0
		.amdhsa_user_sgpr_kernarg_preload_offset 0
		.amdhsa_user_sgpr_private_segment_size 0
		.amdhsa_uses_dynamic_stack 0
		.amdhsa_system_sgpr_private_segment_wavefront_offset 1
		.amdhsa_system_sgpr_workgroup_id_x 1
		.amdhsa_system_sgpr_workgroup_id_y 1
		.amdhsa_system_sgpr_workgroup_id_z 0
		.amdhsa_system_sgpr_workgroup_info 0
		.amdhsa_system_vgpr_workitem_id 2
		.amdhsa_next_free_vgpr 99
		.amdhsa_next_free_sgpr 60
		.amdhsa_accum_offset 100
		.amdhsa_reserve_vcc 1
		.amdhsa_reserve_flat_scratch 1
		.amdhsa_float_round_mode_32 0
		.amdhsa_float_round_mode_16_64 0
		.amdhsa_float_denorm_mode_32 3
		.amdhsa_float_denorm_mode_16_64 3
		.amdhsa_dx10_clamp 1
		.amdhsa_ieee_mode 1
		.amdhsa_fp16_overflow 0
		.amdhsa_tg_split 0
		.amdhsa_exception_fp_ieee_invalid_op 0
		.amdhsa_exception_fp_denorm_src 0
		.amdhsa_exception_fp_ieee_div_zero 0
		.amdhsa_exception_fp_ieee_overflow 0
		.amdhsa_exception_fp_ieee_underflow 0
		.amdhsa_exception_fp_ieee_inexact 0
		.amdhsa_exception_int_div_zero 0
	.end_amdhsa_kernel
	.section	.text._ZN7rocprim17ROCPRIM_400000_NS6detail17trampoline_kernelINS0_14default_configENS1_36segmented_radix_sort_config_selectorIflEEZNS1_25segmented_radix_sort_implIS3_Lb1EPKfPfPKlPlN2at6native12_GLOBAL__N_18offset_tEEE10hipError_tPvRmT1_PNSt15iterator_traitsISK_E10value_typeET2_T3_PNSL_ISQ_E10value_typeET4_jRbjT5_SW_jjP12ihipStream_tbEUlT_E0_NS1_11comp_targetILNS1_3genE4ELNS1_11target_archE910ELNS1_3gpuE8ELNS1_3repE0EEENS1_60segmented_radix_sort_warp_sort_medium_config_static_selectorELNS0_4arch9wavefront6targetE1EEEvSK_,"axG",@progbits,_ZN7rocprim17ROCPRIM_400000_NS6detail17trampoline_kernelINS0_14default_configENS1_36segmented_radix_sort_config_selectorIflEEZNS1_25segmented_radix_sort_implIS3_Lb1EPKfPfPKlPlN2at6native12_GLOBAL__N_18offset_tEEE10hipError_tPvRmT1_PNSt15iterator_traitsISK_E10value_typeET2_T3_PNSL_ISQ_E10value_typeET4_jRbjT5_SW_jjP12ihipStream_tbEUlT_E0_NS1_11comp_targetILNS1_3genE4ELNS1_11target_archE910ELNS1_3gpuE8ELNS1_3repE0EEENS1_60segmented_radix_sort_warp_sort_medium_config_static_selectorELNS0_4arch9wavefront6targetE1EEEvSK_,comdat
.Lfunc_end1336:
	.size	_ZN7rocprim17ROCPRIM_400000_NS6detail17trampoline_kernelINS0_14default_configENS1_36segmented_radix_sort_config_selectorIflEEZNS1_25segmented_radix_sort_implIS3_Lb1EPKfPfPKlPlN2at6native12_GLOBAL__N_18offset_tEEE10hipError_tPvRmT1_PNSt15iterator_traitsISK_E10value_typeET2_T3_PNSL_ISQ_E10value_typeET4_jRbjT5_SW_jjP12ihipStream_tbEUlT_E0_NS1_11comp_targetILNS1_3genE4ELNS1_11target_archE910ELNS1_3gpuE8ELNS1_3repE0EEENS1_60segmented_radix_sort_warp_sort_medium_config_static_selectorELNS0_4arch9wavefront6targetE1EEEvSK_, .Lfunc_end1336-_ZN7rocprim17ROCPRIM_400000_NS6detail17trampoline_kernelINS0_14default_configENS1_36segmented_radix_sort_config_selectorIflEEZNS1_25segmented_radix_sort_implIS3_Lb1EPKfPfPKlPlN2at6native12_GLOBAL__N_18offset_tEEE10hipError_tPvRmT1_PNSt15iterator_traitsISK_E10value_typeET2_T3_PNSL_ISQ_E10value_typeET4_jRbjT5_SW_jjP12ihipStream_tbEUlT_E0_NS1_11comp_targetILNS1_3genE4ELNS1_11target_archE910ELNS1_3gpuE8ELNS1_3repE0EEENS1_60segmented_radix_sort_warp_sort_medium_config_static_selectorELNS0_4arch9wavefront6targetE1EEEvSK_
                                        ; -- End function
	.section	.AMDGPU.csdata,"",@progbits
; Kernel info:
; codeLenInByte = 464
; NumSgprs: 66
; NumVgprs: 99
; NumAgprs: 0
; TotalNumVgprs: 99
; ScratchSize: 8
; MemoryBound: 0
; FloatMode: 240
; IeeeMode: 1
; LDSByteSize: 24576 bytes/workgroup (compile time only)
; SGPRBlocks: 8
; VGPRBlocks: 12
; NumSGPRsForWavesPerEU: 66
; NumVGPRsForWavesPerEU: 99
; AccumOffset: 100
; Occupancy: 2
; WaveLimiterHint : 0
; COMPUTE_PGM_RSRC2:SCRATCH_EN: 1
; COMPUTE_PGM_RSRC2:USER_SGPR: 8
; COMPUTE_PGM_RSRC2:TRAP_HANDLER: 0
; COMPUTE_PGM_RSRC2:TGID_X_EN: 1
; COMPUTE_PGM_RSRC2:TGID_Y_EN: 1
; COMPUTE_PGM_RSRC2:TGID_Z_EN: 0
; COMPUTE_PGM_RSRC2:TIDIG_COMP_CNT: 2
; COMPUTE_PGM_RSRC3_GFX90A:ACCUM_OFFSET: 24
; COMPUTE_PGM_RSRC3_GFX90A:TG_SPLIT: 0
	.section	.text._ZN7rocprim17ROCPRIM_400000_NS6detail17trampoline_kernelINS0_14default_configENS1_36segmented_radix_sort_config_selectorIflEEZNS1_25segmented_radix_sort_implIS3_Lb1EPKfPfPKlPlN2at6native12_GLOBAL__N_18offset_tEEE10hipError_tPvRmT1_PNSt15iterator_traitsISK_E10value_typeET2_T3_PNSL_ISQ_E10value_typeET4_jRbjT5_SW_jjP12ihipStream_tbEUlT_E0_NS1_11comp_targetILNS1_3genE3ELNS1_11target_archE908ELNS1_3gpuE7ELNS1_3repE0EEENS1_60segmented_radix_sort_warp_sort_medium_config_static_selectorELNS0_4arch9wavefront6targetE1EEEvSK_,"axG",@progbits,_ZN7rocprim17ROCPRIM_400000_NS6detail17trampoline_kernelINS0_14default_configENS1_36segmented_radix_sort_config_selectorIflEEZNS1_25segmented_radix_sort_implIS3_Lb1EPKfPfPKlPlN2at6native12_GLOBAL__N_18offset_tEEE10hipError_tPvRmT1_PNSt15iterator_traitsISK_E10value_typeET2_T3_PNSL_ISQ_E10value_typeET4_jRbjT5_SW_jjP12ihipStream_tbEUlT_E0_NS1_11comp_targetILNS1_3genE3ELNS1_11target_archE908ELNS1_3gpuE7ELNS1_3repE0EEENS1_60segmented_radix_sort_warp_sort_medium_config_static_selectorELNS0_4arch9wavefront6targetE1EEEvSK_,comdat
	.globl	_ZN7rocprim17ROCPRIM_400000_NS6detail17trampoline_kernelINS0_14default_configENS1_36segmented_radix_sort_config_selectorIflEEZNS1_25segmented_radix_sort_implIS3_Lb1EPKfPfPKlPlN2at6native12_GLOBAL__N_18offset_tEEE10hipError_tPvRmT1_PNSt15iterator_traitsISK_E10value_typeET2_T3_PNSL_ISQ_E10value_typeET4_jRbjT5_SW_jjP12ihipStream_tbEUlT_E0_NS1_11comp_targetILNS1_3genE3ELNS1_11target_archE908ELNS1_3gpuE7ELNS1_3repE0EEENS1_60segmented_radix_sort_warp_sort_medium_config_static_selectorELNS0_4arch9wavefront6targetE1EEEvSK_ ; -- Begin function _ZN7rocprim17ROCPRIM_400000_NS6detail17trampoline_kernelINS0_14default_configENS1_36segmented_radix_sort_config_selectorIflEEZNS1_25segmented_radix_sort_implIS3_Lb1EPKfPfPKlPlN2at6native12_GLOBAL__N_18offset_tEEE10hipError_tPvRmT1_PNSt15iterator_traitsISK_E10value_typeET2_T3_PNSL_ISQ_E10value_typeET4_jRbjT5_SW_jjP12ihipStream_tbEUlT_E0_NS1_11comp_targetILNS1_3genE3ELNS1_11target_archE908ELNS1_3gpuE7ELNS1_3repE0EEENS1_60segmented_radix_sort_warp_sort_medium_config_static_selectorELNS0_4arch9wavefront6targetE1EEEvSK_
	.p2align	8
	.type	_ZN7rocprim17ROCPRIM_400000_NS6detail17trampoline_kernelINS0_14default_configENS1_36segmented_radix_sort_config_selectorIflEEZNS1_25segmented_radix_sort_implIS3_Lb1EPKfPfPKlPlN2at6native12_GLOBAL__N_18offset_tEEE10hipError_tPvRmT1_PNSt15iterator_traitsISK_E10value_typeET2_T3_PNSL_ISQ_E10value_typeET4_jRbjT5_SW_jjP12ihipStream_tbEUlT_E0_NS1_11comp_targetILNS1_3genE3ELNS1_11target_archE908ELNS1_3gpuE7ELNS1_3repE0EEENS1_60segmented_radix_sort_warp_sort_medium_config_static_selectorELNS0_4arch9wavefront6targetE1EEEvSK_,@function
_ZN7rocprim17ROCPRIM_400000_NS6detail17trampoline_kernelINS0_14default_configENS1_36segmented_radix_sort_config_selectorIflEEZNS1_25segmented_radix_sort_implIS3_Lb1EPKfPfPKlPlN2at6native12_GLOBAL__N_18offset_tEEE10hipError_tPvRmT1_PNSt15iterator_traitsISK_E10value_typeET2_T3_PNSL_ISQ_E10value_typeET4_jRbjT5_SW_jjP12ihipStream_tbEUlT_E0_NS1_11comp_targetILNS1_3genE3ELNS1_11target_archE908ELNS1_3gpuE7ELNS1_3repE0EEENS1_60segmented_radix_sort_warp_sort_medium_config_static_selectorELNS0_4arch9wavefront6targetE1EEEvSK_: ; @_ZN7rocprim17ROCPRIM_400000_NS6detail17trampoline_kernelINS0_14default_configENS1_36segmented_radix_sort_config_selectorIflEEZNS1_25segmented_radix_sort_implIS3_Lb1EPKfPfPKlPlN2at6native12_GLOBAL__N_18offset_tEEE10hipError_tPvRmT1_PNSt15iterator_traitsISK_E10value_typeET2_T3_PNSL_ISQ_E10value_typeET4_jRbjT5_SW_jjP12ihipStream_tbEUlT_E0_NS1_11comp_targetILNS1_3genE3ELNS1_11target_archE908ELNS1_3gpuE7ELNS1_3repE0EEENS1_60segmented_radix_sort_warp_sort_medium_config_static_selectorELNS0_4arch9wavefront6targetE1EEEvSK_
; %bb.0:
	.section	.rodata,"a",@progbits
	.p2align	6, 0x0
	.amdhsa_kernel _ZN7rocprim17ROCPRIM_400000_NS6detail17trampoline_kernelINS0_14default_configENS1_36segmented_radix_sort_config_selectorIflEEZNS1_25segmented_radix_sort_implIS3_Lb1EPKfPfPKlPlN2at6native12_GLOBAL__N_18offset_tEEE10hipError_tPvRmT1_PNSt15iterator_traitsISK_E10value_typeET2_T3_PNSL_ISQ_E10value_typeET4_jRbjT5_SW_jjP12ihipStream_tbEUlT_E0_NS1_11comp_targetILNS1_3genE3ELNS1_11target_archE908ELNS1_3gpuE7ELNS1_3repE0EEENS1_60segmented_radix_sort_warp_sort_medium_config_static_selectorELNS0_4arch9wavefront6targetE1EEEvSK_
		.amdhsa_group_segment_fixed_size 0
		.amdhsa_private_segment_fixed_size 0
		.amdhsa_kernarg_size 88
		.amdhsa_user_sgpr_count 6
		.amdhsa_user_sgpr_private_segment_buffer 1
		.amdhsa_user_sgpr_dispatch_ptr 0
		.amdhsa_user_sgpr_queue_ptr 0
		.amdhsa_user_sgpr_kernarg_segment_ptr 1
		.amdhsa_user_sgpr_dispatch_id 0
		.amdhsa_user_sgpr_flat_scratch_init 0
		.amdhsa_user_sgpr_kernarg_preload_length 0
		.amdhsa_user_sgpr_kernarg_preload_offset 0
		.amdhsa_user_sgpr_private_segment_size 0
		.amdhsa_uses_dynamic_stack 0
		.amdhsa_system_sgpr_private_segment_wavefront_offset 0
		.amdhsa_system_sgpr_workgroup_id_x 1
		.amdhsa_system_sgpr_workgroup_id_y 0
		.amdhsa_system_sgpr_workgroup_id_z 0
		.amdhsa_system_sgpr_workgroup_info 0
		.amdhsa_system_vgpr_workitem_id 0
		.amdhsa_next_free_vgpr 1
		.amdhsa_next_free_sgpr 0
		.amdhsa_accum_offset 4
		.amdhsa_reserve_vcc 0
		.amdhsa_reserve_flat_scratch 0
		.amdhsa_float_round_mode_32 0
		.amdhsa_float_round_mode_16_64 0
		.amdhsa_float_denorm_mode_32 3
		.amdhsa_float_denorm_mode_16_64 3
		.amdhsa_dx10_clamp 1
		.amdhsa_ieee_mode 1
		.amdhsa_fp16_overflow 0
		.amdhsa_tg_split 0
		.amdhsa_exception_fp_ieee_invalid_op 0
		.amdhsa_exception_fp_denorm_src 0
		.amdhsa_exception_fp_ieee_div_zero 0
		.amdhsa_exception_fp_ieee_overflow 0
		.amdhsa_exception_fp_ieee_underflow 0
		.amdhsa_exception_fp_ieee_inexact 0
		.amdhsa_exception_int_div_zero 0
	.end_amdhsa_kernel
	.section	.text._ZN7rocprim17ROCPRIM_400000_NS6detail17trampoline_kernelINS0_14default_configENS1_36segmented_radix_sort_config_selectorIflEEZNS1_25segmented_radix_sort_implIS3_Lb1EPKfPfPKlPlN2at6native12_GLOBAL__N_18offset_tEEE10hipError_tPvRmT1_PNSt15iterator_traitsISK_E10value_typeET2_T3_PNSL_ISQ_E10value_typeET4_jRbjT5_SW_jjP12ihipStream_tbEUlT_E0_NS1_11comp_targetILNS1_3genE3ELNS1_11target_archE908ELNS1_3gpuE7ELNS1_3repE0EEENS1_60segmented_radix_sort_warp_sort_medium_config_static_selectorELNS0_4arch9wavefront6targetE1EEEvSK_,"axG",@progbits,_ZN7rocprim17ROCPRIM_400000_NS6detail17trampoline_kernelINS0_14default_configENS1_36segmented_radix_sort_config_selectorIflEEZNS1_25segmented_radix_sort_implIS3_Lb1EPKfPfPKlPlN2at6native12_GLOBAL__N_18offset_tEEE10hipError_tPvRmT1_PNSt15iterator_traitsISK_E10value_typeET2_T3_PNSL_ISQ_E10value_typeET4_jRbjT5_SW_jjP12ihipStream_tbEUlT_E0_NS1_11comp_targetILNS1_3genE3ELNS1_11target_archE908ELNS1_3gpuE7ELNS1_3repE0EEENS1_60segmented_radix_sort_warp_sort_medium_config_static_selectorELNS0_4arch9wavefront6targetE1EEEvSK_,comdat
.Lfunc_end1337:
	.size	_ZN7rocprim17ROCPRIM_400000_NS6detail17trampoline_kernelINS0_14default_configENS1_36segmented_radix_sort_config_selectorIflEEZNS1_25segmented_radix_sort_implIS3_Lb1EPKfPfPKlPlN2at6native12_GLOBAL__N_18offset_tEEE10hipError_tPvRmT1_PNSt15iterator_traitsISK_E10value_typeET2_T3_PNSL_ISQ_E10value_typeET4_jRbjT5_SW_jjP12ihipStream_tbEUlT_E0_NS1_11comp_targetILNS1_3genE3ELNS1_11target_archE908ELNS1_3gpuE7ELNS1_3repE0EEENS1_60segmented_radix_sort_warp_sort_medium_config_static_selectorELNS0_4arch9wavefront6targetE1EEEvSK_, .Lfunc_end1337-_ZN7rocprim17ROCPRIM_400000_NS6detail17trampoline_kernelINS0_14default_configENS1_36segmented_radix_sort_config_selectorIflEEZNS1_25segmented_radix_sort_implIS3_Lb1EPKfPfPKlPlN2at6native12_GLOBAL__N_18offset_tEEE10hipError_tPvRmT1_PNSt15iterator_traitsISK_E10value_typeET2_T3_PNSL_ISQ_E10value_typeET4_jRbjT5_SW_jjP12ihipStream_tbEUlT_E0_NS1_11comp_targetILNS1_3genE3ELNS1_11target_archE908ELNS1_3gpuE7ELNS1_3repE0EEENS1_60segmented_radix_sort_warp_sort_medium_config_static_selectorELNS0_4arch9wavefront6targetE1EEEvSK_
                                        ; -- End function
	.section	.AMDGPU.csdata,"",@progbits
; Kernel info:
; codeLenInByte = 0
; NumSgprs: 4
; NumVgprs: 0
; NumAgprs: 0
; TotalNumVgprs: 0
; ScratchSize: 0
; MemoryBound: 0
; FloatMode: 240
; IeeeMode: 1
; LDSByteSize: 0 bytes/workgroup (compile time only)
; SGPRBlocks: 0
; VGPRBlocks: 0
; NumSGPRsForWavesPerEU: 4
; NumVGPRsForWavesPerEU: 1
; AccumOffset: 4
; Occupancy: 8
; WaveLimiterHint : 0
; COMPUTE_PGM_RSRC2:SCRATCH_EN: 0
; COMPUTE_PGM_RSRC2:USER_SGPR: 6
; COMPUTE_PGM_RSRC2:TRAP_HANDLER: 0
; COMPUTE_PGM_RSRC2:TGID_X_EN: 1
; COMPUTE_PGM_RSRC2:TGID_Y_EN: 0
; COMPUTE_PGM_RSRC2:TGID_Z_EN: 0
; COMPUTE_PGM_RSRC2:TIDIG_COMP_CNT: 0
; COMPUTE_PGM_RSRC3_GFX90A:ACCUM_OFFSET: 0
; COMPUTE_PGM_RSRC3_GFX90A:TG_SPLIT: 0
	.section	.text._ZN7rocprim17ROCPRIM_400000_NS6detail17trampoline_kernelINS0_14default_configENS1_36segmented_radix_sort_config_selectorIflEEZNS1_25segmented_radix_sort_implIS3_Lb1EPKfPfPKlPlN2at6native12_GLOBAL__N_18offset_tEEE10hipError_tPvRmT1_PNSt15iterator_traitsISK_E10value_typeET2_T3_PNSL_ISQ_E10value_typeET4_jRbjT5_SW_jjP12ihipStream_tbEUlT_E0_NS1_11comp_targetILNS1_3genE2ELNS1_11target_archE906ELNS1_3gpuE6ELNS1_3repE0EEENS1_60segmented_radix_sort_warp_sort_medium_config_static_selectorELNS0_4arch9wavefront6targetE1EEEvSK_,"axG",@progbits,_ZN7rocprim17ROCPRIM_400000_NS6detail17trampoline_kernelINS0_14default_configENS1_36segmented_radix_sort_config_selectorIflEEZNS1_25segmented_radix_sort_implIS3_Lb1EPKfPfPKlPlN2at6native12_GLOBAL__N_18offset_tEEE10hipError_tPvRmT1_PNSt15iterator_traitsISK_E10value_typeET2_T3_PNSL_ISQ_E10value_typeET4_jRbjT5_SW_jjP12ihipStream_tbEUlT_E0_NS1_11comp_targetILNS1_3genE2ELNS1_11target_archE906ELNS1_3gpuE6ELNS1_3repE0EEENS1_60segmented_radix_sort_warp_sort_medium_config_static_selectorELNS0_4arch9wavefront6targetE1EEEvSK_,comdat
	.globl	_ZN7rocprim17ROCPRIM_400000_NS6detail17trampoline_kernelINS0_14default_configENS1_36segmented_radix_sort_config_selectorIflEEZNS1_25segmented_radix_sort_implIS3_Lb1EPKfPfPKlPlN2at6native12_GLOBAL__N_18offset_tEEE10hipError_tPvRmT1_PNSt15iterator_traitsISK_E10value_typeET2_T3_PNSL_ISQ_E10value_typeET4_jRbjT5_SW_jjP12ihipStream_tbEUlT_E0_NS1_11comp_targetILNS1_3genE2ELNS1_11target_archE906ELNS1_3gpuE6ELNS1_3repE0EEENS1_60segmented_radix_sort_warp_sort_medium_config_static_selectorELNS0_4arch9wavefront6targetE1EEEvSK_ ; -- Begin function _ZN7rocprim17ROCPRIM_400000_NS6detail17trampoline_kernelINS0_14default_configENS1_36segmented_radix_sort_config_selectorIflEEZNS1_25segmented_radix_sort_implIS3_Lb1EPKfPfPKlPlN2at6native12_GLOBAL__N_18offset_tEEE10hipError_tPvRmT1_PNSt15iterator_traitsISK_E10value_typeET2_T3_PNSL_ISQ_E10value_typeET4_jRbjT5_SW_jjP12ihipStream_tbEUlT_E0_NS1_11comp_targetILNS1_3genE2ELNS1_11target_archE906ELNS1_3gpuE6ELNS1_3repE0EEENS1_60segmented_radix_sort_warp_sort_medium_config_static_selectorELNS0_4arch9wavefront6targetE1EEEvSK_
	.p2align	8
	.type	_ZN7rocprim17ROCPRIM_400000_NS6detail17trampoline_kernelINS0_14default_configENS1_36segmented_radix_sort_config_selectorIflEEZNS1_25segmented_radix_sort_implIS3_Lb1EPKfPfPKlPlN2at6native12_GLOBAL__N_18offset_tEEE10hipError_tPvRmT1_PNSt15iterator_traitsISK_E10value_typeET2_T3_PNSL_ISQ_E10value_typeET4_jRbjT5_SW_jjP12ihipStream_tbEUlT_E0_NS1_11comp_targetILNS1_3genE2ELNS1_11target_archE906ELNS1_3gpuE6ELNS1_3repE0EEENS1_60segmented_radix_sort_warp_sort_medium_config_static_selectorELNS0_4arch9wavefront6targetE1EEEvSK_,@function
_ZN7rocprim17ROCPRIM_400000_NS6detail17trampoline_kernelINS0_14default_configENS1_36segmented_radix_sort_config_selectorIflEEZNS1_25segmented_radix_sort_implIS3_Lb1EPKfPfPKlPlN2at6native12_GLOBAL__N_18offset_tEEE10hipError_tPvRmT1_PNSt15iterator_traitsISK_E10value_typeET2_T3_PNSL_ISQ_E10value_typeET4_jRbjT5_SW_jjP12ihipStream_tbEUlT_E0_NS1_11comp_targetILNS1_3genE2ELNS1_11target_archE906ELNS1_3gpuE6ELNS1_3repE0EEENS1_60segmented_radix_sort_warp_sort_medium_config_static_selectorELNS0_4arch9wavefront6targetE1EEEvSK_: ; @_ZN7rocprim17ROCPRIM_400000_NS6detail17trampoline_kernelINS0_14default_configENS1_36segmented_radix_sort_config_selectorIflEEZNS1_25segmented_radix_sort_implIS3_Lb1EPKfPfPKlPlN2at6native12_GLOBAL__N_18offset_tEEE10hipError_tPvRmT1_PNSt15iterator_traitsISK_E10value_typeET2_T3_PNSL_ISQ_E10value_typeET4_jRbjT5_SW_jjP12ihipStream_tbEUlT_E0_NS1_11comp_targetILNS1_3genE2ELNS1_11target_archE906ELNS1_3gpuE6ELNS1_3repE0EEENS1_60segmented_radix_sort_warp_sort_medium_config_static_selectorELNS0_4arch9wavefront6targetE1EEEvSK_
; %bb.0:
	.section	.rodata,"a",@progbits
	.p2align	6, 0x0
	.amdhsa_kernel _ZN7rocprim17ROCPRIM_400000_NS6detail17trampoline_kernelINS0_14default_configENS1_36segmented_radix_sort_config_selectorIflEEZNS1_25segmented_radix_sort_implIS3_Lb1EPKfPfPKlPlN2at6native12_GLOBAL__N_18offset_tEEE10hipError_tPvRmT1_PNSt15iterator_traitsISK_E10value_typeET2_T3_PNSL_ISQ_E10value_typeET4_jRbjT5_SW_jjP12ihipStream_tbEUlT_E0_NS1_11comp_targetILNS1_3genE2ELNS1_11target_archE906ELNS1_3gpuE6ELNS1_3repE0EEENS1_60segmented_radix_sort_warp_sort_medium_config_static_selectorELNS0_4arch9wavefront6targetE1EEEvSK_
		.amdhsa_group_segment_fixed_size 0
		.amdhsa_private_segment_fixed_size 0
		.amdhsa_kernarg_size 88
		.amdhsa_user_sgpr_count 6
		.amdhsa_user_sgpr_private_segment_buffer 1
		.amdhsa_user_sgpr_dispatch_ptr 0
		.amdhsa_user_sgpr_queue_ptr 0
		.amdhsa_user_sgpr_kernarg_segment_ptr 1
		.amdhsa_user_sgpr_dispatch_id 0
		.amdhsa_user_sgpr_flat_scratch_init 0
		.amdhsa_user_sgpr_kernarg_preload_length 0
		.amdhsa_user_sgpr_kernarg_preload_offset 0
		.amdhsa_user_sgpr_private_segment_size 0
		.amdhsa_uses_dynamic_stack 0
		.amdhsa_system_sgpr_private_segment_wavefront_offset 0
		.amdhsa_system_sgpr_workgroup_id_x 1
		.amdhsa_system_sgpr_workgroup_id_y 0
		.amdhsa_system_sgpr_workgroup_id_z 0
		.amdhsa_system_sgpr_workgroup_info 0
		.amdhsa_system_vgpr_workitem_id 0
		.amdhsa_next_free_vgpr 1
		.amdhsa_next_free_sgpr 0
		.amdhsa_accum_offset 4
		.amdhsa_reserve_vcc 0
		.amdhsa_reserve_flat_scratch 0
		.amdhsa_float_round_mode_32 0
		.amdhsa_float_round_mode_16_64 0
		.amdhsa_float_denorm_mode_32 3
		.amdhsa_float_denorm_mode_16_64 3
		.amdhsa_dx10_clamp 1
		.amdhsa_ieee_mode 1
		.amdhsa_fp16_overflow 0
		.amdhsa_tg_split 0
		.amdhsa_exception_fp_ieee_invalid_op 0
		.amdhsa_exception_fp_denorm_src 0
		.amdhsa_exception_fp_ieee_div_zero 0
		.amdhsa_exception_fp_ieee_overflow 0
		.amdhsa_exception_fp_ieee_underflow 0
		.amdhsa_exception_fp_ieee_inexact 0
		.amdhsa_exception_int_div_zero 0
	.end_amdhsa_kernel
	.section	.text._ZN7rocprim17ROCPRIM_400000_NS6detail17trampoline_kernelINS0_14default_configENS1_36segmented_radix_sort_config_selectorIflEEZNS1_25segmented_radix_sort_implIS3_Lb1EPKfPfPKlPlN2at6native12_GLOBAL__N_18offset_tEEE10hipError_tPvRmT1_PNSt15iterator_traitsISK_E10value_typeET2_T3_PNSL_ISQ_E10value_typeET4_jRbjT5_SW_jjP12ihipStream_tbEUlT_E0_NS1_11comp_targetILNS1_3genE2ELNS1_11target_archE906ELNS1_3gpuE6ELNS1_3repE0EEENS1_60segmented_radix_sort_warp_sort_medium_config_static_selectorELNS0_4arch9wavefront6targetE1EEEvSK_,"axG",@progbits,_ZN7rocprim17ROCPRIM_400000_NS6detail17trampoline_kernelINS0_14default_configENS1_36segmented_radix_sort_config_selectorIflEEZNS1_25segmented_radix_sort_implIS3_Lb1EPKfPfPKlPlN2at6native12_GLOBAL__N_18offset_tEEE10hipError_tPvRmT1_PNSt15iterator_traitsISK_E10value_typeET2_T3_PNSL_ISQ_E10value_typeET4_jRbjT5_SW_jjP12ihipStream_tbEUlT_E0_NS1_11comp_targetILNS1_3genE2ELNS1_11target_archE906ELNS1_3gpuE6ELNS1_3repE0EEENS1_60segmented_radix_sort_warp_sort_medium_config_static_selectorELNS0_4arch9wavefront6targetE1EEEvSK_,comdat
.Lfunc_end1338:
	.size	_ZN7rocprim17ROCPRIM_400000_NS6detail17trampoline_kernelINS0_14default_configENS1_36segmented_radix_sort_config_selectorIflEEZNS1_25segmented_radix_sort_implIS3_Lb1EPKfPfPKlPlN2at6native12_GLOBAL__N_18offset_tEEE10hipError_tPvRmT1_PNSt15iterator_traitsISK_E10value_typeET2_T3_PNSL_ISQ_E10value_typeET4_jRbjT5_SW_jjP12ihipStream_tbEUlT_E0_NS1_11comp_targetILNS1_3genE2ELNS1_11target_archE906ELNS1_3gpuE6ELNS1_3repE0EEENS1_60segmented_radix_sort_warp_sort_medium_config_static_selectorELNS0_4arch9wavefront6targetE1EEEvSK_, .Lfunc_end1338-_ZN7rocprim17ROCPRIM_400000_NS6detail17trampoline_kernelINS0_14default_configENS1_36segmented_radix_sort_config_selectorIflEEZNS1_25segmented_radix_sort_implIS3_Lb1EPKfPfPKlPlN2at6native12_GLOBAL__N_18offset_tEEE10hipError_tPvRmT1_PNSt15iterator_traitsISK_E10value_typeET2_T3_PNSL_ISQ_E10value_typeET4_jRbjT5_SW_jjP12ihipStream_tbEUlT_E0_NS1_11comp_targetILNS1_3genE2ELNS1_11target_archE906ELNS1_3gpuE6ELNS1_3repE0EEENS1_60segmented_radix_sort_warp_sort_medium_config_static_selectorELNS0_4arch9wavefront6targetE1EEEvSK_
                                        ; -- End function
	.section	.AMDGPU.csdata,"",@progbits
; Kernel info:
; codeLenInByte = 0
; NumSgprs: 4
; NumVgprs: 0
; NumAgprs: 0
; TotalNumVgprs: 0
; ScratchSize: 0
; MemoryBound: 0
; FloatMode: 240
; IeeeMode: 1
; LDSByteSize: 0 bytes/workgroup (compile time only)
; SGPRBlocks: 0
; VGPRBlocks: 0
; NumSGPRsForWavesPerEU: 4
; NumVGPRsForWavesPerEU: 1
; AccumOffset: 4
; Occupancy: 8
; WaveLimiterHint : 0
; COMPUTE_PGM_RSRC2:SCRATCH_EN: 0
; COMPUTE_PGM_RSRC2:USER_SGPR: 6
; COMPUTE_PGM_RSRC2:TRAP_HANDLER: 0
; COMPUTE_PGM_RSRC2:TGID_X_EN: 1
; COMPUTE_PGM_RSRC2:TGID_Y_EN: 0
; COMPUTE_PGM_RSRC2:TGID_Z_EN: 0
; COMPUTE_PGM_RSRC2:TIDIG_COMP_CNT: 0
; COMPUTE_PGM_RSRC3_GFX90A:ACCUM_OFFSET: 0
; COMPUTE_PGM_RSRC3_GFX90A:TG_SPLIT: 0
	.section	.text._ZN7rocprim17ROCPRIM_400000_NS6detail17trampoline_kernelINS0_14default_configENS1_36segmented_radix_sort_config_selectorIflEEZNS1_25segmented_radix_sort_implIS3_Lb1EPKfPfPKlPlN2at6native12_GLOBAL__N_18offset_tEEE10hipError_tPvRmT1_PNSt15iterator_traitsISK_E10value_typeET2_T3_PNSL_ISQ_E10value_typeET4_jRbjT5_SW_jjP12ihipStream_tbEUlT_E0_NS1_11comp_targetILNS1_3genE10ELNS1_11target_archE1201ELNS1_3gpuE5ELNS1_3repE0EEENS1_60segmented_radix_sort_warp_sort_medium_config_static_selectorELNS0_4arch9wavefront6targetE1EEEvSK_,"axG",@progbits,_ZN7rocprim17ROCPRIM_400000_NS6detail17trampoline_kernelINS0_14default_configENS1_36segmented_radix_sort_config_selectorIflEEZNS1_25segmented_radix_sort_implIS3_Lb1EPKfPfPKlPlN2at6native12_GLOBAL__N_18offset_tEEE10hipError_tPvRmT1_PNSt15iterator_traitsISK_E10value_typeET2_T3_PNSL_ISQ_E10value_typeET4_jRbjT5_SW_jjP12ihipStream_tbEUlT_E0_NS1_11comp_targetILNS1_3genE10ELNS1_11target_archE1201ELNS1_3gpuE5ELNS1_3repE0EEENS1_60segmented_radix_sort_warp_sort_medium_config_static_selectorELNS0_4arch9wavefront6targetE1EEEvSK_,comdat
	.globl	_ZN7rocprim17ROCPRIM_400000_NS6detail17trampoline_kernelINS0_14default_configENS1_36segmented_radix_sort_config_selectorIflEEZNS1_25segmented_radix_sort_implIS3_Lb1EPKfPfPKlPlN2at6native12_GLOBAL__N_18offset_tEEE10hipError_tPvRmT1_PNSt15iterator_traitsISK_E10value_typeET2_T3_PNSL_ISQ_E10value_typeET4_jRbjT5_SW_jjP12ihipStream_tbEUlT_E0_NS1_11comp_targetILNS1_3genE10ELNS1_11target_archE1201ELNS1_3gpuE5ELNS1_3repE0EEENS1_60segmented_radix_sort_warp_sort_medium_config_static_selectorELNS0_4arch9wavefront6targetE1EEEvSK_ ; -- Begin function _ZN7rocprim17ROCPRIM_400000_NS6detail17trampoline_kernelINS0_14default_configENS1_36segmented_radix_sort_config_selectorIflEEZNS1_25segmented_radix_sort_implIS3_Lb1EPKfPfPKlPlN2at6native12_GLOBAL__N_18offset_tEEE10hipError_tPvRmT1_PNSt15iterator_traitsISK_E10value_typeET2_T3_PNSL_ISQ_E10value_typeET4_jRbjT5_SW_jjP12ihipStream_tbEUlT_E0_NS1_11comp_targetILNS1_3genE10ELNS1_11target_archE1201ELNS1_3gpuE5ELNS1_3repE0EEENS1_60segmented_radix_sort_warp_sort_medium_config_static_selectorELNS0_4arch9wavefront6targetE1EEEvSK_
	.p2align	8
	.type	_ZN7rocprim17ROCPRIM_400000_NS6detail17trampoline_kernelINS0_14default_configENS1_36segmented_radix_sort_config_selectorIflEEZNS1_25segmented_radix_sort_implIS3_Lb1EPKfPfPKlPlN2at6native12_GLOBAL__N_18offset_tEEE10hipError_tPvRmT1_PNSt15iterator_traitsISK_E10value_typeET2_T3_PNSL_ISQ_E10value_typeET4_jRbjT5_SW_jjP12ihipStream_tbEUlT_E0_NS1_11comp_targetILNS1_3genE10ELNS1_11target_archE1201ELNS1_3gpuE5ELNS1_3repE0EEENS1_60segmented_radix_sort_warp_sort_medium_config_static_selectorELNS0_4arch9wavefront6targetE1EEEvSK_,@function
_ZN7rocprim17ROCPRIM_400000_NS6detail17trampoline_kernelINS0_14default_configENS1_36segmented_radix_sort_config_selectorIflEEZNS1_25segmented_radix_sort_implIS3_Lb1EPKfPfPKlPlN2at6native12_GLOBAL__N_18offset_tEEE10hipError_tPvRmT1_PNSt15iterator_traitsISK_E10value_typeET2_T3_PNSL_ISQ_E10value_typeET4_jRbjT5_SW_jjP12ihipStream_tbEUlT_E0_NS1_11comp_targetILNS1_3genE10ELNS1_11target_archE1201ELNS1_3gpuE5ELNS1_3repE0EEENS1_60segmented_radix_sort_warp_sort_medium_config_static_selectorELNS0_4arch9wavefront6targetE1EEEvSK_: ; @_ZN7rocprim17ROCPRIM_400000_NS6detail17trampoline_kernelINS0_14default_configENS1_36segmented_radix_sort_config_selectorIflEEZNS1_25segmented_radix_sort_implIS3_Lb1EPKfPfPKlPlN2at6native12_GLOBAL__N_18offset_tEEE10hipError_tPvRmT1_PNSt15iterator_traitsISK_E10value_typeET2_T3_PNSL_ISQ_E10value_typeET4_jRbjT5_SW_jjP12ihipStream_tbEUlT_E0_NS1_11comp_targetILNS1_3genE10ELNS1_11target_archE1201ELNS1_3gpuE5ELNS1_3repE0EEENS1_60segmented_radix_sort_warp_sort_medium_config_static_selectorELNS0_4arch9wavefront6targetE1EEEvSK_
; %bb.0:
	.section	.rodata,"a",@progbits
	.p2align	6, 0x0
	.amdhsa_kernel _ZN7rocprim17ROCPRIM_400000_NS6detail17trampoline_kernelINS0_14default_configENS1_36segmented_radix_sort_config_selectorIflEEZNS1_25segmented_radix_sort_implIS3_Lb1EPKfPfPKlPlN2at6native12_GLOBAL__N_18offset_tEEE10hipError_tPvRmT1_PNSt15iterator_traitsISK_E10value_typeET2_T3_PNSL_ISQ_E10value_typeET4_jRbjT5_SW_jjP12ihipStream_tbEUlT_E0_NS1_11comp_targetILNS1_3genE10ELNS1_11target_archE1201ELNS1_3gpuE5ELNS1_3repE0EEENS1_60segmented_radix_sort_warp_sort_medium_config_static_selectorELNS0_4arch9wavefront6targetE1EEEvSK_
		.amdhsa_group_segment_fixed_size 0
		.amdhsa_private_segment_fixed_size 0
		.amdhsa_kernarg_size 88
		.amdhsa_user_sgpr_count 6
		.amdhsa_user_sgpr_private_segment_buffer 1
		.amdhsa_user_sgpr_dispatch_ptr 0
		.amdhsa_user_sgpr_queue_ptr 0
		.amdhsa_user_sgpr_kernarg_segment_ptr 1
		.amdhsa_user_sgpr_dispatch_id 0
		.amdhsa_user_sgpr_flat_scratch_init 0
		.amdhsa_user_sgpr_kernarg_preload_length 0
		.amdhsa_user_sgpr_kernarg_preload_offset 0
		.amdhsa_user_sgpr_private_segment_size 0
		.amdhsa_uses_dynamic_stack 0
		.amdhsa_system_sgpr_private_segment_wavefront_offset 0
		.amdhsa_system_sgpr_workgroup_id_x 1
		.amdhsa_system_sgpr_workgroup_id_y 0
		.amdhsa_system_sgpr_workgroup_id_z 0
		.amdhsa_system_sgpr_workgroup_info 0
		.amdhsa_system_vgpr_workitem_id 0
		.amdhsa_next_free_vgpr 1
		.amdhsa_next_free_sgpr 0
		.amdhsa_accum_offset 4
		.amdhsa_reserve_vcc 0
		.amdhsa_reserve_flat_scratch 0
		.amdhsa_float_round_mode_32 0
		.amdhsa_float_round_mode_16_64 0
		.amdhsa_float_denorm_mode_32 3
		.amdhsa_float_denorm_mode_16_64 3
		.amdhsa_dx10_clamp 1
		.amdhsa_ieee_mode 1
		.amdhsa_fp16_overflow 0
		.amdhsa_tg_split 0
		.amdhsa_exception_fp_ieee_invalid_op 0
		.amdhsa_exception_fp_denorm_src 0
		.amdhsa_exception_fp_ieee_div_zero 0
		.amdhsa_exception_fp_ieee_overflow 0
		.amdhsa_exception_fp_ieee_underflow 0
		.amdhsa_exception_fp_ieee_inexact 0
		.amdhsa_exception_int_div_zero 0
	.end_amdhsa_kernel
	.section	.text._ZN7rocprim17ROCPRIM_400000_NS6detail17trampoline_kernelINS0_14default_configENS1_36segmented_radix_sort_config_selectorIflEEZNS1_25segmented_radix_sort_implIS3_Lb1EPKfPfPKlPlN2at6native12_GLOBAL__N_18offset_tEEE10hipError_tPvRmT1_PNSt15iterator_traitsISK_E10value_typeET2_T3_PNSL_ISQ_E10value_typeET4_jRbjT5_SW_jjP12ihipStream_tbEUlT_E0_NS1_11comp_targetILNS1_3genE10ELNS1_11target_archE1201ELNS1_3gpuE5ELNS1_3repE0EEENS1_60segmented_radix_sort_warp_sort_medium_config_static_selectorELNS0_4arch9wavefront6targetE1EEEvSK_,"axG",@progbits,_ZN7rocprim17ROCPRIM_400000_NS6detail17trampoline_kernelINS0_14default_configENS1_36segmented_radix_sort_config_selectorIflEEZNS1_25segmented_radix_sort_implIS3_Lb1EPKfPfPKlPlN2at6native12_GLOBAL__N_18offset_tEEE10hipError_tPvRmT1_PNSt15iterator_traitsISK_E10value_typeET2_T3_PNSL_ISQ_E10value_typeET4_jRbjT5_SW_jjP12ihipStream_tbEUlT_E0_NS1_11comp_targetILNS1_3genE10ELNS1_11target_archE1201ELNS1_3gpuE5ELNS1_3repE0EEENS1_60segmented_radix_sort_warp_sort_medium_config_static_selectorELNS0_4arch9wavefront6targetE1EEEvSK_,comdat
.Lfunc_end1339:
	.size	_ZN7rocprim17ROCPRIM_400000_NS6detail17trampoline_kernelINS0_14default_configENS1_36segmented_radix_sort_config_selectorIflEEZNS1_25segmented_radix_sort_implIS3_Lb1EPKfPfPKlPlN2at6native12_GLOBAL__N_18offset_tEEE10hipError_tPvRmT1_PNSt15iterator_traitsISK_E10value_typeET2_T3_PNSL_ISQ_E10value_typeET4_jRbjT5_SW_jjP12ihipStream_tbEUlT_E0_NS1_11comp_targetILNS1_3genE10ELNS1_11target_archE1201ELNS1_3gpuE5ELNS1_3repE0EEENS1_60segmented_radix_sort_warp_sort_medium_config_static_selectorELNS0_4arch9wavefront6targetE1EEEvSK_, .Lfunc_end1339-_ZN7rocprim17ROCPRIM_400000_NS6detail17trampoline_kernelINS0_14default_configENS1_36segmented_radix_sort_config_selectorIflEEZNS1_25segmented_radix_sort_implIS3_Lb1EPKfPfPKlPlN2at6native12_GLOBAL__N_18offset_tEEE10hipError_tPvRmT1_PNSt15iterator_traitsISK_E10value_typeET2_T3_PNSL_ISQ_E10value_typeET4_jRbjT5_SW_jjP12ihipStream_tbEUlT_E0_NS1_11comp_targetILNS1_3genE10ELNS1_11target_archE1201ELNS1_3gpuE5ELNS1_3repE0EEENS1_60segmented_radix_sort_warp_sort_medium_config_static_selectorELNS0_4arch9wavefront6targetE1EEEvSK_
                                        ; -- End function
	.section	.AMDGPU.csdata,"",@progbits
; Kernel info:
; codeLenInByte = 0
; NumSgprs: 4
; NumVgprs: 0
; NumAgprs: 0
; TotalNumVgprs: 0
; ScratchSize: 0
; MemoryBound: 0
; FloatMode: 240
; IeeeMode: 1
; LDSByteSize: 0 bytes/workgroup (compile time only)
; SGPRBlocks: 0
; VGPRBlocks: 0
; NumSGPRsForWavesPerEU: 4
; NumVGPRsForWavesPerEU: 1
; AccumOffset: 4
; Occupancy: 8
; WaveLimiterHint : 0
; COMPUTE_PGM_RSRC2:SCRATCH_EN: 0
; COMPUTE_PGM_RSRC2:USER_SGPR: 6
; COMPUTE_PGM_RSRC2:TRAP_HANDLER: 0
; COMPUTE_PGM_RSRC2:TGID_X_EN: 1
; COMPUTE_PGM_RSRC2:TGID_Y_EN: 0
; COMPUTE_PGM_RSRC2:TGID_Z_EN: 0
; COMPUTE_PGM_RSRC2:TIDIG_COMP_CNT: 0
; COMPUTE_PGM_RSRC3_GFX90A:ACCUM_OFFSET: 0
; COMPUTE_PGM_RSRC3_GFX90A:TG_SPLIT: 0
	.section	.text._ZN7rocprim17ROCPRIM_400000_NS6detail17trampoline_kernelINS0_14default_configENS1_36segmented_radix_sort_config_selectorIflEEZNS1_25segmented_radix_sort_implIS3_Lb1EPKfPfPKlPlN2at6native12_GLOBAL__N_18offset_tEEE10hipError_tPvRmT1_PNSt15iterator_traitsISK_E10value_typeET2_T3_PNSL_ISQ_E10value_typeET4_jRbjT5_SW_jjP12ihipStream_tbEUlT_E0_NS1_11comp_targetILNS1_3genE10ELNS1_11target_archE1200ELNS1_3gpuE4ELNS1_3repE0EEENS1_60segmented_radix_sort_warp_sort_medium_config_static_selectorELNS0_4arch9wavefront6targetE1EEEvSK_,"axG",@progbits,_ZN7rocprim17ROCPRIM_400000_NS6detail17trampoline_kernelINS0_14default_configENS1_36segmented_radix_sort_config_selectorIflEEZNS1_25segmented_radix_sort_implIS3_Lb1EPKfPfPKlPlN2at6native12_GLOBAL__N_18offset_tEEE10hipError_tPvRmT1_PNSt15iterator_traitsISK_E10value_typeET2_T3_PNSL_ISQ_E10value_typeET4_jRbjT5_SW_jjP12ihipStream_tbEUlT_E0_NS1_11comp_targetILNS1_3genE10ELNS1_11target_archE1200ELNS1_3gpuE4ELNS1_3repE0EEENS1_60segmented_radix_sort_warp_sort_medium_config_static_selectorELNS0_4arch9wavefront6targetE1EEEvSK_,comdat
	.globl	_ZN7rocprim17ROCPRIM_400000_NS6detail17trampoline_kernelINS0_14default_configENS1_36segmented_radix_sort_config_selectorIflEEZNS1_25segmented_radix_sort_implIS3_Lb1EPKfPfPKlPlN2at6native12_GLOBAL__N_18offset_tEEE10hipError_tPvRmT1_PNSt15iterator_traitsISK_E10value_typeET2_T3_PNSL_ISQ_E10value_typeET4_jRbjT5_SW_jjP12ihipStream_tbEUlT_E0_NS1_11comp_targetILNS1_3genE10ELNS1_11target_archE1200ELNS1_3gpuE4ELNS1_3repE0EEENS1_60segmented_radix_sort_warp_sort_medium_config_static_selectorELNS0_4arch9wavefront6targetE1EEEvSK_ ; -- Begin function _ZN7rocprim17ROCPRIM_400000_NS6detail17trampoline_kernelINS0_14default_configENS1_36segmented_radix_sort_config_selectorIflEEZNS1_25segmented_radix_sort_implIS3_Lb1EPKfPfPKlPlN2at6native12_GLOBAL__N_18offset_tEEE10hipError_tPvRmT1_PNSt15iterator_traitsISK_E10value_typeET2_T3_PNSL_ISQ_E10value_typeET4_jRbjT5_SW_jjP12ihipStream_tbEUlT_E0_NS1_11comp_targetILNS1_3genE10ELNS1_11target_archE1200ELNS1_3gpuE4ELNS1_3repE0EEENS1_60segmented_radix_sort_warp_sort_medium_config_static_selectorELNS0_4arch9wavefront6targetE1EEEvSK_
	.p2align	8
	.type	_ZN7rocprim17ROCPRIM_400000_NS6detail17trampoline_kernelINS0_14default_configENS1_36segmented_radix_sort_config_selectorIflEEZNS1_25segmented_radix_sort_implIS3_Lb1EPKfPfPKlPlN2at6native12_GLOBAL__N_18offset_tEEE10hipError_tPvRmT1_PNSt15iterator_traitsISK_E10value_typeET2_T3_PNSL_ISQ_E10value_typeET4_jRbjT5_SW_jjP12ihipStream_tbEUlT_E0_NS1_11comp_targetILNS1_3genE10ELNS1_11target_archE1200ELNS1_3gpuE4ELNS1_3repE0EEENS1_60segmented_radix_sort_warp_sort_medium_config_static_selectorELNS0_4arch9wavefront6targetE1EEEvSK_,@function
_ZN7rocprim17ROCPRIM_400000_NS6detail17trampoline_kernelINS0_14default_configENS1_36segmented_radix_sort_config_selectorIflEEZNS1_25segmented_radix_sort_implIS3_Lb1EPKfPfPKlPlN2at6native12_GLOBAL__N_18offset_tEEE10hipError_tPvRmT1_PNSt15iterator_traitsISK_E10value_typeET2_T3_PNSL_ISQ_E10value_typeET4_jRbjT5_SW_jjP12ihipStream_tbEUlT_E0_NS1_11comp_targetILNS1_3genE10ELNS1_11target_archE1200ELNS1_3gpuE4ELNS1_3repE0EEENS1_60segmented_radix_sort_warp_sort_medium_config_static_selectorELNS0_4arch9wavefront6targetE1EEEvSK_: ; @_ZN7rocprim17ROCPRIM_400000_NS6detail17trampoline_kernelINS0_14default_configENS1_36segmented_radix_sort_config_selectorIflEEZNS1_25segmented_radix_sort_implIS3_Lb1EPKfPfPKlPlN2at6native12_GLOBAL__N_18offset_tEEE10hipError_tPvRmT1_PNSt15iterator_traitsISK_E10value_typeET2_T3_PNSL_ISQ_E10value_typeET4_jRbjT5_SW_jjP12ihipStream_tbEUlT_E0_NS1_11comp_targetILNS1_3genE10ELNS1_11target_archE1200ELNS1_3gpuE4ELNS1_3repE0EEENS1_60segmented_radix_sort_warp_sort_medium_config_static_selectorELNS0_4arch9wavefront6targetE1EEEvSK_
; %bb.0:
	.section	.rodata,"a",@progbits
	.p2align	6, 0x0
	.amdhsa_kernel _ZN7rocprim17ROCPRIM_400000_NS6detail17trampoline_kernelINS0_14default_configENS1_36segmented_radix_sort_config_selectorIflEEZNS1_25segmented_radix_sort_implIS3_Lb1EPKfPfPKlPlN2at6native12_GLOBAL__N_18offset_tEEE10hipError_tPvRmT1_PNSt15iterator_traitsISK_E10value_typeET2_T3_PNSL_ISQ_E10value_typeET4_jRbjT5_SW_jjP12ihipStream_tbEUlT_E0_NS1_11comp_targetILNS1_3genE10ELNS1_11target_archE1200ELNS1_3gpuE4ELNS1_3repE0EEENS1_60segmented_radix_sort_warp_sort_medium_config_static_selectorELNS0_4arch9wavefront6targetE1EEEvSK_
		.amdhsa_group_segment_fixed_size 0
		.amdhsa_private_segment_fixed_size 0
		.amdhsa_kernarg_size 88
		.amdhsa_user_sgpr_count 6
		.amdhsa_user_sgpr_private_segment_buffer 1
		.amdhsa_user_sgpr_dispatch_ptr 0
		.amdhsa_user_sgpr_queue_ptr 0
		.amdhsa_user_sgpr_kernarg_segment_ptr 1
		.amdhsa_user_sgpr_dispatch_id 0
		.amdhsa_user_sgpr_flat_scratch_init 0
		.amdhsa_user_sgpr_kernarg_preload_length 0
		.amdhsa_user_sgpr_kernarg_preload_offset 0
		.amdhsa_user_sgpr_private_segment_size 0
		.amdhsa_uses_dynamic_stack 0
		.amdhsa_system_sgpr_private_segment_wavefront_offset 0
		.amdhsa_system_sgpr_workgroup_id_x 1
		.amdhsa_system_sgpr_workgroup_id_y 0
		.amdhsa_system_sgpr_workgroup_id_z 0
		.amdhsa_system_sgpr_workgroup_info 0
		.amdhsa_system_vgpr_workitem_id 0
		.amdhsa_next_free_vgpr 1
		.amdhsa_next_free_sgpr 0
		.amdhsa_accum_offset 4
		.amdhsa_reserve_vcc 0
		.amdhsa_reserve_flat_scratch 0
		.amdhsa_float_round_mode_32 0
		.amdhsa_float_round_mode_16_64 0
		.amdhsa_float_denorm_mode_32 3
		.amdhsa_float_denorm_mode_16_64 3
		.amdhsa_dx10_clamp 1
		.amdhsa_ieee_mode 1
		.amdhsa_fp16_overflow 0
		.amdhsa_tg_split 0
		.amdhsa_exception_fp_ieee_invalid_op 0
		.amdhsa_exception_fp_denorm_src 0
		.amdhsa_exception_fp_ieee_div_zero 0
		.amdhsa_exception_fp_ieee_overflow 0
		.amdhsa_exception_fp_ieee_underflow 0
		.amdhsa_exception_fp_ieee_inexact 0
		.amdhsa_exception_int_div_zero 0
	.end_amdhsa_kernel
	.section	.text._ZN7rocprim17ROCPRIM_400000_NS6detail17trampoline_kernelINS0_14default_configENS1_36segmented_radix_sort_config_selectorIflEEZNS1_25segmented_radix_sort_implIS3_Lb1EPKfPfPKlPlN2at6native12_GLOBAL__N_18offset_tEEE10hipError_tPvRmT1_PNSt15iterator_traitsISK_E10value_typeET2_T3_PNSL_ISQ_E10value_typeET4_jRbjT5_SW_jjP12ihipStream_tbEUlT_E0_NS1_11comp_targetILNS1_3genE10ELNS1_11target_archE1200ELNS1_3gpuE4ELNS1_3repE0EEENS1_60segmented_radix_sort_warp_sort_medium_config_static_selectorELNS0_4arch9wavefront6targetE1EEEvSK_,"axG",@progbits,_ZN7rocprim17ROCPRIM_400000_NS6detail17trampoline_kernelINS0_14default_configENS1_36segmented_radix_sort_config_selectorIflEEZNS1_25segmented_radix_sort_implIS3_Lb1EPKfPfPKlPlN2at6native12_GLOBAL__N_18offset_tEEE10hipError_tPvRmT1_PNSt15iterator_traitsISK_E10value_typeET2_T3_PNSL_ISQ_E10value_typeET4_jRbjT5_SW_jjP12ihipStream_tbEUlT_E0_NS1_11comp_targetILNS1_3genE10ELNS1_11target_archE1200ELNS1_3gpuE4ELNS1_3repE0EEENS1_60segmented_radix_sort_warp_sort_medium_config_static_selectorELNS0_4arch9wavefront6targetE1EEEvSK_,comdat
.Lfunc_end1340:
	.size	_ZN7rocprim17ROCPRIM_400000_NS6detail17trampoline_kernelINS0_14default_configENS1_36segmented_radix_sort_config_selectorIflEEZNS1_25segmented_radix_sort_implIS3_Lb1EPKfPfPKlPlN2at6native12_GLOBAL__N_18offset_tEEE10hipError_tPvRmT1_PNSt15iterator_traitsISK_E10value_typeET2_T3_PNSL_ISQ_E10value_typeET4_jRbjT5_SW_jjP12ihipStream_tbEUlT_E0_NS1_11comp_targetILNS1_3genE10ELNS1_11target_archE1200ELNS1_3gpuE4ELNS1_3repE0EEENS1_60segmented_radix_sort_warp_sort_medium_config_static_selectorELNS0_4arch9wavefront6targetE1EEEvSK_, .Lfunc_end1340-_ZN7rocprim17ROCPRIM_400000_NS6detail17trampoline_kernelINS0_14default_configENS1_36segmented_radix_sort_config_selectorIflEEZNS1_25segmented_radix_sort_implIS3_Lb1EPKfPfPKlPlN2at6native12_GLOBAL__N_18offset_tEEE10hipError_tPvRmT1_PNSt15iterator_traitsISK_E10value_typeET2_T3_PNSL_ISQ_E10value_typeET4_jRbjT5_SW_jjP12ihipStream_tbEUlT_E0_NS1_11comp_targetILNS1_3genE10ELNS1_11target_archE1200ELNS1_3gpuE4ELNS1_3repE0EEENS1_60segmented_radix_sort_warp_sort_medium_config_static_selectorELNS0_4arch9wavefront6targetE1EEEvSK_
                                        ; -- End function
	.section	.AMDGPU.csdata,"",@progbits
; Kernel info:
; codeLenInByte = 0
; NumSgprs: 4
; NumVgprs: 0
; NumAgprs: 0
; TotalNumVgprs: 0
; ScratchSize: 0
; MemoryBound: 0
; FloatMode: 240
; IeeeMode: 1
; LDSByteSize: 0 bytes/workgroup (compile time only)
; SGPRBlocks: 0
; VGPRBlocks: 0
; NumSGPRsForWavesPerEU: 4
; NumVGPRsForWavesPerEU: 1
; AccumOffset: 4
; Occupancy: 8
; WaveLimiterHint : 0
; COMPUTE_PGM_RSRC2:SCRATCH_EN: 0
; COMPUTE_PGM_RSRC2:USER_SGPR: 6
; COMPUTE_PGM_RSRC2:TRAP_HANDLER: 0
; COMPUTE_PGM_RSRC2:TGID_X_EN: 1
; COMPUTE_PGM_RSRC2:TGID_Y_EN: 0
; COMPUTE_PGM_RSRC2:TGID_Z_EN: 0
; COMPUTE_PGM_RSRC2:TIDIG_COMP_CNT: 0
; COMPUTE_PGM_RSRC3_GFX90A:ACCUM_OFFSET: 0
; COMPUTE_PGM_RSRC3_GFX90A:TG_SPLIT: 0
	.section	.text._ZN7rocprim17ROCPRIM_400000_NS6detail17trampoline_kernelINS0_14default_configENS1_36segmented_radix_sort_config_selectorIflEEZNS1_25segmented_radix_sort_implIS3_Lb1EPKfPfPKlPlN2at6native12_GLOBAL__N_18offset_tEEE10hipError_tPvRmT1_PNSt15iterator_traitsISK_E10value_typeET2_T3_PNSL_ISQ_E10value_typeET4_jRbjT5_SW_jjP12ihipStream_tbEUlT_E0_NS1_11comp_targetILNS1_3genE9ELNS1_11target_archE1100ELNS1_3gpuE3ELNS1_3repE0EEENS1_60segmented_radix_sort_warp_sort_medium_config_static_selectorELNS0_4arch9wavefront6targetE1EEEvSK_,"axG",@progbits,_ZN7rocprim17ROCPRIM_400000_NS6detail17trampoline_kernelINS0_14default_configENS1_36segmented_radix_sort_config_selectorIflEEZNS1_25segmented_radix_sort_implIS3_Lb1EPKfPfPKlPlN2at6native12_GLOBAL__N_18offset_tEEE10hipError_tPvRmT1_PNSt15iterator_traitsISK_E10value_typeET2_T3_PNSL_ISQ_E10value_typeET4_jRbjT5_SW_jjP12ihipStream_tbEUlT_E0_NS1_11comp_targetILNS1_3genE9ELNS1_11target_archE1100ELNS1_3gpuE3ELNS1_3repE0EEENS1_60segmented_radix_sort_warp_sort_medium_config_static_selectorELNS0_4arch9wavefront6targetE1EEEvSK_,comdat
	.globl	_ZN7rocprim17ROCPRIM_400000_NS6detail17trampoline_kernelINS0_14default_configENS1_36segmented_radix_sort_config_selectorIflEEZNS1_25segmented_radix_sort_implIS3_Lb1EPKfPfPKlPlN2at6native12_GLOBAL__N_18offset_tEEE10hipError_tPvRmT1_PNSt15iterator_traitsISK_E10value_typeET2_T3_PNSL_ISQ_E10value_typeET4_jRbjT5_SW_jjP12ihipStream_tbEUlT_E0_NS1_11comp_targetILNS1_3genE9ELNS1_11target_archE1100ELNS1_3gpuE3ELNS1_3repE0EEENS1_60segmented_radix_sort_warp_sort_medium_config_static_selectorELNS0_4arch9wavefront6targetE1EEEvSK_ ; -- Begin function _ZN7rocprim17ROCPRIM_400000_NS6detail17trampoline_kernelINS0_14default_configENS1_36segmented_radix_sort_config_selectorIflEEZNS1_25segmented_radix_sort_implIS3_Lb1EPKfPfPKlPlN2at6native12_GLOBAL__N_18offset_tEEE10hipError_tPvRmT1_PNSt15iterator_traitsISK_E10value_typeET2_T3_PNSL_ISQ_E10value_typeET4_jRbjT5_SW_jjP12ihipStream_tbEUlT_E0_NS1_11comp_targetILNS1_3genE9ELNS1_11target_archE1100ELNS1_3gpuE3ELNS1_3repE0EEENS1_60segmented_radix_sort_warp_sort_medium_config_static_selectorELNS0_4arch9wavefront6targetE1EEEvSK_
	.p2align	8
	.type	_ZN7rocprim17ROCPRIM_400000_NS6detail17trampoline_kernelINS0_14default_configENS1_36segmented_radix_sort_config_selectorIflEEZNS1_25segmented_radix_sort_implIS3_Lb1EPKfPfPKlPlN2at6native12_GLOBAL__N_18offset_tEEE10hipError_tPvRmT1_PNSt15iterator_traitsISK_E10value_typeET2_T3_PNSL_ISQ_E10value_typeET4_jRbjT5_SW_jjP12ihipStream_tbEUlT_E0_NS1_11comp_targetILNS1_3genE9ELNS1_11target_archE1100ELNS1_3gpuE3ELNS1_3repE0EEENS1_60segmented_radix_sort_warp_sort_medium_config_static_selectorELNS0_4arch9wavefront6targetE1EEEvSK_,@function
_ZN7rocprim17ROCPRIM_400000_NS6detail17trampoline_kernelINS0_14default_configENS1_36segmented_radix_sort_config_selectorIflEEZNS1_25segmented_radix_sort_implIS3_Lb1EPKfPfPKlPlN2at6native12_GLOBAL__N_18offset_tEEE10hipError_tPvRmT1_PNSt15iterator_traitsISK_E10value_typeET2_T3_PNSL_ISQ_E10value_typeET4_jRbjT5_SW_jjP12ihipStream_tbEUlT_E0_NS1_11comp_targetILNS1_3genE9ELNS1_11target_archE1100ELNS1_3gpuE3ELNS1_3repE0EEENS1_60segmented_radix_sort_warp_sort_medium_config_static_selectorELNS0_4arch9wavefront6targetE1EEEvSK_: ; @_ZN7rocprim17ROCPRIM_400000_NS6detail17trampoline_kernelINS0_14default_configENS1_36segmented_radix_sort_config_selectorIflEEZNS1_25segmented_radix_sort_implIS3_Lb1EPKfPfPKlPlN2at6native12_GLOBAL__N_18offset_tEEE10hipError_tPvRmT1_PNSt15iterator_traitsISK_E10value_typeET2_T3_PNSL_ISQ_E10value_typeET4_jRbjT5_SW_jjP12ihipStream_tbEUlT_E0_NS1_11comp_targetILNS1_3genE9ELNS1_11target_archE1100ELNS1_3gpuE3ELNS1_3repE0EEENS1_60segmented_radix_sort_warp_sort_medium_config_static_selectorELNS0_4arch9wavefront6targetE1EEEvSK_
; %bb.0:
	.section	.rodata,"a",@progbits
	.p2align	6, 0x0
	.amdhsa_kernel _ZN7rocprim17ROCPRIM_400000_NS6detail17trampoline_kernelINS0_14default_configENS1_36segmented_radix_sort_config_selectorIflEEZNS1_25segmented_radix_sort_implIS3_Lb1EPKfPfPKlPlN2at6native12_GLOBAL__N_18offset_tEEE10hipError_tPvRmT1_PNSt15iterator_traitsISK_E10value_typeET2_T3_PNSL_ISQ_E10value_typeET4_jRbjT5_SW_jjP12ihipStream_tbEUlT_E0_NS1_11comp_targetILNS1_3genE9ELNS1_11target_archE1100ELNS1_3gpuE3ELNS1_3repE0EEENS1_60segmented_radix_sort_warp_sort_medium_config_static_selectorELNS0_4arch9wavefront6targetE1EEEvSK_
		.amdhsa_group_segment_fixed_size 0
		.amdhsa_private_segment_fixed_size 0
		.amdhsa_kernarg_size 88
		.amdhsa_user_sgpr_count 6
		.amdhsa_user_sgpr_private_segment_buffer 1
		.amdhsa_user_sgpr_dispatch_ptr 0
		.amdhsa_user_sgpr_queue_ptr 0
		.amdhsa_user_sgpr_kernarg_segment_ptr 1
		.amdhsa_user_sgpr_dispatch_id 0
		.amdhsa_user_sgpr_flat_scratch_init 0
		.amdhsa_user_sgpr_kernarg_preload_length 0
		.amdhsa_user_sgpr_kernarg_preload_offset 0
		.amdhsa_user_sgpr_private_segment_size 0
		.amdhsa_uses_dynamic_stack 0
		.amdhsa_system_sgpr_private_segment_wavefront_offset 0
		.amdhsa_system_sgpr_workgroup_id_x 1
		.amdhsa_system_sgpr_workgroup_id_y 0
		.amdhsa_system_sgpr_workgroup_id_z 0
		.amdhsa_system_sgpr_workgroup_info 0
		.amdhsa_system_vgpr_workitem_id 0
		.amdhsa_next_free_vgpr 1
		.amdhsa_next_free_sgpr 0
		.amdhsa_accum_offset 4
		.amdhsa_reserve_vcc 0
		.amdhsa_reserve_flat_scratch 0
		.amdhsa_float_round_mode_32 0
		.amdhsa_float_round_mode_16_64 0
		.amdhsa_float_denorm_mode_32 3
		.amdhsa_float_denorm_mode_16_64 3
		.amdhsa_dx10_clamp 1
		.amdhsa_ieee_mode 1
		.amdhsa_fp16_overflow 0
		.amdhsa_tg_split 0
		.amdhsa_exception_fp_ieee_invalid_op 0
		.amdhsa_exception_fp_denorm_src 0
		.amdhsa_exception_fp_ieee_div_zero 0
		.amdhsa_exception_fp_ieee_overflow 0
		.amdhsa_exception_fp_ieee_underflow 0
		.amdhsa_exception_fp_ieee_inexact 0
		.amdhsa_exception_int_div_zero 0
	.end_amdhsa_kernel
	.section	.text._ZN7rocprim17ROCPRIM_400000_NS6detail17trampoline_kernelINS0_14default_configENS1_36segmented_radix_sort_config_selectorIflEEZNS1_25segmented_radix_sort_implIS3_Lb1EPKfPfPKlPlN2at6native12_GLOBAL__N_18offset_tEEE10hipError_tPvRmT1_PNSt15iterator_traitsISK_E10value_typeET2_T3_PNSL_ISQ_E10value_typeET4_jRbjT5_SW_jjP12ihipStream_tbEUlT_E0_NS1_11comp_targetILNS1_3genE9ELNS1_11target_archE1100ELNS1_3gpuE3ELNS1_3repE0EEENS1_60segmented_radix_sort_warp_sort_medium_config_static_selectorELNS0_4arch9wavefront6targetE1EEEvSK_,"axG",@progbits,_ZN7rocprim17ROCPRIM_400000_NS6detail17trampoline_kernelINS0_14default_configENS1_36segmented_radix_sort_config_selectorIflEEZNS1_25segmented_radix_sort_implIS3_Lb1EPKfPfPKlPlN2at6native12_GLOBAL__N_18offset_tEEE10hipError_tPvRmT1_PNSt15iterator_traitsISK_E10value_typeET2_T3_PNSL_ISQ_E10value_typeET4_jRbjT5_SW_jjP12ihipStream_tbEUlT_E0_NS1_11comp_targetILNS1_3genE9ELNS1_11target_archE1100ELNS1_3gpuE3ELNS1_3repE0EEENS1_60segmented_radix_sort_warp_sort_medium_config_static_selectorELNS0_4arch9wavefront6targetE1EEEvSK_,comdat
.Lfunc_end1341:
	.size	_ZN7rocprim17ROCPRIM_400000_NS6detail17trampoline_kernelINS0_14default_configENS1_36segmented_radix_sort_config_selectorIflEEZNS1_25segmented_radix_sort_implIS3_Lb1EPKfPfPKlPlN2at6native12_GLOBAL__N_18offset_tEEE10hipError_tPvRmT1_PNSt15iterator_traitsISK_E10value_typeET2_T3_PNSL_ISQ_E10value_typeET4_jRbjT5_SW_jjP12ihipStream_tbEUlT_E0_NS1_11comp_targetILNS1_3genE9ELNS1_11target_archE1100ELNS1_3gpuE3ELNS1_3repE0EEENS1_60segmented_radix_sort_warp_sort_medium_config_static_selectorELNS0_4arch9wavefront6targetE1EEEvSK_, .Lfunc_end1341-_ZN7rocprim17ROCPRIM_400000_NS6detail17trampoline_kernelINS0_14default_configENS1_36segmented_radix_sort_config_selectorIflEEZNS1_25segmented_radix_sort_implIS3_Lb1EPKfPfPKlPlN2at6native12_GLOBAL__N_18offset_tEEE10hipError_tPvRmT1_PNSt15iterator_traitsISK_E10value_typeET2_T3_PNSL_ISQ_E10value_typeET4_jRbjT5_SW_jjP12ihipStream_tbEUlT_E0_NS1_11comp_targetILNS1_3genE9ELNS1_11target_archE1100ELNS1_3gpuE3ELNS1_3repE0EEENS1_60segmented_radix_sort_warp_sort_medium_config_static_selectorELNS0_4arch9wavefront6targetE1EEEvSK_
                                        ; -- End function
	.section	.AMDGPU.csdata,"",@progbits
; Kernel info:
; codeLenInByte = 0
; NumSgprs: 4
; NumVgprs: 0
; NumAgprs: 0
; TotalNumVgprs: 0
; ScratchSize: 0
; MemoryBound: 0
; FloatMode: 240
; IeeeMode: 1
; LDSByteSize: 0 bytes/workgroup (compile time only)
; SGPRBlocks: 0
; VGPRBlocks: 0
; NumSGPRsForWavesPerEU: 4
; NumVGPRsForWavesPerEU: 1
; AccumOffset: 4
; Occupancy: 8
; WaveLimiterHint : 0
; COMPUTE_PGM_RSRC2:SCRATCH_EN: 0
; COMPUTE_PGM_RSRC2:USER_SGPR: 6
; COMPUTE_PGM_RSRC2:TRAP_HANDLER: 0
; COMPUTE_PGM_RSRC2:TGID_X_EN: 1
; COMPUTE_PGM_RSRC2:TGID_Y_EN: 0
; COMPUTE_PGM_RSRC2:TGID_Z_EN: 0
; COMPUTE_PGM_RSRC2:TIDIG_COMP_CNT: 0
; COMPUTE_PGM_RSRC3_GFX90A:ACCUM_OFFSET: 0
; COMPUTE_PGM_RSRC3_GFX90A:TG_SPLIT: 0
	.section	.text._ZN7rocprim17ROCPRIM_400000_NS6detail17trampoline_kernelINS0_14default_configENS1_36segmented_radix_sort_config_selectorIflEEZNS1_25segmented_radix_sort_implIS3_Lb1EPKfPfPKlPlN2at6native12_GLOBAL__N_18offset_tEEE10hipError_tPvRmT1_PNSt15iterator_traitsISK_E10value_typeET2_T3_PNSL_ISQ_E10value_typeET4_jRbjT5_SW_jjP12ihipStream_tbEUlT_E0_NS1_11comp_targetILNS1_3genE8ELNS1_11target_archE1030ELNS1_3gpuE2ELNS1_3repE0EEENS1_60segmented_radix_sort_warp_sort_medium_config_static_selectorELNS0_4arch9wavefront6targetE1EEEvSK_,"axG",@progbits,_ZN7rocprim17ROCPRIM_400000_NS6detail17trampoline_kernelINS0_14default_configENS1_36segmented_radix_sort_config_selectorIflEEZNS1_25segmented_radix_sort_implIS3_Lb1EPKfPfPKlPlN2at6native12_GLOBAL__N_18offset_tEEE10hipError_tPvRmT1_PNSt15iterator_traitsISK_E10value_typeET2_T3_PNSL_ISQ_E10value_typeET4_jRbjT5_SW_jjP12ihipStream_tbEUlT_E0_NS1_11comp_targetILNS1_3genE8ELNS1_11target_archE1030ELNS1_3gpuE2ELNS1_3repE0EEENS1_60segmented_radix_sort_warp_sort_medium_config_static_selectorELNS0_4arch9wavefront6targetE1EEEvSK_,comdat
	.globl	_ZN7rocprim17ROCPRIM_400000_NS6detail17trampoline_kernelINS0_14default_configENS1_36segmented_radix_sort_config_selectorIflEEZNS1_25segmented_radix_sort_implIS3_Lb1EPKfPfPKlPlN2at6native12_GLOBAL__N_18offset_tEEE10hipError_tPvRmT1_PNSt15iterator_traitsISK_E10value_typeET2_T3_PNSL_ISQ_E10value_typeET4_jRbjT5_SW_jjP12ihipStream_tbEUlT_E0_NS1_11comp_targetILNS1_3genE8ELNS1_11target_archE1030ELNS1_3gpuE2ELNS1_3repE0EEENS1_60segmented_radix_sort_warp_sort_medium_config_static_selectorELNS0_4arch9wavefront6targetE1EEEvSK_ ; -- Begin function _ZN7rocprim17ROCPRIM_400000_NS6detail17trampoline_kernelINS0_14default_configENS1_36segmented_radix_sort_config_selectorIflEEZNS1_25segmented_radix_sort_implIS3_Lb1EPKfPfPKlPlN2at6native12_GLOBAL__N_18offset_tEEE10hipError_tPvRmT1_PNSt15iterator_traitsISK_E10value_typeET2_T3_PNSL_ISQ_E10value_typeET4_jRbjT5_SW_jjP12ihipStream_tbEUlT_E0_NS1_11comp_targetILNS1_3genE8ELNS1_11target_archE1030ELNS1_3gpuE2ELNS1_3repE0EEENS1_60segmented_radix_sort_warp_sort_medium_config_static_selectorELNS0_4arch9wavefront6targetE1EEEvSK_
	.p2align	8
	.type	_ZN7rocprim17ROCPRIM_400000_NS6detail17trampoline_kernelINS0_14default_configENS1_36segmented_radix_sort_config_selectorIflEEZNS1_25segmented_radix_sort_implIS3_Lb1EPKfPfPKlPlN2at6native12_GLOBAL__N_18offset_tEEE10hipError_tPvRmT1_PNSt15iterator_traitsISK_E10value_typeET2_T3_PNSL_ISQ_E10value_typeET4_jRbjT5_SW_jjP12ihipStream_tbEUlT_E0_NS1_11comp_targetILNS1_3genE8ELNS1_11target_archE1030ELNS1_3gpuE2ELNS1_3repE0EEENS1_60segmented_radix_sort_warp_sort_medium_config_static_selectorELNS0_4arch9wavefront6targetE1EEEvSK_,@function
_ZN7rocprim17ROCPRIM_400000_NS6detail17trampoline_kernelINS0_14default_configENS1_36segmented_radix_sort_config_selectorIflEEZNS1_25segmented_radix_sort_implIS3_Lb1EPKfPfPKlPlN2at6native12_GLOBAL__N_18offset_tEEE10hipError_tPvRmT1_PNSt15iterator_traitsISK_E10value_typeET2_T3_PNSL_ISQ_E10value_typeET4_jRbjT5_SW_jjP12ihipStream_tbEUlT_E0_NS1_11comp_targetILNS1_3genE8ELNS1_11target_archE1030ELNS1_3gpuE2ELNS1_3repE0EEENS1_60segmented_radix_sort_warp_sort_medium_config_static_selectorELNS0_4arch9wavefront6targetE1EEEvSK_: ; @_ZN7rocprim17ROCPRIM_400000_NS6detail17trampoline_kernelINS0_14default_configENS1_36segmented_radix_sort_config_selectorIflEEZNS1_25segmented_radix_sort_implIS3_Lb1EPKfPfPKlPlN2at6native12_GLOBAL__N_18offset_tEEE10hipError_tPvRmT1_PNSt15iterator_traitsISK_E10value_typeET2_T3_PNSL_ISQ_E10value_typeET4_jRbjT5_SW_jjP12ihipStream_tbEUlT_E0_NS1_11comp_targetILNS1_3genE8ELNS1_11target_archE1030ELNS1_3gpuE2ELNS1_3repE0EEENS1_60segmented_radix_sort_warp_sort_medium_config_static_selectorELNS0_4arch9wavefront6targetE1EEEvSK_
; %bb.0:
	.section	.rodata,"a",@progbits
	.p2align	6, 0x0
	.amdhsa_kernel _ZN7rocprim17ROCPRIM_400000_NS6detail17trampoline_kernelINS0_14default_configENS1_36segmented_radix_sort_config_selectorIflEEZNS1_25segmented_radix_sort_implIS3_Lb1EPKfPfPKlPlN2at6native12_GLOBAL__N_18offset_tEEE10hipError_tPvRmT1_PNSt15iterator_traitsISK_E10value_typeET2_T3_PNSL_ISQ_E10value_typeET4_jRbjT5_SW_jjP12ihipStream_tbEUlT_E0_NS1_11comp_targetILNS1_3genE8ELNS1_11target_archE1030ELNS1_3gpuE2ELNS1_3repE0EEENS1_60segmented_radix_sort_warp_sort_medium_config_static_selectorELNS0_4arch9wavefront6targetE1EEEvSK_
		.amdhsa_group_segment_fixed_size 0
		.amdhsa_private_segment_fixed_size 0
		.amdhsa_kernarg_size 88
		.amdhsa_user_sgpr_count 6
		.amdhsa_user_sgpr_private_segment_buffer 1
		.amdhsa_user_sgpr_dispatch_ptr 0
		.amdhsa_user_sgpr_queue_ptr 0
		.amdhsa_user_sgpr_kernarg_segment_ptr 1
		.amdhsa_user_sgpr_dispatch_id 0
		.amdhsa_user_sgpr_flat_scratch_init 0
		.amdhsa_user_sgpr_kernarg_preload_length 0
		.amdhsa_user_sgpr_kernarg_preload_offset 0
		.amdhsa_user_sgpr_private_segment_size 0
		.amdhsa_uses_dynamic_stack 0
		.amdhsa_system_sgpr_private_segment_wavefront_offset 0
		.amdhsa_system_sgpr_workgroup_id_x 1
		.amdhsa_system_sgpr_workgroup_id_y 0
		.amdhsa_system_sgpr_workgroup_id_z 0
		.amdhsa_system_sgpr_workgroup_info 0
		.amdhsa_system_vgpr_workitem_id 0
		.amdhsa_next_free_vgpr 1
		.amdhsa_next_free_sgpr 0
		.amdhsa_accum_offset 4
		.amdhsa_reserve_vcc 0
		.amdhsa_reserve_flat_scratch 0
		.amdhsa_float_round_mode_32 0
		.amdhsa_float_round_mode_16_64 0
		.amdhsa_float_denorm_mode_32 3
		.amdhsa_float_denorm_mode_16_64 3
		.amdhsa_dx10_clamp 1
		.amdhsa_ieee_mode 1
		.amdhsa_fp16_overflow 0
		.amdhsa_tg_split 0
		.amdhsa_exception_fp_ieee_invalid_op 0
		.amdhsa_exception_fp_denorm_src 0
		.amdhsa_exception_fp_ieee_div_zero 0
		.amdhsa_exception_fp_ieee_overflow 0
		.amdhsa_exception_fp_ieee_underflow 0
		.amdhsa_exception_fp_ieee_inexact 0
		.amdhsa_exception_int_div_zero 0
	.end_amdhsa_kernel
	.section	.text._ZN7rocprim17ROCPRIM_400000_NS6detail17trampoline_kernelINS0_14default_configENS1_36segmented_radix_sort_config_selectorIflEEZNS1_25segmented_radix_sort_implIS3_Lb1EPKfPfPKlPlN2at6native12_GLOBAL__N_18offset_tEEE10hipError_tPvRmT1_PNSt15iterator_traitsISK_E10value_typeET2_T3_PNSL_ISQ_E10value_typeET4_jRbjT5_SW_jjP12ihipStream_tbEUlT_E0_NS1_11comp_targetILNS1_3genE8ELNS1_11target_archE1030ELNS1_3gpuE2ELNS1_3repE0EEENS1_60segmented_radix_sort_warp_sort_medium_config_static_selectorELNS0_4arch9wavefront6targetE1EEEvSK_,"axG",@progbits,_ZN7rocprim17ROCPRIM_400000_NS6detail17trampoline_kernelINS0_14default_configENS1_36segmented_radix_sort_config_selectorIflEEZNS1_25segmented_radix_sort_implIS3_Lb1EPKfPfPKlPlN2at6native12_GLOBAL__N_18offset_tEEE10hipError_tPvRmT1_PNSt15iterator_traitsISK_E10value_typeET2_T3_PNSL_ISQ_E10value_typeET4_jRbjT5_SW_jjP12ihipStream_tbEUlT_E0_NS1_11comp_targetILNS1_3genE8ELNS1_11target_archE1030ELNS1_3gpuE2ELNS1_3repE0EEENS1_60segmented_radix_sort_warp_sort_medium_config_static_selectorELNS0_4arch9wavefront6targetE1EEEvSK_,comdat
.Lfunc_end1342:
	.size	_ZN7rocprim17ROCPRIM_400000_NS6detail17trampoline_kernelINS0_14default_configENS1_36segmented_radix_sort_config_selectorIflEEZNS1_25segmented_radix_sort_implIS3_Lb1EPKfPfPKlPlN2at6native12_GLOBAL__N_18offset_tEEE10hipError_tPvRmT1_PNSt15iterator_traitsISK_E10value_typeET2_T3_PNSL_ISQ_E10value_typeET4_jRbjT5_SW_jjP12ihipStream_tbEUlT_E0_NS1_11comp_targetILNS1_3genE8ELNS1_11target_archE1030ELNS1_3gpuE2ELNS1_3repE0EEENS1_60segmented_radix_sort_warp_sort_medium_config_static_selectorELNS0_4arch9wavefront6targetE1EEEvSK_, .Lfunc_end1342-_ZN7rocprim17ROCPRIM_400000_NS6detail17trampoline_kernelINS0_14default_configENS1_36segmented_radix_sort_config_selectorIflEEZNS1_25segmented_radix_sort_implIS3_Lb1EPKfPfPKlPlN2at6native12_GLOBAL__N_18offset_tEEE10hipError_tPvRmT1_PNSt15iterator_traitsISK_E10value_typeET2_T3_PNSL_ISQ_E10value_typeET4_jRbjT5_SW_jjP12ihipStream_tbEUlT_E0_NS1_11comp_targetILNS1_3genE8ELNS1_11target_archE1030ELNS1_3gpuE2ELNS1_3repE0EEENS1_60segmented_radix_sort_warp_sort_medium_config_static_selectorELNS0_4arch9wavefront6targetE1EEEvSK_
                                        ; -- End function
	.section	.AMDGPU.csdata,"",@progbits
; Kernel info:
; codeLenInByte = 0
; NumSgprs: 4
; NumVgprs: 0
; NumAgprs: 0
; TotalNumVgprs: 0
; ScratchSize: 0
; MemoryBound: 0
; FloatMode: 240
; IeeeMode: 1
; LDSByteSize: 0 bytes/workgroup (compile time only)
; SGPRBlocks: 0
; VGPRBlocks: 0
; NumSGPRsForWavesPerEU: 4
; NumVGPRsForWavesPerEU: 1
; AccumOffset: 4
; Occupancy: 8
; WaveLimiterHint : 0
; COMPUTE_PGM_RSRC2:SCRATCH_EN: 0
; COMPUTE_PGM_RSRC2:USER_SGPR: 6
; COMPUTE_PGM_RSRC2:TRAP_HANDLER: 0
; COMPUTE_PGM_RSRC2:TGID_X_EN: 1
; COMPUTE_PGM_RSRC2:TGID_Y_EN: 0
; COMPUTE_PGM_RSRC2:TGID_Z_EN: 0
; COMPUTE_PGM_RSRC2:TIDIG_COMP_CNT: 0
; COMPUTE_PGM_RSRC3_GFX90A:ACCUM_OFFSET: 0
; COMPUTE_PGM_RSRC3_GFX90A:TG_SPLIT: 0
	.section	.text._ZN7rocprim17ROCPRIM_400000_NS6detail17trampoline_kernelINS0_14default_configENS1_36segmented_radix_sort_config_selectorIflEEZNS1_25segmented_radix_sort_implIS3_Lb1EPKfPfPKlPlN2at6native12_GLOBAL__N_18offset_tEEE10hipError_tPvRmT1_PNSt15iterator_traitsISK_E10value_typeET2_T3_PNSL_ISQ_E10value_typeET4_jRbjT5_SW_jjP12ihipStream_tbEUlT_E1_NS1_11comp_targetILNS1_3genE0ELNS1_11target_archE4294967295ELNS1_3gpuE0ELNS1_3repE0EEENS1_59segmented_radix_sort_warp_sort_small_config_static_selectorELNS0_4arch9wavefront6targetE1EEEvSK_,"axG",@progbits,_ZN7rocprim17ROCPRIM_400000_NS6detail17trampoline_kernelINS0_14default_configENS1_36segmented_radix_sort_config_selectorIflEEZNS1_25segmented_radix_sort_implIS3_Lb1EPKfPfPKlPlN2at6native12_GLOBAL__N_18offset_tEEE10hipError_tPvRmT1_PNSt15iterator_traitsISK_E10value_typeET2_T3_PNSL_ISQ_E10value_typeET4_jRbjT5_SW_jjP12ihipStream_tbEUlT_E1_NS1_11comp_targetILNS1_3genE0ELNS1_11target_archE4294967295ELNS1_3gpuE0ELNS1_3repE0EEENS1_59segmented_radix_sort_warp_sort_small_config_static_selectorELNS0_4arch9wavefront6targetE1EEEvSK_,comdat
	.globl	_ZN7rocprim17ROCPRIM_400000_NS6detail17trampoline_kernelINS0_14default_configENS1_36segmented_radix_sort_config_selectorIflEEZNS1_25segmented_radix_sort_implIS3_Lb1EPKfPfPKlPlN2at6native12_GLOBAL__N_18offset_tEEE10hipError_tPvRmT1_PNSt15iterator_traitsISK_E10value_typeET2_T3_PNSL_ISQ_E10value_typeET4_jRbjT5_SW_jjP12ihipStream_tbEUlT_E1_NS1_11comp_targetILNS1_3genE0ELNS1_11target_archE4294967295ELNS1_3gpuE0ELNS1_3repE0EEENS1_59segmented_radix_sort_warp_sort_small_config_static_selectorELNS0_4arch9wavefront6targetE1EEEvSK_ ; -- Begin function _ZN7rocprim17ROCPRIM_400000_NS6detail17trampoline_kernelINS0_14default_configENS1_36segmented_radix_sort_config_selectorIflEEZNS1_25segmented_radix_sort_implIS3_Lb1EPKfPfPKlPlN2at6native12_GLOBAL__N_18offset_tEEE10hipError_tPvRmT1_PNSt15iterator_traitsISK_E10value_typeET2_T3_PNSL_ISQ_E10value_typeET4_jRbjT5_SW_jjP12ihipStream_tbEUlT_E1_NS1_11comp_targetILNS1_3genE0ELNS1_11target_archE4294967295ELNS1_3gpuE0ELNS1_3repE0EEENS1_59segmented_radix_sort_warp_sort_small_config_static_selectorELNS0_4arch9wavefront6targetE1EEEvSK_
	.p2align	8
	.type	_ZN7rocprim17ROCPRIM_400000_NS6detail17trampoline_kernelINS0_14default_configENS1_36segmented_radix_sort_config_selectorIflEEZNS1_25segmented_radix_sort_implIS3_Lb1EPKfPfPKlPlN2at6native12_GLOBAL__N_18offset_tEEE10hipError_tPvRmT1_PNSt15iterator_traitsISK_E10value_typeET2_T3_PNSL_ISQ_E10value_typeET4_jRbjT5_SW_jjP12ihipStream_tbEUlT_E1_NS1_11comp_targetILNS1_3genE0ELNS1_11target_archE4294967295ELNS1_3gpuE0ELNS1_3repE0EEENS1_59segmented_radix_sort_warp_sort_small_config_static_selectorELNS0_4arch9wavefront6targetE1EEEvSK_,@function
_ZN7rocprim17ROCPRIM_400000_NS6detail17trampoline_kernelINS0_14default_configENS1_36segmented_radix_sort_config_selectorIflEEZNS1_25segmented_radix_sort_implIS3_Lb1EPKfPfPKlPlN2at6native12_GLOBAL__N_18offset_tEEE10hipError_tPvRmT1_PNSt15iterator_traitsISK_E10value_typeET2_T3_PNSL_ISQ_E10value_typeET4_jRbjT5_SW_jjP12ihipStream_tbEUlT_E1_NS1_11comp_targetILNS1_3genE0ELNS1_11target_archE4294967295ELNS1_3gpuE0ELNS1_3repE0EEENS1_59segmented_radix_sort_warp_sort_small_config_static_selectorELNS0_4arch9wavefront6targetE1EEEvSK_: ; @_ZN7rocprim17ROCPRIM_400000_NS6detail17trampoline_kernelINS0_14default_configENS1_36segmented_radix_sort_config_selectorIflEEZNS1_25segmented_radix_sort_implIS3_Lb1EPKfPfPKlPlN2at6native12_GLOBAL__N_18offset_tEEE10hipError_tPvRmT1_PNSt15iterator_traitsISK_E10value_typeET2_T3_PNSL_ISQ_E10value_typeET4_jRbjT5_SW_jjP12ihipStream_tbEUlT_E1_NS1_11comp_targetILNS1_3genE0ELNS1_11target_archE4294967295ELNS1_3gpuE0ELNS1_3repE0EEENS1_59segmented_radix_sort_warp_sort_small_config_static_selectorELNS0_4arch9wavefront6targetE1EEEvSK_
; %bb.0:
	.section	.rodata,"a",@progbits
	.p2align	6, 0x0
	.amdhsa_kernel _ZN7rocprim17ROCPRIM_400000_NS6detail17trampoline_kernelINS0_14default_configENS1_36segmented_radix_sort_config_selectorIflEEZNS1_25segmented_radix_sort_implIS3_Lb1EPKfPfPKlPlN2at6native12_GLOBAL__N_18offset_tEEE10hipError_tPvRmT1_PNSt15iterator_traitsISK_E10value_typeET2_T3_PNSL_ISQ_E10value_typeET4_jRbjT5_SW_jjP12ihipStream_tbEUlT_E1_NS1_11comp_targetILNS1_3genE0ELNS1_11target_archE4294967295ELNS1_3gpuE0ELNS1_3repE0EEENS1_59segmented_radix_sort_warp_sort_small_config_static_selectorELNS0_4arch9wavefront6targetE1EEEvSK_
		.amdhsa_group_segment_fixed_size 0
		.amdhsa_private_segment_fixed_size 0
		.amdhsa_kernarg_size 88
		.amdhsa_user_sgpr_count 6
		.amdhsa_user_sgpr_private_segment_buffer 1
		.amdhsa_user_sgpr_dispatch_ptr 0
		.amdhsa_user_sgpr_queue_ptr 0
		.amdhsa_user_sgpr_kernarg_segment_ptr 1
		.amdhsa_user_sgpr_dispatch_id 0
		.amdhsa_user_sgpr_flat_scratch_init 0
		.amdhsa_user_sgpr_kernarg_preload_length 0
		.amdhsa_user_sgpr_kernarg_preload_offset 0
		.amdhsa_user_sgpr_private_segment_size 0
		.amdhsa_uses_dynamic_stack 0
		.amdhsa_system_sgpr_private_segment_wavefront_offset 0
		.amdhsa_system_sgpr_workgroup_id_x 1
		.amdhsa_system_sgpr_workgroup_id_y 0
		.amdhsa_system_sgpr_workgroup_id_z 0
		.amdhsa_system_sgpr_workgroup_info 0
		.amdhsa_system_vgpr_workitem_id 0
		.amdhsa_next_free_vgpr 1
		.amdhsa_next_free_sgpr 0
		.amdhsa_accum_offset 4
		.amdhsa_reserve_vcc 0
		.amdhsa_reserve_flat_scratch 0
		.amdhsa_float_round_mode_32 0
		.amdhsa_float_round_mode_16_64 0
		.amdhsa_float_denorm_mode_32 3
		.amdhsa_float_denorm_mode_16_64 3
		.amdhsa_dx10_clamp 1
		.amdhsa_ieee_mode 1
		.amdhsa_fp16_overflow 0
		.amdhsa_tg_split 0
		.amdhsa_exception_fp_ieee_invalid_op 0
		.amdhsa_exception_fp_denorm_src 0
		.amdhsa_exception_fp_ieee_div_zero 0
		.amdhsa_exception_fp_ieee_overflow 0
		.amdhsa_exception_fp_ieee_underflow 0
		.amdhsa_exception_fp_ieee_inexact 0
		.amdhsa_exception_int_div_zero 0
	.end_amdhsa_kernel
	.section	.text._ZN7rocprim17ROCPRIM_400000_NS6detail17trampoline_kernelINS0_14default_configENS1_36segmented_radix_sort_config_selectorIflEEZNS1_25segmented_radix_sort_implIS3_Lb1EPKfPfPKlPlN2at6native12_GLOBAL__N_18offset_tEEE10hipError_tPvRmT1_PNSt15iterator_traitsISK_E10value_typeET2_T3_PNSL_ISQ_E10value_typeET4_jRbjT5_SW_jjP12ihipStream_tbEUlT_E1_NS1_11comp_targetILNS1_3genE0ELNS1_11target_archE4294967295ELNS1_3gpuE0ELNS1_3repE0EEENS1_59segmented_radix_sort_warp_sort_small_config_static_selectorELNS0_4arch9wavefront6targetE1EEEvSK_,"axG",@progbits,_ZN7rocprim17ROCPRIM_400000_NS6detail17trampoline_kernelINS0_14default_configENS1_36segmented_radix_sort_config_selectorIflEEZNS1_25segmented_radix_sort_implIS3_Lb1EPKfPfPKlPlN2at6native12_GLOBAL__N_18offset_tEEE10hipError_tPvRmT1_PNSt15iterator_traitsISK_E10value_typeET2_T3_PNSL_ISQ_E10value_typeET4_jRbjT5_SW_jjP12ihipStream_tbEUlT_E1_NS1_11comp_targetILNS1_3genE0ELNS1_11target_archE4294967295ELNS1_3gpuE0ELNS1_3repE0EEENS1_59segmented_radix_sort_warp_sort_small_config_static_selectorELNS0_4arch9wavefront6targetE1EEEvSK_,comdat
.Lfunc_end1343:
	.size	_ZN7rocprim17ROCPRIM_400000_NS6detail17trampoline_kernelINS0_14default_configENS1_36segmented_radix_sort_config_selectorIflEEZNS1_25segmented_radix_sort_implIS3_Lb1EPKfPfPKlPlN2at6native12_GLOBAL__N_18offset_tEEE10hipError_tPvRmT1_PNSt15iterator_traitsISK_E10value_typeET2_T3_PNSL_ISQ_E10value_typeET4_jRbjT5_SW_jjP12ihipStream_tbEUlT_E1_NS1_11comp_targetILNS1_3genE0ELNS1_11target_archE4294967295ELNS1_3gpuE0ELNS1_3repE0EEENS1_59segmented_radix_sort_warp_sort_small_config_static_selectorELNS0_4arch9wavefront6targetE1EEEvSK_, .Lfunc_end1343-_ZN7rocprim17ROCPRIM_400000_NS6detail17trampoline_kernelINS0_14default_configENS1_36segmented_radix_sort_config_selectorIflEEZNS1_25segmented_radix_sort_implIS3_Lb1EPKfPfPKlPlN2at6native12_GLOBAL__N_18offset_tEEE10hipError_tPvRmT1_PNSt15iterator_traitsISK_E10value_typeET2_T3_PNSL_ISQ_E10value_typeET4_jRbjT5_SW_jjP12ihipStream_tbEUlT_E1_NS1_11comp_targetILNS1_3genE0ELNS1_11target_archE4294967295ELNS1_3gpuE0ELNS1_3repE0EEENS1_59segmented_radix_sort_warp_sort_small_config_static_selectorELNS0_4arch9wavefront6targetE1EEEvSK_
                                        ; -- End function
	.section	.AMDGPU.csdata,"",@progbits
; Kernel info:
; codeLenInByte = 0
; NumSgprs: 4
; NumVgprs: 0
; NumAgprs: 0
; TotalNumVgprs: 0
; ScratchSize: 0
; MemoryBound: 0
; FloatMode: 240
; IeeeMode: 1
; LDSByteSize: 0 bytes/workgroup (compile time only)
; SGPRBlocks: 0
; VGPRBlocks: 0
; NumSGPRsForWavesPerEU: 4
; NumVGPRsForWavesPerEU: 1
; AccumOffset: 4
; Occupancy: 8
; WaveLimiterHint : 0
; COMPUTE_PGM_RSRC2:SCRATCH_EN: 0
; COMPUTE_PGM_RSRC2:USER_SGPR: 6
; COMPUTE_PGM_RSRC2:TRAP_HANDLER: 0
; COMPUTE_PGM_RSRC2:TGID_X_EN: 1
; COMPUTE_PGM_RSRC2:TGID_Y_EN: 0
; COMPUTE_PGM_RSRC2:TGID_Z_EN: 0
; COMPUTE_PGM_RSRC2:TIDIG_COMP_CNT: 0
; COMPUTE_PGM_RSRC3_GFX90A:ACCUM_OFFSET: 0
; COMPUTE_PGM_RSRC3_GFX90A:TG_SPLIT: 0
	.section	.text._ZN7rocprim17ROCPRIM_400000_NS6detail17trampoline_kernelINS0_14default_configENS1_36segmented_radix_sort_config_selectorIflEEZNS1_25segmented_radix_sort_implIS3_Lb1EPKfPfPKlPlN2at6native12_GLOBAL__N_18offset_tEEE10hipError_tPvRmT1_PNSt15iterator_traitsISK_E10value_typeET2_T3_PNSL_ISQ_E10value_typeET4_jRbjT5_SW_jjP12ihipStream_tbEUlT_E1_NS1_11comp_targetILNS1_3genE5ELNS1_11target_archE942ELNS1_3gpuE9ELNS1_3repE0EEENS1_59segmented_radix_sort_warp_sort_small_config_static_selectorELNS0_4arch9wavefront6targetE1EEEvSK_,"axG",@progbits,_ZN7rocprim17ROCPRIM_400000_NS6detail17trampoline_kernelINS0_14default_configENS1_36segmented_radix_sort_config_selectorIflEEZNS1_25segmented_radix_sort_implIS3_Lb1EPKfPfPKlPlN2at6native12_GLOBAL__N_18offset_tEEE10hipError_tPvRmT1_PNSt15iterator_traitsISK_E10value_typeET2_T3_PNSL_ISQ_E10value_typeET4_jRbjT5_SW_jjP12ihipStream_tbEUlT_E1_NS1_11comp_targetILNS1_3genE5ELNS1_11target_archE942ELNS1_3gpuE9ELNS1_3repE0EEENS1_59segmented_radix_sort_warp_sort_small_config_static_selectorELNS0_4arch9wavefront6targetE1EEEvSK_,comdat
	.globl	_ZN7rocprim17ROCPRIM_400000_NS6detail17trampoline_kernelINS0_14default_configENS1_36segmented_radix_sort_config_selectorIflEEZNS1_25segmented_radix_sort_implIS3_Lb1EPKfPfPKlPlN2at6native12_GLOBAL__N_18offset_tEEE10hipError_tPvRmT1_PNSt15iterator_traitsISK_E10value_typeET2_T3_PNSL_ISQ_E10value_typeET4_jRbjT5_SW_jjP12ihipStream_tbEUlT_E1_NS1_11comp_targetILNS1_3genE5ELNS1_11target_archE942ELNS1_3gpuE9ELNS1_3repE0EEENS1_59segmented_radix_sort_warp_sort_small_config_static_selectorELNS0_4arch9wavefront6targetE1EEEvSK_ ; -- Begin function _ZN7rocprim17ROCPRIM_400000_NS6detail17trampoline_kernelINS0_14default_configENS1_36segmented_radix_sort_config_selectorIflEEZNS1_25segmented_radix_sort_implIS3_Lb1EPKfPfPKlPlN2at6native12_GLOBAL__N_18offset_tEEE10hipError_tPvRmT1_PNSt15iterator_traitsISK_E10value_typeET2_T3_PNSL_ISQ_E10value_typeET4_jRbjT5_SW_jjP12ihipStream_tbEUlT_E1_NS1_11comp_targetILNS1_3genE5ELNS1_11target_archE942ELNS1_3gpuE9ELNS1_3repE0EEENS1_59segmented_radix_sort_warp_sort_small_config_static_selectorELNS0_4arch9wavefront6targetE1EEEvSK_
	.p2align	8
	.type	_ZN7rocprim17ROCPRIM_400000_NS6detail17trampoline_kernelINS0_14default_configENS1_36segmented_radix_sort_config_selectorIflEEZNS1_25segmented_radix_sort_implIS3_Lb1EPKfPfPKlPlN2at6native12_GLOBAL__N_18offset_tEEE10hipError_tPvRmT1_PNSt15iterator_traitsISK_E10value_typeET2_T3_PNSL_ISQ_E10value_typeET4_jRbjT5_SW_jjP12ihipStream_tbEUlT_E1_NS1_11comp_targetILNS1_3genE5ELNS1_11target_archE942ELNS1_3gpuE9ELNS1_3repE0EEENS1_59segmented_radix_sort_warp_sort_small_config_static_selectorELNS0_4arch9wavefront6targetE1EEEvSK_,@function
_ZN7rocprim17ROCPRIM_400000_NS6detail17trampoline_kernelINS0_14default_configENS1_36segmented_radix_sort_config_selectorIflEEZNS1_25segmented_radix_sort_implIS3_Lb1EPKfPfPKlPlN2at6native12_GLOBAL__N_18offset_tEEE10hipError_tPvRmT1_PNSt15iterator_traitsISK_E10value_typeET2_T3_PNSL_ISQ_E10value_typeET4_jRbjT5_SW_jjP12ihipStream_tbEUlT_E1_NS1_11comp_targetILNS1_3genE5ELNS1_11target_archE942ELNS1_3gpuE9ELNS1_3repE0EEENS1_59segmented_radix_sort_warp_sort_small_config_static_selectorELNS0_4arch9wavefront6targetE1EEEvSK_: ; @_ZN7rocprim17ROCPRIM_400000_NS6detail17trampoline_kernelINS0_14default_configENS1_36segmented_radix_sort_config_selectorIflEEZNS1_25segmented_radix_sort_implIS3_Lb1EPKfPfPKlPlN2at6native12_GLOBAL__N_18offset_tEEE10hipError_tPvRmT1_PNSt15iterator_traitsISK_E10value_typeET2_T3_PNSL_ISQ_E10value_typeET4_jRbjT5_SW_jjP12ihipStream_tbEUlT_E1_NS1_11comp_targetILNS1_3genE5ELNS1_11target_archE942ELNS1_3gpuE9ELNS1_3repE0EEENS1_59segmented_radix_sort_warp_sort_small_config_static_selectorELNS0_4arch9wavefront6targetE1EEEvSK_
; %bb.0:
	.section	.rodata,"a",@progbits
	.p2align	6, 0x0
	.amdhsa_kernel _ZN7rocprim17ROCPRIM_400000_NS6detail17trampoline_kernelINS0_14default_configENS1_36segmented_radix_sort_config_selectorIflEEZNS1_25segmented_radix_sort_implIS3_Lb1EPKfPfPKlPlN2at6native12_GLOBAL__N_18offset_tEEE10hipError_tPvRmT1_PNSt15iterator_traitsISK_E10value_typeET2_T3_PNSL_ISQ_E10value_typeET4_jRbjT5_SW_jjP12ihipStream_tbEUlT_E1_NS1_11comp_targetILNS1_3genE5ELNS1_11target_archE942ELNS1_3gpuE9ELNS1_3repE0EEENS1_59segmented_radix_sort_warp_sort_small_config_static_selectorELNS0_4arch9wavefront6targetE1EEEvSK_
		.amdhsa_group_segment_fixed_size 0
		.amdhsa_private_segment_fixed_size 0
		.amdhsa_kernarg_size 88
		.amdhsa_user_sgpr_count 6
		.amdhsa_user_sgpr_private_segment_buffer 1
		.amdhsa_user_sgpr_dispatch_ptr 0
		.amdhsa_user_sgpr_queue_ptr 0
		.amdhsa_user_sgpr_kernarg_segment_ptr 1
		.amdhsa_user_sgpr_dispatch_id 0
		.amdhsa_user_sgpr_flat_scratch_init 0
		.amdhsa_user_sgpr_kernarg_preload_length 0
		.amdhsa_user_sgpr_kernarg_preload_offset 0
		.amdhsa_user_sgpr_private_segment_size 0
		.amdhsa_uses_dynamic_stack 0
		.amdhsa_system_sgpr_private_segment_wavefront_offset 0
		.amdhsa_system_sgpr_workgroup_id_x 1
		.amdhsa_system_sgpr_workgroup_id_y 0
		.amdhsa_system_sgpr_workgroup_id_z 0
		.amdhsa_system_sgpr_workgroup_info 0
		.amdhsa_system_vgpr_workitem_id 0
		.amdhsa_next_free_vgpr 1
		.amdhsa_next_free_sgpr 0
		.amdhsa_accum_offset 4
		.amdhsa_reserve_vcc 0
		.amdhsa_reserve_flat_scratch 0
		.amdhsa_float_round_mode_32 0
		.amdhsa_float_round_mode_16_64 0
		.amdhsa_float_denorm_mode_32 3
		.amdhsa_float_denorm_mode_16_64 3
		.amdhsa_dx10_clamp 1
		.amdhsa_ieee_mode 1
		.amdhsa_fp16_overflow 0
		.amdhsa_tg_split 0
		.amdhsa_exception_fp_ieee_invalid_op 0
		.amdhsa_exception_fp_denorm_src 0
		.amdhsa_exception_fp_ieee_div_zero 0
		.amdhsa_exception_fp_ieee_overflow 0
		.amdhsa_exception_fp_ieee_underflow 0
		.amdhsa_exception_fp_ieee_inexact 0
		.amdhsa_exception_int_div_zero 0
	.end_amdhsa_kernel
	.section	.text._ZN7rocprim17ROCPRIM_400000_NS6detail17trampoline_kernelINS0_14default_configENS1_36segmented_radix_sort_config_selectorIflEEZNS1_25segmented_radix_sort_implIS3_Lb1EPKfPfPKlPlN2at6native12_GLOBAL__N_18offset_tEEE10hipError_tPvRmT1_PNSt15iterator_traitsISK_E10value_typeET2_T3_PNSL_ISQ_E10value_typeET4_jRbjT5_SW_jjP12ihipStream_tbEUlT_E1_NS1_11comp_targetILNS1_3genE5ELNS1_11target_archE942ELNS1_3gpuE9ELNS1_3repE0EEENS1_59segmented_radix_sort_warp_sort_small_config_static_selectorELNS0_4arch9wavefront6targetE1EEEvSK_,"axG",@progbits,_ZN7rocprim17ROCPRIM_400000_NS6detail17trampoline_kernelINS0_14default_configENS1_36segmented_radix_sort_config_selectorIflEEZNS1_25segmented_radix_sort_implIS3_Lb1EPKfPfPKlPlN2at6native12_GLOBAL__N_18offset_tEEE10hipError_tPvRmT1_PNSt15iterator_traitsISK_E10value_typeET2_T3_PNSL_ISQ_E10value_typeET4_jRbjT5_SW_jjP12ihipStream_tbEUlT_E1_NS1_11comp_targetILNS1_3genE5ELNS1_11target_archE942ELNS1_3gpuE9ELNS1_3repE0EEENS1_59segmented_radix_sort_warp_sort_small_config_static_selectorELNS0_4arch9wavefront6targetE1EEEvSK_,comdat
.Lfunc_end1344:
	.size	_ZN7rocprim17ROCPRIM_400000_NS6detail17trampoline_kernelINS0_14default_configENS1_36segmented_radix_sort_config_selectorIflEEZNS1_25segmented_radix_sort_implIS3_Lb1EPKfPfPKlPlN2at6native12_GLOBAL__N_18offset_tEEE10hipError_tPvRmT1_PNSt15iterator_traitsISK_E10value_typeET2_T3_PNSL_ISQ_E10value_typeET4_jRbjT5_SW_jjP12ihipStream_tbEUlT_E1_NS1_11comp_targetILNS1_3genE5ELNS1_11target_archE942ELNS1_3gpuE9ELNS1_3repE0EEENS1_59segmented_radix_sort_warp_sort_small_config_static_selectorELNS0_4arch9wavefront6targetE1EEEvSK_, .Lfunc_end1344-_ZN7rocprim17ROCPRIM_400000_NS6detail17trampoline_kernelINS0_14default_configENS1_36segmented_radix_sort_config_selectorIflEEZNS1_25segmented_radix_sort_implIS3_Lb1EPKfPfPKlPlN2at6native12_GLOBAL__N_18offset_tEEE10hipError_tPvRmT1_PNSt15iterator_traitsISK_E10value_typeET2_T3_PNSL_ISQ_E10value_typeET4_jRbjT5_SW_jjP12ihipStream_tbEUlT_E1_NS1_11comp_targetILNS1_3genE5ELNS1_11target_archE942ELNS1_3gpuE9ELNS1_3repE0EEENS1_59segmented_radix_sort_warp_sort_small_config_static_selectorELNS0_4arch9wavefront6targetE1EEEvSK_
                                        ; -- End function
	.section	.AMDGPU.csdata,"",@progbits
; Kernel info:
; codeLenInByte = 0
; NumSgprs: 4
; NumVgprs: 0
; NumAgprs: 0
; TotalNumVgprs: 0
; ScratchSize: 0
; MemoryBound: 0
; FloatMode: 240
; IeeeMode: 1
; LDSByteSize: 0 bytes/workgroup (compile time only)
; SGPRBlocks: 0
; VGPRBlocks: 0
; NumSGPRsForWavesPerEU: 4
; NumVGPRsForWavesPerEU: 1
; AccumOffset: 4
; Occupancy: 8
; WaveLimiterHint : 0
; COMPUTE_PGM_RSRC2:SCRATCH_EN: 0
; COMPUTE_PGM_RSRC2:USER_SGPR: 6
; COMPUTE_PGM_RSRC2:TRAP_HANDLER: 0
; COMPUTE_PGM_RSRC2:TGID_X_EN: 1
; COMPUTE_PGM_RSRC2:TGID_Y_EN: 0
; COMPUTE_PGM_RSRC2:TGID_Z_EN: 0
; COMPUTE_PGM_RSRC2:TIDIG_COMP_CNT: 0
; COMPUTE_PGM_RSRC3_GFX90A:ACCUM_OFFSET: 0
; COMPUTE_PGM_RSRC3_GFX90A:TG_SPLIT: 0
	.text
	.p2align	2                               ; -- Begin function _ZN7rocprim17ROCPRIM_400000_NS6detail26segmented_warp_sort_helperINS1_20WarpSortHelperConfigILj8ELj4ELj256EEEflLi256ELb1EvE4sortIPKfPfPKlPlEEvT_S9_T0_T1_SC_T2_bjjjjRNS5_12storage_typeE
	.type	_ZN7rocprim17ROCPRIM_400000_NS6detail26segmented_warp_sort_helperINS1_20WarpSortHelperConfigILj8ELj4ELj256EEEflLi256ELb1EvE4sortIPKfPfPKlPlEEvT_S9_T0_T1_SC_T2_bjjjjRNS5_12storage_typeE,@function
_ZN7rocprim17ROCPRIM_400000_NS6detail26segmented_warp_sort_helperINS1_20WarpSortHelperConfigILj8ELj4ELj256EEEflLi256ELb1EvE4sortIPKfPfPKlPlEEvT_S9_T0_T1_SC_T2_bjjjjRNS5_12storage_typeE: ; @_ZN7rocprim17ROCPRIM_400000_NS6detail26segmented_warp_sort_helperINS1_20WarpSortHelperConfigILj8ELj4ELj256EEEflLi256ELb1EvE4sortIPKfPfPKlPlEEvT_S9_T0_T1_SC_T2_bjjjjRNS5_12storage_typeE
; %bb.0:
	s_waitcnt vmcnt(0) expcnt(0) lgkmcnt(0)
	s_or_saveexec_b64 s[4:5], -1
	buffer_store_dword v40, off, s[0:3], s32 ; 4-byte Folded Spill
	s_mov_b64 exec, s[4:5]
	v_writelane_b32 v40, s30, 0
	v_writelane_b32 v40, s31, 1
	v_mov_b32_e32 v80, v13
	v_sub_u32_e32 v17, v14, v80
	v_mbcnt_lo_u32_b32 v14, -1, 0
	v_and_b32_e32 v12, 1, v12
	v_mov_b32_e32 v81, 0
	v_mbcnt_hi_u32_b32 v14, -1, v14
	v_cmp_eq_u32_e32 vcc, 1, v12
	v_lshlrev_b64 v[12:13], 2, v[80:81]
	v_lshlrev_b32_e32 v96, 2, v14
	s_xor_b64 s[6:7], vcc, -1
	v_add_co_u32_e32 v0, vcc, v0, v12
	v_and_b32_e32 v86, 28, v96
	v_addc_co_u32_e32 v1, vcc, v1, v13, vcc
	v_lshlrev_b32_e32 v87, 2, v86
	v_add_co_u32_e32 v0, vcc, v0, v87
	v_addc_co_u32_e32 v1, vcc, 0, v1, vcc
	v_cmp_lt_u32_e64 s[4:5], v86, v17
	s_mov_b64 s[16:17], 0
                                        ; implicit-def: $vgpr18_vgpr19_vgpr20_vgpr21_vgpr22_vgpr23_vgpr24_vgpr25
	s_and_saveexec_b64 s[10:11], s[6:7]
	s_xor_b64 s[18:19], exec, s[10:11]
	s_cbranch_execnz .LBB1345_5
; %bb.1:
	s_andn2_saveexec_b64 s[18:19], s[18:19]
	s_cbranch_execnz .LBB1345_112
.LBB1345_2:
	s_or_b64 exec, exec, s[18:19]
	s_and_saveexec_b64 s[4:5], s[16:17]
	s_cbranch_execz .LBB1345_4
.LBB1345_3:
	v_lshlrev_b64 v[0:1], 3, v[80:81]
	v_add_co_u32_e32 v0, vcc, v8, v0
	v_addc_co_u32_e32 v1, vcc, v9, v1, vcc
	v_lshlrev_b32_e32 v2, 3, v86
	v_add_co_u32_e32 v0, vcc, v0, v2
	v_addc_co_u32_e32 v1, vcc, 0, v1, vcc
	s_waitcnt vmcnt(0)
	flat_store_dwordx2 v[0:1], v[24:25] offset:24
.LBB1345_4:
	s_or_b64 exec, exec, s[4:5]
	v_readlane_b32 s30, v40, 0
	v_readlane_b32 s31, v40, 1
	s_or_saveexec_b64 s[4:5], -1
	buffer_load_dword v40, off, s[0:3], s32 ; 4-byte Folded Reload
	s_mov_b64 exec, s[4:5]
	s_waitcnt vmcnt(0) lgkmcnt(0)
	s_setpc_b64 s[30:31]
.LBB1345_5:
	v_mov_b32_e32 v14, -1
	v_mov_b32_e32 v85, -1
	s_and_saveexec_b64 s[6:7], s[4:5]
	s_cbranch_execz .LBB1345_7
; %bb.6:
	flat_load_dword v85, v[0:1]
.LBB1345_7:
	s_or_b64 exec, exec, s[6:7]
	v_or_b32_e32 v4, 1, v86
	v_cmp_lt_u32_e64 s[6:7], v4, v17
	s_and_saveexec_b64 s[10:11], s[6:7]
	s_cbranch_execz .LBB1345_9
; %bb.8:
	flat_load_dword v14, v[0:1] offset:4
.LBB1345_9:
	s_or_b64 exec, exec, s[10:11]
	v_or_b32_e32 v4, 2, v86
	v_cmp_lt_u32_e64 s[10:11], v4, v17
	v_mov_b32_e32 v82, -1
	v_mov_b32_e32 v27, -1
	s_and_saveexec_b64 s[14:15], s[10:11]
	s_cbranch_execz .LBB1345_11
; %bb.10:
	flat_load_dword v27, v[0:1] offset:8
.LBB1345_11:
	s_or_b64 exec, exec, s[14:15]
	v_or_b32_e32 v4, 3, v86
	v_cmp_lt_u32_e64 s[14:15], v4, v17
	s_and_saveexec_b64 s[16:17], s[14:15]
	s_cbranch_execz .LBB1345_13
; %bb.12:
	flat_load_dword v82, v[0:1] offset:12
.LBB1345_13:
	s_or_b64 exec, exec, s[16:17]
	v_lshlrev_b64 v[10:11], 3, v[80:81]
	v_add_co_u32_e32 v0, vcc, v6, v10
	v_addc_co_u32_e32 v1, vcc, v7, v11, vcc
	v_lshlrev_b32_e32 v97, 3, v86
	v_add_co_u32_e32 v0, vcc, v0, v97
	v_addc_co_u32_e32 v1, vcc, 0, v1, vcc
	; wave barrier
                                        ; implicit-def: $vgpr18_vgpr19_vgpr20_vgpr21_vgpr22_vgpr23_vgpr24_vgpr25
	s_and_saveexec_b64 s[16:17], s[4:5]
	s_cbranch_execnz .LBB1345_219
; %bb.14:
	s_or_b64 exec, exec, s[16:17]
	s_and_saveexec_b64 s[16:17], s[6:7]
	s_cbranch_execnz .LBB1345_220
.LBB1345_15:
	s_or_b64 exec, exec, s[16:17]
	s_and_saveexec_b64 s[16:17], s[10:11]
	s_cbranch_execnz .LBB1345_221
.LBB1345_16:
	s_or_b64 exec, exec, s[16:17]
	s_and_saveexec_b64 s[16:17], s[14:15]
	s_cbranch_execz .LBB1345_18
.LBB1345_17:
	flat_load_dwordx2 v[24:25], v[0:1] offset:24
.LBB1345_18:
	s_or_b64 exec, exec, s[16:17]
	; wave barrier
	s_load_dwordx2 s[16:17], s[8:9], 0x0
	v_mov_b32_e32 v0, 0
	v_bfe_u32 v5, v31, 20, 10
	v_and_b32_e32 v7, 0x3ff, v31
	s_waitcnt vmcnt(0) lgkmcnt(0)
	v_mov_b32_e32 v6, v27
	s_cmp_lt_u32 s12, s16
	s_cselect_b32 s20, 12, 18
	s_cmp_lt_u32 s13, s17
	s_cselect_b32 s16, 14, 20
	s_add_u32 s16, s8, s16
	s_addc_u32 s17, s9, 0
	s_add_u32 s20, s8, s20
	s_addc_u32 s21, s9, 0
	global_load_ushort v1, v0, s[16:17]
	global_load_ushort v4, v0, s[20:21]
	v_bfe_u32 v0, v31, 10, 10
	s_movk_i32 s16, 0x400
	s_waitcnt vmcnt(1)
	v_mad_u32_u24 v0, v5, v1, v0
	s_waitcnt vmcnt(0)
	v_mul_lo_u32 v0, v0, v4
	v_add_lshl_u32 v17, v0, v7, 2
	v_cmp_gt_u32_e32 vcc, s16, v17
	v_mov_b32_e32 v7, v14
	s_and_saveexec_b64 s[20:21], vcc
	s_cbranch_execz .LBB1345_30
; %bb.19:
	v_mov_b32_e32 v84, v14
	v_pk_add_f32 v[0:1], v[84:85], 0 op_sel_hi:[1,0]
	v_ashrrev_i32_e32 v4, 31, v1
	v_ashrrev_i32_e32 v5, 31, v0
	v_or_b32_e32 v5, 0x80000000, v5
	v_or_b32_e32 v4, 0x80000000, v4
	v_xor_b32_e32 v1, v4, v1
	v_xor_b32_e32 v0, v5, v0
	v_cmp_gt_u32_e32 vcc, v0, v1
	v_mov_b32_e32 v83, v27
	v_cndmask_b32_e32 v5, v21, v19, vcc
	v_cndmask_b32_e32 v4, v20, v18, vcc
	;; [unrolled: 1-line block ×4, first 2 shown]
	v_pk_add_f32 v[18:19], v[82:83], 0 op_sel_hi:[1,0]
	v_ashrrev_i32_e32 v6, 31, v18
	v_ashrrev_i32_e32 v7, 31, v19
	v_or_b32_e32 v20, 0x80000000, v7
	v_or_b32_e32 v6, 0x80000000, v6
	v_xor_b32_e32 v7, v6, v18
	v_xor_b32_e32 v19, v20, v19
	v_cmp_gt_u32_e64 s[16:17], v7, v19
	v_mov_b32_e32 v6, v27
	s_and_saveexec_b64 s[22:23], s[16:17]
; %bb.20:
	v_pk_mov_b32 v[20:21], v[22:23], v[22:23] op_sel:[0,1]
	v_mov_b32_e32 v6, v82
	v_mov_b32_e32 v82, v27
	;; [unrolled: 1-line block ×3, first 2 shown]
	v_pk_mov_b32 v[22:23], v[24:25], v[24:25] op_sel:[0,1]
	v_pk_mov_b32 v[24:25], v[20:21], v[20:21] op_sel:[0,1]
; %bb.21:
	s_or_b64 exec, exec, s[22:23]
	v_cndmask_b32_e32 v18, v14, v85, vcc
	v_add_f32_e32 v7, 0, v18
	v_ashrrev_i32_e32 v20, 31, v7
	v_or_b32_e32 v20, 0x80000000, v20
	v_xor_b32_e32 v7, v20, v7
	v_cmp_le_u32_e64 s[16:17], v19, v7
                                        ; implicit-def: $vgpr83
	s_and_saveexec_b64 s[22:23], s[16:17]
	s_xor_b64 s[16:17], exec, s[22:23]
                                        ; implicit-def: $vgpr32_vgpr33_vgpr34_vgpr35_vgpr36_vgpr37_vgpr38_vgpr39
                                        ; implicit-def: $vgpr48_vgpr49_vgpr50_vgpr51_vgpr52_vgpr53_vgpr54_vgpr55
                                        ; implicit-def: $vgpr26_vgpr27_vgpr28_vgpr29_vgpr30_vgpr31_vgpr32_vgpr33
                                        ; implicit-def: $vgpr64_vgpr65_vgpr66_vgpr67_vgpr68_vgpr69_vgpr70_vgpr71
; %bb.22:
	v_add_f32_e32 v19, 0, v6
	v_ashrrev_i32_e32 v20, 31, v19
	v_or_b32_e32 v20, 0x80000000, v20
	v_mov_b32_e32 v28, v4
	v_mov_b32_e32 v35, v5
	;; [unrolled: 1-line block ×6, first 2 shown]
	v_xor_b32_e32 v83, v20, v19
                                        ; implicit-def: $vgpr22_vgpr23
                                        ; implicit-def: $vgpr19
; %bb.23:
	s_or_saveexec_b64 s[16:17], s[16:17]
	v_mov_b32_e32 v26, v18
	s_xor_b64 exec, exec, s[16:17]
; %bb.24:
	v_mov_b32_e32 v28, v22
	v_mov_b32_e32 v35, v23
	;; [unrolled: 1-line block ×8, first 2 shown]
; %bb.25:
	s_or_b64 exec, exec, s[16:17]
	v_cndmask_b32_e32 v27, v85, v14, vcc
	v_add_f32_e32 v14, 0, v27
	v_ashrrev_i32_e32 v18, 31, v14
	v_or_b32_e32 v18, 0x80000000, v18
	v_xor_b32_e32 v14, v18, v14
	v_cmp_gt_u32_e32 vcc, v7, v14
	v_cndmask_b32_e32 v20, v28, v0, vcc
	v_cndmask_b32_e32 v18, v0, v28, vcc
	v_add_f32_e32 v0, 0, v82
	v_cndmask_b32_e32 v21, v35, v1, vcc
	v_cndmask_b32_e32 v19, v1, v35, vcc
	v_ashrrev_i32_e32 v1, 31, v0
	v_or_b32_e32 v1, 0x80000000, v1
	v_xor_b32_e32 v1, v1, v0
	v_mov_b32_e32 v22, v4
	v_mov_b32_e32 v23, v5
	;; [unrolled: 1-line block ×4, first 2 shown]
	v_cmp_gt_u32_e64 s[16:17], v1, v83
	v_mov_b32_e32 v0, v6
	s_and_saveexec_b64 s[22:23], s[16:17]
	s_cbranch_execz .LBB1345_27
; %bb.26:
	v_mov_b32_e32 v28, v18
	v_mov_b32_e32 v29, v19
	;; [unrolled: 1-line block ×8, first 2 shown]
	v_pk_mov_b32 v[18:19], v[28:29], v[28:29] op_sel:[0,1]
	v_mov_b32_e32 v0, v82
	v_mov_b32_e32 v82, v6
	v_pk_mov_b32 v[20:21], v[30:31], v[30:31] op_sel:[0,1]
	v_pk_mov_b32 v[22:23], v[32:33], v[32:33] op_sel:[0,1]
	;; [unrolled: 1-line block ×3, first 2 shown]
	v_mov_b32_e32 v83, v1
.LBB1345_27:
	s_or_b64 exec, exec, s[22:23]
	v_cndmask_b32_e32 v1, v26, v27, vcc
	v_add_f32_e32 v4, 0, v1
	v_ashrrev_i32_e32 v5, 31, v4
	v_or_b32_e32 v5, 0x80000000, v5
	v_xor_b32_e32 v4, v5, v4
	v_cmp_gt_u32_e64 s[16:17], v83, v4
	v_mov_b32_e32 v14, v1
	v_pk_mov_b32 v[6:7], v[0:1], v[0:1] op_sel:[0,1]
	s_and_saveexec_b64 s[22:23], s[16:17]
	s_cbranch_execz .LBB1345_29
; %bb.28:
	v_mov_b32_e32 v28, v18
	v_mov_b32_e32 v29, v19
	;; [unrolled: 1-line block ×8, first 2 shown]
	v_pk_mov_b32 v[18:19], v[28:29], v[28:29] op_sel:[0,1]
	v_mov_b32_e32 v6, v1
	v_mov_b32_e32 v7, v0
	;; [unrolled: 1-line block ×4, first 2 shown]
	v_pk_mov_b32 v[20:21], v[30:31], v[30:31] op_sel:[0,1]
	v_pk_mov_b32 v[22:23], v[32:33], v[32:33] op_sel:[0,1]
	;; [unrolled: 1-line block ×3, first 2 shown]
.LBB1345_29:
	s_or_b64 exec, exec, s[22:23]
	v_cndmask_b32_e32 v85, v27, v26, vcc
	v_mov_b32_e32 v27, v0
.LBB1345_30:
	s_or_b64 exec, exec, s[20:21]
	v_and_b32_e32 v28, 0xffffff00, v17
	v_mov_b32_e32 v29, 0
	v_lshlrev_b64 v[0:1], 2, v[28:29]
	v_add_co_u32_e32 v32, vcc, v15, v0
	v_addc_co_u32_e32 v33, vcc, v16, v1, vcc
	v_lshlrev_b64 v[0:1], 3, v[28:29]
	v_add_co_u32_e32 v0, vcc, v15, v0
	v_addc_co_u32_e32 v1, vcc, v16, v1, vcc
	v_add_co_u32_e32 v30, vcc, 0x1000, v0
	v_addc_co_u32_e32 v31, vcc, 0, v1, vcc
	v_lshlrev_b32_e32 v0, 2, v96
	v_add_co_u32_e32 v16, vcc, v32, v0
	v_addc_co_u32_e32 v17, vcc, 0, v33, vcc
	v_lshlrev_b32_e32 v0, 3, v96
	v_add_co_u32_e32 v0, vcc, v30, v0
	s_movk_i32 s16, 0x400
	v_addc_co_u32_e32 v1, vcc, 0, v31, vcc
	v_mov_b32_e32 v4, v85
	v_mov_b32_e32 v5, v7
	;; [unrolled: 1-line block ×3, first 2 shown]
	v_sub_u32_e64 v34, s16, v28 clamp
	flat_store_dwordx4 v[0:1], v[18:21]
	flat_store_dwordx4 v[16:17], v[4:7]
	flat_store_dwordx4 v[0:1], v[22:25] offset:16
	v_or_b32_e32 v5, 4, v96
	v_min_u32_e32 v35, v34, v5
	v_add_u32_e32 v5, 4, v35
	v_and_b32_e32 v4, 0x1f8, v96
	v_min_u32_e32 v36, v34, v5
	v_and_b32_e32 v5, 4, v96
	v_min_u32_e32 v5, v34, v5
	v_sub_u32_e32 v6, v35, v4
	v_sub_u32_e32 v7, v36, v35
	v_sub_u32_e64 v7, v5, v7 clamp
	v_min_u32_e32 v6, v5, v6
	v_cmp_lt_u32_e32 vcc, v7, v6
	; wave barrier
	s_and_saveexec_b64 s[16:17], vcc
	s_cbranch_execz .LBB1345_34
; %bb.31:
	v_lshlrev_b32_e32 v15, 2, v4
	v_add_co_u32_e32 v15, vcc, v32, v15
	v_addc_co_u32_e32 v26, vcc, 0, v33, vcc
	v_lshlrev_b32_e32 v28, 2, v35
	v_add_co_u32_e32 v37, vcc, v32, v28
	v_addc_co_u32_e32 v38, vcc, 0, v33, vcc
	s_mov_b64 s[20:21], 0
.LBB1345_32:                            ; =>This Inner Loop Header: Depth=1
	v_add_u32_e32 v28, v6, v7
	v_lshrrev_b32_e32 v28, 1, v28
	v_lshlrev_b64 v[50:51], 2, v[28:29]
	v_mov_b32_e32 v49, v29
	v_xad_u32 v48, v28, -1, v5
	v_add_co_u32_e32 v50, vcc, v15, v50
	v_addc_co_u32_e32 v51, vcc, v26, v51, vcc
	v_lshlrev_b64 v[48:49], 2, v[48:49]
	v_add_co_u32_e32 v48, vcc, v37, v48
	v_addc_co_u32_e32 v49, vcc, v38, v49, vcc
	flat_load_dword v53, v[50:51]
	flat_load_dword v52, v[48:49]
	v_add_u32_e32 v39, 1, v28
	s_waitcnt vmcnt(0) lgkmcnt(0)
	v_pk_add_f32 v[48:49], v[52:53], 0 op_sel_hi:[1,0]
	v_ashrrev_i32_e32 v50, 31, v49
	v_ashrrev_i32_e32 v51, 31, v48
	v_or_b32_e32 v51, 0x80000000, v51
	v_or_b32_e32 v50, 0x80000000, v50
	v_xor_b32_e32 v49, v50, v49
	v_xor_b32_e32 v48, v51, v48
	v_cmp_gt_u32_e32 vcc, v48, v49
	v_cndmask_b32_e32 v6, v6, v28, vcc
	v_cndmask_b32_e32 v7, v39, v7, vcc
	v_cmp_ge_u32_e32 vcc, v7, v6
	s_or_b64 s[20:21], vcc, s[20:21]
	s_andn2_b64 exec, exec, s[20:21]
	s_cbranch_execnz .LBB1345_32
; %bb.33:
	s_or_b64 exec, exec, s[20:21]
.LBB1345_34:
	s_or_b64 exec, exec, s[16:17]
	v_add_u32_e32 v6, v7, v4
	v_add_u32_e32 v4, v35, v5
	v_sub_u32_e32 v26, v4, v7
	v_cmp_le_u32_e32 vcc, v6, v35
	v_cmp_le_u32_e64 s[16:17], v26, v36
	s_or_b64 s[16:17], vcc, s[16:17]
	s_and_saveexec_b64 s[20:21], s[16:17]
	s_cbranch_execz .LBB1345_54
; %bb.35:
	v_cmp_ge_u32_e32 vcc, v6, v35
	v_cmp_lt_u32_e64 s[16:17], v6, v35
                                        ; implicit-def: $vgpr5
	s_and_saveexec_b64 s[22:23], s[16:17]
	s_cbranch_execz .LBB1345_37
; %bb.36:
	v_mov_b32_e32 v7, 0
	v_lshlrev_b64 v[4:5], 2, v[6:7]
	v_add_co_u32_e64 v4, s[16:17], v32, v4
	v_addc_co_u32_e64 v5, s[16:17], v33, v5, s[16:17]
	flat_load_dword v5, v[4:5]
.LBB1345_37:
	s_or_b64 exec, exec, s[22:23]
	v_cmp_ge_u32_e64 s[22:23], v26, v36
	v_cmp_lt_u32_e64 s[16:17], v26, v36
	s_and_saveexec_b64 s[24:25], s[16:17]
	s_cbranch_execz .LBB1345_39
; %bb.38:
	v_mov_b32_e32 v27, 0
	v_lshlrev_b64 v[14:15], 2, v[26:27]
	v_add_co_u32_e64 v14, s[16:17], v32, v14
	v_addc_co_u32_e64 v15, s[16:17], v33, v15, s[16:17]
	flat_load_dword v4, v[14:15]
.LBB1345_39:
	s_or_b64 exec, exec, s[24:25]
	s_or_b64 s[24:25], vcc, s[22:23]
	s_mov_b64 s[16:17], -1
	s_xor_b64 s[26:27], s[24:25], -1
	s_and_saveexec_b64 s[24:25], s[26:27]
	s_cbranch_execz .LBB1345_41
; %bb.40:
	s_waitcnt vmcnt(0) lgkmcnt(0)
	v_pk_add_f32 v[14:15], v[4:5], 0 op_sel_hi:[1,0]
	v_ashrrev_i32_e32 v7, 31, v15
	v_ashrrev_i32_e32 v18, 31, v14
	v_or_b32_e32 v18, 0x80000000, v18
	v_or_b32_e32 v7, 0x80000000, v7
	v_xor_b32_e32 v7, v7, v15
	v_xor_b32_e32 v14, v18, v14
	v_cmp_le_u32_e32 vcc, v14, v7
	s_andn2_b64 s[22:23], s[22:23], exec
	s_and_b64 s[26:27], vcc, exec
	s_or_b64 s[22:23], s[22:23], s[26:27]
.LBB1345_41:
	s_or_b64 exec, exec, s[24:25]
	v_cndmask_b32_e64 v14, v26, v6, s[22:23]
	v_cndmask_b32_e64 v7, v36, v35, s[22:23]
	v_mov_b32_e32 v15, 0
	v_add_u32_e32 v22, 1, v14
	v_add_u32_e32 v7, -1, v7
	v_lshlrev_b64 v[18:19], 3, v[14:15]
	v_min_u32_e32 v14, v22, v7
	v_lshlrev_b64 v[20:21], 2, v[14:15]
	v_add_co_u32_e32 v20, vcc, v32, v20
	v_addc_co_u32_e32 v21, vcc, v33, v21, vcc
	v_add_co_u32_e32 v18, vcc, v30, v18
	flat_load_dword v14, v[20:21]
	v_addc_co_u32_e32 v19, vcc, v31, v19, vcc
	flat_load_dwordx2 v[18:19], v[18:19]
	v_cndmask_b32_e64 v7, v22, v26, s[22:23]
	v_cndmask_b32_e64 v6, v6, v22, s[22:23]
	v_cmp_lt_u32_e32 vcc, v7, v36
	s_waitcnt vmcnt(0) lgkmcnt(0)
	v_cndmask_b32_e64 v26, v14, v4, s[22:23]
	v_cndmask_b32_e64 v28, v5, v14, s[22:23]
	s_and_saveexec_b64 s[24:25], vcc
	s_cbranch_execz .LBB1345_45
; %bb.42:
	v_cmp_lt_u32_e32 vcc, v6, v35
	s_mov_b64 s[26:27], 0
	s_and_saveexec_b64 s[16:17], vcc
; %bb.43:
	v_add_f32_e32 v14, 0, v26
	v_ashrrev_i32_e32 v21, 31, v14
	v_add_f32_e32 v20, 0, v28
	v_or_b32_e32 v21, 0x80000000, v21
	v_xor_b32_e32 v14, v21, v14
	v_ashrrev_i32_e32 v21, 31, v20
	v_or_b32_e32 v21, 0x80000000, v21
	v_xor_b32_e32 v20, v21, v20
	v_cmp_le_u32_e32 vcc, v14, v20
	s_and_b64 s[26:27], vcc, exec
; %bb.44:
	s_or_b64 exec, exec, s[16:17]
	s_orn2_b64 s[16:17], s[26:27], exec
.LBB1345_45:
	s_or_b64 exec, exec, s[24:25]
	v_cndmask_b32_e64 v14, v7, v6, s[16:17]
	v_cndmask_b32_e64 v22, v36, v35, s[16:17]
	v_lshlrev_b64 v[20:21], 3, v[14:15]
	v_add_u32_e32 v23, 1, v14
	v_add_u32_e32 v14, -1, v22
	v_min_u32_e32 v14, v23, v14
	v_lshlrev_b64 v[14:15], 2, v[14:15]
	v_add_co_u32_e32 v14, vcc, v32, v14
	v_addc_co_u32_e32 v15, vcc, v33, v15, vcc
	flat_load_dword v22, v[14:15]
	v_add_co_u32_e32 v14, vcc, v30, v20
	v_addc_co_u32_e32 v15, vcc, v31, v21, vcc
	flat_load_dwordx2 v[20:21], v[14:15]
	v_cndmask_b32_e64 v24, v23, v7, s[16:17]
	s_mov_b64 s[24:25], -1
	v_cndmask_b32_e64 v25, v6, v23, s[16:17]
	v_cmp_lt_u32_e32 vcc, v24, v36
	s_mov_b64 s[26:27], -1
	s_waitcnt vmcnt(0) lgkmcnt(0)
	v_cndmask_b32_e64 v14, v22, v26, s[16:17]
	v_cndmask_b32_e64 v15, v28, v22, s[16:17]
	s_and_saveexec_b64 s[28:29], vcc
	s_cbranch_execz .LBB1345_49
; %bb.46:
	v_cmp_lt_u32_e32 vcc, v25, v35
	s_mov_b64 s[30:31], 0
	s_and_saveexec_b64 s[26:27], vcc
; %bb.47:
	v_add_f32_e32 v6, 0, v14
	v_ashrrev_i32_e32 v22, 31, v6
	v_add_f32_e32 v7, 0, v15
	v_or_b32_e32 v22, 0x80000000, v22
	v_xor_b32_e32 v6, v22, v6
	v_ashrrev_i32_e32 v22, 31, v7
	v_or_b32_e32 v22, 0x80000000, v22
	v_xor_b32_e32 v7, v22, v7
	v_cmp_le_u32_e32 vcc, v6, v7
	s_and_b64 s[30:31], vcc, exec
; %bb.48:
	s_or_b64 exec, exec, s[26:27]
	s_orn2_b64 s[26:27], s[30:31], exec
.LBB1345_49:
	s_or_b64 exec, exec, s[28:29]
	v_cndmask_b32_e64 v6, v24, v25, s[26:27]
	v_cndmask_b32_e64 v27, v36, v35, s[26:27]
	v_mov_b32_e32 v7, 0
	v_lshlrev_b64 v[22:23], 3, v[6:7]
	v_add_u32_e32 v29, 1, v6
	v_add_u32_e32 v6, -1, v27
	v_min_u32_e32 v6, v29, v6
	v_lshlrev_b64 v[38:39], 2, v[6:7]
	v_add_co_u32_e32 v38, vcc, v32, v38
	v_addc_co_u32_e32 v39, vcc, v33, v39, vcc
	v_add_co_u32_e32 v22, vcc, v30, v22
	flat_load_dword v27, v[38:39]
	v_addc_co_u32_e32 v23, vcc, v31, v23, vcc
	flat_load_dwordx2 v[22:23], v[22:23]
	v_cndmask_b32_e64 v6, v29, v24, s[26:27]
	v_cndmask_b32_e64 v24, v25, v29, s[26:27]
	v_cmp_lt_u32_e32 vcc, v6, v36
	s_waitcnt vmcnt(0) lgkmcnt(0)
	v_cndmask_b32_e64 v29, v27, v14, s[26:27]
	v_cndmask_b32_e64 v37, v15, v27, s[26:27]
	s_and_saveexec_b64 s[28:29], vcc
	s_cbranch_execz .LBB1345_53
; %bb.50:
	v_cmp_lt_u32_e32 vcc, v24, v35
	s_mov_b64 s[30:31], 0
	s_and_saveexec_b64 s[24:25], vcc
; %bb.51:
	v_add_f32_e32 v25, 0, v29
	v_ashrrev_i32_e32 v35, 31, v25
	v_add_f32_e32 v27, 0, v37
	v_or_b32_e32 v35, 0x80000000, v35
	v_xor_b32_e32 v25, v35, v25
	v_ashrrev_i32_e32 v35, 31, v27
	v_or_b32_e32 v35, 0x80000000, v35
	v_xor_b32_e32 v27, v35, v27
	v_cmp_le_u32_e32 vcc, v25, v27
	s_and_b64 s[30:31], vcc, exec
; %bb.52:
	s_or_b64 exec, exec, s[24:25]
	s_orn2_b64 s[24:25], s[30:31], exec
.LBB1345_53:
	s_or_b64 exec, exec, s[28:29]
	v_cndmask_b32_e64 v6, v6, v24, s[24:25]
	v_lshlrev_b64 v[6:7], 3, v[6:7]
	v_add_co_u32_e32 v6, vcc, v30, v6
	v_addc_co_u32_e32 v7, vcc, v31, v7, vcc
	flat_load_dwordx2 v[24:25], v[6:7]
	v_cndmask_b32_e64 v27, v14, v15, s[26:27]
	v_cndmask_b32_e64 v14, v26, v28, s[16:17]
	v_cndmask_b32_e64 v85, v4, v5, s[22:23]
	v_cndmask_b32_e64 v82, v29, v37, s[24:25]
.LBB1345_54:
	s_or_b64 exec, exec, s[20:21]
	v_mov_b32_e32 v4, v85
	v_mov_b32_e32 v5, v14
	;; [unrolled: 1-line block ×4, first 2 shown]
	; wave barrier
	flat_store_dwordx4 v[0:1], v[18:21]
	flat_store_dwordx4 v[16:17], v[4:7]
	s_waitcnt vmcnt(0) lgkmcnt(0)
	flat_store_dwordx4 v[0:1], v[22:25] offset:16
	v_and_b32_e32 v6, 0x1f0, v96
	v_or_b32_e32 v4, 8, v6
	v_min_u32_e32 v28, v34, v4
	v_add_u32_e32 v4, 8, v28
	v_min_u32_e32 v29, v34, v4
	v_and_b32_e32 v4, 12, v96
	v_min_u32_e32 v7, v34, v4
	v_sub_u32_e32 v4, v28, v6
	v_sub_u32_e32 v5, v29, v28
	v_sub_u32_e64 v15, v7, v5 clamp
	v_min_u32_e32 v26, v7, v4
	v_cmp_lt_u32_e32 vcc, v15, v26
	; wave barrier
	s_and_saveexec_b64 s[16:17], vcc
	s_cbranch_execz .LBB1345_58
; %bb.55:
	v_lshlrev_b32_e32 v4, 2, v6
	v_add_co_u32_e32 v35, vcc, v32, v4
	v_addc_co_u32_e32 v36, vcc, 0, v33, vcc
	v_lshlrev_b32_e32 v4, 2, v28
	v_add_co_u32_e32 v37, vcc, v32, v4
	v_addc_co_u32_e32 v38, vcc, 0, v33, vcc
	s_mov_b64 s[20:21], 0
	v_mov_b32_e32 v5, 0
.LBB1345_56:                            ; =>This Inner Loop Header: Depth=1
	v_add_u32_e32 v4, v26, v15
	v_lshrrev_b32_e32 v4, 1, v4
	v_lshlrev_b64 v[50:51], 2, v[4:5]
	v_mov_b32_e32 v49, v5
	v_xad_u32 v48, v4, -1, v7
	v_add_co_u32_e32 v50, vcc, v35, v50
	v_addc_co_u32_e32 v51, vcc, v36, v51, vcc
	v_lshlrev_b64 v[48:49], 2, v[48:49]
	v_add_co_u32_e32 v48, vcc, v37, v48
	v_addc_co_u32_e32 v49, vcc, v38, v49, vcc
	flat_load_dword v53, v[50:51]
	flat_load_dword v52, v[48:49]
	v_add_u32_e32 v39, 1, v4
	s_waitcnt vmcnt(0) lgkmcnt(0)
	v_pk_add_f32 v[48:49], v[52:53], 0 op_sel_hi:[1,0]
	v_ashrrev_i32_e32 v50, 31, v49
	v_ashrrev_i32_e32 v51, 31, v48
	v_or_b32_e32 v51, 0x80000000, v51
	v_or_b32_e32 v50, 0x80000000, v50
	v_xor_b32_e32 v49, v50, v49
	v_xor_b32_e32 v48, v51, v48
	v_cmp_gt_u32_e32 vcc, v48, v49
	v_cndmask_b32_e32 v26, v26, v4, vcc
	v_cndmask_b32_e32 v15, v39, v15, vcc
	v_cmp_ge_u32_e32 vcc, v15, v26
	s_or_b64 s[20:21], vcc, s[20:21]
	s_andn2_b64 exec, exec, s[20:21]
	s_cbranch_execnz .LBB1345_56
; %bb.57:
	s_or_b64 exec, exec, s[20:21]
.LBB1345_58:
	s_or_b64 exec, exec, s[16:17]
	v_add_u32_e32 v4, v28, v7
	v_add_u32_e32 v6, v15, v6
	v_sub_u32_e32 v26, v4, v15
	v_cmp_le_u32_e32 vcc, v6, v28
	v_cmp_le_u32_e64 s[16:17], v26, v29
	s_or_b64 s[16:17], vcc, s[16:17]
	s_and_saveexec_b64 s[20:21], s[16:17]
	s_cbranch_execz .LBB1345_78
; %bb.59:
	v_cmp_ge_u32_e32 vcc, v6, v28
	v_cmp_lt_u32_e64 s[16:17], v6, v28
                                        ; implicit-def: $vgpr5
	s_and_saveexec_b64 s[22:23], s[16:17]
	s_cbranch_execz .LBB1345_61
; %bb.60:
	v_mov_b32_e32 v7, 0
	v_lshlrev_b64 v[4:5], 2, v[6:7]
	v_add_co_u32_e64 v4, s[16:17], v32, v4
	v_addc_co_u32_e64 v5, s[16:17], v33, v5, s[16:17]
	flat_load_dword v5, v[4:5]
.LBB1345_61:
	s_or_b64 exec, exec, s[22:23]
	v_cmp_ge_u32_e64 s[22:23], v26, v29
	v_cmp_lt_u32_e64 s[16:17], v26, v29
	s_and_saveexec_b64 s[24:25], s[16:17]
	s_cbranch_execz .LBB1345_63
; %bb.62:
	v_mov_b32_e32 v27, 0
	v_lshlrev_b64 v[14:15], 2, v[26:27]
	v_add_co_u32_e64 v14, s[16:17], v32, v14
	v_addc_co_u32_e64 v15, s[16:17], v33, v15, s[16:17]
	flat_load_dword v4, v[14:15]
.LBB1345_63:
	s_or_b64 exec, exec, s[24:25]
	s_or_b64 s[24:25], vcc, s[22:23]
	s_mov_b64 s[16:17], -1
	s_xor_b64 s[26:27], s[24:25], -1
	s_and_saveexec_b64 s[24:25], s[26:27]
	s_cbranch_execz .LBB1345_65
; %bb.64:
	s_waitcnt vmcnt(0) lgkmcnt(0)
	v_pk_add_f32 v[14:15], v[4:5], 0 op_sel_hi:[1,0]
	v_ashrrev_i32_e32 v7, 31, v15
	v_ashrrev_i32_e32 v18, 31, v14
	v_or_b32_e32 v18, 0x80000000, v18
	v_or_b32_e32 v7, 0x80000000, v7
	v_xor_b32_e32 v7, v7, v15
	v_xor_b32_e32 v14, v18, v14
	v_cmp_le_u32_e32 vcc, v14, v7
	s_andn2_b64 s[22:23], s[22:23], exec
	s_and_b64 s[26:27], vcc, exec
	s_or_b64 s[22:23], s[22:23], s[26:27]
.LBB1345_65:
	s_or_b64 exec, exec, s[24:25]
	v_cndmask_b32_e64 v14, v26, v6, s[22:23]
	v_cndmask_b32_e64 v7, v29, v28, s[22:23]
	v_mov_b32_e32 v15, 0
	v_add_u32_e32 v22, 1, v14
	v_add_u32_e32 v7, -1, v7
	v_lshlrev_b64 v[18:19], 3, v[14:15]
	v_min_u32_e32 v14, v22, v7
	v_lshlrev_b64 v[20:21], 2, v[14:15]
	v_add_co_u32_e32 v20, vcc, v32, v20
	v_addc_co_u32_e32 v21, vcc, v33, v21, vcc
	v_add_co_u32_e32 v18, vcc, v30, v18
	flat_load_dword v14, v[20:21]
	v_addc_co_u32_e32 v19, vcc, v31, v19, vcc
	flat_load_dwordx2 v[18:19], v[18:19]
	v_cndmask_b32_e64 v7, v22, v26, s[22:23]
	v_cndmask_b32_e64 v6, v6, v22, s[22:23]
	v_cmp_lt_u32_e32 vcc, v7, v29
	s_waitcnt vmcnt(0) lgkmcnt(0)
	v_cndmask_b32_e64 v26, v14, v4, s[22:23]
	v_cndmask_b32_e64 v35, v5, v14, s[22:23]
	s_and_saveexec_b64 s[24:25], vcc
	s_cbranch_execz .LBB1345_69
; %bb.66:
	v_cmp_lt_u32_e32 vcc, v6, v28
	s_mov_b64 s[26:27], 0
	s_and_saveexec_b64 s[16:17], vcc
; %bb.67:
	v_add_f32_e32 v14, 0, v26
	v_ashrrev_i32_e32 v21, 31, v14
	v_add_f32_e32 v20, 0, v35
	v_or_b32_e32 v21, 0x80000000, v21
	v_xor_b32_e32 v14, v21, v14
	v_ashrrev_i32_e32 v21, 31, v20
	v_or_b32_e32 v21, 0x80000000, v21
	v_xor_b32_e32 v20, v21, v20
	v_cmp_le_u32_e32 vcc, v14, v20
	s_and_b64 s[26:27], vcc, exec
; %bb.68:
	s_or_b64 exec, exec, s[16:17]
	s_orn2_b64 s[16:17], s[26:27], exec
.LBB1345_69:
	s_or_b64 exec, exec, s[24:25]
	v_cndmask_b32_e64 v14, v7, v6, s[16:17]
	v_cndmask_b32_e64 v22, v29, v28, s[16:17]
	v_lshlrev_b64 v[20:21], 3, v[14:15]
	v_add_u32_e32 v23, 1, v14
	v_add_u32_e32 v14, -1, v22
	v_min_u32_e32 v14, v23, v14
	v_lshlrev_b64 v[14:15], 2, v[14:15]
	v_add_co_u32_e32 v14, vcc, v32, v14
	v_addc_co_u32_e32 v15, vcc, v33, v15, vcc
	flat_load_dword v22, v[14:15]
	v_add_co_u32_e32 v14, vcc, v30, v20
	v_addc_co_u32_e32 v15, vcc, v31, v21, vcc
	flat_load_dwordx2 v[20:21], v[14:15]
	v_cndmask_b32_e64 v24, v23, v7, s[16:17]
	s_mov_b64 s[24:25], -1
	v_cndmask_b32_e64 v25, v6, v23, s[16:17]
	v_cmp_lt_u32_e32 vcc, v24, v29
	s_mov_b64 s[26:27], -1
	s_waitcnt vmcnt(0) lgkmcnt(0)
	v_cndmask_b32_e64 v14, v22, v26, s[16:17]
	v_cndmask_b32_e64 v15, v35, v22, s[16:17]
	s_and_saveexec_b64 s[28:29], vcc
	s_cbranch_execz .LBB1345_73
; %bb.70:
	v_cmp_lt_u32_e32 vcc, v25, v28
	s_mov_b64 s[30:31], 0
	s_and_saveexec_b64 s[26:27], vcc
; %bb.71:
	v_add_f32_e32 v6, 0, v14
	v_ashrrev_i32_e32 v22, 31, v6
	v_add_f32_e32 v7, 0, v15
	v_or_b32_e32 v22, 0x80000000, v22
	v_xor_b32_e32 v6, v22, v6
	v_ashrrev_i32_e32 v22, 31, v7
	v_or_b32_e32 v22, 0x80000000, v22
	v_xor_b32_e32 v7, v22, v7
	v_cmp_le_u32_e32 vcc, v6, v7
	s_and_b64 s[30:31], vcc, exec
; %bb.72:
	s_or_b64 exec, exec, s[26:27]
	s_orn2_b64 s[26:27], s[30:31], exec
.LBB1345_73:
	s_or_b64 exec, exec, s[28:29]
	v_cndmask_b32_e64 v6, v24, v25, s[26:27]
	v_cndmask_b32_e64 v27, v29, v28, s[26:27]
	v_mov_b32_e32 v7, 0
	v_lshlrev_b64 v[22:23], 3, v[6:7]
	v_add_u32_e32 v38, 1, v6
	v_add_u32_e32 v6, -1, v27
	v_min_u32_e32 v6, v38, v6
	v_lshlrev_b64 v[36:37], 2, v[6:7]
	v_add_co_u32_e32 v36, vcc, v32, v36
	v_addc_co_u32_e32 v37, vcc, v33, v37, vcc
	v_add_co_u32_e32 v22, vcc, v30, v22
	flat_load_dword v27, v[36:37]
	v_addc_co_u32_e32 v23, vcc, v31, v23, vcc
	flat_load_dwordx2 v[22:23], v[22:23]
	v_cndmask_b32_e64 v6, v38, v24, s[26:27]
	v_cndmask_b32_e64 v24, v25, v38, s[26:27]
	v_cmp_lt_u32_e32 vcc, v6, v29
	s_waitcnt vmcnt(0) lgkmcnt(0)
	v_cndmask_b32_e64 v36, v27, v14, s[26:27]
	v_cndmask_b32_e64 v37, v15, v27, s[26:27]
	s_and_saveexec_b64 s[28:29], vcc
	s_cbranch_execz .LBB1345_77
; %bb.74:
	v_cmp_lt_u32_e32 vcc, v24, v28
	s_mov_b64 s[30:31], 0
	s_and_saveexec_b64 s[24:25], vcc
; %bb.75:
	v_add_f32_e32 v25, 0, v36
	v_ashrrev_i32_e32 v28, 31, v25
	v_add_f32_e32 v27, 0, v37
	v_or_b32_e32 v28, 0x80000000, v28
	v_xor_b32_e32 v25, v28, v25
	v_ashrrev_i32_e32 v28, 31, v27
	v_or_b32_e32 v28, 0x80000000, v28
	v_xor_b32_e32 v27, v28, v27
	v_cmp_le_u32_e32 vcc, v25, v27
	s_and_b64 s[30:31], vcc, exec
; %bb.76:
	s_or_b64 exec, exec, s[24:25]
	s_orn2_b64 s[24:25], s[30:31], exec
.LBB1345_77:
	s_or_b64 exec, exec, s[28:29]
	v_cndmask_b32_e64 v6, v6, v24, s[24:25]
	v_lshlrev_b64 v[6:7], 3, v[6:7]
	v_add_co_u32_e32 v6, vcc, v30, v6
	v_addc_co_u32_e32 v7, vcc, v31, v7, vcc
	flat_load_dwordx2 v[24:25], v[6:7]
	v_cndmask_b32_e64 v27, v14, v15, s[26:27]
	v_cndmask_b32_e64 v14, v26, v35, s[16:17]
	;; [unrolled: 1-line block ×4, first 2 shown]
.LBB1345_78:
	s_or_b64 exec, exec, s[20:21]
	v_mov_b32_e32 v4, v85
	v_mov_b32_e32 v5, v14
	;; [unrolled: 1-line block ×4, first 2 shown]
	; wave barrier
	flat_store_dwordx4 v[0:1], v[18:21]
	flat_store_dwordx4 v[16:17], v[4:7]
	s_waitcnt vmcnt(0) lgkmcnt(0)
	flat_store_dwordx4 v[0:1], v[22:25] offset:16
	v_and_b32_e32 v4, 0x1e0, v96
	v_or_b32_e32 v0, 16, v4
	v_min_u32_e32 v16, v34, v0
	v_add_u32_e32 v0, 16, v16
	v_min_u32_e32 v17, v34, v0
	v_min_u32_e32 v5, v34, v86
	v_sub_u32_e32 v0, v16, v4
	v_sub_u32_e32 v1, v17, v16
	v_sub_u32_e64 v6, v5, v1 clamp
	v_min_u32_e32 v7, v5, v0
	v_cmp_lt_u32_e32 vcc, v6, v7
	; wave barrier
	s_and_saveexec_b64 s[16:17], vcc
	s_cbranch_execz .LBB1345_82
; %bb.79:
	v_lshlrev_b32_e32 v0, 2, v4
	v_add_co_u32_e32 v15, vcc, v32, v0
	v_addc_co_u32_e32 v26, vcc, 0, v33, vcc
	v_lshlrev_b32_e32 v0, 2, v16
	v_add_co_u32_e32 v28, vcc, v32, v0
	v_addc_co_u32_e32 v29, vcc, 0, v33, vcc
	s_mov_b64 s[20:21], 0
	v_mov_b32_e32 v1, 0
.LBB1345_80:                            ; =>This Inner Loop Header: Depth=1
	v_add_u32_e32 v0, v7, v6
	v_lshrrev_b32_e32 v0, 1, v0
	v_lshlrev_b64 v[36:37], 2, v[0:1]
	v_mov_b32_e32 v35, v1
	v_xad_u32 v34, v0, -1, v5
	v_add_co_u32_e32 v36, vcc, v15, v36
	v_addc_co_u32_e32 v37, vcc, v26, v37, vcc
	v_lshlrev_b64 v[34:35], 2, v[34:35]
	v_add_co_u32_e32 v34, vcc, v28, v34
	v_addc_co_u32_e32 v35, vcc, v29, v35, vcc
	flat_load_dword v39, v[36:37]
	flat_load_dword v38, v[34:35]
	v_add_u32_e32 v36, 1, v0
	s_waitcnt vmcnt(0) lgkmcnt(0)
	v_pk_add_f32 v[34:35], v[38:39], 0 op_sel_hi:[1,0]
	v_ashrrev_i32_e32 v37, 31, v35
	v_ashrrev_i32_e32 v38, 31, v34
	v_or_b32_e32 v38, 0x80000000, v38
	v_or_b32_e32 v37, 0x80000000, v37
	v_xor_b32_e32 v35, v37, v35
	v_xor_b32_e32 v34, v38, v34
	v_cmp_gt_u32_e32 vcc, v34, v35
	v_cndmask_b32_e32 v7, v7, v0, vcc
	v_cndmask_b32_e32 v6, v36, v6, vcc
	v_cmp_ge_u32_e32 vcc, v6, v7
	s_or_b64 s[20:21], vcc, s[20:21]
	s_andn2_b64 exec, exec, s[20:21]
	s_cbranch_execnz .LBB1345_80
; %bb.81:
	s_or_b64 exec, exec, s[20:21]
.LBB1345_82:
	s_or_b64 exec, exec, s[16:17]
	v_add_u32_e32 v0, v16, v5
	v_add_u32_e32 v4, v6, v4
	v_sub_u32_e32 v6, v0, v6
	v_cmp_le_u32_e32 vcc, v4, v16
	v_cmp_le_u32_e64 s[16:17], v6, v17
	s_or_b64 s[16:17], vcc, s[16:17]
	s_and_saveexec_b64 s[20:21], s[16:17]
	s_cbranch_execz .LBB1345_102
; %bb.83:
	v_cmp_ge_u32_e32 vcc, v4, v16
	v_cmp_lt_u32_e64 s[16:17], v4, v16
                                        ; implicit-def: $vgpr1
	s_and_saveexec_b64 s[22:23], s[16:17]
	s_cbranch_execz .LBB1345_85
; %bb.84:
	v_mov_b32_e32 v5, 0
	v_lshlrev_b64 v[0:1], 2, v[4:5]
	v_add_co_u32_e64 v0, s[16:17], v32, v0
	v_addc_co_u32_e64 v1, s[16:17], v33, v1, s[16:17]
	flat_load_dword v1, v[0:1]
.LBB1345_85:
	s_or_b64 exec, exec, s[22:23]
	v_cmp_ge_u32_e64 s[22:23], v6, v17
	v_cmp_lt_u32_e64 s[16:17], v6, v17
	s_and_saveexec_b64 s[24:25], s[16:17]
	s_cbranch_execz .LBB1345_87
; %bb.86:
	v_mov_b32_e32 v7, 0
	v_lshlrev_b64 v[14:15], 2, v[6:7]
	v_add_co_u32_e64 v14, s[16:17], v32, v14
	v_addc_co_u32_e64 v15, s[16:17], v33, v15, s[16:17]
	flat_load_dword v0, v[14:15]
.LBB1345_87:
	s_or_b64 exec, exec, s[24:25]
	s_or_b64 s[24:25], vcc, s[22:23]
	s_mov_b64 s[16:17], -1
	s_xor_b64 s[26:27], s[24:25], -1
	s_and_saveexec_b64 s[24:25], s[26:27]
	s_cbranch_execz .LBB1345_89
; %bb.88:
	s_waitcnt vmcnt(0) lgkmcnt(0)
	v_pk_add_f32 v[14:15], v[0:1], 0 op_sel_hi:[1,0]
	v_ashrrev_i32_e32 v5, 31, v15
	v_ashrrev_i32_e32 v7, 31, v14
	v_or_b32_e32 v7, 0x80000000, v7
	v_or_b32_e32 v5, 0x80000000, v5
	v_xor_b32_e32 v5, v5, v15
	v_xor_b32_e32 v7, v7, v14
	v_cmp_le_u32_e32 vcc, v7, v5
	s_andn2_b64 s[22:23], s[22:23], exec
	s_and_b64 s[26:27], vcc, exec
	s_or_b64 s[22:23], s[22:23], s[26:27]
.LBB1345_89:
	s_or_b64 exec, exec, s[24:25]
	v_cndmask_b32_e64 v14, v6, v4, s[22:23]
	v_cndmask_b32_e64 v5, v17, v16, s[22:23]
	v_mov_b32_e32 v15, 0
	v_add_u32_e32 v7, 1, v14
	v_add_u32_e32 v5, -1, v5
	v_lshlrev_b64 v[18:19], 3, v[14:15]
	v_min_u32_e32 v14, v7, v5
	v_lshlrev_b64 v[20:21], 2, v[14:15]
	v_add_co_u32_e32 v20, vcc, v32, v20
	v_addc_co_u32_e32 v21, vcc, v33, v21, vcc
	v_add_co_u32_e32 v18, vcc, v30, v18
	flat_load_dword v14, v[20:21]
	v_addc_co_u32_e32 v19, vcc, v31, v19, vcc
	flat_load_dwordx2 v[18:19], v[18:19]
	v_cndmask_b32_e64 v5, v7, v6, s[22:23]
	v_cndmask_b32_e64 v4, v4, v7, s[22:23]
	v_cmp_lt_u32_e32 vcc, v5, v17
	s_waitcnt vmcnt(0) lgkmcnt(0)
	v_cndmask_b32_e64 v6, v14, v0, s[22:23]
	v_cndmask_b32_e64 v7, v1, v14, s[22:23]
	s_and_saveexec_b64 s[24:25], vcc
	s_cbranch_execz .LBB1345_93
; %bb.90:
	v_cmp_lt_u32_e32 vcc, v4, v16
	s_mov_b64 s[26:27], 0
	s_and_saveexec_b64 s[16:17], vcc
; %bb.91:
	v_add_f32_e32 v14, 0, v6
	v_ashrrev_i32_e32 v21, 31, v14
	v_add_f32_e32 v20, 0, v7
	v_or_b32_e32 v21, 0x80000000, v21
	v_xor_b32_e32 v14, v21, v14
	v_ashrrev_i32_e32 v21, 31, v20
	v_or_b32_e32 v21, 0x80000000, v21
	v_xor_b32_e32 v20, v21, v20
	v_cmp_le_u32_e32 vcc, v14, v20
	s_and_b64 s[26:27], vcc, exec
; %bb.92:
	s_or_b64 exec, exec, s[16:17]
	s_orn2_b64 s[16:17], s[26:27], exec
.LBB1345_93:
	s_or_b64 exec, exec, s[24:25]
	v_cndmask_b32_e64 v14, v5, v4, s[16:17]
	v_cndmask_b32_e64 v22, v17, v16, s[16:17]
	v_lshlrev_b64 v[20:21], 3, v[14:15]
	v_add_u32_e32 v23, 1, v14
	v_add_u32_e32 v14, -1, v22
	v_min_u32_e32 v14, v23, v14
	v_lshlrev_b64 v[14:15], 2, v[14:15]
	v_add_co_u32_e32 v14, vcc, v32, v14
	v_addc_co_u32_e32 v15, vcc, v33, v15, vcc
	flat_load_dword v22, v[14:15]
	v_add_co_u32_e32 v14, vcc, v30, v20
	v_addc_co_u32_e32 v15, vcc, v31, v21, vcc
	flat_load_dwordx2 v[20:21], v[14:15]
	v_cndmask_b32_e64 v24, v23, v5, s[16:17]
	s_mov_b64 s[24:25], -1
	v_cndmask_b32_e64 v25, v4, v23, s[16:17]
	v_cmp_lt_u32_e32 vcc, v24, v17
	s_mov_b64 s[26:27], -1
	s_waitcnt vmcnt(0) lgkmcnt(0)
	v_cndmask_b32_e64 v14, v22, v6, s[16:17]
	v_cndmask_b32_e64 v15, v7, v22, s[16:17]
	s_and_saveexec_b64 s[28:29], vcc
	s_cbranch_execz .LBB1345_97
; %bb.94:
	v_cmp_lt_u32_e32 vcc, v25, v16
	s_mov_b64 s[30:31], 0
	s_and_saveexec_b64 s[26:27], vcc
; %bb.95:
	v_add_f32_e32 v4, 0, v14
	v_ashrrev_i32_e32 v22, 31, v4
	v_add_f32_e32 v5, 0, v15
	v_or_b32_e32 v22, 0x80000000, v22
	v_xor_b32_e32 v4, v22, v4
	v_ashrrev_i32_e32 v22, 31, v5
	v_or_b32_e32 v22, 0x80000000, v22
	v_xor_b32_e32 v5, v22, v5
	v_cmp_le_u32_e32 vcc, v4, v5
	s_and_b64 s[30:31], vcc, exec
; %bb.96:
	s_or_b64 exec, exec, s[26:27]
	s_orn2_b64 s[26:27], s[30:31], exec
.LBB1345_97:
	s_or_b64 exec, exec, s[28:29]
	v_cndmask_b32_e64 v4, v24, v25, s[26:27]
	v_cndmask_b32_e64 v26, v17, v16, s[26:27]
	v_mov_b32_e32 v5, 0
	v_lshlrev_b64 v[22:23], 3, v[4:5]
	v_add_u32_e32 v28, 1, v4
	v_add_u32_e32 v4, -1, v26
	v_min_u32_e32 v4, v28, v4
	v_lshlrev_b64 v[26:27], 2, v[4:5]
	v_add_co_u32_e32 v26, vcc, v32, v26
	v_addc_co_u32_e32 v27, vcc, v33, v27, vcc
	v_add_co_u32_e32 v22, vcc, v30, v22
	flat_load_dword v27, v[26:27]
	v_addc_co_u32_e32 v23, vcc, v31, v23, vcc
	flat_load_dwordx2 v[22:23], v[22:23]
	v_cndmask_b32_e64 v4, v28, v24, s[26:27]
	v_cndmask_b32_e64 v24, v25, v28, s[26:27]
	v_cmp_lt_u32_e32 vcc, v4, v17
	s_waitcnt vmcnt(0) lgkmcnt(0)
	v_cndmask_b32_e64 v26, v27, v14, s[26:27]
	v_cndmask_b32_e64 v28, v15, v27, s[26:27]
	s_and_saveexec_b64 s[28:29], vcc
	s_cbranch_execz .LBB1345_101
; %bb.98:
	v_cmp_lt_u32_e32 vcc, v24, v16
	s_mov_b64 s[30:31], 0
	s_and_saveexec_b64 s[24:25], vcc
; %bb.99:
	v_add_f32_e32 v16, 0, v26
	v_ashrrev_i32_e32 v25, 31, v16
	v_add_f32_e32 v17, 0, v28
	v_or_b32_e32 v25, 0x80000000, v25
	v_xor_b32_e32 v16, v25, v16
	v_ashrrev_i32_e32 v25, 31, v17
	v_or_b32_e32 v25, 0x80000000, v25
	v_xor_b32_e32 v17, v25, v17
	v_cmp_le_u32_e32 vcc, v16, v17
	s_and_b64 s[30:31], vcc, exec
; %bb.100:
	s_or_b64 exec, exec, s[24:25]
	s_orn2_b64 s[24:25], s[30:31], exec
.LBB1345_101:
	s_or_b64 exec, exec, s[28:29]
	v_cndmask_b32_e64 v4, v4, v24, s[24:25]
	v_lshlrev_b64 v[4:5], 3, v[4:5]
	v_add_co_u32_e32 v4, vcc, v30, v4
	v_addc_co_u32_e32 v5, vcc, v31, v5, vcc
	flat_load_dwordx2 v[24:25], v[4:5]
	v_cndmask_b32_e64 v27, v14, v15, s[26:27]
	v_cndmask_b32_e64 v14, v6, v7, s[16:17]
	;; [unrolled: 1-line block ×4, first 2 shown]
.LBB1345_102:
	s_or_b64 exec, exec, s[20:21]
	v_add_co_u32_e32 v0, vcc, v2, v12
	v_addc_co_u32_e32 v1, vcc, v3, v13, vcc
	v_add_co_u32_e32 v0, vcc, v0, v87
	v_addc_co_u32_e32 v1, vcc, 0, v1, vcc
	; wave barrier
	s_waitcnt lgkmcnt(0)
	s_barrier
	s_waitcnt lgkmcnt(0)
	; wave barrier
	s_and_saveexec_b64 s[16:17], s[4:5]
	s_cbranch_execnz .LBB1345_222
; %bb.103:
	s_or_b64 exec, exec, s[16:17]
	s_and_saveexec_b64 s[16:17], s[6:7]
	s_cbranch_execnz .LBB1345_223
.LBB1345_104:
	s_or_b64 exec, exec, s[16:17]
	s_and_saveexec_b64 s[16:17], s[10:11]
	s_cbranch_execnz .LBB1345_224
.LBB1345_105:
	s_or_b64 exec, exec, s[16:17]
	s_and_saveexec_b64 s[16:17], s[14:15]
	s_cbranch_execz .LBB1345_107
.LBB1345_106:
	flat_store_dword v[0:1], v82 offset:12
.LBB1345_107:
	s_or_b64 exec, exec, s[16:17]
	v_add_co_u32_e32 v0, vcc, v8, v10
	v_addc_co_u32_e32 v1, vcc, v9, v11, vcc
	v_add_co_u32_e32 v0, vcc, v0, v97
	v_addc_co_u32_e32 v1, vcc, 0, v1, vcc
	; wave barrier
	s_and_saveexec_b64 s[16:17], s[4:5]
	s_cbranch_execnz .LBB1345_225
; %bb.108:
	s_or_b64 exec, exec, s[16:17]
	s_and_saveexec_b64 s[16:17], s[6:7]
	s_cbranch_execnz .LBB1345_226
.LBB1345_109:
	s_or_b64 exec, exec, s[16:17]
	s_and_saveexec_b64 s[6:7], s[10:11]
	s_cbranch_execz .LBB1345_111
.LBB1345_110:
	flat_store_dwordx2 v[0:1], v[22:23] offset:16
.LBB1345_111:
	s_or_b64 exec, exec, s[6:7]
	s_and_b64 s[16:17], s[14:15], exec
                                        ; implicit-def: $vgpr17
                                        ; implicit-def: $vgpr96
                                        ; implicit-def: $vgpr0_vgpr1
                                        ; implicit-def: $vgpr4
                                        ; implicit-def: $vgpr5
                                        ; implicit-def: $vgpr6
                                        ; implicit-def: $vgpr7
                                        ; implicit-def: $vgpr10
                                        ; implicit-def: $vgpr15
                                        ; implicit-def: $vgpr16
                                        ; implicit-def: $vgpr12_vgpr13
                                        ; implicit-def: $vgpr87
                                        ; implicit-def: $vgpr31
	s_andn2_saveexec_b64 s[18:19], s[18:19]
	s_cbranch_execz .LBB1345_2
.LBB1345_112:
	v_mov_b32_e32 v14, -1
	v_mov_b32_e32 v85, -1
	s_and_saveexec_b64 s[6:7], s[4:5]
	s_cbranch_execz .LBB1345_114
; %bb.113:
	flat_load_dword v85, v[0:1]
.LBB1345_114:
	s_or_b64 exec, exec, s[6:7]
	v_or_b32_e32 v2, 1, v86
	v_cmp_lt_u32_e64 s[6:7], v2, v17
	s_and_saveexec_b64 s[10:11], s[6:7]
	s_cbranch_execz .LBB1345_116
; %bb.115:
	flat_load_dword v14, v[0:1] offset:4
.LBB1345_116:
	s_or_b64 exec, exec, s[10:11]
	v_or_b32_e32 v2, 2, v86
	v_cmp_lt_u32_e64 s[10:11], v2, v17
	v_mov_b32_e32 v82, -1
	v_mov_b32_e32 v27, -1
	s_and_saveexec_b64 s[14:15], s[10:11]
	s_cbranch_execz .LBB1345_118
; %bb.117:
	flat_load_dword v27, v[0:1] offset:8
.LBB1345_118:
	s_or_b64 exec, exec, s[14:15]
	v_or_b32_e32 v2, 3, v86
	v_cmp_lt_u32_e64 s[14:15], v2, v17
	s_and_saveexec_b64 s[20:21], s[14:15]
	s_cbranch_execz .LBB1345_120
; %bb.119:
	flat_load_dword v82, v[0:1] offset:12
.LBB1345_120:
	s_or_b64 exec, exec, s[20:21]
	v_lshlrev_b64 v[8:9], 3, v[80:81]
	v_add_co_u32_e32 v0, vcc, v6, v8
	v_addc_co_u32_e32 v1, vcc, v7, v9, vcc
	v_lshlrev_b32_e32 v97, 3, v86
	v_add_co_u32_e32 v0, vcc, v0, v97
	v_addc_co_u32_e32 v1, vcc, 0, v1, vcc
	; wave barrier
                                        ; implicit-def: $vgpr18_vgpr19_vgpr20_vgpr21_vgpr22_vgpr23_vgpr24_vgpr25
	s_and_saveexec_b64 s[20:21], s[4:5]
	s_cbranch_execnz .LBB1345_227
; %bb.121:
	s_or_b64 exec, exec, s[20:21]
	s_and_saveexec_b64 s[20:21], s[6:7]
	s_cbranch_execnz .LBB1345_228
.LBB1345_122:
	s_or_b64 exec, exec, s[20:21]
	s_and_saveexec_b64 s[20:21], s[10:11]
	s_cbranch_execnz .LBB1345_229
.LBB1345_123:
	s_or_b64 exec, exec, s[20:21]
	s_and_saveexec_b64 s[20:21], s[14:15]
	s_cbranch_execz .LBB1345_125
.LBB1345_124:
	s_waitcnt vmcnt(0)
	flat_load_dwordx2 v[24:25], v[0:1] offset:24
.LBB1345_125:
	s_or_b64 exec, exec, s[20:21]
	; wave barrier
	s_load_dwordx2 s[20:21], s[8:9], 0x0
	v_mov_b32_e32 v0, 0
	v_bfe_u32 v6, v31, 20, 10
	v_and_b32_e32 v7, 0x3ff, v31
	s_waitcnt vmcnt(0) lgkmcnt(0)
	v_mov_b32_e32 v2, v27
	s_cmp_lt_u32 s12, s20
	s_cselect_b32 s20, 12, 18
	s_cmp_lt_u32 s13, s21
	s_cselect_b32 s12, 14, 20
	s_add_u32 s12, s8, s12
	s_addc_u32 s13, s9, 0
	s_add_u32 s8, s8, s20
	s_addc_u32 s9, s9, 0
	global_load_ushort v1, v0, s[12:13]
	global_load_ushort v3, v0, s[8:9]
	v_bfe_u32 v0, v31, 10, 10
	s_movk_i32 s8, 0x400
	s_waitcnt vmcnt(1)
	v_mad_u32_u24 v0, v6, v1, v0
	s_waitcnt vmcnt(0)
	v_mul_lo_u32 v0, v0, v3
	v_add_lshl_u32 v17, v0, v7, 2
	v_cmp_gt_u32_e32 vcc, s8, v17
	v_mov_b32_e32 v3, v14
	s_and_saveexec_b64 s[12:13], vcc
	s_cbranch_execz .LBB1345_137
; %bb.126:
	v_mov_b32_e32 v84, v14
	v_pk_add_f32 v[0:1], v[84:85], 0 op_sel_hi:[1,0]
	v_ashrrev_i32_e32 v2, 31, v1
	v_ashrrev_i32_e32 v3, 31, v0
	v_or_b32_e32 v3, 0x80000000, v3
	v_or_b32_e32 v2, 0x80000000, v2
	v_xor_b32_e32 v1, v2, v1
	v_xor_b32_e32 v0, v3, v0
	v_cmp_gt_u32_e32 vcc, v0, v1
	v_mov_b32_e32 v83, v27
	v_cndmask_b32_e32 v7, v21, v19, vcc
	v_cndmask_b32_e32 v6, v20, v18, vcc
	v_cndmask_b32_e32 v1, v19, v21, vcc
	v_cndmask_b32_e32 v0, v18, v20, vcc
	v_pk_add_f32 v[18:19], v[82:83], 0 op_sel_hi:[1,0]
	v_ashrrev_i32_e32 v2, 31, v18
	v_ashrrev_i32_e32 v3, 31, v19
	v_or_b32_e32 v20, 0x80000000, v3
	v_or_b32_e32 v2, 0x80000000, v2
	v_xor_b32_e32 v3, v2, v18
	v_xor_b32_e32 v19, v20, v19
	v_cmp_gt_u32_e64 s[8:9], v3, v19
	v_mov_b32_e32 v2, v27
	s_and_saveexec_b64 s[20:21], s[8:9]
; %bb.127:
	v_pk_mov_b32 v[20:21], v[22:23], v[22:23] op_sel:[0,1]
	v_mov_b32_e32 v2, v82
	v_mov_b32_e32 v82, v27
	;; [unrolled: 1-line block ×3, first 2 shown]
	v_pk_mov_b32 v[22:23], v[24:25], v[24:25] op_sel:[0,1]
	v_pk_mov_b32 v[24:25], v[20:21], v[20:21] op_sel:[0,1]
; %bb.128:
	s_or_b64 exec, exec, s[20:21]
	v_cndmask_b32_e32 v18, v14, v85, vcc
	v_add_f32_e32 v3, 0, v18
	v_ashrrev_i32_e32 v20, 31, v3
	v_or_b32_e32 v20, 0x80000000, v20
	v_xor_b32_e32 v3, v20, v3
	v_cmp_le_u32_e64 s[8:9], v19, v3
                                        ; implicit-def: $vgpr83
	s_and_saveexec_b64 s[20:21], s[8:9]
	s_xor_b64 s[8:9], exec, s[20:21]
                                        ; implicit-def: $vgpr32_vgpr33_vgpr34_vgpr35_vgpr36_vgpr37_vgpr38_vgpr39
                                        ; implicit-def: $vgpr48_vgpr49_vgpr50_vgpr51_vgpr52_vgpr53_vgpr54_vgpr55
                                        ; implicit-def: $vgpr26_vgpr27_vgpr28_vgpr29_vgpr30_vgpr31_vgpr32_vgpr33
                                        ; implicit-def: $vgpr64_vgpr65_vgpr66_vgpr67_vgpr68_vgpr69_vgpr70_vgpr71
; %bb.129:
	v_add_f32_e32 v19, 0, v2
	v_ashrrev_i32_e32 v20, 31, v19
	v_or_b32_e32 v20, 0x80000000, v20
	v_mov_b32_e32 v28, v6
	v_mov_b32_e32 v35, v7
	;; [unrolled: 1-line block ×6, first 2 shown]
	v_xor_b32_e32 v83, v20, v19
                                        ; implicit-def: $vgpr22_vgpr23
                                        ; implicit-def: $vgpr19
; %bb.130:
	s_or_saveexec_b64 s[8:9], s[8:9]
	v_mov_b32_e32 v26, v18
	s_xor_b64 exec, exec, s[8:9]
; %bb.131:
	v_mov_b32_e32 v28, v22
	v_mov_b32_e32 v35, v23
	;; [unrolled: 1-line block ×8, first 2 shown]
; %bb.132:
	s_or_b64 exec, exec, s[8:9]
	v_cndmask_b32_e32 v27, v85, v14, vcc
	v_add_f32_e32 v14, 0, v27
	v_ashrrev_i32_e32 v18, 31, v14
	v_or_b32_e32 v18, 0x80000000, v18
	v_xor_b32_e32 v14, v18, v14
	v_cmp_gt_u32_e32 vcc, v3, v14
	v_cndmask_b32_e32 v20, v28, v0, vcc
	v_cndmask_b32_e32 v18, v0, v28, vcc
	v_add_f32_e32 v0, 0, v82
	v_cndmask_b32_e32 v21, v35, v1, vcc
	v_cndmask_b32_e32 v19, v1, v35, vcc
	v_ashrrev_i32_e32 v1, 31, v0
	v_or_b32_e32 v1, 0x80000000, v1
	v_xor_b32_e32 v1, v1, v0
	v_mov_b32_e32 v22, v6
	v_mov_b32_e32 v23, v7
	;; [unrolled: 1-line block ×4, first 2 shown]
	v_cmp_gt_u32_e64 s[8:9], v1, v83
	v_mov_b32_e32 v0, v2
	s_and_saveexec_b64 s[20:21], s[8:9]
	s_cbranch_execz .LBB1345_134
; %bb.133:
	v_mov_b32_e32 v28, v18
	v_mov_b32_e32 v29, v19
	v_mov_b32_e32 v30, v20
	v_mov_b32_e32 v31, v21
	v_mov_b32_e32 v32, v24
	v_mov_b32_e32 v33, v25
	v_mov_b32_e32 v34, v22
	v_mov_b32_e32 v35, v23
	v_pk_mov_b32 v[18:19], v[28:29], v[28:29] op_sel:[0,1]
	v_mov_b32_e32 v0, v82
	v_mov_b32_e32 v82, v2
	v_pk_mov_b32 v[20:21], v[30:31], v[30:31] op_sel:[0,1]
	v_pk_mov_b32 v[22:23], v[32:33], v[32:33] op_sel:[0,1]
	;; [unrolled: 1-line block ×3, first 2 shown]
	v_mov_b32_e32 v83, v1
.LBB1345_134:
	s_or_b64 exec, exec, s[20:21]
	v_cndmask_b32_e32 v1, v26, v27, vcc
	v_add_f32_e32 v2, 0, v1
	v_ashrrev_i32_e32 v3, 31, v2
	v_or_b32_e32 v3, 0x80000000, v3
	v_xor_b32_e32 v2, v3, v2
	v_cmp_gt_u32_e64 s[8:9], v83, v2
	v_mov_b32_e32 v14, v1
	v_pk_mov_b32 v[2:3], v[0:1], v[0:1] op_sel:[0,1]
	s_and_saveexec_b64 s[20:21], s[8:9]
	s_cbranch_execz .LBB1345_136
; %bb.135:
	v_mov_b32_e32 v28, v18
	v_mov_b32_e32 v29, v19
	;; [unrolled: 1-line block ×8, first 2 shown]
	v_pk_mov_b32 v[18:19], v[28:29], v[28:29] op_sel:[0,1]
	v_mov_b32_e32 v2, v1
	v_mov_b32_e32 v3, v0
	;; [unrolled: 1-line block ×4, first 2 shown]
	v_pk_mov_b32 v[20:21], v[30:31], v[30:31] op_sel:[0,1]
	v_pk_mov_b32 v[22:23], v[32:33], v[32:33] op_sel:[0,1]
	;; [unrolled: 1-line block ×3, first 2 shown]
.LBB1345_136:
	s_or_b64 exec, exec, s[20:21]
	v_cndmask_b32_e32 v85, v27, v26, vcc
	v_mov_b32_e32 v27, v0
.LBB1345_137:
	s_or_b64 exec, exec, s[12:13]
	v_and_b32_e32 v28, 0xffffff00, v17
	v_mov_b32_e32 v29, 0
	v_lshlrev_b64 v[0:1], 2, v[28:29]
	v_add_co_u32_e32 v32, vcc, v15, v0
	v_addc_co_u32_e32 v33, vcc, v16, v1, vcc
	v_lshlrev_b64 v[0:1], 3, v[28:29]
	v_add_co_u32_e32 v0, vcc, v15, v0
	v_addc_co_u32_e32 v1, vcc, v16, v1, vcc
	v_add_co_u32_e32 v30, vcc, 0x1000, v0
	v_addc_co_u32_e32 v31, vcc, 0, v1, vcc
	v_lshlrev_b32_e32 v0, 2, v96
	v_add_co_u32_e32 v16, vcc, v32, v0
	v_addc_co_u32_e32 v17, vcc, 0, v33, vcc
	v_lshlrev_b32_e32 v0, 3, v96
	v_add_co_u32_e32 v6, vcc, v30, v0
	s_movk_i32 s8, 0x400
	v_addc_co_u32_e32 v7, vcc, 0, v31, vcc
	v_mov_b32_e32 v0, v85
	v_mov_b32_e32 v1, v3
	;; [unrolled: 1-line block ×3, first 2 shown]
	v_sub_u32_e64 v34, s8, v28 clamp
	flat_store_dwordx4 v[6:7], v[18:21]
	flat_store_dwordx4 v[16:17], v[0:3]
	flat_store_dwordx4 v[6:7], v[22:25] offset:16
	v_or_b32_e32 v1, 4, v96
	v_min_u32_e32 v35, v34, v1
	v_add_u32_e32 v1, 4, v35
	v_and_b32_e32 v0, 0x1f8, v96
	v_min_u32_e32 v36, v34, v1
	v_and_b32_e32 v1, 4, v96
	v_min_u32_e32 v1, v34, v1
	v_sub_u32_e32 v2, v35, v0
	v_sub_u32_e32 v3, v36, v35
	v_sub_u32_e64 v3, v1, v3 clamp
	v_min_u32_e32 v2, v1, v2
	v_cmp_lt_u32_e32 vcc, v3, v2
	; wave barrier
	s_and_saveexec_b64 s[8:9], vcc
	s_cbranch_execz .LBB1345_141
; %bb.138:
	v_lshlrev_b32_e32 v15, 2, v0
	v_add_co_u32_e32 v15, vcc, v32, v15
	v_addc_co_u32_e32 v26, vcc, 0, v33, vcc
	v_lshlrev_b32_e32 v28, 2, v35
	v_add_co_u32_e32 v37, vcc, v32, v28
	v_addc_co_u32_e32 v38, vcc, 0, v33, vcc
	s_mov_b64 s[12:13], 0
.LBB1345_139:                           ; =>This Inner Loop Header: Depth=1
	v_add_u32_e32 v28, v2, v3
	v_lshrrev_b32_e32 v28, 1, v28
	v_lshlrev_b64 v[50:51], 2, v[28:29]
	v_mov_b32_e32 v49, v29
	v_xad_u32 v48, v28, -1, v1
	v_add_co_u32_e32 v50, vcc, v15, v50
	v_addc_co_u32_e32 v51, vcc, v26, v51, vcc
	v_lshlrev_b64 v[48:49], 2, v[48:49]
	v_add_co_u32_e32 v48, vcc, v37, v48
	v_addc_co_u32_e32 v49, vcc, v38, v49, vcc
	flat_load_dword v53, v[50:51]
	flat_load_dword v52, v[48:49]
	v_add_u32_e32 v39, 1, v28
	s_waitcnt vmcnt(0) lgkmcnt(0)
	v_pk_add_f32 v[48:49], v[52:53], 0 op_sel_hi:[1,0]
	v_ashrrev_i32_e32 v50, 31, v49
	v_ashrrev_i32_e32 v51, 31, v48
	v_or_b32_e32 v51, 0x80000000, v51
	v_or_b32_e32 v50, 0x80000000, v50
	v_xor_b32_e32 v49, v50, v49
	v_xor_b32_e32 v48, v51, v48
	v_cmp_gt_u32_e32 vcc, v48, v49
	v_cndmask_b32_e32 v2, v2, v28, vcc
	v_cndmask_b32_e32 v3, v39, v3, vcc
	v_cmp_ge_u32_e32 vcc, v3, v2
	s_or_b64 s[12:13], vcc, s[12:13]
	s_andn2_b64 exec, exec, s[12:13]
	s_cbranch_execnz .LBB1345_139
; %bb.140:
	s_or_b64 exec, exec, s[12:13]
.LBB1345_141:
	s_or_b64 exec, exec, s[8:9]
	v_add_u32_e32 v2, v3, v0
	v_add_u32_e32 v0, v35, v1
	v_sub_u32_e32 v26, v0, v3
	v_cmp_le_u32_e32 vcc, v2, v35
	v_cmp_le_u32_e64 s[8:9], v26, v36
	s_or_b64 s[8:9], vcc, s[8:9]
	s_and_saveexec_b64 s[12:13], s[8:9]
	s_cbranch_execz .LBB1345_161
; %bb.142:
	v_cmp_ge_u32_e32 vcc, v2, v35
	v_cmp_lt_u32_e64 s[8:9], v2, v35
                                        ; implicit-def: $vgpr1
	s_and_saveexec_b64 s[20:21], s[8:9]
	s_cbranch_execz .LBB1345_144
; %bb.143:
	v_mov_b32_e32 v3, 0
	v_lshlrev_b64 v[0:1], 2, v[2:3]
	v_add_co_u32_e64 v0, s[8:9], v32, v0
	v_addc_co_u32_e64 v1, s[8:9], v33, v1, s[8:9]
	flat_load_dword v1, v[0:1]
.LBB1345_144:
	s_or_b64 exec, exec, s[20:21]
	v_cmp_ge_u32_e64 s[20:21], v26, v36
	v_cmp_lt_u32_e64 s[8:9], v26, v36
	s_and_saveexec_b64 s[22:23], s[8:9]
	s_cbranch_execz .LBB1345_146
; %bb.145:
	v_mov_b32_e32 v27, 0
	v_lshlrev_b64 v[14:15], 2, v[26:27]
	v_add_co_u32_e64 v14, s[8:9], v32, v14
	v_addc_co_u32_e64 v15, s[8:9], v33, v15, s[8:9]
	flat_load_dword v0, v[14:15]
.LBB1345_146:
	s_or_b64 exec, exec, s[22:23]
	s_or_b64 s[22:23], vcc, s[20:21]
	s_mov_b64 s[8:9], -1
	s_xor_b64 s[24:25], s[22:23], -1
	s_and_saveexec_b64 s[22:23], s[24:25]
	s_cbranch_execz .LBB1345_148
; %bb.147:
	s_waitcnt vmcnt(0) lgkmcnt(0)
	v_pk_add_f32 v[14:15], v[0:1], 0 op_sel_hi:[1,0]
	v_ashrrev_i32_e32 v3, 31, v15
	v_ashrrev_i32_e32 v18, 31, v14
	v_or_b32_e32 v18, 0x80000000, v18
	v_or_b32_e32 v3, 0x80000000, v3
	v_xor_b32_e32 v3, v3, v15
	v_xor_b32_e32 v14, v18, v14
	v_cmp_le_u32_e32 vcc, v14, v3
	s_andn2_b64 s[20:21], s[20:21], exec
	s_and_b64 s[24:25], vcc, exec
	s_or_b64 s[20:21], s[20:21], s[24:25]
.LBB1345_148:
	s_or_b64 exec, exec, s[22:23]
	v_cndmask_b32_e64 v14, v26, v2, s[20:21]
	v_cndmask_b32_e64 v3, v36, v35, s[20:21]
	v_mov_b32_e32 v15, 0
	v_add_u32_e32 v22, 1, v14
	v_add_u32_e32 v3, -1, v3
	v_lshlrev_b64 v[18:19], 3, v[14:15]
	v_min_u32_e32 v14, v22, v3
	v_lshlrev_b64 v[20:21], 2, v[14:15]
	v_add_co_u32_e32 v20, vcc, v32, v20
	v_addc_co_u32_e32 v21, vcc, v33, v21, vcc
	v_add_co_u32_e32 v18, vcc, v30, v18
	flat_load_dword v14, v[20:21]
	v_addc_co_u32_e32 v19, vcc, v31, v19, vcc
	flat_load_dwordx2 v[18:19], v[18:19]
	v_cndmask_b32_e64 v3, v22, v26, s[20:21]
	v_cndmask_b32_e64 v2, v2, v22, s[20:21]
	v_cmp_lt_u32_e32 vcc, v3, v36
	s_waitcnt vmcnt(0) lgkmcnt(0)
	v_cndmask_b32_e64 v26, v14, v0, s[20:21]
	v_cndmask_b32_e64 v28, v1, v14, s[20:21]
	s_and_saveexec_b64 s[22:23], vcc
	s_cbranch_execz .LBB1345_152
; %bb.149:
	v_cmp_lt_u32_e32 vcc, v2, v35
	s_mov_b64 s[24:25], 0
	s_and_saveexec_b64 s[8:9], vcc
; %bb.150:
	v_add_f32_e32 v14, 0, v26
	v_ashrrev_i32_e32 v21, 31, v14
	v_add_f32_e32 v20, 0, v28
	v_or_b32_e32 v21, 0x80000000, v21
	v_xor_b32_e32 v14, v21, v14
	v_ashrrev_i32_e32 v21, 31, v20
	v_or_b32_e32 v21, 0x80000000, v21
	v_xor_b32_e32 v20, v21, v20
	v_cmp_le_u32_e32 vcc, v14, v20
	s_and_b64 s[24:25], vcc, exec
; %bb.151:
	s_or_b64 exec, exec, s[8:9]
	s_orn2_b64 s[8:9], s[24:25], exec
.LBB1345_152:
	s_or_b64 exec, exec, s[22:23]
	v_cndmask_b32_e64 v14, v3, v2, s[8:9]
	v_cndmask_b32_e64 v22, v36, v35, s[8:9]
	v_lshlrev_b64 v[20:21], 3, v[14:15]
	v_add_u32_e32 v23, 1, v14
	v_add_u32_e32 v14, -1, v22
	v_min_u32_e32 v14, v23, v14
	v_lshlrev_b64 v[14:15], 2, v[14:15]
	v_add_co_u32_e32 v14, vcc, v32, v14
	v_addc_co_u32_e32 v15, vcc, v33, v15, vcc
	flat_load_dword v22, v[14:15]
	v_add_co_u32_e32 v14, vcc, v30, v20
	v_addc_co_u32_e32 v15, vcc, v31, v21, vcc
	flat_load_dwordx2 v[20:21], v[14:15]
	v_cndmask_b32_e64 v24, v23, v3, s[8:9]
	s_mov_b64 s[22:23], -1
	v_cndmask_b32_e64 v25, v2, v23, s[8:9]
	v_cmp_lt_u32_e32 vcc, v24, v36
	s_mov_b64 s[24:25], -1
	s_waitcnt vmcnt(0) lgkmcnt(0)
	v_cndmask_b32_e64 v14, v22, v26, s[8:9]
	v_cndmask_b32_e64 v15, v28, v22, s[8:9]
	s_and_saveexec_b64 s[26:27], vcc
	s_cbranch_execz .LBB1345_156
; %bb.153:
	v_cmp_lt_u32_e32 vcc, v25, v35
	s_mov_b64 s[28:29], 0
	s_and_saveexec_b64 s[24:25], vcc
; %bb.154:
	v_add_f32_e32 v2, 0, v14
	v_ashrrev_i32_e32 v22, 31, v2
	v_add_f32_e32 v3, 0, v15
	v_or_b32_e32 v22, 0x80000000, v22
	v_xor_b32_e32 v2, v22, v2
	v_ashrrev_i32_e32 v22, 31, v3
	v_or_b32_e32 v22, 0x80000000, v22
	v_xor_b32_e32 v3, v22, v3
	v_cmp_le_u32_e32 vcc, v2, v3
	s_and_b64 s[28:29], vcc, exec
; %bb.155:
	s_or_b64 exec, exec, s[24:25]
	s_orn2_b64 s[24:25], s[28:29], exec
.LBB1345_156:
	s_or_b64 exec, exec, s[26:27]
	v_cndmask_b32_e64 v2, v24, v25, s[24:25]
	v_cndmask_b32_e64 v27, v36, v35, s[24:25]
	v_mov_b32_e32 v3, 0
	v_lshlrev_b64 v[22:23], 3, v[2:3]
	v_add_u32_e32 v29, 1, v2
	v_add_u32_e32 v2, -1, v27
	v_min_u32_e32 v2, v29, v2
	v_lshlrev_b64 v[38:39], 2, v[2:3]
	v_add_co_u32_e32 v38, vcc, v32, v38
	v_addc_co_u32_e32 v39, vcc, v33, v39, vcc
	v_add_co_u32_e32 v22, vcc, v30, v22
	flat_load_dword v27, v[38:39]
	v_addc_co_u32_e32 v23, vcc, v31, v23, vcc
	flat_load_dwordx2 v[22:23], v[22:23]
	v_cndmask_b32_e64 v2, v29, v24, s[24:25]
	v_cndmask_b32_e64 v24, v25, v29, s[24:25]
	v_cmp_lt_u32_e32 vcc, v2, v36
	s_waitcnt vmcnt(0) lgkmcnt(0)
	v_cndmask_b32_e64 v29, v27, v14, s[24:25]
	v_cndmask_b32_e64 v37, v15, v27, s[24:25]
	s_and_saveexec_b64 s[26:27], vcc
	s_cbranch_execz .LBB1345_160
; %bb.157:
	v_cmp_lt_u32_e32 vcc, v24, v35
	s_mov_b64 s[28:29], 0
	s_and_saveexec_b64 s[22:23], vcc
; %bb.158:
	v_add_f32_e32 v25, 0, v29
	v_ashrrev_i32_e32 v35, 31, v25
	v_add_f32_e32 v27, 0, v37
	v_or_b32_e32 v35, 0x80000000, v35
	v_xor_b32_e32 v25, v35, v25
	v_ashrrev_i32_e32 v35, 31, v27
	v_or_b32_e32 v35, 0x80000000, v35
	v_xor_b32_e32 v27, v35, v27
	v_cmp_le_u32_e32 vcc, v25, v27
	s_and_b64 s[28:29], vcc, exec
; %bb.159:
	s_or_b64 exec, exec, s[22:23]
	s_orn2_b64 s[22:23], s[28:29], exec
.LBB1345_160:
	s_or_b64 exec, exec, s[26:27]
	v_cndmask_b32_e64 v2, v2, v24, s[22:23]
	v_lshlrev_b64 v[2:3], 3, v[2:3]
	v_add_co_u32_e32 v2, vcc, v30, v2
	v_addc_co_u32_e32 v3, vcc, v31, v3, vcc
	flat_load_dwordx2 v[24:25], v[2:3]
	v_cndmask_b32_e64 v27, v14, v15, s[24:25]
	v_cndmask_b32_e64 v14, v26, v28, s[8:9]
	;; [unrolled: 1-line block ×4, first 2 shown]
.LBB1345_161:
	s_or_b64 exec, exec, s[12:13]
	v_mov_b32_e32 v0, v85
	v_mov_b32_e32 v1, v14
	;; [unrolled: 1-line block ×4, first 2 shown]
	; wave barrier
	flat_store_dwordx4 v[6:7], v[18:21]
	flat_store_dwordx4 v[16:17], v[0:3]
	s_waitcnt vmcnt(0) lgkmcnt(0)
	flat_store_dwordx4 v[6:7], v[22:25] offset:16
	v_and_b32_e32 v2, 0x1f0, v96
	v_or_b32_e32 v0, 8, v2
	v_min_u32_e32 v28, v34, v0
	v_add_u32_e32 v0, 8, v28
	v_min_u32_e32 v29, v34, v0
	v_and_b32_e32 v0, 12, v96
	v_min_u32_e32 v3, v34, v0
	v_sub_u32_e32 v0, v28, v2
	v_sub_u32_e32 v1, v29, v28
	v_sub_u32_e64 v15, v3, v1 clamp
	v_min_u32_e32 v26, v3, v0
	v_cmp_lt_u32_e32 vcc, v15, v26
	; wave barrier
	s_and_saveexec_b64 s[8:9], vcc
	s_cbranch_execz .LBB1345_165
; %bb.162:
	v_lshlrev_b32_e32 v0, 2, v2
	v_add_co_u32_e32 v35, vcc, v32, v0
	v_addc_co_u32_e32 v36, vcc, 0, v33, vcc
	v_lshlrev_b32_e32 v0, 2, v28
	v_add_co_u32_e32 v37, vcc, v32, v0
	v_addc_co_u32_e32 v38, vcc, 0, v33, vcc
	s_mov_b64 s[12:13], 0
	v_mov_b32_e32 v1, 0
.LBB1345_163:                           ; =>This Inner Loop Header: Depth=1
	v_add_u32_e32 v0, v26, v15
	v_lshrrev_b32_e32 v0, 1, v0
	v_lshlrev_b64 v[50:51], 2, v[0:1]
	v_mov_b32_e32 v49, v1
	v_xad_u32 v48, v0, -1, v3
	v_add_co_u32_e32 v50, vcc, v35, v50
	v_addc_co_u32_e32 v51, vcc, v36, v51, vcc
	v_lshlrev_b64 v[48:49], 2, v[48:49]
	v_add_co_u32_e32 v48, vcc, v37, v48
	v_addc_co_u32_e32 v49, vcc, v38, v49, vcc
	flat_load_dword v53, v[50:51]
	flat_load_dword v52, v[48:49]
	v_add_u32_e32 v39, 1, v0
	s_waitcnt vmcnt(0) lgkmcnt(0)
	v_pk_add_f32 v[48:49], v[52:53], 0 op_sel_hi:[1,0]
	v_ashrrev_i32_e32 v50, 31, v49
	v_ashrrev_i32_e32 v51, 31, v48
	v_or_b32_e32 v51, 0x80000000, v51
	v_or_b32_e32 v50, 0x80000000, v50
	v_xor_b32_e32 v49, v50, v49
	v_xor_b32_e32 v48, v51, v48
	v_cmp_gt_u32_e32 vcc, v48, v49
	v_cndmask_b32_e32 v26, v26, v0, vcc
	v_cndmask_b32_e32 v15, v39, v15, vcc
	v_cmp_ge_u32_e32 vcc, v15, v26
	s_or_b64 s[12:13], vcc, s[12:13]
	s_andn2_b64 exec, exec, s[12:13]
	s_cbranch_execnz .LBB1345_163
; %bb.164:
	s_or_b64 exec, exec, s[12:13]
.LBB1345_165:
	s_or_b64 exec, exec, s[8:9]
	v_add_u32_e32 v0, v28, v3
	v_add_u32_e32 v2, v15, v2
	v_sub_u32_e32 v26, v0, v15
	v_cmp_le_u32_e32 vcc, v2, v28
	v_cmp_le_u32_e64 s[8:9], v26, v29
	s_or_b64 s[8:9], vcc, s[8:9]
	s_and_saveexec_b64 s[12:13], s[8:9]
	s_cbranch_execz .LBB1345_185
; %bb.166:
	v_cmp_ge_u32_e32 vcc, v2, v28
	v_cmp_lt_u32_e64 s[8:9], v2, v28
                                        ; implicit-def: $vgpr1
	s_and_saveexec_b64 s[20:21], s[8:9]
	s_cbranch_execz .LBB1345_168
; %bb.167:
	v_mov_b32_e32 v3, 0
	v_lshlrev_b64 v[0:1], 2, v[2:3]
	v_add_co_u32_e64 v0, s[8:9], v32, v0
	v_addc_co_u32_e64 v1, s[8:9], v33, v1, s[8:9]
	flat_load_dword v1, v[0:1]
.LBB1345_168:
	s_or_b64 exec, exec, s[20:21]
	v_cmp_ge_u32_e64 s[20:21], v26, v29
	v_cmp_lt_u32_e64 s[8:9], v26, v29
	s_and_saveexec_b64 s[22:23], s[8:9]
	s_cbranch_execz .LBB1345_170
; %bb.169:
	v_mov_b32_e32 v27, 0
	v_lshlrev_b64 v[14:15], 2, v[26:27]
	v_add_co_u32_e64 v14, s[8:9], v32, v14
	v_addc_co_u32_e64 v15, s[8:9], v33, v15, s[8:9]
	flat_load_dword v0, v[14:15]
.LBB1345_170:
	s_or_b64 exec, exec, s[22:23]
	s_or_b64 s[22:23], vcc, s[20:21]
	s_mov_b64 s[8:9], -1
	s_xor_b64 s[24:25], s[22:23], -1
	s_and_saveexec_b64 s[22:23], s[24:25]
	s_cbranch_execz .LBB1345_172
; %bb.171:
	s_waitcnt vmcnt(0) lgkmcnt(0)
	v_pk_add_f32 v[14:15], v[0:1], 0 op_sel_hi:[1,0]
	v_ashrrev_i32_e32 v3, 31, v15
	v_ashrrev_i32_e32 v18, 31, v14
	v_or_b32_e32 v18, 0x80000000, v18
	v_or_b32_e32 v3, 0x80000000, v3
	v_xor_b32_e32 v3, v3, v15
	v_xor_b32_e32 v14, v18, v14
	v_cmp_le_u32_e32 vcc, v14, v3
	s_andn2_b64 s[20:21], s[20:21], exec
	s_and_b64 s[24:25], vcc, exec
	s_or_b64 s[20:21], s[20:21], s[24:25]
.LBB1345_172:
	s_or_b64 exec, exec, s[22:23]
	v_cndmask_b32_e64 v14, v26, v2, s[20:21]
	v_cndmask_b32_e64 v3, v29, v28, s[20:21]
	v_mov_b32_e32 v15, 0
	v_add_u32_e32 v22, 1, v14
	v_add_u32_e32 v3, -1, v3
	v_lshlrev_b64 v[18:19], 3, v[14:15]
	v_min_u32_e32 v14, v22, v3
	v_lshlrev_b64 v[20:21], 2, v[14:15]
	v_add_co_u32_e32 v20, vcc, v32, v20
	v_addc_co_u32_e32 v21, vcc, v33, v21, vcc
	v_add_co_u32_e32 v18, vcc, v30, v18
	flat_load_dword v14, v[20:21]
	v_addc_co_u32_e32 v19, vcc, v31, v19, vcc
	flat_load_dwordx2 v[18:19], v[18:19]
	v_cndmask_b32_e64 v3, v22, v26, s[20:21]
	v_cndmask_b32_e64 v2, v2, v22, s[20:21]
	v_cmp_lt_u32_e32 vcc, v3, v29
	s_waitcnt vmcnt(0) lgkmcnt(0)
	v_cndmask_b32_e64 v26, v14, v0, s[20:21]
	v_cndmask_b32_e64 v35, v1, v14, s[20:21]
	s_and_saveexec_b64 s[22:23], vcc
	s_cbranch_execz .LBB1345_176
; %bb.173:
	v_cmp_lt_u32_e32 vcc, v2, v28
	s_mov_b64 s[24:25], 0
	s_and_saveexec_b64 s[8:9], vcc
; %bb.174:
	v_add_f32_e32 v14, 0, v26
	v_ashrrev_i32_e32 v21, 31, v14
	v_add_f32_e32 v20, 0, v35
	v_or_b32_e32 v21, 0x80000000, v21
	v_xor_b32_e32 v14, v21, v14
	v_ashrrev_i32_e32 v21, 31, v20
	v_or_b32_e32 v21, 0x80000000, v21
	v_xor_b32_e32 v20, v21, v20
	v_cmp_le_u32_e32 vcc, v14, v20
	s_and_b64 s[24:25], vcc, exec
; %bb.175:
	s_or_b64 exec, exec, s[8:9]
	s_orn2_b64 s[8:9], s[24:25], exec
.LBB1345_176:
	s_or_b64 exec, exec, s[22:23]
	v_cndmask_b32_e64 v14, v3, v2, s[8:9]
	v_cndmask_b32_e64 v22, v29, v28, s[8:9]
	v_lshlrev_b64 v[20:21], 3, v[14:15]
	v_add_u32_e32 v23, 1, v14
	v_add_u32_e32 v14, -1, v22
	v_min_u32_e32 v14, v23, v14
	v_lshlrev_b64 v[14:15], 2, v[14:15]
	v_add_co_u32_e32 v14, vcc, v32, v14
	v_addc_co_u32_e32 v15, vcc, v33, v15, vcc
	flat_load_dword v22, v[14:15]
	v_add_co_u32_e32 v14, vcc, v30, v20
	v_addc_co_u32_e32 v15, vcc, v31, v21, vcc
	flat_load_dwordx2 v[20:21], v[14:15]
	v_cndmask_b32_e64 v24, v23, v3, s[8:9]
	s_mov_b64 s[22:23], -1
	v_cndmask_b32_e64 v25, v2, v23, s[8:9]
	v_cmp_lt_u32_e32 vcc, v24, v29
	s_mov_b64 s[24:25], -1
	s_waitcnt vmcnt(0) lgkmcnt(0)
	v_cndmask_b32_e64 v14, v22, v26, s[8:9]
	v_cndmask_b32_e64 v15, v35, v22, s[8:9]
	s_and_saveexec_b64 s[26:27], vcc
	s_cbranch_execz .LBB1345_180
; %bb.177:
	v_cmp_lt_u32_e32 vcc, v25, v28
	s_mov_b64 s[28:29], 0
	s_and_saveexec_b64 s[24:25], vcc
; %bb.178:
	v_add_f32_e32 v2, 0, v14
	v_ashrrev_i32_e32 v22, 31, v2
	v_add_f32_e32 v3, 0, v15
	v_or_b32_e32 v22, 0x80000000, v22
	v_xor_b32_e32 v2, v22, v2
	v_ashrrev_i32_e32 v22, 31, v3
	v_or_b32_e32 v22, 0x80000000, v22
	v_xor_b32_e32 v3, v22, v3
	v_cmp_le_u32_e32 vcc, v2, v3
	s_and_b64 s[28:29], vcc, exec
; %bb.179:
	s_or_b64 exec, exec, s[24:25]
	s_orn2_b64 s[24:25], s[28:29], exec
.LBB1345_180:
	s_or_b64 exec, exec, s[26:27]
	v_cndmask_b32_e64 v2, v24, v25, s[24:25]
	v_cndmask_b32_e64 v27, v29, v28, s[24:25]
	v_mov_b32_e32 v3, 0
	v_lshlrev_b64 v[22:23], 3, v[2:3]
	v_add_u32_e32 v38, 1, v2
	v_add_u32_e32 v2, -1, v27
	v_min_u32_e32 v2, v38, v2
	v_lshlrev_b64 v[36:37], 2, v[2:3]
	v_add_co_u32_e32 v36, vcc, v32, v36
	v_addc_co_u32_e32 v37, vcc, v33, v37, vcc
	v_add_co_u32_e32 v22, vcc, v30, v22
	flat_load_dword v27, v[36:37]
	v_addc_co_u32_e32 v23, vcc, v31, v23, vcc
	flat_load_dwordx2 v[22:23], v[22:23]
	v_cndmask_b32_e64 v2, v38, v24, s[24:25]
	v_cndmask_b32_e64 v24, v25, v38, s[24:25]
	v_cmp_lt_u32_e32 vcc, v2, v29
	s_waitcnt vmcnt(0) lgkmcnt(0)
	v_cndmask_b32_e64 v36, v27, v14, s[24:25]
	v_cndmask_b32_e64 v37, v15, v27, s[24:25]
	s_and_saveexec_b64 s[26:27], vcc
	s_cbranch_execz .LBB1345_184
; %bb.181:
	v_cmp_lt_u32_e32 vcc, v24, v28
	s_mov_b64 s[28:29], 0
	s_and_saveexec_b64 s[22:23], vcc
; %bb.182:
	v_add_f32_e32 v25, 0, v36
	v_ashrrev_i32_e32 v28, 31, v25
	v_add_f32_e32 v27, 0, v37
	v_or_b32_e32 v28, 0x80000000, v28
	v_xor_b32_e32 v25, v28, v25
	v_ashrrev_i32_e32 v28, 31, v27
	v_or_b32_e32 v28, 0x80000000, v28
	v_xor_b32_e32 v27, v28, v27
	v_cmp_le_u32_e32 vcc, v25, v27
	s_and_b64 s[28:29], vcc, exec
; %bb.183:
	s_or_b64 exec, exec, s[22:23]
	s_orn2_b64 s[22:23], s[28:29], exec
.LBB1345_184:
	s_or_b64 exec, exec, s[26:27]
	v_cndmask_b32_e64 v2, v2, v24, s[22:23]
	v_lshlrev_b64 v[2:3], 3, v[2:3]
	v_add_co_u32_e32 v2, vcc, v30, v2
	v_addc_co_u32_e32 v3, vcc, v31, v3, vcc
	flat_load_dwordx2 v[24:25], v[2:3]
	v_cndmask_b32_e64 v27, v14, v15, s[24:25]
	v_cndmask_b32_e64 v14, v26, v35, s[8:9]
	;; [unrolled: 1-line block ×4, first 2 shown]
.LBB1345_185:
	s_or_b64 exec, exec, s[12:13]
	v_mov_b32_e32 v0, v85
	v_mov_b32_e32 v1, v14
	;; [unrolled: 1-line block ×4, first 2 shown]
	; wave barrier
	flat_store_dwordx4 v[6:7], v[18:21]
	flat_store_dwordx4 v[16:17], v[0:3]
	s_waitcnt vmcnt(0) lgkmcnt(0)
	flat_store_dwordx4 v[6:7], v[22:25] offset:16
	v_and_b32_e32 v2, 0x1e0, v96
	v_or_b32_e32 v0, 16, v2
	v_min_u32_e32 v16, v34, v0
	v_add_u32_e32 v0, 16, v16
	v_min_u32_e32 v17, v34, v0
	v_min_u32_e32 v3, v34, v86
	v_sub_u32_e32 v0, v16, v2
	v_sub_u32_e32 v1, v17, v16
	v_sub_u32_e64 v6, v3, v1 clamp
	v_min_u32_e32 v7, v3, v0
	v_cmp_lt_u32_e32 vcc, v6, v7
	; wave barrier
	s_and_saveexec_b64 s[8:9], vcc
	s_cbranch_execz .LBB1345_189
; %bb.186:
	v_lshlrev_b32_e32 v0, 2, v2
	v_add_co_u32_e32 v15, vcc, v32, v0
	v_addc_co_u32_e32 v26, vcc, 0, v33, vcc
	v_lshlrev_b32_e32 v0, 2, v16
	v_add_co_u32_e32 v28, vcc, v32, v0
	v_addc_co_u32_e32 v29, vcc, 0, v33, vcc
	s_mov_b64 s[12:13], 0
	v_mov_b32_e32 v1, 0
.LBB1345_187:                           ; =>This Inner Loop Header: Depth=1
	v_add_u32_e32 v0, v7, v6
	v_lshrrev_b32_e32 v0, 1, v0
	v_lshlrev_b64 v[36:37], 2, v[0:1]
	v_mov_b32_e32 v35, v1
	v_xad_u32 v34, v0, -1, v3
	v_add_co_u32_e32 v36, vcc, v15, v36
	v_addc_co_u32_e32 v37, vcc, v26, v37, vcc
	v_lshlrev_b64 v[34:35], 2, v[34:35]
	v_add_co_u32_e32 v34, vcc, v28, v34
	v_addc_co_u32_e32 v35, vcc, v29, v35, vcc
	flat_load_dword v39, v[36:37]
	flat_load_dword v38, v[34:35]
	v_add_u32_e32 v36, 1, v0
	s_waitcnt vmcnt(0) lgkmcnt(0)
	v_pk_add_f32 v[34:35], v[38:39], 0 op_sel_hi:[1,0]
	v_ashrrev_i32_e32 v37, 31, v35
	v_ashrrev_i32_e32 v38, 31, v34
	v_or_b32_e32 v38, 0x80000000, v38
	v_or_b32_e32 v37, 0x80000000, v37
	v_xor_b32_e32 v35, v37, v35
	v_xor_b32_e32 v34, v38, v34
	v_cmp_gt_u32_e32 vcc, v34, v35
	v_cndmask_b32_e32 v7, v7, v0, vcc
	v_cndmask_b32_e32 v6, v36, v6, vcc
	v_cmp_ge_u32_e32 vcc, v6, v7
	s_or_b64 s[12:13], vcc, s[12:13]
	s_andn2_b64 exec, exec, s[12:13]
	s_cbranch_execnz .LBB1345_187
; %bb.188:
	s_or_b64 exec, exec, s[12:13]
.LBB1345_189:
	s_or_b64 exec, exec, s[8:9]
	v_add_u32_e32 v0, v16, v3
	v_add_u32_e32 v2, v6, v2
	v_sub_u32_e32 v6, v0, v6
	v_cmp_le_u32_e32 vcc, v2, v16
	v_cmp_le_u32_e64 s[8:9], v6, v17
	s_or_b64 s[8:9], vcc, s[8:9]
	s_and_saveexec_b64 s[12:13], s[8:9]
	s_cbranch_execz .LBB1345_209
; %bb.190:
	v_cmp_ge_u32_e32 vcc, v2, v16
	v_cmp_lt_u32_e64 s[8:9], v2, v16
                                        ; implicit-def: $vgpr1
	s_and_saveexec_b64 s[20:21], s[8:9]
	s_cbranch_execz .LBB1345_192
; %bb.191:
	v_mov_b32_e32 v3, 0
	v_lshlrev_b64 v[0:1], 2, v[2:3]
	v_add_co_u32_e64 v0, s[8:9], v32, v0
	v_addc_co_u32_e64 v1, s[8:9], v33, v1, s[8:9]
	flat_load_dword v1, v[0:1]
.LBB1345_192:
	s_or_b64 exec, exec, s[20:21]
	v_cmp_ge_u32_e64 s[20:21], v6, v17
	v_cmp_lt_u32_e64 s[8:9], v6, v17
	s_and_saveexec_b64 s[22:23], s[8:9]
	s_cbranch_execz .LBB1345_194
; %bb.193:
	v_mov_b32_e32 v7, 0
	v_lshlrev_b64 v[14:15], 2, v[6:7]
	v_add_co_u32_e64 v14, s[8:9], v32, v14
	v_addc_co_u32_e64 v15, s[8:9], v33, v15, s[8:9]
	flat_load_dword v0, v[14:15]
.LBB1345_194:
	s_or_b64 exec, exec, s[22:23]
	s_or_b64 s[22:23], vcc, s[20:21]
	s_mov_b64 s[8:9], -1
	s_xor_b64 s[24:25], s[22:23], -1
	s_and_saveexec_b64 s[22:23], s[24:25]
	s_cbranch_execz .LBB1345_196
; %bb.195:
	s_waitcnt vmcnt(0) lgkmcnt(0)
	v_pk_add_f32 v[14:15], v[0:1], 0 op_sel_hi:[1,0]
	v_ashrrev_i32_e32 v3, 31, v15
	v_ashrrev_i32_e32 v7, 31, v14
	v_or_b32_e32 v7, 0x80000000, v7
	v_or_b32_e32 v3, 0x80000000, v3
	v_xor_b32_e32 v3, v3, v15
	v_xor_b32_e32 v7, v7, v14
	v_cmp_le_u32_e32 vcc, v7, v3
	s_andn2_b64 s[20:21], s[20:21], exec
	s_and_b64 s[24:25], vcc, exec
	s_or_b64 s[20:21], s[20:21], s[24:25]
.LBB1345_196:
	s_or_b64 exec, exec, s[22:23]
	v_cndmask_b32_e64 v14, v6, v2, s[20:21]
	v_cndmask_b32_e64 v3, v17, v16, s[20:21]
	v_mov_b32_e32 v15, 0
	v_add_u32_e32 v7, 1, v14
	v_add_u32_e32 v3, -1, v3
	v_lshlrev_b64 v[18:19], 3, v[14:15]
	v_min_u32_e32 v14, v7, v3
	v_lshlrev_b64 v[20:21], 2, v[14:15]
	v_add_co_u32_e32 v20, vcc, v32, v20
	v_addc_co_u32_e32 v21, vcc, v33, v21, vcc
	v_add_co_u32_e32 v18, vcc, v30, v18
	flat_load_dword v14, v[20:21]
	v_addc_co_u32_e32 v19, vcc, v31, v19, vcc
	flat_load_dwordx2 v[18:19], v[18:19]
	v_cndmask_b32_e64 v3, v7, v6, s[20:21]
	v_cndmask_b32_e64 v2, v2, v7, s[20:21]
	v_cmp_lt_u32_e32 vcc, v3, v17
	s_waitcnt vmcnt(0) lgkmcnt(0)
	v_cndmask_b32_e64 v6, v14, v0, s[20:21]
	v_cndmask_b32_e64 v7, v1, v14, s[20:21]
	s_and_saveexec_b64 s[22:23], vcc
	s_cbranch_execz .LBB1345_200
; %bb.197:
	v_cmp_lt_u32_e32 vcc, v2, v16
	s_mov_b64 s[24:25], 0
	s_and_saveexec_b64 s[8:9], vcc
; %bb.198:
	v_add_f32_e32 v14, 0, v6
	v_ashrrev_i32_e32 v21, 31, v14
	v_add_f32_e32 v20, 0, v7
	v_or_b32_e32 v21, 0x80000000, v21
	v_xor_b32_e32 v14, v21, v14
	v_ashrrev_i32_e32 v21, 31, v20
	v_or_b32_e32 v21, 0x80000000, v21
	v_xor_b32_e32 v20, v21, v20
	v_cmp_le_u32_e32 vcc, v14, v20
	s_and_b64 s[24:25], vcc, exec
; %bb.199:
	s_or_b64 exec, exec, s[8:9]
	s_orn2_b64 s[8:9], s[24:25], exec
.LBB1345_200:
	s_or_b64 exec, exec, s[22:23]
	v_cndmask_b32_e64 v14, v3, v2, s[8:9]
	v_cndmask_b32_e64 v22, v17, v16, s[8:9]
	v_lshlrev_b64 v[20:21], 3, v[14:15]
	v_add_u32_e32 v23, 1, v14
	v_add_u32_e32 v14, -1, v22
	v_min_u32_e32 v14, v23, v14
	v_lshlrev_b64 v[14:15], 2, v[14:15]
	v_add_co_u32_e32 v14, vcc, v32, v14
	v_addc_co_u32_e32 v15, vcc, v33, v15, vcc
	flat_load_dword v22, v[14:15]
	v_add_co_u32_e32 v14, vcc, v30, v20
	v_addc_co_u32_e32 v15, vcc, v31, v21, vcc
	flat_load_dwordx2 v[20:21], v[14:15]
	v_cndmask_b32_e64 v24, v23, v3, s[8:9]
	s_mov_b64 s[22:23], -1
	v_cndmask_b32_e64 v25, v2, v23, s[8:9]
	v_cmp_lt_u32_e32 vcc, v24, v17
	s_mov_b64 s[24:25], -1
	s_waitcnt vmcnt(0) lgkmcnt(0)
	v_cndmask_b32_e64 v14, v22, v6, s[8:9]
	v_cndmask_b32_e64 v15, v7, v22, s[8:9]
	s_and_saveexec_b64 s[26:27], vcc
	s_cbranch_execz .LBB1345_204
; %bb.201:
	v_cmp_lt_u32_e32 vcc, v25, v16
	s_mov_b64 s[28:29], 0
	s_and_saveexec_b64 s[24:25], vcc
; %bb.202:
	v_add_f32_e32 v2, 0, v14
	v_ashrrev_i32_e32 v22, 31, v2
	v_add_f32_e32 v3, 0, v15
	v_or_b32_e32 v22, 0x80000000, v22
	v_xor_b32_e32 v2, v22, v2
	v_ashrrev_i32_e32 v22, 31, v3
	v_or_b32_e32 v22, 0x80000000, v22
	v_xor_b32_e32 v3, v22, v3
	v_cmp_le_u32_e32 vcc, v2, v3
	s_and_b64 s[28:29], vcc, exec
; %bb.203:
	s_or_b64 exec, exec, s[24:25]
	s_orn2_b64 s[24:25], s[28:29], exec
.LBB1345_204:
	s_or_b64 exec, exec, s[26:27]
	v_cndmask_b32_e64 v2, v24, v25, s[24:25]
	v_cndmask_b32_e64 v26, v17, v16, s[24:25]
	v_mov_b32_e32 v3, 0
	v_lshlrev_b64 v[22:23], 3, v[2:3]
	v_add_u32_e32 v28, 1, v2
	v_add_u32_e32 v2, -1, v26
	v_min_u32_e32 v2, v28, v2
	v_lshlrev_b64 v[26:27], 2, v[2:3]
	v_add_co_u32_e32 v26, vcc, v32, v26
	v_addc_co_u32_e32 v27, vcc, v33, v27, vcc
	v_add_co_u32_e32 v22, vcc, v30, v22
	flat_load_dword v27, v[26:27]
	v_addc_co_u32_e32 v23, vcc, v31, v23, vcc
	flat_load_dwordx2 v[22:23], v[22:23]
	v_cndmask_b32_e64 v2, v28, v24, s[24:25]
	v_cndmask_b32_e64 v24, v25, v28, s[24:25]
	v_cmp_lt_u32_e32 vcc, v2, v17
	s_waitcnt vmcnt(0) lgkmcnt(0)
	v_cndmask_b32_e64 v26, v27, v14, s[24:25]
	v_cndmask_b32_e64 v28, v15, v27, s[24:25]
	s_and_saveexec_b64 s[26:27], vcc
	s_cbranch_execz .LBB1345_208
; %bb.205:
	v_cmp_lt_u32_e32 vcc, v24, v16
	s_mov_b64 s[28:29], 0
	s_and_saveexec_b64 s[22:23], vcc
; %bb.206:
	v_add_f32_e32 v16, 0, v26
	v_ashrrev_i32_e32 v25, 31, v16
	v_add_f32_e32 v17, 0, v28
	v_or_b32_e32 v25, 0x80000000, v25
	v_xor_b32_e32 v16, v25, v16
	v_ashrrev_i32_e32 v25, 31, v17
	v_or_b32_e32 v25, 0x80000000, v25
	v_xor_b32_e32 v17, v25, v17
	v_cmp_le_u32_e32 vcc, v16, v17
	s_and_b64 s[28:29], vcc, exec
; %bb.207:
	s_or_b64 exec, exec, s[22:23]
	s_orn2_b64 s[22:23], s[28:29], exec
.LBB1345_208:
	s_or_b64 exec, exec, s[26:27]
	v_cndmask_b32_e64 v2, v2, v24, s[22:23]
	v_lshlrev_b64 v[2:3], 3, v[2:3]
	v_add_co_u32_e32 v2, vcc, v30, v2
	v_addc_co_u32_e32 v3, vcc, v31, v3, vcc
	flat_load_dwordx2 v[24:25], v[2:3]
	v_cndmask_b32_e64 v27, v14, v15, s[24:25]
	v_cndmask_b32_e64 v14, v6, v7, s[8:9]
	;; [unrolled: 1-line block ×4, first 2 shown]
.LBB1345_209:
	s_or_b64 exec, exec, s[12:13]
	v_add_co_u32_e32 v0, vcc, v4, v12
	v_addc_co_u32_e32 v1, vcc, v5, v13, vcc
	v_add_co_u32_e32 v0, vcc, v0, v87
	v_addc_co_u32_e32 v1, vcc, 0, v1, vcc
	; wave barrier
	s_waitcnt lgkmcnt(0)
	s_barrier
	s_waitcnt lgkmcnt(0)
	; wave barrier
	s_and_saveexec_b64 s[8:9], s[4:5]
	s_cbranch_execnz .LBB1345_230
; %bb.210:
	s_or_b64 exec, exec, s[8:9]
	s_and_saveexec_b64 s[8:9], s[6:7]
	s_cbranch_execnz .LBB1345_231
.LBB1345_211:
	s_or_b64 exec, exec, s[8:9]
	s_and_saveexec_b64 s[8:9], s[10:11]
	s_cbranch_execnz .LBB1345_232
.LBB1345_212:
	s_or_b64 exec, exec, s[8:9]
	s_and_saveexec_b64 s[8:9], s[14:15]
	s_cbranch_execz .LBB1345_214
.LBB1345_213:
	flat_store_dword v[0:1], v82 offset:12
.LBB1345_214:
	s_or_b64 exec, exec, s[8:9]
	v_add_co_u32_e32 v0, vcc, v10, v8
	v_addc_co_u32_e32 v1, vcc, v11, v9, vcc
	v_add_co_u32_e32 v0, vcc, v0, v97
	v_addc_co_u32_e32 v1, vcc, 0, v1, vcc
	; wave barrier
	s_and_saveexec_b64 s[8:9], s[4:5]
	s_cbranch_execnz .LBB1345_233
; %bb.215:
	s_or_b64 exec, exec, s[8:9]
	s_and_saveexec_b64 s[4:5], s[6:7]
	s_cbranch_execnz .LBB1345_234
.LBB1345_216:
	s_or_b64 exec, exec, s[4:5]
	s_and_saveexec_b64 s[4:5], s[10:11]
	s_cbranch_execz .LBB1345_218
.LBB1345_217:
	flat_store_dwordx2 v[0:1], v[22:23] offset:16
.LBB1345_218:
	s_or_b64 exec, exec, s[4:5]
	s_andn2_b64 s[4:5], s[16:17], exec
	s_and_b64 s[6:7], s[14:15], exec
	s_or_b64 s[16:17], s[4:5], s[6:7]
	v_pk_mov_b32 v[8:9], v[10:11], v[10:11] op_sel:[0,1]
	s_or_b64 exec, exec, s[18:19]
	s_and_saveexec_b64 s[4:5], s[16:17]
	s_cbranch_execnz .LBB1345_3
	s_branch .LBB1345_4
.LBB1345_219:
	flat_load_dwordx2 v[18:19], v[0:1]
	s_or_b64 exec, exec, s[16:17]
	s_and_saveexec_b64 s[16:17], s[6:7]
	s_cbranch_execz .LBB1345_15
.LBB1345_220:
	flat_load_dwordx2 v[20:21], v[0:1] offset:8
	s_or_b64 exec, exec, s[16:17]
	s_and_saveexec_b64 s[16:17], s[10:11]
	s_cbranch_execz .LBB1345_16
.LBB1345_221:
	flat_load_dwordx2 v[22:23], v[0:1] offset:16
	s_or_b64 exec, exec, s[16:17]
	s_and_saveexec_b64 s[16:17], s[14:15]
	s_cbranch_execnz .LBB1345_17
	s_branch .LBB1345_18
.LBB1345_222:
	flat_store_dword v[0:1], v85
	s_or_b64 exec, exec, s[16:17]
	s_and_saveexec_b64 s[16:17], s[6:7]
	s_cbranch_execz .LBB1345_104
.LBB1345_223:
	flat_store_dword v[0:1], v14 offset:4
	s_or_b64 exec, exec, s[16:17]
	s_and_saveexec_b64 s[16:17], s[10:11]
	s_cbranch_execz .LBB1345_105
.LBB1345_224:
	flat_store_dword v[0:1], v27 offset:8
	s_or_b64 exec, exec, s[16:17]
	s_and_saveexec_b64 s[16:17], s[14:15]
	s_cbranch_execnz .LBB1345_106
	s_branch .LBB1345_107
.LBB1345_225:
	flat_store_dwordx2 v[0:1], v[18:19]
	s_or_b64 exec, exec, s[16:17]
	s_and_saveexec_b64 s[16:17], s[6:7]
	s_cbranch_execz .LBB1345_109
.LBB1345_226:
	flat_store_dwordx2 v[0:1], v[20:21] offset:8
	s_or_b64 exec, exec, s[16:17]
	s_and_saveexec_b64 s[6:7], s[10:11]
	s_cbranch_execnz .LBB1345_110
	s_branch .LBB1345_111
.LBB1345_227:
	flat_load_dwordx2 v[18:19], v[0:1]
	s_or_b64 exec, exec, s[20:21]
	s_and_saveexec_b64 s[20:21], s[6:7]
	s_cbranch_execz .LBB1345_122
.LBB1345_228:
	flat_load_dwordx2 v[20:21], v[0:1] offset:8
	s_or_b64 exec, exec, s[20:21]
	s_and_saveexec_b64 s[20:21], s[10:11]
	s_cbranch_execz .LBB1345_123
.LBB1345_229:
	flat_load_dwordx2 v[22:23], v[0:1] offset:16
	s_or_b64 exec, exec, s[20:21]
	s_and_saveexec_b64 s[20:21], s[14:15]
	s_cbranch_execnz .LBB1345_124
	s_branch .LBB1345_125
.LBB1345_230:
	flat_store_dword v[0:1], v85
	s_or_b64 exec, exec, s[8:9]
	s_and_saveexec_b64 s[8:9], s[6:7]
	s_cbranch_execz .LBB1345_211
.LBB1345_231:
	flat_store_dword v[0:1], v14 offset:4
	s_or_b64 exec, exec, s[8:9]
	s_and_saveexec_b64 s[8:9], s[10:11]
	s_cbranch_execz .LBB1345_212
.LBB1345_232:
	flat_store_dword v[0:1], v27 offset:8
	s_or_b64 exec, exec, s[8:9]
	s_and_saveexec_b64 s[8:9], s[14:15]
	s_cbranch_execnz .LBB1345_213
	s_branch .LBB1345_214
.LBB1345_233:
	flat_store_dwordx2 v[0:1], v[18:19]
	s_or_b64 exec, exec, s[8:9]
	s_and_saveexec_b64 s[4:5], s[6:7]
	s_cbranch_execz .LBB1345_216
.LBB1345_234:
	flat_store_dwordx2 v[0:1], v[20:21] offset:8
	s_or_b64 exec, exec, s[4:5]
	s_and_saveexec_b64 s[4:5], s[10:11]
	s_cbranch_execnz .LBB1345_217
	s_branch .LBB1345_218
.Lfunc_end1345:
	.size	_ZN7rocprim17ROCPRIM_400000_NS6detail26segmented_warp_sort_helperINS1_20WarpSortHelperConfigILj8ELj4ELj256EEEflLi256ELb1EvE4sortIPKfPfPKlPlEEvT_S9_T0_T1_SC_T2_bjjjjRNS5_12storage_typeE, .Lfunc_end1345-_ZN7rocprim17ROCPRIM_400000_NS6detail26segmented_warp_sort_helperINS1_20WarpSortHelperConfigILj8ELj4ELj256EEEflLi256ELb1EvE4sortIPKfPfPKlPlEEvT_S9_T0_T1_SC_T2_bjjjjRNS5_12storage_typeE
                                        ; -- End function
	.section	.AMDGPU.csdata,"",@progbits
; Function info:
; codeLenInByte = 10292
; NumSgprs: 37
; NumVgprs: 98
; NumAgprs: 0
; TotalNumVgprs: 98
; ScratchSize: 8
; MemoryBound: 1
	.section	.text._ZN7rocprim17ROCPRIM_400000_NS6detail17trampoline_kernelINS0_14default_configENS1_36segmented_radix_sort_config_selectorIflEEZNS1_25segmented_radix_sort_implIS3_Lb1EPKfPfPKlPlN2at6native12_GLOBAL__N_18offset_tEEE10hipError_tPvRmT1_PNSt15iterator_traitsISK_E10value_typeET2_T3_PNSL_ISQ_E10value_typeET4_jRbjT5_SW_jjP12ihipStream_tbEUlT_E1_NS1_11comp_targetILNS1_3genE4ELNS1_11target_archE910ELNS1_3gpuE8ELNS1_3repE0EEENS1_59segmented_radix_sort_warp_sort_small_config_static_selectorELNS0_4arch9wavefront6targetE1EEEvSK_,"axG",@progbits,_ZN7rocprim17ROCPRIM_400000_NS6detail17trampoline_kernelINS0_14default_configENS1_36segmented_radix_sort_config_selectorIflEEZNS1_25segmented_radix_sort_implIS3_Lb1EPKfPfPKlPlN2at6native12_GLOBAL__N_18offset_tEEE10hipError_tPvRmT1_PNSt15iterator_traitsISK_E10value_typeET2_T3_PNSL_ISQ_E10value_typeET4_jRbjT5_SW_jjP12ihipStream_tbEUlT_E1_NS1_11comp_targetILNS1_3genE4ELNS1_11target_archE910ELNS1_3gpuE8ELNS1_3repE0EEENS1_59segmented_radix_sort_warp_sort_small_config_static_selectorELNS0_4arch9wavefront6targetE1EEEvSK_,comdat
	.globl	_ZN7rocprim17ROCPRIM_400000_NS6detail17trampoline_kernelINS0_14default_configENS1_36segmented_radix_sort_config_selectorIflEEZNS1_25segmented_radix_sort_implIS3_Lb1EPKfPfPKlPlN2at6native12_GLOBAL__N_18offset_tEEE10hipError_tPvRmT1_PNSt15iterator_traitsISK_E10value_typeET2_T3_PNSL_ISQ_E10value_typeET4_jRbjT5_SW_jjP12ihipStream_tbEUlT_E1_NS1_11comp_targetILNS1_3genE4ELNS1_11target_archE910ELNS1_3gpuE8ELNS1_3repE0EEENS1_59segmented_radix_sort_warp_sort_small_config_static_selectorELNS0_4arch9wavefront6targetE1EEEvSK_ ; -- Begin function _ZN7rocprim17ROCPRIM_400000_NS6detail17trampoline_kernelINS0_14default_configENS1_36segmented_radix_sort_config_selectorIflEEZNS1_25segmented_radix_sort_implIS3_Lb1EPKfPfPKlPlN2at6native12_GLOBAL__N_18offset_tEEE10hipError_tPvRmT1_PNSt15iterator_traitsISK_E10value_typeET2_T3_PNSL_ISQ_E10value_typeET4_jRbjT5_SW_jjP12ihipStream_tbEUlT_E1_NS1_11comp_targetILNS1_3genE4ELNS1_11target_archE910ELNS1_3gpuE8ELNS1_3repE0EEENS1_59segmented_radix_sort_warp_sort_small_config_static_selectorELNS0_4arch9wavefront6targetE1EEEvSK_
	.p2align	8
	.type	_ZN7rocprim17ROCPRIM_400000_NS6detail17trampoline_kernelINS0_14default_configENS1_36segmented_radix_sort_config_selectorIflEEZNS1_25segmented_radix_sort_implIS3_Lb1EPKfPfPKlPlN2at6native12_GLOBAL__N_18offset_tEEE10hipError_tPvRmT1_PNSt15iterator_traitsISK_E10value_typeET2_T3_PNSL_ISQ_E10value_typeET4_jRbjT5_SW_jjP12ihipStream_tbEUlT_E1_NS1_11comp_targetILNS1_3genE4ELNS1_11target_archE910ELNS1_3gpuE8ELNS1_3repE0EEENS1_59segmented_radix_sort_warp_sort_small_config_static_selectorELNS0_4arch9wavefront6targetE1EEEvSK_,@function
_ZN7rocprim17ROCPRIM_400000_NS6detail17trampoline_kernelINS0_14default_configENS1_36segmented_radix_sort_config_selectorIflEEZNS1_25segmented_radix_sort_implIS3_Lb1EPKfPfPKlPlN2at6native12_GLOBAL__N_18offset_tEEE10hipError_tPvRmT1_PNSt15iterator_traitsISK_E10value_typeET2_T3_PNSL_ISQ_E10value_typeET4_jRbjT5_SW_jjP12ihipStream_tbEUlT_E1_NS1_11comp_targetILNS1_3genE4ELNS1_11target_archE910ELNS1_3gpuE8ELNS1_3repE0EEENS1_59segmented_radix_sort_warp_sort_small_config_static_selectorELNS0_4arch9wavefront6targetE1EEEvSK_: ; @_ZN7rocprim17ROCPRIM_400000_NS6detail17trampoline_kernelINS0_14default_configENS1_36segmented_radix_sort_config_selectorIflEEZNS1_25segmented_radix_sort_implIS3_Lb1EPKfPfPKlPlN2at6native12_GLOBAL__N_18offset_tEEE10hipError_tPvRmT1_PNSt15iterator_traitsISK_E10value_typeET2_T3_PNSL_ISQ_E10value_typeET4_jRbjT5_SW_jjP12ihipStream_tbEUlT_E1_NS1_11comp_targetILNS1_3genE4ELNS1_11target_archE910ELNS1_3gpuE8ELNS1_3repE0EEENS1_59segmented_radix_sort_warp_sort_small_config_static_selectorELNS0_4arch9wavefront6targetE1EEEvSK_
; %bb.0:
	s_add_u32 flat_scratch_lo, s6, s10
	s_mov_b32 s12, s8
	s_load_dword s6, s[4:5], 0x64
	s_load_dword s8, s[4:5], 0x34
	s_addc_u32 flat_scratch_hi, s7, 0
	s_add_u32 s0, s0, s10
	s_addc_u32 s1, s1, 0
	s_waitcnt lgkmcnt(0)
	s_lshr_b32 s7, s6, 16
	v_bfe_u32 v1, v0, 10, 10
	v_bfe_u32 v2, v0, 20, 10
	s_and_b32 s6, s6, 0xffff
	v_mad_u32_u24 v1, v2, s7, v1
	v_and_b32_e32 v2, 0x3ff, v0
	v_mad_u64_u32 v[2:3], s[6:7], v1, s6, v[2:3]
	v_lshrrev_b32_e32 v1, 3, v2
	v_lshl_add_u32 v2, s12, 5, v1
	v_cmp_gt_u32_e32 vcc, s8, v2
	s_mov_b32 s32, 0
	s_and_saveexec_b64 s[6:7], vcc
	s_cbranch_execz .LBB1346_3
; %bb.1:
	s_mov_b32 s13, s9
	s_load_dwordx2 s[6:7], s[4:5], 0x38
	s_load_dwordx4 s[8:11], s[4:5], 0x40
	v_mov_b32_e32 v3, 0
	v_lshlrev_b64 v[2:3], 2, v[2:3]
	s_waitcnt lgkmcnt(0)
	v_mov_b32_e32 v1, s7
	v_sub_co_u32_e32 v2, vcc, s6, v2
	v_subb_co_u32_e32 v3, vcc, v1, v3, vcc
	global_load_dword v1, v[2:3], off offset:-4
	s_waitcnt vmcnt(0)
	v_add_u32_e32 v2, s9, v1
	v_add_u32_e32 v1, s11, v1
	v_mul_lo_u32 v13, v2, s8
	v_mul_lo_u32 v14, v1, s10
	v_cmp_gt_u32_e32 vcc, v14, v13
	s_and_b64 exec, exec, vcc
	s_cbranch_execz .LBB1346_3
; %bb.2:
	s_load_dword s6, s[4:5], 0x30
	s_load_dwordx4 s[24:27], s[4:5], 0x20
	s_load_dwordx8 s[16:23], s[4:5], 0x0
	s_add_u32 s8, s4, 0x58
	s_addc_u32 s9, s5, 0
	s_waitcnt lgkmcnt(0)
	s_and_b32 s10, s6, 1
	s_mov_b64 s[4:5], src_shared_base
	v_mov_b32_e32 v31, v0
	v_mov_b32_e32 v0, s16
	;; [unrolled: 1-line block ×16, first 2 shown]
	s_getpc_b64 s[6:7]
	s_add_u32 s6, s6, _ZN7rocprim17ROCPRIM_400000_NS6detail26segmented_warp_sort_helperINS1_20WarpSortHelperConfigILj8ELj4ELj256EEEflLi256ELb1EvE4sortIPKfPfPKlPlEEvT_S9_T0_T1_SC_T2_bjjjjRNS5_12storage_typeE@rel32@lo+4
	s_addc_u32 s7, s7, _ZN7rocprim17ROCPRIM_400000_NS6detail26segmented_warp_sort_helperINS1_20WarpSortHelperConfigILj8ELj4ELj256EEEflLi256ELb1EvE4sortIPKfPfPKlPlEEvT_S9_T0_T1_SC_T2_bjjjjRNS5_12storage_typeE@rel32@hi+12
	s_swappc_b64 s[30:31], s[6:7]
.LBB1346_3:
	s_endpgm
	.section	.rodata,"a",@progbits
	.p2align	6, 0x0
	.amdhsa_kernel _ZN7rocprim17ROCPRIM_400000_NS6detail17trampoline_kernelINS0_14default_configENS1_36segmented_radix_sort_config_selectorIflEEZNS1_25segmented_radix_sort_implIS3_Lb1EPKfPfPKlPlN2at6native12_GLOBAL__N_18offset_tEEE10hipError_tPvRmT1_PNSt15iterator_traitsISK_E10value_typeET2_T3_PNSL_ISQ_E10value_typeET4_jRbjT5_SW_jjP12ihipStream_tbEUlT_E1_NS1_11comp_targetILNS1_3genE4ELNS1_11target_archE910ELNS1_3gpuE8ELNS1_3repE0EEENS1_59segmented_radix_sort_warp_sort_small_config_static_selectorELNS0_4arch9wavefront6targetE1EEEvSK_
		.amdhsa_group_segment_fixed_size 12288
		.amdhsa_private_segment_fixed_size 8
		.amdhsa_kernarg_size 344
		.amdhsa_user_sgpr_count 8
		.amdhsa_user_sgpr_private_segment_buffer 1
		.amdhsa_user_sgpr_dispatch_ptr 0
		.amdhsa_user_sgpr_queue_ptr 0
		.amdhsa_user_sgpr_kernarg_segment_ptr 1
		.amdhsa_user_sgpr_dispatch_id 0
		.amdhsa_user_sgpr_flat_scratch_init 1
		.amdhsa_user_sgpr_kernarg_preload_length 0
		.amdhsa_user_sgpr_kernarg_preload_offset 0
		.amdhsa_user_sgpr_private_segment_size 0
		.amdhsa_uses_dynamic_stack 0
		.amdhsa_system_sgpr_private_segment_wavefront_offset 1
		.amdhsa_system_sgpr_workgroup_id_x 1
		.amdhsa_system_sgpr_workgroup_id_y 1
		.amdhsa_system_sgpr_workgroup_id_z 0
		.amdhsa_system_sgpr_workgroup_info 0
		.amdhsa_system_vgpr_workitem_id 2
		.amdhsa_next_free_vgpr 98
		.amdhsa_next_free_sgpr 33
		.amdhsa_accum_offset 100
		.amdhsa_reserve_vcc 1
		.amdhsa_reserve_flat_scratch 1
		.amdhsa_float_round_mode_32 0
		.amdhsa_float_round_mode_16_64 0
		.amdhsa_float_denorm_mode_32 3
		.amdhsa_float_denorm_mode_16_64 3
		.amdhsa_dx10_clamp 1
		.amdhsa_ieee_mode 1
		.amdhsa_fp16_overflow 0
		.amdhsa_tg_split 0
		.amdhsa_exception_fp_ieee_invalid_op 0
		.amdhsa_exception_fp_denorm_src 0
		.amdhsa_exception_fp_ieee_div_zero 0
		.amdhsa_exception_fp_ieee_overflow 0
		.amdhsa_exception_fp_ieee_underflow 0
		.amdhsa_exception_fp_ieee_inexact 0
		.amdhsa_exception_int_div_zero 0
	.end_amdhsa_kernel
	.section	.text._ZN7rocprim17ROCPRIM_400000_NS6detail17trampoline_kernelINS0_14default_configENS1_36segmented_radix_sort_config_selectorIflEEZNS1_25segmented_radix_sort_implIS3_Lb1EPKfPfPKlPlN2at6native12_GLOBAL__N_18offset_tEEE10hipError_tPvRmT1_PNSt15iterator_traitsISK_E10value_typeET2_T3_PNSL_ISQ_E10value_typeET4_jRbjT5_SW_jjP12ihipStream_tbEUlT_E1_NS1_11comp_targetILNS1_3genE4ELNS1_11target_archE910ELNS1_3gpuE8ELNS1_3repE0EEENS1_59segmented_radix_sort_warp_sort_small_config_static_selectorELNS0_4arch9wavefront6targetE1EEEvSK_,"axG",@progbits,_ZN7rocprim17ROCPRIM_400000_NS6detail17trampoline_kernelINS0_14default_configENS1_36segmented_radix_sort_config_selectorIflEEZNS1_25segmented_radix_sort_implIS3_Lb1EPKfPfPKlPlN2at6native12_GLOBAL__N_18offset_tEEE10hipError_tPvRmT1_PNSt15iterator_traitsISK_E10value_typeET2_T3_PNSL_ISQ_E10value_typeET4_jRbjT5_SW_jjP12ihipStream_tbEUlT_E1_NS1_11comp_targetILNS1_3genE4ELNS1_11target_archE910ELNS1_3gpuE8ELNS1_3repE0EEENS1_59segmented_radix_sort_warp_sort_small_config_static_selectorELNS0_4arch9wavefront6targetE1EEEvSK_,comdat
.Lfunc_end1346:
	.size	_ZN7rocprim17ROCPRIM_400000_NS6detail17trampoline_kernelINS0_14default_configENS1_36segmented_radix_sort_config_selectorIflEEZNS1_25segmented_radix_sort_implIS3_Lb1EPKfPfPKlPlN2at6native12_GLOBAL__N_18offset_tEEE10hipError_tPvRmT1_PNSt15iterator_traitsISK_E10value_typeET2_T3_PNSL_ISQ_E10value_typeET4_jRbjT5_SW_jjP12ihipStream_tbEUlT_E1_NS1_11comp_targetILNS1_3genE4ELNS1_11target_archE910ELNS1_3gpuE8ELNS1_3repE0EEENS1_59segmented_radix_sort_warp_sort_small_config_static_selectorELNS0_4arch9wavefront6targetE1EEEvSK_, .Lfunc_end1346-_ZN7rocprim17ROCPRIM_400000_NS6detail17trampoline_kernelINS0_14default_configENS1_36segmented_radix_sort_config_selectorIflEEZNS1_25segmented_radix_sort_implIS3_Lb1EPKfPfPKlPlN2at6native12_GLOBAL__N_18offset_tEEE10hipError_tPvRmT1_PNSt15iterator_traitsISK_E10value_typeET2_T3_PNSL_ISQ_E10value_typeET4_jRbjT5_SW_jjP12ihipStream_tbEUlT_E1_NS1_11comp_targetILNS1_3genE4ELNS1_11target_archE910ELNS1_3gpuE8ELNS1_3repE0EEENS1_59segmented_radix_sort_warp_sort_small_config_static_selectorELNS0_4arch9wavefront6targetE1EEEvSK_
                                        ; -- End function
	.section	.AMDGPU.csdata,"",@progbits
; Kernel info:
; codeLenInByte = 356
; NumSgprs: 39
; NumVgprs: 98
; NumAgprs: 0
; TotalNumVgprs: 98
; ScratchSize: 8
; MemoryBound: 0
; FloatMode: 240
; IeeeMode: 1
; LDSByteSize: 12288 bytes/workgroup (compile time only)
; SGPRBlocks: 4
; VGPRBlocks: 12
; NumSGPRsForWavesPerEU: 39
; NumVGPRsForWavesPerEU: 98
; AccumOffset: 100
; Occupancy: 4
; WaveLimiterHint : 0
; COMPUTE_PGM_RSRC2:SCRATCH_EN: 1
; COMPUTE_PGM_RSRC2:USER_SGPR: 8
; COMPUTE_PGM_RSRC2:TRAP_HANDLER: 0
; COMPUTE_PGM_RSRC2:TGID_X_EN: 1
; COMPUTE_PGM_RSRC2:TGID_Y_EN: 1
; COMPUTE_PGM_RSRC2:TGID_Z_EN: 0
; COMPUTE_PGM_RSRC2:TIDIG_COMP_CNT: 2
; COMPUTE_PGM_RSRC3_GFX90A:ACCUM_OFFSET: 24
; COMPUTE_PGM_RSRC3_GFX90A:TG_SPLIT: 0
	.section	.text._ZN7rocprim17ROCPRIM_400000_NS6detail17trampoline_kernelINS0_14default_configENS1_36segmented_radix_sort_config_selectorIflEEZNS1_25segmented_radix_sort_implIS3_Lb1EPKfPfPKlPlN2at6native12_GLOBAL__N_18offset_tEEE10hipError_tPvRmT1_PNSt15iterator_traitsISK_E10value_typeET2_T3_PNSL_ISQ_E10value_typeET4_jRbjT5_SW_jjP12ihipStream_tbEUlT_E1_NS1_11comp_targetILNS1_3genE3ELNS1_11target_archE908ELNS1_3gpuE7ELNS1_3repE0EEENS1_59segmented_radix_sort_warp_sort_small_config_static_selectorELNS0_4arch9wavefront6targetE1EEEvSK_,"axG",@progbits,_ZN7rocprim17ROCPRIM_400000_NS6detail17trampoline_kernelINS0_14default_configENS1_36segmented_radix_sort_config_selectorIflEEZNS1_25segmented_radix_sort_implIS3_Lb1EPKfPfPKlPlN2at6native12_GLOBAL__N_18offset_tEEE10hipError_tPvRmT1_PNSt15iterator_traitsISK_E10value_typeET2_T3_PNSL_ISQ_E10value_typeET4_jRbjT5_SW_jjP12ihipStream_tbEUlT_E1_NS1_11comp_targetILNS1_3genE3ELNS1_11target_archE908ELNS1_3gpuE7ELNS1_3repE0EEENS1_59segmented_radix_sort_warp_sort_small_config_static_selectorELNS0_4arch9wavefront6targetE1EEEvSK_,comdat
	.globl	_ZN7rocprim17ROCPRIM_400000_NS6detail17trampoline_kernelINS0_14default_configENS1_36segmented_radix_sort_config_selectorIflEEZNS1_25segmented_radix_sort_implIS3_Lb1EPKfPfPKlPlN2at6native12_GLOBAL__N_18offset_tEEE10hipError_tPvRmT1_PNSt15iterator_traitsISK_E10value_typeET2_T3_PNSL_ISQ_E10value_typeET4_jRbjT5_SW_jjP12ihipStream_tbEUlT_E1_NS1_11comp_targetILNS1_3genE3ELNS1_11target_archE908ELNS1_3gpuE7ELNS1_3repE0EEENS1_59segmented_radix_sort_warp_sort_small_config_static_selectorELNS0_4arch9wavefront6targetE1EEEvSK_ ; -- Begin function _ZN7rocprim17ROCPRIM_400000_NS6detail17trampoline_kernelINS0_14default_configENS1_36segmented_radix_sort_config_selectorIflEEZNS1_25segmented_radix_sort_implIS3_Lb1EPKfPfPKlPlN2at6native12_GLOBAL__N_18offset_tEEE10hipError_tPvRmT1_PNSt15iterator_traitsISK_E10value_typeET2_T3_PNSL_ISQ_E10value_typeET4_jRbjT5_SW_jjP12ihipStream_tbEUlT_E1_NS1_11comp_targetILNS1_3genE3ELNS1_11target_archE908ELNS1_3gpuE7ELNS1_3repE0EEENS1_59segmented_radix_sort_warp_sort_small_config_static_selectorELNS0_4arch9wavefront6targetE1EEEvSK_
	.p2align	8
	.type	_ZN7rocprim17ROCPRIM_400000_NS6detail17trampoline_kernelINS0_14default_configENS1_36segmented_radix_sort_config_selectorIflEEZNS1_25segmented_radix_sort_implIS3_Lb1EPKfPfPKlPlN2at6native12_GLOBAL__N_18offset_tEEE10hipError_tPvRmT1_PNSt15iterator_traitsISK_E10value_typeET2_T3_PNSL_ISQ_E10value_typeET4_jRbjT5_SW_jjP12ihipStream_tbEUlT_E1_NS1_11comp_targetILNS1_3genE3ELNS1_11target_archE908ELNS1_3gpuE7ELNS1_3repE0EEENS1_59segmented_radix_sort_warp_sort_small_config_static_selectorELNS0_4arch9wavefront6targetE1EEEvSK_,@function
_ZN7rocprim17ROCPRIM_400000_NS6detail17trampoline_kernelINS0_14default_configENS1_36segmented_radix_sort_config_selectorIflEEZNS1_25segmented_radix_sort_implIS3_Lb1EPKfPfPKlPlN2at6native12_GLOBAL__N_18offset_tEEE10hipError_tPvRmT1_PNSt15iterator_traitsISK_E10value_typeET2_T3_PNSL_ISQ_E10value_typeET4_jRbjT5_SW_jjP12ihipStream_tbEUlT_E1_NS1_11comp_targetILNS1_3genE3ELNS1_11target_archE908ELNS1_3gpuE7ELNS1_3repE0EEENS1_59segmented_radix_sort_warp_sort_small_config_static_selectorELNS0_4arch9wavefront6targetE1EEEvSK_: ; @_ZN7rocprim17ROCPRIM_400000_NS6detail17trampoline_kernelINS0_14default_configENS1_36segmented_radix_sort_config_selectorIflEEZNS1_25segmented_radix_sort_implIS3_Lb1EPKfPfPKlPlN2at6native12_GLOBAL__N_18offset_tEEE10hipError_tPvRmT1_PNSt15iterator_traitsISK_E10value_typeET2_T3_PNSL_ISQ_E10value_typeET4_jRbjT5_SW_jjP12ihipStream_tbEUlT_E1_NS1_11comp_targetILNS1_3genE3ELNS1_11target_archE908ELNS1_3gpuE7ELNS1_3repE0EEENS1_59segmented_radix_sort_warp_sort_small_config_static_selectorELNS0_4arch9wavefront6targetE1EEEvSK_
; %bb.0:
	.section	.rodata,"a",@progbits
	.p2align	6, 0x0
	.amdhsa_kernel _ZN7rocprim17ROCPRIM_400000_NS6detail17trampoline_kernelINS0_14default_configENS1_36segmented_radix_sort_config_selectorIflEEZNS1_25segmented_radix_sort_implIS3_Lb1EPKfPfPKlPlN2at6native12_GLOBAL__N_18offset_tEEE10hipError_tPvRmT1_PNSt15iterator_traitsISK_E10value_typeET2_T3_PNSL_ISQ_E10value_typeET4_jRbjT5_SW_jjP12ihipStream_tbEUlT_E1_NS1_11comp_targetILNS1_3genE3ELNS1_11target_archE908ELNS1_3gpuE7ELNS1_3repE0EEENS1_59segmented_radix_sort_warp_sort_small_config_static_selectorELNS0_4arch9wavefront6targetE1EEEvSK_
		.amdhsa_group_segment_fixed_size 0
		.amdhsa_private_segment_fixed_size 0
		.amdhsa_kernarg_size 88
		.amdhsa_user_sgpr_count 6
		.amdhsa_user_sgpr_private_segment_buffer 1
		.amdhsa_user_sgpr_dispatch_ptr 0
		.amdhsa_user_sgpr_queue_ptr 0
		.amdhsa_user_sgpr_kernarg_segment_ptr 1
		.amdhsa_user_sgpr_dispatch_id 0
		.amdhsa_user_sgpr_flat_scratch_init 0
		.amdhsa_user_sgpr_kernarg_preload_length 0
		.amdhsa_user_sgpr_kernarg_preload_offset 0
		.amdhsa_user_sgpr_private_segment_size 0
		.amdhsa_uses_dynamic_stack 0
		.amdhsa_system_sgpr_private_segment_wavefront_offset 0
		.amdhsa_system_sgpr_workgroup_id_x 1
		.amdhsa_system_sgpr_workgroup_id_y 0
		.amdhsa_system_sgpr_workgroup_id_z 0
		.amdhsa_system_sgpr_workgroup_info 0
		.amdhsa_system_vgpr_workitem_id 0
		.amdhsa_next_free_vgpr 1
		.amdhsa_next_free_sgpr 0
		.amdhsa_accum_offset 4
		.amdhsa_reserve_vcc 0
		.amdhsa_reserve_flat_scratch 0
		.amdhsa_float_round_mode_32 0
		.amdhsa_float_round_mode_16_64 0
		.amdhsa_float_denorm_mode_32 3
		.amdhsa_float_denorm_mode_16_64 3
		.amdhsa_dx10_clamp 1
		.amdhsa_ieee_mode 1
		.amdhsa_fp16_overflow 0
		.amdhsa_tg_split 0
		.amdhsa_exception_fp_ieee_invalid_op 0
		.amdhsa_exception_fp_denorm_src 0
		.amdhsa_exception_fp_ieee_div_zero 0
		.amdhsa_exception_fp_ieee_overflow 0
		.amdhsa_exception_fp_ieee_underflow 0
		.amdhsa_exception_fp_ieee_inexact 0
		.amdhsa_exception_int_div_zero 0
	.end_amdhsa_kernel
	.section	.text._ZN7rocprim17ROCPRIM_400000_NS6detail17trampoline_kernelINS0_14default_configENS1_36segmented_radix_sort_config_selectorIflEEZNS1_25segmented_radix_sort_implIS3_Lb1EPKfPfPKlPlN2at6native12_GLOBAL__N_18offset_tEEE10hipError_tPvRmT1_PNSt15iterator_traitsISK_E10value_typeET2_T3_PNSL_ISQ_E10value_typeET4_jRbjT5_SW_jjP12ihipStream_tbEUlT_E1_NS1_11comp_targetILNS1_3genE3ELNS1_11target_archE908ELNS1_3gpuE7ELNS1_3repE0EEENS1_59segmented_radix_sort_warp_sort_small_config_static_selectorELNS0_4arch9wavefront6targetE1EEEvSK_,"axG",@progbits,_ZN7rocprim17ROCPRIM_400000_NS6detail17trampoline_kernelINS0_14default_configENS1_36segmented_radix_sort_config_selectorIflEEZNS1_25segmented_radix_sort_implIS3_Lb1EPKfPfPKlPlN2at6native12_GLOBAL__N_18offset_tEEE10hipError_tPvRmT1_PNSt15iterator_traitsISK_E10value_typeET2_T3_PNSL_ISQ_E10value_typeET4_jRbjT5_SW_jjP12ihipStream_tbEUlT_E1_NS1_11comp_targetILNS1_3genE3ELNS1_11target_archE908ELNS1_3gpuE7ELNS1_3repE0EEENS1_59segmented_radix_sort_warp_sort_small_config_static_selectorELNS0_4arch9wavefront6targetE1EEEvSK_,comdat
.Lfunc_end1347:
	.size	_ZN7rocprim17ROCPRIM_400000_NS6detail17trampoline_kernelINS0_14default_configENS1_36segmented_radix_sort_config_selectorIflEEZNS1_25segmented_radix_sort_implIS3_Lb1EPKfPfPKlPlN2at6native12_GLOBAL__N_18offset_tEEE10hipError_tPvRmT1_PNSt15iterator_traitsISK_E10value_typeET2_T3_PNSL_ISQ_E10value_typeET4_jRbjT5_SW_jjP12ihipStream_tbEUlT_E1_NS1_11comp_targetILNS1_3genE3ELNS1_11target_archE908ELNS1_3gpuE7ELNS1_3repE0EEENS1_59segmented_radix_sort_warp_sort_small_config_static_selectorELNS0_4arch9wavefront6targetE1EEEvSK_, .Lfunc_end1347-_ZN7rocprim17ROCPRIM_400000_NS6detail17trampoline_kernelINS0_14default_configENS1_36segmented_radix_sort_config_selectorIflEEZNS1_25segmented_radix_sort_implIS3_Lb1EPKfPfPKlPlN2at6native12_GLOBAL__N_18offset_tEEE10hipError_tPvRmT1_PNSt15iterator_traitsISK_E10value_typeET2_T3_PNSL_ISQ_E10value_typeET4_jRbjT5_SW_jjP12ihipStream_tbEUlT_E1_NS1_11comp_targetILNS1_3genE3ELNS1_11target_archE908ELNS1_3gpuE7ELNS1_3repE0EEENS1_59segmented_radix_sort_warp_sort_small_config_static_selectorELNS0_4arch9wavefront6targetE1EEEvSK_
                                        ; -- End function
	.section	.AMDGPU.csdata,"",@progbits
; Kernel info:
; codeLenInByte = 0
; NumSgprs: 4
; NumVgprs: 0
; NumAgprs: 0
; TotalNumVgprs: 0
; ScratchSize: 0
; MemoryBound: 0
; FloatMode: 240
; IeeeMode: 1
; LDSByteSize: 0 bytes/workgroup (compile time only)
; SGPRBlocks: 0
; VGPRBlocks: 0
; NumSGPRsForWavesPerEU: 4
; NumVGPRsForWavesPerEU: 1
; AccumOffset: 4
; Occupancy: 8
; WaveLimiterHint : 0
; COMPUTE_PGM_RSRC2:SCRATCH_EN: 0
; COMPUTE_PGM_RSRC2:USER_SGPR: 6
; COMPUTE_PGM_RSRC2:TRAP_HANDLER: 0
; COMPUTE_PGM_RSRC2:TGID_X_EN: 1
; COMPUTE_PGM_RSRC2:TGID_Y_EN: 0
; COMPUTE_PGM_RSRC2:TGID_Z_EN: 0
; COMPUTE_PGM_RSRC2:TIDIG_COMP_CNT: 0
; COMPUTE_PGM_RSRC3_GFX90A:ACCUM_OFFSET: 0
; COMPUTE_PGM_RSRC3_GFX90A:TG_SPLIT: 0
	.section	.text._ZN7rocprim17ROCPRIM_400000_NS6detail17trampoline_kernelINS0_14default_configENS1_36segmented_radix_sort_config_selectorIflEEZNS1_25segmented_radix_sort_implIS3_Lb1EPKfPfPKlPlN2at6native12_GLOBAL__N_18offset_tEEE10hipError_tPvRmT1_PNSt15iterator_traitsISK_E10value_typeET2_T3_PNSL_ISQ_E10value_typeET4_jRbjT5_SW_jjP12ihipStream_tbEUlT_E1_NS1_11comp_targetILNS1_3genE2ELNS1_11target_archE906ELNS1_3gpuE6ELNS1_3repE0EEENS1_59segmented_radix_sort_warp_sort_small_config_static_selectorELNS0_4arch9wavefront6targetE1EEEvSK_,"axG",@progbits,_ZN7rocprim17ROCPRIM_400000_NS6detail17trampoline_kernelINS0_14default_configENS1_36segmented_radix_sort_config_selectorIflEEZNS1_25segmented_radix_sort_implIS3_Lb1EPKfPfPKlPlN2at6native12_GLOBAL__N_18offset_tEEE10hipError_tPvRmT1_PNSt15iterator_traitsISK_E10value_typeET2_T3_PNSL_ISQ_E10value_typeET4_jRbjT5_SW_jjP12ihipStream_tbEUlT_E1_NS1_11comp_targetILNS1_3genE2ELNS1_11target_archE906ELNS1_3gpuE6ELNS1_3repE0EEENS1_59segmented_radix_sort_warp_sort_small_config_static_selectorELNS0_4arch9wavefront6targetE1EEEvSK_,comdat
	.globl	_ZN7rocprim17ROCPRIM_400000_NS6detail17trampoline_kernelINS0_14default_configENS1_36segmented_radix_sort_config_selectorIflEEZNS1_25segmented_radix_sort_implIS3_Lb1EPKfPfPKlPlN2at6native12_GLOBAL__N_18offset_tEEE10hipError_tPvRmT1_PNSt15iterator_traitsISK_E10value_typeET2_T3_PNSL_ISQ_E10value_typeET4_jRbjT5_SW_jjP12ihipStream_tbEUlT_E1_NS1_11comp_targetILNS1_3genE2ELNS1_11target_archE906ELNS1_3gpuE6ELNS1_3repE0EEENS1_59segmented_radix_sort_warp_sort_small_config_static_selectorELNS0_4arch9wavefront6targetE1EEEvSK_ ; -- Begin function _ZN7rocprim17ROCPRIM_400000_NS6detail17trampoline_kernelINS0_14default_configENS1_36segmented_radix_sort_config_selectorIflEEZNS1_25segmented_radix_sort_implIS3_Lb1EPKfPfPKlPlN2at6native12_GLOBAL__N_18offset_tEEE10hipError_tPvRmT1_PNSt15iterator_traitsISK_E10value_typeET2_T3_PNSL_ISQ_E10value_typeET4_jRbjT5_SW_jjP12ihipStream_tbEUlT_E1_NS1_11comp_targetILNS1_3genE2ELNS1_11target_archE906ELNS1_3gpuE6ELNS1_3repE0EEENS1_59segmented_radix_sort_warp_sort_small_config_static_selectorELNS0_4arch9wavefront6targetE1EEEvSK_
	.p2align	8
	.type	_ZN7rocprim17ROCPRIM_400000_NS6detail17trampoline_kernelINS0_14default_configENS1_36segmented_radix_sort_config_selectorIflEEZNS1_25segmented_radix_sort_implIS3_Lb1EPKfPfPKlPlN2at6native12_GLOBAL__N_18offset_tEEE10hipError_tPvRmT1_PNSt15iterator_traitsISK_E10value_typeET2_T3_PNSL_ISQ_E10value_typeET4_jRbjT5_SW_jjP12ihipStream_tbEUlT_E1_NS1_11comp_targetILNS1_3genE2ELNS1_11target_archE906ELNS1_3gpuE6ELNS1_3repE0EEENS1_59segmented_radix_sort_warp_sort_small_config_static_selectorELNS0_4arch9wavefront6targetE1EEEvSK_,@function
_ZN7rocprim17ROCPRIM_400000_NS6detail17trampoline_kernelINS0_14default_configENS1_36segmented_radix_sort_config_selectorIflEEZNS1_25segmented_radix_sort_implIS3_Lb1EPKfPfPKlPlN2at6native12_GLOBAL__N_18offset_tEEE10hipError_tPvRmT1_PNSt15iterator_traitsISK_E10value_typeET2_T3_PNSL_ISQ_E10value_typeET4_jRbjT5_SW_jjP12ihipStream_tbEUlT_E1_NS1_11comp_targetILNS1_3genE2ELNS1_11target_archE906ELNS1_3gpuE6ELNS1_3repE0EEENS1_59segmented_radix_sort_warp_sort_small_config_static_selectorELNS0_4arch9wavefront6targetE1EEEvSK_: ; @_ZN7rocprim17ROCPRIM_400000_NS6detail17trampoline_kernelINS0_14default_configENS1_36segmented_radix_sort_config_selectorIflEEZNS1_25segmented_radix_sort_implIS3_Lb1EPKfPfPKlPlN2at6native12_GLOBAL__N_18offset_tEEE10hipError_tPvRmT1_PNSt15iterator_traitsISK_E10value_typeET2_T3_PNSL_ISQ_E10value_typeET4_jRbjT5_SW_jjP12ihipStream_tbEUlT_E1_NS1_11comp_targetILNS1_3genE2ELNS1_11target_archE906ELNS1_3gpuE6ELNS1_3repE0EEENS1_59segmented_radix_sort_warp_sort_small_config_static_selectorELNS0_4arch9wavefront6targetE1EEEvSK_
; %bb.0:
	.section	.rodata,"a",@progbits
	.p2align	6, 0x0
	.amdhsa_kernel _ZN7rocprim17ROCPRIM_400000_NS6detail17trampoline_kernelINS0_14default_configENS1_36segmented_radix_sort_config_selectorIflEEZNS1_25segmented_radix_sort_implIS3_Lb1EPKfPfPKlPlN2at6native12_GLOBAL__N_18offset_tEEE10hipError_tPvRmT1_PNSt15iterator_traitsISK_E10value_typeET2_T3_PNSL_ISQ_E10value_typeET4_jRbjT5_SW_jjP12ihipStream_tbEUlT_E1_NS1_11comp_targetILNS1_3genE2ELNS1_11target_archE906ELNS1_3gpuE6ELNS1_3repE0EEENS1_59segmented_radix_sort_warp_sort_small_config_static_selectorELNS0_4arch9wavefront6targetE1EEEvSK_
		.amdhsa_group_segment_fixed_size 0
		.amdhsa_private_segment_fixed_size 0
		.amdhsa_kernarg_size 88
		.amdhsa_user_sgpr_count 6
		.amdhsa_user_sgpr_private_segment_buffer 1
		.amdhsa_user_sgpr_dispatch_ptr 0
		.amdhsa_user_sgpr_queue_ptr 0
		.amdhsa_user_sgpr_kernarg_segment_ptr 1
		.amdhsa_user_sgpr_dispatch_id 0
		.amdhsa_user_sgpr_flat_scratch_init 0
		.amdhsa_user_sgpr_kernarg_preload_length 0
		.amdhsa_user_sgpr_kernarg_preload_offset 0
		.amdhsa_user_sgpr_private_segment_size 0
		.amdhsa_uses_dynamic_stack 0
		.amdhsa_system_sgpr_private_segment_wavefront_offset 0
		.amdhsa_system_sgpr_workgroup_id_x 1
		.amdhsa_system_sgpr_workgroup_id_y 0
		.amdhsa_system_sgpr_workgroup_id_z 0
		.amdhsa_system_sgpr_workgroup_info 0
		.amdhsa_system_vgpr_workitem_id 0
		.amdhsa_next_free_vgpr 1
		.amdhsa_next_free_sgpr 0
		.amdhsa_accum_offset 4
		.amdhsa_reserve_vcc 0
		.amdhsa_reserve_flat_scratch 0
		.amdhsa_float_round_mode_32 0
		.amdhsa_float_round_mode_16_64 0
		.amdhsa_float_denorm_mode_32 3
		.amdhsa_float_denorm_mode_16_64 3
		.amdhsa_dx10_clamp 1
		.amdhsa_ieee_mode 1
		.amdhsa_fp16_overflow 0
		.amdhsa_tg_split 0
		.amdhsa_exception_fp_ieee_invalid_op 0
		.amdhsa_exception_fp_denorm_src 0
		.amdhsa_exception_fp_ieee_div_zero 0
		.amdhsa_exception_fp_ieee_overflow 0
		.amdhsa_exception_fp_ieee_underflow 0
		.amdhsa_exception_fp_ieee_inexact 0
		.amdhsa_exception_int_div_zero 0
	.end_amdhsa_kernel
	.section	.text._ZN7rocprim17ROCPRIM_400000_NS6detail17trampoline_kernelINS0_14default_configENS1_36segmented_radix_sort_config_selectorIflEEZNS1_25segmented_radix_sort_implIS3_Lb1EPKfPfPKlPlN2at6native12_GLOBAL__N_18offset_tEEE10hipError_tPvRmT1_PNSt15iterator_traitsISK_E10value_typeET2_T3_PNSL_ISQ_E10value_typeET4_jRbjT5_SW_jjP12ihipStream_tbEUlT_E1_NS1_11comp_targetILNS1_3genE2ELNS1_11target_archE906ELNS1_3gpuE6ELNS1_3repE0EEENS1_59segmented_radix_sort_warp_sort_small_config_static_selectorELNS0_4arch9wavefront6targetE1EEEvSK_,"axG",@progbits,_ZN7rocprim17ROCPRIM_400000_NS6detail17trampoline_kernelINS0_14default_configENS1_36segmented_radix_sort_config_selectorIflEEZNS1_25segmented_radix_sort_implIS3_Lb1EPKfPfPKlPlN2at6native12_GLOBAL__N_18offset_tEEE10hipError_tPvRmT1_PNSt15iterator_traitsISK_E10value_typeET2_T3_PNSL_ISQ_E10value_typeET4_jRbjT5_SW_jjP12ihipStream_tbEUlT_E1_NS1_11comp_targetILNS1_3genE2ELNS1_11target_archE906ELNS1_3gpuE6ELNS1_3repE0EEENS1_59segmented_radix_sort_warp_sort_small_config_static_selectorELNS0_4arch9wavefront6targetE1EEEvSK_,comdat
.Lfunc_end1348:
	.size	_ZN7rocprim17ROCPRIM_400000_NS6detail17trampoline_kernelINS0_14default_configENS1_36segmented_radix_sort_config_selectorIflEEZNS1_25segmented_radix_sort_implIS3_Lb1EPKfPfPKlPlN2at6native12_GLOBAL__N_18offset_tEEE10hipError_tPvRmT1_PNSt15iterator_traitsISK_E10value_typeET2_T3_PNSL_ISQ_E10value_typeET4_jRbjT5_SW_jjP12ihipStream_tbEUlT_E1_NS1_11comp_targetILNS1_3genE2ELNS1_11target_archE906ELNS1_3gpuE6ELNS1_3repE0EEENS1_59segmented_radix_sort_warp_sort_small_config_static_selectorELNS0_4arch9wavefront6targetE1EEEvSK_, .Lfunc_end1348-_ZN7rocprim17ROCPRIM_400000_NS6detail17trampoline_kernelINS0_14default_configENS1_36segmented_radix_sort_config_selectorIflEEZNS1_25segmented_radix_sort_implIS3_Lb1EPKfPfPKlPlN2at6native12_GLOBAL__N_18offset_tEEE10hipError_tPvRmT1_PNSt15iterator_traitsISK_E10value_typeET2_T3_PNSL_ISQ_E10value_typeET4_jRbjT5_SW_jjP12ihipStream_tbEUlT_E1_NS1_11comp_targetILNS1_3genE2ELNS1_11target_archE906ELNS1_3gpuE6ELNS1_3repE0EEENS1_59segmented_radix_sort_warp_sort_small_config_static_selectorELNS0_4arch9wavefront6targetE1EEEvSK_
                                        ; -- End function
	.section	.AMDGPU.csdata,"",@progbits
; Kernel info:
; codeLenInByte = 0
; NumSgprs: 4
; NumVgprs: 0
; NumAgprs: 0
; TotalNumVgprs: 0
; ScratchSize: 0
; MemoryBound: 0
; FloatMode: 240
; IeeeMode: 1
; LDSByteSize: 0 bytes/workgroup (compile time only)
; SGPRBlocks: 0
; VGPRBlocks: 0
; NumSGPRsForWavesPerEU: 4
; NumVGPRsForWavesPerEU: 1
; AccumOffset: 4
; Occupancy: 8
; WaveLimiterHint : 0
; COMPUTE_PGM_RSRC2:SCRATCH_EN: 0
; COMPUTE_PGM_RSRC2:USER_SGPR: 6
; COMPUTE_PGM_RSRC2:TRAP_HANDLER: 0
; COMPUTE_PGM_RSRC2:TGID_X_EN: 1
; COMPUTE_PGM_RSRC2:TGID_Y_EN: 0
; COMPUTE_PGM_RSRC2:TGID_Z_EN: 0
; COMPUTE_PGM_RSRC2:TIDIG_COMP_CNT: 0
; COMPUTE_PGM_RSRC3_GFX90A:ACCUM_OFFSET: 0
; COMPUTE_PGM_RSRC3_GFX90A:TG_SPLIT: 0
	.section	.text._ZN7rocprim17ROCPRIM_400000_NS6detail17trampoline_kernelINS0_14default_configENS1_36segmented_radix_sort_config_selectorIflEEZNS1_25segmented_radix_sort_implIS3_Lb1EPKfPfPKlPlN2at6native12_GLOBAL__N_18offset_tEEE10hipError_tPvRmT1_PNSt15iterator_traitsISK_E10value_typeET2_T3_PNSL_ISQ_E10value_typeET4_jRbjT5_SW_jjP12ihipStream_tbEUlT_E1_NS1_11comp_targetILNS1_3genE10ELNS1_11target_archE1201ELNS1_3gpuE5ELNS1_3repE0EEENS1_59segmented_radix_sort_warp_sort_small_config_static_selectorELNS0_4arch9wavefront6targetE1EEEvSK_,"axG",@progbits,_ZN7rocprim17ROCPRIM_400000_NS6detail17trampoline_kernelINS0_14default_configENS1_36segmented_radix_sort_config_selectorIflEEZNS1_25segmented_radix_sort_implIS3_Lb1EPKfPfPKlPlN2at6native12_GLOBAL__N_18offset_tEEE10hipError_tPvRmT1_PNSt15iterator_traitsISK_E10value_typeET2_T3_PNSL_ISQ_E10value_typeET4_jRbjT5_SW_jjP12ihipStream_tbEUlT_E1_NS1_11comp_targetILNS1_3genE10ELNS1_11target_archE1201ELNS1_3gpuE5ELNS1_3repE0EEENS1_59segmented_radix_sort_warp_sort_small_config_static_selectorELNS0_4arch9wavefront6targetE1EEEvSK_,comdat
	.globl	_ZN7rocprim17ROCPRIM_400000_NS6detail17trampoline_kernelINS0_14default_configENS1_36segmented_radix_sort_config_selectorIflEEZNS1_25segmented_radix_sort_implIS3_Lb1EPKfPfPKlPlN2at6native12_GLOBAL__N_18offset_tEEE10hipError_tPvRmT1_PNSt15iterator_traitsISK_E10value_typeET2_T3_PNSL_ISQ_E10value_typeET4_jRbjT5_SW_jjP12ihipStream_tbEUlT_E1_NS1_11comp_targetILNS1_3genE10ELNS1_11target_archE1201ELNS1_3gpuE5ELNS1_3repE0EEENS1_59segmented_radix_sort_warp_sort_small_config_static_selectorELNS0_4arch9wavefront6targetE1EEEvSK_ ; -- Begin function _ZN7rocprim17ROCPRIM_400000_NS6detail17trampoline_kernelINS0_14default_configENS1_36segmented_radix_sort_config_selectorIflEEZNS1_25segmented_radix_sort_implIS3_Lb1EPKfPfPKlPlN2at6native12_GLOBAL__N_18offset_tEEE10hipError_tPvRmT1_PNSt15iterator_traitsISK_E10value_typeET2_T3_PNSL_ISQ_E10value_typeET4_jRbjT5_SW_jjP12ihipStream_tbEUlT_E1_NS1_11comp_targetILNS1_3genE10ELNS1_11target_archE1201ELNS1_3gpuE5ELNS1_3repE0EEENS1_59segmented_radix_sort_warp_sort_small_config_static_selectorELNS0_4arch9wavefront6targetE1EEEvSK_
	.p2align	8
	.type	_ZN7rocprim17ROCPRIM_400000_NS6detail17trampoline_kernelINS0_14default_configENS1_36segmented_radix_sort_config_selectorIflEEZNS1_25segmented_radix_sort_implIS3_Lb1EPKfPfPKlPlN2at6native12_GLOBAL__N_18offset_tEEE10hipError_tPvRmT1_PNSt15iterator_traitsISK_E10value_typeET2_T3_PNSL_ISQ_E10value_typeET4_jRbjT5_SW_jjP12ihipStream_tbEUlT_E1_NS1_11comp_targetILNS1_3genE10ELNS1_11target_archE1201ELNS1_3gpuE5ELNS1_3repE0EEENS1_59segmented_radix_sort_warp_sort_small_config_static_selectorELNS0_4arch9wavefront6targetE1EEEvSK_,@function
_ZN7rocprim17ROCPRIM_400000_NS6detail17trampoline_kernelINS0_14default_configENS1_36segmented_radix_sort_config_selectorIflEEZNS1_25segmented_radix_sort_implIS3_Lb1EPKfPfPKlPlN2at6native12_GLOBAL__N_18offset_tEEE10hipError_tPvRmT1_PNSt15iterator_traitsISK_E10value_typeET2_T3_PNSL_ISQ_E10value_typeET4_jRbjT5_SW_jjP12ihipStream_tbEUlT_E1_NS1_11comp_targetILNS1_3genE10ELNS1_11target_archE1201ELNS1_3gpuE5ELNS1_3repE0EEENS1_59segmented_radix_sort_warp_sort_small_config_static_selectorELNS0_4arch9wavefront6targetE1EEEvSK_: ; @_ZN7rocprim17ROCPRIM_400000_NS6detail17trampoline_kernelINS0_14default_configENS1_36segmented_radix_sort_config_selectorIflEEZNS1_25segmented_radix_sort_implIS3_Lb1EPKfPfPKlPlN2at6native12_GLOBAL__N_18offset_tEEE10hipError_tPvRmT1_PNSt15iterator_traitsISK_E10value_typeET2_T3_PNSL_ISQ_E10value_typeET4_jRbjT5_SW_jjP12ihipStream_tbEUlT_E1_NS1_11comp_targetILNS1_3genE10ELNS1_11target_archE1201ELNS1_3gpuE5ELNS1_3repE0EEENS1_59segmented_radix_sort_warp_sort_small_config_static_selectorELNS0_4arch9wavefront6targetE1EEEvSK_
; %bb.0:
	.section	.rodata,"a",@progbits
	.p2align	6, 0x0
	.amdhsa_kernel _ZN7rocprim17ROCPRIM_400000_NS6detail17trampoline_kernelINS0_14default_configENS1_36segmented_radix_sort_config_selectorIflEEZNS1_25segmented_radix_sort_implIS3_Lb1EPKfPfPKlPlN2at6native12_GLOBAL__N_18offset_tEEE10hipError_tPvRmT1_PNSt15iterator_traitsISK_E10value_typeET2_T3_PNSL_ISQ_E10value_typeET4_jRbjT5_SW_jjP12ihipStream_tbEUlT_E1_NS1_11comp_targetILNS1_3genE10ELNS1_11target_archE1201ELNS1_3gpuE5ELNS1_3repE0EEENS1_59segmented_radix_sort_warp_sort_small_config_static_selectorELNS0_4arch9wavefront6targetE1EEEvSK_
		.amdhsa_group_segment_fixed_size 0
		.amdhsa_private_segment_fixed_size 0
		.amdhsa_kernarg_size 88
		.amdhsa_user_sgpr_count 6
		.amdhsa_user_sgpr_private_segment_buffer 1
		.amdhsa_user_sgpr_dispatch_ptr 0
		.amdhsa_user_sgpr_queue_ptr 0
		.amdhsa_user_sgpr_kernarg_segment_ptr 1
		.amdhsa_user_sgpr_dispatch_id 0
		.amdhsa_user_sgpr_flat_scratch_init 0
		.amdhsa_user_sgpr_kernarg_preload_length 0
		.amdhsa_user_sgpr_kernarg_preload_offset 0
		.amdhsa_user_sgpr_private_segment_size 0
		.amdhsa_uses_dynamic_stack 0
		.amdhsa_system_sgpr_private_segment_wavefront_offset 0
		.amdhsa_system_sgpr_workgroup_id_x 1
		.amdhsa_system_sgpr_workgroup_id_y 0
		.amdhsa_system_sgpr_workgroup_id_z 0
		.amdhsa_system_sgpr_workgroup_info 0
		.amdhsa_system_vgpr_workitem_id 0
		.amdhsa_next_free_vgpr 1
		.amdhsa_next_free_sgpr 0
		.amdhsa_accum_offset 4
		.amdhsa_reserve_vcc 0
		.amdhsa_reserve_flat_scratch 0
		.amdhsa_float_round_mode_32 0
		.amdhsa_float_round_mode_16_64 0
		.amdhsa_float_denorm_mode_32 3
		.amdhsa_float_denorm_mode_16_64 3
		.amdhsa_dx10_clamp 1
		.amdhsa_ieee_mode 1
		.amdhsa_fp16_overflow 0
		.amdhsa_tg_split 0
		.amdhsa_exception_fp_ieee_invalid_op 0
		.amdhsa_exception_fp_denorm_src 0
		.amdhsa_exception_fp_ieee_div_zero 0
		.amdhsa_exception_fp_ieee_overflow 0
		.amdhsa_exception_fp_ieee_underflow 0
		.amdhsa_exception_fp_ieee_inexact 0
		.amdhsa_exception_int_div_zero 0
	.end_amdhsa_kernel
	.section	.text._ZN7rocprim17ROCPRIM_400000_NS6detail17trampoline_kernelINS0_14default_configENS1_36segmented_radix_sort_config_selectorIflEEZNS1_25segmented_radix_sort_implIS3_Lb1EPKfPfPKlPlN2at6native12_GLOBAL__N_18offset_tEEE10hipError_tPvRmT1_PNSt15iterator_traitsISK_E10value_typeET2_T3_PNSL_ISQ_E10value_typeET4_jRbjT5_SW_jjP12ihipStream_tbEUlT_E1_NS1_11comp_targetILNS1_3genE10ELNS1_11target_archE1201ELNS1_3gpuE5ELNS1_3repE0EEENS1_59segmented_radix_sort_warp_sort_small_config_static_selectorELNS0_4arch9wavefront6targetE1EEEvSK_,"axG",@progbits,_ZN7rocprim17ROCPRIM_400000_NS6detail17trampoline_kernelINS0_14default_configENS1_36segmented_radix_sort_config_selectorIflEEZNS1_25segmented_radix_sort_implIS3_Lb1EPKfPfPKlPlN2at6native12_GLOBAL__N_18offset_tEEE10hipError_tPvRmT1_PNSt15iterator_traitsISK_E10value_typeET2_T3_PNSL_ISQ_E10value_typeET4_jRbjT5_SW_jjP12ihipStream_tbEUlT_E1_NS1_11comp_targetILNS1_3genE10ELNS1_11target_archE1201ELNS1_3gpuE5ELNS1_3repE0EEENS1_59segmented_radix_sort_warp_sort_small_config_static_selectorELNS0_4arch9wavefront6targetE1EEEvSK_,comdat
.Lfunc_end1349:
	.size	_ZN7rocprim17ROCPRIM_400000_NS6detail17trampoline_kernelINS0_14default_configENS1_36segmented_radix_sort_config_selectorIflEEZNS1_25segmented_radix_sort_implIS3_Lb1EPKfPfPKlPlN2at6native12_GLOBAL__N_18offset_tEEE10hipError_tPvRmT1_PNSt15iterator_traitsISK_E10value_typeET2_T3_PNSL_ISQ_E10value_typeET4_jRbjT5_SW_jjP12ihipStream_tbEUlT_E1_NS1_11comp_targetILNS1_3genE10ELNS1_11target_archE1201ELNS1_3gpuE5ELNS1_3repE0EEENS1_59segmented_radix_sort_warp_sort_small_config_static_selectorELNS0_4arch9wavefront6targetE1EEEvSK_, .Lfunc_end1349-_ZN7rocprim17ROCPRIM_400000_NS6detail17trampoline_kernelINS0_14default_configENS1_36segmented_radix_sort_config_selectorIflEEZNS1_25segmented_radix_sort_implIS3_Lb1EPKfPfPKlPlN2at6native12_GLOBAL__N_18offset_tEEE10hipError_tPvRmT1_PNSt15iterator_traitsISK_E10value_typeET2_T3_PNSL_ISQ_E10value_typeET4_jRbjT5_SW_jjP12ihipStream_tbEUlT_E1_NS1_11comp_targetILNS1_3genE10ELNS1_11target_archE1201ELNS1_3gpuE5ELNS1_3repE0EEENS1_59segmented_radix_sort_warp_sort_small_config_static_selectorELNS0_4arch9wavefront6targetE1EEEvSK_
                                        ; -- End function
	.section	.AMDGPU.csdata,"",@progbits
; Kernel info:
; codeLenInByte = 0
; NumSgprs: 4
; NumVgprs: 0
; NumAgprs: 0
; TotalNumVgprs: 0
; ScratchSize: 0
; MemoryBound: 0
; FloatMode: 240
; IeeeMode: 1
; LDSByteSize: 0 bytes/workgroup (compile time only)
; SGPRBlocks: 0
; VGPRBlocks: 0
; NumSGPRsForWavesPerEU: 4
; NumVGPRsForWavesPerEU: 1
; AccumOffset: 4
; Occupancy: 8
; WaveLimiterHint : 0
; COMPUTE_PGM_RSRC2:SCRATCH_EN: 0
; COMPUTE_PGM_RSRC2:USER_SGPR: 6
; COMPUTE_PGM_RSRC2:TRAP_HANDLER: 0
; COMPUTE_PGM_RSRC2:TGID_X_EN: 1
; COMPUTE_PGM_RSRC2:TGID_Y_EN: 0
; COMPUTE_PGM_RSRC2:TGID_Z_EN: 0
; COMPUTE_PGM_RSRC2:TIDIG_COMP_CNT: 0
; COMPUTE_PGM_RSRC3_GFX90A:ACCUM_OFFSET: 0
; COMPUTE_PGM_RSRC3_GFX90A:TG_SPLIT: 0
	.section	.text._ZN7rocprim17ROCPRIM_400000_NS6detail17trampoline_kernelINS0_14default_configENS1_36segmented_radix_sort_config_selectorIflEEZNS1_25segmented_radix_sort_implIS3_Lb1EPKfPfPKlPlN2at6native12_GLOBAL__N_18offset_tEEE10hipError_tPvRmT1_PNSt15iterator_traitsISK_E10value_typeET2_T3_PNSL_ISQ_E10value_typeET4_jRbjT5_SW_jjP12ihipStream_tbEUlT_E1_NS1_11comp_targetILNS1_3genE10ELNS1_11target_archE1200ELNS1_3gpuE4ELNS1_3repE0EEENS1_59segmented_radix_sort_warp_sort_small_config_static_selectorELNS0_4arch9wavefront6targetE1EEEvSK_,"axG",@progbits,_ZN7rocprim17ROCPRIM_400000_NS6detail17trampoline_kernelINS0_14default_configENS1_36segmented_radix_sort_config_selectorIflEEZNS1_25segmented_radix_sort_implIS3_Lb1EPKfPfPKlPlN2at6native12_GLOBAL__N_18offset_tEEE10hipError_tPvRmT1_PNSt15iterator_traitsISK_E10value_typeET2_T3_PNSL_ISQ_E10value_typeET4_jRbjT5_SW_jjP12ihipStream_tbEUlT_E1_NS1_11comp_targetILNS1_3genE10ELNS1_11target_archE1200ELNS1_3gpuE4ELNS1_3repE0EEENS1_59segmented_radix_sort_warp_sort_small_config_static_selectorELNS0_4arch9wavefront6targetE1EEEvSK_,comdat
	.globl	_ZN7rocprim17ROCPRIM_400000_NS6detail17trampoline_kernelINS0_14default_configENS1_36segmented_radix_sort_config_selectorIflEEZNS1_25segmented_radix_sort_implIS3_Lb1EPKfPfPKlPlN2at6native12_GLOBAL__N_18offset_tEEE10hipError_tPvRmT1_PNSt15iterator_traitsISK_E10value_typeET2_T3_PNSL_ISQ_E10value_typeET4_jRbjT5_SW_jjP12ihipStream_tbEUlT_E1_NS1_11comp_targetILNS1_3genE10ELNS1_11target_archE1200ELNS1_3gpuE4ELNS1_3repE0EEENS1_59segmented_radix_sort_warp_sort_small_config_static_selectorELNS0_4arch9wavefront6targetE1EEEvSK_ ; -- Begin function _ZN7rocprim17ROCPRIM_400000_NS6detail17trampoline_kernelINS0_14default_configENS1_36segmented_radix_sort_config_selectorIflEEZNS1_25segmented_radix_sort_implIS3_Lb1EPKfPfPKlPlN2at6native12_GLOBAL__N_18offset_tEEE10hipError_tPvRmT1_PNSt15iterator_traitsISK_E10value_typeET2_T3_PNSL_ISQ_E10value_typeET4_jRbjT5_SW_jjP12ihipStream_tbEUlT_E1_NS1_11comp_targetILNS1_3genE10ELNS1_11target_archE1200ELNS1_3gpuE4ELNS1_3repE0EEENS1_59segmented_radix_sort_warp_sort_small_config_static_selectorELNS0_4arch9wavefront6targetE1EEEvSK_
	.p2align	8
	.type	_ZN7rocprim17ROCPRIM_400000_NS6detail17trampoline_kernelINS0_14default_configENS1_36segmented_radix_sort_config_selectorIflEEZNS1_25segmented_radix_sort_implIS3_Lb1EPKfPfPKlPlN2at6native12_GLOBAL__N_18offset_tEEE10hipError_tPvRmT1_PNSt15iterator_traitsISK_E10value_typeET2_T3_PNSL_ISQ_E10value_typeET4_jRbjT5_SW_jjP12ihipStream_tbEUlT_E1_NS1_11comp_targetILNS1_3genE10ELNS1_11target_archE1200ELNS1_3gpuE4ELNS1_3repE0EEENS1_59segmented_radix_sort_warp_sort_small_config_static_selectorELNS0_4arch9wavefront6targetE1EEEvSK_,@function
_ZN7rocprim17ROCPRIM_400000_NS6detail17trampoline_kernelINS0_14default_configENS1_36segmented_radix_sort_config_selectorIflEEZNS1_25segmented_radix_sort_implIS3_Lb1EPKfPfPKlPlN2at6native12_GLOBAL__N_18offset_tEEE10hipError_tPvRmT1_PNSt15iterator_traitsISK_E10value_typeET2_T3_PNSL_ISQ_E10value_typeET4_jRbjT5_SW_jjP12ihipStream_tbEUlT_E1_NS1_11comp_targetILNS1_3genE10ELNS1_11target_archE1200ELNS1_3gpuE4ELNS1_3repE0EEENS1_59segmented_radix_sort_warp_sort_small_config_static_selectorELNS0_4arch9wavefront6targetE1EEEvSK_: ; @_ZN7rocprim17ROCPRIM_400000_NS6detail17trampoline_kernelINS0_14default_configENS1_36segmented_radix_sort_config_selectorIflEEZNS1_25segmented_radix_sort_implIS3_Lb1EPKfPfPKlPlN2at6native12_GLOBAL__N_18offset_tEEE10hipError_tPvRmT1_PNSt15iterator_traitsISK_E10value_typeET2_T3_PNSL_ISQ_E10value_typeET4_jRbjT5_SW_jjP12ihipStream_tbEUlT_E1_NS1_11comp_targetILNS1_3genE10ELNS1_11target_archE1200ELNS1_3gpuE4ELNS1_3repE0EEENS1_59segmented_radix_sort_warp_sort_small_config_static_selectorELNS0_4arch9wavefront6targetE1EEEvSK_
; %bb.0:
	.section	.rodata,"a",@progbits
	.p2align	6, 0x0
	.amdhsa_kernel _ZN7rocprim17ROCPRIM_400000_NS6detail17trampoline_kernelINS0_14default_configENS1_36segmented_radix_sort_config_selectorIflEEZNS1_25segmented_radix_sort_implIS3_Lb1EPKfPfPKlPlN2at6native12_GLOBAL__N_18offset_tEEE10hipError_tPvRmT1_PNSt15iterator_traitsISK_E10value_typeET2_T3_PNSL_ISQ_E10value_typeET4_jRbjT5_SW_jjP12ihipStream_tbEUlT_E1_NS1_11comp_targetILNS1_3genE10ELNS1_11target_archE1200ELNS1_3gpuE4ELNS1_3repE0EEENS1_59segmented_radix_sort_warp_sort_small_config_static_selectorELNS0_4arch9wavefront6targetE1EEEvSK_
		.amdhsa_group_segment_fixed_size 0
		.amdhsa_private_segment_fixed_size 0
		.amdhsa_kernarg_size 88
		.amdhsa_user_sgpr_count 6
		.amdhsa_user_sgpr_private_segment_buffer 1
		.amdhsa_user_sgpr_dispatch_ptr 0
		.amdhsa_user_sgpr_queue_ptr 0
		.amdhsa_user_sgpr_kernarg_segment_ptr 1
		.amdhsa_user_sgpr_dispatch_id 0
		.amdhsa_user_sgpr_flat_scratch_init 0
		.amdhsa_user_sgpr_kernarg_preload_length 0
		.amdhsa_user_sgpr_kernarg_preload_offset 0
		.amdhsa_user_sgpr_private_segment_size 0
		.amdhsa_uses_dynamic_stack 0
		.amdhsa_system_sgpr_private_segment_wavefront_offset 0
		.amdhsa_system_sgpr_workgroup_id_x 1
		.amdhsa_system_sgpr_workgroup_id_y 0
		.amdhsa_system_sgpr_workgroup_id_z 0
		.amdhsa_system_sgpr_workgroup_info 0
		.amdhsa_system_vgpr_workitem_id 0
		.amdhsa_next_free_vgpr 1
		.amdhsa_next_free_sgpr 0
		.amdhsa_accum_offset 4
		.amdhsa_reserve_vcc 0
		.amdhsa_reserve_flat_scratch 0
		.amdhsa_float_round_mode_32 0
		.amdhsa_float_round_mode_16_64 0
		.amdhsa_float_denorm_mode_32 3
		.amdhsa_float_denorm_mode_16_64 3
		.amdhsa_dx10_clamp 1
		.amdhsa_ieee_mode 1
		.amdhsa_fp16_overflow 0
		.amdhsa_tg_split 0
		.amdhsa_exception_fp_ieee_invalid_op 0
		.amdhsa_exception_fp_denorm_src 0
		.amdhsa_exception_fp_ieee_div_zero 0
		.amdhsa_exception_fp_ieee_overflow 0
		.amdhsa_exception_fp_ieee_underflow 0
		.amdhsa_exception_fp_ieee_inexact 0
		.amdhsa_exception_int_div_zero 0
	.end_amdhsa_kernel
	.section	.text._ZN7rocprim17ROCPRIM_400000_NS6detail17trampoline_kernelINS0_14default_configENS1_36segmented_radix_sort_config_selectorIflEEZNS1_25segmented_radix_sort_implIS3_Lb1EPKfPfPKlPlN2at6native12_GLOBAL__N_18offset_tEEE10hipError_tPvRmT1_PNSt15iterator_traitsISK_E10value_typeET2_T3_PNSL_ISQ_E10value_typeET4_jRbjT5_SW_jjP12ihipStream_tbEUlT_E1_NS1_11comp_targetILNS1_3genE10ELNS1_11target_archE1200ELNS1_3gpuE4ELNS1_3repE0EEENS1_59segmented_radix_sort_warp_sort_small_config_static_selectorELNS0_4arch9wavefront6targetE1EEEvSK_,"axG",@progbits,_ZN7rocprim17ROCPRIM_400000_NS6detail17trampoline_kernelINS0_14default_configENS1_36segmented_radix_sort_config_selectorIflEEZNS1_25segmented_radix_sort_implIS3_Lb1EPKfPfPKlPlN2at6native12_GLOBAL__N_18offset_tEEE10hipError_tPvRmT1_PNSt15iterator_traitsISK_E10value_typeET2_T3_PNSL_ISQ_E10value_typeET4_jRbjT5_SW_jjP12ihipStream_tbEUlT_E1_NS1_11comp_targetILNS1_3genE10ELNS1_11target_archE1200ELNS1_3gpuE4ELNS1_3repE0EEENS1_59segmented_radix_sort_warp_sort_small_config_static_selectorELNS0_4arch9wavefront6targetE1EEEvSK_,comdat
.Lfunc_end1350:
	.size	_ZN7rocprim17ROCPRIM_400000_NS6detail17trampoline_kernelINS0_14default_configENS1_36segmented_radix_sort_config_selectorIflEEZNS1_25segmented_radix_sort_implIS3_Lb1EPKfPfPKlPlN2at6native12_GLOBAL__N_18offset_tEEE10hipError_tPvRmT1_PNSt15iterator_traitsISK_E10value_typeET2_T3_PNSL_ISQ_E10value_typeET4_jRbjT5_SW_jjP12ihipStream_tbEUlT_E1_NS1_11comp_targetILNS1_3genE10ELNS1_11target_archE1200ELNS1_3gpuE4ELNS1_3repE0EEENS1_59segmented_radix_sort_warp_sort_small_config_static_selectorELNS0_4arch9wavefront6targetE1EEEvSK_, .Lfunc_end1350-_ZN7rocprim17ROCPRIM_400000_NS6detail17trampoline_kernelINS0_14default_configENS1_36segmented_radix_sort_config_selectorIflEEZNS1_25segmented_radix_sort_implIS3_Lb1EPKfPfPKlPlN2at6native12_GLOBAL__N_18offset_tEEE10hipError_tPvRmT1_PNSt15iterator_traitsISK_E10value_typeET2_T3_PNSL_ISQ_E10value_typeET4_jRbjT5_SW_jjP12ihipStream_tbEUlT_E1_NS1_11comp_targetILNS1_3genE10ELNS1_11target_archE1200ELNS1_3gpuE4ELNS1_3repE0EEENS1_59segmented_radix_sort_warp_sort_small_config_static_selectorELNS0_4arch9wavefront6targetE1EEEvSK_
                                        ; -- End function
	.section	.AMDGPU.csdata,"",@progbits
; Kernel info:
; codeLenInByte = 0
; NumSgprs: 4
; NumVgprs: 0
; NumAgprs: 0
; TotalNumVgprs: 0
; ScratchSize: 0
; MemoryBound: 0
; FloatMode: 240
; IeeeMode: 1
; LDSByteSize: 0 bytes/workgroup (compile time only)
; SGPRBlocks: 0
; VGPRBlocks: 0
; NumSGPRsForWavesPerEU: 4
; NumVGPRsForWavesPerEU: 1
; AccumOffset: 4
; Occupancy: 8
; WaveLimiterHint : 0
; COMPUTE_PGM_RSRC2:SCRATCH_EN: 0
; COMPUTE_PGM_RSRC2:USER_SGPR: 6
; COMPUTE_PGM_RSRC2:TRAP_HANDLER: 0
; COMPUTE_PGM_RSRC2:TGID_X_EN: 1
; COMPUTE_PGM_RSRC2:TGID_Y_EN: 0
; COMPUTE_PGM_RSRC2:TGID_Z_EN: 0
; COMPUTE_PGM_RSRC2:TIDIG_COMP_CNT: 0
; COMPUTE_PGM_RSRC3_GFX90A:ACCUM_OFFSET: 0
; COMPUTE_PGM_RSRC3_GFX90A:TG_SPLIT: 0
	.section	.text._ZN7rocprim17ROCPRIM_400000_NS6detail17trampoline_kernelINS0_14default_configENS1_36segmented_radix_sort_config_selectorIflEEZNS1_25segmented_radix_sort_implIS3_Lb1EPKfPfPKlPlN2at6native12_GLOBAL__N_18offset_tEEE10hipError_tPvRmT1_PNSt15iterator_traitsISK_E10value_typeET2_T3_PNSL_ISQ_E10value_typeET4_jRbjT5_SW_jjP12ihipStream_tbEUlT_E1_NS1_11comp_targetILNS1_3genE9ELNS1_11target_archE1100ELNS1_3gpuE3ELNS1_3repE0EEENS1_59segmented_radix_sort_warp_sort_small_config_static_selectorELNS0_4arch9wavefront6targetE1EEEvSK_,"axG",@progbits,_ZN7rocprim17ROCPRIM_400000_NS6detail17trampoline_kernelINS0_14default_configENS1_36segmented_radix_sort_config_selectorIflEEZNS1_25segmented_radix_sort_implIS3_Lb1EPKfPfPKlPlN2at6native12_GLOBAL__N_18offset_tEEE10hipError_tPvRmT1_PNSt15iterator_traitsISK_E10value_typeET2_T3_PNSL_ISQ_E10value_typeET4_jRbjT5_SW_jjP12ihipStream_tbEUlT_E1_NS1_11comp_targetILNS1_3genE9ELNS1_11target_archE1100ELNS1_3gpuE3ELNS1_3repE0EEENS1_59segmented_radix_sort_warp_sort_small_config_static_selectorELNS0_4arch9wavefront6targetE1EEEvSK_,comdat
	.globl	_ZN7rocprim17ROCPRIM_400000_NS6detail17trampoline_kernelINS0_14default_configENS1_36segmented_radix_sort_config_selectorIflEEZNS1_25segmented_radix_sort_implIS3_Lb1EPKfPfPKlPlN2at6native12_GLOBAL__N_18offset_tEEE10hipError_tPvRmT1_PNSt15iterator_traitsISK_E10value_typeET2_T3_PNSL_ISQ_E10value_typeET4_jRbjT5_SW_jjP12ihipStream_tbEUlT_E1_NS1_11comp_targetILNS1_3genE9ELNS1_11target_archE1100ELNS1_3gpuE3ELNS1_3repE0EEENS1_59segmented_radix_sort_warp_sort_small_config_static_selectorELNS0_4arch9wavefront6targetE1EEEvSK_ ; -- Begin function _ZN7rocprim17ROCPRIM_400000_NS6detail17trampoline_kernelINS0_14default_configENS1_36segmented_radix_sort_config_selectorIflEEZNS1_25segmented_radix_sort_implIS3_Lb1EPKfPfPKlPlN2at6native12_GLOBAL__N_18offset_tEEE10hipError_tPvRmT1_PNSt15iterator_traitsISK_E10value_typeET2_T3_PNSL_ISQ_E10value_typeET4_jRbjT5_SW_jjP12ihipStream_tbEUlT_E1_NS1_11comp_targetILNS1_3genE9ELNS1_11target_archE1100ELNS1_3gpuE3ELNS1_3repE0EEENS1_59segmented_radix_sort_warp_sort_small_config_static_selectorELNS0_4arch9wavefront6targetE1EEEvSK_
	.p2align	8
	.type	_ZN7rocprim17ROCPRIM_400000_NS6detail17trampoline_kernelINS0_14default_configENS1_36segmented_radix_sort_config_selectorIflEEZNS1_25segmented_radix_sort_implIS3_Lb1EPKfPfPKlPlN2at6native12_GLOBAL__N_18offset_tEEE10hipError_tPvRmT1_PNSt15iterator_traitsISK_E10value_typeET2_T3_PNSL_ISQ_E10value_typeET4_jRbjT5_SW_jjP12ihipStream_tbEUlT_E1_NS1_11comp_targetILNS1_3genE9ELNS1_11target_archE1100ELNS1_3gpuE3ELNS1_3repE0EEENS1_59segmented_radix_sort_warp_sort_small_config_static_selectorELNS0_4arch9wavefront6targetE1EEEvSK_,@function
_ZN7rocprim17ROCPRIM_400000_NS6detail17trampoline_kernelINS0_14default_configENS1_36segmented_radix_sort_config_selectorIflEEZNS1_25segmented_radix_sort_implIS3_Lb1EPKfPfPKlPlN2at6native12_GLOBAL__N_18offset_tEEE10hipError_tPvRmT1_PNSt15iterator_traitsISK_E10value_typeET2_T3_PNSL_ISQ_E10value_typeET4_jRbjT5_SW_jjP12ihipStream_tbEUlT_E1_NS1_11comp_targetILNS1_3genE9ELNS1_11target_archE1100ELNS1_3gpuE3ELNS1_3repE0EEENS1_59segmented_radix_sort_warp_sort_small_config_static_selectorELNS0_4arch9wavefront6targetE1EEEvSK_: ; @_ZN7rocprim17ROCPRIM_400000_NS6detail17trampoline_kernelINS0_14default_configENS1_36segmented_radix_sort_config_selectorIflEEZNS1_25segmented_radix_sort_implIS3_Lb1EPKfPfPKlPlN2at6native12_GLOBAL__N_18offset_tEEE10hipError_tPvRmT1_PNSt15iterator_traitsISK_E10value_typeET2_T3_PNSL_ISQ_E10value_typeET4_jRbjT5_SW_jjP12ihipStream_tbEUlT_E1_NS1_11comp_targetILNS1_3genE9ELNS1_11target_archE1100ELNS1_3gpuE3ELNS1_3repE0EEENS1_59segmented_radix_sort_warp_sort_small_config_static_selectorELNS0_4arch9wavefront6targetE1EEEvSK_
; %bb.0:
	.section	.rodata,"a",@progbits
	.p2align	6, 0x0
	.amdhsa_kernel _ZN7rocprim17ROCPRIM_400000_NS6detail17trampoline_kernelINS0_14default_configENS1_36segmented_radix_sort_config_selectorIflEEZNS1_25segmented_radix_sort_implIS3_Lb1EPKfPfPKlPlN2at6native12_GLOBAL__N_18offset_tEEE10hipError_tPvRmT1_PNSt15iterator_traitsISK_E10value_typeET2_T3_PNSL_ISQ_E10value_typeET4_jRbjT5_SW_jjP12ihipStream_tbEUlT_E1_NS1_11comp_targetILNS1_3genE9ELNS1_11target_archE1100ELNS1_3gpuE3ELNS1_3repE0EEENS1_59segmented_radix_sort_warp_sort_small_config_static_selectorELNS0_4arch9wavefront6targetE1EEEvSK_
		.amdhsa_group_segment_fixed_size 0
		.amdhsa_private_segment_fixed_size 0
		.amdhsa_kernarg_size 88
		.amdhsa_user_sgpr_count 6
		.amdhsa_user_sgpr_private_segment_buffer 1
		.amdhsa_user_sgpr_dispatch_ptr 0
		.amdhsa_user_sgpr_queue_ptr 0
		.amdhsa_user_sgpr_kernarg_segment_ptr 1
		.amdhsa_user_sgpr_dispatch_id 0
		.amdhsa_user_sgpr_flat_scratch_init 0
		.amdhsa_user_sgpr_kernarg_preload_length 0
		.amdhsa_user_sgpr_kernarg_preload_offset 0
		.amdhsa_user_sgpr_private_segment_size 0
		.amdhsa_uses_dynamic_stack 0
		.amdhsa_system_sgpr_private_segment_wavefront_offset 0
		.amdhsa_system_sgpr_workgroup_id_x 1
		.amdhsa_system_sgpr_workgroup_id_y 0
		.amdhsa_system_sgpr_workgroup_id_z 0
		.amdhsa_system_sgpr_workgroup_info 0
		.amdhsa_system_vgpr_workitem_id 0
		.amdhsa_next_free_vgpr 1
		.amdhsa_next_free_sgpr 0
		.amdhsa_accum_offset 4
		.amdhsa_reserve_vcc 0
		.amdhsa_reserve_flat_scratch 0
		.amdhsa_float_round_mode_32 0
		.amdhsa_float_round_mode_16_64 0
		.amdhsa_float_denorm_mode_32 3
		.amdhsa_float_denorm_mode_16_64 3
		.amdhsa_dx10_clamp 1
		.amdhsa_ieee_mode 1
		.amdhsa_fp16_overflow 0
		.amdhsa_tg_split 0
		.amdhsa_exception_fp_ieee_invalid_op 0
		.amdhsa_exception_fp_denorm_src 0
		.amdhsa_exception_fp_ieee_div_zero 0
		.amdhsa_exception_fp_ieee_overflow 0
		.amdhsa_exception_fp_ieee_underflow 0
		.amdhsa_exception_fp_ieee_inexact 0
		.amdhsa_exception_int_div_zero 0
	.end_amdhsa_kernel
	.section	.text._ZN7rocprim17ROCPRIM_400000_NS6detail17trampoline_kernelINS0_14default_configENS1_36segmented_radix_sort_config_selectorIflEEZNS1_25segmented_radix_sort_implIS3_Lb1EPKfPfPKlPlN2at6native12_GLOBAL__N_18offset_tEEE10hipError_tPvRmT1_PNSt15iterator_traitsISK_E10value_typeET2_T3_PNSL_ISQ_E10value_typeET4_jRbjT5_SW_jjP12ihipStream_tbEUlT_E1_NS1_11comp_targetILNS1_3genE9ELNS1_11target_archE1100ELNS1_3gpuE3ELNS1_3repE0EEENS1_59segmented_radix_sort_warp_sort_small_config_static_selectorELNS0_4arch9wavefront6targetE1EEEvSK_,"axG",@progbits,_ZN7rocprim17ROCPRIM_400000_NS6detail17trampoline_kernelINS0_14default_configENS1_36segmented_radix_sort_config_selectorIflEEZNS1_25segmented_radix_sort_implIS3_Lb1EPKfPfPKlPlN2at6native12_GLOBAL__N_18offset_tEEE10hipError_tPvRmT1_PNSt15iterator_traitsISK_E10value_typeET2_T3_PNSL_ISQ_E10value_typeET4_jRbjT5_SW_jjP12ihipStream_tbEUlT_E1_NS1_11comp_targetILNS1_3genE9ELNS1_11target_archE1100ELNS1_3gpuE3ELNS1_3repE0EEENS1_59segmented_radix_sort_warp_sort_small_config_static_selectorELNS0_4arch9wavefront6targetE1EEEvSK_,comdat
.Lfunc_end1351:
	.size	_ZN7rocprim17ROCPRIM_400000_NS6detail17trampoline_kernelINS0_14default_configENS1_36segmented_radix_sort_config_selectorIflEEZNS1_25segmented_radix_sort_implIS3_Lb1EPKfPfPKlPlN2at6native12_GLOBAL__N_18offset_tEEE10hipError_tPvRmT1_PNSt15iterator_traitsISK_E10value_typeET2_T3_PNSL_ISQ_E10value_typeET4_jRbjT5_SW_jjP12ihipStream_tbEUlT_E1_NS1_11comp_targetILNS1_3genE9ELNS1_11target_archE1100ELNS1_3gpuE3ELNS1_3repE0EEENS1_59segmented_radix_sort_warp_sort_small_config_static_selectorELNS0_4arch9wavefront6targetE1EEEvSK_, .Lfunc_end1351-_ZN7rocprim17ROCPRIM_400000_NS6detail17trampoline_kernelINS0_14default_configENS1_36segmented_radix_sort_config_selectorIflEEZNS1_25segmented_radix_sort_implIS3_Lb1EPKfPfPKlPlN2at6native12_GLOBAL__N_18offset_tEEE10hipError_tPvRmT1_PNSt15iterator_traitsISK_E10value_typeET2_T3_PNSL_ISQ_E10value_typeET4_jRbjT5_SW_jjP12ihipStream_tbEUlT_E1_NS1_11comp_targetILNS1_3genE9ELNS1_11target_archE1100ELNS1_3gpuE3ELNS1_3repE0EEENS1_59segmented_radix_sort_warp_sort_small_config_static_selectorELNS0_4arch9wavefront6targetE1EEEvSK_
                                        ; -- End function
	.section	.AMDGPU.csdata,"",@progbits
; Kernel info:
; codeLenInByte = 0
; NumSgprs: 4
; NumVgprs: 0
; NumAgprs: 0
; TotalNumVgprs: 0
; ScratchSize: 0
; MemoryBound: 0
; FloatMode: 240
; IeeeMode: 1
; LDSByteSize: 0 bytes/workgroup (compile time only)
; SGPRBlocks: 0
; VGPRBlocks: 0
; NumSGPRsForWavesPerEU: 4
; NumVGPRsForWavesPerEU: 1
; AccumOffset: 4
; Occupancy: 8
; WaveLimiterHint : 0
; COMPUTE_PGM_RSRC2:SCRATCH_EN: 0
; COMPUTE_PGM_RSRC2:USER_SGPR: 6
; COMPUTE_PGM_RSRC2:TRAP_HANDLER: 0
; COMPUTE_PGM_RSRC2:TGID_X_EN: 1
; COMPUTE_PGM_RSRC2:TGID_Y_EN: 0
; COMPUTE_PGM_RSRC2:TGID_Z_EN: 0
; COMPUTE_PGM_RSRC2:TIDIG_COMP_CNT: 0
; COMPUTE_PGM_RSRC3_GFX90A:ACCUM_OFFSET: 0
; COMPUTE_PGM_RSRC3_GFX90A:TG_SPLIT: 0
	.section	.text._ZN7rocprim17ROCPRIM_400000_NS6detail17trampoline_kernelINS0_14default_configENS1_36segmented_radix_sort_config_selectorIflEEZNS1_25segmented_radix_sort_implIS3_Lb1EPKfPfPKlPlN2at6native12_GLOBAL__N_18offset_tEEE10hipError_tPvRmT1_PNSt15iterator_traitsISK_E10value_typeET2_T3_PNSL_ISQ_E10value_typeET4_jRbjT5_SW_jjP12ihipStream_tbEUlT_E1_NS1_11comp_targetILNS1_3genE8ELNS1_11target_archE1030ELNS1_3gpuE2ELNS1_3repE0EEENS1_59segmented_radix_sort_warp_sort_small_config_static_selectorELNS0_4arch9wavefront6targetE1EEEvSK_,"axG",@progbits,_ZN7rocprim17ROCPRIM_400000_NS6detail17trampoline_kernelINS0_14default_configENS1_36segmented_radix_sort_config_selectorIflEEZNS1_25segmented_radix_sort_implIS3_Lb1EPKfPfPKlPlN2at6native12_GLOBAL__N_18offset_tEEE10hipError_tPvRmT1_PNSt15iterator_traitsISK_E10value_typeET2_T3_PNSL_ISQ_E10value_typeET4_jRbjT5_SW_jjP12ihipStream_tbEUlT_E1_NS1_11comp_targetILNS1_3genE8ELNS1_11target_archE1030ELNS1_3gpuE2ELNS1_3repE0EEENS1_59segmented_radix_sort_warp_sort_small_config_static_selectorELNS0_4arch9wavefront6targetE1EEEvSK_,comdat
	.globl	_ZN7rocprim17ROCPRIM_400000_NS6detail17trampoline_kernelINS0_14default_configENS1_36segmented_radix_sort_config_selectorIflEEZNS1_25segmented_radix_sort_implIS3_Lb1EPKfPfPKlPlN2at6native12_GLOBAL__N_18offset_tEEE10hipError_tPvRmT1_PNSt15iterator_traitsISK_E10value_typeET2_T3_PNSL_ISQ_E10value_typeET4_jRbjT5_SW_jjP12ihipStream_tbEUlT_E1_NS1_11comp_targetILNS1_3genE8ELNS1_11target_archE1030ELNS1_3gpuE2ELNS1_3repE0EEENS1_59segmented_radix_sort_warp_sort_small_config_static_selectorELNS0_4arch9wavefront6targetE1EEEvSK_ ; -- Begin function _ZN7rocprim17ROCPRIM_400000_NS6detail17trampoline_kernelINS0_14default_configENS1_36segmented_radix_sort_config_selectorIflEEZNS1_25segmented_radix_sort_implIS3_Lb1EPKfPfPKlPlN2at6native12_GLOBAL__N_18offset_tEEE10hipError_tPvRmT1_PNSt15iterator_traitsISK_E10value_typeET2_T3_PNSL_ISQ_E10value_typeET4_jRbjT5_SW_jjP12ihipStream_tbEUlT_E1_NS1_11comp_targetILNS1_3genE8ELNS1_11target_archE1030ELNS1_3gpuE2ELNS1_3repE0EEENS1_59segmented_radix_sort_warp_sort_small_config_static_selectorELNS0_4arch9wavefront6targetE1EEEvSK_
	.p2align	8
	.type	_ZN7rocprim17ROCPRIM_400000_NS6detail17trampoline_kernelINS0_14default_configENS1_36segmented_radix_sort_config_selectorIflEEZNS1_25segmented_radix_sort_implIS3_Lb1EPKfPfPKlPlN2at6native12_GLOBAL__N_18offset_tEEE10hipError_tPvRmT1_PNSt15iterator_traitsISK_E10value_typeET2_T3_PNSL_ISQ_E10value_typeET4_jRbjT5_SW_jjP12ihipStream_tbEUlT_E1_NS1_11comp_targetILNS1_3genE8ELNS1_11target_archE1030ELNS1_3gpuE2ELNS1_3repE0EEENS1_59segmented_radix_sort_warp_sort_small_config_static_selectorELNS0_4arch9wavefront6targetE1EEEvSK_,@function
_ZN7rocprim17ROCPRIM_400000_NS6detail17trampoline_kernelINS0_14default_configENS1_36segmented_radix_sort_config_selectorIflEEZNS1_25segmented_radix_sort_implIS3_Lb1EPKfPfPKlPlN2at6native12_GLOBAL__N_18offset_tEEE10hipError_tPvRmT1_PNSt15iterator_traitsISK_E10value_typeET2_T3_PNSL_ISQ_E10value_typeET4_jRbjT5_SW_jjP12ihipStream_tbEUlT_E1_NS1_11comp_targetILNS1_3genE8ELNS1_11target_archE1030ELNS1_3gpuE2ELNS1_3repE0EEENS1_59segmented_radix_sort_warp_sort_small_config_static_selectorELNS0_4arch9wavefront6targetE1EEEvSK_: ; @_ZN7rocprim17ROCPRIM_400000_NS6detail17trampoline_kernelINS0_14default_configENS1_36segmented_radix_sort_config_selectorIflEEZNS1_25segmented_radix_sort_implIS3_Lb1EPKfPfPKlPlN2at6native12_GLOBAL__N_18offset_tEEE10hipError_tPvRmT1_PNSt15iterator_traitsISK_E10value_typeET2_T3_PNSL_ISQ_E10value_typeET4_jRbjT5_SW_jjP12ihipStream_tbEUlT_E1_NS1_11comp_targetILNS1_3genE8ELNS1_11target_archE1030ELNS1_3gpuE2ELNS1_3repE0EEENS1_59segmented_radix_sort_warp_sort_small_config_static_selectorELNS0_4arch9wavefront6targetE1EEEvSK_
; %bb.0:
	.section	.rodata,"a",@progbits
	.p2align	6, 0x0
	.amdhsa_kernel _ZN7rocprim17ROCPRIM_400000_NS6detail17trampoline_kernelINS0_14default_configENS1_36segmented_radix_sort_config_selectorIflEEZNS1_25segmented_radix_sort_implIS3_Lb1EPKfPfPKlPlN2at6native12_GLOBAL__N_18offset_tEEE10hipError_tPvRmT1_PNSt15iterator_traitsISK_E10value_typeET2_T3_PNSL_ISQ_E10value_typeET4_jRbjT5_SW_jjP12ihipStream_tbEUlT_E1_NS1_11comp_targetILNS1_3genE8ELNS1_11target_archE1030ELNS1_3gpuE2ELNS1_3repE0EEENS1_59segmented_radix_sort_warp_sort_small_config_static_selectorELNS0_4arch9wavefront6targetE1EEEvSK_
		.amdhsa_group_segment_fixed_size 0
		.amdhsa_private_segment_fixed_size 0
		.amdhsa_kernarg_size 88
		.amdhsa_user_sgpr_count 6
		.amdhsa_user_sgpr_private_segment_buffer 1
		.amdhsa_user_sgpr_dispatch_ptr 0
		.amdhsa_user_sgpr_queue_ptr 0
		.amdhsa_user_sgpr_kernarg_segment_ptr 1
		.amdhsa_user_sgpr_dispatch_id 0
		.amdhsa_user_sgpr_flat_scratch_init 0
		.amdhsa_user_sgpr_kernarg_preload_length 0
		.amdhsa_user_sgpr_kernarg_preload_offset 0
		.amdhsa_user_sgpr_private_segment_size 0
		.amdhsa_uses_dynamic_stack 0
		.amdhsa_system_sgpr_private_segment_wavefront_offset 0
		.amdhsa_system_sgpr_workgroup_id_x 1
		.amdhsa_system_sgpr_workgroup_id_y 0
		.amdhsa_system_sgpr_workgroup_id_z 0
		.amdhsa_system_sgpr_workgroup_info 0
		.amdhsa_system_vgpr_workitem_id 0
		.amdhsa_next_free_vgpr 1
		.amdhsa_next_free_sgpr 0
		.amdhsa_accum_offset 4
		.amdhsa_reserve_vcc 0
		.amdhsa_reserve_flat_scratch 0
		.amdhsa_float_round_mode_32 0
		.amdhsa_float_round_mode_16_64 0
		.amdhsa_float_denorm_mode_32 3
		.amdhsa_float_denorm_mode_16_64 3
		.amdhsa_dx10_clamp 1
		.amdhsa_ieee_mode 1
		.amdhsa_fp16_overflow 0
		.amdhsa_tg_split 0
		.amdhsa_exception_fp_ieee_invalid_op 0
		.amdhsa_exception_fp_denorm_src 0
		.amdhsa_exception_fp_ieee_div_zero 0
		.amdhsa_exception_fp_ieee_overflow 0
		.amdhsa_exception_fp_ieee_underflow 0
		.amdhsa_exception_fp_ieee_inexact 0
		.amdhsa_exception_int_div_zero 0
	.end_amdhsa_kernel
	.section	.text._ZN7rocprim17ROCPRIM_400000_NS6detail17trampoline_kernelINS0_14default_configENS1_36segmented_radix_sort_config_selectorIflEEZNS1_25segmented_radix_sort_implIS3_Lb1EPKfPfPKlPlN2at6native12_GLOBAL__N_18offset_tEEE10hipError_tPvRmT1_PNSt15iterator_traitsISK_E10value_typeET2_T3_PNSL_ISQ_E10value_typeET4_jRbjT5_SW_jjP12ihipStream_tbEUlT_E1_NS1_11comp_targetILNS1_3genE8ELNS1_11target_archE1030ELNS1_3gpuE2ELNS1_3repE0EEENS1_59segmented_radix_sort_warp_sort_small_config_static_selectorELNS0_4arch9wavefront6targetE1EEEvSK_,"axG",@progbits,_ZN7rocprim17ROCPRIM_400000_NS6detail17trampoline_kernelINS0_14default_configENS1_36segmented_radix_sort_config_selectorIflEEZNS1_25segmented_radix_sort_implIS3_Lb1EPKfPfPKlPlN2at6native12_GLOBAL__N_18offset_tEEE10hipError_tPvRmT1_PNSt15iterator_traitsISK_E10value_typeET2_T3_PNSL_ISQ_E10value_typeET4_jRbjT5_SW_jjP12ihipStream_tbEUlT_E1_NS1_11comp_targetILNS1_3genE8ELNS1_11target_archE1030ELNS1_3gpuE2ELNS1_3repE0EEENS1_59segmented_radix_sort_warp_sort_small_config_static_selectorELNS0_4arch9wavefront6targetE1EEEvSK_,comdat
.Lfunc_end1352:
	.size	_ZN7rocprim17ROCPRIM_400000_NS6detail17trampoline_kernelINS0_14default_configENS1_36segmented_radix_sort_config_selectorIflEEZNS1_25segmented_radix_sort_implIS3_Lb1EPKfPfPKlPlN2at6native12_GLOBAL__N_18offset_tEEE10hipError_tPvRmT1_PNSt15iterator_traitsISK_E10value_typeET2_T3_PNSL_ISQ_E10value_typeET4_jRbjT5_SW_jjP12ihipStream_tbEUlT_E1_NS1_11comp_targetILNS1_3genE8ELNS1_11target_archE1030ELNS1_3gpuE2ELNS1_3repE0EEENS1_59segmented_radix_sort_warp_sort_small_config_static_selectorELNS0_4arch9wavefront6targetE1EEEvSK_, .Lfunc_end1352-_ZN7rocprim17ROCPRIM_400000_NS6detail17trampoline_kernelINS0_14default_configENS1_36segmented_radix_sort_config_selectorIflEEZNS1_25segmented_radix_sort_implIS3_Lb1EPKfPfPKlPlN2at6native12_GLOBAL__N_18offset_tEEE10hipError_tPvRmT1_PNSt15iterator_traitsISK_E10value_typeET2_T3_PNSL_ISQ_E10value_typeET4_jRbjT5_SW_jjP12ihipStream_tbEUlT_E1_NS1_11comp_targetILNS1_3genE8ELNS1_11target_archE1030ELNS1_3gpuE2ELNS1_3repE0EEENS1_59segmented_radix_sort_warp_sort_small_config_static_selectorELNS0_4arch9wavefront6targetE1EEEvSK_
                                        ; -- End function
	.section	.AMDGPU.csdata,"",@progbits
; Kernel info:
; codeLenInByte = 0
; NumSgprs: 4
; NumVgprs: 0
; NumAgprs: 0
; TotalNumVgprs: 0
; ScratchSize: 0
; MemoryBound: 0
; FloatMode: 240
; IeeeMode: 1
; LDSByteSize: 0 bytes/workgroup (compile time only)
; SGPRBlocks: 0
; VGPRBlocks: 0
; NumSGPRsForWavesPerEU: 4
; NumVGPRsForWavesPerEU: 1
; AccumOffset: 4
; Occupancy: 8
; WaveLimiterHint : 0
; COMPUTE_PGM_RSRC2:SCRATCH_EN: 0
; COMPUTE_PGM_RSRC2:USER_SGPR: 6
; COMPUTE_PGM_RSRC2:TRAP_HANDLER: 0
; COMPUTE_PGM_RSRC2:TGID_X_EN: 1
; COMPUTE_PGM_RSRC2:TGID_Y_EN: 0
; COMPUTE_PGM_RSRC2:TGID_Z_EN: 0
; COMPUTE_PGM_RSRC2:TIDIG_COMP_CNT: 0
; COMPUTE_PGM_RSRC3_GFX90A:ACCUM_OFFSET: 0
; COMPUTE_PGM_RSRC3_GFX90A:TG_SPLIT: 0
	.section	.text._ZN7rocprim17ROCPRIM_400000_NS6detail17trampoline_kernelINS0_14default_configENS1_36segmented_radix_sort_config_selectorIflEEZNS1_25segmented_radix_sort_implIS3_Lb1EPKfPfPKlPlN2at6native12_GLOBAL__N_18offset_tEEE10hipError_tPvRmT1_PNSt15iterator_traitsISK_E10value_typeET2_T3_PNSL_ISQ_E10value_typeET4_jRbjT5_SW_jjP12ihipStream_tbEUlT_E2_NS1_11comp_targetILNS1_3genE0ELNS1_11target_archE4294967295ELNS1_3gpuE0ELNS1_3repE0EEENS1_30default_config_static_selectorELNS0_4arch9wavefront6targetE1EEEvSK_,"axG",@progbits,_ZN7rocprim17ROCPRIM_400000_NS6detail17trampoline_kernelINS0_14default_configENS1_36segmented_radix_sort_config_selectorIflEEZNS1_25segmented_radix_sort_implIS3_Lb1EPKfPfPKlPlN2at6native12_GLOBAL__N_18offset_tEEE10hipError_tPvRmT1_PNSt15iterator_traitsISK_E10value_typeET2_T3_PNSL_ISQ_E10value_typeET4_jRbjT5_SW_jjP12ihipStream_tbEUlT_E2_NS1_11comp_targetILNS1_3genE0ELNS1_11target_archE4294967295ELNS1_3gpuE0ELNS1_3repE0EEENS1_30default_config_static_selectorELNS0_4arch9wavefront6targetE1EEEvSK_,comdat
	.globl	_ZN7rocprim17ROCPRIM_400000_NS6detail17trampoline_kernelINS0_14default_configENS1_36segmented_radix_sort_config_selectorIflEEZNS1_25segmented_radix_sort_implIS3_Lb1EPKfPfPKlPlN2at6native12_GLOBAL__N_18offset_tEEE10hipError_tPvRmT1_PNSt15iterator_traitsISK_E10value_typeET2_T3_PNSL_ISQ_E10value_typeET4_jRbjT5_SW_jjP12ihipStream_tbEUlT_E2_NS1_11comp_targetILNS1_3genE0ELNS1_11target_archE4294967295ELNS1_3gpuE0ELNS1_3repE0EEENS1_30default_config_static_selectorELNS0_4arch9wavefront6targetE1EEEvSK_ ; -- Begin function _ZN7rocprim17ROCPRIM_400000_NS6detail17trampoline_kernelINS0_14default_configENS1_36segmented_radix_sort_config_selectorIflEEZNS1_25segmented_radix_sort_implIS3_Lb1EPKfPfPKlPlN2at6native12_GLOBAL__N_18offset_tEEE10hipError_tPvRmT1_PNSt15iterator_traitsISK_E10value_typeET2_T3_PNSL_ISQ_E10value_typeET4_jRbjT5_SW_jjP12ihipStream_tbEUlT_E2_NS1_11comp_targetILNS1_3genE0ELNS1_11target_archE4294967295ELNS1_3gpuE0ELNS1_3repE0EEENS1_30default_config_static_selectorELNS0_4arch9wavefront6targetE1EEEvSK_
	.p2align	8
	.type	_ZN7rocprim17ROCPRIM_400000_NS6detail17trampoline_kernelINS0_14default_configENS1_36segmented_radix_sort_config_selectorIflEEZNS1_25segmented_radix_sort_implIS3_Lb1EPKfPfPKlPlN2at6native12_GLOBAL__N_18offset_tEEE10hipError_tPvRmT1_PNSt15iterator_traitsISK_E10value_typeET2_T3_PNSL_ISQ_E10value_typeET4_jRbjT5_SW_jjP12ihipStream_tbEUlT_E2_NS1_11comp_targetILNS1_3genE0ELNS1_11target_archE4294967295ELNS1_3gpuE0ELNS1_3repE0EEENS1_30default_config_static_selectorELNS0_4arch9wavefront6targetE1EEEvSK_,@function
_ZN7rocprim17ROCPRIM_400000_NS6detail17trampoline_kernelINS0_14default_configENS1_36segmented_radix_sort_config_selectorIflEEZNS1_25segmented_radix_sort_implIS3_Lb1EPKfPfPKlPlN2at6native12_GLOBAL__N_18offset_tEEE10hipError_tPvRmT1_PNSt15iterator_traitsISK_E10value_typeET2_T3_PNSL_ISQ_E10value_typeET4_jRbjT5_SW_jjP12ihipStream_tbEUlT_E2_NS1_11comp_targetILNS1_3genE0ELNS1_11target_archE4294967295ELNS1_3gpuE0ELNS1_3repE0EEENS1_30default_config_static_selectorELNS0_4arch9wavefront6targetE1EEEvSK_: ; @_ZN7rocprim17ROCPRIM_400000_NS6detail17trampoline_kernelINS0_14default_configENS1_36segmented_radix_sort_config_selectorIflEEZNS1_25segmented_radix_sort_implIS3_Lb1EPKfPfPKlPlN2at6native12_GLOBAL__N_18offset_tEEE10hipError_tPvRmT1_PNSt15iterator_traitsISK_E10value_typeET2_T3_PNSL_ISQ_E10value_typeET4_jRbjT5_SW_jjP12ihipStream_tbEUlT_E2_NS1_11comp_targetILNS1_3genE0ELNS1_11target_archE4294967295ELNS1_3gpuE0ELNS1_3repE0EEENS1_30default_config_static_selectorELNS0_4arch9wavefront6targetE1EEEvSK_
; %bb.0:
	.section	.rodata,"a",@progbits
	.p2align	6, 0x0
	.amdhsa_kernel _ZN7rocprim17ROCPRIM_400000_NS6detail17trampoline_kernelINS0_14default_configENS1_36segmented_radix_sort_config_selectorIflEEZNS1_25segmented_radix_sort_implIS3_Lb1EPKfPfPKlPlN2at6native12_GLOBAL__N_18offset_tEEE10hipError_tPvRmT1_PNSt15iterator_traitsISK_E10value_typeET2_T3_PNSL_ISQ_E10value_typeET4_jRbjT5_SW_jjP12ihipStream_tbEUlT_E2_NS1_11comp_targetILNS1_3genE0ELNS1_11target_archE4294967295ELNS1_3gpuE0ELNS1_3repE0EEENS1_30default_config_static_selectorELNS0_4arch9wavefront6targetE1EEEvSK_
		.amdhsa_group_segment_fixed_size 0
		.amdhsa_private_segment_fixed_size 0
		.amdhsa_kernarg_size 80
		.amdhsa_user_sgpr_count 6
		.amdhsa_user_sgpr_private_segment_buffer 1
		.amdhsa_user_sgpr_dispatch_ptr 0
		.amdhsa_user_sgpr_queue_ptr 0
		.amdhsa_user_sgpr_kernarg_segment_ptr 1
		.amdhsa_user_sgpr_dispatch_id 0
		.amdhsa_user_sgpr_flat_scratch_init 0
		.amdhsa_user_sgpr_kernarg_preload_length 0
		.amdhsa_user_sgpr_kernarg_preload_offset 0
		.amdhsa_user_sgpr_private_segment_size 0
		.amdhsa_uses_dynamic_stack 0
		.amdhsa_system_sgpr_private_segment_wavefront_offset 0
		.amdhsa_system_sgpr_workgroup_id_x 1
		.amdhsa_system_sgpr_workgroup_id_y 0
		.amdhsa_system_sgpr_workgroup_id_z 0
		.amdhsa_system_sgpr_workgroup_info 0
		.amdhsa_system_vgpr_workitem_id 0
		.amdhsa_next_free_vgpr 1
		.amdhsa_next_free_sgpr 0
		.amdhsa_accum_offset 4
		.amdhsa_reserve_vcc 0
		.amdhsa_reserve_flat_scratch 0
		.amdhsa_float_round_mode_32 0
		.amdhsa_float_round_mode_16_64 0
		.amdhsa_float_denorm_mode_32 3
		.amdhsa_float_denorm_mode_16_64 3
		.amdhsa_dx10_clamp 1
		.amdhsa_ieee_mode 1
		.amdhsa_fp16_overflow 0
		.amdhsa_tg_split 0
		.amdhsa_exception_fp_ieee_invalid_op 0
		.amdhsa_exception_fp_denorm_src 0
		.amdhsa_exception_fp_ieee_div_zero 0
		.amdhsa_exception_fp_ieee_overflow 0
		.amdhsa_exception_fp_ieee_underflow 0
		.amdhsa_exception_fp_ieee_inexact 0
		.amdhsa_exception_int_div_zero 0
	.end_amdhsa_kernel
	.section	.text._ZN7rocprim17ROCPRIM_400000_NS6detail17trampoline_kernelINS0_14default_configENS1_36segmented_radix_sort_config_selectorIflEEZNS1_25segmented_radix_sort_implIS3_Lb1EPKfPfPKlPlN2at6native12_GLOBAL__N_18offset_tEEE10hipError_tPvRmT1_PNSt15iterator_traitsISK_E10value_typeET2_T3_PNSL_ISQ_E10value_typeET4_jRbjT5_SW_jjP12ihipStream_tbEUlT_E2_NS1_11comp_targetILNS1_3genE0ELNS1_11target_archE4294967295ELNS1_3gpuE0ELNS1_3repE0EEENS1_30default_config_static_selectorELNS0_4arch9wavefront6targetE1EEEvSK_,"axG",@progbits,_ZN7rocprim17ROCPRIM_400000_NS6detail17trampoline_kernelINS0_14default_configENS1_36segmented_radix_sort_config_selectorIflEEZNS1_25segmented_radix_sort_implIS3_Lb1EPKfPfPKlPlN2at6native12_GLOBAL__N_18offset_tEEE10hipError_tPvRmT1_PNSt15iterator_traitsISK_E10value_typeET2_T3_PNSL_ISQ_E10value_typeET4_jRbjT5_SW_jjP12ihipStream_tbEUlT_E2_NS1_11comp_targetILNS1_3genE0ELNS1_11target_archE4294967295ELNS1_3gpuE0ELNS1_3repE0EEENS1_30default_config_static_selectorELNS0_4arch9wavefront6targetE1EEEvSK_,comdat
.Lfunc_end1353:
	.size	_ZN7rocprim17ROCPRIM_400000_NS6detail17trampoline_kernelINS0_14default_configENS1_36segmented_radix_sort_config_selectorIflEEZNS1_25segmented_radix_sort_implIS3_Lb1EPKfPfPKlPlN2at6native12_GLOBAL__N_18offset_tEEE10hipError_tPvRmT1_PNSt15iterator_traitsISK_E10value_typeET2_T3_PNSL_ISQ_E10value_typeET4_jRbjT5_SW_jjP12ihipStream_tbEUlT_E2_NS1_11comp_targetILNS1_3genE0ELNS1_11target_archE4294967295ELNS1_3gpuE0ELNS1_3repE0EEENS1_30default_config_static_selectorELNS0_4arch9wavefront6targetE1EEEvSK_, .Lfunc_end1353-_ZN7rocprim17ROCPRIM_400000_NS6detail17trampoline_kernelINS0_14default_configENS1_36segmented_radix_sort_config_selectorIflEEZNS1_25segmented_radix_sort_implIS3_Lb1EPKfPfPKlPlN2at6native12_GLOBAL__N_18offset_tEEE10hipError_tPvRmT1_PNSt15iterator_traitsISK_E10value_typeET2_T3_PNSL_ISQ_E10value_typeET4_jRbjT5_SW_jjP12ihipStream_tbEUlT_E2_NS1_11comp_targetILNS1_3genE0ELNS1_11target_archE4294967295ELNS1_3gpuE0ELNS1_3repE0EEENS1_30default_config_static_selectorELNS0_4arch9wavefront6targetE1EEEvSK_
                                        ; -- End function
	.section	.AMDGPU.csdata,"",@progbits
; Kernel info:
; codeLenInByte = 0
; NumSgprs: 4
; NumVgprs: 0
; NumAgprs: 0
; TotalNumVgprs: 0
; ScratchSize: 0
; MemoryBound: 0
; FloatMode: 240
; IeeeMode: 1
; LDSByteSize: 0 bytes/workgroup (compile time only)
; SGPRBlocks: 0
; VGPRBlocks: 0
; NumSGPRsForWavesPerEU: 4
; NumVGPRsForWavesPerEU: 1
; AccumOffset: 4
; Occupancy: 8
; WaveLimiterHint : 0
; COMPUTE_PGM_RSRC2:SCRATCH_EN: 0
; COMPUTE_PGM_RSRC2:USER_SGPR: 6
; COMPUTE_PGM_RSRC2:TRAP_HANDLER: 0
; COMPUTE_PGM_RSRC2:TGID_X_EN: 1
; COMPUTE_PGM_RSRC2:TGID_Y_EN: 0
; COMPUTE_PGM_RSRC2:TGID_Z_EN: 0
; COMPUTE_PGM_RSRC2:TIDIG_COMP_CNT: 0
; COMPUTE_PGM_RSRC3_GFX90A:ACCUM_OFFSET: 0
; COMPUTE_PGM_RSRC3_GFX90A:TG_SPLIT: 0
	.section	.text._ZN7rocprim17ROCPRIM_400000_NS6detail17trampoline_kernelINS0_14default_configENS1_36segmented_radix_sort_config_selectorIflEEZNS1_25segmented_radix_sort_implIS3_Lb1EPKfPfPKlPlN2at6native12_GLOBAL__N_18offset_tEEE10hipError_tPvRmT1_PNSt15iterator_traitsISK_E10value_typeET2_T3_PNSL_ISQ_E10value_typeET4_jRbjT5_SW_jjP12ihipStream_tbEUlT_E2_NS1_11comp_targetILNS1_3genE5ELNS1_11target_archE942ELNS1_3gpuE9ELNS1_3repE0EEENS1_30default_config_static_selectorELNS0_4arch9wavefront6targetE1EEEvSK_,"axG",@progbits,_ZN7rocprim17ROCPRIM_400000_NS6detail17trampoline_kernelINS0_14default_configENS1_36segmented_radix_sort_config_selectorIflEEZNS1_25segmented_radix_sort_implIS3_Lb1EPKfPfPKlPlN2at6native12_GLOBAL__N_18offset_tEEE10hipError_tPvRmT1_PNSt15iterator_traitsISK_E10value_typeET2_T3_PNSL_ISQ_E10value_typeET4_jRbjT5_SW_jjP12ihipStream_tbEUlT_E2_NS1_11comp_targetILNS1_3genE5ELNS1_11target_archE942ELNS1_3gpuE9ELNS1_3repE0EEENS1_30default_config_static_selectorELNS0_4arch9wavefront6targetE1EEEvSK_,comdat
	.globl	_ZN7rocprim17ROCPRIM_400000_NS6detail17trampoline_kernelINS0_14default_configENS1_36segmented_radix_sort_config_selectorIflEEZNS1_25segmented_radix_sort_implIS3_Lb1EPKfPfPKlPlN2at6native12_GLOBAL__N_18offset_tEEE10hipError_tPvRmT1_PNSt15iterator_traitsISK_E10value_typeET2_T3_PNSL_ISQ_E10value_typeET4_jRbjT5_SW_jjP12ihipStream_tbEUlT_E2_NS1_11comp_targetILNS1_3genE5ELNS1_11target_archE942ELNS1_3gpuE9ELNS1_3repE0EEENS1_30default_config_static_selectorELNS0_4arch9wavefront6targetE1EEEvSK_ ; -- Begin function _ZN7rocprim17ROCPRIM_400000_NS6detail17trampoline_kernelINS0_14default_configENS1_36segmented_radix_sort_config_selectorIflEEZNS1_25segmented_radix_sort_implIS3_Lb1EPKfPfPKlPlN2at6native12_GLOBAL__N_18offset_tEEE10hipError_tPvRmT1_PNSt15iterator_traitsISK_E10value_typeET2_T3_PNSL_ISQ_E10value_typeET4_jRbjT5_SW_jjP12ihipStream_tbEUlT_E2_NS1_11comp_targetILNS1_3genE5ELNS1_11target_archE942ELNS1_3gpuE9ELNS1_3repE0EEENS1_30default_config_static_selectorELNS0_4arch9wavefront6targetE1EEEvSK_
	.p2align	8
	.type	_ZN7rocprim17ROCPRIM_400000_NS6detail17trampoline_kernelINS0_14default_configENS1_36segmented_radix_sort_config_selectorIflEEZNS1_25segmented_radix_sort_implIS3_Lb1EPKfPfPKlPlN2at6native12_GLOBAL__N_18offset_tEEE10hipError_tPvRmT1_PNSt15iterator_traitsISK_E10value_typeET2_T3_PNSL_ISQ_E10value_typeET4_jRbjT5_SW_jjP12ihipStream_tbEUlT_E2_NS1_11comp_targetILNS1_3genE5ELNS1_11target_archE942ELNS1_3gpuE9ELNS1_3repE0EEENS1_30default_config_static_selectorELNS0_4arch9wavefront6targetE1EEEvSK_,@function
_ZN7rocprim17ROCPRIM_400000_NS6detail17trampoline_kernelINS0_14default_configENS1_36segmented_radix_sort_config_selectorIflEEZNS1_25segmented_radix_sort_implIS3_Lb1EPKfPfPKlPlN2at6native12_GLOBAL__N_18offset_tEEE10hipError_tPvRmT1_PNSt15iterator_traitsISK_E10value_typeET2_T3_PNSL_ISQ_E10value_typeET4_jRbjT5_SW_jjP12ihipStream_tbEUlT_E2_NS1_11comp_targetILNS1_3genE5ELNS1_11target_archE942ELNS1_3gpuE9ELNS1_3repE0EEENS1_30default_config_static_selectorELNS0_4arch9wavefront6targetE1EEEvSK_: ; @_ZN7rocprim17ROCPRIM_400000_NS6detail17trampoline_kernelINS0_14default_configENS1_36segmented_radix_sort_config_selectorIflEEZNS1_25segmented_radix_sort_implIS3_Lb1EPKfPfPKlPlN2at6native12_GLOBAL__N_18offset_tEEE10hipError_tPvRmT1_PNSt15iterator_traitsISK_E10value_typeET2_T3_PNSL_ISQ_E10value_typeET4_jRbjT5_SW_jjP12ihipStream_tbEUlT_E2_NS1_11comp_targetILNS1_3genE5ELNS1_11target_archE942ELNS1_3gpuE9ELNS1_3repE0EEENS1_30default_config_static_selectorELNS0_4arch9wavefront6targetE1EEEvSK_
; %bb.0:
	.section	.rodata,"a",@progbits
	.p2align	6, 0x0
	.amdhsa_kernel _ZN7rocprim17ROCPRIM_400000_NS6detail17trampoline_kernelINS0_14default_configENS1_36segmented_radix_sort_config_selectorIflEEZNS1_25segmented_radix_sort_implIS3_Lb1EPKfPfPKlPlN2at6native12_GLOBAL__N_18offset_tEEE10hipError_tPvRmT1_PNSt15iterator_traitsISK_E10value_typeET2_T3_PNSL_ISQ_E10value_typeET4_jRbjT5_SW_jjP12ihipStream_tbEUlT_E2_NS1_11comp_targetILNS1_3genE5ELNS1_11target_archE942ELNS1_3gpuE9ELNS1_3repE0EEENS1_30default_config_static_selectorELNS0_4arch9wavefront6targetE1EEEvSK_
		.amdhsa_group_segment_fixed_size 0
		.amdhsa_private_segment_fixed_size 0
		.amdhsa_kernarg_size 80
		.amdhsa_user_sgpr_count 6
		.amdhsa_user_sgpr_private_segment_buffer 1
		.amdhsa_user_sgpr_dispatch_ptr 0
		.amdhsa_user_sgpr_queue_ptr 0
		.amdhsa_user_sgpr_kernarg_segment_ptr 1
		.amdhsa_user_sgpr_dispatch_id 0
		.amdhsa_user_sgpr_flat_scratch_init 0
		.amdhsa_user_sgpr_kernarg_preload_length 0
		.amdhsa_user_sgpr_kernarg_preload_offset 0
		.amdhsa_user_sgpr_private_segment_size 0
		.amdhsa_uses_dynamic_stack 0
		.amdhsa_system_sgpr_private_segment_wavefront_offset 0
		.amdhsa_system_sgpr_workgroup_id_x 1
		.amdhsa_system_sgpr_workgroup_id_y 0
		.amdhsa_system_sgpr_workgroup_id_z 0
		.amdhsa_system_sgpr_workgroup_info 0
		.amdhsa_system_vgpr_workitem_id 0
		.amdhsa_next_free_vgpr 1
		.amdhsa_next_free_sgpr 0
		.amdhsa_accum_offset 4
		.amdhsa_reserve_vcc 0
		.amdhsa_reserve_flat_scratch 0
		.amdhsa_float_round_mode_32 0
		.amdhsa_float_round_mode_16_64 0
		.amdhsa_float_denorm_mode_32 3
		.amdhsa_float_denorm_mode_16_64 3
		.amdhsa_dx10_clamp 1
		.amdhsa_ieee_mode 1
		.amdhsa_fp16_overflow 0
		.amdhsa_tg_split 0
		.amdhsa_exception_fp_ieee_invalid_op 0
		.amdhsa_exception_fp_denorm_src 0
		.amdhsa_exception_fp_ieee_div_zero 0
		.amdhsa_exception_fp_ieee_overflow 0
		.amdhsa_exception_fp_ieee_underflow 0
		.amdhsa_exception_fp_ieee_inexact 0
		.amdhsa_exception_int_div_zero 0
	.end_amdhsa_kernel
	.section	.text._ZN7rocprim17ROCPRIM_400000_NS6detail17trampoline_kernelINS0_14default_configENS1_36segmented_radix_sort_config_selectorIflEEZNS1_25segmented_radix_sort_implIS3_Lb1EPKfPfPKlPlN2at6native12_GLOBAL__N_18offset_tEEE10hipError_tPvRmT1_PNSt15iterator_traitsISK_E10value_typeET2_T3_PNSL_ISQ_E10value_typeET4_jRbjT5_SW_jjP12ihipStream_tbEUlT_E2_NS1_11comp_targetILNS1_3genE5ELNS1_11target_archE942ELNS1_3gpuE9ELNS1_3repE0EEENS1_30default_config_static_selectorELNS0_4arch9wavefront6targetE1EEEvSK_,"axG",@progbits,_ZN7rocprim17ROCPRIM_400000_NS6detail17trampoline_kernelINS0_14default_configENS1_36segmented_radix_sort_config_selectorIflEEZNS1_25segmented_radix_sort_implIS3_Lb1EPKfPfPKlPlN2at6native12_GLOBAL__N_18offset_tEEE10hipError_tPvRmT1_PNSt15iterator_traitsISK_E10value_typeET2_T3_PNSL_ISQ_E10value_typeET4_jRbjT5_SW_jjP12ihipStream_tbEUlT_E2_NS1_11comp_targetILNS1_3genE5ELNS1_11target_archE942ELNS1_3gpuE9ELNS1_3repE0EEENS1_30default_config_static_selectorELNS0_4arch9wavefront6targetE1EEEvSK_,comdat
.Lfunc_end1354:
	.size	_ZN7rocprim17ROCPRIM_400000_NS6detail17trampoline_kernelINS0_14default_configENS1_36segmented_radix_sort_config_selectorIflEEZNS1_25segmented_radix_sort_implIS3_Lb1EPKfPfPKlPlN2at6native12_GLOBAL__N_18offset_tEEE10hipError_tPvRmT1_PNSt15iterator_traitsISK_E10value_typeET2_T3_PNSL_ISQ_E10value_typeET4_jRbjT5_SW_jjP12ihipStream_tbEUlT_E2_NS1_11comp_targetILNS1_3genE5ELNS1_11target_archE942ELNS1_3gpuE9ELNS1_3repE0EEENS1_30default_config_static_selectorELNS0_4arch9wavefront6targetE1EEEvSK_, .Lfunc_end1354-_ZN7rocprim17ROCPRIM_400000_NS6detail17trampoline_kernelINS0_14default_configENS1_36segmented_radix_sort_config_selectorIflEEZNS1_25segmented_radix_sort_implIS3_Lb1EPKfPfPKlPlN2at6native12_GLOBAL__N_18offset_tEEE10hipError_tPvRmT1_PNSt15iterator_traitsISK_E10value_typeET2_T3_PNSL_ISQ_E10value_typeET4_jRbjT5_SW_jjP12ihipStream_tbEUlT_E2_NS1_11comp_targetILNS1_3genE5ELNS1_11target_archE942ELNS1_3gpuE9ELNS1_3repE0EEENS1_30default_config_static_selectorELNS0_4arch9wavefront6targetE1EEEvSK_
                                        ; -- End function
	.section	.AMDGPU.csdata,"",@progbits
; Kernel info:
; codeLenInByte = 0
; NumSgprs: 4
; NumVgprs: 0
; NumAgprs: 0
; TotalNumVgprs: 0
; ScratchSize: 0
; MemoryBound: 0
; FloatMode: 240
; IeeeMode: 1
; LDSByteSize: 0 bytes/workgroup (compile time only)
; SGPRBlocks: 0
; VGPRBlocks: 0
; NumSGPRsForWavesPerEU: 4
; NumVGPRsForWavesPerEU: 1
; AccumOffset: 4
; Occupancy: 8
; WaveLimiterHint : 0
; COMPUTE_PGM_RSRC2:SCRATCH_EN: 0
; COMPUTE_PGM_RSRC2:USER_SGPR: 6
; COMPUTE_PGM_RSRC2:TRAP_HANDLER: 0
; COMPUTE_PGM_RSRC2:TGID_X_EN: 1
; COMPUTE_PGM_RSRC2:TGID_Y_EN: 0
; COMPUTE_PGM_RSRC2:TGID_Z_EN: 0
; COMPUTE_PGM_RSRC2:TIDIG_COMP_CNT: 0
; COMPUTE_PGM_RSRC3_GFX90A:ACCUM_OFFSET: 0
; COMPUTE_PGM_RSRC3_GFX90A:TG_SPLIT: 0
	.section	.text._ZN7rocprim17ROCPRIM_400000_NS6detail17trampoline_kernelINS0_14default_configENS1_36segmented_radix_sort_config_selectorIflEEZNS1_25segmented_radix_sort_implIS3_Lb1EPKfPfPKlPlN2at6native12_GLOBAL__N_18offset_tEEE10hipError_tPvRmT1_PNSt15iterator_traitsISK_E10value_typeET2_T3_PNSL_ISQ_E10value_typeET4_jRbjT5_SW_jjP12ihipStream_tbEUlT_E2_NS1_11comp_targetILNS1_3genE4ELNS1_11target_archE910ELNS1_3gpuE8ELNS1_3repE0EEENS1_30default_config_static_selectorELNS0_4arch9wavefront6targetE1EEEvSK_,"axG",@progbits,_ZN7rocprim17ROCPRIM_400000_NS6detail17trampoline_kernelINS0_14default_configENS1_36segmented_radix_sort_config_selectorIflEEZNS1_25segmented_radix_sort_implIS3_Lb1EPKfPfPKlPlN2at6native12_GLOBAL__N_18offset_tEEE10hipError_tPvRmT1_PNSt15iterator_traitsISK_E10value_typeET2_T3_PNSL_ISQ_E10value_typeET4_jRbjT5_SW_jjP12ihipStream_tbEUlT_E2_NS1_11comp_targetILNS1_3genE4ELNS1_11target_archE910ELNS1_3gpuE8ELNS1_3repE0EEENS1_30default_config_static_selectorELNS0_4arch9wavefront6targetE1EEEvSK_,comdat
	.globl	_ZN7rocprim17ROCPRIM_400000_NS6detail17trampoline_kernelINS0_14default_configENS1_36segmented_radix_sort_config_selectorIflEEZNS1_25segmented_radix_sort_implIS3_Lb1EPKfPfPKlPlN2at6native12_GLOBAL__N_18offset_tEEE10hipError_tPvRmT1_PNSt15iterator_traitsISK_E10value_typeET2_T3_PNSL_ISQ_E10value_typeET4_jRbjT5_SW_jjP12ihipStream_tbEUlT_E2_NS1_11comp_targetILNS1_3genE4ELNS1_11target_archE910ELNS1_3gpuE8ELNS1_3repE0EEENS1_30default_config_static_selectorELNS0_4arch9wavefront6targetE1EEEvSK_ ; -- Begin function _ZN7rocprim17ROCPRIM_400000_NS6detail17trampoline_kernelINS0_14default_configENS1_36segmented_radix_sort_config_selectorIflEEZNS1_25segmented_radix_sort_implIS3_Lb1EPKfPfPKlPlN2at6native12_GLOBAL__N_18offset_tEEE10hipError_tPvRmT1_PNSt15iterator_traitsISK_E10value_typeET2_T3_PNSL_ISQ_E10value_typeET4_jRbjT5_SW_jjP12ihipStream_tbEUlT_E2_NS1_11comp_targetILNS1_3genE4ELNS1_11target_archE910ELNS1_3gpuE8ELNS1_3repE0EEENS1_30default_config_static_selectorELNS0_4arch9wavefront6targetE1EEEvSK_
	.p2align	8
	.type	_ZN7rocprim17ROCPRIM_400000_NS6detail17trampoline_kernelINS0_14default_configENS1_36segmented_radix_sort_config_selectorIflEEZNS1_25segmented_radix_sort_implIS3_Lb1EPKfPfPKlPlN2at6native12_GLOBAL__N_18offset_tEEE10hipError_tPvRmT1_PNSt15iterator_traitsISK_E10value_typeET2_T3_PNSL_ISQ_E10value_typeET4_jRbjT5_SW_jjP12ihipStream_tbEUlT_E2_NS1_11comp_targetILNS1_3genE4ELNS1_11target_archE910ELNS1_3gpuE8ELNS1_3repE0EEENS1_30default_config_static_selectorELNS0_4arch9wavefront6targetE1EEEvSK_,@function
_ZN7rocprim17ROCPRIM_400000_NS6detail17trampoline_kernelINS0_14default_configENS1_36segmented_radix_sort_config_selectorIflEEZNS1_25segmented_radix_sort_implIS3_Lb1EPKfPfPKlPlN2at6native12_GLOBAL__N_18offset_tEEE10hipError_tPvRmT1_PNSt15iterator_traitsISK_E10value_typeET2_T3_PNSL_ISQ_E10value_typeET4_jRbjT5_SW_jjP12ihipStream_tbEUlT_E2_NS1_11comp_targetILNS1_3genE4ELNS1_11target_archE910ELNS1_3gpuE8ELNS1_3repE0EEENS1_30default_config_static_selectorELNS0_4arch9wavefront6targetE1EEEvSK_: ; @_ZN7rocprim17ROCPRIM_400000_NS6detail17trampoline_kernelINS0_14default_configENS1_36segmented_radix_sort_config_selectorIflEEZNS1_25segmented_radix_sort_implIS3_Lb1EPKfPfPKlPlN2at6native12_GLOBAL__N_18offset_tEEE10hipError_tPvRmT1_PNSt15iterator_traitsISK_E10value_typeET2_T3_PNSL_ISQ_E10value_typeET4_jRbjT5_SW_jjP12ihipStream_tbEUlT_E2_NS1_11comp_targetILNS1_3genE4ELNS1_11target_archE910ELNS1_3gpuE8ELNS1_3repE0EEENS1_30default_config_static_selectorELNS0_4arch9wavefront6targetE1EEEvSK_
; %bb.0:
	s_add_u32 flat_scratch_lo, s6, s10
	s_addc_u32 flat_scratch_hi, s7, 0
	s_add_u32 s0, s0, s10
	s_mov_b32 s33, s9
	s_mov_b32 s50, s8
	s_load_dwordx4 s[8:11], s[4:5], 0x34
	s_addc_u32 s1, s1, 0
	s_mov_b32 s32, 0
	s_waitcnt lgkmcnt(0)
	s_add_i32 s51, s9, s50
	s_add_i32 s84, s11, s50
	s_mul_i32 s51, s51, s8
	s_mul_i32 s84, s84, s10
	s_cmp_le_u32 s84, s51
	s_cbranch_scc1 .LBB1355_683
; %bb.1:
	s_load_dword s6, s[4:5], 0x30
	s_load_dwordx4 s[72:75], s[4:5], 0x20
	s_load_dwordx4 s[76:79], s[4:5], 0x44
	s_load_dwordx8 s[56:63], s[4:5], 0x0
	s_waitcnt lgkmcnt(0)
	s_bitcmp1_b32 s6, 0
	s_cselect_b64 s[54:55], -1, 0
	s_sub_i32 s79, s84, s51
	s_cmpk_lt_u32 s79, 0x801
	s_mov_b64 s[6:7], -1
	s_cbranch_scc0 .LBB1355_12
; %bb.2:
	s_cmp_lt_u32 s79, 33
	s_cbranch_scc0 .LBB1355_6
; %bb.3:
	s_load_dword s6, s[4:5], 0x5c
	v_bfe_u32 v1, v0, 10, 10
	v_bfe_u32 v3, v0, 20, 10
	v_and_b32_e32 v2, 0x3ff, v0
	s_waitcnt lgkmcnt(0)
	s_lshr_b32 s7, s6, 16
	s_and_b32 s6, s6, 0xffff
	v_mad_u32_u24 v1, v3, s7, v1
	v_mad_u64_u32 v[2:3], s[6:7], v1, s6, v[2:3]
	v_cmp_gt_u32_e32 vcc, 8, v2
	s_and_saveexec_b64 s[34:35], vcc
	s_cbranch_execz .LBB1355_5
; %bb.4:
	s_bitcmp1_b32 s76, 0
	s_cselect_b64 s[6:7], -1, 0
	s_xor_b64 s[6:7], s[54:55], s[6:7]
	s_xor_b64 s[6:7], s[6:7], -1
	v_cndmask_b32_e64 v12, 0, 1, s[6:7]
	s_add_u32 s8, s4, 0x50
	s_mov_b64 s[6:7], src_shared_base
	s_addc_u32 s9, s5, 0
	s_mov_b32 s12, s50
	s_mov_b32 s13, s33
	v_mov_b32_e32 v31, v0
	v_mov_b32_e32 v41, v0
	;; [unrolled: 1-line block ×18, first 2 shown]
	s_getpc_b64 s[10:11]
	s_add_u32 s10, s10, _ZN7rocprim17ROCPRIM_400000_NS6detail26segmented_warp_sort_helperINS1_20WarpSortHelperConfigILj8ELj4ELj256EEEflLi256ELb1EvE4sortIPKfPfPKlPlEEvT_S9_T0_T1_SC_T2_bjjjjRNS5_12storage_typeE@rel32@lo+4
	s_addc_u32 s11, s11, _ZN7rocprim17ROCPRIM_400000_NS6detail26segmented_warp_sort_helperINS1_20WarpSortHelperConfigILj8ELj4ELj256EEEflLi256ELb1EvE4sortIPKfPfPKlPlEEvT_S9_T0_T1_SC_T2_bjjjjRNS5_12storage_typeE@rel32@hi+12
	s_mov_b64 s[36:37], s[4:5]
	s_swappc_b64 s[30:31], s[10:11]
	v_mov_b32_e32 v0, v41
	s_mov_b64 s[4:5], s[36:37]
.LBB1355_5:
	s_or_b64 exec, exec, s[34:35]
	s_mov_b64 s[6:7], 0
.LBB1355_6:
	s_andn2_b64 vcc, exec, s[6:7]
	s_cbranch_vccnz .LBB1355_11
; %bb.7:
	s_and_b32 s6, s76, 1
	v_cndmask_b32_e64 v1, 0, 1, s[54:55]
	v_cmp_ne_u32_e32 vcc, s6, v1
	s_mov_b64 s[6:7], -1
	s_cbranch_vccnz .LBB1355_9
; %bb.8:
	s_add_u32 s8, s4, 0x50
	s_mov_b64 s[6:7], src_shared_base
	s_addc_u32 s9, s5, 0
	s_mov_b32 s12, s50
	s_mov_b32 s13, s33
	v_mov_b32_e32 v31, v0
	v_mov_b32_e32 v41, v0
	;; [unrolled: 1-line block ×16, first 2 shown]
	s_getpc_b64 s[10:11]
	s_add_u32 s10, s10, _ZN7rocprim17ROCPRIM_400000_NS6detail40segmented_radix_sort_single_block_helperIflLj256ELj8ELb1EE4sortIPKfPfPKlPlEEbT_T0_T1_T2_jjjjRNS3_12storage_typeE@rel32@lo+4
	s_addc_u32 s11, s11, _ZN7rocprim17ROCPRIM_400000_NS6detail40segmented_radix_sort_single_block_helperIflLj256ELj8ELb1EE4sortIPKfPfPKlPlEEbT_T0_T1_T2_jjjjRNS3_12storage_typeE@rel32@hi+12
	s_mov_b64 s[48:49], s[4:5]
	s_swappc_b64 s[30:31], s[10:11]
	v_mov_b32_e32 v0, v41
	s_mov_b64 s[4:5], s[48:49]
	s_mov_b64 s[6:7], 0
.LBB1355_9:
	s_andn2_b64 vcc, exec, s[6:7]
	s_cbranch_vccnz .LBB1355_11
; %bb.10:
	s_add_u32 s8, s4, 0x50
	s_mov_b64 s[6:7], src_shared_base
	s_addc_u32 s9, s5, 0
	s_mov_b32 s12, s50
	s_mov_b32 s13, s33
	v_mov_b32_e32 v31, v0
	v_mov_b32_e32 v41, v0
	;; [unrolled: 1-line block ×16, first 2 shown]
	s_getpc_b64 s[10:11]
	s_add_u32 s10, s10, _ZN7rocprim17ROCPRIM_400000_NS6detail40segmented_radix_sort_single_block_helperIflLj256ELj8ELb1EE4sortIPKfPfPKlPlEEbT_T0_T1_T2_jjjjRNS3_12storage_typeE@rel32@lo+4
	s_addc_u32 s11, s11, _ZN7rocprim17ROCPRIM_400000_NS6detail40segmented_radix_sort_single_block_helperIflLj256ELj8ELb1EE4sortIPKfPfPKlPlEEbT_T0_T1_T2_jjjjRNS3_12storage_typeE@rel32@hi+12
	s_mov_b64 s[48:49], s[4:5]
	s_swappc_b64 s[30:31], s[10:11]
	v_mov_b32_e32 v0, v41
	s_mov_b64 s[4:5], s[48:49]
.LBB1355_11:
	s_mov_b64 s[6:7], 0
.LBB1355_12:
	s_andn2_b64 vcc, exec, s[6:7]
	s_cbranch_vccnz .LBB1355_683
; %bb.13:
	s_cmp_ge_u32 s77, s78
	s_cbranch_scc1 .LBB1355_683
; %bb.14:
	v_and_b32_e32 v18, 0x3ff, v0
	v_lshlrev_b32_e32 v19, 2, v18
	v_mov_b32_e32 v1, s61
	v_add_co_u32_e32 v40, vcc, s60, v19
	s_movk_i32 s6, 0x100
	v_addc_co_u32_e32 v41, vcc, 0, v1, vcc
	v_or_b32_e32 v1, 63, v18
	s_mov_b64 s[12:13], s[4:5]
	v_cmp_gt_u32_e64 s[4:5], s6, v18
	v_cmp_eq_u32_e64 s[6:7], v1, v18
	v_lshrrev_b32_e32 v1, 4, v18
	v_mad_u32_u24 v42, v18, 12, v19
	v_and_b32_e32 v43, 12, v1
	v_lshlrev_b32_e32 v1, 3, v18
	v_bfe_u32 v48, v0, 20, 10
	v_bfe_u32 v49, v0, 10, 10
	v_mul_u32_u24_e32 v0, 5, v18
	v_mov_b32_e32 v51, 0x410
	v_and_b32_e32 v47, 0x600, v1
	v_add_u32_e32 v50, v42, v19
	v_lshl_add_u32 v52, v0, 2, v51
	v_lshlrev_b32_e32 v0, 4, v18
	v_sub_u32_e32 v53, v50, v0
	v_lshlrev_b32_e32 v0, 3, v47
	v_mov_b32_e32 v1, s75
	v_add_co_u32_e32 v54, vcc, s74, v0
	v_addc_co_u32_e32 v55, vcc, 0, v1, vcc
	v_lshlrev_b32_e32 v1, 2, v47
	v_mov_b32_e32 v2, s61
	v_add_co_u32_e32 v56, vcc, s60, v1
	v_addc_co_u32_e32 v57, vcc, 0, v2, vcc
	v_mov_b32_e32 v2, s59
	v_add_co_u32_e32 v59, vcc, s58, v19
	v_addc_co_u32_e32 v60, vcc, 0, v2, vcc
	;; [unrolled: 3-line block ×6, first 2 shown]
	v_mov_b32_e32 v0, s57
	v_add_co_u32_e32 v69, vcc, s56, v1
	s_add_u32 s82, s12, 0x50
	s_movk_i32 s14, 0xff
	v_addc_co_u32_e32 v70, vcc, 0, v0, vcc
	v_mbcnt_lo_u32_b32 v0, -1, 0
	s_mov_b32 s81, 0
	v_mov_b32_e32 v20, 0
	v_or_b32_e32 v23, 0x100, v18
	v_or_b32_e32 v25, 0x200, v18
	;; [unrolled: 1-line block ×3, first 2 shown]
	v_and_b32_e32 v29, 3, v18
	v_or_b32_e32 v22, 0x400, v18
	v_or_b32_e32 v24, 0x500, v18
	;; [unrolled: 1-line block ×5, first 2 shown]
	v_cmp_gt_u32_e64 s[8:9], 4, v18
	v_add_u32_e32 v45, 0x4400, v19
	v_cmp_lt_u32_e64 s[10:11], 63, v18
	v_add_u32_e32 v46, 0x43fc, v43
	s_addc_u32 s83, s13, 0
	v_cmp_eq_u32_e64 s[12:13], 0, v18
	v_cmp_ne_u32_e64 s[14:15], s14, v18
	v_add_u32_e32 v58, 0x400, v19
	s_mov_b32 s64, -1
	s_brev_b32 s76, 1
	v_mov_b32_e32 v71, 1
	v_lshlrev_b32_e32 v72, 2, v18
	v_bfrev_b32_e32 v73, -2
	v_mbcnt_hi_u32_b32 v74, -1, v0
	v_mov_b32_e32 v1, -1
	s_mov_b32 s85, s77
	s_branch .LBB1355_17
.LBB1355_15:                            ;   in Loop: Header=BB1355_17 Depth=1
	s_waitcnt lgkmcnt(0)
	s_barrier
.LBB1355_16:                            ;   in Loop: Header=BB1355_17 Depth=1
	s_add_i32 s85, s85, 8
	s_cmp_ge_u32 s85, s78
	s_cbranch_scc1 .LBB1355_683
.LBB1355_17:                            ; =>This Loop Header: Depth=1
                                        ;     Child Loop BB1355_21 Depth 2
                                        ;     Child Loop BB1355_71 Depth 2
	;; [unrolled: 1-line block ×8, first 2 shown]
	s_sub_i32 s16, s78, s85
	s_min_u32 s16, s16, 8
	s_lshl_b32 s16, -1, s16
	s_xor_b64 s[54:55], s[54:55], -1
	s_not_b32 s86, s16
	s_cmp_lg_u32 s85, s77
	s_mov_b64 s[16:17], -1
	ds_write2st64_b32 v19, v20, v20 offset1:4
	ds_write2st64_b32 v19, v20, v20 offset0:8 offset1:12
	s_waitcnt lgkmcnt(0)
	s_cbranch_scc0 .LBB1355_351
; %bb.18:                               ;   in Loop: Header=BB1355_17 Depth=1
	s_and_b64 vcc, exec, s[54:55]
	s_cbranch_vccz .LBB1355_184
; %bb.19:                               ;   in Loop: Header=BB1355_17 Depth=1
	s_mov_b32 s22, s79
	s_mov_b32 s80, s51
	s_barrier
	s_waitcnt lgkmcnt(0)
                                        ; implicit-def: $vgpr2_vgpr3_vgpr4_vgpr5_vgpr6_vgpr7_vgpr8_vgpr9
	s_branch .LBB1355_21
.LBB1355_20:                            ;   in Loop: Header=BB1355_21 Depth=2
	s_or_b64 exec, exec, s[16:17]
	s_addk_i32 s22, 0xf800
	s_cmp_ge_u32 s23, s84
	s_mov_b32 s80, s23
	s_cbranch_scc1 .LBB1355_59
.LBB1355_21:                            ;   Parent Loop BB1355_17 Depth=1
                                        ; =>  This Inner Loop Header: Depth=2
	s_add_i32 s23, s80, 0x800
	s_cmp_gt_u32 s23, s84
	s_cbranch_scc1 .LBB1355_24
; %bb.22:                               ;   in Loop: Header=BB1355_21 Depth=2
	s_lshl_b64 s[16:17], s[80:81], 2
	v_mov_b32_e32 v0, s17
	v_add_co_u32_e32 v30, vcc, s16, v40
	v_addc_co_u32_e32 v31, vcc, v41, v0, vcc
	v_add_co_u32_e32 v32, vcc, 0x1000, v30
	v_addc_co_u32_e32 v33, vcc, 0, v31, vcc
	global_load_dword v10, v[30:31], off
	global_load_dword v11, v[30:31], off offset:1024
	global_load_dword v12, v[30:31], off offset:2048
	;; [unrolled: 1-line block ×3, first 2 shown]
	global_load_dword v14, v[32:33], off
	global_load_dword v15, v[32:33], off offset:1024
	global_load_dword v16, v[32:33], off offset:2048
	v_add_co_u32_e32 v30, vcc, 0x1c00, v30
	v_addc_co_u32_e32 v31, vcc, 0, v31, vcc
	s_mov_b64 s[16:17], -1
	s_movk_i32 s24, 0x800
	s_cbranch_execz .LBB1355_25
; %bb.23:                               ;   in Loop: Header=BB1355_21 Depth=2
                                        ; implicit-def: $vgpr2_vgpr3_vgpr4_vgpr5_vgpr6_vgpr7_vgpr8_vgpr9
	v_mov_b32_e32 v0, s22
	s_and_saveexec_b64 s[18:19], s[16:17]
	s_cbranch_execnz .LBB1355_36
	s_branch .LBB1355_37
.LBB1355_24:                            ;   in Loop: Header=BB1355_21 Depth=2
	s_mov_b64 s[16:17], 0
                                        ; implicit-def: $sgpr24
                                        ; implicit-def: $vgpr10_vgpr11_vgpr12_vgpr13_vgpr14_vgpr15_vgpr16_vgpr17
                                        ; implicit-def: $vgpr30_vgpr31
.LBB1355_25:                            ;   in Loop: Header=BB1355_21 Depth=2
	s_lshl_b64 s[18:19], s[80:81], 2
	s_add_u32 s18, s60, s18
	s_addc_u32 s19, s61, s19
	v_cmp_gt_u32_e32 vcc, s22, v18
	s_and_saveexec_b64 s[20:21], vcc
	s_cbranch_execz .LBB1355_53
; %bb.26:                               ;   in Loop: Header=BB1355_21 Depth=2
	global_load_dword v2, v72, s[18:19]
	s_or_b64 exec, exec, s[20:21]
	v_cmp_gt_u32_e32 vcc, s22, v23
	s_and_saveexec_b64 s[20:21], vcc
	s_cbranch_execnz .LBB1355_54
.LBB1355_27:                            ;   in Loop: Header=BB1355_21 Depth=2
	s_or_b64 exec, exec, s[20:21]
	v_cmp_gt_u32_e32 vcc, s22, v25
	s_and_saveexec_b64 s[20:21], vcc
	s_cbranch_execz .LBB1355_55
.LBB1355_28:                            ;   in Loop: Header=BB1355_21 Depth=2
	global_load_dword v4, v72, s[18:19] offset:2048
	s_or_b64 exec, exec, s[20:21]
	v_cmp_gt_u32_e32 vcc, s22, v27
	s_and_saveexec_b64 s[20:21], vcc
	s_cbranch_execnz .LBB1355_56
.LBB1355_29:                            ;   in Loop: Header=BB1355_21 Depth=2
	s_or_b64 exec, exec, s[20:21]
	v_cmp_gt_u32_e32 vcc, s22, v22
	s_and_saveexec_b64 s[20:21], vcc
	s_cbranch_execz .LBB1355_57
.LBB1355_30:                            ;   in Loop: Header=BB1355_21 Depth=2
	v_lshlrev_b32_e32 v0, 2, v22
	global_load_dword v6, v0, s[18:19]
	s_or_b64 exec, exec, s[20:21]
	v_cmp_gt_u32_e32 vcc, s22, v24
	s_and_saveexec_b64 s[20:21], vcc
	s_cbranch_execnz .LBB1355_58
.LBB1355_31:                            ;   in Loop: Header=BB1355_21 Depth=2
	s_or_b64 exec, exec, s[20:21]
	v_cmp_gt_u32_e32 vcc, s22, v26
	s_and_saveexec_b64 s[20:21], vcc
	s_cbranch_execz .LBB1355_33
.LBB1355_32:                            ;   in Loop: Header=BB1355_21 Depth=2
	v_lshlrev_b32_e32 v0, 2, v26
	global_load_dword v8, v0, s[18:19]
.LBB1355_33:                            ;   in Loop: Header=BB1355_21 Depth=2
	s_or_b64 exec, exec, s[20:21]
	v_cmp_gt_u32_e32 vcc, s22, v28
                                        ; implicit-def: $sgpr24
                                        ; implicit-def: $vgpr30_vgpr31
	s_and_saveexec_b64 s[20:21], vcc
	s_cbranch_execz .LBB1355_35
; %bb.34:                               ;   in Loop: Header=BB1355_21 Depth=2
	v_lshlrev_b32_e32 v0, 2, v28
	s_waitcnt vmcnt(6)
	v_mov_b32_e32 v10, s19
	v_add_co_u32_e32 v30, vcc, s18, v0
	s_sub_i32 s24, s84, s80
	v_addc_co_u32_e32 v31, vcc, 0, v10, vcc
	s_or_b64 s[16:17], s[16:17], exec
.LBB1355_35:                            ;   in Loop: Header=BB1355_21 Depth=2
	s_or_b64 exec, exec, s[20:21]
	s_waitcnt vmcnt(0)
	v_pk_mov_b32 v[16:17], v[8:9], v[8:9] op_sel:[0,1]
	v_pk_mov_b32 v[14:15], v[6:7], v[6:7] op_sel:[0,1]
	;; [unrolled: 1-line block ×4, first 2 shown]
	v_mov_b32_e32 v0, s22
	s_and_saveexec_b64 s[18:19], s[16:17]
	s_cbranch_execz .LBB1355_37
.LBB1355_36:                            ;   in Loop: Header=BB1355_21 Depth=2
	global_load_dword v17, v[30:31], off
	s_waitcnt vmcnt(0)
	v_pk_mov_b32 v[2:3], v[10:11], v[10:11] op_sel:[0,1]
	v_mov_b32_e32 v0, s24
	v_pk_mov_b32 v[4:5], v[12:13], v[12:13] op_sel:[0,1]
	v_pk_mov_b32 v[6:7], v[14:15], v[14:15] op_sel:[0,1]
	;; [unrolled: 1-line block ×3, first 2 shown]
.LBB1355_37:                            ;   in Loop: Header=BB1355_21 Depth=2
	s_or_b64 exec, exec, s[18:19]
	v_cmp_lt_u32_e32 vcc, v18, v0
	s_and_saveexec_b64 s[16:17], vcc
	s_cbranch_execz .LBB1355_45
; %bb.38:                               ;   in Loop: Header=BB1355_21 Depth=2
	v_cmp_gt_i32_e32 vcc, 0, v2
	s_waitcnt vmcnt(6)
	v_cndmask_b32_e64 v10, v73, 0, vcc
	v_xor_b32_e32 v10, v10, v2
	v_cmp_ne_u32_e32 vcc, s76, v10
	v_cndmask_b32_e32 v10, v73, v10, vcc
	v_lshrrev_b32_e32 v10, s85, v10
	v_and_b32_e32 v10, s86, v10
	s_waitcnt vmcnt(5)
	v_lshlrev_b32_e32 v11, 2, v29
	v_lshl_or_b32 v10, v10, 4, v11
	ds_add_u32 v10, v71
	s_or_b64 exec, exec, s[16:17]
	v_cmp_lt_u32_e32 vcc, v23, v0
	s_and_saveexec_b64 s[16:17], vcc
	s_cbranch_execnz .LBB1355_46
.LBB1355_39:                            ;   in Loop: Header=BB1355_21 Depth=2
	s_or_b64 exec, exec, s[16:17]
	v_cmp_lt_u32_e32 vcc, v25, v0
	s_and_saveexec_b64 s[16:17], vcc
	s_cbranch_execz .LBB1355_47
.LBB1355_40:                            ;   in Loop: Header=BB1355_21 Depth=2
	v_cmp_gt_i32_e32 vcc, 0, v4
	s_waitcnt vmcnt(6)
	v_cndmask_b32_e64 v10, v73, 0, vcc
	v_xor_b32_e32 v10, v10, v4
	v_cmp_ne_u32_e32 vcc, s76, v10
	v_cndmask_b32_e32 v10, v73, v10, vcc
	v_lshrrev_b32_e32 v10, s85, v10
	v_and_b32_e32 v10, s86, v10
	s_waitcnt vmcnt(5)
	v_lshlrev_b32_e32 v11, 2, v29
	v_lshl_or_b32 v10, v10, 4, v11
	ds_add_u32 v10, v71
	s_or_b64 exec, exec, s[16:17]
	v_cmp_lt_u32_e32 vcc, v27, v0
	s_and_saveexec_b64 s[16:17], vcc
	s_cbranch_execnz .LBB1355_48
.LBB1355_41:                            ;   in Loop: Header=BB1355_21 Depth=2
	s_or_b64 exec, exec, s[16:17]
	v_cmp_lt_u32_e32 vcc, v22, v0
	s_and_saveexec_b64 s[16:17], vcc
	s_cbranch_execz .LBB1355_49
.LBB1355_42:                            ;   in Loop: Header=BB1355_21 Depth=2
	v_cmp_gt_i32_e32 vcc, 0, v6
	s_waitcnt vmcnt(6)
	v_cndmask_b32_e64 v10, v73, 0, vcc
	v_xor_b32_e32 v10, v10, v6
	v_cmp_ne_u32_e32 vcc, s76, v10
	v_cndmask_b32_e32 v10, v73, v10, vcc
	v_lshrrev_b32_e32 v10, s85, v10
	v_and_b32_e32 v10, s86, v10
	s_waitcnt vmcnt(5)
	v_lshlrev_b32_e32 v11, 2, v29
	v_lshl_or_b32 v10, v10, 4, v11
	ds_add_u32 v10, v71
	s_or_b64 exec, exec, s[16:17]
	v_cmp_lt_u32_e32 vcc, v24, v0
	s_and_saveexec_b64 s[16:17], vcc
	s_cbranch_execnz .LBB1355_50
.LBB1355_43:                            ;   in Loop: Header=BB1355_21 Depth=2
	s_or_b64 exec, exec, s[16:17]
	v_cmp_lt_u32_e32 vcc, v26, v0
	s_and_saveexec_b64 s[16:17], vcc
	s_cbranch_execz .LBB1355_51
.LBB1355_44:                            ;   in Loop: Header=BB1355_21 Depth=2
	v_cmp_gt_i32_e32 vcc, 0, v8
	s_waitcnt vmcnt(6)
	v_cndmask_b32_e64 v10, v73, 0, vcc
	v_xor_b32_e32 v10, v10, v8
	v_cmp_ne_u32_e32 vcc, s76, v10
	v_cndmask_b32_e32 v10, v73, v10, vcc
	v_lshrrev_b32_e32 v10, s85, v10
	v_and_b32_e32 v10, s86, v10
	s_waitcnt vmcnt(5)
	v_lshlrev_b32_e32 v11, 2, v29
	v_lshl_or_b32 v10, v10, 4, v11
	ds_add_u32 v10, v71
	s_or_b64 exec, exec, s[16:17]
	v_cmp_lt_u32_e32 vcc, v28, v0
	s_and_saveexec_b64 s[16:17], vcc
	s_cbranch_execz .LBB1355_20
	s_branch .LBB1355_52
.LBB1355_45:                            ;   in Loop: Header=BB1355_21 Depth=2
	s_or_b64 exec, exec, s[16:17]
	v_cmp_lt_u32_e32 vcc, v23, v0
	s_and_saveexec_b64 s[16:17], vcc
	s_cbranch_execz .LBB1355_39
.LBB1355_46:                            ;   in Loop: Header=BB1355_21 Depth=2
	v_cmp_gt_i32_e32 vcc, 0, v3
	s_waitcnt vmcnt(6)
	v_cndmask_b32_e64 v10, v73, 0, vcc
	v_xor_b32_e32 v10, v10, v3
	v_cmp_ne_u32_e32 vcc, s76, v10
	v_cndmask_b32_e32 v10, v73, v10, vcc
	v_lshrrev_b32_e32 v10, s85, v10
	v_and_b32_e32 v10, s86, v10
	s_waitcnt vmcnt(5)
	v_lshlrev_b32_e32 v11, 2, v29
	v_lshl_or_b32 v10, v10, 4, v11
	ds_add_u32 v10, v71
	s_or_b64 exec, exec, s[16:17]
	v_cmp_lt_u32_e32 vcc, v25, v0
	s_and_saveexec_b64 s[16:17], vcc
	s_cbranch_execnz .LBB1355_40
.LBB1355_47:                            ;   in Loop: Header=BB1355_21 Depth=2
	s_or_b64 exec, exec, s[16:17]
	v_cmp_lt_u32_e32 vcc, v27, v0
	s_and_saveexec_b64 s[16:17], vcc
	s_cbranch_execz .LBB1355_41
.LBB1355_48:                            ;   in Loop: Header=BB1355_21 Depth=2
	v_cmp_gt_i32_e32 vcc, 0, v5
	s_waitcnt vmcnt(6)
	v_cndmask_b32_e64 v10, v73, 0, vcc
	v_xor_b32_e32 v10, v10, v5
	v_cmp_ne_u32_e32 vcc, s76, v10
	v_cndmask_b32_e32 v10, v73, v10, vcc
	v_lshrrev_b32_e32 v10, s85, v10
	v_and_b32_e32 v10, s86, v10
	s_waitcnt vmcnt(5)
	v_lshlrev_b32_e32 v11, 2, v29
	v_lshl_or_b32 v10, v10, 4, v11
	ds_add_u32 v10, v71
	s_or_b64 exec, exec, s[16:17]
	v_cmp_lt_u32_e32 vcc, v22, v0
	s_and_saveexec_b64 s[16:17], vcc
	s_cbranch_execnz .LBB1355_42
.LBB1355_49:                            ;   in Loop: Header=BB1355_21 Depth=2
	s_or_b64 exec, exec, s[16:17]
	v_cmp_lt_u32_e32 vcc, v24, v0
	s_and_saveexec_b64 s[16:17], vcc
	s_cbranch_execz .LBB1355_43
.LBB1355_50:                            ;   in Loop: Header=BB1355_21 Depth=2
	v_cmp_gt_i32_e32 vcc, 0, v7
	s_waitcnt vmcnt(6)
	v_cndmask_b32_e64 v10, v73, 0, vcc
	v_xor_b32_e32 v10, v10, v7
	v_cmp_ne_u32_e32 vcc, s76, v10
	v_cndmask_b32_e32 v10, v73, v10, vcc
	v_lshrrev_b32_e32 v10, s85, v10
	v_and_b32_e32 v10, s86, v10
	s_waitcnt vmcnt(5)
	v_lshlrev_b32_e32 v11, 2, v29
	v_lshl_or_b32 v10, v10, 4, v11
	ds_add_u32 v10, v71
	s_or_b64 exec, exec, s[16:17]
	v_cmp_lt_u32_e32 vcc, v26, v0
	s_and_saveexec_b64 s[16:17], vcc
	s_cbranch_execnz .LBB1355_44
.LBB1355_51:                            ;   in Loop: Header=BB1355_21 Depth=2
	s_or_b64 exec, exec, s[16:17]
	v_cmp_lt_u32_e32 vcc, v28, v0
	s_and_saveexec_b64 s[16:17], vcc
	s_cbranch_execz .LBB1355_20
.LBB1355_52:                            ;   in Loop: Header=BB1355_21 Depth=2
	v_cmp_gt_i32_e32 vcc, 0, v9
	v_cndmask_b32_e64 v0, v73, 0, vcc
	v_xor_b32_e32 v0, v0, v9
	v_cmp_ne_u32_e32 vcc, s76, v0
	v_cndmask_b32_e32 v0, v73, v0, vcc
	v_lshrrev_b32_e32 v0, s85, v0
	v_and_b32_e32 v0, s86, v0
	s_waitcnt vmcnt(6)
	v_lshlrev_b32_e32 v10, 2, v29
	v_lshl_or_b32 v0, v0, 4, v10
	ds_add_u32 v0, v71
	s_branch .LBB1355_20
.LBB1355_53:                            ;   in Loop: Header=BB1355_21 Depth=2
	s_or_b64 exec, exec, s[20:21]
	v_cmp_gt_u32_e32 vcc, s22, v23
	s_and_saveexec_b64 s[20:21], vcc
	s_cbranch_execz .LBB1355_27
.LBB1355_54:                            ;   in Loop: Header=BB1355_21 Depth=2
	global_load_dword v3, v72, s[18:19] offset:1024
	s_or_b64 exec, exec, s[20:21]
	v_cmp_gt_u32_e32 vcc, s22, v25
	s_and_saveexec_b64 s[20:21], vcc
	s_cbranch_execnz .LBB1355_28
.LBB1355_55:                            ;   in Loop: Header=BB1355_21 Depth=2
	s_or_b64 exec, exec, s[20:21]
	v_cmp_gt_u32_e32 vcc, s22, v27
	s_and_saveexec_b64 s[20:21], vcc
	s_cbranch_execz .LBB1355_29
.LBB1355_56:                            ;   in Loop: Header=BB1355_21 Depth=2
	global_load_dword v5, v72, s[18:19] offset:3072
	s_or_b64 exec, exec, s[20:21]
	v_cmp_gt_u32_e32 vcc, s22, v22
	s_and_saveexec_b64 s[20:21], vcc
	s_cbranch_execnz .LBB1355_30
.LBB1355_57:                            ;   in Loop: Header=BB1355_21 Depth=2
	s_or_b64 exec, exec, s[20:21]
	v_cmp_gt_u32_e32 vcc, s22, v24
	s_and_saveexec_b64 s[20:21], vcc
	s_cbranch_execz .LBB1355_31
.LBB1355_58:                            ;   in Loop: Header=BB1355_21 Depth=2
	v_lshlrev_b32_e32 v0, 2, v24
	global_load_dword v7, v0, s[18:19]
	s_or_b64 exec, exec, s[20:21]
	v_cmp_gt_u32_e32 vcc, s22, v26
	s_and_saveexec_b64 s[20:21], vcc
	s_cbranch_execz .LBB1355_33
	s_branch .LBB1355_32
.LBB1355_59:                            ;   in Loop: Header=BB1355_17 Depth=1
	v_mov_b32_e32 v0, 0
	s_waitcnt lgkmcnt(0)
	s_barrier
	s_and_saveexec_b64 s[16:17], s[4:5]
	s_cbranch_execz .LBB1355_61
; %bb.60:                               ;   in Loop: Header=BB1355_17 Depth=1
	ds_read2_b64 v[2:5], v42 offset1:1
	s_waitcnt lgkmcnt(0)
	v_add_u32_e32 v0, v3, v2
	v_add3_u32 v0, v0, v4, v5
.LBB1355_61:                            ;   in Loop: Header=BB1355_17 Depth=1
	s_or_b64 exec, exec, s[16:17]
	v_and_b32_e32 v2, 15, v74
	v_mov_b32_dpp v3, v0 row_shr:1 row_mask:0xf bank_mask:0xf
	v_cmp_eq_u32_e64 s[16:17], 0, v2
	v_cndmask_b32_e64 v3, v3, 0, s[16:17]
	v_add_u32_e32 v0, v3, v0
	v_cmp_lt_u32_e64 s[18:19], 1, v2
	v_cmp_lt_u32_e64 s[20:21], 3, v2
	v_mov_b32_dpp v3, v0 row_shr:2 row_mask:0xf bank_mask:0xf
	v_cndmask_b32_e64 v3, 0, v3, s[18:19]
	v_add_u32_e32 v0, v0, v3
	v_cmp_lt_u32_e64 s[22:23], 7, v2
	v_cmp_lt_u32_e64 s[26:27], 31, v74
	v_mov_b32_dpp v3, v0 row_shr:4 row_mask:0xf bank_mask:0xf
	v_cndmask_b32_e64 v3, 0, v3, s[20:21]
	v_add_u32_e32 v0, v0, v3
	v_and_b32_e32 v4, 16, v74
	v_cmp_eq_u32_e64 s[24:25], 0, v4
	v_mov_b32_dpp v3, v0 row_shr:8 row_mask:0xf bank_mask:0xf
	v_cndmask_b32_e64 v2, 0, v3, s[22:23]
	v_add_u32_e32 v0, v0, v2
	v_bfe_i32 v3, v74, 4, 1
	s_nop 0
	v_mov_b32_dpp v2, v0 row_bcast:15 row_mask:0xf bank_mask:0xf
	v_and_b32_e32 v2, v3, v2
	v_add_u32_e32 v0, v0, v2
	s_nop 1
	v_mov_b32_dpp v2, v0 row_bcast:31 row_mask:0xf bank_mask:0xf
	v_cndmask_b32_e64 v2, 0, v2, s[26:27]
	v_add_u32_e32 v2, v0, v2
	s_and_saveexec_b64 s[28:29], s[6:7]
	s_cbranch_execz .LBB1355_63
; %bb.62:                               ;   in Loop: Header=BB1355_17 Depth=1
	ds_write_b32 v44, v2
.LBB1355_63:                            ;   in Loop: Header=BB1355_17 Depth=1
	s_or_b64 exec, exec, s[28:29]
	v_and_b32_e32 v0, 3, v74
	s_waitcnt lgkmcnt(0)
	s_barrier
	s_and_saveexec_b64 s[28:29], s[8:9]
	s_cbranch_execz .LBB1355_65
; %bb.64:                               ;   in Loop: Header=BB1355_17 Depth=1
	ds_read_b32 v3, v45
	v_cmp_ne_u32_e32 vcc, 0, v0
	s_waitcnt lgkmcnt(0)
	v_mov_b32_dpp v4, v3 row_shr:1 row_mask:0xf bank_mask:0xf
	v_cndmask_b32_e32 v4, 0, v4, vcc
	v_add_u32_e32 v3, v4, v3
	v_cmp_lt_u32_e32 vcc, 1, v0
	s_nop 0
	v_mov_b32_dpp v4, v3 row_shr:2 row_mask:0xf bank_mask:0xf
	v_cndmask_b32_e32 v4, 0, v4, vcc
	v_add_u32_e32 v3, v3, v4
	ds_write_b32 v45, v3
.LBB1355_65:                            ;   in Loop: Header=BB1355_17 Depth=1
	s_or_b64 exec, exec, s[28:29]
	v_mov_b32_e32 v3, 0
	s_waitcnt lgkmcnt(0)
	s_barrier
	s_and_saveexec_b64 s[28:29], s[10:11]
	s_cbranch_execz .LBB1355_67
; %bb.66:                               ;   in Loop: Header=BB1355_17 Depth=1
	ds_read_b32 v3, v46
.LBB1355_67:                            ;   in Loop: Header=BB1355_17 Depth=1
	s_or_b64 exec, exec, s[28:29]
	v_add_u32_e32 v4, -1, v74
	v_and_b32_e32 v5, 64, v74
	v_cmp_lt_i32_e32 vcc, v4, v5
	v_cndmask_b32_e32 v4, v4, v74, vcc
	s_waitcnt lgkmcnt(0)
	v_add_u32_e32 v2, v3, v2
	v_lshlrev_b32_e32 v75, 2, v4
	ds_bpermute_b32 v2, v75, v2
	v_cmp_eq_u32_e64 s[28:29], 0, v74
	s_waitcnt lgkmcnt(0)
	s_barrier
	s_and_saveexec_b64 s[30:31], s[4:5]
	s_cbranch_execz .LBB1355_69
; %bb.68:                               ;   in Loop: Header=BB1355_17 Depth=1
	v_cndmask_b32_e64 v2, v2, v3, s[28:29]
	v_add_u32_e32 v2, s51, v2
	ds_write_b32 v19, v2
.LBB1355_69:                            ;   in Loop: Header=BB1355_17 Depth=1
	s_or_b64 exec, exec, s[30:31]
	s_load_dword s30, s[82:83], 0x4
	s_load_dword s36, s[82:83], 0xc
	v_cmp_lt_u32_e64 s[34:35], 1, v0
	s_mov_b32 s87, s79
	s_mov_b32 s80, s51
	s_waitcnt lgkmcnt(0)
	s_cmp_lt_u32 s33, s30
	s_cselect_b32 s30, 14, 20
	s_add_u32 s30, s82, s30
	s_addc_u32 s31, s83, 0
	global_load_ushort v2, v20, s[30:31]
	v_cmp_eq_u32_e64 s[30:31], 0, v0
	v_and_b32_e32 v0, 63, v74
	v_lshlrev_b32_e32 v3, 3, v0
	v_add_co_u32_e32 v83, vcc, v54, v3
	v_or_b32_e32 v80, v0, v47
	v_lshlrev_b32_e32 v0, 2, v0
	v_addc_co_u32_e32 v85, vcc, 0, v55, vcc
	v_add_co_u32_e32 v94, vcc, v56, v0
	v_addc_co_u32_e32 v95, vcc, 0, v57, vcc
	s_and_b32 s36, s36, 0xffff
	v_add_co_u32_e32 v96, vcc, 0x700, v94
	v_or_b32_e32 v87, 64, v80
	v_or_b32_e32 v88, 0x80, v80
	;; [unrolled: 1-line block ×7, first 2 shown]
	v_addc_co_u32_e32 v97, vcc, 0, v95, vcc
                                        ; implicit-def: $vgpr10_vgpr11
                                        ; implicit-def: $vgpr12_vgpr13
                                        ; implicit-def: $vgpr14_vgpr15
                                        ; implicit-def: $vgpr16_vgpr17
                                        ; implicit-def: $vgpr30_vgpr31
                                        ; implicit-def: $vgpr32_vgpr33
                                        ; implicit-def: $vgpr34_vgpr35
                                        ; implicit-def: $vgpr36_vgpr37
                                        ; implicit-def: $vgpr76
                                        ; implicit-def: $vgpr77
                                        ; implicit-def: $vgpr78
                                        ; implicit-def: $vgpr79
                                        ; implicit-def: $vgpr81
                                        ; implicit-def: $vgpr82
                                        ; implicit-def: $vgpr84
                                        ; implicit-def: $vgpr86
	s_waitcnt vmcnt(0)
	v_mad_u32_u24 v0, v48, v2, v49
	v_mad_u64_u32 v[2:3], s[36:37], v0, s36, v[18:19]
	v_lshrrev_b32_e32 v98, 6, v2
	s_branch .LBB1355_71
.LBB1355_70:                            ;   in Loop: Header=BB1355_71 Depth=2
	s_or_b64 exec, exec, s[36:37]
	s_addk_i32 s87, 0xf800
	s_cmp_lt_u32 s88, s84
	s_mov_b32 s80, s88
	s_cbranch_scc0 .LBB1355_183
.LBB1355_71:                            ;   Parent Loop BB1355_17 Depth=1
                                        ; =>  This Inner Loop Header: Depth=2
	s_add_i32 s88, s80, 0x800
	s_cmp_gt_u32 s88, s84
	s_cbranch_scc1 .LBB1355_73
; %bb.72:                               ;   in Loop: Header=BB1355_71 Depth=2
	s_lshl_b64 s[36:37], s[80:81], 2
	v_mov_b32_e32 v0, s37
	v_add_co_u32_e32 v8, vcc, s36, v94
	v_addc_co_u32_e32 v9, vcc, v95, v0, vcc
	global_load_dword v2, v[8:9], off
	global_load_dword v3, v[8:9], off offset:256
	global_load_dword v4, v[8:9], off offset:512
	;; [unrolled: 1-line block ×5, first 2 shown]
	s_nop 0
	global_load_dword v8, v[8:9], off offset:1536
	s_mov_b64 s[36:37], -1
	s_movk_i32 s40, 0x800
	s_cbranch_execz .LBB1355_74
	s_branch .LBB1355_83
.LBB1355_73:                            ;   in Loop: Header=BB1355_71 Depth=2
	s_mov_b64 s[36:37], 0
                                        ; implicit-def: $sgpr40
                                        ; implicit-def: $vgpr2_vgpr3_vgpr4_vgpr5_vgpr6_vgpr7_vgpr8_vgpr9
.LBB1355_74:                            ;   in Loop: Header=BB1355_71 Depth=2
	s_lshl_b64 s[36:37], s[80:81], 2
	v_mov_b32_e32 v0, s37
	v_add_co_u32_e32 v38, vcc, s36, v94
	s_mov_b32 s65, s64
	v_addc_co_u32_e32 v39, vcc, v95, v0, vcc
	s_mov_b32 s66, s64
	s_mov_b32 s67, s64
	;; [unrolled: 1-line block ×6, first 2 shown]
	s_waitcnt vmcnt(0)
	v_pk_mov_b32 v[2:3], s[64:65], s[64:65] op_sel:[0,1]
	v_cmp_gt_u32_e32 vcc, s87, v80
	v_pk_mov_b32 v[4:5], s[66:67], s[66:67] op_sel:[0,1]
	v_pk_mov_b32 v[6:7], s[68:69], s[68:69] op_sel:[0,1]
	;; [unrolled: 1-line block ×3, first 2 shown]
	s_and_saveexec_b64 s[36:37], vcc
	s_cbranch_execz .LBB1355_177
; %bb.75:                               ;   in Loop: Header=BB1355_71 Depth=2
	global_load_dword v0, v[38:39], off
	v_mov_b32_e32 v2, v1
	v_mov_b32_e32 v3, v1
	;; [unrolled: 1-line block ×6, first 2 shown]
	s_waitcnt vmcnt(0)
	v_pk_mov_b32 v[8:9], v[6:7], v[6:7] op_sel:[0,1]
	v_pk_mov_b32 v[6:7], v[4:5], v[4:5] op_sel:[0,1]
	;; [unrolled: 1-line block ×4, first 2 shown]
	s_or_b64 exec, exec, s[36:37]
	v_cmp_gt_u32_e32 vcc, s87, v87
	s_and_saveexec_b64 s[36:37], vcc
	s_cbranch_execnz .LBB1355_178
.LBB1355_76:                            ;   in Loop: Header=BB1355_71 Depth=2
	s_or_b64 exec, exec, s[36:37]
	v_cmp_gt_u32_e32 vcc, s87, v88
	s_and_saveexec_b64 s[36:37], vcc
	s_cbranch_execz .LBB1355_179
.LBB1355_77:                            ;   in Loop: Header=BB1355_71 Depth=2
	global_load_dword v4, v[38:39], off offset:512
	s_or_b64 exec, exec, s[36:37]
	v_cmp_gt_u32_e32 vcc, s87, v89
	s_and_saveexec_b64 s[36:37], vcc
	s_cbranch_execnz .LBB1355_180
.LBB1355_78:                            ;   in Loop: Header=BB1355_71 Depth=2
	s_or_b64 exec, exec, s[36:37]
	v_cmp_gt_u32_e32 vcc, s87, v90
	s_and_saveexec_b64 s[36:37], vcc
	s_cbranch_execz .LBB1355_181
.LBB1355_79:                            ;   in Loop: Header=BB1355_71 Depth=2
	global_load_dword v6, v[38:39], off offset:1024
	s_or_b64 exec, exec, s[36:37]
	v_cmp_gt_u32_e32 vcc, s87, v91
	s_and_saveexec_b64 s[36:37], vcc
	s_cbranch_execnz .LBB1355_182
.LBB1355_80:                            ;   in Loop: Header=BB1355_71 Depth=2
	s_or_b64 exec, exec, s[36:37]
	v_cmp_gt_u32_e32 vcc, s87, v92
	s_and_saveexec_b64 s[36:37], vcc
	s_cbranch_execz .LBB1355_82
.LBB1355_81:                            ;   in Loop: Header=BB1355_71 Depth=2
	global_load_dword v8, v[38:39], off offset:1536
.LBB1355_82:                            ;   in Loop: Header=BB1355_71 Depth=2
	s_or_b64 exec, exec, s[36:37]
	s_sub_i32 s40, s84, s80
	v_cmp_gt_u32_e64 s[36:37], s87, v93
.LBB1355_83:                            ;   in Loop: Header=BB1355_71 Depth=2
	v_mov_b32_e32 v0, s87
	s_and_saveexec_b64 s[38:39], s[36:37]
	s_cbranch_execz .LBB1355_85
; %bb.84:                               ;   in Loop: Header=BB1355_71 Depth=2
	s_lshl_b64 s[36:37], s[80:81], 2
	v_mov_b32_e32 v0, s37
	v_add_co_u32_e32 v38, vcc, s36, v96
	v_addc_co_u32_e32 v39, vcc, v97, v0, vcc
	global_load_dword v9, v[38:39], off
	v_mov_b32_e32 v0, s40
.LBB1355_85:                            ;   in Loop: Header=BB1355_71 Depth=2
	s_or_b64 exec, exec, s[38:39]
	s_waitcnt vmcnt(6)
	v_cmp_gt_i32_e32 vcc, 0, v2
	v_cndmask_b32_e64 v21, v73, 0, vcc
	v_xor_b32_e32 v99, v21, v2
	v_add_u32_e32 v2, 0x410, v50
	v_cmp_ne_u32_e32 vcc, s76, v99
	ds_write2_b32 v2, v20, v20 offset1:1
	ds_write2_b32 v52, v20, v20 offset0:2 offset1:3
	ds_write_b32 v52, v20 offset:16
	v_cndmask_b32_e32 v2, v73, v99, vcc
	v_lshrrev_b32_e32 v2, s85, v2
	v_and_b32_e32 v2, s86, v2
	v_mad_u32_u24 v21, v2, 5, v98
	v_lshl_add_u32 v100, v21, 2, v51
	v_and_b32_e32 v21, 1, v2
	v_add_co_u32_e32 v38, vcc, -1, v21
	v_addc_co_u32_e64 v39, s[36:37], 0, -1, vcc
	v_cmp_ne_u32_e32 vcc, 0, v21
	v_xor_b32_e32 v21, vcc_hi, v39
	v_and_b32_e32 v39, exec_hi, v21
	v_lshlrev_b32_e32 v21, 30, v2
	v_xor_b32_e32 v38, vcc_lo, v38
	v_cmp_gt_i64_e32 vcc, 0, v[20:21]
	v_not_b32_e32 v21, v21
	v_ashrrev_i32_e32 v21, 31, v21
	v_and_b32_e32 v38, exec_lo, v38
	v_xor_b32_e32 v101, vcc_hi, v21
	v_xor_b32_e32 v21, vcc_lo, v21
	v_and_b32_e32 v38, v38, v21
	v_lshlrev_b32_e32 v21, 29, v2
	v_cmp_gt_i64_e32 vcc, 0, v[20:21]
	v_not_b32_e32 v21, v21
	v_ashrrev_i32_e32 v21, 31, v21
	v_and_b32_e32 v39, v39, v101
	v_xor_b32_e32 v101, vcc_hi, v21
	v_xor_b32_e32 v21, vcc_lo, v21
	v_and_b32_e32 v38, v38, v21
	v_lshlrev_b32_e32 v21, 28, v2
	v_cmp_gt_i64_e32 vcc, 0, v[20:21]
	v_not_b32_e32 v21, v21
	v_ashrrev_i32_e32 v21, 31, v21
	v_and_b32_e32 v39, v39, v101
	;; [unrolled: 8-line block ×5, first 2 shown]
	v_xor_b32_e32 v101, vcc_hi, v21
	v_xor_b32_e32 v21, vcc_lo, v21
	v_and_b32_e32 v38, v38, v21
	v_lshlrev_b32_e32 v21, 24, v2
	v_not_b32_e32 v2, v21
	v_cmp_gt_i64_e32 vcc, 0, v[20:21]
	v_ashrrev_i32_e32 v2, 31, v2
	v_xor_b32_e32 v21, vcc_hi, v2
	v_xor_b32_e32 v2, vcc_lo, v2
	v_and_b32_e32 v39, v39, v101
	v_and_b32_e32 v38, v38, v2
	;; [unrolled: 1-line block ×3, first 2 shown]
	v_mbcnt_lo_u32_b32 v2, v38, 0
	v_mbcnt_hi_u32_b32 v101, v39, v2
	v_cmp_eq_u32_e32 vcc, 0, v101
	v_cmp_ne_u64_e64 s[36:37], 0, v[38:39]
	s_and_b64 s[38:39], s[36:37], vcc
	s_waitcnt lgkmcnt(0)
	s_barrier
	s_waitcnt lgkmcnt(0)
	; wave barrier
	s_and_saveexec_b64 s[36:37], s[38:39]
	s_cbranch_execz .LBB1355_87
; %bb.86:                               ;   in Loop: Header=BB1355_71 Depth=2
	v_bcnt_u32_b32 v2, v38, 0
	v_bcnt_u32_b32 v2, v39, v2
	ds_write_b32 v100, v2
.LBB1355_87:                            ;   in Loop: Header=BB1355_71 Depth=2
	s_or_b64 exec, exec, s[36:37]
	s_waitcnt vmcnt(0)
	v_cmp_gt_i32_e32 vcc, 0, v3
	v_cndmask_b32_e64 v2, v73, 0, vcc
	v_xor_b32_e32 v38, v2, v3
	v_cmp_ne_u32_e32 vcc, s76, v38
	v_cndmask_b32_e32 v2, v73, v38, vcc
	v_lshrrev_b32_e32 v2, s85, v2
	v_and_b32_e32 v2, s86, v2
	v_mul_u32_u24_e32 v3, 5, v2
	v_add_lshl_u32 v3, v3, v98, 2
	; wave barrier
	v_add_u32_e32 v102, 0x410, v3
	ds_read_b32 v39, v3 offset:1040
	v_and_b32_e32 v3, 1, v2
	v_add_co_u32_e32 v21, vcc, -1, v3
	v_addc_co_u32_e64 v103, s[36:37], 0, -1, vcc
	v_cmp_ne_u32_e32 vcc, 0, v3
	v_xor_b32_e32 v21, vcc_lo, v21
	v_xor_b32_e32 v3, vcc_hi, v103
	v_and_b32_e32 v103, exec_lo, v21
	v_lshlrev_b32_e32 v21, 30, v2
	v_cmp_gt_i64_e32 vcc, 0, v[20:21]
	v_not_b32_e32 v21, v21
	v_ashrrev_i32_e32 v21, 31, v21
	v_xor_b32_e32 v104, vcc_hi, v21
	v_xor_b32_e32 v21, vcc_lo, v21
	v_and_b32_e32 v103, v103, v21
	v_lshlrev_b32_e32 v21, 29, v2
	v_cmp_gt_i64_e32 vcc, 0, v[20:21]
	v_not_b32_e32 v21, v21
	v_and_b32_e32 v3, exec_hi, v3
	v_ashrrev_i32_e32 v21, 31, v21
	v_and_b32_e32 v3, v3, v104
	v_xor_b32_e32 v104, vcc_hi, v21
	v_xor_b32_e32 v21, vcc_lo, v21
	v_and_b32_e32 v103, v103, v21
	v_lshlrev_b32_e32 v21, 28, v2
	v_cmp_gt_i64_e32 vcc, 0, v[20:21]
	v_not_b32_e32 v21, v21
	v_ashrrev_i32_e32 v21, 31, v21
	v_and_b32_e32 v3, v3, v104
	v_xor_b32_e32 v104, vcc_hi, v21
	v_xor_b32_e32 v21, vcc_lo, v21
	v_and_b32_e32 v103, v103, v21
	v_lshlrev_b32_e32 v21, 27, v2
	v_cmp_gt_i64_e32 vcc, 0, v[20:21]
	v_not_b32_e32 v21, v21
	;; [unrolled: 8-line block ×4, first 2 shown]
	v_ashrrev_i32_e32 v21, 31, v21
	v_and_b32_e32 v3, v3, v104
	v_xor_b32_e32 v104, vcc_hi, v21
	v_xor_b32_e32 v21, vcc_lo, v21
	v_and_b32_e32 v103, v103, v21
	v_lshlrev_b32_e32 v21, 24, v2
	v_not_b32_e32 v2, v21
	v_cmp_gt_i64_e32 vcc, 0, v[20:21]
	v_ashrrev_i32_e32 v2, 31, v2
	v_xor_b32_e32 v21, vcc_hi, v2
	v_xor_b32_e32 v2, vcc_lo, v2
	v_and_b32_e32 v3, v3, v104
	v_and_b32_e32 v2, v103, v2
	;; [unrolled: 1-line block ×3, first 2 shown]
	v_mbcnt_lo_u32_b32 v21, v2, 0
	v_mbcnt_hi_u32_b32 v103, v3, v21
	v_cmp_eq_u32_e32 vcc, 0, v103
	v_cmp_ne_u64_e64 s[36:37], 0, v[2:3]
	s_and_b64 s[38:39], s[36:37], vcc
	; wave barrier
	s_and_saveexec_b64 s[36:37], s[38:39]
	s_cbranch_execz .LBB1355_89
; %bb.88:                               ;   in Loop: Header=BB1355_71 Depth=2
	v_bcnt_u32_b32 v2, v2, 0
	v_bcnt_u32_b32 v2, v3, v2
	s_waitcnt lgkmcnt(0)
	v_add_u32_e32 v2, v39, v2
	ds_write_b32 v102, v2
.LBB1355_89:                            ;   in Loop: Header=BB1355_71 Depth=2
	s_or_b64 exec, exec, s[36:37]
	v_cmp_gt_i32_e32 vcc, 0, v4
	v_cndmask_b32_e64 v2, v73, 0, vcc
	v_xor_b32_e32 v104, v2, v4
	v_cmp_ne_u32_e32 vcc, s76, v104
	v_cndmask_b32_e32 v2, v73, v104, vcc
	v_lshrrev_b32_e32 v2, s85, v2
	v_and_b32_e32 v2, s86, v2
	v_mul_u32_u24_e32 v3, 5, v2
	v_add_lshl_u32 v3, v3, v98, 2
	; wave barrier
	v_add_u32_e32 v106, 0x410, v3
	ds_read_b32 v105, v3 offset:1040
	v_and_b32_e32 v3, 1, v2
	v_add_co_u32_e32 v4, vcc, -1, v3
	v_addc_co_u32_e64 v21, s[36:37], 0, -1, vcc
	v_cmp_ne_u32_e32 vcc, 0, v3
	v_xor_b32_e32 v3, vcc_hi, v21
	v_lshlrev_b32_e32 v21, 30, v2
	v_xor_b32_e32 v4, vcc_lo, v4
	v_cmp_gt_i64_e32 vcc, 0, v[20:21]
	v_not_b32_e32 v21, v21
	v_ashrrev_i32_e32 v21, 31, v21
	v_and_b32_e32 v4, exec_lo, v4
	v_xor_b32_e32 v107, vcc_hi, v21
	v_xor_b32_e32 v21, vcc_lo, v21
	v_and_b32_e32 v4, v4, v21
	v_lshlrev_b32_e32 v21, 29, v2
	v_cmp_gt_i64_e32 vcc, 0, v[20:21]
	v_not_b32_e32 v21, v21
	v_and_b32_e32 v3, exec_hi, v3
	v_ashrrev_i32_e32 v21, 31, v21
	v_and_b32_e32 v3, v3, v107
	v_xor_b32_e32 v107, vcc_hi, v21
	v_xor_b32_e32 v21, vcc_lo, v21
	v_and_b32_e32 v4, v4, v21
	v_lshlrev_b32_e32 v21, 28, v2
	v_cmp_gt_i64_e32 vcc, 0, v[20:21]
	v_not_b32_e32 v21, v21
	v_ashrrev_i32_e32 v21, 31, v21
	v_and_b32_e32 v3, v3, v107
	v_xor_b32_e32 v107, vcc_hi, v21
	v_xor_b32_e32 v21, vcc_lo, v21
	v_and_b32_e32 v4, v4, v21
	v_lshlrev_b32_e32 v21, 27, v2
	v_cmp_gt_i64_e32 vcc, 0, v[20:21]
	v_not_b32_e32 v21, v21
	;; [unrolled: 8-line block ×4, first 2 shown]
	v_ashrrev_i32_e32 v21, 31, v21
	v_and_b32_e32 v3, v3, v107
	v_xor_b32_e32 v107, vcc_hi, v21
	v_xor_b32_e32 v21, vcc_lo, v21
	v_and_b32_e32 v4, v4, v21
	v_lshlrev_b32_e32 v21, 24, v2
	v_not_b32_e32 v2, v21
	v_cmp_gt_i64_e32 vcc, 0, v[20:21]
	v_ashrrev_i32_e32 v2, 31, v2
	v_xor_b32_e32 v21, vcc_hi, v2
	v_xor_b32_e32 v2, vcc_lo, v2
	v_and_b32_e32 v3, v3, v107
	v_and_b32_e32 v2, v4, v2
	;; [unrolled: 1-line block ×3, first 2 shown]
	v_mbcnt_lo_u32_b32 v4, v2, 0
	v_mbcnt_hi_u32_b32 v107, v3, v4
	v_cmp_eq_u32_e32 vcc, 0, v107
	v_cmp_ne_u64_e64 s[36:37], 0, v[2:3]
	s_and_b64 s[38:39], s[36:37], vcc
	; wave barrier
	s_and_saveexec_b64 s[36:37], s[38:39]
	s_cbranch_execz .LBB1355_91
; %bb.90:                               ;   in Loop: Header=BB1355_71 Depth=2
	v_bcnt_u32_b32 v2, v2, 0
	v_bcnt_u32_b32 v2, v3, v2
	s_waitcnt lgkmcnt(0)
	v_add_u32_e32 v2, v105, v2
	ds_write_b32 v106, v2
.LBB1355_91:                            ;   in Loop: Header=BB1355_71 Depth=2
	s_or_b64 exec, exec, s[36:37]
	v_cmp_gt_i32_e32 vcc, 0, v5
	v_cndmask_b32_e64 v2, v73, 0, vcc
	v_xor_b32_e32 v108, v2, v5
	v_cmp_ne_u32_e32 vcc, s76, v108
	v_cndmask_b32_e32 v2, v73, v108, vcc
	v_lshrrev_b32_e32 v2, s85, v2
	v_and_b32_e32 v2, s86, v2
	v_mul_u32_u24_e32 v3, 5, v2
	v_add_lshl_u32 v3, v3, v98, 2
	; wave barrier
	v_add_u32_e32 v110, 0x410, v3
	ds_read_b32 v109, v3 offset:1040
	v_and_b32_e32 v3, 1, v2
	v_add_co_u32_e32 v4, vcc, -1, v3
	v_addc_co_u32_e64 v5, s[36:37], 0, -1, vcc
	v_cmp_ne_u32_e32 vcc, 0, v3
	v_lshlrev_b32_e32 v21, 30, v2
	v_xor_b32_e32 v3, vcc_hi, v5
	v_not_b32_e32 v5, v21
	v_xor_b32_e32 v4, vcc_lo, v4
	v_cmp_gt_i64_e32 vcc, 0, v[20:21]
	v_ashrrev_i32_e32 v5, 31, v5
	v_and_b32_e32 v3, exec_hi, v3
	v_xor_b32_e32 v21, vcc_hi, v5
	v_and_b32_e32 v4, exec_lo, v4
	v_xor_b32_e32 v5, vcc_lo, v5
	v_and_b32_e32 v3, v3, v21
	v_lshlrev_b32_e32 v21, 29, v2
	v_and_b32_e32 v4, v4, v5
	v_not_b32_e32 v5, v21
	v_cmp_gt_i64_e32 vcc, 0, v[20:21]
	v_ashrrev_i32_e32 v5, 31, v5
	v_xor_b32_e32 v21, vcc_hi, v5
	v_xor_b32_e32 v5, vcc_lo, v5
	v_and_b32_e32 v3, v3, v21
	v_lshlrev_b32_e32 v21, 28, v2
	v_and_b32_e32 v4, v4, v5
	v_not_b32_e32 v5, v21
	v_cmp_gt_i64_e32 vcc, 0, v[20:21]
	v_ashrrev_i32_e32 v5, 31, v5
	v_xor_b32_e32 v21, vcc_hi, v5
	;; [unrolled: 8-line block ×5, first 2 shown]
	v_and_b32_e32 v3, v3, v21
	v_lshlrev_b32_e32 v21, 24, v2
	v_not_b32_e32 v2, v21
	v_xor_b32_e32 v5, vcc_lo, v5
	v_cmp_gt_i64_e32 vcc, 0, v[20:21]
	v_ashrrev_i32_e32 v2, 31, v2
	v_and_b32_e32 v4, v4, v5
	v_xor_b32_e32 v5, vcc_hi, v2
	v_xor_b32_e32 v2, vcc_lo, v2
	v_and_b32_e32 v2, v4, v2
	v_and_b32_e32 v3, v3, v5
	v_mbcnt_lo_u32_b32 v4, v2, 0
	v_mbcnt_hi_u32_b32 v111, v3, v4
	v_cmp_eq_u32_e32 vcc, 0, v111
	v_cmp_ne_u64_e64 s[36:37], 0, v[2:3]
	s_and_b64 s[38:39], s[36:37], vcc
	; wave barrier
	s_and_saveexec_b64 s[36:37], s[38:39]
	s_cbranch_execz .LBB1355_93
; %bb.92:                               ;   in Loop: Header=BB1355_71 Depth=2
	v_bcnt_u32_b32 v2, v2, 0
	v_bcnt_u32_b32 v2, v3, v2
	s_waitcnt lgkmcnt(0)
	v_add_u32_e32 v2, v109, v2
	ds_write_b32 v110, v2
.LBB1355_93:                            ;   in Loop: Header=BB1355_71 Depth=2
	s_or_b64 exec, exec, s[36:37]
	v_cmp_gt_i32_e32 vcc, 0, v6
	v_cndmask_b32_e64 v2, v73, 0, vcc
	v_xor_b32_e32 v112, v2, v6
	v_cmp_ne_u32_e32 vcc, s76, v112
	v_cndmask_b32_e32 v2, v73, v112, vcc
	v_lshrrev_b32_e32 v2, s85, v2
	v_and_b32_e32 v2, s86, v2
	v_mul_u32_u24_e32 v3, 5, v2
	v_add_lshl_u32 v3, v3, v98, 2
	; wave barrier
	v_add_u32_e32 v113, 0x410, v3
	ds_read_b32 v6, v3 offset:1040
	v_and_b32_e32 v3, 1, v2
	v_add_co_u32_e32 v4, vcc, -1, v3
	v_addc_co_u32_e64 v5, s[36:37], 0, -1, vcc
	v_cmp_ne_u32_e32 vcc, 0, v3
	v_lshlrev_b32_e32 v21, 30, v2
	v_xor_b32_e32 v3, vcc_hi, v5
	v_not_b32_e32 v5, v21
	v_xor_b32_e32 v4, vcc_lo, v4
	v_cmp_gt_i64_e32 vcc, 0, v[20:21]
	v_ashrrev_i32_e32 v5, 31, v5
	v_and_b32_e32 v3, exec_hi, v3
	v_xor_b32_e32 v21, vcc_hi, v5
	v_and_b32_e32 v4, exec_lo, v4
	v_xor_b32_e32 v5, vcc_lo, v5
	v_and_b32_e32 v3, v3, v21
	v_lshlrev_b32_e32 v21, 29, v2
	v_and_b32_e32 v4, v4, v5
	v_not_b32_e32 v5, v21
	v_cmp_gt_i64_e32 vcc, 0, v[20:21]
	v_ashrrev_i32_e32 v5, 31, v5
	v_xor_b32_e32 v21, vcc_hi, v5
	v_xor_b32_e32 v5, vcc_lo, v5
	v_and_b32_e32 v3, v3, v21
	v_lshlrev_b32_e32 v21, 28, v2
	v_and_b32_e32 v4, v4, v5
	v_not_b32_e32 v5, v21
	v_cmp_gt_i64_e32 vcc, 0, v[20:21]
	v_ashrrev_i32_e32 v5, 31, v5
	v_xor_b32_e32 v21, vcc_hi, v5
	v_xor_b32_e32 v5, vcc_lo, v5
	v_and_b32_e32 v3, v3, v21
	v_lshlrev_b32_e32 v21, 27, v2
	v_and_b32_e32 v4, v4, v5
	v_not_b32_e32 v5, v21
	v_cmp_gt_i64_e32 vcc, 0, v[20:21]
	v_ashrrev_i32_e32 v5, 31, v5
	v_xor_b32_e32 v21, vcc_hi, v5
	v_xor_b32_e32 v5, vcc_lo, v5
	v_and_b32_e32 v3, v3, v21
	v_lshlrev_b32_e32 v21, 26, v2
	v_and_b32_e32 v4, v4, v5
	v_not_b32_e32 v5, v21
	v_cmp_gt_i64_e32 vcc, 0, v[20:21]
	v_ashrrev_i32_e32 v5, 31, v5
	v_xor_b32_e32 v21, vcc_hi, v5
	v_xor_b32_e32 v5, vcc_lo, v5
	v_and_b32_e32 v3, v3, v21
	v_lshlrev_b32_e32 v21, 25, v2
	v_and_b32_e32 v4, v4, v5
	v_not_b32_e32 v5, v21
	v_cmp_gt_i64_e32 vcc, 0, v[20:21]
	v_ashrrev_i32_e32 v5, 31, v5
	v_xor_b32_e32 v21, vcc_hi, v5
	v_and_b32_e32 v3, v3, v21
	v_lshlrev_b32_e32 v21, 24, v2
	v_not_b32_e32 v2, v21
	v_xor_b32_e32 v5, vcc_lo, v5
	v_cmp_gt_i64_e32 vcc, 0, v[20:21]
	v_ashrrev_i32_e32 v2, 31, v2
	v_and_b32_e32 v4, v4, v5
	v_xor_b32_e32 v5, vcc_hi, v2
	v_xor_b32_e32 v2, vcc_lo, v2
	v_and_b32_e32 v2, v4, v2
	v_and_b32_e32 v3, v3, v5
	v_mbcnt_lo_u32_b32 v4, v2, 0
	v_mbcnt_hi_u32_b32 v114, v3, v4
	v_cmp_eq_u32_e32 vcc, 0, v114
	v_cmp_ne_u64_e64 s[36:37], 0, v[2:3]
	s_and_b64 s[38:39], s[36:37], vcc
	; wave barrier
	s_and_saveexec_b64 s[36:37], s[38:39]
	s_cbranch_execz .LBB1355_95
; %bb.94:                               ;   in Loop: Header=BB1355_71 Depth=2
	v_bcnt_u32_b32 v2, v2, 0
	v_bcnt_u32_b32 v2, v3, v2
	s_waitcnt lgkmcnt(0)
	v_add_u32_e32 v2, v6, v2
	ds_write_b32 v113, v2
.LBB1355_95:                            ;   in Loop: Header=BB1355_71 Depth=2
	s_or_b64 exec, exec, s[36:37]
	v_cmp_gt_i32_e32 vcc, 0, v7
	v_cndmask_b32_e64 v2, v73, 0, vcc
	v_xor_b32_e32 v115, v2, v7
	v_cmp_ne_u32_e32 vcc, s76, v115
	v_cndmask_b32_e32 v2, v73, v115, vcc
	v_lshrrev_b32_e32 v2, s85, v2
	v_and_b32_e32 v2, s86, v2
	v_mul_u32_u24_e32 v3, 5, v2
	v_add_lshl_u32 v3, v3, v98, 2
	; wave barrier
	v_add_u32_e32 v116, 0x410, v3
	ds_read_b32 v7, v3 offset:1040
	v_and_b32_e32 v3, 1, v2
	v_add_co_u32_e32 v4, vcc, -1, v3
	v_addc_co_u32_e64 v5, s[36:37], 0, -1, vcc
	v_cmp_ne_u32_e32 vcc, 0, v3
	v_lshlrev_b32_e32 v21, 30, v2
	v_xor_b32_e32 v3, vcc_hi, v5
	v_not_b32_e32 v5, v21
	v_xor_b32_e32 v4, vcc_lo, v4
	v_cmp_gt_i64_e32 vcc, 0, v[20:21]
	v_ashrrev_i32_e32 v5, 31, v5
	v_and_b32_e32 v3, exec_hi, v3
	v_xor_b32_e32 v21, vcc_hi, v5
	v_and_b32_e32 v4, exec_lo, v4
	v_xor_b32_e32 v5, vcc_lo, v5
	v_and_b32_e32 v3, v3, v21
	v_lshlrev_b32_e32 v21, 29, v2
	v_and_b32_e32 v4, v4, v5
	v_not_b32_e32 v5, v21
	v_cmp_gt_i64_e32 vcc, 0, v[20:21]
	v_ashrrev_i32_e32 v5, 31, v5
	v_xor_b32_e32 v21, vcc_hi, v5
	v_xor_b32_e32 v5, vcc_lo, v5
	v_and_b32_e32 v3, v3, v21
	v_lshlrev_b32_e32 v21, 28, v2
	v_and_b32_e32 v4, v4, v5
	v_not_b32_e32 v5, v21
	v_cmp_gt_i64_e32 vcc, 0, v[20:21]
	v_ashrrev_i32_e32 v5, 31, v5
	v_xor_b32_e32 v21, vcc_hi, v5
	;; [unrolled: 8-line block ×5, first 2 shown]
	v_and_b32_e32 v3, v3, v21
	v_lshlrev_b32_e32 v21, 24, v2
	v_not_b32_e32 v2, v21
	v_xor_b32_e32 v5, vcc_lo, v5
	v_cmp_gt_i64_e32 vcc, 0, v[20:21]
	v_ashrrev_i32_e32 v2, 31, v2
	v_and_b32_e32 v4, v4, v5
	v_xor_b32_e32 v5, vcc_hi, v2
	v_xor_b32_e32 v2, vcc_lo, v2
	v_and_b32_e32 v2, v4, v2
	v_and_b32_e32 v3, v3, v5
	v_mbcnt_lo_u32_b32 v4, v2, 0
	v_mbcnt_hi_u32_b32 v117, v3, v4
	v_cmp_eq_u32_e32 vcc, 0, v117
	v_cmp_ne_u64_e64 s[36:37], 0, v[2:3]
	s_and_b64 s[38:39], s[36:37], vcc
	; wave barrier
	s_and_saveexec_b64 s[36:37], s[38:39]
	s_cbranch_execz .LBB1355_97
; %bb.96:                               ;   in Loop: Header=BB1355_71 Depth=2
	v_bcnt_u32_b32 v2, v2, 0
	v_bcnt_u32_b32 v2, v3, v2
	s_waitcnt lgkmcnt(0)
	v_add_u32_e32 v2, v7, v2
	ds_write_b32 v116, v2
.LBB1355_97:                            ;   in Loop: Header=BB1355_71 Depth=2
	s_or_b64 exec, exec, s[36:37]
	v_cmp_gt_i32_e32 vcc, 0, v8
	v_cndmask_b32_e64 v2, v73, 0, vcc
	v_xor_b32_e32 v118, v2, v8
	v_cmp_ne_u32_e32 vcc, s76, v118
	v_cndmask_b32_e32 v2, v73, v118, vcc
	v_lshrrev_b32_e32 v2, s85, v2
	v_and_b32_e32 v2, s86, v2
	v_mul_u32_u24_e32 v3, 5, v2
	v_add_lshl_u32 v3, v3, v98, 2
	; wave barrier
	v_add_u32_e32 v8, 0x410, v3
	ds_read_b32 v119, v3 offset:1040
	v_and_b32_e32 v3, 1, v2
	v_add_co_u32_e32 v4, vcc, -1, v3
	v_addc_co_u32_e64 v5, s[36:37], 0, -1, vcc
	v_cmp_ne_u32_e32 vcc, 0, v3
	v_lshlrev_b32_e32 v21, 30, v2
	v_xor_b32_e32 v3, vcc_hi, v5
	v_not_b32_e32 v5, v21
	v_xor_b32_e32 v4, vcc_lo, v4
	v_cmp_gt_i64_e32 vcc, 0, v[20:21]
	v_ashrrev_i32_e32 v5, 31, v5
	v_and_b32_e32 v3, exec_hi, v3
	v_xor_b32_e32 v21, vcc_hi, v5
	v_and_b32_e32 v4, exec_lo, v4
	v_xor_b32_e32 v5, vcc_lo, v5
	v_and_b32_e32 v3, v3, v21
	v_lshlrev_b32_e32 v21, 29, v2
	v_and_b32_e32 v4, v4, v5
	v_not_b32_e32 v5, v21
	v_cmp_gt_i64_e32 vcc, 0, v[20:21]
	v_ashrrev_i32_e32 v5, 31, v5
	v_xor_b32_e32 v21, vcc_hi, v5
	v_xor_b32_e32 v5, vcc_lo, v5
	v_and_b32_e32 v3, v3, v21
	v_lshlrev_b32_e32 v21, 28, v2
	v_and_b32_e32 v4, v4, v5
	v_not_b32_e32 v5, v21
	v_cmp_gt_i64_e32 vcc, 0, v[20:21]
	v_ashrrev_i32_e32 v5, 31, v5
	v_xor_b32_e32 v21, vcc_hi, v5
	;; [unrolled: 8-line block ×5, first 2 shown]
	v_and_b32_e32 v3, v3, v21
	v_lshlrev_b32_e32 v21, 24, v2
	v_not_b32_e32 v2, v21
	v_xor_b32_e32 v5, vcc_lo, v5
	v_cmp_gt_i64_e32 vcc, 0, v[20:21]
	v_ashrrev_i32_e32 v2, 31, v2
	v_and_b32_e32 v4, v4, v5
	v_xor_b32_e32 v5, vcc_hi, v2
	v_xor_b32_e32 v2, vcc_lo, v2
	v_and_b32_e32 v2, v4, v2
	v_and_b32_e32 v3, v3, v5
	v_mbcnt_lo_u32_b32 v4, v2, 0
	v_mbcnt_hi_u32_b32 v120, v3, v4
	v_cmp_eq_u32_e32 vcc, 0, v120
	v_cmp_ne_u64_e64 s[36:37], 0, v[2:3]
	s_and_b64 s[38:39], s[36:37], vcc
	; wave barrier
	s_and_saveexec_b64 s[36:37], s[38:39]
	s_cbranch_execz .LBB1355_99
; %bb.98:                               ;   in Loop: Header=BB1355_71 Depth=2
	v_bcnt_u32_b32 v2, v2, 0
	v_bcnt_u32_b32 v2, v3, v2
	s_waitcnt lgkmcnt(0)
	v_add_u32_e32 v2, v119, v2
	ds_write_b32 v8, v2
.LBB1355_99:                            ;   in Loop: Header=BB1355_71 Depth=2
	s_or_b64 exec, exec, s[36:37]
	v_cmp_gt_i32_e32 vcc, 0, v9
	v_cndmask_b32_e64 v2, v73, 0, vcc
	v_xor_b32_e32 v121, v2, v9
	v_cmp_ne_u32_e32 vcc, s76, v121
	v_cndmask_b32_e32 v2, v73, v121, vcc
	v_lshrrev_b32_e32 v2, s85, v2
	v_and_b32_e32 v2, s86, v2
	v_mul_u32_u24_e32 v3, 5, v2
	v_add_lshl_u32 v3, v3, v98, 2
	; wave barrier
	v_add_u32_e32 v9, 0x410, v3
	ds_read_b32 v122, v3 offset:1040
	v_and_b32_e32 v3, 1, v2
	v_add_co_u32_e32 v4, vcc, -1, v3
	v_addc_co_u32_e64 v5, s[36:37], 0, -1, vcc
	v_cmp_ne_u32_e32 vcc, 0, v3
	v_lshlrev_b32_e32 v21, 30, v2
	v_xor_b32_e32 v3, vcc_hi, v5
	v_not_b32_e32 v5, v21
	v_xor_b32_e32 v4, vcc_lo, v4
	v_cmp_gt_i64_e32 vcc, 0, v[20:21]
	v_ashrrev_i32_e32 v5, 31, v5
	v_and_b32_e32 v3, exec_hi, v3
	v_xor_b32_e32 v21, vcc_hi, v5
	v_and_b32_e32 v4, exec_lo, v4
	v_xor_b32_e32 v5, vcc_lo, v5
	v_and_b32_e32 v3, v3, v21
	v_lshlrev_b32_e32 v21, 29, v2
	v_and_b32_e32 v4, v4, v5
	v_not_b32_e32 v5, v21
	v_cmp_gt_i64_e32 vcc, 0, v[20:21]
	v_ashrrev_i32_e32 v5, 31, v5
	v_xor_b32_e32 v21, vcc_hi, v5
	v_xor_b32_e32 v5, vcc_lo, v5
	v_and_b32_e32 v3, v3, v21
	v_lshlrev_b32_e32 v21, 28, v2
	v_and_b32_e32 v4, v4, v5
	v_not_b32_e32 v5, v21
	v_cmp_gt_i64_e32 vcc, 0, v[20:21]
	v_ashrrev_i32_e32 v5, 31, v5
	v_xor_b32_e32 v21, vcc_hi, v5
	;; [unrolled: 8-line block ×5, first 2 shown]
	v_and_b32_e32 v3, v3, v21
	v_lshlrev_b32_e32 v21, 24, v2
	v_not_b32_e32 v2, v21
	v_xor_b32_e32 v5, vcc_lo, v5
	v_cmp_gt_i64_e32 vcc, 0, v[20:21]
	v_ashrrev_i32_e32 v2, 31, v2
	v_and_b32_e32 v4, v4, v5
	v_xor_b32_e32 v5, vcc_hi, v2
	v_xor_b32_e32 v2, vcc_lo, v2
	v_and_b32_e32 v2, v4, v2
	v_and_b32_e32 v3, v3, v5
	v_mbcnt_lo_u32_b32 v4, v2, 0
	v_mbcnt_hi_u32_b32 v123, v3, v4
	v_cmp_eq_u32_e32 vcc, 0, v123
	v_cmp_ne_u64_e64 s[36:37], 0, v[2:3]
	s_and_b64 s[38:39], s[36:37], vcc
	; wave barrier
	s_and_saveexec_b64 s[36:37], s[38:39]
	s_cbranch_execz .LBB1355_101
; %bb.100:                              ;   in Loop: Header=BB1355_71 Depth=2
	v_bcnt_u32_b32 v2, v2, 0
	v_bcnt_u32_b32 v2, v3, v2
	s_waitcnt lgkmcnt(0)
	v_add_u32_e32 v2, v122, v2
	ds_write_b32 v9, v2
.LBB1355_101:                           ;   in Loop: Header=BB1355_71 Depth=2
	s_or_b64 exec, exec, s[36:37]
	; wave barrier
	s_waitcnt lgkmcnt(0)
	s_barrier
	ds_read_b32 v21, v50 offset:1040
	ds_read2_b32 v[4:5], v52 offset0:1 offset1:2
	ds_read2_b32 v[2:3], v52 offset0:3 offset1:4
	s_waitcnt lgkmcnt(1)
	v_add3_u32 v124, v4, v21, v5
	s_waitcnt lgkmcnt(0)
	v_add3_u32 v3, v124, v2, v3
	s_nop 1
	v_mov_b32_dpp v124, v3 row_shr:1 row_mask:0xf bank_mask:0xf
	v_cndmask_b32_e64 v124, v124, 0, s[16:17]
	v_add_u32_e32 v3, v124, v3
	s_nop 1
	v_mov_b32_dpp v124, v3 row_shr:2 row_mask:0xf bank_mask:0xf
	v_cndmask_b32_e64 v124, 0, v124, s[18:19]
	v_add_u32_e32 v3, v3, v124
	;; [unrolled: 4-line block ×4, first 2 shown]
	s_nop 1
	v_mov_b32_dpp v124, v3 row_bcast:15 row_mask:0xf bank_mask:0xf
	v_cndmask_b32_e64 v124, v124, 0, s[24:25]
	v_add_u32_e32 v3, v3, v124
	s_nop 1
	v_mov_b32_dpp v124, v3 row_bcast:31 row_mask:0xf bank_mask:0xf
	v_cndmask_b32_e64 v124, 0, v124, s[26:27]
	v_add_u32_e32 v3, v3, v124
	s_and_saveexec_b64 s[36:37], s[6:7]
	s_cbranch_execz .LBB1355_103
; %bb.102:                              ;   in Loop: Header=BB1355_71 Depth=2
	ds_write_b32 v43, v3 offset:1024
.LBB1355_103:                           ;   in Loop: Header=BB1355_71 Depth=2
	s_or_b64 exec, exec, s[36:37]
	s_waitcnt lgkmcnt(0)
	s_barrier
	s_and_saveexec_b64 s[36:37], s[8:9]
	s_cbranch_execz .LBB1355_105
; %bb.104:                              ;   in Loop: Header=BB1355_71 Depth=2
	ds_read_b32 v124, v53 offset:1024
	s_waitcnt lgkmcnt(0)
	s_nop 0
	v_mov_b32_dpp v125, v124 row_shr:1 row_mask:0xf bank_mask:0xf
	v_cndmask_b32_e64 v125, v125, 0, s[30:31]
	v_add_u32_e32 v124, v125, v124
	s_nop 1
	v_mov_b32_dpp v125, v124 row_shr:2 row_mask:0xf bank_mask:0xf
	v_cndmask_b32_e64 v125, 0, v125, s[34:35]
	v_add_u32_e32 v124, v124, v125
	ds_write_b32 v53, v124 offset:1024
.LBB1355_105:                           ;   in Loop: Header=BB1355_71 Depth=2
	s_or_b64 exec, exec, s[36:37]
	v_mov_b32_e32 v124, 0
	s_waitcnt lgkmcnt(0)
	s_barrier
	s_and_saveexec_b64 s[36:37], s[10:11]
	s_cbranch_execz .LBB1355_107
; %bb.106:                              ;   in Loop: Header=BB1355_71 Depth=2
	ds_read_b32 v124, v43 offset:1020
.LBB1355_107:                           ;   in Loop: Header=BB1355_71 Depth=2
	s_or_b64 exec, exec, s[36:37]
	s_waitcnt lgkmcnt(0)
	v_add_u32_e32 v3, v124, v3
	ds_bpermute_b32 v3, v75, v3
	s_waitcnt lgkmcnt(0)
	v_cndmask_b32_e64 v3, v3, v124, s[28:29]
	v_cndmask_b32_e64 v3, v3, 0, s[12:13]
	v_add_u32_e32 v21, v3, v21
	ds_write_b32 v50, v3 offset:1040
	v_add_u32_e32 v3, v21, v4
	v_add_u32_e32 v4, v3, v5
	;; [unrolled: 1-line block ×3, first 2 shown]
	ds_write2_b32 v52, v21, v3 offset0:1 offset1:2
	ds_write2_b32 v52, v4, v2 offset0:3 offset1:4
	s_waitcnt lgkmcnt(0)
	s_barrier
	ds_read_b32 v2, v102
	ds_read_b32 v3, v106
	;; [unrolled: 1-line block ×8, first 2 shown]
	ds_read_b32 v9, v50 offset:1040
	v_mov_b32_e32 v4, 0x800
	s_and_saveexec_b64 s[36:37], s[14:15]
	s_cbranch_execz .LBB1355_109
; %bb.108:                              ;   in Loop: Header=BB1355_71 Depth=2
	ds_read_b32 v4, v50 offset:1060
.LBB1355_109:                           ;   in Loop: Header=BB1355_71 Depth=2
	s_or_b64 exec, exec, s[36:37]
	s_waitcnt lgkmcnt(0)
	s_barrier
	s_and_saveexec_b64 s[36:37], s[4:5]
	s_cbranch_execz .LBB1355_111
; %bb.110:                              ;   in Loop: Header=BB1355_71 Depth=2
	ds_read_b32 v21, v19
	s_waitcnt lgkmcnt(0)
	v_sub_u32_e32 v9, v21, v9
	ds_write_b32 v19, v9
.LBB1355_111:                           ;   in Loop: Header=BB1355_71 Depth=2
	s_or_b64 exec, exec, s[36:37]
	v_add_u32_e32 v100, v8, v101
	v_add3_u32 v39, v103, v39, v2
	v_lshlrev_b32_e32 v2, 2, v100
	v_add3_u32 v21, v107, v105, v3
	ds_write_b32 v2, v99 offset:1024
	v_lshlrev_b32_e32 v2, 2, v39
	v_add3_u32 v9, v111, v109, v5
	ds_write_b32 v2, v38 offset:1024
	;; [unrolled: 3-line block ×6, first 2 shown]
	v_lshlrev_b32_e32 v2, 2, v6
	ds_write_b32 v2, v118 offset:1024
	v_lshlrev_b32_e32 v2, 2, v5
	v_cmp_lt_u32_e32 vcc, v18, v0
	ds_write_b32 v2, v121 offset:1024
	s_waitcnt lgkmcnt(0)
	s_barrier
	s_and_saveexec_b64 s[38:39], vcc
	s_cbranch_execz .LBB1355_119
; %bb.112:                              ;   in Loop: Header=BB1355_71 Depth=2
	ds_read_b32 v2, v53 offset:1024
	v_mov_b32_e32 v3, v20
	v_mov_b32_e32 v99, s59
	s_waitcnt lgkmcnt(0)
	v_cmp_ne_u32_e64 s[36:37], s76, v2
	v_cndmask_b32_e64 v38, v73, v2, s[36:37]
	v_lshrrev_b32_e32 v38, s85, v38
	v_and_b32_e32 v38, s86, v38
	v_lshlrev_b32_e32 v38, 2, v38
	ds_read_b32 v38, v38
	v_cmp_gt_i32_e64 s[36:37], 0, v2
	v_cndmask_b32_e64 v101, v73, 0, s[36:37]
	v_xor_b32_e32 v101, v101, v2
	s_waitcnt lgkmcnt(0)
	v_add_u32_e32 v2, v38, v18
	v_lshlrev_b64 v[2:3], 2, v[2:3]
	v_add_co_u32_e64 v2, s[36:37], s58, v2
	v_addc_co_u32_e64 v3, s[36:37], v99, v3, s[36:37]
	global_store_dword v[2:3], v101, off
	s_or_b64 exec, exec, s[38:39]
	v_cmp_lt_u32_e64 s[36:37], v23, v0
	s_and_saveexec_b64 s[40:41], s[36:37]
	s_cbranch_execnz .LBB1355_120
.LBB1355_113:                           ;   in Loop: Header=BB1355_71 Depth=2
	s_or_b64 exec, exec, s[40:41]
	v_cmp_lt_u32_e64 s[38:39], v25, v0
	s_and_saveexec_b64 s[42:43], s[38:39]
	s_cbranch_execz .LBB1355_121
.LBB1355_114:                           ;   in Loop: Header=BB1355_71 Depth=2
	ds_read_b32 v2, v58 offset:2048
	v_mov_b32_e32 v3, v20
	v_mov_b32_e32 v99, s59
	s_waitcnt lgkmcnt(0)
	v_cmp_ne_u32_e64 s[40:41], s76, v2
	v_cndmask_b32_e64 v38, v73, v2, s[40:41]
	v_lshrrev_b32_e32 v38, s85, v38
	v_and_b32_e32 v38, s86, v38
	v_lshlrev_b32_e32 v38, 2, v38
	ds_read_b32 v38, v38
	v_cmp_gt_i32_e64 s[40:41], 0, v2
	v_cndmask_b32_e64 v101, v73, 0, s[40:41]
	v_xor_b32_e32 v101, v101, v2
	s_waitcnt lgkmcnt(0)
	v_add_u32_e32 v2, v38, v25
	v_lshlrev_b64 v[2:3], 2, v[2:3]
	v_add_co_u32_e64 v2, s[40:41], s58, v2
	v_addc_co_u32_e64 v3, s[40:41], v99, v3, s[40:41]
	global_store_dword v[2:3], v101, off
	s_or_b64 exec, exec, s[42:43]
	v_cmp_lt_u32_e64 s[40:41], v27, v0
	s_and_saveexec_b64 s[44:45], s[40:41]
	s_cbranch_execnz .LBB1355_122
.LBB1355_115:                           ;   in Loop: Header=BB1355_71 Depth=2
	s_or_b64 exec, exec, s[44:45]
	v_cmp_lt_u32_e64 s[42:43], v22, v0
	s_and_saveexec_b64 s[46:47], s[42:43]
	s_cbranch_execz .LBB1355_123
.LBB1355_116:                           ;   in Loop: Header=BB1355_71 Depth=2
	ds_read_b32 v2, v58 offset:4096
	v_mov_b32_e32 v3, v20
	v_mov_b32_e32 v99, s59
	s_waitcnt lgkmcnt(0)
	v_cmp_ne_u32_e64 s[44:45], s76, v2
	v_cndmask_b32_e64 v38, v73, v2, s[44:45]
	v_lshrrev_b32_e32 v38, s85, v38
	v_and_b32_e32 v38, s86, v38
	v_lshlrev_b32_e32 v38, 2, v38
	ds_read_b32 v38, v38
	v_cmp_gt_i32_e64 s[44:45], 0, v2
	v_cndmask_b32_e64 v101, v73, 0, s[44:45]
	v_xor_b32_e32 v101, v101, v2
	s_waitcnt lgkmcnt(0)
	v_add_u32_e32 v2, v38, v22
	v_lshlrev_b64 v[2:3], 2, v[2:3]
	v_add_co_u32_e64 v2, s[44:45], s58, v2
	v_addc_co_u32_e64 v3, s[44:45], v99, v3, s[44:45]
	global_store_dword v[2:3], v101, off
	s_or_b64 exec, exec, s[46:47]
	v_cmp_lt_u32_e64 s[44:45], v24, v0
	s_and_saveexec_b64 s[48:49], s[44:45]
	s_cbranch_execnz .LBB1355_124
.LBB1355_117:                           ;   in Loop: Header=BB1355_71 Depth=2
	s_or_b64 exec, exec, s[48:49]
	v_cmp_lt_u32_e64 s[46:47], v26, v0
	s_and_saveexec_b64 s[52:53], s[46:47]
	s_cbranch_execz .LBB1355_125
.LBB1355_118:                           ;   in Loop: Header=BB1355_71 Depth=2
	ds_read_b32 v2, v58 offset:6144
	v_mov_b32_e32 v3, v20
	v_mov_b32_e32 v99, s59
	s_waitcnt lgkmcnt(0)
	v_cmp_ne_u32_e64 s[48:49], s76, v2
	v_cndmask_b32_e64 v38, v73, v2, s[48:49]
	v_lshrrev_b32_e32 v38, s85, v38
	v_and_b32_e32 v38, s86, v38
	v_lshlrev_b32_e32 v38, 2, v38
	ds_read_b32 v38, v38
	v_cmp_gt_i32_e64 s[48:49], 0, v2
	v_cndmask_b32_e64 v101, v73, 0, s[48:49]
	v_xor_b32_e32 v101, v101, v2
	s_waitcnt lgkmcnt(0)
	v_add_u32_e32 v2, v38, v26
	v_lshlrev_b64 v[2:3], 2, v[2:3]
	v_add_co_u32_e64 v2, s[48:49], s58, v2
	v_addc_co_u32_e64 v3, s[48:49], v99, v3, s[48:49]
	global_store_dword v[2:3], v101, off
	s_or_b64 exec, exec, s[52:53]
	v_cmp_lt_u32_e64 s[48:49], v28, v0
	s_and_saveexec_b64 s[62:63], s[48:49]
	s_cbranch_execnz .LBB1355_126
	s_branch .LBB1355_127
.LBB1355_119:                           ;   in Loop: Header=BB1355_71 Depth=2
	s_or_b64 exec, exec, s[38:39]
	v_cmp_lt_u32_e64 s[36:37], v23, v0
	s_and_saveexec_b64 s[40:41], s[36:37]
	s_cbranch_execz .LBB1355_113
.LBB1355_120:                           ;   in Loop: Header=BB1355_71 Depth=2
	ds_read_b32 v2, v58 offset:1024
	v_mov_b32_e32 v3, v20
	v_mov_b32_e32 v99, s59
	s_waitcnt lgkmcnt(0)
	v_cmp_ne_u32_e64 s[38:39], s76, v2
	v_cndmask_b32_e64 v38, v73, v2, s[38:39]
	v_lshrrev_b32_e32 v38, s85, v38
	v_and_b32_e32 v38, s86, v38
	v_lshlrev_b32_e32 v38, 2, v38
	ds_read_b32 v38, v38
	v_cmp_gt_i32_e64 s[38:39], 0, v2
	v_cndmask_b32_e64 v101, v73, 0, s[38:39]
	v_xor_b32_e32 v101, v101, v2
	s_waitcnt lgkmcnt(0)
	v_add_u32_e32 v2, v38, v23
	v_lshlrev_b64 v[2:3], 2, v[2:3]
	v_add_co_u32_e64 v2, s[38:39], s58, v2
	v_addc_co_u32_e64 v3, s[38:39], v99, v3, s[38:39]
	global_store_dword v[2:3], v101, off
	s_or_b64 exec, exec, s[40:41]
	v_cmp_lt_u32_e64 s[38:39], v25, v0
	s_and_saveexec_b64 s[42:43], s[38:39]
	s_cbranch_execnz .LBB1355_114
.LBB1355_121:                           ;   in Loop: Header=BB1355_71 Depth=2
	s_or_b64 exec, exec, s[42:43]
	v_cmp_lt_u32_e64 s[40:41], v27, v0
	s_and_saveexec_b64 s[44:45], s[40:41]
	s_cbranch_execz .LBB1355_115
.LBB1355_122:                           ;   in Loop: Header=BB1355_71 Depth=2
	ds_read_b32 v2, v58 offset:3072
	v_mov_b32_e32 v3, v20
	v_mov_b32_e32 v99, s59
	s_waitcnt lgkmcnt(0)
	v_cmp_ne_u32_e64 s[42:43], s76, v2
	v_cndmask_b32_e64 v38, v73, v2, s[42:43]
	v_lshrrev_b32_e32 v38, s85, v38
	v_and_b32_e32 v38, s86, v38
	v_lshlrev_b32_e32 v38, 2, v38
	ds_read_b32 v38, v38
	v_cmp_gt_i32_e64 s[42:43], 0, v2
	v_cndmask_b32_e64 v101, v73, 0, s[42:43]
	v_xor_b32_e32 v101, v101, v2
	s_waitcnt lgkmcnt(0)
	v_add_u32_e32 v2, v38, v27
	v_lshlrev_b64 v[2:3], 2, v[2:3]
	v_add_co_u32_e64 v2, s[42:43], s58, v2
	v_addc_co_u32_e64 v3, s[42:43], v99, v3, s[42:43]
	global_store_dword v[2:3], v101, off
	s_or_b64 exec, exec, s[44:45]
	v_cmp_lt_u32_e64 s[42:43], v22, v0
	s_and_saveexec_b64 s[46:47], s[42:43]
	s_cbranch_execnz .LBB1355_116
.LBB1355_123:                           ;   in Loop: Header=BB1355_71 Depth=2
	s_or_b64 exec, exec, s[46:47]
	v_cmp_lt_u32_e64 s[44:45], v24, v0
	s_and_saveexec_b64 s[48:49], s[44:45]
	s_cbranch_execz .LBB1355_117
.LBB1355_124:                           ;   in Loop: Header=BB1355_71 Depth=2
	ds_read_b32 v2, v58 offset:5120
	v_mov_b32_e32 v3, v20
	v_mov_b32_e32 v99, s59
	s_waitcnt lgkmcnt(0)
	v_cmp_ne_u32_e64 s[46:47], s76, v2
	v_cndmask_b32_e64 v38, v73, v2, s[46:47]
	v_lshrrev_b32_e32 v38, s85, v38
	v_and_b32_e32 v38, s86, v38
	v_lshlrev_b32_e32 v38, 2, v38
	ds_read_b32 v38, v38
	v_cmp_gt_i32_e64 s[46:47], 0, v2
	v_cndmask_b32_e64 v101, v73, 0, s[46:47]
	v_xor_b32_e32 v101, v101, v2
	s_waitcnt lgkmcnt(0)
	v_add_u32_e32 v2, v38, v24
	v_lshlrev_b64 v[2:3], 2, v[2:3]
	v_add_co_u32_e64 v2, s[46:47], s58, v2
	v_addc_co_u32_e64 v3, s[46:47], v99, v3, s[46:47]
	global_store_dword v[2:3], v101, off
	s_or_b64 exec, exec, s[48:49]
	v_cmp_lt_u32_e64 s[46:47], v26, v0
	s_and_saveexec_b64 s[52:53], s[46:47]
	s_cbranch_execnz .LBB1355_118
.LBB1355_125:                           ;   in Loop: Header=BB1355_71 Depth=2
	s_or_b64 exec, exec, s[52:53]
	v_cmp_lt_u32_e64 s[48:49], v28, v0
	s_and_saveexec_b64 s[62:63], s[48:49]
	s_cbranch_execz .LBB1355_127
.LBB1355_126:                           ;   in Loop: Header=BB1355_71 Depth=2
	ds_read_b32 v2, v58 offset:7168
	v_mov_b32_e32 v3, v20
	v_mov_b32_e32 v99, s59
	s_waitcnt lgkmcnt(0)
	v_cmp_ne_u32_e64 s[52:53], s76, v2
	v_cndmask_b32_e64 v38, v73, v2, s[52:53]
	v_lshrrev_b32_e32 v38, s85, v38
	v_and_b32_e32 v38, s86, v38
	v_lshlrev_b32_e32 v38, 2, v38
	ds_read_b32 v38, v38
	v_cmp_gt_i32_e64 s[52:53], 0, v2
	v_cndmask_b32_e64 v101, v73, 0, s[52:53]
	v_xor_b32_e32 v101, v101, v2
	s_waitcnt lgkmcnt(0)
	v_add_u32_e32 v2, v38, v28
	v_lshlrev_b64 v[2:3], 2, v[2:3]
	v_add_co_u32_e64 v2, s[52:53], s58, v2
	v_addc_co_u32_e64 v3, s[52:53], v99, v3, s[52:53]
	global_store_dword v[2:3], v101, off
.LBB1355_127:                           ;   in Loop: Header=BB1355_71 Depth=2
	s_or_b64 exec, exec, s[62:63]
	s_lshl_b64 s[52:53], s[80:81], 3
	v_mov_b32_e32 v3, s53
	v_add_co_u32_e64 v2, s[52:53], s52, v83
	v_addc_co_u32_e64 v3, s[52:53], v85, v3, s[52:53]
	v_cmp_lt_u32_e64 s[52:53], v80, v0
	s_and_saveexec_b64 s[62:63], s[52:53]
	s_xor_b64 s[52:53], exec, s[62:63]
	s_cbranch_execz .LBB1355_143
; %bb.128:                              ;   in Loop: Header=BB1355_71 Depth=2
	global_load_dwordx2 v[36:37], v[2:3], off
	s_or_b64 exec, exec, s[52:53]
	v_cmp_lt_u32_e64 s[52:53], v87, v0
	s_and_saveexec_b64 s[62:63], s[52:53]
	s_cbranch_execnz .LBB1355_144
.LBB1355_129:                           ;   in Loop: Header=BB1355_71 Depth=2
	s_or_b64 exec, exec, s[62:63]
	v_cmp_lt_u32_e64 s[52:53], v88, v0
	s_and_saveexec_b64 s[62:63], s[52:53]
	s_cbranch_execz .LBB1355_145
.LBB1355_130:                           ;   in Loop: Header=BB1355_71 Depth=2
	global_load_dwordx2 v[32:33], v[2:3], off offset:1024
	s_or_b64 exec, exec, s[62:63]
	v_cmp_lt_u32_e64 s[52:53], v89, v0
	s_and_saveexec_b64 s[62:63], s[52:53]
	s_cbranch_execnz .LBB1355_146
.LBB1355_131:                           ;   in Loop: Header=BB1355_71 Depth=2
	s_or_b64 exec, exec, s[62:63]
	v_cmp_lt_u32_e64 s[52:53], v90, v0
	s_and_saveexec_b64 s[62:63], s[52:53]
	s_cbranch_execz .LBB1355_147
.LBB1355_132:                           ;   in Loop: Header=BB1355_71 Depth=2
	global_load_dwordx2 v[16:17], v[2:3], off offset:2048
	s_or_b64 exec, exec, s[62:63]
	v_cmp_lt_u32_e64 s[52:53], v91, v0
	s_and_saveexec_b64 s[62:63], s[52:53]
	s_cbranch_execnz .LBB1355_148
.LBB1355_133:                           ;   in Loop: Header=BB1355_71 Depth=2
	s_or_b64 exec, exec, s[62:63]
	v_cmp_lt_u32_e64 s[52:53], v92, v0
	s_and_saveexec_b64 s[62:63], s[52:53]
	s_cbranch_execz .LBB1355_149
.LBB1355_134:                           ;   in Loop: Header=BB1355_71 Depth=2
	global_load_dwordx2 v[12:13], v[2:3], off offset:3072
	s_or_b64 exec, exec, s[62:63]
	v_cmp_lt_u32_e64 s[52:53], v93, v0
	s_and_saveexec_b64 s[62:63], s[52:53]
	s_cbranch_execnz .LBB1355_150
.LBB1355_135:                           ;   in Loop: Header=BB1355_71 Depth=2
	s_or_b64 exec, exec, s[62:63]
	s_and_saveexec_b64 s[62:63], vcc
	s_cbranch_execz .LBB1355_151
.LBB1355_136:                           ;   in Loop: Header=BB1355_71 Depth=2
	ds_read_b32 v0, v53 offset:1024
	s_waitcnt lgkmcnt(0)
	v_cmp_ne_u32_e64 s[52:53], s76, v0
	v_cndmask_b32_e64 v0, v73, v0, s[52:53]
	v_lshrrev_b32_e32 v0, s85, v0
	v_and_b32_e32 v86, s86, v0
	s_or_b64 exec, exec, s[62:63]
	s_and_saveexec_b64 s[62:63], s[36:37]
	s_cbranch_execnz .LBB1355_152
.LBB1355_137:                           ;   in Loop: Header=BB1355_71 Depth=2
	s_or_b64 exec, exec, s[62:63]
	s_and_saveexec_b64 s[62:63], s[38:39]
	s_cbranch_execz .LBB1355_153
.LBB1355_138:                           ;   in Loop: Header=BB1355_71 Depth=2
	ds_read_b32 v0, v58 offset:2048
	s_waitcnt lgkmcnt(0)
	v_cmp_ne_u32_e64 s[52:53], s76, v0
	v_cndmask_b32_e64 v0, v73, v0, s[52:53]
	v_lshrrev_b32_e32 v0, s85, v0
	v_and_b32_e32 v82, s86, v0
	s_or_b64 exec, exec, s[62:63]
	s_and_saveexec_b64 s[62:63], s[40:41]
	s_cbranch_execnz .LBB1355_154
.LBB1355_139:                           ;   in Loop: Header=BB1355_71 Depth=2
	s_or_b64 exec, exec, s[62:63]
	s_and_saveexec_b64 s[62:63], s[42:43]
	s_cbranch_execz .LBB1355_155
.LBB1355_140:                           ;   in Loop: Header=BB1355_71 Depth=2
	ds_read_b32 v0, v58 offset:4096
	s_waitcnt lgkmcnt(0)
	v_cmp_ne_u32_e64 s[52:53], s76, v0
	v_cndmask_b32_e64 v0, v73, v0, s[52:53]
	v_lshrrev_b32_e32 v0, s85, v0
	v_and_b32_e32 v79, s86, v0
	s_or_b64 exec, exec, s[62:63]
	s_and_saveexec_b64 s[62:63], s[44:45]
	s_cbranch_execnz .LBB1355_156
.LBB1355_141:                           ;   in Loop: Header=BB1355_71 Depth=2
	s_or_b64 exec, exec, s[62:63]
	s_and_saveexec_b64 s[62:63], s[46:47]
	s_cbranch_execz .LBB1355_157
.LBB1355_142:                           ;   in Loop: Header=BB1355_71 Depth=2
	ds_read_b32 v0, v58 offset:6144
	s_waitcnt lgkmcnt(0)
	v_cmp_ne_u32_e64 s[52:53], s76, v0
	v_cndmask_b32_e64 v0, v73, v0, s[52:53]
	v_lshrrev_b32_e32 v0, s85, v0
	v_and_b32_e32 v77, s86, v0
	s_or_b64 exec, exec, s[62:63]
	s_and_saveexec_b64 s[62:63], s[48:49]
	s_cbranch_execnz .LBB1355_158
	s_branch .LBB1355_159
.LBB1355_143:                           ;   in Loop: Header=BB1355_71 Depth=2
	s_or_b64 exec, exec, s[52:53]
	v_cmp_lt_u32_e64 s[52:53], v87, v0
	s_and_saveexec_b64 s[62:63], s[52:53]
	s_cbranch_execz .LBB1355_129
.LBB1355_144:                           ;   in Loop: Header=BB1355_71 Depth=2
	global_load_dwordx2 v[34:35], v[2:3], off offset:512
	s_or_b64 exec, exec, s[62:63]
	v_cmp_lt_u32_e64 s[52:53], v88, v0
	s_and_saveexec_b64 s[62:63], s[52:53]
	s_cbranch_execnz .LBB1355_130
.LBB1355_145:                           ;   in Loop: Header=BB1355_71 Depth=2
	s_or_b64 exec, exec, s[62:63]
	v_cmp_lt_u32_e64 s[52:53], v89, v0
	s_and_saveexec_b64 s[62:63], s[52:53]
	s_cbranch_execz .LBB1355_131
.LBB1355_146:                           ;   in Loop: Header=BB1355_71 Depth=2
	global_load_dwordx2 v[30:31], v[2:3], off offset:1536
	s_or_b64 exec, exec, s[62:63]
	v_cmp_lt_u32_e64 s[52:53], v90, v0
	s_and_saveexec_b64 s[62:63], s[52:53]
	s_cbranch_execnz .LBB1355_132
.LBB1355_147:                           ;   in Loop: Header=BB1355_71 Depth=2
	s_or_b64 exec, exec, s[62:63]
	v_cmp_lt_u32_e64 s[52:53], v91, v0
	s_and_saveexec_b64 s[62:63], s[52:53]
	s_cbranch_execz .LBB1355_133
.LBB1355_148:                           ;   in Loop: Header=BB1355_71 Depth=2
	global_load_dwordx2 v[14:15], v[2:3], off offset:2560
	s_or_b64 exec, exec, s[62:63]
	v_cmp_lt_u32_e64 s[52:53], v92, v0
	s_and_saveexec_b64 s[62:63], s[52:53]
	s_cbranch_execnz .LBB1355_134
.LBB1355_149:                           ;   in Loop: Header=BB1355_71 Depth=2
	s_or_b64 exec, exec, s[62:63]
	v_cmp_lt_u32_e64 s[52:53], v93, v0
	s_and_saveexec_b64 s[62:63], s[52:53]
	s_cbranch_execz .LBB1355_135
.LBB1355_150:                           ;   in Loop: Header=BB1355_71 Depth=2
	global_load_dwordx2 v[10:11], v[2:3], off offset:3584
	s_or_b64 exec, exec, s[62:63]
	s_and_saveexec_b64 s[62:63], vcc
	s_cbranch_execnz .LBB1355_136
.LBB1355_151:                           ;   in Loop: Header=BB1355_71 Depth=2
	s_or_b64 exec, exec, s[62:63]
	s_and_saveexec_b64 s[62:63], s[36:37]
	s_cbranch_execz .LBB1355_137
.LBB1355_152:                           ;   in Loop: Header=BB1355_71 Depth=2
	ds_read_b32 v0, v58 offset:1024
	s_waitcnt lgkmcnt(0)
	v_cmp_ne_u32_e64 s[52:53], s76, v0
	v_cndmask_b32_e64 v0, v73, v0, s[52:53]
	v_lshrrev_b32_e32 v0, s85, v0
	v_and_b32_e32 v84, s86, v0
	s_or_b64 exec, exec, s[62:63]
	s_and_saveexec_b64 s[62:63], s[38:39]
	s_cbranch_execnz .LBB1355_138
.LBB1355_153:                           ;   in Loop: Header=BB1355_71 Depth=2
	s_or_b64 exec, exec, s[62:63]
	s_and_saveexec_b64 s[62:63], s[40:41]
	s_cbranch_execz .LBB1355_139
.LBB1355_154:                           ;   in Loop: Header=BB1355_71 Depth=2
	ds_read_b32 v0, v58 offset:3072
	s_waitcnt lgkmcnt(0)
	v_cmp_ne_u32_e64 s[52:53], s76, v0
	v_cndmask_b32_e64 v0, v73, v0, s[52:53]
	v_lshrrev_b32_e32 v0, s85, v0
	v_and_b32_e32 v81, s86, v0
	s_or_b64 exec, exec, s[62:63]
	s_and_saveexec_b64 s[62:63], s[42:43]
	s_cbranch_execnz .LBB1355_140
.LBB1355_155:                           ;   in Loop: Header=BB1355_71 Depth=2
	s_or_b64 exec, exec, s[62:63]
	s_and_saveexec_b64 s[62:63], s[44:45]
	s_cbranch_execz .LBB1355_141
.LBB1355_156:                           ;   in Loop: Header=BB1355_71 Depth=2
	ds_read_b32 v0, v58 offset:5120
	s_waitcnt lgkmcnt(0)
	v_cmp_ne_u32_e64 s[52:53], s76, v0
	v_cndmask_b32_e64 v0, v73, v0, s[52:53]
	v_lshrrev_b32_e32 v0, s85, v0
	v_and_b32_e32 v78, s86, v0
	s_or_b64 exec, exec, s[62:63]
	s_and_saveexec_b64 s[62:63], s[46:47]
	s_cbranch_execnz .LBB1355_142
.LBB1355_157:                           ;   in Loop: Header=BB1355_71 Depth=2
	s_or_b64 exec, exec, s[62:63]
	s_and_saveexec_b64 s[62:63], s[48:49]
	s_cbranch_execz .LBB1355_159
.LBB1355_158:                           ;   in Loop: Header=BB1355_71 Depth=2
	ds_read_b32 v0, v58 offset:7168
	s_waitcnt lgkmcnt(0)
	v_cmp_ne_u32_e64 s[52:53], s76, v0
	v_cndmask_b32_e64 v0, v73, v0, s[52:53]
	v_lshrrev_b32_e32 v0, s85, v0
	v_and_b32_e32 v76, s86, v0
.LBB1355_159:                           ;   in Loop: Header=BB1355_71 Depth=2
	s_or_b64 exec, exec, s[62:63]
	v_lshlrev_b32_e32 v0, 3, v100
	s_barrier
	s_waitcnt vmcnt(0)
	ds_write_b64 v0, v[36:37] offset:1024
	v_lshlrev_b32_e32 v0, 3, v39
	ds_write_b64 v0, v[34:35] offset:1024
	v_lshlrev_b32_e32 v0, 3, v21
	;; [unrolled: 2-line block ×7, first 2 shown]
	ds_write_b64 v0, v[10:11] offset:1024
	s_waitcnt lgkmcnt(0)
	s_barrier
	s_and_saveexec_b64 s[52:53], vcc
	s_cbranch_execz .LBB1355_167
; %bb.160:                              ;   in Loop: Header=BB1355_71 Depth=2
	v_lshlrev_b32_e32 v0, 2, v86
	ds_read_b32 v0, v0
	v_add_u32_e32 v2, v53, v19
	ds_read_b64 v[2:3], v2 offset:1024
	v_mov_b32_e32 v7, v20
	v_mov_b32_e32 v5, s73
	s_waitcnt lgkmcnt(1)
	v_add_u32_e32 v6, v0, v18
	v_lshlrev_b64 v[6:7], 3, v[6:7]
	v_add_co_u32_e32 v6, vcc, s72, v6
	v_addc_co_u32_e32 v7, vcc, v5, v7, vcc
	s_waitcnt lgkmcnt(0)
	global_store_dwordx2 v[6:7], v[2:3], off
	s_or_b64 exec, exec, s[52:53]
	s_and_saveexec_b64 s[52:53], s[36:37]
	s_cbranch_execnz .LBB1355_168
.LBB1355_161:                           ;   in Loop: Header=BB1355_71 Depth=2
	s_or_b64 exec, exec, s[52:53]
	s_and_saveexec_b64 s[36:37], s[38:39]
	s_cbranch_execz .LBB1355_169
.LBB1355_162:                           ;   in Loop: Header=BB1355_71 Depth=2
	v_lshlrev_b32_e32 v0, 2, v82
	ds_read_b32 v0, v0
	v_add_u32_e32 v2, v58, v19
	ds_read_b64 v[2:3], v2 offset:4096
	v_mov_b32_e32 v7, v20
	v_mov_b32_e32 v5, s73
	s_waitcnt lgkmcnt(1)
	v_add_u32_e32 v6, v0, v25
	v_lshlrev_b64 v[6:7], 3, v[6:7]
	v_add_co_u32_e32 v6, vcc, s72, v6
	v_addc_co_u32_e32 v7, vcc, v5, v7, vcc
	s_waitcnt lgkmcnt(0)
	global_store_dwordx2 v[6:7], v[2:3], off
	s_or_b64 exec, exec, s[36:37]
	s_and_saveexec_b64 s[36:37], s[40:41]
	s_cbranch_execnz .LBB1355_170
.LBB1355_163:                           ;   in Loop: Header=BB1355_71 Depth=2
	s_or_b64 exec, exec, s[36:37]
	s_and_saveexec_b64 s[36:37], s[42:43]
	s_cbranch_execz .LBB1355_171
.LBB1355_164:                           ;   in Loop: Header=BB1355_71 Depth=2
	v_lshlrev_b32_e32 v0, 2, v79
	ds_read_b32 v0, v0
	v_add_u32_e32 v2, v58, v19
	ds_read_b64 v[2:3], v2 offset:8192
	v_mov_b32_e32 v7, v20
	v_mov_b32_e32 v5, s73
	s_waitcnt lgkmcnt(1)
	v_add_u32_e32 v6, v0, v22
	v_lshlrev_b64 v[6:7], 3, v[6:7]
	v_add_co_u32_e32 v6, vcc, s72, v6
	v_addc_co_u32_e32 v7, vcc, v5, v7, vcc
	s_waitcnt lgkmcnt(0)
	global_store_dwordx2 v[6:7], v[2:3], off
	s_or_b64 exec, exec, s[36:37]
	s_and_saveexec_b64 s[36:37], s[44:45]
	s_cbranch_execnz .LBB1355_172
.LBB1355_165:                           ;   in Loop: Header=BB1355_71 Depth=2
	s_or_b64 exec, exec, s[36:37]
	s_and_saveexec_b64 s[36:37], s[46:47]
	s_cbranch_execz .LBB1355_173
.LBB1355_166:                           ;   in Loop: Header=BB1355_71 Depth=2
	v_lshlrev_b32_e32 v0, 2, v77
	ds_read_b32 v0, v0
	v_add_u32_e32 v2, v58, v19
	ds_read_b64 v[2:3], v2 offset:12288
	v_mov_b32_e32 v7, v20
	v_mov_b32_e32 v5, s73
	s_waitcnt lgkmcnt(1)
	v_add_u32_e32 v6, v0, v26
	v_lshlrev_b64 v[6:7], 3, v[6:7]
	v_add_co_u32_e32 v6, vcc, s72, v6
	v_addc_co_u32_e32 v7, vcc, v5, v7, vcc
	s_waitcnt lgkmcnt(0)
	global_store_dwordx2 v[6:7], v[2:3], off
	s_or_b64 exec, exec, s[36:37]
	s_and_saveexec_b64 s[36:37], s[48:49]
	s_cbranch_execnz .LBB1355_174
	s_branch .LBB1355_175
.LBB1355_167:                           ;   in Loop: Header=BB1355_71 Depth=2
	s_or_b64 exec, exec, s[52:53]
	s_and_saveexec_b64 s[52:53], s[36:37]
	s_cbranch_execz .LBB1355_161
.LBB1355_168:                           ;   in Loop: Header=BB1355_71 Depth=2
	v_lshlrev_b32_e32 v0, 2, v84
	ds_read_b32 v0, v0
	v_add_u32_e32 v2, v58, v19
	ds_read_b64 v[2:3], v2 offset:2048
	v_mov_b32_e32 v7, v20
	v_mov_b32_e32 v5, s73
	s_waitcnt lgkmcnt(1)
	v_add_u32_e32 v6, v0, v23
	v_lshlrev_b64 v[6:7], 3, v[6:7]
	v_add_co_u32_e32 v6, vcc, s72, v6
	v_addc_co_u32_e32 v7, vcc, v5, v7, vcc
	s_waitcnt lgkmcnt(0)
	global_store_dwordx2 v[6:7], v[2:3], off
	s_or_b64 exec, exec, s[52:53]
	s_and_saveexec_b64 s[36:37], s[38:39]
	s_cbranch_execnz .LBB1355_162
.LBB1355_169:                           ;   in Loop: Header=BB1355_71 Depth=2
	s_or_b64 exec, exec, s[36:37]
	s_and_saveexec_b64 s[36:37], s[40:41]
	s_cbranch_execz .LBB1355_163
.LBB1355_170:                           ;   in Loop: Header=BB1355_71 Depth=2
	v_lshlrev_b32_e32 v0, 2, v81
	ds_read_b32 v0, v0
	v_add_u32_e32 v2, v58, v19
	ds_read_b64 v[2:3], v2 offset:6144
	v_mov_b32_e32 v7, v20
	v_mov_b32_e32 v5, s73
	s_waitcnt lgkmcnt(1)
	v_add_u32_e32 v6, v0, v27
	v_lshlrev_b64 v[6:7], 3, v[6:7]
	v_add_co_u32_e32 v6, vcc, s72, v6
	v_addc_co_u32_e32 v7, vcc, v5, v7, vcc
	s_waitcnt lgkmcnt(0)
	global_store_dwordx2 v[6:7], v[2:3], off
	s_or_b64 exec, exec, s[36:37]
	s_and_saveexec_b64 s[36:37], s[42:43]
	s_cbranch_execnz .LBB1355_164
.LBB1355_171:                           ;   in Loop: Header=BB1355_71 Depth=2
	s_or_b64 exec, exec, s[36:37]
	s_and_saveexec_b64 s[36:37], s[44:45]
	s_cbranch_execz .LBB1355_165
.LBB1355_172:                           ;   in Loop: Header=BB1355_71 Depth=2
	v_lshlrev_b32_e32 v0, 2, v78
	ds_read_b32 v0, v0
	v_add_u32_e32 v2, v58, v19
	ds_read_b64 v[2:3], v2 offset:10240
	v_mov_b32_e32 v7, v20
	v_mov_b32_e32 v5, s73
	s_waitcnt lgkmcnt(1)
	v_add_u32_e32 v6, v0, v24
	v_lshlrev_b64 v[6:7], 3, v[6:7]
	v_add_co_u32_e32 v6, vcc, s72, v6
	v_addc_co_u32_e32 v7, vcc, v5, v7, vcc
	s_waitcnt lgkmcnt(0)
	global_store_dwordx2 v[6:7], v[2:3], off
	s_or_b64 exec, exec, s[36:37]
	s_and_saveexec_b64 s[36:37], s[46:47]
	s_cbranch_execnz .LBB1355_166
.LBB1355_173:                           ;   in Loop: Header=BB1355_71 Depth=2
	s_or_b64 exec, exec, s[36:37]
	s_and_saveexec_b64 s[36:37], s[48:49]
	s_cbranch_execz .LBB1355_175
.LBB1355_174:                           ;   in Loop: Header=BB1355_71 Depth=2
	v_lshlrev_b32_e32 v0, 2, v76
	ds_read_b32 v0, v0
	v_add_u32_e32 v2, v58, v19
	ds_read_b64 v[2:3], v2 offset:14336
	v_mov_b32_e32 v7, v20
	v_mov_b32_e32 v5, s73
	s_waitcnt lgkmcnt(1)
	v_add_u32_e32 v6, v0, v28
	v_lshlrev_b64 v[6:7], 3, v[6:7]
	v_add_co_u32_e32 v6, vcc, s72, v6
	v_addc_co_u32_e32 v7, vcc, v5, v7, vcc
	s_waitcnt lgkmcnt(0)
	global_store_dwordx2 v[6:7], v[2:3], off
.LBB1355_175:                           ;   in Loop: Header=BB1355_71 Depth=2
	s_or_b64 exec, exec, s[36:37]
	s_barrier
	s_and_saveexec_b64 s[36:37], s[4:5]
	s_cbranch_execz .LBB1355_70
; %bb.176:                              ;   in Loop: Header=BB1355_71 Depth=2
	ds_read_b32 v0, v19
	s_waitcnt lgkmcnt(0)
	v_add_u32_e32 v0, v0, v4
	ds_write_b32 v19, v0
	s_branch .LBB1355_70
.LBB1355_177:                           ;   in Loop: Header=BB1355_71 Depth=2
	s_or_b64 exec, exec, s[36:37]
	v_cmp_gt_u32_e32 vcc, s87, v87
	s_and_saveexec_b64 s[36:37], vcc
	s_cbranch_execz .LBB1355_76
.LBB1355_178:                           ;   in Loop: Header=BB1355_71 Depth=2
	global_load_dword v3, v[38:39], off offset:256
	s_or_b64 exec, exec, s[36:37]
	v_cmp_gt_u32_e32 vcc, s87, v88
	s_and_saveexec_b64 s[36:37], vcc
	s_cbranch_execnz .LBB1355_77
.LBB1355_179:                           ;   in Loop: Header=BB1355_71 Depth=2
	s_or_b64 exec, exec, s[36:37]
	v_cmp_gt_u32_e32 vcc, s87, v89
	s_and_saveexec_b64 s[36:37], vcc
	s_cbranch_execz .LBB1355_78
.LBB1355_180:                           ;   in Loop: Header=BB1355_71 Depth=2
	global_load_dword v5, v[38:39], off offset:768
	s_or_b64 exec, exec, s[36:37]
	v_cmp_gt_u32_e32 vcc, s87, v90
	s_and_saveexec_b64 s[36:37], vcc
	s_cbranch_execnz .LBB1355_79
.LBB1355_181:                           ;   in Loop: Header=BB1355_71 Depth=2
	s_or_b64 exec, exec, s[36:37]
	v_cmp_gt_u32_e32 vcc, s87, v91
	s_and_saveexec_b64 s[36:37], vcc
	s_cbranch_execz .LBB1355_80
.LBB1355_182:                           ;   in Loop: Header=BB1355_71 Depth=2
	global_load_dword v7, v[38:39], off offset:1280
	s_or_b64 exec, exec, s[36:37]
	v_cmp_gt_u32_e32 vcc, s87, v92
	s_and_saveexec_b64 s[36:37], vcc
	s_cbranch_execnz .LBB1355_81
	s_branch .LBB1355_82
.LBB1355_183:                           ;   in Loop: Header=BB1355_17 Depth=1
	s_waitcnt lgkmcnt(0)
	s_barrier
	s_mov_b64 s[16:17], 0
.LBB1355_184:                           ;   in Loop: Header=BB1355_17 Depth=1
	s_and_b64 vcc, exec, s[16:17]
	s_cbranch_vccz .LBB1355_350
; %bb.185:                              ;   in Loop: Header=BB1355_17 Depth=1
	s_mov_b32 s22, s79
	s_mov_b32 s80, s51
	s_barrier
	s_waitcnt lgkmcnt(0)
                                        ; implicit-def: $vgpr2_vgpr3_vgpr4_vgpr5_vgpr6_vgpr7_vgpr8_vgpr9
	s_branch .LBB1355_187
.LBB1355_186:                           ;   in Loop: Header=BB1355_187 Depth=2
	s_or_b64 exec, exec, s[16:17]
	s_addk_i32 s22, 0xf800
	s_cmp_ge_u32 s23, s84
	s_mov_b32 s80, s23
	s_cbranch_scc1 .LBB1355_225
.LBB1355_187:                           ;   Parent Loop BB1355_17 Depth=1
                                        ; =>  This Inner Loop Header: Depth=2
	s_add_i32 s23, s80, 0x800
	s_cmp_gt_u32 s23, s84
	s_cbranch_scc1 .LBB1355_190
; %bb.188:                              ;   in Loop: Header=BB1355_187 Depth=2
	s_lshl_b64 s[16:17], s[80:81], 2
	v_mov_b32_e32 v0, s17
	v_add_co_u32_e32 v30, vcc, s16, v59
	v_addc_co_u32_e32 v31, vcc, v60, v0, vcc
	v_add_co_u32_e32 v32, vcc, 0x1000, v30
	v_addc_co_u32_e32 v33, vcc, 0, v31, vcc
	global_load_dword v10, v[30:31], off
	global_load_dword v11, v[30:31], off offset:1024
	global_load_dword v12, v[30:31], off offset:2048
	;; [unrolled: 1-line block ×3, first 2 shown]
	global_load_dword v14, v[32:33], off
	global_load_dword v15, v[32:33], off offset:1024
	global_load_dword v16, v[32:33], off offset:2048
	v_add_co_u32_e32 v30, vcc, 0x1c00, v30
	v_addc_co_u32_e32 v31, vcc, 0, v31, vcc
	s_mov_b64 s[16:17], -1
	s_movk_i32 s24, 0x800
	s_cbranch_execz .LBB1355_191
; %bb.189:                              ;   in Loop: Header=BB1355_187 Depth=2
                                        ; implicit-def: $vgpr2_vgpr3_vgpr4_vgpr5_vgpr6_vgpr7_vgpr8_vgpr9
	v_mov_b32_e32 v0, s22
	s_and_saveexec_b64 s[18:19], s[16:17]
	s_cbranch_execnz .LBB1355_202
	s_branch .LBB1355_203
.LBB1355_190:                           ;   in Loop: Header=BB1355_187 Depth=2
	s_mov_b64 s[16:17], 0
                                        ; implicit-def: $sgpr24
                                        ; implicit-def: $vgpr10_vgpr11_vgpr12_vgpr13_vgpr14_vgpr15_vgpr16_vgpr17
                                        ; implicit-def: $vgpr30_vgpr31
.LBB1355_191:                           ;   in Loop: Header=BB1355_187 Depth=2
	s_lshl_b64 s[18:19], s[80:81], 2
	s_add_u32 s18, s58, s18
	s_addc_u32 s19, s59, s19
	v_cmp_gt_u32_e32 vcc, s22, v18
	s_and_saveexec_b64 s[20:21], vcc
	s_cbranch_execz .LBB1355_219
; %bb.192:                              ;   in Loop: Header=BB1355_187 Depth=2
	global_load_dword v2, v72, s[18:19]
	s_or_b64 exec, exec, s[20:21]
	v_cmp_gt_u32_e32 vcc, s22, v23
	s_and_saveexec_b64 s[20:21], vcc
	s_cbranch_execnz .LBB1355_220
.LBB1355_193:                           ;   in Loop: Header=BB1355_187 Depth=2
	s_or_b64 exec, exec, s[20:21]
	v_cmp_gt_u32_e32 vcc, s22, v25
	s_and_saveexec_b64 s[20:21], vcc
	s_cbranch_execz .LBB1355_221
.LBB1355_194:                           ;   in Loop: Header=BB1355_187 Depth=2
	global_load_dword v4, v72, s[18:19] offset:2048
	s_or_b64 exec, exec, s[20:21]
	v_cmp_gt_u32_e32 vcc, s22, v27
	s_and_saveexec_b64 s[20:21], vcc
	s_cbranch_execnz .LBB1355_222
.LBB1355_195:                           ;   in Loop: Header=BB1355_187 Depth=2
	s_or_b64 exec, exec, s[20:21]
	v_cmp_gt_u32_e32 vcc, s22, v22
	s_and_saveexec_b64 s[20:21], vcc
	s_cbranch_execz .LBB1355_223
.LBB1355_196:                           ;   in Loop: Header=BB1355_187 Depth=2
	v_lshlrev_b32_e32 v0, 2, v22
	global_load_dword v6, v0, s[18:19]
	s_or_b64 exec, exec, s[20:21]
	v_cmp_gt_u32_e32 vcc, s22, v24
	s_and_saveexec_b64 s[20:21], vcc
	s_cbranch_execnz .LBB1355_224
.LBB1355_197:                           ;   in Loop: Header=BB1355_187 Depth=2
	s_or_b64 exec, exec, s[20:21]
	v_cmp_gt_u32_e32 vcc, s22, v26
	s_and_saveexec_b64 s[20:21], vcc
	s_cbranch_execz .LBB1355_199
.LBB1355_198:                           ;   in Loop: Header=BB1355_187 Depth=2
	v_lshlrev_b32_e32 v0, 2, v26
	global_load_dword v8, v0, s[18:19]
.LBB1355_199:                           ;   in Loop: Header=BB1355_187 Depth=2
	s_or_b64 exec, exec, s[20:21]
	v_cmp_gt_u32_e32 vcc, s22, v28
                                        ; implicit-def: $sgpr24
                                        ; implicit-def: $vgpr30_vgpr31
	s_and_saveexec_b64 s[20:21], vcc
	s_cbranch_execz .LBB1355_201
; %bb.200:                              ;   in Loop: Header=BB1355_187 Depth=2
	v_lshlrev_b32_e32 v0, 2, v28
	s_waitcnt vmcnt(6)
	v_mov_b32_e32 v10, s19
	v_add_co_u32_e32 v30, vcc, s18, v0
	s_sub_i32 s24, s84, s80
	v_addc_co_u32_e32 v31, vcc, 0, v10, vcc
	s_or_b64 s[16:17], s[16:17], exec
.LBB1355_201:                           ;   in Loop: Header=BB1355_187 Depth=2
	s_or_b64 exec, exec, s[20:21]
	s_waitcnt vmcnt(0)
	v_pk_mov_b32 v[16:17], v[8:9], v[8:9] op_sel:[0,1]
	v_pk_mov_b32 v[14:15], v[6:7], v[6:7] op_sel:[0,1]
	;; [unrolled: 1-line block ×4, first 2 shown]
	v_mov_b32_e32 v0, s22
	s_and_saveexec_b64 s[18:19], s[16:17]
	s_cbranch_execz .LBB1355_203
.LBB1355_202:                           ;   in Loop: Header=BB1355_187 Depth=2
	global_load_dword v17, v[30:31], off
	s_waitcnt vmcnt(0)
	v_pk_mov_b32 v[2:3], v[10:11], v[10:11] op_sel:[0,1]
	v_mov_b32_e32 v0, s24
	v_pk_mov_b32 v[4:5], v[12:13], v[12:13] op_sel:[0,1]
	v_pk_mov_b32 v[6:7], v[14:15], v[14:15] op_sel:[0,1]
	v_pk_mov_b32 v[8:9], v[16:17], v[16:17] op_sel:[0,1]
.LBB1355_203:                           ;   in Loop: Header=BB1355_187 Depth=2
	s_or_b64 exec, exec, s[18:19]
	v_cmp_lt_u32_e32 vcc, v18, v0
	s_and_saveexec_b64 s[16:17], vcc
	s_cbranch_execz .LBB1355_211
; %bb.204:                              ;   in Loop: Header=BB1355_187 Depth=2
	v_cmp_gt_i32_e32 vcc, 0, v2
	s_waitcnt vmcnt(6)
	v_cndmask_b32_e64 v10, v73, 0, vcc
	v_xor_b32_e32 v10, v10, v2
	v_cmp_ne_u32_e32 vcc, s76, v10
	v_cndmask_b32_e32 v10, v73, v10, vcc
	v_lshrrev_b32_e32 v10, s85, v10
	v_and_b32_e32 v10, s86, v10
	s_waitcnt vmcnt(5)
	v_lshlrev_b32_e32 v11, 2, v29
	v_lshl_or_b32 v10, v10, 4, v11
	ds_add_u32 v10, v71
	s_or_b64 exec, exec, s[16:17]
	v_cmp_lt_u32_e32 vcc, v23, v0
	s_and_saveexec_b64 s[16:17], vcc
	s_cbranch_execnz .LBB1355_212
.LBB1355_205:                           ;   in Loop: Header=BB1355_187 Depth=2
	s_or_b64 exec, exec, s[16:17]
	v_cmp_lt_u32_e32 vcc, v25, v0
	s_and_saveexec_b64 s[16:17], vcc
	s_cbranch_execz .LBB1355_213
.LBB1355_206:                           ;   in Loop: Header=BB1355_187 Depth=2
	v_cmp_gt_i32_e32 vcc, 0, v4
	s_waitcnt vmcnt(6)
	v_cndmask_b32_e64 v10, v73, 0, vcc
	v_xor_b32_e32 v10, v10, v4
	v_cmp_ne_u32_e32 vcc, s76, v10
	v_cndmask_b32_e32 v10, v73, v10, vcc
	v_lshrrev_b32_e32 v10, s85, v10
	v_and_b32_e32 v10, s86, v10
	s_waitcnt vmcnt(5)
	v_lshlrev_b32_e32 v11, 2, v29
	v_lshl_or_b32 v10, v10, 4, v11
	ds_add_u32 v10, v71
	s_or_b64 exec, exec, s[16:17]
	v_cmp_lt_u32_e32 vcc, v27, v0
	s_and_saveexec_b64 s[16:17], vcc
	s_cbranch_execnz .LBB1355_214
.LBB1355_207:                           ;   in Loop: Header=BB1355_187 Depth=2
	s_or_b64 exec, exec, s[16:17]
	v_cmp_lt_u32_e32 vcc, v22, v0
	s_and_saveexec_b64 s[16:17], vcc
	s_cbranch_execz .LBB1355_215
.LBB1355_208:                           ;   in Loop: Header=BB1355_187 Depth=2
	v_cmp_gt_i32_e32 vcc, 0, v6
	s_waitcnt vmcnt(6)
	v_cndmask_b32_e64 v10, v73, 0, vcc
	v_xor_b32_e32 v10, v10, v6
	v_cmp_ne_u32_e32 vcc, s76, v10
	v_cndmask_b32_e32 v10, v73, v10, vcc
	v_lshrrev_b32_e32 v10, s85, v10
	v_and_b32_e32 v10, s86, v10
	s_waitcnt vmcnt(5)
	v_lshlrev_b32_e32 v11, 2, v29
	v_lshl_or_b32 v10, v10, 4, v11
	ds_add_u32 v10, v71
	s_or_b64 exec, exec, s[16:17]
	v_cmp_lt_u32_e32 vcc, v24, v0
	s_and_saveexec_b64 s[16:17], vcc
	s_cbranch_execnz .LBB1355_216
.LBB1355_209:                           ;   in Loop: Header=BB1355_187 Depth=2
	s_or_b64 exec, exec, s[16:17]
	v_cmp_lt_u32_e32 vcc, v26, v0
	s_and_saveexec_b64 s[16:17], vcc
	s_cbranch_execz .LBB1355_217
.LBB1355_210:                           ;   in Loop: Header=BB1355_187 Depth=2
	v_cmp_gt_i32_e32 vcc, 0, v8
	s_waitcnt vmcnt(6)
	v_cndmask_b32_e64 v10, v73, 0, vcc
	v_xor_b32_e32 v10, v10, v8
	v_cmp_ne_u32_e32 vcc, s76, v10
	v_cndmask_b32_e32 v10, v73, v10, vcc
	v_lshrrev_b32_e32 v10, s85, v10
	v_and_b32_e32 v10, s86, v10
	s_waitcnt vmcnt(5)
	v_lshlrev_b32_e32 v11, 2, v29
	v_lshl_or_b32 v10, v10, 4, v11
	ds_add_u32 v10, v71
	s_or_b64 exec, exec, s[16:17]
	v_cmp_lt_u32_e32 vcc, v28, v0
	s_and_saveexec_b64 s[16:17], vcc
	s_cbranch_execz .LBB1355_186
	s_branch .LBB1355_218
.LBB1355_211:                           ;   in Loop: Header=BB1355_187 Depth=2
	s_or_b64 exec, exec, s[16:17]
	v_cmp_lt_u32_e32 vcc, v23, v0
	s_and_saveexec_b64 s[16:17], vcc
	s_cbranch_execz .LBB1355_205
.LBB1355_212:                           ;   in Loop: Header=BB1355_187 Depth=2
	v_cmp_gt_i32_e32 vcc, 0, v3
	s_waitcnt vmcnt(6)
	v_cndmask_b32_e64 v10, v73, 0, vcc
	v_xor_b32_e32 v10, v10, v3
	v_cmp_ne_u32_e32 vcc, s76, v10
	v_cndmask_b32_e32 v10, v73, v10, vcc
	v_lshrrev_b32_e32 v10, s85, v10
	v_and_b32_e32 v10, s86, v10
	s_waitcnt vmcnt(5)
	v_lshlrev_b32_e32 v11, 2, v29
	v_lshl_or_b32 v10, v10, 4, v11
	ds_add_u32 v10, v71
	s_or_b64 exec, exec, s[16:17]
	v_cmp_lt_u32_e32 vcc, v25, v0
	s_and_saveexec_b64 s[16:17], vcc
	s_cbranch_execnz .LBB1355_206
.LBB1355_213:                           ;   in Loop: Header=BB1355_187 Depth=2
	s_or_b64 exec, exec, s[16:17]
	v_cmp_lt_u32_e32 vcc, v27, v0
	s_and_saveexec_b64 s[16:17], vcc
	s_cbranch_execz .LBB1355_207
.LBB1355_214:                           ;   in Loop: Header=BB1355_187 Depth=2
	v_cmp_gt_i32_e32 vcc, 0, v5
	s_waitcnt vmcnt(6)
	v_cndmask_b32_e64 v10, v73, 0, vcc
	v_xor_b32_e32 v10, v10, v5
	v_cmp_ne_u32_e32 vcc, s76, v10
	v_cndmask_b32_e32 v10, v73, v10, vcc
	v_lshrrev_b32_e32 v10, s85, v10
	v_and_b32_e32 v10, s86, v10
	s_waitcnt vmcnt(5)
	v_lshlrev_b32_e32 v11, 2, v29
	v_lshl_or_b32 v10, v10, 4, v11
	ds_add_u32 v10, v71
	s_or_b64 exec, exec, s[16:17]
	v_cmp_lt_u32_e32 vcc, v22, v0
	s_and_saveexec_b64 s[16:17], vcc
	s_cbranch_execnz .LBB1355_208
.LBB1355_215:                           ;   in Loop: Header=BB1355_187 Depth=2
	s_or_b64 exec, exec, s[16:17]
	v_cmp_lt_u32_e32 vcc, v24, v0
	s_and_saveexec_b64 s[16:17], vcc
	s_cbranch_execz .LBB1355_209
.LBB1355_216:                           ;   in Loop: Header=BB1355_187 Depth=2
	v_cmp_gt_i32_e32 vcc, 0, v7
	s_waitcnt vmcnt(6)
	v_cndmask_b32_e64 v10, v73, 0, vcc
	v_xor_b32_e32 v10, v10, v7
	v_cmp_ne_u32_e32 vcc, s76, v10
	v_cndmask_b32_e32 v10, v73, v10, vcc
	v_lshrrev_b32_e32 v10, s85, v10
	v_and_b32_e32 v10, s86, v10
	s_waitcnt vmcnt(5)
	v_lshlrev_b32_e32 v11, 2, v29
	v_lshl_or_b32 v10, v10, 4, v11
	ds_add_u32 v10, v71
	s_or_b64 exec, exec, s[16:17]
	v_cmp_lt_u32_e32 vcc, v26, v0
	s_and_saveexec_b64 s[16:17], vcc
	s_cbranch_execnz .LBB1355_210
.LBB1355_217:                           ;   in Loop: Header=BB1355_187 Depth=2
	s_or_b64 exec, exec, s[16:17]
	v_cmp_lt_u32_e32 vcc, v28, v0
	s_and_saveexec_b64 s[16:17], vcc
	s_cbranch_execz .LBB1355_186
.LBB1355_218:                           ;   in Loop: Header=BB1355_187 Depth=2
	v_cmp_gt_i32_e32 vcc, 0, v9
	v_cndmask_b32_e64 v0, v73, 0, vcc
	v_xor_b32_e32 v0, v0, v9
	v_cmp_ne_u32_e32 vcc, s76, v0
	v_cndmask_b32_e32 v0, v73, v0, vcc
	v_lshrrev_b32_e32 v0, s85, v0
	v_and_b32_e32 v0, s86, v0
	s_waitcnt vmcnt(6)
	v_lshlrev_b32_e32 v10, 2, v29
	v_lshl_or_b32 v0, v0, 4, v10
	ds_add_u32 v0, v71
	s_branch .LBB1355_186
.LBB1355_219:                           ;   in Loop: Header=BB1355_187 Depth=2
	s_or_b64 exec, exec, s[20:21]
	v_cmp_gt_u32_e32 vcc, s22, v23
	s_and_saveexec_b64 s[20:21], vcc
	s_cbranch_execz .LBB1355_193
.LBB1355_220:                           ;   in Loop: Header=BB1355_187 Depth=2
	global_load_dword v3, v72, s[18:19] offset:1024
	s_or_b64 exec, exec, s[20:21]
	v_cmp_gt_u32_e32 vcc, s22, v25
	s_and_saveexec_b64 s[20:21], vcc
	s_cbranch_execnz .LBB1355_194
.LBB1355_221:                           ;   in Loop: Header=BB1355_187 Depth=2
	s_or_b64 exec, exec, s[20:21]
	v_cmp_gt_u32_e32 vcc, s22, v27
	s_and_saveexec_b64 s[20:21], vcc
	s_cbranch_execz .LBB1355_195
.LBB1355_222:                           ;   in Loop: Header=BB1355_187 Depth=2
	global_load_dword v5, v72, s[18:19] offset:3072
	s_or_b64 exec, exec, s[20:21]
	v_cmp_gt_u32_e32 vcc, s22, v22
	s_and_saveexec_b64 s[20:21], vcc
	s_cbranch_execnz .LBB1355_196
.LBB1355_223:                           ;   in Loop: Header=BB1355_187 Depth=2
	s_or_b64 exec, exec, s[20:21]
	v_cmp_gt_u32_e32 vcc, s22, v24
	s_and_saveexec_b64 s[20:21], vcc
	s_cbranch_execz .LBB1355_197
.LBB1355_224:                           ;   in Loop: Header=BB1355_187 Depth=2
	v_lshlrev_b32_e32 v0, 2, v24
	global_load_dword v7, v0, s[18:19]
	s_or_b64 exec, exec, s[20:21]
	v_cmp_gt_u32_e32 vcc, s22, v26
	s_and_saveexec_b64 s[20:21], vcc
	s_cbranch_execz .LBB1355_199
	s_branch .LBB1355_198
.LBB1355_225:                           ;   in Loop: Header=BB1355_17 Depth=1
	v_mov_b32_e32 v0, 0
	s_waitcnt lgkmcnt(0)
	s_barrier
	s_and_saveexec_b64 s[16:17], s[4:5]
	s_cbranch_execz .LBB1355_227
; %bb.226:                              ;   in Loop: Header=BB1355_17 Depth=1
	ds_read2_b64 v[2:5], v42 offset1:1
	s_waitcnt lgkmcnt(0)
	v_add_u32_e32 v0, v3, v2
	v_add3_u32 v0, v0, v4, v5
.LBB1355_227:                           ;   in Loop: Header=BB1355_17 Depth=1
	s_or_b64 exec, exec, s[16:17]
	v_and_b32_e32 v2, 15, v74
	v_mov_b32_dpp v3, v0 row_shr:1 row_mask:0xf bank_mask:0xf
	v_cmp_eq_u32_e64 s[16:17], 0, v2
	v_cndmask_b32_e64 v3, v3, 0, s[16:17]
	v_add_u32_e32 v0, v3, v0
	v_cmp_lt_u32_e64 s[18:19], 1, v2
	v_cmp_lt_u32_e64 s[20:21], 3, v2
	v_mov_b32_dpp v3, v0 row_shr:2 row_mask:0xf bank_mask:0xf
	v_cndmask_b32_e64 v3, 0, v3, s[18:19]
	v_add_u32_e32 v0, v0, v3
	v_cmp_lt_u32_e64 s[22:23], 7, v2
	v_cmp_lt_u32_e64 s[26:27], 31, v74
	v_mov_b32_dpp v3, v0 row_shr:4 row_mask:0xf bank_mask:0xf
	v_cndmask_b32_e64 v3, 0, v3, s[20:21]
	v_add_u32_e32 v0, v0, v3
	v_and_b32_e32 v4, 16, v74
	v_cmp_eq_u32_e64 s[24:25], 0, v4
	v_mov_b32_dpp v3, v0 row_shr:8 row_mask:0xf bank_mask:0xf
	v_cndmask_b32_e64 v2, 0, v3, s[22:23]
	v_add_u32_e32 v0, v0, v2
	v_bfe_i32 v3, v74, 4, 1
	s_nop 0
	v_mov_b32_dpp v2, v0 row_bcast:15 row_mask:0xf bank_mask:0xf
	v_and_b32_e32 v2, v3, v2
	v_add_u32_e32 v0, v0, v2
	s_nop 1
	v_mov_b32_dpp v2, v0 row_bcast:31 row_mask:0xf bank_mask:0xf
	v_cndmask_b32_e64 v2, 0, v2, s[26:27]
	v_add_u32_e32 v2, v0, v2
	s_and_saveexec_b64 s[28:29], s[6:7]
	s_cbranch_execz .LBB1355_229
; %bb.228:                              ;   in Loop: Header=BB1355_17 Depth=1
	ds_write_b32 v44, v2
.LBB1355_229:                           ;   in Loop: Header=BB1355_17 Depth=1
	s_or_b64 exec, exec, s[28:29]
	v_and_b32_e32 v0, 3, v74
	s_waitcnt lgkmcnt(0)
	s_barrier
	s_and_saveexec_b64 s[28:29], s[8:9]
	s_cbranch_execz .LBB1355_231
; %bb.230:                              ;   in Loop: Header=BB1355_17 Depth=1
	ds_read_b32 v3, v45
	v_cmp_ne_u32_e32 vcc, 0, v0
	s_waitcnt lgkmcnt(0)
	v_mov_b32_dpp v4, v3 row_shr:1 row_mask:0xf bank_mask:0xf
	v_cndmask_b32_e32 v4, 0, v4, vcc
	v_add_u32_e32 v3, v4, v3
	v_cmp_lt_u32_e32 vcc, 1, v0
	s_nop 0
	v_mov_b32_dpp v4, v3 row_shr:2 row_mask:0xf bank_mask:0xf
	v_cndmask_b32_e32 v4, 0, v4, vcc
	v_add_u32_e32 v3, v3, v4
	ds_write_b32 v45, v3
.LBB1355_231:                           ;   in Loop: Header=BB1355_17 Depth=1
	s_or_b64 exec, exec, s[28:29]
	v_mov_b32_e32 v3, 0
	s_waitcnt lgkmcnt(0)
	s_barrier
	s_and_saveexec_b64 s[28:29], s[10:11]
	s_cbranch_execz .LBB1355_233
; %bb.232:                              ;   in Loop: Header=BB1355_17 Depth=1
	ds_read_b32 v3, v46
.LBB1355_233:                           ;   in Loop: Header=BB1355_17 Depth=1
	s_or_b64 exec, exec, s[28:29]
	v_add_u32_e32 v4, -1, v74
	v_and_b32_e32 v5, 64, v74
	v_cmp_lt_i32_e32 vcc, v4, v5
	v_cndmask_b32_e32 v4, v4, v74, vcc
	s_waitcnt lgkmcnt(0)
	v_add_u32_e32 v2, v3, v2
	v_lshlrev_b32_e32 v75, 2, v4
	ds_bpermute_b32 v2, v75, v2
	v_cmp_eq_u32_e64 s[28:29], 0, v74
	s_waitcnt lgkmcnt(0)
	s_barrier
	s_and_saveexec_b64 s[30:31], s[4:5]
	s_cbranch_execz .LBB1355_235
; %bb.234:                              ;   in Loop: Header=BB1355_17 Depth=1
	v_cndmask_b32_e64 v2, v2, v3, s[28:29]
	v_add_u32_e32 v2, s51, v2
	ds_write_b32 v19, v2
.LBB1355_235:                           ;   in Loop: Header=BB1355_17 Depth=1
	s_or_b64 exec, exec, s[30:31]
	s_load_dwordx2 s[30:31], s[82:83], 0x0
	s_mov_b32 s87, s79
	s_mov_b32 s80, s51
                                        ; implicit-def: $vgpr10_vgpr11
                                        ; implicit-def: $vgpr12_vgpr13
                                        ; implicit-def: $vgpr14_vgpr15
                                        ; implicit-def: $vgpr16_vgpr17
                                        ; implicit-def: $vgpr30_vgpr31
                                        ; implicit-def: $vgpr32_vgpr33
                                        ; implicit-def: $vgpr34_vgpr35
                                        ; implicit-def: $vgpr36_vgpr37
                                        ; implicit-def: $vgpr76
                                        ; implicit-def: $vgpr77
                                        ; implicit-def: $vgpr78
                                        ; implicit-def: $vgpr79
                                        ; implicit-def: $vgpr81
                                        ; implicit-def: $vgpr82
                                        ; implicit-def: $vgpr84
                                        ; implicit-def: $vgpr86
	s_waitcnt lgkmcnt(0)
	s_cmp_lt_u32 s50, s30
	s_cselect_b32 s34, 12, 18
	s_cmp_lt_u32 s33, s31
	s_cselect_b32 s30, 14, 20
	s_add_u32 s30, s82, s30
	s_addc_u32 s31, s83, 0
	s_add_u32 s34, s82, s34
	global_load_ushort v2, v20, s[30:31]
	s_addc_u32 s35, s83, 0
	global_load_ushort v3, v20, s[34:35]
	v_cmp_eq_u32_e64 s[30:31], 0, v0
	v_cmp_lt_u32_e64 s[34:35], 1, v0
	v_and_b32_e32 v0, 63, v74
	v_lshlrev_b32_e32 v4, 3, v0
	v_add_co_u32_e32 v83, vcc, v61, v4
	v_or_b32_e32 v80, v0, v47
	v_lshlrev_b32_e32 v0, 2, v0
	v_addc_co_u32_e32 v85, vcc, 0, v62, vcc
	v_add_co_u32_e32 v94, vcc, v63, v0
	v_addc_co_u32_e32 v95, vcc, 0, v64, vcc
	v_add_co_u32_e32 v96, vcc, 0x700, v94
	v_or_b32_e32 v87, 64, v80
	v_or_b32_e32 v88, 0x80, v80
	;; [unrolled: 1-line block ×7, first 2 shown]
	v_addc_co_u32_e32 v97, vcc, 0, v95, vcc
	s_waitcnt vmcnt(1)
	v_mad_u32_u24 v0, v48, v2, v49
	s_waitcnt vmcnt(0)
	v_mad_u64_u32 v[2:3], s[36:37], v0, v3, v[18:19]
	v_lshrrev_b32_e32 v98, 6, v2
	s_branch .LBB1355_237
.LBB1355_236:                           ;   in Loop: Header=BB1355_237 Depth=2
	s_or_b64 exec, exec, s[36:37]
	s_addk_i32 s87, 0xf800
	s_cmp_lt_u32 s88, s84
	s_mov_b32 s80, s88
	s_cbranch_scc0 .LBB1355_349
.LBB1355_237:                           ;   Parent Loop BB1355_17 Depth=1
                                        ; =>  This Inner Loop Header: Depth=2
	s_add_i32 s88, s80, 0x800
	s_cmp_gt_u32 s88, s84
	s_cbranch_scc1 .LBB1355_239
; %bb.238:                              ;   in Loop: Header=BB1355_237 Depth=2
	s_lshl_b64 s[36:37], s[80:81], 2
	v_mov_b32_e32 v0, s37
	v_add_co_u32_e32 v8, vcc, s36, v94
	v_addc_co_u32_e32 v9, vcc, v95, v0, vcc
	global_load_dword v2, v[8:9], off
	global_load_dword v3, v[8:9], off offset:256
	global_load_dword v4, v[8:9], off offset:512
	;; [unrolled: 1-line block ×5, first 2 shown]
	s_nop 0
	global_load_dword v8, v[8:9], off offset:1536
	s_mov_b64 s[36:37], -1
	s_movk_i32 s40, 0x800
	s_cbranch_execz .LBB1355_240
	s_branch .LBB1355_249
.LBB1355_239:                           ;   in Loop: Header=BB1355_237 Depth=2
	s_mov_b64 s[36:37], 0
                                        ; implicit-def: $sgpr40
                                        ; implicit-def: $vgpr2_vgpr3_vgpr4_vgpr5_vgpr6_vgpr7_vgpr8_vgpr9
.LBB1355_240:                           ;   in Loop: Header=BB1355_237 Depth=2
	s_lshl_b64 s[36:37], s[80:81], 2
	v_mov_b32_e32 v0, s37
	v_add_co_u32_e32 v38, vcc, s36, v94
	s_mov_b32 s65, s64
	v_addc_co_u32_e32 v39, vcc, v95, v0, vcc
	s_mov_b32 s66, s64
	s_mov_b32 s67, s64
	;; [unrolled: 1-line block ×6, first 2 shown]
	s_waitcnt vmcnt(0)
	v_pk_mov_b32 v[2:3], s[64:65], s[64:65] op_sel:[0,1]
	v_cmp_gt_u32_e32 vcc, s87, v80
	v_pk_mov_b32 v[4:5], s[66:67], s[66:67] op_sel:[0,1]
	v_pk_mov_b32 v[6:7], s[68:69], s[68:69] op_sel:[0,1]
	;; [unrolled: 1-line block ×3, first 2 shown]
	s_and_saveexec_b64 s[36:37], vcc
	s_cbranch_execz .LBB1355_343
; %bb.241:                              ;   in Loop: Header=BB1355_237 Depth=2
	global_load_dword v0, v[38:39], off
	v_mov_b32_e32 v2, v1
	v_mov_b32_e32 v3, v1
	;; [unrolled: 1-line block ×6, first 2 shown]
	s_waitcnt vmcnt(0)
	v_pk_mov_b32 v[8:9], v[6:7], v[6:7] op_sel:[0,1]
	v_pk_mov_b32 v[6:7], v[4:5], v[4:5] op_sel:[0,1]
	;; [unrolled: 1-line block ×4, first 2 shown]
	s_or_b64 exec, exec, s[36:37]
	v_cmp_gt_u32_e32 vcc, s87, v87
	s_and_saveexec_b64 s[36:37], vcc
	s_cbranch_execnz .LBB1355_344
.LBB1355_242:                           ;   in Loop: Header=BB1355_237 Depth=2
	s_or_b64 exec, exec, s[36:37]
	v_cmp_gt_u32_e32 vcc, s87, v88
	s_and_saveexec_b64 s[36:37], vcc
	s_cbranch_execz .LBB1355_345
.LBB1355_243:                           ;   in Loop: Header=BB1355_237 Depth=2
	global_load_dword v4, v[38:39], off offset:512
	s_or_b64 exec, exec, s[36:37]
	v_cmp_gt_u32_e32 vcc, s87, v89
	s_and_saveexec_b64 s[36:37], vcc
	s_cbranch_execnz .LBB1355_346
.LBB1355_244:                           ;   in Loop: Header=BB1355_237 Depth=2
	s_or_b64 exec, exec, s[36:37]
	v_cmp_gt_u32_e32 vcc, s87, v90
	s_and_saveexec_b64 s[36:37], vcc
	s_cbranch_execz .LBB1355_347
.LBB1355_245:                           ;   in Loop: Header=BB1355_237 Depth=2
	global_load_dword v6, v[38:39], off offset:1024
	s_or_b64 exec, exec, s[36:37]
	v_cmp_gt_u32_e32 vcc, s87, v91
	s_and_saveexec_b64 s[36:37], vcc
	s_cbranch_execnz .LBB1355_348
.LBB1355_246:                           ;   in Loop: Header=BB1355_237 Depth=2
	s_or_b64 exec, exec, s[36:37]
	v_cmp_gt_u32_e32 vcc, s87, v92
	s_and_saveexec_b64 s[36:37], vcc
	s_cbranch_execz .LBB1355_248
.LBB1355_247:                           ;   in Loop: Header=BB1355_237 Depth=2
	global_load_dword v8, v[38:39], off offset:1536
.LBB1355_248:                           ;   in Loop: Header=BB1355_237 Depth=2
	s_or_b64 exec, exec, s[36:37]
	s_sub_i32 s40, s84, s80
	v_cmp_gt_u32_e64 s[36:37], s87, v93
.LBB1355_249:                           ;   in Loop: Header=BB1355_237 Depth=2
	v_mov_b32_e32 v0, s87
	s_and_saveexec_b64 s[38:39], s[36:37]
	s_cbranch_execz .LBB1355_251
; %bb.250:                              ;   in Loop: Header=BB1355_237 Depth=2
	s_lshl_b64 s[36:37], s[80:81], 2
	v_mov_b32_e32 v0, s37
	v_add_co_u32_e32 v38, vcc, s36, v96
	v_addc_co_u32_e32 v39, vcc, v97, v0, vcc
	global_load_dword v9, v[38:39], off
	v_mov_b32_e32 v0, s40
.LBB1355_251:                           ;   in Loop: Header=BB1355_237 Depth=2
	s_or_b64 exec, exec, s[38:39]
	s_waitcnt vmcnt(6)
	v_cmp_gt_i32_e32 vcc, 0, v2
	v_cndmask_b32_e64 v21, v73, 0, vcc
	v_xor_b32_e32 v99, v21, v2
	v_add_u32_e32 v2, 0x410, v50
	v_cmp_ne_u32_e32 vcc, s76, v99
	ds_write2_b32 v2, v20, v20 offset1:1
	ds_write2_b32 v52, v20, v20 offset0:2 offset1:3
	ds_write_b32 v52, v20 offset:16
	v_cndmask_b32_e32 v2, v73, v99, vcc
	v_lshrrev_b32_e32 v2, s85, v2
	v_and_b32_e32 v2, s86, v2
	v_mad_u32_u24 v21, v2, 5, v98
	v_lshl_add_u32 v100, v21, 2, v51
	v_and_b32_e32 v21, 1, v2
	v_add_co_u32_e32 v38, vcc, -1, v21
	v_addc_co_u32_e64 v39, s[36:37], 0, -1, vcc
	v_cmp_ne_u32_e32 vcc, 0, v21
	v_xor_b32_e32 v21, vcc_hi, v39
	v_and_b32_e32 v39, exec_hi, v21
	v_lshlrev_b32_e32 v21, 30, v2
	v_xor_b32_e32 v38, vcc_lo, v38
	v_cmp_gt_i64_e32 vcc, 0, v[20:21]
	v_not_b32_e32 v21, v21
	v_ashrrev_i32_e32 v21, 31, v21
	v_and_b32_e32 v38, exec_lo, v38
	v_xor_b32_e32 v101, vcc_hi, v21
	v_xor_b32_e32 v21, vcc_lo, v21
	v_and_b32_e32 v38, v38, v21
	v_lshlrev_b32_e32 v21, 29, v2
	v_cmp_gt_i64_e32 vcc, 0, v[20:21]
	v_not_b32_e32 v21, v21
	v_ashrrev_i32_e32 v21, 31, v21
	v_and_b32_e32 v39, v39, v101
	v_xor_b32_e32 v101, vcc_hi, v21
	v_xor_b32_e32 v21, vcc_lo, v21
	v_and_b32_e32 v38, v38, v21
	v_lshlrev_b32_e32 v21, 28, v2
	v_cmp_gt_i64_e32 vcc, 0, v[20:21]
	v_not_b32_e32 v21, v21
	v_ashrrev_i32_e32 v21, 31, v21
	v_and_b32_e32 v39, v39, v101
	v_xor_b32_e32 v101, vcc_hi, v21
	v_xor_b32_e32 v21, vcc_lo, v21
	v_and_b32_e32 v38, v38, v21
	v_lshlrev_b32_e32 v21, 27, v2
	v_cmp_gt_i64_e32 vcc, 0, v[20:21]
	v_not_b32_e32 v21, v21
	v_ashrrev_i32_e32 v21, 31, v21
	v_and_b32_e32 v39, v39, v101
	v_xor_b32_e32 v101, vcc_hi, v21
	v_xor_b32_e32 v21, vcc_lo, v21
	v_and_b32_e32 v38, v38, v21
	v_lshlrev_b32_e32 v21, 26, v2
	v_cmp_gt_i64_e32 vcc, 0, v[20:21]
	v_not_b32_e32 v21, v21
	v_ashrrev_i32_e32 v21, 31, v21
	v_and_b32_e32 v39, v39, v101
	v_xor_b32_e32 v101, vcc_hi, v21
	v_xor_b32_e32 v21, vcc_lo, v21
	v_and_b32_e32 v38, v38, v21
	v_lshlrev_b32_e32 v21, 25, v2
	v_cmp_gt_i64_e32 vcc, 0, v[20:21]
	v_not_b32_e32 v21, v21
	v_ashrrev_i32_e32 v21, 31, v21
	v_and_b32_e32 v39, v39, v101
	v_xor_b32_e32 v101, vcc_hi, v21
	v_xor_b32_e32 v21, vcc_lo, v21
	v_and_b32_e32 v38, v38, v21
	v_lshlrev_b32_e32 v21, 24, v2
	v_not_b32_e32 v2, v21
	v_cmp_gt_i64_e32 vcc, 0, v[20:21]
	v_ashrrev_i32_e32 v2, 31, v2
	v_xor_b32_e32 v21, vcc_hi, v2
	v_xor_b32_e32 v2, vcc_lo, v2
	v_and_b32_e32 v39, v39, v101
	v_and_b32_e32 v38, v38, v2
	;; [unrolled: 1-line block ×3, first 2 shown]
	v_mbcnt_lo_u32_b32 v2, v38, 0
	v_mbcnt_hi_u32_b32 v101, v39, v2
	v_cmp_eq_u32_e32 vcc, 0, v101
	v_cmp_ne_u64_e64 s[36:37], 0, v[38:39]
	s_and_b64 s[38:39], s[36:37], vcc
	s_waitcnt lgkmcnt(0)
	s_barrier
	s_waitcnt lgkmcnt(0)
	; wave barrier
	s_and_saveexec_b64 s[36:37], s[38:39]
	s_cbranch_execz .LBB1355_253
; %bb.252:                              ;   in Loop: Header=BB1355_237 Depth=2
	v_bcnt_u32_b32 v2, v38, 0
	v_bcnt_u32_b32 v2, v39, v2
	ds_write_b32 v100, v2
.LBB1355_253:                           ;   in Loop: Header=BB1355_237 Depth=2
	s_or_b64 exec, exec, s[36:37]
	s_waitcnt vmcnt(0)
	v_cmp_gt_i32_e32 vcc, 0, v3
	v_cndmask_b32_e64 v2, v73, 0, vcc
	v_xor_b32_e32 v38, v2, v3
	v_cmp_ne_u32_e32 vcc, s76, v38
	v_cndmask_b32_e32 v2, v73, v38, vcc
	v_lshrrev_b32_e32 v2, s85, v2
	v_and_b32_e32 v2, s86, v2
	v_mul_u32_u24_e32 v3, 5, v2
	v_add_lshl_u32 v3, v3, v98, 2
	; wave barrier
	v_add_u32_e32 v102, 0x410, v3
	ds_read_b32 v39, v3 offset:1040
	v_and_b32_e32 v3, 1, v2
	v_add_co_u32_e32 v21, vcc, -1, v3
	v_addc_co_u32_e64 v103, s[36:37], 0, -1, vcc
	v_cmp_ne_u32_e32 vcc, 0, v3
	v_xor_b32_e32 v21, vcc_lo, v21
	v_xor_b32_e32 v3, vcc_hi, v103
	v_and_b32_e32 v103, exec_lo, v21
	v_lshlrev_b32_e32 v21, 30, v2
	v_cmp_gt_i64_e32 vcc, 0, v[20:21]
	v_not_b32_e32 v21, v21
	v_ashrrev_i32_e32 v21, 31, v21
	v_xor_b32_e32 v104, vcc_hi, v21
	v_xor_b32_e32 v21, vcc_lo, v21
	v_and_b32_e32 v103, v103, v21
	v_lshlrev_b32_e32 v21, 29, v2
	v_cmp_gt_i64_e32 vcc, 0, v[20:21]
	v_not_b32_e32 v21, v21
	v_and_b32_e32 v3, exec_hi, v3
	v_ashrrev_i32_e32 v21, 31, v21
	v_and_b32_e32 v3, v3, v104
	v_xor_b32_e32 v104, vcc_hi, v21
	v_xor_b32_e32 v21, vcc_lo, v21
	v_and_b32_e32 v103, v103, v21
	v_lshlrev_b32_e32 v21, 28, v2
	v_cmp_gt_i64_e32 vcc, 0, v[20:21]
	v_not_b32_e32 v21, v21
	v_ashrrev_i32_e32 v21, 31, v21
	v_and_b32_e32 v3, v3, v104
	v_xor_b32_e32 v104, vcc_hi, v21
	v_xor_b32_e32 v21, vcc_lo, v21
	v_and_b32_e32 v103, v103, v21
	v_lshlrev_b32_e32 v21, 27, v2
	v_cmp_gt_i64_e32 vcc, 0, v[20:21]
	v_not_b32_e32 v21, v21
	;; [unrolled: 8-line block ×4, first 2 shown]
	v_ashrrev_i32_e32 v21, 31, v21
	v_and_b32_e32 v3, v3, v104
	v_xor_b32_e32 v104, vcc_hi, v21
	v_xor_b32_e32 v21, vcc_lo, v21
	v_and_b32_e32 v103, v103, v21
	v_lshlrev_b32_e32 v21, 24, v2
	v_not_b32_e32 v2, v21
	v_cmp_gt_i64_e32 vcc, 0, v[20:21]
	v_ashrrev_i32_e32 v2, 31, v2
	v_xor_b32_e32 v21, vcc_hi, v2
	v_xor_b32_e32 v2, vcc_lo, v2
	v_and_b32_e32 v3, v3, v104
	v_and_b32_e32 v2, v103, v2
	;; [unrolled: 1-line block ×3, first 2 shown]
	v_mbcnt_lo_u32_b32 v21, v2, 0
	v_mbcnt_hi_u32_b32 v103, v3, v21
	v_cmp_eq_u32_e32 vcc, 0, v103
	v_cmp_ne_u64_e64 s[36:37], 0, v[2:3]
	s_and_b64 s[38:39], s[36:37], vcc
	; wave barrier
	s_and_saveexec_b64 s[36:37], s[38:39]
	s_cbranch_execz .LBB1355_255
; %bb.254:                              ;   in Loop: Header=BB1355_237 Depth=2
	v_bcnt_u32_b32 v2, v2, 0
	v_bcnt_u32_b32 v2, v3, v2
	s_waitcnt lgkmcnt(0)
	v_add_u32_e32 v2, v39, v2
	ds_write_b32 v102, v2
.LBB1355_255:                           ;   in Loop: Header=BB1355_237 Depth=2
	s_or_b64 exec, exec, s[36:37]
	v_cmp_gt_i32_e32 vcc, 0, v4
	v_cndmask_b32_e64 v2, v73, 0, vcc
	v_xor_b32_e32 v104, v2, v4
	v_cmp_ne_u32_e32 vcc, s76, v104
	v_cndmask_b32_e32 v2, v73, v104, vcc
	v_lshrrev_b32_e32 v2, s85, v2
	v_and_b32_e32 v2, s86, v2
	v_mul_u32_u24_e32 v3, 5, v2
	v_add_lshl_u32 v3, v3, v98, 2
	; wave barrier
	v_add_u32_e32 v106, 0x410, v3
	ds_read_b32 v105, v3 offset:1040
	v_and_b32_e32 v3, 1, v2
	v_add_co_u32_e32 v4, vcc, -1, v3
	v_addc_co_u32_e64 v21, s[36:37], 0, -1, vcc
	v_cmp_ne_u32_e32 vcc, 0, v3
	v_xor_b32_e32 v3, vcc_hi, v21
	v_lshlrev_b32_e32 v21, 30, v2
	v_xor_b32_e32 v4, vcc_lo, v4
	v_cmp_gt_i64_e32 vcc, 0, v[20:21]
	v_not_b32_e32 v21, v21
	v_ashrrev_i32_e32 v21, 31, v21
	v_and_b32_e32 v4, exec_lo, v4
	v_xor_b32_e32 v107, vcc_hi, v21
	v_xor_b32_e32 v21, vcc_lo, v21
	v_and_b32_e32 v4, v4, v21
	v_lshlrev_b32_e32 v21, 29, v2
	v_cmp_gt_i64_e32 vcc, 0, v[20:21]
	v_not_b32_e32 v21, v21
	v_and_b32_e32 v3, exec_hi, v3
	v_ashrrev_i32_e32 v21, 31, v21
	v_and_b32_e32 v3, v3, v107
	v_xor_b32_e32 v107, vcc_hi, v21
	v_xor_b32_e32 v21, vcc_lo, v21
	v_and_b32_e32 v4, v4, v21
	v_lshlrev_b32_e32 v21, 28, v2
	v_cmp_gt_i64_e32 vcc, 0, v[20:21]
	v_not_b32_e32 v21, v21
	v_ashrrev_i32_e32 v21, 31, v21
	v_and_b32_e32 v3, v3, v107
	v_xor_b32_e32 v107, vcc_hi, v21
	v_xor_b32_e32 v21, vcc_lo, v21
	v_and_b32_e32 v4, v4, v21
	v_lshlrev_b32_e32 v21, 27, v2
	v_cmp_gt_i64_e32 vcc, 0, v[20:21]
	v_not_b32_e32 v21, v21
	;; [unrolled: 8-line block ×4, first 2 shown]
	v_ashrrev_i32_e32 v21, 31, v21
	v_and_b32_e32 v3, v3, v107
	v_xor_b32_e32 v107, vcc_hi, v21
	v_xor_b32_e32 v21, vcc_lo, v21
	v_and_b32_e32 v4, v4, v21
	v_lshlrev_b32_e32 v21, 24, v2
	v_not_b32_e32 v2, v21
	v_cmp_gt_i64_e32 vcc, 0, v[20:21]
	v_ashrrev_i32_e32 v2, 31, v2
	v_xor_b32_e32 v21, vcc_hi, v2
	v_xor_b32_e32 v2, vcc_lo, v2
	v_and_b32_e32 v3, v3, v107
	v_and_b32_e32 v2, v4, v2
	;; [unrolled: 1-line block ×3, first 2 shown]
	v_mbcnt_lo_u32_b32 v4, v2, 0
	v_mbcnt_hi_u32_b32 v107, v3, v4
	v_cmp_eq_u32_e32 vcc, 0, v107
	v_cmp_ne_u64_e64 s[36:37], 0, v[2:3]
	s_and_b64 s[38:39], s[36:37], vcc
	; wave barrier
	s_and_saveexec_b64 s[36:37], s[38:39]
	s_cbranch_execz .LBB1355_257
; %bb.256:                              ;   in Loop: Header=BB1355_237 Depth=2
	v_bcnt_u32_b32 v2, v2, 0
	v_bcnt_u32_b32 v2, v3, v2
	s_waitcnt lgkmcnt(0)
	v_add_u32_e32 v2, v105, v2
	ds_write_b32 v106, v2
.LBB1355_257:                           ;   in Loop: Header=BB1355_237 Depth=2
	s_or_b64 exec, exec, s[36:37]
	v_cmp_gt_i32_e32 vcc, 0, v5
	v_cndmask_b32_e64 v2, v73, 0, vcc
	v_xor_b32_e32 v108, v2, v5
	v_cmp_ne_u32_e32 vcc, s76, v108
	v_cndmask_b32_e32 v2, v73, v108, vcc
	v_lshrrev_b32_e32 v2, s85, v2
	v_and_b32_e32 v2, s86, v2
	v_mul_u32_u24_e32 v3, 5, v2
	v_add_lshl_u32 v3, v3, v98, 2
	; wave barrier
	v_add_u32_e32 v110, 0x410, v3
	ds_read_b32 v109, v3 offset:1040
	v_and_b32_e32 v3, 1, v2
	v_add_co_u32_e32 v4, vcc, -1, v3
	v_addc_co_u32_e64 v5, s[36:37], 0, -1, vcc
	v_cmp_ne_u32_e32 vcc, 0, v3
	v_lshlrev_b32_e32 v21, 30, v2
	v_xor_b32_e32 v3, vcc_hi, v5
	v_not_b32_e32 v5, v21
	v_xor_b32_e32 v4, vcc_lo, v4
	v_cmp_gt_i64_e32 vcc, 0, v[20:21]
	v_ashrrev_i32_e32 v5, 31, v5
	v_and_b32_e32 v3, exec_hi, v3
	v_xor_b32_e32 v21, vcc_hi, v5
	v_and_b32_e32 v4, exec_lo, v4
	v_xor_b32_e32 v5, vcc_lo, v5
	v_and_b32_e32 v3, v3, v21
	v_lshlrev_b32_e32 v21, 29, v2
	v_and_b32_e32 v4, v4, v5
	v_not_b32_e32 v5, v21
	v_cmp_gt_i64_e32 vcc, 0, v[20:21]
	v_ashrrev_i32_e32 v5, 31, v5
	v_xor_b32_e32 v21, vcc_hi, v5
	v_xor_b32_e32 v5, vcc_lo, v5
	v_and_b32_e32 v3, v3, v21
	v_lshlrev_b32_e32 v21, 28, v2
	v_and_b32_e32 v4, v4, v5
	v_not_b32_e32 v5, v21
	v_cmp_gt_i64_e32 vcc, 0, v[20:21]
	v_ashrrev_i32_e32 v5, 31, v5
	v_xor_b32_e32 v21, vcc_hi, v5
	;; [unrolled: 8-line block ×5, first 2 shown]
	v_and_b32_e32 v3, v3, v21
	v_lshlrev_b32_e32 v21, 24, v2
	v_not_b32_e32 v2, v21
	v_xor_b32_e32 v5, vcc_lo, v5
	v_cmp_gt_i64_e32 vcc, 0, v[20:21]
	v_ashrrev_i32_e32 v2, 31, v2
	v_and_b32_e32 v4, v4, v5
	v_xor_b32_e32 v5, vcc_hi, v2
	v_xor_b32_e32 v2, vcc_lo, v2
	v_and_b32_e32 v2, v4, v2
	v_and_b32_e32 v3, v3, v5
	v_mbcnt_lo_u32_b32 v4, v2, 0
	v_mbcnt_hi_u32_b32 v111, v3, v4
	v_cmp_eq_u32_e32 vcc, 0, v111
	v_cmp_ne_u64_e64 s[36:37], 0, v[2:3]
	s_and_b64 s[38:39], s[36:37], vcc
	; wave barrier
	s_and_saveexec_b64 s[36:37], s[38:39]
	s_cbranch_execz .LBB1355_259
; %bb.258:                              ;   in Loop: Header=BB1355_237 Depth=2
	v_bcnt_u32_b32 v2, v2, 0
	v_bcnt_u32_b32 v2, v3, v2
	s_waitcnt lgkmcnt(0)
	v_add_u32_e32 v2, v109, v2
	ds_write_b32 v110, v2
.LBB1355_259:                           ;   in Loop: Header=BB1355_237 Depth=2
	s_or_b64 exec, exec, s[36:37]
	v_cmp_gt_i32_e32 vcc, 0, v6
	v_cndmask_b32_e64 v2, v73, 0, vcc
	v_xor_b32_e32 v112, v2, v6
	v_cmp_ne_u32_e32 vcc, s76, v112
	v_cndmask_b32_e32 v2, v73, v112, vcc
	v_lshrrev_b32_e32 v2, s85, v2
	v_and_b32_e32 v2, s86, v2
	v_mul_u32_u24_e32 v3, 5, v2
	v_add_lshl_u32 v3, v3, v98, 2
	; wave barrier
	v_add_u32_e32 v113, 0x410, v3
	ds_read_b32 v6, v3 offset:1040
	v_and_b32_e32 v3, 1, v2
	v_add_co_u32_e32 v4, vcc, -1, v3
	v_addc_co_u32_e64 v5, s[36:37], 0, -1, vcc
	v_cmp_ne_u32_e32 vcc, 0, v3
	v_lshlrev_b32_e32 v21, 30, v2
	v_xor_b32_e32 v3, vcc_hi, v5
	v_not_b32_e32 v5, v21
	v_xor_b32_e32 v4, vcc_lo, v4
	v_cmp_gt_i64_e32 vcc, 0, v[20:21]
	v_ashrrev_i32_e32 v5, 31, v5
	v_and_b32_e32 v3, exec_hi, v3
	v_xor_b32_e32 v21, vcc_hi, v5
	v_and_b32_e32 v4, exec_lo, v4
	v_xor_b32_e32 v5, vcc_lo, v5
	v_and_b32_e32 v3, v3, v21
	v_lshlrev_b32_e32 v21, 29, v2
	v_and_b32_e32 v4, v4, v5
	v_not_b32_e32 v5, v21
	v_cmp_gt_i64_e32 vcc, 0, v[20:21]
	v_ashrrev_i32_e32 v5, 31, v5
	v_xor_b32_e32 v21, vcc_hi, v5
	v_xor_b32_e32 v5, vcc_lo, v5
	v_and_b32_e32 v3, v3, v21
	v_lshlrev_b32_e32 v21, 28, v2
	v_and_b32_e32 v4, v4, v5
	v_not_b32_e32 v5, v21
	v_cmp_gt_i64_e32 vcc, 0, v[20:21]
	v_ashrrev_i32_e32 v5, 31, v5
	v_xor_b32_e32 v21, vcc_hi, v5
	;; [unrolled: 8-line block ×5, first 2 shown]
	v_and_b32_e32 v3, v3, v21
	v_lshlrev_b32_e32 v21, 24, v2
	v_not_b32_e32 v2, v21
	v_xor_b32_e32 v5, vcc_lo, v5
	v_cmp_gt_i64_e32 vcc, 0, v[20:21]
	v_ashrrev_i32_e32 v2, 31, v2
	v_and_b32_e32 v4, v4, v5
	v_xor_b32_e32 v5, vcc_hi, v2
	v_xor_b32_e32 v2, vcc_lo, v2
	v_and_b32_e32 v2, v4, v2
	v_and_b32_e32 v3, v3, v5
	v_mbcnt_lo_u32_b32 v4, v2, 0
	v_mbcnt_hi_u32_b32 v114, v3, v4
	v_cmp_eq_u32_e32 vcc, 0, v114
	v_cmp_ne_u64_e64 s[36:37], 0, v[2:3]
	s_and_b64 s[38:39], s[36:37], vcc
	; wave barrier
	s_and_saveexec_b64 s[36:37], s[38:39]
	s_cbranch_execz .LBB1355_261
; %bb.260:                              ;   in Loop: Header=BB1355_237 Depth=2
	v_bcnt_u32_b32 v2, v2, 0
	v_bcnt_u32_b32 v2, v3, v2
	s_waitcnt lgkmcnt(0)
	v_add_u32_e32 v2, v6, v2
	ds_write_b32 v113, v2
.LBB1355_261:                           ;   in Loop: Header=BB1355_237 Depth=2
	s_or_b64 exec, exec, s[36:37]
	v_cmp_gt_i32_e32 vcc, 0, v7
	v_cndmask_b32_e64 v2, v73, 0, vcc
	v_xor_b32_e32 v115, v2, v7
	v_cmp_ne_u32_e32 vcc, s76, v115
	v_cndmask_b32_e32 v2, v73, v115, vcc
	v_lshrrev_b32_e32 v2, s85, v2
	v_and_b32_e32 v2, s86, v2
	v_mul_u32_u24_e32 v3, 5, v2
	v_add_lshl_u32 v3, v3, v98, 2
	; wave barrier
	v_add_u32_e32 v116, 0x410, v3
	ds_read_b32 v7, v3 offset:1040
	v_and_b32_e32 v3, 1, v2
	v_add_co_u32_e32 v4, vcc, -1, v3
	v_addc_co_u32_e64 v5, s[36:37], 0, -1, vcc
	v_cmp_ne_u32_e32 vcc, 0, v3
	v_lshlrev_b32_e32 v21, 30, v2
	v_xor_b32_e32 v3, vcc_hi, v5
	v_not_b32_e32 v5, v21
	v_xor_b32_e32 v4, vcc_lo, v4
	v_cmp_gt_i64_e32 vcc, 0, v[20:21]
	v_ashrrev_i32_e32 v5, 31, v5
	v_and_b32_e32 v3, exec_hi, v3
	v_xor_b32_e32 v21, vcc_hi, v5
	v_and_b32_e32 v4, exec_lo, v4
	v_xor_b32_e32 v5, vcc_lo, v5
	v_and_b32_e32 v3, v3, v21
	v_lshlrev_b32_e32 v21, 29, v2
	v_and_b32_e32 v4, v4, v5
	v_not_b32_e32 v5, v21
	v_cmp_gt_i64_e32 vcc, 0, v[20:21]
	v_ashrrev_i32_e32 v5, 31, v5
	v_xor_b32_e32 v21, vcc_hi, v5
	v_xor_b32_e32 v5, vcc_lo, v5
	v_and_b32_e32 v3, v3, v21
	v_lshlrev_b32_e32 v21, 28, v2
	v_and_b32_e32 v4, v4, v5
	v_not_b32_e32 v5, v21
	v_cmp_gt_i64_e32 vcc, 0, v[20:21]
	v_ashrrev_i32_e32 v5, 31, v5
	v_xor_b32_e32 v21, vcc_hi, v5
	v_xor_b32_e32 v5, vcc_lo, v5
	v_and_b32_e32 v3, v3, v21
	v_lshlrev_b32_e32 v21, 27, v2
	v_and_b32_e32 v4, v4, v5
	v_not_b32_e32 v5, v21
	v_cmp_gt_i64_e32 vcc, 0, v[20:21]
	v_ashrrev_i32_e32 v5, 31, v5
	v_xor_b32_e32 v21, vcc_hi, v5
	v_xor_b32_e32 v5, vcc_lo, v5
	v_and_b32_e32 v3, v3, v21
	v_lshlrev_b32_e32 v21, 26, v2
	v_and_b32_e32 v4, v4, v5
	v_not_b32_e32 v5, v21
	v_cmp_gt_i64_e32 vcc, 0, v[20:21]
	v_ashrrev_i32_e32 v5, 31, v5
	v_xor_b32_e32 v21, vcc_hi, v5
	v_xor_b32_e32 v5, vcc_lo, v5
	v_and_b32_e32 v3, v3, v21
	v_lshlrev_b32_e32 v21, 25, v2
	v_and_b32_e32 v4, v4, v5
	v_not_b32_e32 v5, v21
	v_cmp_gt_i64_e32 vcc, 0, v[20:21]
	v_ashrrev_i32_e32 v5, 31, v5
	v_xor_b32_e32 v21, vcc_hi, v5
	v_and_b32_e32 v3, v3, v21
	v_lshlrev_b32_e32 v21, 24, v2
	v_not_b32_e32 v2, v21
	v_xor_b32_e32 v5, vcc_lo, v5
	v_cmp_gt_i64_e32 vcc, 0, v[20:21]
	v_ashrrev_i32_e32 v2, 31, v2
	v_and_b32_e32 v4, v4, v5
	v_xor_b32_e32 v5, vcc_hi, v2
	v_xor_b32_e32 v2, vcc_lo, v2
	v_and_b32_e32 v2, v4, v2
	v_and_b32_e32 v3, v3, v5
	v_mbcnt_lo_u32_b32 v4, v2, 0
	v_mbcnt_hi_u32_b32 v117, v3, v4
	v_cmp_eq_u32_e32 vcc, 0, v117
	v_cmp_ne_u64_e64 s[36:37], 0, v[2:3]
	s_and_b64 s[38:39], s[36:37], vcc
	; wave barrier
	s_and_saveexec_b64 s[36:37], s[38:39]
	s_cbranch_execz .LBB1355_263
; %bb.262:                              ;   in Loop: Header=BB1355_237 Depth=2
	v_bcnt_u32_b32 v2, v2, 0
	v_bcnt_u32_b32 v2, v3, v2
	s_waitcnt lgkmcnt(0)
	v_add_u32_e32 v2, v7, v2
	ds_write_b32 v116, v2
.LBB1355_263:                           ;   in Loop: Header=BB1355_237 Depth=2
	s_or_b64 exec, exec, s[36:37]
	v_cmp_gt_i32_e32 vcc, 0, v8
	v_cndmask_b32_e64 v2, v73, 0, vcc
	v_xor_b32_e32 v118, v2, v8
	v_cmp_ne_u32_e32 vcc, s76, v118
	v_cndmask_b32_e32 v2, v73, v118, vcc
	v_lshrrev_b32_e32 v2, s85, v2
	v_and_b32_e32 v2, s86, v2
	v_mul_u32_u24_e32 v3, 5, v2
	v_add_lshl_u32 v3, v3, v98, 2
	; wave barrier
	v_add_u32_e32 v8, 0x410, v3
	ds_read_b32 v119, v3 offset:1040
	v_and_b32_e32 v3, 1, v2
	v_add_co_u32_e32 v4, vcc, -1, v3
	v_addc_co_u32_e64 v5, s[36:37], 0, -1, vcc
	v_cmp_ne_u32_e32 vcc, 0, v3
	v_lshlrev_b32_e32 v21, 30, v2
	v_xor_b32_e32 v3, vcc_hi, v5
	v_not_b32_e32 v5, v21
	v_xor_b32_e32 v4, vcc_lo, v4
	v_cmp_gt_i64_e32 vcc, 0, v[20:21]
	v_ashrrev_i32_e32 v5, 31, v5
	v_and_b32_e32 v3, exec_hi, v3
	v_xor_b32_e32 v21, vcc_hi, v5
	v_and_b32_e32 v4, exec_lo, v4
	v_xor_b32_e32 v5, vcc_lo, v5
	v_and_b32_e32 v3, v3, v21
	v_lshlrev_b32_e32 v21, 29, v2
	v_and_b32_e32 v4, v4, v5
	v_not_b32_e32 v5, v21
	v_cmp_gt_i64_e32 vcc, 0, v[20:21]
	v_ashrrev_i32_e32 v5, 31, v5
	v_xor_b32_e32 v21, vcc_hi, v5
	v_xor_b32_e32 v5, vcc_lo, v5
	v_and_b32_e32 v3, v3, v21
	v_lshlrev_b32_e32 v21, 28, v2
	v_and_b32_e32 v4, v4, v5
	v_not_b32_e32 v5, v21
	v_cmp_gt_i64_e32 vcc, 0, v[20:21]
	v_ashrrev_i32_e32 v5, 31, v5
	v_xor_b32_e32 v21, vcc_hi, v5
	;; [unrolled: 8-line block ×5, first 2 shown]
	v_and_b32_e32 v3, v3, v21
	v_lshlrev_b32_e32 v21, 24, v2
	v_not_b32_e32 v2, v21
	v_xor_b32_e32 v5, vcc_lo, v5
	v_cmp_gt_i64_e32 vcc, 0, v[20:21]
	v_ashrrev_i32_e32 v2, 31, v2
	v_and_b32_e32 v4, v4, v5
	v_xor_b32_e32 v5, vcc_hi, v2
	v_xor_b32_e32 v2, vcc_lo, v2
	v_and_b32_e32 v2, v4, v2
	v_and_b32_e32 v3, v3, v5
	v_mbcnt_lo_u32_b32 v4, v2, 0
	v_mbcnt_hi_u32_b32 v120, v3, v4
	v_cmp_eq_u32_e32 vcc, 0, v120
	v_cmp_ne_u64_e64 s[36:37], 0, v[2:3]
	s_and_b64 s[38:39], s[36:37], vcc
	; wave barrier
	s_and_saveexec_b64 s[36:37], s[38:39]
	s_cbranch_execz .LBB1355_265
; %bb.264:                              ;   in Loop: Header=BB1355_237 Depth=2
	v_bcnt_u32_b32 v2, v2, 0
	v_bcnt_u32_b32 v2, v3, v2
	s_waitcnt lgkmcnt(0)
	v_add_u32_e32 v2, v119, v2
	ds_write_b32 v8, v2
.LBB1355_265:                           ;   in Loop: Header=BB1355_237 Depth=2
	s_or_b64 exec, exec, s[36:37]
	v_cmp_gt_i32_e32 vcc, 0, v9
	v_cndmask_b32_e64 v2, v73, 0, vcc
	v_xor_b32_e32 v121, v2, v9
	v_cmp_ne_u32_e32 vcc, s76, v121
	v_cndmask_b32_e32 v2, v73, v121, vcc
	v_lshrrev_b32_e32 v2, s85, v2
	v_and_b32_e32 v2, s86, v2
	v_mul_u32_u24_e32 v3, 5, v2
	v_add_lshl_u32 v3, v3, v98, 2
	; wave barrier
	v_add_u32_e32 v9, 0x410, v3
	ds_read_b32 v122, v3 offset:1040
	v_and_b32_e32 v3, 1, v2
	v_add_co_u32_e32 v4, vcc, -1, v3
	v_addc_co_u32_e64 v5, s[36:37], 0, -1, vcc
	v_cmp_ne_u32_e32 vcc, 0, v3
	v_lshlrev_b32_e32 v21, 30, v2
	v_xor_b32_e32 v3, vcc_hi, v5
	v_not_b32_e32 v5, v21
	v_xor_b32_e32 v4, vcc_lo, v4
	v_cmp_gt_i64_e32 vcc, 0, v[20:21]
	v_ashrrev_i32_e32 v5, 31, v5
	v_and_b32_e32 v3, exec_hi, v3
	v_xor_b32_e32 v21, vcc_hi, v5
	v_and_b32_e32 v4, exec_lo, v4
	v_xor_b32_e32 v5, vcc_lo, v5
	v_and_b32_e32 v3, v3, v21
	v_lshlrev_b32_e32 v21, 29, v2
	v_and_b32_e32 v4, v4, v5
	v_not_b32_e32 v5, v21
	v_cmp_gt_i64_e32 vcc, 0, v[20:21]
	v_ashrrev_i32_e32 v5, 31, v5
	v_xor_b32_e32 v21, vcc_hi, v5
	v_xor_b32_e32 v5, vcc_lo, v5
	v_and_b32_e32 v3, v3, v21
	v_lshlrev_b32_e32 v21, 28, v2
	v_and_b32_e32 v4, v4, v5
	v_not_b32_e32 v5, v21
	v_cmp_gt_i64_e32 vcc, 0, v[20:21]
	v_ashrrev_i32_e32 v5, 31, v5
	v_xor_b32_e32 v21, vcc_hi, v5
	;; [unrolled: 8-line block ×5, first 2 shown]
	v_and_b32_e32 v3, v3, v21
	v_lshlrev_b32_e32 v21, 24, v2
	v_not_b32_e32 v2, v21
	v_xor_b32_e32 v5, vcc_lo, v5
	v_cmp_gt_i64_e32 vcc, 0, v[20:21]
	v_ashrrev_i32_e32 v2, 31, v2
	v_and_b32_e32 v4, v4, v5
	v_xor_b32_e32 v5, vcc_hi, v2
	v_xor_b32_e32 v2, vcc_lo, v2
	v_and_b32_e32 v2, v4, v2
	v_and_b32_e32 v3, v3, v5
	v_mbcnt_lo_u32_b32 v4, v2, 0
	v_mbcnt_hi_u32_b32 v123, v3, v4
	v_cmp_eq_u32_e32 vcc, 0, v123
	v_cmp_ne_u64_e64 s[36:37], 0, v[2:3]
	s_and_b64 s[38:39], s[36:37], vcc
	; wave barrier
	s_and_saveexec_b64 s[36:37], s[38:39]
	s_cbranch_execz .LBB1355_267
; %bb.266:                              ;   in Loop: Header=BB1355_237 Depth=2
	v_bcnt_u32_b32 v2, v2, 0
	v_bcnt_u32_b32 v2, v3, v2
	s_waitcnt lgkmcnt(0)
	v_add_u32_e32 v2, v122, v2
	ds_write_b32 v9, v2
.LBB1355_267:                           ;   in Loop: Header=BB1355_237 Depth=2
	s_or_b64 exec, exec, s[36:37]
	; wave barrier
	s_waitcnt lgkmcnt(0)
	s_barrier
	ds_read_b32 v21, v50 offset:1040
	ds_read2_b32 v[4:5], v52 offset0:1 offset1:2
	ds_read2_b32 v[2:3], v52 offset0:3 offset1:4
	s_waitcnt lgkmcnt(1)
	v_add3_u32 v124, v4, v21, v5
	s_waitcnt lgkmcnt(0)
	v_add3_u32 v3, v124, v2, v3
	s_nop 1
	v_mov_b32_dpp v124, v3 row_shr:1 row_mask:0xf bank_mask:0xf
	v_cndmask_b32_e64 v124, v124, 0, s[16:17]
	v_add_u32_e32 v3, v124, v3
	s_nop 1
	v_mov_b32_dpp v124, v3 row_shr:2 row_mask:0xf bank_mask:0xf
	v_cndmask_b32_e64 v124, 0, v124, s[18:19]
	v_add_u32_e32 v3, v3, v124
	;; [unrolled: 4-line block ×4, first 2 shown]
	s_nop 1
	v_mov_b32_dpp v124, v3 row_bcast:15 row_mask:0xf bank_mask:0xf
	v_cndmask_b32_e64 v124, v124, 0, s[24:25]
	v_add_u32_e32 v3, v3, v124
	s_nop 1
	v_mov_b32_dpp v124, v3 row_bcast:31 row_mask:0xf bank_mask:0xf
	v_cndmask_b32_e64 v124, 0, v124, s[26:27]
	v_add_u32_e32 v3, v3, v124
	s_and_saveexec_b64 s[36:37], s[6:7]
	s_cbranch_execz .LBB1355_269
; %bb.268:                              ;   in Loop: Header=BB1355_237 Depth=2
	ds_write_b32 v43, v3 offset:1024
.LBB1355_269:                           ;   in Loop: Header=BB1355_237 Depth=2
	s_or_b64 exec, exec, s[36:37]
	s_waitcnt lgkmcnt(0)
	s_barrier
	s_and_saveexec_b64 s[36:37], s[8:9]
	s_cbranch_execz .LBB1355_271
; %bb.270:                              ;   in Loop: Header=BB1355_237 Depth=2
	ds_read_b32 v124, v53 offset:1024
	s_waitcnt lgkmcnt(0)
	s_nop 0
	v_mov_b32_dpp v125, v124 row_shr:1 row_mask:0xf bank_mask:0xf
	v_cndmask_b32_e64 v125, v125, 0, s[30:31]
	v_add_u32_e32 v124, v125, v124
	s_nop 1
	v_mov_b32_dpp v125, v124 row_shr:2 row_mask:0xf bank_mask:0xf
	v_cndmask_b32_e64 v125, 0, v125, s[34:35]
	v_add_u32_e32 v124, v124, v125
	ds_write_b32 v53, v124 offset:1024
.LBB1355_271:                           ;   in Loop: Header=BB1355_237 Depth=2
	s_or_b64 exec, exec, s[36:37]
	v_mov_b32_e32 v124, 0
	s_waitcnt lgkmcnt(0)
	s_barrier
	s_and_saveexec_b64 s[36:37], s[10:11]
	s_cbranch_execz .LBB1355_273
; %bb.272:                              ;   in Loop: Header=BB1355_237 Depth=2
	ds_read_b32 v124, v43 offset:1020
.LBB1355_273:                           ;   in Loop: Header=BB1355_237 Depth=2
	s_or_b64 exec, exec, s[36:37]
	s_waitcnt lgkmcnt(0)
	v_add_u32_e32 v3, v124, v3
	ds_bpermute_b32 v3, v75, v3
	s_waitcnt lgkmcnt(0)
	v_cndmask_b32_e64 v3, v3, v124, s[28:29]
	v_cndmask_b32_e64 v3, v3, 0, s[12:13]
	v_add_u32_e32 v21, v3, v21
	ds_write_b32 v50, v3 offset:1040
	v_add_u32_e32 v3, v21, v4
	v_add_u32_e32 v4, v3, v5
	;; [unrolled: 1-line block ×3, first 2 shown]
	ds_write2_b32 v52, v21, v3 offset0:1 offset1:2
	ds_write2_b32 v52, v4, v2 offset0:3 offset1:4
	s_waitcnt lgkmcnt(0)
	s_barrier
	ds_read_b32 v2, v102
	ds_read_b32 v3, v106
	;; [unrolled: 1-line block ×8, first 2 shown]
	ds_read_b32 v9, v50 offset:1040
	v_mov_b32_e32 v4, 0x800
	s_and_saveexec_b64 s[36:37], s[14:15]
	s_cbranch_execz .LBB1355_275
; %bb.274:                              ;   in Loop: Header=BB1355_237 Depth=2
	ds_read_b32 v4, v50 offset:1060
.LBB1355_275:                           ;   in Loop: Header=BB1355_237 Depth=2
	s_or_b64 exec, exec, s[36:37]
	s_waitcnt lgkmcnt(0)
	s_barrier
	s_and_saveexec_b64 s[36:37], s[4:5]
	s_cbranch_execz .LBB1355_277
; %bb.276:                              ;   in Loop: Header=BB1355_237 Depth=2
	ds_read_b32 v21, v19
	s_waitcnt lgkmcnt(0)
	v_sub_u32_e32 v9, v21, v9
	ds_write_b32 v19, v9
.LBB1355_277:                           ;   in Loop: Header=BB1355_237 Depth=2
	s_or_b64 exec, exec, s[36:37]
	v_add_u32_e32 v100, v8, v101
	v_add3_u32 v39, v103, v39, v2
	v_lshlrev_b32_e32 v2, 2, v100
	v_add3_u32 v21, v107, v105, v3
	ds_write_b32 v2, v99 offset:1024
	v_lshlrev_b32_e32 v2, 2, v39
	v_add3_u32 v9, v111, v109, v5
	ds_write_b32 v2, v38 offset:1024
	;; [unrolled: 3-line block ×6, first 2 shown]
	v_lshlrev_b32_e32 v2, 2, v6
	ds_write_b32 v2, v118 offset:1024
	v_lshlrev_b32_e32 v2, 2, v5
	v_cmp_lt_u32_e32 vcc, v18, v0
	ds_write_b32 v2, v121 offset:1024
	s_waitcnt lgkmcnt(0)
	s_barrier
	s_and_saveexec_b64 s[38:39], vcc
	s_cbranch_execz .LBB1355_285
; %bb.278:                              ;   in Loop: Header=BB1355_237 Depth=2
	ds_read_b32 v2, v53 offset:1024
	v_mov_b32_e32 v3, v20
	v_mov_b32_e32 v99, s61
	s_waitcnt lgkmcnt(0)
	v_cmp_ne_u32_e64 s[36:37], s76, v2
	v_cndmask_b32_e64 v38, v73, v2, s[36:37]
	v_lshrrev_b32_e32 v38, s85, v38
	v_and_b32_e32 v38, s86, v38
	v_lshlrev_b32_e32 v38, 2, v38
	ds_read_b32 v38, v38
	v_cmp_gt_i32_e64 s[36:37], 0, v2
	v_cndmask_b32_e64 v101, v73, 0, s[36:37]
	v_xor_b32_e32 v101, v101, v2
	s_waitcnt lgkmcnt(0)
	v_add_u32_e32 v2, v38, v18
	v_lshlrev_b64 v[2:3], 2, v[2:3]
	v_add_co_u32_e64 v2, s[36:37], s60, v2
	v_addc_co_u32_e64 v3, s[36:37], v99, v3, s[36:37]
	global_store_dword v[2:3], v101, off
	s_or_b64 exec, exec, s[38:39]
	v_cmp_lt_u32_e64 s[36:37], v23, v0
	s_and_saveexec_b64 s[40:41], s[36:37]
	s_cbranch_execnz .LBB1355_286
.LBB1355_279:                           ;   in Loop: Header=BB1355_237 Depth=2
	s_or_b64 exec, exec, s[40:41]
	v_cmp_lt_u32_e64 s[38:39], v25, v0
	s_and_saveexec_b64 s[42:43], s[38:39]
	s_cbranch_execz .LBB1355_287
.LBB1355_280:                           ;   in Loop: Header=BB1355_237 Depth=2
	ds_read_b32 v2, v58 offset:2048
	v_mov_b32_e32 v3, v20
	v_mov_b32_e32 v99, s61
	s_waitcnt lgkmcnt(0)
	v_cmp_ne_u32_e64 s[40:41], s76, v2
	v_cndmask_b32_e64 v38, v73, v2, s[40:41]
	v_lshrrev_b32_e32 v38, s85, v38
	v_and_b32_e32 v38, s86, v38
	v_lshlrev_b32_e32 v38, 2, v38
	ds_read_b32 v38, v38
	v_cmp_gt_i32_e64 s[40:41], 0, v2
	v_cndmask_b32_e64 v101, v73, 0, s[40:41]
	v_xor_b32_e32 v101, v101, v2
	s_waitcnt lgkmcnt(0)
	v_add_u32_e32 v2, v38, v25
	v_lshlrev_b64 v[2:3], 2, v[2:3]
	v_add_co_u32_e64 v2, s[40:41], s60, v2
	v_addc_co_u32_e64 v3, s[40:41], v99, v3, s[40:41]
	global_store_dword v[2:3], v101, off
	s_or_b64 exec, exec, s[42:43]
	v_cmp_lt_u32_e64 s[40:41], v27, v0
	s_and_saveexec_b64 s[44:45], s[40:41]
	s_cbranch_execnz .LBB1355_288
.LBB1355_281:                           ;   in Loop: Header=BB1355_237 Depth=2
	s_or_b64 exec, exec, s[44:45]
	v_cmp_lt_u32_e64 s[42:43], v22, v0
	s_and_saveexec_b64 s[46:47], s[42:43]
	s_cbranch_execz .LBB1355_289
.LBB1355_282:                           ;   in Loop: Header=BB1355_237 Depth=2
	ds_read_b32 v2, v58 offset:4096
	v_mov_b32_e32 v3, v20
	v_mov_b32_e32 v99, s61
	s_waitcnt lgkmcnt(0)
	v_cmp_ne_u32_e64 s[44:45], s76, v2
	v_cndmask_b32_e64 v38, v73, v2, s[44:45]
	v_lshrrev_b32_e32 v38, s85, v38
	v_and_b32_e32 v38, s86, v38
	v_lshlrev_b32_e32 v38, 2, v38
	ds_read_b32 v38, v38
	v_cmp_gt_i32_e64 s[44:45], 0, v2
	v_cndmask_b32_e64 v101, v73, 0, s[44:45]
	v_xor_b32_e32 v101, v101, v2
	s_waitcnt lgkmcnt(0)
	v_add_u32_e32 v2, v38, v22
	v_lshlrev_b64 v[2:3], 2, v[2:3]
	v_add_co_u32_e64 v2, s[44:45], s60, v2
	v_addc_co_u32_e64 v3, s[44:45], v99, v3, s[44:45]
	global_store_dword v[2:3], v101, off
	s_or_b64 exec, exec, s[46:47]
	v_cmp_lt_u32_e64 s[44:45], v24, v0
	s_and_saveexec_b64 s[48:49], s[44:45]
	s_cbranch_execnz .LBB1355_290
.LBB1355_283:                           ;   in Loop: Header=BB1355_237 Depth=2
	s_or_b64 exec, exec, s[48:49]
	v_cmp_lt_u32_e64 s[46:47], v26, v0
	s_and_saveexec_b64 s[52:53], s[46:47]
	s_cbranch_execz .LBB1355_291
.LBB1355_284:                           ;   in Loop: Header=BB1355_237 Depth=2
	ds_read_b32 v2, v58 offset:6144
	v_mov_b32_e32 v3, v20
	v_mov_b32_e32 v99, s61
	s_waitcnt lgkmcnt(0)
	v_cmp_ne_u32_e64 s[48:49], s76, v2
	v_cndmask_b32_e64 v38, v73, v2, s[48:49]
	v_lshrrev_b32_e32 v38, s85, v38
	v_and_b32_e32 v38, s86, v38
	v_lshlrev_b32_e32 v38, 2, v38
	ds_read_b32 v38, v38
	v_cmp_gt_i32_e64 s[48:49], 0, v2
	v_cndmask_b32_e64 v101, v73, 0, s[48:49]
	v_xor_b32_e32 v101, v101, v2
	s_waitcnt lgkmcnt(0)
	v_add_u32_e32 v2, v38, v26
	v_lshlrev_b64 v[2:3], 2, v[2:3]
	v_add_co_u32_e64 v2, s[48:49], s60, v2
	v_addc_co_u32_e64 v3, s[48:49], v99, v3, s[48:49]
	global_store_dword v[2:3], v101, off
	s_or_b64 exec, exec, s[52:53]
	v_cmp_lt_u32_e64 s[48:49], v28, v0
	s_and_saveexec_b64 s[62:63], s[48:49]
	s_cbranch_execnz .LBB1355_292
	s_branch .LBB1355_293
.LBB1355_285:                           ;   in Loop: Header=BB1355_237 Depth=2
	s_or_b64 exec, exec, s[38:39]
	v_cmp_lt_u32_e64 s[36:37], v23, v0
	s_and_saveexec_b64 s[40:41], s[36:37]
	s_cbranch_execz .LBB1355_279
.LBB1355_286:                           ;   in Loop: Header=BB1355_237 Depth=2
	ds_read_b32 v2, v58 offset:1024
	v_mov_b32_e32 v3, v20
	v_mov_b32_e32 v99, s61
	s_waitcnt lgkmcnt(0)
	v_cmp_ne_u32_e64 s[38:39], s76, v2
	v_cndmask_b32_e64 v38, v73, v2, s[38:39]
	v_lshrrev_b32_e32 v38, s85, v38
	v_and_b32_e32 v38, s86, v38
	v_lshlrev_b32_e32 v38, 2, v38
	ds_read_b32 v38, v38
	v_cmp_gt_i32_e64 s[38:39], 0, v2
	v_cndmask_b32_e64 v101, v73, 0, s[38:39]
	v_xor_b32_e32 v101, v101, v2
	s_waitcnt lgkmcnt(0)
	v_add_u32_e32 v2, v38, v23
	v_lshlrev_b64 v[2:3], 2, v[2:3]
	v_add_co_u32_e64 v2, s[38:39], s60, v2
	v_addc_co_u32_e64 v3, s[38:39], v99, v3, s[38:39]
	global_store_dword v[2:3], v101, off
	s_or_b64 exec, exec, s[40:41]
	v_cmp_lt_u32_e64 s[38:39], v25, v0
	s_and_saveexec_b64 s[42:43], s[38:39]
	s_cbranch_execnz .LBB1355_280
.LBB1355_287:                           ;   in Loop: Header=BB1355_237 Depth=2
	s_or_b64 exec, exec, s[42:43]
	v_cmp_lt_u32_e64 s[40:41], v27, v0
	s_and_saveexec_b64 s[44:45], s[40:41]
	s_cbranch_execz .LBB1355_281
.LBB1355_288:                           ;   in Loop: Header=BB1355_237 Depth=2
	ds_read_b32 v2, v58 offset:3072
	v_mov_b32_e32 v3, v20
	v_mov_b32_e32 v99, s61
	s_waitcnt lgkmcnt(0)
	v_cmp_ne_u32_e64 s[42:43], s76, v2
	v_cndmask_b32_e64 v38, v73, v2, s[42:43]
	v_lshrrev_b32_e32 v38, s85, v38
	v_and_b32_e32 v38, s86, v38
	v_lshlrev_b32_e32 v38, 2, v38
	ds_read_b32 v38, v38
	v_cmp_gt_i32_e64 s[42:43], 0, v2
	v_cndmask_b32_e64 v101, v73, 0, s[42:43]
	v_xor_b32_e32 v101, v101, v2
	s_waitcnt lgkmcnt(0)
	v_add_u32_e32 v2, v38, v27
	v_lshlrev_b64 v[2:3], 2, v[2:3]
	v_add_co_u32_e64 v2, s[42:43], s60, v2
	v_addc_co_u32_e64 v3, s[42:43], v99, v3, s[42:43]
	global_store_dword v[2:3], v101, off
	s_or_b64 exec, exec, s[44:45]
	v_cmp_lt_u32_e64 s[42:43], v22, v0
	s_and_saveexec_b64 s[46:47], s[42:43]
	s_cbranch_execnz .LBB1355_282
.LBB1355_289:                           ;   in Loop: Header=BB1355_237 Depth=2
	s_or_b64 exec, exec, s[46:47]
	v_cmp_lt_u32_e64 s[44:45], v24, v0
	s_and_saveexec_b64 s[48:49], s[44:45]
	s_cbranch_execz .LBB1355_283
.LBB1355_290:                           ;   in Loop: Header=BB1355_237 Depth=2
	ds_read_b32 v2, v58 offset:5120
	v_mov_b32_e32 v3, v20
	v_mov_b32_e32 v99, s61
	s_waitcnt lgkmcnt(0)
	v_cmp_ne_u32_e64 s[46:47], s76, v2
	v_cndmask_b32_e64 v38, v73, v2, s[46:47]
	v_lshrrev_b32_e32 v38, s85, v38
	v_and_b32_e32 v38, s86, v38
	v_lshlrev_b32_e32 v38, 2, v38
	ds_read_b32 v38, v38
	v_cmp_gt_i32_e64 s[46:47], 0, v2
	v_cndmask_b32_e64 v101, v73, 0, s[46:47]
	v_xor_b32_e32 v101, v101, v2
	s_waitcnt lgkmcnt(0)
	v_add_u32_e32 v2, v38, v24
	v_lshlrev_b64 v[2:3], 2, v[2:3]
	v_add_co_u32_e64 v2, s[46:47], s60, v2
	v_addc_co_u32_e64 v3, s[46:47], v99, v3, s[46:47]
	global_store_dword v[2:3], v101, off
	s_or_b64 exec, exec, s[48:49]
	v_cmp_lt_u32_e64 s[46:47], v26, v0
	s_and_saveexec_b64 s[52:53], s[46:47]
	s_cbranch_execnz .LBB1355_284
.LBB1355_291:                           ;   in Loop: Header=BB1355_237 Depth=2
	s_or_b64 exec, exec, s[52:53]
	v_cmp_lt_u32_e64 s[48:49], v28, v0
	s_and_saveexec_b64 s[62:63], s[48:49]
	s_cbranch_execz .LBB1355_293
.LBB1355_292:                           ;   in Loop: Header=BB1355_237 Depth=2
	ds_read_b32 v2, v58 offset:7168
	v_mov_b32_e32 v3, v20
	v_mov_b32_e32 v99, s61
	s_waitcnt lgkmcnt(0)
	v_cmp_ne_u32_e64 s[52:53], s76, v2
	v_cndmask_b32_e64 v38, v73, v2, s[52:53]
	v_lshrrev_b32_e32 v38, s85, v38
	v_and_b32_e32 v38, s86, v38
	v_lshlrev_b32_e32 v38, 2, v38
	ds_read_b32 v38, v38
	v_cmp_gt_i32_e64 s[52:53], 0, v2
	v_cndmask_b32_e64 v101, v73, 0, s[52:53]
	v_xor_b32_e32 v101, v101, v2
	s_waitcnt lgkmcnt(0)
	v_add_u32_e32 v2, v38, v28
	v_lshlrev_b64 v[2:3], 2, v[2:3]
	v_add_co_u32_e64 v2, s[52:53], s60, v2
	v_addc_co_u32_e64 v3, s[52:53], v99, v3, s[52:53]
	global_store_dword v[2:3], v101, off
.LBB1355_293:                           ;   in Loop: Header=BB1355_237 Depth=2
	s_or_b64 exec, exec, s[62:63]
	s_lshl_b64 s[52:53], s[80:81], 3
	v_mov_b32_e32 v3, s53
	v_add_co_u32_e64 v2, s[52:53], s52, v83
	v_addc_co_u32_e64 v3, s[52:53], v85, v3, s[52:53]
	v_cmp_lt_u32_e64 s[52:53], v80, v0
	s_and_saveexec_b64 s[62:63], s[52:53]
	s_xor_b64 s[52:53], exec, s[62:63]
	s_cbranch_execz .LBB1355_309
; %bb.294:                              ;   in Loop: Header=BB1355_237 Depth=2
	global_load_dwordx2 v[36:37], v[2:3], off
	s_or_b64 exec, exec, s[52:53]
	v_cmp_lt_u32_e64 s[52:53], v87, v0
	s_and_saveexec_b64 s[62:63], s[52:53]
	s_cbranch_execnz .LBB1355_310
.LBB1355_295:                           ;   in Loop: Header=BB1355_237 Depth=2
	s_or_b64 exec, exec, s[62:63]
	v_cmp_lt_u32_e64 s[52:53], v88, v0
	s_and_saveexec_b64 s[62:63], s[52:53]
	s_cbranch_execz .LBB1355_311
.LBB1355_296:                           ;   in Loop: Header=BB1355_237 Depth=2
	global_load_dwordx2 v[32:33], v[2:3], off offset:1024
	s_or_b64 exec, exec, s[62:63]
	v_cmp_lt_u32_e64 s[52:53], v89, v0
	s_and_saveexec_b64 s[62:63], s[52:53]
	s_cbranch_execnz .LBB1355_312
.LBB1355_297:                           ;   in Loop: Header=BB1355_237 Depth=2
	s_or_b64 exec, exec, s[62:63]
	v_cmp_lt_u32_e64 s[52:53], v90, v0
	s_and_saveexec_b64 s[62:63], s[52:53]
	s_cbranch_execz .LBB1355_313
.LBB1355_298:                           ;   in Loop: Header=BB1355_237 Depth=2
	global_load_dwordx2 v[16:17], v[2:3], off offset:2048
	s_or_b64 exec, exec, s[62:63]
	v_cmp_lt_u32_e64 s[52:53], v91, v0
	s_and_saveexec_b64 s[62:63], s[52:53]
	s_cbranch_execnz .LBB1355_314
.LBB1355_299:                           ;   in Loop: Header=BB1355_237 Depth=2
	s_or_b64 exec, exec, s[62:63]
	v_cmp_lt_u32_e64 s[52:53], v92, v0
	s_and_saveexec_b64 s[62:63], s[52:53]
	s_cbranch_execz .LBB1355_315
.LBB1355_300:                           ;   in Loop: Header=BB1355_237 Depth=2
	global_load_dwordx2 v[12:13], v[2:3], off offset:3072
	s_or_b64 exec, exec, s[62:63]
	v_cmp_lt_u32_e64 s[52:53], v93, v0
	s_and_saveexec_b64 s[62:63], s[52:53]
	s_cbranch_execnz .LBB1355_316
.LBB1355_301:                           ;   in Loop: Header=BB1355_237 Depth=2
	s_or_b64 exec, exec, s[62:63]
	s_and_saveexec_b64 s[62:63], vcc
	s_cbranch_execz .LBB1355_317
.LBB1355_302:                           ;   in Loop: Header=BB1355_237 Depth=2
	ds_read_b32 v0, v53 offset:1024
	s_waitcnt lgkmcnt(0)
	v_cmp_ne_u32_e64 s[52:53], s76, v0
	v_cndmask_b32_e64 v0, v73, v0, s[52:53]
	v_lshrrev_b32_e32 v0, s85, v0
	v_and_b32_e32 v86, s86, v0
	s_or_b64 exec, exec, s[62:63]
	s_and_saveexec_b64 s[62:63], s[36:37]
	s_cbranch_execnz .LBB1355_318
.LBB1355_303:                           ;   in Loop: Header=BB1355_237 Depth=2
	s_or_b64 exec, exec, s[62:63]
	s_and_saveexec_b64 s[62:63], s[38:39]
	s_cbranch_execz .LBB1355_319
.LBB1355_304:                           ;   in Loop: Header=BB1355_237 Depth=2
	ds_read_b32 v0, v58 offset:2048
	s_waitcnt lgkmcnt(0)
	v_cmp_ne_u32_e64 s[52:53], s76, v0
	v_cndmask_b32_e64 v0, v73, v0, s[52:53]
	v_lshrrev_b32_e32 v0, s85, v0
	v_and_b32_e32 v82, s86, v0
	s_or_b64 exec, exec, s[62:63]
	s_and_saveexec_b64 s[62:63], s[40:41]
	s_cbranch_execnz .LBB1355_320
.LBB1355_305:                           ;   in Loop: Header=BB1355_237 Depth=2
	s_or_b64 exec, exec, s[62:63]
	s_and_saveexec_b64 s[62:63], s[42:43]
	s_cbranch_execz .LBB1355_321
.LBB1355_306:                           ;   in Loop: Header=BB1355_237 Depth=2
	ds_read_b32 v0, v58 offset:4096
	s_waitcnt lgkmcnt(0)
	v_cmp_ne_u32_e64 s[52:53], s76, v0
	v_cndmask_b32_e64 v0, v73, v0, s[52:53]
	v_lshrrev_b32_e32 v0, s85, v0
	v_and_b32_e32 v79, s86, v0
	s_or_b64 exec, exec, s[62:63]
	s_and_saveexec_b64 s[62:63], s[44:45]
	s_cbranch_execnz .LBB1355_322
.LBB1355_307:                           ;   in Loop: Header=BB1355_237 Depth=2
	s_or_b64 exec, exec, s[62:63]
	s_and_saveexec_b64 s[62:63], s[46:47]
	s_cbranch_execz .LBB1355_323
.LBB1355_308:                           ;   in Loop: Header=BB1355_237 Depth=2
	ds_read_b32 v0, v58 offset:6144
	s_waitcnt lgkmcnt(0)
	v_cmp_ne_u32_e64 s[52:53], s76, v0
	v_cndmask_b32_e64 v0, v73, v0, s[52:53]
	v_lshrrev_b32_e32 v0, s85, v0
	v_and_b32_e32 v77, s86, v0
	s_or_b64 exec, exec, s[62:63]
	s_and_saveexec_b64 s[62:63], s[48:49]
	s_cbranch_execnz .LBB1355_324
	s_branch .LBB1355_325
.LBB1355_309:                           ;   in Loop: Header=BB1355_237 Depth=2
	s_or_b64 exec, exec, s[52:53]
	v_cmp_lt_u32_e64 s[52:53], v87, v0
	s_and_saveexec_b64 s[62:63], s[52:53]
	s_cbranch_execz .LBB1355_295
.LBB1355_310:                           ;   in Loop: Header=BB1355_237 Depth=2
	global_load_dwordx2 v[34:35], v[2:3], off offset:512
	s_or_b64 exec, exec, s[62:63]
	v_cmp_lt_u32_e64 s[52:53], v88, v0
	s_and_saveexec_b64 s[62:63], s[52:53]
	s_cbranch_execnz .LBB1355_296
.LBB1355_311:                           ;   in Loop: Header=BB1355_237 Depth=2
	s_or_b64 exec, exec, s[62:63]
	v_cmp_lt_u32_e64 s[52:53], v89, v0
	s_and_saveexec_b64 s[62:63], s[52:53]
	s_cbranch_execz .LBB1355_297
.LBB1355_312:                           ;   in Loop: Header=BB1355_237 Depth=2
	global_load_dwordx2 v[30:31], v[2:3], off offset:1536
	s_or_b64 exec, exec, s[62:63]
	v_cmp_lt_u32_e64 s[52:53], v90, v0
	s_and_saveexec_b64 s[62:63], s[52:53]
	s_cbranch_execnz .LBB1355_298
.LBB1355_313:                           ;   in Loop: Header=BB1355_237 Depth=2
	s_or_b64 exec, exec, s[62:63]
	v_cmp_lt_u32_e64 s[52:53], v91, v0
	s_and_saveexec_b64 s[62:63], s[52:53]
	s_cbranch_execz .LBB1355_299
.LBB1355_314:                           ;   in Loop: Header=BB1355_237 Depth=2
	global_load_dwordx2 v[14:15], v[2:3], off offset:2560
	s_or_b64 exec, exec, s[62:63]
	v_cmp_lt_u32_e64 s[52:53], v92, v0
	s_and_saveexec_b64 s[62:63], s[52:53]
	s_cbranch_execnz .LBB1355_300
.LBB1355_315:                           ;   in Loop: Header=BB1355_237 Depth=2
	s_or_b64 exec, exec, s[62:63]
	v_cmp_lt_u32_e64 s[52:53], v93, v0
	s_and_saveexec_b64 s[62:63], s[52:53]
	s_cbranch_execz .LBB1355_301
.LBB1355_316:                           ;   in Loop: Header=BB1355_237 Depth=2
	global_load_dwordx2 v[10:11], v[2:3], off offset:3584
	s_or_b64 exec, exec, s[62:63]
	s_and_saveexec_b64 s[62:63], vcc
	s_cbranch_execnz .LBB1355_302
.LBB1355_317:                           ;   in Loop: Header=BB1355_237 Depth=2
	s_or_b64 exec, exec, s[62:63]
	s_and_saveexec_b64 s[62:63], s[36:37]
	s_cbranch_execz .LBB1355_303
.LBB1355_318:                           ;   in Loop: Header=BB1355_237 Depth=2
	ds_read_b32 v0, v58 offset:1024
	s_waitcnt lgkmcnt(0)
	v_cmp_ne_u32_e64 s[52:53], s76, v0
	v_cndmask_b32_e64 v0, v73, v0, s[52:53]
	v_lshrrev_b32_e32 v0, s85, v0
	v_and_b32_e32 v84, s86, v0
	s_or_b64 exec, exec, s[62:63]
	s_and_saveexec_b64 s[62:63], s[38:39]
	s_cbranch_execnz .LBB1355_304
.LBB1355_319:                           ;   in Loop: Header=BB1355_237 Depth=2
	s_or_b64 exec, exec, s[62:63]
	s_and_saveexec_b64 s[62:63], s[40:41]
	s_cbranch_execz .LBB1355_305
.LBB1355_320:                           ;   in Loop: Header=BB1355_237 Depth=2
	ds_read_b32 v0, v58 offset:3072
	s_waitcnt lgkmcnt(0)
	v_cmp_ne_u32_e64 s[52:53], s76, v0
	v_cndmask_b32_e64 v0, v73, v0, s[52:53]
	v_lshrrev_b32_e32 v0, s85, v0
	v_and_b32_e32 v81, s86, v0
	s_or_b64 exec, exec, s[62:63]
	s_and_saveexec_b64 s[62:63], s[42:43]
	s_cbranch_execnz .LBB1355_306
.LBB1355_321:                           ;   in Loop: Header=BB1355_237 Depth=2
	s_or_b64 exec, exec, s[62:63]
	s_and_saveexec_b64 s[62:63], s[44:45]
	s_cbranch_execz .LBB1355_307
.LBB1355_322:                           ;   in Loop: Header=BB1355_237 Depth=2
	ds_read_b32 v0, v58 offset:5120
	s_waitcnt lgkmcnt(0)
	v_cmp_ne_u32_e64 s[52:53], s76, v0
	v_cndmask_b32_e64 v0, v73, v0, s[52:53]
	v_lshrrev_b32_e32 v0, s85, v0
	v_and_b32_e32 v78, s86, v0
	s_or_b64 exec, exec, s[62:63]
	s_and_saveexec_b64 s[62:63], s[46:47]
	s_cbranch_execnz .LBB1355_308
.LBB1355_323:                           ;   in Loop: Header=BB1355_237 Depth=2
	s_or_b64 exec, exec, s[62:63]
	s_and_saveexec_b64 s[62:63], s[48:49]
	s_cbranch_execz .LBB1355_325
.LBB1355_324:                           ;   in Loop: Header=BB1355_237 Depth=2
	ds_read_b32 v0, v58 offset:7168
	s_waitcnt lgkmcnt(0)
	v_cmp_ne_u32_e64 s[52:53], s76, v0
	v_cndmask_b32_e64 v0, v73, v0, s[52:53]
	v_lshrrev_b32_e32 v0, s85, v0
	v_and_b32_e32 v76, s86, v0
.LBB1355_325:                           ;   in Loop: Header=BB1355_237 Depth=2
	s_or_b64 exec, exec, s[62:63]
	v_lshlrev_b32_e32 v0, 3, v100
	s_barrier
	s_waitcnt vmcnt(0)
	ds_write_b64 v0, v[36:37] offset:1024
	v_lshlrev_b32_e32 v0, 3, v39
	ds_write_b64 v0, v[34:35] offset:1024
	v_lshlrev_b32_e32 v0, 3, v21
	;; [unrolled: 2-line block ×7, first 2 shown]
	ds_write_b64 v0, v[10:11] offset:1024
	s_waitcnt lgkmcnt(0)
	s_barrier
	s_and_saveexec_b64 s[52:53], vcc
	s_cbranch_execz .LBB1355_333
; %bb.326:                              ;   in Loop: Header=BB1355_237 Depth=2
	v_lshlrev_b32_e32 v0, 2, v86
	ds_read_b32 v0, v0
	v_add_u32_e32 v2, v53, v19
	ds_read_b64 v[2:3], v2 offset:1024
	v_mov_b32_e32 v7, v20
	v_mov_b32_e32 v5, s75
	s_waitcnt lgkmcnt(1)
	v_add_u32_e32 v6, v0, v18
	v_lshlrev_b64 v[6:7], 3, v[6:7]
	v_add_co_u32_e32 v6, vcc, s74, v6
	v_addc_co_u32_e32 v7, vcc, v5, v7, vcc
	s_waitcnt lgkmcnt(0)
	global_store_dwordx2 v[6:7], v[2:3], off
	s_or_b64 exec, exec, s[52:53]
	s_and_saveexec_b64 s[52:53], s[36:37]
	s_cbranch_execnz .LBB1355_334
.LBB1355_327:                           ;   in Loop: Header=BB1355_237 Depth=2
	s_or_b64 exec, exec, s[52:53]
	s_and_saveexec_b64 s[36:37], s[38:39]
	s_cbranch_execz .LBB1355_335
.LBB1355_328:                           ;   in Loop: Header=BB1355_237 Depth=2
	v_lshlrev_b32_e32 v0, 2, v82
	ds_read_b32 v0, v0
	v_add_u32_e32 v2, v58, v19
	ds_read_b64 v[2:3], v2 offset:4096
	v_mov_b32_e32 v7, v20
	v_mov_b32_e32 v5, s75
	s_waitcnt lgkmcnt(1)
	v_add_u32_e32 v6, v0, v25
	v_lshlrev_b64 v[6:7], 3, v[6:7]
	v_add_co_u32_e32 v6, vcc, s74, v6
	v_addc_co_u32_e32 v7, vcc, v5, v7, vcc
	s_waitcnt lgkmcnt(0)
	global_store_dwordx2 v[6:7], v[2:3], off
	s_or_b64 exec, exec, s[36:37]
	s_and_saveexec_b64 s[36:37], s[40:41]
	s_cbranch_execnz .LBB1355_336
.LBB1355_329:                           ;   in Loop: Header=BB1355_237 Depth=2
	s_or_b64 exec, exec, s[36:37]
	s_and_saveexec_b64 s[36:37], s[42:43]
	s_cbranch_execz .LBB1355_337
.LBB1355_330:                           ;   in Loop: Header=BB1355_237 Depth=2
	v_lshlrev_b32_e32 v0, 2, v79
	ds_read_b32 v0, v0
	v_add_u32_e32 v2, v58, v19
	ds_read_b64 v[2:3], v2 offset:8192
	v_mov_b32_e32 v7, v20
	v_mov_b32_e32 v5, s75
	s_waitcnt lgkmcnt(1)
	v_add_u32_e32 v6, v0, v22
	v_lshlrev_b64 v[6:7], 3, v[6:7]
	v_add_co_u32_e32 v6, vcc, s74, v6
	v_addc_co_u32_e32 v7, vcc, v5, v7, vcc
	s_waitcnt lgkmcnt(0)
	global_store_dwordx2 v[6:7], v[2:3], off
	s_or_b64 exec, exec, s[36:37]
	s_and_saveexec_b64 s[36:37], s[44:45]
	s_cbranch_execnz .LBB1355_338
.LBB1355_331:                           ;   in Loop: Header=BB1355_237 Depth=2
	s_or_b64 exec, exec, s[36:37]
	s_and_saveexec_b64 s[36:37], s[46:47]
	s_cbranch_execz .LBB1355_339
.LBB1355_332:                           ;   in Loop: Header=BB1355_237 Depth=2
	v_lshlrev_b32_e32 v0, 2, v77
	ds_read_b32 v0, v0
	v_add_u32_e32 v2, v58, v19
	ds_read_b64 v[2:3], v2 offset:12288
	v_mov_b32_e32 v7, v20
	v_mov_b32_e32 v5, s75
	s_waitcnt lgkmcnt(1)
	v_add_u32_e32 v6, v0, v26
	v_lshlrev_b64 v[6:7], 3, v[6:7]
	v_add_co_u32_e32 v6, vcc, s74, v6
	v_addc_co_u32_e32 v7, vcc, v5, v7, vcc
	s_waitcnt lgkmcnt(0)
	global_store_dwordx2 v[6:7], v[2:3], off
	s_or_b64 exec, exec, s[36:37]
	s_and_saveexec_b64 s[36:37], s[48:49]
	s_cbranch_execnz .LBB1355_340
	s_branch .LBB1355_341
.LBB1355_333:                           ;   in Loop: Header=BB1355_237 Depth=2
	s_or_b64 exec, exec, s[52:53]
	s_and_saveexec_b64 s[52:53], s[36:37]
	s_cbranch_execz .LBB1355_327
.LBB1355_334:                           ;   in Loop: Header=BB1355_237 Depth=2
	v_lshlrev_b32_e32 v0, 2, v84
	ds_read_b32 v0, v0
	v_add_u32_e32 v2, v58, v19
	ds_read_b64 v[2:3], v2 offset:2048
	v_mov_b32_e32 v7, v20
	v_mov_b32_e32 v5, s75
	s_waitcnt lgkmcnt(1)
	v_add_u32_e32 v6, v0, v23
	v_lshlrev_b64 v[6:7], 3, v[6:7]
	v_add_co_u32_e32 v6, vcc, s74, v6
	v_addc_co_u32_e32 v7, vcc, v5, v7, vcc
	s_waitcnt lgkmcnt(0)
	global_store_dwordx2 v[6:7], v[2:3], off
	s_or_b64 exec, exec, s[52:53]
	s_and_saveexec_b64 s[36:37], s[38:39]
	s_cbranch_execnz .LBB1355_328
.LBB1355_335:                           ;   in Loop: Header=BB1355_237 Depth=2
	s_or_b64 exec, exec, s[36:37]
	s_and_saveexec_b64 s[36:37], s[40:41]
	s_cbranch_execz .LBB1355_329
.LBB1355_336:                           ;   in Loop: Header=BB1355_237 Depth=2
	v_lshlrev_b32_e32 v0, 2, v81
	ds_read_b32 v0, v0
	v_add_u32_e32 v2, v58, v19
	ds_read_b64 v[2:3], v2 offset:6144
	v_mov_b32_e32 v7, v20
	v_mov_b32_e32 v5, s75
	s_waitcnt lgkmcnt(1)
	v_add_u32_e32 v6, v0, v27
	v_lshlrev_b64 v[6:7], 3, v[6:7]
	v_add_co_u32_e32 v6, vcc, s74, v6
	v_addc_co_u32_e32 v7, vcc, v5, v7, vcc
	s_waitcnt lgkmcnt(0)
	global_store_dwordx2 v[6:7], v[2:3], off
	s_or_b64 exec, exec, s[36:37]
	s_and_saveexec_b64 s[36:37], s[42:43]
	s_cbranch_execnz .LBB1355_330
.LBB1355_337:                           ;   in Loop: Header=BB1355_237 Depth=2
	s_or_b64 exec, exec, s[36:37]
	s_and_saveexec_b64 s[36:37], s[44:45]
	s_cbranch_execz .LBB1355_331
.LBB1355_338:                           ;   in Loop: Header=BB1355_237 Depth=2
	v_lshlrev_b32_e32 v0, 2, v78
	ds_read_b32 v0, v0
	v_add_u32_e32 v2, v58, v19
	ds_read_b64 v[2:3], v2 offset:10240
	v_mov_b32_e32 v7, v20
	v_mov_b32_e32 v5, s75
	s_waitcnt lgkmcnt(1)
	v_add_u32_e32 v6, v0, v24
	v_lshlrev_b64 v[6:7], 3, v[6:7]
	v_add_co_u32_e32 v6, vcc, s74, v6
	v_addc_co_u32_e32 v7, vcc, v5, v7, vcc
	s_waitcnt lgkmcnt(0)
	global_store_dwordx2 v[6:7], v[2:3], off
	s_or_b64 exec, exec, s[36:37]
	s_and_saveexec_b64 s[36:37], s[46:47]
	s_cbranch_execnz .LBB1355_332
.LBB1355_339:                           ;   in Loop: Header=BB1355_237 Depth=2
	s_or_b64 exec, exec, s[36:37]
	s_and_saveexec_b64 s[36:37], s[48:49]
	s_cbranch_execz .LBB1355_341
.LBB1355_340:                           ;   in Loop: Header=BB1355_237 Depth=2
	v_lshlrev_b32_e32 v0, 2, v76
	ds_read_b32 v0, v0
	v_add_u32_e32 v2, v58, v19
	ds_read_b64 v[2:3], v2 offset:14336
	v_mov_b32_e32 v7, v20
	v_mov_b32_e32 v5, s75
	s_waitcnt lgkmcnt(1)
	v_add_u32_e32 v6, v0, v28
	v_lshlrev_b64 v[6:7], 3, v[6:7]
	v_add_co_u32_e32 v6, vcc, s74, v6
	v_addc_co_u32_e32 v7, vcc, v5, v7, vcc
	s_waitcnt lgkmcnt(0)
	global_store_dwordx2 v[6:7], v[2:3], off
.LBB1355_341:                           ;   in Loop: Header=BB1355_237 Depth=2
	s_or_b64 exec, exec, s[36:37]
	s_barrier
	s_and_saveexec_b64 s[36:37], s[4:5]
	s_cbranch_execz .LBB1355_236
; %bb.342:                              ;   in Loop: Header=BB1355_237 Depth=2
	ds_read_b32 v0, v19
	s_waitcnt lgkmcnt(0)
	v_add_u32_e32 v0, v0, v4
	ds_write_b32 v19, v0
	s_branch .LBB1355_236
.LBB1355_343:                           ;   in Loop: Header=BB1355_237 Depth=2
	s_or_b64 exec, exec, s[36:37]
	v_cmp_gt_u32_e32 vcc, s87, v87
	s_and_saveexec_b64 s[36:37], vcc
	s_cbranch_execz .LBB1355_242
.LBB1355_344:                           ;   in Loop: Header=BB1355_237 Depth=2
	global_load_dword v3, v[38:39], off offset:256
	s_or_b64 exec, exec, s[36:37]
	v_cmp_gt_u32_e32 vcc, s87, v88
	s_and_saveexec_b64 s[36:37], vcc
	s_cbranch_execnz .LBB1355_243
.LBB1355_345:                           ;   in Loop: Header=BB1355_237 Depth=2
	s_or_b64 exec, exec, s[36:37]
	v_cmp_gt_u32_e32 vcc, s87, v89
	s_and_saveexec_b64 s[36:37], vcc
	s_cbranch_execz .LBB1355_244
.LBB1355_346:                           ;   in Loop: Header=BB1355_237 Depth=2
	global_load_dword v5, v[38:39], off offset:768
	s_or_b64 exec, exec, s[36:37]
	v_cmp_gt_u32_e32 vcc, s87, v90
	s_and_saveexec_b64 s[36:37], vcc
	s_cbranch_execnz .LBB1355_245
.LBB1355_347:                           ;   in Loop: Header=BB1355_237 Depth=2
	s_or_b64 exec, exec, s[36:37]
	v_cmp_gt_u32_e32 vcc, s87, v91
	s_and_saveexec_b64 s[36:37], vcc
	s_cbranch_execz .LBB1355_246
.LBB1355_348:                           ;   in Loop: Header=BB1355_237 Depth=2
	global_load_dword v7, v[38:39], off offset:1280
	s_or_b64 exec, exec, s[36:37]
	v_cmp_gt_u32_e32 vcc, s87, v92
	s_and_saveexec_b64 s[36:37], vcc
	s_cbranch_execnz .LBB1355_247
	s_branch .LBB1355_248
.LBB1355_349:                           ;   in Loop: Header=BB1355_17 Depth=1
	s_waitcnt lgkmcnt(0)
	s_barrier
.LBB1355_350:                           ;   in Loop: Header=BB1355_17 Depth=1
	s_mov_b64 s[16:17], 0
.LBB1355_351:                           ;   in Loop: Header=BB1355_17 Depth=1
	s_andn2_b64 vcc, exec, s[16:17]
	s_cbranch_vccnz .LBB1355_16
; %bb.352:                              ;   in Loop: Header=BB1355_17 Depth=1
	s_mov_b64 s[16:17], -1
	s_and_b64 vcc, exec, s[54:55]
	s_cbranch_vccz .LBB1355_518
; %bb.353:                              ;   in Loop: Header=BB1355_17 Depth=1
	s_mov_b32 s22, s79
	s_mov_b32 s80, s51
	s_barrier
	s_waitcnt lgkmcnt(0)
                                        ; implicit-def: $vgpr2_vgpr3_vgpr4_vgpr5_vgpr6_vgpr7_vgpr8_vgpr9
	s_branch .LBB1355_355
.LBB1355_354:                           ;   in Loop: Header=BB1355_355 Depth=2
	s_or_b64 exec, exec, s[16:17]
	s_addk_i32 s22, 0xf800
	s_cmp_ge_u32 s23, s84
	s_mov_b32 s80, s23
	s_cbranch_scc1 .LBB1355_393
.LBB1355_355:                           ;   Parent Loop BB1355_17 Depth=1
                                        ; =>  This Inner Loop Header: Depth=2
	s_add_i32 s23, s80, 0x800
	s_cmp_gt_u32 s23, s84
	s_cbranch_scc1 .LBB1355_358
; %bb.356:                              ;   in Loop: Header=BB1355_355 Depth=2
	s_lshl_b64 s[16:17], s[80:81], 2
	v_mov_b32_e32 v0, s17
	v_add_co_u32_e32 v30, vcc, s16, v65
	v_addc_co_u32_e32 v31, vcc, v66, v0, vcc
	v_add_co_u32_e32 v32, vcc, 0x1000, v30
	v_addc_co_u32_e32 v33, vcc, 0, v31, vcc
	global_load_dword v10, v[30:31], off
	global_load_dword v11, v[30:31], off offset:1024
	global_load_dword v12, v[30:31], off offset:2048
	;; [unrolled: 1-line block ×3, first 2 shown]
	global_load_dword v14, v[32:33], off
	global_load_dword v15, v[32:33], off offset:1024
	global_load_dword v16, v[32:33], off offset:2048
	v_add_co_u32_e32 v30, vcc, 0x1c00, v30
	v_addc_co_u32_e32 v31, vcc, 0, v31, vcc
	s_mov_b64 s[16:17], -1
	s_movk_i32 s24, 0x800
	s_cbranch_execz .LBB1355_359
; %bb.357:                              ;   in Loop: Header=BB1355_355 Depth=2
                                        ; implicit-def: $vgpr2_vgpr3_vgpr4_vgpr5_vgpr6_vgpr7_vgpr8_vgpr9
	v_mov_b32_e32 v0, s22
	s_and_saveexec_b64 s[18:19], s[16:17]
	s_cbranch_execnz .LBB1355_370
	s_branch .LBB1355_371
.LBB1355_358:                           ;   in Loop: Header=BB1355_355 Depth=2
	s_mov_b64 s[16:17], 0
                                        ; implicit-def: $sgpr24
                                        ; implicit-def: $vgpr10_vgpr11_vgpr12_vgpr13_vgpr14_vgpr15_vgpr16_vgpr17
                                        ; implicit-def: $vgpr30_vgpr31
.LBB1355_359:                           ;   in Loop: Header=BB1355_355 Depth=2
	s_lshl_b64 s[18:19], s[80:81], 2
	s_add_u32 s18, s56, s18
	s_addc_u32 s19, s57, s19
	v_cmp_gt_u32_e32 vcc, s22, v18
	s_and_saveexec_b64 s[20:21], vcc
	s_cbranch_execz .LBB1355_387
; %bb.360:                              ;   in Loop: Header=BB1355_355 Depth=2
	global_load_dword v2, v72, s[18:19]
	s_or_b64 exec, exec, s[20:21]
	v_cmp_gt_u32_e32 vcc, s22, v23
	s_and_saveexec_b64 s[20:21], vcc
	s_cbranch_execnz .LBB1355_388
.LBB1355_361:                           ;   in Loop: Header=BB1355_355 Depth=2
	s_or_b64 exec, exec, s[20:21]
	v_cmp_gt_u32_e32 vcc, s22, v25
	s_and_saveexec_b64 s[20:21], vcc
	s_cbranch_execz .LBB1355_389
.LBB1355_362:                           ;   in Loop: Header=BB1355_355 Depth=2
	global_load_dword v4, v72, s[18:19] offset:2048
	s_or_b64 exec, exec, s[20:21]
	v_cmp_gt_u32_e32 vcc, s22, v27
	s_and_saveexec_b64 s[20:21], vcc
	s_cbranch_execnz .LBB1355_390
.LBB1355_363:                           ;   in Loop: Header=BB1355_355 Depth=2
	s_or_b64 exec, exec, s[20:21]
	v_cmp_gt_u32_e32 vcc, s22, v22
	s_and_saveexec_b64 s[20:21], vcc
	s_cbranch_execz .LBB1355_391
.LBB1355_364:                           ;   in Loop: Header=BB1355_355 Depth=2
	v_lshlrev_b32_e32 v0, 2, v22
	global_load_dword v6, v0, s[18:19]
	s_or_b64 exec, exec, s[20:21]
	v_cmp_gt_u32_e32 vcc, s22, v24
	s_and_saveexec_b64 s[20:21], vcc
	s_cbranch_execnz .LBB1355_392
.LBB1355_365:                           ;   in Loop: Header=BB1355_355 Depth=2
	s_or_b64 exec, exec, s[20:21]
	v_cmp_gt_u32_e32 vcc, s22, v26
	s_and_saveexec_b64 s[20:21], vcc
	s_cbranch_execz .LBB1355_367
.LBB1355_366:                           ;   in Loop: Header=BB1355_355 Depth=2
	v_lshlrev_b32_e32 v0, 2, v26
	global_load_dword v8, v0, s[18:19]
.LBB1355_367:                           ;   in Loop: Header=BB1355_355 Depth=2
	s_or_b64 exec, exec, s[20:21]
	v_cmp_gt_u32_e32 vcc, s22, v28
                                        ; implicit-def: $sgpr24
                                        ; implicit-def: $vgpr30_vgpr31
	s_and_saveexec_b64 s[20:21], vcc
	s_cbranch_execz .LBB1355_369
; %bb.368:                              ;   in Loop: Header=BB1355_355 Depth=2
	v_lshlrev_b32_e32 v0, 2, v28
	s_waitcnt vmcnt(6)
	v_mov_b32_e32 v10, s19
	v_add_co_u32_e32 v30, vcc, s18, v0
	s_sub_i32 s24, s84, s80
	v_addc_co_u32_e32 v31, vcc, 0, v10, vcc
	s_or_b64 s[16:17], s[16:17], exec
.LBB1355_369:                           ;   in Loop: Header=BB1355_355 Depth=2
	s_or_b64 exec, exec, s[20:21]
	s_waitcnt vmcnt(0)
	v_pk_mov_b32 v[16:17], v[8:9], v[8:9] op_sel:[0,1]
	v_pk_mov_b32 v[14:15], v[6:7], v[6:7] op_sel:[0,1]
	;; [unrolled: 1-line block ×4, first 2 shown]
	v_mov_b32_e32 v0, s22
	s_and_saveexec_b64 s[18:19], s[16:17]
	s_cbranch_execz .LBB1355_371
.LBB1355_370:                           ;   in Loop: Header=BB1355_355 Depth=2
	global_load_dword v17, v[30:31], off
	s_waitcnt vmcnt(0)
	v_pk_mov_b32 v[2:3], v[10:11], v[10:11] op_sel:[0,1]
	v_mov_b32_e32 v0, s24
	v_pk_mov_b32 v[4:5], v[12:13], v[12:13] op_sel:[0,1]
	v_pk_mov_b32 v[6:7], v[14:15], v[14:15] op_sel:[0,1]
	;; [unrolled: 1-line block ×3, first 2 shown]
.LBB1355_371:                           ;   in Loop: Header=BB1355_355 Depth=2
	s_or_b64 exec, exec, s[18:19]
	v_cmp_lt_u32_e32 vcc, v18, v0
	s_and_saveexec_b64 s[16:17], vcc
	s_cbranch_execz .LBB1355_379
; %bb.372:                              ;   in Loop: Header=BB1355_355 Depth=2
	v_cmp_gt_i32_e32 vcc, 0, v2
	s_waitcnt vmcnt(6)
	v_cndmask_b32_e64 v10, v73, 0, vcc
	v_xor_b32_e32 v10, v10, v2
	v_cmp_ne_u32_e32 vcc, s76, v10
	v_cndmask_b32_e32 v10, v73, v10, vcc
	v_lshrrev_b32_e32 v10, s77, v10
	v_and_b32_e32 v10, s86, v10
	s_waitcnt vmcnt(5)
	v_lshlrev_b32_e32 v11, 2, v29
	v_lshl_or_b32 v10, v10, 4, v11
	ds_add_u32 v10, v71
	s_or_b64 exec, exec, s[16:17]
	v_cmp_lt_u32_e32 vcc, v23, v0
	s_and_saveexec_b64 s[16:17], vcc
	s_cbranch_execnz .LBB1355_380
.LBB1355_373:                           ;   in Loop: Header=BB1355_355 Depth=2
	s_or_b64 exec, exec, s[16:17]
	v_cmp_lt_u32_e32 vcc, v25, v0
	s_and_saveexec_b64 s[16:17], vcc
	s_cbranch_execz .LBB1355_381
.LBB1355_374:                           ;   in Loop: Header=BB1355_355 Depth=2
	v_cmp_gt_i32_e32 vcc, 0, v4
	s_waitcnt vmcnt(6)
	v_cndmask_b32_e64 v10, v73, 0, vcc
	v_xor_b32_e32 v10, v10, v4
	v_cmp_ne_u32_e32 vcc, s76, v10
	v_cndmask_b32_e32 v10, v73, v10, vcc
	v_lshrrev_b32_e32 v10, s77, v10
	v_and_b32_e32 v10, s86, v10
	s_waitcnt vmcnt(5)
	v_lshlrev_b32_e32 v11, 2, v29
	v_lshl_or_b32 v10, v10, 4, v11
	ds_add_u32 v10, v71
	s_or_b64 exec, exec, s[16:17]
	v_cmp_lt_u32_e32 vcc, v27, v0
	s_and_saveexec_b64 s[16:17], vcc
	s_cbranch_execnz .LBB1355_382
.LBB1355_375:                           ;   in Loop: Header=BB1355_355 Depth=2
	s_or_b64 exec, exec, s[16:17]
	v_cmp_lt_u32_e32 vcc, v22, v0
	s_and_saveexec_b64 s[16:17], vcc
	s_cbranch_execz .LBB1355_383
.LBB1355_376:                           ;   in Loop: Header=BB1355_355 Depth=2
	v_cmp_gt_i32_e32 vcc, 0, v6
	s_waitcnt vmcnt(6)
	v_cndmask_b32_e64 v10, v73, 0, vcc
	v_xor_b32_e32 v10, v10, v6
	v_cmp_ne_u32_e32 vcc, s76, v10
	v_cndmask_b32_e32 v10, v73, v10, vcc
	v_lshrrev_b32_e32 v10, s77, v10
	v_and_b32_e32 v10, s86, v10
	s_waitcnt vmcnt(5)
	v_lshlrev_b32_e32 v11, 2, v29
	v_lshl_or_b32 v10, v10, 4, v11
	ds_add_u32 v10, v71
	s_or_b64 exec, exec, s[16:17]
	v_cmp_lt_u32_e32 vcc, v24, v0
	s_and_saveexec_b64 s[16:17], vcc
	s_cbranch_execnz .LBB1355_384
.LBB1355_377:                           ;   in Loop: Header=BB1355_355 Depth=2
	s_or_b64 exec, exec, s[16:17]
	v_cmp_lt_u32_e32 vcc, v26, v0
	s_and_saveexec_b64 s[16:17], vcc
	s_cbranch_execz .LBB1355_385
.LBB1355_378:                           ;   in Loop: Header=BB1355_355 Depth=2
	v_cmp_gt_i32_e32 vcc, 0, v8
	s_waitcnt vmcnt(6)
	v_cndmask_b32_e64 v10, v73, 0, vcc
	v_xor_b32_e32 v10, v10, v8
	v_cmp_ne_u32_e32 vcc, s76, v10
	v_cndmask_b32_e32 v10, v73, v10, vcc
	v_lshrrev_b32_e32 v10, s77, v10
	v_and_b32_e32 v10, s86, v10
	s_waitcnt vmcnt(5)
	v_lshlrev_b32_e32 v11, 2, v29
	v_lshl_or_b32 v10, v10, 4, v11
	ds_add_u32 v10, v71
	s_or_b64 exec, exec, s[16:17]
	v_cmp_lt_u32_e32 vcc, v28, v0
	s_and_saveexec_b64 s[16:17], vcc
	s_cbranch_execz .LBB1355_354
	s_branch .LBB1355_386
.LBB1355_379:                           ;   in Loop: Header=BB1355_355 Depth=2
	s_or_b64 exec, exec, s[16:17]
	v_cmp_lt_u32_e32 vcc, v23, v0
	s_and_saveexec_b64 s[16:17], vcc
	s_cbranch_execz .LBB1355_373
.LBB1355_380:                           ;   in Loop: Header=BB1355_355 Depth=2
	v_cmp_gt_i32_e32 vcc, 0, v3
	s_waitcnt vmcnt(6)
	v_cndmask_b32_e64 v10, v73, 0, vcc
	v_xor_b32_e32 v10, v10, v3
	v_cmp_ne_u32_e32 vcc, s76, v10
	v_cndmask_b32_e32 v10, v73, v10, vcc
	v_lshrrev_b32_e32 v10, s77, v10
	v_and_b32_e32 v10, s86, v10
	s_waitcnt vmcnt(5)
	v_lshlrev_b32_e32 v11, 2, v29
	v_lshl_or_b32 v10, v10, 4, v11
	ds_add_u32 v10, v71
	s_or_b64 exec, exec, s[16:17]
	v_cmp_lt_u32_e32 vcc, v25, v0
	s_and_saveexec_b64 s[16:17], vcc
	s_cbranch_execnz .LBB1355_374
.LBB1355_381:                           ;   in Loop: Header=BB1355_355 Depth=2
	s_or_b64 exec, exec, s[16:17]
	v_cmp_lt_u32_e32 vcc, v27, v0
	s_and_saveexec_b64 s[16:17], vcc
	s_cbranch_execz .LBB1355_375
.LBB1355_382:                           ;   in Loop: Header=BB1355_355 Depth=2
	v_cmp_gt_i32_e32 vcc, 0, v5
	s_waitcnt vmcnt(6)
	v_cndmask_b32_e64 v10, v73, 0, vcc
	v_xor_b32_e32 v10, v10, v5
	v_cmp_ne_u32_e32 vcc, s76, v10
	v_cndmask_b32_e32 v10, v73, v10, vcc
	v_lshrrev_b32_e32 v10, s77, v10
	v_and_b32_e32 v10, s86, v10
	s_waitcnt vmcnt(5)
	v_lshlrev_b32_e32 v11, 2, v29
	v_lshl_or_b32 v10, v10, 4, v11
	ds_add_u32 v10, v71
	s_or_b64 exec, exec, s[16:17]
	v_cmp_lt_u32_e32 vcc, v22, v0
	s_and_saveexec_b64 s[16:17], vcc
	s_cbranch_execnz .LBB1355_376
.LBB1355_383:                           ;   in Loop: Header=BB1355_355 Depth=2
	s_or_b64 exec, exec, s[16:17]
	v_cmp_lt_u32_e32 vcc, v24, v0
	s_and_saveexec_b64 s[16:17], vcc
	s_cbranch_execz .LBB1355_377
.LBB1355_384:                           ;   in Loop: Header=BB1355_355 Depth=2
	v_cmp_gt_i32_e32 vcc, 0, v7
	s_waitcnt vmcnt(6)
	v_cndmask_b32_e64 v10, v73, 0, vcc
	v_xor_b32_e32 v10, v10, v7
	v_cmp_ne_u32_e32 vcc, s76, v10
	v_cndmask_b32_e32 v10, v73, v10, vcc
	v_lshrrev_b32_e32 v10, s77, v10
	v_and_b32_e32 v10, s86, v10
	s_waitcnt vmcnt(5)
	v_lshlrev_b32_e32 v11, 2, v29
	v_lshl_or_b32 v10, v10, 4, v11
	ds_add_u32 v10, v71
	s_or_b64 exec, exec, s[16:17]
	v_cmp_lt_u32_e32 vcc, v26, v0
	s_and_saveexec_b64 s[16:17], vcc
	s_cbranch_execnz .LBB1355_378
.LBB1355_385:                           ;   in Loop: Header=BB1355_355 Depth=2
	s_or_b64 exec, exec, s[16:17]
	v_cmp_lt_u32_e32 vcc, v28, v0
	s_and_saveexec_b64 s[16:17], vcc
	s_cbranch_execz .LBB1355_354
.LBB1355_386:                           ;   in Loop: Header=BB1355_355 Depth=2
	v_cmp_gt_i32_e32 vcc, 0, v9
	v_cndmask_b32_e64 v0, v73, 0, vcc
	v_xor_b32_e32 v0, v0, v9
	v_cmp_ne_u32_e32 vcc, s76, v0
	v_cndmask_b32_e32 v0, v73, v0, vcc
	v_lshrrev_b32_e32 v0, s77, v0
	v_and_b32_e32 v0, s86, v0
	s_waitcnt vmcnt(6)
	v_lshlrev_b32_e32 v10, 2, v29
	v_lshl_or_b32 v0, v0, 4, v10
	ds_add_u32 v0, v71
	s_branch .LBB1355_354
.LBB1355_387:                           ;   in Loop: Header=BB1355_355 Depth=2
	s_or_b64 exec, exec, s[20:21]
	v_cmp_gt_u32_e32 vcc, s22, v23
	s_and_saveexec_b64 s[20:21], vcc
	s_cbranch_execz .LBB1355_361
.LBB1355_388:                           ;   in Loop: Header=BB1355_355 Depth=2
	global_load_dword v3, v72, s[18:19] offset:1024
	s_or_b64 exec, exec, s[20:21]
	v_cmp_gt_u32_e32 vcc, s22, v25
	s_and_saveexec_b64 s[20:21], vcc
	s_cbranch_execnz .LBB1355_362
.LBB1355_389:                           ;   in Loop: Header=BB1355_355 Depth=2
	s_or_b64 exec, exec, s[20:21]
	v_cmp_gt_u32_e32 vcc, s22, v27
	s_and_saveexec_b64 s[20:21], vcc
	s_cbranch_execz .LBB1355_363
.LBB1355_390:                           ;   in Loop: Header=BB1355_355 Depth=2
	global_load_dword v5, v72, s[18:19] offset:3072
	s_or_b64 exec, exec, s[20:21]
	v_cmp_gt_u32_e32 vcc, s22, v22
	s_and_saveexec_b64 s[20:21], vcc
	s_cbranch_execnz .LBB1355_364
.LBB1355_391:                           ;   in Loop: Header=BB1355_355 Depth=2
	s_or_b64 exec, exec, s[20:21]
	v_cmp_gt_u32_e32 vcc, s22, v24
	s_and_saveexec_b64 s[20:21], vcc
	s_cbranch_execz .LBB1355_365
.LBB1355_392:                           ;   in Loop: Header=BB1355_355 Depth=2
	v_lshlrev_b32_e32 v0, 2, v24
	global_load_dword v7, v0, s[18:19]
	s_or_b64 exec, exec, s[20:21]
	v_cmp_gt_u32_e32 vcc, s22, v26
	s_and_saveexec_b64 s[20:21], vcc
	s_cbranch_execz .LBB1355_367
	s_branch .LBB1355_366
.LBB1355_393:                           ;   in Loop: Header=BB1355_17 Depth=1
	v_mov_b32_e32 v0, 0
	s_waitcnt lgkmcnt(0)
	s_barrier
	s_and_saveexec_b64 s[16:17], s[4:5]
	s_cbranch_execz .LBB1355_395
; %bb.394:                              ;   in Loop: Header=BB1355_17 Depth=1
	ds_read2_b64 v[2:5], v42 offset1:1
	s_waitcnt lgkmcnt(0)
	v_add_u32_e32 v0, v3, v2
	v_add3_u32 v0, v0, v4, v5
.LBB1355_395:                           ;   in Loop: Header=BB1355_17 Depth=1
	s_or_b64 exec, exec, s[16:17]
	v_and_b32_e32 v2, 15, v74
	v_mov_b32_dpp v3, v0 row_shr:1 row_mask:0xf bank_mask:0xf
	v_cmp_eq_u32_e64 s[16:17], 0, v2
	v_cndmask_b32_e64 v3, v3, 0, s[16:17]
	v_add_u32_e32 v0, v3, v0
	v_cmp_lt_u32_e64 s[18:19], 1, v2
	v_cmp_lt_u32_e64 s[20:21], 3, v2
	v_mov_b32_dpp v3, v0 row_shr:2 row_mask:0xf bank_mask:0xf
	v_cndmask_b32_e64 v3, 0, v3, s[18:19]
	v_add_u32_e32 v0, v0, v3
	v_cmp_lt_u32_e64 s[22:23], 7, v2
	v_cmp_lt_u32_e64 s[26:27], 31, v74
	v_mov_b32_dpp v3, v0 row_shr:4 row_mask:0xf bank_mask:0xf
	v_cndmask_b32_e64 v3, 0, v3, s[20:21]
	v_add_u32_e32 v0, v0, v3
	v_and_b32_e32 v4, 16, v74
	v_cmp_eq_u32_e64 s[24:25], 0, v4
	v_mov_b32_dpp v3, v0 row_shr:8 row_mask:0xf bank_mask:0xf
	v_cndmask_b32_e64 v2, 0, v3, s[22:23]
	v_add_u32_e32 v0, v0, v2
	v_bfe_i32 v3, v74, 4, 1
	s_nop 0
	v_mov_b32_dpp v2, v0 row_bcast:15 row_mask:0xf bank_mask:0xf
	v_and_b32_e32 v2, v3, v2
	v_add_u32_e32 v0, v0, v2
	s_nop 1
	v_mov_b32_dpp v2, v0 row_bcast:31 row_mask:0xf bank_mask:0xf
	v_cndmask_b32_e64 v2, 0, v2, s[26:27]
	v_add_u32_e32 v2, v0, v2
	s_and_saveexec_b64 s[28:29], s[6:7]
	s_cbranch_execz .LBB1355_397
; %bb.396:                              ;   in Loop: Header=BB1355_17 Depth=1
	ds_write_b32 v44, v2
.LBB1355_397:                           ;   in Loop: Header=BB1355_17 Depth=1
	s_or_b64 exec, exec, s[28:29]
	v_and_b32_e32 v0, 3, v74
	s_waitcnt lgkmcnt(0)
	s_barrier
	s_and_saveexec_b64 s[28:29], s[8:9]
	s_cbranch_execz .LBB1355_399
; %bb.398:                              ;   in Loop: Header=BB1355_17 Depth=1
	ds_read_b32 v3, v45
	v_cmp_ne_u32_e32 vcc, 0, v0
	s_waitcnt lgkmcnt(0)
	v_mov_b32_dpp v4, v3 row_shr:1 row_mask:0xf bank_mask:0xf
	v_cndmask_b32_e32 v4, 0, v4, vcc
	v_add_u32_e32 v3, v4, v3
	v_cmp_lt_u32_e32 vcc, 1, v0
	s_nop 0
	v_mov_b32_dpp v4, v3 row_shr:2 row_mask:0xf bank_mask:0xf
	v_cndmask_b32_e32 v4, 0, v4, vcc
	v_add_u32_e32 v3, v3, v4
	ds_write_b32 v45, v3
.LBB1355_399:                           ;   in Loop: Header=BB1355_17 Depth=1
	s_or_b64 exec, exec, s[28:29]
	v_mov_b32_e32 v3, 0
	s_waitcnt lgkmcnt(0)
	s_barrier
	s_and_saveexec_b64 s[28:29], s[10:11]
	s_cbranch_execz .LBB1355_401
; %bb.400:                              ;   in Loop: Header=BB1355_17 Depth=1
	ds_read_b32 v3, v46
.LBB1355_401:                           ;   in Loop: Header=BB1355_17 Depth=1
	s_or_b64 exec, exec, s[28:29]
	v_add_u32_e32 v4, -1, v74
	v_and_b32_e32 v5, 64, v74
	v_cmp_lt_i32_e32 vcc, v4, v5
	v_cndmask_b32_e32 v4, v4, v74, vcc
	s_waitcnt lgkmcnt(0)
	v_add_u32_e32 v2, v3, v2
	v_lshlrev_b32_e32 v75, 2, v4
	ds_bpermute_b32 v2, v75, v2
	v_cmp_eq_u32_e64 s[28:29], 0, v74
	s_waitcnt lgkmcnt(0)
	s_barrier
	s_and_saveexec_b64 s[30:31], s[4:5]
	s_cbranch_execz .LBB1355_403
; %bb.402:                              ;   in Loop: Header=BB1355_17 Depth=1
	v_cndmask_b32_e64 v2, v2, v3, s[28:29]
	v_add_u32_e32 v2, s51, v2
	ds_write_b32 v19, v2
.LBB1355_403:                           ;   in Loop: Header=BB1355_17 Depth=1
	s_or_b64 exec, exec, s[30:31]
	s_load_dwordx2 s[30:31], s[82:83], 0x0
	s_mov_b32 s87, s79
	s_mov_b32 s80, s51
                                        ; implicit-def: $vgpr10_vgpr11
                                        ; implicit-def: $vgpr12_vgpr13
                                        ; implicit-def: $vgpr14_vgpr15
                                        ; implicit-def: $vgpr16_vgpr17
                                        ; implicit-def: $vgpr30_vgpr31
                                        ; implicit-def: $vgpr32_vgpr33
                                        ; implicit-def: $vgpr34_vgpr35
                                        ; implicit-def: $vgpr36_vgpr37
                                        ; implicit-def: $vgpr76
                                        ; implicit-def: $vgpr77
                                        ; implicit-def: $vgpr78
                                        ; implicit-def: $vgpr79
                                        ; implicit-def: $vgpr81
                                        ; implicit-def: $vgpr82
                                        ; implicit-def: $vgpr84
                                        ; implicit-def: $vgpr86
	s_waitcnt lgkmcnt(0)
	s_cmp_lt_u32 s50, s30
	s_cselect_b32 s34, 12, 18
	s_cmp_lt_u32 s33, s31
	s_cselect_b32 s30, 14, 20
	s_add_u32 s30, s82, s30
	s_addc_u32 s31, s83, 0
	s_add_u32 s34, s82, s34
	global_load_ushort v2, v20, s[30:31]
	s_addc_u32 s35, s83, 0
	global_load_ushort v3, v20, s[34:35]
	v_cmp_eq_u32_e64 s[30:31], 0, v0
	v_cmp_lt_u32_e64 s[34:35], 1, v0
	v_and_b32_e32 v0, 63, v74
	v_lshlrev_b32_e32 v4, 3, v0
	v_add_co_u32_e32 v83, vcc, v67, v4
	v_or_b32_e32 v80, v0, v47
	v_lshlrev_b32_e32 v0, 2, v0
	v_addc_co_u32_e32 v85, vcc, 0, v68, vcc
	v_add_co_u32_e32 v94, vcc, v69, v0
	v_addc_co_u32_e32 v95, vcc, 0, v70, vcc
	v_add_co_u32_e32 v96, vcc, 0x700, v94
	v_or_b32_e32 v87, 64, v80
	v_or_b32_e32 v88, 0x80, v80
	;; [unrolled: 1-line block ×7, first 2 shown]
	v_addc_co_u32_e32 v97, vcc, 0, v95, vcc
	s_waitcnt vmcnt(1)
	v_mad_u32_u24 v0, v48, v2, v49
	s_waitcnt vmcnt(0)
	v_mad_u64_u32 v[2:3], s[36:37], v0, v3, v[18:19]
	v_lshrrev_b32_e32 v98, 6, v2
	s_branch .LBB1355_405
.LBB1355_404:                           ;   in Loop: Header=BB1355_405 Depth=2
	s_or_b64 exec, exec, s[36:37]
	s_addk_i32 s87, 0xf800
	s_cmp_lt_u32 s88, s84
	s_mov_b32 s80, s88
	s_cbranch_scc0 .LBB1355_517
.LBB1355_405:                           ;   Parent Loop BB1355_17 Depth=1
                                        ; =>  This Inner Loop Header: Depth=2
	s_add_i32 s88, s80, 0x800
	s_cmp_gt_u32 s88, s84
	s_cbranch_scc1 .LBB1355_407
; %bb.406:                              ;   in Loop: Header=BB1355_405 Depth=2
	s_lshl_b64 s[36:37], s[80:81], 2
	v_mov_b32_e32 v0, s37
	v_add_co_u32_e32 v8, vcc, s36, v94
	v_addc_co_u32_e32 v9, vcc, v95, v0, vcc
	global_load_dword v2, v[8:9], off
	global_load_dword v3, v[8:9], off offset:256
	global_load_dword v4, v[8:9], off offset:512
	global_load_dword v5, v[8:9], off offset:768
	global_load_dword v6, v[8:9], off offset:1024
	global_load_dword v7, v[8:9], off offset:1280
	s_nop 0
	global_load_dword v8, v[8:9], off offset:1536
	s_mov_b64 s[36:37], -1
	s_movk_i32 s40, 0x800
	s_cbranch_execz .LBB1355_408
	s_branch .LBB1355_417
.LBB1355_407:                           ;   in Loop: Header=BB1355_405 Depth=2
	s_mov_b64 s[36:37], 0
                                        ; implicit-def: $sgpr40
                                        ; implicit-def: $vgpr2_vgpr3_vgpr4_vgpr5_vgpr6_vgpr7_vgpr8_vgpr9
.LBB1355_408:                           ;   in Loop: Header=BB1355_405 Depth=2
	s_lshl_b64 s[36:37], s[80:81], 2
	v_mov_b32_e32 v0, s37
	v_add_co_u32_e32 v38, vcc, s36, v94
	s_mov_b32 s65, s64
	v_addc_co_u32_e32 v39, vcc, v95, v0, vcc
	s_mov_b32 s66, s64
	s_mov_b32 s67, s64
	s_mov_b32 s68, s64
	s_mov_b32 s69, s64
	s_mov_b32 s70, s64
	s_mov_b32 s71, s64
	s_waitcnt vmcnt(0)
	v_pk_mov_b32 v[2:3], s[64:65], s[64:65] op_sel:[0,1]
	v_cmp_gt_u32_e32 vcc, s87, v80
	v_pk_mov_b32 v[4:5], s[66:67], s[66:67] op_sel:[0,1]
	v_pk_mov_b32 v[6:7], s[68:69], s[68:69] op_sel:[0,1]
	;; [unrolled: 1-line block ×3, first 2 shown]
	s_and_saveexec_b64 s[36:37], vcc
	s_cbranch_execz .LBB1355_511
; %bb.409:                              ;   in Loop: Header=BB1355_405 Depth=2
	global_load_dword v0, v[38:39], off
	v_mov_b32_e32 v2, v1
	v_mov_b32_e32 v3, v1
	;; [unrolled: 1-line block ×6, first 2 shown]
	s_waitcnt vmcnt(0)
	v_pk_mov_b32 v[8:9], v[6:7], v[6:7] op_sel:[0,1]
	v_pk_mov_b32 v[6:7], v[4:5], v[4:5] op_sel:[0,1]
	;; [unrolled: 1-line block ×4, first 2 shown]
	s_or_b64 exec, exec, s[36:37]
	v_cmp_gt_u32_e32 vcc, s87, v87
	s_and_saveexec_b64 s[36:37], vcc
	s_cbranch_execnz .LBB1355_512
.LBB1355_410:                           ;   in Loop: Header=BB1355_405 Depth=2
	s_or_b64 exec, exec, s[36:37]
	v_cmp_gt_u32_e32 vcc, s87, v88
	s_and_saveexec_b64 s[36:37], vcc
	s_cbranch_execz .LBB1355_513
.LBB1355_411:                           ;   in Loop: Header=BB1355_405 Depth=2
	global_load_dword v4, v[38:39], off offset:512
	s_or_b64 exec, exec, s[36:37]
	v_cmp_gt_u32_e32 vcc, s87, v89
	s_and_saveexec_b64 s[36:37], vcc
	s_cbranch_execnz .LBB1355_514
.LBB1355_412:                           ;   in Loop: Header=BB1355_405 Depth=2
	s_or_b64 exec, exec, s[36:37]
	v_cmp_gt_u32_e32 vcc, s87, v90
	s_and_saveexec_b64 s[36:37], vcc
	s_cbranch_execz .LBB1355_515
.LBB1355_413:                           ;   in Loop: Header=BB1355_405 Depth=2
	global_load_dword v6, v[38:39], off offset:1024
	s_or_b64 exec, exec, s[36:37]
	v_cmp_gt_u32_e32 vcc, s87, v91
	s_and_saveexec_b64 s[36:37], vcc
	s_cbranch_execnz .LBB1355_516
.LBB1355_414:                           ;   in Loop: Header=BB1355_405 Depth=2
	s_or_b64 exec, exec, s[36:37]
	v_cmp_gt_u32_e32 vcc, s87, v92
	s_and_saveexec_b64 s[36:37], vcc
	s_cbranch_execz .LBB1355_416
.LBB1355_415:                           ;   in Loop: Header=BB1355_405 Depth=2
	global_load_dword v8, v[38:39], off offset:1536
.LBB1355_416:                           ;   in Loop: Header=BB1355_405 Depth=2
	s_or_b64 exec, exec, s[36:37]
	s_sub_i32 s40, s84, s80
	v_cmp_gt_u32_e64 s[36:37], s87, v93
.LBB1355_417:                           ;   in Loop: Header=BB1355_405 Depth=2
	v_mov_b32_e32 v0, s87
	s_and_saveexec_b64 s[38:39], s[36:37]
	s_cbranch_execz .LBB1355_419
; %bb.418:                              ;   in Loop: Header=BB1355_405 Depth=2
	s_lshl_b64 s[36:37], s[80:81], 2
	v_mov_b32_e32 v0, s37
	v_add_co_u32_e32 v38, vcc, s36, v96
	v_addc_co_u32_e32 v39, vcc, v97, v0, vcc
	global_load_dword v9, v[38:39], off
	v_mov_b32_e32 v0, s40
.LBB1355_419:                           ;   in Loop: Header=BB1355_405 Depth=2
	s_or_b64 exec, exec, s[38:39]
	s_waitcnt vmcnt(6)
	v_cmp_gt_i32_e32 vcc, 0, v2
	v_cndmask_b32_e64 v21, v73, 0, vcc
	v_xor_b32_e32 v99, v21, v2
	v_add_u32_e32 v2, 0x410, v50
	v_cmp_ne_u32_e32 vcc, s76, v99
	ds_write2_b32 v2, v20, v20 offset1:1
	ds_write2_b32 v52, v20, v20 offset0:2 offset1:3
	ds_write_b32 v52, v20 offset:16
	v_cndmask_b32_e32 v2, v73, v99, vcc
	v_lshrrev_b32_e32 v2, s77, v2
	v_and_b32_e32 v2, s86, v2
	v_mad_u32_u24 v21, v2, 5, v98
	v_lshl_add_u32 v100, v21, 2, v51
	v_and_b32_e32 v21, 1, v2
	v_add_co_u32_e32 v38, vcc, -1, v21
	v_addc_co_u32_e64 v39, s[36:37], 0, -1, vcc
	v_cmp_ne_u32_e32 vcc, 0, v21
	v_xor_b32_e32 v21, vcc_hi, v39
	v_and_b32_e32 v39, exec_hi, v21
	v_lshlrev_b32_e32 v21, 30, v2
	v_xor_b32_e32 v38, vcc_lo, v38
	v_cmp_gt_i64_e32 vcc, 0, v[20:21]
	v_not_b32_e32 v21, v21
	v_ashrrev_i32_e32 v21, 31, v21
	v_and_b32_e32 v38, exec_lo, v38
	v_xor_b32_e32 v101, vcc_hi, v21
	v_xor_b32_e32 v21, vcc_lo, v21
	v_and_b32_e32 v38, v38, v21
	v_lshlrev_b32_e32 v21, 29, v2
	v_cmp_gt_i64_e32 vcc, 0, v[20:21]
	v_not_b32_e32 v21, v21
	v_ashrrev_i32_e32 v21, 31, v21
	v_and_b32_e32 v39, v39, v101
	v_xor_b32_e32 v101, vcc_hi, v21
	v_xor_b32_e32 v21, vcc_lo, v21
	v_and_b32_e32 v38, v38, v21
	v_lshlrev_b32_e32 v21, 28, v2
	v_cmp_gt_i64_e32 vcc, 0, v[20:21]
	v_not_b32_e32 v21, v21
	v_ashrrev_i32_e32 v21, 31, v21
	v_and_b32_e32 v39, v39, v101
	v_xor_b32_e32 v101, vcc_hi, v21
	v_xor_b32_e32 v21, vcc_lo, v21
	v_and_b32_e32 v38, v38, v21
	v_lshlrev_b32_e32 v21, 27, v2
	v_cmp_gt_i64_e32 vcc, 0, v[20:21]
	v_not_b32_e32 v21, v21
	v_ashrrev_i32_e32 v21, 31, v21
	v_and_b32_e32 v39, v39, v101
	v_xor_b32_e32 v101, vcc_hi, v21
	v_xor_b32_e32 v21, vcc_lo, v21
	v_and_b32_e32 v38, v38, v21
	v_lshlrev_b32_e32 v21, 26, v2
	v_cmp_gt_i64_e32 vcc, 0, v[20:21]
	v_not_b32_e32 v21, v21
	v_ashrrev_i32_e32 v21, 31, v21
	v_and_b32_e32 v39, v39, v101
	v_xor_b32_e32 v101, vcc_hi, v21
	v_xor_b32_e32 v21, vcc_lo, v21
	v_and_b32_e32 v38, v38, v21
	v_lshlrev_b32_e32 v21, 25, v2
	v_cmp_gt_i64_e32 vcc, 0, v[20:21]
	v_not_b32_e32 v21, v21
	v_ashrrev_i32_e32 v21, 31, v21
	v_and_b32_e32 v39, v39, v101
	v_xor_b32_e32 v101, vcc_hi, v21
	v_xor_b32_e32 v21, vcc_lo, v21
	v_and_b32_e32 v38, v38, v21
	v_lshlrev_b32_e32 v21, 24, v2
	v_not_b32_e32 v2, v21
	v_cmp_gt_i64_e32 vcc, 0, v[20:21]
	v_ashrrev_i32_e32 v2, 31, v2
	v_xor_b32_e32 v21, vcc_hi, v2
	v_xor_b32_e32 v2, vcc_lo, v2
	v_and_b32_e32 v39, v39, v101
	v_and_b32_e32 v38, v38, v2
	;; [unrolled: 1-line block ×3, first 2 shown]
	v_mbcnt_lo_u32_b32 v2, v38, 0
	v_mbcnt_hi_u32_b32 v101, v39, v2
	v_cmp_eq_u32_e32 vcc, 0, v101
	v_cmp_ne_u64_e64 s[36:37], 0, v[38:39]
	s_and_b64 s[38:39], s[36:37], vcc
	s_waitcnt lgkmcnt(0)
	s_barrier
	s_waitcnt lgkmcnt(0)
	; wave barrier
	s_and_saveexec_b64 s[36:37], s[38:39]
	s_cbranch_execz .LBB1355_421
; %bb.420:                              ;   in Loop: Header=BB1355_405 Depth=2
	v_bcnt_u32_b32 v2, v38, 0
	v_bcnt_u32_b32 v2, v39, v2
	ds_write_b32 v100, v2
.LBB1355_421:                           ;   in Loop: Header=BB1355_405 Depth=2
	s_or_b64 exec, exec, s[36:37]
	s_waitcnt vmcnt(0)
	v_cmp_gt_i32_e32 vcc, 0, v3
	v_cndmask_b32_e64 v2, v73, 0, vcc
	v_xor_b32_e32 v38, v2, v3
	v_cmp_ne_u32_e32 vcc, s76, v38
	v_cndmask_b32_e32 v2, v73, v38, vcc
	v_lshrrev_b32_e32 v2, s77, v2
	v_and_b32_e32 v2, s86, v2
	v_mul_u32_u24_e32 v3, 5, v2
	v_add_lshl_u32 v3, v3, v98, 2
	; wave barrier
	v_add_u32_e32 v102, 0x410, v3
	ds_read_b32 v39, v3 offset:1040
	v_and_b32_e32 v3, 1, v2
	v_add_co_u32_e32 v21, vcc, -1, v3
	v_addc_co_u32_e64 v103, s[36:37], 0, -1, vcc
	v_cmp_ne_u32_e32 vcc, 0, v3
	v_xor_b32_e32 v21, vcc_lo, v21
	v_xor_b32_e32 v3, vcc_hi, v103
	v_and_b32_e32 v103, exec_lo, v21
	v_lshlrev_b32_e32 v21, 30, v2
	v_cmp_gt_i64_e32 vcc, 0, v[20:21]
	v_not_b32_e32 v21, v21
	v_ashrrev_i32_e32 v21, 31, v21
	v_xor_b32_e32 v104, vcc_hi, v21
	v_xor_b32_e32 v21, vcc_lo, v21
	v_and_b32_e32 v103, v103, v21
	v_lshlrev_b32_e32 v21, 29, v2
	v_cmp_gt_i64_e32 vcc, 0, v[20:21]
	v_not_b32_e32 v21, v21
	v_and_b32_e32 v3, exec_hi, v3
	v_ashrrev_i32_e32 v21, 31, v21
	v_and_b32_e32 v3, v3, v104
	v_xor_b32_e32 v104, vcc_hi, v21
	v_xor_b32_e32 v21, vcc_lo, v21
	v_and_b32_e32 v103, v103, v21
	v_lshlrev_b32_e32 v21, 28, v2
	v_cmp_gt_i64_e32 vcc, 0, v[20:21]
	v_not_b32_e32 v21, v21
	v_ashrrev_i32_e32 v21, 31, v21
	v_and_b32_e32 v3, v3, v104
	v_xor_b32_e32 v104, vcc_hi, v21
	v_xor_b32_e32 v21, vcc_lo, v21
	v_and_b32_e32 v103, v103, v21
	v_lshlrev_b32_e32 v21, 27, v2
	v_cmp_gt_i64_e32 vcc, 0, v[20:21]
	v_not_b32_e32 v21, v21
	;; [unrolled: 8-line block ×4, first 2 shown]
	v_ashrrev_i32_e32 v21, 31, v21
	v_and_b32_e32 v3, v3, v104
	v_xor_b32_e32 v104, vcc_hi, v21
	v_xor_b32_e32 v21, vcc_lo, v21
	v_and_b32_e32 v103, v103, v21
	v_lshlrev_b32_e32 v21, 24, v2
	v_not_b32_e32 v2, v21
	v_cmp_gt_i64_e32 vcc, 0, v[20:21]
	v_ashrrev_i32_e32 v2, 31, v2
	v_xor_b32_e32 v21, vcc_hi, v2
	v_xor_b32_e32 v2, vcc_lo, v2
	v_and_b32_e32 v3, v3, v104
	v_and_b32_e32 v2, v103, v2
	;; [unrolled: 1-line block ×3, first 2 shown]
	v_mbcnt_lo_u32_b32 v21, v2, 0
	v_mbcnt_hi_u32_b32 v103, v3, v21
	v_cmp_eq_u32_e32 vcc, 0, v103
	v_cmp_ne_u64_e64 s[36:37], 0, v[2:3]
	s_and_b64 s[38:39], s[36:37], vcc
	; wave barrier
	s_and_saveexec_b64 s[36:37], s[38:39]
	s_cbranch_execz .LBB1355_423
; %bb.422:                              ;   in Loop: Header=BB1355_405 Depth=2
	v_bcnt_u32_b32 v2, v2, 0
	v_bcnt_u32_b32 v2, v3, v2
	s_waitcnt lgkmcnt(0)
	v_add_u32_e32 v2, v39, v2
	ds_write_b32 v102, v2
.LBB1355_423:                           ;   in Loop: Header=BB1355_405 Depth=2
	s_or_b64 exec, exec, s[36:37]
	v_cmp_gt_i32_e32 vcc, 0, v4
	v_cndmask_b32_e64 v2, v73, 0, vcc
	v_xor_b32_e32 v104, v2, v4
	v_cmp_ne_u32_e32 vcc, s76, v104
	v_cndmask_b32_e32 v2, v73, v104, vcc
	v_lshrrev_b32_e32 v2, s77, v2
	v_and_b32_e32 v2, s86, v2
	v_mul_u32_u24_e32 v3, 5, v2
	v_add_lshl_u32 v3, v3, v98, 2
	; wave barrier
	v_add_u32_e32 v106, 0x410, v3
	ds_read_b32 v105, v3 offset:1040
	v_and_b32_e32 v3, 1, v2
	v_add_co_u32_e32 v4, vcc, -1, v3
	v_addc_co_u32_e64 v21, s[36:37], 0, -1, vcc
	v_cmp_ne_u32_e32 vcc, 0, v3
	v_xor_b32_e32 v3, vcc_hi, v21
	v_lshlrev_b32_e32 v21, 30, v2
	v_xor_b32_e32 v4, vcc_lo, v4
	v_cmp_gt_i64_e32 vcc, 0, v[20:21]
	v_not_b32_e32 v21, v21
	v_ashrrev_i32_e32 v21, 31, v21
	v_and_b32_e32 v4, exec_lo, v4
	v_xor_b32_e32 v107, vcc_hi, v21
	v_xor_b32_e32 v21, vcc_lo, v21
	v_and_b32_e32 v4, v4, v21
	v_lshlrev_b32_e32 v21, 29, v2
	v_cmp_gt_i64_e32 vcc, 0, v[20:21]
	v_not_b32_e32 v21, v21
	v_and_b32_e32 v3, exec_hi, v3
	v_ashrrev_i32_e32 v21, 31, v21
	v_and_b32_e32 v3, v3, v107
	v_xor_b32_e32 v107, vcc_hi, v21
	v_xor_b32_e32 v21, vcc_lo, v21
	v_and_b32_e32 v4, v4, v21
	v_lshlrev_b32_e32 v21, 28, v2
	v_cmp_gt_i64_e32 vcc, 0, v[20:21]
	v_not_b32_e32 v21, v21
	v_ashrrev_i32_e32 v21, 31, v21
	v_and_b32_e32 v3, v3, v107
	v_xor_b32_e32 v107, vcc_hi, v21
	v_xor_b32_e32 v21, vcc_lo, v21
	v_and_b32_e32 v4, v4, v21
	v_lshlrev_b32_e32 v21, 27, v2
	v_cmp_gt_i64_e32 vcc, 0, v[20:21]
	v_not_b32_e32 v21, v21
	;; [unrolled: 8-line block ×4, first 2 shown]
	v_ashrrev_i32_e32 v21, 31, v21
	v_and_b32_e32 v3, v3, v107
	v_xor_b32_e32 v107, vcc_hi, v21
	v_xor_b32_e32 v21, vcc_lo, v21
	v_and_b32_e32 v4, v4, v21
	v_lshlrev_b32_e32 v21, 24, v2
	v_not_b32_e32 v2, v21
	v_cmp_gt_i64_e32 vcc, 0, v[20:21]
	v_ashrrev_i32_e32 v2, 31, v2
	v_xor_b32_e32 v21, vcc_hi, v2
	v_xor_b32_e32 v2, vcc_lo, v2
	v_and_b32_e32 v3, v3, v107
	v_and_b32_e32 v2, v4, v2
	;; [unrolled: 1-line block ×3, first 2 shown]
	v_mbcnt_lo_u32_b32 v4, v2, 0
	v_mbcnt_hi_u32_b32 v107, v3, v4
	v_cmp_eq_u32_e32 vcc, 0, v107
	v_cmp_ne_u64_e64 s[36:37], 0, v[2:3]
	s_and_b64 s[38:39], s[36:37], vcc
	; wave barrier
	s_and_saveexec_b64 s[36:37], s[38:39]
	s_cbranch_execz .LBB1355_425
; %bb.424:                              ;   in Loop: Header=BB1355_405 Depth=2
	v_bcnt_u32_b32 v2, v2, 0
	v_bcnt_u32_b32 v2, v3, v2
	s_waitcnt lgkmcnt(0)
	v_add_u32_e32 v2, v105, v2
	ds_write_b32 v106, v2
.LBB1355_425:                           ;   in Loop: Header=BB1355_405 Depth=2
	s_or_b64 exec, exec, s[36:37]
	v_cmp_gt_i32_e32 vcc, 0, v5
	v_cndmask_b32_e64 v2, v73, 0, vcc
	v_xor_b32_e32 v108, v2, v5
	v_cmp_ne_u32_e32 vcc, s76, v108
	v_cndmask_b32_e32 v2, v73, v108, vcc
	v_lshrrev_b32_e32 v2, s77, v2
	v_and_b32_e32 v2, s86, v2
	v_mul_u32_u24_e32 v3, 5, v2
	v_add_lshl_u32 v3, v3, v98, 2
	; wave barrier
	v_add_u32_e32 v110, 0x410, v3
	ds_read_b32 v109, v3 offset:1040
	v_and_b32_e32 v3, 1, v2
	v_add_co_u32_e32 v4, vcc, -1, v3
	v_addc_co_u32_e64 v5, s[36:37], 0, -1, vcc
	v_cmp_ne_u32_e32 vcc, 0, v3
	v_lshlrev_b32_e32 v21, 30, v2
	v_xor_b32_e32 v3, vcc_hi, v5
	v_not_b32_e32 v5, v21
	v_xor_b32_e32 v4, vcc_lo, v4
	v_cmp_gt_i64_e32 vcc, 0, v[20:21]
	v_ashrrev_i32_e32 v5, 31, v5
	v_and_b32_e32 v3, exec_hi, v3
	v_xor_b32_e32 v21, vcc_hi, v5
	v_and_b32_e32 v4, exec_lo, v4
	v_xor_b32_e32 v5, vcc_lo, v5
	v_and_b32_e32 v3, v3, v21
	v_lshlrev_b32_e32 v21, 29, v2
	v_and_b32_e32 v4, v4, v5
	v_not_b32_e32 v5, v21
	v_cmp_gt_i64_e32 vcc, 0, v[20:21]
	v_ashrrev_i32_e32 v5, 31, v5
	v_xor_b32_e32 v21, vcc_hi, v5
	v_xor_b32_e32 v5, vcc_lo, v5
	v_and_b32_e32 v3, v3, v21
	v_lshlrev_b32_e32 v21, 28, v2
	v_and_b32_e32 v4, v4, v5
	v_not_b32_e32 v5, v21
	v_cmp_gt_i64_e32 vcc, 0, v[20:21]
	v_ashrrev_i32_e32 v5, 31, v5
	v_xor_b32_e32 v21, vcc_hi, v5
	;; [unrolled: 8-line block ×5, first 2 shown]
	v_and_b32_e32 v3, v3, v21
	v_lshlrev_b32_e32 v21, 24, v2
	v_not_b32_e32 v2, v21
	v_xor_b32_e32 v5, vcc_lo, v5
	v_cmp_gt_i64_e32 vcc, 0, v[20:21]
	v_ashrrev_i32_e32 v2, 31, v2
	v_and_b32_e32 v4, v4, v5
	v_xor_b32_e32 v5, vcc_hi, v2
	v_xor_b32_e32 v2, vcc_lo, v2
	v_and_b32_e32 v2, v4, v2
	v_and_b32_e32 v3, v3, v5
	v_mbcnt_lo_u32_b32 v4, v2, 0
	v_mbcnt_hi_u32_b32 v111, v3, v4
	v_cmp_eq_u32_e32 vcc, 0, v111
	v_cmp_ne_u64_e64 s[36:37], 0, v[2:3]
	s_and_b64 s[38:39], s[36:37], vcc
	; wave barrier
	s_and_saveexec_b64 s[36:37], s[38:39]
	s_cbranch_execz .LBB1355_427
; %bb.426:                              ;   in Loop: Header=BB1355_405 Depth=2
	v_bcnt_u32_b32 v2, v2, 0
	v_bcnt_u32_b32 v2, v3, v2
	s_waitcnt lgkmcnt(0)
	v_add_u32_e32 v2, v109, v2
	ds_write_b32 v110, v2
.LBB1355_427:                           ;   in Loop: Header=BB1355_405 Depth=2
	s_or_b64 exec, exec, s[36:37]
	v_cmp_gt_i32_e32 vcc, 0, v6
	v_cndmask_b32_e64 v2, v73, 0, vcc
	v_xor_b32_e32 v112, v2, v6
	v_cmp_ne_u32_e32 vcc, s76, v112
	v_cndmask_b32_e32 v2, v73, v112, vcc
	v_lshrrev_b32_e32 v2, s77, v2
	v_and_b32_e32 v2, s86, v2
	v_mul_u32_u24_e32 v3, 5, v2
	v_add_lshl_u32 v3, v3, v98, 2
	; wave barrier
	v_add_u32_e32 v113, 0x410, v3
	ds_read_b32 v6, v3 offset:1040
	v_and_b32_e32 v3, 1, v2
	v_add_co_u32_e32 v4, vcc, -1, v3
	v_addc_co_u32_e64 v5, s[36:37], 0, -1, vcc
	v_cmp_ne_u32_e32 vcc, 0, v3
	v_lshlrev_b32_e32 v21, 30, v2
	v_xor_b32_e32 v3, vcc_hi, v5
	v_not_b32_e32 v5, v21
	v_xor_b32_e32 v4, vcc_lo, v4
	v_cmp_gt_i64_e32 vcc, 0, v[20:21]
	v_ashrrev_i32_e32 v5, 31, v5
	v_and_b32_e32 v3, exec_hi, v3
	v_xor_b32_e32 v21, vcc_hi, v5
	v_and_b32_e32 v4, exec_lo, v4
	v_xor_b32_e32 v5, vcc_lo, v5
	v_and_b32_e32 v3, v3, v21
	v_lshlrev_b32_e32 v21, 29, v2
	v_and_b32_e32 v4, v4, v5
	v_not_b32_e32 v5, v21
	v_cmp_gt_i64_e32 vcc, 0, v[20:21]
	v_ashrrev_i32_e32 v5, 31, v5
	v_xor_b32_e32 v21, vcc_hi, v5
	v_xor_b32_e32 v5, vcc_lo, v5
	v_and_b32_e32 v3, v3, v21
	v_lshlrev_b32_e32 v21, 28, v2
	v_and_b32_e32 v4, v4, v5
	v_not_b32_e32 v5, v21
	v_cmp_gt_i64_e32 vcc, 0, v[20:21]
	v_ashrrev_i32_e32 v5, 31, v5
	v_xor_b32_e32 v21, vcc_hi, v5
	;; [unrolled: 8-line block ×5, first 2 shown]
	v_and_b32_e32 v3, v3, v21
	v_lshlrev_b32_e32 v21, 24, v2
	v_not_b32_e32 v2, v21
	v_xor_b32_e32 v5, vcc_lo, v5
	v_cmp_gt_i64_e32 vcc, 0, v[20:21]
	v_ashrrev_i32_e32 v2, 31, v2
	v_and_b32_e32 v4, v4, v5
	v_xor_b32_e32 v5, vcc_hi, v2
	v_xor_b32_e32 v2, vcc_lo, v2
	v_and_b32_e32 v2, v4, v2
	v_and_b32_e32 v3, v3, v5
	v_mbcnt_lo_u32_b32 v4, v2, 0
	v_mbcnt_hi_u32_b32 v114, v3, v4
	v_cmp_eq_u32_e32 vcc, 0, v114
	v_cmp_ne_u64_e64 s[36:37], 0, v[2:3]
	s_and_b64 s[38:39], s[36:37], vcc
	; wave barrier
	s_and_saveexec_b64 s[36:37], s[38:39]
	s_cbranch_execz .LBB1355_429
; %bb.428:                              ;   in Loop: Header=BB1355_405 Depth=2
	v_bcnt_u32_b32 v2, v2, 0
	v_bcnt_u32_b32 v2, v3, v2
	s_waitcnt lgkmcnt(0)
	v_add_u32_e32 v2, v6, v2
	ds_write_b32 v113, v2
.LBB1355_429:                           ;   in Loop: Header=BB1355_405 Depth=2
	s_or_b64 exec, exec, s[36:37]
	v_cmp_gt_i32_e32 vcc, 0, v7
	v_cndmask_b32_e64 v2, v73, 0, vcc
	v_xor_b32_e32 v115, v2, v7
	v_cmp_ne_u32_e32 vcc, s76, v115
	v_cndmask_b32_e32 v2, v73, v115, vcc
	v_lshrrev_b32_e32 v2, s77, v2
	v_and_b32_e32 v2, s86, v2
	v_mul_u32_u24_e32 v3, 5, v2
	v_add_lshl_u32 v3, v3, v98, 2
	; wave barrier
	v_add_u32_e32 v116, 0x410, v3
	ds_read_b32 v7, v3 offset:1040
	v_and_b32_e32 v3, 1, v2
	v_add_co_u32_e32 v4, vcc, -1, v3
	v_addc_co_u32_e64 v5, s[36:37], 0, -1, vcc
	v_cmp_ne_u32_e32 vcc, 0, v3
	v_lshlrev_b32_e32 v21, 30, v2
	v_xor_b32_e32 v3, vcc_hi, v5
	v_not_b32_e32 v5, v21
	v_xor_b32_e32 v4, vcc_lo, v4
	v_cmp_gt_i64_e32 vcc, 0, v[20:21]
	v_ashrrev_i32_e32 v5, 31, v5
	v_and_b32_e32 v3, exec_hi, v3
	v_xor_b32_e32 v21, vcc_hi, v5
	v_and_b32_e32 v4, exec_lo, v4
	v_xor_b32_e32 v5, vcc_lo, v5
	v_and_b32_e32 v3, v3, v21
	v_lshlrev_b32_e32 v21, 29, v2
	v_and_b32_e32 v4, v4, v5
	v_not_b32_e32 v5, v21
	v_cmp_gt_i64_e32 vcc, 0, v[20:21]
	v_ashrrev_i32_e32 v5, 31, v5
	v_xor_b32_e32 v21, vcc_hi, v5
	v_xor_b32_e32 v5, vcc_lo, v5
	v_and_b32_e32 v3, v3, v21
	v_lshlrev_b32_e32 v21, 28, v2
	v_and_b32_e32 v4, v4, v5
	v_not_b32_e32 v5, v21
	v_cmp_gt_i64_e32 vcc, 0, v[20:21]
	v_ashrrev_i32_e32 v5, 31, v5
	v_xor_b32_e32 v21, vcc_hi, v5
	;; [unrolled: 8-line block ×5, first 2 shown]
	v_and_b32_e32 v3, v3, v21
	v_lshlrev_b32_e32 v21, 24, v2
	v_not_b32_e32 v2, v21
	v_xor_b32_e32 v5, vcc_lo, v5
	v_cmp_gt_i64_e32 vcc, 0, v[20:21]
	v_ashrrev_i32_e32 v2, 31, v2
	v_and_b32_e32 v4, v4, v5
	v_xor_b32_e32 v5, vcc_hi, v2
	v_xor_b32_e32 v2, vcc_lo, v2
	v_and_b32_e32 v2, v4, v2
	v_and_b32_e32 v3, v3, v5
	v_mbcnt_lo_u32_b32 v4, v2, 0
	v_mbcnt_hi_u32_b32 v117, v3, v4
	v_cmp_eq_u32_e32 vcc, 0, v117
	v_cmp_ne_u64_e64 s[36:37], 0, v[2:3]
	s_and_b64 s[38:39], s[36:37], vcc
	; wave barrier
	s_and_saveexec_b64 s[36:37], s[38:39]
	s_cbranch_execz .LBB1355_431
; %bb.430:                              ;   in Loop: Header=BB1355_405 Depth=2
	v_bcnt_u32_b32 v2, v2, 0
	v_bcnt_u32_b32 v2, v3, v2
	s_waitcnt lgkmcnt(0)
	v_add_u32_e32 v2, v7, v2
	ds_write_b32 v116, v2
.LBB1355_431:                           ;   in Loop: Header=BB1355_405 Depth=2
	s_or_b64 exec, exec, s[36:37]
	v_cmp_gt_i32_e32 vcc, 0, v8
	v_cndmask_b32_e64 v2, v73, 0, vcc
	v_xor_b32_e32 v118, v2, v8
	v_cmp_ne_u32_e32 vcc, s76, v118
	v_cndmask_b32_e32 v2, v73, v118, vcc
	v_lshrrev_b32_e32 v2, s77, v2
	v_and_b32_e32 v2, s86, v2
	v_mul_u32_u24_e32 v3, 5, v2
	v_add_lshl_u32 v3, v3, v98, 2
	; wave barrier
	v_add_u32_e32 v8, 0x410, v3
	ds_read_b32 v119, v3 offset:1040
	v_and_b32_e32 v3, 1, v2
	v_add_co_u32_e32 v4, vcc, -1, v3
	v_addc_co_u32_e64 v5, s[36:37], 0, -1, vcc
	v_cmp_ne_u32_e32 vcc, 0, v3
	v_lshlrev_b32_e32 v21, 30, v2
	v_xor_b32_e32 v3, vcc_hi, v5
	v_not_b32_e32 v5, v21
	v_xor_b32_e32 v4, vcc_lo, v4
	v_cmp_gt_i64_e32 vcc, 0, v[20:21]
	v_ashrrev_i32_e32 v5, 31, v5
	v_and_b32_e32 v3, exec_hi, v3
	v_xor_b32_e32 v21, vcc_hi, v5
	v_and_b32_e32 v4, exec_lo, v4
	v_xor_b32_e32 v5, vcc_lo, v5
	v_and_b32_e32 v3, v3, v21
	v_lshlrev_b32_e32 v21, 29, v2
	v_and_b32_e32 v4, v4, v5
	v_not_b32_e32 v5, v21
	v_cmp_gt_i64_e32 vcc, 0, v[20:21]
	v_ashrrev_i32_e32 v5, 31, v5
	v_xor_b32_e32 v21, vcc_hi, v5
	v_xor_b32_e32 v5, vcc_lo, v5
	v_and_b32_e32 v3, v3, v21
	v_lshlrev_b32_e32 v21, 28, v2
	v_and_b32_e32 v4, v4, v5
	v_not_b32_e32 v5, v21
	v_cmp_gt_i64_e32 vcc, 0, v[20:21]
	v_ashrrev_i32_e32 v5, 31, v5
	v_xor_b32_e32 v21, vcc_hi, v5
	;; [unrolled: 8-line block ×5, first 2 shown]
	v_and_b32_e32 v3, v3, v21
	v_lshlrev_b32_e32 v21, 24, v2
	v_not_b32_e32 v2, v21
	v_xor_b32_e32 v5, vcc_lo, v5
	v_cmp_gt_i64_e32 vcc, 0, v[20:21]
	v_ashrrev_i32_e32 v2, 31, v2
	v_and_b32_e32 v4, v4, v5
	v_xor_b32_e32 v5, vcc_hi, v2
	v_xor_b32_e32 v2, vcc_lo, v2
	v_and_b32_e32 v2, v4, v2
	v_and_b32_e32 v3, v3, v5
	v_mbcnt_lo_u32_b32 v4, v2, 0
	v_mbcnt_hi_u32_b32 v120, v3, v4
	v_cmp_eq_u32_e32 vcc, 0, v120
	v_cmp_ne_u64_e64 s[36:37], 0, v[2:3]
	s_and_b64 s[38:39], s[36:37], vcc
	; wave barrier
	s_and_saveexec_b64 s[36:37], s[38:39]
	s_cbranch_execz .LBB1355_433
; %bb.432:                              ;   in Loop: Header=BB1355_405 Depth=2
	v_bcnt_u32_b32 v2, v2, 0
	v_bcnt_u32_b32 v2, v3, v2
	s_waitcnt lgkmcnt(0)
	v_add_u32_e32 v2, v119, v2
	ds_write_b32 v8, v2
.LBB1355_433:                           ;   in Loop: Header=BB1355_405 Depth=2
	s_or_b64 exec, exec, s[36:37]
	v_cmp_gt_i32_e32 vcc, 0, v9
	v_cndmask_b32_e64 v2, v73, 0, vcc
	v_xor_b32_e32 v121, v2, v9
	v_cmp_ne_u32_e32 vcc, s76, v121
	v_cndmask_b32_e32 v2, v73, v121, vcc
	v_lshrrev_b32_e32 v2, s77, v2
	v_and_b32_e32 v2, s86, v2
	v_mul_u32_u24_e32 v3, 5, v2
	v_add_lshl_u32 v3, v3, v98, 2
	; wave barrier
	v_add_u32_e32 v9, 0x410, v3
	ds_read_b32 v122, v3 offset:1040
	v_and_b32_e32 v3, 1, v2
	v_add_co_u32_e32 v4, vcc, -1, v3
	v_addc_co_u32_e64 v5, s[36:37], 0, -1, vcc
	v_cmp_ne_u32_e32 vcc, 0, v3
	v_lshlrev_b32_e32 v21, 30, v2
	v_xor_b32_e32 v3, vcc_hi, v5
	v_not_b32_e32 v5, v21
	v_xor_b32_e32 v4, vcc_lo, v4
	v_cmp_gt_i64_e32 vcc, 0, v[20:21]
	v_ashrrev_i32_e32 v5, 31, v5
	v_and_b32_e32 v3, exec_hi, v3
	v_xor_b32_e32 v21, vcc_hi, v5
	v_and_b32_e32 v4, exec_lo, v4
	v_xor_b32_e32 v5, vcc_lo, v5
	v_and_b32_e32 v3, v3, v21
	v_lshlrev_b32_e32 v21, 29, v2
	v_and_b32_e32 v4, v4, v5
	v_not_b32_e32 v5, v21
	v_cmp_gt_i64_e32 vcc, 0, v[20:21]
	v_ashrrev_i32_e32 v5, 31, v5
	v_xor_b32_e32 v21, vcc_hi, v5
	v_xor_b32_e32 v5, vcc_lo, v5
	v_and_b32_e32 v3, v3, v21
	v_lshlrev_b32_e32 v21, 28, v2
	v_and_b32_e32 v4, v4, v5
	v_not_b32_e32 v5, v21
	v_cmp_gt_i64_e32 vcc, 0, v[20:21]
	v_ashrrev_i32_e32 v5, 31, v5
	v_xor_b32_e32 v21, vcc_hi, v5
	v_xor_b32_e32 v5, vcc_lo, v5
	v_and_b32_e32 v3, v3, v21
	v_lshlrev_b32_e32 v21, 27, v2
	v_and_b32_e32 v4, v4, v5
	v_not_b32_e32 v5, v21
	v_cmp_gt_i64_e32 vcc, 0, v[20:21]
	v_ashrrev_i32_e32 v5, 31, v5
	v_xor_b32_e32 v21, vcc_hi, v5
	v_xor_b32_e32 v5, vcc_lo, v5
	v_and_b32_e32 v3, v3, v21
	v_lshlrev_b32_e32 v21, 26, v2
	v_and_b32_e32 v4, v4, v5
	v_not_b32_e32 v5, v21
	v_cmp_gt_i64_e32 vcc, 0, v[20:21]
	v_ashrrev_i32_e32 v5, 31, v5
	v_xor_b32_e32 v21, vcc_hi, v5
	v_xor_b32_e32 v5, vcc_lo, v5
	v_and_b32_e32 v3, v3, v21
	v_lshlrev_b32_e32 v21, 25, v2
	v_and_b32_e32 v4, v4, v5
	v_not_b32_e32 v5, v21
	v_cmp_gt_i64_e32 vcc, 0, v[20:21]
	v_ashrrev_i32_e32 v5, 31, v5
	v_xor_b32_e32 v21, vcc_hi, v5
	v_and_b32_e32 v3, v3, v21
	v_lshlrev_b32_e32 v21, 24, v2
	v_not_b32_e32 v2, v21
	v_xor_b32_e32 v5, vcc_lo, v5
	v_cmp_gt_i64_e32 vcc, 0, v[20:21]
	v_ashrrev_i32_e32 v2, 31, v2
	v_and_b32_e32 v4, v4, v5
	v_xor_b32_e32 v5, vcc_hi, v2
	v_xor_b32_e32 v2, vcc_lo, v2
	v_and_b32_e32 v2, v4, v2
	v_and_b32_e32 v3, v3, v5
	v_mbcnt_lo_u32_b32 v4, v2, 0
	v_mbcnt_hi_u32_b32 v123, v3, v4
	v_cmp_eq_u32_e32 vcc, 0, v123
	v_cmp_ne_u64_e64 s[36:37], 0, v[2:3]
	s_and_b64 s[38:39], s[36:37], vcc
	; wave barrier
	s_and_saveexec_b64 s[36:37], s[38:39]
	s_cbranch_execz .LBB1355_435
; %bb.434:                              ;   in Loop: Header=BB1355_405 Depth=2
	v_bcnt_u32_b32 v2, v2, 0
	v_bcnt_u32_b32 v2, v3, v2
	s_waitcnt lgkmcnt(0)
	v_add_u32_e32 v2, v122, v2
	ds_write_b32 v9, v2
.LBB1355_435:                           ;   in Loop: Header=BB1355_405 Depth=2
	s_or_b64 exec, exec, s[36:37]
	; wave barrier
	s_waitcnt lgkmcnt(0)
	s_barrier
	ds_read_b32 v21, v50 offset:1040
	ds_read2_b32 v[4:5], v52 offset0:1 offset1:2
	ds_read2_b32 v[2:3], v52 offset0:3 offset1:4
	s_waitcnt lgkmcnt(1)
	v_add3_u32 v124, v4, v21, v5
	s_waitcnt lgkmcnt(0)
	v_add3_u32 v3, v124, v2, v3
	s_nop 1
	v_mov_b32_dpp v124, v3 row_shr:1 row_mask:0xf bank_mask:0xf
	v_cndmask_b32_e64 v124, v124, 0, s[16:17]
	v_add_u32_e32 v3, v124, v3
	s_nop 1
	v_mov_b32_dpp v124, v3 row_shr:2 row_mask:0xf bank_mask:0xf
	v_cndmask_b32_e64 v124, 0, v124, s[18:19]
	v_add_u32_e32 v3, v3, v124
	;; [unrolled: 4-line block ×4, first 2 shown]
	s_nop 1
	v_mov_b32_dpp v124, v3 row_bcast:15 row_mask:0xf bank_mask:0xf
	v_cndmask_b32_e64 v124, v124, 0, s[24:25]
	v_add_u32_e32 v3, v3, v124
	s_nop 1
	v_mov_b32_dpp v124, v3 row_bcast:31 row_mask:0xf bank_mask:0xf
	v_cndmask_b32_e64 v124, 0, v124, s[26:27]
	v_add_u32_e32 v3, v3, v124
	s_and_saveexec_b64 s[36:37], s[6:7]
	s_cbranch_execz .LBB1355_437
; %bb.436:                              ;   in Loop: Header=BB1355_405 Depth=2
	ds_write_b32 v43, v3 offset:1024
.LBB1355_437:                           ;   in Loop: Header=BB1355_405 Depth=2
	s_or_b64 exec, exec, s[36:37]
	s_waitcnt lgkmcnt(0)
	s_barrier
	s_and_saveexec_b64 s[36:37], s[8:9]
	s_cbranch_execz .LBB1355_439
; %bb.438:                              ;   in Loop: Header=BB1355_405 Depth=2
	ds_read_b32 v124, v53 offset:1024
	s_waitcnt lgkmcnt(0)
	s_nop 0
	v_mov_b32_dpp v125, v124 row_shr:1 row_mask:0xf bank_mask:0xf
	v_cndmask_b32_e64 v125, v125, 0, s[30:31]
	v_add_u32_e32 v124, v125, v124
	s_nop 1
	v_mov_b32_dpp v125, v124 row_shr:2 row_mask:0xf bank_mask:0xf
	v_cndmask_b32_e64 v125, 0, v125, s[34:35]
	v_add_u32_e32 v124, v124, v125
	ds_write_b32 v53, v124 offset:1024
.LBB1355_439:                           ;   in Loop: Header=BB1355_405 Depth=2
	s_or_b64 exec, exec, s[36:37]
	v_mov_b32_e32 v124, 0
	s_waitcnt lgkmcnt(0)
	s_barrier
	s_and_saveexec_b64 s[36:37], s[10:11]
	s_cbranch_execz .LBB1355_441
; %bb.440:                              ;   in Loop: Header=BB1355_405 Depth=2
	ds_read_b32 v124, v43 offset:1020
.LBB1355_441:                           ;   in Loop: Header=BB1355_405 Depth=2
	s_or_b64 exec, exec, s[36:37]
	s_waitcnt lgkmcnt(0)
	v_add_u32_e32 v3, v124, v3
	ds_bpermute_b32 v3, v75, v3
	s_waitcnt lgkmcnt(0)
	v_cndmask_b32_e64 v3, v3, v124, s[28:29]
	v_cndmask_b32_e64 v3, v3, 0, s[12:13]
	v_add_u32_e32 v21, v3, v21
	ds_write_b32 v50, v3 offset:1040
	v_add_u32_e32 v3, v21, v4
	v_add_u32_e32 v4, v3, v5
	;; [unrolled: 1-line block ×3, first 2 shown]
	ds_write2_b32 v52, v21, v3 offset0:1 offset1:2
	ds_write2_b32 v52, v4, v2 offset0:3 offset1:4
	s_waitcnt lgkmcnt(0)
	s_barrier
	ds_read_b32 v2, v102
	ds_read_b32 v3, v106
	;; [unrolled: 1-line block ×8, first 2 shown]
	ds_read_b32 v9, v50 offset:1040
	v_mov_b32_e32 v4, 0x800
	s_and_saveexec_b64 s[36:37], s[14:15]
	s_cbranch_execz .LBB1355_443
; %bb.442:                              ;   in Loop: Header=BB1355_405 Depth=2
	ds_read_b32 v4, v50 offset:1060
.LBB1355_443:                           ;   in Loop: Header=BB1355_405 Depth=2
	s_or_b64 exec, exec, s[36:37]
	s_waitcnt lgkmcnt(0)
	s_barrier
	s_and_saveexec_b64 s[36:37], s[4:5]
	s_cbranch_execz .LBB1355_445
; %bb.444:                              ;   in Loop: Header=BB1355_405 Depth=2
	ds_read_b32 v21, v19
	s_waitcnt lgkmcnt(0)
	v_sub_u32_e32 v9, v21, v9
	ds_write_b32 v19, v9
.LBB1355_445:                           ;   in Loop: Header=BB1355_405 Depth=2
	s_or_b64 exec, exec, s[36:37]
	v_add_u32_e32 v100, v8, v101
	v_add3_u32 v39, v103, v39, v2
	v_lshlrev_b32_e32 v2, 2, v100
	v_add3_u32 v21, v107, v105, v3
	ds_write_b32 v2, v99 offset:1024
	v_lshlrev_b32_e32 v2, 2, v39
	v_add3_u32 v9, v111, v109, v5
	ds_write_b32 v2, v38 offset:1024
	;; [unrolled: 3-line block ×6, first 2 shown]
	v_lshlrev_b32_e32 v2, 2, v6
	ds_write_b32 v2, v118 offset:1024
	v_lshlrev_b32_e32 v2, 2, v5
	v_cmp_lt_u32_e32 vcc, v18, v0
	ds_write_b32 v2, v121 offset:1024
	s_waitcnt lgkmcnt(0)
	s_barrier
	s_and_saveexec_b64 s[38:39], vcc
	s_cbranch_execz .LBB1355_453
; %bb.446:                              ;   in Loop: Header=BB1355_405 Depth=2
	ds_read_b32 v2, v53 offset:1024
	v_mov_b32_e32 v3, v20
	v_mov_b32_e32 v99, s59
	s_waitcnt lgkmcnt(0)
	v_cmp_ne_u32_e64 s[36:37], s76, v2
	v_cndmask_b32_e64 v38, v73, v2, s[36:37]
	v_lshrrev_b32_e32 v38, s77, v38
	v_and_b32_e32 v38, s86, v38
	v_lshlrev_b32_e32 v38, 2, v38
	ds_read_b32 v38, v38
	v_cmp_gt_i32_e64 s[36:37], 0, v2
	v_cndmask_b32_e64 v101, v73, 0, s[36:37]
	v_xor_b32_e32 v101, v101, v2
	s_waitcnt lgkmcnt(0)
	v_add_u32_e32 v2, v38, v18
	v_lshlrev_b64 v[2:3], 2, v[2:3]
	v_add_co_u32_e64 v2, s[36:37], s58, v2
	v_addc_co_u32_e64 v3, s[36:37], v99, v3, s[36:37]
	global_store_dword v[2:3], v101, off
	s_or_b64 exec, exec, s[38:39]
	v_cmp_lt_u32_e64 s[36:37], v23, v0
	s_and_saveexec_b64 s[40:41], s[36:37]
	s_cbranch_execnz .LBB1355_454
.LBB1355_447:                           ;   in Loop: Header=BB1355_405 Depth=2
	s_or_b64 exec, exec, s[40:41]
	v_cmp_lt_u32_e64 s[38:39], v25, v0
	s_and_saveexec_b64 s[42:43], s[38:39]
	s_cbranch_execz .LBB1355_455
.LBB1355_448:                           ;   in Loop: Header=BB1355_405 Depth=2
	ds_read_b32 v2, v58 offset:2048
	v_mov_b32_e32 v3, v20
	v_mov_b32_e32 v99, s59
	s_waitcnt lgkmcnt(0)
	v_cmp_ne_u32_e64 s[40:41], s76, v2
	v_cndmask_b32_e64 v38, v73, v2, s[40:41]
	v_lshrrev_b32_e32 v38, s77, v38
	v_and_b32_e32 v38, s86, v38
	v_lshlrev_b32_e32 v38, 2, v38
	ds_read_b32 v38, v38
	v_cmp_gt_i32_e64 s[40:41], 0, v2
	v_cndmask_b32_e64 v101, v73, 0, s[40:41]
	v_xor_b32_e32 v101, v101, v2
	s_waitcnt lgkmcnt(0)
	v_add_u32_e32 v2, v38, v25
	v_lshlrev_b64 v[2:3], 2, v[2:3]
	v_add_co_u32_e64 v2, s[40:41], s58, v2
	v_addc_co_u32_e64 v3, s[40:41], v99, v3, s[40:41]
	global_store_dword v[2:3], v101, off
	s_or_b64 exec, exec, s[42:43]
	v_cmp_lt_u32_e64 s[40:41], v27, v0
	s_and_saveexec_b64 s[44:45], s[40:41]
	s_cbranch_execnz .LBB1355_456
.LBB1355_449:                           ;   in Loop: Header=BB1355_405 Depth=2
	s_or_b64 exec, exec, s[44:45]
	v_cmp_lt_u32_e64 s[42:43], v22, v0
	s_and_saveexec_b64 s[46:47], s[42:43]
	s_cbranch_execz .LBB1355_457
.LBB1355_450:                           ;   in Loop: Header=BB1355_405 Depth=2
	ds_read_b32 v2, v58 offset:4096
	v_mov_b32_e32 v3, v20
	v_mov_b32_e32 v99, s59
	s_waitcnt lgkmcnt(0)
	v_cmp_ne_u32_e64 s[44:45], s76, v2
	v_cndmask_b32_e64 v38, v73, v2, s[44:45]
	v_lshrrev_b32_e32 v38, s77, v38
	v_and_b32_e32 v38, s86, v38
	v_lshlrev_b32_e32 v38, 2, v38
	ds_read_b32 v38, v38
	v_cmp_gt_i32_e64 s[44:45], 0, v2
	v_cndmask_b32_e64 v101, v73, 0, s[44:45]
	v_xor_b32_e32 v101, v101, v2
	s_waitcnt lgkmcnt(0)
	v_add_u32_e32 v2, v38, v22
	v_lshlrev_b64 v[2:3], 2, v[2:3]
	v_add_co_u32_e64 v2, s[44:45], s58, v2
	v_addc_co_u32_e64 v3, s[44:45], v99, v3, s[44:45]
	global_store_dword v[2:3], v101, off
	s_or_b64 exec, exec, s[46:47]
	v_cmp_lt_u32_e64 s[44:45], v24, v0
	s_and_saveexec_b64 s[48:49], s[44:45]
	s_cbranch_execnz .LBB1355_458
.LBB1355_451:                           ;   in Loop: Header=BB1355_405 Depth=2
	s_or_b64 exec, exec, s[48:49]
	v_cmp_lt_u32_e64 s[46:47], v26, v0
	s_and_saveexec_b64 s[52:53], s[46:47]
	s_cbranch_execz .LBB1355_459
.LBB1355_452:                           ;   in Loop: Header=BB1355_405 Depth=2
	ds_read_b32 v2, v58 offset:6144
	v_mov_b32_e32 v3, v20
	v_mov_b32_e32 v99, s59
	s_waitcnt lgkmcnt(0)
	v_cmp_ne_u32_e64 s[48:49], s76, v2
	v_cndmask_b32_e64 v38, v73, v2, s[48:49]
	v_lshrrev_b32_e32 v38, s77, v38
	v_and_b32_e32 v38, s86, v38
	v_lshlrev_b32_e32 v38, 2, v38
	ds_read_b32 v38, v38
	v_cmp_gt_i32_e64 s[48:49], 0, v2
	v_cndmask_b32_e64 v101, v73, 0, s[48:49]
	v_xor_b32_e32 v101, v101, v2
	s_waitcnt lgkmcnt(0)
	v_add_u32_e32 v2, v38, v26
	v_lshlrev_b64 v[2:3], 2, v[2:3]
	v_add_co_u32_e64 v2, s[48:49], s58, v2
	v_addc_co_u32_e64 v3, s[48:49], v99, v3, s[48:49]
	global_store_dword v[2:3], v101, off
	s_or_b64 exec, exec, s[52:53]
	v_cmp_lt_u32_e64 s[48:49], v28, v0
	s_and_saveexec_b64 s[62:63], s[48:49]
	s_cbranch_execnz .LBB1355_460
	s_branch .LBB1355_461
.LBB1355_453:                           ;   in Loop: Header=BB1355_405 Depth=2
	s_or_b64 exec, exec, s[38:39]
	v_cmp_lt_u32_e64 s[36:37], v23, v0
	s_and_saveexec_b64 s[40:41], s[36:37]
	s_cbranch_execz .LBB1355_447
.LBB1355_454:                           ;   in Loop: Header=BB1355_405 Depth=2
	ds_read_b32 v2, v58 offset:1024
	v_mov_b32_e32 v3, v20
	v_mov_b32_e32 v99, s59
	s_waitcnt lgkmcnt(0)
	v_cmp_ne_u32_e64 s[38:39], s76, v2
	v_cndmask_b32_e64 v38, v73, v2, s[38:39]
	v_lshrrev_b32_e32 v38, s77, v38
	v_and_b32_e32 v38, s86, v38
	v_lshlrev_b32_e32 v38, 2, v38
	ds_read_b32 v38, v38
	v_cmp_gt_i32_e64 s[38:39], 0, v2
	v_cndmask_b32_e64 v101, v73, 0, s[38:39]
	v_xor_b32_e32 v101, v101, v2
	s_waitcnt lgkmcnt(0)
	v_add_u32_e32 v2, v38, v23
	v_lshlrev_b64 v[2:3], 2, v[2:3]
	v_add_co_u32_e64 v2, s[38:39], s58, v2
	v_addc_co_u32_e64 v3, s[38:39], v99, v3, s[38:39]
	global_store_dword v[2:3], v101, off
	s_or_b64 exec, exec, s[40:41]
	v_cmp_lt_u32_e64 s[38:39], v25, v0
	s_and_saveexec_b64 s[42:43], s[38:39]
	s_cbranch_execnz .LBB1355_448
.LBB1355_455:                           ;   in Loop: Header=BB1355_405 Depth=2
	s_or_b64 exec, exec, s[42:43]
	v_cmp_lt_u32_e64 s[40:41], v27, v0
	s_and_saveexec_b64 s[44:45], s[40:41]
	s_cbranch_execz .LBB1355_449
.LBB1355_456:                           ;   in Loop: Header=BB1355_405 Depth=2
	ds_read_b32 v2, v58 offset:3072
	v_mov_b32_e32 v3, v20
	v_mov_b32_e32 v99, s59
	s_waitcnt lgkmcnt(0)
	v_cmp_ne_u32_e64 s[42:43], s76, v2
	v_cndmask_b32_e64 v38, v73, v2, s[42:43]
	v_lshrrev_b32_e32 v38, s77, v38
	v_and_b32_e32 v38, s86, v38
	v_lshlrev_b32_e32 v38, 2, v38
	ds_read_b32 v38, v38
	v_cmp_gt_i32_e64 s[42:43], 0, v2
	v_cndmask_b32_e64 v101, v73, 0, s[42:43]
	v_xor_b32_e32 v101, v101, v2
	s_waitcnt lgkmcnt(0)
	v_add_u32_e32 v2, v38, v27
	v_lshlrev_b64 v[2:3], 2, v[2:3]
	v_add_co_u32_e64 v2, s[42:43], s58, v2
	v_addc_co_u32_e64 v3, s[42:43], v99, v3, s[42:43]
	global_store_dword v[2:3], v101, off
	s_or_b64 exec, exec, s[44:45]
	v_cmp_lt_u32_e64 s[42:43], v22, v0
	s_and_saveexec_b64 s[46:47], s[42:43]
	s_cbranch_execnz .LBB1355_450
.LBB1355_457:                           ;   in Loop: Header=BB1355_405 Depth=2
	s_or_b64 exec, exec, s[46:47]
	v_cmp_lt_u32_e64 s[44:45], v24, v0
	s_and_saveexec_b64 s[48:49], s[44:45]
	s_cbranch_execz .LBB1355_451
.LBB1355_458:                           ;   in Loop: Header=BB1355_405 Depth=2
	ds_read_b32 v2, v58 offset:5120
	v_mov_b32_e32 v3, v20
	v_mov_b32_e32 v99, s59
	s_waitcnt lgkmcnt(0)
	v_cmp_ne_u32_e64 s[46:47], s76, v2
	v_cndmask_b32_e64 v38, v73, v2, s[46:47]
	v_lshrrev_b32_e32 v38, s77, v38
	v_and_b32_e32 v38, s86, v38
	v_lshlrev_b32_e32 v38, 2, v38
	ds_read_b32 v38, v38
	v_cmp_gt_i32_e64 s[46:47], 0, v2
	v_cndmask_b32_e64 v101, v73, 0, s[46:47]
	v_xor_b32_e32 v101, v101, v2
	s_waitcnt lgkmcnt(0)
	v_add_u32_e32 v2, v38, v24
	v_lshlrev_b64 v[2:3], 2, v[2:3]
	v_add_co_u32_e64 v2, s[46:47], s58, v2
	v_addc_co_u32_e64 v3, s[46:47], v99, v3, s[46:47]
	global_store_dword v[2:3], v101, off
	s_or_b64 exec, exec, s[48:49]
	v_cmp_lt_u32_e64 s[46:47], v26, v0
	s_and_saveexec_b64 s[52:53], s[46:47]
	s_cbranch_execnz .LBB1355_452
.LBB1355_459:                           ;   in Loop: Header=BB1355_405 Depth=2
	s_or_b64 exec, exec, s[52:53]
	v_cmp_lt_u32_e64 s[48:49], v28, v0
	s_and_saveexec_b64 s[62:63], s[48:49]
	s_cbranch_execz .LBB1355_461
.LBB1355_460:                           ;   in Loop: Header=BB1355_405 Depth=2
	ds_read_b32 v2, v58 offset:7168
	v_mov_b32_e32 v3, v20
	v_mov_b32_e32 v99, s59
	s_waitcnt lgkmcnt(0)
	v_cmp_ne_u32_e64 s[52:53], s76, v2
	v_cndmask_b32_e64 v38, v73, v2, s[52:53]
	v_lshrrev_b32_e32 v38, s77, v38
	v_and_b32_e32 v38, s86, v38
	v_lshlrev_b32_e32 v38, 2, v38
	ds_read_b32 v38, v38
	v_cmp_gt_i32_e64 s[52:53], 0, v2
	v_cndmask_b32_e64 v101, v73, 0, s[52:53]
	v_xor_b32_e32 v101, v101, v2
	s_waitcnt lgkmcnt(0)
	v_add_u32_e32 v2, v38, v28
	v_lshlrev_b64 v[2:3], 2, v[2:3]
	v_add_co_u32_e64 v2, s[52:53], s58, v2
	v_addc_co_u32_e64 v3, s[52:53], v99, v3, s[52:53]
	global_store_dword v[2:3], v101, off
.LBB1355_461:                           ;   in Loop: Header=BB1355_405 Depth=2
	s_or_b64 exec, exec, s[62:63]
	s_lshl_b64 s[52:53], s[80:81], 3
	v_mov_b32_e32 v3, s53
	v_add_co_u32_e64 v2, s[52:53], s52, v83
	v_addc_co_u32_e64 v3, s[52:53], v85, v3, s[52:53]
	v_cmp_lt_u32_e64 s[52:53], v80, v0
	s_and_saveexec_b64 s[62:63], s[52:53]
	s_xor_b64 s[52:53], exec, s[62:63]
	s_cbranch_execz .LBB1355_477
; %bb.462:                              ;   in Loop: Header=BB1355_405 Depth=2
	global_load_dwordx2 v[36:37], v[2:3], off
	s_or_b64 exec, exec, s[52:53]
	v_cmp_lt_u32_e64 s[52:53], v87, v0
	s_and_saveexec_b64 s[62:63], s[52:53]
	s_cbranch_execnz .LBB1355_478
.LBB1355_463:                           ;   in Loop: Header=BB1355_405 Depth=2
	s_or_b64 exec, exec, s[62:63]
	v_cmp_lt_u32_e64 s[52:53], v88, v0
	s_and_saveexec_b64 s[62:63], s[52:53]
	s_cbranch_execz .LBB1355_479
.LBB1355_464:                           ;   in Loop: Header=BB1355_405 Depth=2
	global_load_dwordx2 v[32:33], v[2:3], off offset:1024
	s_or_b64 exec, exec, s[62:63]
	v_cmp_lt_u32_e64 s[52:53], v89, v0
	s_and_saveexec_b64 s[62:63], s[52:53]
	s_cbranch_execnz .LBB1355_480
.LBB1355_465:                           ;   in Loop: Header=BB1355_405 Depth=2
	s_or_b64 exec, exec, s[62:63]
	v_cmp_lt_u32_e64 s[52:53], v90, v0
	s_and_saveexec_b64 s[62:63], s[52:53]
	s_cbranch_execz .LBB1355_481
.LBB1355_466:                           ;   in Loop: Header=BB1355_405 Depth=2
	global_load_dwordx2 v[16:17], v[2:3], off offset:2048
	s_or_b64 exec, exec, s[62:63]
	v_cmp_lt_u32_e64 s[52:53], v91, v0
	s_and_saveexec_b64 s[62:63], s[52:53]
	s_cbranch_execnz .LBB1355_482
.LBB1355_467:                           ;   in Loop: Header=BB1355_405 Depth=2
	s_or_b64 exec, exec, s[62:63]
	v_cmp_lt_u32_e64 s[52:53], v92, v0
	s_and_saveexec_b64 s[62:63], s[52:53]
	s_cbranch_execz .LBB1355_483
.LBB1355_468:                           ;   in Loop: Header=BB1355_405 Depth=2
	global_load_dwordx2 v[12:13], v[2:3], off offset:3072
	s_or_b64 exec, exec, s[62:63]
	v_cmp_lt_u32_e64 s[52:53], v93, v0
	s_and_saveexec_b64 s[62:63], s[52:53]
	s_cbranch_execnz .LBB1355_484
.LBB1355_469:                           ;   in Loop: Header=BB1355_405 Depth=2
	s_or_b64 exec, exec, s[62:63]
	s_and_saveexec_b64 s[62:63], vcc
	s_cbranch_execz .LBB1355_485
.LBB1355_470:                           ;   in Loop: Header=BB1355_405 Depth=2
	ds_read_b32 v0, v53 offset:1024
	s_waitcnt lgkmcnt(0)
	v_cmp_ne_u32_e64 s[52:53], s76, v0
	v_cndmask_b32_e64 v0, v73, v0, s[52:53]
	v_lshrrev_b32_e32 v0, s77, v0
	v_and_b32_e32 v86, s86, v0
	s_or_b64 exec, exec, s[62:63]
	s_and_saveexec_b64 s[62:63], s[36:37]
	s_cbranch_execnz .LBB1355_486
.LBB1355_471:                           ;   in Loop: Header=BB1355_405 Depth=2
	s_or_b64 exec, exec, s[62:63]
	s_and_saveexec_b64 s[62:63], s[38:39]
	s_cbranch_execz .LBB1355_487
.LBB1355_472:                           ;   in Loop: Header=BB1355_405 Depth=2
	ds_read_b32 v0, v58 offset:2048
	s_waitcnt lgkmcnt(0)
	v_cmp_ne_u32_e64 s[52:53], s76, v0
	v_cndmask_b32_e64 v0, v73, v0, s[52:53]
	v_lshrrev_b32_e32 v0, s77, v0
	v_and_b32_e32 v82, s86, v0
	s_or_b64 exec, exec, s[62:63]
	s_and_saveexec_b64 s[62:63], s[40:41]
	s_cbranch_execnz .LBB1355_488
.LBB1355_473:                           ;   in Loop: Header=BB1355_405 Depth=2
	s_or_b64 exec, exec, s[62:63]
	s_and_saveexec_b64 s[62:63], s[42:43]
	s_cbranch_execz .LBB1355_489
.LBB1355_474:                           ;   in Loop: Header=BB1355_405 Depth=2
	ds_read_b32 v0, v58 offset:4096
	s_waitcnt lgkmcnt(0)
	v_cmp_ne_u32_e64 s[52:53], s76, v0
	v_cndmask_b32_e64 v0, v73, v0, s[52:53]
	v_lshrrev_b32_e32 v0, s77, v0
	v_and_b32_e32 v79, s86, v0
	s_or_b64 exec, exec, s[62:63]
	s_and_saveexec_b64 s[62:63], s[44:45]
	s_cbranch_execnz .LBB1355_490
.LBB1355_475:                           ;   in Loop: Header=BB1355_405 Depth=2
	s_or_b64 exec, exec, s[62:63]
	s_and_saveexec_b64 s[62:63], s[46:47]
	s_cbranch_execz .LBB1355_491
.LBB1355_476:                           ;   in Loop: Header=BB1355_405 Depth=2
	ds_read_b32 v0, v58 offset:6144
	s_waitcnt lgkmcnt(0)
	v_cmp_ne_u32_e64 s[52:53], s76, v0
	v_cndmask_b32_e64 v0, v73, v0, s[52:53]
	v_lshrrev_b32_e32 v0, s77, v0
	v_and_b32_e32 v77, s86, v0
	s_or_b64 exec, exec, s[62:63]
	s_and_saveexec_b64 s[62:63], s[48:49]
	s_cbranch_execnz .LBB1355_492
	s_branch .LBB1355_493
.LBB1355_477:                           ;   in Loop: Header=BB1355_405 Depth=2
	s_or_b64 exec, exec, s[52:53]
	v_cmp_lt_u32_e64 s[52:53], v87, v0
	s_and_saveexec_b64 s[62:63], s[52:53]
	s_cbranch_execz .LBB1355_463
.LBB1355_478:                           ;   in Loop: Header=BB1355_405 Depth=2
	global_load_dwordx2 v[34:35], v[2:3], off offset:512
	s_or_b64 exec, exec, s[62:63]
	v_cmp_lt_u32_e64 s[52:53], v88, v0
	s_and_saveexec_b64 s[62:63], s[52:53]
	s_cbranch_execnz .LBB1355_464
.LBB1355_479:                           ;   in Loop: Header=BB1355_405 Depth=2
	s_or_b64 exec, exec, s[62:63]
	v_cmp_lt_u32_e64 s[52:53], v89, v0
	s_and_saveexec_b64 s[62:63], s[52:53]
	s_cbranch_execz .LBB1355_465
.LBB1355_480:                           ;   in Loop: Header=BB1355_405 Depth=2
	global_load_dwordx2 v[30:31], v[2:3], off offset:1536
	s_or_b64 exec, exec, s[62:63]
	v_cmp_lt_u32_e64 s[52:53], v90, v0
	s_and_saveexec_b64 s[62:63], s[52:53]
	s_cbranch_execnz .LBB1355_466
.LBB1355_481:                           ;   in Loop: Header=BB1355_405 Depth=2
	s_or_b64 exec, exec, s[62:63]
	v_cmp_lt_u32_e64 s[52:53], v91, v0
	s_and_saveexec_b64 s[62:63], s[52:53]
	s_cbranch_execz .LBB1355_467
.LBB1355_482:                           ;   in Loop: Header=BB1355_405 Depth=2
	global_load_dwordx2 v[14:15], v[2:3], off offset:2560
	s_or_b64 exec, exec, s[62:63]
	v_cmp_lt_u32_e64 s[52:53], v92, v0
	s_and_saveexec_b64 s[62:63], s[52:53]
	s_cbranch_execnz .LBB1355_468
.LBB1355_483:                           ;   in Loop: Header=BB1355_405 Depth=2
	s_or_b64 exec, exec, s[62:63]
	v_cmp_lt_u32_e64 s[52:53], v93, v0
	s_and_saveexec_b64 s[62:63], s[52:53]
	s_cbranch_execz .LBB1355_469
.LBB1355_484:                           ;   in Loop: Header=BB1355_405 Depth=2
	global_load_dwordx2 v[10:11], v[2:3], off offset:3584
	s_or_b64 exec, exec, s[62:63]
	s_and_saveexec_b64 s[62:63], vcc
	s_cbranch_execnz .LBB1355_470
.LBB1355_485:                           ;   in Loop: Header=BB1355_405 Depth=2
	s_or_b64 exec, exec, s[62:63]
	s_and_saveexec_b64 s[62:63], s[36:37]
	s_cbranch_execz .LBB1355_471
.LBB1355_486:                           ;   in Loop: Header=BB1355_405 Depth=2
	ds_read_b32 v0, v58 offset:1024
	s_waitcnt lgkmcnt(0)
	v_cmp_ne_u32_e64 s[52:53], s76, v0
	v_cndmask_b32_e64 v0, v73, v0, s[52:53]
	v_lshrrev_b32_e32 v0, s77, v0
	v_and_b32_e32 v84, s86, v0
	s_or_b64 exec, exec, s[62:63]
	s_and_saveexec_b64 s[62:63], s[38:39]
	s_cbranch_execnz .LBB1355_472
.LBB1355_487:                           ;   in Loop: Header=BB1355_405 Depth=2
	s_or_b64 exec, exec, s[62:63]
	s_and_saveexec_b64 s[62:63], s[40:41]
	s_cbranch_execz .LBB1355_473
.LBB1355_488:                           ;   in Loop: Header=BB1355_405 Depth=2
	ds_read_b32 v0, v58 offset:3072
	s_waitcnt lgkmcnt(0)
	v_cmp_ne_u32_e64 s[52:53], s76, v0
	v_cndmask_b32_e64 v0, v73, v0, s[52:53]
	v_lshrrev_b32_e32 v0, s77, v0
	v_and_b32_e32 v81, s86, v0
	s_or_b64 exec, exec, s[62:63]
	s_and_saveexec_b64 s[62:63], s[42:43]
	s_cbranch_execnz .LBB1355_474
.LBB1355_489:                           ;   in Loop: Header=BB1355_405 Depth=2
	s_or_b64 exec, exec, s[62:63]
	s_and_saveexec_b64 s[62:63], s[44:45]
	s_cbranch_execz .LBB1355_475
.LBB1355_490:                           ;   in Loop: Header=BB1355_405 Depth=2
	ds_read_b32 v0, v58 offset:5120
	s_waitcnt lgkmcnt(0)
	v_cmp_ne_u32_e64 s[52:53], s76, v0
	v_cndmask_b32_e64 v0, v73, v0, s[52:53]
	v_lshrrev_b32_e32 v0, s77, v0
	v_and_b32_e32 v78, s86, v0
	s_or_b64 exec, exec, s[62:63]
	s_and_saveexec_b64 s[62:63], s[46:47]
	s_cbranch_execnz .LBB1355_476
.LBB1355_491:                           ;   in Loop: Header=BB1355_405 Depth=2
	s_or_b64 exec, exec, s[62:63]
	s_and_saveexec_b64 s[62:63], s[48:49]
	s_cbranch_execz .LBB1355_493
.LBB1355_492:                           ;   in Loop: Header=BB1355_405 Depth=2
	ds_read_b32 v0, v58 offset:7168
	s_waitcnt lgkmcnt(0)
	v_cmp_ne_u32_e64 s[52:53], s76, v0
	v_cndmask_b32_e64 v0, v73, v0, s[52:53]
	v_lshrrev_b32_e32 v0, s77, v0
	v_and_b32_e32 v76, s86, v0
.LBB1355_493:                           ;   in Loop: Header=BB1355_405 Depth=2
	s_or_b64 exec, exec, s[62:63]
	v_lshlrev_b32_e32 v0, 3, v100
	s_barrier
	s_waitcnt vmcnt(0)
	ds_write_b64 v0, v[36:37] offset:1024
	v_lshlrev_b32_e32 v0, 3, v39
	ds_write_b64 v0, v[34:35] offset:1024
	v_lshlrev_b32_e32 v0, 3, v21
	;; [unrolled: 2-line block ×7, first 2 shown]
	ds_write_b64 v0, v[10:11] offset:1024
	s_waitcnt lgkmcnt(0)
	s_barrier
	s_and_saveexec_b64 s[52:53], vcc
	s_cbranch_execz .LBB1355_501
; %bb.494:                              ;   in Loop: Header=BB1355_405 Depth=2
	v_lshlrev_b32_e32 v0, 2, v86
	ds_read_b32 v0, v0
	v_add_u32_e32 v2, v53, v19
	ds_read_b64 v[2:3], v2 offset:1024
	v_mov_b32_e32 v7, v20
	v_mov_b32_e32 v5, s73
	s_waitcnt lgkmcnt(1)
	v_add_u32_e32 v6, v0, v18
	v_lshlrev_b64 v[6:7], 3, v[6:7]
	v_add_co_u32_e32 v6, vcc, s72, v6
	v_addc_co_u32_e32 v7, vcc, v5, v7, vcc
	s_waitcnt lgkmcnt(0)
	global_store_dwordx2 v[6:7], v[2:3], off
	s_or_b64 exec, exec, s[52:53]
	s_and_saveexec_b64 s[52:53], s[36:37]
	s_cbranch_execnz .LBB1355_502
.LBB1355_495:                           ;   in Loop: Header=BB1355_405 Depth=2
	s_or_b64 exec, exec, s[52:53]
	s_and_saveexec_b64 s[36:37], s[38:39]
	s_cbranch_execz .LBB1355_503
.LBB1355_496:                           ;   in Loop: Header=BB1355_405 Depth=2
	v_lshlrev_b32_e32 v0, 2, v82
	ds_read_b32 v0, v0
	v_add_u32_e32 v2, v58, v19
	ds_read_b64 v[2:3], v2 offset:4096
	v_mov_b32_e32 v7, v20
	v_mov_b32_e32 v5, s73
	s_waitcnt lgkmcnt(1)
	v_add_u32_e32 v6, v0, v25
	v_lshlrev_b64 v[6:7], 3, v[6:7]
	v_add_co_u32_e32 v6, vcc, s72, v6
	v_addc_co_u32_e32 v7, vcc, v5, v7, vcc
	s_waitcnt lgkmcnt(0)
	global_store_dwordx2 v[6:7], v[2:3], off
	s_or_b64 exec, exec, s[36:37]
	s_and_saveexec_b64 s[36:37], s[40:41]
	s_cbranch_execnz .LBB1355_504
.LBB1355_497:                           ;   in Loop: Header=BB1355_405 Depth=2
	s_or_b64 exec, exec, s[36:37]
	s_and_saveexec_b64 s[36:37], s[42:43]
	s_cbranch_execz .LBB1355_505
.LBB1355_498:                           ;   in Loop: Header=BB1355_405 Depth=2
	v_lshlrev_b32_e32 v0, 2, v79
	ds_read_b32 v0, v0
	v_add_u32_e32 v2, v58, v19
	ds_read_b64 v[2:3], v2 offset:8192
	v_mov_b32_e32 v7, v20
	v_mov_b32_e32 v5, s73
	s_waitcnt lgkmcnt(1)
	v_add_u32_e32 v6, v0, v22
	v_lshlrev_b64 v[6:7], 3, v[6:7]
	v_add_co_u32_e32 v6, vcc, s72, v6
	v_addc_co_u32_e32 v7, vcc, v5, v7, vcc
	s_waitcnt lgkmcnt(0)
	global_store_dwordx2 v[6:7], v[2:3], off
	s_or_b64 exec, exec, s[36:37]
	s_and_saveexec_b64 s[36:37], s[44:45]
	s_cbranch_execnz .LBB1355_506
.LBB1355_499:                           ;   in Loop: Header=BB1355_405 Depth=2
	s_or_b64 exec, exec, s[36:37]
	s_and_saveexec_b64 s[36:37], s[46:47]
	s_cbranch_execz .LBB1355_507
.LBB1355_500:                           ;   in Loop: Header=BB1355_405 Depth=2
	v_lshlrev_b32_e32 v0, 2, v77
	ds_read_b32 v0, v0
	v_add_u32_e32 v2, v58, v19
	ds_read_b64 v[2:3], v2 offset:12288
	v_mov_b32_e32 v7, v20
	v_mov_b32_e32 v5, s73
	s_waitcnt lgkmcnt(1)
	v_add_u32_e32 v6, v0, v26
	v_lshlrev_b64 v[6:7], 3, v[6:7]
	v_add_co_u32_e32 v6, vcc, s72, v6
	v_addc_co_u32_e32 v7, vcc, v5, v7, vcc
	s_waitcnt lgkmcnt(0)
	global_store_dwordx2 v[6:7], v[2:3], off
	s_or_b64 exec, exec, s[36:37]
	s_and_saveexec_b64 s[36:37], s[48:49]
	s_cbranch_execnz .LBB1355_508
	s_branch .LBB1355_509
.LBB1355_501:                           ;   in Loop: Header=BB1355_405 Depth=2
	s_or_b64 exec, exec, s[52:53]
	s_and_saveexec_b64 s[52:53], s[36:37]
	s_cbranch_execz .LBB1355_495
.LBB1355_502:                           ;   in Loop: Header=BB1355_405 Depth=2
	v_lshlrev_b32_e32 v0, 2, v84
	ds_read_b32 v0, v0
	v_add_u32_e32 v2, v58, v19
	ds_read_b64 v[2:3], v2 offset:2048
	v_mov_b32_e32 v7, v20
	v_mov_b32_e32 v5, s73
	s_waitcnt lgkmcnt(1)
	v_add_u32_e32 v6, v0, v23
	v_lshlrev_b64 v[6:7], 3, v[6:7]
	v_add_co_u32_e32 v6, vcc, s72, v6
	v_addc_co_u32_e32 v7, vcc, v5, v7, vcc
	s_waitcnt lgkmcnt(0)
	global_store_dwordx2 v[6:7], v[2:3], off
	s_or_b64 exec, exec, s[52:53]
	s_and_saveexec_b64 s[36:37], s[38:39]
	s_cbranch_execnz .LBB1355_496
.LBB1355_503:                           ;   in Loop: Header=BB1355_405 Depth=2
	s_or_b64 exec, exec, s[36:37]
	s_and_saveexec_b64 s[36:37], s[40:41]
	s_cbranch_execz .LBB1355_497
.LBB1355_504:                           ;   in Loop: Header=BB1355_405 Depth=2
	v_lshlrev_b32_e32 v0, 2, v81
	ds_read_b32 v0, v0
	v_add_u32_e32 v2, v58, v19
	ds_read_b64 v[2:3], v2 offset:6144
	v_mov_b32_e32 v7, v20
	v_mov_b32_e32 v5, s73
	s_waitcnt lgkmcnt(1)
	v_add_u32_e32 v6, v0, v27
	v_lshlrev_b64 v[6:7], 3, v[6:7]
	v_add_co_u32_e32 v6, vcc, s72, v6
	v_addc_co_u32_e32 v7, vcc, v5, v7, vcc
	s_waitcnt lgkmcnt(0)
	global_store_dwordx2 v[6:7], v[2:3], off
	s_or_b64 exec, exec, s[36:37]
	s_and_saveexec_b64 s[36:37], s[42:43]
	s_cbranch_execnz .LBB1355_498
.LBB1355_505:                           ;   in Loop: Header=BB1355_405 Depth=2
	s_or_b64 exec, exec, s[36:37]
	s_and_saveexec_b64 s[36:37], s[44:45]
	s_cbranch_execz .LBB1355_499
.LBB1355_506:                           ;   in Loop: Header=BB1355_405 Depth=2
	v_lshlrev_b32_e32 v0, 2, v78
	ds_read_b32 v0, v0
	v_add_u32_e32 v2, v58, v19
	ds_read_b64 v[2:3], v2 offset:10240
	v_mov_b32_e32 v7, v20
	v_mov_b32_e32 v5, s73
	s_waitcnt lgkmcnt(1)
	v_add_u32_e32 v6, v0, v24
	v_lshlrev_b64 v[6:7], 3, v[6:7]
	v_add_co_u32_e32 v6, vcc, s72, v6
	v_addc_co_u32_e32 v7, vcc, v5, v7, vcc
	s_waitcnt lgkmcnt(0)
	global_store_dwordx2 v[6:7], v[2:3], off
	s_or_b64 exec, exec, s[36:37]
	s_and_saveexec_b64 s[36:37], s[46:47]
	s_cbranch_execnz .LBB1355_500
.LBB1355_507:                           ;   in Loop: Header=BB1355_405 Depth=2
	s_or_b64 exec, exec, s[36:37]
	s_and_saveexec_b64 s[36:37], s[48:49]
	s_cbranch_execz .LBB1355_509
.LBB1355_508:                           ;   in Loop: Header=BB1355_405 Depth=2
	v_lshlrev_b32_e32 v0, 2, v76
	ds_read_b32 v0, v0
	v_add_u32_e32 v2, v58, v19
	ds_read_b64 v[2:3], v2 offset:14336
	v_mov_b32_e32 v7, v20
	v_mov_b32_e32 v5, s73
	s_waitcnt lgkmcnt(1)
	v_add_u32_e32 v6, v0, v28
	v_lshlrev_b64 v[6:7], 3, v[6:7]
	v_add_co_u32_e32 v6, vcc, s72, v6
	v_addc_co_u32_e32 v7, vcc, v5, v7, vcc
	s_waitcnt lgkmcnt(0)
	global_store_dwordx2 v[6:7], v[2:3], off
.LBB1355_509:                           ;   in Loop: Header=BB1355_405 Depth=2
	s_or_b64 exec, exec, s[36:37]
	s_barrier
	s_and_saveexec_b64 s[36:37], s[4:5]
	s_cbranch_execz .LBB1355_404
; %bb.510:                              ;   in Loop: Header=BB1355_405 Depth=2
	ds_read_b32 v0, v19
	s_waitcnt lgkmcnt(0)
	v_add_u32_e32 v0, v0, v4
	ds_write_b32 v19, v0
	s_branch .LBB1355_404
.LBB1355_511:                           ;   in Loop: Header=BB1355_405 Depth=2
	s_or_b64 exec, exec, s[36:37]
	v_cmp_gt_u32_e32 vcc, s87, v87
	s_and_saveexec_b64 s[36:37], vcc
	s_cbranch_execz .LBB1355_410
.LBB1355_512:                           ;   in Loop: Header=BB1355_405 Depth=2
	global_load_dword v3, v[38:39], off offset:256
	s_or_b64 exec, exec, s[36:37]
	v_cmp_gt_u32_e32 vcc, s87, v88
	s_and_saveexec_b64 s[36:37], vcc
	s_cbranch_execnz .LBB1355_411
.LBB1355_513:                           ;   in Loop: Header=BB1355_405 Depth=2
	s_or_b64 exec, exec, s[36:37]
	v_cmp_gt_u32_e32 vcc, s87, v89
	s_and_saveexec_b64 s[36:37], vcc
	s_cbranch_execz .LBB1355_412
.LBB1355_514:                           ;   in Loop: Header=BB1355_405 Depth=2
	global_load_dword v5, v[38:39], off offset:768
	s_or_b64 exec, exec, s[36:37]
	v_cmp_gt_u32_e32 vcc, s87, v90
	s_and_saveexec_b64 s[36:37], vcc
	s_cbranch_execnz .LBB1355_413
.LBB1355_515:                           ;   in Loop: Header=BB1355_405 Depth=2
	s_or_b64 exec, exec, s[36:37]
	v_cmp_gt_u32_e32 vcc, s87, v91
	s_and_saveexec_b64 s[36:37], vcc
	s_cbranch_execz .LBB1355_414
.LBB1355_516:                           ;   in Loop: Header=BB1355_405 Depth=2
	global_load_dword v7, v[38:39], off offset:1280
	s_or_b64 exec, exec, s[36:37]
	v_cmp_gt_u32_e32 vcc, s87, v92
	s_and_saveexec_b64 s[36:37], vcc
	s_cbranch_execnz .LBB1355_415
	s_branch .LBB1355_416
.LBB1355_517:                           ;   in Loop: Header=BB1355_17 Depth=1
	s_waitcnt lgkmcnt(0)
	s_barrier
	s_mov_b64 s[16:17], 0
.LBB1355_518:                           ;   in Loop: Header=BB1355_17 Depth=1
	s_and_b64 vcc, exec, s[16:17]
	s_cbranch_vccz .LBB1355_16
; %bb.519:                              ;   in Loop: Header=BB1355_17 Depth=1
	s_mov_b32 s22, s79
	s_mov_b32 s80, s51
	s_barrier
	s_waitcnt lgkmcnt(0)
                                        ; implicit-def: $vgpr2_vgpr3_vgpr4_vgpr5_vgpr6_vgpr7_vgpr8_vgpr9
	s_branch .LBB1355_521
.LBB1355_520:                           ;   in Loop: Header=BB1355_521 Depth=2
	s_or_b64 exec, exec, s[16:17]
	s_addk_i32 s22, 0xf800
	s_cmp_ge_u32 s23, s84
	s_mov_b32 s80, s23
	s_cbranch_scc1 .LBB1355_559
.LBB1355_521:                           ;   Parent Loop BB1355_17 Depth=1
                                        ; =>  This Inner Loop Header: Depth=2
	s_add_i32 s23, s80, 0x800
	s_cmp_gt_u32 s23, s84
	s_cbranch_scc1 .LBB1355_524
; %bb.522:                              ;   in Loop: Header=BB1355_521 Depth=2
	s_lshl_b64 s[16:17], s[80:81], 2
	v_mov_b32_e32 v0, s17
	v_add_co_u32_e32 v30, vcc, s16, v65
	v_addc_co_u32_e32 v31, vcc, v66, v0, vcc
	v_add_co_u32_e32 v32, vcc, 0x1000, v30
	v_addc_co_u32_e32 v33, vcc, 0, v31, vcc
	global_load_dword v10, v[30:31], off
	global_load_dword v11, v[30:31], off offset:1024
	global_load_dword v12, v[30:31], off offset:2048
	global_load_dword v13, v[30:31], off offset:3072
	global_load_dword v14, v[32:33], off
	global_load_dword v15, v[32:33], off offset:1024
	global_load_dword v16, v[32:33], off offset:2048
	v_add_co_u32_e32 v30, vcc, 0x1c00, v30
	v_addc_co_u32_e32 v31, vcc, 0, v31, vcc
	s_mov_b64 s[16:17], -1
	s_movk_i32 s24, 0x800
	s_cbranch_execz .LBB1355_525
; %bb.523:                              ;   in Loop: Header=BB1355_521 Depth=2
                                        ; implicit-def: $vgpr2_vgpr3_vgpr4_vgpr5_vgpr6_vgpr7_vgpr8_vgpr9
	v_mov_b32_e32 v0, s22
	s_and_saveexec_b64 s[18:19], s[16:17]
	s_cbranch_execnz .LBB1355_536
	s_branch .LBB1355_537
.LBB1355_524:                           ;   in Loop: Header=BB1355_521 Depth=2
	s_mov_b64 s[16:17], 0
                                        ; implicit-def: $sgpr24
                                        ; implicit-def: $vgpr10_vgpr11_vgpr12_vgpr13_vgpr14_vgpr15_vgpr16_vgpr17
                                        ; implicit-def: $vgpr30_vgpr31
.LBB1355_525:                           ;   in Loop: Header=BB1355_521 Depth=2
	s_lshl_b64 s[18:19], s[80:81], 2
	s_add_u32 s18, s56, s18
	s_addc_u32 s19, s57, s19
	v_cmp_gt_u32_e32 vcc, s22, v18
	s_and_saveexec_b64 s[20:21], vcc
	s_cbranch_execz .LBB1355_553
; %bb.526:                              ;   in Loop: Header=BB1355_521 Depth=2
	global_load_dword v2, v72, s[18:19]
	s_or_b64 exec, exec, s[20:21]
	v_cmp_gt_u32_e32 vcc, s22, v23
	s_and_saveexec_b64 s[20:21], vcc
	s_cbranch_execnz .LBB1355_554
.LBB1355_527:                           ;   in Loop: Header=BB1355_521 Depth=2
	s_or_b64 exec, exec, s[20:21]
	v_cmp_gt_u32_e32 vcc, s22, v25
	s_and_saveexec_b64 s[20:21], vcc
	s_cbranch_execz .LBB1355_555
.LBB1355_528:                           ;   in Loop: Header=BB1355_521 Depth=2
	global_load_dword v4, v72, s[18:19] offset:2048
	s_or_b64 exec, exec, s[20:21]
	v_cmp_gt_u32_e32 vcc, s22, v27
	s_and_saveexec_b64 s[20:21], vcc
	s_cbranch_execnz .LBB1355_556
.LBB1355_529:                           ;   in Loop: Header=BB1355_521 Depth=2
	s_or_b64 exec, exec, s[20:21]
	v_cmp_gt_u32_e32 vcc, s22, v22
	s_and_saveexec_b64 s[20:21], vcc
	s_cbranch_execz .LBB1355_557
.LBB1355_530:                           ;   in Loop: Header=BB1355_521 Depth=2
	v_lshlrev_b32_e32 v0, 2, v22
	global_load_dword v6, v0, s[18:19]
	s_or_b64 exec, exec, s[20:21]
	v_cmp_gt_u32_e32 vcc, s22, v24
	s_and_saveexec_b64 s[20:21], vcc
	s_cbranch_execnz .LBB1355_558
.LBB1355_531:                           ;   in Loop: Header=BB1355_521 Depth=2
	s_or_b64 exec, exec, s[20:21]
	v_cmp_gt_u32_e32 vcc, s22, v26
	s_and_saveexec_b64 s[20:21], vcc
	s_cbranch_execz .LBB1355_533
.LBB1355_532:                           ;   in Loop: Header=BB1355_521 Depth=2
	v_lshlrev_b32_e32 v0, 2, v26
	global_load_dword v8, v0, s[18:19]
.LBB1355_533:                           ;   in Loop: Header=BB1355_521 Depth=2
	s_or_b64 exec, exec, s[20:21]
	v_cmp_gt_u32_e32 vcc, s22, v28
                                        ; implicit-def: $sgpr24
                                        ; implicit-def: $vgpr30_vgpr31
	s_and_saveexec_b64 s[20:21], vcc
	s_cbranch_execz .LBB1355_535
; %bb.534:                              ;   in Loop: Header=BB1355_521 Depth=2
	v_lshlrev_b32_e32 v0, 2, v28
	s_waitcnt vmcnt(6)
	v_mov_b32_e32 v10, s19
	v_add_co_u32_e32 v30, vcc, s18, v0
	s_sub_i32 s24, s84, s80
	v_addc_co_u32_e32 v31, vcc, 0, v10, vcc
	s_or_b64 s[16:17], s[16:17], exec
.LBB1355_535:                           ;   in Loop: Header=BB1355_521 Depth=2
	s_or_b64 exec, exec, s[20:21]
	s_waitcnt vmcnt(0)
	v_pk_mov_b32 v[16:17], v[8:9], v[8:9] op_sel:[0,1]
	v_pk_mov_b32 v[14:15], v[6:7], v[6:7] op_sel:[0,1]
	;; [unrolled: 1-line block ×4, first 2 shown]
	v_mov_b32_e32 v0, s22
	s_and_saveexec_b64 s[18:19], s[16:17]
	s_cbranch_execz .LBB1355_537
.LBB1355_536:                           ;   in Loop: Header=BB1355_521 Depth=2
	global_load_dword v17, v[30:31], off
	s_waitcnt vmcnt(0)
	v_pk_mov_b32 v[2:3], v[10:11], v[10:11] op_sel:[0,1]
	v_mov_b32_e32 v0, s24
	v_pk_mov_b32 v[4:5], v[12:13], v[12:13] op_sel:[0,1]
	v_pk_mov_b32 v[6:7], v[14:15], v[14:15] op_sel:[0,1]
	;; [unrolled: 1-line block ×3, first 2 shown]
.LBB1355_537:                           ;   in Loop: Header=BB1355_521 Depth=2
	s_or_b64 exec, exec, s[18:19]
	v_cmp_lt_u32_e32 vcc, v18, v0
	s_waitcnt vmcnt(6)
	v_lshlrev_b32_e32 v10, 2, v29
	s_and_saveexec_b64 s[16:17], vcc
	s_cbranch_execz .LBB1355_545
; %bb.538:                              ;   in Loop: Header=BB1355_521 Depth=2
	v_cmp_gt_i32_e32 vcc, 0, v2
	s_waitcnt vmcnt(5)
	v_cndmask_b32_e64 v11, v73, 0, vcc
	v_xor_b32_e32 v11, v11, v2
	v_cmp_ne_u32_e32 vcc, s76, v11
	v_cndmask_b32_e32 v11, v73, v11, vcc
	v_lshrrev_b32_e32 v11, s77, v11
	v_and_b32_e32 v11, s86, v11
	v_lshl_or_b32 v11, v11, 4, v10
	ds_add_u32 v11, v71
	s_or_b64 exec, exec, s[16:17]
	v_cmp_lt_u32_e32 vcc, v23, v0
	s_and_saveexec_b64 s[16:17], vcc
	s_cbranch_execnz .LBB1355_546
.LBB1355_539:                           ;   in Loop: Header=BB1355_521 Depth=2
	s_or_b64 exec, exec, s[16:17]
	v_cmp_lt_u32_e32 vcc, v25, v0
	s_and_saveexec_b64 s[16:17], vcc
	s_cbranch_execz .LBB1355_547
.LBB1355_540:                           ;   in Loop: Header=BB1355_521 Depth=2
	v_cmp_gt_i32_e32 vcc, 0, v4
	s_waitcnt vmcnt(5)
	v_cndmask_b32_e64 v11, v73, 0, vcc
	v_xor_b32_e32 v11, v11, v4
	v_cmp_ne_u32_e32 vcc, s76, v11
	v_cndmask_b32_e32 v11, v73, v11, vcc
	v_lshrrev_b32_e32 v11, s77, v11
	v_and_b32_e32 v11, s86, v11
	v_lshl_or_b32 v11, v11, 4, v10
	ds_add_u32 v11, v71
	s_or_b64 exec, exec, s[16:17]
	v_cmp_lt_u32_e32 vcc, v27, v0
	s_and_saveexec_b64 s[16:17], vcc
	s_cbranch_execnz .LBB1355_548
.LBB1355_541:                           ;   in Loop: Header=BB1355_521 Depth=2
	s_or_b64 exec, exec, s[16:17]
	v_cmp_lt_u32_e32 vcc, v22, v0
	s_and_saveexec_b64 s[16:17], vcc
	s_cbranch_execz .LBB1355_549
.LBB1355_542:                           ;   in Loop: Header=BB1355_521 Depth=2
	v_cmp_gt_i32_e32 vcc, 0, v6
	s_waitcnt vmcnt(5)
	v_cndmask_b32_e64 v11, v73, 0, vcc
	v_xor_b32_e32 v11, v11, v6
	v_cmp_ne_u32_e32 vcc, s76, v11
	v_cndmask_b32_e32 v11, v73, v11, vcc
	v_lshrrev_b32_e32 v11, s77, v11
	v_and_b32_e32 v11, s86, v11
	v_lshl_or_b32 v11, v11, 4, v10
	ds_add_u32 v11, v71
	s_or_b64 exec, exec, s[16:17]
	v_cmp_lt_u32_e32 vcc, v24, v0
	s_and_saveexec_b64 s[16:17], vcc
	s_cbranch_execnz .LBB1355_550
.LBB1355_543:                           ;   in Loop: Header=BB1355_521 Depth=2
	s_or_b64 exec, exec, s[16:17]
	v_cmp_lt_u32_e32 vcc, v26, v0
	s_and_saveexec_b64 s[16:17], vcc
	s_cbranch_execz .LBB1355_551
.LBB1355_544:                           ;   in Loop: Header=BB1355_521 Depth=2
	v_cmp_gt_i32_e32 vcc, 0, v8
	s_waitcnt vmcnt(5)
	v_cndmask_b32_e64 v11, v73, 0, vcc
	v_xor_b32_e32 v11, v11, v8
	v_cmp_ne_u32_e32 vcc, s76, v11
	v_cndmask_b32_e32 v11, v73, v11, vcc
	v_lshrrev_b32_e32 v11, s77, v11
	v_and_b32_e32 v11, s86, v11
	v_lshl_or_b32 v11, v11, 4, v10
	ds_add_u32 v11, v71
	s_or_b64 exec, exec, s[16:17]
	v_cmp_lt_u32_e32 vcc, v28, v0
	s_and_saveexec_b64 s[16:17], vcc
	s_cbranch_execz .LBB1355_520
	s_branch .LBB1355_552
.LBB1355_545:                           ;   in Loop: Header=BB1355_521 Depth=2
	s_or_b64 exec, exec, s[16:17]
	v_cmp_lt_u32_e32 vcc, v23, v0
	s_and_saveexec_b64 s[16:17], vcc
	s_cbranch_execz .LBB1355_539
.LBB1355_546:                           ;   in Loop: Header=BB1355_521 Depth=2
	v_cmp_gt_i32_e32 vcc, 0, v3
	s_waitcnt vmcnt(5)
	v_cndmask_b32_e64 v11, v73, 0, vcc
	v_xor_b32_e32 v11, v11, v3
	v_cmp_ne_u32_e32 vcc, s76, v11
	v_cndmask_b32_e32 v11, v73, v11, vcc
	v_lshrrev_b32_e32 v11, s77, v11
	v_and_b32_e32 v11, s86, v11
	v_lshl_or_b32 v11, v11, 4, v10
	ds_add_u32 v11, v71
	s_or_b64 exec, exec, s[16:17]
	v_cmp_lt_u32_e32 vcc, v25, v0
	s_and_saveexec_b64 s[16:17], vcc
	s_cbranch_execnz .LBB1355_540
.LBB1355_547:                           ;   in Loop: Header=BB1355_521 Depth=2
	s_or_b64 exec, exec, s[16:17]
	v_cmp_lt_u32_e32 vcc, v27, v0
	s_and_saveexec_b64 s[16:17], vcc
	s_cbranch_execz .LBB1355_541
.LBB1355_548:                           ;   in Loop: Header=BB1355_521 Depth=2
	v_cmp_gt_i32_e32 vcc, 0, v5
	s_waitcnt vmcnt(5)
	v_cndmask_b32_e64 v11, v73, 0, vcc
	v_xor_b32_e32 v11, v11, v5
	v_cmp_ne_u32_e32 vcc, s76, v11
	v_cndmask_b32_e32 v11, v73, v11, vcc
	v_lshrrev_b32_e32 v11, s77, v11
	v_and_b32_e32 v11, s86, v11
	v_lshl_or_b32 v11, v11, 4, v10
	ds_add_u32 v11, v71
	s_or_b64 exec, exec, s[16:17]
	v_cmp_lt_u32_e32 vcc, v22, v0
	s_and_saveexec_b64 s[16:17], vcc
	s_cbranch_execnz .LBB1355_542
.LBB1355_549:                           ;   in Loop: Header=BB1355_521 Depth=2
	s_or_b64 exec, exec, s[16:17]
	v_cmp_lt_u32_e32 vcc, v24, v0
	s_and_saveexec_b64 s[16:17], vcc
	s_cbranch_execz .LBB1355_543
.LBB1355_550:                           ;   in Loop: Header=BB1355_521 Depth=2
	v_cmp_gt_i32_e32 vcc, 0, v7
	s_waitcnt vmcnt(5)
	v_cndmask_b32_e64 v11, v73, 0, vcc
	v_xor_b32_e32 v11, v11, v7
	v_cmp_ne_u32_e32 vcc, s76, v11
	v_cndmask_b32_e32 v11, v73, v11, vcc
	v_lshrrev_b32_e32 v11, s77, v11
	v_and_b32_e32 v11, s86, v11
	v_lshl_or_b32 v11, v11, 4, v10
	ds_add_u32 v11, v71
	s_or_b64 exec, exec, s[16:17]
	v_cmp_lt_u32_e32 vcc, v26, v0
	s_and_saveexec_b64 s[16:17], vcc
	s_cbranch_execnz .LBB1355_544
.LBB1355_551:                           ;   in Loop: Header=BB1355_521 Depth=2
	s_or_b64 exec, exec, s[16:17]
	v_cmp_lt_u32_e32 vcc, v28, v0
	s_and_saveexec_b64 s[16:17], vcc
	s_cbranch_execz .LBB1355_520
.LBB1355_552:                           ;   in Loop: Header=BB1355_521 Depth=2
	v_cmp_gt_i32_e32 vcc, 0, v9
	v_cndmask_b32_e64 v0, v73, 0, vcc
	v_xor_b32_e32 v0, v0, v9
	v_cmp_ne_u32_e32 vcc, s76, v0
	v_cndmask_b32_e32 v0, v73, v0, vcc
	v_lshrrev_b32_e32 v0, s77, v0
	v_and_b32_e32 v0, s86, v0
	v_lshl_or_b32 v0, v0, 4, v10
	ds_add_u32 v0, v71
	s_branch .LBB1355_520
.LBB1355_553:                           ;   in Loop: Header=BB1355_521 Depth=2
	s_or_b64 exec, exec, s[20:21]
	v_cmp_gt_u32_e32 vcc, s22, v23
	s_and_saveexec_b64 s[20:21], vcc
	s_cbranch_execz .LBB1355_527
.LBB1355_554:                           ;   in Loop: Header=BB1355_521 Depth=2
	global_load_dword v3, v72, s[18:19] offset:1024
	s_or_b64 exec, exec, s[20:21]
	v_cmp_gt_u32_e32 vcc, s22, v25
	s_and_saveexec_b64 s[20:21], vcc
	s_cbranch_execnz .LBB1355_528
.LBB1355_555:                           ;   in Loop: Header=BB1355_521 Depth=2
	s_or_b64 exec, exec, s[20:21]
	v_cmp_gt_u32_e32 vcc, s22, v27
	s_and_saveexec_b64 s[20:21], vcc
	s_cbranch_execz .LBB1355_529
.LBB1355_556:                           ;   in Loop: Header=BB1355_521 Depth=2
	global_load_dword v5, v72, s[18:19] offset:3072
	s_or_b64 exec, exec, s[20:21]
	v_cmp_gt_u32_e32 vcc, s22, v22
	s_and_saveexec_b64 s[20:21], vcc
	s_cbranch_execnz .LBB1355_530
.LBB1355_557:                           ;   in Loop: Header=BB1355_521 Depth=2
	s_or_b64 exec, exec, s[20:21]
	v_cmp_gt_u32_e32 vcc, s22, v24
	s_and_saveexec_b64 s[20:21], vcc
	s_cbranch_execz .LBB1355_531
.LBB1355_558:                           ;   in Loop: Header=BB1355_521 Depth=2
	v_lshlrev_b32_e32 v0, 2, v24
	global_load_dword v7, v0, s[18:19]
	s_or_b64 exec, exec, s[20:21]
	v_cmp_gt_u32_e32 vcc, s22, v26
	s_and_saveexec_b64 s[20:21], vcc
	s_cbranch_execz .LBB1355_533
	s_branch .LBB1355_532
.LBB1355_559:                           ;   in Loop: Header=BB1355_17 Depth=1
	v_mov_b32_e32 v0, 0
	s_waitcnt lgkmcnt(0)
	s_barrier
	s_and_saveexec_b64 s[16:17], s[4:5]
	s_cbranch_execz .LBB1355_561
; %bb.560:                              ;   in Loop: Header=BB1355_17 Depth=1
	ds_read2_b64 v[2:5], v42 offset1:1
	s_waitcnt lgkmcnt(0)
	v_add_u32_e32 v0, v3, v2
	v_add3_u32 v0, v0, v4, v5
.LBB1355_561:                           ;   in Loop: Header=BB1355_17 Depth=1
	s_or_b64 exec, exec, s[16:17]
	v_and_b32_e32 v2, 15, v74
	v_mov_b32_dpp v3, v0 row_shr:1 row_mask:0xf bank_mask:0xf
	v_cmp_eq_u32_e64 s[16:17], 0, v2
	v_cndmask_b32_e64 v3, v3, 0, s[16:17]
	v_add_u32_e32 v0, v3, v0
	v_cmp_lt_u32_e64 s[18:19], 1, v2
	v_cmp_lt_u32_e64 s[20:21], 3, v2
	v_mov_b32_dpp v3, v0 row_shr:2 row_mask:0xf bank_mask:0xf
	v_cndmask_b32_e64 v3, 0, v3, s[18:19]
	v_add_u32_e32 v0, v0, v3
	v_cmp_lt_u32_e64 s[22:23], 7, v2
	v_cmp_lt_u32_e64 s[26:27], 31, v74
	v_mov_b32_dpp v3, v0 row_shr:4 row_mask:0xf bank_mask:0xf
	v_cndmask_b32_e64 v3, 0, v3, s[20:21]
	v_add_u32_e32 v0, v0, v3
	v_and_b32_e32 v4, 16, v74
	v_cmp_eq_u32_e64 s[24:25], 0, v4
	v_mov_b32_dpp v3, v0 row_shr:8 row_mask:0xf bank_mask:0xf
	v_cndmask_b32_e64 v2, 0, v3, s[22:23]
	v_add_u32_e32 v0, v0, v2
	v_bfe_i32 v3, v74, 4, 1
	s_nop 0
	v_mov_b32_dpp v2, v0 row_bcast:15 row_mask:0xf bank_mask:0xf
	v_and_b32_e32 v2, v3, v2
	v_add_u32_e32 v0, v0, v2
	s_nop 1
	v_mov_b32_dpp v2, v0 row_bcast:31 row_mask:0xf bank_mask:0xf
	v_cndmask_b32_e64 v2, 0, v2, s[26:27]
	v_add_u32_e32 v2, v0, v2
	s_and_saveexec_b64 s[28:29], s[6:7]
	s_cbranch_execz .LBB1355_563
; %bb.562:                              ;   in Loop: Header=BB1355_17 Depth=1
	ds_write_b32 v44, v2
.LBB1355_563:                           ;   in Loop: Header=BB1355_17 Depth=1
	s_or_b64 exec, exec, s[28:29]
	v_and_b32_e32 v0, 3, v74
	s_waitcnt lgkmcnt(0)
	s_barrier
	s_and_saveexec_b64 s[28:29], s[8:9]
	s_cbranch_execz .LBB1355_565
; %bb.564:                              ;   in Loop: Header=BB1355_17 Depth=1
	ds_read_b32 v3, v45
	v_cmp_ne_u32_e32 vcc, 0, v0
	s_waitcnt lgkmcnt(0)
	v_mov_b32_dpp v4, v3 row_shr:1 row_mask:0xf bank_mask:0xf
	v_cndmask_b32_e32 v4, 0, v4, vcc
	v_add_u32_e32 v3, v4, v3
	v_cmp_lt_u32_e32 vcc, 1, v0
	s_nop 0
	v_mov_b32_dpp v4, v3 row_shr:2 row_mask:0xf bank_mask:0xf
	v_cndmask_b32_e32 v4, 0, v4, vcc
	v_add_u32_e32 v3, v3, v4
	ds_write_b32 v45, v3
.LBB1355_565:                           ;   in Loop: Header=BB1355_17 Depth=1
	s_or_b64 exec, exec, s[28:29]
	v_mov_b32_e32 v3, 0
	s_waitcnt lgkmcnt(0)
	s_barrier
	s_and_saveexec_b64 s[28:29], s[10:11]
	s_cbranch_execz .LBB1355_567
; %bb.566:                              ;   in Loop: Header=BB1355_17 Depth=1
	ds_read_b32 v3, v46
.LBB1355_567:                           ;   in Loop: Header=BB1355_17 Depth=1
	s_or_b64 exec, exec, s[28:29]
	v_add_u32_e32 v4, -1, v74
	v_and_b32_e32 v5, 64, v74
	v_cmp_lt_i32_e32 vcc, v4, v5
	v_cndmask_b32_e32 v4, v4, v74, vcc
	s_waitcnt lgkmcnt(0)
	v_add_u32_e32 v2, v3, v2
	v_lshlrev_b32_e32 v75, 2, v4
	ds_bpermute_b32 v2, v75, v2
	v_cmp_eq_u32_e64 s[28:29], 0, v74
	s_waitcnt lgkmcnt(0)
	s_barrier
	s_and_saveexec_b64 s[30:31], s[4:5]
	s_cbranch_execz .LBB1355_569
; %bb.568:                              ;   in Loop: Header=BB1355_17 Depth=1
	v_cndmask_b32_e64 v2, v2, v3, s[28:29]
	v_add_u32_e32 v2, s51, v2
	ds_write_b32 v19, v2
.LBB1355_569:                           ;   in Loop: Header=BB1355_17 Depth=1
	s_or_b64 exec, exec, s[30:31]
	s_load_dwordx2 s[30:31], s[82:83], 0x0
	s_mov_b32 s87, s79
	s_mov_b32 s80, s51
                                        ; implicit-def: $vgpr10_vgpr11
                                        ; implicit-def: $vgpr12_vgpr13
                                        ; implicit-def: $vgpr14_vgpr15
                                        ; implicit-def: $vgpr16_vgpr17
                                        ; implicit-def: $vgpr30_vgpr31
                                        ; implicit-def: $vgpr32_vgpr33
                                        ; implicit-def: $vgpr34_vgpr35
                                        ; implicit-def: $vgpr36_vgpr37
                                        ; implicit-def: $vgpr76
                                        ; implicit-def: $vgpr77
                                        ; implicit-def: $vgpr78
                                        ; implicit-def: $vgpr79
                                        ; implicit-def: $vgpr81
                                        ; implicit-def: $vgpr82
                                        ; implicit-def: $vgpr84
                                        ; implicit-def: $vgpr86
	s_waitcnt lgkmcnt(0)
	s_cmp_lt_u32 s50, s30
	s_cselect_b32 s34, 12, 18
	s_cmp_lt_u32 s33, s31
	s_cselect_b32 s30, 14, 20
	s_add_u32 s30, s82, s30
	s_addc_u32 s31, s83, 0
	s_add_u32 s34, s82, s34
	global_load_ushort v2, v20, s[30:31]
	s_addc_u32 s35, s83, 0
	global_load_ushort v3, v20, s[34:35]
	v_cmp_eq_u32_e64 s[30:31], 0, v0
	v_cmp_lt_u32_e64 s[34:35], 1, v0
	v_and_b32_e32 v0, 63, v74
	v_lshlrev_b32_e32 v4, 3, v0
	v_add_co_u32_e32 v83, vcc, v67, v4
	v_or_b32_e32 v80, v0, v47
	v_lshlrev_b32_e32 v0, 2, v0
	v_addc_co_u32_e32 v85, vcc, 0, v68, vcc
	v_add_co_u32_e32 v94, vcc, v69, v0
	v_addc_co_u32_e32 v95, vcc, 0, v70, vcc
	v_add_co_u32_e32 v96, vcc, 0x700, v94
	v_or_b32_e32 v87, 64, v80
	v_or_b32_e32 v88, 0x80, v80
	v_or_b32_e32 v89, 0xc0, v80
	v_or_b32_e32 v90, 0x100, v80
	v_or_b32_e32 v91, 0x140, v80
	v_or_b32_e32 v92, 0x180, v80
	v_or_b32_e32 v93, 0x1c0, v80
	v_addc_co_u32_e32 v97, vcc, 0, v95, vcc
	s_waitcnt vmcnt(1)
	v_mad_u32_u24 v0, v48, v2, v49
	s_waitcnt vmcnt(0)
	v_mad_u64_u32 v[2:3], s[36:37], v0, v3, v[18:19]
	v_lshrrev_b32_e32 v98, 6, v2
	s_branch .LBB1355_571
.LBB1355_570:                           ;   in Loop: Header=BB1355_571 Depth=2
	s_or_b64 exec, exec, s[36:37]
	s_addk_i32 s87, 0xf800
	s_cmp_lt_u32 s88, s84
	s_mov_b32 s80, s88
	s_cbranch_scc0 .LBB1355_15
.LBB1355_571:                           ;   Parent Loop BB1355_17 Depth=1
                                        ; =>  This Inner Loop Header: Depth=2
	s_add_i32 s88, s80, 0x800
	s_cmp_gt_u32 s88, s84
	s_cbranch_scc1 .LBB1355_573
; %bb.572:                              ;   in Loop: Header=BB1355_571 Depth=2
	s_lshl_b64 s[36:37], s[80:81], 2
	v_mov_b32_e32 v0, s37
	v_add_co_u32_e32 v8, vcc, s36, v94
	v_addc_co_u32_e32 v9, vcc, v95, v0, vcc
	global_load_dword v2, v[8:9], off
	global_load_dword v3, v[8:9], off offset:256
	global_load_dword v4, v[8:9], off offset:512
	;; [unrolled: 1-line block ×5, first 2 shown]
	s_nop 0
	global_load_dword v8, v[8:9], off offset:1536
	s_mov_b64 s[36:37], -1
	s_movk_i32 s40, 0x800
	s_cbranch_execz .LBB1355_574
	s_branch .LBB1355_583
.LBB1355_573:                           ;   in Loop: Header=BB1355_571 Depth=2
	s_mov_b64 s[36:37], 0
                                        ; implicit-def: $sgpr40
                                        ; implicit-def: $vgpr2_vgpr3_vgpr4_vgpr5_vgpr6_vgpr7_vgpr8_vgpr9
.LBB1355_574:                           ;   in Loop: Header=BB1355_571 Depth=2
	s_lshl_b64 s[36:37], s[80:81], 2
	v_mov_b32_e32 v0, s37
	v_add_co_u32_e32 v38, vcc, s36, v94
	s_mov_b32 s65, s64
	v_addc_co_u32_e32 v39, vcc, v95, v0, vcc
	s_mov_b32 s66, s64
	s_mov_b32 s67, s64
	;; [unrolled: 1-line block ×6, first 2 shown]
	s_waitcnt vmcnt(0)
	v_pk_mov_b32 v[2:3], s[64:65], s[64:65] op_sel:[0,1]
	v_cmp_gt_u32_e32 vcc, s87, v80
	v_pk_mov_b32 v[4:5], s[66:67], s[66:67] op_sel:[0,1]
	v_pk_mov_b32 v[6:7], s[68:69], s[68:69] op_sel:[0,1]
	;; [unrolled: 1-line block ×3, first 2 shown]
	s_and_saveexec_b64 s[36:37], vcc
	s_cbranch_execz .LBB1355_677
; %bb.575:                              ;   in Loop: Header=BB1355_571 Depth=2
	global_load_dword v0, v[38:39], off
	v_mov_b32_e32 v2, v1
	v_mov_b32_e32 v3, v1
	;; [unrolled: 1-line block ×6, first 2 shown]
	s_waitcnt vmcnt(0)
	v_pk_mov_b32 v[8:9], v[6:7], v[6:7] op_sel:[0,1]
	v_pk_mov_b32 v[6:7], v[4:5], v[4:5] op_sel:[0,1]
	;; [unrolled: 1-line block ×4, first 2 shown]
	s_or_b64 exec, exec, s[36:37]
	v_cmp_gt_u32_e32 vcc, s87, v87
	s_and_saveexec_b64 s[36:37], vcc
	s_cbranch_execnz .LBB1355_678
.LBB1355_576:                           ;   in Loop: Header=BB1355_571 Depth=2
	s_or_b64 exec, exec, s[36:37]
	v_cmp_gt_u32_e32 vcc, s87, v88
	s_and_saveexec_b64 s[36:37], vcc
	s_cbranch_execz .LBB1355_679
.LBB1355_577:                           ;   in Loop: Header=BB1355_571 Depth=2
	global_load_dword v4, v[38:39], off offset:512
	s_or_b64 exec, exec, s[36:37]
	v_cmp_gt_u32_e32 vcc, s87, v89
	s_and_saveexec_b64 s[36:37], vcc
	s_cbranch_execnz .LBB1355_680
.LBB1355_578:                           ;   in Loop: Header=BB1355_571 Depth=2
	s_or_b64 exec, exec, s[36:37]
	v_cmp_gt_u32_e32 vcc, s87, v90
	s_and_saveexec_b64 s[36:37], vcc
	s_cbranch_execz .LBB1355_681
.LBB1355_579:                           ;   in Loop: Header=BB1355_571 Depth=2
	global_load_dword v6, v[38:39], off offset:1024
	s_or_b64 exec, exec, s[36:37]
	v_cmp_gt_u32_e32 vcc, s87, v91
	s_and_saveexec_b64 s[36:37], vcc
	s_cbranch_execnz .LBB1355_682
.LBB1355_580:                           ;   in Loop: Header=BB1355_571 Depth=2
	s_or_b64 exec, exec, s[36:37]
	v_cmp_gt_u32_e32 vcc, s87, v92
	s_and_saveexec_b64 s[36:37], vcc
	s_cbranch_execz .LBB1355_582
.LBB1355_581:                           ;   in Loop: Header=BB1355_571 Depth=2
	global_load_dword v8, v[38:39], off offset:1536
.LBB1355_582:                           ;   in Loop: Header=BB1355_571 Depth=2
	s_or_b64 exec, exec, s[36:37]
	s_sub_i32 s40, s84, s80
	v_cmp_gt_u32_e64 s[36:37], s87, v93
.LBB1355_583:                           ;   in Loop: Header=BB1355_571 Depth=2
	v_mov_b32_e32 v0, s87
	s_and_saveexec_b64 s[38:39], s[36:37]
	s_cbranch_execz .LBB1355_585
; %bb.584:                              ;   in Loop: Header=BB1355_571 Depth=2
	s_lshl_b64 s[36:37], s[80:81], 2
	v_mov_b32_e32 v0, s37
	v_add_co_u32_e32 v38, vcc, s36, v96
	v_addc_co_u32_e32 v39, vcc, v97, v0, vcc
	global_load_dword v9, v[38:39], off
	v_mov_b32_e32 v0, s40
.LBB1355_585:                           ;   in Loop: Header=BB1355_571 Depth=2
	s_or_b64 exec, exec, s[38:39]
	s_waitcnt vmcnt(6)
	v_cmp_gt_i32_e32 vcc, 0, v2
	v_cndmask_b32_e64 v21, v73, 0, vcc
	v_xor_b32_e32 v99, v21, v2
	v_add_u32_e32 v2, 0x410, v50
	v_cmp_ne_u32_e32 vcc, s76, v99
	ds_write2_b32 v2, v20, v20 offset1:1
	ds_write2_b32 v52, v20, v20 offset0:2 offset1:3
	ds_write_b32 v52, v20 offset:16
	v_cndmask_b32_e32 v2, v73, v99, vcc
	v_lshrrev_b32_e32 v2, s77, v2
	v_and_b32_e32 v2, s86, v2
	v_mad_u32_u24 v21, v2, 5, v98
	v_lshl_add_u32 v100, v21, 2, v51
	v_and_b32_e32 v21, 1, v2
	v_add_co_u32_e32 v38, vcc, -1, v21
	v_addc_co_u32_e64 v39, s[36:37], 0, -1, vcc
	v_cmp_ne_u32_e32 vcc, 0, v21
	v_xor_b32_e32 v21, vcc_hi, v39
	v_and_b32_e32 v39, exec_hi, v21
	v_lshlrev_b32_e32 v21, 30, v2
	v_xor_b32_e32 v38, vcc_lo, v38
	v_cmp_gt_i64_e32 vcc, 0, v[20:21]
	v_not_b32_e32 v21, v21
	v_ashrrev_i32_e32 v21, 31, v21
	v_and_b32_e32 v38, exec_lo, v38
	v_xor_b32_e32 v101, vcc_hi, v21
	v_xor_b32_e32 v21, vcc_lo, v21
	v_and_b32_e32 v38, v38, v21
	v_lshlrev_b32_e32 v21, 29, v2
	v_cmp_gt_i64_e32 vcc, 0, v[20:21]
	v_not_b32_e32 v21, v21
	v_ashrrev_i32_e32 v21, 31, v21
	v_and_b32_e32 v39, v39, v101
	v_xor_b32_e32 v101, vcc_hi, v21
	v_xor_b32_e32 v21, vcc_lo, v21
	v_and_b32_e32 v38, v38, v21
	v_lshlrev_b32_e32 v21, 28, v2
	v_cmp_gt_i64_e32 vcc, 0, v[20:21]
	v_not_b32_e32 v21, v21
	v_ashrrev_i32_e32 v21, 31, v21
	v_and_b32_e32 v39, v39, v101
	v_xor_b32_e32 v101, vcc_hi, v21
	v_xor_b32_e32 v21, vcc_lo, v21
	v_and_b32_e32 v38, v38, v21
	v_lshlrev_b32_e32 v21, 27, v2
	v_cmp_gt_i64_e32 vcc, 0, v[20:21]
	v_not_b32_e32 v21, v21
	v_ashrrev_i32_e32 v21, 31, v21
	v_and_b32_e32 v39, v39, v101
	v_xor_b32_e32 v101, vcc_hi, v21
	v_xor_b32_e32 v21, vcc_lo, v21
	v_and_b32_e32 v38, v38, v21
	v_lshlrev_b32_e32 v21, 26, v2
	v_cmp_gt_i64_e32 vcc, 0, v[20:21]
	v_not_b32_e32 v21, v21
	v_ashrrev_i32_e32 v21, 31, v21
	v_and_b32_e32 v39, v39, v101
	v_xor_b32_e32 v101, vcc_hi, v21
	v_xor_b32_e32 v21, vcc_lo, v21
	v_and_b32_e32 v38, v38, v21
	v_lshlrev_b32_e32 v21, 25, v2
	v_cmp_gt_i64_e32 vcc, 0, v[20:21]
	v_not_b32_e32 v21, v21
	v_ashrrev_i32_e32 v21, 31, v21
	v_and_b32_e32 v39, v39, v101
	v_xor_b32_e32 v101, vcc_hi, v21
	v_xor_b32_e32 v21, vcc_lo, v21
	v_and_b32_e32 v38, v38, v21
	v_lshlrev_b32_e32 v21, 24, v2
	v_not_b32_e32 v2, v21
	v_cmp_gt_i64_e32 vcc, 0, v[20:21]
	v_ashrrev_i32_e32 v2, 31, v2
	v_xor_b32_e32 v21, vcc_hi, v2
	v_xor_b32_e32 v2, vcc_lo, v2
	v_and_b32_e32 v39, v39, v101
	v_and_b32_e32 v38, v38, v2
	;; [unrolled: 1-line block ×3, first 2 shown]
	v_mbcnt_lo_u32_b32 v2, v38, 0
	v_mbcnt_hi_u32_b32 v101, v39, v2
	v_cmp_eq_u32_e32 vcc, 0, v101
	v_cmp_ne_u64_e64 s[36:37], 0, v[38:39]
	s_and_b64 s[38:39], s[36:37], vcc
	s_waitcnt lgkmcnt(0)
	s_barrier
	s_waitcnt lgkmcnt(0)
	; wave barrier
	s_and_saveexec_b64 s[36:37], s[38:39]
	s_cbranch_execz .LBB1355_587
; %bb.586:                              ;   in Loop: Header=BB1355_571 Depth=2
	v_bcnt_u32_b32 v2, v38, 0
	v_bcnt_u32_b32 v2, v39, v2
	ds_write_b32 v100, v2
.LBB1355_587:                           ;   in Loop: Header=BB1355_571 Depth=2
	s_or_b64 exec, exec, s[36:37]
	s_waitcnt vmcnt(0)
	v_cmp_gt_i32_e32 vcc, 0, v3
	v_cndmask_b32_e64 v2, v73, 0, vcc
	v_xor_b32_e32 v38, v2, v3
	v_cmp_ne_u32_e32 vcc, s76, v38
	v_cndmask_b32_e32 v2, v73, v38, vcc
	v_lshrrev_b32_e32 v2, s77, v2
	v_and_b32_e32 v2, s86, v2
	v_mul_u32_u24_e32 v3, 5, v2
	v_add_lshl_u32 v3, v3, v98, 2
	; wave barrier
	v_add_u32_e32 v102, 0x410, v3
	ds_read_b32 v39, v3 offset:1040
	v_and_b32_e32 v3, 1, v2
	v_add_co_u32_e32 v21, vcc, -1, v3
	v_addc_co_u32_e64 v103, s[36:37], 0, -1, vcc
	v_cmp_ne_u32_e32 vcc, 0, v3
	v_xor_b32_e32 v21, vcc_lo, v21
	v_xor_b32_e32 v3, vcc_hi, v103
	v_and_b32_e32 v103, exec_lo, v21
	v_lshlrev_b32_e32 v21, 30, v2
	v_cmp_gt_i64_e32 vcc, 0, v[20:21]
	v_not_b32_e32 v21, v21
	v_ashrrev_i32_e32 v21, 31, v21
	v_xor_b32_e32 v104, vcc_hi, v21
	v_xor_b32_e32 v21, vcc_lo, v21
	v_and_b32_e32 v103, v103, v21
	v_lshlrev_b32_e32 v21, 29, v2
	v_cmp_gt_i64_e32 vcc, 0, v[20:21]
	v_not_b32_e32 v21, v21
	v_and_b32_e32 v3, exec_hi, v3
	v_ashrrev_i32_e32 v21, 31, v21
	v_and_b32_e32 v3, v3, v104
	v_xor_b32_e32 v104, vcc_hi, v21
	v_xor_b32_e32 v21, vcc_lo, v21
	v_and_b32_e32 v103, v103, v21
	v_lshlrev_b32_e32 v21, 28, v2
	v_cmp_gt_i64_e32 vcc, 0, v[20:21]
	v_not_b32_e32 v21, v21
	v_ashrrev_i32_e32 v21, 31, v21
	v_and_b32_e32 v3, v3, v104
	v_xor_b32_e32 v104, vcc_hi, v21
	v_xor_b32_e32 v21, vcc_lo, v21
	v_and_b32_e32 v103, v103, v21
	v_lshlrev_b32_e32 v21, 27, v2
	v_cmp_gt_i64_e32 vcc, 0, v[20:21]
	v_not_b32_e32 v21, v21
	;; [unrolled: 8-line block ×4, first 2 shown]
	v_ashrrev_i32_e32 v21, 31, v21
	v_and_b32_e32 v3, v3, v104
	v_xor_b32_e32 v104, vcc_hi, v21
	v_xor_b32_e32 v21, vcc_lo, v21
	v_and_b32_e32 v103, v103, v21
	v_lshlrev_b32_e32 v21, 24, v2
	v_not_b32_e32 v2, v21
	v_cmp_gt_i64_e32 vcc, 0, v[20:21]
	v_ashrrev_i32_e32 v2, 31, v2
	v_xor_b32_e32 v21, vcc_hi, v2
	v_xor_b32_e32 v2, vcc_lo, v2
	v_and_b32_e32 v3, v3, v104
	v_and_b32_e32 v2, v103, v2
	;; [unrolled: 1-line block ×3, first 2 shown]
	v_mbcnt_lo_u32_b32 v21, v2, 0
	v_mbcnt_hi_u32_b32 v103, v3, v21
	v_cmp_eq_u32_e32 vcc, 0, v103
	v_cmp_ne_u64_e64 s[36:37], 0, v[2:3]
	s_and_b64 s[38:39], s[36:37], vcc
	; wave barrier
	s_and_saveexec_b64 s[36:37], s[38:39]
	s_cbranch_execz .LBB1355_589
; %bb.588:                              ;   in Loop: Header=BB1355_571 Depth=2
	v_bcnt_u32_b32 v2, v2, 0
	v_bcnt_u32_b32 v2, v3, v2
	s_waitcnt lgkmcnt(0)
	v_add_u32_e32 v2, v39, v2
	ds_write_b32 v102, v2
.LBB1355_589:                           ;   in Loop: Header=BB1355_571 Depth=2
	s_or_b64 exec, exec, s[36:37]
	v_cmp_gt_i32_e32 vcc, 0, v4
	v_cndmask_b32_e64 v2, v73, 0, vcc
	v_xor_b32_e32 v104, v2, v4
	v_cmp_ne_u32_e32 vcc, s76, v104
	v_cndmask_b32_e32 v2, v73, v104, vcc
	v_lshrrev_b32_e32 v2, s77, v2
	v_and_b32_e32 v2, s86, v2
	v_mul_u32_u24_e32 v3, 5, v2
	v_add_lshl_u32 v3, v3, v98, 2
	; wave barrier
	v_add_u32_e32 v106, 0x410, v3
	ds_read_b32 v105, v3 offset:1040
	v_and_b32_e32 v3, 1, v2
	v_add_co_u32_e32 v4, vcc, -1, v3
	v_addc_co_u32_e64 v21, s[36:37], 0, -1, vcc
	v_cmp_ne_u32_e32 vcc, 0, v3
	v_xor_b32_e32 v3, vcc_hi, v21
	v_lshlrev_b32_e32 v21, 30, v2
	v_xor_b32_e32 v4, vcc_lo, v4
	v_cmp_gt_i64_e32 vcc, 0, v[20:21]
	v_not_b32_e32 v21, v21
	v_ashrrev_i32_e32 v21, 31, v21
	v_and_b32_e32 v4, exec_lo, v4
	v_xor_b32_e32 v107, vcc_hi, v21
	v_xor_b32_e32 v21, vcc_lo, v21
	v_and_b32_e32 v4, v4, v21
	v_lshlrev_b32_e32 v21, 29, v2
	v_cmp_gt_i64_e32 vcc, 0, v[20:21]
	v_not_b32_e32 v21, v21
	v_and_b32_e32 v3, exec_hi, v3
	v_ashrrev_i32_e32 v21, 31, v21
	v_and_b32_e32 v3, v3, v107
	v_xor_b32_e32 v107, vcc_hi, v21
	v_xor_b32_e32 v21, vcc_lo, v21
	v_and_b32_e32 v4, v4, v21
	v_lshlrev_b32_e32 v21, 28, v2
	v_cmp_gt_i64_e32 vcc, 0, v[20:21]
	v_not_b32_e32 v21, v21
	v_ashrrev_i32_e32 v21, 31, v21
	v_and_b32_e32 v3, v3, v107
	v_xor_b32_e32 v107, vcc_hi, v21
	v_xor_b32_e32 v21, vcc_lo, v21
	v_and_b32_e32 v4, v4, v21
	v_lshlrev_b32_e32 v21, 27, v2
	v_cmp_gt_i64_e32 vcc, 0, v[20:21]
	v_not_b32_e32 v21, v21
	;; [unrolled: 8-line block ×4, first 2 shown]
	v_ashrrev_i32_e32 v21, 31, v21
	v_and_b32_e32 v3, v3, v107
	v_xor_b32_e32 v107, vcc_hi, v21
	v_xor_b32_e32 v21, vcc_lo, v21
	v_and_b32_e32 v4, v4, v21
	v_lshlrev_b32_e32 v21, 24, v2
	v_not_b32_e32 v2, v21
	v_cmp_gt_i64_e32 vcc, 0, v[20:21]
	v_ashrrev_i32_e32 v2, 31, v2
	v_xor_b32_e32 v21, vcc_hi, v2
	v_xor_b32_e32 v2, vcc_lo, v2
	v_and_b32_e32 v3, v3, v107
	v_and_b32_e32 v2, v4, v2
	;; [unrolled: 1-line block ×3, first 2 shown]
	v_mbcnt_lo_u32_b32 v4, v2, 0
	v_mbcnt_hi_u32_b32 v107, v3, v4
	v_cmp_eq_u32_e32 vcc, 0, v107
	v_cmp_ne_u64_e64 s[36:37], 0, v[2:3]
	s_and_b64 s[38:39], s[36:37], vcc
	; wave barrier
	s_and_saveexec_b64 s[36:37], s[38:39]
	s_cbranch_execz .LBB1355_591
; %bb.590:                              ;   in Loop: Header=BB1355_571 Depth=2
	v_bcnt_u32_b32 v2, v2, 0
	v_bcnt_u32_b32 v2, v3, v2
	s_waitcnt lgkmcnt(0)
	v_add_u32_e32 v2, v105, v2
	ds_write_b32 v106, v2
.LBB1355_591:                           ;   in Loop: Header=BB1355_571 Depth=2
	s_or_b64 exec, exec, s[36:37]
	v_cmp_gt_i32_e32 vcc, 0, v5
	v_cndmask_b32_e64 v2, v73, 0, vcc
	v_xor_b32_e32 v108, v2, v5
	v_cmp_ne_u32_e32 vcc, s76, v108
	v_cndmask_b32_e32 v2, v73, v108, vcc
	v_lshrrev_b32_e32 v2, s77, v2
	v_and_b32_e32 v2, s86, v2
	v_mul_u32_u24_e32 v3, 5, v2
	v_add_lshl_u32 v3, v3, v98, 2
	; wave barrier
	v_add_u32_e32 v110, 0x410, v3
	ds_read_b32 v109, v3 offset:1040
	v_and_b32_e32 v3, 1, v2
	v_add_co_u32_e32 v4, vcc, -1, v3
	v_addc_co_u32_e64 v5, s[36:37], 0, -1, vcc
	v_cmp_ne_u32_e32 vcc, 0, v3
	v_lshlrev_b32_e32 v21, 30, v2
	v_xor_b32_e32 v3, vcc_hi, v5
	v_not_b32_e32 v5, v21
	v_xor_b32_e32 v4, vcc_lo, v4
	v_cmp_gt_i64_e32 vcc, 0, v[20:21]
	v_ashrrev_i32_e32 v5, 31, v5
	v_and_b32_e32 v3, exec_hi, v3
	v_xor_b32_e32 v21, vcc_hi, v5
	v_and_b32_e32 v4, exec_lo, v4
	v_xor_b32_e32 v5, vcc_lo, v5
	v_and_b32_e32 v3, v3, v21
	v_lshlrev_b32_e32 v21, 29, v2
	v_and_b32_e32 v4, v4, v5
	v_not_b32_e32 v5, v21
	v_cmp_gt_i64_e32 vcc, 0, v[20:21]
	v_ashrrev_i32_e32 v5, 31, v5
	v_xor_b32_e32 v21, vcc_hi, v5
	v_xor_b32_e32 v5, vcc_lo, v5
	v_and_b32_e32 v3, v3, v21
	v_lshlrev_b32_e32 v21, 28, v2
	v_and_b32_e32 v4, v4, v5
	v_not_b32_e32 v5, v21
	v_cmp_gt_i64_e32 vcc, 0, v[20:21]
	v_ashrrev_i32_e32 v5, 31, v5
	v_xor_b32_e32 v21, vcc_hi, v5
	;; [unrolled: 8-line block ×5, first 2 shown]
	v_and_b32_e32 v3, v3, v21
	v_lshlrev_b32_e32 v21, 24, v2
	v_not_b32_e32 v2, v21
	v_xor_b32_e32 v5, vcc_lo, v5
	v_cmp_gt_i64_e32 vcc, 0, v[20:21]
	v_ashrrev_i32_e32 v2, 31, v2
	v_and_b32_e32 v4, v4, v5
	v_xor_b32_e32 v5, vcc_hi, v2
	v_xor_b32_e32 v2, vcc_lo, v2
	v_and_b32_e32 v2, v4, v2
	v_and_b32_e32 v3, v3, v5
	v_mbcnt_lo_u32_b32 v4, v2, 0
	v_mbcnt_hi_u32_b32 v111, v3, v4
	v_cmp_eq_u32_e32 vcc, 0, v111
	v_cmp_ne_u64_e64 s[36:37], 0, v[2:3]
	s_and_b64 s[38:39], s[36:37], vcc
	; wave barrier
	s_and_saveexec_b64 s[36:37], s[38:39]
	s_cbranch_execz .LBB1355_593
; %bb.592:                              ;   in Loop: Header=BB1355_571 Depth=2
	v_bcnt_u32_b32 v2, v2, 0
	v_bcnt_u32_b32 v2, v3, v2
	s_waitcnt lgkmcnt(0)
	v_add_u32_e32 v2, v109, v2
	ds_write_b32 v110, v2
.LBB1355_593:                           ;   in Loop: Header=BB1355_571 Depth=2
	s_or_b64 exec, exec, s[36:37]
	v_cmp_gt_i32_e32 vcc, 0, v6
	v_cndmask_b32_e64 v2, v73, 0, vcc
	v_xor_b32_e32 v112, v2, v6
	v_cmp_ne_u32_e32 vcc, s76, v112
	v_cndmask_b32_e32 v2, v73, v112, vcc
	v_lshrrev_b32_e32 v2, s77, v2
	v_and_b32_e32 v2, s86, v2
	v_mul_u32_u24_e32 v3, 5, v2
	v_add_lshl_u32 v3, v3, v98, 2
	; wave barrier
	v_add_u32_e32 v113, 0x410, v3
	ds_read_b32 v6, v3 offset:1040
	v_and_b32_e32 v3, 1, v2
	v_add_co_u32_e32 v4, vcc, -1, v3
	v_addc_co_u32_e64 v5, s[36:37], 0, -1, vcc
	v_cmp_ne_u32_e32 vcc, 0, v3
	v_lshlrev_b32_e32 v21, 30, v2
	v_xor_b32_e32 v3, vcc_hi, v5
	v_not_b32_e32 v5, v21
	v_xor_b32_e32 v4, vcc_lo, v4
	v_cmp_gt_i64_e32 vcc, 0, v[20:21]
	v_ashrrev_i32_e32 v5, 31, v5
	v_and_b32_e32 v3, exec_hi, v3
	v_xor_b32_e32 v21, vcc_hi, v5
	v_and_b32_e32 v4, exec_lo, v4
	v_xor_b32_e32 v5, vcc_lo, v5
	v_and_b32_e32 v3, v3, v21
	v_lshlrev_b32_e32 v21, 29, v2
	v_and_b32_e32 v4, v4, v5
	v_not_b32_e32 v5, v21
	v_cmp_gt_i64_e32 vcc, 0, v[20:21]
	v_ashrrev_i32_e32 v5, 31, v5
	v_xor_b32_e32 v21, vcc_hi, v5
	v_xor_b32_e32 v5, vcc_lo, v5
	v_and_b32_e32 v3, v3, v21
	v_lshlrev_b32_e32 v21, 28, v2
	v_and_b32_e32 v4, v4, v5
	v_not_b32_e32 v5, v21
	v_cmp_gt_i64_e32 vcc, 0, v[20:21]
	v_ashrrev_i32_e32 v5, 31, v5
	v_xor_b32_e32 v21, vcc_hi, v5
	;; [unrolled: 8-line block ×5, first 2 shown]
	v_and_b32_e32 v3, v3, v21
	v_lshlrev_b32_e32 v21, 24, v2
	v_not_b32_e32 v2, v21
	v_xor_b32_e32 v5, vcc_lo, v5
	v_cmp_gt_i64_e32 vcc, 0, v[20:21]
	v_ashrrev_i32_e32 v2, 31, v2
	v_and_b32_e32 v4, v4, v5
	v_xor_b32_e32 v5, vcc_hi, v2
	v_xor_b32_e32 v2, vcc_lo, v2
	v_and_b32_e32 v2, v4, v2
	v_and_b32_e32 v3, v3, v5
	v_mbcnt_lo_u32_b32 v4, v2, 0
	v_mbcnt_hi_u32_b32 v114, v3, v4
	v_cmp_eq_u32_e32 vcc, 0, v114
	v_cmp_ne_u64_e64 s[36:37], 0, v[2:3]
	s_and_b64 s[38:39], s[36:37], vcc
	; wave barrier
	s_and_saveexec_b64 s[36:37], s[38:39]
	s_cbranch_execz .LBB1355_595
; %bb.594:                              ;   in Loop: Header=BB1355_571 Depth=2
	v_bcnt_u32_b32 v2, v2, 0
	v_bcnt_u32_b32 v2, v3, v2
	s_waitcnt lgkmcnt(0)
	v_add_u32_e32 v2, v6, v2
	ds_write_b32 v113, v2
.LBB1355_595:                           ;   in Loop: Header=BB1355_571 Depth=2
	s_or_b64 exec, exec, s[36:37]
	v_cmp_gt_i32_e32 vcc, 0, v7
	v_cndmask_b32_e64 v2, v73, 0, vcc
	v_xor_b32_e32 v115, v2, v7
	v_cmp_ne_u32_e32 vcc, s76, v115
	v_cndmask_b32_e32 v2, v73, v115, vcc
	v_lshrrev_b32_e32 v2, s77, v2
	v_and_b32_e32 v2, s86, v2
	v_mul_u32_u24_e32 v3, 5, v2
	v_add_lshl_u32 v3, v3, v98, 2
	; wave barrier
	v_add_u32_e32 v116, 0x410, v3
	ds_read_b32 v7, v3 offset:1040
	v_and_b32_e32 v3, 1, v2
	v_add_co_u32_e32 v4, vcc, -1, v3
	v_addc_co_u32_e64 v5, s[36:37], 0, -1, vcc
	v_cmp_ne_u32_e32 vcc, 0, v3
	v_lshlrev_b32_e32 v21, 30, v2
	v_xor_b32_e32 v3, vcc_hi, v5
	v_not_b32_e32 v5, v21
	v_xor_b32_e32 v4, vcc_lo, v4
	v_cmp_gt_i64_e32 vcc, 0, v[20:21]
	v_ashrrev_i32_e32 v5, 31, v5
	v_and_b32_e32 v3, exec_hi, v3
	v_xor_b32_e32 v21, vcc_hi, v5
	v_and_b32_e32 v4, exec_lo, v4
	v_xor_b32_e32 v5, vcc_lo, v5
	v_and_b32_e32 v3, v3, v21
	v_lshlrev_b32_e32 v21, 29, v2
	v_and_b32_e32 v4, v4, v5
	v_not_b32_e32 v5, v21
	v_cmp_gt_i64_e32 vcc, 0, v[20:21]
	v_ashrrev_i32_e32 v5, 31, v5
	v_xor_b32_e32 v21, vcc_hi, v5
	v_xor_b32_e32 v5, vcc_lo, v5
	v_and_b32_e32 v3, v3, v21
	v_lshlrev_b32_e32 v21, 28, v2
	v_and_b32_e32 v4, v4, v5
	v_not_b32_e32 v5, v21
	v_cmp_gt_i64_e32 vcc, 0, v[20:21]
	v_ashrrev_i32_e32 v5, 31, v5
	v_xor_b32_e32 v21, vcc_hi, v5
	;; [unrolled: 8-line block ×5, first 2 shown]
	v_and_b32_e32 v3, v3, v21
	v_lshlrev_b32_e32 v21, 24, v2
	v_not_b32_e32 v2, v21
	v_xor_b32_e32 v5, vcc_lo, v5
	v_cmp_gt_i64_e32 vcc, 0, v[20:21]
	v_ashrrev_i32_e32 v2, 31, v2
	v_and_b32_e32 v4, v4, v5
	v_xor_b32_e32 v5, vcc_hi, v2
	v_xor_b32_e32 v2, vcc_lo, v2
	v_and_b32_e32 v2, v4, v2
	v_and_b32_e32 v3, v3, v5
	v_mbcnt_lo_u32_b32 v4, v2, 0
	v_mbcnt_hi_u32_b32 v117, v3, v4
	v_cmp_eq_u32_e32 vcc, 0, v117
	v_cmp_ne_u64_e64 s[36:37], 0, v[2:3]
	s_and_b64 s[38:39], s[36:37], vcc
	; wave barrier
	s_and_saveexec_b64 s[36:37], s[38:39]
	s_cbranch_execz .LBB1355_597
; %bb.596:                              ;   in Loop: Header=BB1355_571 Depth=2
	v_bcnt_u32_b32 v2, v2, 0
	v_bcnt_u32_b32 v2, v3, v2
	s_waitcnt lgkmcnt(0)
	v_add_u32_e32 v2, v7, v2
	ds_write_b32 v116, v2
.LBB1355_597:                           ;   in Loop: Header=BB1355_571 Depth=2
	s_or_b64 exec, exec, s[36:37]
	v_cmp_gt_i32_e32 vcc, 0, v8
	v_cndmask_b32_e64 v2, v73, 0, vcc
	v_xor_b32_e32 v118, v2, v8
	v_cmp_ne_u32_e32 vcc, s76, v118
	v_cndmask_b32_e32 v2, v73, v118, vcc
	v_lshrrev_b32_e32 v2, s77, v2
	v_and_b32_e32 v2, s86, v2
	v_mul_u32_u24_e32 v3, 5, v2
	v_add_lshl_u32 v3, v3, v98, 2
	; wave barrier
	v_add_u32_e32 v8, 0x410, v3
	ds_read_b32 v119, v3 offset:1040
	v_and_b32_e32 v3, 1, v2
	v_add_co_u32_e32 v4, vcc, -1, v3
	v_addc_co_u32_e64 v5, s[36:37], 0, -1, vcc
	v_cmp_ne_u32_e32 vcc, 0, v3
	v_lshlrev_b32_e32 v21, 30, v2
	v_xor_b32_e32 v3, vcc_hi, v5
	v_not_b32_e32 v5, v21
	v_xor_b32_e32 v4, vcc_lo, v4
	v_cmp_gt_i64_e32 vcc, 0, v[20:21]
	v_ashrrev_i32_e32 v5, 31, v5
	v_and_b32_e32 v3, exec_hi, v3
	v_xor_b32_e32 v21, vcc_hi, v5
	v_and_b32_e32 v4, exec_lo, v4
	v_xor_b32_e32 v5, vcc_lo, v5
	v_and_b32_e32 v3, v3, v21
	v_lshlrev_b32_e32 v21, 29, v2
	v_and_b32_e32 v4, v4, v5
	v_not_b32_e32 v5, v21
	v_cmp_gt_i64_e32 vcc, 0, v[20:21]
	v_ashrrev_i32_e32 v5, 31, v5
	v_xor_b32_e32 v21, vcc_hi, v5
	v_xor_b32_e32 v5, vcc_lo, v5
	v_and_b32_e32 v3, v3, v21
	v_lshlrev_b32_e32 v21, 28, v2
	v_and_b32_e32 v4, v4, v5
	v_not_b32_e32 v5, v21
	v_cmp_gt_i64_e32 vcc, 0, v[20:21]
	v_ashrrev_i32_e32 v5, 31, v5
	v_xor_b32_e32 v21, vcc_hi, v5
	;; [unrolled: 8-line block ×5, first 2 shown]
	v_and_b32_e32 v3, v3, v21
	v_lshlrev_b32_e32 v21, 24, v2
	v_not_b32_e32 v2, v21
	v_xor_b32_e32 v5, vcc_lo, v5
	v_cmp_gt_i64_e32 vcc, 0, v[20:21]
	v_ashrrev_i32_e32 v2, 31, v2
	v_and_b32_e32 v4, v4, v5
	v_xor_b32_e32 v5, vcc_hi, v2
	v_xor_b32_e32 v2, vcc_lo, v2
	v_and_b32_e32 v2, v4, v2
	v_and_b32_e32 v3, v3, v5
	v_mbcnt_lo_u32_b32 v4, v2, 0
	v_mbcnt_hi_u32_b32 v120, v3, v4
	v_cmp_eq_u32_e32 vcc, 0, v120
	v_cmp_ne_u64_e64 s[36:37], 0, v[2:3]
	s_and_b64 s[38:39], s[36:37], vcc
	; wave barrier
	s_and_saveexec_b64 s[36:37], s[38:39]
	s_cbranch_execz .LBB1355_599
; %bb.598:                              ;   in Loop: Header=BB1355_571 Depth=2
	v_bcnt_u32_b32 v2, v2, 0
	v_bcnt_u32_b32 v2, v3, v2
	s_waitcnt lgkmcnt(0)
	v_add_u32_e32 v2, v119, v2
	ds_write_b32 v8, v2
.LBB1355_599:                           ;   in Loop: Header=BB1355_571 Depth=2
	s_or_b64 exec, exec, s[36:37]
	v_cmp_gt_i32_e32 vcc, 0, v9
	v_cndmask_b32_e64 v2, v73, 0, vcc
	v_xor_b32_e32 v121, v2, v9
	v_cmp_ne_u32_e32 vcc, s76, v121
	v_cndmask_b32_e32 v2, v73, v121, vcc
	v_lshrrev_b32_e32 v2, s77, v2
	v_and_b32_e32 v2, s86, v2
	v_mul_u32_u24_e32 v3, 5, v2
	v_add_lshl_u32 v3, v3, v98, 2
	; wave barrier
	v_add_u32_e32 v9, 0x410, v3
	ds_read_b32 v122, v3 offset:1040
	v_and_b32_e32 v3, 1, v2
	v_add_co_u32_e32 v4, vcc, -1, v3
	v_addc_co_u32_e64 v5, s[36:37], 0, -1, vcc
	v_cmp_ne_u32_e32 vcc, 0, v3
	v_lshlrev_b32_e32 v21, 30, v2
	v_xor_b32_e32 v3, vcc_hi, v5
	v_not_b32_e32 v5, v21
	v_xor_b32_e32 v4, vcc_lo, v4
	v_cmp_gt_i64_e32 vcc, 0, v[20:21]
	v_ashrrev_i32_e32 v5, 31, v5
	v_and_b32_e32 v3, exec_hi, v3
	v_xor_b32_e32 v21, vcc_hi, v5
	v_and_b32_e32 v4, exec_lo, v4
	v_xor_b32_e32 v5, vcc_lo, v5
	v_and_b32_e32 v3, v3, v21
	v_lshlrev_b32_e32 v21, 29, v2
	v_and_b32_e32 v4, v4, v5
	v_not_b32_e32 v5, v21
	v_cmp_gt_i64_e32 vcc, 0, v[20:21]
	v_ashrrev_i32_e32 v5, 31, v5
	v_xor_b32_e32 v21, vcc_hi, v5
	v_xor_b32_e32 v5, vcc_lo, v5
	v_and_b32_e32 v3, v3, v21
	v_lshlrev_b32_e32 v21, 28, v2
	v_and_b32_e32 v4, v4, v5
	v_not_b32_e32 v5, v21
	v_cmp_gt_i64_e32 vcc, 0, v[20:21]
	v_ashrrev_i32_e32 v5, 31, v5
	v_xor_b32_e32 v21, vcc_hi, v5
	;; [unrolled: 8-line block ×5, first 2 shown]
	v_and_b32_e32 v3, v3, v21
	v_lshlrev_b32_e32 v21, 24, v2
	v_not_b32_e32 v2, v21
	v_xor_b32_e32 v5, vcc_lo, v5
	v_cmp_gt_i64_e32 vcc, 0, v[20:21]
	v_ashrrev_i32_e32 v2, 31, v2
	v_and_b32_e32 v4, v4, v5
	v_xor_b32_e32 v5, vcc_hi, v2
	v_xor_b32_e32 v2, vcc_lo, v2
	v_and_b32_e32 v2, v4, v2
	v_and_b32_e32 v3, v3, v5
	v_mbcnt_lo_u32_b32 v4, v2, 0
	v_mbcnt_hi_u32_b32 v123, v3, v4
	v_cmp_eq_u32_e32 vcc, 0, v123
	v_cmp_ne_u64_e64 s[36:37], 0, v[2:3]
	s_and_b64 s[38:39], s[36:37], vcc
	; wave barrier
	s_and_saveexec_b64 s[36:37], s[38:39]
	s_cbranch_execz .LBB1355_601
; %bb.600:                              ;   in Loop: Header=BB1355_571 Depth=2
	v_bcnt_u32_b32 v2, v2, 0
	v_bcnt_u32_b32 v2, v3, v2
	s_waitcnt lgkmcnt(0)
	v_add_u32_e32 v2, v122, v2
	ds_write_b32 v9, v2
.LBB1355_601:                           ;   in Loop: Header=BB1355_571 Depth=2
	s_or_b64 exec, exec, s[36:37]
	; wave barrier
	s_waitcnt lgkmcnt(0)
	s_barrier
	ds_read_b32 v21, v50 offset:1040
	ds_read2_b32 v[4:5], v52 offset0:1 offset1:2
	ds_read2_b32 v[2:3], v52 offset0:3 offset1:4
	s_waitcnt lgkmcnt(1)
	v_add3_u32 v124, v4, v21, v5
	s_waitcnt lgkmcnt(0)
	v_add3_u32 v3, v124, v2, v3
	s_nop 1
	v_mov_b32_dpp v124, v3 row_shr:1 row_mask:0xf bank_mask:0xf
	v_cndmask_b32_e64 v124, v124, 0, s[16:17]
	v_add_u32_e32 v3, v124, v3
	s_nop 1
	v_mov_b32_dpp v124, v3 row_shr:2 row_mask:0xf bank_mask:0xf
	v_cndmask_b32_e64 v124, 0, v124, s[18:19]
	v_add_u32_e32 v3, v3, v124
	;; [unrolled: 4-line block ×4, first 2 shown]
	s_nop 1
	v_mov_b32_dpp v124, v3 row_bcast:15 row_mask:0xf bank_mask:0xf
	v_cndmask_b32_e64 v124, v124, 0, s[24:25]
	v_add_u32_e32 v3, v3, v124
	s_nop 1
	v_mov_b32_dpp v124, v3 row_bcast:31 row_mask:0xf bank_mask:0xf
	v_cndmask_b32_e64 v124, 0, v124, s[26:27]
	v_add_u32_e32 v3, v3, v124
	s_and_saveexec_b64 s[36:37], s[6:7]
	s_cbranch_execz .LBB1355_603
; %bb.602:                              ;   in Loop: Header=BB1355_571 Depth=2
	ds_write_b32 v43, v3 offset:1024
.LBB1355_603:                           ;   in Loop: Header=BB1355_571 Depth=2
	s_or_b64 exec, exec, s[36:37]
	s_waitcnt lgkmcnt(0)
	s_barrier
	s_and_saveexec_b64 s[36:37], s[8:9]
	s_cbranch_execz .LBB1355_605
; %bb.604:                              ;   in Loop: Header=BB1355_571 Depth=2
	ds_read_b32 v124, v53 offset:1024
	s_waitcnt lgkmcnt(0)
	s_nop 0
	v_mov_b32_dpp v125, v124 row_shr:1 row_mask:0xf bank_mask:0xf
	v_cndmask_b32_e64 v125, v125, 0, s[30:31]
	v_add_u32_e32 v124, v125, v124
	s_nop 1
	v_mov_b32_dpp v125, v124 row_shr:2 row_mask:0xf bank_mask:0xf
	v_cndmask_b32_e64 v125, 0, v125, s[34:35]
	v_add_u32_e32 v124, v124, v125
	ds_write_b32 v53, v124 offset:1024
.LBB1355_605:                           ;   in Loop: Header=BB1355_571 Depth=2
	s_or_b64 exec, exec, s[36:37]
	v_mov_b32_e32 v124, 0
	s_waitcnt lgkmcnt(0)
	s_barrier
	s_and_saveexec_b64 s[36:37], s[10:11]
	s_cbranch_execz .LBB1355_607
; %bb.606:                              ;   in Loop: Header=BB1355_571 Depth=2
	ds_read_b32 v124, v43 offset:1020
.LBB1355_607:                           ;   in Loop: Header=BB1355_571 Depth=2
	s_or_b64 exec, exec, s[36:37]
	s_waitcnt lgkmcnt(0)
	v_add_u32_e32 v3, v124, v3
	ds_bpermute_b32 v3, v75, v3
	s_waitcnt lgkmcnt(0)
	v_cndmask_b32_e64 v3, v3, v124, s[28:29]
	v_cndmask_b32_e64 v3, v3, 0, s[12:13]
	v_add_u32_e32 v21, v3, v21
	ds_write_b32 v50, v3 offset:1040
	v_add_u32_e32 v3, v21, v4
	v_add_u32_e32 v4, v3, v5
	;; [unrolled: 1-line block ×3, first 2 shown]
	ds_write2_b32 v52, v21, v3 offset0:1 offset1:2
	ds_write2_b32 v52, v4, v2 offset0:3 offset1:4
	s_waitcnt lgkmcnt(0)
	s_barrier
	ds_read_b32 v2, v102
	ds_read_b32 v3, v106
	;; [unrolled: 1-line block ×8, first 2 shown]
	ds_read_b32 v9, v50 offset:1040
	v_mov_b32_e32 v4, 0x800
	s_and_saveexec_b64 s[36:37], s[14:15]
	s_cbranch_execz .LBB1355_609
; %bb.608:                              ;   in Loop: Header=BB1355_571 Depth=2
	ds_read_b32 v4, v50 offset:1060
.LBB1355_609:                           ;   in Loop: Header=BB1355_571 Depth=2
	s_or_b64 exec, exec, s[36:37]
	s_waitcnt lgkmcnt(0)
	s_barrier
	s_and_saveexec_b64 s[36:37], s[4:5]
	s_cbranch_execz .LBB1355_611
; %bb.610:                              ;   in Loop: Header=BB1355_571 Depth=2
	ds_read_b32 v21, v19
	s_waitcnt lgkmcnt(0)
	v_sub_u32_e32 v9, v21, v9
	ds_write_b32 v19, v9
.LBB1355_611:                           ;   in Loop: Header=BB1355_571 Depth=2
	s_or_b64 exec, exec, s[36:37]
	v_add_u32_e32 v100, v8, v101
	v_add3_u32 v39, v103, v39, v2
	v_lshlrev_b32_e32 v2, 2, v100
	v_add3_u32 v21, v107, v105, v3
	ds_write_b32 v2, v99 offset:1024
	v_lshlrev_b32_e32 v2, 2, v39
	v_add3_u32 v9, v111, v109, v5
	ds_write_b32 v2, v38 offset:1024
	;; [unrolled: 3-line block ×6, first 2 shown]
	v_lshlrev_b32_e32 v2, 2, v6
	ds_write_b32 v2, v118 offset:1024
	v_lshlrev_b32_e32 v2, 2, v5
	v_cmp_lt_u32_e32 vcc, v18, v0
	ds_write_b32 v2, v121 offset:1024
	s_waitcnt lgkmcnt(0)
	s_barrier
	s_and_saveexec_b64 s[38:39], vcc
	s_cbranch_execz .LBB1355_619
; %bb.612:                              ;   in Loop: Header=BB1355_571 Depth=2
	ds_read_b32 v2, v53 offset:1024
	v_mov_b32_e32 v3, v20
	v_mov_b32_e32 v99, s61
	s_waitcnt lgkmcnt(0)
	v_cmp_ne_u32_e64 s[36:37], s76, v2
	v_cndmask_b32_e64 v38, v73, v2, s[36:37]
	v_lshrrev_b32_e32 v38, s77, v38
	v_and_b32_e32 v38, s86, v38
	v_lshlrev_b32_e32 v38, 2, v38
	ds_read_b32 v38, v38
	v_cmp_gt_i32_e64 s[36:37], 0, v2
	v_cndmask_b32_e64 v101, v73, 0, s[36:37]
	v_xor_b32_e32 v101, v101, v2
	s_waitcnt lgkmcnt(0)
	v_add_u32_e32 v2, v38, v18
	v_lshlrev_b64 v[2:3], 2, v[2:3]
	v_add_co_u32_e64 v2, s[36:37], s60, v2
	v_addc_co_u32_e64 v3, s[36:37], v99, v3, s[36:37]
	global_store_dword v[2:3], v101, off
	s_or_b64 exec, exec, s[38:39]
	v_cmp_lt_u32_e64 s[36:37], v23, v0
	s_and_saveexec_b64 s[40:41], s[36:37]
	s_cbranch_execnz .LBB1355_620
.LBB1355_613:                           ;   in Loop: Header=BB1355_571 Depth=2
	s_or_b64 exec, exec, s[40:41]
	v_cmp_lt_u32_e64 s[38:39], v25, v0
	s_and_saveexec_b64 s[42:43], s[38:39]
	s_cbranch_execz .LBB1355_621
.LBB1355_614:                           ;   in Loop: Header=BB1355_571 Depth=2
	ds_read_b32 v2, v58 offset:2048
	v_mov_b32_e32 v3, v20
	v_mov_b32_e32 v99, s61
	s_waitcnt lgkmcnt(0)
	v_cmp_ne_u32_e64 s[40:41], s76, v2
	v_cndmask_b32_e64 v38, v73, v2, s[40:41]
	v_lshrrev_b32_e32 v38, s77, v38
	v_and_b32_e32 v38, s86, v38
	v_lshlrev_b32_e32 v38, 2, v38
	ds_read_b32 v38, v38
	v_cmp_gt_i32_e64 s[40:41], 0, v2
	v_cndmask_b32_e64 v101, v73, 0, s[40:41]
	v_xor_b32_e32 v101, v101, v2
	s_waitcnt lgkmcnt(0)
	v_add_u32_e32 v2, v38, v25
	v_lshlrev_b64 v[2:3], 2, v[2:3]
	v_add_co_u32_e64 v2, s[40:41], s60, v2
	v_addc_co_u32_e64 v3, s[40:41], v99, v3, s[40:41]
	global_store_dword v[2:3], v101, off
	s_or_b64 exec, exec, s[42:43]
	v_cmp_lt_u32_e64 s[40:41], v27, v0
	s_and_saveexec_b64 s[44:45], s[40:41]
	s_cbranch_execnz .LBB1355_622
.LBB1355_615:                           ;   in Loop: Header=BB1355_571 Depth=2
	s_or_b64 exec, exec, s[44:45]
	v_cmp_lt_u32_e64 s[42:43], v22, v0
	s_and_saveexec_b64 s[46:47], s[42:43]
	s_cbranch_execz .LBB1355_623
.LBB1355_616:                           ;   in Loop: Header=BB1355_571 Depth=2
	ds_read_b32 v2, v58 offset:4096
	v_mov_b32_e32 v3, v20
	v_mov_b32_e32 v99, s61
	s_waitcnt lgkmcnt(0)
	v_cmp_ne_u32_e64 s[44:45], s76, v2
	v_cndmask_b32_e64 v38, v73, v2, s[44:45]
	v_lshrrev_b32_e32 v38, s77, v38
	v_and_b32_e32 v38, s86, v38
	v_lshlrev_b32_e32 v38, 2, v38
	ds_read_b32 v38, v38
	v_cmp_gt_i32_e64 s[44:45], 0, v2
	v_cndmask_b32_e64 v101, v73, 0, s[44:45]
	v_xor_b32_e32 v101, v101, v2
	s_waitcnt lgkmcnt(0)
	v_add_u32_e32 v2, v38, v22
	v_lshlrev_b64 v[2:3], 2, v[2:3]
	v_add_co_u32_e64 v2, s[44:45], s60, v2
	v_addc_co_u32_e64 v3, s[44:45], v99, v3, s[44:45]
	global_store_dword v[2:3], v101, off
	s_or_b64 exec, exec, s[46:47]
	v_cmp_lt_u32_e64 s[44:45], v24, v0
	s_and_saveexec_b64 s[48:49], s[44:45]
	s_cbranch_execnz .LBB1355_624
.LBB1355_617:                           ;   in Loop: Header=BB1355_571 Depth=2
	s_or_b64 exec, exec, s[48:49]
	v_cmp_lt_u32_e64 s[46:47], v26, v0
	s_and_saveexec_b64 s[52:53], s[46:47]
	s_cbranch_execz .LBB1355_625
.LBB1355_618:                           ;   in Loop: Header=BB1355_571 Depth=2
	ds_read_b32 v2, v58 offset:6144
	v_mov_b32_e32 v3, v20
	v_mov_b32_e32 v99, s61
	s_waitcnt lgkmcnt(0)
	v_cmp_ne_u32_e64 s[48:49], s76, v2
	v_cndmask_b32_e64 v38, v73, v2, s[48:49]
	v_lshrrev_b32_e32 v38, s77, v38
	v_and_b32_e32 v38, s86, v38
	v_lshlrev_b32_e32 v38, 2, v38
	ds_read_b32 v38, v38
	v_cmp_gt_i32_e64 s[48:49], 0, v2
	v_cndmask_b32_e64 v101, v73, 0, s[48:49]
	v_xor_b32_e32 v101, v101, v2
	s_waitcnt lgkmcnt(0)
	v_add_u32_e32 v2, v38, v26
	v_lshlrev_b64 v[2:3], 2, v[2:3]
	v_add_co_u32_e64 v2, s[48:49], s60, v2
	v_addc_co_u32_e64 v3, s[48:49], v99, v3, s[48:49]
	global_store_dword v[2:3], v101, off
	s_or_b64 exec, exec, s[52:53]
	v_cmp_lt_u32_e64 s[48:49], v28, v0
	s_and_saveexec_b64 s[62:63], s[48:49]
	s_cbranch_execnz .LBB1355_626
	s_branch .LBB1355_627
.LBB1355_619:                           ;   in Loop: Header=BB1355_571 Depth=2
	s_or_b64 exec, exec, s[38:39]
	v_cmp_lt_u32_e64 s[36:37], v23, v0
	s_and_saveexec_b64 s[40:41], s[36:37]
	s_cbranch_execz .LBB1355_613
.LBB1355_620:                           ;   in Loop: Header=BB1355_571 Depth=2
	ds_read_b32 v2, v58 offset:1024
	v_mov_b32_e32 v3, v20
	v_mov_b32_e32 v99, s61
	s_waitcnt lgkmcnt(0)
	v_cmp_ne_u32_e64 s[38:39], s76, v2
	v_cndmask_b32_e64 v38, v73, v2, s[38:39]
	v_lshrrev_b32_e32 v38, s77, v38
	v_and_b32_e32 v38, s86, v38
	v_lshlrev_b32_e32 v38, 2, v38
	ds_read_b32 v38, v38
	v_cmp_gt_i32_e64 s[38:39], 0, v2
	v_cndmask_b32_e64 v101, v73, 0, s[38:39]
	v_xor_b32_e32 v101, v101, v2
	s_waitcnt lgkmcnt(0)
	v_add_u32_e32 v2, v38, v23
	v_lshlrev_b64 v[2:3], 2, v[2:3]
	v_add_co_u32_e64 v2, s[38:39], s60, v2
	v_addc_co_u32_e64 v3, s[38:39], v99, v3, s[38:39]
	global_store_dword v[2:3], v101, off
	s_or_b64 exec, exec, s[40:41]
	v_cmp_lt_u32_e64 s[38:39], v25, v0
	s_and_saveexec_b64 s[42:43], s[38:39]
	s_cbranch_execnz .LBB1355_614
.LBB1355_621:                           ;   in Loop: Header=BB1355_571 Depth=2
	s_or_b64 exec, exec, s[42:43]
	v_cmp_lt_u32_e64 s[40:41], v27, v0
	s_and_saveexec_b64 s[44:45], s[40:41]
	s_cbranch_execz .LBB1355_615
.LBB1355_622:                           ;   in Loop: Header=BB1355_571 Depth=2
	ds_read_b32 v2, v58 offset:3072
	v_mov_b32_e32 v3, v20
	v_mov_b32_e32 v99, s61
	s_waitcnt lgkmcnt(0)
	v_cmp_ne_u32_e64 s[42:43], s76, v2
	v_cndmask_b32_e64 v38, v73, v2, s[42:43]
	v_lshrrev_b32_e32 v38, s77, v38
	v_and_b32_e32 v38, s86, v38
	v_lshlrev_b32_e32 v38, 2, v38
	ds_read_b32 v38, v38
	v_cmp_gt_i32_e64 s[42:43], 0, v2
	v_cndmask_b32_e64 v101, v73, 0, s[42:43]
	v_xor_b32_e32 v101, v101, v2
	s_waitcnt lgkmcnt(0)
	v_add_u32_e32 v2, v38, v27
	v_lshlrev_b64 v[2:3], 2, v[2:3]
	v_add_co_u32_e64 v2, s[42:43], s60, v2
	v_addc_co_u32_e64 v3, s[42:43], v99, v3, s[42:43]
	global_store_dword v[2:3], v101, off
	s_or_b64 exec, exec, s[44:45]
	v_cmp_lt_u32_e64 s[42:43], v22, v0
	s_and_saveexec_b64 s[46:47], s[42:43]
	s_cbranch_execnz .LBB1355_616
.LBB1355_623:                           ;   in Loop: Header=BB1355_571 Depth=2
	s_or_b64 exec, exec, s[46:47]
	v_cmp_lt_u32_e64 s[44:45], v24, v0
	s_and_saveexec_b64 s[48:49], s[44:45]
	s_cbranch_execz .LBB1355_617
.LBB1355_624:                           ;   in Loop: Header=BB1355_571 Depth=2
	ds_read_b32 v2, v58 offset:5120
	v_mov_b32_e32 v3, v20
	v_mov_b32_e32 v99, s61
	s_waitcnt lgkmcnt(0)
	v_cmp_ne_u32_e64 s[46:47], s76, v2
	v_cndmask_b32_e64 v38, v73, v2, s[46:47]
	v_lshrrev_b32_e32 v38, s77, v38
	v_and_b32_e32 v38, s86, v38
	v_lshlrev_b32_e32 v38, 2, v38
	ds_read_b32 v38, v38
	v_cmp_gt_i32_e64 s[46:47], 0, v2
	v_cndmask_b32_e64 v101, v73, 0, s[46:47]
	v_xor_b32_e32 v101, v101, v2
	s_waitcnt lgkmcnt(0)
	v_add_u32_e32 v2, v38, v24
	v_lshlrev_b64 v[2:3], 2, v[2:3]
	v_add_co_u32_e64 v2, s[46:47], s60, v2
	v_addc_co_u32_e64 v3, s[46:47], v99, v3, s[46:47]
	global_store_dword v[2:3], v101, off
	s_or_b64 exec, exec, s[48:49]
	v_cmp_lt_u32_e64 s[46:47], v26, v0
	s_and_saveexec_b64 s[52:53], s[46:47]
	s_cbranch_execnz .LBB1355_618
.LBB1355_625:                           ;   in Loop: Header=BB1355_571 Depth=2
	s_or_b64 exec, exec, s[52:53]
	v_cmp_lt_u32_e64 s[48:49], v28, v0
	s_and_saveexec_b64 s[62:63], s[48:49]
	s_cbranch_execz .LBB1355_627
.LBB1355_626:                           ;   in Loop: Header=BB1355_571 Depth=2
	ds_read_b32 v2, v58 offset:7168
	v_mov_b32_e32 v3, v20
	v_mov_b32_e32 v99, s61
	s_waitcnt lgkmcnt(0)
	v_cmp_ne_u32_e64 s[52:53], s76, v2
	v_cndmask_b32_e64 v38, v73, v2, s[52:53]
	v_lshrrev_b32_e32 v38, s77, v38
	v_and_b32_e32 v38, s86, v38
	v_lshlrev_b32_e32 v38, 2, v38
	ds_read_b32 v38, v38
	v_cmp_gt_i32_e64 s[52:53], 0, v2
	v_cndmask_b32_e64 v101, v73, 0, s[52:53]
	v_xor_b32_e32 v101, v101, v2
	s_waitcnt lgkmcnt(0)
	v_add_u32_e32 v2, v38, v28
	v_lshlrev_b64 v[2:3], 2, v[2:3]
	v_add_co_u32_e64 v2, s[52:53], s60, v2
	v_addc_co_u32_e64 v3, s[52:53], v99, v3, s[52:53]
	global_store_dword v[2:3], v101, off
.LBB1355_627:                           ;   in Loop: Header=BB1355_571 Depth=2
	s_or_b64 exec, exec, s[62:63]
	s_lshl_b64 s[52:53], s[80:81], 3
	v_mov_b32_e32 v3, s53
	v_add_co_u32_e64 v2, s[52:53], s52, v83
	v_addc_co_u32_e64 v3, s[52:53], v85, v3, s[52:53]
	v_cmp_lt_u32_e64 s[52:53], v80, v0
	s_and_saveexec_b64 s[62:63], s[52:53]
	s_xor_b64 s[52:53], exec, s[62:63]
	s_cbranch_execz .LBB1355_643
; %bb.628:                              ;   in Loop: Header=BB1355_571 Depth=2
	global_load_dwordx2 v[36:37], v[2:3], off
	s_or_b64 exec, exec, s[52:53]
	v_cmp_lt_u32_e64 s[52:53], v87, v0
	s_and_saveexec_b64 s[62:63], s[52:53]
	s_cbranch_execnz .LBB1355_644
.LBB1355_629:                           ;   in Loop: Header=BB1355_571 Depth=2
	s_or_b64 exec, exec, s[62:63]
	v_cmp_lt_u32_e64 s[52:53], v88, v0
	s_and_saveexec_b64 s[62:63], s[52:53]
	s_cbranch_execz .LBB1355_645
.LBB1355_630:                           ;   in Loop: Header=BB1355_571 Depth=2
	global_load_dwordx2 v[32:33], v[2:3], off offset:1024
	s_or_b64 exec, exec, s[62:63]
	v_cmp_lt_u32_e64 s[52:53], v89, v0
	s_and_saveexec_b64 s[62:63], s[52:53]
	s_cbranch_execnz .LBB1355_646
.LBB1355_631:                           ;   in Loop: Header=BB1355_571 Depth=2
	s_or_b64 exec, exec, s[62:63]
	v_cmp_lt_u32_e64 s[52:53], v90, v0
	s_and_saveexec_b64 s[62:63], s[52:53]
	s_cbranch_execz .LBB1355_647
.LBB1355_632:                           ;   in Loop: Header=BB1355_571 Depth=2
	global_load_dwordx2 v[16:17], v[2:3], off offset:2048
	s_or_b64 exec, exec, s[62:63]
	v_cmp_lt_u32_e64 s[52:53], v91, v0
	s_and_saveexec_b64 s[62:63], s[52:53]
	s_cbranch_execnz .LBB1355_648
.LBB1355_633:                           ;   in Loop: Header=BB1355_571 Depth=2
	s_or_b64 exec, exec, s[62:63]
	v_cmp_lt_u32_e64 s[52:53], v92, v0
	s_and_saveexec_b64 s[62:63], s[52:53]
	s_cbranch_execz .LBB1355_649
.LBB1355_634:                           ;   in Loop: Header=BB1355_571 Depth=2
	global_load_dwordx2 v[12:13], v[2:3], off offset:3072
	s_or_b64 exec, exec, s[62:63]
	v_cmp_lt_u32_e64 s[52:53], v93, v0
	s_and_saveexec_b64 s[62:63], s[52:53]
	s_cbranch_execnz .LBB1355_650
.LBB1355_635:                           ;   in Loop: Header=BB1355_571 Depth=2
	s_or_b64 exec, exec, s[62:63]
	s_and_saveexec_b64 s[62:63], vcc
	s_cbranch_execz .LBB1355_651
.LBB1355_636:                           ;   in Loop: Header=BB1355_571 Depth=2
	ds_read_b32 v0, v53 offset:1024
	s_waitcnt lgkmcnt(0)
	v_cmp_ne_u32_e64 s[52:53], s76, v0
	v_cndmask_b32_e64 v0, v73, v0, s[52:53]
	v_lshrrev_b32_e32 v0, s77, v0
	v_and_b32_e32 v86, s86, v0
	s_or_b64 exec, exec, s[62:63]
	s_and_saveexec_b64 s[62:63], s[36:37]
	s_cbranch_execnz .LBB1355_652
.LBB1355_637:                           ;   in Loop: Header=BB1355_571 Depth=2
	s_or_b64 exec, exec, s[62:63]
	s_and_saveexec_b64 s[62:63], s[38:39]
	s_cbranch_execz .LBB1355_653
.LBB1355_638:                           ;   in Loop: Header=BB1355_571 Depth=2
	ds_read_b32 v0, v58 offset:2048
	s_waitcnt lgkmcnt(0)
	v_cmp_ne_u32_e64 s[52:53], s76, v0
	v_cndmask_b32_e64 v0, v73, v0, s[52:53]
	v_lshrrev_b32_e32 v0, s77, v0
	v_and_b32_e32 v82, s86, v0
	s_or_b64 exec, exec, s[62:63]
	s_and_saveexec_b64 s[62:63], s[40:41]
	s_cbranch_execnz .LBB1355_654
.LBB1355_639:                           ;   in Loop: Header=BB1355_571 Depth=2
	s_or_b64 exec, exec, s[62:63]
	s_and_saveexec_b64 s[62:63], s[42:43]
	s_cbranch_execz .LBB1355_655
.LBB1355_640:                           ;   in Loop: Header=BB1355_571 Depth=2
	ds_read_b32 v0, v58 offset:4096
	s_waitcnt lgkmcnt(0)
	v_cmp_ne_u32_e64 s[52:53], s76, v0
	v_cndmask_b32_e64 v0, v73, v0, s[52:53]
	v_lshrrev_b32_e32 v0, s77, v0
	v_and_b32_e32 v79, s86, v0
	s_or_b64 exec, exec, s[62:63]
	s_and_saveexec_b64 s[62:63], s[44:45]
	s_cbranch_execnz .LBB1355_656
.LBB1355_641:                           ;   in Loop: Header=BB1355_571 Depth=2
	s_or_b64 exec, exec, s[62:63]
	s_and_saveexec_b64 s[62:63], s[46:47]
	s_cbranch_execz .LBB1355_657
.LBB1355_642:                           ;   in Loop: Header=BB1355_571 Depth=2
	ds_read_b32 v0, v58 offset:6144
	s_waitcnt lgkmcnt(0)
	v_cmp_ne_u32_e64 s[52:53], s76, v0
	v_cndmask_b32_e64 v0, v73, v0, s[52:53]
	v_lshrrev_b32_e32 v0, s77, v0
	v_and_b32_e32 v77, s86, v0
	s_or_b64 exec, exec, s[62:63]
	s_and_saveexec_b64 s[62:63], s[48:49]
	s_cbranch_execnz .LBB1355_658
	s_branch .LBB1355_659
.LBB1355_643:                           ;   in Loop: Header=BB1355_571 Depth=2
	s_or_b64 exec, exec, s[52:53]
	v_cmp_lt_u32_e64 s[52:53], v87, v0
	s_and_saveexec_b64 s[62:63], s[52:53]
	s_cbranch_execz .LBB1355_629
.LBB1355_644:                           ;   in Loop: Header=BB1355_571 Depth=2
	global_load_dwordx2 v[34:35], v[2:3], off offset:512
	s_or_b64 exec, exec, s[62:63]
	v_cmp_lt_u32_e64 s[52:53], v88, v0
	s_and_saveexec_b64 s[62:63], s[52:53]
	s_cbranch_execnz .LBB1355_630
.LBB1355_645:                           ;   in Loop: Header=BB1355_571 Depth=2
	s_or_b64 exec, exec, s[62:63]
	v_cmp_lt_u32_e64 s[52:53], v89, v0
	s_and_saveexec_b64 s[62:63], s[52:53]
	s_cbranch_execz .LBB1355_631
.LBB1355_646:                           ;   in Loop: Header=BB1355_571 Depth=2
	global_load_dwordx2 v[30:31], v[2:3], off offset:1536
	s_or_b64 exec, exec, s[62:63]
	v_cmp_lt_u32_e64 s[52:53], v90, v0
	s_and_saveexec_b64 s[62:63], s[52:53]
	s_cbranch_execnz .LBB1355_632
.LBB1355_647:                           ;   in Loop: Header=BB1355_571 Depth=2
	s_or_b64 exec, exec, s[62:63]
	v_cmp_lt_u32_e64 s[52:53], v91, v0
	s_and_saveexec_b64 s[62:63], s[52:53]
	s_cbranch_execz .LBB1355_633
.LBB1355_648:                           ;   in Loop: Header=BB1355_571 Depth=2
	global_load_dwordx2 v[14:15], v[2:3], off offset:2560
	s_or_b64 exec, exec, s[62:63]
	v_cmp_lt_u32_e64 s[52:53], v92, v0
	s_and_saveexec_b64 s[62:63], s[52:53]
	s_cbranch_execnz .LBB1355_634
.LBB1355_649:                           ;   in Loop: Header=BB1355_571 Depth=2
	s_or_b64 exec, exec, s[62:63]
	v_cmp_lt_u32_e64 s[52:53], v93, v0
	s_and_saveexec_b64 s[62:63], s[52:53]
	s_cbranch_execz .LBB1355_635
.LBB1355_650:                           ;   in Loop: Header=BB1355_571 Depth=2
	global_load_dwordx2 v[10:11], v[2:3], off offset:3584
	s_or_b64 exec, exec, s[62:63]
	s_and_saveexec_b64 s[62:63], vcc
	s_cbranch_execnz .LBB1355_636
.LBB1355_651:                           ;   in Loop: Header=BB1355_571 Depth=2
	s_or_b64 exec, exec, s[62:63]
	s_and_saveexec_b64 s[62:63], s[36:37]
	s_cbranch_execz .LBB1355_637
.LBB1355_652:                           ;   in Loop: Header=BB1355_571 Depth=2
	ds_read_b32 v0, v58 offset:1024
	s_waitcnt lgkmcnt(0)
	v_cmp_ne_u32_e64 s[52:53], s76, v0
	v_cndmask_b32_e64 v0, v73, v0, s[52:53]
	v_lshrrev_b32_e32 v0, s77, v0
	v_and_b32_e32 v84, s86, v0
	s_or_b64 exec, exec, s[62:63]
	s_and_saveexec_b64 s[62:63], s[38:39]
	s_cbranch_execnz .LBB1355_638
.LBB1355_653:                           ;   in Loop: Header=BB1355_571 Depth=2
	s_or_b64 exec, exec, s[62:63]
	s_and_saveexec_b64 s[62:63], s[40:41]
	s_cbranch_execz .LBB1355_639
.LBB1355_654:                           ;   in Loop: Header=BB1355_571 Depth=2
	ds_read_b32 v0, v58 offset:3072
	s_waitcnt lgkmcnt(0)
	v_cmp_ne_u32_e64 s[52:53], s76, v0
	v_cndmask_b32_e64 v0, v73, v0, s[52:53]
	v_lshrrev_b32_e32 v0, s77, v0
	v_and_b32_e32 v81, s86, v0
	s_or_b64 exec, exec, s[62:63]
	s_and_saveexec_b64 s[62:63], s[42:43]
	s_cbranch_execnz .LBB1355_640
.LBB1355_655:                           ;   in Loop: Header=BB1355_571 Depth=2
	s_or_b64 exec, exec, s[62:63]
	s_and_saveexec_b64 s[62:63], s[44:45]
	s_cbranch_execz .LBB1355_641
.LBB1355_656:                           ;   in Loop: Header=BB1355_571 Depth=2
	ds_read_b32 v0, v58 offset:5120
	s_waitcnt lgkmcnt(0)
	v_cmp_ne_u32_e64 s[52:53], s76, v0
	v_cndmask_b32_e64 v0, v73, v0, s[52:53]
	v_lshrrev_b32_e32 v0, s77, v0
	v_and_b32_e32 v78, s86, v0
	s_or_b64 exec, exec, s[62:63]
	s_and_saveexec_b64 s[62:63], s[46:47]
	s_cbranch_execnz .LBB1355_642
.LBB1355_657:                           ;   in Loop: Header=BB1355_571 Depth=2
	s_or_b64 exec, exec, s[62:63]
	s_and_saveexec_b64 s[62:63], s[48:49]
	s_cbranch_execz .LBB1355_659
.LBB1355_658:                           ;   in Loop: Header=BB1355_571 Depth=2
	ds_read_b32 v0, v58 offset:7168
	s_waitcnt lgkmcnt(0)
	v_cmp_ne_u32_e64 s[52:53], s76, v0
	v_cndmask_b32_e64 v0, v73, v0, s[52:53]
	v_lshrrev_b32_e32 v0, s77, v0
	v_and_b32_e32 v76, s86, v0
.LBB1355_659:                           ;   in Loop: Header=BB1355_571 Depth=2
	s_or_b64 exec, exec, s[62:63]
	v_lshlrev_b32_e32 v0, 3, v100
	s_barrier
	s_waitcnt vmcnt(0)
	ds_write_b64 v0, v[36:37] offset:1024
	v_lshlrev_b32_e32 v0, 3, v39
	ds_write_b64 v0, v[34:35] offset:1024
	v_lshlrev_b32_e32 v0, 3, v21
	;; [unrolled: 2-line block ×7, first 2 shown]
	ds_write_b64 v0, v[10:11] offset:1024
	s_waitcnt lgkmcnt(0)
	s_barrier
	s_and_saveexec_b64 s[52:53], vcc
	s_cbranch_execz .LBB1355_667
; %bb.660:                              ;   in Loop: Header=BB1355_571 Depth=2
	v_lshlrev_b32_e32 v0, 2, v86
	ds_read_b32 v0, v0
	v_add_u32_e32 v2, v53, v19
	ds_read_b64 v[2:3], v2 offset:1024
	v_mov_b32_e32 v7, v20
	v_mov_b32_e32 v5, s75
	s_waitcnt lgkmcnt(1)
	v_add_u32_e32 v6, v0, v18
	v_lshlrev_b64 v[6:7], 3, v[6:7]
	v_add_co_u32_e32 v6, vcc, s74, v6
	v_addc_co_u32_e32 v7, vcc, v5, v7, vcc
	s_waitcnt lgkmcnt(0)
	global_store_dwordx2 v[6:7], v[2:3], off
	s_or_b64 exec, exec, s[52:53]
	v_add_u32_e32 v0, v58, v19
	s_and_saveexec_b64 s[52:53], s[36:37]
	s_cbranch_execnz .LBB1355_668
.LBB1355_661:                           ;   in Loop: Header=BB1355_571 Depth=2
	s_or_b64 exec, exec, s[52:53]
	s_and_saveexec_b64 s[36:37], s[38:39]
	s_cbranch_execz .LBB1355_669
.LBB1355_662:                           ;   in Loop: Header=BB1355_571 Depth=2
	v_lshlrev_b32_e32 v2, 2, v82
	ds_read_b32 v5, v2
	ds_read_b64 v[2:3], v0 offset:4096
	v_mov_b32_e32 v7, v20
	v_mov_b32_e32 v8, s75
	s_waitcnt lgkmcnt(1)
	v_add_u32_e32 v6, v5, v25
	v_lshlrev_b64 v[6:7], 3, v[6:7]
	v_add_co_u32_e32 v6, vcc, s74, v6
	v_addc_co_u32_e32 v7, vcc, v8, v7, vcc
	s_waitcnt lgkmcnt(0)
	global_store_dwordx2 v[6:7], v[2:3], off
	s_or_b64 exec, exec, s[36:37]
	s_and_saveexec_b64 s[36:37], s[40:41]
	s_cbranch_execnz .LBB1355_670
.LBB1355_663:                           ;   in Loop: Header=BB1355_571 Depth=2
	s_or_b64 exec, exec, s[36:37]
	s_and_saveexec_b64 s[36:37], s[42:43]
	s_cbranch_execz .LBB1355_671
.LBB1355_664:                           ;   in Loop: Header=BB1355_571 Depth=2
	v_lshlrev_b32_e32 v2, 2, v79
	ds_read_b32 v5, v2
	ds_read_b64 v[2:3], v0 offset:8192
	v_mov_b32_e32 v7, v20
	v_mov_b32_e32 v8, s75
	s_waitcnt lgkmcnt(1)
	v_add_u32_e32 v6, v5, v22
	v_lshlrev_b64 v[6:7], 3, v[6:7]
	v_add_co_u32_e32 v6, vcc, s74, v6
	v_addc_co_u32_e32 v7, vcc, v8, v7, vcc
	s_waitcnt lgkmcnt(0)
	global_store_dwordx2 v[6:7], v[2:3], off
	s_or_b64 exec, exec, s[36:37]
	s_and_saveexec_b64 s[36:37], s[44:45]
	s_cbranch_execnz .LBB1355_672
.LBB1355_665:                           ;   in Loop: Header=BB1355_571 Depth=2
	s_or_b64 exec, exec, s[36:37]
	s_and_saveexec_b64 s[36:37], s[46:47]
	s_cbranch_execz .LBB1355_673
.LBB1355_666:                           ;   in Loop: Header=BB1355_571 Depth=2
	v_lshlrev_b32_e32 v2, 2, v77
	ds_read_b32 v5, v2
	ds_read_b64 v[2:3], v0 offset:12288
	v_mov_b32_e32 v7, v20
	v_mov_b32_e32 v8, s75
	s_waitcnt lgkmcnt(1)
	v_add_u32_e32 v6, v5, v26
	v_lshlrev_b64 v[6:7], 3, v[6:7]
	v_add_co_u32_e32 v6, vcc, s74, v6
	v_addc_co_u32_e32 v7, vcc, v8, v7, vcc
	s_waitcnt lgkmcnt(0)
	global_store_dwordx2 v[6:7], v[2:3], off
	s_or_b64 exec, exec, s[36:37]
	s_and_saveexec_b64 s[36:37], s[48:49]
	s_cbranch_execnz .LBB1355_674
	s_branch .LBB1355_675
.LBB1355_667:                           ;   in Loop: Header=BB1355_571 Depth=2
	s_or_b64 exec, exec, s[52:53]
	v_add_u32_e32 v0, v58, v19
	s_and_saveexec_b64 s[52:53], s[36:37]
	s_cbranch_execz .LBB1355_661
.LBB1355_668:                           ;   in Loop: Header=BB1355_571 Depth=2
	v_lshlrev_b32_e32 v2, 2, v84
	ds_read_b32 v5, v2
	ds_read_b64 v[2:3], v0 offset:2048
	v_mov_b32_e32 v7, v20
	v_mov_b32_e32 v8, s75
	s_waitcnt lgkmcnt(1)
	v_add_u32_e32 v6, v5, v23
	v_lshlrev_b64 v[6:7], 3, v[6:7]
	v_add_co_u32_e32 v6, vcc, s74, v6
	v_addc_co_u32_e32 v7, vcc, v8, v7, vcc
	s_waitcnt lgkmcnt(0)
	global_store_dwordx2 v[6:7], v[2:3], off
	s_or_b64 exec, exec, s[52:53]
	s_and_saveexec_b64 s[36:37], s[38:39]
	s_cbranch_execnz .LBB1355_662
.LBB1355_669:                           ;   in Loop: Header=BB1355_571 Depth=2
	s_or_b64 exec, exec, s[36:37]
	s_and_saveexec_b64 s[36:37], s[40:41]
	s_cbranch_execz .LBB1355_663
.LBB1355_670:                           ;   in Loop: Header=BB1355_571 Depth=2
	v_lshlrev_b32_e32 v2, 2, v81
	ds_read_b32 v5, v2
	ds_read_b64 v[2:3], v0 offset:6144
	v_mov_b32_e32 v7, v20
	v_mov_b32_e32 v8, s75
	s_waitcnt lgkmcnt(1)
	v_add_u32_e32 v6, v5, v27
	v_lshlrev_b64 v[6:7], 3, v[6:7]
	v_add_co_u32_e32 v6, vcc, s74, v6
	v_addc_co_u32_e32 v7, vcc, v8, v7, vcc
	s_waitcnt lgkmcnt(0)
	global_store_dwordx2 v[6:7], v[2:3], off
	s_or_b64 exec, exec, s[36:37]
	s_and_saveexec_b64 s[36:37], s[42:43]
	s_cbranch_execnz .LBB1355_664
.LBB1355_671:                           ;   in Loop: Header=BB1355_571 Depth=2
	s_or_b64 exec, exec, s[36:37]
	s_and_saveexec_b64 s[36:37], s[44:45]
	s_cbranch_execz .LBB1355_665
.LBB1355_672:                           ;   in Loop: Header=BB1355_571 Depth=2
	v_lshlrev_b32_e32 v2, 2, v78
	ds_read_b32 v5, v2
	ds_read_b64 v[2:3], v0 offset:10240
	v_mov_b32_e32 v7, v20
	v_mov_b32_e32 v8, s75
	s_waitcnt lgkmcnt(1)
	v_add_u32_e32 v6, v5, v24
	v_lshlrev_b64 v[6:7], 3, v[6:7]
	v_add_co_u32_e32 v6, vcc, s74, v6
	v_addc_co_u32_e32 v7, vcc, v8, v7, vcc
	s_waitcnt lgkmcnt(0)
	global_store_dwordx2 v[6:7], v[2:3], off
	s_or_b64 exec, exec, s[36:37]
	s_and_saveexec_b64 s[36:37], s[46:47]
	s_cbranch_execnz .LBB1355_666
.LBB1355_673:                           ;   in Loop: Header=BB1355_571 Depth=2
	s_or_b64 exec, exec, s[36:37]
	s_and_saveexec_b64 s[36:37], s[48:49]
	s_cbranch_execz .LBB1355_675
.LBB1355_674:                           ;   in Loop: Header=BB1355_571 Depth=2
	v_lshlrev_b32_e32 v2, 2, v76
	ds_read_b32 v5, v2
	ds_read_b64 v[2:3], v0 offset:14336
	v_mov_b32_e32 v7, v20
	v_mov_b32_e32 v0, s75
	s_waitcnt lgkmcnt(1)
	v_add_u32_e32 v6, v5, v28
	v_lshlrev_b64 v[6:7], 3, v[6:7]
	v_add_co_u32_e32 v6, vcc, s74, v6
	v_addc_co_u32_e32 v7, vcc, v0, v7, vcc
	s_waitcnt lgkmcnt(0)
	global_store_dwordx2 v[6:7], v[2:3], off
.LBB1355_675:                           ;   in Loop: Header=BB1355_571 Depth=2
	s_or_b64 exec, exec, s[36:37]
	s_barrier
	s_and_saveexec_b64 s[36:37], s[4:5]
	s_cbranch_execz .LBB1355_570
; %bb.676:                              ;   in Loop: Header=BB1355_571 Depth=2
	ds_read_b32 v0, v19
	s_waitcnt lgkmcnt(0)
	v_add_u32_e32 v0, v0, v4
	ds_write_b32 v19, v0
	s_branch .LBB1355_570
.LBB1355_677:                           ;   in Loop: Header=BB1355_571 Depth=2
	s_or_b64 exec, exec, s[36:37]
	v_cmp_gt_u32_e32 vcc, s87, v87
	s_and_saveexec_b64 s[36:37], vcc
	s_cbranch_execz .LBB1355_576
.LBB1355_678:                           ;   in Loop: Header=BB1355_571 Depth=2
	global_load_dword v3, v[38:39], off offset:256
	s_or_b64 exec, exec, s[36:37]
	v_cmp_gt_u32_e32 vcc, s87, v88
	s_and_saveexec_b64 s[36:37], vcc
	s_cbranch_execnz .LBB1355_577
.LBB1355_679:                           ;   in Loop: Header=BB1355_571 Depth=2
	s_or_b64 exec, exec, s[36:37]
	v_cmp_gt_u32_e32 vcc, s87, v89
	s_and_saveexec_b64 s[36:37], vcc
	s_cbranch_execz .LBB1355_578
.LBB1355_680:                           ;   in Loop: Header=BB1355_571 Depth=2
	global_load_dword v5, v[38:39], off offset:768
	s_or_b64 exec, exec, s[36:37]
	v_cmp_gt_u32_e32 vcc, s87, v90
	s_and_saveexec_b64 s[36:37], vcc
	s_cbranch_execnz .LBB1355_579
.LBB1355_681:                           ;   in Loop: Header=BB1355_571 Depth=2
	s_or_b64 exec, exec, s[36:37]
	v_cmp_gt_u32_e32 vcc, s87, v91
	s_and_saveexec_b64 s[36:37], vcc
	s_cbranch_execz .LBB1355_580
.LBB1355_682:                           ;   in Loop: Header=BB1355_571 Depth=2
	global_load_dword v7, v[38:39], off offset:1280
	s_or_b64 exec, exec, s[36:37]
	v_cmp_gt_u32_e32 vcc, s87, v92
	s_and_saveexec_b64 s[36:37], vcc
	s_cbranch_execnz .LBB1355_581
	s_branch .LBB1355_582
.LBB1355_683:
	s_endpgm
	.section	.rodata,"a",@progbits
	.p2align	6, 0x0
	.amdhsa_kernel _ZN7rocprim17ROCPRIM_400000_NS6detail17trampoline_kernelINS0_14default_configENS1_36segmented_radix_sort_config_selectorIflEEZNS1_25segmented_radix_sort_implIS3_Lb1EPKfPfPKlPlN2at6native12_GLOBAL__N_18offset_tEEE10hipError_tPvRmT1_PNSt15iterator_traitsISK_E10value_typeET2_T3_PNSL_ISQ_E10value_typeET4_jRbjT5_SW_jjP12ihipStream_tbEUlT_E2_NS1_11comp_targetILNS1_3genE4ELNS1_11target_archE910ELNS1_3gpuE8ELNS1_3repE0EEENS1_30default_config_static_selectorELNS0_4arch9wavefront6targetE1EEEvSK_
		.amdhsa_group_segment_fixed_size 17424
		.amdhsa_private_segment_fixed_size 8
		.amdhsa_kernarg_size 336
		.amdhsa_user_sgpr_count 8
		.amdhsa_user_sgpr_private_segment_buffer 1
		.amdhsa_user_sgpr_dispatch_ptr 0
		.amdhsa_user_sgpr_queue_ptr 0
		.amdhsa_user_sgpr_kernarg_segment_ptr 1
		.amdhsa_user_sgpr_dispatch_id 0
		.amdhsa_user_sgpr_flat_scratch_init 1
		.amdhsa_user_sgpr_kernarg_preload_length 0
		.amdhsa_user_sgpr_kernarg_preload_offset 0
		.amdhsa_user_sgpr_private_segment_size 0
		.amdhsa_uses_dynamic_stack 0
		.amdhsa_system_sgpr_private_segment_wavefront_offset 1
		.amdhsa_system_sgpr_workgroup_id_x 1
		.amdhsa_system_sgpr_workgroup_id_y 1
		.amdhsa_system_sgpr_workgroup_id_z 0
		.amdhsa_system_sgpr_workgroup_info 0
		.amdhsa_system_vgpr_workitem_id 2
		.amdhsa_next_free_vgpr 195
		.amdhsa_next_free_sgpr 89
		.amdhsa_accum_offset 196
		.amdhsa_reserve_vcc 1
		.amdhsa_reserve_flat_scratch 1
		.amdhsa_float_round_mode_32 0
		.amdhsa_float_round_mode_16_64 0
		.amdhsa_float_denorm_mode_32 3
		.amdhsa_float_denorm_mode_16_64 3
		.amdhsa_dx10_clamp 1
		.amdhsa_ieee_mode 1
		.amdhsa_fp16_overflow 0
		.amdhsa_tg_split 0
		.amdhsa_exception_fp_ieee_invalid_op 0
		.amdhsa_exception_fp_denorm_src 0
		.amdhsa_exception_fp_ieee_div_zero 0
		.amdhsa_exception_fp_ieee_overflow 0
		.amdhsa_exception_fp_ieee_underflow 0
		.amdhsa_exception_fp_ieee_inexact 0
		.amdhsa_exception_int_div_zero 0
	.end_amdhsa_kernel
	.section	.text._ZN7rocprim17ROCPRIM_400000_NS6detail17trampoline_kernelINS0_14default_configENS1_36segmented_radix_sort_config_selectorIflEEZNS1_25segmented_radix_sort_implIS3_Lb1EPKfPfPKlPlN2at6native12_GLOBAL__N_18offset_tEEE10hipError_tPvRmT1_PNSt15iterator_traitsISK_E10value_typeET2_T3_PNSL_ISQ_E10value_typeET4_jRbjT5_SW_jjP12ihipStream_tbEUlT_E2_NS1_11comp_targetILNS1_3genE4ELNS1_11target_archE910ELNS1_3gpuE8ELNS1_3repE0EEENS1_30default_config_static_selectorELNS0_4arch9wavefront6targetE1EEEvSK_,"axG",@progbits,_ZN7rocprim17ROCPRIM_400000_NS6detail17trampoline_kernelINS0_14default_configENS1_36segmented_radix_sort_config_selectorIflEEZNS1_25segmented_radix_sort_implIS3_Lb1EPKfPfPKlPlN2at6native12_GLOBAL__N_18offset_tEEE10hipError_tPvRmT1_PNSt15iterator_traitsISK_E10value_typeET2_T3_PNSL_ISQ_E10value_typeET4_jRbjT5_SW_jjP12ihipStream_tbEUlT_E2_NS1_11comp_targetILNS1_3genE4ELNS1_11target_archE910ELNS1_3gpuE8ELNS1_3repE0EEENS1_30default_config_static_selectorELNS0_4arch9wavefront6targetE1EEEvSK_,comdat
.Lfunc_end1355:
	.size	_ZN7rocprim17ROCPRIM_400000_NS6detail17trampoline_kernelINS0_14default_configENS1_36segmented_radix_sort_config_selectorIflEEZNS1_25segmented_radix_sort_implIS3_Lb1EPKfPfPKlPlN2at6native12_GLOBAL__N_18offset_tEEE10hipError_tPvRmT1_PNSt15iterator_traitsISK_E10value_typeET2_T3_PNSL_ISQ_E10value_typeET4_jRbjT5_SW_jjP12ihipStream_tbEUlT_E2_NS1_11comp_targetILNS1_3genE4ELNS1_11target_archE910ELNS1_3gpuE8ELNS1_3repE0EEENS1_30default_config_static_selectorELNS0_4arch9wavefront6targetE1EEEvSK_, .Lfunc_end1355-_ZN7rocprim17ROCPRIM_400000_NS6detail17trampoline_kernelINS0_14default_configENS1_36segmented_radix_sort_config_selectorIflEEZNS1_25segmented_radix_sort_implIS3_Lb1EPKfPfPKlPlN2at6native12_GLOBAL__N_18offset_tEEE10hipError_tPvRmT1_PNSt15iterator_traitsISK_E10value_typeET2_T3_PNSL_ISQ_E10value_typeET4_jRbjT5_SW_jjP12ihipStream_tbEUlT_E2_NS1_11comp_targetILNS1_3genE4ELNS1_11target_archE910ELNS1_3gpuE8ELNS1_3repE0EEENS1_30default_config_static_selectorELNS0_4arch9wavefront6targetE1EEEvSK_
                                        ; -- End function
	.section	.AMDGPU.csdata,"",@progbits
; Kernel info:
; codeLenInByte = 39276
; NumSgprs: 95
; NumVgprs: 195
; NumAgprs: 0
; TotalNumVgprs: 195
; ScratchSize: 8
; MemoryBound: 0
; FloatMode: 240
; IeeeMode: 1
; LDSByteSize: 17424 bytes/workgroup (compile time only)
; SGPRBlocks: 11
; VGPRBlocks: 24
; NumSGPRsForWavesPerEU: 95
; NumVGPRsForWavesPerEU: 195
; AccumOffset: 196
; Occupancy: 2
; WaveLimiterHint : 1
; COMPUTE_PGM_RSRC2:SCRATCH_EN: 1
; COMPUTE_PGM_RSRC2:USER_SGPR: 8
; COMPUTE_PGM_RSRC2:TRAP_HANDLER: 0
; COMPUTE_PGM_RSRC2:TGID_X_EN: 1
; COMPUTE_PGM_RSRC2:TGID_Y_EN: 1
; COMPUTE_PGM_RSRC2:TGID_Z_EN: 0
; COMPUTE_PGM_RSRC2:TIDIG_COMP_CNT: 2
; COMPUTE_PGM_RSRC3_GFX90A:ACCUM_OFFSET: 48
; COMPUTE_PGM_RSRC3_GFX90A:TG_SPLIT: 0
	.section	.text._ZN7rocprim17ROCPRIM_400000_NS6detail17trampoline_kernelINS0_14default_configENS1_36segmented_radix_sort_config_selectorIflEEZNS1_25segmented_radix_sort_implIS3_Lb1EPKfPfPKlPlN2at6native12_GLOBAL__N_18offset_tEEE10hipError_tPvRmT1_PNSt15iterator_traitsISK_E10value_typeET2_T3_PNSL_ISQ_E10value_typeET4_jRbjT5_SW_jjP12ihipStream_tbEUlT_E2_NS1_11comp_targetILNS1_3genE3ELNS1_11target_archE908ELNS1_3gpuE7ELNS1_3repE0EEENS1_30default_config_static_selectorELNS0_4arch9wavefront6targetE1EEEvSK_,"axG",@progbits,_ZN7rocprim17ROCPRIM_400000_NS6detail17trampoline_kernelINS0_14default_configENS1_36segmented_radix_sort_config_selectorIflEEZNS1_25segmented_radix_sort_implIS3_Lb1EPKfPfPKlPlN2at6native12_GLOBAL__N_18offset_tEEE10hipError_tPvRmT1_PNSt15iterator_traitsISK_E10value_typeET2_T3_PNSL_ISQ_E10value_typeET4_jRbjT5_SW_jjP12ihipStream_tbEUlT_E2_NS1_11comp_targetILNS1_3genE3ELNS1_11target_archE908ELNS1_3gpuE7ELNS1_3repE0EEENS1_30default_config_static_selectorELNS0_4arch9wavefront6targetE1EEEvSK_,comdat
	.globl	_ZN7rocprim17ROCPRIM_400000_NS6detail17trampoline_kernelINS0_14default_configENS1_36segmented_radix_sort_config_selectorIflEEZNS1_25segmented_radix_sort_implIS3_Lb1EPKfPfPKlPlN2at6native12_GLOBAL__N_18offset_tEEE10hipError_tPvRmT1_PNSt15iterator_traitsISK_E10value_typeET2_T3_PNSL_ISQ_E10value_typeET4_jRbjT5_SW_jjP12ihipStream_tbEUlT_E2_NS1_11comp_targetILNS1_3genE3ELNS1_11target_archE908ELNS1_3gpuE7ELNS1_3repE0EEENS1_30default_config_static_selectorELNS0_4arch9wavefront6targetE1EEEvSK_ ; -- Begin function _ZN7rocprim17ROCPRIM_400000_NS6detail17trampoline_kernelINS0_14default_configENS1_36segmented_radix_sort_config_selectorIflEEZNS1_25segmented_radix_sort_implIS3_Lb1EPKfPfPKlPlN2at6native12_GLOBAL__N_18offset_tEEE10hipError_tPvRmT1_PNSt15iterator_traitsISK_E10value_typeET2_T3_PNSL_ISQ_E10value_typeET4_jRbjT5_SW_jjP12ihipStream_tbEUlT_E2_NS1_11comp_targetILNS1_3genE3ELNS1_11target_archE908ELNS1_3gpuE7ELNS1_3repE0EEENS1_30default_config_static_selectorELNS0_4arch9wavefront6targetE1EEEvSK_
	.p2align	8
	.type	_ZN7rocprim17ROCPRIM_400000_NS6detail17trampoline_kernelINS0_14default_configENS1_36segmented_radix_sort_config_selectorIflEEZNS1_25segmented_radix_sort_implIS3_Lb1EPKfPfPKlPlN2at6native12_GLOBAL__N_18offset_tEEE10hipError_tPvRmT1_PNSt15iterator_traitsISK_E10value_typeET2_T3_PNSL_ISQ_E10value_typeET4_jRbjT5_SW_jjP12ihipStream_tbEUlT_E2_NS1_11comp_targetILNS1_3genE3ELNS1_11target_archE908ELNS1_3gpuE7ELNS1_3repE0EEENS1_30default_config_static_selectorELNS0_4arch9wavefront6targetE1EEEvSK_,@function
_ZN7rocprim17ROCPRIM_400000_NS6detail17trampoline_kernelINS0_14default_configENS1_36segmented_radix_sort_config_selectorIflEEZNS1_25segmented_radix_sort_implIS3_Lb1EPKfPfPKlPlN2at6native12_GLOBAL__N_18offset_tEEE10hipError_tPvRmT1_PNSt15iterator_traitsISK_E10value_typeET2_T3_PNSL_ISQ_E10value_typeET4_jRbjT5_SW_jjP12ihipStream_tbEUlT_E2_NS1_11comp_targetILNS1_3genE3ELNS1_11target_archE908ELNS1_3gpuE7ELNS1_3repE0EEENS1_30default_config_static_selectorELNS0_4arch9wavefront6targetE1EEEvSK_: ; @_ZN7rocprim17ROCPRIM_400000_NS6detail17trampoline_kernelINS0_14default_configENS1_36segmented_radix_sort_config_selectorIflEEZNS1_25segmented_radix_sort_implIS3_Lb1EPKfPfPKlPlN2at6native12_GLOBAL__N_18offset_tEEE10hipError_tPvRmT1_PNSt15iterator_traitsISK_E10value_typeET2_T3_PNSL_ISQ_E10value_typeET4_jRbjT5_SW_jjP12ihipStream_tbEUlT_E2_NS1_11comp_targetILNS1_3genE3ELNS1_11target_archE908ELNS1_3gpuE7ELNS1_3repE0EEENS1_30default_config_static_selectorELNS0_4arch9wavefront6targetE1EEEvSK_
; %bb.0:
	.section	.rodata,"a",@progbits
	.p2align	6, 0x0
	.amdhsa_kernel _ZN7rocprim17ROCPRIM_400000_NS6detail17trampoline_kernelINS0_14default_configENS1_36segmented_radix_sort_config_selectorIflEEZNS1_25segmented_radix_sort_implIS3_Lb1EPKfPfPKlPlN2at6native12_GLOBAL__N_18offset_tEEE10hipError_tPvRmT1_PNSt15iterator_traitsISK_E10value_typeET2_T3_PNSL_ISQ_E10value_typeET4_jRbjT5_SW_jjP12ihipStream_tbEUlT_E2_NS1_11comp_targetILNS1_3genE3ELNS1_11target_archE908ELNS1_3gpuE7ELNS1_3repE0EEENS1_30default_config_static_selectorELNS0_4arch9wavefront6targetE1EEEvSK_
		.amdhsa_group_segment_fixed_size 0
		.amdhsa_private_segment_fixed_size 0
		.amdhsa_kernarg_size 80
		.amdhsa_user_sgpr_count 6
		.amdhsa_user_sgpr_private_segment_buffer 1
		.amdhsa_user_sgpr_dispatch_ptr 0
		.amdhsa_user_sgpr_queue_ptr 0
		.amdhsa_user_sgpr_kernarg_segment_ptr 1
		.amdhsa_user_sgpr_dispatch_id 0
		.amdhsa_user_sgpr_flat_scratch_init 0
		.amdhsa_user_sgpr_kernarg_preload_length 0
		.amdhsa_user_sgpr_kernarg_preload_offset 0
		.amdhsa_user_sgpr_private_segment_size 0
		.amdhsa_uses_dynamic_stack 0
		.amdhsa_system_sgpr_private_segment_wavefront_offset 0
		.amdhsa_system_sgpr_workgroup_id_x 1
		.amdhsa_system_sgpr_workgroup_id_y 0
		.amdhsa_system_sgpr_workgroup_id_z 0
		.amdhsa_system_sgpr_workgroup_info 0
		.amdhsa_system_vgpr_workitem_id 0
		.amdhsa_next_free_vgpr 1
		.amdhsa_next_free_sgpr 0
		.amdhsa_accum_offset 4
		.amdhsa_reserve_vcc 0
		.amdhsa_reserve_flat_scratch 0
		.amdhsa_float_round_mode_32 0
		.amdhsa_float_round_mode_16_64 0
		.amdhsa_float_denorm_mode_32 3
		.amdhsa_float_denorm_mode_16_64 3
		.amdhsa_dx10_clamp 1
		.amdhsa_ieee_mode 1
		.amdhsa_fp16_overflow 0
		.amdhsa_tg_split 0
		.amdhsa_exception_fp_ieee_invalid_op 0
		.amdhsa_exception_fp_denorm_src 0
		.amdhsa_exception_fp_ieee_div_zero 0
		.amdhsa_exception_fp_ieee_overflow 0
		.amdhsa_exception_fp_ieee_underflow 0
		.amdhsa_exception_fp_ieee_inexact 0
		.amdhsa_exception_int_div_zero 0
	.end_amdhsa_kernel
	.section	.text._ZN7rocprim17ROCPRIM_400000_NS6detail17trampoline_kernelINS0_14default_configENS1_36segmented_radix_sort_config_selectorIflEEZNS1_25segmented_radix_sort_implIS3_Lb1EPKfPfPKlPlN2at6native12_GLOBAL__N_18offset_tEEE10hipError_tPvRmT1_PNSt15iterator_traitsISK_E10value_typeET2_T3_PNSL_ISQ_E10value_typeET4_jRbjT5_SW_jjP12ihipStream_tbEUlT_E2_NS1_11comp_targetILNS1_3genE3ELNS1_11target_archE908ELNS1_3gpuE7ELNS1_3repE0EEENS1_30default_config_static_selectorELNS0_4arch9wavefront6targetE1EEEvSK_,"axG",@progbits,_ZN7rocprim17ROCPRIM_400000_NS6detail17trampoline_kernelINS0_14default_configENS1_36segmented_radix_sort_config_selectorIflEEZNS1_25segmented_radix_sort_implIS3_Lb1EPKfPfPKlPlN2at6native12_GLOBAL__N_18offset_tEEE10hipError_tPvRmT1_PNSt15iterator_traitsISK_E10value_typeET2_T3_PNSL_ISQ_E10value_typeET4_jRbjT5_SW_jjP12ihipStream_tbEUlT_E2_NS1_11comp_targetILNS1_3genE3ELNS1_11target_archE908ELNS1_3gpuE7ELNS1_3repE0EEENS1_30default_config_static_selectorELNS0_4arch9wavefront6targetE1EEEvSK_,comdat
.Lfunc_end1356:
	.size	_ZN7rocprim17ROCPRIM_400000_NS6detail17trampoline_kernelINS0_14default_configENS1_36segmented_radix_sort_config_selectorIflEEZNS1_25segmented_radix_sort_implIS3_Lb1EPKfPfPKlPlN2at6native12_GLOBAL__N_18offset_tEEE10hipError_tPvRmT1_PNSt15iterator_traitsISK_E10value_typeET2_T3_PNSL_ISQ_E10value_typeET4_jRbjT5_SW_jjP12ihipStream_tbEUlT_E2_NS1_11comp_targetILNS1_3genE3ELNS1_11target_archE908ELNS1_3gpuE7ELNS1_3repE0EEENS1_30default_config_static_selectorELNS0_4arch9wavefront6targetE1EEEvSK_, .Lfunc_end1356-_ZN7rocprim17ROCPRIM_400000_NS6detail17trampoline_kernelINS0_14default_configENS1_36segmented_radix_sort_config_selectorIflEEZNS1_25segmented_radix_sort_implIS3_Lb1EPKfPfPKlPlN2at6native12_GLOBAL__N_18offset_tEEE10hipError_tPvRmT1_PNSt15iterator_traitsISK_E10value_typeET2_T3_PNSL_ISQ_E10value_typeET4_jRbjT5_SW_jjP12ihipStream_tbEUlT_E2_NS1_11comp_targetILNS1_3genE3ELNS1_11target_archE908ELNS1_3gpuE7ELNS1_3repE0EEENS1_30default_config_static_selectorELNS0_4arch9wavefront6targetE1EEEvSK_
                                        ; -- End function
	.section	.AMDGPU.csdata,"",@progbits
; Kernel info:
; codeLenInByte = 0
; NumSgprs: 4
; NumVgprs: 0
; NumAgprs: 0
; TotalNumVgprs: 0
; ScratchSize: 0
; MemoryBound: 0
; FloatMode: 240
; IeeeMode: 1
; LDSByteSize: 0 bytes/workgroup (compile time only)
; SGPRBlocks: 0
; VGPRBlocks: 0
; NumSGPRsForWavesPerEU: 4
; NumVGPRsForWavesPerEU: 1
; AccumOffset: 4
; Occupancy: 8
; WaveLimiterHint : 0
; COMPUTE_PGM_RSRC2:SCRATCH_EN: 0
; COMPUTE_PGM_RSRC2:USER_SGPR: 6
; COMPUTE_PGM_RSRC2:TRAP_HANDLER: 0
; COMPUTE_PGM_RSRC2:TGID_X_EN: 1
; COMPUTE_PGM_RSRC2:TGID_Y_EN: 0
; COMPUTE_PGM_RSRC2:TGID_Z_EN: 0
; COMPUTE_PGM_RSRC2:TIDIG_COMP_CNT: 0
; COMPUTE_PGM_RSRC3_GFX90A:ACCUM_OFFSET: 0
; COMPUTE_PGM_RSRC3_GFX90A:TG_SPLIT: 0
	.section	.text._ZN7rocprim17ROCPRIM_400000_NS6detail17trampoline_kernelINS0_14default_configENS1_36segmented_radix_sort_config_selectorIflEEZNS1_25segmented_radix_sort_implIS3_Lb1EPKfPfPKlPlN2at6native12_GLOBAL__N_18offset_tEEE10hipError_tPvRmT1_PNSt15iterator_traitsISK_E10value_typeET2_T3_PNSL_ISQ_E10value_typeET4_jRbjT5_SW_jjP12ihipStream_tbEUlT_E2_NS1_11comp_targetILNS1_3genE2ELNS1_11target_archE906ELNS1_3gpuE6ELNS1_3repE0EEENS1_30default_config_static_selectorELNS0_4arch9wavefront6targetE1EEEvSK_,"axG",@progbits,_ZN7rocprim17ROCPRIM_400000_NS6detail17trampoline_kernelINS0_14default_configENS1_36segmented_radix_sort_config_selectorIflEEZNS1_25segmented_radix_sort_implIS3_Lb1EPKfPfPKlPlN2at6native12_GLOBAL__N_18offset_tEEE10hipError_tPvRmT1_PNSt15iterator_traitsISK_E10value_typeET2_T3_PNSL_ISQ_E10value_typeET4_jRbjT5_SW_jjP12ihipStream_tbEUlT_E2_NS1_11comp_targetILNS1_3genE2ELNS1_11target_archE906ELNS1_3gpuE6ELNS1_3repE0EEENS1_30default_config_static_selectorELNS0_4arch9wavefront6targetE1EEEvSK_,comdat
	.globl	_ZN7rocprim17ROCPRIM_400000_NS6detail17trampoline_kernelINS0_14default_configENS1_36segmented_radix_sort_config_selectorIflEEZNS1_25segmented_radix_sort_implIS3_Lb1EPKfPfPKlPlN2at6native12_GLOBAL__N_18offset_tEEE10hipError_tPvRmT1_PNSt15iterator_traitsISK_E10value_typeET2_T3_PNSL_ISQ_E10value_typeET4_jRbjT5_SW_jjP12ihipStream_tbEUlT_E2_NS1_11comp_targetILNS1_3genE2ELNS1_11target_archE906ELNS1_3gpuE6ELNS1_3repE0EEENS1_30default_config_static_selectorELNS0_4arch9wavefront6targetE1EEEvSK_ ; -- Begin function _ZN7rocprim17ROCPRIM_400000_NS6detail17trampoline_kernelINS0_14default_configENS1_36segmented_radix_sort_config_selectorIflEEZNS1_25segmented_radix_sort_implIS3_Lb1EPKfPfPKlPlN2at6native12_GLOBAL__N_18offset_tEEE10hipError_tPvRmT1_PNSt15iterator_traitsISK_E10value_typeET2_T3_PNSL_ISQ_E10value_typeET4_jRbjT5_SW_jjP12ihipStream_tbEUlT_E2_NS1_11comp_targetILNS1_3genE2ELNS1_11target_archE906ELNS1_3gpuE6ELNS1_3repE0EEENS1_30default_config_static_selectorELNS0_4arch9wavefront6targetE1EEEvSK_
	.p2align	8
	.type	_ZN7rocprim17ROCPRIM_400000_NS6detail17trampoline_kernelINS0_14default_configENS1_36segmented_radix_sort_config_selectorIflEEZNS1_25segmented_radix_sort_implIS3_Lb1EPKfPfPKlPlN2at6native12_GLOBAL__N_18offset_tEEE10hipError_tPvRmT1_PNSt15iterator_traitsISK_E10value_typeET2_T3_PNSL_ISQ_E10value_typeET4_jRbjT5_SW_jjP12ihipStream_tbEUlT_E2_NS1_11comp_targetILNS1_3genE2ELNS1_11target_archE906ELNS1_3gpuE6ELNS1_3repE0EEENS1_30default_config_static_selectorELNS0_4arch9wavefront6targetE1EEEvSK_,@function
_ZN7rocprim17ROCPRIM_400000_NS6detail17trampoline_kernelINS0_14default_configENS1_36segmented_radix_sort_config_selectorIflEEZNS1_25segmented_radix_sort_implIS3_Lb1EPKfPfPKlPlN2at6native12_GLOBAL__N_18offset_tEEE10hipError_tPvRmT1_PNSt15iterator_traitsISK_E10value_typeET2_T3_PNSL_ISQ_E10value_typeET4_jRbjT5_SW_jjP12ihipStream_tbEUlT_E2_NS1_11comp_targetILNS1_3genE2ELNS1_11target_archE906ELNS1_3gpuE6ELNS1_3repE0EEENS1_30default_config_static_selectorELNS0_4arch9wavefront6targetE1EEEvSK_: ; @_ZN7rocprim17ROCPRIM_400000_NS6detail17trampoline_kernelINS0_14default_configENS1_36segmented_radix_sort_config_selectorIflEEZNS1_25segmented_radix_sort_implIS3_Lb1EPKfPfPKlPlN2at6native12_GLOBAL__N_18offset_tEEE10hipError_tPvRmT1_PNSt15iterator_traitsISK_E10value_typeET2_T3_PNSL_ISQ_E10value_typeET4_jRbjT5_SW_jjP12ihipStream_tbEUlT_E2_NS1_11comp_targetILNS1_3genE2ELNS1_11target_archE906ELNS1_3gpuE6ELNS1_3repE0EEENS1_30default_config_static_selectorELNS0_4arch9wavefront6targetE1EEEvSK_
; %bb.0:
	.section	.rodata,"a",@progbits
	.p2align	6, 0x0
	.amdhsa_kernel _ZN7rocprim17ROCPRIM_400000_NS6detail17trampoline_kernelINS0_14default_configENS1_36segmented_radix_sort_config_selectorIflEEZNS1_25segmented_radix_sort_implIS3_Lb1EPKfPfPKlPlN2at6native12_GLOBAL__N_18offset_tEEE10hipError_tPvRmT1_PNSt15iterator_traitsISK_E10value_typeET2_T3_PNSL_ISQ_E10value_typeET4_jRbjT5_SW_jjP12ihipStream_tbEUlT_E2_NS1_11comp_targetILNS1_3genE2ELNS1_11target_archE906ELNS1_3gpuE6ELNS1_3repE0EEENS1_30default_config_static_selectorELNS0_4arch9wavefront6targetE1EEEvSK_
		.amdhsa_group_segment_fixed_size 0
		.amdhsa_private_segment_fixed_size 0
		.amdhsa_kernarg_size 80
		.amdhsa_user_sgpr_count 6
		.amdhsa_user_sgpr_private_segment_buffer 1
		.amdhsa_user_sgpr_dispatch_ptr 0
		.amdhsa_user_sgpr_queue_ptr 0
		.amdhsa_user_sgpr_kernarg_segment_ptr 1
		.amdhsa_user_sgpr_dispatch_id 0
		.amdhsa_user_sgpr_flat_scratch_init 0
		.amdhsa_user_sgpr_kernarg_preload_length 0
		.amdhsa_user_sgpr_kernarg_preload_offset 0
		.amdhsa_user_sgpr_private_segment_size 0
		.amdhsa_uses_dynamic_stack 0
		.amdhsa_system_sgpr_private_segment_wavefront_offset 0
		.amdhsa_system_sgpr_workgroup_id_x 1
		.amdhsa_system_sgpr_workgroup_id_y 0
		.amdhsa_system_sgpr_workgroup_id_z 0
		.amdhsa_system_sgpr_workgroup_info 0
		.amdhsa_system_vgpr_workitem_id 0
		.amdhsa_next_free_vgpr 1
		.amdhsa_next_free_sgpr 0
		.amdhsa_accum_offset 4
		.amdhsa_reserve_vcc 0
		.amdhsa_reserve_flat_scratch 0
		.amdhsa_float_round_mode_32 0
		.amdhsa_float_round_mode_16_64 0
		.amdhsa_float_denorm_mode_32 3
		.amdhsa_float_denorm_mode_16_64 3
		.amdhsa_dx10_clamp 1
		.amdhsa_ieee_mode 1
		.amdhsa_fp16_overflow 0
		.amdhsa_tg_split 0
		.amdhsa_exception_fp_ieee_invalid_op 0
		.amdhsa_exception_fp_denorm_src 0
		.amdhsa_exception_fp_ieee_div_zero 0
		.amdhsa_exception_fp_ieee_overflow 0
		.amdhsa_exception_fp_ieee_underflow 0
		.amdhsa_exception_fp_ieee_inexact 0
		.amdhsa_exception_int_div_zero 0
	.end_amdhsa_kernel
	.section	.text._ZN7rocprim17ROCPRIM_400000_NS6detail17trampoline_kernelINS0_14default_configENS1_36segmented_radix_sort_config_selectorIflEEZNS1_25segmented_radix_sort_implIS3_Lb1EPKfPfPKlPlN2at6native12_GLOBAL__N_18offset_tEEE10hipError_tPvRmT1_PNSt15iterator_traitsISK_E10value_typeET2_T3_PNSL_ISQ_E10value_typeET4_jRbjT5_SW_jjP12ihipStream_tbEUlT_E2_NS1_11comp_targetILNS1_3genE2ELNS1_11target_archE906ELNS1_3gpuE6ELNS1_3repE0EEENS1_30default_config_static_selectorELNS0_4arch9wavefront6targetE1EEEvSK_,"axG",@progbits,_ZN7rocprim17ROCPRIM_400000_NS6detail17trampoline_kernelINS0_14default_configENS1_36segmented_radix_sort_config_selectorIflEEZNS1_25segmented_radix_sort_implIS3_Lb1EPKfPfPKlPlN2at6native12_GLOBAL__N_18offset_tEEE10hipError_tPvRmT1_PNSt15iterator_traitsISK_E10value_typeET2_T3_PNSL_ISQ_E10value_typeET4_jRbjT5_SW_jjP12ihipStream_tbEUlT_E2_NS1_11comp_targetILNS1_3genE2ELNS1_11target_archE906ELNS1_3gpuE6ELNS1_3repE0EEENS1_30default_config_static_selectorELNS0_4arch9wavefront6targetE1EEEvSK_,comdat
.Lfunc_end1357:
	.size	_ZN7rocprim17ROCPRIM_400000_NS6detail17trampoline_kernelINS0_14default_configENS1_36segmented_radix_sort_config_selectorIflEEZNS1_25segmented_radix_sort_implIS3_Lb1EPKfPfPKlPlN2at6native12_GLOBAL__N_18offset_tEEE10hipError_tPvRmT1_PNSt15iterator_traitsISK_E10value_typeET2_T3_PNSL_ISQ_E10value_typeET4_jRbjT5_SW_jjP12ihipStream_tbEUlT_E2_NS1_11comp_targetILNS1_3genE2ELNS1_11target_archE906ELNS1_3gpuE6ELNS1_3repE0EEENS1_30default_config_static_selectorELNS0_4arch9wavefront6targetE1EEEvSK_, .Lfunc_end1357-_ZN7rocprim17ROCPRIM_400000_NS6detail17trampoline_kernelINS0_14default_configENS1_36segmented_radix_sort_config_selectorIflEEZNS1_25segmented_radix_sort_implIS3_Lb1EPKfPfPKlPlN2at6native12_GLOBAL__N_18offset_tEEE10hipError_tPvRmT1_PNSt15iterator_traitsISK_E10value_typeET2_T3_PNSL_ISQ_E10value_typeET4_jRbjT5_SW_jjP12ihipStream_tbEUlT_E2_NS1_11comp_targetILNS1_3genE2ELNS1_11target_archE906ELNS1_3gpuE6ELNS1_3repE0EEENS1_30default_config_static_selectorELNS0_4arch9wavefront6targetE1EEEvSK_
                                        ; -- End function
	.section	.AMDGPU.csdata,"",@progbits
; Kernel info:
; codeLenInByte = 0
; NumSgprs: 4
; NumVgprs: 0
; NumAgprs: 0
; TotalNumVgprs: 0
; ScratchSize: 0
; MemoryBound: 0
; FloatMode: 240
; IeeeMode: 1
; LDSByteSize: 0 bytes/workgroup (compile time only)
; SGPRBlocks: 0
; VGPRBlocks: 0
; NumSGPRsForWavesPerEU: 4
; NumVGPRsForWavesPerEU: 1
; AccumOffset: 4
; Occupancy: 8
; WaveLimiterHint : 0
; COMPUTE_PGM_RSRC2:SCRATCH_EN: 0
; COMPUTE_PGM_RSRC2:USER_SGPR: 6
; COMPUTE_PGM_RSRC2:TRAP_HANDLER: 0
; COMPUTE_PGM_RSRC2:TGID_X_EN: 1
; COMPUTE_PGM_RSRC2:TGID_Y_EN: 0
; COMPUTE_PGM_RSRC2:TGID_Z_EN: 0
; COMPUTE_PGM_RSRC2:TIDIG_COMP_CNT: 0
; COMPUTE_PGM_RSRC3_GFX90A:ACCUM_OFFSET: 0
; COMPUTE_PGM_RSRC3_GFX90A:TG_SPLIT: 0
	.section	.text._ZN7rocprim17ROCPRIM_400000_NS6detail17trampoline_kernelINS0_14default_configENS1_36segmented_radix_sort_config_selectorIflEEZNS1_25segmented_radix_sort_implIS3_Lb1EPKfPfPKlPlN2at6native12_GLOBAL__N_18offset_tEEE10hipError_tPvRmT1_PNSt15iterator_traitsISK_E10value_typeET2_T3_PNSL_ISQ_E10value_typeET4_jRbjT5_SW_jjP12ihipStream_tbEUlT_E2_NS1_11comp_targetILNS1_3genE10ELNS1_11target_archE1201ELNS1_3gpuE5ELNS1_3repE0EEENS1_30default_config_static_selectorELNS0_4arch9wavefront6targetE1EEEvSK_,"axG",@progbits,_ZN7rocprim17ROCPRIM_400000_NS6detail17trampoline_kernelINS0_14default_configENS1_36segmented_radix_sort_config_selectorIflEEZNS1_25segmented_radix_sort_implIS3_Lb1EPKfPfPKlPlN2at6native12_GLOBAL__N_18offset_tEEE10hipError_tPvRmT1_PNSt15iterator_traitsISK_E10value_typeET2_T3_PNSL_ISQ_E10value_typeET4_jRbjT5_SW_jjP12ihipStream_tbEUlT_E2_NS1_11comp_targetILNS1_3genE10ELNS1_11target_archE1201ELNS1_3gpuE5ELNS1_3repE0EEENS1_30default_config_static_selectorELNS0_4arch9wavefront6targetE1EEEvSK_,comdat
	.globl	_ZN7rocprim17ROCPRIM_400000_NS6detail17trampoline_kernelINS0_14default_configENS1_36segmented_radix_sort_config_selectorIflEEZNS1_25segmented_radix_sort_implIS3_Lb1EPKfPfPKlPlN2at6native12_GLOBAL__N_18offset_tEEE10hipError_tPvRmT1_PNSt15iterator_traitsISK_E10value_typeET2_T3_PNSL_ISQ_E10value_typeET4_jRbjT5_SW_jjP12ihipStream_tbEUlT_E2_NS1_11comp_targetILNS1_3genE10ELNS1_11target_archE1201ELNS1_3gpuE5ELNS1_3repE0EEENS1_30default_config_static_selectorELNS0_4arch9wavefront6targetE1EEEvSK_ ; -- Begin function _ZN7rocprim17ROCPRIM_400000_NS6detail17trampoline_kernelINS0_14default_configENS1_36segmented_radix_sort_config_selectorIflEEZNS1_25segmented_radix_sort_implIS3_Lb1EPKfPfPKlPlN2at6native12_GLOBAL__N_18offset_tEEE10hipError_tPvRmT1_PNSt15iterator_traitsISK_E10value_typeET2_T3_PNSL_ISQ_E10value_typeET4_jRbjT5_SW_jjP12ihipStream_tbEUlT_E2_NS1_11comp_targetILNS1_3genE10ELNS1_11target_archE1201ELNS1_3gpuE5ELNS1_3repE0EEENS1_30default_config_static_selectorELNS0_4arch9wavefront6targetE1EEEvSK_
	.p2align	8
	.type	_ZN7rocprim17ROCPRIM_400000_NS6detail17trampoline_kernelINS0_14default_configENS1_36segmented_radix_sort_config_selectorIflEEZNS1_25segmented_radix_sort_implIS3_Lb1EPKfPfPKlPlN2at6native12_GLOBAL__N_18offset_tEEE10hipError_tPvRmT1_PNSt15iterator_traitsISK_E10value_typeET2_T3_PNSL_ISQ_E10value_typeET4_jRbjT5_SW_jjP12ihipStream_tbEUlT_E2_NS1_11comp_targetILNS1_3genE10ELNS1_11target_archE1201ELNS1_3gpuE5ELNS1_3repE0EEENS1_30default_config_static_selectorELNS0_4arch9wavefront6targetE1EEEvSK_,@function
_ZN7rocprim17ROCPRIM_400000_NS6detail17trampoline_kernelINS0_14default_configENS1_36segmented_radix_sort_config_selectorIflEEZNS1_25segmented_radix_sort_implIS3_Lb1EPKfPfPKlPlN2at6native12_GLOBAL__N_18offset_tEEE10hipError_tPvRmT1_PNSt15iterator_traitsISK_E10value_typeET2_T3_PNSL_ISQ_E10value_typeET4_jRbjT5_SW_jjP12ihipStream_tbEUlT_E2_NS1_11comp_targetILNS1_3genE10ELNS1_11target_archE1201ELNS1_3gpuE5ELNS1_3repE0EEENS1_30default_config_static_selectorELNS0_4arch9wavefront6targetE1EEEvSK_: ; @_ZN7rocprim17ROCPRIM_400000_NS6detail17trampoline_kernelINS0_14default_configENS1_36segmented_radix_sort_config_selectorIflEEZNS1_25segmented_radix_sort_implIS3_Lb1EPKfPfPKlPlN2at6native12_GLOBAL__N_18offset_tEEE10hipError_tPvRmT1_PNSt15iterator_traitsISK_E10value_typeET2_T3_PNSL_ISQ_E10value_typeET4_jRbjT5_SW_jjP12ihipStream_tbEUlT_E2_NS1_11comp_targetILNS1_3genE10ELNS1_11target_archE1201ELNS1_3gpuE5ELNS1_3repE0EEENS1_30default_config_static_selectorELNS0_4arch9wavefront6targetE1EEEvSK_
; %bb.0:
	.section	.rodata,"a",@progbits
	.p2align	6, 0x0
	.amdhsa_kernel _ZN7rocprim17ROCPRIM_400000_NS6detail17trampoline_kernelINS0_14default_configENS1_36segmented_radix_sort_config_selectorIflEEZNS1_25segmented_radix_sort_implIS3_Lb1EPKfPfPKlPlN2at6native12_GLOBAL__N_18offset_tEEE10hipError_tPvRmT1_PNSt15iterator_traitsISK_E10value_typeET2_T3_PNSL_ISQ_E10value_typeET4_jRbjT5_SW_jjP12ihipStream_tbEUlT_E2_NS1_11comp_targetILNS1_3genE10ELNS1_11target_archE1201ELNS1_3gpuE5ELNS1_3repE0EEENS1_30default_config_static_selectorELNS0_4arch9wavefront6targetE1EEEvSK_
		.amdhsa_group_segment_fixed_size 0
		.amdhsa_private_segment_fixed_size 0
		.amdhsa_kernarg_size 80
		.amdhsa_user_sgpr_count 6
		.amdhsa_user_sgpr_private_segment_buffer 1
		.amdhsa_user_sgpr_dispatch_ptr 0
		.amdhsa_user_sgpr_queue_ptr 0
		.amdhsa_user_sgpr_kernarg_segment_ptr 1
		.amdhsa_user_sgpr_dispatch_id 0
		.amdhsa_user_sgpr_flat_scratch_init 0
		.amdhsa_user_sgpr_kernarg_preload_length 0
		.amdhsa_user_sgpr_kernarg_preload_offset 0
		.amdhsa_user_sgpr_private_segment_size 0
		.amdhsa_uses_dynamic_stack 0
		.amdhsa_system_sgpr_private_segment_wavefront_offset 0
		.amdhsa_system_sgpr_workgroup_id_x 1
		.amdhsa_system_sgpr_workgroup_id_y 0
		.amdhsa_system_sgpr_workgroup_id_z 0
		.amdhsa_system_sgpr_workgroup_info 0
		.amdhsa_system_vgpr_workitem_id 0
		.amdhsa_next_free_vgpr 1
		.amdhsa_next_free_sgpr 0
		.amdhsa_accum_offset 4
		.amdhsa_reserve_vcc 0
		.amdhsa_reserve_flat_scratch 0
		.amdhsa_float_round_mode_32 0
		.amdhsa_float_round_mode_16_64 0
		.amdhsa_float_denorm_mode_32 3
		.amdhsa_float_denorm_mode_16_64 3
		.amdhsa_dx10_clamp 1
		.amdhsa_ieee_mode 1
		.amdhsa_fp16_overflow 0
		.amdhsa_tg_split 0
		.amdhsa_exception_fp_ieee_invalid_op 0
		.amdhsa_exception_fp_denorm_src 0
		.amdhsa_exception_fp_ieee_div_zero 0
		.amdhsa_exception_fp_ieee_overflow 0
		.amdhsa_exception_fp_ieee_underflow 0
		.amdhsa_exception_fp_ieee_inexact 0
		.amdhsa_exception_int_div_zero 0
	.end_amdhsa_kernel
	.section	.text._ZN7rocprim17ROCPRIM_400000_NS6detail17trampoline_kernelINS0_14default_configENS1_36segmented_radix_sort_config_selectorIflEEZNS1_25segmented_radix_sort_implIS3_Lb1EPKfPfPKlPlN2at6native12_GLOBAL__N_18offset_tEEE10hipError_tPvRmT1_PNSt15iterator_traitsISK_E10value_typeET2_T3_PNSL_ISQ_E10value_typeET4_jRbjT5_SW_jjP12ihipStream_tbEUlT_E2_NS1_11comp_targetILNS1_3genE10ELNS1_11target_archE1201ELNS1_3gpuE5ELNS1_3repE0EEENS1_30default_config_static_selectorELNS0_4arch9wavefront6targetE1EEEvSK_,"axG",@progbits,_ZN7rocprim17ROCPRIM_400000_NS6detail17trampoline_kernelINS0_14default_configENS1_36segmented_radix_sort_config_selectorIflEEZNS1_25segmented_radix_sort_implIS3_Lb1EPKfPfPKlPlN2at6native12_GLOBAL__N_18offset_tEEE10hipError_tPvRmT1_PNSt15iterator_traitsISK_E10value_typeET2_T3_PNSL_ISQ_E10value_typeET4_jRbjT5_SW_jjP12ihipStream_tbEUlT_E2_NS1_11comp_targetILNS1_3genE10ELNS1_11target_archE1201ELNS1_3gpuE5ELNS1_3repE0EEENS1_30default_config_static_selectorELNS0_4arch9wavefront6targetE1EEEvSK_,comdat
.Lfunc_end1358:
	.size	_ZN7rocprim17ROCPRIM_400000_NS6detail17trampoline_kernelINS0_14default_configENS1_36segmented_radix_sort_config_selectorIflEEZNS1_25segmented_radix_sort_implIS3_Lb1EPKfPfPKlPlN2at6native12_GLOBAL__N_18offset_tEEE10hipError_tPvRmT1_PNSt15iterator_traitsISK_E10value_typeET2_T3_PNSL_ISQ_E10value_typeET4_jRbjT5_SW_jjP12ihipStream_tbEUlT_E2_NS1_11comp_targetILNS1_3genE10ELNS1_11target_archE1201ELNS1_3gpuE5ELNS1_3repE0EEENS1_30default_config_static_selectorELNS0_4arch9wavefront6targetE1EEEvSK_, .Lfunc_end1358-_ZN7rocprim17ROCPRIM_400000_NS6detail17trampoline_kernelINS0_14default_configENS1_36segmented_radix_sort_config_selectorIflEEZNS1_25segmented_radix_sort_implIS3_Lb1EPKfPfPKlPlN2at6native12_GLOBAL__N_18offset_tEEE10hipError_tPvRmT1_PNSt15iterator_traitsISK_E10value_typeET2_T3_PNSL_ISQ_E10value_typeET4_jRbjT5_SW_jjP12ihipStream_tbEUlT_E2_NS1_11comp_targetILNS1_3genE10ELNS1_11target_archE1201ELNS1_3gpuE5ELNS1_3repE0EEENS1_30default_config_static_selectorELNS0_4arch9wavefront6targetE1EEEvSK_
                                        ; -- End function
	.section	.AMDGPU.csdata,"",@progbits
; Kernel info:
; codeLenInByte = 0
; NumSgprs: 4
; NumVgprs: 0
; NumAgprs: 0
; TotalNumVgprs: 0
; ScratchSize: 0
; MemoryBound: 0
; FloatMode: 240
; IeeeMode: 1
; LDSByteSize: 0 bytes/workgroup (compile time only)
; SGPRBlocks: 0
; VGPRBlocks: 0
; NumSGPRsForWavesPerEU: 4
; NumVGPRsForWavesPerEU: 1
; AccumOffset: 4
; Occupancy: 8
; WaveLimiterHint : 0
; COMPUTE_PGM_RSRC2:SCRATCH_EN: 0
; COMPUTE_PGM_RSRC2:USER_SGPR: 6
; COMPUTE_PGM_RSRC2:TRAP_HANDLER: 0
; COMPUTE_PGM_RSRC2:TGID_X_EN: 1
; COMPUTE_PGM_RSRC2:TGID_Y_EN: 0
; COMPUTE_PGM_RSRC2:TGID_Z_EN: 0
; COMPUTE_PGM_RSRC2:TIDIG_COMP_CNT: 0
; COMPUTE_PGM_RSRC3_GFX90A:ACCUM_OFFSET: 0
; COMPUTE_PGM_RSRC3_GFX90A:TG_SPLIT: 0
	.section	.text._ZN7rocprim17ROCPRIM_400000_NS6detail17trampoline_kernelINS0_14default_configENS1_36segmented_radix_sort_config_selectorIflEEZNS1_25segmented_radix_sort_implIS3_Lb1EPKfPfPKlPlN2at6native12_GLOBAL__N_18offset_tEEE10hipError_tPvRmT1_PNSt15iterator_traitsISK_E10value_typeET2_T3_PNSL_ISQ_E10value_typeET4_jRbjT5_SW_jjP12ihipStream_tbEUlT_E2_NS1_11comp_targetILNS1_3genE10ELNS1_11target_archE1200ELNS1_3gpuE4ELNS1_3repE0EEENS1_30default_config_static_selectorELNS0_4arch9wavefront6targetE1EEEvSK_,"axG",@progbits,_ZN7rocprim17ROCPRIM_400000_NS6detail17trampoline_kernelINS0_14default_configENS1_36segmented_radix_sort_config_selectorIflEEZNS1_25segmented_radix_sort_implIS3_Lb1EPKfPfPKlPlN2at6native12_GLOBAL__N_18offset_tEEE10hipError_tPvRmT1_PNSt15iterator_traitsISK_E10value_typeET2_T3_PNSL_ISQ_E10value_typeET4_jRbjT5_SW_jjP12ihipStream_tbEUlT_E2_NS1_11comp_targetILNS1_3genE10ELNS1_11target_archE1200ELNS1_3gpuE4ELNS1_3repE0EEENS1_30default_config_static_selectorELNS0_4arch9wavefront6targetE1EEEvSK_,comdat
	.globl	_ZN7rocprim17ROCPRIM_400000_NS6detail17trampoline_kernelINS0_14default_configENS1_36segmented_radix_sort_config_selectorIflEEZNS1_25segmented_radix_sort_implIS3_Lb1EPKfPfPKlPlN2at6native12_GLOBAL__N_18offset_tEEE10hipError_tPvRmT1_PNSt15iterator_traitsISK_E10value_typeET2_T3_PNSL_ISQ_E10value_typeET4_jRbjT5_SW_jjP12ihipStream_tbEUlT_E2_NS1_11comp_targetILNS1_3genE10ELNS1_11target_archE1200ELNS1_3gpuE4ELNS1_3repE0EEENS1_30default_config_static_selectorELNS0_4arch9wavefront6targetE1EEEvSK_ ; -- Begin function _ZN7rocprim17ROCPRIM_400000_NS6detail17trampoline_kernelINS0_14default_configENS1_36segmented_radix_sort_config_selectorIflEEZNS1_25segmented_radix_sort_implIS3_Lb1EPKfPfPKlPlN2at6native12_GLOBAL__N_18offset_tEEE10hipError_tPvRmT1_PNSt15iterator_traitsISK_E10value_typeET2_T3_PNSL_ISQ_E10value_typeET4_jRbjT5_SW_jjP12ihipStream_tbEUlT_E2_NS1_11comp_targetILNS1_3genE10ELNS1_11target_archE1200ELNS1_3gpuE4ELNS1_3repE0EEENS1_30default_config_static_selectorELNS0_4arch9wavefront6targetE1EEEvSK_
	.p2align	8
	.type	_ZN7rocprim17ROCPRIM_400000_NS6detail17trampoline_kernelINS0_14default_configENS1_36segmented_radix_sort_config_selectorIflEEZNS1_25segmented_radix_sort_implIS3_Lb1EPKfPfPKlPlN2at6native12_GLOBAL__N_18offset_tEEE10hipError_tPvRmT1_PNSt15iterator_traitsISK_E10value_typeET2_T3_PNSL_ISQ_E10value_typeET4_jRbjT5_SW_jjP12ihipStream_tbEUlT_E2_NS1_11comp_targetILNS1_3genE10ELNS1_11target_archE1200ELNS1_3gpuE4ELNS1_3repE0EEENS1_30default_config_static_selectorELNS0_4arch9wavefront6targetE1EEEvSK_,@function
_ZN7rocprim17ROCPRIM_400000_NS6detail17trampoline_kernelINS0_14default_configENS1_36segmented_radix_sort_config_selectorIflEEZNS1_25segmented_radix_sort_implIS3_Lb1EPKfPfPKlPlN2at6native12_GLOBAL__N_18offset_tEEE10hipError_tPvRmT1_PNSt15iterator_traitsISK_E10value_typeET2_T3_PNSL_ISQ_E10value_typeET4_jRbjT5_SW_jjP12ihipStream_tbEUlT_E2_NS1_11comp_targetILNS1_3genE10ELNS1_11target_archE1200ELNS1_3gpuE4ELNS1_3repE0EEENS1_30default_config_static_selectorELNS0_4arch9wavefront6targetE1EEEvSK_: ; @_ZN7rocprim17ROCPRIM_400000_NS6detail17trampoline_kernelINS0_14default_configENS1_36segmented_radix_sort_config_selectorIflEEZNS1_25segmented_radix_sort_implIS3_Lb1EPKfPfPKlPlN2at6native12_GLOBAL__N_18offset_tEEE10hipError_tPvRmT1_PNSt15iterator_traitsISK_E10value_typeET2_T3_PNSL_ISQ_E10value_typeET4_jRbjT5_SW_jjP12ihipStream_tbEUlT_E2_NS1_11comp_targetILNS1_3genE10ELNS1_11target_archE1200ELNS1_3gpuE4ELNS1_3repE0EEENS1_30default_config_static_selectorELNS0_4arch9wavefront6targetE1EEEvSK_
; %bb.0:
	.section	.rodata,"a",@progbits
	.p2align	6, 0x0
	.amdhsa_kernel _ZN7rocprim17ROCPRIM_400000_NS6detail17trampoline_kernelINS0_14default_configENS1_36segmented_radix_sort_config_selectorIflEEZNS1_25segmented_radix_sort_implIS3_Lb1EPKfPfPKlPlN2at6native12_GLOBAL__N_18offset_tEEE10hipError_tPvRmT1_PNSt15iterator_traitsISK_E10value_typeET2_T3_PNSL_ISQ_E10value_typeET4_jRbjT5_SW_jjP12ihipStream_tbEUlT_E2_NS1_11comp_targetILNS1_3genE10ELNS1_11target_archE1200ELNS1_3gpuE4ELNS1_3repE0EEENS1_30default_config_static_selectorELNS0_4arch9wavefront6targetE1EEEvSK_
		.amdhsa_group_segment_fixed_size 0
		.amdhsa_private_segment_fixed_size 0
		.amdhsa_kernarg_size 80
		.amdhsa_user_sgpr_count 6
		.amdhsa_user_sgpr_private_segment_buffer 1
		.amdhsa_user_sgpr_dispatch_ptr 0
		.amdhsa_user_sgpr_queue_ptr 0
		.amdhsa_user_sgpr_kernarg_segment_ptr 1
		.amdhsa_user_sgpr_dispatch_id 0
		.amdhsa_user_sgpr_flat_scratch_init 0
		.amdhsa_user_sgpr_kernarg_preload_length 0
		.amdhsa_user_sgpr_kernarg_preload_offset 0
		.amdhsa_user_sgpr_private_segment_size 0
		.amdhsa_uses_dynamic_stack 0
		.amdhsa_system_sgpr_private_segment_wavefront_offset 0
		.amdhsa_system_sgpr_workgroup_id_x 1
		.amdhsa_system_sgpr_workgroup_id_y 0
		.amdhsa_system_sgpr_workgroup_id_z 0
		.amdhsa_system_sgpr_workgroup_info 0
		.amdhsa_system_vgpr_workitem_id 0
		.amdhsa_next_free_vgpr 1
		.amdhsa_next_free_sgpr 0
		.amdhsa_accum_offset 4
		.amdhsa_reserve_vcc 0
		.amdhsa_reserve_flat_scratch 0
		.amdhsa_float_round_mode_32 0
		.amdhsa_float_round_mode_16_64 0
		.amdhsa_float_denorm_mode_32 3
		.amdhsa_float_denorm_mode_16_64 3
		.amdhsa_dx10_clamp 1
		.amdhsa_ieee_mode 1
		.amdhsa_fp16_overflow 0
		.amdhsa_tg_split 0
		.amdhsa_exception_fp_ieee_invalid_op 0
		.amdhsa_exception_fp_denorm_src 0
		.amdhsa_exception_fp_ieee_div_zero 0
		.amdhsa_exception_fp_ieee_overflow 0
		.amdhsa_exception_fp_ieee_underflow 0
		.amdhsa_exception_fp_ieee_inexact 0
		.amdhsa_exception_int_div_zero 0
	.end_amdhsa_kernel
	.section	.text._ZN7rocprim17ROCPRIM_400000_NS6detail17trampoline_kernelINS0_14default_configENS1_36segmented_radix_sort_config_selectorIflEEZNS1_25segmented_radix_sort_implIS3_Lb1EPKfPfPKlPlN2at6native12_GLOBAL__N_18offset_tEEE10hipError_tPvRmT1_PNSt15iterator_traitsISK_E10value_typeET2_T3_PNSL_ISQ_E10value_typeET4_jRbjT5_SW_jjP12ihipStream_tbEUlT_E2_NS1_11comp_targetILNS1_3genE10ELNS1_11target_archE1200ELNS1_3gpuE4ELNS1_3repE0EEENS1_30default_config_static_selectorELNS0_4arch9wavefront6targetE1EEEvSK_,"axG",@progbits,_ZN7rocprim17ROCPRIM_400000_NS6detail17trampoline_kernelINS0_14default_configENS1_36segmented_radix_sort_config_selectorIflEEZNS1_25segmented_radix_sort_implIS3_Lb1EPKfPfPKlPlN2at6native12_GLOBAL__N_18offset_tEEE10hipError_tPvRmT1_PNSt15iterator_traitsISK_E10value_typeET2_T3_PNSL_ISQ_E10value_typeET4_jRbjT5_SW_jjP12ihipStream_tbEUlT_E2_NS1_11comp_targetILNS1_3genE10ELNS1_11target_archE1200ELNS1_3gpuE4ELNS1_3repE0EEENS1_30default_config_static_selectorELNS0_4arch9wavefront6targetE1EEEvSK_,comdat
.Lfunc_end1359:
	.size	_ZN7rocprim17ROCPRIM_400000_NS6detail17trampoline_kernelINS0_14default_configENS1_36segmented_radix_sort_config_selectorIflEEZNS1_25segmented_radix_sort_implIS3_Lb1EPKfPfPKlPlN2at6native12_GLOBAL__N_18offset_tEEE10hipError_tPvRmT1_PNSt15iterator_traitsISK_E10value_typeET2_T3_PNSL_ISQ_E10value_typeET4_jRbjT5_SW_jjP12ihipStream_tbEUlT_E2_NS1_11comp_targetILNS1_3genE10ELNS1_11target_archE1200ELNS1_3gpuE4ELNS1_3repE0EEENS1_30default_config_static_selectorELNS0_4arch9wavefront6targetE1EEEvSK_, .Lfunc_end1359-_ZN7rocprim17ROCPRIM_400000_NS6detail17trampoline_kernelINS0_14default_configENS1_36segmented_radix_sort_config_selectorIflEEZNS1_25segmented_radix_sort_implIS3_Lb1EPKfPfPKlPlN2at6native12_GLOBAL__N_18offset_tEEE10hipError_tPvRmT1_PNSt15iterator_traitsISK_E10value_typeET2_T3_PNSL_ISQ_E10value_typeET4_jRbjT5_SW_jjP12ihipStream_tbEUlT_E2_NS1_11comp_targetILNS1_3genE10ELNS1_11target_archE1200ELNS1_3gpuE4ELNS1_3repE0EEENS1_30default_config_static_selectorELNS0_4arch9wavefront6targetE1EEEvSK_
                                        ; -- End function
	.section	.AMDGPU.csdata,"",@progbits
; Kernel info:
; codeLenInByte = 0
; NumSgprs: 4
; NumVgprs: 0
; NumAgprs: 0
; TotalNumVgprs: 0
; ScratchSize: 0
; MemoryBound: 0
; FloatMode: 240
; IeeeMode: 1
; LDSByteSize: 0 bytes/workgroup (compile time only)
; SGPRBlocks: 0
; VGPRBlocks: 0
; NumSGPRsForWavesPerEU: 4
; NumVGPRsForWavesPerEU: 1
; AccumOffset: 4
; Occupancy: 8
; WaveLimiterHint : 0
; COMPUTE_PGM_RSRC2:SCRATCH_EN: 0
; COMPUTE_PGM_RSRC2:USER_SGPR: 6
; COMPUTE_PGM_RSRC2:TRAP_HANDLER: 0
; COMPUTE_PGM_RSRC2:TGID_X_EN: 1
; COMPUTE_PGM_RSRC2:TGID_Y_EN: 0
; COMPUTE_PGM_RSRC2:TGID_Z_EN: 0
; COMPUTE_PGM_RSRC2:TIDIG_COMP_CNT: 0
; COMPUTE_PGM_RSRC3_GFX90A:ACCUM_OFFSET: 0
; COMPUTE_PGM_RSRC3_GFX90A:TG_SPLIT: 0
	.section	.text._ZN7rocprim17ROCPRIM_400000_NS6detail17trampoline_kernelINS0_14default_configENS1_36segmented_radix_sort_config_selectorIflEEZNS1_25segmented_radix_sort_implIS3_Lb1EPKfPfPKlPlN2at6native12_GLOBAL__N_18offset_tEEE10hipError_tPvRmT1_PNSt15iterator_traitsISK_E10value_typeET2_T3_PNSL_ISQ_E10value_typeET4_jRbjT5_SW_jjP12ihipStream_tbEUlT_E2_NS1_11comp_targetILNS1_3genE9ELNS1_11target_archE1100ELNS1_3gpuE3ELNS1_3repE0EEENS1_30default_config_static_selectorELNS0_4arch9wavefront6targetE1EEEvSK_,"axG",@progbits,_ZN7rocprim17ROCPRIM_400000_NS6detail17trampoline_kernelINS0_14default_configENS1_36segmented_radix_sort_config_selectorIflEEZNS1_25segmented_radix_sort_implIS3_Lb1EPKfPfPKlPlN2at6native12_GLOBAL__N_18offset_tEEE10hipError_tPvRmT1_PNSt15iterator_traitsISK_E10value_typeET2_T3_PNSL_ISQ_E10value_typeET4_jRbjT5_SW_jjP12ihipStream_tbEUlT_E2_NS1_11comp_targetILNS1_3genE9ELNS1_11target_archE1100ELNS1_3gpuE3ELNS1_3repE0EEENS1_30default_config_static_selectorELNS0_4arch9wavefront6targetE1EEEvSK_,comdat
	.globl	_ZN7rocprim17ROCPRIM_400000_NS6detail17trampoline_kernelINS0_14default_configENS1_36segmented_radix_sort_config_selectorIflEEZNS1_25segmented_radix_sort_implIS3_Lb1EPKfPfPKlPlN2at6native12_GLOBAL__N_18offset_tEEE10hipError_tPvRmT1_PNSt15iterator_traitsISK_E10value_typeET2_T3_PNSL_ISQ_E10value_typeET4_jRbjT5_SW_jjP12ihipStream_tbEUlT_E2_NS1_11comp_targetILNS1_3genE9ELNS1_11target_archE1100ELNS1_3gpuE3ELNS1_3repE0EEENS1_30default_config_static_selectorELNS0_4arch9wavefront6targetE1EEEvSK_ ; -- Begin function _ZN7rocprim17ROCPRIM_400000_NS6detail17trampoline_kernelINS0_14default_configENS1_36segmented_radix_sort_config_selectorIflEEZNS1_25segmented_radix_sort_implIS3_Lb1EPKfPfPKlPlN2at6native12_GLOBAL__N_18offset_tEEE10hipError_tPvRmT1_PNSt15iterator_traitsISK_E10value_typeET2_T3_PNSL_ISQ_E10value_typeET4_jRbjT5_SW_jjP12ihipStream_tbEUlT_E2_NS1_11comp_targetILNS1_3genE9ELNS1_11target_archE1100ELNS1_3gpuE3ELNS1_3repE0EEENS1_30default_config_static_selectorELNS0_4arch9wavefront6targetE1EEEvSK_
	.p2align	8
	.type	_ZN7rocprim17ROCPRIM_400000_NS6detail17trampoline_kernelINS0_14default_configENS1_36segmented_radix_sort_config_selectorIflEEZNS1_25segmented_radix_sort_implIS3_Lb1EPKfPfPKlPlN2at6native12_GLOBAL__N_18offset_tEEE10hipError_tPvRmT1_PNSt15iterator_traitsISK_E10value_typeET2_T3_PNSL_ISQ_E10value_typeET4_jRbjT5_SW_jjP12ihipStream_tbEUlT_E2_NS1_11comp_targetILNS1_3genE9ELNS1_11target_archE1100ELNS1_3gpuE3ELNS1_3repE0EEENS1_30default_config_static_selectorELNS0_4arch9wavefront6targetE1EEEvSK_,@function
_ZN7rocprim17ROCPRIM_400000_NS6detail17trampoline_kernelINS0_14default_configENS1_36segmented_radix_sort_config_selectorIflEEZNS1_25segmented_radix_sort_implIS3_Lb1EPKfPfPKlPlN2at6native12_GLOBAL__N_18offset_tEEE10hipError_tPvRmT1_PNSt15iterator_traitsISK_E10value_typeET2_T3_PNSL_ISQ_E10value_typeET4_jRbjT5_SW_jjP12ihipStream_tbEUlT_E2_NS1_11comp_targetILNS1_3genE9ELNS1_11target_archE1100ELNS1_3gpuE3ELNS1_3repE0EEENS1_30default_config_static_selectorELNS0_4arch9wavefront6targetE1EEEvSK_: ; @_ZN7rocprim17ROCPRIM_400000_NS6detail17trampoline_kernelINS0_14default_configENS1_36segmented_radix_sort_config_selectorIflEEZNS1_25segmented_radix_sort_implIS3_Lb1EPKfPfPKlPlN2at6native12_GLOBAL__N_18offset_tEEE10hipError_tPvRmT1_PNSt15iterator_traitsISK_E10value_typeET2_T3_PNSL_ISQ_E10value_typeET4_jRbjT5_SW_jjP12ihipStream_tbEUlT_E2_NS1_11comp_targetILNS1_3genE9ELNS1_11target_archE1100ELNS1_3gpuE3ELNS1_3repE0EEENS1_30default_config_static_selectorELNS0_4arch9wavefront6targetE1EEEvSK_
; %bb.0:
	.section	.rodata,"a",@progbits
	.p2align	6, 0x0
	.amdhsa_kernel _ZN7rocprim17ROCPRIM_400000_NS6detail17trampoline_kernelINS0_14default_configENS1_36segmented_radix_sort_config_selectorIflEEZNS1_25segmented_radix_sort_implIS3_Lb1EPKfPfPKlPlN2at6native12_GLOBAL__N_18offset_tEEE10hipError_tPvRmT1_PNSt15iterator_traitsISK_E10value_typeET2_T3_PNSL_ISQ_E10value_typeET4_jRbjT5_SW_jjP12ihipStream_tbEUlT_E2_NS1_11comp_targetILNS1_3genE9ELNS1_11target_archE1100ELNS1_3gpuE3ELNS1_3repE0EEENS1_30default_config_static_selectorELNS0_4arch9wavefront6targetE1EEEvSK_
		.amdhsa_group_segment_fixed_size 0
		.amdhsa_private_segment_fixed_size 0
		.amdhsa_kernarg_size 80
		.amdhsa_user_sgpr_count 6
		.amdhsa_user_sgpr_private_segment_buffer 1
		.amdhsa_user_sgpr_dispatch_ptr 0
		.amdhsa_user_sgpr_queue_ptr 0
		.amdhsa_user_sgpr_kernarg_segment_ptr 1
		.amdhsa_user_sgpr_dispatch_id 0
		.amdhsa_user_sgpr_flat_scratch_init 0
		.amdhsa_user_sgpr_kernarg_preload_length 0
		.amdhsa_user_sgpr_kernarg_preload_offset 0
		.amdhsa_user_sgpr_private_segment_size 0
		.amdhsa_uses_dynamic_stack 0
		.amdhsa_system_sgpr_private_segment_wavefront_offset 0
		.amdhsa_system_sgpr_workgroup_id_x 1
		.amdhsa_system_sgpr_workgroup_id_y 0
		.amdhsa_system_sgpr_workgroup_id_z 0
		.amdhsa_system_sgpr_workgroup_info 0
		.amdhsa_system_vgpr_workitem_id 0
		.amdhsa_next_free_vgpr 1
		.amdhsa_next_free_sgpr 0
		.amdhsa_accum_offset 4
		.amdhsa_reserve_vcc 0
		.amdhsa_reserve_flat_scratch 0
		.amdhsa_float_round_mode_32 0
		.amdhsa_float_round_mode_16_64 0
		.amdhsa_float_denorm_mode_32 3
		.amdhsa_float_denorm_mode_16_64 3
		.amdhsa_dx10_clamp 1
		.amdhsa_ieee_mode 1
		.amdhsa_fp16_overflow 0
		.amdhsa_tg_split 0
		.amdhsa_exception_fp_ieee_invalid_op 0
		.amdhsa_exception_fp_denorm_src 0
		.amdhsa_exception_fp_ieee_div_zero 0
		.amdhsa_exception_fp_ieee_overflow 0
		.amdhsa_exception_fp_ieee_underflow 0
		.amdhsa_exception_fp_ieee_inexact 0
		.amdhsa_exception_int_div_zero 0
	.end_amdhsa_kernel
	.section	.text._ZN7rocprim17ROCPRIM_400000_NS6detail17trampoline_kernelINS0_14default_configENS1_36segmented_radix_sort_config_selectorIflEEZNS1_25segmented_radix_sort_implIS3_Lb1EPKfPfPKlPlN2at6native12_GLOBAL__N_18offset_tEEE10hipError_tPvRmT1_PNSt15iterator_traitsISK_E10value_typeET2_T3_PNSL_ISQ_E10value_typeET4_jRbjT5_SW_jjP12ihipStream_tbEUlT_E2_NS1_11comp_targetILNS1_3genE9ELNS1_11target_archE1100ELNS1_3gpuE3ELNS1_3repE0EEENS1_30default_config_static_selectorELNS0_4arch9wavefront6targetE1EEEvSK_,"axG",@progbits,_ZN7rocprim17ROCPRIM_400000_NS6detail17trampoline_kernelINS0_14default_configENS1_36segmented_radix_sort_config_selectorIflEEZNS1_25segmented_radix_sort_implIS3_Lb1EPKfPfPKlPlN2at6native12_GLOBAL__N_18offset_tEEE10hipError_tPvRmT1_PNSt15iterator_traitsISK_E10value_typeET2_T3_PNSL_ISQ_E10value_typeET4_jRbjT5_SW_jjP12ihipStream_tbEUlT_E2_NS1_11comp_targetILNS1_3genE9ELNS1_11target_archE1100ELNS1_3gpuE3ELNS1_3repE0EEENS1_30default_config_static_selectorELNS0_4arch9wavefront6targetE1EEEvSK_,comdat
.Lfunc_end1360:
	.size	_ZN7rocprim17ROCPRIM_400000_NS6detail17trampoline_kernelINS0_14default_configENS1_36segmented_radix_sort_config_selectorIflEEZNS1_25segmented_radix_sort_implIS3_Lb1EPKfPfPKlPlN2at6native12_GLOBAL__N_18offset_tEEE10hipError_tPvRmT1_PNSt15iterator_traitsISK_E10value_typeET2_T3_PNSL_ISQ_E10value_typeET4_jRbjT5_SW_jjP12ihipStream_tbEUlT_E2_NS1_11comp_targetILNS1_3genE9ELNS1_11target_archE1100ELNS1_3gpuE3ELNS1_3repE0EEENS1_30default_config_static_selectorELNS0_4arch9wavefront6targetE1EEEvSK_, .Lfunc_end1360-_ZN7rocprim17ROCPRIM_400000_NS6detail17trampoline_kernelINS0_14default_configENS1_36segmented_radix_sort_config_selectorIflEEZNS1_25segmented_radix_sort_implIS3_Lb1EPKfPfPKlPlN2at6native12_GLOBAL__N_18offset_tEEE10hipError_tPvRmT1_PNSt15iterator_traitsISK_E10value_typeET2_T3_PNSL_ISQ_E10value_typeET4_jRbjT5_SW_jjP12ihipStream_tbEUlT_E2_NS1_11comp_targetILNS1_3genE9ELNS1_11target_archE1100ELNS1_3gpuE3ELNS1_3repE0EEENS1_30default_config_static_selectorELNS0_4arch9wavefront6targetE1EEEvSK_
                                        ; -- End function
	.section	.AMDGPU.csdata,"",@progbits
; Kernel info:
; codeLenInByte = 0
; NumSgprs: 4
; NumVgprs: 0
; NumAgprs: 0
; TotalNumVgprs: 0
; ScratchSize: 0
; MemoryBound: 0
; FloatMode: 240
; IeeeMode: 1
; LDSByteSize: 0 bytes/workgroup (compile time only)
; SGPRBlocks: 0
; VGPRBlocks: 0
; NumSGPRsForWavesPerEU: 4
; NumVGPRsForWavesPerEU: 1
; AccumOffset: 4
; Occupancy: 8
; WaveLimiterHint : 0
; COMPUTE_PGM_RSRC2:SCRATCH_EN: 0
; COMPUTE_PGM_RSRC2:USER_SGPR: 6
; COMPUTE_PGM_RSRC2:TRAP_HANDLER: 0
; COMPUTE_PGM_RSRC2:TGID_X_EN: 1
; COMPUTE_PGM_RSRC2:TGID_Y_EN: 0
; COMPUTE_PGM_RSRC2:TGID_Z_EN: 0
; COMPUTE_PGM_RSRC2:TIDIG_COMP_CNT: 0
; COMPUTE_PGM_RSRC3_GFX90A:ACCUM_OFFSET: 0
; COMPUTE_PGM_RSRC3_GFX90A:TG_SPLIT: 0
	.section	.text._ZN7rocprim17ROCPRIM_400000_NS6detail17trampoline_kernelINS0_14default_configENS1_36segmented_radix_sort_config_selectorIflEEZNS1_25segmented_radix_sort_implIS3_Lb1EPKfPfPKlPlN2at6native12_GLOBAL__N_18offset_tEEE10hipError_tPvRmT1_PNSt15iterator_traitsISK_E10value_typeET2_T3_PNSL_ISQ_E10value_typeET4_jRbjT5_SW_jjP12ihipStream_tbEUlT_E2_NS1_11comp_targetILNS1_3genE8ELNS1_11target_archE1030ELNS1_3gpuE2ELNS1_3repE0EEENS1_30default_config_static_selectorELNS0_4arch9wavefront6targetE1EEEvSK_,"axG",@progbits,_ZN7rocprim17ROCPRIM_400000_NS6detail17trampoline_kernelINS0_14default_configENS1_36segmented_radix_sort_config_selectorIflEEZNS1_25segmented_radix_sort_implIS3_Lb1EPKfPfPKlPlN2at6native12_GLOBAL__N_18offset_tEEE10hipError_tPvRmT1_PNSt15iterator_traitsISK_E10value_typeET2_T3_PNSL_ISQ_E10value_typeET4_jRbjT5_SW_jjP12ihipStream_tbEUlT_E2_NS1_11comp_targetILNS1_3genE8ELNS1_11target_archE1030ELNS1_3gpuE2ELNS1_3repE0EEENS1_30default_config_static_selectorELNS0_4arch9wavefront6targetE1EEEvSK_,comdat
	.globl	_ZN7rocprim17ROCPRIM_400000_NS6detail17trampoline_kernelINS0_14default_configENS1_36segmented_radix_sort_config_selectorIflEEZNS1_25segmented_radix_sort_implIS3_Lb1EPKfPfPKlPlN2at6native12_GLOBAL__N_18offset_tEEE10hipError_tPvRmT1_PNSt15iterator_traitsISK_E10value_typeET2_T3_PNSL_ISQ_E10value_typeET4_jRbjT5_SW_jjP12ihipStream_tbEUlT_E2_NS1_11comp_targetILNS1_3genE8ELNS1_11target_archE1030ELNS1_3gpuE2ELNS1_3repE0EEENS1_30default_config_static_selectorELNS0_4arch9wavefront6targetE1EEEvSK_ ; -- Begin function _ZN7rocprim17ROCPRIM_400000_NS6detail17trampoline_kernelINS0_14default_configENS1_36segmented_radix_sort_config_selectorIflEEZNS1_25segmented_radix_sort_implIS3_Lb1EPKfPfPKlPlN2at6native12_GLOBAL__N_18offset_tEEE10hipError_tPvRmT1_PNSt15iterator_traitsISK_E10value_typeET2_T3_PNSL_ISQ_E10value_typeET4_jRbjT5_SW_jjP12ihipStream_tbEUlT_E2_NS1_11comp_targetILNS1_3genE8ELNS1_11target_archE1030ELNS1_3gpuE2ELNS1_3repE0EEENS1_30default_config_static_selectorELNS0_4arch9wavefront6targetE1EEEvSK_
	.p2align	8
	.type	_ZN7rocprim17ROCPRIM_400000_NS6detail17trampoline_kernelINS0_14default_configENS1_36segmented_radix_sort_config_selectorIflEEZNS1_25segmented_radix_sort_implIS3_Lb1EPKfPfPKlPlN2at6native12_GLOBAL__N_18offset_tEEE10hipError_tPvRmT1_PNSt15iterator_traitsISK_E10value_typeET2_T3_PNSL_ISQ_E10value_typeET4_jRbjT5_SW_jjP12ihipStream_tbEUlT_E2_NS1_11comp_targetILNS1_3genE8ELNS1_11target_archE1030ELNS1_3gpuE2ELNS1_3repE0EEENS1_30default_config_static_selectorELNS0_4arch9wavefront6targetE1EEEvSK_,@function
_ZN7rocprim17ROCPRIM_400000_NS6detail17trampoline_kernelINS0_14default_configENS1_36segmented_radix_sort_config_selectorIflEEZNS1_25segmented_radix_sort_implIS3_Lb1EPKfPfPKlPlN2at6native12_GLOBAL__N_18offset_tEEE10hipError_tPvRmT1_PNSt15iterator_traitsISK_E10value_typeET2_T3_PNSL_ISQ_E10value_typeET4_jRbjT5_SW_jjP12ihipStream_tbEUlT_E2_NS1_11comp_targetILNS1_3genE8ELNS1_11target_archE1030ELNS1_3gpuE2ELNS1_3repE0EEENS1_30default_config_static_selectorELNS0_4arch9wavefront6targetE1EEEvSK_: ; @_ZN7rocprim17ROCPRIM_400000_NS6detail17trampoline_kernelINS0_14default_configENS1_36segmented_radix_sort_config_selectorIflEEZNS1_25segmented_radix_sort_implIS3_Lb1EPKfPfPKlPlN2at6native12_GLOBAL__N_18offset_tEEE10hipError_tPvRmT1_PNSt15iterator_traitsISK_E10value_typeET2_T3_PNSL_ISQ_E10value_typeET4_jRbjT5_SW_jjP12ihipStream_tbEUlT_E2_NS1_11comp_targetILNS1_3genE8ELNS1_11target_archE1030ELNS1_3gpuE2ELNS1_3repE0EEENS1_30default_config_static_selectorELNS0_4arch9wavefront6targetE1EEEvSK_
; %bb.0:
	.section	.rodata,"a",@progbits
	.p2align	6, 0x0
	.amdhsa_kernel _ZN7rocprim17ROCPRIM_400000_NS6detail17trampoline_kernelINS0_14default_configENS1_36segmented_radix_sort_config_selectorIflEEZNS1_25segmented_radix_sort_implIS3_Lb1EPKfPfPKlPlN2at6native12_GLOBAL__N_18offset_tEEE10hipError_tPvRmT1_PNSt15iterator_traitsISK_E10value_typeET2_T3_PNSL_ISQ_E10value_typeET4_jRbjT5_SW_jjP12ihipStream_tbEUlT_E2_NS1_11comp_targetILNS1_3genE8ELNS1_11target_archE1030ELNS1_3gpuE2ELNS1_3repE0EEENS1_30default_config_static_selectorELNS0_4arch9wavefront6targetE1EEEvSK_
		.amdhsa_group_segment_fixed_size 0
		.amdhsa_private_segment_fixed_size 0
		.amdhsa_kernarg_size 80
		.amdhsa_user_sgpr_count 6
		.amdhsa_user_sgpr_private_segment_buffer 1
		.amdhsa_user_sgpr_dispatch_ptr 0
		.amdhsa_user_sgpr_queue_ptr 0
		.amdhsa_user_sgpr_kernarg_segment_ptr 1
		.amdhsa_user_sgpr_dispatch_id 0
		.amdhsa_user_sgpr_flat_scratch_init 0
		.amdhsa_user_sgpr_kernarg_preload_length 0
		.amdhsa_user_sgpr_kernarg_preload_offset 0
		.amdhsa_user_sgpr_private_segment_size 0
		.amdhsa_uses_dynamic_stack 0
		.amdhsa_system_sgpr_private_segment_wavefront_offset 0
		.amdhsa_system_sgpr_workgroup_id_x 1
		.amdhsa_system_sgpr_workgroup_id_y 0
		.amdhsa_system_sgpr_workgroup_id_z 0
		.amdhsa_system_sgpr_workgroup_info 0
		.amdhsa_system_vgpr_workitem_id 0
		.amdhsa_next_free_vgpr 1
		.amdhsa_next_free_sgpr 0
		.amdhsa_accum_offset 4
		.amdhsa_reserve_vcc 0
		.amdhsa_reserve_flat_scratch 0
		.amdhsa_float_round_mode_32 0
		.amdhsa_float_round_mode_16_64 0
		.amdhsa_float_denorm_mode_32 3
		.amdhsa_float_denorm_mode_16_64 3
		.amdhsa_dx10_clamp 1
		.amdhsa_ieee_mode 1
		.amdhsa_fp16_overflow 0
		.amdhsa_tg_split 0
		.amdhsa_exception_fp_ieee_invalid_op 0
		.amdhsa_exception_fp_denorm_src 0
		.amdhsa_exception_fp_ieee_div_zero 0
		.amdhsa_exception_fp_ieee_overflow 0
		.amdhsa_exception_fp_ieee_underflow 0
		.amdhsa_exception_fp_ieee_inexact 0
		.amdhsa_exception_int_div_zero 0
	.end_amdhsa_kernel
	.section	.text._ZN7rocprim17ROCPRIM_400000_NS6detail17trampoline_kernelINS0_14default_configENS1_36segmented_radix_sort_config_selectorIflEEZNS1_25segmented_radix_sort_implIS3_Lb1EPKfPfPKlPlN2at6native12_GLOBAL__N_18offset_tEEE10hipError_tPvRmT1_PNSt15iterator_traitsISK_E10value_typeET2_T3_PNSL_ISQ_E10value_typeET4_jRbjT5_SW_jjP12ihipStream_tbEUlT_E2_NS1_11comp_targetILNS1_3genE8ELNS1_11target_archE1030ELNS1_3gpuE2ELNS1_3repE0EEENS1_30default_config_static_selectorELNS0_4arch9wavefront6targetE1EEEvSK_,"axG",@progbits,_ZN7rocprim17ROCPRIM_400000_NS6detail17trampoline_kernelINS0_14default_configENS1_36segmented_radix_sort_config_selectorIflEEZNS1_25segmented_radix_sort_implIS3_Lb1EPKfPfPKlPlN2at6native12_GLOBAL__N_18offset_tEEE10hipError_tPvRmT1_PNSt15iterator_traitsISK_E10value_typeET2_T3_PNSL_ISQ_E10value_typeET4_jRbjT5_SW_jjP12ihipStream_tbEUlT_E2_NS1_11comp_targetILNS1_3genE8ELNS1_11target_archE1030ELNS1_3gpuE2ELNS1_3repE0EEENS1_30default_config_static_selectorELNS0_4arch9wavefront6targetE1EEEvSK_,comdat
.Lfunc_end1361:
	.size	_ZN7rocprim17ROCPRIM_400000_NS6detail17trampoline_kernelINS0_14default_configENS1_36segmented_radix_sort_config_selectorIflEEZNS1_25segmented_radix_sort_implIS3_Lb1EPKfPfPKlPlN2at6native12_GLOBAL__N_18offset_tEEE10hipError_tPvRmT1_PNSt15iterator_traitsISK_E10value_typeET2_T3_PNSL_ISQ_E10value_typeET4_jRbjT5_SW_jjP12ihipStream_tbEUlT_E2_NS1_11comp_targetILNS1_3genE8ELNS1_11target_archE1030ELNS1_3gpuE2ELNS1_3repE0EEENS1_30default_config_static_selectorELNS0_4arch9wavefront6targetE1EEEvSK_, .Lfunc_end1361-_ZN7rocprim17ROCPRIM_400000_NS6detail17trampoline_kernelINS0_14default_configENS1_36segmented_radix_sort_config_selectorIflEEZNS1_25segmented_radix_sort_implIS3_Lb1EPKfPfPKlPlN2at6native12_GLOBAL__N_18offset_tEEE10hipError_tPvRmT1_PNSt15iterator_traitsISK_E10value_typeET2_T3_PNSL_ISQ_E10value_typeET4_jRbjT5_SW_jjP12ihipStream_tbEUlT_E2_NS1_11comp_targetILNS1_3genE8ELNS1_11target_archE1030ELNS1_3gpuE2ELNS1_3repE0EEENS1_30default_config_static_selectorELNS0_4arch9wavefront6targetE1EEEvSK_
                                        ; -- End function
	.section	.AMDGPU.csdata,"",@progbits
; Kernel info:
; codeLenInByte = 0
; NumSgprs: 4
; NumVgprs: 0
; NumAgprs: 0
; TotalNumVgprs: 0
; ScratchSize: 0
; MemoryBound: 0
; FloatMode: 240
; IeeeMode: 1
; LDSByteSize: 0 bytes/workgroup (compile time only)
; SGPRBlocks: 0
; VGPRBlocks: 0
; NumSGPRsForWavesPerEU: 4
; NumVGPRsForWavesPerEU: 1
; AccumOffset: 4
; Occupancy: 8
; WaveLimiterHint : 0
; COMPUTE_PGM_RSRC2:SCRATCH_EN: 0
; COMPUTE_PGM_RSRC2:USER_SGPR: 6
; COMPUTE_PGM_RSRC2:TRAP_HANDLER: 0
; COMPUTE_PGM_RSRC2:TGID_X_EN: 1
; COMPUTE_PGM_RSRC2:TGID_Y_EN: 0
; COMPUTE_PGM_RSRC2:TGID_Z_EN: 0
; COMPUTE_PGM_RSRC2:TIDIG_COMP_CNT: 0
; COMPUTE_PGM_RSRC3_GFX90A:ACCUM_OFFSET: 0
; COMPUTE_PGM_RSRC3_GFX90A:TG_SPLIT: 0
	.section	.text._ZN7rocprim17ROCPRIM_400000_NS6detail17trampoline_kernelINS0_13select_configILj256ELj13ELNS0_17block_load_methodE3ELS4_3ELS4_3ELNS0_20block_scan_algorithmE0ELj4294967295EEENS1_25partition_config_selectorILNS1_17partition_subalgoE4EjNS0_10empty_typeEbEEZZNS1_14partition_implILS8_4ELb0ES6_15HIP_vector_typeIjLj2EENS0_17counting_iteratorIjlEEPS9_SG_NS0_5tupleIJPjSI_NS0_16reverse_iteratorISI_EEEEENSH_IJSG_SG_SG_EEES9_SI_JZNS1_25segmented_radix_sort_implINS0_14default_configELb0EPKfPfPKlPlN2at6native12_GLOBAL__N_18offset_tEEE10hipError_tPvRmT1_PNSt15iterator_traitsIS12_E10value_typeET2_T3_PNS13_IS18_E10value_typeET4_jRbjT5_S1E_jjP12ihipStream_tbEUljE_ZNSN_ISO_Lb0ESQ_SR_ST_SU_SY_EESZ_S10_S11_S12_S16_S17_S18_S1B_S1C_jS1D_jS1E_S1E_jjS1G_bEUljE0_EEESZ_S10_S11_S18_S1C_S1E_T6_T7_T9_mT8_S1G_bDpT10_ENKUlT_T0_E_clISt17integral_constantIbLb0EES1U_EEDaS1P_S1Q_EUlS1P_E_NS1_11comp_targetILNS1_3genE0ELNS1_11target_archE4294967295ELNS1_3gpuE0ELNS1_3repE0EEENS1_30default_config_static_selectorELNS0_4arch9wavefront6targetE1EEEvS12_,"axG",@progbits,_ZN7rocprim17ROCPRIM_400000_NS6detail17trampoline_kernelINS0_13select_configILj256ELj13ELNS0_17block_load_methodE3ELS4_3ELS4_3ELNS0_20block_scan_algorithmE0ELj4294967295EEENS1_25partition_config_selectorILNS1_17partition_subalgoE4EjNS0_10empty_typeEbEEZZNS1_14partition_implILS8_4ELb0ES6_15HIP_vector_typeIjLj2EENS0_17counting_iteratorIjlEEPS9_SG_NS0_5tupleIJPjSI_NS0_16reverse_iteratorISI_EEEEENSH_IJSG_SG_SG_EEES9_SI_JZNS1_25segmented_radix_sort_implINS0_14default_configELb0EPKfPfPKlPlN2at6native12_GLOBAL__N_18offset_tEEE10hipError_tPvRmT1_PNSt15iterator_traitsIS12_E10value_typeET2_T3_PNS13_IS18_E10value_typeET4_jRbjT5_S1E_jjP12ihipStream_tbEUljE_ZNSN_ISO_Lb0ESQ_SR_ST_SU_SY_EESZ_S10_S11_S12_S16_S17_S18_S1B_S1C_jS1D_jS1E_S1E_jjS1G_bEUljE0_EEESZ_S10_S11_S18_S1C_S1E_T6_T7_T9_mT8_S1G_bDpT10_ENKUlT_T0_E_clISt17integral_constantIbLb0EES1U_EEDaS1P_S1Q_EUlS1P_E_NS1_11comp_targetILNS1_3genE0ELNS1_11target_archE4294967295ELNS1_3gpuE0ELNS1_3repE0EEENS1_30default_config_static_selectorELNS0_4arch9wavefront6targetE1EEEvS12_,comdat
	.globl	_ZN7rocprim17ROCPRIM_400000_NS6detail17trampoline_kernelINS0_13select_configILj256ELj13ELNS0_17block_load_methodE3ELS4_3ELS4_3ELNS0_20block_scan_algorithmE0ELj4294967295EEENS1_25partition_config_selectorILNS1_17partition_subalgoE4EjNS0_10empty_typeEbEEZZNS1_14partition_implILS8_4ELb0ES6_15HIP_vector_typeIjLj2EENS0_17counting_iteratorIjlEEPS9_SG_NS0_5tupleIJPjSI_NS0_16reverse_iteratorISI_EEEEENSH_IJSG_SG_SG_EEES9_SI_JZNS1_25segmented_radix_sort_implINS0_14default_configELb0EPKfPfPKlPlN2at6native12_GLOBAL__N_18offset_tEEE10hipError_tPvRmT1_PNSt15iterator_traitsIS12_E10value_typeET2_T3_PNS13_IS18_E10value_typeET4_jRbjT5_S1E_jjP12ihipStream_tbEUljE_ZNSN_ISO_Lb0ESQ_SR_ST_SU_SY_EESZ_S10_S11_S12_S16_S17_S18_S1B_S1C_jS1D_jS1E_S1E_jjS1G_bEUljE0_EEESZ_S10_S11_S18_S1C_S1E_T6_T7_T9_mT8_S1G_bDpT10_ENKUlT_T0_E_clISt17integral_constantIbLb0EES1U_EEDaS1P_S1Q_EUlS1P_E_NS1_11comp_targetILNS1_3genE0ELNS1_11target_archE4294967295ELNS1_3gpuE0ELNS1_3repE0EEENS1_30default_config_static_selectorELNS0_4arch9wavefront6targetE1EEEvS12_ ; -- Begin function _ZN7rocprim17ROCPRIM_400000_NS6detail17trampoline_kernelINS0_13select_configILj256ELj13ELNS0_17block_load_methodE3ELS4_3ELS4_3ELNS0_20block_scan_algorithmE0ELj4294967295EEENS1_25partition_config_selectorILNS1_17partition_subalgoE4EjNS0_10empty_typeEbEEZZNS1_14partition_implILS8_4ELb0ES6_15HIP_vector_typeIjLj2EENS0_17counting_iteratorIjlEEPS9_SG_NS0_5tupleIJPjSI_NS0_16reverse_iteratorISI_EEEEENSH_IJSG_SG_SG_EEES9_SI_JZNS1_25segmented_radix_sort_implINS0_14default_configELb0EPKfPfPKlPlN2at6native12_GLOBAL__N_18offset_tEEE10hipError_tPvRmT1_PNSt15iterator_traitsIS12_E10value_typeET2_T3_PNS13_IS18_E10value_typeET4_jRbjT5_S1E_jjP12ihipStream_tbEUljE_ZNSN_ISO_Lb0ESQ_SR_ST_SU_SY_EESZ_S10_S11_S12_S16_S17_S18_S1B_S1C_jS1D_jS1E_S1E_jjS1G_bEUljE0_EEESZ_S10_S11_S18_S1C_S1E_T6_T7_T9_mT8_S1G_bDpT10_ENKUlT_T0_E_clISt17integral_constantIbLb0EES1U_EEDaS1P_S1Q_EUlS1P_E_NS1_11comp_targetILNS1_3genE0ELNS1_11target_archE4294967295ELNS1_3gpuE0ELNS1_3repE0EEENS1_30default_config_static_selectorELNS0_4arch9wavefront6targetE1EEEvS12_
	.p2align	8
	.type	_ZN7rocprim17ROCPRIM_400000_NS6detail17trampoline_kernelINS0_13select_configILj256ELj13ELNS0_17block_load_methodE3ELS4_3ELS4_3ELNS0_20block_scan_algorithmE0ELj4294967295EEENS1_25partition_config_selectorILNS1_17partition_subalgoE4EjNS0_10empty_typeEbEEZZNS1_14partition_implILS8_4ELb0ES6_15HIP_vector_typeIjLj2EENS0_17counting_iteratorIjlEEPS9_SG_NS0_5tupleIJPjSI_NS0_16reverse_iteratorISI_EEEEENSH_IJSG_SG_SG_EEES9_SI_JZNS1_25segmented_radix_sort_implINS0_14default_configELb0EPKfPfPKlPlN2at6native12_GLOBAL__N_18offset_tEEE10hipError_tPvRmT1_PNSt15iterator_traitsIS12_E10value_typeET2_T3_PNS13_IS18_E10value_typeET4_jRbjT5_S1E_jjP12ihipStream_tbEUljE_ZNSN_ISO_Lb0ESQ_SR_ST_SU_SY_EESZ_S10_S11_S12_S16_S17_S18_S1B_S1C_jS1D_jS1E_S1E_jjS1G_bEUljE0_EEESZ_S10_S11_S18_S1C_S1E_T6_T7_T9_mT8_S1G_bDpT10_ENKUlT_T0_E_clISt17integral_constantIbLb0EES1U_EEDaS1P_S1Q_EUlS1P_E_NS1_11comp_targetILNS1_3genE0ELNS1_11target_archE4294967295ELNS1_3gpuE0ELNS1_3repE0EEENS1_30default_config_static_selectorELNS0_4arch9wavefront6targetE1EEEvS12_,@function
_ZN7rocprim17ROCPRIM_400000_NS6detail17trampoline_kernelINS0_13select_configILj256ELj13ELNS0_17block_load_methodE3ELS4_3ELS4_3ELNS0_20block_scan_algorithmE0ELj4294967295EEENS1_25partition_config_selectorILNS1_17partition_subalgoE4EjNS0_10empty_typeEbEEZZNS1_14partition_implILS8_4ELb0ES6_15HIP_vector_typeIjLj2EENS0_17counting_iteratorIjlEEPS9_SG_NS0_5tupleIJPjSI_NS0_16reverse_iteratorISI_EEEEENSH_IJSG_SG_SG_EEES9_SI_JZNS1_25segmented_radix_sort_implINS0_14default_configELb0EPKfPfPKlPlN2at6native12_GLOBAL__N_18offset_tEEE10hipError_tPvRmT1_PNSt15iterator_traitsIS12_E10value_typeET2_T3_PNS13_IS18_E10value_typeET4_jRbjT5_S1E_jjP12ihipStream_tbEUljE_ZNSN_ISO_Lb0ESQ_SR_ST_SU_SY_EESZ_S10_S11_S12_S16_S17_S18_S1B_S1C_jS1D_jS1E_S1E_jjS1G_bEUljE0_EEESZ_S10_S11_S18_S1C_S1E_T6_T7_T9_mT8_S1G_bDpT10_ENKUlT_T0_E_clISt17integral_constantIbLb0EES1U_EEDaS1P_S1Q_EUlS1P_E_NS1_11comp_targetILNS1_3genE0ELNS1_11target_archE4294967295ELNS1_3gpuE0ELNS1_3repE0EEENS1_30default_config_static_selectorELNS0_4arch9wavefront6targetE1EEEvS12_: ; @_ZN7rocprim17ROCPRIM_400000_NS6detail17trampoline_kernelINS0_13select_configILj256ELj13ELNS0_17block_load_methodE3ELS4_3ELS4_3ELNS0_20block_scan_algorithmE0ELj4294967295EEENS1_25partition_config_selectorILNS1_17partition_subalgoE4EjNS0_10empty_typeEbEEZZNS1_14partition_implILS8_4ELb0ES6_15HIP_vector_typeIjLj2EENS0_17counting_iteratorIjlEEPS9_SG_NS0_5tupleIJPjSI_NS0_16reverse_iteratorISI_EEEEENSH_IJSG_SG_SG_EEES9_SI_JZNS1_25segmented_radix_sort_implINS0_14default_configELb0EPKfPfPKlPlN2at6native12_GLOBAL__N_18offset_tEEE10hipError_tPvRmT1_PNSt15iterator_traitsIS12_E10value_typeET2_T3_PNS13_IS18_E10value_typeET4_jRbjT5_S1E_jjP12ihipStream_tbEUljE_ZNSN_ISO_Lb0ESQ_SR_ST_SU_SY_EESZ_S10_S11_S12_S16_S17_S18_S1B_S1C_jS1D_jS1E_S1E_jjS1G_bEUljE0_EEESZ_S10_S11_S18_S1C_S1E_T6_T7_T9_mT8_S1G_bDpT10_ENKUlT_T0_E_clISt17integral_constantIbLb0EES1U_EEDaS1P_S1Q_EUlS1P_E_NS1_11comp_targetILNS1_3genE0ELNS1_11target_archE4294967295ELNS1_3gpuE0ELNS1_3repE0EEENS1_30default_config_static_selectorELNS0_4arch9wavefront6targetE1EEEvS12_
; %bb.0:
	.section	.rodata,"a",@progbits
	.p2align	6, 0x0
	.amdhsa_kernel _ZN7rocprim17ROCPRIM_400000_NS6detail17trampoline_kernelINS0_13select_configILj256ELj13ELNS0_17block_load_methodE3ELS4_3ELS4_3ELNS0_20block_scan_algorithmE0ELj4294967295EEENS1_25partition_config_selectorILNS1_17partition_subalgoE4EjNS0_10empty_typeEbEEZZNS1_14partition_implILS8_4ELb0ES6_15HIP_vector_typeIjLj2EENS0_17counting_iteratorIjlEEPS9_SG_NS0_5tupleIJPjSI_NS0_16reverse_iteratorISI_EEEEENSH_IJSG_SG_SG_EEES9_SI_JZNS1_25segmented_radix_sort_implINS0_14default_configELb0EPKfPfPKlPlN2at6native12_GLOBAL__N_18offset_tEEE10hipError_tPvRmT1_PNSt15iterator_traitsIS12_E10value_typeET2_T3_PNS13_IS18_E10value_typeET4_jRbjT5_S1E_jjP12ihipStream_tbEUljE_ZNSN_ISO_Lb0ESQ_SR_ST_SU_SY_EESZ_S10_S11_S12_S16_S17_S18_S1B_S1C_jS1D_jS1E_S1E_jjS1G_bEUljE0_EEESZ_S10_S11_S18_S1C_S1E_T6_T7_T9_mT8_S1G_bDpT10_ENKUlT_T0_E_clISt17integral_constantIbLb0EES1U_EEDaS1P_S1Q_EUlS1P_E_NS1_11comp_targetILNS1_3genE0ELNS1_11target_archE4294967295ELNS1_3gpuE0ELNS1_3repE0EEENS1_30default_config_static_selectorELNS0_4arch9wavefront6targetE1EEEvS12_
		.amdhsa_group_segment_fixed_size 0
		.amdhsa_private_segment_fixed_size 0
		.amdhsa_kernarg_size 176
		.amdhsa_user_sgpr_count 6
		.amdhsa_user_sgpr_private_segment_buffer 1
		.amdhsa_user_sgpr_dispatch_ptr 0
		.amdhsa_user_sgpr_queue_ptr 0
		.amdhsa_user_sgpr_kernarg_segment_ptr 1
		.amdhsa_user_sgpr_dispatch_id 0
		.amdhsa_user_sgpr_flat_scratch_init 0
		.amdhsa_user_sgpr_kernarg_preload_length 0
		.amdhsa_user_sgpr_kernarg_preload_offset 0
		.amdhsa_user_sgpr_private_segment_size 0
		.amdhsa_uses_dynamic_stack 0
		.amdhsa_system_sgpr_private_segment_wavefront_offset 0
		.amdhsa_system_sgpr_workgroup_id_x 1
		.amdhsa_system_sgpr_workgroup_id_y 0
		.amdhsa_system_sgpr_workgroup_id_z 0
		.amdhsa_system_sgpr_workgroup_info 0
		.amdhsa_system_vgpr_workitem_id 0
		.amdhsa_next_free_vgpr 1
		.amdhsa_next_free_sgpr 0
		.amdhsa_accum_offset 4
		.amdhsa_reserve_vcc 0
		.amdhsa_reserve_flat_scratch 0
		.amdhsa_float_round_mode_32 0
		.amdhsa_float_round_mode_16_64 0
		.amdhsa_float_denorm_mode_32 3
		.amdhsa_float_denorm_mode_16_64 3
		.amdhsa_dx10_clamp 1
		.amdhsa_ieee_mode 1
		.amdhsa_fp16_overflow 0
		.amdhsa_tg_split 0
		.amdhsa_exception_fp_ieee_invalid_op 0
		.amdhsa_exception_fp_denorm_src 0
		.amdhsa_exception_fp_ieee_div_zero 0
		.amdhsa_exception_fp_ieee_overflow 0
		.amdhsa_exception_fp_ieee_underflow 0
		.amdhsa_exception_fp_ieee_inexact 0
		.amdhsa_exception_int_div_zero 0
	.end_amdhsa_kernel
	.section	.text._ZN7rocprim17ROCPRIM_400000_NS6detail17trampoline_kernelINS0_13select_configILj256ELj13ELNS0_17block_load_methodE3ELS4_3ELS4_3ELNS0_20block_scan_algorithmE0ELj4294967295EEENS1_25partition_config_selectorILNS1_17partition_subalgoE4EjNS0_10empty_typeEbEEZZNS1_14partition_implILS8_4ELb0ES6_15HIP_vector_typeIjLj2EENS0_17counting_iteratorIjlEEPS9_SG_NS0_5tupleIJPjSI_NS0_16reverse_iteratorISI_EEEEENSH_IJSG_SG_SG_EEES9_SI_JZNS1_25segmented_radix_sort_implINS0_14default_configELb0EPKfPfPKlPlN2at6native12_GLOBAL__N_18offset_tEEE10hipError_tPvRmT1_PNSt15iterator_traitsIS12_E10value_typeET2_T3_PNS13_IS18_E10value_typeET4_jRbjT5_S1E_jjP12ihipStream_tbEUljE_ZNSN_ISO_Lb0ESQ_SR_ST_SU_SY_EESZ_S10_S11_S12_S16_S17_S18_S1B_S1C_jS1D_jS1E_S1E_jjS1G_bEUljE0_EEESZ_S10_S11_S18_S1C_S1E_T6_T7_T9_mT8_S1G_bDpT10_ENKUlT_T0_E_clISt17integral_constantIbLb0EES1U_EEDaS1P_S1Q_EUlS1P_E_NS1_11comp_targetILNS1_3genE0ELNS1_11target_archE4294967295ELNS1_3gpuE0ELNS1_3repE0EEENS1_30default_config_static_selectorELNS0_4arch9wavefront6targetE1EEEvS12_,"axG",@progbits,_ZN7rocprim17ROCPRIM_400000_NS6detail17trampoline_kernelINS0_13select_configILj256ELj13ELNS0_17block_load_methodE3ELS4_3ELS4_3ELNS0_20block_scan_algorithmE0ELj4294967295EEENS1_25partition_config_selectorILNS1_17partition_subalgoE4EjNS0_10empty_typeEbEEZZNS1_14partition_implILS8_4ELb0ES6_15HIP_vector_typeIjLj2EENS0_17counting_iteratorIjlEEPS9_SG_NS0_5tupleIJPjSI_NS0_16reverse_iteratorISI_EEEEENSH_IJSG_SG_SG_EEES9_SI_JZNS1_25segmented_radix_sort_implINS0_14default_configELb0EPKfPfPKlPlN2at6native12_GLOBAL__N_18offset_tEEE10hipError_tPvRmT1_PNSt15iterator_traitsIS12_E10value_typeET2_T3_PNS13_IS18_E10value_typeET4_jRbjT5_S1E_jjP12ihipStream_tbEUljE_ZNSN_ISO_Lb0ESQ_SR_ST_SU_SY_EESZ_S10_S11_S12_S16_S17_S18_S1B_S1C_jS1D_jS1E_S1E_jjS1G_bEUljE0_EEESZ_S10_S11_S18_S1C_S1E_T6_T7_T9_mT8_S1G_bDpT10_ENKUlT_T0_E_clISt17integral_constantIbLb0EES1U_EEDaS1P_S1Q_EUlS1P_E_NS1_11comp_targetILNS1_3genE0ELNS1_11target_archE4294967295ELNS1_3gpuE0ELNS1_3repE0EEENS1_30default_config_static_selectorELNS0_4arch9wavefront6targetE1EEEvS12_,comdat
.Lfunc_end1362:
	.size	_ZN7rocprim17ROCPRIM_400000_NS6detail17trampoline_kernelINS0_13select_configILj256ELj13ELNS0_17block_load_methodE3ELS4_3ELS4_3ELNS0_20block_scan_algorithmE0ELj4294967295EEENS1_25partition_config_selectorILNS1_17partition_subalgoE4EjNS0_10empty_typeEbEEZZNS1_14partition_implILS8_4ELb0ES6_15HIP_vector_typeIjLj2EENS0_17counting_iteratorIjlEEPS9_SG_NS0_5tupleIJPjSI_NS0_16reverse_iteratorISI_EEEEENSH_IJSG_SG_SG_EEES9_SI_JZNS1_25segmented_radix_sort_implINS0_14default_configELb0EPKfPfPKlPlN2at6native12_GLOBAL__N_18offset_tEEE10hipError_tPvRmT1_PNSt15iterator_traitsIS12_E10value_typeET2_T3_PNS13_IS18_E10value_typeET4_jRbjT5_S1E_jjP12ihipStream_tbEUljE_ZNSN_ISO_Lb0ESQ_SR_ST_SU_SY_EESZ_S10_S11_S12_S16_S17_S18_S1B_S1C_jS1D_jS1E_S1E_jjS1G_bEUljE0_EEESZ_S10_S11_S18_S1C_S1E_T6_T7_T9_mT8_S1G_bDpT10_ENKUlT_T0_E_clISt17integral_constantIbLb0EES1U_EEDaS1P_S1Q_EUlS1P_E_NS1_11comp_targetILNS1_3genE0ELNS1_11target_archE4294967295ELNS1_3gpuE0ELNS1_3repE0EEENS1_30default_config_static_selectorELNS0_4arch9wavefront6targetE1EEEvS12_, .Lfunc_end1362-_ZN7rocprim17ROCPRIM_400000_NS6detail17trampoline_kernelINS0_13select_configILj256ELj13ELNS0_17block_load_methodE3ELS4_3ELS4_3ELNS0_20block_scan_algorithmE0ELj4294967295EEENS1_25partition_config_selectorILNS1_17partition_subalgoE4EjNS0_10empty_typeEbEEZZNS1_14partition_implILS8_4ELb0ES6_15HIP_vector_typeIjLj2EENS0_17counting_iteratorIjlEEPS9_SG_NS0_5tupleIJPjSI_NS0_16reverse_iteratorISI_EEEEENSH_IJSG_SG_SG_EEES9_SI_JZNS1_25segmented_radix_sort_implINS0_14default_configELb0EPKfPfPKlPlN2at6native12_GLOBAL__N_18offset_tEEE10hipError_tPvRmT1_PNSt15iterator_traitsIS12_E10value_typeET2_T3_PNS13_IS18_E10value_typeET4_jRbjT5_S1E_jjP12ihipStream_tbEUljE_ZNSN_ISO_Lb0ESQ_SR_ST_SU_SY_EESZ_S10_S11_S12_S16_S17_S18_S1B_S1C_jS1D_jS1E_S1E_jjS1G_bEUljE0_EEESZ_S10_S11_S18_S1C_S1E_T6_T7_T9_mT8_S1G_bDpT10_ENKUlT_T0_E_clISt17integral_constantIbLb0EES1U_EEDaS1P_S1Q_EUlS1P_E_NS1_11comp_targetILNS1_3genE0ELNS1_11target_archE4294967295ELNS1_3gpuE0ELNS1_3repE0EEENS1_30default_config_static_selectorELNS0_4arch9wavefront6targetE1EEEvS12_
                                        ; -- End function
	.section	.AMDGPU.csdata,"",@progbits
; Kernel info:
; codeLenInByte = 0
; NumSgprs: 4
; NumVgprs: 0
; NumAgprs: 0
; TotalNumVgprs: 0
; ScratchSize: 0
; MemoryBound: 0
; FloatMode: 240
; IeeeMode: 1
; LDSByteSize: 0 bytes/workgroup (compile time only)
; SGPRBlocks: 0
; VGPRBlocks: 0
; NumSGPRsForWavesPerEU: 4
; NumVGPRsForWavesPerEU: 1
; AccumOffset: 4
; Occupancy: 8
; WaveLimiterHint : 0
; COMPUTE_PGM_RSRC2:SCRATCH_EN: 0
; COMPUTE_PGM_RSRC2:USER_SGPR: 6
; COMPUTE_PGM_RSRC2:TRAP_HANDLER: 0
; COMPUTE_PGM_RSRC2:TGID_X_EN: 1
; COMPUTE_PGM_RSRC2:TGID_Y_EN: 0
; COMPUTE_PGM_RSRC2:TGID_Z_EN: 0
; COMPUTE_PGM_RSRC2:TIDIG_COMP_CNT: 0
; COMPUTE_PGM_RSRC3_GFX90A:ACCUM_OFFSET: 0
; COMPUTE_PGM_RSRC3_GFX90A:TG_SPLIT: 0
	.section	.text._ZN7rocprim17ROCPRIM_400000_NS6detail17trampoline_kernelINS0_13select_configILj256ELj13ELNS0_17block_load_methodE3ELS4_3ELS4_3ELNS0_20block_scan_algorithmE0ELj4294967295EEENS1_25partition_config_selectorILNS1_17partition_subalgoE4EjNS0_10empty_typeEbEEZZNS1_14partition_implILS8_4ELb0ES6_15HIP_vector_typeIjLj2EENS0_17counting_iteratorIjlEEPS9_SG_NS0_5tupleIJPjSI_NS0_16reverse_iteratorISI_EEEEENSH_IJSG_SG_SG_EEES9_SI_JZNS1_25segmented_radix_sort_implINS0_14default_configELb0EPKfPfPKlPlN2at6native12_GLOBAL__N_18offset_tEEE10hipError_tPvRmT1_PNSt15iterator_traitsIS12_E10value_typeET2_T3_PNS13_IS18_E10value_typeET4_jRbjT5_S1E_jjP12ihipStream_tbEUljE_ZNSN_ISO_Lb0ESQ_SR_ST_SU_SY_EESZ_S10_S11_S12_S16_S17_S18_S1B_S1C_jS1D_jS1E_S1E_jjS1G_bEUljE0_EEESZ_S10_S11_S18_S1C_S1E_T6_T7_T9_mT8_S1G_bDpT10_ENKUlT_T0_E_clISt17integral_constantIbLb0EES1U_EEDaS1P_S1Q_EUlS1P_E_NS1_11comp_targetILNS1_3genE5ELNS1_11target_archE942ELNS1_3gpuE9ELNS1_3repE0EEENS1_30default_config_static_selectorELNS0_4arch9wavefront6targetE1EEEvS12_,"axG",@progbits,_ZN7rocprim17ROCPRIM_400000_NS6detail17trampoline_kernelINS0_13select_configILj256ELj13ELNS0_17block_load_methodE3ELS4_3ELS4_3ELNS0_20block_scan_algorithmE0ELj4294967295EEENS1_25partition_config_selectorILNS1_17partition_subalgoE4EjNS0_10empty_typeEbEEZZNS1_14partition_implILS8_4ELb0ES6_15HIP_vector_typeIjLj2EENS0_17counting_iteratorIjlEEPS9_SG_NS0_5tupleIJPjSI_NS0_16reverse_iteratorISI_EEEEENSH_IJSG_SG_SG_EEES9_SI_JZNS1_25segmented_radix_sort_implINS0_14default_configELb0EPKfPfPKlPlN2at6native12_GLOBAL__N_18offset_tEEE10hipError_tPvRmT1_PNSt15iterator_traitsIS12_E10value_typeET2_T3_PNS13_IS18_E10value_typeET4_jRbjT5_S1E_jjP12ihipStream_tbEUljE_ZNSN_ISO_Lb0ESQ_SR_ST_SU_SY_EESZ_S10_S11_S12_S16_S17_S18_S1B_S1C_jS1D_jS1E_S1E_jjS1G_bEUljE0_EEESZ_S10_S11_S18_S1C_S1E_T6_T7_T9_mT8_S1G_bDpT10_ENKUlT_T0_E_clISt17integral_constantIbLb0EES1U_EEDaS1P_S1Q_EUlS1P_E_NS1_11comp_targetILNS1_3genE5ELNS1_11target_archE942ELNS1_3gpuE9ELNS1_3repE0EEENS1_30default_config_static_selectorELNS0_4arch9wavefront6targetE1EEEvS12_,comdat
	.globl	_ZN7rocprim17ROCPRIM_400000_NS6detail17trampoline_kernelINS0_13select_configILj256ELj13ELNS0_17block_load_methodE3ELS4_3ELS4_3ELNS0_20block_scan_algorithmE0ELj4294967295EEENS1_25partition_config_selectorILNS1_17partition_subalgoE4EjNS0_10empty_typeEbEEZZNS1_14partition_implILS8_4ELb0ES6_15HIP_vector_typeIjLj2EENS0_17counting_iteratorIjlEEPS9_SG_NS0_5tupleIJPjSI_NS0_16reverse_iteratorISI_EEEEENSH_IJSG_SG_SG_EEES9_SI_JZNS1_25segmented_radix_sort_implINS0_14default_configELb0EPKfPfPKlPlN2at6native12_GLOBAL__N_18offset_tEEE10hipError_tPvRmT1_PNSt15iterator_traitsIS12_E10value_typeET2_T3_PNS13_IS18_E10value_typeET4_jRbjT5_S1E_jjP12ihipStream_tbEUljE_ZNSN_ISO_Lb0ESQ_SR_ST_SU_SY_EESZ_S10_S11_S12_S16_S17_S18_S1B_S1C_jS1D_jS1E_S1E_jjS1G_bEUljE0_EEESZ_S10_S11_S18_S1C_S1E_T6_T7_T9_mT8_S1G_bDpT10_ENKUlT_T0_E_clISt17integral_constantIbLb0EES1U_EEDaS1P_S1Q_EUlS1P_E_NS1_11comp_targetILNS1_3genE5ELNS1_11target_archE942ELNS1_3gpuE9ELNS1_3repE0EEENS1_30default_config_static_selectorELNS0_4arch9wavefront6targetE1EEEvS12_ ; -- Begin function _ZN7rocprim17ROCPRIM_400000_NS6detail17trampoline_kernelINS0_13select_configILj256ELj13ELNS0_17block_load_methodE3ELS4_3ELS4_3ELNS0_20block_scan_algorithmE0ELj4294967295EEENS1_25partition_config_selectorILNS1_17partition_subalgoE4EjNS0_10empty_typeEbEEZZNS1_14partition_implILS8_4ELb0ES6_15HIP_vector_typeIjLj2EENS0_17counting_iteratorIjlEEPS9_SG_NS0_5tupleIJPjSI_NS0_16reverse_iteratorISI_EEEEENSH_IJSG_SG_SG_EEES9_SI_JZNS1_25segmented_radix_sort_implINS0_14default_configELb0EPKfPfPKlPlN2at6native12_GLOBAL__N_18offset_tEEE10hipError_tPvRmT1_PNSt15iterator_traitsIS12_E10value_typeET2_T3_PNS13_IS18_E10value_typeET4_jRbjT5_S1E_jjP12ihipStream_tbEUljE_ZNSN_ISO_Lb0ESQ_SR_ST_SU_SY_EESZ_S10_S11_S12_S16_S17_S18_S1B_S1C_jS1D_jS1E_S1E_jjS1G_bEUljE0_EEESZ_S10_S11_S18_S1C_S1E_T6_T7_T9_mT8_S1G_bDpT10_ENKUlT_T0_E_clISt17integral_constantIbLb0EES1U_EEDaS1P_S1Q_EUlS1P_E_NS1_11comp_targetILNS1_3genE5ELNS1_11target_archE942ELNS1_3gpuE9ELNS1_3repE0EEENS1_30default_config_static_selectorELNS0_4arch9wavefront6targetE1EEEvS12_
	.p2align	8
	.type	_ZN7rocprim17ROCPRIM_400000_NS6detail17trampoline_kernelINS0_13select_configILj256ELj13ELNS0_17block_load_methodE3ELS4_3ELS4_3ELNS0_20block_scan_algorithmE0ELj4294967295EEENS1_25partition_config_selectorILNS1_17partition_subalgoE4EjNS0_10empty_typeEbEEZZNS1_14partition_implILS8_4ELb0ES6_15HIP_vector_typeIjLj2EENS0_17counting_iteratorIjlEEPS9_SG_NS0_5tupleIJPjSI_NS0_16reverse_iteratorISI_EEEEENSH_IJSG_SG_SG_EEES9_SI_JZNS1_25segmented_radix_sort_implINS0_14default_configELb0EPKfPfPKlPlN2at6native12_GLOBAL__N_18offset_tEEE10hipError_tPvRmT1_PNSt15iterator_traitsIS12_E10value_typeET2_T3_PNS13_IS18_E10value_typeET4_jRbjT5_S1E_jjP12ihipStream_tbEUljE_ZNSN_ISO_Lb0ESQ_SR_ST_SU_SY_EESZ_S10_S11_S12_S16_S17_S18_S1B_S1C_jS1D_jS1E_S1E_jjS1G_bEUljE0_EEESZ_S10_S11_S18_S1C_S1E_T6_T7_T9_mT8_S1G_bDpT10_ENKUlT_T0_E_clISt17integral_constantIbLb0EES1U_EEDaS1P_S1Q_EUlS1P_E_NS1_11comp_targetILNS1_3genE5ELNS1_11target_archE942ELNS1_3gpuE9ELNS1_3repE0EEENS1_30default_config_static_selectorELNS0_4arch9wavefront6targetE1EEEvS12_,@function
_ZN7rocprim17ROCPRIM_400000_NS6detail17trampoline_kernelINS0_13select_configILj256ELj13ELNS0_17block_load_methodE3ELS4_3ELS4_3ELNS0_20block_scan_algorithmE0ELj4294967295EEENS1_25partition_config_selectorILNS1_17partition_subalgoE4EjNS0_10empty_typeEbEEZZNS1_14partition_implILS8_4ELb0ES6_15HIP_vector_typeIjLj2EENS0_17counting_iteratorIjlEEPS9_SG_NS0_5tupleIJPjSI_NS0_16reverse_iteratorISI_EEEEENSH_IJSG_SG_SG_EEES9_SI_JZNS1_25segmented_radix_sort_implINS0_14default_configELb0EPKfPfPKlPlN2at6native12_GLOBAL__N_18offset_tEEE10hipError_tPvRmT1_PNSt15iterator_traitsIS12_E10value_typeET2_T3_PNS13_IS18_E10value_typeET4_jRbjT5_S1E_jjP12ihipStream_tbEUljE_ZNSN_ISO_Lb0ESQ_SR_ST_SU_SY_EESZ_S10_S11_S12_S16_S17_S18_S1B_S1C_jS1D_jS1E_S1E_jjS1G_bEUljE0_EEESZ_S10_S11_S18_S1C_S1E_T6_T7_T9_mT8_S1G_bDpT10_ENKUlT_T0_E_clISt17integral_constantIbLb0EES1U_EEDaS1P_S1Q_EUlS1P_E_NS1_11comp_targetILNS1_3genE5ELNS1_11target_archE942ELNS1_3gpuE9ELNS1_3repE0EEENS1_30default_config_static_selectorELNS0_4arch9wavefront6targetE1EEEvS12_: ; @_ZN7rocprim17ROCPRIM_400000_NS6detail17trampoline_kernelINS0_13select_configILj256ELj13ELNS0_17block_load_methodE3ELS4_3ELS4_3ELNS0_20block_scan_algorithmE0ELj4294967295EEENS1_25partition_config_selectorILNS1_17partition_subalgoE4EjNS0_10empty_typeEbEEZZNS1_14partition_implILS8_4ELb0ES6_15HIP_vector_typeIjLj2EENS0_17counting_iteratorIjlEEPS9_SG_NS0_5tupleIJPjSI_NS0_16reverse_iteratorISI_EEEEENSH_IJSG_SG_SG_EEES9_SI_JZNS1_25segmented_radix_sort_implINS0_14default_configELb0EPKfPfPKlPlN2at6native12_GLOBAL__N_18offset_tEEE10hipError_tPvRmT1_PNSt15iterator_traitsIS12_E10value_typeET2_T3_PNS13_IS18_E10value_typeET4_jRbjT5_S1E_jjP12ihipStream_tbEUljE_ZNSN_ISO_Lb0ESQ_SR_ST_SU_SY_EESZ_S10_S11_S12_S16_S17_S18_S1B_S1C_jS1D_jS1E_S1E_jjS1G_bEUljE0_EEESZ_S10_S11_S18_S1C_S1E_T6_T7_T9_mT8_S1G_bDpT10_ENKUlT_T0_E_clISt17integral_constantIbLb0EES1U_EEDaS1P_S1Q_EUlS1P_E_NS1_11comp_targetILNS1_3genE5ELNS1_11target_archE942ELNS1_3gpuE9ELNS1_3repE0EEENS1_30default_config_static_selectorELNS0_4arch9wavefront6targetE1EEEvS12_
; %bb.0:
	.section	.rodata,"a",@progbits
	.p2align	6, 0x0
	.amdhsa_kernel _ZN7rocprim17ROCPRIM_400000_NS6detail17trampoline_kernelINS0_13select_configILj256ELj13ELNS0_17block_load_methodE3ELS4_3ELS4_3ELNS0_20block_scan_algorithmE0ELj4294967295EEENS1_25partition_config_selectorILNS1_17partition_subalgoE4EjNS0_10empty_typeEbEEZZNS1_14partition_implILS8_4ELb0ES6_15HIP_vector_typeIjLj2EENS0_17counting_iteratorIjlEEPS9_SG_NS0_5tupleIJPjSI_NS0_16reverse_iteratorISI_EEEEENSH_IJSG_SG_SG_EEES9_SI_JZNS1_25segmented_radix_sort_implINS0_14default_configELb0EPKfPfPKlPlN2at6native12_GLOBAL__N_18offset_tEEE10hipError_tPvRmT1_PNSt15iterator_traitsIS12_E10value_typeET2_T3_PNS13_IS18_E10value_typeET4_jRbjT5_S1E_jjP12ihipStream_tbEUljE_ZNSN_ISO_Lb0ESQ_SR_ST_SU_SY_EESZ_S10_S11_S12_S16_S17_S18_S1B_S1C_jS1D_jS1E_S1E_jjS1G_bEUljE0_EEESZ_S10_S11_S18_S1C_S1E_T6_T7_T9_mT8_S1G_bDpT10_ENKUlT_T0_E_clISt17integral_constantIbLb0EES1U_EEDaS1P_S1Q_EUlS1P_E_NS1_11comp_targetILNS1_3genE5ELNS1_11target_archE942ELNS1_3gpuE9ELNS1_3repE0EEENS1_30default_config_static_selectorELNS0_4arch9wavefront6targetE1EEEvS12_
		.amdhsa_group_segment_fixed_size 0
		.amdhsa_private_segment_fixed_size 0
		.amdhsa_kernarg_size 176
		.amdhsa_user_sgpr_count 6
		.amdhsa_user_sgpr_private_segment_buffer 1
		.amdhsa_user_sgpr_dispatch_ptr 0
		.amdhsa_user_sgpr_queue_ptr 0
		.amdhsa_user_sgpr_kernarg_segment_ptr 1
		.amdhsa_user_sgpr_dispatch_id 0
		.amdhsa_user_sgpr_flat_scratch_init 0
		.amdhsa_user_sgpr_kernarg_preload_length 0
		.amdhsa_user_sgpr_kernarg_preload_offset 0
		.amdhsa_user_sgpr_private_segment_size 0
		.amdhsa_uses_dynamic_stack 0
		.amdhsa_system_sgpr_private_segment_wavefront_offset 0
		.amdhsa_system_sgpr_workgroup_id_x 1
		.amdhsa_system_sgpr_workgroup_id_y 0
		.amdhsa_system_sgpr_workgroup_id_z 0
		.amdhsa_system_sgpr_workgroup_info 0
		.amdhsa_system_vgpr_workitem_id 0
		.amdhsa_next_free_vgpr 1
		.amdhsa_next_free_sgpr 0
		.amdhsa_accum_offset 4
		.amdhsa_reserve_vcc 0
		.amdhsa_reserve_flat_scratch 0
		.amdhsa_float_round_mode_32 0
		.amdhsa_float_round_mode_16_64 0
		.amdhsa_float_denorm_mode_32 3
		.amdhsa_float_denorm_mode_16_64 3
		.amdhsa_dx10_clamp 1
		.amdhsa_ieee_mode 1
		.amdhsa_fp16_overflow 0
		.amdhsa_tg_split 0
		.amdhsa_exception_fp_ieee_invalid_op 0
		.amdhsa_exception_fp_denorm_src 0
		.amdhsa_exception_fp_ieee_div_zero 0
		.amdhsa_exception_fp_ieee_overflow 0
		.amdhsa_exception_fp_ieee_underflow 0
		.amdhsa_exception_fp_ieee_inexact 0
		.amdhsa_exception_int_div_zero 0
	.end_amdhsa_kernel
	.section	.text._ZN7rocprim17ROCPRIM_400000_NS6detail17trampoline_kernelINS0_13select_configILj256ELj13ELNS0_17block_load_methodE3ELS4_3ELS4_3ELNS0_20block_scan_algorithmE0ELj4294967295EEENS1_25partition_config_selectorILNS1_17partition_subalgoE4EjNS0_10empty_typeEbEEZZNS1_14partition_implILS8_4ELb0ES6_15HIP_vector_typeIjLj2EENS0_17counting_iteratorIjlEEPS9_SG_NS0_5tupleIJPjSI_NS0_16reverse_iteratorISI_EEEEENSH_IJSG_SG_SG_EEES9_SI_JZNS1_25segmented_radix_sort_implINS0_14default_configELb0EPKfPfPKlPlN2at6native12_GLOBAL__N_18offset_tEEE10hipError_tPvRmT1_PNSt15iterator_traitsIS12_E10value_typeET2_T3_PNS13_IS18_E10value_typeET4_jRbjT5_S1E_jjP12ihipStream_tbEUljE_ZNSN_ISO_Lb0ESQ_SR_ST_SU_SY_EESZ_S10_S11_S12_S16_S17_S18_S1B_S1C_jS1D_jS1E_S1E_jjS1G_bEUljE0_EEESZ_S10_S11_S18_S1C_S1E_T6_T7_T9_mT8_S1G_bDpT10_ENKUlT_T0_E_clISt17integral_constantIbLb0EES1U_EEDaS1P_S1Q_EUlS1P_E_NS1_11comp_targetILNS1_3genE5ELNS1_11target_archE942ELNS1_3gpuE9ELNS1_3repE0EEENS1_30default_config_static_selectorELNS0_4arch9wavefront6targetE1EEEvS12_,"axG",@progbits,_ZN7rocprim17ROCPRIM_400000_NS6detail17trampoline_kernelINS0_13select_configILj256ELj13ELNS0_17block_load_methodE3ELS4_3ELS4_3ELNS0_20block_scan_algorithmE0ELj4294967295EEENS1_25partition_config_selectorILNS1_17partition_subalgoE4EjNS0_10empty_typeEbEEZZNS1_14partition_implILS8_4ELb0ES6_15HIP_vector_typeIjLj2EENS0_17counting_iteratorIjlEEPS9_SG_NS0_5tupleIJPjSI_NS0_16reverse_iteratorISI_EEEEENSH_IJSG_SG_SG_EEES9_SI_JZNS1_25segmented_radix_sort_implINS0_14default_configELb0EPKfPfPKlPlN2at6native12_GLOBAL__N_18offset_tEEE10hipError_tPvRmT1_PNSt15iterator_traitsIS12_E10value_typeET2_T3_PNS13_IS18_E10value_typeET4_jRbjT5_S1E_jjP12ihipStream_tbEUljE_ZNSN_ISO_Lb0ESQ_SR_ST_SU_SY_EESZ_S10_S11_S12_S16_S17_S18_S1B_S1C_jS1D_jS1E_S1E_jjS1G_bEUljE0_EEESZ_S10_S11_S18_S1C_S1E_T6_T7_T9_mT8_S1G_bDpT10_ENKUlT_T0_E_clISt17integral_constantIbLb0EES1U_EEDaS1P_S1Q_EUlS1P_E_NS1_11comp_targetILNS1_3genE5ELNS1_11target_archE942ELNS1_3gpuE9ELNS1_3repE0EEENS1_30default_config_static_selectorELNS0_4arch9wavefront6targetE1EEEvS12_,comdat
.Lfunc_end1363:
	.size	_ZN7rocprim17ROCPRIM_400000_NS6detail17trampoline_kernelINS0_13select_configILj256ELj13ELNS0_17block_load_methodE3ELS4_3ELS4_3ELNS0_20block_scan_algorithmE0ELj4294967295EEENS1_25partition_config_selectorILNS1_17partition_subalgoE4EjNS0_10empty_typeEbEEZZNS1_14partition_implILS8_4ELb0ES6_15HIP_vector_typeIjLj2EENS0_17counting_iteratorIjlEEPS9_SG_NS0_5tupleIJPjSI_NS0_16reverse_iteratorISI_EEEEENSH_IJSG_SG_SG_EEES9_SI_JZNS1_25segmented_radix_sort_implINS0_14default_configELb0EPKfPfPKlPlN2at6native12_GLOBAL__N_18offset_tEEE10hipError_tPvRmT1_PNSt15iterator_traitsIS12_E10value_typeET2_T3_PNS13_IS18_E10value_typeET4_jRbjT5_S1E_jjP12ihipStream_tbEUljE_ZNSN_ISO_Lb0ESQ_SR_ST_SU_SY_EESZ_S10_S11_S12_S16_S17_S18_S1B_S1C_jS1D_jS1E_S1E_jjS1G_bEUljE0_EEESZ_S10_S11_S18_S1C_S1E_T6_T7_T9_mT8_S1G_bDpT10_ENKUlT_T0_E_clISt17integral_constantIbLb0EES1U_EEDaS1P_S1Q_EUlS1P_E_NS1_11comp_targetILNS1_3genE5ELNS1_11target_archE942ELNS1_3gpuE9ELNS1_3repE0EEENS1_30default_config_static_selectorELNS0_4arch9wavefront6targetE1EEEvS12_, .Lfunc_end1363-_ZN7rocprim17ROCPRIM_400000_NS6detail17trampoline_kernelINS0_13select_configILj256ELj13ELNS0_17block_load_methodE3ELS4_3ELS4_3ELNS0_20block_scan_algorithmE0ELj4294967295EEENS1_25partition_config_selectorILNS1_17partition_subalgoE4EjNS0_10empty_typeEbEEZZNS1_14partition_implILS8_4ELb0ES6_15HIP_vector_typeIjLj2EENS0_17counting_iteratorIjlEEPS9_SG_NS0_5tupleIJPjSI_NS0_16reverse_iteratorISI_EEEEENSH_IJSG_SG_SG_EEES9_SI_JZNS1_25segmented_radix_sort_implINS0_14default_configELb0EPKfPfPKlPlN2at6native12_GLOBAL__N_18offset_tEEE10hipError_tPvRmT1_PNSt15iterator_traitsIS12_E10value_typeET2_T3_PNS13_IS18_E10value_typeET4_jRbjT5_S1E_jjP12ihipStream_tbEUljE_ZNSN_ISO_Lb0ESQ_SR_ST_SU_SY_EESZ_S10_S11_S12_S16_S17_S18_S1B_S1C_jS1D_jS1E_S1E_jjS1G_bEUljE0_EEESZ_S10_S11_S18_S1C_S1E_T6_T7_T9_mT8_S1G_bDpT10_ENKUlT_T0_E_clISt17integral_constantIbLb0EES1U_EEDaS1P_S1Q_EUlS1P_E_NS1_11comp_targetILNS1_3genE5ELNS1_11target_archE942ELNS1_3gpuE9ELNS1_3repE0EEENS1_30default_config_static_selectorELNS0_4arch9wavefront6targetE1EEEvS12_
                                        ; -- End function
	.section	.AMDGPU.csdata,"",@progbits
; Kernel info:
; codeLenInByte = 0
; NumSgprs: 4
; NumVgprs: 0
; NumAgprs: 0
; TotalNumVgprs: 0
; ScratchSize: 0
; MemoryBound: 0
; FloatMode: 240
; IeeeMode: 1
; LDSByteSize: 0 bytes/workgroup (compile time only)
; SGPRBlocks: 0
; VGPRBlocks: 0
; NumSGPRsForWavesPerEU: 4
; NumVGPRsForWavesPerEU: 1
; AccumOffset: 4
; Occupancy: 8
; WaveLimiterHint : 0
; COMPUTE_PGM_RSRC2:SCRATCH_EN: 0
; COMPUTE_PGM_RSRC2:USER_SGPR: 6
; COMPUTE_PGM_RSRC2:TRAP_HANDLER: 0
; COMPUTE_PGM_RSRC2:TGID_X_EN: 1
; COMPUTE_PGM_RSRC2:TGID_Y_EN: 0
; COMPUTE_PGM_RSRC2:TGID_Z_EN: 0
; COMPUTE_PGM_RSRC2:TIDIG_COMP_CNT: 0
; COMPUTE_PGM_RSRC3_GFX90A:ACCUM_OFFSET: 0
; COMPUTE_PGM_RSRC3_GFX90A:TG_SPLIT: 0
	.section	.text._ZN7rocprim17ROCPRIM_400000_NS6detail17trampoline_kernelINS0_13select_configILj256ELj13ELNS0_17block_load_methodE3ELS4_3ELS4_3ELNS0_20block_scan_algorithmE0ELj4294967295EEENS1_25partition_config_selectorILNS1_17partition_subalgoE4EjNS0_10empty_typeEbEEZZNS1_14partition_implILS8_4ELb0ES6_15HIP_vector_typeIjLj2EENS0_17counting_iteratorIjlEEPS9_SG_NS0_5tupleIJPjSI_NS0_16reverse_iteratorISI_EEEEENSH_IJSG_SG_SG_EEES9_SI_JZNS1_25segmented_radix_sort_implINS0_14default_configELb0EPKfPfPKlPlN2at6native12_GLOBAL__N_18offset_tEEE10hipError_tPvRmT1_PNSt15iterator_traitsIS12_E10value_typeET2_T3_PNS13_IS18_E10value_typeET4_jRbjT5_S1E_jjP12ihipStream_tbEUljE_ZNSN_ISO_Lb0ESQ_SR_ST_SU_SY_EESZ_S10_S11_S12_S16_S17_S18_S1B_S1C_jS1D_jS1E_S1E_jjS1G_bEUljE0_EEESZ_S10_S11_S18_S1C_S1E_T6_T7_T9_mT8_S1G_bDpT10_ENKUlT_T0_E_clISt17integral_constantIbLb0EES1U_EEDaS1P_S1Q_EUlS1P_E_NS1_11comp_targetILNS1_3genE4ELNS1_11target_archE910ELNS1_3gpuE8ELNS1_3repE0EEENS1_30default_config_static_selectorELNS0_4arch9wavefront6targetE1EEEvS12_,"axG",@progbits,_ZN7rocprim17ROCPRIM_400000_NS6detail17trampoline_kernelINS0_13select_configILj256ELj13ELNS0_17block_load_methodE3ELS4_3ELS4_3ELNS0_20block_scan_algorithmE0ELj4294967295EEENS1_25partition_config_selectorILNS1_17partition_subalgoE4EjNS0_10empty_typeEbEEZZNS1_14partition_implILS8_4ELb0ES6_15HIP_vector_typeIjLj2EENS0_17counting_iteratorIjlEEPS9_SG_NS0_5tupleIJPjSI_NS0_16reverse_iteratorISI_EEEEENSH_IJSG_SG_SG_EEES9_SI_JZNS1_25segmented_radix_sort_implINS0_14default_configELb0EPKfPfPKlPlN2at6native12_GLOBAL__N_18offset_tEEE10hipError_tPvRmT1_PNSt15iterator_traitsIS12_E10value_typeET2_T3_PNS13_IS18_E10value_typeET4_jRbjT5_S1E_jjP12ihipStream_tbEUljE_ZNSN_ISO_Lb0ESQ_SR_ST_SU_SY_EESZ_S10_S11_S12_S16_S17_S18_S1B_S1C_jS1D_jS1E_S1E_jjS1G_bEUljE0_EEESZ_S10_S11_S18_S1C_S1E_T6_T7_T9_mT8_S1G_bDpT10_ENKUlT_T0_E_clISt17integral_constantIbLb0EES1U_EEDaS1P_S1Q_EUlS1P_E_NS1_11comp_targetILNS1_3genE4ELNS1_11target_archE910ELNS1_3gpuE8ELNS1_3repE0EEENS1_30default_config_static_selectorELNS0_4arch9wavefront6targetE1EEEvS12_,comdat
	.globl	_ZN7rocprim17ROCPRIM_400000_NS6detail17trampoline_kernelINS0_13select_configILj256ELj13ELNS0_17block_load_methodE3ELS4_3ELS4_3ELNS0_20block_scan_algorithmE0ELj4294967295EEENS1_25partition_config_selectorILNS1_17partition_subalgoE4EjNS0_10empty_typeEbEEZZNS1_14partition_implILS8_4ELb0ES6_15HIP_vector_typeIjLj2EENS0_17counting_iteratorIjlEEPS9_SG_NS0_5tupleIJPjSI_NS0_16reverse_iteratorISI_EEEEENSH_IJSG_SG_SG_EEES9_SI_JZNS1_25segmented_radix_sort_implINS0_14default_configELb0EPKfPfPKlPlN2at6native12_GLOBAL__N_18offset_tEEE10hipError_tPvRmT1_PNSt15iterator_traitsIS12_E10value_typeET2_T3_PNS13_IS18_E10value_typeET4_jRbjT5_S1E_jjP12ihipStream_tbEUljE_ZNSN_ISO_Lb0ESQ_SR_ST_SU_SY_EESZ_S10_S11_S12_S16_S17_S18_S1B_S1C_jS1D_jS1E_S1E_jjS1G_bEUljE0_EEESZ_S10_S11_S18_S1C_S1E_T6_T7_T9_mT8_S1G_bDpT10_ENKUlT_T0_E_clISt17integral_constantIbLb0EES1U_EEDaS1P_S1Q_EUlS1P_E_NS1_11comp_targetILNS1_3genE4ELNS1_11target_archE910ELNS1_3gpuE8ELNS1_3repE0EEENS1_30default_config_static_selectorELNS0_4arch9wavefront6targetE1EEEvS12_ ; -- Begin function _ZN7rocprim17ROCPRIM_400000_NS6detail17trampoline_kernelINS0_13select_configILj256ELj13ELNS0_17block_load_methodE3ELS4_3ELS4_3ELNS0_20block_scan_algorithmE0ELj4294967295EEENS1_25partition_config_selectorILNS1_17partition_subalgoE4EjNS0_10empty_typeEbEEZZNS1_14partition_implILS8_4ELb0ES6_15HIP_vector_typeIjLj2EENS0_17counting_iteratorIjlEEPS9_SG_NS0_5tupleIJPjSI_NS0_16reverse_iteratorISI_EEEEENSH_IJSG_SG_SG_EEES9_SI_JZNS1_25segmented_radix_sort_implINS0_14default_configELb0EPKfPfPKlPlN2at6native12_GLOBAL__N_18offset_tEEE10hipError_tPvRmT1_PNSt15iterator_traitsIS12_E10value_typeET2_T3_PNS13_IS18_E10value_typeET4_jRbjT5_S1E_jjP12ihipStream_tbEUljE_ZNSN_ISO_Lb0ESQ_SR_ST_SU_SY_EESZ_S10_S11_S12_S16_S17_S18_S1B_S1C_jS1D_jS1E_S1E_jjS1G_bEUljE0_EEESZ_S10_S11_S18_S1C_S1E_T6_T7_T9_mT8_S1G_bDpT10_ENKUlT_T0_E_clISt17integral_constantIbLb0EES1U_EEDaS1P_S1Q_EUlS1P_E_NS1_11comp_targetILNS1_3genE4ELNS1_11target_archE910ELNS1_3gpuE8ELNS1_3repE0EEENS1_30default_config_static_selectorELNS0_4arch9wavefront6targetE1EEEvS12_
	.p2align	8
	.type	_ZN7rocprim17ROCPRIM_400000_NS6detail17trampoline_kernelINS0_13select_configILj256ELj13ELNS0_17block_load_methodE3ELS4_3ELS4_3ELNS0_20block_scan_algorithmE0ELj4294967295EEENS1_25partition_config_selectorILNS1_17partition_subalgoE4EjNS0_10empty_typeEbEEZZNS1_14partition_implILS8_4ELb0ES6_15HIP_vector_typeIjLj2EENS0_17counting_iteratorIjlEEPS9_SG_NS0_5tupleIJPjSI_NS0_16reverse_iteratorISI_EEEEENSH_IJSG_SG_SG_EEES9_SI_JZNS1_25segmented_radix_sort_implINS0_14default_configELb0EPKfPfPKlPlN2at6native12_GLOBAL__N_18offset_tEEE10hipError_tPvRmT1_PNSt15iterator_traitsIS12_E10value_typeET2_T3_PNS13_IS18_E10value_typeET4_jRbjT5_S1E_jjP12ihipStream_tbEUljE_ZNSN_ISO_Lb0ESQ_SR_ST_SU_SY_EESZ_S10_S11_S12_S16_S17_S18_S1B_S1C_jS1D_jS1E_S1E_jjS1G_bEUljE0_EEESZ_S10_S11_S18_S1C_S1E_T6_T7_T9_mT8_S1G_bDpT10_ENKUlT_T0_E_clISt17integral_constantIbLb0EES1U_EEDaS1P_S1Q_EUlS1P_E_NS1_11comp_targetILNS1_3genE4ELNS1_11target_archE910ELNS1_3gpuE8ELNS1_3repE0EEENS1_30default_config_static_selectorELNS0_4arch9wavefront6targetE1EEEvS12_,@function
_ZN7rocprim17ROCPRIM_400000_NS6detail17trampoline_kernelINS0_13select_configILj256ELj13ELNS0_17block_load_methodE3ELS4_3ELS4_3ELNS0_20block_scan_algorithmE0ELj4294967295EEENS1_25partition_config_selectorILNS1_17partition_subalgoE4EjNS0_10empty_typeEbEEZZNS1_14partition_implILS8_4ELb0ES6_15HIP_vector_typeIjLj2EENS0_17counting_iteratorIjlEEPS9_SG_NS0_5tupleIJPjSI_NS0_16reverse_iteratorISI_EEEEENSH_IJSG_SG_SG_EEES9_SI_JZNS1_25segmented_radix_sort_implINS0_14default_configELb0EPKfPfPKlPlN2at6native12_GLOBAL__N_18offset_tEEE10hipError_tPvRmT1_PNSt15iterator_traitsIS12_E10value_typeET2_T3_PNS13_IS18_E10value_typeET4_jRbjT5_S1E_jjP12ihipStream_tbEUljE_ZNSN_ISO_Lb0ESQ_SR_ST_SU_SY_EESZ_S10_S11_S12_S16_S17_S18_S1B_S1C_jS1D_jS1E_S1E_jjS1G_bEUljE0_EEESZ_S10_S11_S18_S1C_S1E_T6_T7_T9_mT8_S1G_bDpT10_ENKUlT_T0_E_clISt17integral_constantIbLb0EES1U_EEDaS1P_S1Q_EUlS1P_E_NS1_11comp_targetILNS1_3genE4ELNS1_11target_archE910ELNS1_3gpuE8ELNS1_3repE0EEENS1_30default_config_static_selectorELNS0_4arch9wavefront6targetE1EEEvS12_: ; @_ZN7rocprim17ROCPRIM_400000_NS6detail17trampoline_kernelINS0_13select_configILj256ELj13ELNS0_17block_load_methodE3ELS4_3ELS4_3ELNS0_20block_scan_algorithmE0ELj4294967295EEENS1_25partition_config_selectorILNS1_17partition_subalgoE4EjNS0_10empty_typeEbEEZZNS1_14partition_implILS8_4ELb0ES6_15HIP_vector_typeIjLj2EENS0_17counting_iteratorIjlEEPS9_SG_NS0_5tupleIJPjSI_NS0_16reverse_iteratorISI_EEEEENSH_IJSG_SG_SG_EEES9_SI_JZNS1_25segmented_radix_sort_implINS0_14default_configELb0EPKfPfPKlPlN2at6native12_GLOBAL__N_18offset_tEEE10hipError_tPvRmT1_PNSt15iterator_traitsIS12_E10value_typeET2_T3_PNS13_IS18_E10value_typeET4_jRbjT5_S1E_jjP12ihipStream_tbEUljE_ZNSN_ISO_Lb0ESQ_SR_ST_SU_SY_EESZ_S10_S11_S12_S16_S17_S18_S1B_S1C_jS1D_jS1E_S1E_jjS1G_bEUljE0_EEESZ_S10_S11_S18_S1C_S1E_T6_T7_T9_mT8_S1G_bDpT10_ENKUlT_T0_E_clISt17integral_constantIbLb0EES1U_EEDaS1P_S1Q_EUlS1P_E_NS1_11comp_targetILNS1_3genE4ELNS1_11target_archE910ELNS1_3gpuE8ELNS1_3repE0EEENS1_30default_config_static_selectorELNS0_4arch9wavefront6targetE1EEEvS12_
; %bb.0:
	s_load_dwordx2 s[0:1], s[4:5], 0x68
	s_load_dword s7, s[4:5], 0x8
	s_load_dwordx2 s[56:57], s[4:5], 0x10
	s_load_dwordx4 s[44:47], s[4:5], 0x58
	s_mul_i32 s33, s6, 0xd00
	s_waitcnt lgkmcnt(0)
	v_mov_b32_e32 v3, s1
	v_mov_b32_e32 v2, s0
	s_load_dword s1, s[4:5], 0x80
	s_load_dwordx2 s[60:61], s[4:5], 0xa8
	s_load_dwordx8 s[36:43], s[4:5], 0x88
	s_load_dwordx4 s[48:51], s[46:47], 0x0
	s_waitcnt lgkmcnt(0)
	s_add_i32 s8, s1, -1
	s_mulk_i32 s1, 0xd00
	s_add_u32 s2, s56, s1
	s_addc_u32 s3, s57, 0
	s_cmp_eq_u32 s6, s8
	s_cselect_b64 s[30:31], -1, 0
	s_cmp_lg_u32 s6, s8
	v_cmp_lt_u64_e32 vcc, s[2:3], v[2:3]
	s_cselect_b64 s[2:3], -1, 0
	s_add_i32 s7, s7, s33
	s_or_b64 s[2:3], s[2:3], vcc
	s_add_i32 s7, s7, s56
	v_add_u32_e32 v1, s7, v0
	s_mov_b64 s[8:9], -1
	s_and_b64 vcc, exec, s[2:3]
	s_cbranch_vccz .LBB1364_2
; %bb.1:
	v_add_u32_e32 v2, 0x100, v1
	v_lshlrev_b32_e32 v14, 2, v0
	v_add_u32_e32 v3, 0x200, v1
	v_add_u32_e32 v4, 0x300, v1
	;; [unrolled: 1-line block ×11, first 2 shown]
	ds_write2st64_b32 v14, v1, v2 offset1:4
	ds_write2st64_b32 v14, v3, v4 offset0:8 offset1:12
	ds_write2st64_b32 v14, v5, v6 offset0:16 offset1:20
	;; [unrolled: 1-line block ×5, first 2 shown]
	ds_write_b32 v14, v13 offset:12288
	s_waitcnt lgkmcnt(0)
	s_barrier
	s_mov_b64 s[8:9], 0
.LBB1364_2:
	s_andn2_b64 vcc, exec, s[8:9]
	s_add_i32 s1, s1, s56
	s_cbranch_vccnz .LBB1364_4
; %bb.3:
	v_add_u32_e32 v2, 0x100, v1
	v_lshlrev_b32_e32 v14, 2, v0
	v_add_u32_e32 v3, 0x200, v1
	v_add_u32_e32 v4, 0x300, v1
	;; [unrolled: 1-line block ×11, first 2 shown]
	ds_write2st64_b32 v14, v1, v2 offset1:4
	ds_write2st64_b32 v14, v3, v4 offset0:8 offset1:12
	ds_write2st64_b32 v14, v5, v6 offset0:16 offset1:20
	;; [unrolled: 1-line block ×5, first 2 shown]
	ds_write_b32 v14, v13 offset:12288
	s_waitcnt lgkmcnt(0)
	s_barrier
.LBB1364_4:
	v_mul_u32_u24_e32 v31, 13, v0
	v_lshlrev_b32_e32 v1, 2, v31
	s_load_dwordx4 s[52:55], s[4:5], 0x28
	s_load_dwordx2 s[34:35], s[4:5], 0x38
	s_waitcnt lgkmcnt(0)
	ds_read2_b32 v[18:19], v1 offset1:1
	ds_read2_b32 v[16:17], v1 offset0:2 offset1:3
	ds_read2_b32 v[14:15], v1 offset0:4 offset1:5
	;; [unrolled: 1-line block ×5, first 2 shown]
	ds_read_b32 v30, v1 offset:48
	v_cndmask_b32_e64 v1, 0, 1, s[2:3]
	s_sub_i32 s7, s0, s1
	v_cmp_ne_u32_e64 s[0:1], 1, v1
	s_andn2_b64 vcc, exec, s[2:3]
	s_waitcnt lgkmcnt(0)
	s_barrier
	s_cbranch_vccnz .LBB1364_32
; %bb.5:
	v_add_u32_e32 v1, s37, v18
	v_add_u32_e32 v2, s39, v18
	v_mul_lo_u32 v1, v1, s36
	v_mul_lo_u32 v2, v2, s38
	v_sub_u32_e32 v1, v1, v2
	v_cmp_lt_u32_e32 vcc, s40, v1
	v_cmp_ge_u32_e64 s[2:3], s40, v1
	s_mov_b64 s[64:65], 0
	s_mov_b64 s[62:63], 0
	s_and_saveexec_b64 s[8:9], s[2:3]
; %bb.6:
	v_add_u32_e32 v1, s42, v18
	v_add_u32_e32 v2, s60, v18
	v_mul_lo_u32 v1, v1, s41
	v_mul_lo_u32 v2, v2, s43
	v_sub_u32_e32 v1, v1, v2
	v_cmp_lt_u32_e64 s[2:3], s61, v1
	s_and_b64 s[62:63], s[2:3], exec
; %bb.7:
	s_or_b64 exec, exec, s[8:9]
	v_add_u32_e32 v1, s37, v19
	v_add_u32_e32 v2, s39, v19
	v_mul_lo_u32 v1, v1, s36
	v_mul_lo_u32 v2, v2, s38
	v_sub_u32_e32 v1, v1, v2
	v_cmp_lt_u32_e64 s[2:3], s40, v1
	v_cmp_ge_u32_e64 s[8:9], s40, v1
	s_and_saveexec_b64 s[10:11], s[8:9]
; %bb.8:
	v_add_u32_e32 v1, s42, v19
	v_add_u32_e32 v2, s60, v19
	v_mul_lo_u32 v1, v1, s41
	v_mul_lo_u32 v2, v2, s43
	v_sub_u32_e32 v1, v1, v2
	v_cmp_lt_u32_e64 s[8:9], s61, v1
	s_and_b64 s[64:65], s[8:9], exec
; %bb.9:
	s_or_b64 exec, exec, s[10:11]
	v_add_u32_e32 v1, s37, v16
	v_add_u32_e32 v2, s39, v16
	v_mul_lo_u32 v1, v1, s36
	v_mul_lo_u32 v2, v2, s38
	v_sub_u32_e32 v1, v1, v2
	v_cmp_lt_u32_e64 s[26:27], s40, v1
	v_cmp_ge_u32_e64 s[8:9], s40, v1
	s_mov_b64 s[68:69], 0
	s_mov_b64 s[66:67], 0
	s_and_saveexec_b64 s[10:11], s[8:9]
; %bb.10:
	v_add_u32_e32 v1, s42, v16
	v_add_u32_e32 v2, s60, v16
	v_mul_lo_u32 v1, v1, s41
	v_mul_lo_u32 v2, v2, s43
	v_sub_u32_e32 v1, v1, v2
	v_cmp_lt_u32_e64 s[8:9], s61, v1
	s_and_b64 s[66:67], s[8:9], exec
; %bb.11:
	s_or_b64 exec, exec, s[10:11]
	v_add_u32_e32 v1, s37, v17
	v_add_u32_e32 v2, s39, v17
	v_mul_lo_u32 v1, v1, s36
	v_mul_lo_u32 v2, v2, s38
	v_sub_u32_e32 v1, v1, v2
	v_cmp_lt_u32_e64 s[8:9], s40, v1
	v_cmp_ge_u32_e64 s[10:11], s40, v1
	s_and_saveexec_b64 s[12:13], s[10:11]
; %bb.12:
	v_add_u32_e32 v1, s42, v17
	v_add_u32_e32 v2, s60, v17
	v_mul_lo_u32 v1, v1, s41
	v_mul_lo_u32 v2, v2, s43
	v_sub_u32_e32 v1, v1, v2
	v_cmp_lt_u32_e64 s[10:11], s61, v1
	s_and_b64 s[68:69], s[10:11], exec
; %bb.13:
	s_or_b64 exec, exec, s[12:13]
	v_add_u32_e32 v1, s37, v14
	v_add_u32_e32 v2, s39, v14
	v_mul_lo_u32 v1, v1, s36
	v_mul_lo_u32 v2, v2, s38
	v_sub_u32_e32 v1, v1, v2
	v_cmp_lt_u32_e64 s[10:11], s40, v1
	;; [unrolled: 38-line block ×5, first 2 shown]
	v_cmp_ge_u32_e64 s[24:25], s40, v1
	s_mov_b64 s[84:85], 0
	s_mov_b64 s[86:87], 0
	s_and_saveexec_b64 s[28:29], s[24:25]
; %bb.26:
	v_add_u32_e32 v1, s42, v8
	v_add_u32_e32 v2, s60, v8
	v_mul_lo_u32 v1, v1, s41
	v_mul_lo_u32 v2, v2, s43
	v_sub_u32_e32 v1, v1, v2
	v_cmp_lt_u32_e64 s[24:25], s61, v1
	s_and_b64 s[86:87], s[24:25], exec
; %bb.27:
	s_or_b64 exec, exec, s[28:29]
	v_add_u32_e32 v1, s37, v9
	v_add_u32_e32 v2, s39, v9
	v_mul_lo_u32 v1, v1, s36
	v_mul_lo_u32 v2, v2, s38
	v_sub_u32_e32 v1, v1, v2
	v_cmp_lt_u32_e64 s[24:25], s40, v1
	v_cmp_ge_u32_e64 s[28:29], s40, v1
	s_and_saveexec_b64 s[46:47], s[28:29]
; %bb.28:
	v_add_u32_e32 v1, s42, v9
	v_add_u32_e32 v2, s60, v9
	v_mul_lo_u32 v1, v1, s41
	v_mul_lo_u32 v2, v2, s43
	v_sub_u32_e32 v1, v1, v2
	v_cmp_lt_u32_e64 s[28:29], s61, v1
	s_and_b64 s[84:85], s[28:29], exec
; %bb.29:
	s_or_b64 exec, exec, s[46:47]
	v_add_u32_e32 v1, s37, v30
	v_add_u32_e32 v2, s39, v30
	v_mul_lo_u32 v1, v1, s36
	v_mul_lo_u32 v2, v2, s38
	v_sub_u32_e32 v1, v1, v2
	v_cmp_ge_u32_e64 s[28:29], s40, v1
	s_mov_b64 s[46:47], -1
	s_mov_b64 s[78:79], 0
	s_mov_b64 s[58:59], 0
	s_and_saveexec_b64 s[88:89], s[28:29]
; %bb.30:
	v_add_u32_e32 v1, s42, v30
	v_add_u32_e32 v2, s60, v30
	v_mul_lo_u32 v1, v1, s41
	v_mul_lo_u32 v2, v2, s43
	v_sub_u32_e32 v1, v1, v2
	v_cmp_lt_u32_e64 s[28:29], s61, v1
	s_and_b64 s[58:59], s[28:29], exec
	s_xor_b64 s[46:47], exec, -1
; %bb.31:
	s_or_b64 exec, exec, s[88:89]
	v_cndmask_b32_e64 v52, 0, 1, s[86:87]
	v_cndmask_b32_e64 v55, 0, 1, s[24:25]
	;; [unrolled: 1-line block ×22, first 2 shown]
	v_cndmask_b32_e64 v32, 0, 1, vcc
	v_cndmask_b32_e64 v54, 0, 1, s[84:85]
	s_load_dwordx2 s[12:13], s[4:5], 0x78
	s_add_i32 s18, s7, 0xd00
	s_and_b64 vcc, exec, s[78:79]
	s_cbranch_vccnz .LBB1364_33
	s_branch .LBB1364_86
.LBB1364_32:
                                        ; implicit-def: $sgpr46_sgpr47
                                        ; implicit-def: $sgpr58_sgpr59
                                        ; implicit-def: $vgpr54
                                        ; implicit-def: $vgpr52
                                        ; implicit-def: $vgpr50
                                        ; implicit-def: $vgpr48
                                        ; implicit-def: $vgpr46
                                        ; implicit-def: $vgpr44
                                        ; implicit-def: $vgpr42
                                        ; implicit-def: $vgpr40
                                        ; implicit-def: $vgpr38
                                        ; implicit-def: $vgpr32
                                        ; implicit-def: $vgpr34
                                        ; implicit-def: $vgpr36
                                        ; implicit-def: $vgpr39
                                        ; implicit-def: $vgpr41
                                        ; implicit-def: $vgpr43
                                        ; implicit-def: $vgpr45
                                        ; implicit-def: $vgpr47
                                        ; implicit-def: $vgpr49
                                        ; implicit-def: $vgpr51
                                        ; implicit-def: $vgpr53
                                        ; implicit-def: $vgpr55
                                        ; implicit-def: $vgpr33
                                        ; implicit-def: $vgpr35
                                        ; implicit-def: $vgpr37
	s_load_dwordx2 s[12:13], s[4:5], 0x78
	s_add_i32 s18, s7, 0xd00
	s_cbranch_execz .LBB1364_86
.LBB1364_33:
	v_cmp_gt_u32_e32 vcc, s18, v31
	v_mov_b32_e32 v33, 0
	v_mov_b32_e32 v32, 0
	s_and_saveexec_b64 s[4:5], vcc
	s_cbranch_execz .LBB1364_37
; %bb.34:
	v_add_u32_e32 v1, s37, v18
	v_add_u32_e32 v2, s39, v18
	v_mul_lo_u32 v1, v1, s36
	v_mul_lo_u32 v2, v2, s38
	v_sub_u32_e32 v1, v1, v2
	v_cmp_lt_u32_e32 vcc, s40, v1
	v_cmp_ge_u32_e64 s[2:3], s40, v1
	s_mov_b64 s[10:11], 0
	s_and_saveexec_b64 s[8:9], s[2:3]
; %bb.35:
	v_add_u32_e32 v1, s42, v18
	v_add_u32_e32 v2, s60, v18
	v_mul_lo_u32 v1, v1, s41
	v_mul_lo_u32 v2, v2, s43
	v_sub_u32_e32 v1, v1, v2
	v_cmp_lt_u32_e64 s[2:3], s61, v1
	s_and_b64 s[10:11], s[2:3], exec
; %bb.36:
	s_or_b64 exec, exec, s[8:9]
	v_cndmask_b32_e64 v32, 0, 1, vcc
	v_cndmask_b32_e64 v33, 0, 1, s[10:11]
.LBB1364_37:
	s_or_b64 exec, exec, s[4:5]
	v_add_u32_e32 v1, 1, v31
	v_cmp_gt_u32_e32 vcc, s18, v1
	v_mov_b32_e32 v34, 0
	v_mov_b32_e32 v35, 0
	s_and_saveexec_b64 s[4:5], vcc
	s_cbranch_execz .LBB1364_41
; %bb.38:
	v_add_u32_e32 v1, s37, v19
	v_add_u32_e32 v2, s39, v19
	v_mul_lo_u32 v1, v1, s36
	v_mul_lo_u32 v2, v2, s38
	v_sub_u32_e32 v1, v1, v2
	v_cmp_lt_u32_e32 vcc, s40, v1
	v_cmp_ge_u32_e64 s[2:3], s40, v1
	s_mov_b64 s[10:11], 0
	s_and_saveexec_b64 s[8:9], s[2:3]
; %bb.39:
	v_add_u32_e32 v1, s42, v19
	v_add_u32_e32 v2, s60, v19
	v_mul_lo_u32 v1, v1, s41
	v_mul_lo_u32 v2, v2, s43
	v_sub_u32_e32 v1, v1, v2
	v_cmp_lt_u32_e64 s[2:3], s61, v1
	s_and_b64 s[10:11], s[2:3], exec
; %bb.40:
	s_or_b64 exec, exec, s[8:9]
	v_cndmask_b32_e64 v34, 0, 1, vcc
	v_cndmask_b32_e64 v35, 0, 1, s[10:11]
.LBB1364_41:
	s_or_b64 exec, exec, s[4:5]
	v_add_u32_e32 v1, 2, v31
	;; [unrolled: 30-line block ×12, first 2 shown]
	v_cmp_gt_u32_e32 vcc, s18, v1
	s_mov_b64 s[46:47], 0
	s_mov_b64 s[58:59], 0
	s_and_saveexec_b64 s[2:3], vcc
	s_cbranch_execz .LBB1364_85
; %bb.82:
	v_add_u32_e32 v1, s37, v30
	v_add_u32_e32 v2, s39, v30
	v_mul_lo_u32 v1, v1, s36
	v_mul_lo_u32 v2, v2, s38
	v_sub_u32_e32 v1, v1, v2
	v_cmp_ge_u32_e32 vcc, s40, v1
	s_mov_b64 s[8:9], -1
	s_mov_b64 s[10:11], 0
	s_and_saveexec_b64 s[4:5], vcc
; %bb.83:
	v_add_u32_e32 v1, s42, v30
	v_add_u32_e32 v2, s60, v30
	v_mul_lo_u32 v1, v1, s41
	v_mul_lo_u32 v2, v2, s43
	v_sub_u32_e32 v1, v1, v2
	v_cmp_lt_u32_e32 vcc, s61, v1
	s_and_b64 s[10:11], vcc, exec
	s_xor_b64 s[8:9], exec, -1
; %bb.84:
	s_or_b64 exec, exec, s[4:5]
	s_and_b64 s[58:59], s[10:11], exec
	s_and_b64 s[46:47], s[8:9], exec
.LBB1364_85:
	s_or_b64 exec, exec, s[2:3]
.LBB1364_86:
	v_and_b32_e32 v63, 0xff, v33
	v_and_b32_e32 v74, 0xff, v35
	;; [unrolled: 1-line block ×5, first 2 shown]
	v_add3_u32 v2, v74, v65, v63
	v_and_b32_e32 v76, 0xff, v42
	v_and_b32_e32 v69, 0xff, v44
	v_add3_u32 v2, v2, v75, v67
	v_and_b32_e32 v62, 0xff, v32
	v_and_b32_e32 v56, 0xff, v34
	;; [unrolled: 1-line block ×5, first 2 shown]
	v_add3_u32 v2, v2, v76, v69
	v_and_b32_e32 v57, 0xff, v39
	v_and_b32_e32 v66, 0xff, v41
	;; [unrolled: 1-line block ×4, first 2 shown]
	v_add3_u32 v3, v56, v64, v62
	v_add3_u32 v2, v2, v77, v71
	v_and_b32_e32 v58, 0xff, v43
	v_and_b32_e32 v68, 0xff, v45
	;; [unrolled: 1-line block ×3, first 2 shown]
	v_cndmask_b32_e64 v1, 0, 1, s[58:59]
	v_add3_u32 v3, v3, v57, v66
	v_add3_u32 v2, v2, v78, v73
	v_and_b32_e32 v59, 0xff, v47
	v_and_b32_e32 v70, 0xff, v49
	v_add3_u32 v3, v3, v58, v68
	v_add3_u32 v86, v2, v79, v1
	v_mbcnt_lo_u32_b32 v1, -1, 0
	v_and_b32_e32 v60, 0xff, v51
	v_and_b32_e32 v72, 0xff, v53
	v_add3_u32 v3, v3, v59, v70
	v_mbcnt_hi_u32_b32 v80, -1, v1
	v_and_b32_e32 v61, 0xff, v55
	v_add3_u32 v3, v3, v60, v72
	v_cndmask_b32_e64 v4, 0, 1, s[46:47]
	v_and_b32_e32 v84, 15, v80
	s_cmp_lg_u32 s6, 0
	v_add3_u32 v85, v3, v61, v4
	v_cmp_eq_u32_e64 s[4:5], 0, v84
	v_cmp_lt_u32_e64 s[2:3], 1, v84
	v_cmp_lt_u32_e64 s[8:9], 3, v84
	;; [unrolled: 1-line block ×3, first 2 shown]
	v_and_b32_e32 v83, 16, v80
	v_cmp_lt_u32_e32 vcc, 31, v80
	v_lshrrev_b32_e32 v81, 6, v0
	v_or_b32_e32 v82, 63, v0
	s_cbranch_scc0 .LBB1364_115
; %bb.87:
	v_mov_b32_dpp v1, v85 row_shr:1 row_mask:0xf bank_mask:0xf
	v_mov_b32_dpp v2, v86 row_shr:1 row_mask:0xf bank_mask:0xf
	v_add_u32_e32 v1, v1, v85
	v_add_u32_e32 v2, v2, v86
	v_cndmask_b32_e64 v2, v2, v86, s[4:5]
	v_cndmask_b32_e64 v1, v1, v85, s[4:5]
	s_nop 0
	v_mov_b32_dpp v4, v2 row_shr:2 row_mask:0xf bank_mask:0xf
	v_mov_b32_dpp v3, v1 row_shr:2 row_mask:0xf bank_mask:0xf
	v_add_u32_e32 v3, v1, v3
	v_add_u32_e32 v4, v2, v4
	v_cndmask_b32_e64 v2, v2, v4, s[2:3]
	v_cndmask_b32_e64 v1, v1, v3, s[2:3]
	s_nop 0
	v_mov_b32_dpp v4, v2 row_shr:4 row_mask:0xf bank_mask:0xf
	v_mov_b32_dpp v3, v1 row_shr:4 row_mask:0xf bank_mask:0xf
	v_add_u32_e32 v3, v1, v3
	v_add_u32_e32 v4, v2, v4
	v_cndmask_b32_e64 v2, v2, v4, s[8:9]
	v_cndmask_b32_e64 v1, v1, v3, s[8:9]
	v_cmp_eq_u32_e64 s[8:9], 0, v83
	v_mov_b32_dpp v4, v2 row_shr:8 row_mask:0xf bank_mask:0xf
	v_mov_b32_dpp v3, v1 row_shr:8 row_mask:0xf bank_mask:0xf
	v_add_u32_e32 v3, v1, v3
	v_add_u32_e32 v4, v2, v4
	v_cndmask_b32_e64 v2, v2, v4, s[10:11]
	v_cndmask_b32_e64 v1, v1, v3, s[10:11]
	s_nop 0
	v_mov_b32_dpp v4, v2 row_bcast:15 row_mask:0xf bank_mask:0xf
	v_mov_b32_dpp v3, v1 row_bcast:15 row_mask:0xf bank_mask:0xf
	v_add_u32_e32 v3, v1, v3
	v_add_u32_e32 v4, v2, v4
	v_cndmask_b32_e64 v2, v4, v2, s[8:9]
	v_cndmask_b32_e64 v1, v3, v1, s[8:9]
	s_nop 0
	v_mov_b32_dpp v4, v2 row_bcast:31 row_mask:0xf bank_mask:0xf
	v_mov_b32_dpp v3, v1 row_bcast:31 row_mask:0xf bank_mask:0xf
	v_add_u32_e32 v4, v2, v4
	v_add_u32_e32 v5, v1, v3
	v_cndmask_b32_e32 v3, v2, v4, vcc
	v_cndmask_b32_e32 v2, v1, v5, vcc
	v_cmp_eq_u32_e32 vcc, v82, v0
	s_and_saveexec_b64 s[8:9], vcc
	s_cbranch_execz .LBB1364_89
; %bb.88:
	v_lshlrev_b32_e32 v1, 3, v81
	ds_write_b64 v1, v[2:3]
.LBB1364_89:
	s_or_b64 exec, exec, s[8:9]
	v_cmp_gt_u32_e32 vcc, 4, v0
	s_waitcnt lgkmcnt(0)
	s_barrier
	s_and_saveexec_b64 s[8:9], vcc
	s_cbranch_execz .LBB1364_91
; %bb.90:
	v_lshlrev_b32_e32 v1, 3, v0
	ds_read_b64 v[4:5], v1
	v_and_b32_e32 v6, 3, v80
	v_cmp_eq_u32_e32 vcc, 0, v6
	s_waitcnt lgkmcnt(0)
	v_mov_b32_dpp v7, v4 row_shr:1 row_mask:0xf bank_mask:0xf
	v_mov_b32_dpp v20, v5 row_shr:1 row_mask:0xf bank_mask:0xf
	v_add_u32_e32 v7, v7, v4
	v_add_u32_e32 v20, v20, v5
	v_cndmask_b32_e32 v5, v20, v5, vcc
	v_cndmask_b32_e32 v4, v7, v4, vcc
	v_cmp_lt_u32_e32 vcc, 1, v6
	v_mov_b32_dpp v20, v5 row_shr:2 row_mask:0xf bank_mask:0xf
	v_mov_b32_dpp v7, v4 row_shr:2 row_mask:0xf bank_mask:0xf
	v_cndmask_b32_e32 v6, 0, v7, vcc
	v_cndmask_b32_e32 v7, 0, v20, vcc
	v_add_u32_e32 v5, v7, v5
	v_add_u32_e32 v4, v6, v4
	ds_write_b64 v1, v[4:5]
.LBB1364_91:
	s_or_b64 exec, exec, s[8:9]
	v_cmp_gt_u32_e32 vcc, 64, v0
	v_cmp_lt_u32_e64 s[8:9], 63, v0
	s_waitcnt lgkmcnt(0)
	s_barrier
	s_waitcnt lgkmcnt(0)
                                        ; implicit-def: $vgpr21
	s_and_saveexec_b64 s[10:11], s[8:9]
	s_xor_b64 s[8:9], exec, s[10:11]
	s_cbranch_execz .LBB1364_93
; %bb.92:
	v_lshl_add_u32 v1, v81, 3, -8
	ds_read_b64 v[20:21], v1
	s_waitcnt lgkmcnt(0)
	v_add_u32_e32 v3, v21, v3
	v_add_u32_e32 v2, v20, v2
.LBB1364_93:
	s_andn2_saveexec_b64 s[8:9], s[8:9]
; %bb.94:
                                        ; implicit-def: $vgpr20
; %bb.95:
	s_or_b64 exec, exec, s[8:9]
	v_add_u32_e32 v1, -1, v80
	v_and_b32_e32 v4, 64, v80
	v_cmp_lt_i32_e64 s[8:9], v1, v4
	v_cndmask_b32_e64 v1, v1, v80, s[8:9]
	v_lshlrev_b32_e32 v4, 2, v1
	ds_bpermute_b32 v1, v4, v2
	ds_bpermute_b32 v87, v4, v3
	v_cmp_eq_u32_e64 s[8:9], 0, v80
	s_and_saveexec_b64 s[10:11], vcc
	s_cbranch_execz .LBB1364_114
; %bb.96:
	v_mov_b32_e32 v7, 0
	ds_read_b64 v[22:23], v7 offset:24
	s_and_saveexec_b64 s[14:15], s[8:9]
	s_cbranch_execz .LBB1364_98
; %bb.97:
	s_add_i32 s16, s6, 64
	s_mov_b32 s17, 0
	s_lshl_b64 s[16:17], s[16:17], 4
	s_waitcnt lgkmcnt(0)
	v_and_b32_e32 v2, 0xff000000, v23
	v_and_b32_e32 v3, 0xff0000, v23
	s_add_u32 s16, s12, s16
	v_or_b32_e32 v2, v3, v2
	v_and_b32_e32 v3, 0xff00, v23
	s_addc_u32 s17, s13, s17
	v_or_b32_e32 v2, v2, v3
	v_or_b32_sdwa v5, v2, v23 dst_sel:DWORD dst_unused:UNUSED_PAD src0_sel:DWORD src1_sel:BYTE_0
	v_mov_b32_e32 v6, 1
	v_mov_b32_e32 v4, v22
	v_pk_mov_b32 v[2:3], s[16:17], s[16:17] op_sel:[0,1]
	;;#ASMSTART
	global_store_dwordx4 v[2:3], v[4:7] off	
s_waitcnt vmcnt(0)
	;;#ASMEND
.LBB1364_98:
	s_or_b64 exec, exec, s[14:15]
	v_xad_u32 v24, v80, -1, s6
	v_add_u32_e32 v6, 64, v24
	v_lshlrev_b64 v[2:3], 4, v[6:7]
	v_mov_b32_e32 v4, s13
	v_add_co_u32_e32 v26, vcc, s12, v2
	v_addc_co_u32_e32 v27, vcc, v4, v3, vcc
	;;#ASMSTART
	global_load_dwordx4 v[2:5], v[26:27] off glc	
s_waitcnt vmcnt(0)
	;;#ASMEND
	v_and_b32_e32 v5, 0xff, v3
	v_and_b32_e32 v6, 0xff00, v3
	v_or3_b32 v5, 0, v5, v6
	v_or3_b32 v2, v2, 0, 0
	v_and_b32_e32 v6, 0xff000000, v3
	v_and_b32_e32 v3, 0xff0000, v3
	v_or3_b32 v3, v5, v3, v6
	v_or3_b32 v2, v2, 0, 0
	v_cmp_eq_u16_sdwa s[16:17], v4, v7 src0_sel:BYTE_0 src1_sel:DWORD
	s_and_saveexec_b64 s[14:15], s[16:17]
	s_cbranch_execz .LBB1364_102
; %bb.99:
	s_mov_b64 s[16:17], 0
	v_mov_b32_e32 v6, 0
.LBB1364_100:                           ; =>This Inner Loop Header: Depth=1
	;;#ASMSTART
	global_load_dwordx4 v[2:5], v[26:27] off glc	
s_waitcnt vmcnt(0)
	;;#ASMEND
	v_cmp_ne_u16_sdwa s[20:21], v4, v6 src0_sel:BYTE_0 src1_sel:DWORD
	s_or_b64 s[16:17], s[20:21], s[16:17]
	s_andn2_b64 exec, exec, s[16:17]
	s_cbranch_execnz .LBB1364_100
; %bb.101:
	s_or_b64 exec, exec, s[16:17]
.LBB1364_102:
	s_or_b64 exec, exec, s[14:15]
	v_and_b32_e32 v89, 63, v80
	v_cmp_ne_u32_e32 vcc, 63, v89
	v_mov_b32_e32 v88, 2
	v_addc_co_u32_e32 v26, vcc, 0, v80, vcc
	v_cmp_eq_u16_sdwa s[14:15], v4, v88 src0_sel:BYTE_0 src1_sel:DWORD
	v_lshlrev_b64 v[6:7], v80, -1
	v_lshlrev_b32_e32 v90, 2, v26
	v_and_b32_e32 v5, s15, v7
	ds_bpermute_b32 v26, v90, v2
	ds_bpermute_b32 v27, v90, v3
	v_or_b32_e32 v5, 0x80000000, v5
	v_and_b32_e32 v25, s14, v6
	v_ffbl_b32_e32 v5, v5
	v_add_u32_e32 v5, 32, v5
	v_ffbl_b32_e32 v25, v25
	v_min_u32_e32 v5, v25, v5
	s_waitcnt lgkmcnt(1)
	v_add_u32_e32 v25, v26, v2
	s_waitcnt lgkmcnt(0)
	v_add_u32_e32 v26, v27, v3
	v_cmp_lt_u32_e32 vcc, v89, v5
	v_cndmask_b32_e32 v3, v3, v26, vcc
	v_cndmask_b32_e32 v2, v2, v25, vcc
	v_cmp_gt_u32_e32 vcc, 62, v89
	v_cndmask_b32_e64 v25, 0, 1, vcc
	v_lshlrev_b32_e32 v25, 1, v25
	v_add_lshl_u32 v91, v25, v80, 2
	ds_bpermute_b32 v25, v91, v2
	ds_bpermute_b32 v26, v91, v3
	v_add_u32_e32 v92, 2, v89
	v_cmp_gt_u32_e32 vcc, v92, v5
	v_add_u32_e32 v94, 4, v89
	s_waitcnt lgkmcnt(1)
	v_add_u32_e32 v25, v2, v25
	s_waitcnt lgkmcnt(0)
	v_add_u32_e32 v26, v3, v26
	v_cndmask_b32_e32 v3, v26, v3, vcc
	v_cndmask_b32_e32 v2, v25, v2, vcc
	v_cmp_gt_u32_e32 vcc, 60, v89
	v_cndmask_b32_e64 v25, 0, 1, vcc
	v_lshlrev_b32_e32 v25, 2, v25
	v_add_lshl_u32 v93, v25, v80, 2
	ds_bpermute_b32 v25, v93, v2
	ds_bpermute_b32 v26, v93, v3
	v_cmp_gt_u32_e32 vcc, v94, v5
	v_add_u32_e32 v96, 8, v89
	v_add_u32_e32 v98, 16, v89
	s_waitcnt lgkmcnt(1)
	v_add_u32_e32 v25, v2, v25
	s_waitcnt lgkmcnt(0)
	v_add_u32_e32 v26, v3, v26
	v_cndmask_b32_e32 v3, v26, v3, vcc
	v_cndmask_b32_e32 v2, v25, v2, vcc
	v_cmp_gt_u32_e32 vcc, 56, v89
	v_cndmask_b32_e64 v25, 0, 1, vcc
	v_lshlrev_b32_e32 v25, 3, v25
	v_add_lshl_u32 v95, v25, v80, 2
	ds_bpermute_b32 v25, v95, v2
	ds_bpermute_b32 v26, v95, v3
	v_cmp_gt_u32_e32 vcc, v96, v5
	v_add_u32_e32 v100, 32, v89
	s_waitcnt lgkmcnt(1)
	v_add_u32_e32 v25, v2, v25
	s_waitcnt lgkmcnt(0)
	v_add_u32_e32 v26, v3, v26
	v_cndmask_b32_e32 v3, v26, v3, vcc
	v_cndmask_b32_e32 v2, v25, v2, vcc
	v_cmp_gt_u32_e32 vcc, 48, v89
	v_cndmask_b32_e64 v25, 0, 1, vcc
	v_lshlrev_b32_e32 v25, 4, v25
	v_add_lshl_u32 v97, v25, v80, 2
	ds_bpermute_b32 v25, v97, v2
	ds_bpermute_b32 v26, v97, v3
	v_cmp_gt_u32_e32 vcc, v98, v5
	s_waitcnt lgkmcnt(1)
	v_add_u32_e32 v25, v2, v25
	s_waitcnt lgkmcnt(0)
	v_add_u32_e32 v26, v3, v26
	v_cndmask_b32_e32 v3, v26, v3, vcc
	v_cndmask_b32_e32 v2, v25, v2, vcc
	v_cmp_gt_u32_e32 vcc, 32, v89
	v_cndmask_b32_e64 v25, 0, 1, vcc
	v_lshlrev_b32_e32 v25, 5, v25
	v_add_lshl_u32 v99, v25, v80, 2
	ds_bpermute_b32 v25, v99, v2
	ds_bpermute_b32 v26, v99, v3
	v_cmp_le_u32_e32 vcc, v100, v5
	s_waitcnt lgkmcnt(1)
	v_cndmask_b32_e32 v5, 0, v25, vcc
	s_waitcnt lgkmcnt(0)
	v_cndmask_b32_e32 v25, 0, v26, vcc
	v_add_u32_e32 v3, v3, v25
	v_add_u32_e32 v2, v2, v5
	v_mov_b32_e32 v25, 0
	s_branch .LBB1364_104
.LBB1364_103:                           ;   in Loop: Header=BB1364_104 Depth=1
	s_or_b64 exec, exec, s[14:15]
	v_cmp_eq_u16_sdwa s[14:15], v4, v88 src0_sel:BYTE_0 src1_sel:DWORD
	v_and_b32_e32 v5, s15, v7
	ds_bpermute_b32 v29, v90, v2
	ds_bpermute_b32 v101, v90, v3
	v_or_b32_e32 v5, 0x80000000, v5
	v_and_b32_e32 v28, s14, v6
	v_ffbl_b32_e32 v5, v5
	v_add_u32_e32 v5, 32, v5
	v_ffbl_b32_e32 v28, v28
	v_min_u32_e32 v5, v28, v5
	s_waitcnt lgkmcnt(1)
	v_add_u32_e32 v28, v29, v2
	s_waitcnt lgkmcnt(0)
	v_add_u32_e32 v29, v101, v3
	v_cmp_lt_u32_e32 vcc, v89, v5
	v_cndmask_b32_e32 v3, v3, v29, vcc
	v_cndmask_b32_e32 v2, v2, v28, vcc
	ds_bpermute_b32 v28, v91, v2
	ds_bpermute_b32 v29, v91, v3
	v_cmp_gt_u32_e32 vcc, v92, v5
	v_subrev_u32_e32 v24, 64, v24
	s_waitcnt lgkmcnt(1)
	v_add_u32_e32 v28, v2, v28
	s_waitcnt lgkmcnt(0)
	v_add_u32_e32 v29, v3, v29
	v_cndmask_b32_e32 v3, v29, v3, vcc
	v_cndmask_b32_e32 v2, v28, v2, vcc
	ds_bpermute_b32 v28, v93, v2
	ds_bpermute_b32 v29, v93, v3
	v_cmp_gt_u32_e32 vcc, v94, v5
	s_waitcnt lgkmcnt(1)
	v_add_u32_e32 v28, v2, v28
	s_waitcnt lgkmcnt(0)
	v_add_u32_e32 v29, v3, v29
	v_cndmask_b32_e32 v3, v29, v3, vcc
	v_cndmask_b32_e32 v2, v28, v2, vcc
	ds_bpermute_b32 v28, v95, v2
	ds_bpermute_b32 v29, v95, v3
	v_cmp_gt_u32_e32 vcc, v96, v5
	;; [unrolled: 9-line block ×3, first 2 shown]
	s_waitcnt lgkmcnt(1)
	v_add_u32_e32 v28, v2, v28
	s_waitcnt lgkmcnt(0)
	v_add_u32_e32 v29, v3, v29
	v_cndmask_b32_e32 v3, v29, v3, vcc
	v_cndmask_b32_e32 v2, v28, v2, vcc
	ds_bpermute_b32 v28, v99, v2
	ds_bpermute_b32 v29, v99, v3
	v_cmp_le_u32_e32 vcc, v100, v5
	s_waitcnt lgkmcnt(1)
	v_cndmask_b32_e32 v5, 0, v28, vcc
	s_waitcnt lgkmcnt(0)
	v_cndmask_b32_e32 v28, 0, v29, vcc
	v_add3_u32 v3, v28, v27, v3
	v_add3_u32 v2, v5, v26, v2
.LBB1364_104:                           ; =>This Loop Header: Depth=1
                                        ;     Child Loop BB1364_107 Depth 2
	v_cmp_ne_u16_sdwa s[14:15], v4, v88 src0_sel:BYTE_0 src1_sel:DWORD
	v_cndmask_b32_e64 v4, 0, 1, s[14:15]
	;;#ASMSTART
	;;#ASMEND
	v_cmp_ne_u32_e32 vcc, 0, v4
	s_cmp_lg_u64 vcc, exec
	v_pk_mov_b32 v[26:27], v[2:3], v[2:3] op_sel:[0,1]
	s_cbranch_scc1 .LBB1364_109
; %bb.105:                              ;   in Loop: Header=BB1364_104 Depth=1
	v_lshlrev_b64 v[2:3], 4, v[24:25]
	v_mov_b32_e32 v4, s13
	v_add_co_u32_e32 v28, vcc, s12, v2
	v_addc_co_u32_e32 v29, vcc, v4, v3, vcc
	;;#ASMSTART
	global_load_dwordx4 v[2:5], v[28:29] off glc	
s_waitcnt vmcnt(0)
	;;#ASMEND
	v_and_b32_e32 v5, 0xff, v3
	v_and_b32_e32 v101, 0xff00, v3
	v_or3_b32 v5, 0, v5, v101
	v_or3_b32 v2, v2, 0, 0
	v_and_b32_e32 v101, 0xff000000, v3
	v_and_b32_e32 v3, 0xff0000, v3
	v_or3_b32 v3, v5, v3, v101
	v_or3_b32 v2, v2, 0, 0
	v_cmp_eq_u16_sdwa s[16:17], v4, v25 src0_sel:BYTE_0 src1_sel:DWORD
	s_and_saveexec_b64 s[14:15], s[16:17]
	s_cbranch_execz .LBB1364_103
; %bb.106:                              ;   in Loop: Header=BB1364_104 Depth=1
	s_mov_b64 s[16:17], 0
.LBB1364_107:                           ;   Parent Loop BB1364_104 Depth=1
                                        ; =>  This Inner Loop Header: Depth=2
	;;#ASMSTART
	global_load_dwordx4 v[2:5], v[28:29] off glc	
s_waitcnt vmcnt(0)
	;;#ASMEND
	v_cmp_ne_u16_sdwa s[20:21], v4, v25 src0_sel:BYTE_0 src1_sel:DWORD
	s_or_b64 s[16:17], s[20:21], s[16:17]
	s_andn2_b64 exec, exec, s[16:17]
	s_cbranch_execnz .LBB1364_107
; %bb.108:                              ;   in Loop: Header=BB1364_104 Depth=1
	s_or_b64 exec, exec, s[16:17]
	s_branch .LBB1364_103
.LBB1364_109:                           ;   in Loop: Header=BB1364_104 Depth=1
                                        ; implicit-def: $vgpr4
                                        ; implicit-def: $vgpr2_vgpr3
	s_cbranch_execz .LBB1364_104
; %bb.110:
	s_and_saveexec_b64 s[14:15], s[8:9]
	s_cbranch_execz .LBB1364_112
; %bb.111:
	s_add_i32 s6, s6, 64
	s_mov_b32 s7, 0
	v_add_u32_e32 v3, v27, v23
	s_lshl_b64 s[6:7], s[6:7], 4
	s_add_u32 s6, s12, s6
	v_and_b32_e32 v4, 0xff000000, v3
	v_and_b32_e32 v6, 0xff0000, v3
	s_addc_u32 s7, s13, s7
	v_or_b32_e32 v4, v6, v4
	v_and_b32_e32 v6, 0xff00, v3
	v_and_b32_e32 v3, 0xff, v3
	v_add_u32_e32 v2, v26, v22
	v_mov_b32_e32 v5, 0
	v_or3_b32 v3, v4, v6, v3
	v_mov_b32_e32 v4, 2
	v_pk_mov_b32 v[6:7], s[6:7], s[6:7] op_sel:[0,1]
	;;#ASMSTART
	global_store_dwordx4 v[6:7], v[2:5] off	
s_waitcnt vmcnt(0)
	;;#ASMEND
	s_movk_i32 s6, 0x3400
	v_add_u32_e64 v2, s6, 0
	ds_write2_b32 v2, v22, v23 offset1:2
	ds_write2_b32 v2, v26, v27 offset0:4 offset1:6
.LBB1364_112:
	s_or_b64 exec, exec, s[14:15]
	v_cmp_eq_u32_e32 vcc, 0, v0
	s_and_b64 exec, exec, vcc
	s_cbranch_execz .LBB1364_114
; %bb.113:
	v_mov_b32_e32 v2, 0
	ds_write_b64 v2, v[26:27] offset:24
.LBB1364_114:
	s_or_b64 exec, exec, s[10:11]
	v_mov_b32_e32 v2, 0
	s_waitcnt lgkmcnt(0)
	s_barrier
	ds_read_b64 v[6:7], v2 offset:24
	s_movk_i32 s6, 0x3400
	v_cndmask_b32_e64 v2, v87, v21, s[8:9]
	v_cndmask_b32_e64 v1, v1, v20, s[8:9]
	v_add_u32_e64 v4, s6, 0
	s_waitcnt lgkmcnt(0)
	v_add_u32_e32 v20, v6, v1
	v_add_u32_e32 v1, v7, v2
	s_barrier
	ds_read2_b32 v[2:3], v4 offset1:2
	ds_read2_b32 v[4:5], v4 offset0:4 offset1:6
	v_cmp_eq_u32_e32 vcc, 0, v0
	v_cndmask_b32_e32 v1, v1, v7, vcc
	v_cndmask_b32_e32 v20, v20, v6, vcc
	s_branch .LBB1364_125
.LBB1364_115:
                                        ; implicit-def: $vgpr1
                                        ; implicit-def: $vgpr4
                                        ; implicit-def: $vgpr2
                                        ; implicit-def: $vgpr20_vgpr21
	s_cbranch_execz .LBB1364_125
; %bb.116:
	s_nop 0
	v_mov_b32_dpp v1, v85 row_shr:1 row_mask:0xf bank_mask:0xf
	s_waitcnt lgkmcnt(0)
	v_mov_b32_dpp v2, v86 row_shr:1 row_mask:0xf bank_mask:0xf
	v_add_u32_e32 v1, v1, v85
	v_add_u32_e32 v2, v2, v86
	v_cndmask_b32_e64 v2, v2, v86, s[4:5]
	v_cndmask_b32_e64 v1, v1, v85, s[4:5]
	v_cmp_lt_u32_e32 vcc, 3, v84
	v_mov_b32_dpp v4, v2 row_shr:2 row_mask:0xf bank_mask:0xf
	v_mov_b32_dpp v3, v1 row_shr:2 row_mask:0xf bank_mask:0xf
	v_add_u32_e32 v3, v1, v3
	v_add_u32_e32 v4, v2, v4
	v_cndmask_b32_e64 v2, v2, v4, s[2:3]
	v_cndmask_b32_e64 v1, v1, v3, s[2:3]
	s_nop 0
	v_mov_b32_dpp v4, v2 row_shr:4 row_mask:0xf bank_mask:0xf
	v_mov_b32_dpp v3, v1 row_shr:4 row_mask:0xf bank_mask:0xf
	v_add_u32_e32 v3, v1, v3
	v_add_u32_e32 v4, v2, v4
	v_cndmask_b32_e32 v2, v2, v4, vcc
	v_cndmask_b32_e32 v1, v1, v3, vcc
	v_cmp_lt_u32_e32 vcc, 7, v84
	v_mov_b32_dpp v4, v2 row_shr:8 row_mask:0xf bank_mask:0xf
	v_mov_b32_dpp v3, v1 row_shr:8 row_mask:0xf bank_mask:0xf
	v_add_u32_e32 v3, v1, v3
	v_add_u32_e32 v4, v2, v4
	v_cndmask_b32_e32 v2, v2, v4, vcc
	v_cndmask_b32_e32 v1, v1, v3, vcc
	v_cmp_eq_u32_e32 vcc, 0, v83
	v_mov_b32_dpp v4, v2 row_bcast:15 row_mask:0xf bank_mask:0xf
	v_mov_b32_dpp v3, v1 row_bcast:15 row_mask:0xf bank_mask:0xf
	v_add_u32_e32 v3, v1, v3
	v_add_u32_e32 v4, v2, v4
	v_cndmask_b32_e32 v2, v4, v2, vcc
	v_cndmask_b32_e32 v1, v3, v1, vcc
	v_cmp_lt_u32_e32 vcc, 31, v80
	v_mov_b32_dpp v4, v2 row_bcast:31 row_mask:0xf bank_mask:0xf
	v_mov_b32_dpp v3, v1 row_bcast:31 row_mask:0xf bank_mask:0xf
	v_add_u32_e32 v4, v2, v4
	v_add_u32_e32 v5, v1, v3
	v_cndmask_b32_e32 v3, v2, v4, vcc
	v_cndmask_b32_e32 v2, v1, v5, vcc
	v_cmp_eq_u32_e32 vcc, v82, v0
	s_and_saveexec_b64 s[2:3], vcc
	s_cbranch_execz .LBB1364_118
; %bb.117:
	v_lshlrev_b32_e32 v1, 3, v81
	ds_write_b64 v1, v[2:3]
.LBB1364_118:
	s_or_b64 exec, exec, s[2:3]
	v_cmp_gt_u32_e32 vcc, 4, v0
	s_waitcnt lgkmcnt(0)
	s_barrier
	s_and_saveexec_b64 s[2:3], vcc
	s_cbranch_execz .LBB1364_120
; %bb.119:
	v_lshlrev_b32_e32 v1, 3, v0
	ds_read_b64 v[4:5], v1
	v_and_b32_e32 v6, 3, v80
	v_cmp_eq_u32_e32 vcc, 0, v6
	s_waitcnt lgkmcnt(0)
	v_mov_b32_dpp v7, v4 row_shr:1 row_mask:0xf bank_mask:0xf
	v_mov_b32_dpp v20, v5 row_shr:1 row_mask:0xf bank_mask:0xf
	v_add_u32_e32 v7, v7, v4
	v_add_u32_e32 v20, v20, v5
	v_cndmask_b32_e32 v5, v20, v5, vcc
	v_cndmask_b32_e32 v4, v7, v4, vcc
	v_cmp_lt_u32_e32 vcc, 1, v6
	v_mov_b32_dpp v20, v5 row_shr:2 row_mask:0xf bank_mask:0xf
	v_mov_b32_dpp v7, v4 row_shr:2 row_mask:0xf bank_mask:0xf
	v_cndmask_b32_e32 v6, 0, v7, vcc
	v_cndmask_b32_e32 v7, 0, v20, vcc
	v_add_u32_e32 v5, v7, v5
	v_add_u32_e32 v4, v6, v4
	ds_write_b64 v1, v[4:5]
.LBB1364_120:
	s_or_b64 exec, exec, s[2:3]
	v_cmp_lt_u32_e32 vcc, 63, v0
	v_mov_b32_e32 v4, 0
	v_mov_b32_e32 v6, 0
	;; [unrolled: 1-line block ×3, first 2 shown]
	s_waitcnt lgkmcnt(0)
	s_barrier
	s_and_saveexec_b64 s[2:3], vcc
	s_cbranch_execz .LBB1364_122
; %bb.121:
	v_lshl_add_u32 v1, v81, 3, -8
	ds_read_b64 v[6:7], v1
.LBB1364_122:
	s_or_b64 exec, exec, s[2:3]
	s_waitcnt lgkmcnt(0)
	v_add_u32_e32 v5, v7, v3
	v_add_u32_e32 v1, v6, v2
	v_add_u32_e32 v2, -1, v80
	v_and_b32_e32 v3, 64, v80
	v_cmp_lt_i32_e32 vcc, v2, v3
	v_cndmask_b32_e32 v2, v2, v80, vcc
	v_lshlrev_b32_e32 v20, 2, v2
	ds_read_b64 v[2:3], v4 offset:24
	ds_bpermute_b32 v1, v20, v1
	ds_bpermute_b32 v20, v20, v5
	v_cmp_eq_u32_e32 vcc, 0, v0
	s_waitcnt lgkmcnt(2)
	v_readfirstlane_b32 s4, v3
	s_and_saveexec_b64 s[2:3], vcc
	s_cbranch_execz .LBB1364_124
; %bb.123:
	s_add_u32 s6, s12, 0x400
	s_mov_b32 s8, 0
	s_addc_u32 s7, s13, 0
	s_and_b32 s9, s4, 0xff000000
	s_and_b32 s11, s4, 0xff0000
	s_mov_b32 s10, s8
	s_or_b64 s[10:11], s[10:11], s[8:9]
	s_and_b32 s9, s4, 0xff00
	s_or_b64 s[10:11], s[10:11], s[8:9]
	s_and_b32 s9, s4, 0xff
	s_or_b64 s[8:9], s[10:11], s[8:9]
	v_mov_b32_e32 v3, s9
	v_mov_b32_e32 v4, 2
	;; [unrolled: 1-line block ×3, first 2 shown]
	v_pk_mov_b32 v[22:23], s[6:7], s[6:7] op_sel:[0,1]
	;;#ASMSTART
	global_store_dwordx4 v[22:23], v[2:5] off	
s_waitcnt vmcnt(0)
	;;#ASMEND
.LBB1364_124:
	s_or_b64 exec, exec, s[2:3]
	v_cmp_eq_u32_e64 s[2:3], 0, v80
	s_waitcnt lgkmcnt(1)
	v_cndmask_b32_e64 v3, v1, v6, s[2:3]
	s_waitcnt lgkmcnt(0)
	v_cndmask_b32_e64 v1, v20, v7, s[2:3]
	v_mov_b32_e32 v4, 0
	v_cndmask_b32_e64 v1, v1, 0, vcc
	v_cndmask_b32_e64 v20, v3, 0, vcc
	s_barrier
	v_mov_b32_e32 v3, s4
	v_mov_b32_e32 v5, 0
.LBB1364_125:
	v_add_u32_e32 v24, v1, v63
	v_add_u32_e32 v25, v24, v74
	;; [unrolled: 1-line block ×14, first 2 shown]
	v_mov_b32_e32 v7, s49
	s_waitcnt lgkmcnt(0)
	v_add_co_u32_e32 v6, vcc, s48, v4
	v_add_u32_e32 v64, v58, v68
	v_add_u32_e32 v68, v66, v71
	v_addc_co_u32_e32 v7, vcc, 0, v7, vcc
	v_add_u32_e32 v69, v68, v78
	v_mov_b32_e32 v22, s51
	v_sub_co_u32_e32 v23, vcc, s50, v2
	v_add_u32_e32 v71, v69, v73
	v_subbrev_co_u32_e32 v73, vcc, 0, v22, vcc
	v_add_co_u32_e32 v22, vcc, v23, v5
	v_addc_co_u32_e32 v23, vcc, 0, v73, vcc
	v_lshlrev_b32_e32 v73, 1, v2
	v_sub_u32_e32 v1, v1, v5
	v_add_u32_e32 v74, v73, v3
	v_sub_u32_e32 v20, v20, v4
	v_add_u32_e32 v1, v1, v2
	v_add_u32_e32 v31, v74, v31
	v_and_b32_e32 v33, 1, v33
	v_add_u32_e32 v74, v20, v1
	v_and_b32_e32 v32, 1, v32
	v_sub_u32_e32 v74, v31, v74
	v_cmp_eq_u32_e32 vcc, 1, v33
	v_cndmask_b32_e32 v1, v74, v1, vcc
	v_cmp_eq_u32_e32 vcc, 1, v32
	v_cndmask_b32_e32 v1, v1, v20, vcc
	v_lshlrev_b32_e32 v1, 2, v1
	v_sub_u32_e32 v20, v24, v5
	ds_write_b32 v1, v18
	v_sub_u32_e32 v1, v21, v4
	v_add_u32_e32 v20, v20, v2
	v_add_u32_e32 v24, v20, v1
	v_and_b32_e32 v21, 1, v35
	v_sub_u32_e32 v24, v31, v24
	v_and_b32_e32 v18, 1, v34
	v_add_u32_e32 v24, 1, v24
	v_cmp_eq_u32_e32 vcc, 1, v21
	v_cndmask_b32_e32 v20, v24, v20, vcc
	v_cmp_eq_u32_e32 vcc, 1, v18
	v_cndmask_b32_e32 v1, v20, v1, vcc
	v_lshlrev_b32_e32 v1, 2, v1
	ds_write_b32 v1, v19
	v_sub_u32_e32 v19, v25, v5
	v_sub_u32_e32 v1, v26, v4
	v_add_u32_e32 v19, v19, v2
	v_add_u32_e32 v21, v19, v1
	v_and_b32_e32 v20, 1, v37
	v_sub_u32_e32 v21, v31, v21
	v_and_b32_e32 v18, 1, v36
	v_add_u32_e32 v21, 2, v21
	v_cmp_eq_u32_e32 vcc, 1, v20
	v_cndmask_b32_e32 v19, v21, v19, vcc
	v_cmp_eq_u32_e32 vcc, 1, v18
	v_cndmask_b32_e32 v1, v19, v1, vcc
	v_lshlrev_b32_e32 v1, 2, v1
	v_sub_u32_e32 v18, v28, v5
	ds_write_b32 v1, v16
	v_sub_u32_e32 v1, v27, v4
	v_add_u32_e32 v18, v18, v2
	v_add_u32_e32 v20, v1, v18
	v_and_b32_e32 v19, 1, v38
	v_sub_u32_e32 v20, v31, v20
	v_and_b32_e32 v16, 1, v39
	v_add_u32_e32 v20, 3, v20
	v_cmp_eq_u32_e32 vcc, 1, v19
	v_cndmask_b32_e32 v18, v20, v18, vcc
	v_cmp_eq_u32_e32 vcc, 1, v16
	v_cndmask_b32_e32 v1, v18, v1, vcc
	v_lshlrev_b32_e32 v1, 2, v1
	ds_write_b32 v1, v17
	v_sub_u32_e32 v17, v29, v5
	v_sub_u32_e32 v1, v56, v4
	v_add_u32_e32 v17, v17, v2
	v_add_u32_e32 v19, v1, v17
	v_and_b32_e32 v18, 1, v40
	v_sub_u32_e32 v19, v31, v19
	v_and_b32_e32 v16, 1, v41
	v_add_u32_e32 v19, 4, v19
	;; [unrolled: 28-line block ×3, first 2 shown]
	v_cmp_eq_u32_e32 vcc, 1, v16
	v_cndmask_b32_e32 v15, v17, v15, vcc
	v_cmp_eq_u32_e32 vcc, 1, v14
	v_cndmask_b32_e32 v1, v15, v1, vcc
	v_lshlrev_b32_e32 v1, 2, v1
	v_sub_u32_e32 v14, v65, v5
	ds_write_b32 v1, v12
	v_sub_u32_e32 v1, v64, v4
	v_add_u32_e32 v14, v14, v2
	v_add_u32_e32 v16, v1, v14
	v_and_b32_e32 v15, 1, v46
	v_sub_u32_e32 v16, v31, v16
	v_and_b32_e32 v12, 1, v47
	v_add_u32_e32 v16, 7, v16
	v_cmp_eq_u32_e32 vcc, 1, v15
	v_cndmask_b32_e32 v14, v16, v14, vcc
	v_cmp_eq_u32_e32 vcc, 1, v12
	v_cndmask_b32_e32 v1, v14, v1, vcc
	v_lshlrev_b32_e32 v1, 2, v1
	v_add_u32_e32 v59, v64, v59
	ds_write_b32 v1, v13
	v_sub_u32_e32 v13, v66, v5
	v_sub_u32_e32 v1, v59, v4
	v_add_u32_e32 v13, v13, v2
	v_add_u32_e32 v15, v1, v13
	v_and_b32_e32 v14, 1, v48
	v_sub_u32_e32 v15, v31, v15
	v_and_b32_e32 v12, 1, v49
	v_add_u32_e32 v15, 8, v15
	v_cmp_eq_u32_e32 vcc, 1, v14
	v_cndmask_b32_e32 v13, v15, v13, vcc
	v_cmp_eq_u32_e32 vcc, 1, v12
	v_cndmask_b32_e32 v1, v13, v1, vcc
	v_add_u32_e32 v67, v59, v70
	v_lshlrev_b32_e32 v1, 2, v1
	v_sub_u32_e32 v12, v68, v5
	ds_write_b32 v1, v10
	v_sub_u32_e32 v1, v67, v4
	v_add_u32_e32 v12, v12, v2
	v_add_u32_e32 v14, v1, v12
	v_and_b32_e32 v13, 1, v50
	v_sub_u32_e32 v14, v31, v14
	v_and_b32_e32 v10, 1, v51
	v_add_u32_e32 v14, 9, v14
	v_cmp_eq_u32_e32 vcc, 1, v13
	v_cndmask_b32_e32 v12, v14, v12, vcc
	v_cmp_eq_u32_e32 vcc, 1, v10
	v_cndmask_b32_e32 v1, v12, v1, vcc
	v_lshlrev_b32_e32 v1, 2, v1
	v_add_u32_e32 v60, v67, v60
	ds_write_b32 v1, v11
	v_sub_u32_e32 v11, v69, v5
	v_sub_u32_e32 v1, v60, v4
	v_add_u32_e32 v11, v11, v2
	v_add_u32_e32 v13, v1, v11
	v_and_b32_e32 v12, 1, v52
	v_sub_u32_e32 v13, v31, v13
	v_and_b32_e32 v10, 1, v53
	v_add_u32_e32 v13, 10, v13
	v_cmp_eq_u32_e32 vcc, 1, v12
	v_cndmask_b32_e32 v11, v13, v11, vcc
	v_cmp_eq_u32_e32 vcc, 1, v10
	v_cndmask_b32_e32 v1, v11, v1, vcc
	v_add_u32_e32 v70, v60, v72
	v_lshlrev_b32_e32 v1, 2, v1
	v_sub_u32_e32 v10, v71, v5
	ds_write_b32 v1, v8
	v_sub_u32_e32 v1, v70, v4
	v_add_u32_e32 v10, v10, v2
	v_add_u32_e32 v12, v1, v10
	v_and_b32_e32 v11, 1, v54
	v_sub_u32_e32 v12, v31, v12
	v_and_b32_e32 v8, 1, v55
	v_add_u32_e32 v12, 11, v12
	v_cmp_eq_u32_e32 vcc, 1, v11
	v_cndmask_b32_e32 v10, v12, v10, vcc
	v_cmp_eq_u32_e32 vcc, 1, v8
	v_cndmask_b32_e32 v1, v10, v1, vcc
	v_add_u32_e32 v72, v71, v79
	v_add_u32_e32 v61, v70, v61
	v_lshlrev_b32_e32 v1, 2, v1
	ds_write_b32 v1, v9
	v_sub_u32_e32 v1, v61, v4
	v_sub_u32_e32 v4, v72, v5
	v_add_u32_e32 v4, v4, v2
	v_add_u32_e32 v8, v1, v4
	v_sub_u32_e32 v8, v31, v8
	v_add_u32_e32 v8, 12, v8
	v_cndmask_b32_e64 v4, v8, v4, s[58:59]
	v_cndmask_b32_e64 v1, v4, v1, s[46:47]
	v_lshlrev_b32_e32 v1, 2, v1
	ds_write_b32 v1, v30
	v_add_co_u32_e32 v1, vcc, v3, v73
	v_addc_co_u32_e64 v4, s[2:3], 0, 0, vcc
	v_add_co_u32_e32 v1, vcc, v1, v22
	v_addc_co_u32_e32 v4, vcc, v4, v23, vcc
	s_add_u32 s4, s56, s33
	v_add_co_u32_e32 v1, vcc, v1, v6
	s_addc_u32 s5, s57, 0
	v_addc_co_u32_e32 v4, vcc, v4, v7, vcc
	v_mov_b32_e32 v8, s5
	v_sub_co_u32_e32 v1, vcc, s4, v1
	v_subb_co_u32_e32 v4, vcc, v8, v4, vcc
	v_lshlrev_b64 v[8:9], 2, v[22:23]
	v_mov_b32_e32 v10, s55
	v_add_co_u32_e32 v8, vcc, s54, v8
	v_addc_co_u32_e32 v9, vcc, v10, v9, vcc
	v_lshlrev_b64 v[10:11], 2, v[6:7]
	v_mov_b32_e32 v13, s53
	v_add_co_u32_e32 v10, vcc, s52, v10
	s_add_u32 s6, s34, -4
	v_addc_co_u32_e32 v11, vcc, v13, v11, vcc
	s_addc_u32 s7, s35, -1
	v_add_u32_e32 v12, v2, v3
	s_and_b64 vcc, exec, s[0:1]
	s_mov_b64 s[0:1], -1
	s_waitcnt lgkmcnt(0)
	s_barrier
	s_cbranch_vccz .LBB1364_129
; %bb.126:
	s_and_b64 vcc, exec, s[0:1]
	s_cbranch_vccnz .LBB1364_234
.LBB1364_127:
	v_cmp_eq_u32_e32 vcc, 0, v0
	s_and_b64 s[0:1], vcc, s[30:31]
	s_and_saveexec_b64 s[2:3], s[0:1]
	s_cbranch_execnz .LBB1364_352
.LBB1364_128:
	s_endpgm
.LBB1364_129:
	v_cmp_le_u32_e32 vcc, v2, v0
	s_and_saveexec_b64 s[0:1], vcc
	s_xor_b64 s[0:1], exec, s[0:1]
	s_cbranch_execz .LBB1364_135
; %bb.130:
	v_cmp_le_u32_e32 vcc, v12, v0
	s_and_saveexec_b64 s[2:3], vcc
	s_xor_b64 s[2:3], exec, s[2:3]
	s_cbranch_execz .LBB1364_132
; %bb.131:
	v_lshlrev_b32_e32 v13, 2, v0
	v_add_co_u32_e32 v14, vcc, v1, v0
	ds_read_b32 v13, v13
	v_addc_co_u32_e32 v15, vcc, 0, v4, vcc
	v_lshlrev_b64 v[14:15], 2, v[14:15]
	v_mov_b32_e32 v16, s35
	v_sub_co_u32_e32 v14, vcc, s34, v14
	v_subb_co_u32_e32 v15, vcc, v16, v15, vcc
	s_waitcnt lgkmcnt(0)
	global_store_dword v[14:15], v13, off offset:-4
.LBB1364_132:
	s_andn2_saveexec_b64 s[2:3], s[2:3]
	s_cbranch_execz .LBB1364_134
; %bb.133:
	v_lshlrev_b32_e32 v13, 2, v0
	ds_read_b32 v14, v13
	v_readfirstlane_b32 s4, v8
	v_readfirstlane_b32 s5, v9
	s_waitcnt lgkmcnt(0)
	s_nop 3
	global_store_dword v13, v14, s[4:5]
.LBB1364_134:
	s_or_b64 exec, exec, s[2:3]
.LBB1364_135:
	s_andn2_saveexec_b64 s[0:1], s[0:1]
	s_cbranch_execz .LBB1364_137
; %bb.136:
	v_lshlrev_b32_e32 v13, 2, v0
	ds_read_b32 v14, v13
	v_readfirstlane_b32 s2, v10
	v_readfirstlane_b32 s3, v11
	s_waitcnt lgkmcnt(0)
	s_nop 3
	global_store_dword v13, v14, s[2:3]
.LBB1364_137:
	s_or_b64 exec, exec, s[0:1]
	v_or_b32_e32 v13, 0x100, v0
	v_cmp_le_u32_e32 vcc, v2, v13
	s_and_saveexec_b64 s[0:1], vcc
	s_xor_b64 s[0:1], exec, s[0:1]
	s_cbranch_execz .LBB1364_143
; %bb.138:
	v_cmp_le_u32_e32 vcc, v12, v13
	s_and_saveexec_b64 s[2:3], vcc
	s_xor_b64 s[2:3], exec, s[2:3]
	s_cbranch_execz .LBB1364_140
; %bb.139:
	v_lshlrev_b32_e32 v13, 2, v0
	ds_read_b32 v13, v13 offset:1024
	v_add_co_u32_e32 v14, vcc, v1, v0
	v_addc_co_u32_e32 v15, vcc, 0, v4, vcc
	v_lshlrev_b64 v[14:15], 2, v[14:15]
	v_mov_b32_e32 v16, s7
	v_sub_co_u32_e32 v14, vcc, s6, v14
	v_subb_co_u32_e32 v15, vcc, v16, v15, vcc
	s_waitcnt lgkmcnt(0)
	global_store_dword v[14:15], v13, off offset:-1024
.LBB1364_140:
	s_andn2_saveexec_b64 s[2:3], s[2:3]
	s_cbranch_execz .LBB1364_142
; %bb.141:
	v_lshlrev_b32_e32 v13, 2, v0
	ds_read_b32 v14, v13 offset:1024
	v_readfirstlane_b32 s4, v8
	v_readfirstlane_b32 s5, v9
	s_waitcnt lgkmcnt(0)
	s_nop 3
	global_store_dword v13, v14, s[4:5] offset:1024
.LBB1364_142:
	s_or_b64 exec, exec, s[2:3]
.LBB1364_143:
	s_andn2_saveexec_b64 s[0:1], s[0:1]
	s_cbranch_execz .LBB1364_145
; %bb.144:
	v_lshlrev_b32_e32 v13, 2, v0
	ds_read_b32 v14, v13 offset:1024
	v_readfirstlane_b32 s2, v10
	v_readfirstlane_b32 s3, v11
	s_waitcnt lgkmcnt(0)
	s_nop 3
	global_store_dword v13, v14, s[2:3] offset:1024
.LBB1364_145:
	s_or_b64 exec, exec, s[0:1]
	v_or_b32_e32 v13, 0x200, v0
	v_cmp_le_u32_e32 vcc, v2, v13
	s_and_saveexec_b64 s[0:1], vcc
	s_xor_b64 s[0:1], exec, s[0:1]
	s_cbranch_execz .LBB1364_151
; %bb.146:
	v_cmp_le_u32_e32 vcc, v12, v13
	s_and_saveexec_b64 s[2:3], vcc
	s_xor_b64 s[2:3], exec, s[2:3]
	s_cbranch_execz .LBB1364_148
; %bb.147:
	v_lshlrev_b32_e32 v13, 2, v0
	ds_read_b32 v13, v13 offset:2048
	v_add_co_u32_e32 v14, vcc, v1, v0
	v_addc_co_u32_e32 v15, vcc, 0, v4, vcc
	v_lshlrev_b64 v[14:15], 2, v[14:15]
	v_mov_b32_e32 v16, s7
	v_sub_co_u32_e32 v14, vcc, s6, v14
	v_subb_co_u32_e32 v15, vcc, v16, v15, vcc
	s_waitcnt lgkmcnt(0)
	global_store_dword v[14:15], v13, off offset:-2048
.LBB1364_148:
	s_andn2_saveexec_b64 s[2:3], s[2:3]
	s_cbranch_execz .LBB1364_150
; %bb.149:
	v_lshlrev_b32_e32 v13, 2, v0
	ds_read_b32 v14, v13 offset:2048
	v_readfirstlane_b32 s4, v8
	v_readfirstlane_b32 s5, v9
	s_waitcnt lgkmcnt(0)
	s_nop 3
	global_store_dword v13, v14, s[4:5] offset:2048
.LBB1364_150:
	s_or_b64 exec, exec, s[2:3]
.LBB1364_151:
	s_andn2_saveexec_b64 s[0:1], s[0:1]
	s_cbranch_execz .LBB1364_153
; %bb.152:
	v_lshlrev_b32_e32 v13, 2, v0
	ds_read_b32 v14, v13 offset:2048
	v_readfirstlane_b32 s2, v10
	v_readfirstlane_b32 s3, v11
	s_waitcnt lgkmcnt(0)
	s_nop 3
	global_store_dword v13, v14, s[2:3] offset:2048
.LBB1364_153:
	;; [unrolled: 47-line block ×3, first 2 shown]
	s_or_b64 exec, exec, s[0:1]
	v_or_b32_e32 v13, 0x400, v0
	v_cmp_le_u32_e32 vcc, v2, v13
	s_and_saveexec_b64 s[0:1], vcc
	s_xor_b64 s[0:1], exec, s[0:1]
	s_cbranch_execz .LBB1364_167
; %bb.162:
	v_cmp_le_u32_e32 vcc, v12, v13
	s_and_saveexec_b64 s[2:3], vcc
	s_xor_b64 s[2:3], exec, s[2:3]
	s_cbranch_execz .LBB1364_164
; %bb.163:
	v_lshlrev_b32_e32 v13, 2, v0
	ds_read_b32 v13, v13 offset:4096
	v_add_co_u32_e32 v14, vcc, v1, v0
	v_addc_co_u32_e32 v15, vcc, 0, v4, vcc
	v_lshlrev_b64 v[14:15], 2, v[14:15]
	v_mov_b32_e32 v16, s7
	v_sub_co_u32_e32 v14, vcc, s6, v14
	v_subb_co_u32_e32 v15, vcc, v16, v15, vcc
	s_waitcnt lgkmcnt(0)
	global_store_dword v[14:15], v13, off offset:-4096
                                        ; implicit-def: $vgpr13
.LBB1364_164:
	s_andn2_saveexec_b64 s[2:3], s[2:3]
	s_cbranch_execz .LBB1364_166
; %bb.165:
	v_lshlrev_b32_e32 v14, 2, v0
	ds_read_b32 v14, v14 offset:4096
	v_lshlrev_b32_e32 v13, 2, v13
	v_readfirstlane_b32 s4, v8
	v_readfirstlane_b32 s5, v9
	s_waitcnt lgkmcnt(0)
	s_nop 3
	global_store_dword v13, v14, s[4:5]
.LBB1364_166:
	s_or_b64 exec, exec, s[2:3]
                                        ; implicit-def: $vgpr13
.LBB1364_167:
	s_andn2_saveexec_b64 s[0:1], s[0:1]
	s_cbranch_execz .LBB1364_169
; %bb.168:
	v_lshlrev_b32_e32 v14, 2, v0
	ds_read_b32 v14, v14 offset:4096
	v_lshlrev_b32_e32 v13, 2, v13
	v_readfirstlane_b32 s2, v10
	v_readfirstlane_b32 s3, v11
	s_waitcnt lgkmcnt(0)
	s_nop 3
	global_store_dword v13, v14, s[2:3]
.LBB1364_169:
	s_or_b64 exec, exec, s[0:1]
	v_or_b32_e32 v13, 0x500, v0
	v_cmp_le_u32_e32 vcc, v2, v13
	s_and_saveexec_b64 s[0:1], vcc
	s_xor_b64 s[0:1], exec, s[0:1]
	s_cbranch_execz .LBB1364_175
; %bb.170:
	v_cmp_le_u32_e32 vcc, v12, v13
	s_and_saveexec_b64 s[2:3], vcc
	s_xor_b64 s[2:3], exec, s[2:3]
	s_cbranch_execz .LBB1364_172
; %bb.171:
	v_add_co_u32_e32 v14, vcc, v1, v13
	v_lshlrev_b32_e32 v13, 2, v0
	ds_read_b32 v13, v13 offset:5120
	v_addc_co_u32_e32 v15, vcc, 0, v4, vcc
	v_lshlrev_b64 v[14:15], 2, v[14:15]
	v_mov_b32_e32 v16, s7
	v_sub_co_u32_e32 v14, vcc, s6, v14
	v_subb_co_u32_e32 v15, vcc, v16, v15, vcc
	s_waitcnt lgkmcnt(0)
	global_store_dword v[14:15], v13, off
                                        ; implicit-def: $vgpr13
.LBB1364_172:
	s_andn2_saveexec_b64 s[2:3], s[2:3]
	s_cbranch_execz .LBB1364_174
; %bb.173:
	v_lshlrev_b32_e32 v14, 2, v0
	ds_read_b32 v14, v14 offset:5120
	v_lshlrev_b32_e32 v13, 2, v13
	v_readfirstlane_b32 s4, v8
	v_readfirstlane_b32 s5, v9
	s_waitcnt lgkmcnt(0)
	s_nop 3
	global_store_dword v13, v14, s[4:5]
.LBB1364_174:
	s_or_b64 exec, exec, s[2:3]
                                        ; implicit-def: $vgpr13
.LBB1364_175:
	s_andn2_saveexec_b64 s[0:1], s[0:1]
	s_cbranch_execz .LBB1364_177
; %bb.176:
	v_lshlrev_b32_e32 v14, 2, v0
	ds_read_b32 v14, v14 offset:5120
	v_lshlrev_b32_e32 v13, 2, v13
	v_readfirstlane_b32 s2, v10
	v_readfirstlane_b32 s3, v11
	s_waitcnt lgkmcnt(0)
	s_nop 3
	global_store_dword v13, v14, s[2:3]
.LBB1364_177:
	s_or_b64 exec, exec, s[0:1]
	v_or_b32_e32 v13, 0x600, v0
	v_cmp_le_u32_e32 vcc, v2, v13
	s_and_saveexec_b64 s[0:1], vcc
	s_xor_b64 s[0:1], exec, s[0:1]
	s_cbranch_execz .LBB1364_183
; %bb.178:
	v_cmp_le_u32_e32 vcc, v12, v13
	s_and_saveexec_b64 s[2:3], vcc
	s_xor_b64 s[2:3], exec, s[2:3]
	s_cbranch_execz .LBB1364_180
; %bb.179:
	v_add_co_u32_e32 v14, vcc, v1, v13
	v_lshlrev_b32_e32 v13, 2, v0
	ds_read_b32 v13, v13 offset:6144
	v_addc_co_u32_e32 v15, vcc, 0, v4, vcc
	v_lshlrev_b64 v[14:15], 2, v[14:15]
	v_mov_b32_e32 v16, s7
	v_sub_co_u32_e32 v14, vcc, s6, v14
	v_subb_co_u32_e32 v15, vcc, v16, v15, vcc
	s_waitcnt lgkmcnt(0)
	global_store_dword v[14:15], v13, off
                                        ; implicit-def: $vgpr13
.LBB1364_180:
	s_andn2_saveexec_b64 s[2:3], s[2:3]
	s_cbranch_execz .LBB1364_182
; %bb.181:
	v_lshlrev_b32_e32 v14, 2, v0
	ds_read_b32 v14, v14 offset:6144
	v_lshlrev_b32_e32 v13, 2, v13
	v_readfirstlane_b32 s4, v8
	v_readfirstlane_b32 s5, v9
	s_waitcnt lgkmcnt(0)
	s_nop 3
	global_store_dword v13, v14, s[4:5]
.LBB1364_182:
	s_or_b64 exec, exec, s[2:3]
                                        ; implicit-def: $vgpr13
.LBB1364_183:
	;; [unrolled: 51-line block ×8, first 2 shown]
	s_andn2_saveexec_b64 s[0:1], s[0:1]
	s_cbranch_execz .LBB1364_233
; %bb.232:
	v_lshlrev_b32_e32 v14, 2, v0
	ds_read_b32 v14, v14 offset:12288
	v_lshlrev_b32_e32 v13, 2, v13
	v_readfirstlane_b32 s2, v10
	v_readfirstlane_b32 s3, v11
	s_waitcnt lgkmcnt(0)
	s_nop 3
	global_store_dword v13, v14, s[2:3]
.LBB1364_233:
	s_or_b64 exec, exec, s[0:1]
	s_branch .LBB1364_127
.LBB1364_234:
	v_cmp_gt_u32_e32 vcc, s18, v0
	s_and_saveexec_b64 s[0:1], vcc
	s_cbranch_execz .LBB1364_243
; %bb.235:
	v_cmp_le_u32_e32 vcc, v2, v0
	s_and_saveexec_b64 s[2:3], vcc
	s_xor_b64 s[2:3], exec, s[2:3]
	s_cbranch_execz .LBB1364_241
; %bb.236:
	v_cmp_le_u32_e32 vcc, v12, v0
	s_and_saveexec_b64 s[4:5], vcc
	s_xor_b64 s[4:5], exec, s[4:5]
	s_cbranch_execz .LBB1364_238
; %bb.237:
	v_lshlrev_b32_e32 v13, 2, v0
	v_add_co_u32_e32 v14, vcc, v1, v0
	ds_read_b32 v13, v13
	v_addc_co_u32_e32 v15, vcc, 0, v4, vcc
	v_lshlrev_b64 v[14:15], 2, v[14:15]
	v_mov_b32_e32 v16, s35
	v_sub_co_u32_e32 v14, vcc, s34, v14
	v_subb_co_u32_e32 v15, vcc, v16, v15, vcc
	s_waitcnt lgkmcnt(0)
	global_store_dword v[14:15], v13, off offset:-4
.LBB1364_238:
	s_andn2_saveexec_b64 s[4:5], s[4:5]
	s_cbranch_execz .LBB1364_240
; %bb.239:
	v_lshlrev_b32_e32 v13, 2, v0
	ds_read_b32 v14, v13
	v_readfirstlane_b32 s8, v8
	v_readfirstlane_b32 s9, v9
	s_waitcnt lgkmcnt(0)
	s_nop 3
	global_store_dword v13, v14, s[8:9]
.LBB1364_240:
	s_or_b64 exec, exec, s[4:5]
.LBB1364_241:
	s_andn2_saveexec_b64 s[2:3], s[2:3]
	s_cbranch_execz .LBB1364_243
; %bb.242:
	v_lshlrev_b32_e32 v13, 2, v0
	ds_read_b32 v14, v13
	v_readfirstlane_b32 s2, v10
	v_readfirstlane_b32 s3, v11
	s_waitcnt lgkmcnt(0)
	s_nop 3
	global_store_dword v13, v14, s[2:3]
.LBB1364_243:
	s_or_b64 exec, exec, s[0:1]
	v_or_b32_e32 v13, 0x100, v0
	v_cmp_gt_u32_e32 vcc, s18, v13
	s_and_saveexec_b64 s[0:1], vcc
	s_cbranch_execz .LBB1364_252
; %bb.244:
	v_cmp_le_u32_e32 vcc, v2, v13
	s_and_saveexec_b64 s[2:3], vcc
	s_xor_b64 s[2:3], exec, s[2:3]
	s_cbranch_execz .LBB1364_250
; %bb.245:
	v_cmp_le_u32_e32 vcc, v12, v13
	s_and_saveexec_b64 s[4:5], vcc
	s_xor_b64 s[4:5], exec, s[4:5]
	s_cbranch_execz .LBB1364_247
; %bb.246:
	v_lshlrev_b32_e32 v13, 2, v0
	ds_read_b32 v13, v13 offset:1024
	v_add_co_u32_e32 v14, vcc, v1, v0
	v_addc_co_u32_e32 v15, vcc, 0, v4, vcc
	v_lshlrev_b64 v[14:15], 2, v[14:15]
	v_mov_b32_e32 v16, s7
	v_sub_co_u32_e32 v14, vcc, s6, v14
	v_subb_co_u32_e32 v15, vcc, v16, v15, vcc
	s_waitcnt lgkmcnt(0)
	global_store_dword v[14:15], v13, off offset:-1024
.LBB1364_247:
	s_andn2_saveexec_b64 s[4:5], s[4:5]
	s_cbranch_execz .LBB1364_249
; %bb.248:
	v_lshlrev_b32_e32 v13, 2, v0
	ds_read_b32 v14, v13 offset:1024
	v_readfirstlane_b32 s8, v8
	v_readfirstlane_b32 s9, v9
	s_waitcnt lgkmcnt(0)
	s_nop 3
	global_store_dword v13, v14, s[8:9] offset:1024
.LBB1364_249:
	s_or_b64 exec, exec, s[4:5]
.LBB1364_250:
	s_andn2_saveexec_b64 s[2:3], s[2:3]
	s_cbranch_execz .LBB1364_252
; %bb.251:
	v_lshlrev_b32_e32 v13, 2, v0
	ds_read_b32 v14, v13 offset:1024
	v_readfirstlane_b32 s2, v10
	v_readfirstlane_b32 s3, v11
	s_waitcnt lgkmcnt(0)
	s_nop 3
	global_store_dword v13, v14, s[2:3] offset:1024
.LBB1364_252:
	s_or_b64 exec, exec, s[0:1]
	v_or_b32_e32 v13, 0x200, v0
	v_cmp_gt_u32_e32 vcc, s18, v13
	s_and_saveexec_b64 s[0:1], vcc
	s_cbranch_execz .LBB1364_261
; %bb.253:
	v_cmp_le_u32_e32 vcc, v2, v13
	s_and_saveexec_b64 s[2:3], vcc
	s_xor_b64 s[2:3], exec, s[2:3]
	s_cbranch_execz .LBB1364_259
; %bb.254:
	v_cmp_le_u32_e32 vcc, v12, v13
	s_and_saveexec_b64 s[4:5], vcc
	s_xor_b64 s[4:5], exec, s[4:5]
	s_cbranch_execz .LBB1364_256
; %bb.255:
	v_lshlrev_b32_e32 v13, 2, v0
	ds_read_b32 v13, v13 offset:2048
	v_add_co_u32_e32 v14, vcc, v1, v0
	v_addc_co_u32_e32 v15, vcc, 0, v4, vcc
	v_lshlrev_b64 v[14:15], 2, v[14:15]
	v_mov_b32_e32 v16, s7
	v_sub_co_u32_e32 v14, vcc, s6, v14
	v_subb_co_u32_e32 v15, vcc, v16, v15, vcc
	s_waitcnt lgkmcnt(0)
	global_store_dword v[14:15], v13, off offset:-2048
.LBB1364_256:
	s_andn2_saveexec_b64 s[4:5], s[4:5]
	s_cbranch_execz .LBB1364_258
; %bb.257:
	v_lshlrev_b32_e32 v13, 2, v0
	ds_read_b32 v14, v13 offset:2048
	v_readfirstlane_b32 s8, v8
	v_readfirstlane_b32 s9, v9
	s_waitcnt lgkmcnt(0)
	s_nop 3
	global_store_dword v13, v14, s[8:9] offset:2048
.LBB1364_258:
	s_or_b64 exec, exec, s[4:5]
.LBB1364_259:
	s_andn2_saveexec_b64 s[2:3], s[2:3]
	s_cbranch_execz .LBB1364_261
; %bb.260:
	v_lshlrev_b32_e32 v13, 2, v0
	ds_read_b32 v14, v13 offset:2048
	v_readfirstlane_b32 s2, v10
	v_readfirstlane_b32 s3, v11
	s_waitcnt lgkmcnt(0)
	s_nop 3
	global_store_dword v13, v14, s[2:3] offset:2048
.LBB1364_261:
	;; [unrolled: 51-line block ×3, first 2 shown]
	s_or_b64 exec, exec, s[0:1]
	v_or_b32_e32 v13, 0x400, v0
	v_cmp_gt_u32_e32 vcc, s18, v13
	s_and_saveexec_b64 s[0:1], vcc
	s_cbranch_execz .LBB1364_279
; %bb.271:
	v_cmp_le_u32_e32 vcc, v2, v13
	s_and_saveexec_b64 s[2:3], vcc
	s_xor_b64 s[2:3], exec, s[2:3]
	s_cbranch_execz .LBB1364_277
; %bb.272:
	v_cmp_le_u32_e32 vcc, v12, v13
	s_and_saveexec_b64 s[4:5], vcc
	s_xor_b64 s[4:5], exec, s[4:5]
	s_cbranch_execz .LBB1364_274
; %bb.273:
	v_lshlrev_b32_e32 v13, 2, v0
	ds_read_b32 v13, v13 offset:4096
	v_add_co_u32_e32 v14, vcc, v1, v0
	v_addc_co_u32_e32 v15, vcc, 0, v4, vcc
	v_lshlrev_b64 v[14:15], 2, v[14:15]
	v_mov_b32_e32 v16, s7
	v_sub_co_u32_e32 v14, vcc, s6, v14
	v_subb_co_u32_e32 v15, vcc, v16, v15, vcc
	s_waitcnt lgkmcnt(0)
	global_store_dword v[14:15], v13, off offset:-4096
                                        ; implicit-def: $vgpr13
.LBB1364_274:
	s_andn2_saveexec_b64 s[4:5], s[4:5]
	s_cbranch_execz .LBB1364_276
; %bb.275:
	v_lshlrev_b32_e32 v14, 2, v0
	ds_read_b32 v14, v14 offset:4096
	v_lshlrev_b32_e32 v13, 2, v13
	v_readfirstlane_b32 s8, v8
	v_readfirstlane_b32 s9, v9
	s_waitcnt lgkmcnt(0)
	s_nop 3
	global_store_dword v13, v14, s[8:9]
.LBB1364_276:
	s_or_b64 exec, exec, s[4:5]
                                        ; implicit-def: $vgpr13
.LBB1364_277:
	s_andn2_saveexec_b64 s[2:3], s[2:3]
	s_cbranch_execz .LBB1364_279
; %bb.278:
	v_lshlrev_b32_e32 v14, 2, v0
	ds_read_b32 v14, v14 offset:4096
	v_lshlrev_b32_e32 v13, 2, v13
	v_readfirstlane_b32 s2, v10
	v_readfirstlane_b32 s3, v11
	s_waitcnt lgkmcnt(0)
	s_nop 3
	global_store_dword v13, v14, s[2:3]
.LBB1364_279:
	s_or_b64 exec, exec, s[0:1]
	v_or_b32_e32 v13, 0x500, v0
	v_cmp_gt_u32_e32 vcc, s18, v13
	s_and_saveexec_b64 s[0:1], vcc
	s_cbranch_execz .LBB1364_288
; %bb.280:
	v_cmp_le_u32_e32 vcc, v2, v13
	s_and_saveexec_b64 s[2:3], vcc
	s_xor_b64 s[2:3], exec, s[2:3]
	s_cbranch_execz .LBB1364_286
; %bb.281:
	v_cmp_le_u32_e32 vcc, v12, v13
	s_and_saveexec_b64 s[4:5], vcc
	s_xor_b64 s[4:5], exec, s[4:5]
	s_cbranch_execz .LBB1364_283
; %bb.282:
	v_add_co_u32_e32 v14, vcc, v1, v13
	v_lshlrev_b32_e32 v13, 2, v0
	ds_read_b32 v13, v13 offset:5120
	v_addc_co_u32_e32 v15, vcc, 0, v4, vcc
	v_lshlrev_b64 v[14:15], 2, v[14:15]
	v_mov_b32_e32 v16, s7
	v_sub_co_u32_e32 v14, vcc, s6, v14
	v_subb_co_u32_e32 v15, vcc, v16, v15, vcc
	s_waitcnt lgkmcnt(0)
	global_store_dword v[14:15], v13, off
                                        ; implicit-def: $vgpr13
.LBB1364_283:
	s_andn2_saveexec_b64 s[4:5], s[4:5]
	s_cbranch_execz .LBB1364_285
; %bb.284:
	v_lshlrev_b32_e32 v14, 2, v0
	ds_read_b32 v14, v14 offset:5120
	v_lshlrev_b32_e32 v13, 2, v13
	v_readfirstlane_b32 s8, v8
	v_readfirstlane_b32 s9, v9
	s_waitcnt lgkmcnt(0)
	s_nop 3
	global_store_dword v13, v14, s[8:9]
.LBB1364_285:
	s_or_b64 exec, exec, s[4:5]
                                        ; implicit-def: $vgpr13
.LBB1364_286:
	s_andn2_saveexec_b64 s[2:3], s[2:3]
	s_cbranch_execz .LBB1364_288
; %bb.287:
	v_lshlrev_b32_e32 v14, 2, v0
	ds_read_b32 v14, v14 offset:5120
	v_lshlrev_b32_e32 v13, 2, v13
	v_readfirstlane_b32 s2, v10
	v_readfirstlane_b32 s3, v11
	s_waitcnt lgkmcnt(0)
	s_nop 3
	global_store_dword v13, v14, s[2:3]
.LBB1364_288:
	s_or_b64 exec, exec, s[0:1]
	v_or_b32_e32 v13, 0x600, v0
	v_cmp_gt_u32_e32 vcc, s18, v13
	s_and_saveexec_b64 s[0:1], vcc
	s_cbranch_execz .LBB1364_297
; %bb.289:
	v_cmp_le_u32_e32 vcc, v2, v13
	s_and_saveexec_b64 s[2:3], vcc
	s_xor_b64 s[2:3], exec, s[2:3]
	s_cbranch_execz .LBB1364_295
; %bb.290:
	v_cmp_le_u32_e32 vcc, v12, v13
	s_and_saveexec_b64 s[4:5], vcc
	s_xor_b64 s[4:5], exec, s[4:5]
	s_cbranch_execz .LBB1364_292
; %bb.291:
	v_add_co_u32_e32 v14, vcc, v1, v13
	v_lshlrev_b32_e32 v13, 2, v0
	ds_read_b32 v13, v13 offset:6144
	v_addc_co_u32_e32 v15, vcc, 0, v4, vcc
	v_lshlrev_b64 v[14:15], 2, v[14:15]
	v_mov_b32_e32 v16, s7
	v_sub_co_u32_e32 v14, vcc, s6, v14
	v_subb_co_u32_e32 v15, vcc, v16, v15, vcc
	s_waitcnt lgkmcnt(0)
	global_store_dword v[14:15], v13, off
                                        ; implicit-def: $vgpr13
.LBB1364_292:
	s_andn2_saveexec_b64 s[4:5], s[4:5]
	s_cbranch_execz .LBB1364_294
; %bb.293:
	v_lshlrev_b32_e32 v14, 2, v0
	ds_read_b32 v14, v14 offset:6144
	v_lshlrev_b32_e32 v13, 2, v13
	v_readfirstlane_b32 s8, v8
	v_readfirstlane_b32 s9, v9
	s_waitcnt lgkmcnt(0)
	s_nop 3
	global_store_dword v13, v14, s[8:9]
.LBB1364_294:
	s_or_b64 exec, exec, s[4:5]
                                        ; implicit-def: $vgpr13
.LBB1364_295:
	s_andn2_saveexec_b64 s[2:3], s[2:3]
	s_cbranch_execz .LBB1364_297
; %bb.296:
	v_lshlrev_b32_e32 v14, 2, v0
	ds_read_b32 v14, v14 offset:6144
	v_lshlrev_b32_e32 v13, 2, v13
	v_readfirstlane_b32 s2, v10
	v_readfirstlane_b32 s3, v11
	s_waitcnt lgkmcnt(0)
	s_nop 3
	global_store_dword v13, v14, s[2:3]
.LBB1364_297:
	;; [unrolled: 55-line block ×7, first 2 shown]
	s_or_b64 exec, exec, s[0:1]
	v_or_b32_e32 v13, 0xc00, v0
	v_cmp_gt_u32_e32 vcc, s18, v13
	s_and_saveexec_b64 s[0:1], vcc
	s_cbranch_execz .LBB1364_351
; %bb.343:
	v_cmp_le_u32_e32 vcc, v2, v13
	s_and_saveexec_b64 s[2:3], vcc
	s_xor_b64 s[2:3], exec, s[2:3]
	s_cbranch_execz .LBB1364_349
; %bb.344:
	v_cmp_le_u32_e32 vcc, v12, v13
	s_and_saveexec_b64 s[4:5], vcc
	s_xor_b64 s[4:5], exec, s[4:5]
	s_cbranch_execz .LBB1364_346
; %bb.345:
	v_add_co_u32_e32 v8, vcc, v1, v13
	v_lshlrev_b32_e32 v1, 2, v0
	ds_read_b32 v1, v1 offset:12288
	v_addc_co_u32_e32 v9, vcc, 0, v4, vcc
	v_lshlrev_b64 v[8:9], 2, v[8:9]
	v_mov_b32_e32 v4, s7
	v_sub_co_u32_e32 v8, vcc, s6, v8
	v_subb_co_u32_e32 v9, vcc, v4, v9, vcc
	s_waitcnt lgkmcnt(0)
	global_store_dword v[8:9], v1, off
                                        ; implicit-def: $vgpr13
                                        ; implicit-def: $vgpr8_vgpr9
.LBB1364_346:
	s_andn2_saveexec_b64 s[4:5], s[4:5]
	s_cbranch_execz .LBB1364_348
; %bb.347:
	v_lshlrev_b32_e32 v1, 2, v0
	ds_read_b32 v1, v1 offset:12288
	v_lshlrev_b32_e32 v4, 2, v13
	v_readfirstlane_b32 s6, v8
	v_readfirstlane_b32 s7, v9
	s_waitcnt lgkmcnt(0)
	s_nop 3
	global_store_dword v4, v1, s[6:7]
.LBB1364_348:
	s_or_b64 exec, exec, s[4:5]
                                        ; implicit-def: $vgpr13
                                        ; implicit-def: $vgpr10_vgpr11
.LBB1364_349:
	s_andn2_saveexec_b64 s[2:3], s[2:3]
	s_cbranch_execz .LBB1364_351
; %bb.350:
	v_lshlrev_b32_e32 v1, 2, v0
	ds_read_b32 v1, v1 offset:12288
	v_lshlrev_b32_e32 v4, 2, v13
	v_readfirstlane_b32 s2, v10
	v_readfirstlane_b32 s3, v11
	s_waitcnt lgkmcnt(0)
	s_nop 3
	global_store_dword v4, v1, s[2:3]
.LBB1364_351:
	s_or_b64 exec, exec, s[0:1]
	v_cmp_eq_u32_e32 vcc, 0, v0
	s_and_b64 s[0:1], vcc, s[30:31]
	s_and_saveexec_b64 s[2:3], s[0:1]
	s_cbranch_execz .LBB1364_128
.LBB1364_352:
	v_add_co_u32_e32 v0, vcc, v6, v2
	v_addc_co_u32_e32 v1, vcc, 0, v7, vcc
	v_mov_b32_e32 v2, s51
	v_add_co_u32_e32 v3, vcc, s50, v3
	v_addc_co_u32_e32 v6, vcc, 0, v2, vcc
	v_add_co_u32_e32 v2, vcc, v3, v5
	v_mov_b32_e32 v4, 0
	v_addc_co_u32_e32 v3, vcc, 0, v6, vcc
	global_store_dwordx4 v4, v[0:3], s[44:45]
	s_endpgm
	.section	.rodata,"a",@progbits
	.p2align	6, 0x0
	.amdhsa_kernel _ZN7rocprim17ROCPRIM_400000_NS6detail17trampoline_kernelINS0_13select_configILj256ELj13ELNS0_17block_load_methodE3ELS4_3ELS4_3ELNS0_20block_scan_algorithmE0ELj4294967295EEENS1_25partition_config_selectorILNS1_17partition_subalgoE4EjNS0_10empty_typeEbEEZZNS1_14partition_implILS8_4ELb0ES6_15HIP_vector_typeIjLj2EENS0_17counting_iteratorIjlEEPS9_SG_NS0_5tupleIJPjSI_NS0_16reverse_iteratorISI_EEEEENSH_IJSG_SG_SG_EEES9_SI_JZNS1_25segmented_radix_sort_implINS0_14default_configELb0EPKfPfPKlPlN2at6native12_GLOBAL__N_18offset_tEEE10hipError_tPvRmT1_PNSt15iterator_traitsIS12_E10value_typeET2_T3_PNS13_IS18_E10value_typeET4_jRbjT5_S1E_jjP12ihipStream_tbEUljE_ZNSN_ISO_Lb0ESQ_SR_ST_SU_SY_EESZ_S10_S11_S12_S16_S17_S18_S1B_S1C_jS1D_jS1E_S1E_jjS1G_bEUljE0_EEESZ_S10_S11_S18_S1C_S1E_T6_T7_T9_mT8_S1G_bDpT10_ENKUlT_T0_E_clISt17integral_constantIbLb0EES1U_EEDaS1P_S1Q_EUlS1P_E_NS1_11comp_targetILNS1_3genE4ELNS1_11target_archE910ELNS1_3gpuE8ELNS1_3repE0EEENS1_30default_config_static_selectorELNS0_4arch9wavefront6targetE1EEEvS12_
		.amdhsa_group_segment_fixed_size 13340
		.amdhsa_private_segment_fixed_size 0
		.amdhsa_kernarg_size 176
		.amdhsa_user_sgpr_count 6
		.amdhsa_user_sgpr_private_segment_buffer 1
		.amdhsa_user_sgpr_dispatch_ptr 0
		.amdhsa_user_sgpr_queue_ptr 0
		.amdhsa_user_sgpr_kernarg_segment_ptr 1
		.amdhsa_user_sgpr_dispatch_id 0
		.amdhsa_user_sgpr_flat_scratch_init 0
		.amdhsa_user_sgpr_kernarg_preload_length 0
		.amdhsa_user_sgpr_kernarg_preload_offset 0
		.amdhsa_user_sgpr_private_segment_size 0
		.amdhsa_uses_dynamic_stack 0
		.amdhsa_system_sgpr_private_segment_wavefront_offset 0
		.amdhsa_system_sgpr_workgroup_id_x 1
		.amdhsa_system_sgpr_workgroup_id_y 0
		.amdhsa_system_sgpr_workgroup_id_z 0
		.amdhsa_system_sgpr_workgroup_info 0
		.amdhsa_system_vgpr_workitem_id 0
		.amdhsa_next_free_vgpr 102
		.amdhsa_next_free_sgpr 90
		.amdhsa_accum_offset 104
		.amdhsa_reserve_vcc 1
		.amdhsa_reserve_flat_scratch 0
		.amdhsa_float_round_mode_32 0
		.amdhsa_float_round_mode_16_64 0
		.amdhsa_float_denorm_mode_32 3
		.amdhsa_float_denorm_mode_16_64 3
		.amdhsa_dx10_clamp 1
		.amdhsa_ieee_mode 1
		.amdhsa_fp16_overflow 0
		.amdhsa_tg_split 0
		.amdhsa_exception_fp_ieee_invalid_op 0
		.amdhsa_exception_fp_denorm_src 0
		.amdhsa_exception_fp_ieee_div_zero 0
		.amdhsa_exception_fp_ieee_overflow 0
		.amdhsa_exception_fp_ieee_underflow 0
		.amdhsa_exception_fp_ieee_inexact 0
		.amdhsa_exception_int_div_zero 0
	.end_amdhsa_kernel
	.section	.text._ZN7rocprim17ROCPRIM_400000_NS6detail17trampoline_kernelINS0_13select_configILj256ELj13ELNS0_17block_load_methodE3ELS4_3ELS4_3ELNS0_20block_scan_algorithmE0ELj4294967295EEENS1_25partition_config_selectorILNS1_17partition_subalgoE4EjNS0_10empty_typeEbEEZZNS1_14partition_implILS8_4ELb0ES6_15HIP_vector_typeIjLj2EENS0_17counting_iteratorIjlEEPS9_SG_NS0_5tupleIJPjSI_NS0_16reverse_iteratorISI_EEEEENSH_IJSG_SG_SG_EEES9_SI_JZNS1_25segmented_radix_sort_implINS0_14default_configELb0EPKfPfPKlPlN2at6native12_GLOBAL__N_18offset_tEEE10hipError_tPvRmT1_PNSt15iterator_traitsIS12_E10value_typeET2_T3_PNS13_IS18_E10value_typeET4_jRbjT5_S1E_jjP12ihipStream_tbEUljE_ZNSN_ISO_Lb0ESQ_SR_ST_SU_SY_EESZ_S10_S11_S12_S16_S17_S18_S1B_S1C_jS1D_jS1E_S1E_jjS1G_bEUljE0_EEESZ_S10_S11_S18_S1C_S1E_T6_T7_T9_mT8_S1G_bDpT10_ENKUlT_T0_E_clISt17integral_constantIbLb0EES1U_EEDaS1P_S1Q_EUlS1P_E_NS1_11comp_targetILNS1_3genE4ELNS1_11target_archE910ELNS1_3gpuE8ELNS1_3repE0EEENS1_30default_config_static_selectorELNS0_4arch9wavefront6targetE1EEEvS12_,"axG",@progbits,_ZN7rocprim17ROCPRIM_400000_NS6detail17trampoline_kernelINS0_13select_configILj256ELj13ELNS0_17block_load_methodE3ELS4_3ELS4_3ELNS0_20block_scan_algorithmE0ELj4294967295EEENS1_25partition_config_selectorILNS1_17partition_subalgoE4EjNS0_10empty_typeEbEEZZNS1_14partition_implILS8_4ELb0ES6_15HIP_vector_typeIjLj2EENS0_17counting_iteratorIjlEEPS9_SG_NS0_5tupleIJPjSI_NS0_16reverse_iteratorISI_EEEEENSH_IJSG_SG_SG_EEES9_SI_JZNS1_25segmented_radix_sort_implINS0_14default_configELb0EPKfPfPKlPlN2at6native12_GLOBAL__N_18offset_tEEE10hipError_tPvRmT1_PNSt15iterator_traitsIS12_E10value_typeET2_T3_PNS13_IS18_E10value_typeET4_jRbjT5_S1E_jjP12ihipStream_tbEUljE_ZNSN_ISO_Lb0ESQ_SR_ST_SU_SY_EESZ_S10_S11_S12_S16_S17_S18_S1B_S1C_jS1D_jS1E_S1E_jjS1G_bEUljE0_EEESZ_S10_S11_S18_S1C_S1E_T6_T7_T9_mT8_S1G_bDpT10_ENKUlT_T0_E_clISt17integral_constantIbLb0EES1U_EEDaS1P_S1Q_EUlS1P_E_NS1_11comp_targetILNS1_3genE4ELNS1_11target_archE910ELNS1_3gpuE8ELNS1_3repE0EEENS1_30default_config_static_selectorELNS0_4arch9wavefront6targetE1EEEvS12_,comdat
.Lfunc_end1364:
	.size	_ZN7rocprim17ROCPRIM_400000_NS6detail17trampoline_kernelINS0_13select_configILj256ELj13ELNS0_17block_load_methodE3ELS4_3ELS4_3ELNS0_20block_scan_algorithmE0ELj4294967295EEENS1_25partition_config_selectorILNS1_17partition_subalgoE4EjNS0_10empty_typeEbEEZZNS1_14partition_implILS8_4ELb0ES6_15HIP_vector_typeIjLj2EENS0_17counting_iteratorIjlEEPS9_SG_NS0_5tupleIJPjSI_NS0_16reverse_iteratorISI_EEEEENSH_IJSG_SG_SG_EEES9_SI_JZNS1_25segmented_radix_sort_implINS0_14default_configELb0EPKfPfPKlPlN2at6native12_GLOBAL__N_18offset_tEEE10hipError_tPvRmT1_PNSt15iterator_traitsIS12_E10value_typeET2_T3_PNS13_IS18_E10value_typeET4_jRbjT5_S1E_jjP12ihipStream_tbEUljE_ZNSN_ISO_Lb0ESQ_SR_ST_SU_SY_EESZ_S10_S11_S12_S16_S17_S18_S1B_S1C_jS1D_jS1E_S1E_jjS1G_bEUljE0_EEESZ_S10_S11_S18_S1C_S1E_T6_T7_T9_mT8_S1G_bDpT10_ENKUlT_T0_E_clISt17integral_constantIbLb0EES1U_EEDaS1P_S1Q_EUlS1P_E_NS1_11comp_targetILNS1_3genE4ELNS1_11target_archE910ELNS1_3gpuE8ELNS1_3repE0EEENS1_30default_config_static_selectorELNS0_4arch9wavefront6targetE1EEEvS12_, .Lfunc_end1364-_ZN7rocprim17ROCPRIM_400000_NS6detail17trampoline_kernelINS0_13select_configILj256ELj13ELNS0_17block_load_methodE3ELS4_3ELS4_3ELNS0_20block_scan_algorithmE0ELj4294967295EEENS1_25partition_config_selectorILNS1_17partition_subalgoE4EjNS0_10empty_typeEbEEZZNS1_14partition_implILS8_4ELb0ES6_15HIP_vector_typeIjLj2EENS0_17counting_iteratorIjlEEPS9_SG_NS0_5tupleIJPjSI_NS0_16reverse_iteratorISI_EEEEENSH_IJSG_SG_SG_EEES9_SI_JZNS1_25segmented_radix_sort_implINS0_14default_configELb0EPKfPfPKlPlN2at6native12_GLOBAL__N_18offset_tEEE10hipError_tPvRmT1_PNSt15iterator_traitsIS12_E10value_typeET2_T3_PNS13_IS18_E10value_typeET4_jRbjT5_S1E_jjP12ihipStream_tbEUljE_ZNSN_ISO_Lb0ESQ_SR_ST_SU_SY_EESZ_S10_S11_S12_S16_S17_S18_S1B_S1C_jS1D_jS1E_S1E_jjS1G_bEUljE0_EEESZ_S10_S11_S18_S1C_S1E_T6_T7_T9_mT8_S1G_bDpT10_ENKUlT_T0_E_clISt17integral_constantIbLb0EES1U_EEDaS1P_S1Q_EUlS1P_E_NS1_11comp_targetILNS1_3genE4ELNS1_11target_archE910ELNS1_3gpuE8ELNS1_3repE0EEENS1_30default_config_static_selectorELNS0_4arch9wavefront6targetE1EEEvS12_
                                        ; -- End function
	.section	.AMDGPU.csdata,"",@progbits
; Kernel info:
; codeLenInByte = 13332
; NumSgprs: 94
; NumVgprs: 102
; NumAgprs: 0
; TotalNumVgprs: 102
; ScratchSize: 0
; MemoryBound: 0
; FloatMode: 240
; IeeeMode: 1
; LDSByteSize: 13340 bytes/workgroup (compile time only)
; SGPRBlocks: 11
; VGPRBlocks: 12
; NumSGPRsForWavesPerEU: 94
; NumVGPRsForWavesPerEU: 102
; AccumOffset: 104
; Occupancy: 4
; WaveLimiterHint : 1
; COMPUTE_PGM_RSRC2:SCRATCH_EN: 0
; COMPUTE_PGM_RSRC2:USER_SGPR: 6
; COMPUTE_PGM_RSRC2:TRAP_HANDLER: 0
; COMPUTE_PGM_RSRC2:TGID_X_EN: 1
; COMPUTE_PGM_RSRC2:TGID_Y_EN: 0
; COMPUTE_PGM_RSRC2:TGID_Z_EN: 0
; COMPUTE_PGM_RSRC2:TIDIG_COMP_CNT: 0
; COMPUTE_PGM_RSRC3_GFX90A:ACCUM_OFFSET: 25
; COMPUTE_PGM_RSRC3_GFX90A:TG_SPLIT: 0
	.section	.text._ZN7rocprim17ROCPRIM_400000_NS6detail17trampoline_kernelINS0_13select_configILj256ELj13ELNS0_17block_load_methodE3ELS4_3ELS4_3ELNS0_20block_scan_algorithmE0ELj4294967295EEENS1_25partition_config_selectorILNS1_17partition_subalgoE4EjNS0_10empty_typeEbEEZZNS1_14partition_implILS8_4ELb0ES6_15HIP_vector_typeIjLj2EENS0_17counting_iteratorIjlEEPS9_SG_NS0_5tupleIJPjSI_NS0_16reverse_iteratorISI_EEEEENSH_IJSG_SG_SG_EEES9_SI_JZNS1_25segmented_radix_sort_implINS0_14default_configELb0EPKfPfPKlPlN2at6native12_GLOBAL__N_18offset_tEEE10hipError_tPvRmT1_PNSt15iterator_traitsIS12_E10value_typeET2_T3_PNS13_IS18_E10value_typeET4_jRbjT5_S1E_jjP12ihipStream_tbEUljE_ZNSN_ISO_Lb0ESQ_SR_ST_SU_SY_EESZ_S10_S11_S12_S16_S17_S18_S1B_S1C_jS1D_jS1E_S1E_jjS1G_bEUljE0_EEESZ_S10_S11_S18_S1C_S1E_T6_T7_T9_mT8_S1G_bDpT10_ENKUlT_T0_E_clISt17integral_constantIbLb0EES1U_EEDaS1P_S1Q_EUlS1P_E_NS1_11comp_targetILNS1_3genE3ELNS1_11target_archE908ELNS1_3gpuE7ELNS1_3repE0EEENS1_30default_config_static_selectorELNS0_4arch9wavefront6targetE1EEEvS12_,"axG",@progbits,_ZN7rocprim17ROCPRIM_400000_NS6detail17trampoline_kernelINS0_13select_configILj256ELj13ELNS0_17block_load_methodE3ELS4_3ELS4_3ELNS0_20block_scan_algorithmE0ELj4294967295EEENS1_25partition_config_selectorILNS1_17partition_subalgoE4EjNS0_10empty_typeEbEEZZNS1_14partition_implILS8_4ELb0ES6_15HIP_vector_typeIjLj2EENS0_17counting_iteratorIjlEEPS9_SG_NS0_5tupleIJPjSI_NS0_16reverse_iteratorISI_EEEEENSH_IJSG_SG_SG_EEES9_SI_JZNS1_25segmented_radix_sort_implINS0_14default_configELb0EPKfPfPKlPlN2at6native12_GLOBAL__N_18offset_tEEE10hipError_tPvRmT1_PNSt15iterator_traitsIS12_E10value_typeET2_T3_PNS13_IS18_E10value_typeET4_jRbjT5_S1E_jjP12ihipStream_tbEUljE_ZNSN_ISO_Lb0ESQ_SR_ST_SU_SY_EESZ_S10_S11_S12_S16_S17_S18_S1B_S1C_jS1D_jS1E_S1E_jjS1G_bEUljE0_EEESZ_S10_S11_S18_S1C_S1E_T6_T7_T9_mT8_S1G_bDpT10_ENKUlT_T0_E_clISt17integral_constantIbLb0EES1U_EEDaS1P_S1Q_EUlS1P_E_NS1_11comp_targetILNS1_3genE3ELNS1_11target_archE908ELNS1_3gpuE7ELNS1_3repE0EEENS1_30default_config_static_selectorELNS0_4arch9wavefront6targetE1EEEvS12_,comdat
	.globl	_ZN7rocprim17ROCPRIM_400000_NS6detail17trampoline_kernelINS0_13select_configILj256ELj13ELNS0_17block_load_methodE3ELS4_3ELS4_3ELNS0_20block_scan_algorithmE0ELj4294967295EEENS1_25partition_config_selectorILNS1_17partition_subalgoE4EjNS0_10empty_typeEbEEZZNS1_14partition_implILS8_4ELb0ES6_15HIP_vector_typeIjLj2EENS0_17counting_iteratorIjlEEPS9_SG_NS0_5tupleIJPjSI_NS0_16reverse_iteratorISI_EEEEENSH_IJSG_SG_SG_EEES9_SI_JZNS1_25segmented_radix_sort_implINS0_14default_configELb0EPKfPfPKlPlN2at6native12_GLOBAL__N_18offset_tEEE10hipError_tPvRmT1_PNSt15iterator_traitsIS12_E10value_typeET2_T3_PNS13_IS18_E10value_typeET4_jRbjT5_S1E_jjP12ihipStream_tbEUljE_ZNSN_ISO_Lb0ESQ_SR_ST_SU_SY_EESZ_S10_S11_S12_S16_S17_S18_S1B_S1C_jS1D_jS1E_S1E_jjS1G_bEUljE0_EEESZ_S10_S11_S18_S1C_S1E_T6_T7_T9_mT8_S1G_bDpT10_ENKUlT_T0_E_clISt17integral_constantIbLb0EES1U_EEDaS1P_S1Q_EUlS1P_E_NS1_11comp_targetILNS1_3genE3ELNS1_11target_archE908ELNS1_3gpuE7ELNS1_3repE0EEENS1_30default_config_static_selectorELNS0_4arch9wavefront6targetE1EEEvS12_ ; -- Begin function _ZN7rocprim17ROCPRIM_400000_NS6detail17trampoline_kernelINS0_13select_configILj256ELj13ELNS0_17block_load_methodE3ELS4_3ELS4_3ELNS0_20block_scan_algorithmE0ELj4294967295EEENS1_25partition_config_selectorILNS1_17partition_subalgoE4EjNS0_10empty_typeEbEEZZNS1_14partition_implILS8_4ELb0ES6_15HIP_vector_typeIjLj2EENS0_17counting_iteratorIjlEEPS9_SG_NS0_5tupleIJPjSI_NS0_16reverse_iteratorISI_EEEEENSH_IJSG_SG_SG_EEES9_SI_JZNS1_25segmented_radix_sort_implINS0_14default_configELb0EPKfPfPKlPlN2at6native12_GLOBAL__N_18offset_tEEE10hipError_tPvRmT1_PNSt15iterator_traitsIS12_E10value_typeET2_T3_PNS13_IS18_E10value_typeET4_jRbjT5_S1E_jjP12ihipStream_tbEUljE_ZNSN_ISO_Lb0ESQ_SR_ST_SU_SY_EESZ_S10_S11_S12_S16_S17_S18_S1B_S1C_jS1D_jS1E_S1E_jjS1G_bEUljE0_EEESZ_S10_S11_S18_S1C_S1E_T6_T7_T9_mT8_S1G_bDpT10_ENKUlT_T0_E_clISt17integral_constantIbLb0EES1U_EEDaS1P_S1Q_EUlS1P_E_NS1_11comp_targetILNS1_3genE3ELNS1_11target_archE908ELNS1_3gpuE7ELNS1_3repE0EEENS1_30default_config_static_selectorELNS0_4arch9wavefront6targetE1EEEvS12_
	.p2align	8
	.type	_ZN7rocprim17ROCPRIM_400000_NS6detail17trampoline_kernelINS0_13select_configILj256ELj13ELNS0_17block_load_methodE3ELS4_3ELS4_3ELNS0_20block_scan_algorithmE0ELj4294967295EEENS1_25partition_config_selectorILNS1_17partition_subalgoE4EjNS0_10empty_typeEbEEZZNS1_14partition_implILS8_4ELb0ES6_15HIP_vector_typeIjLj2EENS0_17counting_iteratorIjlEEPS9_SG_NS0_5tupleIJPjSI_NS0_16reverse_iteratorISI_EEEEENSH_IJSG_SG_SG_EEES9_SI_JZNS1_25segmented_radix_sort_implINS0_14default_configELb0EPKfPfPKlPlN2at6native12_GLOBAL__N_18offset_tEEE10hipError_tPvRmT1_PNSt15iterator_traitsIS12_E10value_typeET2_T3_PNS13_IS18_E10value_typeET4_jRbjT5_S1E_jjP12ihipStream_tbEUljE_ZNSN_ISO_Lb0ESQ_SR_ST_SU_SY_EESZ_S10_S11_S12_S16_S17_S18_S1B_S1C_jS1D_jS1E_S1E_jjS1G_bEUljE0_EEESZ_S10_S11_S18_S1C_S1E_T6_T7_T9_mT8_S1G_bDpT10_ENKUlT_T0_E_clISt17integral_constantIbLb0EES1U_EEDaS1P_S1Q_EUlS1P_E_NS1_11comp_targetILNS1_3genE3ELNS1_11target_archE908ELNS1_3gpuE7ELNS1_3repE0EEENS1_30default_config_static_selectorELNS0_4arch9wavefront6targetE1EEEvS12_,@function
_ZN7rocprim17ROCPRIM_400000_NS6detail17trampoline_kernelINS0_13select_configILj256ELj13ELNS0_17block_load_methodE3ELS4_3ELS4_3ELNS0_20block_scan_algorithmE0ELj4294967295EEENS1_25partition_config_selectorILNS1_17partition_subalgoE4EjNS0_10empty_typeEbEEZZNS1_14partition_implILS8_4ELb0ES6_15HIP_vector_typeIjLj2EENS0_17counting_iteratorIjlEEPS9_SG_NS0_5tupleIJPjSI_NS0_16reverse_iteratorISI_EEEEENSH_IJSG_SG_SG_EEES9_SI_JZNS1_25segmented_radix_sort_implINS0_14default_configELb0EPKfPfPKlPlN2at6native12_GLOBAL__N_18offset_tEEE10hipError_tPvRmT1_PNSt15iterator_traitsIS12_E10value_typeET2_T3_PNS13_IS18_E10value_typeET4_jRbjT5_S1E_jjP12ihipStream_tbEUljE_ZNSN_ISO_Lb0ESQ_SR_ST_SU_SY_EESZ_S10_S11_S12_S16_S17_S18_S1B_S1C_jS1D_jS1E_S1E_jjS1G_bEUljE0_EEESZ_S10_S11_S18_S1C_S1E_T6_T7_T9_mT8_S1G_bDpT10_ENKUlT_T0_E_clISt17integral_constantIbLb0EES1U_EEDaS1P_S1Q_EUlS1P_E_NS1_11comp_targetILNS1_3genE3ELNS1_11target_archE908ELNS1_3gpuE7ELNS1_3repE0EEENS1_30default_config_static_selectorELNS0_4arch9wavefront6targetE1EEEvS12_: ; @_ZN7rocprim17ROCPRIM_400000_NS6detail17trampoline_kernelINS0_13select_configILj256ELj13ELNS0_17block_load_methodE3ELS4_3ELS4_3ELNS0_20block_scan_algorithmE0ELj4294967295EEENS1_25partition_config_selectorILNS1_17partition_subalgoE4EjNS0_10empty_typeEbEEZZNS1_14partition_implILS8_4ELb0ES6_15HIP_vector_typeIjLj2EENS0_17counting_iteratorIjlEEPS9_SG_NS0_5tupleIJPjSI_NS0_16reverse_iteratorISI_EEEEENSH_IJSG_SG_SG_EEES9_SI_JZNS1_25segmented_radix_sort_implINS0_14default_configELb0EPKfPfPKlPlN2at6native12_GLOBAL__N_18offset_tEEE10hipError_tPvRmT1_PNSt15iterator_traitsIS12_E10value_typeET2_T3_PNS13_IS18_E10value_typeET4_jRbjT5_S1E_jjP12ihipStream_tbEUljE_ZNSN_ISO_Lb0ESQ_SR_ST_SU_SY_EESZ_S10_S11_S12_S16_S17_S18_S1B_S1C_jS1D_jS1E_S1E_jjS1G_bEUljE0_EEESZ_S10_S11_S18_S1C_S1E_T6_T7_T9_mT8_S1G_bDpT10_ENKUlT_T0_E_clISt17integral_constantIbLb0EES1U_EEDaS1P_S1Q_EUlS1P_E_NS1_11comp_targetILNS1_3genE3ELNS1_11target_archE908ELNS1_3gpuE7ELNS1_3repE0EEENS1_30default_config_static_selectorELNS0_4arch9wavefront6targetE1EEEvS12_
; %bb.0:
	.section	.rodata,"a",@progbits
	.p2align	6, 0x0
	.amdhsa_kernel _ZN7rocprim17ROCPRIM_400000_NS6detail17trampoline_kernelINS0_13select_configILj256ELj13ELNS0_17block_load_methodE3ELS4_3ELS4_3ELNS0_20block_scan_algorithmE0ELj4294967295EEENS1_25partition_config_selectorILNS1_17partition_subalgoE4EjNS0_10empty_typeEbEEZZNS1_14partition_implILS8_4ELb0ES6_15HIP_vector_typeIjLj2EENS0_17counting_iteratorIjlEEPS9_SG_NS0_5tupleIJPjSI_NS0_16reverse_iteratorISI_EEEEENSH_IJSG_SG_SG_EEES9_SI_JZNS1_25segmented_radix_sort_implINS0_14default_configELb0EPKfPfPKlPlN2at6native12_GLOBAL__N_18offset_tEEE10hipError_tPvRmT1_PNSt15iterator_traitsIS12_E10value_typeET2_T3_PNS13_IS18_E10value_typeET4_jRbjT5_S1E_jjP12ihipStream_tbEUljE_ZNSN_ISO_Lb0ESQ_SR_ST_SU_SY_EESZ_S10_S11_S12_S16_S17_S18_S1B_S1C_jS1D_jS1E_S1E_jjS1G_bEUljE0_EEESZ_S10_S11_S18_S1C_S1E_T6_T7_T9_mT8_S1G_bDpT10_ENKUlT_T0_E_clISt17integral_constantIbLb0EES1U_EEDaS1P_S1Q_EUlS1P_E_NS1_11comp_targetILNS1_3genE3ELNS1_11target_archE908ELNS1_3gpuE7ELNS1_3repE0EEENS1_30default_config_static_selectorELNS0_4arch9wavefront6targetE1EEEvS12_
		.amdhsa_group_segment_fixed_size 0
		.amdhsa_private_segment_fixed_size 0
		.amdhsa_kernarg_size 176
		.amdhsa_user_sgpr_count 6
		.amdhsa_user_sgpr_private_segment_buffer 1
		.amdhsa_user_sgpr_dispatch_ptr 0
		.amdhsa_user_sgpr_queue_ptr 0
		.amdhsa_user_sgpr_kernarg_segment_ptr 1
		.amdhsa_user_sgpr_dispatch_id 0
		.amdhsa_user_sgpr_flat_scratch_init 0
		.amdhsa_user_sgpr_kernarg_preload_length 0
		.amdhsa_user_sgpr_kernarg_preload_offset 0
		.amdhsa_user_sgpr_private_segment_size 0
		.amdhsa_uses_dynamic_stack 0
		.amdhsa_system_sgpr_private_segment_wavefront_offset 0
		.amdhsa_system_sgpr_workgroup_id_x 1
		.amdhsa_system_sgpr_workgroup_id_y 0
		.amdhsa_system_sgpr_workgroup_id_z 0
		.amdhsa_system_sgpr_workgroup_info 0
		.amdhsa_system_vgpr_workitem_id 0
		.amdhsa_next_free_vgpr 1
		.amdhsa_next_free_sgpr 0
		.amdhsa_accum_offset 4
		.amdhsa_reserve_vcc 0
		.amdhsa_reserve_flat_scratch 0
		.amdhsa_float_round_mode_32 0
		.amdhsa_float_round_mode_16_64 0
		.amdhsa_float_denorm_mode_32 3
		.amdhsa_float_denorm_mode_16_64 3
		.amdhsa_dx10_clamp 1
		.amdhsa_ieee_mode 1
		.amdhsa_fp16_overflow 0
		.amdhsa_tg_split 0
		.amdhsa_exception_fp_ieee_invalid_op 0
		.amdhsa_exception_fp_denorm_src 0
		.amdhsa_exception_fp_ieee_div_zero 0
		.amdhsa_exception_fp_ieee_overflow 0
		.amdhsa_exception_fp_ieee_underflow 0
		.amdhsa_exception_fp_ieee_inexact 0
		.amdhsa_exception_int_div_zero 0
	.end_amdhsa_kernel
	.section	.text._ZN7rocprim17ROCPRIM_400000_NS6detail17trampoline_kernelINS0_13select_configILj256ELj13ELNS0_17block_load_methodE3ELS4_3ELS4_3ELNS0_20block_scan_algorithmE0ELj4294967295EEENS1_25partition_config_selectorILNS1_17partition_subalgoE4EjNS0_10empty_typeEbEEZZNS1_14partition_implILS8_4ELb0ES6_15HIP_vector_typeIjLj2EENS0_17counting_iteratorIjlEEPS9_SG_NS0_5tupleIJPjSI_NS0_16reverse_iteratorISI_EEEEENSH_IJSG_SG_SG_EEES9_SI_JZNS1_25segmented_radix_sort_implINS0_14default_configELb0EPKfPfPKlPlN2at6native12_GLOBAL__N_18offset_tEEE10hipError_tPvRmT1_PNSt15iterator_traitsIS12_E10value_typeET2_T3_PNS13_IS18_E10value_typeET4_jRbjT5_S1E_jjP12ihipStream_tbEUljE_ZNSN_ISO_Lb0ESQ_SR_ST_SU_SY_EESZ_S10_S11_S12_S16_S17_S18_S1B_S1C_jS1D_jS1E_S1E_jjS1G_bEUljE0_EEESZ_S10_S11_S18_S1C_S1E_T6_T7_T9_mT8_S1G_bDpT10_ENKUlT_T0_E_clISt17integral_constantIbLb0EES1U_EEDaS1P_S1Q_EUlS1P_E_NS1_11comp_targetILNS1_3genE3ELNS1_11target_archE908ELNS1_3gpuE7ELNS1_3repE0EEENS1_30default_config_static_selectorELNS0_4arch9wavefront6targetE1EEEvS12_,"axG",@progbits,_ZN7rocprim17ROCPRIM_400000_NS6detail17trampoline_kernelINS0_13select_configILj256ELj13ELNS0_17block_load_methodE3ELS4_3ELS4_3ELNS0_20block_scan_algorithmE0ELj4294967295EEENS1_25partition_config_selectorILNS1_17partition_subalgoE4EjNS0_10empty_typeEbEEZZNS1_14partition_implILS8_4ELb0ES6_15HIP_vector_typeIjLj2EENS0_17counting_iteratorIjlEEPS9_SG_NS0_5tupleIJPjSI_NS0_16reverse_iteratorISI_EEEEENSH_IJSG_SG_SG_EEES9_SI_JZNS1_25segmented_radix_sort_implINS0_14default_configELb0EPKfPfPKlPlN2at6native12_GLOBAL__N_18offset_tEEE10hipError_tPvRmT1_PNSt15iterator_traitsIS12_E10value_typeET2_T3_PNS13_IS18_E10value_typeET4_jRbjT5_S1E_jjP12ihipStream_tbEUljE_ZNSN_ISO_Lb0ESQ_SR_ST_SU_SY_EESZ_S10_S11_S12_S16_S17_S18_S1B_S1C_jS1D_jS1E_S1E_jjS1G_bEUljE0_EEESZ_S10_S11_S18_S1C_S1E_T6_T7_T9_mT8_S1G_bDpT10_ENKUlT_T0_E_clISt17integral_constantIbLb0EES1U_EEDaS1P_S1Q_EUlS1P_E_NS1_11comp_targetILNS1_3genE3ELNS1_11target_archE908ELNS1_3gpuE7ELNS1_3repE0EEENS1_30default_config_static_selectorELNS0_4arch9wavefront6targetE1EEEvS12_,comdat
.Lfunc_end1365:
	.size	_ZN7rocprim17ROCPRIM_400000_NS6detail17trampoline_kernelINS0_13select_configILj256ELj13ELNS0_17block_load_methodE3ELS4_3ELS4_3ELNS0_20block_scan_algorithmE0ELj4294967295EEENS1_25partition_config_selectorILNS1_17partition_subalgoE4EjNS0_10empty_typeEbEEZZNS1_14partition_implILS8_4ELb0ES6_15HIP_vector_typeIjLj2EENS0_17counting_iteratorIjlEEPS9_SG_NS0_5tupleIJPjSI_NS0_16reverse_iteratorISI_EEEEENSH_IJSG_SG_SG_EEES9_SI_JZNS1_25segmented_radix_sort_implINS0_14default_configELb0EPKfPfPKlPlN2at6native12_GLOBAL__N_18offset_tEEE10hipError_tPvRmT1_PNSt15iterator_traitsIS12_E10value_typeET2_T3_PNS13_IS18_E10value_typeET4_jRbjT5_S1E_jjP12ihipStream_tbEUljE_ZNSN_ISO_Lb0ESQ_SR_ST_SU_SY_EESZ_S10_S11_S12_S16_S17_S18_S1B_S1C_jS1D_jS1E_S1E_jjS1G_bEUljE0_EEESZ_S10_S11_S18_S1C_S1E_T6_T7_T9_mT8_S1G_bDpT10_ENKUlT_T0_E_clISt17integral_constantIbLb0EES1U_EEDaS1P_S1Q_EUlS1P_E_NS1_11comp_targetILNS1_3genE3ELNS1_11target_archE908ELNS1_3gpuE7ELNS1_3repE0EEENS1_30default_config_static_selectorELNS0_4arch9wavefront6targetE1EEEvS12_, .Lfunc_end1365-_ZN7rocprim17ROCPRIM_400000_NS6detail17trampoline_kernelINS0_13select_configILj256ELj13ELNS0_17block_load_methodE3ELS4_3ELS4_3ELNS0_20block_scan_algorithmE0ELj4294967295EEENS1_25partition_config_selectorILNS1_17partition_subalgoE4EjNS0_10empty_typeEbEEZZNS1_14partition_implILS8_4ELb0ES6_15HIP_vector_typeIjLj2EENS0_17counting_iteratorIjlEEPS9_SG_NS0_5tupleIJPjSI_NS0_16reverse_iteratorISI_EEEEENSH_IJSG_SG_SG_EEES9_SI_JZNS1_25segmented_radix_sort_implINS0_14default_configELb0EPKfPfPKlPlN2at6native12_GLOBAL__N_18offset_tEEE10hipError_tPvRmT1_PNSt15iterator_traitsIS12_E10value_typeET2_T3_PNS13_IS18_E10value_typeET4_jRbjT5_S1E_jjP12ihipStream_tbEUljE_ZNSN_ISO_Lb0ESQ_SR_ST_SU_SY_EESZ_S10_S11_S12_S16_S17_S18_S1B_S1C_jS1D_jS1E_S1E_jjS1G_bEUljE0_EEESZ_S10_S11_S18_S1C_S1E_T6_T7_T9_mT8_S1G_bDpT10_ENKUlT_T0_E_clISt17integral_constantIbLb0EES1U_EEDaS1P_S1Q_EUlS1P_E_NS1_11comp_targetILNS1_3genE3ELNS1_11target_archE908ELNS1_3gpuE7ELNS1_3repE0EEENS1_30default_config_static_selectorELNS0_4arch9wavefront6targetE1EEEvS12_
                                        ; -- End function
	.section	.AMDGPU.csdata,"",@progbits
; Kernel info:
; codeLenInByte = 0
; NumSgprs: 4
; NumVgprs: 0
; NumAgprs: 0
; TotalNumVgprs: 0
; ScratchSize: 0
; MemoryBound: 0
; FloatMode: 240
; IeeeMode: 1
; LDSByteSize: 0 bytes/workgroup (compile time only)
; SGPRBlocks: 0
; VGPRBlocks: 0
; NumSGPRsForWavesPerEU: 4
; NumVGPRsForWavesPerEU: 1
; AccumOffset: 4
; Occupancy: 8
; WaveLimiterHint : 0
; COMPUTE_PGM_RSRC2:SCRATCH_EN: 0
; COMPUTE_PGM_RSRC2:USER_SGPR: 6
; COMPUTE_PGM_RSRC2:TRAP_HANDLER: 0
; COMPUTE_PGM_RSRC2:TGID_X_EN: 1
; COMPUTE_PGM_RSRC2:TGID_Y_EN: 0
; COMPUTE_PGM_RSRC2:TGID_Z_EN: 0
; COMPUTE_PGM_RSRC2:TIDIG_COMP_CNT: 0
; COMPUTE_PGM_RSRC3_GFX90A:ACCUM_OFFSET: 0
; COMPUTE_PGM_RSRC3_GFX90A:TG_SPLIT: 0
	.section	.text._ZN7rocprim17ROCPRIM_400000_NS6detail17trampoline_kernelINS0_13select_configILj256ELj13ELNS0_17block_load_methodE3ELS4_3ELS4_3ELNS0_20block_scan_algorithmE0ELj4294967295EEENS1_25partition_config_selectorILNS1_17partition_subalgoE4EjNS0_10empty_typeEbEEZZNS1_14partition_implILS8_4ELb0ES6_15HIP_vector_typeIjLj2EENS0_17counting_iteratorIjlEEPS9_SG_NS0_5tupleIJPjSI_NS0_16reverse_iteratorISI_EEEEENSH_IJSG_SG_SG_EEES9_SI_JZNS1_25segmented_radix_sort_implINS0_14default_configELb0EPKfPfPKlPlN2at6native12_GLOBAL__N_18offset_tEEE10hipError_tPvRmT1_PNSt15iterator_traitsIS12_E10value_typeET2_T3_PNS13_IS18_E10value_typeET4_jRbjT5_S1E_jjP12ihipStream_tbEUljE_ZNSN_ISO_Lb0ESQ_SR_ST_SU_SY_EESZ_S10_S11_S12_S16_S17_S18_S1B_S1C_jS1D_jS1E_S1E_jjS1G_bEUljE0_EEESZ_S10_S11_S18_S1C_S1E_T6_T7_T9_mT8_S1G_bDpT10_ENKUlT_T0_E_clISt17integral_constantIbLb0EES1U_EEDaS1P_S1Q_EUlS1P_E_NS1_11comp_targetILNS1_3genE2ELNS1_11target_archE906ELNS1_3gpuE6ELNS1_3repE0EEENS1_30default_config_static_selectorELNS0_4arch9wavefront6targetE1EEEvS12_,"axG",@progbits,_ZN7rocprim17ROCPRIM_400000_NS6detail17trampoline_kernelINS0_13select_configILj256ELj13ELNS0_17block_load_methodE3ELS4_3ELS4_3ELNS0_20block_scan_algorithmE0ELj4294967295EEENS1_25partition_config_selectorILNS1_17partition_subalgoE4EjNS0_10empty_typeEbEEZZNS1_14partition_implILS8_4ELb0ES6_15HIP_vector_typeIjLj2EENS0_17counting_iteratorIjlEEPS9_SG_NS0_5tupleIJPjSI_NS0_16reverse_iteratorISI_EEEEENSH_IJSG_SG_SG_EEES9_SI_JZNS1_25segmented_radix_sort_implINS0_14default_configELb0EPKfPfPKlPlN2at6native12_GLOBAL__N_18offset_tEEE10hipError_tPvRmT1_PNSt15iterator_traitsIS12_E10value_typeET2_T3_PNS13_IS18_E10value_typeET4_jRbjT5_S1E_jjP12ihipStream_tbEUljE_ZNSN_ISO_Lb0ESQ_SR_ST_SU_SY_EESZ_S10_S11_S12_S16_S17_S18_S1B_S1C_jS1D_jS1E_S1E_jjS1G_bEUljE0_EEESZ_S10_S11_S18_S1C_S1E_T6_T7_T9_mT8_S1G_bDpT10_ENKUlT_T0_E_clISt17integral_constantIbLb0EES1U_EEDaS1P_S1Q_EUlS1P_E_NS1_11comp_targetILNS1_3genE2ELNS1_11target_archE906ELNS1_3gpuE6ELNS1_3repE0EEENS1_30default_config_static_selectorELNS0_4arch9wavefront6targetE1EEEvS12_,comdat
	.globl	_ZN7rocprim17ROCPRIM_400000_NS6detail17trampoline_kernelINS0_13select_configILj256ELj13ELNS0_17block_load_methodE3ELS4_3ELS4_3ELNS0_20block_scan_algorithmE0ELj4294967295EEENS1_25partition_config_selectorILNS1_17partition_subalgoE4EjNS0_10empty_typeEbEEZZNS1_14partition_implILS8_4ELb0ES6_15HIP_vector_typeIjLj2EENS0_17counting_iteratorIjlEEPS9_SG_NS0_5tupleIJPjSI_NS0_16reverse_iteratorISI_EEEEENSH_IJSG_SG_SG_EEES9_SI_JZNS1_25segmented_radix_sort_implINS0_14default_configELb0EPKfPfPKlPlN2at6native12_GLOBAL__N_18offset_tEEE10hipError_tPvRmT1_PNSt15iterator_traitsIS12_E10value_typeET2_T3_PNS13_IS18_E10value_typeET4_jRbjT5_S1E_jjP12ihipStream_tbEUljE_ZNSN_ISO_Lb0ESQ_SR_ST_SU_SY_EESZ_S10_S11_S12_S16_S17_S18_S1B_S1C_jS1D_jS1E_S1E_jjS1G_bEUljE0_EEESZ_S10_S11_S18_S1C_S1E_T6_T7_T9_mT8_S1G_bDpT10_ENKUlT_T0_E_clISt17integral_constantIbLb0EES1U_EEDaS1P_S1Q_EUlS1P_E_NS1_11comp_targetILNS1_3genE2ELNS1_11target_archE906ELNS1_3gpuE6ELNS1_3repE0EEENS1_30default_config_static_selectorELNS0_4arch9wavefront6targetE1EEEvS12_ ; -- Begin function _ZN7rocprim17ROCPRIM_400000_NS6detail17trampoline_kernelINS0_13select_configILj256ELj13ELNS0_17block_load_methodE3ELS4_3ELS4_3ELNS0_20block_scan_algorithmE0ELj4294967295EEENS1_25partition_config_selectorILNS1_17partition_subalgoE4EjNS0_10empty_typeEbEEZZNS1_14partition_implILS8_4ELb0ES6_15HIP_vector_typeIjLj2EENS0_17counting_iteratorIjlEEPS9_SG_NS0_5tupleIJPjSI_NS0_16reverse_iteratorISI_EEEEENSH_IJSG_SG_SG_EEES9_SI_JZNS1_25segmented_radix_sort_implINS0_14default_configELb0EPKfPfPKlPlN2at6native12_GLOBAL__N_18offset_tEEE10hipError_tPvRmT1_PNSt15iterator_traitsIS12_E10value_typeET2_T3_PNS13_IS18_E10value_typeET4_jRbjT5_S1E_jjP12ihipStream_tbEUljE_ZNSN_ISO_Lb0ESQ_SR_ST_SU_SY_EESZ_S10_S11_S12_S16_S17_S18_S1B_S1C_jS1D_jS1E_S1E_jjS1G_bEUljE0_EEESZ_S10_S11_S18_S1C_S1E_T6_T7_T9_mT8_S1G_bDpT10_ENKUlT_T0_E_clISt17integral_constantIbLb0EES1U_EEDaS1P_S1Q_EUlS1P_E_NS1_11comp_targetILNS1_3genE2ELNS1_11target_archE906ELNS1_3gpuE6ELNS1_3repE0EEENS1_30default_config_static_selectorELNS0_4arch9wavefront6targetE1EEEvS12_
	.p2align	8
	.type	_ZN7rocprim17ROCPRIM_400000_NS6detail17trampoline_kernelINS0_13select_configILj256ELj13ELNS0_17block_load_methodE3ELS4_3ELS4_3ELNS0_20block_scan_algorithmE0ELj4294967295EEENS1_25partition_config_selectorILNS1_17partition_subalgoE4EjNS0_10empty_typeEbEEZZNS1_14partition_implILS8_4ELb0ES6_15HIP_vector_typeIjLj2EENS0_17counting_iteratorIjlEEPS9_SG_NS0_5tupleIJPjSI_NS0_16reverse_iteratorISI_EEEEENSH_IJSG_SG_SG_EEES9_SI_JZNS1_25segmented_radix_sort_implINS0_14default_configELb0EPKfPfPKlPlN2at6native12_GLOBAL__N_18offset_tEEE10hipError_tPvRmT1_PNSt15iterator_traitsIS12_E10value_typeET2_T3_PNS13_IS18_E10value_typeET4_jRbjT5_S1E_jjP12ihipStream_tbEUljE_ZNSN_ISO_Lb0ESQ_SR_ST_SU_SY_EESZ_S10_S11_S12_S16_S17_S18_S1B_S1C_jS1D_jS1E_S1E_jjS1G_bEUljE0_EEESZ_S10_S11_S18_S1C_S1E_T6_T7_T9_mT8_S1G_bDpT10_ENKUlT_T0_E_clISt17integral_constantIbLb0EES1U_EEDaS1P_S1Q_EUlS1P_E_NS1_11comp_targetILNS1_3genE2ELNS1_11target_archE906ELNS1_3gpuE6ELNS1_3repE0EEENS1_30default_config_static_selectorELNS0_4arch9wavefront6targetE1EEEvS12_,@function
_ZN7rocprim17ROCPRIM_400000_NS6detail17trampoline_kernelINS0_13select_configILj256ELj13ELNS0_17block_load_methodE3ELS4_3ELS4_3ELNS0_20block_scan_algorithmE0ELj4294967295EEENS1_25partition_config_selectorILNS1_17partition_subalgoE4EjNS0_10empty_typeEbEEZZNS1_14partition_implILS8_4ELb0ES6_15HIP_vector_typeIjLj2EENS0_17counting_iteratorIjlEEPS9_SG_NS0_5tupleIJPjSI_NS0_16reverse_iteratorISI_EEEEENSH_IJSG_SG_SG_EEES9_SI_JZNS1_25segmented_radix_sort_implINS0_14default_configELb0EPKfPfPKlPlN2at6native12_GLOBAL__N_18offset_tEEE10hipError_tPvRmT1_PNSt15iterator_traitsIS12_E10value_typeET2_T3_PNS13_IS18_E10value_typeET4_jRbjT5_S1E_jjP12ihipStream_tbEUljE_ZNSN_ISO_Lb0ESQ_SR_ST_SU_SY_EESZ_S10_S11_S12_S16_S17_S18_S1B_S1C_jS1D_jS1E_S1E_jjS1G_bEUljE0_EEESZ_S10_S11_S18_S1C_S1E_T6_T7_T9_mT8_S1G_bDpT10_ENKUlT_T0_E_clISt17integral_constantIbLb0EES1U_EEDaS1P_S1Q_EUlS1P_E_NS1_11comp_targetILNS1_3genE2ELNS1_11target_archE906ELNS1_3gpuE6ELNS1_3repE0EEENS1_30default_config_static_selectorELNS0_4arch9wavefront6targetE1EEEvS12_: ; @_ZN7rocprim17ROCPRIM_400000_NS6detail17trampoline_kernelINS0_13select_configILj256ELj13ELNS0_17block_load_methodE3ELS4_3ELS4_3ELNS0_20block_scan_algorithmE0ELj4294967295EEENS1_25partition_config_selectorILNS1_17partition_subalgoE4EjNS0_10empty_typeEbEEZZNS1_14partition_implILS8_4ELb0ES6_15HIP_vector_typeIjLj2EENS0_17counting_iteratorIjlEEPS9_SG_NS0_5tupleIJPjSI_NS0_16reverse_iteratorISI_EEEEENSH_IJSG_SG_SG_EEES9_SI_JZNS1_25segmented_radix_sort_implINS0_14default_configELb0EPKfPfPKlPlN2at6native12_GLOBAL__N_18offset_tEEE10hipError_tPvRmT1_PNSt15iterator_traitsIS12_E10value_typeET2_T3_PNS13_IS18_E10value_typeET4_jRbjT5_S1E_jjP12ihipStream_tbEUljE_ZNSN_ISO_Lb0ESQ_SR_ST_SU_SY_EESZ_S10_S11_S12_S16_S17_S18_S1B_S1C_jS1D_jS1E_S1E_jjS1G_bEUljE0_EEESZ_S10_S11_S18_S1C_S1E_T6_T7_T9_mT8_S1G_bDpT10_ENKUlT_T0_E_clISt17integral_constantIbLb0EES1U_EEDaS1P_S1Q_EUlS1P_E_NS1_11comp_targetILNS1_3genE2ELNS1_11target_archE906ELNS1_3gpuE6ELNS1_3repE0EEENS1_30default_config_static_selectorELNS0_4arch9wavefront6targetE1EEEvS12_
; %bb.0:
	.section	.rodata,"a",@progbits
	.p2align	6, 0x0
	.amdhsa_kernel _ZN7rocprim17ROCPRIM_400000_NS6detail17trampoline_kernelINS0_13select_configILj256ELj13ELNS0_17block_load_methodE3ELS4_3ELS4_3ELNS0_20block_scan_algorithmE0ELj4294967295EEENS1_25partition_config_selectorILNS1_17partition_subalgoE4EjNS0_10empty_typeEbEEZZNS1_14partition_implILS8_4ELb0ES6_15HIP_vector_typeIjLj2EENS0_17counting_iteratorIjlEEPS9_SG_NS0_5tupleIJPjSI_NS0_16reverse_iteratorISI_EEEEENSH_IJSG_SG_SG_EEES9_SI_JZNS1_25segmented_radix_sort_implINS0_14default_configELb0EPKfPfPKlPlN2at6native12_GLOBAL__N_18offset_tEEE10hipError_tPvRmT1_PNSt15iterator_traitsIS12_E10value_typeET2_T3_PNS13_IS18_E10value_typeET4_jRbjT5_S1E_jjP12ihipStream_tbEUljE_ZNSN_ISO_Lb0ESQ_SR_ST_SU_SY_EESZ_S10_S11_S12_S16_S17_S18_S1B_S1C_jS1D_jS1E_S1E_jjS1G_bEUljE0_EEESZ_S10_S11_S18_S1C_S1E_T6_T7_T9_mT8_S1G_bDpT10_ENKUlT_T0_E_clISt17integral_constantIbLb0EES1U_EEDaS1P_S1Q_EUlS1P_E_NS1_11comp_targetILNS1_3genE2ELNS1_11target_archE906ELNS1_3gpuE6ELNS1_3repE0EEENS1_30default_config_static_selectorELNS0_4arch9wavefront6targetE1EEEvS12_
		.amdhsa_group_segment_fixed_size 0
		.amdhsa_private_segment_fixed_size 0
		.amdhsa_kernarg_size 176
		.amdhsa_user_sgpr_count 6
		.amdhsa_user_sgpr_private_segment_buffer 1
		.amdhsa_user_sgpr_dispatch_ptr 0
		.amdhsa_user_sgpr_queue_ptr 0
		.amdhsa_user_sgpr_kernarg_segment_ptr 1
		.amdhsa_user_sgpr_dispatch_id 0
		.amdhsa_user_sgpr_flat_scratch_init 0
		.amdhsa_user_sgpr_kernarg_preload_length 0
		.amdhsa_user_sgpr_kernarg_preload_offset 0
		.amdhsa_user_sgpr_private_segment_size 0
		.amdhsa_uses_dynamic_stack 0
		.amdhsa_system_sgpr_private_segment_wavefront_offset 0
		.amdhsa_system_sgpr_workgroup_id_x 1
		.amdhsa_system_sgpr_workgroup_id_y 0
		.amdhsa_system_sgpr_workgroup_id_z 0
		.amdhsa_system_sgpr_workgroup_info 0
		.amdhsa_system_vgpr_workitem_id 0
		.amdhsa_next_free_vgpr 1
		.amdhsa_next_free_sgpr 0
		.amdhsa_accum_offset 4
		.amdhsa_reserve_vcc 0
		.amdhsa_reserve_flat_scratch 0
		.amdhsa_float_round_mode_32 0
		.amdhsa_float_round_mode_16_64 0
		.amdhsa_float_denorm_mode_32 3
		.amdhsa_float_denorm_mode_16_64 3
		.amdhsa_dx10_clamp 1
		.amdhsa_ieee_mode 1
		.amdhsa_fp16_overflow 0
		.amdhsa_tg_split 0
		.amdhsa_exception_fp_ieee_invalid_op 0
		.amdhsa_exception_fp_denorm_src 0
		.amdhsa_exception_fp_ieee_div_zero 0
		.amdhsa_exception_fp_ieee_overflow 0
		.amdhsa_exception_fp_ieee_underflow 0
		.amdhsa_exception_fp_ieee_inexact 0
		.amdhsa_exception_int_div_zero 0
	.end_amdhsa_kernel
	.section	.text._ZN7rocprim17ROCPRIM_400000_NS6detail17trampoline_kernelINS0_13select_configILj256ELj13ELNS0_17block_load_methodE3ELS4_3ELS4_3ELNS0_20block_scan_algorithmE0ELj4294967295EEENS1_25partition_config_selectorILNS1_17partition_subalgoE4EjNS0_10empty_typeEbEEZZNS1_14partition_implILS8_4ELb0ES6_15HIP_vector_typeIjLj2EENS0_17counting_iteratorIjlEEPS9_SG_NS0_5tupleIJPjSI_NS0_16reverse_iteratorISI_EEEEENSH_IJSG_SG_SG_EEES9_SI_JZNS1_25segmented_radix_sort_implINS0_14default_configELb0EPKfPfPKlPlN2at6native12_GLOBAL__N_18offset_tEEE10hipError_tPvRmT1_PNSt15iterator_traitsIS12_E10value_typeET2_T3_PNS13_IS18_E10value_typeET4_jRbjT5_S1E_jjP12ihipStream_tbEUljE_ZNSN_ISO_Lb0ESQ_SR_ST_SU_SY_EESZ_S10_S11_S12_S16_S17_S18_S1B_S1C_jS1D_jS1E_S1E_jjS1G_bEUljE0_EEESZ_S10_S11_S18_S1C_S1E_T6_T7_T9_mT8_S1G_bDpT10_ENKUlT_T0_E_clISt17integral_constantIbLb0EES1U_EEDaS1P_S1Q_EUlS1P_E_NS1_11comp_targetILNS1_3genE2ELNS1_11target_archE906ELNS1_3gpuE6ELNS1_3repE0EEENS1_30default_config_static_selectorELNS0_4arch9wavefront6targetE1EEEvS12_,"axG",@progbits,_ZN7rocprim17ROCPRIM_400000_NS6detail17trampoline_kernelINS0_13select_configILj256ELj13ELNS0_17block_load_methodE3ELS4_3ELS4_3ELNS0_20block_scan_algorithmE0ELj4294967295EEENS1_25partition_config_selectorILNS1_17partition_subalgoE4EjNS0_10empty_typeEbEEZZNS1_14partition_implILS8_4ELb0ES6_15HIP_vector_typeIjLj2EENS0_17counting_iteratorIjlEEPS9_SG_NS0_5tupleIJPjSI_NS0_16reverse_iteratorISI_EEEEENSH_IJSG_SG_SG_EEES9_SI_JZNS1_25segmented_radix_sort_implINS0_14default_configELb0EPKfPfPKlPlN2at6native12_GLOBAL__N_18offset_tEEE10hipError_tPvRmT1_PNSt15iterator_traitsIS12_E10value_typeET2_T3_PNS13_IS18_E10value_typeET4_jRbjT5_S1E_jjP12ihipStream_tbEUljE_ZNSN_ISO_Lb0ESQ_SR_ST_SU_SY_EESZ_S10_S11_S12_S16_S17_S18_S1B_S1C_jS1D_jS1E_S1E_jjS1G_bEUljE0_EEESZ_S10_S11_S18_S1C_S1E_T6_T7_T9_mT8_S1G_bDpT10_ENKUlT_T0_E_clISt17integral_constantIbLb0EES1U_EEDaS1P_S1Q_EUlS1P_E_NS1_11comp_targetILNS1_3genE2ELNS1_11target_archE906ELNS1_3gpuE6ELNS1_3repE0EEENS1_30default_config_static_selectorELNS0_4arch9wavefront6targetE1EEEvS12_,comdat
.Lfunc_end1366:
	.size	_ZN7rocprim17ROCPRIM_400000_NS6detail17trampoline_kernelINS0_13select_configILj256ELj13ELNS0_17block_load_methodE3ELS4_3ELS4_3ELNS0_20block_scan_algorithmE0ELj4294967295EEENS1_25partition_config_selectorILNS1_17partition_subalgoE4EjNS0_10empty_typeEbEEZZNS1_14partition_implILS8_4ELb0ES6_15HIP_vector_typeIjLj2EENS0_17counting_iteratorIjlEEPS9_SG_NS0_5tupleIJPjSI_NS0_16reverse_iteratorISI_EEEEENSH_IJSG_SG_SG_EEES9_SI_JZNS1_25segmented_radix_sort_implINS0_14default_configELb0EPKfPfPKlPlN2at6native12_GLOBAL__N_18offset_tEEE10hipError_tPvRmT1_PNSt15iterator_traitsIS12_E10value_typeET2_T3_PNS13_IS18_E10value_typeET4_jRbjT5_S1E_jjP12ihipStream_tbEUljE_ZNSN_ISO_Lb0ESQ_SR_ST_SU_SY_EESZ_S10_S11_S12_S16_S17_S18_S1B_S1C_jS1D_jS1E_S1E_jjS1G_bEUljE0_EEESZ_S10_S11_S18_S1C_S1E_T6_T7_T9_mT8_S1G_bDpT10_ENKUlT_T0_E_clISt17integral_constantIbLb0EES1U_EEDaS1P_S1Q_EUlS1P_E_NS1_11comp_targetILNS1_3genE2ELNS1_11target_archE906ELNS1_3gpuE6ELNS1_3repE0EEENS1_30default_config_static_selectorELNS0_4arch9wavefront6targetE1EEEvS12_, .Lfunc_end1366-_ZN7rocprim17ROCPRIM_400000_NS6detail17trampoline_kernelINS0_13select_configILj256ELj13ELNS0_17block_load_methodE3ELS4_3ELS4_3ELNS0_20block_scan_algorithmE0ELj4294967295EEENS1_25partition_config_selectorILNS1_17partition_subalgoE4EjNS0_10empty_typeEbEEZZNS1_14partition_implILS8_4ELb0ES6_15HIP_vector_typeIjLj2EENS0_17counting_iteratorIjlEEPS9_SG_NS0_5tupleIJPjSI_NS0_16reverse_iteratorISI_EEEEENSH_IJSG_SG_SG_EEES9_SI_JZNS1_25segmented_radix_sort_implINS0_14default_configELb0EPKfPfPKlPlN2at6native12_GLOBAL__N_18offset_tEEE10hipError_tPvRmT1_PNSt15iterator_traitsIS12_E10value_typeET2_T3_PNS13_IS18_E10value_typeET4_jRbjT5_S1E_jjP12ihipStream_tbEUljE_ZNSN_ISO_Lb0ESQ_SR_ST_SU_SY_EESZ_S10_S11_S12_S16_S17_S18_S1B_S1C_jS1D_jS1E_S1E_jjS1G_bEUljE0_EEESZ_S10_S11_S18_S1C_S1E_T6_T7_T9_mT8_S1G_bDpT10_ENKUlT_T0_E_clISt17integral_constantIbLb0EES1U_EEDaS1P_S1Q_EUlS1P_E_NS1_11comp_targetILNS1_3genE2ELNS1_11target_archE906ELNS1_3gpuE6ELNS1_3repE0EEENS1_30default_config_static_selectorELNS0_4arch9wavefront6targetE1EEEvS12_
                                        ; -- End function
	.section	.AMDGPU.csdata,"",@progbits
; Kernel info:
; codeLenInByte = 0
; NumSgprs: 4
; NumVgprs: 0
; NumAgprs: 0
; TotalNumVgprs: 0
; ScratchSize: 0
; MemoryBound: 0
; FloatMode: 240
; IeeeMode: 1
; LDSByteSize: 0 bytes/workgroup (compile time only)
; SGPRBlocks: 0
; VGPRBlocks: 0
; NumSGPRsForWavesPerEU: 4
; NumVGPRsForWavesPerEU: 1
; AccumOffset: 4
; Occupancy: 8
; WaveLimiterHint : 0
; COMPUTE_PGM_RSRC2:SCRATCH_EN: 0
; COMPUTE_PGM_RSRC2:USER_SGPR: 6
; COMPUTE_PGM_RSRC2:TRAP_HANDLER: 0
; COMPUTE_PGM_RSRC2:TGID_X_EN: 1
; COMPUTE_PGM_RSRC2:TGID_Y_EN: 0
; COMPUTE_PGM_RSRC2:TGID_Z_EN: 0
; COMPUTE_PGM_RSRC2:TIDIG_COMP_CNT: 0
; COMPUTE_PGM_RSRC3_GFX90A:ACCUM_OFFSET: 0
; COMPUTE_PGM_RSRC3_GFX90A:TG_SPLIT: 0
	.section	.text._ZN7rocprim17ROCPRIM_400000_NS6detail17trampoline_kernelINS0_13select_configILj256ELj13ELNS0_17block_load_methodE3ELS4_3ELS4_3ELNS0_20block_scan_algorithmE0ELj4294967295EEENS1_25partition_config_selectorILNS1_17partition_subalgoE4EjNS0_10empty_typeEbEEZZNS1_14partition_implILS8_4ELb0ES6_15HIP_vector_typeIjLj2EENS0_17counting_iteratorIjlEEPS9_SG_NS0_5tupleIJPjSI_NS0_16reverse_iteratorISI_EEEEENSH_IJSG_SG_SG_EEES9_SI_JZNS1_25segmented_radix_sort_implINS0_14default_configELb0EPKfPfPKlPlN2at6native12_GLOBAL__N_18offset_tEEE10hipError_tPvRmT1_PNSt15iterator_traitsIS12_E10value_typeET2_T3_PNS13_IS18_E10value_typeET4_jRbjT5_S1E_jjP12ihipStream_tbEUljE_ZNSN_ISO_Lb0ESQ_SR_ST_SU_SY_EESZ_S10_S11_S12_S16_S17_S18_S1B_S1C_jS1D_jS1E_S1E_jjS1G_bEUljE0_EEESZ_S10_S11_S18_S1C_S1E_T6_T7_T9_mT8_S1G_bDpT10_ENKUlT_T0_E_clISt17integral_constantIbLb0EES1U_EEDaS1P_S1Q_EUlS1P_E_NS1_11comp_targetILNS1_3genE10ELNS1_11target_archE1200ELNS1_3gpuE4ELNS1_3repE0EEENS1_30default_config_static_selectorELNS0_4arch9wavefront6targetE1EEEvS12_,"axG",@progbits,_ZN7rocprim17ROCPRIM_400000_NS6detail17trampoline_kernelINS0_13select_configILj256ELj13ELNS0_17block_load_methodE3ELS4_3ELS4_3ELNS0_20block_scan_algorithmE0ELj4294967295EEENS1_25partition_config_selectorILNS1_17partition_subalgoE4EjNS0_10empty_typeEbEEZZNS1_14partition_implILS8_4ELb0ES6_15HIP_vector_typeIjLj2EENS0_17counting_iteratorIjlEEPS9_SG_NS0_5tupleIJPjSI_NS0_16reverse_iteratorISI_EEEEENSH_IJSG_SG_SG_EEES9_SI_JZNS1_25segmented_radix_sort_implINS0_14default_configELb0EPKfPfPKlPlN2at6native12_GLOBAL__N_18offset_tEEE10hipError_tPvRmT1_PNSt15iterator_traitsIS12_E10value_typeET2_T3_PNS13_IS18_E10value_typeET4_jRbjT5_S1E_jjP12ihipStream_tbEUljE_ZNSN_ISO_Lb0ESQ_SR_ST_SU_SY_EESZ_S10_S11_S12_S16_S17_S18_S1B_S1C_jS1D_jS1E_S1E_jjS1G_bEUljE0_EEESZ_S10_S11_S18_S1C_S1E_T6_T7_T9_mT8_S1G_bDpT10_ENKUlT_T0_E_clISt17integral_constantIbLb0EES1U_EEDaS1P_S1Q_EUlS1P_E_NS1_11comp_targetILNS1_3genE10ELNS1_11target_archE1200ELNS1_3gpuE4ELNS1_3repE0EEENS1_30default_config_static_selectorELNS0_4arch9wavefront6targetE1EEEvS12_,comdat
	.globl	_ZN7rocprim17ROCPRIM_400000_NS6detail17trampoline_kernelINS0_13select_configILj256ELj13ELNS0_17block_load_methodE3ELS4_3ELS4_3ELNS0_20block_scan_algorithmE0ELj4294967295EEENS1_25partition_config_selectorILNS1_17partition_subalgoE4EjNS0_10empty_typeEbEEZZNS1_14partition_implILS8_4ELb0ES6_15HIP_vector_typeIjLj2EENS0_17counting_iteratorIjlEEPS9_SG_NS0_5tupleIJPjSI_NS0_16reverse_iteratorISI_EEEEENSH_IJSG_SG_SG_EEES9_SI_JZNS1_25segmented_radix_sort_implINS0_14default_configELb0EPKfPfPKlPlN2at6native12_GLOBAL__N_18offset_tEEE10hipError_tPvRmT1_PNSt15iterator_traitsIS12_E10value_typeET2_T3_PNS13_IS18_E10value_typeET4_jRbjT5_S1E_jjP12ihipStream_tbEUljE_ZNSN_ISO_Lb0ESQ_SR_ST_SU_SY_EESZ_S10_S11_S12_S16_S17_S18_S1B_S1C_jS1D_jS1E_S1E_jjS1G_bEUljE0_EEESZ_S10_S11_S18_S1C_S1E_T6_T7_T9_mT8_S1G_bDpT10_ENKUlT_T0_E_clISt17integral_constantIbLb0EES1U_EEDaS1P_S1Q_EUlS1P_E_NS1_11comp_targetILNS1_3genE10ELNS1_11target_archE1200ELNS1_3gpuE4ELNS1_3repE0EEENS1_30default_config_static_selectorELNS0_4arch9wavefront6targetE1EEEvS12_ ; -- Begin function _ZN7rocprim17ROCPRIM_400000_NS6detail17trampoline_kernelINS0_13select_configILj256ELj13ELNS0_17block_load_methodE3ELS4_3ELS4_3ELNS0_20block_scan_algorithmE0ELj4294967295EEENS1_25partition_config_selectorILNS1_17partition_subalgoE4EjNS0_10empty_typeEbEEZZNS1_14partition_implILS8_4ELb0ES6_15HIP_vector_typeIjLj2EENS0_17counting_iteratorIjlEEPS9_SG_NS0_5tupleIJPjSI_NS0_16reverse_iteratorISI_EEEEENSH_IJSG_SG_SG_EEES9_SI_JZNS1_25segmented_radix_sort_implINS0_14default_configELb0EPKfPfPKlPlN2at6native12_GLOBAL__N_18offset_tEEE10hipError_tPvRmT1_PNSt15iterator_traitsIS12_E10value_typeET2_T3_PNS13_IS18_E10value_typeET4_jRbjT5_S1E_jjP12ihipStream_tbEUljE_ZNSN_ISO_Lb0ESQ_SR_ST_SU_SY_EESZ_S10_S11_S12_S16_S17_S18_S1B_S1C_jS1D_jS1E_S1E_jjS1G_bEUljE0_EEESZ_S10_S11_S18_S1C_S1E_T6_T7_T9_mT8_S1G_bDpT10_ENKUlT_T0_E_clISt17integral_constantIbLb0EES1U_EEDaS1P_S1Q_EUlS1P_E_NS1_11comp_targetILNS1_3genE10ELNS1_11target_archE1200ELNS1_3gpuE4ELNS1_3repE0EEENS1_30default_config_static_selectorELNS0_4arch9wavefront6targetE1EEEvS12_
	.p2align	8
	.type	_ZN7rocprim17ROCPRIM_400000_NS6detail17trampoline_kernelINS0_13select_configILj256ELj13ELNS0_17block_load_methodE3ELS4_3ELS4_3ELNS0_20block_scan_algorithmE0ELj4294967295EEENS1_25partition_config_selectorILNS1_17partition_subalgoE4EjNS0_10empty_typeEbEEZZNS1_14partition_implILS8_4ELb0ES6_15HIP_vector_typeIjLj2EENS0_17counting_iteratorIjlEEPS9_SG_NS0_5tupleIJPjSI_NS0_16reverse_iteratorISI_EEEEENSH_IJSG_SG_SG_EEES9_SI_JZNS1_25segmented_radix_sort_implINS0_14default_configELb0EPKfPfPKlPlN2at6native12_GLOBAL__N_18offset_tEEE10hipError_tPvRmT1_PNSt15iterator_traitsIS12_E10value_typeET2_T3_PNS13_IS18_E10value_typeET4_jRbjT5_S1E_jjP12ihipStream_tbEUljE_ZNSN_ISO_Lb0ESQ_SR_ST_SU_SY_EESZ_S10_S11_S12_S16_S17_S18_S1B_S1C_jS1D_jS1E_S1E_jjS1G_bEUljE0_EEESZ_S10_S11_S18_S1C_S1E_T6_T7_T9_mT8_S1G_bDpT10_ENKUlT_T0_E_clISt17integral_constantIbLb0EES1U_EEDaS1P_S1Q_EUlS1P_E_NS1_11comp_targetILNS1_3genE10ELNS1_11target_archE1200ELNS1_3gpuE4ELNS1_3repE0EEENS1_30default_config_static_selectorELNS0_4arch9wavefront6targetE1EEEvS12_,@function
_ZN7rocprim17ROCPRIM_400000_NS6detail17trampoline_kernelINS0_13select_configILj256ELj13ELNS0_17block_load_methodE3ELS4_3ELS4_3ELNS0_20block_scan_algorithmE0ELj4294967295EEENS1_25partition_config_selectorILNS1_17partition_subalgoE4EjNS0_10empty_typeEbEEZZNS1_14partition_implILS8_4ELb0ES6_15HIP_vector_typeIjLj2EENS0_17counting_iteratorIjlEEPS9_SG_NS0_5tupleIJPjSI_NS0_16reverse_iteratorISI_EEEEENSH_IJSG_SG_SG_EEES9_SI_JZNS1_25segmented_radix_sort_implINS0_14default_configELb0EPKfPfPKlPlN2at6native12_GLOBAL__N_18offset_tEEE10hipError_tPvRmT1_PNSt15iterator_traitsIS12_E10value_typeET2_T3_PNS13_IS18_E10value_typeET4_jRbjT5_S1E_jjP12ihipStream_tbEUljE_ZNSN_ISO_Lb0ESQ_SR_ST_SU_SY_EESZ_S10_S11_S12_S16_S17_S18_S1B_S1C_jS1D_jS1E_S1E_jjS1G_bEUljE0_EEESZ_S10_S11_S18_S1C_S1E_T6_T7_T9_mT8_S1G_bDpT10_ENKUlT_T0_E_clISt17integral_constantIbLb0EES1U_EEDaS1P_S1Q_EUlS1P_E_NS1_11comp_targetILNS1_3genE10ELNS1_11target_archE1200ELNS1_3gpuE4ELNS1_3repE0EEENS1_30default_config_static_selectorELNS0_4arch9wavefront6targetE1EEEvS12_: ; @_ZN7rocprim17ROCPRIM_400000_NS6detail17trampoline_kernelINS0_13select_configILj256ELj13ELNS0_17block_load_methodE3ELS4_3ELS4_3ELNS0_20block_scan_algorithmE0ELj4294967295EEENS1_25partition_config_selectorILNS1_17partition_subalgoE4EjNS0_10empty_typeEbEEZZNS1_14partition_implILS8_4ELb0ES6_15HIP_vector_typeIjLj2EENS0_17counting_iteratorIjlEEPS9_SG_NS0_5tupleIJPjSI_NS0_16reverse_iteratorISI_EEEEENSH_IJSG_SG_SG_EEES9_SI_JZNS1_25segmented_radix_sort_implINS0_14default_configELb0EPKfPfPKlPlN2at6native12_GLOBAL__N_18offset_tEEE10hipError_tPvRmT1_PNSt15iterator_traitsIS12_E10value_typeET2_T3_PNS13_IS18_E10value_typeET4_jRbjT5_S1E_jjP12ihipStream_tbEUljE_ZNSN_ISO_Lb0ESQ_SR_ST_SU_SY_EESZ_S10_S11_S12_S16_S17_S18_S1B_S1C_jS1D_jS1E_S1E_jjS1G_bEUljE0_EEESZ_S10_S11_S18_S1C_S1E_T6_T7_T9_mT8_S1G_bDpT10_ENKUlT_T0_E_clISt17integral_constantIbLb0EES1U_EEDaS1P_S1Q_EUlS1P_E_NS1_11comp_targetILNS1_3genE10ELNS1_11target_archE1200ELNS1_3gpuE4ELNS1_3repE0EEENS1_30default_config_static_selectorELNS0_4arch9wavefront6targetE1EEEvS12_
; %bb.0:
	.section	.rodata,"a",@progbits
	.p2align	6, 0x0
	.amdhsa_kernel _ZN7rocprim17ROCPRIM_400000_NS6detail17trampoline_kernelINS0_13select_configILj256ELj13ELNS0_17block_load_methodE3ELS4_3ELS4_3ELNS0_20block_scan_algorithmE0ELj4294967295EEENS1_25partition_config_selectorILNS1_17partition_subalgoE4EjNS0_10empty_typeEbEEZZNS1_14partition_implILS8_4ELb0ES6_15HIP_vector_typeIjLj2EENS0_17counting_iteratorIjlEEPS9_SG_NS0_5tupleIJPjSI_NS0_16reverse_iteratorISI_EEEEENSH_IJSG_SG_SG_EEES9_SI_JZNS1_25segmented_radix_sort_implINS0_14default_configELb0EPKfPfPKlPlN2at6native12_GLOBAL__N_18offset_tEEE10hipError_tPvRmT1_PNSt15iterator_traitsIS12_E10value_typeET2_T3_PNS13_IS18_E10value_typeET4_jRbjT5_S1E_jjP12ihipStream_tbEUljE_ZNSN_ISO_Lb0ESQ_SR_ST_SU_SY_EESZ_S10_S11_S12_S16_S17_S18_S1B_S1C_jS1D_jS1E_S1E_jjS1G_bEUljE0_EEESZ_S10_S11_S18_S1C_S1E_T6_T7_T9_mT8_S1G_bDpT10_ENKUlT_T0_E_clISt17integral_constantIbLb0EES1U_EEDaS1P_S1Q_EUlS1P_E_NS1_11comp_targetILNS1_3genE10ELNS1_11target_archE1200ELNS1_3gpuE4ELNS1_3repE0EEENS1_30default_config_static_selectorELNS0_4arch9wavefront6targetE1EEEvS12_
		.amdhsa_group_segment_fixed_size 0
		.amdhsa_private_segment_fixed_size 0
		.amdhsa_kernarg_size 176
		.amdhsa_user_sgpr_count 6
		.amdhsa_user_sgpr_private_segment_buffer 1
		.amdhsa_user_sgpr_dispatch_ptr 0
		.amdhsa_user_sgpr_queue_ptr 0
		.amdhsa_user_sgpr_kernarg_segment_ptr 1
		.amdhsa_user_sgpr_dispatch_id 0
		.amdhsa_user_sgpr_flat_scratch_init 0
		.amdhsa_user_sgpr_kernarg_preload_length 0
		.amdhsa_user_sgpr_kernarg_preload_offset 0
		.amdhsa_user_sgpr_private_segment_size 0
		.amdhsa_uses_dynamic_stack 0
		.amdhsa_system_sgpr_private_segment_wavefront_offset 0
		.amdhsa_system_sgpr_workgroup_id_x 1
		.amdhsa_system_sgpr_workgroup_id_y 0
		.amdhsa_system_sgpr_workgroup_id_z 0
		.amdhsa_system_sgpr_workgroup_info 0
		.amdhsa_system_vgpr_workitem_id 0
		.amdhsa_next_free_vgpr 1
		.amdhsa_next_free_sgpr 0
		.amdhsa_accum_offset 4
		.amdhsa_reserve_vcc 0
		.amdhsa_reserve_flat_scratch 0
		.amdhsa_float_round_mode_32 0
		.amdhsa_float_round_mode_16_64 0
		.amdhsa_float_denorm_mode_32 3
		.amdhsa_float_denorm_mode_16_64 3
		.amdhsa_dx10_clamp 1
		.amdhsa_ieee_mode 1
		.amdhsa_fp16_overflow 0
		.amdhsa_tg_split 0
		.amdhsa_exception_fp_ieee_invalid_op 0
		.amdhsa_exception_fp_denorm_src 0
		.amdhsa_exception_fp_ieee_div_zero 0
		.amdhsa_exception_fp_ieee_overflow 0
		.amdhsa_exception_fp_ieee_underflow 0
		.amdhsa_exception_fp_ieee_inexact 0
		.amdhsa_exception_int_div_zero 0
	.end_amdhsa_kernel
	.section	.text._ZN7rocprim17ROCPRIM_400000_NS6detail17trampoline_kernelINS0_13select_configILj256ELj13ELNS0_17block_load_methodE3ELS4_3ELS4_3ELNS0_20block_scan_algorithmE0ELj4294967295EEENS1_25partition_config_selectorILNS1_17partition_subalgoE4EjNS0_10empty_typeEbEEZZNS1_14partition_implILS8_4ELb0ES6_15HIP_vector_typeIjLj2EENS0_17counting_iteratorIjlEEPS9_SG_NS0_5tupleIJPjSI_NS0_16reverse_iteratorISI_EEEEENSH_IJSG_SG_SG_EEES9_SI_JZNS1_25segmented_radix_sort_implINS0_14default_configELb0EPKfPfPKlPlN2at6native12_GLOBAL__N_18offset_tEEE10hipError_tPvRmT1_PNSt15iterator_traitsIS12_E10value_typeET2_T3_PNS13_IS18_E10value_typeET4_jRbjT5_S1E_jjP12ihipStream_tbEUljE_ZNSN_ISO_Lb0ESQ_SR_ST_SU_SY_EESZ_S10_S11_S12_S16_S17_S18_S1B_S1C_jS1D_jS1E_S1E_jjS1G_bEUljE0_EEESZ_S10_S11_S18_S1C_S1E_T6_T7_T9_mT8_S1G_bDpT10_ENKUlT_T0_E_clISt17integral_constantIbLb0EES1U_EEDaS1P_S1Q_EUlS1P_E_NS1_11comp_targetILNS1_3genE10ELNS1_11target_archE1200ELNS1_3gpuE4ELNS1_3repE0EEENS1_30default_config_static_selectorELNS0_4arch9wavefront6targetE1EEEvS12_,"axG",@progbits,_ZN7rocprim17ROCPRIM_400000_NS6detail17trampoline_kernelINS0_13select_configILj256ELj13ELNS0_17block_load_methodE3ELS4_3ELS4_3ELNS0_20block_scan_algorithmE0ELj4294967295EEENS1_25partition_config_selectorILNS1_17partition_subalgoE4EjNS0_10empty_typeEbEEZZNS1_14partition_implILS8_4ELb0ES6_15HIP_vector_typeIjLj2EENS0_17counting_iteratorIjlEEPS9_SG_NS0_5tupleIJPjSI_NS0_16reverse_iteratorISI_EEEEENSH_IJSG_SG_SG_EEES9_SI_JZNS1_25segmented_radix_sort_implINS0_14default_configELb0EPKfPfPKlPlN2at6native12_GLOBAL__N_18offset_tEEE10hipError_tPvRmT1_PNSt15iterator_traitsIS12_E10value_typeET2_T3_PNS13_IS18_E10value_typeET4_jRbjT5_S1E_jjP12ihipStream_tbEUljE_ZNSN_ISO_Lb0ESQ_SR_ST_SU_SY_EESZ_S10_S11_S12_S16_S17_S18_S1B_S1C_jS1D_jS1E_S1E_jjS1G_bEUljE0_EEESZ_S10_S11_S18_S1C_S1E_T6_T7_T9_mT8_S1G_bDpT10_ENKUlT_T0_E_clISt17integral_constantIbLb0EES1U_EEDaS1P_S1Q_EUlS1P_E_NS1_11comp_targetILNS1_3genE10ELNS1_11target_archE1200ELNS1_3gpuE4ELNS1_3repE0EEENS1_30default_config_static_selectorELNS0_4arch9wavefront6targetE1EEEvS12_,comdat
.Lfunc_end1367:
	.size	_ZN7rocprim17ROCPRIM_400000_NS6detail17trampoline_kernelINS0_13select_configILj256ELj13ELNS0_17block_load_methodE3ELS4_3ELS4_3ELNS0_20block_scan_algorithmE0ELj4294967295EEENS1_25partition_config_selectorILNS1_17partition_subalgoE4EjNS0_10empty_typeEbEEZZNS1_14partition_implILS8_4ELb0ES6_15HIP_vector_typeIjLj2EENS0_17counting_iteratorIjlEEPS9_SG_NS0_5tupleIJPjSI_NS0_16reverse_iteratorISI_EEEEENSH_IJSG_SG_SG_EEES9_SI_JZNS1_25segmented_radix_sort_implINS0_14default_configELb0EPKfPfPKlPlN2at6native12_GLOBAL__N_18offset_tEEE10hipError_tPvRmT1_PNSt15iterator_traitsIS12_E10value_typeET2_T3_PNS13_IS18_E10value_typeET4_jRbjT5_S1E_jjP12ihipStream_tbEUljE_ZNSN_ISO_Lb0ESQ_SR_ST_SU_SY_EESZ_S10_S11_S12_S16_S17_S18_S1B_S1C_jS1D_jS1E_S1E_jjS1G_bEUljE0_EEESZ_S10_S11_S18_S1C_S1E_T6_T7_T9_mT8_S1G_bDpT10_ENKUlT_T0_E_clISt17integral_constantIbLb0EES1U_EEDaS1P_S1Q_EUlS1P_E_NS1_11comp_targetILNS1_3genE10ELNS1_11target_archE1200ELNS1_3gpuE4ELNS1_3repE0EEENS1_30default_config_static_selectorELNS0_4arch9wavefront6targetE1EEEvS12_, .Lfunc_end1367-_ZN7rocprim17ROCPRIM_400000_NS6detail17trampoline_kernelINS0_13select_configILj256ELj13ELNS0_17block_load_methodE3ELS4_3ELS4_3ELNS0_20block_scan_algorithmE0ELj4294967295EEENS1_25partition_config_selectorILNS1_17partition_subalgoE4EjNS0_10empty_typeEbEEZZNS1_14partition_implILS8_4ELb0ES6_15HIP_vector_typeIjLj2EENS0_17counting_iteratorIjlEEPS9_SG_NS0_5tupleIJPjSI_NS0_16reverse_iteratorISI_EEEEENSH_IJSG_SG_SG_EEES9_SI_JZNS1_25segmented_radix_sort_implINS0_14default_configELb0EPKfPfPKlPlN2at6native12_GLOBAL__N_18offset_tEEE10hipError_tPvRmT1_PNSt15iterator_traitsIS12_E10value_typeET2_T3_PNS13_IS18_E10value_typeET4_jRbjT5_S1E_jjP12ihipStream_tbEUljE_ZNSN_ISO_Lb0ESQ_SR_ST_SU_SY_EESZ_S10_S11_S12_S16_S17_S18_S1B_S1C_jS1D_jS1E_S1E_jjS1G_bEUljE0_EEESZ_S10_S11_S18_S1C_S1E_T6_T7_T9_mT8_S1G_bDpT10_ENKUlT_T0_E_clISt17integral_constantIbLb0EES1U_EEDaS1P_S1Q_EUlS1P_E_NS1_11comp_targetILNS1_3genE10ELNS1_11target_archE1200ELNS1_3gpuE4ELNS1_3repE0EEENS1_30default_config_static_selectorELNS0_4arch9wavefront6targetE1EEEvS12_
                                        ; -- End function
	.section	.AMDGPU.csdata,"",@progbits
; Kernel info:
; codeLenInByte = 0
; NumSgprs: 4
; NumVgprs: 0
; NumAgprs: 0
; TotalNumVgprs: 0
; ScratchSize: 0
; MemoryBound: 0
; FloatMode: 240
; IeeeMode: 1
; LDSByteSize: 0 bytes/workgroup (compile time only)
; SGPRBlocks: 0
; VGPRBlocks: 0
; NumSGPRsForWavesPerEU: 4
; NumVGPRsForWavesPerEU: 1
; AccumOffset: 4
; Occupancy: 8
; WaveLimiterHint : 0
; COMPUTE_PGM_RSRC2:SCRATCH_EN: 0
; COMPUTE_PGM_RSRC2:USER_SGPR: 6
; COMPUTE_PGM_RSRC2:TRAP_HANDLER: 0
; COMPUTE_PGM_RSRC2:TGID_X_EN: 1
; COMPUTE_PGM_RSRC2:TGID_Y_EN: 0
; COMPUTE_PGM_RSRC2:TGID_Z_EN: 0
; COMPUTE_PGM_RSRC2:TIDIG_COMP_CNT: 0
; COMPUTE_PGM_RSRC3_GFX90A:ACCUM_OFFSET: 0
; COMPUTE_PGM_RSRC3_GFX90A:TG_SPLIT: 0
	.section	.text._ZN7rocprim17ROCPRIM_400000_NS6detail17trampoline_kernelINS0_13select_configILj256ELj13ELNS0_17block_load_methodE3ELS4_3ELS4_3ELNS0_20block_scan_algorithmE0ELj4294967295EEENS1_25partition_config_selectorILNS1_17partition_subalgoE4EjNS0_10empty_typeEbEEZZNS1_14partition_implILS8_4ELb0ES6_15HIP_vector_typeIjLj2EENS0_17counting_iteratorIjlEEPS9_SG_NS0_5tupleIJPjSI_NS0_16reverse_iteratorISI_EEEEENSH_IJSG_SG_SG_EEES9_SI_JZNS1_25segmented_radix_sort_implINS0_14default_configELb0EPKfPfPKlPlN2at6native12_GLOBAL__N_18offset_tEEE10hipError_tPvRmT1_PNSt15iterator_traitsIS12_E10value_typeET2_T3_PNS13_IS18_E10value_typeET4_jRbjT5_S1E_jjP12ihipStream_tbEUljE_ZNSN_ISO_Lb0ESQ_SR_ST_SU_SY_EESZ_S10_S11_S12_S16_S17_S18_S1B_S1C_jS1D_jS1E_S1E_jjS1G_bEUljE0_EEESZ_S10_S11_S18_S1C_S1E_T6_T7_T9_mT8_S1G_bDpT10_ENKUlT_T0_E_clISt17integral_constantIbLb0EES1U_EEDaS1P_S1Q_EUlS1P_E_NS1_11comp_targetILNS1_3genE9ELNS1_11target_archE1100ELNS1_3gpuE3ELNS1_3repE0EEENS1_30default_config_static_selectorELNS0_4arch9wavefront6targetE1EEEvS12_,"axG",@progbits,_ZN7rocprim17ROCPRIM_400000_NS6detail17trampoline_kernelINS0_13select_configILj256ELj13ELNS0_17block_load_methodE3ELS4_3ELS4_3ELNS0_20block_scan_algorithmE0ELj4294967295EEENS1_25partition_config_selectorILNS1_17partition_subalgoE4EjNS0_10empty_typeEbEEZZNS1_14partition_implILS8_4ELb0ES6_15HIP_vector_typeIjLj2EENS0_17counting_iteratorIjlEEPS9_SG_NS0_5tupleIJPjSI_NS0_16reverse_iteratorISI_EEEEENSH_IJSG_SG_SG_EEES9_SI_JZNS1_25segmented_radix_sort_implINS0_14default_configELb0EPKfPfPKlPlN2at6native12_GLOBAL__N_18offset_tEEE10hipError_tPvRmT1_PNSt15iterator_traitsIS12_E10value_typeET2_T3_PNS13_IS18_E10value_typeET4_jRbjT5_S1E_jjP12ihipStream_tbEUljE_ZNSN_ISO_Lb0ESQ_SR_ST_SU_SY_EESZ_S10_S11_S12_S16_S17_S18_S1B_S1C_jS1D_jS1E_S1E_jjS1G_bEUljE0_EEESZ_S10_S11_S18_S1C_S1E_T6_T7_T9_mT8_S1G_bDpT10_ENKUlT_T0_E_clISt17integral_constantIbLb0EES1U_EEDaS1P_S1Q_EUlS1P_E_NS1_11comp_targetILNS1_3genE9ELNS1_11target_archE1100ELNS1_3gpuE3ELNS1_3repE0EEENS1_30default_config_static_selectorELNS0_4arch9wavefront6targetE1EEEvS12_,comdat
	.globl	_ZN7rocprim17ROCPRIM_400000_NS6detail17trampoline_kernelINS0_13select_configILj256ELj13ELNS0_17block_load_methodE3ELS4_3ELS4_3ELNS0_20block_scan_algorithmE0ELj4294967295EEENS1_25partition_config_selectorILNS1_17partition_subalgoE4EjNS0_10empty_typeEbEEZZNS1_14partition_implILS8_4ELb0ES6_15HIP_vector_typeIjLj2EENS0_17counting_iteratorIjlEEPS9_SG_NS0_5tupleIJPjSI_NS0_16reverse_iteratorISI_EEEEENSH_IJSG_SG_SG_EEES9_SI_JZNS1_25segmented_radix_sort_implINS0_14default_configELb0EPKfPfPKlPlN2at6native12_GLOBAL__N_18offset_tEEE10hipError_tPvRmT1_PNSt15iterator_traitsIS12_E10value_typeET2_T3_PNS13_IS18_E10value_typeET4_jRbjT5_S1E_jjP12ihipStream_tbEUljE_ZNSN_ISO_Lb0ESQ_SR_ST_SU_SY_EESZ_S10_S11_S12_S16_S17_S18_S1B_S1C_jS1D_jS1E_S1E_jjS1G_bEUljE0_EEESZ_S10_S11_S18_S1C_S1E_T6_T7_T9_mT8_S1G_bDpT10_ENKUlT_T0_E_clISt17integral_constantIbLb0EES1U_EEDaS1P_S1Q_EUlS1P_E_NS1_11comp_targetILNS1_3genE9ELNS1_11target_archE1100ELNS1_3gpuE3ELNS1_3repE0EEENS1_30default_config_static_selectorELNS0_4arch9wavefront6targetE1EEEvS12_ ; -- Begin function _ZN7rocprim17ROCPRIM_400000_NS6detail17trampoline_kernelINS0_13select_configILj256ELj13ELNS0_17block_load_methodE3ELS4_3ELS4_3ELNS0_20block_scan_algorithmE0ELj4294967295EEENS1_25partition_config_selectorILNS1_17partition_subalgoE4EjNS0_10empty_typeEbEEZZNS1_14partition_implILS8_4ELb0ES6_15HIP_vector_typeIjLj2EENS0_17counting_iteratorIjlEEPS9_SG_NS0_5tupleIJPjSI_NS0_16reverse_iteratorISI_EEEEENSH_IJSG_SG_SG_EEES9_SI_JZNS1_25segmented_radix_sort_implINS0_14default_configELb0EPKfPfPKlPlN2at6native12_GLOBAL__N_18offset_tEEE10hipError_tPvRmT1_PNSt15iterator_traitsIS12_E10value_typeET2_T3_PNS13_IS18_E10value_typeET4_jRbjT5_S1E_jjP12ihipStream_tbEUljE_ZNSN_ISO_Lb0ESQ_SR_ST_SU_SY_EESZ_S10_S11_S12_S16_S17_S18_S1B_S1C_jS1D_jS1E_S1E_jjS1G_bEUljE0_EEESZ_S10_S11_S18_S1C_S1E_T6_T7_T9_mT8_S1G_bDpT10_ENKUlT_T0_E_clISt17integral_constantIbLb0EES1U_EEDaS1P_S1Q_EUlS1P_E_NS1_11comp_targetILNS1_3genE9ELNS1_11target_archE1100ELNS1_3gpuE3ELNS1_3repE0EEENS1_30default_config_static_selectorELNS0_4arch9wavefront6targetE1EEEvS12_
	.p2align	8
	.type	_ZN7rocprim17ROCPRIM_400000_NS6detail17trampoline_kernelINS0_13select_configILj256ELj13ELNS0_17block_load_methodE3ELS4_3ELS4_3ELNS0_20block_scan_algorithmE0ELj4294967295EEENS1_25partition_config_selectorILNS1_17partition_subalgoE4EjNS0_10empty_typeEbEEZZNS1_14partition_implILS8_4ELb0ES6_15HIP_vector_typeIjLj2EENS0_17counting_iteratorIjlEEPS9_SG_NS0_5tupleIJPjSI_NS0_16reverse_iteratorISI_EEEEENSH_IJSG_SG_SG_EEES9_SI_JZNS1_25segmented_radix_sort_implINS0_14default_configELb0EPKfPfPKlPlN2at6native12_GLOBAL__N_18offset_tEEE10hipError_tPvRmT1_PNSt15iterator_traitsIS12_E10value_typeET2_T3_PNS13_IS18_E10value_typeET4_jRbjT5_S1E_jjP12ihipStream_tbEUljE_ZNSN_ISO_Lb0ESQ_SR_ST_SU_SY_EESZ_S10_S11_S12_S16_S17_S18_S1B_S1C_jS1D_jS1E_S1E_jjS1G_bEUljE0_EEESZ_S10_S11_S18_S1C_S1E_T6_T7_T9_mT8_S1G_bDpT10_ENKUlT_T0_E_clISt17integral_constantIbLb0EES1U_EEDaS1P_S1Q_EUlS1P_E_NS1_11comp_targetILNS1_3genE9ELNS1_11target_archE1100ELNS1_3gpuE3ELNS1_3repE0EEENS1_30default_config_static_selectorELNS0_4arch9wavefront6targetE1EEEvS12_,@function
_ZN7rocprim17ROCPRIM_400000_NS6detail17trampoline_kernelINS0_13select_configILj256ELj13ELNS0_17block_load_methodE3ELS4_3ELS4_3ELNS0_20block_scan_algorithmE0ELj4294967295EEENS1_25partition_config_selectorILNS1_17partition_subalgoE4EjNS0_10empty_typeEbEEZZNS1_14partition_implILS8_4ELb0ES6_15HIP_vector_typeIjLj2EENS0_17counting_iteratorIjlEEPS9_SG_NS0_5tupleIJPjSI_NS0_16reverse_iteratorISI_EEEEENSH_IJSG_SG_SG_EEES9_SI_JZNS1_25segmented_radix_sort_implINS0_14default_configELb0EPKfPfPKlPlN2at6native12_GLOBAL__N_18offset_tEEE10hipError_tPvRmT1_PNSt15iterator_traitsIS12_E10value_typeET2_T3_PNS13_IS18_E10value_typeET4_jRbjT5_S1E_jjP12ihipStream_tbEUljE_ZNSN_ISO_Lb0ESQ_SR_ST_SU_SY_EESZ_S10_S11_S12_S16_S17_S18_S1B_S1C_jS1D_jS1E_S1E_jjS1G_bEUljE0_EEESZ_S10_S11_S18_S1C_S1E_T6_T7_T9_mT8_S1G_bDpT10_ENKUlT_T0_E_clISt17integral_constantIbLb0EES1U_EEDaS1P_S1Q_EUlS1P_E_NS1_11comp_targetILNS1_3genE9ELNS1_11target_archE1100ELNS1_3gpuE3ELNS1_3repE0EEENS1_30default_config_static_selectorELNS0_4arch9wavefront6targetE1EEEvS12_: ; @_ZN7rocprim17ROCPRIM_400000_NS6detail17trampoline_kernelINS0_13select_configILj256ELj13ELNS0_17block_load_methodE3ELS4_3ELS4_3ELNS0_20block_scan_algorithmE0ELj4294967295EEENS1_25partition_config_selectorILNS1_17partition_subalgoE4EjNS0_10empty_typeEbEEZZNS1_14partition_implILS8_4ELb0ES6_15HIP_vector_typeIjLj2EENS0_17counting_iteratorIjlEEPS9_SG_NS0_5tupleIJPjSI_NS0_16reverse_iteratorISI_EEEEENSH_IJSG_SG_SG_EEES9_SI_JZNS1_25segmented_radix_sort_implINS0_14default_configELb0EPKfPfPKlPlN2at6native12_GLOBAL__N_18offset_tEEE10hipError_tPvRmT1_PNSt15iterator_traitsIS12_E10value_typeET2_T3_PNS13_IS18_E10value_typeET4_jRbjT5_S1E_jjP12ihipStream_tbEUljE_ZNSN_ISO_Lb0ESQ_SR_ST_SU_SY_EESZ_S10_S11_S12_S16_S17_S18_S1B_S1C_jS1D_jS1E_S1E_jjS1G_bEUljE0_EEESZ_S10_S11_S18_S1C_S1E_T6_T7_T9_mT8_S1G_bDpT10_ENKUlT_T0_E_clISt17integral_constantIbLb0EES1U_EEDaS1P_S1Q_EUlS1P_E_NS1_11comp_targetILNS1_3genE9ELNS1_11target_archE1100ELNS1_3gpuE3ELNS1_3repE0EEENS1_30default_config_static_selectorELNS0_4arch9wavefront6targetE1EEEvS12_
; %bb.0:
	.section	.rodata,"a",@progbits
	.p2align	6, 0x0
	.amdhsa_kernel _ZN7rocprim17ROCPRIM_400000_NS6detail17trampoline_kernelINS0_13select_configILj256ELj13ELNS0_17block_load_methodE3ELS4_3ELS4_3ELNS0_20block_scan_algorithmE0ELj4294967295EEENS1_25partition_config_selectorILNS1_17partition_subalgoE4EjNS0_10empty_typeEbEEZZNS1_14partition_implILS8_4ELb0ES6_15HIP_vector_typeIjLj2EENS0_17counting_iteratorIjlEEPS9_SG_NS0_5tupleIJPjSI_NS0_16reverse_iteratorISI_EEEEENSH_IJSG_SG_SG_EEES9_SI_JZNS1_25segmented_radix_sort_implINS0_14default_configELb0EPKfPfPKlPlN2at6native12_GLOBAL__N_18offset_tEEE10hipError_tPvRmT1_PNSt15iterator_traitsIS12_E10value_typeET2_T3_PNS13_IS18_E10value_typeET4_jRbjT5_S1E_jjP12ihipStream_tbEUljE_ZNSN_ISO_Lb0ESQ_SR_ST_SU_SY_EESZ_S10_S11_S12_S16_S17_S18_S1B_S1C_jS1D_jS1E_S1E_jjS1G_bEUljE0_EEESZ_S10_S11_S18_S1C_S1E_T6_T7_T9_mT8_S1G_bDpT10_ENKUlT_T0_E_clISt17integral_constantIbLb0EES1U_EEDaS1P_S1Q_EUlS1P_E_NS1_11comp_targetILNS1_3genE9ELNS1_11target_archE1100ELNS1_3gpuE3ELNS1_3repE0EEENS1_30default_config_static_selectorELNS0_4arch9wavefront6targetE1EEEvS12_
		.amdhsa_group_segment_fixed_size 0
		.amdhsa_private_segment_fixed_size 0
		.amdhsa_kernarg_size 176
		.amdhsa_user_sgpr_count 6
		.amdhsa_user_sgpr_private_segment_buffer 1
		.amdhsa_user_sgpr_dispatch_ptr 0
		.amdhsa_user_sgpr_queue_ptr 0
		.amdhsa_user_sgpr_kernarg_segment_ptr 1
		.amdhsa_user_sgpr_dispatch_id 0
		.amdhsa_user_sgpr_flat_scratch_init 0
		.amdhsa_user_sgpr_kernarg_preload_length 0
		.amdhsa_user_sgpr_kernarg_preload_offset 0
		.amdhsa_user_sgpr_private_segment_size 0
		.amdhsa_uses_dynamic_stack 0
		.amdhsa_system_sgpr_private_segment_wavefront_offset 0
		.amdhsa_system_sgpr_workgroup_id_x 1
		.amdhsa_system_sgpr_workgroup_id_y 0
		.amdhsa_system_sgpr_workgroup_id_z 0
		.amdhsa_system_sgpr_workgroup_info 0
		.amdhsa_system_vgpr_workitem_id 0
		.amdhsa_next_free_vgpr 1
		.amdhsa_next_free_sgpr 0
		.amdhsa_accum_offset 4
		.amdhsa_reserve_vcc 0
		.amdhsa_reserve_flat_scratch 0
		.amdhsa_float_round_mode_32 0
		.amdhsa_float_round_mode_16_64 0
		.amdhsa_float_denorm_mode_32 3
		.amdhsa_float_denorm_mode_16_64 3
		.amdhsa_dx10_clamp 1
		.amdhsa_ieee_mode 1
		.amdhsa_fp16_overflow 0
		.amdhsa_tg_split 0
		.amdhsa_exception_fp_ieee_invalid_op 0
		.amdhsa_exception_fp_denorm_src 0
		.amdhsa_exception_fp_ieee_div_zero 0
		.amdhsa_exception_fp_ieee_overflow 0
		.amdhsa_exception_fp_ieee_underflow 0
		.amdhsa_exception_fp_ieee_inexact 0
		.amdhsa_exception_int_div_zero 0
	.end_amdhsa_kernel
	.section	.text._ZN7rocprim17ROCPRIM_400000_NS6detail17trampoline_kernelINS0_13select_configILj256ELj13ELNS0_17block_load_methodE3ELS4_3ELS4_3ELNS0_20block_scan_algorithmE0ELj4294967295EEENS1_25partition_config_selectorILNS1_17partition_subalgoE4EjNS0_10empty_typeEbEEZZNS1_14partition_implILS8_4ELb0ES6_15HIP_vector_typeIjLj2EENS0_17counting_iteratorIjlEEPS9_SG_NS0_5tupleIJPjSI_NS0_16reverse_iteratorISI_EEEEENSH_IJSG_SG_SG_EEES9_SI_JZNS1_25segmented_radix_sort_implINS0_14default_configELb0EPKfPfPKlPlN2at6native12_GLOBAL__N_18offset_tEEE10hipError_tPvRmT1_PNSt15iterator_traitsIS12_E10value_typeET2_T3_PNS13_IS18_E10value_typeET4_jRbjT5_S1E_jjP12ihipStream_tbEUljE_ZNSN_ISO_Lb0ESQ_SR_ST_SU_SY_EESZ_S10_S11_S12_S16_S17_S18_S1B_S1C_jS1D_jS1E_S1E_jjS1G_bEUljE0_EEESZ_S10_S11_S18_S1C_S1E_T6_T7_T9_mT8_S1G_bDpT10_ENKUlT_T0_E_clISt17integral_constantIbLb0EES1U_EEDaS1P_S1Q_EUlS1P_E_NS1_11comp_targetILNS1_3genE9ELNS1_11target_archE1100ELNS1_3gpuE3ELNS1_3repE0EEENS1_30default_config_static_selectorELNS0_4arch9wavefront6targetE1EEEvS12_,"axG",@progbits,_ZN7rocprim17ROCPRIM_400000_NS6detail17trampoline_kernelINS0_13select_configILj256ELj13ELNS0_17block_load_methodE3ELS4_3ELS4_3ELNS0_20block_scan_algorithmE0ELj4294967295EEENS1_25partition_config_selectorILNS1_17partition_subalgoE4EjNS0_10empty_typeEbEEZZNS1_14partition_implILS8_4ELb0ES6_15HIP_vector_typeIjLj2EENS0_17counting_iteratorIjlEEPS9_SG_NS0_5tupleIJPjSI_NS0_16reverse_iteratorISI_EEEEENSH_IJSG_SG_SG_EEES9_SI_JZNS1_25segmented_radix_sort_implINS0_14default_configELb0EPKfPfPKlPlN2at6native12_GLOBAL__N_18offset_tEEE10hipError_tPvRmT1_PNSt15iterator_traitsIS12_E10value_typeET2_T3_PNS13_IS18_E10value_typeET4_jRbjT5_S1E_jjP12ihipStream_tbEUljE_ZNSN_ISO_Lb0ESQ_SR_ST_SU_SY_EESZ_S10_S11_S12_S16_S17_S18_S1B_S1C_jS1D_jS1E_S1E_jjS1G_bEUljE0_EEESZ_S10_S11_S18_S1C_S1E_T6_T7_T9_mT8_S1G_bDpT10_ENKUlT_T0_E_clISt17integral_constantIbLb0EES1U_EEDaS1P_S1Q_EUlS1P_E_NS1_11comp_targetILNS1_3genE9ELNS1_11target_archE1100ELNS1_3gpuE3ELNS1_3repE0EEENS1_30default_config_static_selectorELNS0_4arch9wavefront6targetE1EEEvS12_,comdat
.Lfunc_end1368:
	.size	_ZN7rocprim17ROCPRIM_400000_NS6detail17trampoline_kernelINS0_13select_configILj256ELj13ELNS0_17block_load_methodE3ELS4_3ELS4_3ELNS0_20block_scan_algorithmE0ELj4294967295EEENS1_25partition_config_selectorILNS1_17partition_subalgoE4EjNS0_10empty_typeEbEEZZNS1_14partition_implILS8_4ELb0ES6_15HIP_vector_typeIjLj2EENS0_17counting_iteratorIjlEEPS9_SG_NS0_5tupleIJPjSI_NS0_16reverse_iteratorISI_EEEEENSH_IJSG_SG_SG_EEES9_SI_JZNS1_25segmented_radix_sort_implINS0_14default_configELb0EPKfPfPKlPlN2at6native12_GLOBAL__N_18offset_tEEE10hipError_tPvRmT1_PNSt15iterator_traitsIS12_E10value_typeET2_T3_PNS13_IS18_E10value_typeET4_jRbjT5_S1E_jjP12ihipStream_tbEUljE_ZNSN_ISO_Lb0ESQ_SR_ST_SU_SY_EESZ_S10_S11_S12_S16_S17_S18_S1B_S1C_jS1D_jS1E_S1E_jjS1G_bEUljE0_EEESZ_S10_S11_S18_S1C_S1E_T6_T7_T9_mT8_S1G_bDpT10_ENKUlT_T0_E_clISt17integral_constantIbLb0EES1U_EEDaS1P_S1Q_EUlS1P_E_NS1_11comp_targetILNS1_3genE9ELNS1_11target_archE1100ELNS1_3gpuE3ELNS1_3repE0EEENS1_30default_config_static_selectorELNS0_4arch9wavefront6targetE1EEEvS12_, .Lfunc_end1368-_ZN7rocprim17ROCPRIM_400000_NS6detail17trampoline_kernelINS0_13select_configILj256ELj13ELNS0_17block_load_methodE3ELS4_3ELS4_3ELNS0_20block_scan_algorithmE0ELj4294967295EEENS1_25partition_config_selectorILNS1_17partition_subalgoE4EjNS0_10empty_typeEbEEZZNS1_14partition_implILS8_4ELb0ES6_15HIP_vector_typeIjLj2EENS0_17counting_iteratorIjlEEPS9_SG_NS0_5tupleIJPjSI_NS0_16reverse_iteratorISI_EEEEENSH_IJSG_SG_SG_EEES9_SI_JZNS1_25segmented_radix_sort_implINS0_14default_configELb0EPKfPfPKlPlN2at6native12_GLOBAL__N_18offset_tEEE10hipError_tPvRmT1_PNSt15iterator_traitsIS12_E10value_typeET2_T3_PNS13_IS18_E10value_typeET4_jRbjT5_S1E_jjP12ihipStream_tbEUljE_ZNSN_ISO_Lb0ESQ_SR_ST_SU_SY_EESZ_S10_S11_S12_S16_S17_S18_S1B_S1C_jS1D_jS1E_S1E_jjS1G_bEUljE0_EEESZ_S10_S11_S18_S1C_S1E_T6_T7_T9_mT8_S1G_bDpT10_ENKUlT_T0_E_clISt17integral_constantIbLb0EES1U_EEDaS1P_S1Q_EUlS1P_E_NS1_11comp_targetILNS1_3genE9ELNS1_11target_archE1100ELNS1_3gpuE3ELNS1_3repE0EEENS1_30default_config_static_selectorELNS0_4arch9wavefront6targetE1EEEvS12_
                                        ; -- End function
	.section	.AMDGPU.csdata,"",@progbits
; Kernel info:
; codeLenInByte = 0
; NumSgprs: 4
; NumVgprs: 0
; NumAgprs: 0
; TotalNumVgprs: 0
; ScratchSize: 0
; MemoryBound: 0
; FloatMode: 240
; IeeeMode: 1
; LDSByteSize: 0 bytes/workgroup (compile time only)
; SGPRBlocks: 0
; VGPRBlocks: 0
; NumSGPRsForWavesPerEU: 4
; NumVGPRsForWavesPerEU: 1
; AccumOffset: 4
; Occupancy: 8
; WaveLimiterHint : 0
; COMPUTE_PGM_RSRC2:SCRATCH_EN: 0
; COMPUTE_PGM_RSRC2:USER_SGPR: 6
; COMPUTE_PGM_RSRC2:TRAP_HANDLER: 0
; COMPUTE_PGM_RSRC2:TGID_X_EN: 1
; COMPUTE_PGM_RSRC2:TGID_Y_EN: 0
; COMPUTE_PGM_RSRC2:TGID_Z_EN: 0
; COMPUTE_PGM_RSRC2:TIDIG_COMP_CNT: 0
; COMPUTE_PGM_RSRC3_GFX90A:ACCUM_OFFSET: 0
; COMPUTE_PGM_RSRC3_GFX90A:TG_SPLIT: 0
	.section	.text._ZN7rocprim17ROCPRIM_400000_NS6detail17trampoline_kernelINS0_13select_configILj256ELj13ELNS0_17block_load_methodE3ELS4_3ELS4_3ELNS0_20block_scan_algorithmE0ELj4294967295EEENS1_25partition_config_selectorILNS1_17partition_subalgoE4EjNS0_10empty_typeEbEEZZNS1_14partition_implILS8_4ELb0ES6_15HIP_vector_typeIjLj2EENS0_17counting_iteratorIjlEEPS9_SG_NS0_5tupleIJPjSI_NS0_16reverse_iteratorISI_EEEEENSH_IJSG_SG_SG_EEES9_SI_JZNS1_25segmented_radix_sort_implINS0_14default_configELb0EPKfPfPKlPlN2at6native12_GLOBAL__N_18offset_tEEE10hipError_tPvRmT1_PNSt15iterator_traitsIS12_E10value_typeET2_T3_PNS13_IS18_E10value_typeET4_jRbjT5_S1E_jjP12ihipStream_tbEUljE_ZNSN_ISO_Lb0ESQ_SR_ST_SU_SY_EESZ_S10_S11_S12_S16_S17_S18_S1B_S1C_jS1D_jS1E_S1E_jjS1G_bEUljE0_EEESZ_S10_S11_S18_S1C_S1E_T6_T7_T9_mT8_S1G_bDpT10_ENKUlT_T0_E_clISt17integral_constantIbLb0EES1U_EEDaS1P_S1Q_EUlS1P_E_NS1_11comp_targetILNS1_3genE8ELNS1_11target_archE1030ELNS1_3gpuE2ELNS1_3repE0EEENS1_30default_config_static_selectorELNS0_4arch9wavefront6targetE1EEEvS12_,"axG",@progbits,_ZN7rocprim17ROCPRIM_400000_NS6detail17trampoline_kernelINS0_13select_configILj256ELj13ELNS0_17block_load_methodE3ELS4_3ELS4_3ELNS0_20block_scan_algorithmE0ELj4294967295EEENS1_25partition_config_selectorILNS1_17partition_subalgoE4EjNS0_10empty_typeEbEEZZNS1_14partition_implILS8_4ELb0ES6_15HIP_vector_typeIjLj2EENS0_17counting_iteratorIjlEEPS9_SG_NS0_5tupleIJPjSI_NS0_16reverse_iteratorISI_EEEEENSH_IJSG_SG_SG_EEES9_SI_JZNS1_25segmented_radix_sort_implINS0_14default_configELb0EPKfPfPKlPlN2at6native12_GLOBAL__N_18offset_tEEE10hipError_tPvRmT1_PNSt15iterator_traitsIS12_E10value_typeET2_T3_PNS13_IS18_E10value_typeET4_jRbjT5_S1E_jjP12ihipStream_tbEUljE_ZNSN_ISO_Lb0ESQ_SR_ST_SU_SY_EESZ_S10_S11_S12_S16_S17_S18_S1B_S1C_jS1D_jS1E_S1E_jjS1G_bEUljE0_EEESZ_S10_S11_S18_S1C_S1E_T6_T7_T9_mT8_S1G_bDpT10_ENKUlT_T0_E_clISt17integral_constantIbLb0EES1U_EEDaS1P_S1Q_EUlS1P_E_NS1_11comp_targetILNS1_3genE8ELNS1_11target_archE1030ELNS1_3gpuE2ELNS1_3repE0EEENS1_30default_config_static_selectorELNS0_4arch9wavefront6targetE1EEEvS12_,comdat
	.globl	_ZN7rocprim17ROCPRIM_400000_NS6detail17trampoline_kernelINS0_13select_configILj256ELj13ELNS0_17block_load_methodE3ELS4_3ELS4_3ELNS0_20block_scan_algorithmE0ELj4294967295EEENS1_25partition_config_selectorILNS1_17partition_subalgoE4EjNS0_10empty_typeEbEEZZNS1_14partition_implILS8_4ELb0ES6_15HIP_vector_typeIjLj2EENS0_17counting_iteratorIjlEEPS9_SG_NS0_5tupleIJPjSI_NS0_16reverse_iteratorISI_EEEEENSH_IJSG_SG_SG_EEES9_SI_JZNS1_25segmented_radix_sort_implINS0_14default_configELb0EPKfPfPKlPlN2at6native12_GLOBAL__N_18offset_tEEE10hipError_tPvRmT1_PNSt15iterator_traitsIS12_E10value_typeET2_T3_PNS13_IS18_E10value_typeET4_jRbjT5_S1E_jjP12ihipStream_tbEUljE_ZNSN_ISO_Lb0ESQ_SR_ST_SU_SY_EESZ_S10_S11_S12_S16_S17_S18_S1B_S1C_jS1D_jS1E_S1E_jjS1G_bEUljE0_EEESZ_S10_S11_S18_S1C_S1E_T6_T7_T9_mT8_S1G_bDpT10_ENKUlT_T0_E_clISt17integral_constantIbLb0EES1U_EEDaS1P_S1Q_EUlS1P_E_NS1_11comp_targetILNS1_3genE8ELNS1_11target_archE1030ELNS1_3gpuE2ELNS1_3repE0EEENS1_30default_config_static_selectorELNS0_4arch9wavefront6targetE1EEEvS12_ ; -- Begin function _ZN7rocprim17ROCPRIM_400000_NS6detail17trampoline_kernelINS0_13select_configILj256ELj13ELNS0_17block_load_methodE3ELS4_3ELS4_3ELNS0_20block_scan_algorithmE0ELj4294967295EEENS1_25partition_config_selectorILNS1_17partition_subalgoE4EjNS0_10empty_typeEbEEZZNS1_14partition_implILS8_4ELb0ES6_15HIP_vector_typeIjLj2EENS0_17counting_iteratorIjlEEPS9_SG_NS0_5tupleIJPjSI_NS0_16reverse_iteratorISI_EEEEENSH_IJSG_SG_SG_EEES9_SI_JZNS1_25segmented_radix_sort_implINS0_14default_configELb0EPKfPfPKlPlN2at6native12_GLOBAL__N_18offset_tEEE10hipError_tPvRmT1_PNSt15iterator_traitsIS12_E10value_typeET2_T3_PNS13_IS18_E10value_typeET4_jRbjT5_S1E_jjP12ihipStream_tbEUljE_ZNSN_ISO_Lb0ESQ_SR_ST_SU_SY_EESZ_S10_S11_S12_S16_S17_S18_S1B_S1C_jS1D_jS1E_S1E_jjS1G_bEUljE0_EEESZ_S10_S11_S18_S1C_S1E_T6_T7_T9_mT8_S1G_bDpT10_ENKUlT_T0_E_clISt17integral_constantIbLb0EES1U_EEDaS1P_S1Q_EUlS1P_E_NS1_11comp_targetILNS1_3genE8ELNS1_11target_archE1030ELNS1_3gpuE2ELNS1_3repE0EEENS1_30default_config_static_selectorELNS0_4arch9wavefront6targetE1EEEvS12_
	.p2align	8
	.type	_ZN7rocprim17ROCPRIM_400000_NS6detail17trampoline_kernelINS0_13select_configILj256ELj13ELNS0_17block_load_methodE3ELS4_3ELS4_3ELNS0_20block_scan_algorithmE0ELj4294967295EEENS1_25partition_config_selectorILNS1_17partition_subalgoE4EjNS0_10empty_typeEbEEZZNS1_14partition_implILS8_4ELb0ES6_15HIP_vector_typeIjLj2EENS0_17counting_iteratorIjlEEPS9_SG_NS0_5tupleIJPjSI_NS0_16reverse_iteratorISI_EEEEENSH_IJSG_SG_SG_EEES9_SI_JZNS1_25segmented_radix_sort_implINS0_14default_configELb0EPKfPfPKlPlN2at6native12_GLOBAL__N_18offset_tEEE10hipError_tPvRmT1_PNSt15iterator_traitsIS12_E10value_typeET2_T3_PNS13_IS18_E10value_typeET4_jRbjT5_S1E_jjP12ihipStream_tbEUljE_ZNSN_ISO_Lb0ESQ_SR_ST_SU_SY_EESZ_S10_S11_S12_S16_S17_S18_S1B_S1C_jS1D_jS1E_S1E_jjS1G_bEUljE0_EEESZ_S10_S11_S18_S1C_S1E_T6_T7_T9_mT8_S1G_bDpT10_ENKUlT_T0_E_clISt17integral_constantIbLb0EES1U_EEDaS1P_S1Q_EUlS1P_E_NS1_11comp_targetILNS1_3genE8ELNS1_11target_archE1030ELNS1_3gpuE2ELNS1_3repE0EEENS1_30default_config_static_selectorELNS0_4arch9wavefront6targetE1EEEvS12_,@function
_ZN7rocprim17ROCPRIM_400000_NS6detail17trampoline_kernelINS0_13select_configILj256ELj13ELNS0_17block_load_methodE3ELS4_3ELS4_3ELNS0_20block_scan_algorithmE0ELj4294967295EEENS1_25partition_config_selectorILNS1_17partition_subalgoE4EjNS0_10empty_typeEbEEZZNS1_14partition_implILS8_4ELb0ES6_15HIP_vector_typeIjLj2EENS0_17counting_iteratorIjlEEPS9_SG_NS0_5tupleIJPjSI_NS0_16reverse_iteratorISI_EEEEENSH_IJSG_SG_SG_EEES9_SI_JZNS1_25segmented_radix_sort_implINS0_14default_configELb0EPKfPfPKlPlN2at6native12_GLOBAL__N_18offset_tEEE10hipError_tPvRmT1_PNSt15iterator_traitsIS12_E10value_typeET2_T3_PNS13_IS18_E10value_typeET4_jRbjT5_S1E_jjP12ihipStream_tbEUljE_ZNSN_ISO_Lb0ESQ_SR_ST_SU_SY_EESZ_S10_S11_S12_S16_S17_S18_S1B_S1C_jS1D_jS1E_S1E_jjS1G_bEUljE0_EEESZ_S10_S11_S18_S1C_S1E_T6_T7_T9_mT8_S1G_bDpT10_ENKUlT_T0_E_clISt17integral_constantIbLb0EES1U_EEDaS1P_S1Q_EUlS1P_E_NS1_11comp_targetILNS1_3genE8ELNS1_11target_archE1030ELNS1_3gpuE2ELNS1_3repE0EEENS1_30default_config_static_selectorELNS0_4arch9wavefront6targetE1EEEvS12_: ; @_ZN7rocprim17ROCPRIM_400000_NS6detail17trampoline_kernelINS0_13select_configILj256ELj13ELNS0_17block_load_methodE3ELS4_3ELS4_3ELNS0_20block_scan_algorithmE0ELj4294967295EEENS1_25partition_config_selectorILNS1_17partition_subalgoE4EjNS0_10empty_typeEbEEZZNS1_14partition_implILS8_4ELb0ES6_15HIP_vector_typeIjLj2EENS0_17counting_iteratorIjlEEPS9_SG_NS0_5tupleIJPjSI_NS0_16reverse_iteratorISI_EEEEENSH_IJSG_SG_SG_EEES9_SI_JZNS1_25segmented_radix_sort_implINS0_14default_configELb0EPKfPfPKlPlN2at6native12_GLOBAL__N_18offset_tEEE10hipError_tPvRmT1_PNSt15iterator_traitsIS12_E10value_typeET2_T3_PNS13_IS18_E10value_typeET4_jRbjT5_S1E_jjP12ihipStream_tbEUljE_ZNSN_ISO_Lb0ESQ_SR_ST_SU_SY_EESZ_S10_S11_S12_S16_S17_S18_S1B_S1C_jS1D_jS1E_S1E_jjS1G_bEUljE0_EEESZ_S10_S11_S18_S1C_S1E_T6_T7_T9_mT8_S1G_bDpT10_ENKUlT_T0_E_clISt17integral_constantIbLb0EES1U_EEDaS1P_S1Q_EUlS1P_E_NS1_11comp_targetILNS1_3genE8ELNS1_11target_archE1030ELNS1_3gpuE2ELNS1_3repE0EEENS1_30default_config_static_selectorELNS0_4arch9wavefront6targetE1EEEvS12_
; %bb.0:
	.section	.rodata,"a",@progbits
	.p2align	6, 0x0
	.amdhsa_kernel _ZN7rocprim17ROCPRIM_400000_NS6detail17trampoline_kernelINS0_13select_configILj256ELj13ELNS0_17block_load_methodE3ELS4_3ELS4_3ELNS0_20block_scan_algorithmE0ELj4294967295EEENS1_25partition_config_selectorILNS1_17partition_subalgoE4EjNS0_10empty_typeEbEEZZNS1_14partition_implILS8_4ELb0ES6_15HIP_vector_typeIjLj2EENS0_17counting_iteratorIjlEEPS9_SG_NS0_5tupleIJPjSI_NS0_16reverse_iteratorISI_EEEEENSH_IJSG_SG_SG_EEES9_SI_JZNS1_25segmented_radix_sort_implINS0_14default_configELb0EPKfPfPKlPlN2at6native12_GLOBAL__N_18offset_tEEE10hipError_tPvRmT1_PNSt15iterator_traitsIS12_E10value_typeET2_T3_PNS13_IS18_E10value_typeET4_jRbjT5_S1E_jjP12ihipStream_tbEUljE_ZNSN_ISO_Lb0ESQ_SR_ST_SU_SY_EESZ_S10_S11_S12_S16_S17_S18_S1B_S1C_jS1D_jS1E_S1E_jjS1G_bEUljE0_EEESZ_S10_S11_S18_S1C_S1E_T6_T7_T9_mT8_S1G_bDpT10_ENKUlT_T0_E_clISt17integral_constantIbLb0EES1U_EEDaS1P_S1Q_EUlS1P_E_NS1_11comp_targetILNS1_3genE8ELNS1_11target_archE1030ELNS1_3gpuE2ELNS1_3repE0EEENS1_30default_config_static_selectorELNS0_4arch9wavefront6targetE1EEEvS12_
		.amdhsa_group_segment_fixed_size 0
		.amdhsa_private_segment_fixed_size 0
		.amdhsa_kernarg_size 176
		.amdhsa_user_sgpr_count 6
		.amdhsa_user_sgpr_private_segment_buffer 1
		.amdhsa_user_sgpr_dispatch_ptr 0
		.amdhsa_user_sgpr_queue_ptr 0
		.amdhsa_user_sgpr_kernarg_segment_ptr 1
		.amdhsa_user_sgpr_dispatch_id 0
		.amdhsa_user_sgpr_flat_scratch_init 0
		.amdhsa_user_sgpr_kernarg_preload_length 0
		.amdhsa_user_sgpr_kernarg_preload_offset 0
		.amdhsa_user_sgpr_private_segment_size 0
		.amdhsa_uses_dynamic_stack 0
		.amdhsa_system_sgpr_private_segment_wavefront_offset 0
		.amdhsa_system_sgpr_workgroup_id_x 1
		.amdhsa_system_sgpr_workgroup_id_y 0
		.amdhsa_system_sgpr_workgroup_id_z 0
		.amdhsa_system_sgpr_workgroup_info 0
		.amdhsa_system_vgpr_workitem_id 0
		.amdhsa_next_free_vgpr 1
		.amdhsa_next_free_sgpr 0
		.amdhsa_accum_offset 4
		.amdhsa_reserve_vcc 0
		.amdhsa_reserve_flat_scratch 0
		.amdhsa_float_round_mode_32 0
		.amdhsa_float_round_mode_16_64 0
		.amdhsa_float_denorm_mode_32 3
		.amdhsa_float_denorm_mode_16_64 3
		.amdhsa_dx10_clamp 1
		.amdhsa_ieee_mode 1
		.amdhsa_fp16_overflow 0
		.amdhsa_tg_split 0
		.amdhsa_exception_fp_ieee_invalid_op 0
		.amdhsa_exception_fp_denorm_src 0
		.amdhsa_exception_fp_ieee_div_zero 0
		.amdhsa_exception_fp_ieee_overflow 0
		.amdhsa_exception_fp_ieee_underflow 0
		.amdhsa_exception_fp_ieee_inexact 0
		.amdhsa_exception_int_div_zero 0
	.end_amdhsa_kernel
	.section	.text._ZN7rocprim17ROCPRIM_400000_NS6detail17trampoline_kernelINS0_13select_configILj256ELj13ELNS0_17block_load_methodE3ELS4_3ELS4_3ELNS0_20block_scan_algorithmE0ELj4294967295EEENS1_25partition_config_selectorILNS1_17partition_subalgoE4EjNS0_10empty_typeEbEEZZNS1_14partition_implILS8_4ELb0ES6_15HIP_vector_typeIjLj2EENS0_17counting_iteratorIjlEEPS9_SG_NS0_5tupleIJPjSI_NS0_16reverse_iteratorISI_EEEEENSH_IJSG_SG_SG_EEES9_SI_JZNS1_25segmented_radix_sort_implINS0_14default_configELb0EPKfPfPKlPlN2at6native12_GLOBAL__N_18offset_tEEE10hipError_tPvRmT1_PNSt15iterator_traitsIS12_E10value_typeET2_T3_PNS13_IS18_E10value_typeET4_jRbjT5_S1E_jjP12ihipStream_tbEUljE_ZNSN_ISO_Lb0ESQ_SR_ST_SU_SY_EESZ_S10_S11_S12_S16_S17_S18_S1B_S1C_jS1D_jS1E_S1E_jjS1G_bEUljE0_EEESZ_S10_S11_S18_S1C_S1E_T6_T7_T9_mT8_S1G_bDpT10_ENKUlT_T0_E_clISt17integral_constantIbLb0EES1U_EEDaS1P_S1Q_EUlS1P_E_NS1_11comp_targetILNS1_3genE8ELNS1_11target_archE1030ELNS1_3gpuE2ELNS1_3repE0EEENS1_30default_config_static_selectorELNS0_4arch9wavefront6targetE1EEEvS12_,"axG",@progbits,_ZN7rocprim17ROCPRIM_400000_NS6detail17trampoline_kernelINS0_13select_configILj256ELj13ELNS0_17block_load_methodE3ELS4_3ELS4_3ELNS0_20block_scan_algorithmE0ELj4294967295EEENS1_25partition_config_selectorILNS1_17partition_subalgoE4EjNS0_10empty_typeEbEEZZNS1_14partition_implILS8_4ELb0ES6_15HIP_vector_typeIjLj2EENS0_17counting_iteratorIjlEEPS9_SG_NS0_5tupleIJPjSI_NS0_16reverse_iteratorISI_EEEEENSH_IJSG_SG_SG_EEES9_SI_JZNS1_25segmented_radix_sort_implINS0_14default_configELb0EPKfPfPKlPlN2at6native12_GLOBAL__N_18offset_tEEE10hipError_tPvRmT1_PNSt15iterator_traitsIS12_E10value_typeET2_T3_PNS13_IS18_E10value_typeET4_jRbjT5_S1E_jjP12ihipStream_tbEUljE_ZNSN_ISO_Lb0ESQ_SR_ST_SU_SY_EESZ_S10_S11_S12_S16_S17_S18_S1B_S1C_jS1D_jS1E_S1E_jjS1G_bEUljE0_EEESZ_S10_S11_S18_S1C_S1E_T6_T7_T9_mT8_S1G_bDpT10_ENKUlT_T0_E_clISt17integral_constantIbLb0EES1U_EEDaS1P_S1Q_EUlS1P_E_NS1_11comp_targetILNS1_3genE8ELNS1_11target_archE1030ELNS1_3gpuE2ELNS1_3repE0EEENS1_30default_config_static_selectorELNS0_4arch9wavefront6targetE1EEEvS12_,comdat
.Lfunc_end1369:
	.size	_ZN7rocprim17ROCPRIM_400000_NS6detail17trampoline_kernelINS0_13select_configILj256ELj13ELNS0_17block_load_methodE3ELS4_3ELS4_3ELNS0_20block_scan_algorithmE0ELj4294967295EEENS1_25partition_config_selectorILNS1_17partition_subalgoE4EjNS0_10empty_typeEbEEZZNS1_14partition_implILS8_4ELb0ES6_15HIP_vector_typeIjLj2EENS0_17counting_iteratorIjlEEPS9_SG_NS0_5tupleIJPjSI_NS0_16reverse_iteratorISI_EEEEENSH_IJSG_SG_SG_EEES9_SI_JZNS1_25segmented_radix_sort_implINS0_14default_configELb0EPKfPfPKlPlN2at6native12_GLOBAL__N_18offset_tEEE10hipError_tPvRmT1_PNSt15iterator_traitsIS12_E10value_typeET2_T3_PNS13_IS18_E10value_typeET4_jRbjT5_S1E_jjP12ihipStream_tbEUljE_ZNSN_ISO_Lb0ESQ_SR_ST_SU_SY_EESZ_S10_S11_S12_S16_S17_S18_S1B_S1C_jS1D_jS1E_S1E_jjS1G_bEUljE0_EEESZ_S10_S11_S18_S1C_S1E_T6_T7_T9_mT8_S1G_bDpT10_ENKUlT_T0_E_clISt17integral_constantIbLb0EES1U_EEDaS1P_S1Q_EUlS1P_E_NS1_11comp_targetILNS1_3genE8ELNS1_11target_archE1030ELNS1_3gpuE2ELNS1_3repE0EEENS1_30default_config_static_selectorELNS0_4arch9wavefront6targetE1EEEvS12_, .Lfunc_end1369-_ZN7rocprim17ROCPRIM_400000_NS6detail17trampoline_kernelINS0_13select_configILj256ELj13ELNS0_17block_load_methodE3ELS4_3ELS4_3ELNS0_20block_scan_algorithmE0ELj4294967295EEENS1_25partition_config_selectorILNS1_17partition_subalgoE4EjNS0_10empty_typeEbEEZZNS1_14partition_implILS8_4ELb0ES6_15HIP_vector_typeIjLj2EENS0_17counting_iteratorIjlEEPS9_SG_NS0_5tupleIJPjSI_NS0_16reverse_iteratorISI_EEEEENSH_IJSG_SG_SG_EEES9_SI_JZNS1_25segmented_radix_sort_implINS0_14default_configELb0EPKfPfPKlPlN2at6native12_GLOBAL__N_18offset_tEEE10hipError_tPvRmT1_PNSt15iterator_traitsIS12_E10value_typeET2_T3_PNS13_IS18_E10value_typeET4_jRbjT5_S1E_jjP12ihipStream_tbEUljE_ZNSN_ISO_Lb0ESQ_SR_ST_SU_SY_EESZ_S10_S11_S12_S16_S17_S18_S1B_S1C_jS1D_jS1E_S1E_jjS1G_bEUljE0_EEESZ_S10_S11_S18_S1C_S1E_T6_T7_T9_mT8_S1G_bDpT10_ENKUlT_T0_E_clISt17integral_constantIbLb0EES1U_EEDaS1P_S1Q_EUlS1P_E_NS1_11comp_targetILNS1_3genE8ELNS1_11target_archE1030ELNS1_3gpuE2ELNS1_3repE0EEENS1_30default_config_static_selectorELNS0_4arch9wavefront6targetE1EEEvS12_
                                        ; -- End function
	.section	.AMDGPU.csdata,"",@progbits
; Kernel info:
; codeLenInByte = 0
; NumSgprs: 4
; NumVgprs: 0
; NumAgprs: 0
; TotalNumVgprs: 0
; ScratchSize: 0
; MemoryBound: 0
; FloatMode: 240
; IeeeMode: 1
; LDSByteSize: 0 bytes/workgroup (compile time only)
; SGPRBlocks: 0
; VGPRBlocks: 0
; NumSGPRsForWavesPerEU: 4
; NumVGPRsForWavesPerEU: 1
; AccumOffset: 4
; Occupancy: 8
; WaveLimiterHint : 0
; COMPUTE_PGM_RSRC2:SCRATCH_EN: 0
; COMPUTE_PGM_RSRC2:USER_SGPR: 6
; COMPUTE_PGM_RSRC2:TRAP_HANDLER: 0
; COMPUTE_PGM_RSRC2:TGID_X_EN: 1
; COMPUTE_PGM_RSRC2:TGID_Y_EN: 0
; COMPUTE_PGM_RSRC2:TGID_Z_EN: 0
; COMPUTE_PGM_RSRC2:TIDIG_COMP_CNT: 0
; COMPUTE_PGM_RSRC3_GFX90A:ACCUM_OFFSET: 0
; COMPUTE_PGM_RSRC3_GFX90A:TG_SPLIT: 0
	.section	.text._ZN7rocprim17ROCPRIM_400000_NS6detail17trampoline_kernelINS0_13select_configILj256ELj13ELNS0_17block_load_methodE3ELS4_3ELS4_3ELNS0_20block_scan_algorithmE0ELj4294967295EEENS1_25partition_config_selectorILNS1_17partition_subalgoE4EjNS0_10empty_typeEbEEZZNS1_14partition_implILS8_4ELb0ES6_15HIP_vector_typeIjLj2EENS0_17counting_iteratorIjlEEPS9_SG_NS0_5tupleIJPjSI_NS0_16reverse_iteratorISI_EEEEENSH_IJSG_SG_SG_EEES9_SI_JZNS1_25segmented_radix_sort_implINS0_14default_configELb0EPKfPfPKlPlN2at6native12_GLOBAL__N_18offset_tEEE10hipError_tPvRmT1_PNSt15iterator_traitsIS12_E10value_typeET2_T3_PNS13_IS18_E10value_typeET4_jRbjT5_S1E_jjP12ihipStream_tbEUljE_ZNSN_ISO_Lb0ESQ_SR_ST_SU_SY_EESZ_S10_S11_S12_S16_S17_S18_S1B_S1C_jS1D_jS1E_S1E_jjS1G_bEUljE0_EEESZ_S10_S11_S18_S1C_S1E_T6_T7_T9_mT8_S1G_bDpT10_ENKUlT_T0_E_clISt17integral_constantIbLb1EES1U_EEDaS1P_S1Q_EUlS1P_E_NS1_11comp_targetILNS1_3genE0ELNS1_11target_archE4294967295ELNS1_3gpuE0ELNS1_3repE0EEENS1_30default_config_static_selectorELNS0_4arch9wavefront6targetE1EEEvS12_,"axG",@progbits,_ZN7rocprim17ROCPRIM_400000_NS6detail17trampoline_kernelINS0_13select_configILj256ELj13ELNS0_17block_load_methodE3ELS4_3ELS4_3ELNS0_20block_scan_algorithmE0ELj4294967295EEENS1_25partition_config_selectorILNS1_17partition_subalgoE4EjNS0_10empty_typeEbEEZZNS1_14partition_implILS8_4ELb0ES6_15HIP_vector_typeIjLj2EENS0_17counting_iteratorIjlEEPS9_SG_NS0_5tupleIJPjSI_NS0_16reverse_iteratorISI_EEEEENSH_IJSG_SG_SG_EEES9_SI_JZNS1_25segmented_radix_sort_implINS0_14default_configELb0EPKfPfPKlPlN2at6native12_GLOBAL__N_18offset_tEEE10hipError_tPvRmT1_PNSt15iterator_traitsIS12_E10value_typeET2_T3_PNS13_IS18_E10value_typeET4_jRbjT5_S1E_jjP12ihipStream_tbEUljE_ZNSN_ISO_Lb0ESQ_SR_ST_SU_SY_EESZ_S10_S11_S12_S16_S17_S18_S1B_S1C_jS1D_jS1E_S1E_jjS1G_bEUljE0_EEESZ_S10_S11_S18_S1C_S1E_T6_T7_T9_mT8_S1G_bDpT10_ENKUlT_T0_E_clISt17integral_constantIbLb1EES1U_EEDaS1P_S1Q_EUlS1P_E_NS1_11comp_targetILNS1_3genE0ELNS1_11target_archE4294967295ELNS1_3gpuE0ELNS1_3repE0EEENS1_30default_config_static_selectorELNS0_4arch9wavefront6targetE1EEEvS12_,comdat
	.globl	_ZN7rocprim17ROCPRIM_400000_NS6detail17trampoline_kernelINS0_13select_configILj256ELj13ELNS0_17block_load_methodE3ELS4_3ELS4_3ELNS0_20block_scan_algorithmE0ELj4294967295EEENS1_25partition_config_selectorILNS1_17partition_subalgoE4EjNS0_10empty_typeEbEEZZNS1_14partition_implILS8_4ELb0ES6_15HIP_vector_typeIjLj2EENS0_17counting_iteratorIjlEEPS9_SG_NS0_5tupleIJPjSI_NS0_16reverse_iteratorISI_EEEEENSH_IJSG_SG_SG_EEES9_SI_JZNS1_25segmented_radix_sort_implINS0_14default_configELb0EPKfPfPKlPlN2at6native12_GLOBAL__N_18offset_tEEE10hipError_tPvRmT1_PNSt15iterator_traitsIS12_E10value_typeET2_T3_PNS13_IS18_E10value_typeET4_jRbjT5_S1E_jjP12ihipStream_tbEUljE_ZNSN_ISO_Lb0ESQ_SR_ST_SU_SY_EESZ_S10_S11_S12_S16_S17_S18_S1B_S1C_jS1D_jS1E_S1E_jjS1G_bEUljE0_EEESZ_S10_S11_S18_S1C_S1E_T6_T7_T9_mT8_S1G_bDpT10_ENKUlT_T0_E_clISt17integral_constantIbLb1EES1U_EEDaS1P_S1Q_EUlS1P_E_NS1_11comp_targetILNS1_3genE0ELNS1_11target_archE4294967295ELNS1_3gpuE0ELNS1_3repE0EEENS1_30default_config_static_selectorELNS0_4arch9wavefront6targetE1EEEvS12_ ; -- Begin function _ZN7rocprim17ROCPRIM_400000_NS6detail17trampoline_kernelINS0_13select_configILj256ELj13ELNS0_17block_load_methodE3ELS4_3ELS4_3ELNS0_20block_scan_algorithmE0ELj4294967295EEENS1_25partition_config_selectorILNS1_17partition_subalgoE4EjNS0_10empty_typeEbEEZZNS1_14partition_implILS8_4ELb0ES6_15HIP_vector_typeIjLj2EENS0_17counting_iteratorIjlEEPS9_SG_NS0_5tupleIJPjSI_NS0_16reverse_iteratorISI_EEEEENSH_IJSG_SG_SG_EEES9_SI_JZNS1_25segmented_radix_sort_implINS0_14default_configELb0EPKfPfPKlPlN2at6native12_GLOBAL__N_18offset_tEEE10hipError_tPvRmT1_PNSt15iterator_traitsIS12_E10value_typeET2_T3_PNS13_IS18_E10value_typeET4_jRbjT5_S1E_jjP12ihipStream_tbEUljE_ZNSN_ISO_Lb0ESQ_SR_ST_SU_SY_EESZ_S10_S11_S12_S16_S17_S18_S1B_S1C_jS1D_jS1E_S1E_jjS1G_bEUljE0_EEESZ_S10_S11_S18_S1C_S1E_T6_T7_T9_mT8_S1G_bDpT10_ENKUlT_T0_E_clISt17integral_constantIbLb1EES1U_EEDaS1P_S1Q_EUlS1P_E_NS1_11comp_targetILNS1_3genE0ELNS1_11target_archE4294967295ELNS1_3gpuE0ELNS1_3repE0EEENS1_30default_config_static_selectorELNS0_4arch9wavefront6targetE1EEEvS12_
	.p2align	8
	.type	_ZN7rocprim17ROCPRIM_400000_NS6detail17trampoline_kernelINS0_13select_configILj256ELj13ELNS0_17block_load_methodE3ELS4_3ELS4_3ELNS0_20block_scan_algorithmE0ELj4294967295EEENS1_25partition_config_selectorILNS1_17partition_subalgoE4EjNS0_10empty_typeEbEEZZNS1_14partition_implILS8_4ELb0ES6_15HIP_vector_typeIjLj2EENS0_17counting_iteratorIjlEEPS9_SG_NS0_5tupleIJPjSI_NS0_16reverse_iteratorISI_EEEEENSH_IJSG_SG_SG_EEES9_SI_JZNS1_25segmented_radix_sort_implINS0_14default_configELb0EPKfPfPKlPlN2at6native12_GLOBAL__N_18offset_tEEE10hipError_tPvRmT1_PNSt15iterator_traitsIS12_E10value_typeET2_T3_PNS13_IS18_E10value_typeET4_jRbjT5_S1E_jjP12ihipStream_tbEUljE_ZNSN_ISO_Lb0ESQ_SR_ST_SU_SY_EESZ_S10_S11_S12_S16_S17_S18_S1B_S1C_jS1D_jS1E_S1E_jjS1G_bEUljE0_EEESZ_S10_S11_S18_S1C_S1E_T6_T7_T9_mT8_S1G_bDpT10_ENKUlT_T0_E_clISt17integral_constantIbLb1EES1U_EEDaS1P_S1Q_EUlS1P_E_NS1_11comp_targetILNS1_3genE0ELNS1_11target_archE4294967295ELNS1_3gpuE0ELNS1_3repE0EEENS1_30default_config_static_selectorELNS0_4arch9wavefront6targetE1EEEvS12_,@function
_ZN7rocprim17ROCPRIM_400000_NS6detail17trampoline_kernelINS0_13select_configILj256ELj13ELNS0_17block_load_methodE3ELS4_3ELS4_3ELNS0_20block_scan_algorithmE0ELj4294967295EEENS1_25partition_config_selectorILNS1_17partition_subalgoE4EjNS0_10empty_typeEbEEZZNS1_14partition_implILS8_4ELb0ES6_15HIP_vector_typeIjLj2EENS0_17counting_iteratorIjlEEPS9_SG_NS0_5tupleIJPjSI_NS0_16reverse_iteratorISI_EEEEENSH_IJSG_SG_SG_EEES9_SI_JZNS1_25segmented_radix_sort_implINS0_14default_configELb0EPKfPfPKlPlN2at6native12_GLOBAL__N_18offset_tEEE10hipError_tPvRmT1_PNSt15iterator_traitsIS12_E10value_typeET2_T3_PNS13_IS18_E10value_typeET4_jRbjT5_S1E_jjP12ihipStream_tbEUljE_ZNSN_ISO_Lb0ESQ_SR_ST_SU_SY_EESZ_S10_S11_S12_S16_S17_S18_S1B_S1C_jS1D_jS1E_S1E_jjS1G_bEUljE0_EEESZ_S10_S11_S18_S1C_S1E_T6_T7_T9_mT8_S1G_bDpT10_ENKUlT_T0_E_clISt17integral_constantIbLb1EES1U_EEDaS1P_S1Q_EUlS1P_E_NS1_11comp_targetILNS1_3genE0ELNS1_11target_archE4294967295ELNS1_3gpuE0ELNS1_3repE0EEENS1_30default_config_static_selectorELNS0_4arch9wavefront6targetE1EEEvS12_: ; @_ZN7rocprim17ROCPRIM_400000_NS6detail17trampoline_kernelINS0_13select_configILj256ELj13ELNS0_17block_load_methodE3ELS4_3ELS4_3ELNS0_20block_scan_algorithmE0ELj4294967295EEENS1_25partition_config_selectorILNS1_17partition_subalgoE4EjNS0_10empty_typeEbEEZZNS1_14partition_implILS8_4ELb0ES6_15HIP_vector_typeIjLj2EENS0_17counting_iteratorIjlEEPS9_SG_NS0_5tupleIJPjSI_NS0_16reverse_iteratorISI_EEEEENSH_IJSG_SG_SG_EEES9_SI_JZNS1_25segmented_radix_sort_implINS0_14default_configELb0EPKfPfPKlPlN2at6native12_GLOBAL__N_18offset_tEEE10hipError_tPvRmT1_PNSt15iterator_traitsIS12_E10value_typeET2_T3_PNS13_IS18_E10value_typeET4_jRbjT5_S1E_jjP12ihipStream_tbEUljE_ZNSN_ISO_Lb0ESQ_SR_ST_SU_SY_EESZ_S10_S11_S12_S16_S17_S18_S1B_S1C_jS1D_jS1E_S1E_jjS1G_bEUljE0_EEESZ_S10_S11_S18_S1C_S1E_T6_T7_T9_mT8_S1G_bDpT10_ENKUlT_T0_E_clISt17integral_constantIbLb1EES1U_EEDaS1P_S1Q_EUlS1P_E_NS1_11comp_targetILNS1_3genE0ELNS1_11target_archE4294967295ELNS1_3gpuE0ELNS1_3repE0EEENS1_30default_config_static_selectorELNS0_4arch9wavefront6targetE1EEEvS12_
; %bb.0:
	.section	.rodata,"a",@progbits
	.p2align	6, 0x0
	.amdhsa_kernel _ZN7rocprim17ROCPRIM_400000_NS6detail17trampoline_kernelINS0_13select_configILj256ELj13ELNS0_17block_load_methodE3ELS4_3ELS4_3ELNS0_20block_scan_algorithmE0ELj4294967295EEENS1_25partition_config_selectorILNS1_17partition_subalgoE4EjNS0_10empty_typeEbEEZZNS1_14partition_implILS8_4ELb0ES6_15HIP_vector_typeIjLj2EENS0_17counting_iteratorIjlEEPS9_SG_NS0_5tupleIJPjSI_NS0_16reverse_iteratorISI_EEEEENSH_IJSG_SG_SG_EEES9_SI_JZNS1_25segmented_radix_sort_implINS0_14default_configELb0EPKfPfPKlPlN2at6native12_GLOBAL__N_18offset_tEEE10hipError_tPvRmT1_PNSt15iterator_traitsIS12_E10value_typeET2_T3_PNS13_IS18_E10value_typeET4_jRbjT5_S1E_jjP12ihipStream_tbEUljE_ZNSN_ISO_Lb0ESQ_SR_ST_SU_SY_EESZ_S10_S11_S12_S16_S17_S18_S1B_S1C_jS1D_jS1E_S1E_jjS1G_bEUljE0_EEESZ_S10_S11_S18_S1C_S1E_T6_T7_T9_mT8_S1G_bDpT10_ENKUlT_T0_E_clISt17integral_constantIbLb1EES1U_EEDaS1P_S1Q_EUlS1P_E_NS1_11comp_targetILNS1_3genE0ELNS1_11target_archE4294967295ELNS1_3gpuE0ELNS1_3repE0EEENS1_30default_config_static_selectorELNS0_4arch9wavefront6targetE1EEEvS12_
		.amdhsa_group_segment_fixed_size 0
		.amdhsa_private_segment_fixed_size 0
		.amdhsa_kernarg_size 184
		.amdhsa_user_sgpr_count 6
		.amdhsa_user_sgpr_private_segment_buffer 1
		.amdhsa_user_sgpr_dispatch_ptr 0
		.amdhsa_user_sgpr_queue_ptr 0
		.amdhsa_user_sgpr_kernarg_segment_ptr 1
		.amdhsa_user_sgpr_dispatch_id 0
		.amdhsa_user_sgpr_flat_scratch_init 0
		.amdhsa_user_sgpr_kernarg_preload_length 0
		.amdhsa_user_sgpr_kernarg_preload_offset 0
		.amdhsa_user_sgpr_private_segment_size 0
		.amdhsa_uses_dynamic_stack 0
		.amdhsa_system_sgpr_private_segment_wavefront_offset 0
		.amdhsa_system_sgpr_workgroup_id_x 1
		.amdhsa_system_sgpr_workgroup_id_y 0
		.amdhsa_system_sgpr_workgroup_id_z 0
		.amdhsa_system_sgpr_workgroup_info 0
		.amdhsa_system_vgpr_workitem_id 0
		.amdhsa_next_free_vgpr 1
		.amdhsa_next_free_sgpr 0
		.amdhsa_accum_offset 4
		.amdhsa_reserve_vcc 0
		.amdhsa_reserve_flat_scratch 0
		.amdhsa_float_round_mode_32 0
		.amdhsa_float_round_mode_16_64 0
		.amdhsa_float_denorm_mode_32 3
		.amdhsa_float_denorm_mode_16_64 3
		.amdhsa_dx10_clamp 1
		.amdhsa_ieee_mode 1
		.amdhsa_fp16_overflow 0
		.amdhsa_tg_split 0
		.amdhsa_exception_fp_ieee_invalid_op 0
		.amdhsa_exception_fp_denorm_src 0
		.amdhsa_exception_fp_ieee_div_zero 0
		.amdhsa_exception_fp_ieee_overflow 0
		.amdhsa_exception_fp_ieee_underflow 0
		.amdhsa_exception_fp_ieee_inexact 0
		.amdhsa_exception_int_div_zero 0
	.end_amdhsa_kernel
	.section	.text._ZN7rocprim17ROCPRIM_400000_NS6detail17trampoline_kernelINS0_13select_configILj256ELj13ELNS0_17block_load_methodE3ELS4_3ELS4_3ELNS0_20block_scan_algorithmE0ELj4294967295EEENS1_25partition_config_selectorILNS1_17partition_subalgoE4EjNS0_10empty_typeEbEEZZNS1_14partition_implILS8_4ELb0ES6_15HIP_vector_typeIjLj2EENS0_17counting_iteratorIjlEEPS9_SG_NS0_5tupleIJPjSI_NS0_16reverse_iteratorISI_EEEEENSH_IJSG_SG_SG_EEES9_SI_JZNS1_25segmented_radix_sort_implINS0_14default_configELb0EPKfPfPKlPlN2at6native12_GLOBAL__N_18offset_tEEE10hipError_tPvRmT1_PNSt15iterator_traitsIS12_E10value_typeET2_T3_PNS13_IS18_E10value_typeET4_jRbjT5_S1E_jjP12ihipStream_tbEUljE_ZNSN_ISO_Lb0ESQ_SR_ST_SU_SY_EESZ_S10_S11_S12_S16_S17_S18_S1B_S1C_jS1D_jS1E_S1E_jjS1G_bEUljE0_EEESZ_S10_S11_S18_S1C_S1E_T6_T7_T9_mT8_S1G_bDpT10_ENKUlT_T0_E_clISt17integral_constantIbLb1EES1U_EEDaS1P_S1Q_EUlS1P_E_NS1_11comp_targetILNS1_3genE0ELNS1_11target_archE4294967295ELNS1_3gpuE0ELNS1_3repE0EEENS1_30default_config_static_selectorELNS0_4arch9wavefront6targetE1EEEvS12_,"axG",@progbits,_ZN7rocprim17ROCPRIM_400000_NS6detail17trampoline_kernelINS0_13select_configILj256ELj13ELNS0_17block_load_methodE3ELS4_3ELS4_3ELNS0_20block_scan_algorithmE0ELj4294967295EEENS1_25partition_config_selectorILNS1_17partition_subalgoE4EjNS0_10empty_typeEbEEZZNS1_14partition_implILS8_4ELb0ES6_15HIP_vector_typeIjLj2EENS0_17counting_iteratorIjlEEPS9_SG_NS0_5tupleIJPjSI_NS0_16reverse_iteratorISI_EEEEENSH_IJSG_SG_SG_EEES9_SI_JZNS1_25segmented_radix_sort_implINS0_14default_configELb0EPKfPfPKlPlN2at6native12_GLOBAL__N_18offset_tEEE10hipError_tPvRmT1_PNSt15iterator_traitsIS12_E10value_typeET2_T3_PNS13_IS18_E10value_typeET4_jRbjT5_S1E_jjP12ihipStream_tbEUljE_ZNSN_ISO_Lb0ESQ_SR_ST_SU_SY_EESZ_S10_S11_S12_S16_S17_S18_S1B_S1C_jS1D_jS1E_S1E_jjS1G_bEUljE0_EEESZ_S10_S11_S18_S1C_S1E_T6_T7_T9_mT8_S1G_bDpT10_ENKUlT_T0_E_clISt17integral_constantIbLb1EES1U_EEDaS1P_S1Q_EUlS1P_E_NS1_11comp_targetILNS1_3genE0ELNS1_11target_archE4294967295ELNS1_3gpuE0ELNS1_3repE0EEENS1_30default_config_static_selectorELNS0_4arch9wavefront6targetE1EEEvS12_,comdat
.Lfunc_end1370:
	.size	_ZN7rocprim17ROCPRIM_400000_NS6detail17trampoline_kernelINS0_13select_configILj256ELj13ELNS0_17block_load_methodE3ELS4_3ELS4_3ELNS0_20block_scan_algorithmE0ELj4294967295EEENS1_25partition_config_selectorILNS1_17partition_subalgoE4EjNS0_10empty_typeEbEEZZNS1_14partition_implILS8_4ELb0ES6_15HIP_vector_typeIjLj2EENS0_17counting_iteratorIjlEEPS9_SG_NS0_5tupleIJPjSI_NS0_16reverse_iteratorISI_EEEEENSH_IJSG_SG_SG_EEES9_SI_JZNS1_25segmented_radix_sort_implINS0_14default_configELb0EPKfPfPKlPlN2at6native12_GLOBAL__N_18offset_tEEE10hipError_tPvRmT1_PNSt15iterator_traitsIS12_E10value_typeET2_T3_PNS13_IS18_E10value_typeET4_jRbjT5_S1E_jjP12ihipStream_tbEUljE_ZNSN_ISO_Lb0ESQ_SR_ST_SU_SY_EESZ_S10_S11_S12_S16_S17_S18_S1B_S1C_jS1D_jS1E_S1E_jjS1G_bEUljE0_EEESZ_S10_S11_S18_S1C_S1E_T6_T7_T9_mT8_S1G_bDpT10_ENKUlT_T0_E_clISt17integral_constantIbLb1EES1U_EEDaS1P_S1Q_EUlS1P_E_NS1_11comp_targetILNS1_3genE0ELNS1_11target_archE4294967295ELNS1_3gpuE0ELNS1_3repE0EEENS1_30default_config_static_selectorELNS0_4arch9wavefront6targetE1EEEvS12_, .Lfunc_end1370-_ZN7rocprim17ROCPRIM_400000_NS6detail17trampoline_kernelINS0_13select_configILj256ELj13ELNS0_17block_load_methodE3ELS4_3ELS4_3ELNS0_20block_scan_algorithmE0ELj4294967295EEENS1_25partition_config_selectorILNS1_17partition_subalgoE4EjNS0_10empty_typeEbEEZZNS1_14partition_implILS8_4ELb0ES6_15HIP_vector_typeIjLj2EENS0_17counting_iteratorIjlEEPS9_SG_NS0_5tupleIJPjSI_NS0_16reverse_iteratorISI_EEEEENSH_IJSG_SG_SG_EEES9_SI_JZNS1_25segmented_radix_sort_implINS0_14default_configELb0EPKfPfPKlPlN2at6native12_GLOBAL__N_18offset_tEEE10hipError_tPvRmT1_PNSt15iterator_traitsIS12_E10value_typeET2_T3_PNS13_IS18_E10value_typeET4_jRbjT5_S1E_jjP12ihipStream_tbEUljE_ZNSN_ISO_Lb0ESQ_SR_ST_SU_SY_EESZ_S10_S11_S12_S16_S17_S18_S1B_S1C_jS1D_jS1E_S1E_jjS1G_bEUljE0_EEESZ_S10_S11_S18_S1C_S1E_T6_T7_T9_mT8_S1G_bDpT10_ENKUlT_T0_E_clISt17integral_constantIbLb1EES1U_EEDaS1P_S1Q_EUlS1P_E_NS1_11comp_targetILNS1_3genE0ELNS1_11target_archE4294967295ELNS1_3gpuE0ELNS1_3repE0EEENS1_30default_config_static_selectorELNS0_4arch9wavefront6targetE1EEEvS12_
                                        ; -- End function
	.section	.AMDGPU.csdata,"",@progbits
; Kernel info:
; codeLenInByte = 0
; NumSgprs: 4
; NumVgprs: 0
; NumAgprs: 0
; TotalNumVgprs: 0
; ScratchSize: 0
; MemoryBound: 0
; FloatMode: 240
; IeeeMode: 1
; LDSByteSize: 0 bytes/workgroup (compile time only)
; SGPRBlocks: 0
; VGPRBlocks: 0
; NumSGPRsForWavesPerEU: 4
; NumVGPRsForWavesPerEU: 1
; AccumOffset: 4
; Occupancy: 8
; WaveLimiterHint : 0
; COMPUTE_PGM_RSRC2:SCRATCH_EN: 0
; COMPUTE_PGM_RSRC2:USER_SGPR: 6
; COMPUTE_PGM_RSRC2:TRAP_HANDLER: 0
; COMPUTE_PGM_RSRC2:TGID_X_EN: 1
; COMPUTE_PGM_RSRC2:TGID_Y_EN: 0
; COMPUTE_PGM_RSRC2:TGID_Z_EN: 0
; COMPUTE_PGM_RSRC2:TIDIG_COMP_CNT: 0
; COMPUTE_PGM_RSRC3_GFX90A:ACCUM_OFFSET: 0
; COMPUTE_PGM_RSRC3_GFX90A:TG_SPLIT: 0
	.section	.text._ZN7rocprim17ROCPRIM_400000_NS6detail17trampoline_kernelINS0_13select_configILj256ELj13ELNS0_17block_load_methodE3ELS4_3ELS4_3ELNS0_20block_scan_algorithmE0ELj4294967295EEENS1_25partition_config_selectorILNS1_17partition_subalgoE4EjNS0_10empty_typeEbEEZZNS1_14partition_implILS8_4ELb0ES6_15HIP_vector_typeIjLj2EENS0_17counting_iteratorIjlEEPS9_SG_NS0_5tupleIJPjSI_NS0_16reverse_iteratorISI_EEEEENSH_IJSG_SG_SG_EEES9_SI_JZNS1_25segmented_radix_sort_implINS0_14default_configELb0EPKfPfPKlPlN2at6native12_GLOBAL__N_18offset_tEEE10hipError_tPvRmT1_PNSt15iterator_traitsIS12_E10value_typeET2_T3_PNS13_IS18_E10value_typeET4_jRbjT5_S1E_jjP12ihipStream_tbEUljE_ZNSN_ISO_Lb0ESQ_SR_ST_SU_SY_EESZ_S10_S11_S12_S16_S17_S18_S1B_S1C_jS1D_jS1E_S1E_jjS1G_bEUljE0_EEESZ_S10_S11_S18_S1C_S1E_T6_T7_T9_mT8_S1G_bDpT10_ENKUlT_T0_E_clISt17integral_constantIbLb1EES1U_EEDaS1P_S1Q_EUlS1P_E_NS1_11comp_targetILNS1_3genE5ELNS1_11target_archE942ELNS1_3gpuE9ELNS1_3repE0EEENS1_30default_config_static_selectorELNS0_4arch9wavefront6targetE1EEEvS12_,"axG",@progbits,_ZN7rocprim17ROCPRIM_400000_NS6detail17trampoline_kernelINS0_13select_configILj256ELj13ELNS0_17block_load_methodE3ELS4_3ELS4_3ELNS0_20block_scan_algorithmE0ELj4294967295EEENS1_25partition_config_selectorILNS1_17partition_subalgoE4EjNS0_10empty_typeEbEEZZNS1_14partition_implILS8_4ELb0ES6_15HIP_vector_typeIjLj2EENS0_17counting_iteratorIjlEEPS9_SG_NS0_5tupleIJPjSI_NS0_16reverse_iteratorISI_EEEEENSH_IJSG_SG_SG_EEES9_SI_JZNS1_25segmented_radix_sort_implINS0_14default_configELb0EPKfPfPKlPlN2at6native12_GLOBAL__N_18offset_tEEE10hipError_tPvRmT1_PNSt15iterator_traitsIS12_E10value_typeET2_T3_PNS13_IS18_E10value_typeET4_jRbjT5_S1E_jjP12ihipStream_tbEUljE_ZNSN_ISO_Lb0ESQ_SR_ST_SU_SY_EESZ_S10_S11_S12_S16_S17_S18_S1B_S1C_jS1D_jS1E_S1E_jjS1G_bEUljE0_EEESZ_S10_S11_S18_S1C_S1E_T6_T7_T9_mT8_S1G_bDpT10_ENKUlT_T0_E_clISt17integral_constantIbLb1EES1U_EEDaS1P_S1Q_EUlS1P_E_NS1_11comp_targetILNS1_3genE5ELNS1_11target_archE942ELNS1_3gpuE9ELNS1_3repE0EEENS1_30default_config_static_selectorELNS0_4arch9wavefront6targetE1EEEvS12_,comdat
	.globl	_ZN7rocprim17ROCPRIM_400000_NS6detail17trampoline_kernelINS0_13select_configILj256ELj13ELNS0_17block_load_methodE3ELS4_3ELS4_3ELNS0_20block_scan_algorithmE0ELj4294967295EEENS1_25partition_config_selectorILNS1_17partition_subalgoE4EjNS0_10empty_typeEbEEZZNS1_14partition_implILS8_4ELb0ES6_15HIP_vector_typeIjLj2EENS0_17counting_iteratorIjlEEPS9_SG_NS0_5tupleIJPjSI_NS0_16reverse_iteratorISI_EEEEENSH_IJSG_SG_SG_EEES9_SI_JZNS1_25segmented_radix_sort_implINS0_14default_configELb0EPKfPfPKlPlN2at6native12_GLOBAL__N_18offset_tEEE10hipError_tPvRmT1_PNSt15iterator_traitsIS12_E10value_typeET2_T3_PNS13_IS18_E10value_typeET4_jRbjT5_S1E_jjP12ihipStream_tbEUljE_ZNSN_ISO_Lb0ESQ_SR_ST_SU_SY_EESZ_S10_S11_S12_S16_S17_S18_S1B_S1C_jS1D_jS1E_S1E_jjS1G_bEUljE0_EEESZ_S10_S11_S18_S1C_S1E_T6_T7_T9_mT8_S1G_bDpT10_ENKUlT_T0_E_clISt17integral_constantIbLb1EES1U_EEDaS1P_S1Q_EUlS1P_E_NS1_11comp_targetILNS1_3genE5ELNS1_11target_archE942ELNS1_3gpuE9ELNS1_3repE0EEENS1_30default_config_static_selectorELNS0_4arch9wavefront6targetE1EEEvS12_ ; -- Begin function _ZN7rocprim17ROCPRIM_400000_NS6detail17trampoline_kernelINS0_13select_configILj256ELj13ELNS0_17block_load_methodE3ELS4_3ELS4_3ELNS0_20block_scan_algorithmE0ELj4294967295EEENS1_25partition_config_selectorILNS1_17partition_subalgoE4EjNS0_10empty_typeEbEEZZNS1_14partition_implILS8_4ELb0ES6_15HIP_vector_typeIjLj2EENS0_17counting_iteratorIjlEEPS9_SG_NS0_5tupleIJPjSI_NS0_16reverse_iteratorISI_EEEEENSH_IJSG_SG_SG_EEES9_SI_JZNS1_25segmented_radix_sort_implINS0_14default_configELb0EPKfPfPKlPlN2at6native12_GLOBAL__N_18offset_tEEE10hipError_tPvRmT1_PNSt15iterator_traitsIS12_E10value_typeET2_T3_PNS13_IS18_E10value_typeET4_jRbjT5_S1E_jjP12ihipStream_tbEUljE_ZNSN_ISO_Lb0ESQ_SR_ST_SU_SY_EESZ_S10_S11_S12_S16_S17_S18_S1B_S1C_jS1D_jS1E_S1E_jjS1G_bEUljE0_EEESZ_S10_S11_S18_S1C_S1E_T6_T7_T9_mT8_S1G_bDpT10_ENKUlT_T0_E_clISt17integral_constantIbLb1EES1U_EEDaS1P_S1Q_EUlS1P_E_NS1_11comp_targetILNS1_3genE5ELNS1_11target_archE942ELNS1_3gpuE9ELNS1_3repE0EEENS1_30default_config_static_selectorELNS0_4arch9wavefront6targetE1EEEvS12_
	.p2align	8
	.type	_ZN7rocprim17ROCPRIM_400000_NS6detail17trampoline_kernelINS0_13select_configILj256ELj13ELNS0_17block_load_methodE3ELS4_3ELS4_3ELNS0_20block_scan_algorithmE0ELj4294967295EEENS1_25partition_config_selectorILNS1_17partition_subalgoE4EjNS0_10empty_typeEbEEZZNS1_14partition_implILS8_4ELb0ES6_15HIP_vector_typeIjLj2EENS0_17counting_iteratorIjlEEPS9_SG_NS0_5tupleIJPjSI_NS0_16reverse_iteratorISI_EEEEENSH_IJSG_SG_SG_EEES9_SI_JZNS1_25segmented_radix_sort_implINS0_14default_configELb0EPKfPfPKlPlN2at6native12_GLOBAL__N_18offset_tEEE10hipError_tPvRmT1_PNSt15iterator_traitsIS12_E10value_typeET2_T3_PNS13_IS18_E10value_typeET4_jRbjT5_S1E_jjP12ihipStream_tbEUljE_ZNSN_ISO_Lb0ESQ_SR_ST_SU_SY_EESZ_S10_S11_S12_S16_S17_S18_S1B_S1C_jS1D_jS1E_S1E_jjS1G_bEUljE0_EEESZ_S10_S11_S18_S1C_S1E_T6_T7_T9_mT8_S1G_bDpT10_ENKUlT_T0_E_clISt17integral_constantIbLb1EES1U_EEDaS1P_S1Q_EUlS1P_E_NS1_11comp_targetILNS1_3genE5ELNS1_11target_archE942ELNS1_3gpuE9ELNS1_3repE0EEENS1_30default_config_static_selectorELNS0_4arch9wavefront6targetE1EEEvS12_,@function
_ZN7rocprim17ROCPRIM_400000_NS6detail17trampoline_kernelINS0_13select_configILj256ELj13ELNS0_17block_load_methodE3ELS4_3ELS4_3ELNS0_20block_scan_algorithmE0ELj4294967295EEENS1_25partition_config_selectorILNS1_17partition_subalgoE4EjNS0_10empty_typeEbEEZZNS1_14partition_implILS8_4ELb0ES6_15HIP_vector_typeIjLj2EENS0_17counting_iteratorIjlEEPS9_SG_NS0_5tupleIJPjSI_NS0_16reverse_iteratorISI_EEEEENSH_IJSG_SG_SG_EEES9_SI_JZNS1_25segmented_radix_sort_implINS0_14default_configELb0EPKfPfPKlPlN2at6native12_GLOBAL__N_18offset_tEEE10hipError_tPvRmT1_PNSt15iterator_traitsIS12_E10value_typeET2_T3_PNS13_IS18_E10value_typeET4_jRbjT5_S1E_jjP12ihipStream_tbEUljE_ZNSN_ISO_Lb0ESQ_SR_ST_SU_SY_EESZ_S10_S11_S12_S16_S17_S18_S1B_S1C_jS1D_jS1E_S1E_jjS1G_bEUljE0_EEESZ_S10_S11_S18_S1C_S1E_T6_T7_T9_mT8_S1G_bDpT10_ENKUlT_T0_E_clISt17integral_constantIbLb1EES1U_EEDaS1P_S1Q_EUlS1P_E_NS1_11comp_targetILNS1_3genE5ELNS1_11target_archE942ELNS1_3gpuE9ELNS1_3repE0EEENS1_30default_config_static_selectorELNS0_4arch9wavefront6targetE1EEEvS12_: ; @_ZN7rocprim17ROCPRIM_400000_NS6detail17trampoline_kernelINS0_13select_configILj256ELj13ELNS0_17block_load_methodE3ELS4_3ELS4_3ELNS0_20block_scan_algorithmE0ELj4294967295EEENS1_25partition_config_selectorILNS1_17partition_subalgoE4EjNS0_10empty_typeEbEEZZNS1_14partition_implILS8_4ELb0ES6_15HIP_vector_typeIjLj2EENS0_17counting_iteratorIjlEEPS9_SG_NS0_5tupleIJPjSI_NS0_16reverse_iteratorISI_EEEEENSH_IJSG_SG_SG_EEES9_SI_JZNS1_25segmented_radix_sort_implINS0_14default_configELb0EPKfPfPKlPlN2at6native12_GLOBAL__N_18offset_tEEE10hipError_tPvRmT1_PNSt15iterator_traitsIS12_E10value_typeET2_T3_PNS13_IS18_E10value_typeET4_jRbjT5_S1E_jjP12ihipStream_tbEUljE_ZNSN_ISO_Lb0ESQ_SR_ST_SU_SY_EESZ_S10_S11_S12_S16_S17_S18_S1B_S1C_jS1D_jS1E_S1E_jjS1G_bEUljE0_EEESZ_S10_S11_S18_S1C_S1E_T6_T7_T9_mT8_S1G_bDpT10_ENKUlT_T0_E_clISt17integral_constantIbLb1EES1U_EEDaS1P_S1Q_EUlS1P_E_NS1_11comp_targetILNS1_3genE5ELNS1_11target_archE942ELNS1_3gpuE9ELNS1_3repE0EEENS1_30default_config_static_selectorELNS0_4arch9wavefront6targetE1EEEvS12_
; %bb.0:
	.section	.rodata,"a",@progbits
	.p2align	6, 0x0
	.amdhsa_kernel _ZN7rocprim17ROCPRIM_400000_NS6detail17trampoline_kernelINS0_13select_configILj256ELj13ELNS0_17block_load_methodE3ELS4_3ELS4_3ELNS0_20block_scan_algorithmE0ELj4294967295EEENS1_25partition_config_selectorILNS1_17partition_subalgoE4EjNS0_10empty_typeEbEEZZNS1_14partition_implILS8_4ELb0ES6_15HIP_vector_typeIjLj2EENS0_17counting_iteratorIjlEEPS9_SG_NS0_5tupleIJPjSI_NS0_16reverse_iteratorISI_EEEEENSH_IJSG_SG_SG_EEES9_SI_JZNS1_25segmented_radix_sort_implINS0_14default_configELb0EPKfPfPKlPlN2at6native12_GLOBAL__N_18offset_tEEE10hipError_tPvRmT1_PNSt15iterator_traitsIS12_E10value_typeET2_T3_PNS13_IS18_E10value_typeET4_jRbjT5_S1E_jjP12ihipStream_tbEUljE_ZNSN_ISO_Lb0ESQ_SR_ST_SU_SY_EESZ_S10_S11_S12_S16_S17_S18_S1B_S1C_jS1D_jS1E_S1E_jjS1G_bEUljE0_EEESZ_S10_S11_S18_S1C_S1E_T6_T7_T9_mT8_S1G_bDpT10_ENKUlT_T0_E_clISt17integral_constantIbLb1EES1U_EEDaS1P_S1Q_EUlS1P_E_NS1_11comp_targetILNS1_3genE5ELNS1_11target_archE942ELNS1_3gpuE9ELNS1_3repE0EEENS1_30default_config_static_selectorELNS0_4arch9wavefront6targetE1EEEvS12_
		.amdhsa_group_segment_fixed_size 0
		.amdhsa_private_segment_fixed_size 0
		.amdhsa_kernarg_size 184
		.amdhsa_user_sgpr_count 6
		.amdhsa_user_sgpr_private_segment_buffer 1
		.amdhsa_user_sgpr_dispatch_ptr 0
		.amdhsa_user_sgpr_queue_ptr 0
		.amdhsa_user_sgpr_kernarg_segment_ptr 1
		.amdhsa_user_sgpr_dispatch_id 0
		.amdhsa_user_sgpr_flat_scratch_init 0
		.amdhsa_user_sgpr_kernarg_preload_length 0
		.amdhsa_user_sgpr_kernarg_preload_offset 0
		.amdhsa_user_sgpr_private_segment_size 0
		.amdhsa_uses_dynamic_stack 0
		.amdhsa_system_sgpr_private_segment_wavefront_offset 0
		.amdhsa_system_sgpr_workgroup_id_x 1
		.amdhsa_system_sgpr_workgroup_id_y 0
		.amdhsa_system_sgpr_workgroup_id_z 0
		.amdhsa_system_sgpr_workgroup_info 0
		.amdhsa_system_vgpr_workitem_id 0
		.amdhsa_next_free_vgpr 1
		.amdhsa_next_free_sgpr 0
		.amdhsa_accum_offset 4
		.amdhsa_reserve_vcc 0
		.amdhsa_reserve_flat_scratch 0
		.amdhsa_float_round_mode_32 0
		.amdhsa_float_round_mode_16_64 0
		.amdhsa_float_denorm_mode_32 3
		.amdhsa_float_denorm_mode_16_64 3
		.amdhsa_dx10_clamp 1
		.amdhsa_ieee_mode 1
		.amdhsa_fp16_overflow 0
		.amdhsa_tg_split 0
		.amdhsa_exception_fp_ieee_invalid_op 0
		.amdhsa_exception_fp_denorm_src 0
		.amdhsa_exception_fp_ieee_div_zero 0
		.amdhsa_exception_fp_ieee_overflow 0
		.amdhsa_exception_fp_ieee_underflow 0
		.amdhsa_exception_fp_ieee_inexact 0
		.amdhsa_exception_int_div_zero 0
	.end_amdhsa_kernel
	.section	.text._ZN7rocprim17ROCPRIM_400000_NS6detail17trampoline_kernelINS0_13select_configILj256ELj13ELNS0_17block_load_methodE3ELS4_3ELS4_3ELNS0_20block_scan_algorithmE0ELj4294967295EEENS1_25partition_config_selectorILNS1_17partition_subalgoE4EjNS0_10empty_typeEbEEZZNS1_14partition_implILS8_4ELb0ES6_15HIP_vector_typeIjLj2EENS0_17counting_iteratorIjlEEPS9_SG_NS0_5tupleIJPjSI_NS0_16reverse_iteratorISI_EEEEENSH_IJSG_SG_SG_EEES9_SI_JZNS1_25segmented_radix_sort_implINS0_14default_configELb0EPKfPfPKlPlN2at6native12_GLOBAL__N_18offset_tEEE10hipError_tPvRmT1_PNSt15iterator_traitsIS12_E10value_typeET2_T3_PNS13_IS18_E10value_typeET4_jRbjT5_S1E_jjP12ihipStream_tbEUljE_ZNSN_ISO_Lb0ESQ_SR_ST_SU_SY_EESZ_S10_S11_S12_S16_S17_S18_S1B_S1C_jS1D_jS1E_S1E_jjS1G_bEUljE0_EEESZ_S10_S11_S18_S1C_S1E_T6_T7_T9_mT8_S1G_bDpT10_ENKUlT_T0_E_clISt17integral_constantIbLb1EES1U_EEDaS1P_S1Q_EUlS1P_E_NS1_11comp_targetILNS1_3genE5ELNS1_11target_archE942ELNS1_3gpuE9ELNS1_3repE0EEENS1_30default_config_static_selectorELNS0_4arch9wavefront6targetE1EEEvS12_,"axG",@progbits,_ZN7rocprim17ROCPRIM_400000_NS6detail17trampoline_kernelINS0_13select_configILj256ELj13ELNS0_17block_load_methodE3ELS4_3ELS4_3ELNS0_20block_scan_algorithmE0ELj4294967295EEENS1_25partition_config_selectorILNS1_17partition_subalgoE4EjNS0_10empty_typeEbEEZZNS1_14partition_implILS8_4ELb0ES6_15HIP_vector_typeIjLj2EENS0_17counting_iteratorIjlEEPS9_SG_NS0_5tupleIJPjSI_NS0_16reverse_iteratorISI_EEEEENSH_IJSG_SG_SG_EEES9_SI_JZNS1_25segmented_radix_sort_implINS0_14default_configELb0EPKfPfPKlPlN2at6native12_GLOBAL__N_18offset_tEEE10hipError_tPvRmT1_PNSt15iterator_traitsIS12_E10value_typeET2_T3_PNS13_IS18_E10value_typeET4_jRbjT5_S1E_jjP12ihipStream_tbEUljE_ZNSN_ISO_Lb0ESQ_SR_ST_SU_SY_EESZ_S10_S11_S12_S16_S17_S18_S1B_S1C_jS1D_jS1E_S1E_jjS1G_bEUljE0_EEESZ_S10_S11_S18_S1C_S1E_T6_T7_T9_mT8_S1G_bDpT10_ENKUlT_T0_E_clISt17integral_constantIbLb1EES1U_EEDaS1P_S1Q_EUlS1P_E_NS1_11comp_targetILNS1_3genE5ELNS1_11target_archE942ELNS1_3gpuE9ELNS1_3repE0EEENS1_30default_config_static_selectorELNS0_4arch9wavefront6targetE1EEEvS12_,comdat
.Lfunc_end1371:
	.size	_ZN7rocprim17ROCPRIM_400000_NS6detail17trampoline_kernelINS0_13select_configILj256ELj13ELNS0_17block_load_methodE3ELS4_3ELS4_3ELNS0_20block_scan_algorithmE0ELj4294967295EEENS1_25partition_config_selectorILNS1_17partition_subalgoE4EjNS0_10empty_typeEbEEZZNS1_14partition_implILS8_4ELb0ES6_15HIP_vector_typeIjLj2EENS0_17counting_iteratorIjlEEPS9_SG_NS0_5tupleIJPjSI_NS0_16reverse_iteratorISI_EEEEENSH_IJSG_SG_SG_EEES9_SI_JZNS1_25segmented_radix_sort_implINS0_14default_configELb0EPKfPfPKlPlN2at6native12_GLOBAL__N_18offset_tEEE10hipError_tPvRmT1_PNSt15iterator_traitsIS12_E10value_typeET2_T3_PNS13_IS18_E10value_typeET4_jRbjT5_S1E_jjP12ihipStream_tbEUljE_ZNSN_ISO_Lb0ESQ_SR_ST_SU_SY_EESZ_S10_S11_S12_S16_S17_S18_S1B_S1C_jS1D_jS1E_S1E_jjS1G_bEUljE0_EEESZ_S10_S11_S18_S1C_S1E_T6_T7_T9_mT8_S1G_bDpT10_ENKUlT_T0_E_clISt17integral_constantIbLb1EES1U_EEDaS1P_S1Q_EUlS1P_E_NS1_11comp_targetILNS1_3genE5ELNS1_11target_archE942ELNS1_3gpuE9ELNS1_3repE0EEENS1_30default_config_static_selectorELNS0_4arch9wavefront6targetE1EEEvS12_, .Lfunc_end1371-_ZN7rocprim17ROCPRIM_400000_NS6detail17trampoline_kernelINS0_13select_configILj256ELj13ELNS0_17block_load_methodE3ELS4_3ELS4_3ELNS0_20block_scan_algorithmE0ELj4294967295EEENS1_25partition_config_selectorILNS1_17partition_subalgoE4EjNS0_10empty_typeEbEEZZNS1_14partition_implILS8_4ELb0ES6_15HIP_vector_typeIjLj2EENS0_17counting_iteratorIjlEEPS9_SG_NS0_5tupleIJPjSI_NS0_16reverse_iteratorISI_EEEEENSH_IJSG_SG_SG_EEES9_SI_JZNS1_25segmented_radix_sort_implINS0_14default_configELb0EPKfPfPKlPlN2at6native12_GLOBAL__N_18offset_tEEE10hipError_tPvRmT1_PNSt15iterator_traitsIS12_E10value_typeET2_T3_PNS13_IS18_E10value_typeET4_jRbjT5_S1E_jjP12ihipStream_tbEUljE_ZNSN_ISO_Lb0ESQ_SR_ST_SU_SY_EESZ_S10_S11_S12_S16_S17_S18_S1B_S1C_jS1D_jS1E_S1E_jjS1G_bEUljE0_EEESZ_S10_S11_S18_S1C_S1E_T6_T7_T9_mT8_S1G_bDpT10_ENKUlT_T0_E_clISt17integral_constantIbLb1EES1U_EEDaS1P_S1Q_EUlS1P_E_NS1_11comp_targetILNS1_3genE5ELNS1_11target_archE942ELNS1_3gpuE9ELNS1_3repE0EEENS1_30default_config_static_selectorELNS0_4arch9wavefront6targetE1EEEvS12_
                                        ; -- End function
	.section	.AMDGPU.csdata,"",@progbits
; Kernel info:
; codeLenInByte = 0
; NumSgprs: 4
; NumVgprs: 0
; NumAgprs: 0
; TotalNumVgprs: 0
; ScratchSize: 0
; MemoryBound: 0
; FloatMode: 240
; IeeeMode: 1
; LDSByteSize: 0 bytes/workgroup (compile time only)
; SGPRBlocks: 0
; VGPRBlocks: 0
; NumSGPRsForWavesPerEU: 4
; NumVGPRsForWavesPerEU: 1
; AccumOffset: 4
; Occupancy: 8
; WaveLimiterHint : 0
; COMPUTE_PGM_RSRC2:SCRATCH_EN: 0
; COMPUTE_PGM_RSRC2:USER_SGPR: 6
; COMPUTE_PGM_RSRC2:TRAP_HANDLER: 0
; COMPUTE_PGM_RSRC2:TGID_X_EN: 1
; COMPUTE_PGM_RSRC2:TGID_Y_EN: 0
; COMPUTE_PGM_RSRC2:TGID_Z_EN: 0
; COMPUTE_PGM_RSRC2:TIDIG_COMP_CNT: 0
; COMPUTE_PGM_RSRC3_GFX90A:ACCUM_OFFSET: 0
; COMPUTE_PGM_RSRC3_GFX90A:TG_SPLIT: 0
	.section	.text._ZN7rocprim17ROCPRIM_400000_NS6detail17trampoline_kernelINS0_13select_configILj256ELj13ELNS0_17block_load_methodE3ELS4_3ELS4_3ELNS0_20block_scan_algorithmE0ELj4294967295EEENS1_25partition_config_selectorILNS1_17partition_subalgoE4EjNS0_10empty_typeEbEEZZNS1_14partition_implILS8_4ELb0ES6_15HIP_vector_typeIjLj2EENS0_17counting_iteratorIjlEEPS9_SG_NS0_5tupleIJPjSI_NS0_16reverse_iteratorISI_EEEEENSH_IJSG_SG_SG_EEES9_SI_JZNS1_25segmented_radix_sort_implINS0_14default_configELb0EPKfPfPKlPlN2at6native12_GLOBAL__N_18offset_tEEE10hipError_tPvRmT1_PNSt15iterator_traitsIS12_E10value_typeET2_T3_PNS13_IS18_E10value_typeET4_jRbjT5_S1E_jjP12ihipStream_tbEUljE_ZNSN_ISO_Lb0ESQ_SR_ST_SU_SY_EESZ_S10_S11_S12_S16_S17_S18_S1B_S1C_jS1D_jS1E_S1E_jjS1G_bEUljE0_EEESZ_S10_S11_S18_S1C_S1E_T6_T7_T9_mT8_S1G_bDpT10_ENKUlT_T0_E_clISt17integral_constantIbLb1EES1U_EEDaS1P_S1Q_EUlS1P_E_NS1_11comp_targetILNS1_3genE4ELNS1_11target_archE910ELNS1_3gpuE8ELNS1_3repE0EEENS1_30default_config_static_selectorELNS0_4arch9wavefront6targetE1EEEvS12_,"axG",@progbits,_ZN7rocprim17ROCPRIM_400000_NS6detail17trampoline_kernelINS0_13select_configILj256ELj13ELNS0_17block_load_methodE3ELS4_3ELS4_3ELNS0_20block_scan_algorithmE0ELj4294967295EEENS1_25partition_config_selectorILNS1_17partition_subalgoE4EjNS0_10empty_typeEbEEZZNS1_14partition_implILS8_4ELb0ES6_15HIP_vector_typeIjLj2EENS0_17counting_iteratorIjlEEPS9_SG_NS0_5tupleIJPjSI_NS0_16reverse_iteratorISI_EEEEENSH_IJSG_SG_SG_EEES9_SI_JZNS1_25segmented_radix_sort_implINS0_14default_configELb0EPKfPfPKlPlN2at6native12_GLOBAL__N_18offset_tEEE10hipError_tPvRmT1_PNSt15iterator_traitsIS12_E10value_typeET2_T3_PNS13_IS18_E10value_typeET4_jRbjT5_S1E_jjP12ihipStream_tbEUljE_ZNSN_ISO_Lb0ESQ_SR_ST_SU_SY_EESZ_S10_S11_S12_S16_S17_S18_S1B_S1C_jS1D_jS1E_S1E_jjS1G_bEUljE0_EEESZ_S10_S11_S18_S1C_S1E_T6_T7_T9_mT8_S1G_bDpT10_ENKUlT_T0_E_clISt17integral_constantIbLb1EES1U_EEDaS1P_S1Q_EUlS1P_E_NS1_11comp_targetILNS1_3genE4ELNS1_11target_archE910ELNS1_3gpuE8ELNS1_3repE0EEENS1_30default_config_static_selectorELNS0_4arch9wavefront6targetE1EEEvS12_,comdat
	.globl	_ZN7rocprim17ROCPRIM_400000_NS6detail17trampoline_kernelINS0_13select_configILj256ELj13ELNS0_17block_load_methodE3ELS4_3ELS4_3ELNS0_20block_scan_algorithmE0ELj4294967295EEENS1_25partition_config_selectorILNS1_17partition_subalgoE4EjNS0_10empty_typeEbEEZZNS1_14partition_implILS8_4ELb0ES6_15HIP_vector_typeIjLj2EENS0_17counting_iteratorIjlEEPS9_SG_NS0_5tupleIJPjSI_NS0_16reverse_iteratorISI_EEEEENSH_IJSG_SG_SG_EEES9_SI_JZNS1_25segmented_radix_sort_implINS0_14default_configELb0EPKfPfPKlPlN2at6native12_GLOBAL__N_18offset_tEEE10hipError_tPvRmT1_PNSt15iterator_traitsIS12_E10value_typeET2_T3_PNS13_IS18_E10value_typeET4_jRbjT5_S1E_jjP12ihipStream_tbEUljE_ZNSN_ISO_Lb0ESQ_SR_ST_SU_SY_EESZ_S10_S11_S12_S16_S17_S18_S1B_S1C_jS1D_jS1E_S1E_jjS1G_bEUljE0_EEESZ_S10_S11_S18_S1C_S1E_T6_T7_T9_mT8_S1G_bDpT10_ENKUlT_T0_E_clISt17integral_constantIbLb1EES1U_EEDaS1P_S1Q_EUlS1P_E_NS1_11comp_targetILNS1_3genE4ELNS1_11target_archE910ELNS1_3gpuE8ELNS1_3repE0EEENS1_30default_config_static_selectorELNS0_4arch9wavefront6targetE1EEEvS12_ ; -- Begin function _ZN7rocprim17ROCPRIM_400000_NS6detail17trampoline_kernelINS0_13select_configILj256ELj13ELNS0_17block_load_methodE3ELS4_3ELS4_3ELNS0_20block_scan_algorithmE0ELj4294967295EEENS1_25partition_config_selectorILNS1_17partition_subalgoE4EjNS0_10empty_typeEbEEZZNS1_14partition_implILS8_4ELb0ES6_15HIP_vector_typeIjLj2EENS0_17counting_iteratorIjlEEPS9_SG_NS0_5tupleIJPjSI_NS0_16reverse_iteratorISI_EEEEENSH_IJSG_SG_SG_EEES9_SI_JZNS1_25segmented_radix_sort_implINS0_14default_configELb0EPKfPfPKlPlN2at6native12_GLOBAL__N_18offset_tEEE10hipError_tPvRmT1_PNSt15iterator_traitsIS12_E10value_typeET2_T3_PNS13_IS18_E10value_typeET4_jRbjT5_S1E_jjP12ihipStream_tbEUljE_ZNSN_ISO_Lb0ESQ_SR_ST_SU_SY_EESZ_S10_S11_S12_S16_S17_S18_S1B_S1C_jS1D_jS1E_S1E_jjS1G_bEUljE0_EEESZ_S10_S11_S18_S1C_S1E_T6_T7_T9_mT8_S1G_bDpT10_ENKUlT_T0_E_clISt17integral_constantIbLb1EES1U_EEDaS1P_S1Q_EUlS1P_E_NS1_11comp_targetILNS1_3genE4ELNS1_11target_archE910ELNS1_3gpuE8ELNS1_3repE0EEENS1_30default_config_static_selectorELNS0_4arch9wavefront6targetE1EEEvS12_
	.p2align	8
	.type	_ZN7rocprim17ROCPRIM_400000_NS6detail17trampoline_kernelINS0_13select_configILj256ELj13ELNS0_17block_load_methodE3ELS4_3ELS4_3ELNS0_20block_scan_algorithmE0ELj4294967295EEENS1_25partition_config_selectorILNS1_17partition_subalgoE4EjNS0_10empty_typeEbEEZZNS1_14partition_implILS8_4ELb0ES6_15HIP_vector_typeIjLj2EENS0_17counting_iteratorIjlEEPS9_SG_NS0_5tupleIJPjSI_NS0_16reverse_iteratorISI_EEEEENSH_IJSG_SG_SG_EEES9_SI_JZNS1_25segmented_radix_sort_implINS0_14default_configELb0EPKfPfPKlPlN2at6native12_GLOBAL__N_18offset_tEEE10hipError_tPvRmT1_PNSt15iterator_traitsIS12_E10value_typeET2_T3_PNS13_IS18_E10value_typeET4_jRbjT5_S1E_jjP12ihipStream_tbEUljE_ZNSN_ISO_Lb0ESQ_SR_ST_SU_SY_EESZ_S10_S11_S12_S16_S17_S18_S1B_S1C_jS1D_jS1E_S1E_jjS1G_bEUljE0_EEESZ_S10_S11_S18_S1C_S1E_T6_T7_T9_mT8_S1G_bDpT10_ENKUlT_T0_E_clISt17integral_constantIbLb1EES1U_EEDaS1P_S1Q_EUlS1P_E_NS1_11comp_targetILNS1_3genE4ELNS1_11target_archE910ELNS1_3gpuE8ELNS1_3repE0EEENS1_30default_config_static_selectorELNS0_4arch9wavefront6targetE1EEEvS12_,@function
_ZN7rocprim17ROCPRIM_400000_NS6detail17trampoline_kernelINS0_13select_configILj256ELj13ELNS0_17block_load_methodE3ELS4_3ELS4_3ELNS0_20block_scan_algorithmE0ELj4294967295EEENS1_25partition_config_selectorILNS1_17partition_subalgoE4EjNS0_10empty_typeEbEEZZNS1_14partition_implILS8_4ELb0ES6_15HIP_vector_typeIjLj2EENS0_17counting_iteratorIjlEEPS9_SG_NS0_5tupleIJPjSI_NS0_16reverse_iteratorISI_EEEEENSH_IJSG_SG_SG_EEES9_SI_JZNS1_25segmented_radix_sort_implINS0_14default_configELb0EPKfPfPKlPlN2at6native12_GLOBAL__N_18offset_tEEE10hipError_tPvRmT1_PNSt15iterator_traitsIS12_E10value_typeET2_T3_PNS13_IS18_E10value_typeET4_jRbjT5_S1E_jjP12ihipStream_tbEUljE_ZNSN_ISO_Lb0ESQ_SR_ST_SU_SY_EESZ_S10_S11_S12_S16_S17_S18_S1B_S1C_jS1D_jS1E_S1E_jjS1G_bEUljE0_EEESZ_S10_S11_S18_S1C_S1E_T6_T7_T9_mT8_S1G_bDpT10_ENKUlT_T0_E_clISt17integral_constantIbLb1EES1U_EEDaS1P_S1Q_EUlS1P_E_NS1_11comp_targetILNS1_3genE4ELNS1_11target_archE910ELNS1_3gpuE8ELNS1_3repE0EEENS1_30default_config_static_selectorELNS0_4arch9wavefront6targetE1EEEvS12_: ; @_ZN7rocprim17ROCPRIM_400000_NS6detail17trampoline_kernelINS0_13select_configILj256ELj13ELNS0_17block_load_methodE3ELS4_3ELS4_3ELNS0_20block_scan_algorithmE0ELj4294967295EEENS1_25partition_config_selectorILNS1_17partition_subalgoE4EjNS0_10empty_typeEbEEZZNS1_14partition_implILS8_4ELb0ES6_15HIP_vector_typeIjLj2EENS0_17counting_iteratorIjlEEPS9_SG_NS0_5tupleIJPjSI_NS0_16reverse_iteratorISI_EEEEENSH_IJSG_SG_SG_EEES9_SI_JZNS1_25segmented_radix_sort_implINS0_14default_configELb0EPKfPfPKlPlN2at6native12_GLOBAL__N_18offset_tEEE10hipError_tPvRmT1_PNSt15iterator_traitsIS12_E10value_typeET2_T3_PNS13_IS18_E10value_typeET4_jRbjT5_S1E_jjP12ihipStream_tbEUljE_ZNSN_ISO_Lb0ESQ_SR_ST_SU_SY_EESZ_S10_S11_S12_S16_S17_S18_S1B_S1C_jS1D_jS1E_S1E_jjS1G_bEUljE0_EEESZ_S10_S11_S18_S1C_S1E_T6_T7_T9_mT8_S1G_bDpT10_ENKUlT_T0_E_clISt17integral_constantIbLb1EES1U_EEDaS1P_S1Q_EUlS1P_E_NS1_11comp_targetILNS1_3genE4ELNS1_11target_archE910ELNS1_3gpuE8ELNS1_3repE0EEENS1_30default_config_static_selectorELNS0_4arch9wavefront6targetE1EEEvS12_
; %bb.0:
	s_load_dwordx2 s[48:49], s[4:5], 0x10
	s_load_dwordx4 s[44:47], s[4:5], 0x28
	s_load_dwordx2 s[34:35], s[4:5], 0x38
	s_load_dwordx4 s[28:31], s[4:5], 0x58
	s_load_dwordx2 s[2:3], s[4:5], 0x68
	s_load_dwordx2 s[50:51], s[4:5], 0x78
	;; [unrolled: 1-line block ×3, first 2 shown]
	s_load_dwordx8 s[36:43], s[4:5], 0x90
	v_cmp_eq_u32_e64 s[0:1], 0, v0
	s_and_saveexec_b64 s[6:7], s[0:1]
	s_cbranch_execz .LBB1372_4
; %bb.1:
	s_mov_b64 s[10:11], exec
	v_mbcnt_lo_u32_b32 v1, s10, 0
	v_mbcnt_hi_u32_b32 v1, s11, v1
	v_cmp_eq_u32_e32 vcc, 0, v1
                                        ; implicit-def: $vgpr2
	s_and_saveexec_b64 s[8:9], vcc
	s_cbranch_execz .LBB1372_3
; %bb.2:
	s_load_dwordx2 s[12:13], s[4:5], 0x88
	s_bcnt1_i32_b64 s10, s[10:11]
	v_mov_b32_e32 v2, 0
	v_mov_b32_e32 v3, s10
	s_waitcnt lgkmcnt(0)
	global_atomic_add v2, v2, v3, s[12:13] glc
.LBB1372_3:
	s_or_b64 exec, exec, s[8:9]
	s_waitcnt vmcnt(0)
	v_readfirstlane_b32 s8, v2
	v_add_u32_e32 v1, s8, v1
	v_mov_b32_e32 v2, 0
	ds_write_b32 v2, v1
.LBB1372_4:
	s_or_b64 exec, exec, s[6:7]
	v_mov_b32_e32 v1, 0
	s_load_dword s7, s[4:5], 0x8
	s_load_dword s6, s[4:5], 0x80
	s_waitcnt lgkmcnt(0)
	s_barrier
	ds_read_b32 v8, v1
	s_waitcnt lgkmcnt(0)
	s_barrier
	global_load_dwordx4 v[2:5], v1, s[30:31]
	v_mov_b32_e32 v7, s3
	s_movk_i32 s3, 0xd00
	s_add_i32 s8, s7, s48
	v_mul_lo_u32 v34, v8, s3
	s_add_i32 s7, s6, -1
	s_mul_i32 s3, s6, 0xd00
	s_add_u32 s4, s48, s3
	v_readfirstlane_b32 s33, v8
	s_addc_u32 s5, s49, 0
	s_cmp_eq_u32 s33, s7
	v_mov_b32_e32 v6, s2
	s_cselect_b64 s[30:31], -1, 0
	s_cmp_lg_u32 s33, s7
	v_cmp_lt_u64_e32 vcc, s[4:5], v[6:7]
	s_cselect_b64 s[4:5], -1, 0
	s_or_b64 s[4:5], vcc, s[4:5]
	v_add_u32_e32 v1, s8, v34
	s_mov_b64 s[6:7], -1
	s_and_b64 vcc, exec, s[4:5]
	v_add_u32_e32 v1, v1, v0
	s_cbranch_vccz .LBB1372_6
; %bb.5:
	v_add_u32_e32 v6, 0x100, v1
	v_lshlrev_b32_e32 v18, 2, v0
	v_add_u32_e32 v7, 0x200, v1
	v_add_u32_e32 v8, 0x300, v1
	;; [unrolled: 1-line block ×11, first 2 shown]
	ds_write2st64_b32 v18, v1, v6 offset1:4
	ds_write2st64_b32 v18, v7, v8 offset0:8 offset1:12
	ds_write2st64_b32 v18, v9, v10 offset0:16 offset1:20
	ds_write2st64_b32 v18, v11, v12 offset0:24 offset1:28
	ds_write2st64_b32 v18, v13, v14 offset0:32 offset1:36
	ds_write2st64_b32 v18, v15, v16 offset0:40 offset1:44
	ds_write_b32 v18, v17 offset:12288
	s_waitcnt lgkmcnt(0)
	s_barrier
	s_mov_b64 s[6:7], 0
.LBB1372_6:
	s_andn2_b64 vcc, exec, s[6:7]
	s_add_i32 s3, s3, s48
	s_cbranch_vccnz .LBB1372_8
; %bb.7:
	v_add_u32_e32 v6, 0x100, v1
	v_lshlrev_b32_e32 v18, 2, v0
	v_add_u32_e32 v7, 0x200, v1
	v_add_u32_e32 v8, 0x300, v1
	;; [unrolled: 1-line block ×11, first 2 shown]
	ds_write2st64_b32 v18, v1, v6 offset1:4
	ds_write2st64_b32 v18, v7, v8 offset0:8 offset1:12
	ds_write2st64_b32 v18, v9, v10 offset0:16 offset1:20
	;; [unrolled: 1-line block ×5, first 2 shown]
	ds_write_b32 v18, v17 offset:12288
	s_waitcnt lgkmcnt(0)
	s_barrier
.LBB1372_8:
	v_mul_u32_u24_e32 v36, 13, v0
	v_lshlrev_b32_e32 v1, 2, v36
	ds_read2_b32 v[22:23], v1 offset1:1
	ds_read2_b32 v[20:21], v1 offset0:2 offset1:3
	ds_read2_b32 v[18:19], v1 offset0:4 offset1:5
	;; [unrolled: 1-line block ×5, first 2 shown]
	ds_read_b32 v35, v1 offset:48
	v_cndmask_b32_e64 v1, 0, 1, s[4:5]
	s_sub_i32 s86, s2, s3
	v_cmp_ne_u32_e64 s[2:3], 1, v1
	s_andn2_b64 vcc, exec, s[4:5]
	s_waitcnt lgkmcnt(0)
	s_barrier
	s_cbranch_vccnz .LBB1372_36
; %bb.9:
	v_add_u32_e32 v1, s37, v22
	v_add_u32_e32 v6, s39, v22
	v_mul_lo_u32 v1, v1, s36
	v_mul_lo_u32 v6, v6, s38
	v_sub_u32_e32 v1, v1, v6
	v_cmp_lt_u32_e32 vcc, s40, v1
	v_cmp_ge_u32_e64 s[4:5], s40, v1
	s_mov_b64 s[60:61], 0
	s_mov_b64 s[58:59], 0
	s_and_saveexec_b64 s[6:7], s[4:5]
; %bb.10:
	v_add_u32_e32 v1, s42, v22
	v_add_u32_e32 v6, s56, v22
	v_mul_lo_u32 v1, v1, s41
	v_mul_lo_u32 v6, v6, s43
	v_sub_u32_e32 v1, v1, v6
	v_cmp_lt_u32_e64 s[4:5], s57, v1
	s_and_b64 s[58:59], s[4:5], exec
; %bb.11:
	s_or_b64 exec, exec, s[6:7]
	v_add_u32_e32 v1, s37, v23
	v_add_u32_e32 v6, s39, v23
	v_mul_lo_u32 v1, v1, s36
	v_mul_lo_u32 v6, v6, s38
	v_sub_u32_e32 v1, v1, v6
	v_cmp_lt_u32_e64 s[4:5], s40, v1
	v_cmp_ge_u32_e64 s[6:7], s40, v1
	s_and_saveexec_b64 s[8:9], s[6:7]
; %bb.12:
	v_add_u32_e32 v1, s42, v23
	v_add_u32_e32 v6, s56, v23
	v_mul_lo_u32 v1, v1, s41
	v_mul_lo_u32 v6, v6, s43
	v_sub_u32_e32 v1, v1, v6
	v_cmp_lt_u32_e64 s[6:7], s57, v1
	s_and_b64 s[60:61], s[6:7], exec
; %bb.13:
	s_or_b64 exec, exec, s[8:9]
	v_add_u32_e32 v1, s37, v20
	v_add_u32_e32 v6, s39, v20
	v_mul_lo_u32 v1, v1, s36
	v_mul_lo_u32 v6, v6, s38
	v_sub_u32_e32 v1, v1, v6
	v_cmp_lt_u32_e64 s[6:7], s40, v1
	v_cmp_ge_u32_e64 s[8:9], s40, v1
	s_mov_b64 s[64:65], 0
	s_mov_b64 s[62:63], 0
	s_and_saveexec_b64 s[10:11], s[8:9]
; %bb.14:
	v_add_u32_e32 v1, s42, v20
	v_add_u32_e32 v6, s56, v20
	v_mul_lo_u32 v1, v1, s41
	v_mul_lo_u32 v6, v6, s43
	v_sub_u32_e32 v1, v1, v6
	v_cmp_lt_u32_e64 s[8:9], s57, v1
	s_and_b64 s[62:63], s[8:9], exec
; %bb.15:
	s_or_b64 exec, exec, s[10:11]
	v_add_u32_e32 v1, s37, v21
	v_add_u32_e32 v6, s39, v21
	v_mul_lo_u32 v1, v1, s36
	v_mul_lo_u32 v6, v6, s38
	v_sub_u32_e32 v1, v1, v6
	v_cmp_lt_u32_e64 s[8:9], s40, v1
	v_cmp_ge_u32_e64 s[10:11], s40, v1
	s_and_saveexec_b64 s[12:13], s[10:11]
; %bb.16:
	v_add_u32_e32 v1, s42, v21
	v_add_u32_e32 v6, s56, v21
	v_mul_lo_u32 v1, v1, s41
	v_mul_lo_u32 v6, v6, s43
	v_sub_u32_e32 v1, v1, v6
	v_cmp_lt_u32_e64 s[10:11], s57, v1
	s_and_b64 s[64:65], s[10:11], exec
; %bb.17:
	s_or_b64 exec, exec, s[12:13]
	v_add_u32_e32 v1, s37, v18
	v_add_u32_e32 v6, s39, v18
	v_mul_lo_u32 v1, v1, s36
	v_mul_lo_u32 v6, v6, s38
	v_sub_u32_e32 v1, v1, v6
	v_cmp_lt_u32_e64 s[10:11], s40, v1
	;; [unrolled: 38-line block ×5, first 2 shown]
	v_cmp_ge_u32_e64 s[24:25], s40, v1
	s_mov_b64 s[80:81], 0
	s_mov_b64 s[82:83], 0
	s_and_saveexec_b64 s[26:27], s[24:25]
; %bb.30:
	v_add_u32_e32 v1, s42, v12
	v_add_u32_e32 v6, s56, v12
	v_mul_lo_u32 v1, v1, s41
	v_mul_lo_u32 v6, v6, s43
	v_sub_u32_e32 v1, v1, v6
	v_cmp_lt_u32_e64 s[24:25], s57, v1
	s_and_b64 s[82:83], s[24:25], exec
; %bb.31:
	s_or_b64 exec, exec, s[26:27]
	v_add_u32_e32 v1, s37, v13
	v_add_u32_e32 v6, s39, v13
	v_mul_lo_u32 v1, v1, s36
	v_mul_lo_u32 v6, v6, s38
	v_sub_u32_e32 v1, v1, v6
	v_cmp_lt_u32_e64 s[24:25], s40, v1
	v_cmp_ge_u32_e64 s[26:27], s40, v1
	s_and_saveexec_b64 s[52:53], s[26:27]
; %bb.32:
	v_add_u32_e32 v1, s42, v13
	v_add_u32_e32 v6, s56, v13
	v_mul_lo_u32 v1, v1, s41
	v_mul_lo_u32 v6, v6, s43
	v_sub_u32_e32 v1, v1, v6
	v_cmp_lt_u32_e64 s[26:27], s57, v1
	s_and_b64 s[80:81], s[26:27], exec
; %bb.33:
	s_or_b64 exec, exec, s[52:53]
	v_add_u32_e32 v1, s37, v35
	v_add_u32_e32 v6, s39, v35
	v_mul_lo_u32 v1, v1, s36
	v_mul_lo_u32 v6, v6, s38
	v_sub_u32_e32 v1, v1, v6
	v_cmp_ge_u32_e64 s[26:27], s40, v1
	s_mov_b64 s[52:53], -1
	s_mov_b64 s[74:75], 0
	s_mov_b64 s[54:55], 0
	s_and_saveexec_b64 s[84:85], s[26:27]
; %bb.34:
	v_add_u32_e32 v1, s42, v35
	v_add_u32_e32 v6, s56, v35
	v_mul_lo_u32 v1, v1, s41
	v_mul_lo_u32 v6, v6, s43
	v_sub_u32_e32 v1, v1, v6
	v_cmp_lt_u32_e64 s[26:27], s57, v1
	s_and_b64 s[54:55], s[26:27], exec
	s_xor_b64 s[52:53], exec, -1
; %bb.35:
	s_or_b64 exec, exec, s[84:85]
	v_cndmask_b32_e64 v57, 0, 1, s[82:83]
	v_cndmask_b32_e64 v60, 0, 1, s[24:25]
	;; [unrolled: 1-line block ×22, first 2 shown]
	v_cndmask_b32_e64 v37, 0, 1, vcc
	v_cndmask_b32_e64 v59, 0, 1, s[80:81]
	s_add_i32 s16, s86, 0xd00
	s_and_b64 vcc, exec, s[74:75]
	s_cbranch_vccnz .LBB1372_37
	s_branch .LBB1372_90
.LBB1372_36:
                                        ; implicit-def: $sgpr52_sgpr53
                                        ; implicit-def: $sgpr54_sgpr55
                                        ; implicit-def: $vgpr59
                                        ; implicit-def: $vgpr57
                                        ; implicit-def: $vgpr55
                                        ; implicit-def: $vgpr53
                                        ; implicit-def: $vgpr51
                                        ; implicit-def: $vgpr49
                                        ; implicit-def: $vgpr47
                                        ; implicit-def: $vgpr45
                                        ; implicit-def: $vgpr43
                                        ; implicit-def: $vgpr37
                                        ; implicit-def: $vgpr39
                                        ; implicit-def: $vgpr41
                                        ; implicit-def: $vgpr44
                                        ; implicit-def: $vgpr46
                                        ; implicit-def: $vgpr48
                                        ; implicit-def: $vgpr50
                                        ; implicit-def: $vgpr52
                                        ; implicit-def: $vgpr54
                                        ; implicit-def: $vgpr56
                                        ; implicit-def: $vgpr58
                                        ; implicit-def: $vgpr60
                                        ; implicit-def: $vgpr38
                                        ; implicit-def: $vgpr40
                                        ; implicit-def: $vgpr42
	s_add_i32 s16, s86, 0xd00
	s_cbranch_execz .LBB1372_90
.LBB1372_37:
	v_cmp_gt_u32_e32 vcc, s16, v36
	v_mov_b32_e32 v38, 0
	v_mov_b32_e32 v37, 0
	s_and_saveexec_b64 s[6:7], vcc
	s_cbranch_execz .LBB1372_41
; %bb.38:
	v_add_u32_e32 v1, s37, v22
	v_add_u32_e32 v6, s39, v22
	v_mul_lo_u32 v1, v1, s36
	v_mul_lo_u32 v6, v6, s38
	v_sub_u32_e32 v1, v1, v6
	v_cmp_lt_u32_e32 vcc, s40, v1
	v_cmp_ge_u32_e64 s[4:5], s40, v1
	s_mov_b64 s[10:11], 0
	s_and_saveexec_b64 s[8:9], s[4:5]
; %bb.39:
	v_add_u32_e32 v1, s42, v22
	v_add_u32_e32 v6, s56, v22
	v_mul_lo_u32 v1, v1, s41
	v_mul_lo_u32 v6, v6, s43
	v_sub_u32_e32 v1, v1, v6
	v_cmp_lt_u32_e64 s[4:5], s57, v1
	s_and_b64 s[10:11], s[4:5], exec
; %bb.40:
	s_or_b64 exec, exec, s[8:9]
	v_cndmask_b32_e64 v37, 0, 1, vcc
	v_cndmask_b32_e64 v38, 0, 1, s[10:11]
.LBB1372_41:
	s_or_b64 exec, exec, s[6:7]
	v_add_u32_e32 v1, 1, v36
	v_cmp_gt_u32_e32 vcc, s16, v1
	v_mov_b32_e32 v39, 0
	v_mov_b32_e32 v40, 0
	s_and_saveexec_b64 s[6:7], vcc
	s_cbranch_execz .LBB1372_45
; %bb.42:
	v_add_u32_e32 v1, s37, v23
	v_add_u32_e32 v6, s39, v23
	v_mul_lo_u32 v1, v1, s36
	v_mul_lo_u32 v6, v6, s38
	v_sub_u32_e32 v1, v1, v6
	v_cmp_lt_u32_e32 vcc, s40, v1
	v_cmp_ge_u32_e64 s[4:5], s40, v1
	s_mov_b64 s[10:11], 0
	s_and_saveexec_b64 s[8:9], s[4:5]
; %bb.43:
	v_add_u32_e32 v1, s42, v23
	v_add_u32_e32 v6, s56, v23
	v_mul_lo_u32 v1, v1, s41
	v_mul_lo_u32 v6, v6, s43
	v_sub_u32_e32 v1, v1, v6
	v_cmp_lt_u32_e64 s[4:5], s57, v1
	s_and_b64 s[10:11], s[4:5], exec
; %bb.44:
	s_or_b64 exec, exec, s[8:9]
	v_cndmask_b32_e64 v39, 0, 1, vcc
	v_cndmask_b32_e64 v40, 0, 1, s[10:11]
.LBB1372_45:
	s_or_b64 exec, exec, s[6:7]
	v_add_u32_e32 v1, 2, v36
	;; [unrolled: 30-line block ×12, first 2 shown]
	v_cmp_gt_u32_e32 vcc, s16, v1
	s_mov_b64 s[52:53], 0
	s_mov_b64 s[54:55], 0
	s_and_saveexec_b64 s[4:5], vcc
	s_cbranch_execz .LBB1372_89
; %bb.86:
	v_add_u32_e32 v1, s37, v35
	v_add_u32_e32 v6, s39, v35
	v_mul_lo_u32 v1, v1, s36
	v_mul_lo_u32 v6, v6, s38
	v_sub_u32_e32 v1, v1, v6
	v_cmp_ge_u32_e32 vcc, s40, v1
	s_mov_b64 s[8:9], -1
	s_mov_b64 s[10:11], 0
	s_and_saveexec_b64 s[6:7], vcc
; %bb.87:
	v_add_u32_e32 v1, s42, v35
	v_add_u32_e32 v6, s56, v35
	v_mul_lo_u32 v1, v1, s41
	v_mul_lo_u32 v6, v6, s43
	v_sub_u32_e32 v1, v1, v6
	v_cmp_lt_u32_e32 vcc, s57, v1
	s_and_b64 s[10:11], vcc, exec
	s_xor_b64 s[8:9], exec, -1
; %bb.88:
	s_or_b64 exec, exec, s[6:7]
	s_and_b64 s[54:55], s[10:11], exec
	s_and_b64 s[52:53], s[8:9], exec
.LBB1372_89:
	s_or_b64 exec, exec, s[4:5]
.LBB1372_90:
	v_and_b32_e32 v68, 0xff, v38
	v_and_b32_e32 v79, 0xff, v40
	;; [unrolled: 1-line block ×5, first 2 shown]
	v_add3_u32 v6, v79, v70, v68
	v_and_b32_e32 v81, 0xff, v47
	v_and_b32_e32 v74, 0xff, v49
	v_add3_u32 v6, v6, v80, v72
	v_and_b32_e32 v67, 0xff, v37
	v_and_b32_e32 v61, 0xff, v39
	;; [unrolled: 1-line block ×5, first 2 shown]
	v_add3_u32 v6, v6, v81, v74
	v_and_b32_e32 v62, 0xff, v44
	v_and_b32_e32 v71, 0xff, v46
	;; [unrolled: 1-line block ×4, first 2 shown]
	v_add3_u32 v7, v61, v69, v67
	v_add3_u32 v6, v6, v82, v76
	v_and_b32_e32 v63, 0xff, v48
	v_and_b32_e32 v73, 0xff, v50
	;; [unrolled: 1-line block ×3, first 2 shown]
	v_cndmask_b32_e64 v1, 0, 1, s[54:55]
	v_add3_u32 v7, v7, v62, v71
	v_add3_u32 v6, v6, v83, v78
	v_and_b32_e32 v64, 0xff, v52
	v_and_b32_e32 v75, 0xff, v54
	v_add3_u32 v7, v7, v63, v73
	v_add3_u32 v91, v6, v84, v1
	v_mbcnt_lo_u32_b32 v1, -1, 0
	v_and_b32_e32 v65, 0xff, v56
	v_and_b32_e32 v77, 0xff, v58
	v_add3_u32 v7, v7, v64, v75
	v_mbcnt_hi_u32_b32 v85, -1, v1
	v_and_b32_e32 v66, 0xff, v60
	v_add3_u32 v7, v7, v65, v77
	v_cndmask_b32_e64 v8, 0, 1, s[52:53]
	v_and_b32_e32 v89, 15, v85
	s_cmp_lg_u32 s33, 0
	v_add3_u32 v90, v7, v66, v8
	v_cmp_eq_u32_e64 s[6:7], 0, v89
	v_cmp_lt_u32_e64 s[4:5], 1, v89
	v_cmp_lt_u32_e64 s[10:11], 3, v89
	;; [unrolled: 1-line block ×3, first 2 shown]
	v_and_b32_e32 v88, 16, v85
	v_cmp_lt_u32_e32 vcc, 31, v85
	v_lshrrev_b32_e32 v86, 6, v0
	v_or_b32_e32 v87, 63, v0
	s_cbranch_scc0 .LBB1372_123
; %bb.91:
	v_mov_b32_dpp v1, v90 row_shr:1 row_mask:0xf bank_mask:0xf
	v_mov_b32_dpp v6, v91 row_shr:1 row_mask:0xf bank_mask:0xf
	v_add_u32_e32 v1, v1, v90
	v_add_u32_e32 v6, v6, v91
	v_cndmask_b32_e64 v6, v6, v91, s[6:7]
	v_cndmask_b32_e64 v1, v1, v90, s[6:7]
	s_nop 0
	v_mov_b32_dpp v8, v6 row_shr:2 row_mask:0xf bank_mask:0xf
	v_mov_b32_dpp v7, v1 row_shr:2 row_mask:0xf bank_mask:0xf
	v_add_u32_e32 v7, v1, v7
	v_add_u32_e32 v8, v6, v8
	v_cndmask_b32_e64 v6, v6, v8, s[4:5]
	v_cndmask_b32_e64 v1, v1, v7, s[4:5]
	s_nop 0
	;; [unrolled: 7-line block ×3, first 2 shown]
	v_mov_b32_dpp v8, v6 row_shr:8 row_mask:0xf bank_mask:0xf
	v_mov_b32_dpp v7, v1 row_shr:8 row_mask:0xf bank_mask:0xf
	v_add_u32_e32 v7, v1, v7
	v_add_u32_e32 v8, v6, v8
	v_cndmask_b32_e64 v6, v6, v8, s[8:9]
	v_cndmask_b32_e64 v1, v1, v7, s[8:9]
	v_cmp_eq_u32_e64 s[8:9], 0, v88
	v_mov_b32_dpp v8, v6 row_bcast:15 row_mask:0xf bank_mask:0xf
	v_mov_b32_dpp v7, v1 row_bcast:15 row_mask:0xf bank_mask:0xf
	v_add_u32_e32 v7, v1, v7
	v_add_u32_e32 v8, v6, v8
	v_cndmask_b32_e64 v6, v8, v6, s[8:9]
	v_cndmask_b32_e64 v1, v7, v1, s[8:9]
	s_nop 0
	v_mov_b32_dpp v8, v6 row_bcast:31 row_mask:0xf bank_mask:0xf
	v_mov_b32_dpp v7, v1 row_bcast:31 row_mask:0xf bank_mask:0xf
	v_add_u32_e32 v8, v6, v8
	v_add_u32_e32 v9, v1, v7
	v_cndmask_b32_e32 v7, v6, v8, vcc
	v_cndmask_b32_e32 v6, v1, v9, vcc
	v_cmp_eq_u32_e32 vcc, v87, v0
	s_and_saveexec_b64 s[8:9], vcc
	s_cbranch_execz .LBB1372_93
; %bb.92:
	v_lshlrev_b32_e32 v1, 3, v86
	ds_write_b64 v1, v[6:7]
.LBB1372_93:
	s_or_b64 exec, exec, s[8:9]
	v_cmp_gt_u32_e32 vcc, 4, v0
	s_waitcnt lgkmcnt(0)
	s_barrier
	s_and_saveexec_b64 s[8:9], vcc
	s_cbranch_execz .LBB1372_95
; %bb.94:
	v_lshlrev_b32_e32 v1, 3, v0
	ds_read_b64 v[8:9], v1
	v_and_b32_e32 v10, 3, v85
	v_cmp_eq_u32_e32 vcc, 0, v10
	s_waitcnt lgkmcnt(0)
	v_mov_b32_dpp v11, v8 row_shr:1 row_mask:0xf bank_mask:0xf
	v_mov_b32_dpp v24, v9 row_shr:1 row_mask:0xf bank_mask:0xf
	v_add_u32_e32 v11, v11, v8
	v_add_u32_e32 v24, v24, v9
	v_cndmask_b32_e32 v9, v24, v9, vcc
	v_cndmask_b32_e32 v8, v11, v8, vcc
	v_cmp_lt_u32_e32 vcc, 1, v10
	v_mov_b32_dpp v24, v9 row_shr:2 row_mask:0xf bank_mask:0xf
	v_mov_b32_dpp v11, v8 row_shr:2 row_mask:0xf bank_mask:0xf
	v_cndmask_b32_e32 v10, 0, v11, vcc
	v_cndmask_b32_e32 v11, 0, v24, vcc
	v_add_u32_e32 v9, v11, v9
	v_add_u32_e32 v8, v10, v8
	ds_write_b64 v1, v[8:9]
.LBB1372_95:
	s_or_b64 exec, exec, s[8:9]
	v_cmp_gt_u32_e32 vcc, 64, v0
	v_cmp_lt_u32_e64 s[8:9], 63, v0
	s_waitcnt lgkmcnt(0)
	s_barrier
	s_waitcnt lgkmcnt(0)
                                        ; implicit-def: $vgpr25
	s_and_saveexec_b64 s[10:11], s[8:9]
	s_xor_b64 s[8:9], exec, s[10:11]
	s_cbranch_execz .LBB1372_97
; %bb.96:
	v_lshl_add_u32 v1, v86, 3, -8
	ds_read_b64 v[24:25], v1
	s_waitcnt lgkmcnt(0)
	v_add_u32_e32 v7, v25, v7
	v_add_u32_e32 v6, v24, v6
.LBB1372_97:
	s_andn2_saveexec_b64 s[8:9], s[8:9]
; %bb.98:
                                        ; implicit-def: $vgpr24
; %bb.99:
	s_or_b64 exec, exec, s[8:9]
	v_add_u32_e32 v1, -1, v85
	v_and_b32_e32 v8, 64, v85
	v_cmp_lt_i32_e64 s[8:9], v1, v8
	v_cndmask_b32_e64 v1, v1, v85, s[8:9]
	v_lshlrev_b32_e32 v8, 2, v1
	ds_bpermute_b32 v1, v8, v6
	ds_bpermute_b32 v92, v8, v7
	v_cmp_eq_u32_e64 s[8:9], 0, v85
	s_and_saveexec_b64 s[10:11], vcc
	s_cbranch_execz .LBB1372_122
; %bb.100:
	v_mov_b32_e32 v11, 0
	ds_read_b64 v[26:27], v11 offset:24
	s_and_saveexec_b64 s[12:13], s[8:9]
	s_cbranch_execz .LBB1372_102
; %bb.101:
	s_add_i32 s14, s33, 64
	s_mov_b32 s15, 0
	s_lshl_b64 s[14:15], s[14:15], 4
	s_waitcnt lgkmcnt(0)
	v_and_b32_e32 v6, 0xff000000, v27
	v_and_b32_e32 v7, 0xff0000, v27
	s_add_u32 s14, s50, s14
	v_or_b32_e32 v6, v7, v6
	v_and_b32_e32 v7, 0xff00, v27
	s_addc_u32 s15, s51, s15
	v_or_b32_e32 v6, v6, v7
	v_or_b32_sdwa v9, v6, v27 dst_sel:DWORD dst_unused:UNUSED_PAD src0_sel:DWORD src1_sel:BYTE_0
	v_mov_b32_e32 v10, 1
	v_mov_b32_e32 v8, v26
	v_pk_mov_b32 v[6:7], s[14:15], s[14:15] op_sel:[0,1]
	;;#ASMSTART
	global_store_dwordx4 v[6:7], v[8:11] off	
s_waitcnt vmcnt(0)
	;;#ASMEND
.LBB1372_102:
	s_or_b64 exec, exec, s[12:13]
	v_xad_u32 v28, v85, -1, s33
	v_add_u32_e32 v10, 64, v28
	v_lshlrev_b64 v[6:7], 4, v[10:11]
	v_mov_b32_e32 v8, s51
	v_add_co_u32_e32 v30, vcc, s50, v6
	v_addc_co_u32_e32 v31, vcc, v8, v7, vcc
	;;#ASMSTART
	global_load_dwordx4 v[6:9], v[30:31] off glc	
s_waitcnt vmcnt(0)
	;;#ASMEND
	v_and_b32_e32 v9, 0xff, v7
	v_and_b32_e32 v10, 0xff00, v7
	v_or3_b32 v9, 0, v9, v10
	v_or3_b32 v6, v6, 0, 0
	v_and_b32_e32 v10, 0xff000000, v7
	v_and_b32_e32 v7, 0xff0000, v7
	v_or3_b32 v7, v9, v7, v10
	v_or3_b32 v6, v6, 0, 0
	v_cmp_eq_u16_sdwa s[14:15], v8, v11 src0_sel:BYTE_0 src1_sel:DWORD
	s_and_saveexec_b64 s[12:13], s[14:15]
	s_cbranch_execz .LBB1372_108
; %bb.103:
	s_mov_b32 s17, 1
	s_mov_b64 s[14:15], 0
	v_mov_b32_e32 v10, 0
.LBB1372_104:                           ; =>This Loop Header: Depth=1
                                        ;     Child Loop BB1372_105 Depth 2
	s_max_u32 s18, s17, 1
.LBB1372_105:                           ;   Parent Loop BB1372_104 Depth=1
                                        ; =>  This Inner Loop Header: Depth=2
	s_add_i32 s18, s18, -1
	s_cmp_eq_u32 s18, 0
	s_sleep 1
	s_cbranch_scc0 .LBB1372_105
; %bb.106:                              ;   in Loop: Header=BB1372_104 Depth=1
	s_cmp_lt_u32 s17, 32
	s_cselect_b64 s[18:19], -1, 0
	s_cmp_lg_u64 s[18:19], 0
	s_addc_u32 s17, s17, 0
	;;#ASMSTART
	global_load_dwordx4 v[6:9], v[30:31] off glc	
s_waitcnt vmcnt(0)
	;;#ASMEND
	v_cmp_ne_u16_sdwa s[18:19], v8, v10 src0_sel:BYTE_0 src1_sel:DWORD
	s_or_b64 s[14:15], s[18:19], s[14:15]
	s_andn2_b64 exec, exec, s[14:15]
	s_cbranch_execnz .LBB1372_104
; %bb.107:
	s_or_b64 exec, exec, s[14:15]
.LBB1372_108:
	s_or_b64 exec, exec, s[12:13]
	v_and_b32_e32 v94, 63, v85
	v_cmp_ne_u32_e32 vcc, 63, v94
	v_mov_b32_e32 v93, 2
	v_addc_co_u32_e32 v30, vcc, 0, v85, vcc
	v_cmp_eq_u16_sdwa s[12:13], v8, v93 src0_sel:BYTE_0 src1_sel:DWORD
	v_lshlrev_b64 v[10:11], v85, -1
	v_lshlrev_b32_e32 v95, 2, v30
	v_and_b32_e32 v9, s13, v11
	ds_bpermute_b32 v30, v95, v6
	ds_bpermute_b32 v31, v95, v7
	v_or_b32_e32 v9, 0x80000000, v9
	v_and_b32_e32 v29, s12, v10
	v_ffbl_b32_e32 v9, v9
	v_add_u32_e32 v9, 32, v9
	v_ffbl_b32_e32 v29, v29
	v_min_u32_e32 v9, v29, v9
	s_waitcnt lgkmcnt(1)
	v_add_u32_e32 v29, v30, v6
	s_waitcnt lgkmcnt(0)
	v_add_u32_e32 v30, v31, v7
	v_cmp_lt_u32_e32 vcc, v94, v9
	v_cndmask_b32_e32 v7, v7, v30, vcc
	v_cndmask_b32_e32 v6, v6, v29, vcc
	v_cmp_gt_u32_e32 vcc, 62, v94
	v_cndmask_b32_e64 v29, 0, 1, vcc
	v_lshlrev_b32_e32 v29, 1, v29
	v_add_lshl_u32 v96, v29, v85, 2
	ds_bpermute_b32 v29, v96, v6
	ds_bpermute_b32 v30, v96, v7
	v_add_u32_e32 v97, 2, v94
	v_cmp_gt_u32_e32 vcc, v97, v9
	v_add_u32_e32 v99, 4, v94
	s_waitcnt lgkmcnt(1)
	v_add_u32_e32 v29, v6, v29
	s_waitcnt lgkmcnt(0)
	v_add_u32_e32 v30, v7, v30
	v_cndmask_b32_e32 v7, v30, v7, vcc
	v_cndmask_b32_e32 v6, v29, v6, vcc
	v_cmp_gt_u32_e32 vcc, 60, v94
	v_cndmask_b32_e64 v29, 0, 1, vcc
	v_lshlrev_b32_e32 v29, 2, v29
	v_add_lshl_u32 v98, v29, v85, 2
	ds_bpermute_b32 v29, v98, v6
	ds_bpermute_b32 v30, v98, v7
	v_cmp_gt_u32_e32 vcc, v99, v9
	v_add_u32_e32 v101, 8, v94
	v_add_u32_e32 v103, 16, v94
	s_waitcnt lgkmcnt(1)
	v_add_u32_e32 v29, v6, v29
	s_waitcnt lgkmcnt(0)
	v_add_u32_e32 v30, v7, v30
	v_cndmask_b32_e32 v7, v30, v7, vcc
	v_cndmask_b32_e32 v6, v29, v6, vcc
	v_cmp_gt_u32_e32 vcc, 56, v94
	v_cndmask_b32_e64 v29, 0, 1, vcc
	v_lshlrev_b32_e32 v29, 3, v29
	v_add_lshl_u32 v100, v29, v85, 2
	ds_bpermute_b32 v29, v100, v6
	ds_bpermute_b32 v30, v100, v7
	v_cmp_gt_u32_e32 vcc, v101, v9
	v_add_u32_e32 v105, 32, v94
	s_waitcnt lgkmcnt(1)
	v_add_u32_e32 v29, v6, v29
	s_waitcnt lgkmcnt(0)
	v_add_u32_e32 v30, v7, v30
	v_cndmask_b32_e32 v7, v30, v7, vcc
	v_cndmask_b32_e32 v6, v29, v6, vcc
	v_cmp_gt_u32_e32 vcc, 48, v94
	v_cndmask_b32_e64 v29, 0, 1, vcc
	v_lshlrev_b32_e32 v29, 4, v29
	v_add_lshl_u32 v102, v29, v85, 2
	ds_bpermute_b32 v29, v102, v6
	ds_bpermute_b32 v30, v102, v7
	v_cmp_gt_u32_e32 vcc, v103, v9
	s_waitcnt lgkmcnt(1)
	v_add_u32_e32 v29, v6, v29
	s_waitcnt lgkmcnt(0)
	v_add_u32_e32 v30, v7, v30
	v_cndmask_b32_e32 v7, v30, v7, vcc
	v_cndmask_b32_e32 v6, v29, v6, vcc
	v_cmp_gt_u32_e32 vcc, 32, v94
	v_cndmask_b32_e64 v29, 0, 1, vcc
	v_lshlrev_b32_e32 v29, 5, v29
	v_add_lshl_u32 v104, v29, v85, 2
	ds_bpermute_b32 v29, v104, v6
	ds_bpermute_b32 v30, v104, v7
	v_cmp_le_u32_e32 vcc, v105, v9
	s_waitcnt lgkmcnt(1)
	v_cndmask_b32_e32 v9, 0, v29, vcc
	s_waitcnt lgkmcnt(0)
	v_cndmask_b32_e32 v29, 0, v30, vcc
	v_add_u32_e32 v7, v7, v29
	v_add_u32_e32 v6, v6, v9
	v_mov_b32_e32 v29, 0
	s_branch .LBB1372_110
.LBB1372_109:                           ;   in Loop: Header=BB1372_110 Depth=1
	s_or_b64 exec, exec, s[12:13]
	v_cmp_eq_u16_sdwa s[12:13], v8, v93 src0_sel:BYTE_0 src1_sel:DWORD
	v_and_b32_e32 v9, s13, v11
	ds_bpermute_b32 v33, v95, v6
	ds_bpermute_b32 v106, v95, v7
	v_or_b32_e32 v9, 0x80000000, v9
	v_and_b32_e32 v32, s12, v10
	v_ffbl_b32_e32 v9, v9
	v_add_u32_e32 v9, 32, v9
	v_ffbl_b32_e32 v32, v32
	v_min_u32_e32 v9, v32, v9
	s_waitcnt lgkmcnt(1)
	v_add_u32_e32 v32, v33, v6
	s_waitcnt lgkmcnt(0)
	v_add_u32_e32 v33, v106, v7
	v_cmp_lt_u32_e32 vcc, v94, v9
	v_cndmask_b32_e32 v7, v7, v33, vcc
	v_cndmask_b32_e32 v6, v6, v32, vcc
	ds_bpermute_b32 v32, v96, v6
	ds_bpermute_b32 v33, v96, v7
	v_cmp_gt_u32_e32 vcc, v97, v9
	v_subrev_u32_e32 v28, 64, v28
	s_waitcnt lgkmcnt(1)
	v_add_u32_e32 v32, v6, v32
	s_waitcnt lgkmcnt(0)
	v_add_u32_e32 v33, v7, v33
	v_cndmask_b32_e32 v7, v33, v7, vcc
	v_cndmask_b32_e32 v6, v32, v6, vcc
	ds_bpermute_b32 v32, v98, v6
	ds_bpermute_b32 v33, v98, v7
	v_cmp_gt_u32_e32 vcc, v99, v9
	s_waitcnt lgkmcnt(1)
	v_add_u32_e32 v32, v6, v32
	s_waitcnt lgkmcnt(0)
	v_add_u32_e32 v33, v7, v33
	v_cndmask_b32_e32 v7, v33, v7, vcc
	v_cndmask_b32_e32 v6, v32, v6, vcc
	ds_bpermute_b32 v32, v100, v6
	ds_bpermute_b32 v33, v100, v7
	v_cmp_gt_u32_e32 vcc, v101, v9
	;; [unrolled: 9-line block ×3, first 2 shown]
	s_waitcnt lgkmcnt(1)
	v_add_u32_e32 v32, v6, v32
	s_waitcnt lgkmcnt(0)
	v_add_u32_e32 v33, v7, v33
	v_cndmask_b32_e32 v7, v33, v7, vcc
	v_cndmask_b32_e32 v6, v32, v6, vcc
	ds_bpermute_b32 v32, v104, v6
	ds_bpermute_b32 v33, v104, v7
	v_cmp_le_u32_e32 vcc, v105, v9
	s_waitcnt lgkmcnt(1)
	v_cndmask_b32_e32 v9, 0, v32, vcc
	s_waitcnt lgkmcnt(0)
	v_cndmask_b32_e32 v32, 0, v33, vcc
	v_add3_u32 v7, v32, v31, v7
	v_add3_u32 v6, v9, v30, v6
.LBB1372_110:                           ; =>This Loop Header: Depth=1
                                        ;     Child Loop BB1372_113 Depth 2
                                        ;       Child Loop BB1372_114 Depth 3
	v_cmp_ne_u16_sdwa s[12:13], v8, v93 src0_sel:BYTE_0 src1_sel:DWORD
	v_cndmask_b32_e64 v8, 0, 1, s[12:13]
	;;#ASMSTART
	;;#ASMEND
	v_cmp_ne_u32_e32 vcc, 0, v8
	s_cmp_lg_u64 vcc, exec
	v_pk_mov_b32 v[30:31], v[6:7], v[6:7] op_sel:[0,1]
	s_cbranch_scc1 .LBB1372_117
; %bb.111:                              ;   in Loop: Header=BB1372_110 Depth=1
	v_lshlrev_b64 v[6:7], 4, v[28:29]
	v_mov_b32_e32 v8, s51
	v_add_co_u32_e32 v32, vcc, s50, v6
	v_addc_co_u32_e32 v33, vcc, v8, v7, vcc
	;;#ASMSTART
	global_load_dwordx4 v[6:9], v[32:33] off glc	
s_waitcnt vmcnt(0)
	;;#ASMEND
	v_and_b32_e32 v9, 0xff, v7
	v_and_b32_e32 v106, 0xff00, v7
	v_or3_b32 v9, 0, v9, v106
	v_or3_b32 v6, v6, 0, 0
	v_and_b32_e32 v106, 0xff000000, v7
	v_and_b32_e32 v7, 0xff0000, v7
	v_or3_b32 v7, v9, v7, v106
	v_or3_b32 v6, v6, 0, 0
	v_cmp_eq_u16_sdwa s[14:15], v8, v29 src0_sel:BYTE_0 src1_sel:DWORD
	s_and_saveexec_b64 s[12:13], s[14:15]
	s_cbranch_execz .LBB1372_109
; %bb.112:                              ;   in Loop: Header=BB1372_110 Depth=1
	s_mov_b32 s17, 1
	s_mov_b64 s[14:15], 0
.LBB1372_113:                           ;   Parent Loop BB1372_110 Depth=1
                                        ; =>  This Loop Header: Depth=2
                                        ;       Child Loop BB1372_114 Depth 3
	s_max_u32 s18, s17, 1
.LBB1372_114:                           ;   Parent Loop BB1372_110 Depth=1
                                        ;     Parent Loop BB1372_113 Depth=2
                                        ; =>    This Inner Loop Header: Depth=3
	s_add_i32 s18, s18, -1
	s_cmp_eq_u32 s18, 0
	s_sleep 1
	s_cbranch_scc0 .LBB1372_114
; %bb.115:                              ;   in Loop: Header=BB1372_113 Depth=2
	s_cmp_lt_u32 s17, 32
	s_cselect_b64 s[18:19], -1, 0
	s_cmp_lg_u64 s[18:19], 0
	s_addc_u32 s17, s17, 0
	;;#ASMSTART
	global_load_dwordx4 v[6:9], v[32:33] off glc	
s_waitcnt vmcnt(0)
	;;#ASMEND
	v_cmp_ne_u16_sdwa s[18:19], v8, v29 src0_sel:BYTE_0 src1_sel:DWORD
	s_or_b64 s[14:15], s[18:19], s[14:15]
	s_andn2_b64 exec, exec, s[14:15]
	s_cbranch_execnz .LBB1372_113
; %bb.116:                              ;   in Loop: Header=BB1372_110 Depth=1
	s_or_b64 exec, exec, s[14:15]
	s_branch .LBB1372_109
.LBB1372_117:                           ;   in Loop: Header=BB1372_110 Depth=1
                                        ; implicit-def: $vgpr8
                                        ; implicit-def: $vgpr6_vgpr7
	s_cbranch_execz .LBB1372_110
; %bb.118:
	s_and_saveexec_b64 s[12:13], s[8:9]
	s_cbranch_execz .LBB1372_120
; %bb.119:
	s_add_i32 s14, s33, 64
	s_mov_b32 s15, 0
	v_add_u32_e32 v7, v31, v27
	s_lshl_b64 s[14:15], s[14:15], 4
	s_add_u32 s14, s50, s14
	v_and_b32_e32 v8, 0xff000000, v7
	v_and_b32_e32 v10, 0xff0000, v7
	s_addc_u32 s15, s51, s15
	v_or_b32_e32 v8, v10, v8
	v_and_b32_e32 v10, 0xff00, v7
	v_and_b32_e32 v7, 0xff, v7
	v_add_u32_e32 v6, v30, v26
	v_mov_b32_e32 v9, 0
	v_or3_b32 v7, v8, v10, v7
	v_mov_b32_e32 v8, 2
	v_pk_mov_b32 v[10:11], s[14:15], s[14:15] op_sel:[0,1]
	;;#ASMSTART
	global_store_dwordx4 v[10:11], v[6:9] off	
s_waitcnt vmcnt(0)
	;;#ASMEND
	s_movk_i32 s14, 0x3400
	v_add_u32_e64 v6, s14, 0
	ds_write2_b32 v6, v26, v27 offset1:2
	ds_write2_b32 v6, v30, v31 offset0:4 offset1:6
.LBB1372_120:
	s_or_b64 exec, exec, s[12:13]
	s_and_b64 exec, exec, s[0:1]
	s_cbranch_execz .LBB1372_122
; %bb.121:
	v_mov_b32_e32 v6, 0
	ds_write_b64 v6, v[30:31] offset:24
.LBB1372_122:
	s_or_b64 exec, exec, s[10:11]
	v_mov_b32_e32 v6, 0
	s_waitcnt lgkmcnt(0)
	s_barrier
	ds_read_b64 v[10:11], v6 offset:24
	v_cndmask_b32_e64 v25, v92, v25, s[8:9]
	v_cndmask_b32_e64 v1, v1, v24, s[8:9]
	s_movk_i32 s8, 0x3400
	s_waitcnt lgkmcnt(0)
	v_add_u32_e32 v24, v10, v1
	v_add_u32_e64 v1, s8, 0
	s_barrier
	ds_read2_b32 v[6:7], v1 offset1:2
	ds_read2_b32 v[8:9], v1 offset0:4 offset1:6
	v_add_u32_e32 v1, v11, v25
	v_cndmask_b32_e64 v1, v1, v11, s[0:1]
	v_cndmask_b32_e64 v10, v24, v10, s[0:1]
	s_branch .LBB1372_133
.LBB1372_123:
                                        ; implicit-def: $vgpr1
                                        ; implicit-def: $vgpr8
                                        ; implicit-def: $vgpr6
                                        ; implicit-def: $vgpr10_vgpr11
	s_cbranch_execz .LBB1372_133
; %bb.124:
	s_nop 0
	v_mov_b32_dpp v1, v90 row_shr:1 row_mask:0xf bank_mask:0xf
	s_waitcnt lgkmcnt(1)
	v_mov_b32_dpp v6, v91 row_shr:1 row_mask:0xf bank_mask:0xf
	v_add_u32_e32 v1, v1, v90
	v_add_u32_e32 v6, v6, v91
	v_cndmask_b32_e64 v6, v6, v91, s[6:7]
	v_cndmask_b32_e64 v1, v1, v90, s[6:7]
	v_cmp_lt_u32_e32 vcc, 3, v89
	s_waitcnt lgkmcnt(0)
	v_mov_b32_dpp v8, v6 row_shr:2 row_mask:0xf bank_mask:0xf
	v_mov_b32_dpp v7, v1 row_shr:2 row_mask:0xf bank_mask:0xf
	v_add_u32_e32 v7, v1, v7
	v_add_u32_e32 v8, v6, v8
	v_cndmask_b32_e64 v6, v6, v8, s[4:5]
	v_cndmask_b32_e64 v1, v1, v7, s[4:5]
	s_nop 0
	v_mov_b32_dpp v8, v6 row_shr:4 row_mask:0xf bank_mask:0xf
	v_mov_b32_dpp v7, v1 row_shr:4 row_mask:0xf bank_mask:0xf
	v_add_u32_e32 v7, v1, v7
	v_add_u32_e32 v8, v6, v8
	v_cndmask_b32_e32 v6, v6, v8, vcc
	v_cndmask_b32_e32 v1, v1, v7, vcc
	v_cmp_lt_u32_e32 vcc, 7, v89
	v_mov_b32_dpp v8, v6 row_shr:8 row_mask:0xf bank_mask:0xf
	v_mov_b32_dpp v7, v1 row_shr:8 row_mask:0xf bank_mask:0xf
	v_add_u32_e32 v7, v1, v7
	v_add_u32_e32 v8, v6, v8
	v_cndmask_b32_e32 v6, v6, v8, vcc
	v_cndmask_b32_e32 v1, v1, v7, vcc
	v_cmp_eq_u32_e32 vcc, 0, v88
	v_mov_b32_dpp v8, v6 row_bcast:15 row_mask:0xf bank_mask:0xf
	v_mov_b32_dpp v7, v1 row_bcast:15 row_mask:0xf bank_mask:0xf
	v_add_u32_e32 v7, v1, v7
	v_add_u32_e32 v8, v6, v8
	v_cndmask_b32_e32 v6, v8, v6, vcc
	v_cndmask_b32_e32 v1, v7, v1, vcc
	v_cmp_lt_u32_e32 vcc, 31, v85
	v_mov_b32_dpp v8, v6 row_bcast:31 row_mask:0xf bank_mask:0xf
	v_mov_b32_dpp v7, v1 row_bcast:31 row_mask:0xf bank_mask:0xf
	v_add_u32_e32 v8, v6, v8
	v_add_u32_e32 v9, v1, v7
	v_cndmask_b32_e32 v7, v6, v8, vcc
	v_cndmask_b32_e32 v6, v1, v9, vcc
	v_cmp_eq_u32_e32 vcc, v87, v0
	s_and_saveexec_b64 s[4:5], vcc
	s_cbranch_execz .LBB1372_126
; %bb.125:
	v_lshlrev_b32_e32 v1, 3, v86
	ds_write_b64 v1, v[6:7]
.LBB1372_126:
	s_or_b64 exec, exec, s[4:5]
	v_cmp_gt_u32_e32 vcc, 4, v0
	s_waitcnt lgkmcnt(0)
	s_barrier
	s_and_saveexec_b64 s[4:5], vcc
	s_cbranch_execz .LBB1372_128
; %bb.127:
	v_lshlrev_b32_e32 v1, 3, v0
	ds_read_b64 v[8:9], v1
	v_and_b32_e32 v10, 3, v85
	v_cmp_eq_u32_e32 vcc, 0, v10
	s_waitcnt lgkmcnt(0)
	v_mov_b32_dpp v11, v8 row_shr:1 row_mask:0xf bank_mask:0xf
	v_mov_b32_dpp v24, v9 row_shr:1 row_mask:0xf bank_mask:0xf
	v_add_u32_e32 v11, v11, v8
	v_add_u32_e32 v24, v24, v9
	v_cndmask_b32_e32 v9, v24, v9, vcc
	v_cndmask_b32_e32 v8, v11, v8, vcc
	v_cmp_lt_u32_e32 vcc, 1, v10
	v_mov_b32_dpp v24, v9 row_shr:2 row_mask:0xf bank_mask:0xf
	v_mov_b32_dpp v11, v8 row_shr:2 row_mask:0xf bank_mask:0xf
	v_cndmask_b32_e32 v10, 0, v11, vcc
	v_cndmask_b32_e32 v11, 0, v24, vcc
	v_add_u32_e32 v9, v11, v9
	v_add_u32_e32 v8, v10, v8
	ds_write_b64 v1, v[8:9]
.LBB1372_128:
	s_or_b64 exec, exec, s[4:5]
	v_cmp_lt_u32_e32 vcc, 63, v0
	v_mov_b32_e32 v8, 0
	v_mov_b32_e32 v10, 0
	;; [unrolled: 1-line block ×3, first 2 shown]
	s_waitcnt lgkmcnt(0)
	s_barrier
	s_and_saveexec_b64 s[4:5], vcc
	s_cbranch_execz .LBB1372_130
; %bb.129:
	v_lshl_add_u32 v1, v86, 3, -8
	ds_read_b64 v[10:11], v1
.LBB1372_130:
	s_or_b64 exec, exec, s[4:5]
	s_waitcnt lgkmcnt(0)
	v_add_u32_e32 v9, v11, v7
	v_add_u32_e32 v1, v10, v6
	v_add_u32_e32 v6, -1, v85
	v_and_b32_e32 v7, 64, v85
	v_cmp_lt_i32_e32 vcc, v6, v7
	v_cndmask_b32_e32 v6, v6, v85, vcc
	v_lshlrev_b32_e32 v24, 2, v6
	ds_read_b64 v[6:7], v8 offset:24
	ds_bpermute_b32 v1, v24, v1
	ds_bpermute_b32 v24, v24, v9
	s_waitcnt lgkmcnt(2)
	v_readfirstlane_b32 s6, v7
	s_and_saveexec_b64 s[4:5], s[0:1]
	s_cbranch_execz .LBB1372_132
; %bb.131:
	s_add_u32 s8, s50, 0x400
	s_mov_b32 s10, 0
	s_addc_u32 s9, s51, 0
	s_and_b32 s11, s6, 0xff000000
	s_and_b32 s13, s6, 0xff0000
	s_mov_b32 s12, s10
	s_or_b64 s[12:13], s[12:13], s[10:11]
	s_and_b32 s11, s6, 0xff00
	s_or_b64 s[12:13], s[12:13], s[10:11]
	s_and_b32 s11, s6, 0xff
	s_or_b64 s[10:11], s[12:13], s[10:11]
	v_mov_b32_e32 v7, s11
	v_mov_b32_e32 v8, 2
	;; [unrolled: 1-line block ×3, first 2 shown]
	v_pk_mov_b32 v[26:27], s[8:9], s[8:9] op_sel:[0,1]
	;;#ASMSTART
	global_store_dwordx4 v[26:27], v[6:9] off	
s_waitcnt vmcnt(0)
	;;#ASMEND
.LBB1372_132:
	s_or_b64 exec, exec, s[4:5]
	v_cmp_eq_u32_e32 vcc, 0, v85
	s_waitcnt lgkmcnt(1)
	v_cndmask_b32_e32 v7, v1, v10, vcc
	s_waitcnt lgkmcnt(0)
	v_cndmask_b32_e32 v1, v24, v11, vcc
	v_mov_b32_e32 v8, 0
	v_cndmask_b32_e64 v1, v1, 0, s[0:1]
	v_cndmask_b32_e64 v10, v7, 0, s[0:1]
	s_barrier
	v_mov_b32_e32 v7, s6
	v_mov_b32_e32 v9, 0
.LBB1372_133:
	v_add_u32_e32 v11, v10, v67
	v_add_u32_e32 v26, v1, v68
	;; [unrolled: 1-line block ×13, first 2 shown]
	s_waitcnt vmcnt(0) lgkmcnt(0)
	v_add_co_u32_e32 v2, vcc, v2, v8
	v_add_u32_e32 v68, v62, v74
	v_add_u32_e32 v64, v67, v64
	v_addc_co_u32_e32 v3, vcc, 0, v3, vcc
	v_add_u32_e32 v69, v68, v82
	v_add_u32_e32 v70, v64, v75
	v_sub_co_u32_e32 v24, vcc, v4, v6
	v_add_u32_e32 v71, v69, v76
	v_add_u32_e32 v65, v70, v65
	v_subbrev_co_u32_e32 v25, vcc, 0, v5, vcc
	v_lshlrev_b32_e32 v76, 1, v6
	v_sub_u32_e32 v1, v1, v9
	v_add_u32_e32 v73, v65, v77
	v_add_co_u32_e32 v24, vcc, v24, v9
	v_add_u32_e32 v77, v76, v7
	v_sub_u32_e32 v10, v10, v8
	v_add_u32_e32 v1, v1, v6
	v_addc_co_u32_e32 v25, vcc, 0, v25, vcc
	v_add_u32_e32 v36, v77, v36
	v_and_b32_e32 v38, 1, v38
	v_add_u32_e32 v77, v10, v1
	v_and_b32_e32 v37, 1, v37
	v_sub_u32_e32 v77, v36, v77
	v_cmp_eq_u32_e32 vcc, 1, v38
	v_cndmask_b32_e32 v1, v77, v1, vcc
	v_cmp_eq_u32_e32 vcc, 1, v37
	v_cndmask_b32_e32 v1, v1, v10, vcc
	v_lshlrev_b32_e32 v1, 2, v1
	ds_write_b32 v1, v22
	v_sub_u32_e32 v1, v11, v8
	v_sub_u32_e32 v11, v26, v9
	v_add_u32_e32 v11, v11, v6
	v_add_u32_e32 v26, v11, v1
	v_and_b32_e32 v22, 1, v40
	v_sub_u32_e32 v26, v36, v26
	v_and_b32_e32 v10, 1, v39
	v_add_u32_e32 v26, 1, v26
	v_cmp_eq_u32_e32 vcc, 1, v22
	v_cndmask_b32_e32 v11, v26, v11, vcc
	v_cmp_eq_u32_e32 vcc, 1, v10
	v_cndmask_b32_e32 v1, v11, v1, vcc
	v_lshlrev_b32_e32 v1, 2, v1
	v_sub_u32_e32 v11, v27, v9
	ds_write_b32 v1, v23
	v_sub_u32_e32 v1, v28, v8
	v_add_u32_e32 v11, v11, v6
	v_add_u32_e32 v23, v11, v1
	v_and_b32_e32 v22, 1, v42
	v_sub_u32_e32 v23, v36, v23
	v_and_b32_e32 v10, 1, v41
	v_add_u32_e32 v23, 2, v23
	v_cmp_eq_u32_e32 vcc, 1, v22
	v_cndmask_b32_e32 v11, v23, v11, vcc
	v_cmp_eq_u32_e32 vcc, 1, v10
	v_cndmask_b32_e32 v1, v11, v1, vcc
	v_lshlrev_b32_e32 v1, 2, v1
	v_sub_u32_e32 v11, v30, v9
	ds_write_b32 v1, v20
	;; [unrolled: 14-line block ×8, first 2 shown]
	v_sub_u32_e32 v1, v70, v8
	v_add_u32_e32 v11, v11, v6
	v_add_u32_e32 v16, v1, v11
	v_and_b32_e32 v14, 1, v55
	v_sub_u32_e32 v16, v36, v16
	v_and_b32_e32 v10, 1, v56
	v_add_u32_e32 v16, 9, v16
	v_cmp_eq_u32_e32 vcc, 1, v14
	v_cndmask_b32_e32 v11, v16, v11, vcc
	v_cmp_eq_u32_e32 vcc, 1, v10
	v_add_u32_e32 v72, v71, v83
	v_cndmask_b32_e32 v1, v11, v1, vcc
	v_lshlrev_b32_e32 v1, 2, v1
	v_sub_u32_e32 v11, v72, v9
	ds_write_b32 v1, v15
	v_sub_u32_e32 v1, v65, v8
	v_add_u32_e32 v11, v11, v6
	v_add_u32_e32 v15, v1, v11
	v_and_b32_e32 v14, 1, v57
	v_sub_u32_e32 v15, v36, v15
	v_and_b32_e32 v10, 1, v58
	v_add_u32_e32 v15, 10, v15
	v_cmp_eq_u32_e32 vcc, 1, v14
	v_cndmask_b32_e32 v11, v15, v11, vcc
	v_cmp_eq_u32_e32 vcc, 1, v10
	v_add_u32_e32 v74, v72, v78
	v_cndmask_b32_e32 v1, v11, v1, vcc
	v_lshlrev_b32_e32 v1, 2, v1
	v_sub_u32_e32 v11, v74, v9
	ds_write_b32 v1, v12
	v_sub_u32_e32 v1, v73, v8
	v_add_u32_e32 v11, v11, v6
	v_add_u32_e32 v14, v1, v11
	v_and_b32_e32 v12, 1, v59
	v_sub_u32_e32 v14, v36, v14
	v_and_b32_e32 v10, 1, v60
	v_add_u32_e32 v14, 11, v14
	v_cmp_eq_u32_e32 vcc, 1, v12
	v_cndmask_b32_e32 v11, v14, v11, vcc
	v_cmp_eq_u32_e32 vcc, 1, v10
	v_cndmask_b32_e32 v1, v11, v1, vcc
	v_add_u32_e32 v75, v74, v84
	v_add_u32_e32 v66, v73, v66
	v_lshlrev_b32_e32 v1, 2, v1
	ds_write_b32 v1, v13
	v_sub_u32_e32 v1, v66, v8
	v_sub_u32_e32 v8, v75, v9
	v_add_u32_e32 v8, v8, v6
	v_add_u32_e32 v10, v1, v8
	v_sub_u32_e32 v10, v36, v10
	v_add_u32_e32 v10, 12, v10
	v_cndmask_b32_e64 v8, v10, v8, s[54:55]
	v_cndmask_b32_e64 v1, v8, v1, s[52:53]
	v_lshlrev_b32_e32 v1, 2, v1
	ds_write_b32 v1, v35
	v_mov_b32_e32 v1, s49
	v_add_co_u32_e32 v8, vcc, s48, v34
	v_addc_co_u32_e32 v10, vcc, 0, v1, vcc
	v_add_co_u32_e32 v1, vcc, v7, v76
	v_addc_co_u32_e64 v11, s[4:5], 0, 0, vcc
	v_add_co_u32_e32 v1, vcc, v1, v24
	v_addc_co_u32_e32 v11, vcc, v11, v25, vcc
	v_add_co_u32_e32 v1, vcc, v1, v2
	v_addc_co_u32_e32 v11, vcc, v11, v3, vcc
	v_sub_co_u32_e32 v1, vcc, v8, v1
	v_subb_co_u32_e32 v8, vcc, v10, v11, vcc
	v_lshlrev_b64 v[10:11], 2, v[24:25]
	v_mov_b32_e32 v12, s47
	v_add_co_u32_e32 v10, vcc, s46, v10
	v_addc_co_u32_e32 v11, vcc, v12, v11, vcc
	v_lshlrev_b64 v[12:13], 2, v[2:3]
	v_mov_b32_e32 v15, s45
	v_add_co_u32_e32 v12, vcc, s44, v12
	s_add_u32 s8, s34, -4
	v_addc_co_u32_e32 v13, vcc, v15, v13, vcc
	s_addc_u32 s9, s35, -1
	v_add_u32_e32 v14, v6, v7
	s_and_b64 vcc, exec, s[2:3]
	s_mov_b64 s[2:3], -1
	s_waitcnt lgkmcnt(0)
	s_barrier
	s_cbranch_vccz .LBB1372_137
; %bb.134:
	s_and_b64 vcc, exec, s[2:3]
	s_cbranch_vccnz .LBB1372_242
.LBB1372_135:
	s_and_b64 s[0:1], s[0:1], s[30:31]
	s_and_saveexec_b64 s[2:3], s[0:1]
	s_cbranch_execnz .LBB1372_360
.LBB1372_136:
	s_endpgm
.LBB1372_137:
	v_cmp_le_u32_e32 vcc, v6, v0
	s_and_saveexec_b64 s[2:3], vcc
	s_xor_b64 s[2:3], exec, s[2:3]
	s_cbranch_execz .LBB1372_143
; %bb.138:
	v_cmp_le_u32_e32 vcc, v14, v0
	s_and_saveexec_b64 s[4:5], vcc
	s_xor_b64 s[4:5], exec, s[4:5]
	s_cbranch_execz .LBB1372_140
; %bb.139:
	v_lshlrev_b32_e32 v15, 2, v0
	v_add_co_u32_e32 v16, vcc, v1, v0
	ds_read_b32 v15, v15
	v_addc_co_u32_e32 v17, vcc, 0, v8, vcc
	v_lshlrev_b64 v[16:17], 2, v[16:17]
	v_mov_b32_e32 v18, s35
	v_sub_co_u32_e32 v16, vcc, s34, v16
	v_subb_co_u32_e32 v17, vcc, v18, v17, vcc
	s_waitcnt lgkmcnt(0)
	global_store_dword v[16:17], v15, off offset:-4
.LBB1372_140:
	s_andn2_saveexec_b64 s[4:5], s[4:5]
	s_cbranch_execz .LBB1372_142
; %bb.141:
	v_lshlrev_b32_e32 v15, 2, v0
	ds_read_b32 v16, v15
	v_readfirstlane_b32 s6, v10
	v_readfirstlane_b32 s7, v11
	s_waitcnt lgkmcnt(0)
	s_nop 3
	global_store_dword v15, v16, s[6:7]
.LBB1372_142:
	s_or_b64 exec, exec, s[4:5]
.LBB1372_143:
	s_andn2_saveexec_b64 s[2:3], s[2:3]
	s_cbranch_execz .LBB1372_145
; %bb.144:
	v_lshlrev_b32_e32 v15, 2, v0
	ds_read_b32 v16, v15
	v_readfirstlane_b32 s4, v12
	v_readfirstlane_b32 s5, v13
	s_waitcnt lgkmcnt(0)
	s_nop 3
	global_store_dword v15, v16, s[4:5]
.LBB1372_145:
	s_or_b64 exec, exec, s[2:3]
	v_or_b32_e32 v15, 0x100, v0
	v_cmp_le_u32_e32 vcc, v6, v15
	s_and_saveexec_b64 s[2:3], vcc
	s_xor_b64 s[2:3], exec, s[2:3]
	s_cbranch_execz .LBB1372_151
; %bb.146:
	v_cmp_le_u32_e32 vcc, v14, v15
	s_and_saveexec_b64 s[4:5], vcc
	s_xor_b64 s[4:5], exec, s[4:5]
	s_cbranch_execz .LBB1372_148
; %bb.147:
	v_lshlrev_b32_e32 v15, 2, v0
	ds_read_b32 v15, v15 offset:1024
	v_add_co_u32_e32 v16, vcc, v1, v0
	v_addc_co_u32_e32 v17, vcc, 0, v8, vcc
	v_lshlrev_b64 v[16:17], 2, v[16:17]
	v_mov_b32_e32 v18, s9
	v_sub_co_u32_e32 v16, vcc, s8, v16
	v_subb_co_u32_e32 v17, vcc, v18, v17, vcc
	s_waitcnt lgkmcnt(0)
	global_store_dword v[16:17], v15, off offset:-1024
.LBB1372_148:
	s_andn2_saveexec_b64 s[4:5], s[4:5]
	s_cbranch_execz .LBB1372_150
; %bb.149:
	v_lshlrev_b32_e32 v15, 2, v0
	ds_read_b32 v16, v15 offset:1024
	v_readfirstlane_b32 s6, v10
	v_readfirstlane_b32 s7, v11
	s_waitcnt lgkmcnt(0)
	s_nop 3
	global_store_dword v15, v16, s[6:7] offset:1024
.LBB1372_150:
	s_or_b64 exec, exec, s[4:5]
.LBB1372_151:
	s_andn2_saveexec_b64 s[2:3], s[2:3]
	s_cbranch_execz .LBB1372_153
; %bb.152:
	v_lshlrev_b32_e32 v15, 2, v0
	ds_read_b32 v16, v15 offset:1024
	v_readfirstlane_b32 s4, v12
	v_readfirstlane_b32 s5, v13
	s_waitcnt lgkmcnt(0)
	s_nop 3
	global_store_dword v15, v16, s[4:5] offset:1024
.LBB1372_153:
	s_or_b64 exec, exec, s[2:3]
	v_or_b32_e32 v15, 0x200, v0
	v_cmp_le_u32_e32 vcc, v6, v15
	s_and_saveexec_b64 s[2:3], vcc
	s_xor_b64 s[2:3], exec, s[2:3]
	s_cbranch_execz .LBB1372_159
; %bb.154:
	v_cmp_le_u32_e32 vcc, v14, v15
	s_and_saveexec_b64 s[4:5], vcc
	s_xor_b64 s[4:5], exec, s[4:5]
	s_cbranch_execz .LBB1372_156
; %bb.155:
	v_lshlrev_b32_e32 v15, 2, v0
	ds_read_b32 v15, v15 offset:2048
	v_add_co_u32_e32 v16, vcc, v1, v0
	v_addc_co_u32_e32 v17, vcc, 0, v8, vcc
	v_lshlrev_b64 v[16:17], 2, v[16:17]
	v_mov_b32_e32 v18, s9
	v_sub_co_u32_e32 v16, vcc, s8, v16
	v_subb_co_u32_e32 v17, vcc, v18, v17, vcc
	s_waitcnt lgkmcnt(0)
	global_store_dword v[16:17], v15, off offset:-2048
.LBB1372_156:
	s_andn2_saveexec_b64 s[4:5], s[4:5]
	s_cbranch_execz .LBB1372_158
; %bb.157:
	v_lshlrev_b32_e32 v15, 2, v0
	ds_read_b32 v16, v15 offset:2048
	v_readfirstlane_b32 s6, v10
	v_readfirstlane_b32 s7, v11
	s_waitcnt lgkmcnt(0)
	s_nop 3
	global_store_dword v15, v16, s[6:7] offset:2048
.LBB1372_158:
	s_or_b64 exec, exec, s[4:5]
.LBB1372_159:
	s_andn2_saveexec_b64 s[2:3], s[2:3]
	s_cbranch_execz .LBB1372_161
; %bb.160:
	v_lshlrev_b32_e32 v15, 2, v0
	ds_read_b32 v16, v15 offset:2048
	v_readfirstlane_b32 s4, v12
	v_readfirstlane_b32 s5, v13
	s_waitcnt lgkmcnt(0)
	s_nop 3
	global_store_dword v15, v16, s[4:5] offset:2048
.LBB1372_161:
	;; [unrolled: 47-line block ×3, first 2 shown]
	s_or_b64 exec, exec, s[2:3]
	v_or_b32_e32 v15, 0x400, v0
	v_cmp_le_u32_e32 vcc, v6, v15
	s_and_saveexec_b64 s[2:3], vcc
	s_xor_b64 s[2:3], exec, s[2:3]
	s_cbranch_execz .LBB1372_175
; %bb.170:
	v_cmp_le_u32_e32 vcc, v14, v15
	s_and_saveexec_b64 s[4:5], vcc
	s_xor_b64 s[4:5], exec, s[4:5]
	s_cbranch_execz .LBB1372_172
; %bb.171:
	v_lshlrev_b32_e32 v15, 2, v0
	ds_read_b32 v15, v15 offset:4096
	v_add_co_u32_e32 v16, vcc, v1, v0
	v_addc_co_u32_e32 v17, vcc, 0, v8, vcc
	v_lshlrev_b64 v[16:17], 2, v[16:17]
	v_mov_b32_e32 v18, s9
	v_sub_co_u32_e32 v16, vcc, s8, v16
	v_subb_co_u32_e32 v17, vcc, v18, v17, vcc
	s_waitcnt lgkmcnt(0)
	global_store_dword v[16:17], v15, off offset:-4096
                                        ; implicit-def: $vgpr15
.LBB1372_172:
	s_andn2_saveexec_b64 s[4:5], s[4:5]
	s_cbranch_execz .LBB1372_174
; %bb.173:
	v_lshlrev_b32_e32 v16, 2, v0
	ds_read_b32 v16, v16 offset:4096
	v_lshlrev_b32_e32 v15, 2, v15
	v_readfirstlane_b32 s6, v10
	v_readfirstlane_b32 s7, v11
	s_waitcnt lgkmcnt(0)
	s_nop 3
	global_store_dword v15, v16, s[6:7]
.LBB1372_174:
	s_or_b64 exec, exec, s[4:5]
                                        ; implicit-def: $vgpr15
.LBB1372_175:
	s_andn2_saveexec_b64 s[2:3], s[2:3]
	s_cbranch_execz .LBB1372_177
; %bb.176:
	v_lshlrev_b32_e32 v16, 2, v0
	ds_read_b32 v16, v16 offset:4096
	v_lshlrev_b32_e32 v15, 2, v15
	v_readfirstlane_b32 s4, v12
	v_readfirstlane_b32 s5, v13
	s_waitcnt lgkmcnt(0)
	s_nop 3
	global_store_dword v15, v16, s[4:5]
.LBB1372_177:
	s_or_b64 exec, exec, s[2:3]
	v_or_b32_e32 v15, 0x500, v0
	v_cmp_le_u32_e32 vcc, v6, v15
	s_and_saveexec_b64 s[2:3], vcc
	s_xor_b64 s[2:3], exec, s[2:3]
	s_cbranch_execz .LBB1372_183
; %bb.178:
	v_cmp_le_u32_e32 vcc, v14, v15
	s_and_saveexec_b64 s[4:5], vcc
	s_xor_b64 s[4:5], exec, s[4:5]
	s_cbranch_execz .LBB1372_180
; %bb.179:
	v_add_co_u32_e32 v16, vcc, v1, v15
	v_lshlrev_b32_e32 v15, 2, v0
	ds_read_b32 v15, v15 offset:5120
	v_addc_co_u32_e32 v17, vcc, 0, v8, vcc
	v_lshlrev_b64 v[16:17], 2, v[16:17]
	v_mov_b32_e32 v18, s9
	v_sub_co_u32_e32 v16, vcc, s8, v16
	v_subb_co_u32_e32 v17, vcc, v18, v17, vcc
	s_waitcnt lgkmcnt(0)
	global_store_dword v[16:17], v15, off
                                        ; implicit-def: $vgpr15
.LBB1372_180:
	s_andn2_saveexec_b64 s[4:5], s[4:5]
	s_cbranch_execz .LBB1372_182
; %bb.181:
	v_lshlrev_b32_e32 v16, 2, v0
	ds_read_b32 v16, v16 offset:5120
	v_lshlrev_b32_e32 v15, 2, v15
	v_readfirstlane_b32 s6, v10
	v_readfirstlane_b32 s7, v11
	s_waitcnt lgkmcnt(0)
	s_nop 3
	global_store_dword v15, v16, s[6:7]
.LBB1372_182:
	s_or_b64 exec, exec, s[4:5]
                                        ; implicit-def: $vgpr15
.LBB1372_183:
	s_andn2_saveexec_b64 s[2:3], s[2:3]
	s_cbranch_execz .LBB1372_185
; %bb.184:
	v_lshlrev_b32_e32 v16, 2, v0
	ds_read_b32 v16, v16 offset:5120
	v_lshlrev_b32_e32 v15, 2, v15
	v_readfirstlane_b32 s4, v12
	v_readfirstlane_b32 s5, v13
	s_waitcnt lgkmcnt(0)
	s_nop 3
	global_store_dword v15, v16, s[4:5]
.LBB1372_185:
	s_or_b64 exec, exec, s[2:3]
	v_or_b32_e32 v15, 0x600, v0
	v_cmp_le_u32_e32 vcc, v6, v15
	s_and_saveexec_b64 s[2:3], vcc
	s_xor_b64 s[2:3], exec, s[2:3]
	s_cbranch_execz .LBB1372_191
; %bb.186:
	v_cmp_le_u32_e32 vcc, v14, v15
	s_and_saveexec_b64 s[4:5], vcc
	s_xor_b64 s[4:5], exec, s[4:5]
	s_cbranch_execz .LBB1372_188
; %bb.187:
	v_add_co_u32_e32 v16, vcc, v1, v15
	v_lshlrev_b32_e32 v15, 2, v0
	ds_read_b32 v15, v15 offset:6144
	v_addc_co_u32_e32 v17, vcc, 0, v8, vcc
	v_lshlrev_b64 v[16:17], 2, v[16:17]
	v_mov_b32_e32 v18, s9
	v_sub_co_u32_e32 v16, vcc, s8, v16
	v_subb_co_u32_e32 v17, vcc, v18, v17, vcc
	s_waitcnt lgkmcnt(0)
	global_store_dword v[16:17], v15, off
                                        ; implicit-def: $vgpr15
.LBB1372_188:
	s_andn2_saveexec_b64 s[4:5], s[4:5]
	s_cbranch_execz .LBB1372_190
; %bb.189:
	v_lshlrev_b32_e32 v16, 2, v0
	ds_read_b32 v16, v16 offset:6144
	v_lshlrev_b32_e32 v15, 2, v15
	v_readfirstlane_b32 s6, v10
	v_readfirstlane_b32 s7, v11
	s_waitcnt lgkmcnt(0)
	s_nop 3
	global_store_dword v15, v16, s[6:7]
.LBB1372_190:
	s_or_b64 exec, exec, s[4:5]
                                        ; implicit-def: $vgpr15
.LBB1372_191:
	;; [unrolled: 51-line block ×8, first 2 shown]
	s_andn2_saveexec_b64 s[2:3], s[2:3]
	s_cbranch_execz .LBB1372_241
; %bb.240:
	v_lshlrev_b32_e32 v16, 2, v0
	ds_read_b32 v16, v16 offset:12288
	v_lshlrev_b32_e32 v15, 2, v15
	v_readfirstlane_b32 s4, v12
	v_readfirstlane_b32 s5, v13
	s_waitcnt lgkmcnt(0)
	s_nop 3
	global_store_dword v15, v16, s[4:5]
.LBB1372_241:
	s_or_b64 exec, exec, s[2:3]
	s_branch .LBB1372_135
.LBB1372_242:
	v_cmp_gt_u32_e32 vcc, s16, v0
	s_and_saveexec_b64 s[2:3], vcc
	s_cbranch_execz .LBB1372_251
; %bb.243:
	v_cmp_le_u32_e32 vcc, v6, v0
	s_and_saveexec_b64 s[4:5], vcc
	s_xor_b64 s[4:5], exec, s[4:5]
	s_cbranch_execz .LBB1372_249
; %bb.244:
	v_cmp_le_u32_e32 vcc, v14, v0
	s_and_saveexec_b64 s[6:7], vcc
	s_xor_b64 s[6:7], exec, s[6:7]
	s_cbranch_execz .LBB1372_246
; %bb.245:
	v_lshlrev_b32_e32 v15, 2, v0
	v_add_co_u32_e32 v16, vcc, v1, v0
	ds_read_b32 v15, v15
	v_addc_co_u32_e32 v17, vcc, 0, v8, vcc
	v_lshlrev_b64 v[16:17], 2, v[16:17]
	v_mov_b32_e32 v18, s35
	v_sub_co_u32_e32 v16, vcc, s34, v16
	v_subb_co_u32_e32 v17, vcc, v18, v17, vcc
	s_waitcnt lgkmcnt(0)
	global_store_dword v[16:17], v15, off offset:-4
.LBB1372_246:
	s_andn2_saveexec_b64 s[6:7], s[6:7]
	s_cbranch_execz .LBB1372_248
; %bb.247:
	v_lshlrev_b32_e32 v15, 2, v0
	ds_read_b32 v16, v15
	v_readfirstlane_b32 s10, v10
	v_readfirstlane_b32 s11, v11
	s_waitcnt lgkmcnt(0)
	s_nop 3
	global_store_dword v15, v16, s[10:11]
.LBB1372_248:
	s_or_b64 exec, exec, s[6:7]
.LBB1372_249:
	s_andn2_saveexec_b64 s[4:5], s[4:5]
	s_cbranch_execz .LBB1372_251
; %bb.250:
	v_lshlrev_b32_e32 v15, 2, v0
	ds_read_b32 v16, v15
	v_readfirstlane_b32 s4, v12
	v_readfirstlane_b32 s5, v13
	s_waitcnt lgkmcnt(0)
	s_nop 3
	global_store_dword v15, v16, s[4:5]
.LBB1372_251:
	s_or_b64 exec, exec, s[2:3]
	v_or_b32_e32 v15, 0x100, v0
	v_cmp_gt_u32_e32 vcc, s16, v15
	s_and_saveexec_b64 s[2:3], vcc
	s_cbranch_execz .LBB1372_260
; %bb.252:
	v_cmp_le_u32_e32 vcc, v6, v15
	s_and_saveexec_b64 s[4:5], vcc
	s_xor_b64 s[4:5], exec, s[4:5]
	s_cbranch_execz .LBB1372_258
; %bb.253:
	v_cmp_le_u32_e32 vcc, v14, v15
	s_and_saveexec_b64 s[6:7], vcc
	s_xor_b64 s[6:7], exec, s[6:7]
	s_cbranch_execz .LBB1372_255
; %bb.254:
	v_lshlrev_b32_e32 v15, 2, v0
	ds_read_b32 v15, v15 offset:1024
	v_add_co_u32_e32 v16, vcc, v1, v0
	v_addc_co_u32_e32 v17, vcc, 0, v8, vcc
	v_lshlrev_b64 v[16:17], 2, v[16:17]
	v_mov_b32_e32 v18, s9
	v_sub_co_u32_e32 v16, vcc, s8, v16
	v_subb_co_u32_e32 v17, vcc, v18, v17, vcc
	s_waitcnt lgkmcnt(0)
	global_store_dword v[16:17], v15, off offset:-1024
.LBB1372_255:
	s_andn2_saveexec_b64 s[6:7], s[6:7]
	s_cbranch_execz .LBB1372_257
; %bb.256:
	v_lshlrev_b32_e32 v15, 2, v0
	ds_read_b32 v16, v15 offset:1024
	v_readfirstlane_b32 s10, v10
	v_readfirstlane_b32 s11, v11
	s_waitcnt lgkmcnt(0)
	s_nop 3
	global_store_dword v15, v16, s[10:11] offset:1024
.LBB1372_257:
	s_or_b64 exec, exec, s[6:7]
.LBB1372_258:
	s_andn2_saveexec_b64 s[4:5], s[4:5]
	s_cbranch_execz .LBB1372_260
; %bb.259:
	v_lshlrev_b32_e32 v15, 2, v0
	ds_read_b32 v16, v15 offset:1024
	v_readfirstlane_b32 s4, v12
	v_readfirstlane_b32 s5, v13
	s_waitcnt lgkmcnt(0)
	s_nop 3
	global_store_dword v15, v16, s[4:5] offset:1024
.LBB1372_260:
	s_or_b64 exec, exec, s[2:3]
	v_or_b32_e32 v15, 0x200, v0
	v_cmp_gt_u32_e32 vcc, s16, v15
	s_and_saveexec_b64 s[2:3], vcc
	s_cbranch_execz .LBB1372_269
; %bb.261:
	v_cmp_le_u32_e32 vcc, v6, v15
	s_and_saveexec_b64 s[4:5], vcc
	s_xor_b64 s[4:5], exec, s[4:5]
	s_cbranch_execz .LBB1372_267
; %bb.262:
	v_cmp_le_u32_e32 vcc, v14, v15
	s_and_saveexec_b64 s[6:7], vcc
	s_xor_b64 s[6:7], exec, s[6:7]
	s_cbranch_execz .LBB1372_264
; %bb.263:
	v_lshlrev_b32_e32 v15, 2, v0
	ds_read_b32 v15, v15 offset:2048
	v_add_co_u32_e32 v16, vcc, v1, v0
	v_addc_co_u32_e32 v17, vcc, 0, v8, vcc
	v_lshlrev_b64 v[16:17], 2, v[16:17]
	v_mov_b32_e32 v18, s9
	v_sub_co_u32_e32 v16, vcc, s8, v16
	v_subb_co_u32_e32 v17, vcc, v18, v17, vcc
	s_waitcnt lgkmcnt(0)
	global_store_dword v[16:17], v15, off offset:-2048
.LBB1372_264:
	s_andn2_saveexec_b64 s[6:7], s[6:7]
	s_cbranch_execz .LBB1372_266
; %bb.265:
	v_lshlrev_b32_e32 v15, 2, v0
	ds_read_b32 v16, v15 offset:2048
	v_readfirstlane_b32 s10, v10
	v_readfirstlane_b32 s11, v11
	s_waitcnt lgkmcnt(0)
	s_nop 3
	global_store_dword v15, v16, s[10:11] offset:2048
.LBB1372_266:
	s_or_b64 exec, exec, s[6:7]
.LBB1372_267:
	s_andn2_saveexec_b64 s[4:5], s[4:5]
	s_cbranch_execz .LBB1372_269
; %bb.268:
	v_lshlrev_b32_e32 v15, 2, v0
	ds_read_b32 v16, v15 offset:2048
	v_readfirstlane_b32 s4, v12
	v_readfirstlane_b32 s5, v13
	s_waitcnt lgkmcnt(0)
	s_nop 3
	global_store_dword v15, v16, s[4:5] offset:2048
.LBB1372_269:
	;; [unrolled: 51-line block ×3, first 2 shown]
	s_or_b64 exec, exec, s[2:3]
	v_or_b32_e32 v15, 0x400, v0
	v_cmp_gt_u32_e32 vcc, s16, v15
	s_and_saveexec_b64 s[2:3], vcc
	s_cbranch_execz .LBB1372_287
; %bb.279:
	v_cmp_le_u32_e32 vcc, v6, v15
	s_and_saveexec_b64 s[4:5], vcc
	s_xor_b64 s[4:5], exec, s[4:5]
	s_cbranch_execz .LBB1372_285
; %bb.280:
	v_cmp_le_u32_e32 vcc, v14, v15
	s_and_saveexec_b64 s[6:7], vcc
	s_xor_b64 s[6:7], exec, s[6:7]
	s_cbranch_execz .LBB1372_282
; %bb.281:
	v_lshlrev_b32_e32 v15, 2, v0
	ds_read_b32 v15, v15 offset:4096
	v_add_co_u32_e32 v16, vcc, v1, v0
	v_addc_co_u32_e32 v17, vcc, 0, v8, vcc
	v_lshlrev_b64 v[16:17], 2, v[16:17]
	v_mov_b32_e32 v18, s9
	v_sub_co_u32_e32 v16, vcc, s8, v16
	v_subb_co_u32_e32 v17, vcc, v18, v17, vcc
	s_waitcnt lgkmcnt(0)
	global_store_dword v[16:17], v15, off offset:-4096
                                        ; implicit-def: $vgpr15
.LBB1372_282:
	s_andn2_saveexec_b64 s[6:7], s[6:7]
	s_cbranch_execz .LBB1372_284
; %bb.283:
	v_lshlrev_b32_e32 v16, 2, v0
	ds_read_b32 v16, v16 offset:4096
	v_lshlrev_b32_e32 v15, 2, v15
	v_readfirstlane_b32 s10, v10
	v_readfirstlane_b32 s11, v11
	s_waitcnt lgkmcnt(0)
	s_nop 3
	global_store_dword v15, v16, s[10:11]
.LBB1372_284:
	s_or_b64 exec, exec, s[6:7]
                                        ; implicit-def: $vgpr15
.LBB1372_285:
	s_andn2_saveexec_b64 s[4:5], s[4:5]
	s_cbranch_execz .LBB1372_287
; %bb.286:
	v_lshlrev_b32_e32 v16, 2, v0
	ds_read_b32 v16, v16 offset:4096
	v_lshlrev_b32_e32 v15, 2, v15
	v_readfirstlane_b32 s4, v12
	v_readfirstlane_b32 s5, v13
	s_waitcnt lgkmcnt(0)
	s_nop 3
	global_store_dword v15, v16, s[4:5]
.LBB1372_287:
	s_or_b64 exec, exec, s[2:3]
	v_or_b32_e32 v15, 0x500, v0
	v_cmp_gt_u32_e32 vcc, s16, v15
	s_and_saveexec_b64 s[2:3], vcc
	s_cbranch_execz .LBB1372_296
; %bb.288:
	v_cmp_le_u32_e32 vcc, v6, v15
	s_and_saveexec_b64 s[4:5], vcc
	s_xor_b64 s[4:5], exec, s[4:5]
	s_cbranch_execz .LBB1372_294
; %bb.289:
	v_cmp_le_u32_e32 vcc, v14, v15
	s_and_saveexec_b64 s[6:7], vcc
	s_xor_b64 s[6:7], exec, s[6:7]
	s_cbranch_execz .LBB1372_291
; %bb.290:
	v_add_co_u32_e32 v16, vcc, v1, v15
	v_lshlrev_b32_e32 v15, 2, v0
	ds_read_b32 v15, v15 offset:5120
	v_addc_co_u32_e32 v17, vcc, 0, v8, vcc
	v_lshlrev_b64 v[16:17], 2, v[16:17]
	v_mov_b32_e32 v18, s9
	v_sub_co_u32_e32 v16, vcc, s8, v16
	v_subb_co_u32_e32 v17, vcc, v18, v17, vcc
	s_waitcnt lgkmcnt(0)
	global_store_dword v[16:17], v15, off
                                        ; implicit-def: $vgpr15
.LBB1372_291:
	s_andn2_saveexec_b64 s[6:7], s[6:7]
	s_cbranch_execz .LBB1372_293
; %bb.292:
	v_lshlrev_b32_e32 v16, 2, v0
	ds_read_b32 v16, v16 offset:5120
	v_lshlrev_b32_e32 v15, 2, v15
	v_readfirstlane_b32 s10, v10
	v_readfirstlane_b32 s11, v11
	s_waitcnt lgkmcnt(0)
	s_nop 3
	global_store_dword v15, v16, s[10:11]
.LBB1372_293:
	s_or_b64 exec, exec, s[6:7]
                                        ; implicit-def: $vgpr15
.LBB1372_294:
	s_andn2_saveexec_b64 s[4:5], s[4:5]
	s_cbranch_execz .LBB1372_296
; %bb.295:
	v_lshlrev_b32_e32 v16, 2, v0
	ds_read_b32 v16, v16 offset:5120
	v_lshlrev_b32_e32 v15, 2, v15
	v_readfirstlane_b32 s4, v12
	v_readfirstlane_b32 s5, v13
	s_waitcnt lgkmcnt(0)
	s_nop 3
	global_store_dword v15, v16, s[4:5]
.LBB1372_296:
	s_or_b64 exec, exec, s[2:3]
	v_or_b32_e32 v15, 0x600, v0
	v_cmp_gt_u32_e32 vcc, s16, v15
	s_and_saveexec_b64 s[2:3], vcc
	s_cbranch_execz .LBB1372_305
; %bb.297:
	v_cmp_le_u32_e32 vcc, v6, v15
	s_and_saveexec_b64 s[4:5], vcc
	s_xor_b64 s[4:5], exec, s[4:5]
	s_cbranch_execz .LBB1372_303
; %bb.298:
	v_cmp_le_u32_e32 vcc, v14, v15
	s_and_saveexec_b64 s[6:7], vcc
	s_xor_b64 s[6:7], exec, s[6:7]
	s_cbranch_execz .LBB1372_300
; %bb.299:
	v_add_co_u32_e32 v16, vcc, v1, v15
	v_lshlrev_b32_e32 v15, 2, v0
	ds_read_b32 v15, v15 offset:6144
	v_addc_co_u32_e32 v17, vcc, 0, v8, vcc
	v_lshlrev_b64 v[16:17], 2, v[16:17]
	v_mov_b32_e32 v18, s9
	v_sub_co_u32_e32 v16, vcc, s8, v16
	v_subb_co_u32_e32 v17, vcc, v18, v17, vcc
	s_waitcnt lgkmcnt(0)
	global_store_dword v[16:17], v15, off
                                        ; implicit-def: $vgpr15
.LBB1372_300:
	s_andn2_saveexec_b64 s[6:7], s[6:7]
	s_cbranch_execz .LBB1372_302
; %bb.301:
	v_lshlrev_b32_e32 v16, 2, v0
	ds_read_b32 v16, v16 offset:6144
	v_lshlrev_b32_e32 v15, 2, v15
	v_readfirstlane_b32 s10, v10
	v_readfirstlane_b32 s11, v11
	s_waitcnt lgkmcnt(0)
	s_nop 3
	global_store_dword v15, v16, s[10:11]
.LBB1372_302:
	s_or_b64 exec, exec, s[6:7]
                                        ; implicit-def: $vgpr15
.LBB1372_303:
	s_andn2_saveexec_b64 s[4:5], s[4:5]
	s_cbranch_execz .LBB1372_305
; %bb.304:
	v_lshlrev_b32_e32 v16, 2, v0
	ds_read_b32 v16, v16 offset:6144
	v_lshlrev_b32_e32 v15, 2, v15
	v_readfirstlane_b32 s4, v12
	v_readfirstlane_b32 s5, v13
	s_waitcnt lgkmcnt(0)
	s_nop 3
	global_store_dword v15, v16, s[4:5]
.LBB1372_305:
	;; [unrolled: 55-line block ×7, first 2 shown]
	s_or_b64 exec, exec, s[2:3]
	v_or_b32_e32 v15, 0xc00, v0
	v_cmp_gt_u32_e32 vcc, s16, v15
	s_and_saveexec_b64 s[2:3], vcc
	s_cbranch_execz .LBB1372_359
; %bb.351:
	v_cmp_le_u32_e32 vcc, v6, v15
	s_and_saveexec_b64 s[4:5], vcc
	s_xor_b64 s[4:5], exec, s[4:5]
	s_cbranch_execz .LBB1372_357
; %bb.352:
	v_cmp_le_u32_e32 vcc, v14, v15
	s_and_saveexec_b64 s[6:7], vcc
	s_xor_b64 s[6:7], exec, s[6:7]
	s_cbranch_execz .LBB1372_354
; %bb.353:
	v_add_co_u32_e32 v10, vcc, v1, v15
	v_lshlrev_b32_e32 v0, 2, v0
	v_addc_co_u32_e32 v11, vcc, 0, v8, vcc
	ds_read_b32 v8, v0 offset:12288
	v_lshlrev_b64 v[0:1], 2, v[10:11]
	v_mov_b32_e32 v10, s9
	v_sub_co_u32_e32 v0, vcc, s8, v0
	v_subb_co_u32_e32 v1, vcc, v10, v1, vcc
	s_waitcnt lgkmcnt(0)
	global_store_dword v[0:1], v8, off
                                        ; implicit-def: $vgpr0
                                        ; implicit-def: $vgpr15
                                        ; implicit-def: $vgpr10_vgpr11
.LBB1372_354:
	s_andn2_saveexec_b64 s[6:7], s[6:7]
	s_cbranch_execz .LBB1372_356
; %bb.355:
	v_lshlrev_b32_e32 v0, 2, v0
	ds_read_b32 v0, v0 offset:12288
	v_lshlrev_b32_e32 v1, 2, v15
	v_readfirstlane_b32 s8, v10
	v_readfirstlane_b32 s9, v11
	s_waitcnt lgkmcnt(0)
	s_nop 3
	global_store_dword v1, v0, s[8:9]
.LBB1372_356:
	s_or_b64 exec, exec, s[6:7]
                                        ; implicit-def: $vgpr0
                                        ; implicit-def: $vgpr15
                                        ; implicit-def: $vgpr12_vgpr13
.LBB1372_357:
	s_andn2_saveexec_b64 s[4:5], s[4:5]
	s_cbranch_execz .LBB1372_359
; %bb.358:
	v_lshlrev_b32_e32 v0, 2, v0
	ds_read_b32 v0, v0 offset:12288
	v_lshlrev_b32_e32 v1, 2, v15
	v_readfirstlane_b32 s4, v12
	v_readfirstlane_b32 s5, v13
	s_waitcnt lgkmcnt(0)
	s_nop 3
	global_store_dword v1, v0, s[4:5]
.LBB1372_359:
	s_or_b64 exec, exec, s[2:3]
	s_and_b64 s[0:1], s[0:1], s[30:31]
	s_and_saveexec_b64 s[2:3], s[0:1]
	s_cbranch_execz .LBB1372_136
.LBB1372_360:
	v_add_co_u32_e32 v0, vcc, v2, v6
	v_addc_co_u32_e32 v1, vcc, 0, v3, vcc
	v_add_co_u32_e32 v2, vcc, v4, v7
	v_addc_co_u32_e32 v3, vcc, 0, v5, vcc
	v_add_co_u32_e32 v2, vcc, v2, v9
	v_mov_b32_e32 v8, 0
	v_addc_co_u32_e32 v3, vcc, 0, v3, vcc
	global_store_dwordx4 v8, v[0:3], s[28:29]
	s_endpgm
	.section	.rodata,"a",@progbits
	.p2align	6, 0x0
	.amdhsa_kernel _ZN7rocprim17ROCPRIM_400000_NS6detail17trampoline_kernelINS0_13select_configILj256ELj13ELNS0_17block_load_methodE3ELS4_3ELS4_3ELNS0_20block_scan_algorithmE0ELj4294967295EEENS1_25partition_config_selectorILNS1_17partition_subalgoE4EjNS0_10empty_typeEbEEZZNS1_14partition_implILS8_4ELb0ES6_15HIP_vector_typeIjLj2EENS0_17counting_iteratorIjlEEPS9_SG_NS0_5tupleIJPjSI_NS0_16reverse_iteratorISI_EEEEENSH_IJSG_SG_SG_EEES9_SI_JZNS1_25segmented_radix_sort_implINS0_14default_configELb0EPKfPfPKlPlN2at6native12_GLOBAL__N_18offset_tEEE10hipError_tPvRmT1_PNSt15iterator_traitsIS12_E10value_typeET2_T3_PNS13_IS18_E10value_typeET4_jRbjT5_S1E_jjP12ihipStream_tbEUljE_ZNSN_ISO_Lb0ESQ_SR_ST_SU_SY_EESZ_S10_S11_S12_S16_S17_S18_S1B_S1C_jS1D_jS1E_S1E_jjS1G_bEUljE0_EEESZ_S10_S11_S18_S1C_S1E_T6_T7_T9_mT8_S1G_bDpT10_ENKUlT_T0_E_clISt17integral_constantIbLb1EES1U_EEDaS1P_S1Q_EUlS1P_E_NS1_11comp_targetILNS1_3genE4ELNS1_11target_archE910ELNS1_3gpuE8ELNS1_3repE0EEENS1_30default_config_static_selectorELNS0_4arch9wavefront6targetE1EEEvS12_
		.amdhsa_group_segment_fixed_size 13340
		.amdhsa_private_segment_fixed_size 0
		.amdhsa_kernarg_size 184
		.amdhsa_user_sgpr_count 6
		.amdhsa_user_sgpr_private_segment_buffer 1
		.amdhsa_user_sgpr_dispatch_ptr 0
		.amdhsa_user_sgpr_queue_ptr 0
		.amdhsa_user_sgpr_kernarg_segment_ptr 1
		.amdhsa_user_sgpr_dispatch_id 0
		.amdhsa_user_sgpr_flat_scratch_init 0
		.amdhsa_user_sgpr_kernarg_preload_length 0
		.amdhsa_user_sgpr_kernarg_preload_offset 0
		.amdhsa_user_sgpr_private_segment_size 0
		.amdhsa_uses_dynamic_stack 0
		.amdhsa_system_sgpr_private_segment_wavefront_offset 0
		.amdhsa_system_sgpr_workgroup_id_x 1
		.amdhsa_system_sgpr_workgroup_id_y 0
		.amdhsa_system_sgpr_workgroup_id_z 0
		.amdhsa_system_sgpr_workgroup_info 0
		.amdhsa_system_vgpr_workitem_id 0
		.amdhsa_next_free_vgpr 107
		.amdhsa_next_free_sgpr 87
		.amdhsa_accum_offset 108
		.amdhsa_reserve_vcc 1
		.amdhsa_reserve_flat_scratch 0
		.amdhsa_float_round_mode_32 0
		.amdhsa_float_round_mode_16_64 0
		.amdhsa_float_denorm_mode_32 3
		.amdhsa_float_denorm_mode_16_64 3
		.amdhsa_dx10_clamp 1
		.amdhsa_ieee_mode 1
		.amdhsa_fp16_overflow 0
		.amdhsa_tg_split 0
		.amdhsa_exception_fp_ieee_invalid_op 0
		.amdhsa_exception_fp_denorm_src 0
		.amdhsa_exception_fp_ieee_div_zero 0
		.amdhsa_exception_fp_ieee_overflow 0
		.amdhsa_exception_fp_ieee_underflow 0
		.amdhsa_exception_fp_ieee_inexact 0
		.amdhsa_exception_int_div_zero 0
	.end_amdhsa_kernel
	.section	.text._ZN7rocprim17ROCPRIM_400000_NS6detail17trampoline_kernelINS0_13select_configILj256ELj13ELNS0_17block_load_methodE3ELS4_3ELS4_3ELNS0_20block_scan_algorithmE0ELj4294967295EEENS1_25partition_config_selectorILNS1_17partition_subalgoE4EjNS0_10empty_typeEbEEZZNS1_14partition_implILS8_4ELb0ES6_15HIP_vector_typeIjLj2EENS0_17counting_iteratorIjlEEPS9_SG_NS0_5tupleIJPjSI_NS0_16reverse_iteratorISI_EEEEENSH_IJSG_SG_SG_EEES9_SI_JZNS1_25segmented_radix_sort_implINS0_14default_configELb0EPKfPfPKlPlN2at6native12_GLOBAL__N_18offset_tEEE10hipError_tPvRmT1_PNSt15iterator_traitsIS12_E10value_typeET2_T3_PNS13_IS18_E10value_typeET4_jRbjT5_S1E_jjP12ihipStream_tbEUljE_ZNSN_ISO_Lb0ESQ_SR_ST_SU_SY_EESZ_S10_S11_S12_S16_S17_S18_S1B_S1C_jS1D_jS1E_S1E_jjS1G_bEUljE0_EEESZ_S10_S11_S18_S1C_S1E_T6_T7_T9_mT8_S1G_bDpT10_ENKUlT_T0_E_clISt17integral_constantIbLb1EES1U_EEDaS1P_S1Q_EUlS1P_E_NS1_11comp_targetILNS1_3genE4ELNS1_11target_archE910ELNS1_3gpuE8ELNS1_3repE0EEENS1_30default_config_static_selectorELNS0_4arch9wavefront6targetE1EEEvS12_,"axG",@progbits,_ZN7rocprim17ROCPRIM_400000_NS6detail17trampoline_kernelINS0_13select_configILj256ELj13ELNS0_17block_load_methodE3ELS4_3ELS4_3ELNS0_20block_scan_algorithmE0ELj4294967295EEENS1_25partition_config_selectorILNS1_17partition_subalgoE4EjNS0_10empty_typeEbEEZZNS1_14partition_implILS8_4ELb0ES6_15HIP_vector_typeIjLj2EENS0_17counting_iteratorIjlEEPS9_SG_NS0_5tupleIJPjSI_NS0_16reverse_iteratorISI_EEEEENSH_IJSG_SG_SG_EEES9_SI_JZNS1_25segmented_radix_sort_implINS0_14default_configELb0EPKfPfPKlPlN2at6native12_GLOBAL__N_18offset_tEEE10hipError_tPvRmT1_PNSt15iterator_traitsIS12_E10value_typeET2_T3_PNS13_IS18_E10value_typeET4_jRbjT5_S1E_jjP12ihipStream_tbEUljE_ZNSN_ISO_Lb0ESQ_SR_ST_SU_SY_EESZ_S10_S11_S12_S16_S17_S18_S1B_S1C_jS1D_jS1E_S1E_jjS1G_bEUljE0_EEESZ_S10_S11_S18_S1C_S1E_T6_T7_T9_mT8_S1G_bDpT10_ENKUlT_T0_E_clISt17integral_constantIbLb1EES1U_EEDaS1P_S1Q_EUlS1P_E_NS1_11comp_targetILNS1_3genE4ELNS1_11target_archE910ELNS1_3gpuE8ELNS1_3repE0EEENS1_30default_config_static_selectorELNS0_4arch9wavefront6targetE1EEEvS12_,comdat
.Lfunc_end1372:
	.size	_ZN7rocprim17ROCPRIM_400000_NS6detail17trampoline_kernelINS0_13select_configILj256ELj13ELNS0_17block_load_methodE3ELS4_3ELS4_3ELNS0_20block_scan_algorithmE0ELj4294967295EEENS1_25partition_config_selectorILNS1_17partition_subalgoE4EjNS0_10empty_typeEbEEZZNS1_14partition_implILS8_4ELb0ES6_15HIP_vector_typeIjLj2EENS0_17counting_iteratorIjlEEPS9_SG_NS0_5tupleIJPjSI_NS0_16reverse_iteratorISI_EEEEENSH_IJSG_SG_SG_EEES9_SI_JZNS1_25segmented_radix_sort_implINS0_14default_configELb0EPKfPfPKlPlN2at6native12_GLOBAL__N_18offset_tEEE10hipError_tPvRmT1_PNSt15iterator_traitsIS12_E10value_typeET2_T3_PNS13_IS18_E10value_typeET4_jRbjT5_S1E_jjP12ihipStream_tbEUljE_ZNSN_ISO_Lb0ESQ_SR_ST_SU_SY_EESZ_S10_S11_S12_S16_S17_S18_S1B_S1C_jS1D_jS1E_S1E_jjS1G_bEUljE0_EEESZ_S10_S11_S18_S1C_S1E_T6_T7_T9_mT8_S1G_bDpT10_ENKUlT_T0_E_clISt17integral_constantIbLb1EES1U_EEDaS1P_S1Q_EUlS1P_E_NS1_11comp_targetILNS1_3genE4ELNS1_11target_archE910ELNS1_3gpuE8ELNS1_3repE0EEENS1_30default_config_static_selectorELNS0_4arch9wavefront6targetE1EEEvS12_, .Lfunc_end1372-_ZN7rocprim17ROCPRIM_400000_NS6detail17trampoline_kernelINS0_13select_configILj256ELj13ELNS0_17block_load_methodE3ELS4_3ELS4_3ELNS0_20block_scan_algorithmE0ELj4294967295EEENS1_25partition_config_selectorILNS1_17partition_subalgoE4EjNS0_10empty_typeEbEEZZNS1_14partition_implILS8_4ELb0ES6_15HIP_vector_typeIjLj2EENS0_17counting_iteratorIjlEEPS9_SG_NS0_5tupleIJPjSI_NS0_16reverse_iteratorISI_EEEEENSH_IJSG_SG_SG_EEES9_SI_JZNS1_25segmented_radix_sort_implINS0_14default_configELb0EPKfPfPKlPlN2at6native12_GLOBAL__N_18offset_tEEE10hipError_tPvRmT1_PNSt15iterator_traitsIS12_E10value_typeET2_T3_PNS13_IS18_E10value_typeET4_jRbjT5_S1E_jjP12ihipStream_tbEUljE_ZNSN_ISO_Lb0ESQ_SR_ST_SU_SY_EESZ_S10_S11_S12_S16_S17_S18_S1B_S1C_jS1D_jS1E_S1E_jjS1G_bEUljE0_EEESZ_S10_S11_S18_S1C_S1E_T6_T7_T9_mT8_S1G_bDpT10_ENKUlT_T0_E_clISt17integral_constantIbLb1EES1U_EEDaS1P_S1Q_EUlS1P_E_NS1_11comp_targetILNS1_3genE4ELNS1_11target_archE910ELNS1_3gpuE8ELNS1_3repE0EEENS1_30default_config_static_selectorELNS0_4arch9wavefront6targetE1EEEvS12_
                                        ; -- End function
	.section	.AMDGPU.csdata,"",@progbits
; Kernel info:
; codeLenInByte = 13512
; NumSgprs: 91
; NumVgprs: 107
; NumAgprs: 0
; TotalNumVgprs: 107
; ScratchSize: 0
; MemoryBound: 0
; FloatMode: 240
; IeeeMode: 1
; LDSByteSize: 13340 bytes/workgroup (compile time only)
; SGPRBlocks: 11
; VGPRBlocks: 13
; NumSGPRsForWavesPerEU: 91
; NumVGPRsForWavesPerEU: 107
; AccumOffset: 108
; Occupancy: 4
; WaveLimiterHint : 1
; COMPUTE_PGM_RSRC2:SCRATCH_EN: 0
; COMPUTE_PGM_RSRC2:USER_SGPR: 6
; COMPUTE_PGM_RSRC2:TRAP_HANDLER: 0
; COMPUTE_PGM_RSRC2:TGID_X_EN: 1
; COMPUTE_PGM_RSRC2:TGID_Y_EN: 0
; COMPUTE_PGM_RSRC2:TGID_Z_EN: 0
; COMPUTE_PGM_RSRC2:TIDIG_COMP_CNT: 0
; COMPUTE_PGM_RSRC3_GFX90A:ACCUM_OFFSET: 26
; COMPUTE_PGM_RSRC3_GFX90A:TG_SPLIT: 0
	.section	.text._ZN7rocprim17ROCPRIM_400000_NS6detail17trampoline_kernelINS0_13select_configILj256ELj13ELNS0_17block_load_methodE3ELS4_3ELS4_3ELNS0_20block_scan_algorithmE0ELj4294967295EEENS1_25partition_config_selectorILNS1_17partition_subalgoE4EjNS0_10empty_typeEbEEZZNS1_14partition_implILS8_4ELb0ES6_15HIP_vector_typeIjLj2EENS0_17counting_iteratorIjlEEPS9_SG_NS0_5tupleIJPjSI_NS0_16reverse_iteratorISI_EEEEENSH_IJSG_SG_SG_EEES9_SI_JZNS1_25segmented_radix_sort_implINS0_14default_configELb0EPKfPfPKlPlN2at6native12_GLOBAL__N_18offset_tEEE10hipError_tPvRmT1_PNSt15iterator_traitsIS12_E10value_typeET2_T3_PNS13_IS18_E10value_typeET4_jRbjT5_S1E_jjP12ihipStream_tbEUljE_ZNSN_ISO_Lb0ESQ_SR_ST_SU_SY_EESZ_S10_S11_S12_S16_S17_S18_S1B_S1C_jS1D_jS1E_S1E_jjS1G_bEUljE0_EEESZ_S10_S11_S18_S1C_S1E_T6_T7_T9_mT8_S1G_bDpT10_ENKUlT_T0_E_clISt17integral_constantIbLb1EES1U_EEDaS1P_S1Q_EUlS1P_E_NS1_11comp_targetILNS1_3genE3ELNS1_11target_archE908ELNS1_3gpuE7ELNS1_3repE0EEENS1_30default_config_static_selectorELNS0_4arch9wavefront6targetE1EEEvS12_,"axG",@progbits,_ZN7rocprim17ROCPRIM_400000_NS6detail17trampoline_kernelINS0_13select_configILj256ELj13ELNS0_17block_load_methodE3ELS4_3ELS4_3ELNS0_20block_scan_algorithmE0ELj4294967295EEENS1_25partition_config_selectorILNS1_17partition_subalgoE4EjNS0_10empty_typeEbEEZZNS1_14partition_implILS8_4ELb0ES6_15HIP_vector_typeIjLj2EENS0_17counting_iteratorIjlEEPS9_SG_NS0_5tupleIJPjSI_NS0_16reverse_iteratorISI_EEEEENSH_IJSG_SG_SG_EEES9_SI_JZNS1_25segmented_radix_sort_implINS0_14default_configELb0EPKfPfPKlPlN2at6native12_GLOBAL__N_18offset_tEEE10hipError_tPvRmT1_PNSt15iterator_traitsIS12_E10value_typeET2_T3_PNS13_IS18_E10value_typeET4_jRbjT5_S1E_jjP12ihipStream_tbEUljE_ZNSN_ISO_Lb0ESQ_SR_ST_SU_SY_EESZ_S10_S11_S12_S16_S17_S18_S1B_S1C_jS1D_jS1E_S1E_jjS1G_bEUljE0_EEESZ_S10_S11_S18_S1C_S1E_T6_T7_T9_mT8_S1G_bDpT10_ENKUlT_T0_E_clISt17integral_constantIbLb1EES1U_EEDaS1P_S1Q_EUlS1P_E_NS1_11comp_targetILNS1_3genE3ELNS1_11target_archE908ELNS1_3gpuE7ELNS1_3repE0EEENS1_30default_config_static_selectorELNS0_4arch9wavefront6targetE1EEEvS12_,comdat
	.globl	_ZN7rocprim17ROCPRIM_400000_NS6detail17trampoline_kernelINS0_13select_configILj256ELj13ELNS0_17block_load_methodE3ELS4_3ELS4_3ELNS0_20block_scan_algorithmE0ELj4294967295EEENS1_25partition_config_selectorILNS1_17partition_subalgoE4EjNS0_10empty_typeEbEEZZNS1_14partition_implILS8_4ELb0ES6_15HIP_vector_typeIjLj2EENS0_17counting_iteratorIjlEEPS9_SG_NS0_5tupleIJPjSI_NS0_16reverse_iteratorISI_EEEEENSH_IJSG_SG_SG_EEES9_SI_JZNS1_25segmented_radix_sort_implINS0_14default_configELb0EPKfPfPKlPlN2at6native12_GLOBAL__N_18offset_tEEE10hipError_tPvRmT1_PNSt15iterator_traitsIS12_E10value_typeET2_T3_PNS13_IS18_E10value_typeET4_jRbjT5_S1E_jjP12ihipStream_tbEUljE_ZNSN_ISO_Lb0ESQ_SR_ST_SU_SY_EESZ_S10_S11_S12_S16_S17_S18_S1B_S1C_jS1D_jS1E_S1E_jjS1G_bEUljE0_EEESZ_S10_S11_S18_S1C_S1E_T6_T7_T9_mT8_S1G_bDpT10_ENKUlT_T0_E_clISt17integral_constantIbLb1EES1U_EEDaS1P_S1Q_EUlS1P_E_NS1_11comp_targetILNS1_3genE3ELNS1_11target_archE908ELNS1_3gpuE7ELNS1_3repE0EEENS1_30default_config_static_selectorELNS0_4arch9wavefront6targetE1EEEvS12_ ; -- Begin function _ZN7rocprim17ROCPRIM_400000_NS6detail17trampoline_kernelINS0_13select_configILj256ELj13ELNS0_17block_load_methodE3ELS4_3ELS4_3ELNS0_20block_scan_algorithmE0ELj4294967295EEENS1_25partition_config_selectorILNS1_17partition_subalgoE4EjNS0_10empty_typeEbEEZZNS1_14partition_implILS8_4ELb0ES6_15HIP_vector_typeIjLj2EENS0_17counting_iteratorIjlEEPS9_SG_NS0_5tupleIJPjSI_NS0_16reverse_iteratorISI_EEEEENSH_IJSG_SG_SG_EEES9_SI_JZNS1_25segmented_radix_sort_implINS0_14default_configELb0EPKfPfPKlPlN2at6native12_GLOBAL__N_18offset_tEEE10hipError_tPvRmT1_PNSt15iterator_traitsIS12_E10value_typeET2_T3_PNS13_IS18_E10value_typeET4_jRbjT5_S1E_jjP12ihipStream_tbEUljE_ZNSN_ISO_Lb0ESQ_SR_ST_SU_SY_EESZ_S10_S11_S12_S16_S17_S18_S1B_S1C_jS1D_jS1E_S1E_jjS1G_bEUljE0_EEESZ_S10_S11_S18_S1C_S1E_T6_T7_T9_mT8_S1G_bDpT10_ENKUlT_T0_E_clISt17integral_constantIbLb1EES1U_EEDaS1P_S1Q_EUlS1P_E_NS1_11comp_targetILNS1_3genE3ELNS1_11target_archE908ELNS1_3gpuE7ELNS1_3repE0EEENS1_30default_config_static_selectorELNS0_4arch9wavefront6targetE1EEEvS12_
	.p2align	8
	.type	_ZN7rocprim17ROCPRIM_400000_NS6detail17trampoline_kernelINS0_13select_configILj256ELj13ELNS0_17block_load_methodE3ELS4_3ELS4_3ELNS0_20block_scan_algorithmE0ELj4294967295EEENS1_25partition_config_selectorILNS1_17partition_subalgoE4EjNS0_10empty_typeEbEEZZNS1_14partition_implILS8_4ELb0ES6_15HIP_vector_typeIjLj2EENS0_17counting_iteratorIjlEEPS9_SG_NS0_5tupleIJPjSI_NS0_16reverse_iteratorISI_EEEEENSH_IJSG_SG_SG_EEES9_SI_JZNS1_25segmented_radix_sort_implINS0_14default_configELb0EPKfPfPKlPlN2at6native12_GLOBAL__N_18offset_tEEE10hipError_tPvRmT1_PNSt15iterator_traitsIS12_E10value_typeET2_T3_PNS13_IS18_E10value_typeET4_jRbjT5_S1E_jjP12ihipStream_tbEUljE_ZNSN_ISO_Lb0ESQ_SR_ST_SU_SY_EESZ_S10_S11_S12_S16_S17_S18_S1B_S1C_jS1D_jS1E_S1E_jjS1G_bEUljE0_EEESZ_S10_S11_S18_S1C_S1E_T6_T7_T9_mT8_S1G_bDpT10_ENKUlT_T0_E_clISt17integral_constantIbLb1EES1U_EEDaS1P_S1Q_EUlS1P_E_NS1_11comp_targetILNS1_3genE3ELNS1_11target_archE908ELNS1_3gpuE7ELNS1_3repE0EEENS1_30default_config_static_selectorELNS0_4arch9wavefront6targetE1EEEvS12_,@function
_ZN7rocprim17ROCPRIM_400000_NS6detail17trampoline_kernelINS0_13select_configILj256ELj13ELNS0_17block_load_methodE3ELS4_3ELS4_3ELNS0_20block_scan_algorithmE0ELj4294967295EEENS1_25partition_config_selectorILNS1_17partition_subalgoE4EjNS0_10empty_typeEbEEZZNS1_14partition_implILS8_4ELb0ES6_15HIP_vector_typeIjLj2EENS0_17counting_iteratorIjlEEPS9_SG_NS0_5tupleIJPjSI_NS0_16reverse_iteratorISI_EEEEENSH_IJSG_SG_SG_EEES9_SI_JZNS1_25segmented_radix_sort_implINS0_14default_configELb0EPKfPfPKlPlN2at6native12_GLOBAL__N_18offset_tEEE10hipError_tPvRmT1_PNSt15iterator_traitsIS12_E10value_typeET2_T3_PNS13_IS18_E10value_typeET4_jRbjT5_S1E_jjP12ihipStream_tbEUljE_ZNSN_ISO_Lb0ESQ_SR_ST_SU_SY_EESZ_S10_S11_S12_S16_S17_S18_S1B_S1C_jS1D_jS1E_S1E_jjS1G_bEUljE0_EEESZ_S10_S11_S18_S1C_S1E_T6_T7_T9_mT8_S1G_bDpT10_ENKUlT_T0_E_clISt17integral_constantIbLb1EES1U_EEDaS1P_S1Q_EUlS1P_E_NS1_11comp_targetILNS1_3genE3ELNS1_11target_archE908ELNS1_3gpuE7ELNS1_3repE0EEENS1_30default_config_static_selectorELNS0_4arch9wavefront6targetE1EEEvS12_: ; @_ZN7rocprim17ROCPRIM_400000_NS6detail17trampoline_kernelINS0_13select_configILj256ELj13ELNS0_17block_load_methodE3ELS4_3ELS4_3ELNS0_20block_scan_algorithmE0ELj4294967295EEENS1_25partition_config_selectorILNS1_17partition_subalgoE4EjNS0_10empty_typeEbEEZZNS1_14partition_implILS8_4ELb0ES6_15HIP_vector_typeIjLj2EENS0_17counting_iteratorIjlEEPS9_SG_NS0_5tupleIJPjSI_NS0_16reverse_iteratorISI_EEEEENSH_IJSG_SG_SG_EEES9_SI_JZNS1_25segmented_radix_sort_implINS0_14default_configELb0EPKfPfPKlPlN2at6native12_GLOBAL__N_18offset_tEEE10hipError_tPvRmT1_PNSt15iterator_traitsIS12_E10value_typeET2_T3_PNS13_IS18_E10value_typeET4_jRbjT5_S1E_jjP12ihipStream_tbEUljE_ZNSN_ISO_Lb0ESQ_SR_ST_SU_SY_EESZ_S10_S11_S12_S16_S17_S18_S1B_S1C_jS1D_jS1E_S1E_jjS1G_bEUljE0_EEESZ_S10_S11_S18_S1C_S1E_T6_T7_T9_mT8_S1G_bDpT10_ENKUlT_T0_E_clISt17integral_constantIbLb1EES1U_EEDaS1P_S1Q_EUlS1P_E_NS1_11comp_targetILNS1_3genE3ELNS1_11target_archE908ELNS1_3gpuE7ELNS1_3repE0EEENS1_30default_config_static_selectorELNS0_4arch9wavefront6targetE1EEEvS12_
; %bb.0:
	.section	.rodata,"a",@progbits
	.p2align	6, 0x0
	.amdhsa_kernel _ZN7rocprim17ROCPRIM_400000_NS6detail17trampoline_kernelINS0_13select_configILj256ELj13ELNS0_17block_load_methodE3ELS4_3ELS4_3ELNS0_20block_scan_algorithmE0ELj4294967295EEENS1_25partition_config_selectorILNS1_17partition_subalgoE4EjNS0_10empty_typeEbEEZZNS1_14partition_implILS8_4ELb0ES6_15HIP_vector_typeIjLj2EENS0_17counting_iteratorIjlEEPS9_SG_NS0_5tupleIJPjSI_NS0_16reverse_iteratorISI_EEEEENSH_IJSG_SG_SG_EEES9_SI_JZNS1_25segmented_radix_sort_implINS0_14default_configELb0EPKfPfPKlPlN2at6native12_GLOBAL__N_18offset_tEEE10hipError_tPvRmT1_PNSt15iterator_traitsIS12_E10value_typeET2_T3_PNS13_IS18_E10value_typeET4_jRbjT5_S1E_jjP12ihipStream_tbEUljE_ZNSN_ISO_Lb0ESQ_SR_ST_SU_SY_EESZ_S10_S11_S12_S16_S17_S18_S1B_S1C_jS1D_jS1E_S1E_jjS1G_bEUljE0_EEESZ_S10_S11_S18_S1C_S1E_T6_T7_T9_mT8_S1G_bDpT10_ENKUlT_T0_E_clISt17integral_constantIbLb1EES1U_EEDaS1P_S1Q_EUlS1P_E_NS1_11comp_targetILNS1_3genE3ELNS1_11target_archE908ELNS1_3gpuE7ELNS1_3repE0EEENS1_30default_config_static_selectorELNS0_4arch9wavefront6targetE1EEEvS12_
		.amdhsa_group_segment_fixed_size 0
		.amdhsa_private_segment_fixed_size 0
		.amdhsa_kernarg_size 184
		.amdhsa_user_sgpr_count 6
		.amdhsa_user_sgpr_private_segment_buffer 1
		.amdhsa_user_sgpr_dispatch_ptr 0
		.amdhsa_user_sgpr_queue_ptr 0
		.amdhsa_user_sgpr_kernarg_segment_ptr 1
		.amdhsa_user_sgpr_dispatch_id 0
		.amdhsa_user_sgpr_flat_scratch_init 0
		.amdhsa_user_sgpr_kernarg_preload_length 0
		.amdhsa_user_sgpr_kernarg_preload_offset 0
		.amdhsa_user_sgpr_private_segment_size 0
		.amdhsa_uses_dynamic_stack 0
		.amdhsa_system_sgpr_private_segment_wavefront_offset 0
		.amdhsa_system_sgpr_workgroup_id_x 1
		.amdhsa_system_sgpr_workgroup_id_y 0
		.amdhsa_system_sgpr_workgroup_id_z 0
		.amdhsa_system_sgpr_workgroup_info 0
		.amdhsa_system_vgpr_workitem_id 0
		.amdhsa_next_free_vgpr 1
		.amdhsa_next_free_sgpr 0
		.amdhsa_accum_offset 4
		.amdhsa_reserve_vcc 0
		.amdhsa_reserve_flat_scratch 0
		.amdhsa_float_round_mode_32 0
		.amdhsa_float_round_mode_16_64 0
		.amdhsa_float_denorm_mode_32 3
		.amdhsa_float_denorm_mode_16_64 3
		.amdhsa_dx10_clamp 1
		.amdhsa_ieee_mode 1
		.amdhsa_fp16_overflow 0
		.amdhsa_tg_split 0
		.amdhsa_exception_fp_ieee_invalid_op 0
		.amdhsa_exception_fp_denorm_src 0
		.amdhsa_exception_fp_ieee_div_zero 0
		.amdhsa_exception_fp_ieee_overflow 0
		.amdhsa_exception_fp_ieee_underflow 0
		.amdhsa_exception_fp_ieee_inexact 0
		.amdhsa_exception_int_div_zero 0
	.end_amdhsa_kernel
	.section	.text._ZN7rocprim17ROCPRIM_400000_NS6detail17trampoline_kernelINS0_13select_configILj256ELj13ELNS0_17block_load_methodE3ELS4_3ELS4_3ELNS0_20block_scan_algorithmE0ELj4294967295EEENS1_25partition_config_selectorILNS1_17partition_subalgoE4EjNS0_10empty_typeEbEEZZNS1_14partition_implILS8_4ELb0ES6_15HIP_vector_typeIjLj2EENS0_17counting_iteratorIjlEEPS9_SG_NS0_5tupleIJPjSI_NS0_16reverse_iteratorISI_EEEEENSH_IJSG_SG_SG_EEES9_SI_JZNS1_25segmented_radix_sort_implINS0_14default_configELb0EPKfPfPKlPlN2at6native12_GLOBAL__N_18offset_tEEE10hipError_tPvRmT1_PNSt15iterator_traitsIS12_E10value_typeET2_T3_PNS13_IS18_E10value_typeET4_jRbjT5_S1E_jjP12ihipStream_tbEUljE_ZNSN_ISO_Lb0ESQ_SR_ST_SU_SY_EESZ_S10_S11_S12_S16_S17_S18_S1B_S1C_jS1D_jS1E_S1E_jjS1G_bEUljE0_EEESZ_S10_S11_S18_S1C_S1E_T6_T7_T9_mT8_S1G_bDpT10_ENKUlT_T0_E_clISt17integral_constantIbLb1EES1U_EEDaS1P_S1Q_EUlS1P_E_NS1_11comp_targetILNS1_3genE3ELNS1_11target_archE908ELNS1_3gpuE7ELNS1_3repE0EEENS1_30default_config_static_selectorELNS0_4arch9wavefront6targetE1EEEvS12_,"axG",@progbits,_ZN7rocprim17ROCPRIM_400000_NS6detail17trampoline_kernelINS0_13select_configILj256ELj13ELNS0_17block_load_methodE3ELS4_3ELS4_3ELNS0_20block_scan_algorithmE0ELj4294967295EEENS1_25partition_config_selectorILNS1_17partition_subalgoE4EjNS0_10empty_typeEbEEZZNS1_14partition_implILS8_4ELb0ES6_15HIP_vector_typeIjLj2EENS0_17counting_iteratorIjlEEPS9_SG_NS0_5tupleIJPjSI_NS0_16reverse_iteratorISI_EEEEENSH_IJSG_SG_SG_EEES9_SI_JZNS1_25segmented_radix_sort_implINS0_14default_configELb0EPKfPfPKlPlN2at6native12_GLOBAL__N_18offset_tEEE10hipError_tPvRmT1_PNSt15iterator_traitsIS12_E10value_typeET2_T3_PNS13_IS18_E10value_typeET4_jRbjT5_S1E_jjP12ihipStream_tbEUljE_ZNSN_ISO_Lb0ESQ_SR_ST_SU_SY_EESZ_S10_S11_S12_S16_S17_S18_S1B_S1C_jS1D_jS1E_S1E_jjS1G_bEUljE0_EEESZ_S10_S11_S18_S1C_S1E_T6_T7_T9_mT8_S1G_bDpT10_ENKUlT_T0_E_clISt17integral_constantIbLb1EES1U_EEDaS1P_S1Q_EUlS1P_E_NS1_11comp_targetILNS1_3genE3ELNS1_11target_archE908ELNS1_3gpuE7ELNS1_3repE0EEENS1_30default_config_static_selectorELNS0_4arch9wavefront6targetE1EEEvS12_,comdat
.Lfunc_end1373:
	.size	_ZN7rocprim17ROCPRIM_400000_NS6detail17trampoline_kernelINS0_13select_configILj256ELj13ELNS0_17block_load_methodE3ELS4_3ELS4_3ELNS0_20block_scan_algorithmE0ELj4294967295EEENS1_25partition_config_selectorILNS1_17partition_subalgoE4EjNS0_10empty_typeEbEEZZNS1_14partition_implILS8_4ELb0ES6_15HIP_vector_typeIjLj2EENS0_17counting_iteratorIjlEEPS9_SG_NS0_5tupleIJPjSI_NS0_16reverse_iteratorISI_EEEEENSH_IJSG_SG_SG_EEES9_SI_JZNS1_25segmented_radix_sort_implINS0_14default_configELb0EPKfPfPKlPlN2at6native12_GLOBAL__N_18offset_tEEE10hipError_tPvRmT1_PNSt15iterator_traitsIS12_E10value_typeET2_T3_PNS13_IS18_E10value_typeET4_jRbjT5_S1E_jjP12ihipStream_tbEUljE_ZNSN_ISO_Lb0ESQ_SR_ST_SU_SY_EESZ_S10_S11_S12_S16_S17_S18_S1B_S1C_jS1D_jS1E_S1E_jjS1G_bEUljE0_EEESZ_S10_S11_S18_S1C_S1E_T6_T7_T9_mT8_S1G_bDpT10_ENKUlT_T0_E_clISt17integral_constantIbLb1EES1U_EEDaS1P_S1Q_EUlS1P_E_NS1_11comp_targetILNS1_3genE3ELNS1_11target_archE908ELNS1_3gpuE7ELNS1_3repE0EEENS1_30default_config_static_selectorELNS0_4arch9wavefront6targetE1EEEvS12_, .Lfunc_end1373-_ZN7rocprim17ROCPRIM_400000_NS6detail17trampoline_kernelINS0_13select_configILj256ELj13ELNS0_17block_load_methodE3ELS4_3ELS4_3ELNS0_20block_scan_algorithmE0ELj4294967295EEENS1_25partition_config_selectorILNS1_17partition_subalgoE4EjNS0_10empty_typeEbEEZZNS1_14partition_implILS8_4ELb0ES6_15HIP_vector_typeIjLj2EENS0_17counting_iteratorIjlEEPS9_SG_NS0_5tupleIJPjSI_NS0_16reverse_iteratorISI_EEEEENSH_IJSG_SG_SG_EEES9_SI_JZNS1_25segmented_radix_sort_implINS0_14default_configELb0EPKfPfPKlPlN2at6native12_GLOBAL__N_18offset_tEEE10hipError_tPvRmT1_PNSt15iterator_traitsIS12_E10value_typeET2_T3_PNS13_IS18_E10value_typeET4_jRbjT5_S1E_jjP12ihipStream_tbEUljE_ZNSN_ISO_Lb0ESQ_SR_ST_SU_SY_EESZ_S10_S11_S12_S16_S17_S18_S1B_S1C_jS1D_jS1E_S1E_jjS1G_bEUljE0_EEESZ_S10_S11_S18_S1C_S1E_T6_T7_T9_mT8_S1G_bDpT10_ENKUlT_T0_E_clISt17integral_constantIbLb1EES1U_EEDaS1P_S1Q_EUlS1P_E_NS1_11comp_targetILNS1_3genE3ELNS1_11target_archE908ELNS1_3gpuE7ELNS1_3repE0EEENS1_30default_config_static_selectorELNS0_4arch9wavefront6targetE1EEEvS12_
                                        ; -- End function
	.section	.AMDGPU.csdata,"",@progbits
; Kernel info:
; codeLenInByte = 0
; NumSgprs: 4
; NumVgprs: 0
; NumAgprs: 0
; TotalNumVgprs: 0
; ScratchSize: 0
; MemoryBound: 0
; FloatMode: 240
; IeeeMode: 1
; LDSByteSize: 0 bytes/workgroup (compile time only)
; SGPRBlocks: 0
; VGPRBlocks: 0
; NumSGPRsForWavesPerEU: 4
; NumVGPRsForWavesPerEU: 1
; AccumOffset: 4
; Occupancy: 8
; WaveLimiterHint : 0
; COMPUTE_PGM_RSRC2:SCRATCH_EN: 0
; COMPUTE_PGM_RSRC2:USER_SGPR: 6
; COMPUTE_PGM_RSRC2:TRAP_HANDLER: 0
; COMPUTE_PGM_RSRC2:TGID_X_EN: 1
; COMPUTE_PGM_RSRC2:TGID_Y_EN: 0
; COMPUTE_PGM_RSRC2:TGID_Z_EN: 0
; COMPUTE_PGM_RSRC2:TIDIG_COMP_CNT: 0
; COMPUTE_PGM_RSRC3_GFX90A:ACCUM_OFFSET: 0
; COMPUTE_PGM_RSRC3_GFX90A:TG_SPLIT: 0
	.section	.text._ZN7rocprim17ROCPRIM_400000_NS6detail17trampoline_kernelINS0_13select_configILj256ELj13ELNS0_17block_load_methodE3ELS4_3ELS4_3ELNS0_20block_scan_algorithmE0ELj4294967295EEENS1_25partition_config_selectorILNS1_17partition_subalgoE4EjNS0_10empty_typeEbEEZZNS1_14partition_implILS8_4ELb0ES6_15HIP_vector_typeIjLj2EENS0_17counting_iteratorIjlEEPS9_SG_NS0_5tupleIJPjSI_NS0_16reverse_iteratorISI_EEEEENSH_IJSG_SG_SG_EEES9_SI_JZNS1_25segmented_radix_sort_implINS0_14default_configELb0EPKfPfPKlPlN2at6native12_GLOBAL__N_18offset_tEEE10hipError_tPvRmT1_PNSt15iterator_traitsIS12_E10value_typeET2_T3_PNS13_IS18_E10value_typeET4_jRbjT5_S1E_jjP12ihipStream_tbEUljE_ZNSN_ISO_Lb0ESQ_SR_ST_SU_SY_EESZ_S10_S11_S12_S16_S17_S18_S1B_S1C_jS1D_jS1E_S1E_jjS1G_bEUljE0_EEESZ_S10_S11_S18_S1C_S1E_T6_T7_T9_mT8_S1G_bDpT10_ENKUlT_T0_E_clISt17integral_constantIbLb1EES1U_EEDaS1P_S1Q_EUlS1P_E_NS1_11comp_targetILNS1_3genE2ELNS1_11target_archE906ELNS1_3gpuE6ELNS1_3repE0EEENS1_30default_config_static_selectorELNS0_4arch9wavefront6targetE1EEEvS12_,"axG",@progbits,_ZN7rocprim17ROCPRIM_400000_NS6detail17trampoline_kernelINS0_13select_configILj256ELj13ELNS0_17block_load_methodE3ELS4_3ELS4_3ELNS0_20block_scan_algorithmE0ELj4294967295EEENS1_25partition_config_selectorILNS1_17partition_subalgoE4EjNS0_10empty_typeEbEEZZNS1_14partition_implILS8_4ELb0ES6_15HIP_vector_typeIjLj2EENS0_17counting_iteratorIjlEEPS9_SG_NS0_5tupleIJPjSI_NS0_16reverse_iteratorISI_EEEEENSH_IJSG_SG_SG_EEES9_SI_JZNS1_25segmented_radix_sort_implINS0_14default_configELb0EPKfPfPKlPlN2at6native12_GLOBAL__N_18offset_tEEE10hipError_tPvRmT1_PNSt15iterator_traitsIS12_E10value_typeET2_T3_PNS13_IS18_E10value_typeET4_jRbjT5_S1E_jjP12ihipStream_tbEUljE_ZNSN_ISO_Lb0ESQ_SR_ST_SU_SY_EESZ_S10_S11_S12_S16_S17_S18_S1B_S1C_jS1D_jS1E_S1E_jjS1G_bEUljE0_EEESZ_S10_S11_S18_S1C_S1E_T6_T7_T9_mT8_S1G_bDpT10_ENKUlT_T0_E_clISt17integral_constantIbLb1EES1U_EEDaS1P_S1Q_EUlS1P_E_NS1_11comp_targetILNS1_3genE2ELNS1_11target_archE906ELNS1_3gpuE6ELNS1_3repE0EEENS1_30default_config_static_selectorELNS0_4arch9wavefront6targetE1EEEvS12_,comdat
	.globl	_ZN7rocprim17ROCPRIM_400000_NS6detail17trampoline_kernelINS0_13select_configILj256ELj13ELNS0_17block_load_methodE3ELS4_3ELS4_3ELNS0_20block_scan_algorithmE0ELj4294967295EEENS1_25partition_config_selectorILNS1_17partition_subalgoE4EjNS0_10empty_typeEbEEZZNS1_14partition_implILS8_4ELb0ES6_15HIP_vector_typeIjLj2EENS0_17counting_iteratorIjlEEPS9_SG_NS0_5tupleIJPjSI_NS0_16reverse_iteratorISI_EEEEENSH_IJSG_SG_SG_EEES9_SI_JZNS1_25segmented_radix_sort_implINS0_14default_configELb0EPKfPfPKlPlN2at6native12_GLOBAL__N_18offset_tEEE10hipError_tPvRmT1_PNSt15iterator_traitsIS12_E10value_typeET2_T3_PNS13_IS18_E10value_typeET4_jRbjT5_S1E_jjP12ihipStream_tbEUljE_ZNSN_ISO_Lb0ESQ_SR_ST_SU_SY_EESZ_S10_S11_S12_S16_S17_S18_S1B_S1C_jS1D_jS1E_S1E_jjS1G_bEUljE0_EEESZ_S10_S11_S18_S1C_S1E_T6_T7_T9_mT8_S1G_bDpT10_ENKUlT_T0_E_clISt17integral_constantIbLb1EES1U_EEDaS1P_S1Q_EUlS1P_E_NS1_11comp_targetILNS1_3genE2ELNS1_11target_archE906ELNS1_3gpuE6ELNS1_3repE0EEENS1_30default_config_static_selectorELNS0_4arch9wavefront6targetE1EEEvS12_ ; -- Begin function _ZN7rocprim17ROCPRIM_400000_NS6detail17trampoline_kernelINS0_13select_configILj256ELj13ELNS0_17block_load_methodE3ELS4_3ELS4_3ELNS0_20block_scan_algorithmE0ELj4294967295EEENS1_25partition_config_selectorILNS1_17partition_subalgoE4EjNS0_10empty_typeEbEEZZNS1_14partition_implILS8_4ELb0ES6_15HIP_vector_typeIjLj2EENS0_17counting_iteratorIjlEEPS9_SG_NS0_5tupleIJPjSI_NS0_16reverse_iteratorISI_EEEEENSH_IJSG_SG_SG_EEES9_SI_JZNS1_25segmented_radix_sort_implINS0_14default_configELb0EPKfPfPKlPlN2at6native12_GLOBAL__N_18offset_tEEE10hipError_tPvRmT1_PNSt15iterator_traitsIS12_E10value_typeET2_T3_PNS13_IS18_E10value_typeET4_jRbjT5_S1E_jjP12ihipStream_tbEUljE_ZNSN_ISO_Lb0ESQ_SR_ST_SU_SY_EESZ_S10_S11_S12_S16_S17_S18_S1B_S1C_jS1D_jS1E_S1E_jjS1G_bEUljE0_EEESZ_S10_S11_S18_S1C_S1E_T6_T7_T9_mT8_S1G_bDpT10_ENKUlT_T0_E_clISt17integral_constantIbLb1EES1U_EEDaS1P_S1Q_EUlS1P_E_NS1_11comp_targetILNS1_3genE2ELNS1_11target_archE906ELNS1_3gpuE6ELNS1_3repE0EEENS1_30default_config_static_selectorELNS0_4arch9wavefront6targetE1EEEvS12_
	.p2align	8
	.type	_ZN7rocprim17ROCPRIM_400000_NS6detail17trampoline_kernelINS0_13select_configILj256ELj13ELNS0_17block_load_methodE3ELS4_3ELS4_3ELNS0_20block_scan_algorithmE0ELj4294967295EEENS1_25partition_config_selectorILNS1_17partition_subalgoE4EjNS0_10empty_typeEbEEZZNS1_14partition_implILS8_4ELb0ES6_15HIP_vector_typeIjLj2EENS0_17counting_iteratorIjlEEPS9_SG_NS0_5tupleIJPjSI_NS0_16reverse_iteratorISI_EEEEENSH_IJSG_SG_SG_EEES9_SI_JZNS1_25segmented_radix_sort_implINS0_14default_configELb0EPKfPfPKlPlN2at6native12_GLOBAL__N_18offset_tEEE10hipError_tPvRmT1_PNSt15iterator_traitsIS12_E10value_typeET2_T3_PNS13_IS18_E10value_typeET4_jRbjT5_S1E_jjP12ihipStream_tbEUljE_ZNSN_ISO_Lb0ESQ_SR_ST_SU_SY_EESZ_S10_S11_S12_S16_S17_S18_S1B_S1C_jS1D_jS1E_S1E_jjS1G_bEUljE0_EEESZ_S10_S11_S18_S1C_S1E_T6_T7_T9_mT8_S1G_bDpT10_ENKUlT_T0_E_clISt17integral_constantIbLb1EES1U_EEDaS1P_S1Q_EUlS1P_E_NS1_11comp_targetILNS1_3genE2ELNS1_11target_archE906ELNS1_3gpuE6ELNS1_3repE0EEENS1_30default_config_static_selectorELNS0_4arch9wavefront6targetE1EEEvS12_,@function
_ZN7rocprim17ROCPRIM_400000_NS6detail17trampoline_kernelINS0_13select_configILj256ELj13ELNS0_17block_load_methodE3ELS4_3ELS4_3ELNS0_20block_scan_algorithmE0ELj4294967295EEENS1_25partition_config_selectorILNS1_17partition_subalgoE4EjNS0_10empty_typeEbEEZZNS1_14partition_implILS8_4ELb0ES6_15HIP_vector_typeIjLj2EENS0_17counting_iteratorIjlEEPS9_SG_NS0_5tupleIJPjSI_NS0_16reverse_iteratorISI_EEEEENSH_IJSG_SG_SG_EEES9_SI_JZNS1_25segmented_radix_sort_implINS0_14default_configELb0EPKfPfPKlPlN2at6native12_GLOBAL__N_18offset_tEEE10hipError_tPvRmT1_PNSt15iterator_traitsIS12_E10value_typeET2_T3_PNS13_IS18_E10value_typeET4_jRbjT5_S1E_jjP12ihipStream_tbEUljE_ZNSN_ISO_Lb0ESQ_SR_ST_SU_SY_EESZ_S10_S11_S12_S16_S17_S18_S1B_S1C_jS1D_jS1E_S1E_jjS1G_bEUljE0_EEESZ_S10_S11_S18_S1C_S1E_T6_T7_T9_mT8_S1G_bDpT10_ENKUlT_T0_E_clISt17integral_constantIbLb1EES1U_EEDaS1P_S1Q_EUlS1P_E_NS1_11comp_targetILNS1_3genE2ELNS1_11target_archE906ELNS1_3gpuE6ELNS1_3repE0EEENS1_30default_config_static_selectorELNS0_4arch9wavefront6targetE1EEEvS12_: ; @_ZN7rocprim17ROCPRIM_400000_NS6detail17trampoline_kernelINS0_13select_configILj256ELj13ELNS0_17block_load_methodE3ELS4_3ELS4_3ELNS0_20block_scan_algorithmE0ELj4294967295EEENS1_25partition_config_selectorILNS1_17partition_subalgoE4EjNS0_10empty_typeEbEEZZNS1_14partition_implILS8_4ELb0ES6_15HIP_vector_typeIjLj2EENS0_17counting_iteratorIjlEEPS9_SG_NS0_5tupleIJPjSI_NS0_16reverse_iteratorISI_EEEEENSH_IJSG_SG_SG_EEES9_SI_JZNS1_25segmented_radix_sort_implINS0_14default_configELb0EPKfPfPKlPlN2at6native12_GLOBAL__N_18offset_tEEE10hipError_tPvRmT1_PNSt15iterator_traitsIS12_E10value_typeET2_T3_PNS13_IS18_E10value_typeET4_jRbjT5_S1E_jjP12ihipStream_tbEUljE_ZNSN_ISO_Lb0ESQ_SR_ST_SU_SY_EESZ_S10_S11_S12_S16_S17_S18_S1B_S1C_jS1D_jS1E_S1E_jjS1G_bEUljE0_EEESZ_S10_S11_S18_S1C_S1E_T6_T7_T9_mT8_S1G_bDpT10_ENKUlT_T0_E_clISt17integral_constantIbLb1EES1U_EEDaS1P_S1Q_EUlS1P_E_NS1_11comp_targetILNS1_3genE2ELNS1_11target_archE906ELNS1_3gpuE6ELNS1_3repE0EEENS1_30default_config_static_selectorELNS0_4arch9wavefront6targetE1EEEvS12_
; %bb.0:
	.section	.rodata,"a",@progbits
	.p2align	6, 0x0
	.amdhsa_kernel _ZN7rocprim17ROCPRIM_400000_NS6detail17trampoline_kernelINS0_13select_configILj256ELj13ELNS0_17block_load_methodE3ELS4_3ELS4_3ELNS0_20block_scan_algorithmE0ELj4294967295EEENS1_25partition_config_selectorILNS1_17partition_subalgoE4EjNS0_10empty_typeEbEEZZNS1_14partition_implILS8_4ELb0ES6_15HIP_vector_typeIjLj2EENS0_17counting_iteratorIjlEEPS9_SG_NS0_5tupleIJPjSI_NS0_16reverse_iteratorISI_EEEEENSH_IJSG_SG_SG_EEES9_SI_JZNS1_25segmented_radix_sort_implINS0_14default_configELb0EPKfPfPKlPlN2at6native12_GLOBAL__N_18offset_tEEE10hipError_tPvRmT1_PNSt15iterator_traitsIS12_E10value_typeET2_T3_PNS13_IS18_E10value_typeET4_jRbjT5_S1E_jjP12ihipStream_tbEUljE_ZNSN_ISO_Lb0ESQ_SR_ST_SU_SY_EESZ_S10_S11_S12_S16_S17_S18_S1B_S1C_jS1D_jS1E_S1E_jjS1G_bEUljE0_EEESZ_S10_S11_S18_S1C_S1E_T6_T7_T9_mT8_S1G_bDpT10_ENKUlT_T0_E_clISt17integral_constantIbLb1EES1U_EEDaS1P_S1Q_EUlS1P_E_NS1_11comp_targetILNS1_3genE2ELNS1_11target_archE906ELNS1_3gpuE6ELNS1_3repE0EEENS1_30default_config_static_selectorELNS0_4arch9wavefront6targetE1EEEvS12_
		.amdhsa_group_segment_fixed_size 0
		.amdhsa_private_segment_fixed_size 0
		.amdhsa_kernarg_size 184
		.amdhsa_user_sgpr_count 6
		.amdhsa_user_sgpr_private_segment_buffer 1
		.amdhsa_user_sgpr_dispatch_ptr 0
		.amdhsa_user_sgpr_queue_ptr 0
		.amdhsa_user_sgpr_kernarg_segment_ptr 1
		.amdhsa_user_sgpr_dispatch_id 0
		.amdhsa_user_sgpr_flat_scratch_init 0
		.amdhsa_user_sgpr_kernarg_preload_length 0
		.amdhsa_user_sgpr_kernarg_preload_offset 0
		.amdhsa_user_sgpr_private_segment_size 0
		.amdhsa_uses_dynamic_stack 0
		.amdhsa_system_sgpr_private_segment_wavefront_offset 0
		.amdhsa_system_sgpr_workgroup_id_x 1
		.amdhsa_system_sgpr_workgroup_id_y 0
		.amdhsa_system_sgpr_workgroup_id_z 0
		.amdhsa_system_sgpr_workgroup_info 0
		.amdhsa_system_vgpr_workitem_id 0
		.amdhsa_next_free_vgpr 1
		.amdhsa_next_free_sgpr 0
		.amdhsa_accum_offset 4
		.amdhsa_reserve_vcc 0
		.amdhsa_reserve_flat_scratch 0
		.amdhsa_float_round_mode_32 0
		.amdhsa_float_round_mode_16_64 0
		.amdhsa_float_denorm_mode_32 3
		.amdhsa_float_denorm_mode_16_64 3
		.amdhsa_dx10_clamp 1
		.amdhsa_ieee_mode 1
		.amdhsa_fp16_overflow 0
		.amdhsa_tg_split 0
		.amdhsa_exception_fp_ieee_invalid_op 0
		.amdhsa_exception_fp_denorm_src 0
		.amdhsa_exception_fp_ieee_div_zero 0
		.amdhsa_exception_fp_ieee_overflow 0
		.amdhsa_exception_fp_ieee_underflow 0
		.amdhsa_exception_fp_ieee_inexact 0
		.amdhsa_exception_int_div_zero 0
	.end_amdhsa_kernel
	.section	.text._ZN7rocprim17ROCPRIM_400000_NS6detail17trampoline_kernelINS0_13select_configILj256ELj13ELNS0_17block_load_methodE3ELS4_3ELS4_3ELNS0_20block_scan_algorithmE0ELj4294967295EEENS1_25partition_config_selectorILNS1_17partition_subalgoE4EjNS0_10empty_typeEbEEZZNS1_14partition_implILS8_4ELb0ES6_15HIP_vector_typeIjLj2EENS0_17counting_iteratorIjlEEPS9_SG_NS0_5tupleIJPjSI_NS0_16reverse_iteratorISI_EEEEENSH_IJSG_SG_SG_EEES9_SI_JZNS1_25segmented_radix_sort_implINS0_14default_configELb0EPKfPfPKlPlN2at6native12_GLOBAL__N_18offset_tEEE10hipError_tPvRmT1_PNSt15iterator_traitsIS12_E10value_typeET2_T3_PNS13_IS18_E10value_typeET4_jRbjT5_S1E_jjP12ihipStream_tbEUljE_ZNSN_ISO_Lb0ESQ_SR_ST_SU_SY_EESZ_S10_S11_S12_S16_S17_S18_S1B_S1C_jS1D_jS1E_S1E_jjS1G_bEUljE0_EEESZ_S10_S11_S18_S1C_S1E_T6_T7_T9_mT8_S1G_bDpT10_ENKUlT_T0_E_clISt17integral_constantIbLb1EES1U_EEDaS1P_S1Q_EUlS1P_E_NS1_11comp_targetILNS1_3genE2ELNS1_11target_archE906ELNS1_3gpuE6ELNS1_3repE0EEENS1_30default_config_static_selectorELNS0_4arch9wavefront6targetE1EEEvS12_,"axG",@progbits,_ZN7rocprim17ROCPRIM_400000_NS6detail17trampoline_kernelINS0_13select_configILj256ELj13ELNS0_17block_load_methodE3ELS4_3ELS4_3ELNS0_20block_scan_algorithmE0ELj4294967295EEENS1_25partition_config_selectorILNS1_17partition_subalgoE4EjNS0_10empty_typeEbEEZZNS1_14partition_implILS8_4ELb0ES6_15HIP_vector_typeIjLj2EENS0_17counting_iteratorIjlEEPS9_SG_NS0_5tupleIJPjSI_NS0_16reverse_iteratorISI_EEEEENSH_IJSG_SG_SG_EEES9_SI_JZNS1_25segmented_radix_sort_implINS0_14default_configELb0EPKfPfPKlPlN2at6native12_GLOBAL__N_18offset_tEEE10hipError_tPvRmT1_PNSt15iterator_traitsIS12_E10value_typeET2_T3_PNS13_IS18_E10value_typeET4_jRbjT5_S1E_jjP12ihipStream_tbEUljE_ZNSN_ISO_Lb0ESQ_SR_ST_SU_SY_EESZ_S10_S11_S12_S16_S17_S18_S1B_S1C_jS1D_jS1E_S1E_jjS1G_bEUljE0_EEESZ_S10_S11_S18_S1C_S1E_T6_T7_T9_mT8_S1G_bDpT10_ENKUlT_T0_E_clISt17integral_constantIbLb1EES1U_EEDaS1P_S1Q_EUlS1P_E_NS1_11comp_targetILNS1_3genE2ELNS1_11target_archE906ELNS1_3gpuE6ELNS1_3repE0EEENS1_30default_config_static_selectorELNS0_4arch9wavefront6targetE1EEEvS12_,comdat
.Lfunc_end1374:
	.size	_ZN7rocprim17ROCPRIM_400000_NS6detail17trampoline_kernelINS0_13select_configILj256ELj13ELNS0_17block_load_methodE3ELS4_3ELS4_3ELNS0_20block_scan_algorithmE0ELj4294967295EEENS1_25partition_config_selectorILNS1_17partition_subalgoE4EjNS0_10empty_typeEbEEZZNS1_14partition_implILS8_4ELb0ES6_15HIP_vector_typeIjLj2EENS0_17counting_iteratorIjlEEPS9_SG_NS0_5tupleIJPjSI_NS0_16reverse_iteratorISI_EEEEENSH_IJSG_SG_SG_EEES9_SI_JZNS1_25segmented_radix_sort_implINS0_14default_configELb0EPKfPfPKlPlN2at6native12_GLOBAL__N_18offset_tEEE10hipError_tPvRmT1_PNSt15iterator_traitsIS12_E10value_typeET2_T3_PNS13_IS18_E10value_typeET4_jRbjT5_S1E_jjP12ihipStream_tbEUljE_ZNSN_ISO_Lb0ESQ_SR_ST_SU_SY_EESZ_S10_S11_S12_S16_S17_S18_S1B_S1C_jS1D_jS1E_S1E_jjS1G_bEUljE0_EEESZ_S10_S11_S18_S1C_S1E_T6_T7_T9_mT8_S1G_bDpT10_ENKUlT_T0_E_clISt17integral_constantIbLb1EES1U_EEDaS1P_S1Q_EUlS1P_E_NS1_11comp_targetILNS1_3genE2ELNS1_11target_archE906ELNS1_3gpuE6ELNS1_3repE0EEENS1_30default_config_static_selectorELNS0_4arch9wavefront6targetE1EEEvS12_, .Lfunc_end1374-_ZN7rocprim17ROCPRIM_400000_NS6detail17trampoline_kernelINS0_13select_configILj256ELj13ELNS0_17block_load_methodE3ELS4_3ELS4_3ELNS0_20block_scan_algorithmE0ELj4294967295EEENS1_25partition_config_selectorILNS1_17partition_subalgoE4EjNS0_10empty_typeEbEEZZNS1_14partition_implILS8_4ELb0ES6_15HIP_vector_typeIjLj2EENS0_17counting_iteratorIjlEEPS9_SG_NS0_5tupleIJPjSI_NS0_16reverse_iteratorISI_EEEEENSH_IJSG_SG_SG_EEES9_SI_JZNS1_25segmented_radix_sort_implINS0_14default_configELb0EPKfPfPKlPlN2at6native12_GLOBAL__N_18offset_tEEE10hipError_tPvRmT1_PNSt15iterator_traitsIS12_E10value_typeET2_T3_PNS13_IS18_E10value_typeET4_jRbjT5_S1E_jjP12ihipStream_tbEUljE_ZNSN_ISO_Lb0ESQ_SR_ST_SU_SY_EESZ_S10_S11_S12_S16_S17_S18_S1B_S1C_jS1D_jS1E_S1E_jjS1G_bEUljE0_EEESZ_S10_S11_S18_S1C_S1E_T6_T7_T9_mT8_S1G_bDpT10_ENKUlT_T0_E_clISt17integral_constantIbLb1EES1U_EEDaS1P_S1Q_EUlS1P_E_NS1_11comp_targetILNS1_3genE2ELNS1_11target_archE906ELNS1_3gpuE6ELNS1_3repE0EEENS1_30default_config_static_selectorELNS0_4arch9wavefront6targetE1EEEvS12_
                                        ; -- End function
	.section	.AMDGPU.csdata,"",@progbits
; Kernel info:
; codeLenInByte = 0
; NumSgprs: 4
; NumVgprs: 0
; NumAgprs: 0
; TotalNumVgprs: 0
; ScratchSize: 0
; MemoryBound: 0
; FloatMode: 240
; IeeeMode: 1
; LDSByteSize: 0 bytes/workgroup (compile time only)
; SGPRBlocks: 0
; VGPRBlocks: 0
; NumSGPRsForWavesPerEU: 4
; NumVGPRsForWavesPerEU: 1
; AccumOffset: 4
; Occupancy: 8
; WaveLimiterHint : 0
; COMPUTE_PGM_RSRC2:SCRATCH_EN: 0
; COMPUTE_PGM_RSRC2:USER_SGPR: 6
; COMPUTE_PGM_RSRC2:TRAP_HANDLER: 0
; COMPUTE_PGM_RSRC2:TGID_X_EN: 1
; COMPUTE_PGM_RSRC2:TGID_Y_EN: 0
; COMPUTE_PGM_RSRC2:TGID_Z_EN: 0
; COMPUTE_PGM_RSRC2:TIDIG_COMP_CNT: 0
; COMPUTE_PGM_RSRC3_GFX90A:ACCUM_OFFSET: 0
; COMPUTE_PGM_RSRC3_GFX90A:TG_SPLIT: 0
	.section	.text._ZN7rocprim17ROCPRIM_400000_NS6detail17trampoline_kernelINS0_13select_configILj256ELj13ELNS0_17block_load_methodE3ELS4_3ELS4_3ELNS0_20block_scan_algorithmE0ELj4294967295EEENS1_25partition_config_selectorILNS1_17partition_subalgoE4EjNS0_10empty_typeEbEEZZNS1_14partition_implILS8_4ELb0ES6_15HIP_vector_typeIjLj2EENS0_17counting_iteratorIjlEEPS9_SG_NS0_5tupleIJPjSI_NS0_16reverse_iteratorISI_EEEEENSH_IJSG_SG_SG_EEES9_SI_JZNS1_25segmented_radix_sort_implINS0_14default_configELb0EPKfPfPKlPlN2at6native12_GLOBAL__N_18offset_tEEE10hipError_tPvRmT1_PNSt15iterator_traitsIS12_E10value_typeET2_T3_PNS13_IS18_E10value_typeET4_jRbjT5_S1E_jjP12ihipStream_tbEUljE_ZNSN_ISO_Lb0ESQ_SR_ST_SU_SY_EESZ_S10_S11_S12_S16_S17_S18_S1B_S1C_jS1D_jS1E_S1E_jjS1G_bEUljE0_EEESZ_S10_S11_S18_S1C_S1E_T6_T7_T9_mT8_S1G_bDpT10_ENKUlT_T0_E_clISt17integral_constantIbLb1EES1U_EEDaS1P_S1Q_EUlS1P_E_NS1_11comp_targetILNS1_3genE10ELNS1_11target_archE1200ELNS1_3gpuE4ELNS1_3repE0EEENS1_30default_config_static_selectorELNS0_4arch9wavefront6targetE1EEEvS12_,"axG",@progbits,_ZN7rocprim17ROCPRIM_400000_NS6detail17trampoline_kernelINS0_13select_configILj256ELj13ELNS0_17block_load_methodE3ELS4_3ELS4_3ELNS0_20block_scan_algorithmE0ELj4294967295EEENS1_25partition_config_selectorILNS1_17partition_subalgoE4EjNS0_10empty_typeEbEEZZNS1_14partition_implILS8_4ELb0ES6_15HIP_vector_typeIjLj2EENS0_17counting_iteratorIjlEEPS9_SG_NS0_5tupleIJPjSI_NS0_16reverse_iteratorISI_EEEEENSH_IJSG_SG_SG_EEES9_SI_JZNS1_25segmented_radix_sort_implINS0_14default_configELb0EPKfPfPKlPlN2at6native12_GLOBAL__N_18offset_tEEE10hipError_tPvRmT1_PNSt15iterator_traitsIS12_E10value_typeET2_T3_PNS13_IS18_E10value_typeET4_jRbjT5_S1E_jjP12ihipStream_tbEUljE_ZNSN_ISO_Lb0ESQ_SR_ST_SU_SY_EESZ_S10_S11_S12_S16_S17_S18_S1B_S1C_jS1D_jS1E_S1E_jjS1G_bEUljE0_EEESZ_S10_S11_S18_S1C_S1E_T6_T7_T9_mT8_S1G_bDpT10_ENKUlT_T0_E_clISt17integral_constantIbLb1EES1U_EEDaS1P_S1Q_EUlS1P_E_NS1_11comp_targetILNS1_3genE10ELNS1_11target_archE1200ELNS1_3gpuE4ELNS1_3repE0EEENS1_30default_config_static_selectorELNS0_4arch9wavefront6targetE1EEEvS12_,comdat
	.globl	_ZN7rocprim17ROCPRIM_400000_NS6detail17trampoline_kernelINS0_13select_configILj256ELj13ELNS0_17block_load_methodE3ELS4_3ELS4_3ELNS0_20block_scan_algorithmE0ELj4294967295EEENS1_25partition_config_selectorILNS1_17partition_subalgoE4EjNS0_10empty_typeEbEEZZNS1_14partition_implILS8_4ELb0ES6_15HIP_vector_typeIjLj2EENS0_17counting_iteratorIjlEEPS9_SG_NS0_5tupleIJPjSI_NS0_16reverse_iteratorISI_EEEEENSH_IJSG_SG_SG_EEES9_SI_JZNS1_25segmented_radix_sort_implINS0_14default_configELb0EPKfPfPKlPlN2at6native12_GLOBAL__N_18offset_tEEE10hipError_tPvRmT1_PNSt15iterator_traitsIS12_E10value_typeET2_T3_PNS13_IS18_E10value_typeET4_jRbjT5_S1E_jjP12ihipStream_tbEUljE_ZNSN_ISO_Lb0ESQ_SR_ST_SU_SY_EESZ_S10_S11_S12_S16_S17_S18_S1B_S1C_jS1D_jS1E_S1E_jjS1G_bEUljE0_EEESZ_S10_S11_S18_S1C_S1E_T6_T7_T9_mT8_S1G_bDpT10_ENKUlT_T0_E_clISt17integral_constantIbLb1EES1U_EEDaS1P_S1Q_EUlS1P_E_NS1_11comp_targetILNS1_3genE10ELNS1_11target_archE1200ELNS1_3gpuE4ELNS1_3repE0EEENS1_30default_config_static_selectorELNS0_4arch9wavefront6targetE1EEEvS12_ ; -- Begin function _ZN7rocprim17ROCPRIM_400000_NS6detail17trampoline_kernelINS0_13select_configILj256ELj13ELNS0_17block_load_methodE3ELS4_3ELS4_3ELNS0_20block_scan_algorithmE0ELj4294967295EEENS1_25partition_config_selectorILNS1_17partition_subalgoE4EjNS0_10empty_typeEbEEZZNS1_14partition_implILS8_4ELb0ES6_15HIP_vector_typeIjLj2EENS0_17counting_iteratorIjlEEPS9_SG_NS0_5tupleIJPjSI_NS0_16reverse_iteratorISI_EEEEENSH_IJSG_SG_SG_EEES9_SI_JZNS1_25segmented_radix_sort_implINS0_14default_configELb0EPKfPfPKlPlN2at6native12_GLOBAL__N_18offset_tEEE10hipError_tPvRmT1_PNSt15iterator_traitsIS12_E10value_typeET2_T3_PNS13_IS18_E10value_typeET4_jRbjT5_S1E_jjP12ihipStream_tbEUljE_ZNSN_ISO_Lb0ESQ_SR_ST_SU_SY_EESZ_S10_S11_S12_S16_S17_S18_S1B_S1C_jS1D_jS1E_S1E_jjS1G_bEUljE0_EEESZ_S10_S11_S18_S1C_S1E_T6_T7_T9_mT8_S1G_bDpT10_ENKUlT_T0_E_clISt17integral_constantIbLb1EES1U_EEDaS1P_S1Q_EUlS1P_E_NS1_11comp_targetILNS1_3genE10ELNS1_11target_archE1200ELNS1_3gpuE4ELNS1_3repE0EEENS1_30default_config_static_selectorELNS0_4arch9wavefront6targetE1EEEvS12_
	.p2align	8
	.type	_ZN7rocprim17ROCPRIM_400000_NS6detail17trampoline_kernelINS0_13select_configILj256ELj13ELNS0_17block_load_methodE3ELS4_3ELS4_3ELNS0_20block_scan_algorithmE0ELj4294967295EEENS1_25partition_config_selectorILNS1_17partition_subalgoE4EjNS0_10empty_typeEbEEZZNS1_14partition_implILS8_4ELb0ES6_15HIP_vector_typeIjLj2EENS0_17counting_iteratorIjlEEPS9_SG_NS0_5tupleIJPjSI_NS0_16reverse_iteratorISI_EEEEENSH_IJSG_SG_SG_EEES9_SI_JZNS1_25segmented_radix_sort_implINS0_14default_configELb0EPKfPfPKlPlN2at6native12_GLOBAL__N_18offset_tEEE10hipError_tPvRmT1_PNSt15iterator_traitsIS12_E10value_typeET2_T3_PNS13_IS18_E10value_typeET4_jRbjT5_S1E_jjP12ihipStream_tbEUljE_ZNSN_ISO_Lb0ESQ_SR_ST_SU_SY_EESZ_S10_S11_S12_S16_S17_S18_S1B_S1C_jS1D_jS1E_S1E_jjS1G_bEUljE0_EEESZ_S10_S11_S18_S1C_S1E_T6_T7_T9_mT8_S1G_bDpT10_ENKUlT_T0_E_clISt17integral_constantIbLb1EES1U_EEDaS1P_S1Q_EUlS1P_E_NS1_11comp_targetILNS1_3genE10ELNS1_11target_archE1200ELNS1_3gpuE4ELNS1_3repE0EEENS1_30default_config_static_selectorELNS0_4arch9wavefront6targetE1EEEvS12_,@function
_ZN7rocprim17ROCPRIM_400000_NS6detail17trampoline_kernelINS0_13select_configILj256ELj13ELNS0_17block_load_methodE3ELS4_3ELS4_3ELNS0_20block_scan_algorithmE0ELj4294967295EEENS1_25partition_config_selectorILNS1_17partition_subalgoE4EjNS0_10empty_typeEbEEZZNS1_14partition_implILS8_4ELb0ES6_15HIP_vector_typeIjLj2EENS0_17counting_iteratorIjlEEPS9_SG_NS0_5tupleIJPjSI_NS0_16reverse_iteratorISI_EEEEENSH_IJSG_SG_SG_EEES9_SI_JZNS1_25segmented_radix_sort_implINS0_14default_configELb0EPKfPfPKlPlN2at6native12_GLOBAL__N_18offset_tEEE10hipError_tPvRmT1_PNSt15iterator_traitsIS12_E10value_typeET2_T3_PNS13_IS18_E10value_typeET4_jRbjT5_S1E_jjP12ihipStream_tbEUljE_ZNSN_ISO_Lb0ESQ_SR_ST_SU_SY_EESZ_S10_S11_S12_S16_S17_S18_S1B_S1C_jS1D_jS1E_S1E_jjS1G_bEUljE0_EEESZ_S10_S11_S18_S1C_S1E_T6_T7_T9_mT8_S1G_bDpT10_ENKUlT_T0_E_clISt17integral_constantIbLb1EES1U_EEDaS1P_S1Q_EUlS1P_E_NS1_11comp_targetILNS1_3genE10ELNS1_11target_archE1200ELNS1_3gpuE4ELNS1_3repE0EEENS1_30default_config_static_selectorELNS0_4arch9wavefront6targetE1EEEvS12_: ; @_ZN7rocprim17ROCPRIM_400000_NS6detail17trampoline_kernelINS0_13select_configILj256ELj13ELNS0_17block_load_methodE3ELS4_3ELS4_3ELNS0_20block_scan_algorithmE0ELj4294967295EEENS1_25partition_config_selectorILNS1_17partition_subalgoE4EjNS0_10empty_typeEbEEZZNS1_14partition_implILS8_4ELb0ES6_15HIP_vector_typeIjLj2EENS0_17counting_iteratorIjlEEPS9_SG_NS0_5tupleIJPjSI_NS0_16reverse_iteratorISI_EEEEENSH_IJSG_SG_SG_EEES9_SI_JZNS1_25segmented_radix_sort_implINS0_14default_configELb0EPKfPfPKlPlN2at6native12_GLOBAL__N_18offset_tEEE10hipError_tPvRmT1_PNSt15iterator_traitsIS12_E10value_typeET2_T3_PNS13_IS18_E10value_typeET4_jRbjT5_S1E_jjP12ihipStream_tbEUljE_ZNSN_ISO_Lb0ESQ_SR_ST_SU_SY_EESZ_S10_S11_S12_S16_S17_S18_S1B_S1C_jS1D_jS1E_S1E_jjS1G_bEUljE0_EEESZ_S10_S11_S18_S1C_S1E_T6_T7_T9_mT8_S1G_bDpT10_ENKUlT_T0_E_clISt17integral_constantIbLb1EES1U_EEDaS1P_S1Q_EUlS1P_E_NS1_11comp_targetILNS1_3genE10ELNS1_11target_archE1200ELNS1_3gpuE4ELNS1_3repE0EEENS1_30default_config_static_selectorELNS0_4arch9wavefront6targetE1EEEvS12_
; %bb.0:
	.section	.rodata,"a",@progbits
	.p2align	6, 0x0
	.amdhsa_kernel _ZN7rocprim17ROCPRIM_400000_NS6detail17trampoline_kernelINS0_13select_configILj256ELj13ELNS0_17block_load_methodE3ELS4_3ELS4_3ELNS0_20block_scan_algorithmE0ELj4294967295EEENS1_25partition_config_selectorILNS1_17partition_subalgoE4EjNS0_10empty_typeEbEEZZNS1_14partition_implILS8_4ELb0ES6_15HIP_vector_typeIjLj2EENS0_17counting_iteratorIjlEEPS9_SG_NS0_5tupleIJPjSI_NS0_16reverse_iteratorISI_EEEEENSH_IJSG_SG_SG_EEES9_SI_JZNS1_25segmented_radix_sort_implINS0_14default_configELb0EPKfPfPKlPlN2at6native12_GLOBAL__N_18offset_tEEE10hipError_tPvRmT1_PNSt15iterator_traitsIS12_E10value_typeET2_T3_PNS13_IS18_E10value_typeET4_jRbjT5_S1E_jjP12ihipStream_tbEUljE_ZNSN_ISO_Lb0ESQ_SR_ST_SU_SY_EESZ_S10_S11_S12_S16_S17_S18_S1B_S1C_jS1D_jS1E_S1E_jjS1G_bEUljE0_EEESZ_S10_S11_S18_S1C_S1E_T6_T7_T9_mT8_S1G_bDpT10_ENKUlT_T0_E_clISt17integral_constantIbLb1EES1U_EEDaS1P_S1Q_EUlS1P_E_NS1_11comp_targetILNS1_3genE10ELNS1_11target_archE1200ELNS1_3gpuE4ELNS1_3repE0EEENS1_30default_config_static_selectorELNS0_4arch9wavefront6targetE1EEEvS12_
		.amdhsa_group_segment_fixed_size 0
		.amdhsa_private_segment_fixed_size 0
		.amdhsa_kernarg_size 184
		.amdhsa_user_sgpr_count 6
		.amdhsa_user_sgpr_private_segment_buffer 1
		.amdhsa_user_sgpr_dispatch_ptr 0
		.amdhsa_user_sgpr_queue_ptr 0
		.amdhsa_user_sgpr_kernarg_segment_ptr 1
		.amdhsa_user_sgpr_dispatch_id 0
		.amdhsa_user_sgpr_flat_scratch_init 0
		.amdhsa_user_sgpr_kernarg_preload_length 0
		.amdhsa_user_sgpr_kernarg_preload_offset 0
		.amdhsa_user_sgpr_private_segment_size 0
		.amdhsa_uses_dynamic_stack 0
		.amdhsa_system_sgpr_private_segment_wavefront_offset 0
		.amdhsa_system_sgpr_workgroup_id_x 1
		.amdhsa_system_sgpr_workgroup_id_y 0
		.amdhsa_system_sgpr_workgroup_id_z 0
		.amdhsa_system_sgpr_workgroup_info 0
		.amdhsa_system_vgpr_workitem_id 0
		.amdhsa_next_free_vgpr 1
		.amdhsa_next_free_sgpr 0
		.amdhsa_accum_offset 4
		.amdhsa_reserve_vcc 0
		.amdhsa_reserve_flat_scratch 0
		.amdhsa_float_round_mode_32 0
		.amdhsa_float_round_mode_16_64 0
		.amdhsa_float_denorm_mode_32 3
		.amdhsa_float_denorm_mode_16_64 3
		.amdhsa_dx10_clamp 1
		.amdhsa_ieee_mode 1
		.amdhsa_fp16_overflow 0
		.amdhsa_tg_split 0
		.amdhsa_exception_fp_ieee_invalid_op 0
		.amdhsa_exception_fp_denorm_src 0
		.amdhsa_exception_fp_ieee_div_zero 0
		.amdhsa_exception_fp_ieee_overflow 0
		.amdhsa_exception_fp_ieee_underflow 0
		.amdhsa_exception_fp_ieee_inexact 0
		.amdhsa_exception_int_div_zero 0
	.end_amdhsa_kernel
	.section	.text._ZN7rocprim17ROCPRIM_400000_NS6detail17trampoline_kernelINS0_13select_configILj256ELj13ELNS0_17block_load_methodE3ELS4_3ELS4_3ELNS0_20block_scan_algorithmE0ELj4294967295EEENS1_25partition_config_selectorILNS1_17partition_subalgoE4EjNS0_10empty_typeEbEEZZNS1_14partition_implILS8_4ELb0ES6_15HIP_vector_typeIjLj2EENS0_17counting_iteratorIjlEEPS9_SG_NS0_5tupleIJPjSI_NS0_16reverse_iteratorISI_EEEEENSH_IJSG_SG_SG_EEES9_SI_JZNS1_25segmented_radix_sort_implINS0_14default_configELb0EPKfPfPKlPlN2at6native12_GLOBAL__N_18offset_tEEE10hipError_tPvRmT1_PNSt15iterator_traitsIS12_E10value_typeET2_T3_PNS13_IS18_E10value_typeET4_jRbjT5_S1E_jjP12ihipStream_tbEUljE_ZNSN_ISO_Lb0ESQ_SR_ST_SU_SY_EESZ_S10_S11_S12_S16_S17_S18_S1B_S1C_jS1D_jS1E_S1E_jjS1G_bEUljE0_EEESZ_S10_S11_S18_S1C_S1E_T6_T7_T9_mT8_S1G_bDpT10_ENKUlT_T0_E_clISt17integral_constantIbLb1EES1U_EEDaS1P_S1Q_EUlS1P_E_NS1_11comp_targetILNS1_3genE10ELNS1_11target_archE1200ELNS1_3gpuE4ELNS1_3repE0EEENS1_30default_config_static_selectorELNS0_4arch9wavefront6targetE1EEEvS12_,"axG",@progbits,_ZN7rocprim17ROCPRIM_400000_NS6detail17trampoline_kernelINS0_13select_configILj256ELj13ELNS0_17block_load_methodE3ELS4_3ELS4_3ELNS0_20block_scan_algorithmE0ELj4294967295EEENS1_25partition_config_selectorILNS1_17partition_subalgoE4EjNS0_10empty_typeEbEEZZNS1_14partition_implILS8_4ELb0ES6_15HIP_vector_typeIjLj2EENS0_17counting_iteratorIjlEEPS9_SG_NS0_5tupleIJPjSI_NS0_16reverse_iteratorISI_EEEEENSH_IJSG_SG_SG_EEES9_SI_JZNS1_25segmented_radix_sort_implINS0_14default_configELb0EPKfPfPKlPlN2at6native12_GLOBAL__N_18offset_tEEE10hipError_tPvRmT1_PNSt15iterator_traitsIS12_E10value_typeET2_T3_PNS13_IS18_E10value_typeET4_jRbjT5_S1E_jjP12ihipStream_tbEUljE_ZNSN_ISO_Lb0ESQ_SR_ST_SU_SY_EESZ_S10_S11_S12_S16_S17_S18_S1B_S1C_jS1D_jS1E_S1E_jjS1G_bEUljE0_EEESZ_S10_S11_S18_S1C_S1E_T6_T7_T9_mT8_S1G_bDpT10_ENKUlT_T0_E_clISt17integral_constantIbLb1EES1U_EEDaS1P_S1Q_EUlS1P_E_NS1_11comp_targetILNS1_3genE10ELNS1_11target_archE1200ELNS1_3gpuE4ELNS1_3repE0EEENS1_30default_config_static_selectorELNS0_4arch9wavefront6targetE1EEEvS12_,comdat
.Lfunc_end1375:
	.size	_ZN7rocprim17ROCPRIM_400000_NS6detail17trampoline_kernelINS0_13select_configILj256ELj13ELNS0_17block_load_methodE3ELS4_3ELS4_3ELNS0_20block_scan_algorithmE0ELj4294967295EEENS1_25partition_config_selectorILNS1_17partition_subalgoE4EjNS0_10empty_typeEbEEZZNS1_14partition_implILS8_4ELb0ES6_15HIP_vector_typeIjLj2EENS0_17counting_iteratorIjlEEPS9_SG_NS0_5tupleIJPjSI_NS0_16reverse_iteratorISI_EEEEENSH_IJSG_SG_SG_EEES9_SI_JZNS1_25segmented_radix_sort_implINS0_14default_configELb0EPKfPfPKlPlN2at6native12_GLOBAL__N_18offset_tEEE10hipError_tPvRmT1_PNSt15iterator_traitsIS12_E10value_typeET2_T3_PNS13_IS18_E10value_typeET4_jRbjT5_S1E_jjP12ihipStream_tbEUljE_ZNSN_ISO_Lb0ESQ_SR_ST_SU_SY_EESZ_S10_S11_S12_S16_S17_S18_S1B_S1C_jS1D_jS1E_S1E_jjS1G_bEUljE0_EEESZ_S10_S11_S18_S1C_S1E_T6_T7_T9_mT8_S1G_bDpT10_ENKUlT_T0_E_clISt17integral_constantIbLb1EES1U_EEDaS1P_S1Q_EUlS1P_E_NS1_11comp_targetILNS1_3genE10ELNS1_11target_archE1200ELNS1_3gpuE4ELNS1_3repE0EEENS1_30default_config_static_selectorELNS0_4arch9wavefront6targetE1EEEvS12_, .Lfunc_end1375-_ZN7rocprim17ROCPRIM_400000_NS6detail17trampoline_kernelINS0_13select_configILj256ELj13ELNS0_17block_load_methodE3ELS4_3ELS4_3ELNS0_20block_scan_algorithmE0ELj4294967295EEENS1_25partition_config_selectorILNS1_17partition_subalgoE4EjNS0_10empty_typeEbEEZZNS1_14partition_implILS8_4ELb0ES6_15HIP_vector_typeIjLj2EENS0_17counting_iteratorIjlEEPS9_SG_NS0_5tupleIJPjSI_NS0_16reverse_iteratorISI_EEEEENSH_IJSG_SG_SG_EEES9_SI_JZNS1_25segmented_radix_sort_implINS0_14default_configELb0EPKfPfPKlPlN2at6native12_GLOBAL__N_18offset_tEEE10hipError_tPvRmT1_PNSt15iterator_traitsIS12_E10value_typeET2_T3_PNS13_IS18_E10value_typeET4_jRbjT5_S1E_jjP12ihipStream_tbEUljE_ZNSN_ISO_Lb0ESQ_SR_ST_SU_SY_EESZ_S10_S11_S12_S16_S17_S18_S1B_S1C_jS1D_jS1E_S1E_jjS1G_bEUljE0_EEESZ_S10_S11_S18_S1C_S1E_T6_T7_T9_mT8_S1G_bDpT10_ENKUlT_T0_E_clISt17integral_constantIbLb1EES1U_EEDaS1P_S1Q_EUlS1P_E_NS1_11comp_targetILNS1_3genE10ELNS1_11target_archE1200ELNS1_3gpuE4ELNS1_3repE0EEENS1_30default_config_static_selectorELNS0_4arch9wavefront6targetE1EEEvS12_
                                        ; -- End function
	.section	.AMDGPU.csdata,"",@progbits
; Kernel info:
; codeLenInByte = 0
; NumSgprs: 4
; NumVgprs: 0
; NumAgprs: 0
; TotalNumVgprs: 0
; ScratchSize: 0
; MemoryBound: 0
; FloatMode: 240
; IeeeMode: 1
; LDSByteSize: 0 bytes/workgroup (compile time only)
; SGPRBlocks: 0
; VGPRBlocks: 0
; NumSGPRsForWavesPerEU: 4
; NumVGPRsForWavesPerEU: 1
; AccumOffset: 4
; Occupancy: 8
; WaveLimiterHint : 0
; COMPUTE_PGM_RSRC2:SCRATCH_EN: 0
; COMPUTE_PGM_RSRC2:USER_SGPR: 6
; COMPUTE_PGM_RSRC2:TRAP_HANDLER: 0
; COMPUTE_PGM_RSRC2:TGID_X_EN: 1
; COMPUTE_PGM_RSRC2:TGID_Y_EN: 0
; COMPUTE_PGM_RSRC2:TGID_Z_EN: 0
; COMPUTE_PGM_RSRC2:TIDIG_COMP_CNT: 0
; COMPUTE_PGM_RSRC3_GFX90A:ACCUM_OFFSET: 0
; COMPUTE_PGM_RSRC3_GFX90A:TG_SPLIT: 0
	.section	.text._ZN7rocprim17ROCPRIM_400000_NS6detail17trampoline_kernelINS0_13select_configILj256ELj13ELNS0_17block_load_methodE3ELS4_3ELS4_3ELNS0_20block_scan_algorithmE0ELj4294967295EEENS1_25partition_config_selectorILNS1_17partition_subalgoE4EjNS0_10empty_typeEbEEZZNS1_14partition_implILS8_4ELb0ES6_15HIP_vector_typeIjLj2EENS0_17counting_iteratorIjlEEPS9_SG_NS0_5tupleIJPjSI_NS0_16reverse_iteratorISI_EEEEENSH_IJSG_SG_SG_EEES9_SI_JZNS1_25segmented_radix_sort_implINS0_14default_configELb0EPKfPfPKlPlN2at6native12_GLOBAL__N_18offset_tEEE10hipError_tPvRmT1_PNSt15iterator_traitsIS12_E10value_typeET2_T3_PNS13_IS18_E10value_typeET4_jRbjT5_S1E_jjP12ihipStream_tbEUljE_ZNSN_ISO_Lb0ESQ_SR_ST_SU_SY_EESZ_S10_S11_S12_S16_S17_S18_S1B_S1C_jS1D_jS1E_S1E_jjS1G_bEUljE0_EEESZ_S10_S11_S18_S1C_S1E_T6_T7_T9_mT8_S1G_bDpT10_ENKUlT_T0_E_clISt17integral_constantIbLb1EES1U_EEDaS1P_S1Q_EUlS1P_E_NS1_11comp_targetILNS1_3genE9ELNS1_11target_archE1100ELNS1_3gpuE3ELNS1_3repE0EEENS1_30default_config_static_selectorELNS0_4arch9wavefront6targetE1EEEvS12_,"axG",@progbits,_ZN7rocprim17ROCPRIM_400000_NS6detail17trampoline_kernelINS0_13select_configILj256ELj13ELNS0_17block_load_methodE3ELS4_3ELS4_3ELNS0_20block_scan_algorithmE0ELj4294967295EEENS1_25partition_config_selectorILNS1_17partition_subalgoE4EjNS0_10empty_typeEbEEZZNS1_14partition_implILS8_4ELb0ES6_15HIP_vector_typeIjLj2EENS0_17counting_iteratorIjlEEPS9_SG_NS0_5tupleIJPjSI_NS0_16reverse_iteratorISI_EEEEENSH_IJSG_SG_SG_EEES9_SI_JZNS1_25segmented_radix_sort_implINS0_14default_configELb0EPKfPfPKlPlN2at6native12_GLOBAL__N_18offset_tEEE10hipError_tPvRmT1_PNSt15iterator_traitsIS12_E10value_typeET2_T3_PNS13_IS18_E10value_typeET4_jRbjT5_S1E_jjP12ihipStream_tbEUljE_ZNSN_ISO_Lb0ESQ_SR_ST_SU_SY_EESZ_S10_S11_S12_S16_S17_S18_S1B_S1C_jS1D_jS1E_S1E_jjS1G_bEUljE0_EEESZ_S10_S11_S18_S1C_S1E_T6_T7_T9_mT8_S1G_bDpT10_ENKUlT_T0_E_clISt17integral_constantIbLb1EES1U_EEDaS1P_S1Q_EUlS1P_E_NS1_11comp_targetILNS1_3genE9ELNS1_11target_archE1100ELNS1_3gpuE3ELNS1_3repE0EEENS1_30default_config_static_selectorELNS0_4arch9wavefront6targetE1EEEvS12_,comdat
	.globl	_ZN7rocprim17ROCPRIM_400000_NS6detail17trampoline_kernelINS0_13select_configILj256ELj13ELNS0_17block_load_methodE3ELS4_3ELS4_3ELNS0_20block_scan_algorithmE0ELj4294967295EEENS1_25partition_config_selectorILNS1_17partition_subalgoE4EjNS0_10empty_typeEbEEZZNS1_14partition_implILS8_4ELb0ES6_15HIP_vector_typeIjLj2EENS0_17counting_iteratorIjlEEPS9_SG_NS0_5tupleIJPjSI_NS0_16reverse_iteratorISI_EEEEENSH_IJSG_SG_SG_EEES9_SI_JZNS1_25segmented_radix_sort_implINS0_14default_configELb0EPKfPfPKlPlN2at6native12_GLOBAL__N_18offset_tEEE10hipError_tPvRmT1_PNSt15iterator_traitsIS12_E10value_typeET2_T3_PNS13_IS18_E10value_typeET4_jRbjT5_S1E_jjP12ihipStream_tbEUljE_ZNSN_ISO_Lb0ESQ_SR_ST_SU_SY_EESZ_S10_S11_S12_S16_S17_S18_S1B_S1C_jS1D_jS1E_S1E_jjS1G_bEUljE0_EEESZ_S10_S11_S18_S1C_S1E_T6_T7_T9_mT8_S1G_bDpT10_ENKUlT_T0_E_clISt17integral_constantIbLb1EES1U_EEDaS1P_S1Q_EUlS1P_E_NS1_11comp_targetILNS1_3genE9ELNS1_11target_archE1100ELNS1_3gpuE3ELNS1_3repE0EEENS1_30default_config_static_selectorELNS0_4arch9wavefront6targetE1EEEvS12_ ; -- Begin function _ZN7rocprim17ROCPRIM_400000_NS6detail17trampoline_kernelINS0_13select_configILj256ELj13ELNS0_17block_load_methodE3ELS4_3ELS4_3ELNS0_20block_scan_algorithmE0ELj4294967295EEENS1_25partition_config_selectorILNS1_17partition_subalgoE4EjNS0_10empty_typeEbEEZZNS1_14partition_implILS8_4ELb0ES6_15HIP_vector_typeIjLj2EENS0_17counting_iteratorIjlEEPS9_SG_NS0_5tupleIJPjSI_NS0_16reverse_iteratorISI_EEEEENSH_IJSG_SG_SG_EEES9_SI_JZNS1_25segmented_radix_sort_implINS0_14default_configELb0EPKfPfPKlPlN2at6native12_GLOBAL__N_18offset_tEEE10hipError_tPvRmT1_PNSt15iterator_traitsIS12_E10value_typeET2_T3_PNS13_IS18_E10value_typeET4_jRbjT5_S1E_jjP12ihipStream_tbEUljE_ZNSN_ISO_Lb0ESQ_SR_ST_SU_SY_EESZ_S10_S11_S12_S16_S17_S18_S1B_S1C_jS1D_jS1E_S1E_jjS1G_bEUljE0_EEESZ_S10_S11_S18_S1C_S1E_T6_T7_T9_mT8_S1G_bDpT10_ENKUlT_T0_E_clISt17integral_constantIbLb1EES1U_EEDaS1P_S1Q_EUlS1P_E_NS1_11comp_targetILNS1_3genE9ELNS1_11target_archE1100ELNS1_3gpuE3ELNS1_3repE0EEENS1_30default_config_static_selectorELNS0_4arch9wavefront6targetE1EEEvS12_
	.p2align	8
	.type	_ZN7rocprim17ROCPRIM_400000_NS6detail17trampoline_kernelINS0_13select_configILj256ELj13ELNS0_17block_load_methodE3ELS4_3ELS4_3ELNS0_20block_scan_algorithmE0ELj4294967295EEENS1_25partition_config_selectorILNS1_17partition_subalgoE4EjNS0_10empty_typeEbEEZZNS1_14partition_implILS8_4ELb0ES6_15HIP_vector_typeIjLj2EENS0_17counting_iteratorIjlEEPS9_SG_NS0_5tupleIJPjSI_NS0_16reverse_iteratorISI_EEEEENSH_IJSG_SG_SG_EEES9_SI_JZNS1_25segmented_radix_sort_implINS0_14default_configELb0EPKfPfPKlPlN2at6native12_GLOBAL__N_18offset_tEEE10hipError_tPvRmT1_PNSt15iterator_traitsIS12_E10value_typeET2_T3_PNS13_IS18_E10value_typeET4_jRbjT5_S1E_jjP12ihipStream_tbEUljE_ZNSN_ISO_Lb0ESQ_SR_ST_SU_SY_EESZ_S10_S11_S12_S16_S17_S18_S1B_S1C_jS1D_jS1E_S1E_jjS1G_bEUljE0_EEESZ_S10_S11_S18_S1C_S1E_T6_T7_T9_mT8_S1G_bDpT10_ENKUlT_T0_E_clISt17integral_constantIbLb1EES1U_EEDaS1P_S1Q_EUlS1P_E_NS1_11comp_targetILNS1_3genE9ELNS1_11target_archE1100ELNS1_3gpuE3ELNS1_3repE0EEENS1_30default_config_static_selectorELNS0_4arch9wavefront6targetE1EEEvS12_,@function
_ZN7rocprim17ROCPRIM_400000_NS6detail17trampoline_kernelINS0_13select_configILj256ELj13ELNS0_17block_load_methodE3ELS4_3ELS4_3ELNS0_20block_scan_algorithmE0ELj4294967295EEENS1_25partition_config_selectorILNS1_17partition_subalgoE4EjNS0_10empty_typeEbEEZZNS1_14partition_implILS8_4ELb0ES6_15HIP_vector_typeIjLj2EENS0_17counting_iteratorIjlEEPS9_SG_NS0_5tupleIJPjSI_NS0_16reverse_iteratorISI_EEEEENSH_IJSG_SG_SG_EEES9_SI_JZNS1_25segmented_radix_sort_implINS0_14default_configELb0EPKfPfPKlPlN2at6native12_GLOBAL__N_18offset_tEEE10hipError_tPvRmT1_PNSt15iterator_traitsIS12_E10value_typeET2_T3_PNS13_IS18_E10value_typeET4_jRbjT5_S1E_jjP12ihipStream_tbEUljE_ZNSN_ISO_Lb0ESQ_SR_ST_SU_SY_EESZ_S10_S11_S12_S16_S17_S18_S1B_S1C_jS1D_jS1E_S1E_jjS1G_bEUljE0_EEESZ_S10_S11_S18_S1C_S1E_T6_T7_T9_mT8_S1G_bDpT10_ENKUlT_T0_E_clISt17integral_constantIbLb1EES1U_EEDaS1P_S1Q_EUlS1P_E_NS1_11comp_targetILNS1_3genE9ELNS1_11target_archE1100ELNS1_3gpuE3ELNS1_3repE0EEENS1_30default_config_static_selectorELNS0_4arch9wavefront6targetE1EEEvS12_: ; @_ZN7rocprim17ROCPRIM_400000_NS6detail17trampoline_kernelINS0_13select_configILj256ELj13ELNS0_17block_load_methodE3ELS4_3ELS4_3ELNS0_20block_scan_algorithmE0ELj4294967295EEENS1_25partition_config_selectorILNS1_17partition_subalgoE4EjNS0_10empty_typeEbEEZZNS1_14partition_implILS8_4ELb0ES6_15HIP_vector_typeIjLj2EENS0_17counting_iteratorIjlEEPS9_SG_NS0_5tupleIJPjSI_NS0_16reverse_iteratorISI_EEEEENSH_IJSG_SG_SG_EEES9_SI_JZNS1_25segmented_radix_sort_implINS0_14default_configELb0EPKfPfPKlPlN2at6native12_GLOBAL__N_18offset_tEEE10hipError_tPvRmT1_PNSt15iterator_traitsIS12_E10value_typeET2_T3_PNS13_IS18_E10value_typeET4_jRbjT5_S1E_jjP12ihipStream_tbEUljE_ZNSN_ISO_Lb0ESQ_SR_ST_SU_SY_EESZ_S10_S11_S12_S16_S17_S18_S1B_S1C_jS1D_jS1E_S1E_jjS1G_bEUljE0_EEESZ_S10_S11_S18_S1C_S1E_T6_T7_T9_mT8_S1G_bDpT10_ENKUlT_T0_E_clISt17integral_constantIbLb1EES1U_EEDaS1P_S1Q_EUlS1P_E_NS1_11comp_targetILNS1_3genE9ELNS1_11target_archE1100ELNS1_3gpuE3ELNS1_3repE0EEENS1_30default_config_static_selectorELNS0_4arch9wavefront6targetE1EEEvS12_
; %bb.0:
	.section	.rodata,"a",@progbits
	.p2align	6, 0x0
	.amdhsa_kernel _ZN7rocprim17ROCPRIM_400000_NS6detail17trampoline_kernelINS0_13select_configILj256ELj13ELNS0_17block_load_methodE3ELS4_3ELS4_3ELNS0_20block_scan_algorithmE0ELj4294967295EEENS1_25partition_config_selectorILNS1_17partition_subalgoE4EjNS0_10empty_typeEbEEZZNS1_14partition_implILS8_4ELb0ES6_15HIP_vector_typeIjLj2EENS0_17counting_iteratorIjlEEPS9_SG_NS0_5tupleIJPjSI_NS0_16reverse_iteratorISI_EEEEENSH_IJSG_SG_SG_EEES9_SI_JZNS1_25segmented_radix_sort_implINS0_14default_configELb0EPKfPfPKlPlN2at6native12_GLOBAL__N_18offset_tEEE10hipError_tPvRmT1_PNSt15iterator_traitsIS12_E10value_typeET2_T3_PNS13_IS18_E10value_typeET4_jRbjT5_S1E_jjP12ihipStream_tbEUljE_ZNSN_ISO_Lb0ESQ_SR_ST_SU_SY_EESZ_S10_S11_S12_S16_S17_S18_S1B_S1C_jS1D_jS1E_S1E_jjS1G_bEUljE0_EEESZ_S10_S11_S18_S1C_S1E_T6_T7_T9_mT8_S1G_bDpT10_ENKUlT_T0_E_clISt17integral_constantIbLb1EES1U_EEDaS1P_S1Q_EUlS1P_E_NS1_11comp_targetILNS1_3genE9ELNS1_11target_archE1100ELNS1_3gpuE3ELNS1_3repE0EEENS1_30default_config_static_selectorELNS0_4arch9wavefront6targetE1EEEvS12_
		.amdhsa_group_segment_fixed_size 0
		.amdhsa_private_segment_fixed_size 0
		.amdhsa_kernarg_size 184
		.amdhsa_user_sgpr_count 6
		.amdhsa_user_sgpr_private_segment_buffer 1
		.amdhsa_user_sgpr_dispatch_ptr 0
		.amdhsa_user_sgpr_queue_ptr 0
		.amdhsa_user_sgpr_kernarg_segment_ptr 1
		.amdhsa_user_sgpr_dispatch_id 0
		.amdhsa_user_sgpr_flat_scratch_init 0
		.amdhsa_user_sgpr_kernarg_preload_length 0
		.amdhsa_user_sgpr_kernarg_preload_offset 0
		.amdhsa_user_sgpr_private_segment_size 0
		.amdhsa_uses_dynamic_stack 0
		.amdhsa_system_sgpr_private_segment_wavefront_offset 0
		.amdhsa_system_sgpr_workgroup_id_x 1
		.amdhsa_system_sgpr_workgroup_id_y 0
		.amdhsa_system_sgpr_workgroup_id_z 0
		.amdhsa_system_sgpr_workgroup_info 0
		.amdhsa_system_vgpr_workitem_id 0
		.amdhsa_next_free_vgpr 1
		.amdhsa_next_free_sgpr 0
		.amdhsa_accum_offset 4
		.amdhsa_reserve_vcc 0
		.amdhsa_reserve_flat_scratch 0
		.amdhsa_float_round_mode_32 0
		.amdhsa_float_round_mode_16_64 0
		.amdhsa_float_denorm_mode_32 3
		.amdhsa_float_denorm_mode_16_64 3
		.amdhsa_dx10_clamp 1
		.amdhsa_ieee_mode 1
		.amdhsa_fp16_overflow 0
		.amdhsa_tg_split 0
		.amdhsa_exception_fp_ieee_invalid_op 0
		.amdhsa_exception_fp_denorm_src 0
		.amdhsa_exception_fp_ieee_div_zero 0
		.amdhsa_exception_fp_ieee_overflow 0
		.amdhsa_exception_fp_ieee_underflow 0
		.amdhsa_exception_fp_ieee_inexact 0
		.amdhsa_exception_int_div_zero 0
	.end_amdhsa_kernel
	.section	.text._ZN7rocprim17ROCPRIM_400000_NS6detail17trampoline_kernelINS0_13select_configILj256ELj13ELNS0_17block_load_methodE3ELS4_3ELS4_3ELNS0_20block_scan_algorithmE0ELj4294967295EEENS1_25partition_config_selectorILNS1_17partition_subalgoE4EjNS0_10empty_typeEbEEZZNS1_14partition_implILS8_4ELb0ES6_15HIP_vector_typeIjLj2EENS0_17counting_iteratorIjlEEPS9_SG_NS0_5tupleIJPjSI_NS0_16reverse_iteratorISI_EEEEENSH_IJSG_SG_SG_EEES9_SI_JZNS1_25segmented_radix_sort_implINS0_14default_configELb0EPKfPfPKlPlN2at6native12_GLOBAL__N_18offset_tEEE10hipError_tPvRmT1_PNSt15iterator_traitsIS12_E10value_typeET2_T3_PNS13_IS18_E10value_typeET4_jRbjT5_S1E_jjP12ihipStream_tbEUljE_ZNSN_ISO_Lb0ESQ_SR_ST_SU_SY_EESZ_S10_S11_S12_S16_S17_S18_S1B_S1C_jS1D_jS1E_S1E_jjS1G_bEUljE0_EEESZ_S10_S11_S18_S1C_S1E_T6_T7_T9_mT8_S1G_bDpT10_ENKUlT_T0_E_clISt17integral_constantIbLb1EES1U_EEDaS1P_S1Q_EUlS1P_E_NS1_11comp_targetILNS1_3genE9ELNS1_11target_archE1100ELNS1_3gpuE3ELNS1_3repE0EEENS1_30default_config_static_selectorELNS0_4arch9wavefront6targetE1EEEvS12_,"axG",@progbits,_ZN7rocprim17ROCPRIM_400000_NS6detail17trampoline_kernelINS0_13select_configILj256ELj13ELNS0_17block_load_methodE3ELS4_3ELS4_3ELNS0_20block_scan_algorithmE0ELj4294967295EEENS1_25partition_config_selectorILNS1_17partition_subalgoE4EjNS0_10empty_typeEbEEZZNS1_14partition_implILS8_4ELb0ES6_15HIP_vector_typeIjLj2EENS0_17counting_iteratorIjlEEPS9_SG_NS0_5tupleIJPjSI_NS0_16reverse_iteratorISI_EEEEENSH_IJSG_SG_SG_EEES9_SI_JZNS1_25segmented_radix_sort_implINS0_14default_configELb0EPKfPfPKlPlN2at6native12_GLOBAL__N_18offset_tEEE10hipError_tPvRmT1_PNSt15iterator_traitsIS12_E10value_typeET2_T3_PNS13_IS18_E10value_typeET4_jRbjT5_S1E_jjP12ihipStream_tbEUljE_ZNSN_ISO_Lb0ESQ_SR_ST_SU_SY_EESZ_S10_S11_S12_S16_S17_S18_S1B_S1C_jS1D_jS1E_S1E_jjS1G_bEUljE0_EEESZ_S10_S11_S18_S1C_S1E_T6_T7_T9_mT8_S1G_bDpT10_ENKUlT_T0_E_clISt17integral_constantIbLb1EES1U_EEDaS1P_S1Q_EUlS1P_E_NS1_11comp_targetILNS1_3genE9ELNS1_11target_archE1100ELNS1_3gpuE3ELNS1_3repE0EEENS1_30default_config_static_selectorELNS0_4arch9wavefront6targetE1EEEvS12_,comdat
.Lfunc_end1376:
	.size	_ZN7rocprim17ROCPRIM_400000_NS6detail17trampoline_kernelINS0_13select_configILj256ELj13ELNS0_17block_load_methodE3ELS4_3ELS4_3ELNS0_20block_scan_algorithmE0ELj4294967295EEENS1_25partition_config_selectorILNS1_17partition_subalgoE4EjNS0_10empty_typeEbEEZZNS1_14partition_implILS8_4ELb0ES6_15HIP_vector_typeIjLj2EENS0_17counting_iteratorIjlEEPS9_SG_NS0_5tupleIJPjSI_NS0_16reverse_iteratorISI_EEEEENSH_IJSG_SG_SG_EEES9_SI_JZNS1_25segmented_radix_sort_implINS0_14default_configELb0EPKfPfPKlPlN2at6native12_GLOBAL__N_18offset_tEEE10hipError_tPvRmT1_PNSt15iterator_traitsIS12_E10value_typeET2_T3_PNS13_IS18_E10value_typeET4_jRbjT5_S1E_jjP12ihipStream_tbEUljE_ZNSN_ISO_Lb0ESQ_SR_ST_SU_SY_EESZ_S10_S11_S12_S16_S17_S18_S1B_S1C_jS1D_jS1E_S1E_jjS1G_bEUljE0_EEESZ_S10_S11_S18_S1C_S1E_T6_T7_T9_mT8_S1G_bDpT10_ENKUlT_T0_E_clISt17integral_constantIbLb1EES1U_EEDaS1P_S1Q_EUlS1P_E_NS1_11comp_targetILNS1_3genE9ELNS1_11target_archE1100ELNS1_3gpuE3ELNS1_3repE0EEENS1_30default_config_static_selectorELNS0_4arch9wavefront6targetE1EEEvS12_, .Lfunc_end1376-_ZN7rocprim17ROCPRIM_400000_NS6detail17trampoline_kernelINS0_13select_configILj256ELj13ELNS0_17block_load_methodE3ELS4_3ELS4_3ELNS0_20block_scan_algorithmE0ELj4294967295EEENS1_25partition_config_selectorILNS1_17partition_subalgoE4EjNS0_10empty_typeEbEEZZNS1_14partition_implILS8_4ELb0ES6_15HIP_vector_typeIjLj2EENS0_17counting_iteratorIjlEEPS9_SG_NS0_5tupleIJPjSI_NS0_16reverse_iteratorISI_EEEEENSH_IJSG_SG_SG_EEES9_SI_JZNS1_25segmented_radix_sort_implINS0_14default_configELb0EPKfPfPKlPlN2at6native12_GLOBAL__N_18offset_tEEE10hipError_tPvRmT1_PNSt15iterator_traitsIS12_E10value_typeET2_T3_PNS13_IS18_E10value_typeET4_jRbjT5_S1E_jjP12ihipStream_tbEUljE_ZNSN_ISO_Lb0ESQ_SR_ST_SU_SY_EESZ_S10_S11_S12_S16_S17_S18_S1B_S1C_jS1D_jS1E_S1E_jjS1G_bEUljE0_EEESZ_S10_S11_S18_S1C_S1E_T6_T7_T9_mT8_S1G_bDpT10_ENKUlT_T0_E_clISt17integral_constantIbLb1EES1U_EEDaS1P_S1Q_EUlS1P_E_NS1_11comp_targetILNS1_3genE9ELNS1_11target_archE1100ELNS1_3gpuE3ELNS1_3repE0EEENS1_30default_config_static_selectorELNS0_4arch9wavefront6targetE1EEEvS12_
                                        ; -- End function
	.section	.AMDGPU.csdata,"",@progbits
; Kernel info:
; codeLenInByte = 0
; NumSgprs: 4
; NumVgprs: 0
; NumAgprs: 0
; TotalNumVgprs: 0
; ScratchSize: 0
; MemoryBound: 0
; FloatMode: 240
; IeeeMode: 1
; LDSByteSize: 0 bytes/workgroup (compile time only)
; SGPRBlocks: 0
; VGPRBlocks: 0
; NumSGPRsForWavesPerEU: 4
; NumVGPRsForWavesPerEU: 1
; AccumOffset: 4
; Occupancy: 8
; WaveLimiterHint : 0
; COMPUTE_PGM_RSRC2:SCRATCH_EN: 0
; COMPUTE_PGM_RSRC2:USER_SGPR: 6
; COMPUTE_PGM_RSRC2:TRAP_HANDLER: 0
; COMPUTE_PGM_RSRC2:TGID_X_EN: 1
; COMPUTE_PGM_RSRC2:TGID_Y_EN: 0
; COMPUTE_PGM_RSRC2:TGID_Z_EN: 0
; COMPUTE_PGM_RSRC2:TIDIG_COMP_CNT: 0
; COMPUTE_PGM_RSRC3_GFX90A:ACCUM_OFFSET: 0
; COMPUTE_PGM_RSRC3_GFX90A:TG_SPLIT: 0
	.section	.text._ZN7rocprim17ROCPRIM_400000_NS6detail17trampoline_kernelINS0_13select_configILj256ELj13ELNS0_17block_load_methodE3ELS4_3ELS4_3ELNS0_20block_scan_algorithmE0ELj4294967295EEENS1_25partition_config_selectorILNS1_17partition_subalgoE4EjNS0_10empty_typeEbEEZZNS1_14partition_implILS8_4ELb0ES6_15HIP_vector_typeIjLj2EENS0_17counting_iteratorIjlEEPS9_SG_NS0_5tupleIJPjSI_NS0_16reverse_iteratorISI_EEEEENSH_IJSG_SG_SG_EEES9_SI_JZNS1_25segmented_radix_sort_implINS0_14default_configELb0EPKfPfPKlPlN2at6native12_GLOBAL__N_18offset_tEEE10hipError_tPvRmT1_PNSt15iterator_traitsIS12_E10value_typeET2_T3_PNS13_IS18_E10value_typeET4_jRbjT5_S1E_jjP12ihipStream_tbEUljE_ZNSN_ISO_Lb0ESQ_SR_ST_SU_SY_EESZ_S10_S11_S12_S16_S17_S18_S1B_S1C_jS1D_jS1E_S1E_jjS1G_bEUljE0_EEESZ_S10_S11_S18_S1C_S1E_T6_T7_T9_mT8_S1G_bDpT10_ENKUlT_T0_E_clISt17integral_constantIbLb1EES1U_EEDaS1P_S1Q_EUlS1P_E_NS1_11comp_targetILNS1_3genE8ELNS1_11target_archE1030ELNS1_3gpuE2ELNS1_3repE0EEENS1_30default_config_static_selectorELNS0_4arch9wavefront6targetE1EEEvS12_,"axG",@progbits,_ZN7rocprim17ROCPRIM_400000_NS6detail17trampoline_kernelINS0_13select_configILj256ELj13ELNS0_17block_load_methodE3ELS4_3ELS4_3ELNS0_20block_scan_algorithmE0ELj4294967295EEENS1_25partition_config_selectorILNS1_17partition_subalgoE4EjNS0_10empty_typeEbEEZZNS1_14partition_implILS8_4ELb0ES6_15HIP_vector_typeIjLj2EENS0_17counting_iteratorIjlEEPS9_SG_NS0_5tupleIJPjSI_NS0_16reverse_iteratorISI_EEEEENSH_IJSG_SG_SG_EEES9_SI_JZNS1_25segmented_radix_sort_implINS0_14default_configELb0EPKfPfPKlPlN2at6native12_GLOBAL__N_18offset_tEEE10hipError_tPvRmT1_PNSt15iterator_traitsIS12_E10value_typeET2_T3_PNS13_IS18_E10value_typeET4_jRbjT5_S1E_jjP12ihipStream_tbEUljE_ZNSN_ISO_Lb0ESQ_SR_ST_SU_SY_EESZ_S10_S11_S12_S16_S17_S18_S1B_S1C_jS1D_jS1E_S1E_jjS1G_bEUljE0_EEESZ_S10_S11_S18_S1C_S1E_T6_T7_T9_mT8_S1G_bDpT10_ENKUlT_T0_E_clISt17integral_constantIbLb1EES1U_EEDaS1P_S1Q_EUlS1P_E_NS1_11comp_targetILNS1_3genE8ELNS1_11target_archE1030ELNS1_3gpuE2ELNS1_3repE0EEENS1_30default_config_static_selectorELNS0_4arch9wavefront6targetE1EEEvS12_,comdat
	.globl	_ZN7rocprim17ROCPRIM_400000_NS6detail17trampoline_kernelINS0_13select_configILj256ELj13ELNS0_17block_load_methodE3ELS4_3ELS4_3ELNS0_20block_scan_algorithmE0ELj4294967295EEENS1_25partition_config_selectorILNS1_17partition_subalgoE4EjNS0_10empty_typeEbEEZZNS1_14partition_implILS8_4ELb0ES6_15HIP_vector_typeIjLj2EENS0_17counting_iteratorIjlEEPS9_SG_NS0_5tupleIJPjSI_NS0_16reverse_iteratorISI_EEEEENSH_IJSG_SG_SG_EEES9_SI_JZNS1_25segmented_radix_sort_implINS0_14default_configELb0EPKfPfPKlPlN2at6native12_GLOBAL__N_18offset_tEEE10hipError_tPvRmT1_PNSt15iterator_traitsIS12_E10value_typeET2_T3_PNS13_IS18_E10value_typeET4_jRbjT5_S1E_jjP12ihipStream_tbEUljE_ZNSN_ISO_Lb0ESQ_SR_ST_SU_SY_EESZ_S10_S11_S12_S16_S17_S18_S1B_S1C_jS1D_jS1E_S1E_jjS1G_bEUljE0_EEESZ_S10_S11_S18_S1C_S1E_T6_T7_T9_mT8_S1G_bDpT10_ENKUlT_T0_E_clISt17integral_constantIbLb1EES1U_EEDaS1P_S1Q_EUlS1P_E_NS1_11comp_targetILNS1_3genE8ELNS1_11target_archE1030ELNS1_3gpuE2ELNS1_3repE0EEENS1_30default_config_static_selectorELNS0_4arch9wavefront6targetE1EEEvS12_ ; -- Begin function _ZN7rocprim17ROCPRIM_400000_NS6detail17trampoline_kernelINS0_13select_configILj256ELj13ELNS0_17block_load_methodE3ELS4_3ELS4_3ELNS0_20block_scan_algorithmE0ELj4294967295EEENS1_25partition_config_selectorILNS1_17partition_subalgoE4EjNS0_10empty_typeEbEEZZNS1_14partition_implILS8_4ELb0ES6_15HIP_vector_typeIjLj2EENS0_17counting_iteratorIjlEEPS9_SG_NS0_5tupleIJPjSI_NS0_16reverse_iteratorISI_EEEEENSH_IJSG_SG_SG_EEES9_SI_JZNS1_25segmented_radix_sort_implINS0_14default_configELb0EPKfPfPKlPlN2at6native12_GLOBAL__N_18offset_tEEE10hipError_tPvRmT1_PNSt15iterator_traitsIS12_E10value_typeET2_T3_PNS13_IS18_E10value_typeET4_jRbjT5_S1E_jjP12ihipStream_tbEUljE_ZNSN_ISO_Lb0ESQ_SR_ST_SU_SY_EESZ_S10_S11_S12_S16_S17_S18_S1B_S1C_jS1D_jS1E_S1E_jjS1G_bEUljE0_EEESZ_S10_S11_S18_S1C_S1E_T6_T7_T9_mT8_S1G_bDpT10_ENKUlT_T0_E_clISt17integral_constantIbLb1EES1U_EEDaS1P_S1Q_EUlS1P_E_NS1_11comp_targetILNS1_3genE8ELNS1_11target_archE1030ELNS1_3gpuE2ELNS1_3repE0EEENS1_30default_config_static_selectorELNS0_4arch9wavefront6targetE1EEEvS12_
	.p2align	8
	.type	_ZN7rocprim17ROCPRIM_400000_NS6detail17trampoline_kernelINS0_13select_configILj256ELj13ELNS0_17block_load_methodE3ELS4_3ELS4_3ELNS0_20block_scan_algorithmE0ELj4294967295EEENS1_25partition_config_selectorILNS1_17partition_subalgoE4EjNS0_10empty_typeEbEEZZNS1_14partition_implILS8_4ELb0ES6_15HIP_vector_typeIjLj2EENS0_17counting_iteratorIjlEEPS9_SG_NS0_5tupleIJPjSI_NS0_16reverse_iteratorISI_EEEEENSH_IJSG_SG_SG_EEES9_SI_JZNS1_25segmented_radix_sort_implINS0_14default_configELb0EPKfPfPKlPlN2at6native12_GLOBAL__N_18offset_tEEE10hipError_tPvRmT1_PNSt15iterator_traitsIS12_E10value_typeET2_T3_PNS13_IS18_E10value_typeET4_jRbjT5_S1E_jjP12ihipStream_tbEUljE_ZNSN_ISO_Lb0ESQ_SR_ST_SU_SY_EESZ_S10_S11_S12_S16_S17_S18_S1B_S1C_jS1D_jS1E_S1E_jjS1G_bEUljE0_EEESZ_S10_S11_S18_S1C_S1E_T6_T7_T9_mT8_S1G_bDpT10_ENKUlT_T0_E_clISt17integral_constantIbLb1EES1U_EEDaS1P_S1Q_EUlS1P_E_NS1_11comp_targetILNS1_3genE8ELNS1_11target_archE1030ELNS1_3gpuE2ELNS1_3repE0EEENS1_30default_config_static_selectorELNS0_4arch9wavefront6targetE1EEEvS12_,@function
_ZN7rocprim17ROCPRIM_400000_NS6detail17trampoline_kernelINS0_13select_configILj256ELj13ELNS0_17block_load_methodE3ELS4_3ELS4_3ELNS0_20block_scan_algorithmE0ELj4294967295EEENS1_25partition_config_selectorILNS1_17partition_subalgoE4EjNS0_10empty_typeEbEEZZNS1_14partition_implILS8_4ELb0ES6_15HIP_vector_typeIjLj2EENS0_17counting_iteratorIjlEEPS9_SG_NS0_5tupleIJPjSI_NS0_16reverse_iteratorISI_EEEEENSH_IJSG_SG_SG_EEES9_SI_JZNS1_25segmented_radix_sort_implINS0_14default_configELb0EPKfPfPKlPlN2at6native12_GLOBAL__N_18offset_tEEE10hipError_tPvRmT1_PNSt15iterator_traitsIS12_E10value_typeET2_T3_PNS13_IS18_E10value_typeET4_jRbjT5_S1E_jjP12ihipStream_tbEUljE_ZNSN_ISO_Lb0ESQ_SR_ST_SU_SY_EESZ_S10_S11_S12_S16_S17_S18_S1B_S1C_jS1D_jS1E_S1E_jjS1G_bEUljE0_EEESZ_S10_S11_S18_S1C_S1E_T6_T7_T9_mT8_S1G_bDpT10_ENKUlT_T0_E_clISt17integral_constantIbLb1EES1U_EEDaS1P_S1Q_EUlS1P_E_NS1_11comp_targetILNS1_3genE8ELNS1_11target_archE1030ELNS1_3gpuE2ELNS1_3repE0EEENS1_30default_config_static_selectorELNS0_4arch9wavefront6targetE1EEEvS12_: ; @_ZN7rocprim17ROCPRIM_400000_NS6detail17trampoline_kernelINS0_13select_configILj256ELj13ELNS0_17block_load_methodE3ELS4_3ELS4_3ELNS0_20block_scan_algorithmE0ELj4294967295EEENS1_25partition_config_selectorILNS1_17partition_subalgoE4EjNS0_10empty_typeEbEEZZNS1_14partition_implILS8_4ELb0ES6_15HIP_vector_typeIjLj2EENS0_17counting_iteratorIjlEEPS9_SG_NS0_5tupleIJPjSI_NS0_16reverse_iteratorISI_EEEEENSH_IJSG_SG_SG_EEES9_SI_JZNS1_25segmented_radix_sort_implINS0_14default_configELb0EPKfPfPKlPlN2at6native12_GLOBAL__N_18offset_tEEE10hipError_tPvRmT1_PNSt15iterator_traitsIS12_E10value_typeET2_T3_PNS13_IS18_E10value_typeET4_jRbjT5_S1E_jjP12ihipStream_tbEUljE_ZNSN_ISO_Lb0ESQ_SR_ST_SU_SY_EESZ_S10_S11_S12_S16_S17_S18_S1B_S1C_jS1D_jS1E_S1E_jjS1G_bEUljE0_EEESZ_S10_S11_S18_S1C_S1E_T6_T7_T9_mT8_S1G_bDpT10_ENKUlT_T0_E_clISt17integral_constantIbLb1EES1U_EEDaS1P_S1Q_EUlS1P_E_NS1_11comp_targetILNS1_3genE8ELNS1_11target_archE1030ELNS1_3gpuE2ELNS1_3repE0EEENS1_30default_config_static_selectorELNS0_4arch9wavefront6targetE1EEEvS12_
; %bb.0:
	.section	.rodata,"a",@progbits
	.p2align	6, 0x0
	.amdhsa_kernel _ZN7rocprim17ROCPRIM_400000_NS6detail17trampoline_kernelINS0_13select_configILj256ELj13ELNS0_17block_load_methodE3ELS4_3ELS4_3ELNS0_20block_scan_algorithmE0ELj4294967295EEENS1_25partition_config_selectorILNS1_17partition_subalgoE4EjNS0_10empty_typeEbEEZZNS1_14partition_implILS8_4ELb0ES6_15HIP_vector_typeIjLj2EENS0_17counting_iteratorIjlEEPS9_SG_NS0_5tupleIJPjSI_NS0_16reverse_iteratorISI_EEEEENSH_IJSG_SG_SG_EEES9_SI_JZNS1_25segmented_radix_sort_implINS0_14default_configELb0EPKfPfPKlPlN2at6native12_GLOBAL__N_18offset_tEEE10hipError_tPvRmT1_PNSt15iterator_traitsIS12_E10value_typeET2_T3_PNS13_IS18_E10value_typeET4_jRbjT5_S1E_jjP12ihipStream_tbEUljE_ZNSN_ISO_Lb0ESQ_SR_ST_SU_SY_EESZ_S10_S11_S12_S16_S17_S18_S1B_S1C_jS1D_jS1E_S1E_jjS1G_bEUljE0_EEESZ_S10_S11_S18_S1C_S1E_T6_T7_T9_mT8_S1G_bDpT10_ENKUlT_T0_E_clISt17integral_constantIbLb1EES1U_EEDaS1P_S1Q_EUlS1P_E_NS1_11comp_targetILNS1_3genE8ELNS1_11target_archE1030ELNS1_3gpuE2ELNS1_3repE0EEENS1_30default_config_static_selectorELNS0_4arch9wavefront6targetE1EEEvS12_
		.amdhsa_group_segment_fixed_size 0
		.amdhsa_private_segment_fixed_size 0
		.amdhsa_kernarg_size 184
		.amdhsa_user_sgpr_count 6
		.amdhsa_user_sgpr_private_segment_buffer 1
		.amdhsa_user_sgpr_dispatch_ptr 0
		.amdhsa_user_sgpr_queue_ptr 0
		.amdhsa_user_sgpr_kernarg_segment_ptr 1
		.amdhsa_user_sgpr_dispatch_id 0
		.amdhsa_user_sgpr_flat_scratch_init 0
		.amdhsa_user_sgpr_kernarg_preload_length 0
		.amdhsa_user_sgpr_kernarg_preload_offset 0
		.amdhsa_user_sgpr_private_segment_size 0
		.amdhsa_uses_dynamic_stack 0
		.amdhsa_system_sgpr_private_segment_wavefront_offset 0
		.amdhsa_system_sgpr_workgroup_id_x 1
		.amdhsa_system_sgpr_workgroup_id_y 0
		.amdhsa_system_sgpr_workgroup_id_z 0
		.amdhsa_system_sgpr_workgroup_info 0
		.amdhsa_system_vgpr_workitem_id 0
		.amdhsa_next_free_vgpr 1
		.amdhsa_next_free_sgpr 0
		.amdhsa_accum_offset 4
		.amdhsa_reserve_vcc 0
		.amdhsa_reserve_flat_scratch 0
		.amdhsa_float_round_mode_32 0
		.amdhsa_float_round_mode_16_64 0
		.amdhsa_float_denorm_mode_32 3
		.amdhsa_float_denorm_mode_16_64 3
		.amdhsa_dx10_clamp 1
		.amdhsa_ieee_mode 1
		.amdhsa_fp16_overflow 0
		.amdhsa_tg_split 0
		.amdhsa_exception_fp_ieee_invalid_op 0
		.amdhsa_exception_fp_denorm_src 0
		.amdhsa_exception_fp_ieee_div_zero 0
		.amdhsa_exception_fp_ieee_overflow 0
		.amdhsa_exception_fp_ieee_underflow 0
		.amdhsa_exception_fp_ieee_inexact 0
		.amdhsa_exception_int_div_zero 0
	.end_amdhsa_kernel
	.section	.text._ZN7rocprim17ROCPRIM_400000_NS6detail17trampoline_kernelINS0_13select_configILj256ELj13ELNS0_17block_load_methodE3ELS4_3ELS4_3ELNS0_20block_scan_algorithmE0ELj4294967295EEENS1_25partition_config_selectorILNS1_17partition_subalgoE4EjNS0_10empty_typeEbEEZZNS1_14partition_implILS8_4ELb0ES6_15HIP_vector_typeIjLj2EENS0_17counting_iteratorIjlEEPS9_SG_NS0_5tupleIJPjSI_NS0_16reverse_iteratorISI_EEEEENSH_IJSG_SG_SG_EEES9_SI_JZNS1_25segmented_radix_sort_implINS0_14default_configELb0EPKfPfPKlPlN2at6native12_GLOBAL__N_18offset_tEEE10hipError_tPvRmT1_PNSt15iterator_traitsIS12_E10value_typeET2_T3_PNS13_IS18_E10value_typeET4_jRbjT5_S1E_jjP12ihipStream_tbEUljE_ZNSN_ISO_Lb0ESQ_SR_ST_SU_SY_EESZ_S10_S11_S12_S16_S17_S18_S1B_S1C_jS1D_jS1E_S1E_jjS1G_bEUljE0_EEESZ_S10_S11_S18_S1C_S1E_T6_T7_T9_mT8_S1G_bDpT10_ENKUlT_T0_E_clISt17integral_constantIbLb1EES1U_EEDaS1P_S1Q_EUlS1P_E_NS1_11comp_targetILNS1_3genE8ELNS1_11target_archE1030ELNS1_3gpuE2ELNS1_3repE0EEENS1_30default_config_static_selectorELNS0_4arch9wavefront6targetE1EEEvS12_,"axG",@progbits,_ZN7rocprim17ROCPRIM_400000_NS6detail17trampoline_kernelINS0_13select_configILj256ELj13ELNS0_17block_load_methodE3ELS4_3ELS4_3ELNS0_20block_scan_algorithmE0ELj4294967295EEENS1_25partition_config_selectorILNS1_17partition_subalgoE4EjNS0_10empty_typeEbEEZZNS1_14partition_implILS8_4ELb0ES6_15HIP_vector_typeIjLj2EENS0_17counting_iteratorIjlEEPS9_SG_NS0_5tupleIJPjSI_NS0_16reverse_iteratorISI_EEEEENSH_IJSG_SG_SG_EEES9_SI_JZNS1_25segmented_radix_sort_implINS0_14default_configELb0EPKfPfPKlPlN2at6native12_GLOBAL__N_18offset_tEEE10hipError_tPvRmT1_PNSt15iterator_traitsIS12_E10value_typeET2_T3_PNS13_IS18_E10value_typeET4_jRbjT5_S1E_jjP12ihipStream_tbEUljE_ZNSN_ISO_Lb0ESQ_SR_ST_SU_SY_EESZ_S10_S11_S12_S16_S17_S18_S1B_S1C_jS1D_jS1E_S1E_jjS1G_bEUljE0_EEESZ_S10_S11_S18_S1C_S1E_T6_T7_T9_mT8_S1G_bDpT10_ENKUlT_T0_E_clISt17integral_constantIbLb1EES1U_EEDaS1P_S1Q_EUlS1P_E_NS1_11comp_targetILNS1_3genE8ELNS1_11target_archE1030ELNS1_3gpuE2ELNS1_3repE0EEENS1_30default_config_static_selectorELNS0_4arch9wavefront6targetE1EEEvS12_,comdat
.Lfunc_end1377:
	.size	_ZN7rocprim17ROCPRIM_400000_NS6detail17trampoline_kernelINS0_13select_configILj256ELj13ELNS0_17block_load_methodE3ELS4_3ELS4_3ELNS0_20block_scan_algorithmE0ELj4294967295EEENS1_25partition_config_selectorILNS1_17partition_subalgoE4EjNS0_10empty_typeEbEEZZNS1_14partition_implILS8_4ELb0ES6_15HIP_vector_typeIjLj2EENS0_17counting_iteratorIjlEEPS9_SG_NS0_5tupleIJPjSI_NS0_16reverse_iteratorISI_EEEEENSH_IJSG_SG_SG_EEES9_SI_JZNS1_25segmented_radix_sort_implINS0_14default_configELb0EPKfPfPKlPlN2at6native12_GLOBAL__N_18offset_tEEE10hipError_tPvRmT1_PNSt15iterator_traitsIS12_E10value_typeET2_T3_PNS13_IS18_E10value_typeET4_jRbjT5_S1E_jjP12ihipStream_tbEUljE_ZNSN_ISO_Lb0ESQ_SR_ST_SU_SY_EESZ_S10_S11_S12_S16_S17_S18_S1B_S1C_jS1D_jS1E_S1E_jjS1G_bEUljE0_EEESZ_S10_S11_S18_S1C_S1E_T6_T7_T9_mT8_S1G_bDpT10_ENKUlT_T0_E_clISt17integral_constantIbLb1EES1U_EEDaS1P_S1Q_EUlS1P_E_NS1_11comp_targetILNS1_3genE8ELNS1_11target_archE1030ELNS1_3gpuE2ELNS1_3repE0EEENS1_30default_config_static_selectorELNS0_4arch9wavefront6targetE1EEEvS12_, .Lfunc_end1377-_ZN7rocprim17ROCPRIM_400000_NS6detail17trampoline_kernelINS0_13select_configILj256ELj13ELNS0_17block_load_methodE3ELS4_3ELS4_3ELNS0_20block_scan_algorithmE0ELj4294967295EEENS1_25partition_config_selectorILNS1_17partition_subalgoE4EjNS0_10empty_typeEbEEZZNS1_14partition_implILS8_4ELb0ES6_15HIP_vector_typeIjLj2EENS0_17counting_iteratorIjlEEPS9_SG_NS0_5tupleIJPjSI_NS0_16reverse_iteratorISI_EEEEENSH_IJSG_SG_SG_EEES9_SI_JZNS1_25segmented_radix_sort_implINS0_14default_configELb0EPKfPfPKlPlN2at6native12_GLOBAL__N_18offset_tEEE10hipError_tPvRmT1_PNSt15iterator_traitsIS12_E10value_typeET2_T3_PNS13_IS18_E10value_typeET4_jRbjT5_S1E_jjP12ihipStream_tbEUljE_ZNSN_ISO_Lb0ESQ_SR_ST_SU_SY_EESZ_S10_S11_S12_S16_S17_S18_S1B_S1C_jS1D_jS1E_S1E_jjS1G_bEUljE0_EEESZ_S10_S11_S18_S1C_S1E_T6_T7_T9_mT8_S1G_bDpT10_ENKUlT_T0_E_clISt17integral_constantIbLb1EES1U_EEDaS1P_S1Q_EUlS1P_E_NS1_11comp_targetILNS1_3genE8ELNS1_11target_archE1030ELNS1_3gpuE2ELNS1_3repE0EEENS1_30default_config_static_selectorELNS0_4arch9wavefront6targetE1EEEvS12_
                                        ; -- End function
	.section	.AMDGPU.csdata,"",@progbits
; Kernel info:
; codeLenInByte = 0
; NumSgprs: 4
; NumVgprs: 0
; NumAgprs: 0
; TotalNumVgprs: 0
; ScratchSize: 0
; MemoryBound: 0
; FloatMode: 240
; IeeeMode: 1
; LDSByteSize: 0 bytes/workgroup (compile time only)
; SGPRBlocks: 0
; VGPRBlocks: 0
; NumSGPRsForWavesPerEU: 4
; NumVGPRsForWavesPerEU: 1
; AccumOffset: 4
; Occupancy: 8
; WaveLimiterHint : 0
; COMPUTE_PGM_RSRC2:SCRATCH_EN: 0
; COMPUTE_PGM_RSRC2:USER_SGPR: 6
; COMPUTE_PGM_RSRC2:TRAP_HANDLER: 0
; COMPUTE_PGM_RSRC2:TGID_X_EN: 1
; COMPUTE_PGM_RSRC2:TGID_Y_EN: 0
; COMPUTE_PGM_RSRC2:TGID_Z_EN: 0
; COMPUTE_PGM_RSRC2:TIDIG_COMP_CNT: 0
; COMPUTE_PGM_RSRC3_GFX90A:ACCUM_OFFSET: 0
; COMPUTE_PGM_RSRC3_GFX90A:TG_SPLIT: 0
	.section	.text._ZN7rocprim17ROCPRIM_400000_NS6detail17trampoline_kernelINS0_13select_configILj256ELj13ELNS0_17block_load_methodE3ELS4_3ELS4_3ELNS0_20block_scan_algorithmE0ELj4294967295EEENS1_25partition_config_selectorILNS1_17partition_subalgoE4EjNS0_10empty_typeEbEEZZNS1_14partition_implILS8_4ELb0ES6_15HIP_vector_typeIjLj2EENS0_17counting_iteratorIjlEEPS9_SG_NS0_5tupleIJPjSI_NS0_16reverse_iteratorISI_EEEEENSH_IJSG_SG_SG_EEES9_SI_JZNS1_25segmented_radix_sort_implINS0_14default_configELb0EPKfPfPKlPlN2at6native12_GLOBAL__N_18offset_tEEE10hipError_tPvRmT1_PNSt15iterator_traitsIS12_E10value_typeET2_T3_PNS13_IS18_E10value_typeET4_jRbjT5_S1E_jjP12ihipStream_tbEUljE_ZNSN_ISO_Lb0ESQ_SR_ST_SU_SY_EESZ_S10_S11_S12_S16_S17_S18_S1B_S1C_jS1D_jS1E_S1E_jjS1G_bEUljE0_EEESZ_S10_S11_S18_S1C_S1E_T6_T7_T9_mT8_S1G_bDpT10_ENKUlT_T0_E_clISt17integral_constantIbLb1EES1T_IbLb0EEEEDaS1P_S1Q_EUlS1P_E_NS1_11comp_targetILNS1_3genE0ELNS1_11target_archE4294967295ELNS1_3gpuE0ELNS1_3repE0EEENS1_30default_config_static_selectorELNS0_4arch9wavefront6targetE1EEEvS12_,"axG",@progbits,_ZN7rocprim17ROCPRIM_400000_NS6detail17trampoline_kernelINS0_13select_configILj256ELj13ELNS0_17block_load_methodE3ELS4_3ELS4_3ELNS0_20block_scan_algorithmE0ELj4294967295EEENS1_25partition_config_selectorILNS1_17partition_subalgoE4EjNS0_10empty_typeEbEEZZNS1_14partition_implILS8_4ELb0ES6_15HIP_vector_typeIjLj2EENS0_17counting_iteratorIjlEEPS9_SG_NS0_5tupleIJPjSI_NS0_16reverse_iteratorISI_EEEEENSH_IJSG_SG_SG_EEES9_SI_JZNS1_25segmented_radix_sort_implINS0_14default_configELb0EPKfPfPKlPlN2at6native12_GLOBAL__N_18offset_tEEE10hipError_tPvRmT1_PNSt15iterator_traitsIS12_E10value_typeET2_T3_PNS13_IS18_E10value_typeET4_jRbjT5_S1E_jjP12ihipStream_tbEUljE_ZNSN_ISO_Lb0ESQ_SR_ST_SU_SY_EESZ_S10_S11_S12_S16_S17_S18_S1B_S1C_jS1D_jS1E_S1E_jjS1G_bEUljE0_EEESZ_S10_S11_S18_S1C_S1E_T6_T7_T9_mT8_S1G_bDpT10_ENKUlT_T0_E_clISt17integral_constantIbLb1EES1T_IbLb0EEEEDaS1P_S1Q_EUlS1P_E_NS1_11comp_targetILNS1_3genE0ELNS1_11target_archE4294967295ELNS1_3gpuE0ELNS1_3repE0EEENS1_30default_config_static_selectorELNS0_4arch9wavefront6targetE1EEEvS12_,comdat
	.globl	_ZN7rocprim17ROCPRIM_400000_NS6detail17trampoline_kernelINS0_13select_configILj256ELj13ELNS0_17block_load_methodE3ELS4_3ELS4_3ELNS0_20block_scan_algorithmE0ELj4294967295EEENS1_25partition_config_selectorILNS1_17partition_subalgoE4EjNS0_10empty_typeEbEEZZNS1_14partition_implILS8_4ELb0ES6_15HIP_vector_typeIjLj2EENS0_17counting_iteratorIjlEEPS9_SG_NS0_5tupleIJPjSI_NS0_16reverse_iteratorISI_EEEEENSH_IJSG_SG_SG_EEES9_SI_JZNS1_25segmented_radix_sort_implINS0_14default_configELb0EPKfPfPKlPlN2at6native12_GLOBAL__N_18offset_tEEE10hipError_tPvRmT1_PNSt15iterator_traitsIS12_E10value_typeET2_T3_PNS13_IS18_E10value_typeET4_jRbjT5_S1E_jjP12ihipStream_tbEUljE_ZNSN_ISO_Lb0ESQ_SR_ST_SU_SY_EESZ_S10_S11_S12_S16_S17_S18_S1B_S1C_jS1D_jS1E_S1E_jjS1G_bEUljE0_EEESZ_S10_S11_S18_S1C_S1E_T6_T7_T9_mT8_S1G_bDpT10_ENKUlT_T0_E_clISt17integral_constantIbLb1EES1T_IbLb0EEEEDaS1P_S1Q_EUlS1P_E_NS1_11comp_targetILNS1_3genE0ELNS1_11target_archE4294967295ELNS1_3gpuE0ELNS1_3repE0EEENS1_30default_config_static_selectorELNS0_4arch9wavefront6targetE1EEEvS12_ ; -- Begin function _ZN7rocprim17ROCPRIM_400000_NS6detail17trampoline_kernelINS0_13select_configILj256ELj13ELNS0_17block_load_methodE3ELS4_3ELS4_3ELNS0_20block_scan_algorithmE0ELj4294967295EEENS1_25partition_config_selectorILNS1_17partition_subalgoE4EjNS0_10empty_typeEbEEZZNS1_14partition_implILS8_4ELb0ES6_15HIP_vector_typeIjLj2EENS0_17counting_iteratorIjlEEPS9_SG_NS0_5tupleIJPjSI_NS0_16reverse_iteratorISI_EEEEENSH_IJSG_SG_SG_EEES9_SI_JZNS1_25segmented_radix_sort_implINS0_14default_configELb0EPKfPfPKlPlN2at6native12_GLOBAL__N_18offset_tEEE10hipError_tPvRmT1_PNSt15iterator_traitsIS12_E10value_typeET2_T3_PNS13_IS18_E10value_typeET4_jRbjT5_S1E_jjP12ihipStream_tbEUljE_ZNSN_ISO_Lb0ESQ_SR_ST_SU_SY_EESZ_S10_S11_S12_S16_S17_S18_S1B_S1C_jS1D_jS1E_S1E_jjS1G_bEUljE0_EEESZ_S10_S11_S18_S1C_S1E_T6_T7_T9_mT8_S1G_bDpT10_ENKUlT_T0_E_clISt17integral_constantIbLb1EES1T_IbLb0EEEEDaS1P_S1Q_EUlS1P_E_NS1_11comp_targetILNS1_3genE0ELNS1_11target_archE4294967295ELNS1_3gpuE0ELNS1_3repE0EEENS1_30default_config_static_selectorELNS0_4arch9wavefront6targetE1EEEvS12_
	.p2align	8
	.type	_ZN7rocprim17ROCPRIM_400000_NS6detail17trampoline_kernelINS0_13select_configILj256ELj13ELNS0_17block_load_methodE3ELS4_3ELS4_3ELNS0_20block_scan_algorithmE0ELj4294967295EEENS1_25partition_config_selectorILNS1_17partition_subalgoE4EjNS0_10empty_typeEbEEZZNS1_14partition_implILS8_4ELb0ES6_15HIP_vector_typeIjLj2EENS0_17counting_iteratorIjlEEPS9_SG_NS0_5tupleIJPjSI_NS0_16reverse_iteratorISI_EEEEENSH_IJSG_SG_SG_EEES9_SI_JZNS1_25segmented_radix_sort_implINS0_14default_configELb0EPKfPfPKlPlN2at6native12_GLOBAL__N_18offset_tEEE10hipError_tPvRmT1_PNSt15iterator_traitsIS12_E10value_typeET2_T3_PNS13_IS18_E10value_typeET4_jRbjT5_S1E_jjP12ihipStream_tbEUljE_ZNSN_ISO_Lb0ESQ_SR_ST_SU_SY_EESZ_S10_S11_S12_S16_S17_S18_S1B_S1C_jS1D_jS1E_S1E_jjS1G_bEUljE0_EEESZ_S10_S11_S18_S1C_S1E_T6_T7_T9_mT8_S1G_bDpT10_ENKUlT_T0_E_clISt17integral_constantIbLb1EES1T_IbLb0EEEEDaS1P_S1Q_EUlS1P_E_NS1_11comp_targetILNS1_3genE0ELNS1_11target_archE4294967295ELNS1_3gpuE0ELNS1_3repE0EEENS1_30default_config_static_selectorELNS0_4arch9wavefront6targetE1EEEvS12_,@function
_ZN7rocprim17ROCPRIM_400000_NS6detail17trampoline_kernelINS0_13select_configILj256ELj13ELNS0_17block_load_methodE3ELS4_3ELS4_3ELNS0_20block_scan_algorithmE0ELj4294967295EEENS1_25partition_config_selectorILNS1_17partition_subalgoE4EjNS0_10empty_typeEbEEZZNS1_14partition_implILS8_4ELb0ES6_15HIP_vector_typeIjLj2EENS0_17counting_iteratorIjlEEPS9_SG_NS0_5tupleIJPjSI_NS0_16reverse_iteratorISI_EEEEENSH_IJSG_SG_SG_EEES9_SI_JZNS1_25segmented_radix_sort_implINS0_14default_configELb0EPKfPfPKlPlN2at6native12_GLOBAL__N_18offset_tEEE10hipError_tPvRmT1_PNSt15iterator_traitsIS12_E10value_typeET2_T3_PNS13_IS18_E10value_typeET4_jRbjT5_S1E_jjP12ihipStream_tbEUljE_ZNSN_ISO_Lb0ESQ_SR_ST_SU_SY_EESZ_S10_S11_S12_S16_S17_S18_S1B_S1C_jS1D_jS1E_S1E_jjS1G_bEUljE0_EEESZ_S10_S11_S18_S1C_S1E_T6_T7_T9_mT8_S1G_bDpT10_ENKUlT_T0_E_clISt17integral_constantIbLb1EES1T_IbLb0EEEEDaS1P_S1Q_EUlS1P_E_NS1_11comp_targetILNS1_3genE0ELNS1_11target_archE4294967295ELNS1_3gpuE0ELNS1_3repE0EEENS1_30default_config_static_selectorELNS0_4arch9wavefront6targetE1EEEvS12_: ; @_ZN7rocprim17ROCPRIM_400000_NS6detail17trampoline_kernelINS0_13select_configILj256ELj13ELNS0_17block_load_methodE3ELS4_3ELS4_3ELNS0_20block_scan_algorithmE0ELj4294967295EEENS1_25partition_config_selectorILNS1_17partition_subalgoE4EjNS0_10empty_typeEbEEZZNS1_14partition_implILS8_4ELb0ES6_15HIP_vector_typeIjLj2EENS0_17counting_iteratorIjlEEPS9_SG_NS0_5tupleIJPjSI_NS0_16reverse_iteratorISI_EEEEENSH_IJSG_SG_SG_EEES9_SI_JZNS1_25segmented_radix_sort_implINS0_14default_configELb0EPKfPfPKlPlN2at6native12_GLOBAL__N_18offset_tEEE10hipError_tPvRmT1_PNSt15iterator_traitsIS12_E10value_typeET2_T3_PNS13_IS18_E10value_typeET4_jRbjT5_S1E_jjP12ihipStream_tbEUljE_ZNSN_ISO_Lb0ESQ_SR_ST_SU_SY_EESZ_S10_S11_S12_S16_S17_S18_S1B_S1C_jS1D_jS1E_S1E_jjS1G_bEUljE0_EEESZ_S10_S11_S18_S1C_S1E_T6_T7_T9_mT8_S1G_bDpT10_ENKUlT_T0_E_clISt17integral_constantIbLb1EES1T_IbLb0EEEEDaS1P_S1Q_EUlS1P_E_NS1_11comp_targetILNS1_3genE0ELNS1_11target_archE4294967295ELNS1_3gpuE0ELNS1_3repE0EEENS1_30default_config_static_selectorELNS0_4arch9wavefront6targetE1EEEvS12_
; %bb.0:
	.section	.rodata,"a",@progbits
	.p2align	6, 0x0
	.amdhsa_kernel _ZN7rocprim17ROCPRIM_400000_NS6detail17trampoline_kernelINS0_13select_configILj256ELj13ELNS0_17block_load_methodE3ELS4_3ELS4_3ELNS0_20block_scan_algorithmE0ELj4294967295EEENS1_25partition_config_selectorILNS1_17partition_subalgoE4EjNS0_10empty_typeEbEEZZNS1_14partition_implILS8_4ELb0ES6_15HIP_vector_typeIjLj2EENS0_17counting_iteratorIjlEEPS9_SG_NS0_5tupleIJPjSI_NS0_16reverse_iteratorISI_EEEEENSH_IJSG_SG_SG_EEES9_SI_JZNS1_25segmented_radix_sort_implINS0_14default_configELb0EPKfPfPKlPlN2at6native12_GLOBAL__N_18offset_tEEE10hipError_tPvRmT1_PNSt15iterator_traitsIS12_E10value_typeET2_T3_PNS13_IS18_E10value_typeET4_jRbjT5_S1E_jjP12ihipStream_tbEUljE_ZNSN_ISO_Lb0ESQ_SR_ST_SU_SY_EESZ_S10_S11_S12_S16_S17_S18_S1B_S1C_jS1D_jS1E_S1E_jjS1G_bEUljE0_EEESZ_S10_S11_S18_S1C_S1E_T6_T7_T9_mT8_S1G_bDpT10_ENKUlT_T0_E_clISt17integral_constantIbLb1EES1T_IbLb0EEEEDaS1P_S1Q_EUlS1P_E_NS1_11comp_targetILNS1_3genE0ELNS1_11target_archE4294967295ELNS1_3gpuE0ELNS1_3repE0EEENS1_30default_config_static_selectorELNS0_4arch9wavefront6targetE1EEEvS12_
		.amdhsa_group_segment_fixed_size 0
		.amdhsa_private_segment_fixed_size 0
		.amdhsa_kernarg_size 176
		.amdhsa_user_sgpr_count 6
		.amdhsa_user_sgpr_private_segment_buffer 1
		.amdhsa_user_sgpr_dispatch_ptr 0
		.amdhsa_user_sgpr_queue_ptr 0
		.amdhsa_user_sgpr_kernarg_segment_ptr 1
		.amdhsa_user_sgpr_dispatch_id 0
		.amdhsa_user_sgpr_flat_scratch_init 0
		.amdhsa_user_sgpr_kernarg_preload_length 0
		.amdhsa_user_sgpr_kernarg_preload_offset 0
		.amdhsa_user_sgpr_private_segment_size 0
		.amdhsa_uses_dynamic_stack 0
		.amdhsa_system_sgpr_private_segment_wavefront_offset 0
		.amdhsa_system_sgpr_workgroup_id_x 1
		.amdhsa_system_sgpr_workgroup_id_y 0
		.amdhsa_system_sgpr_workgroup_id_z 0
		.amdhsa_system_sgpr_workgroup_info 0
		.amdhsa_system_vgpr_workitem_id 0
		.amdhsa_next_free_vgpr 1
		.amdhsa_next_free_sgpr 0
		.amdhsa_accum_offset 4
		.amdhsa_reserve_vcc 0
		.amdhsa_reserve_flat_scratch 0
		.amdhsa_float_round_mode_32 0
		.amdhsa_float_round_mode_16_64 0
		.amdhsa_float_denorm_mode_32 3
		.amdhsa_float_denorm_mode_16_64 3
		.amdhsa_dx10_clamp 1
		.amdhsa_ieee_mode 1
		.amdhsa_fp16_overflow 0
		.amdhsa_tg_split 0
		.amdhsa_exception_fp_ieee_invalid_op 0
		.amdhsa_exception_fp_denorm_src 0
		.amdhsa_exception_fp_ieee_div_zero 0
		.amdhsa_exception_fp_ieee_overflow 0
		.amdhsa_exception_fp_ieee_underflow 0
		.amdhsa_exception_fp_ieee_inexact 0
		.amdhsa_exception_int_div_zero 0
	.end_amdhsa_kernel
	.section	.text._ZN7rocprim17ROCPRIM_400000_NS6detail17trampoline_kernelINS0_13select_configILj256ELj13ELNS0_17block_load_methodE3ELS4_3ELS4_3ELNS0_20block_scan_algorithmE0ELj4294967295EEENS1_25partition_config_selectorILNS1_17partition_subalgoE4EjNS0_10empty_typeEbEEZZNS1_14partition_implILS8_4ELb0ES6_15HIP_vector_typeIjLj2EENS0_17counting_iteratorIjlEEPS9_SG_NS0_5tupleIJPjSI_NS0_16reverse_iteratorISI_EEEEENSH_IJSG_SG_SG_EEES9_SI_JZNS1_25segmented_radix_sort_implINS0_14default_configELb0EPKfPfPKlPlN2at6native12_GLOBAL__N_18offset_tEEE10hipError_tPvRmT1_PNSt15iterator_traitsIS12_E10value_typeET2_T3_PNS13_IS18_E10value_typeET4_jRbjT5_S1E_jjP12ihipStream_tbEUljE_ZNSN_ISO_Lb0ESQ_SR_ST_SU_SY_EESZ_S10_S11_S12_S16_S17_S18_S1B_S1C_jS1D_jS1E_S1E_jjS1G_bEUljE0_EEESZ_S10_S11_S18_S1C_S1E_T6_T7_T9_mT8_S1G_bDpT10_ENKUlT_T0_E_clISt17integral_constantIbLb1EES1T_IbLb0EEEEDaS1P_S1Q_EUlS1P_E_NS1_11comp_targetILNS1_3genE0ELNS1_11target_archE4294967295ELNS1_3gpuE0ELNS1_3repE0EEENS1_30default_config_static_selectorELNS0_4arch9wavefront6targetE1EEEvS12_,"axG",@progbits,_ZN7rocprim17ROCPRIM_400000_NS6detail17trampoline_kernelINS0_13select_configILj256ELj13ELNS0_17block_load_methodE3ELS4_3ELS4_3ELNS0_20block_scan_algorithmE0ELj4294967295EEENS1_25partition_config_selectorILNS1_17partition_subalgoE4EjNS0_10empty_typeEbEEZZNS1_14partition_implILS8_4ELb0ES6_15HIP_vector_typeIjLj2EENS0_17counting_iteratorIjlEEPS9_SG_NS0_5tupleIJPjSI_NS0_16reverse_iteratorISI_EEEEENSH_IJSG_SG_SG_EEES9_SI_JZNS1_25segmented_radix_sort_implINS0_14default_configELb0EPKfPfPKlPlN2at6native12_GLOBAL__N_18offset_tEEE10hipError_tPvRmT1_PNSt15iterator_traitsIS12_E10value_typeET2_T3_PNS13_IS18_E10value_typeET4_jRbjT5_S1E_jjP12ihipStream_tbEUljE_ZNSN_ISO_Lb0ESQ_SR_ST_SU_SY_EESZ_S10_S11_S12_S16_S17_S18_S1B_S1C_jS1D_jS1E_S1E_jjS1G_bEUljE0_EEESZ_S10_S11_S18_S1C_S1E_T6_T7_T9_mT8_S1G_bDpT10_ENKUlT_T0_E_clISt17integral_constantIbLb1EES1T_IbLb0EEEEDaS1P_S1Q_EUlS1P_E_NS1_11comp_targetILNS1_3genE0ELNS1_11target_archE4294967295ELNS1_3gpuE0ELNS1_3repE0EEENS1_30default_config_static_selectorELNS0_4arch9wavefront6targetE1EEEvS12_,comdat
.Lfunc_end1378:
	.size	_ZN7rocprim17ROCPRIM_400000_NS6detail17trampoline_kernelINS0_13select_configILj256ELj13ELNS0_17block_load_methodE3ELS4_3ELS4_3ELNS0_20block_scan_algorithmE0ELj4294967295EEENS1_25partition_config_selectorILNS1_17partition_subalgoE4EjNS0_10empty_typeEbEEZZNS1_14partition_implILS8_4ELb0ES6_15HIP_vector_typeIjLj2EENS0_17counting_iteratorIjlEEPS9_SG_NS0_5tupleIJPjSI_NS0_16reverse_iteratorISI_EEEEENSH_IJSG_SG_SG_EEES9_SI_JZNS1_25segmented_radix_sort_implINS0_14default_configELb0EPKfPfPKlPlN2at6native12_GLOBAL__N_18offset_tEEE10hipError_tPvRmT1_PNSt15iterator_traitsIS12_E10value_typeET2_T3_PNS13_IS18_E10value_typeET4_jRbjT5_S1E_jjP12ihipStream_tbEUljE_ZNSN_ISO_Lb0ESQ_SR_ST_SU_SY_EESZ_S10_S11_S12_S16_S17_S18_S1B_S1C_jS1D_jS1E_S1E_jjS1G_bEUljE0_EEESZ_S10_S11_S18_S1C_S1E_T6_T7_T9_mT8_S1G_bDpT10_ENKUlT_T0_E_clISt17integral_constantIbLb1EES1T_IbLb0EEEEDaS1P_S1Q_EUlS1P_E_NS1_11comp_targetILNS1_3genE0ELNS1_11target_archE4294967295ELNS1_3gpuE0ELNS1_3repE0EEENS1_30default_config_static_selectorELNS0_4arch9wavefront6targetE1EEEvS12_, .Lfunc_end1378-_ZN7rocprim17ROCPRIM_400000_NS6detail17trampoline_kernelINS0_13select_configILj256ELj13ELNS0_17block_load_methodE3ELS4_3ELS4_3ELNS0_20block_scan_algorithmE0ELj4294967295EEENS1_25partition_config_selectorILNS1_17partition_subalgoE4EjNS0_10empty_typeEbEEZZNS1_14partition_implILS8_4ELb0ES6_15HIP_vector_typeIjLj2EENS0_17counting_iteratorIjlEEPS9_SG_NS0_5tupleIJPjSI_NS0_16reverse_iteratorISI_EEEEENSH_IJSG_SG_SG_EEES9_SI_JZNS1_25segmented_radix_sort_implINS0_14default_configELb0EPKfPfPKlPlN2at6native12_GLOBAL__N_18offset_tEEE10hipError_tPvRmT1_PNSt15iterator_traitsIS12_E10value_typeET2_T3_PNS13_IS18_E10value_typeET4_jRbjT5_S1E_jjP12ihipStream_tbEUljE_ZNSN_ISO_Lb0ESQ_SR_ST_SU_SY_EESZ_S10_S11_S12_S16_S17_S18_S1B_S1C_jS1D_jS1E_S1E_jjS1G_bEUljE0_EEESZ_S10_S11_S18_S1C_S1E_T6_T7_T9_mT8_S1G_bDpT10_ENKUlT_T0_E_clISt17integral_constantIbLb1EES1T_IbLb0EEEEDaS1P_S1Q_EUlS1P_E_NS1_11comp_targetILNS1_3genE0ELNS1_11target_archE4294967295ELNS1_3gpuE0ELNS1_3repE0EEENS1_30default_config_static_selectorELNS0_4arch9wavefront6targetE1EEEvS12_
                                        ; -- End function
	.section	.AMDGPU.csdata,"",@progbits
; Kernel info:
; codeLenInByte = 0
; NumSgprs: 4
; NumVgprs: 0
; NumAgprs: 0
; TotalNumVgprs: 0
; ScratchSize: 0
; MemoryBound: 0
; FloatMode: 240
; IeeeMode: 1
; LDSByteSize: 0 bytes/workgroup (compile time only)
; SGPRBlocks: 0
; VGPRBlocks: 0
; NumSGPRsForWavesPerEU: 4
; NumVGPRsForWavesPerEU: 1
; AccumOffset: 4
; Occupancy: 8
; WaveLimiterHint : 0
; COMPUTE_PGM_RSRC2:SCRATCH_EN: 0
; COMPUTE_PGM_RSRC2:USER_SGPR: 6
; COMPUTE_PGM_RSRC2:TRAP_HANDLER: 0
; COMPUTE_PGM_RSRC2:TGID_X_EN: 1
; COMPUTE_PGM_RSRC2:TGID_Y_EN: 0
; COMPUTE_PGM_RSRC2:TGID_Z_EN: 0
; COMPUTE_PGM_RSRC2:TIDIG_COMP_CNT: 0
; COMPUTE_PGM_RSRC3_GFX90A:ACCUM_OFFSET: 0
; COMPUTE_PGM_RSRC3_GFX90A:TG_SPLIT: 0
	.section	.text._ZN7rocprim17ROCPRIM_400000_NS6detail17trampoline_kernelINS0_13select_configILj256ELj13ELNS0_17block_load_methodE3ELS4_3ELS4_3ELNS0_20block_scan_algorithmE0ELj4294967295EEENS1_25partition_config_selectorILNS1_17partition_subalgoE4EjNS0_10empty_typeEbEEZZNS1_14partition_implILS8_4ELb0ES6_15HIP_vector_typeIjLj2EENS0_17counting_iteratorIjlEEPS9_SG_NS0_5tupleIJPjSI_NS0_16reverse_iteratorISI_EEEEENSH_IJSG_SG_SG_EEES9_SI_JZNS1_25segmented_radix_sort_implINS0_14default_configELb0EPKfPfPKlPlN2at6native12_GLOBAL__N_18offset_tEEE10hipError_tPvRmT1_PNSt15iterator_traitsIS12_E10value_typeET2_T3_PNS13_IS18_E10value_typeET4_jRbjT5_S1E_jjP12ihipStream_tbEUljE_ZNSN_ISO_Lb0ESQ_SR_ST_SU_SY_EESZ_S10_S11_S12_S16_S17_S18_S1B_S1C_jS1D_jS1E_S1E_jjS1G_bEUljE0_EEESZ_S10_S11_S18_S1C_S1E_T6_T7_T9_mT8_S1G_bDpT10_ENKUlT_T0_E_clISt17integral_constantIbLb1EES1T_IbLb0EEEEDaS1P_S1Q_EUlS1P_E_NS1_11comp_targetILNS1_3genE5ELNS1_11target_archE942ELNS1_3gpuE9ELNS1_3repE0EEENS1_30default_config_static_selectorELNS0_4arch9wavefront6targetE1EEEvS12_,"axG",@progbits,_ZN7rocprim17ROCPRIM_400000_NS6detail17trampoline_kernelINS0_13select_configILj256ELj13ELNS0_17block_load_methodE3ELS4_3ELS4_3ELNS0_20block_scan_algorithmE0ELj4294967295EEENS1_25partition_config_selectorILNS1_17partition_subalgoE4EjNS0_10empty_typeEbEEZZNS1_14partition_implILS8_4ELb0ES6_15HIP_vector_typeIjLj2EENS0_17counting_iteratorIjlEEPS9_SG_NS0_5tupleIJPjSI_NS0_16reverse_iteratorISI_EEEEENSH_IJSG_SG_SG_EEES9_SI_JZNS1_25segmented_radix_sort_implINS0_14default_configELb0EPKfPfPKlPlN2at6native12_GLOBAL__N_18offset_tEEE10hipError_tPvRmT1_PNSt15iterator_traitsIS12_E10value_typeET2_T3_PNS13_IS18_E10value_typeET4_jRbjT5_S1E_jjP12ihipStream_tbEUljE_ZNSN_ISO_Lb0ESQ_SR_ST_SU_SY_EESZ_S10_S11_S12_S16_S17_S18_S1B_S1C_jS1D_jS1E_S1E_jjS1G_bEUljE0_EEESZ_S10_S11_S18_S1C_S1E_T6_T7_T9_mT8_S1G_bDpT10_ENKUlT_T0_E_clISt17integral_constantIbLb1EES1T_IbLb0EEEEDaS1P_S1Q_EUlS1P_E_NS1_11comp_targetILNS1_3genE5ELNS1_11target_archE942ELNS1_3gpuE9ELNS1_3repE0EEENS1_30default_config_static_selectorELNS0_4arch9wavefront6targetE1EEEvS12_,comdat
	.globl	_ZN7rocprim17ROCPRIM_400000_NS6detail17trampoline_kernelINS0_13select_configILj256ELj13ELNS0_17block_load_methodE3ELS4_3ELS4_3ELNS0_20block_scan_algorithmE0ELj4294967295EEENS1_25partition_config_selectorILNS1_17partition_subalgoE4EjNS0_10empty_typeEbEEZZNS1_14partition_implILS8_4ELb0ES6_15HIP_vector_typeIjLj2EENS0_17counting_iteratorIjlEEPS9_SG_NS0_5tupleIJPjSI_NS0_16reverse_iteratorISI_EEEEENSH_IJSG_SG_SG_EEES9_SI_JZNS1_25segmented_radix_sort_implINS0_14default_configELb0EPKfPfPKlPlN2at6native12_GLOBAL__N_18offset_tEEE10hipError_tPvRmT1_PNSt15iterator_traitsIS12_E10value_typeET2_T3_PNS13_IS18_E10value_typeET4_jRbjT5_S1E_jjP12ihipStream_tbEUljE_ZNSN_ISO_Lb0ESQ_SR_ST_SU_SY_EESZ_S10_S11_S12_S16_S17_S18_S1B_S1C_jS1D_jS1E_S1E_jjS1G_bEUljE0_EEESZ_S10_S11_S18_S1C_S1E_T6_T7_T9_mT8_S1G_bDpT10_ENKUlT_T0_E_clISt17integral_constantIbLb1EES1T_IbLb0EEEEDaS1P_S1Q_EUlS1P_E_NS1_11comp_targetILNS1_3genE5ELNS1_11target_archE942ELNS1_3gpuE9ELNS1_3repE0EEENS1_30default_config_static_selectorELNS0_4arch9wavefront6targetE1EEEvS12_ ; -- Begin function _ZN7rocprim17ROCPRIM_400000_NS6detail17trampoline_kernelINS0_13select_configILj256ELj13ELNS0_17block_load_methodE3ELS4_3ELS4_3ELNS0_20block_scan_algorithmE0ELj4294967295EEENS1_25partition_config_selectorILNS1_17partition_subalgoE4EjNS0_10empty_typeEbEEZZNS1_14partition_implILS8_4ELb0ES6_15HIP_vector_typeIjLj2EENS0_17counting_iteratorIjlEEPS9_SG_NS0_5tupleIJPjSI_NS0_16reverse_iteratorISI_EEEEENSH_IJSG_SG_SG_EEES9_SI_JZNS1_25segmented_radix_sort_implINS0_14default_configELb0EPKfPfPKlPlN2at6native12_GLOBAL__N_18offset_tEEE10hipError_tPvRmT1_PNSt15iterator_traitsIS12_E10value_typeET2_T3_PNS13_IS18_E10value_typeET4_jRbjT5_S1E_jjP12ihipStream_tbEUljE_ZNSN_ISO_Lb0ESQ_SR_ST_SU_SY_EESZ_S10_S11_S12_S16_S17_S18_S1B_S1C_jS1D_jS1E_S1E_jjS1G_bEUljE0_EEESZ_S10_S11_S18_S1C_S1E_T6_T7_T9_mT8_S1G_bDpT10_ENKUlT_T0_E_clISt17integral_constantIbLb1EES1T_IbLb0EEEEDaS1P_S1Q_EUlS1P_E_NS1_11comp_targetILNS1_3genE5ELNS1_11target_archE942ELNS1_3gpuE9ELNS1_3repE0EEENS1_30default_config_static_selectorELNS0_4arch9wavefront6targetE1EEEvS12_
	.p2align	8
	.type	_ZN7rocprim17ROCPRIM_400000_NS6detail17trampoline_kernelINS0_13select_configILj256ELj13ELNS0_17block_load_methodE3ELS4_3ELS4_3ELNS0_20block_scan_algorithmE0ELj4294967295EEENS1_25partition_config_selectorILNS1_17partition_subalgoE4EjNS0_10empty_typeEbEEZZNS1_14partition_implILS8_4ELb0ES6_15HIP_vector_typeIjLj2EENS0_17counting_iteratorIjlEEPS9_SG_NS0_5tupleIJPjSI_NS0_16reverse_iteratorISI_EEEEENSH_IJSG_SG_SG_EEES9_SI_JZNS1_25segmented_radix_sort_implINS0_14default_configELb0EPKfPfPKlPlN2at6native12_GLOBAL__N_18offset_tEEE10hipError_tPvRmT1_PNSt15iterator_traitsIS12_E10value_typeET2_T3_PNS13_IS18_E10value_typeET4_jRbjT5_S1E_jjP12ihipStream_tbEUljE_ZNSN_ISO_Lb0ESQ_SR_ST_SU_SY_EESZ_S10_S11_S12_S16_S17_S18_S1B_S1C_jS1D_jS1E_S1E_jjS1G_bEUljE0_EEESZ_S10_S11_S18_S1C_S1E_T6_T7_T9_mT8_S1G_bDpT10_ENKUlT_T0_E_clISt17integral_constantIbLb1EES1T_IbLb0EEEEDaS1P_S1Q_EUlS1P_E_NS1_11comp_targetILNS1_3genE5ELNS1_11target_archE942ELNS1_3gpuE9ELNS1_3repE0EEENS1_30default_config_static_selectorELNS0_4arch9wavefront6targetE1EEEvS12_,@function
_ZN7rocprim17ROCPRIM_400000_NS6detail17trampoline_kernelINS0_13select_configILj256ELj13ELNS0_17block_load_methodE3ELS4_3ELS4_3ELNS0_20block_scan_algorithmE0ELj4294967295EEENS1_25partition_config_selectorILNS1_17partition_subalgoE4EjNS0_10empty_typeEbEEZZNS1_14partition_implILS8_4ELb0ES6_15HIP_vector_typeIjLj2EENS0_17counting_iteratorIjlEEPS9_SG_NS0_5tupleIJPjSI_NS0_16reverse_iteratorISI_EEEEENSH_IJSG_SG_SG_EEES9_SI_JZNS1_25segmented_radix_sort_implINS0_14default_configELb0EPKfPfPKlPlN2at6native12_GLOBAL__N_18offset_tEEE10hipError_tPvRmT1_PNSt15iterator_traitsIS12_E10value_typeET2_T3_PNS13_IS18_E10value_typeET4_jRbjT5_S1E_jjP12ihipStream_tbEUljE_ZNSN_ISO_Lb0ESQ_SR_ST_SU_SY_EESZ_S10_S11_S12_S16_S17_S18_S1B_S1C_jS1D_jS1E_S1E_jjS1G_bEUljE0_EEESZ_S10_S11_S18_S1C_S1E_T6_T7_T9_mT8_S1G_bDpT10_ENKUlT_T0_E_clISt17integral_constantIbLb1EES1T_IbLb0EEEEDaS1P_S1Q_EUlS1P_E_NS1_11comp_targetILNS1_3genE5ELNS1_11target_archE942ELNS1_3gpuE9ELNS1_3repE0EEENS1_30default_config_static_selectorELNS0_4arch9wavefront6targetE1EEEvS12_: ; @_ZN7rocprim17ROCPRIM_400000_NS6detail17trampoline_kernelINS0_13select_configILj256ELj13ELNS0_17block_load_methodE3ELS4_3ELS4_3ELNS0_20block_scan_algorithmE0ELj4294967295EEENS1_25partition_config_selectorILNS1_17partition_subalgoE4EjNS0_10empty_typeEbEEZZNS1_14partition_implILS8_4ELb0ES6_15HIP_vector_typeIjLj2EENS0_17counting_iteratorIjlEEPS9_SG_NS0_5tupleIJPjSI_NS0_16reverse_iteratorISI_EEEEENSH_IJSG_SG_SG_EEES9_SI_JZNS1_25segmented_radix_sort_implINS0_14default_configELb0EPKfPfPKlPlN2at6native12_GLOBAL__N_18offset_tEEE10hipError_tPvRmT1_PNSt15iterator_traitsIS12_E10value_typeET2_T3_PNS13_IS18_E10value_typeET4_jRbjT5_S1E_jjP12ihipStream_tbEUljE_ZNSN_ISO_Lb0ESQ_SR_ST_SU_SY_EESZ_S10_S11_S12_S16_S17_S18_S1B_S1C_jS1D_jS1E_S1E_jjS1G_bEUljE0_EEESZ_S10_S11_S18_S1C_S1E_T6_T7_T9_mT8_S1G_bDpT10_ENKUlT_T0_E_clISt17integral_constantIbLb1EES1T_IbLb0EEEEDaS1P_S1Q_EUlS1P_E_NS1_11comp_targetILNS1_3genE5ELNS1_11target_archE942ELNS1_3gpuE9ELNS1_3repE0EEENS1_30default_config_static_selectorELNS0_4arch9wavefront6targetE1EEEvS12_
; %bb.0:
	.section	.rodata,"a",@progbits
	.p2align	6, 0x0
	.amdhsa_kernel _ZN7rocprim17ROCPRIM_400000_NS6detail17trampoline_kernelINS0_13select_configILj256ELj13ELNS0_17block_load_methodE3ELS4_3ELS4_3ELNS0_20block_scan_algorithmE0ELj4294967295EEENS1_25partition_config_selectorILNS1_17partition_subalgoE4EjNS0_10empty_typeEbEEZZNS1_14partition_implILS8_4ELb0ES6_15HIP_vector_typeIjLj2EENS0_17counting_iteratorIjlEEPS9_SG_NS0_5tupleIJPjSI_NS0_16reverse_iteratorISI_EEEEENSH_IJSG_SG_SG_EEES9_SI_JZNS1_25segmented_radix_sort_implINS0_14default_configELb0EPKfPfPKlPlN2at6native12_GLOBAL__N_18offset_tEEE10hipError_tPvRmT1_PNSt15iterator_traitsIS12_E10value_typeET2_T3_PNS13_IS18_E10value_typeET4_jRbjT5_S1E_jjP12ihipStream_tbEUljE_ZNSN_ISO_Lb0ESQ_SR_ST_SU_SY_EESZ_S10_S11_S12_S16_S17_S18_S1B_S1C_jS1D_jS1E_S1E_jjS1G_bEUljE0_EEESZ_S10_S11_S18_S1C_S1E_T6_T7_T9_mT8_S1G_bDpT10_ENKUlT_T0_E_clISt17integral_constantIbLb1EES1T_IbLb0EEEEDaS1P_S1Q_EUlS1P_E_NS1_11comp_targetILNS1_3genE5ELNS1_11target_archE942ELNS1_3gpuE9ELNS1_3repE0EEENS1_30default_config_static_selectorELNS0_4arch9wavefront6targetE1EEEvS12_
		.amdhsa_group_segment_fixed_size 0
		.amdhsa_private_segment_fixed_size 0
		.amdhsa_kernarg_size 176
		.amdhsa_user_sgpr_count 6
		.amdhsa_user_sgpr_private_segment_buffer 1
		.amdhsa_user_sgpr_dispatch_ptr 0
		.amdhsa_user_sgpr_queue_ptr 0
		.amdhsa_user_sgpr_kernarg_segment_ptr 1
		.amdhsa_user_sgpr_dispatch_id 0
		.amdhsa_user_sgpr_flat_scratch_init 0
		.amdhsa_user_sgpr_kernarg_preload_length 0
		.amdhsa_user_sgpr_kernarg_preload_offset 0
		.amdhsa_user_sgpr_private_segment_size 0
		.amdhsa_uses_dynamic_stack 0
		.amdhsa_system_sgpr_private_segment_wavefront_offset 0
		.amdhsa_system_sgpr_workgroup_id_x 1
		.amdhsa_system_sgpr_workgroup_id_y 0
		.amdhsa_system_sgpr_workgroup_id_z 0
		.amdhsa_system_sgpr_workgroup_info 0
		.amdhsa_system_vgpr_workitem_id 0
		.amdhsa_next_free_vgpr 1
		.amdhsa_next_free_sgpr 0
		.amdhsa_accum_offset 4
		.amdhsa_reserve_vcc 0
		.amdhsa_reserve_flat_scratch 0
		.amdhsa_float_round_mode_32 0
		.amdhsa_float_round_mode_16_64 0
		.amdhsa_float_denorm_mode_32 3
		.amdhsa_float_denorm_mode_16_64 3
		.amdhsa_dx10_clamp 1
		.amdhsa_ieee_mode 1
		.amdhsa_fp16_overflow 0
		.amdhsa_tg_split 0
		.amdhsa_exception_fp_ieee_invalid_op 0
		.amdhsa_exception_fp_denorm_src 0
		.amdhsa_exception_fp_ieee_div_zero 0
		.amdhsa_exception_fp_ieee_overflow 0
		.amdhsa_exception_fp_ieee_underflow 0
		.amdhsa_exception_fp_ieee_inexact 0
		.amdhsa_exception_int_div_zero 0
	.end_amdhsa_kernel
	.section	.text._ZN7rocprim17ROCPRIM_400000_NS6detail17trampoline_kernelINS0_13select_configILj256ELj13ELNS0_17block_load_methodE3ELS4_3ELS4_3ELNS0_20block_scan_algorithmE0ELj4294967295EEENS1_25partition_config_selectorILNS1_17partition_subalgoE4EjNS0_10empty_typeEbEEZZNS1_14partition_implILS8_4ELb0ES6_15HIP_vector_typeIjLj2EENS0_17counting_iteratorIjlEEPS9_SG_NS0_5tupleIJPjSI_NS0_16reverse_iteratorISI_EEEEENSH_IJSG_SG_SG_EEES9_SI_JZNS1_25segmented_radix_sort_implINS0_14default_configELb0EPKfPfPKlPlN2at6native12_GLOBAL__N_18offset_tEEE10hipError_tPvRmT1_PNSt15iterator_traitsIS12_E10value_typeET2_T3_PNS13_IS18_E10value_typeET4_jRbjT5_S1E_jjP12ihipStream_tbEUljE_ZNSN_ISO_Lb0ESQ_SR_ST_SU_SY_EESZ_S10_S11_S12_S16_S17_S18_S1B_S1C_jS1D_jS1E_S1E_jjS1G_bEUljE0_EEESZ_S10_S11_S18_S1C_S1E_T6_T7_T9_mT8_S1G_bDpT10_ENKUlT_T0_E_clISt17integral_constantIbLb1EES1T_IbLb0EEEEDaS1P_S1Q_EUlS1P_E_NS1_11comp_targetILNS1_3genE5ELNS1_11target_archE942ELNS1_3gpuE9ELNS1_3repE0EEENS1_30default_config_static_selectorELNS0_4arch9wavefront6targetE1EEEvS12_,"axG",@progbits,_ZN7rocprim17ROCPRIM_400000_NS6detail17trampoline_kernelINS0_13select_configILj256ELj13ELNS0_17block_load_methodE3ELS4_3ELS4_3ELNS0_20block_scan_algorithmE0ELj4294967295EEENS1_25partition_config_selectorILNS1_17partition_subalgoE4EjNS0_10empty_typeEbEEZZNS1_14partition_implILS8_4ELb0ES6_15HIP_vector_typeIjLj2EENS0_17counting_iteratorIjlEEPS9_SG_NS0_5tupleIJPjSI_NS0_16reverse_iteratorISI_EEEEENSH_IJSG_SG_SG_EEES9_SI_JZNS1_25segmented_radix_sort_implINS0_14default_configELb0EPKfPfPKlPlN2at6native12_GLOBAL__N_18offset_tEEE10hipError_tPvRmT1_PNSt15iterator_traitsIS12_E10value_typeET2_T3_PNS13_IS18_E10value_typeET4_jRbjT5_S1E_jjP12ihipStream_tbEUljE_ZNSN_ISO_Lb0ESQ_SR_ST_SU_SY_EESZ_S10_S11_S12_S16_S17_S18_S1B_S1C_jS1D_jS1E_S1E_jjS1G_bEUljE0_EEESZ_S10_S11_S18_S1C_S1E_T6_T7_T9_mT8_S1G_bDpT10_ENKUlT_T0_E_clISt17integral_constantIbLb1EES1T_IbLb0EEEEDaS1P_S1Q_EUlS1P_E_NS1_11comp_targetILNS1_3genE5ELNS1_11target_archE942ELNS1_3gpuE9ELNS1_3repE0EEENS1_30default_config_static_selectorELNS0_4arch9wavefront6targetE1EEEvS12_,comdat
.Lfunc_end1379:
	.size	_ZN7rocprim17ROCPRIM_400000_NS6detail17trampoline_kernelINS0_13select_configILj256ELj13ELNS0_17block_load_methodE3ELS4_3ELS4_3ELNS0_20block_scan_algorithmE0ELj4294967295EEENS1_25partition_config_selectorILNS1_17partition_subalgoE4EjNS0_10empty_typeEbEEZZNS1_14partition_implILS8_4ELb0ES6_15HIP_vector_typeIjLj2EENS0_17counting_iteratorIjlEEPS9_SG_NS0_5tupleIJPjSI_NS0_16reverse_iteratorISI_EEEEENSH_IJSG_SG_SG_EEES9_SI_JZNS1_25segmented_radix_sort_implINS0_14default_configELb0EPKfPfPKlPlN2at6native12_GLOBAL__N_18offset_tEEE10hipError_tPvRmT1_PNSt15iterator_traitsIS12_E10value_typeET2_T3_PNS13_IS18_E10value_typeET4_jRbjT5_S1E_jjP12ihipStream_tbEUljE_ZNSN_ISO_Lb0ESQ_SR_ST_SU_SY_EESZ_S10_S11_S12_S16_S17_S18_S1B_S1C_jS1D_jS1E_S1E_jjS1G_bEUljE0_EEESZ_S10_S11_S18_S1C_S1E_T6_T7_T9_mT8_S1G_bDpT10_ENKUlT_T0_E_clISt17integral_constantIbLb1EES1T_IbLb0EEEEDaS1P_S1Q_EUlS1P_E_NS1_11comp_targetILNS1_3genE5ELNS1_11target_archE942ELNS1_3gpuE9ELNS1_3repE0EEENS1_30default_config_static_selectorELNS0_4arch9wavefront6targetE1EEEvS12_, .Lfunc_end1379-_ZN7rocprim17ROCPRIM_400000_NS6detail17trampoline_kernelINS0_13select_configILj256ELj13ELNS0_17block_load_methodE3ELS4_3ELS4_3ELNS0_20block_scan_algorithmE0ELj4294967295EEENS1_25partition_config_selectorILNS1_17partition_subalgoE4EjNS0_10empty_typeEbEEZZNS1_14partition_implILS8_4ELb0ES6_15HIP_vector_typeIjLj2EENS0_17counting_iteratorIjlEEPS9_SG_NS0_5tupleIJPjSI_NS0_16reverse_iteratorISI_EEEEENSH_IJSG_SG_SG_EEES9_SI_JZNS1_25segmented_radix_sort_implINS0_14default_configELb0EPKfPfPKlPlN2at6native12_GLOBAL__N_18offset_tEEE10hipError_tPvRmT1_PNSt15iterator_traitsIS12_E10value_typeET2_T3_PNS13_IS18_E10value_typeET4_jRbjT5_S1E_jjP12ihipStream_tbEUljE_ZNSN_ISO_Lb0ESQ_SR_ST_SU_SY_EESZ_S10_S11_S12_S16_S17_S18_S1B_S1C_jS1D_jS1E_S1E_jjS1G_bEUljE0_EEESZ_S10_S11_S18_S1C_S1E_T6_T7_T9_mT8_S1G_bDpT10_ENKUlT_T0_E_clISt17integral_constantIbLb1EES1T_IbLb0EEEEDaS1P_S1Q_EUlS1P_E_NS1_11comp_targetILNS1_3genE5ELNS1_11target_archE942ELNS1_3gpuE9ELNS1_3repE0EEENS1_30default_config_static_selectorELNS0_4arch9wavefront6targetE1EEEvS12_
                                        ; -- End function
	.section	.AMDGPU.csdata,"",@progbits
; Kernel info:
; codeLenInByte = 0
; NumSgprs: 4
; NumVgprs: 0
; NumAgprs: 0
; TotalNumVgprs: 0
; ScratchSize: 0
; MemoryBound: 0
; FloatMode: 240
; IeeeMode: 1
; LDSByteSize: 0 bytes/workgroup (compile time only)
; SGPRBlocks: 0
; VGPRBlocks: 0
; NumSGPRsForWavesPerEU: 4
; NumVGPRsForWavesPerEU: 1
; AccumOffset: 4
; Occupancy: 8
; WaveLimiterHint : 0
; COMPUTE_PGM_RSRC2:SCRATCH_EN: 0
; COMPUTE_PGM_RSRC2:USER_SGPR: 6
; COMPUTE_PGM_RSRC2:TRAP_HANDLER: 0
; COMPUTE_PGM_RSRC2:TGID_X_EN: 1
; COMPUTE_PGM_RSRC2:TGID_Y_EN: 0
; COMPUTE_PGM_RSRC2:TGID_Z_EN: 0
; COMPUTE_PGM_RSRC2:TIDIG_COMP_CNT: 0
; COMPUTE_PGM_RSRC3_GFX90A:ACCUM_OFFSET: 0
; COMPUTE_PGM_RSRC3_GFX90A:TG_SPLIT: 0
	.section	.text._ZN7rocprim17ROCPRIM_400000_NS6detail17trampoline_kernelINS0_13select_configILj256ELj13ELNS0_17block_load_methodE3ELS4_3ELS4_3ELNS0_20block_scan_algorithmE0ELj4294967295EEENS1_25partition_config_selectorILNS1_17partition_subalgoE4EjNS0_10empty_typeEbEEZZNS1_14partition_implILS8_4ELb0ES6_15HIP_vector_typeIjLj2EENS0_17counting_iteratorIjlEEPS9_SG_NS0_5tupleIJPjSI_NS0_16reverse_iteratorISI_EEEEENSH_IJSG_SG_SG_EEES9_SI_JZNS1_25segmented_radix_sort_implINS0_14default_configELb0EPKfPfPKlPlN2at6native12_GLOBAL__N_18offset_tEEE10hipError_tPvRmT1_PNSt15iterator_traitsIS12_E10value_typeET2_T3_PNS13_IS18_E10value_typeET4_jRbjT5_S1E_jjP12ihipStream_tbEUljE_ZNSN_ISO_Lb0ESQ_SR_ST_SU_SY_EESZ_S10_S11_S12_S16_S17_S18_S1B_S1C_jS1D_jS1E_S1E_jjS1G_bEUljE0_EEESZ_S10_S11_S18_S1C_S1E_T6_T7_T9_mT8_S1G_bDpT10_ENKUlT_T0_E_clISt17integral_constantIbLb1EES1T_IbLb0EEEEDaS1P_S1Q_EUlS1P_E_NS1_11comp_targetILNS1_3genE4ELNS1_11target_archE910ELNS1_3gpuE8ELNS1_3repE0EEENS1_30default_config_static_selectorELNS0_4arch9wavefront6targetE1EEEvS12_,"axG",@progbits,_ZN7rocprim17ROCPRIM_400000_NS6detail17trampoline_kernelINS0_13select_configILj256ELj13ELNS0_17block_load_methodE3ELS4_3ELS4_3ELNS0_20block_scan_algorithmE0ELj4294967295EEENS1_25partition_config_selectorILNS1_17partition_subalgoE4EjNS0_10empty_typeEbEEZZNS1_14partition_implILS8_4ELb0ES6_15HIP_vector_typeIjLj2EENS0_17counting_iteratorIjlEEPS9_SG_NS0_5tupleIJPjSI_NS0_16reverse_iteratorISI_EEEEENSH_IJSG_SG_SG_EEES9_SI_JZNS1_25segmented_radix_sort_implINS0_14default_configELb0EPKfPfPKlPlN2at6native12_GLOBAL__N_18offset_tEEE10hipError_tPvRmT1_PNSt15iterator_traitsIS12_E10value_typeET2_T3_PNS13_IS18_E10value_typeET4_jRbjT5_S1E_jjP12ihipStream_tbEUljE_ZNSN_ISO_Lb0ESQ_SR_ST_SU_SY_EESZ_S10_S11_S12_S16_S17_S18_S1B_S1C_jS1D_jS1E_S1E_jjS1G_bEUljE0_EEESZ_S10_S11_S18_S1C_S1E_T6_T7_T9_mT8_S1G_bDpT10_ENKUlT_T0_E_clISt17integral_constantIbLb1EES1T_IbLb0EEEEDaS1P_S1Q_EUlS1P_E_NS1_11comp_targetILNS1_3genE4ELNS1_11target_archE910ELNS1_3gpuE8ELNS1_3repE0EEENS1_30default_config_static_selectorELNS0_4arch9wavefront6targetE1EEEvS12_,comdat
	.globl	_ZN7rocprim17ROCPRIM_400000_NS6detail17trampoline_kernelINS0_13select_configILj256ELj13ELNS0_17block_load_methodE3ELS4_3ELS4_3ELNS0_20block_scan_algorithmE0ELj4294967295EEENS1_25partition_config_selectorILNS1_17partition_subalgoE4EjNS0_10empty_typeEbEEZZNS1_14partition_implILS8_4ELb0ES6_15HIP_vector_typeIjLj2EENS0_17counting_iteratorIjlEEPS9_SG_NS0_5tupleIJPjSI_NS0_16reverse_iteratorISI_EEEEENSH_IJSG_SG_SG_EEES9_SI_JZNS1_25segmented_radix_sort_implINS0_14default_configELb0EPKfPfPKlPlN2at6native12_GLOBAL__N_18offset_tEEE10hipError_tPvRmT1_PNSt15iterator_traitsIS12_E10value_typeET2_T3_PNS13_IS18_E10value_typeET4_jRbjT5_S1E_jjP12ihipStream_tbEUljE_ZNSN_ISO_Lb0ESQ_SR_ST_SU_SY_EESZ_S10_S11_S12_S16_S17_S18_S1B_S1C_jS1D_jS1E_S1E_jjS1G_bEUljE0_EEESZ_S10_S11_S18_S1C_S1E_T6_T7_T9_mT8_S1G_bDpT10_ENKUlT_T0_E_clISt17integral_constantIbLb1EES1T_IbLb0EEEEDaS1P_S1Q_EUlS1P_E_NS1_11comp_targetILNS1_3genE4ELNS1_11target_archE910ELNS1_3gpuE8ELNS1_3repE0EEENS1_30default_config_static_selectorELNS0_4arch9wavefront6targetE1EEEvS12_ ; -- Begin function _ZN7rocprim17ROCPRIM_400000_NS6detail17trampoline_kernelINS0_13select_configILj256ELj13ELNS0_17block_load_methodE3ELS4_3ELS4_3ELNS0_20block_scan_algorithmE0ELj4294967295EEENS1_25partition_config_selectorILNS1_17partition_subalgoE4EjNS0_10empty_typeEbEEZZNS1_14partition_implILS8_4ELb0ES6_15HIP_vector_typeIjLj2EENS0_17counting_iteratorIjlEEPS9_SG_NS0_5tupleIJPjSI_NS0_16reverse_iteratorISI_EEEEENSH_IJSG_SG_SG_EEES9_SI_JZNS1_25segmented_radix_sort_implINS0_14default_configELb0EPKfPfPKlPlN2at6native12_GLOBAL__N_18offset_tEEE10hipError_tPvRmT1_PNSt15iterator_traitsIS12_E10value_typeET2_T3_PNS13_IS18_E10value_typeET4_jRbjT5_S1E_jjP12ihipStream_tbEUljE_ZNSN_ISO_Lb0ESQ_SR_ST_SU_SY_EESZ_S10_S11_S12_S16_S17_S18_S1B_S1C_jS1D_jS1E_S1E_jjS1G_bEUljE0_EEESZ_S10_S11_S18_S1C_S1E_T6_T7_T9_mT8_S1G_bDpT10_ENKUlT_T0_E_clISt17integral_constantIbLb1EES1T_IbLb0EEEEDaS1P_S1Q_EUlS1P_E_NS1_11comp_targetILNS1_3genE4ELNS1_11target_archE910ELNS1_3gpuE8ELNS1_3repE0EEENS1_30default_config_static_selectorELNS0_4arch9wavefront6targetE1EEEvS12_
	.p2align	8
	.type	_ZN7rocprim17ROCPRIM_400000_NS6detail17trampoline_kernelINS0_13select_configILj256ELj13ELNS0_17block_load_methodE3ELS4_3ELS4_3ELNS0_20block_scan_algorithmE0ELj4294967295EEENS1_25partition_config_selectorILNS1_17partition_subalgoE4EjNS0_10empty_typeEbEEZZNS1_14partition_implILS8_4ELb0ES6_15HIP_vector_typeIjLj2EENS0_17counting_iteratorIjlEEPS9_SG_NS0_5tupleIJPjSI_NS0_16reverse_iteratorISI_EEEEENSH_IJSG_SG_SG_EEES9_SI_JZNS1_25segmented_radix_sort_implINS0_14default_configELb0EPKfPfPKlPlN2at6native12_GLOBAL__N_18offset_tEEE10hipError_tPvRmT1_PNSt15iterator_traitsIS12_E10value_typeET2_T3_PNS13_IS18_E10value_typeET4_jRbjT5_S1E_jjP12ihipStream_tbEUljE_ZNSN_ISO_Lb0ESQ_SR_ST_SU_SY_EESZ_S10_S11_S12_S16_S17_S18_S1B_S1C_jS1D_jS1E_S1E_jjS1G_bEUljE0_EEESZ_S10_S11_S18_S1C_S1E_T6_T7_T9_mT8_S1G_bDpT10_ENKUlT_T0_E_clISt17integral_constantIbLb1EES1T_IbLb0EEEEDaS1P_S1Q_EUlS1P_E_NS1_11comp_targetILNS1_3genE4ELNS1_11target_archE910ELNS1_3gpuE8ELNS1_3repE0EEENS1_30default_config_static_selectorELNS0_4arch9wavefront6targetE1EEEvS12_,@function
_ZN7rocprim17ROCPRIM_400000_NS6detail17trampoline_kernelINS0_13select_configILj256ELj13ELNS0_17block_load_methodE3ELS4_3ELS4_3ELNS0_20block_scan_algorithmE0ELj4294967295EEENS1_25partition_config_selectorILNS1_17partition_subalgoE4EjNS0_10empty_typeEbEEZZNS1_14partition_implILS8_4ELb0ES6_15HIP_vector_typeIjLj2EENS0_17counting_iteratorIjlEEPS9_SG_NS0_5tupleIJPjSI_NS0_16reverse_iteratorISI_EEEEENSH_IJSG_SG_SG_EEES9_SI_JZNS1_25segmented_radix_sort_implINS0_14default_configELb0EPKfPfPKlPlN2at6native12_GLOBAL__N_18offset_tEEE10hipError_tPvRmT1_PNSt15iterator_traitsIS12_E10value_typeET2_T3_PNS13_IS18_E10value_typeET4_jRbjT5_S1E_jjP12ihipStream_tbEUljE_ZNSN_ISO_Lb0ESQ_SR_ST_SU_SY_EESZ_S10_S11_S12_S16_S17_S18_S1B_S1C_jS1D_jS1E_S1E_jjS1G_bEUljE0_EEESZ_S10_S11_S18_S1C_S1E_T6_T7_T9_mT8_S1G_bDpT10_ENKUlT_T0_E_clISt17integral_constantIbLb1EES1T_IbLb0EEEEDaS1P_S1Q_EUlS1P_E_NS1_11comp_targetILNS1_3genE4ELNS1_11target_archE910ELNS1_3gpuE8ELNS1_3repE0EEENS1_30default_config_static_selectorELNS0_4arch9wavefront6targetE1EEEvS12_: ; @_ZN7rocprim17ROCPRIM_400000_NS6detail17trampoline_kernelINS0_13select_configILj256ELj13ELNS0_17block_load_methodE3ELS4_3ELS4_3ELNS0_20block_scan_algorithmE0ELj4294967295EEENS1_25partition_config_selectorILNS1_17partition_subalgoE4EjNS0_10empty_typeEbEEZZNS1_14partition_implILS8_4ELb0ES6_15HIP_vector_typeIjLj2EENS0_17counting_iteratorIjlEEPS9_SG_NS0_5tupleIJPjSI_NS0_16reverse_iteratorISI_EEEEENSH_IJSG_SG_SG_EEES9_SI_JZNS1_25segmented_radix_sort_implINS0_14default_configELb0EPKfPfPKlPlN2at6native12_GLOBAL__N_18offset_tEEE10hipError_tPvRmT1_PNSt15iterator_traitsIS12_E10value_typeET2_T3_PNS13_IS18_E10value_typeET4_jRbjT5_S1E_jjP12ihipStream_tbEUljE_ZNSN_ISO_Lb0ESQ_SR_ST_SU_SY_EESZ_S10_S11_S12_S16_S17_S18_S1B_S1C_jS1D_jS1E_S1E_jjS1G_bEUljE0_EEESZ_S10_S11_S18_S1C_S1E_T6_T7_T9_mT8_S1G_bDpT10_ENKUlT_T0_E_clISt17integral_constantIbLb1EES1T_IbLb0EEEEDaS1P_S1Q_EUlS1P_E_NS1_11comp_targetILNS1_3genE4ELNS1_11target_archE910ELNS1_3gpuE8ELNS1_3repE0EEENS1_30default_config_static_selectorELNS0_4arch9wavefront6targetE1EEEvS12_
; %bb.0:
	s_load_dwordx2 s[0:1], s[4:5], 0x68
	s_load_dword s7, s[4:5], 0x8
	s_load_dwordx2 s[56:57], s[4:5], 0x10
	s_load_dwordx4 s[44:47], s[4:5], 0x58
	s_mul_i32 s33, s6, 0xd00
	s_waitcnt lgkmcnt(0)
	v_mov_b32_e32 v3, s1
	v_mov_b32_e32 v2, s0
	s_load_dword s1, s[4:5], 0x80
	s_load_dwordx2 s[60:61], s[4:5], 0xa8
	s_load_dwordx8 s[36:43], s[4:5], 0x88
	s_load_dwordx4 s[48:51], s[46:47], 0x0
	s_waitcnt lgkmcnt(0)
	s_add_i32 s8, s1, -1
	s_mulk_i32 s1, 0xd00
	s_add_u32 s2, s56, s1
	s_addc_u32 s3, s57, 0
	s_cmp_eq_u32 s6, s8
	s_cselect_b64 s[30:31], -1, 0
	s_cmp_lg_u32 s6, s8
	v_cmp_lt_u64_e32 vcc, s[2:3], v[2:3]
	s_cselect_b64 s[2:3], -1, 0
	s_add_i32 s7, s7, s33
	s_or_b64 s[2:3], s[2:3], vcc
	s_add_i32 s7, s7, s56
	v_add_u32_e32 v1, s7, v0
	s_mov_b64 s[8:9], -1
	s_and_b64 vcc, exec, s[2:3]
	s_cbranch_vccz .LBB1380_2
; %bb.1:
	v_add_u32_e32 v2, 0x100, v1
	v_lshlrev_b32_e32 v14, 2, v0
	v_add_u32_e32 v3, 0x200, v1
	v_add_u32_e32 v4, 0x300, v1
	v_add_u32_e32 v5, 0x400, v1
	v_add_u32_e32 v6, 0x500, v1
	v_add_u32_e32 v7, 0x600, v1
	v_add_u32_e32 v8, 0x700, v1
	v_add_u32_e32 v9, 0x800, v1
	v_add_u32_e32 v10, 0x900, v1
	v_add_u32_e32 v11, 0xa00, v1
	v_add_u32_e32 v12, 0xb00, v1
	v_add_u32_e32 v13, 0xc00, v1
	ds_write2st64_b32 v14, v1, v2 offset1:4
	ds_write2st64_b32 v14, v3, v4 offset0:8 offset1:12
	ds_write2st64_b32 v14, v5, v6 offset0:16 offset1:20
	;; [unrolled: 1-line block ×5, first 2 shown]
	ds_write_b32 v14, v13 offset:12288
	s_waitcnt lgkmcnt(0)
	s_barrier
	s_mov_b64 s[8:9], 0
.LBB1380_2:
	s_andn2_b64 vcc, exec, s[8:9]
	s_add_i32 s1, s1, s56
	s_cbranch_vccnz .LBB1380_4
; %bb.3:
	v_add_u32_e32 v2, 0x100, v1
	v_lshlrev_b32_e32 v14, 2, v0
	v_add_u32_e32 v3, 0x200, v1
	v_add_u32_e32 v4, 0x300, v1
	;; [unrolled: 1-line block ×11, first 2 shown]
	ds_write2st64_b32 v14, v1, v2 offset1:4
	ds_write2st64_b32 v14, v3, v4 offset0:8 offset1:12
	ds_write2st64_b32 v14, v5, v6 offset0:16 offset1:20
	ds_write2st64_b32 v14, v7, v8 offset0:24 offset1:28
	ds_write2st64_b32 v14, v9, v10 offset0:32 offset1:36
	ds_write2st64_b32 v14, v11, v12 offset0:40 offset1:44
	ds_write_b32 v14, v13 offset:12288
	s_waitcnt lgkmcnt(0)
	s_barrier
.LBB1380_4:
	v_mul_u32_u24_e32 v31, 13, v0
	v_lshlrev_b32_e32 v1, 2, v31
	s_load_dwordx4 s[52:55], s[4:5], 0x28
	s_load_dwordx2 s[34:35], s[4:5], 0x38
	s_waitcnt lgkmcnt(0)
	ds_read2_b32 v[18:19], v1 offset1:1
	ds_read2_b32 v[16:17], v1 offset0:2 offset1:3
	ds_read2_b32 v[14:15], v1 offset0:4 offset1:5
	;; [unrolled: 1-line block ×5, first 2 shown]
	ds_read_b32 v30, v1 offset:48
	v_cndmask_b32_e64 v1, 0, 1, s[2:3]
	s_sub_i32 s7, s0, s1
	v_cmp_ne_u32_e64 s[0:1], 1, v1
	s_andn2_b64 vcc, exec, s[2:3]
	s_waitcnt lgkmcnt(0)
	s_barrier
	s_cbranch_vccnz .LBB1380_32
; %bb.5:
	v_add_u32_e32 v1, s37, v18
	v_add_u32_e32 v2, s39, v18
	v_mul_lo_u32 v1, v1, s36
	v_mul_lo_u32 v2, v2, s38
	v_sub_u32_e32 v1, v1, v2
	v_cmp_lt_u32_e32 vcc, s40, v1
	v_cmp_ge_u32_e64 s[2:3], s40, v1
	s_mov_b64 s[64:65], 0
	s_mov_b64 s[62:63], 0
	s_and_saveexec_b64 s[8:9], s[2:3]
; %bb.6:
	v_add_u32_e32 v1, s42, v18
	v_add_u32_e32 v2, s60, v18
	v_mul_lo_u32 v1, v1, s41
	v_mul_lo_u32 v2, v2, s43
	v_sub_u32_e32 v1, v1, v2
	v_cmp_lt_u32_e64 s[2:3], s61, v1
	s_and_b64 s[62:63], s[2:3], exec
; %bb.7:
	s_or_b64 exec, exec, s[8:9]
	v_add_u32_e32 v1, s37, v19
	v_add_u32_e32 v2, s39, v19
	v_mul_lo_u32 v1, v1, s36
	v_mul_lo_u32 v2, v2, s38
	v_sub_u32_e32 v1, v1, v2
	v_cmp_lt_u32_e64 s[2:3], s40, v1
	v_cmp_ge_u32_e64 s[8:9], s40, v1
	s_and_saveexec_b64 s[10:11], s[8:9]
; %bb.8:
	v_add_u32_e32 v1, s42, v19
	v_add_u32_e32 v2, s60, v19
	v_mul_lo_u32 v1, v1, s41
	v_mul_lo_u32 v2, v2, s43
	v_sub_u32_e32 v1, v1, v2
	v_cmp_lt_u32_e64 s[8:9], s61, v1
	s_and_b64 s[64:65], s[8:9], exec
; %bb.9:
	s_or_b64 exec, exec, s[10:11]
	v_add_u32_e32 v1, s37, v16
	v_add_u32_e32 v2, s39, v16
	v_mul_lo_u32 v1, v1, s36
	v_mul_lo_u32 v2, v2, s38
	v_sub_u32_e32 v1, v1, v2
	v_cmp_lt_u32_e64 s[26:27], s40, v1
	v_cmp_ge_u32_e64 s[8:9], s40, v1
	s_mov_b64 s[68:69], 0
	s_mov_b64 s[66:67], 0
	s_and_saveexec_b64 s[10:11], s[8:9]
; %bb.10:
	v_add_u32_e32 v1, s42, v16
	v_add_u32_e32 v2, s60, v16
	v_mul_lo_u32 v1, v1, s41
	v_mul_lo_u32 v2, v2, s43
	v_sub_u32_e32 v1, v1, v2
	v_cmp_lt_u32_e64 s[8:9], s61, v1
	s_and_b64 s[66:67], s[8:9], exec
; %bb.11:
	s_or_b64 exec, exec, s[10:11]
	v_add_u32_e32 v1, s37, v17
	v_add_u32_e32 v2, s39, v17
	v_mul_lo_u32 v1, v1, s36
	v_mul_lo_u32 v2, v2, s38
	v_sub_u32_e32 v1, v1, v2
	v_cmp_lt_u32_e64 s[8:9], s40, v1
	v_cmp_ge_u32_e64 s[10:11], s40, v1
	s_and_saveexec_b64 s[12:13], s[10:11]
; %bb.12:
	v_add_u32_e32 v1, s42, v17
	v_add_u32_e32 v2, s60, v17
	v_mul_lo_u32 v1, v1, s41
	v_mul_lo_u32 v2, v2, s43
	v_sub_u32_e32 v1, v1, v2
	v_cmp_lt_u32_e64 s[10:11], s61, v1
	s_and_b64 s[68:69], s[10:11], exec
; %bb.13:
	s_or_b64 exec, exec, s[12:13]
	v_add_u32_e32 v1, s37, v14
	v_add_u32_e32 v2, s39, v14
	v_mul_lo_u32 v1, v1, s36
	v_mul_lo_u32 v2, v2, s38
	v_sub_u32_e32 v1, v1, v2
	v_cmp_lt_u32_e64 s[10:11], s40, v1
	;; [unrolled: 38-line block ×5, first 2 shown]
	v_cmp_ge_u32_e64 s[24:25], s40, v1
	s_mov_b64 s[84:85], 0
	s_mov_b64 s[86:87], 0
	s_and_saveexec_b64 s[28:29], s[24:25]
; %bb.26:
	v_add_u32_e32 v1, s42, v8
	v_add_u32_e32 v2, s60, v8
	v_mul_lo_u32 v1, v1, s41
	v_mul_lo_u32 v2, v2, s43
	v_sub_u32_e32 v1, v1, v2
	v_cmp_lt_u32_e64 s[24:25], s61, v1
	s_and_b64 s[86:87], s[24:25], exec
; %bb.27:
	s_or_b64 exec, exec, s[28:29]
	v_add_u32_e32 v1, s37, v9
	v_add_u32_e32 v2, s39, v9
	v_mul_lo_u32 v1, v1, s36
	v_mul_lo_u32 v2, v2, s38
	v_sub_u32_e32 v1, v1, v2
	v_cmp_lt_u32_e64 s[24:25], s40, v1
	v_cmp_ge_u32_e64 s[28:29], s40, v1
	s_and_saveexec_b64 s[46:47], s[28:29]
; %bb.28:
	v_add_u32_e32 v1, s42, v9
	v_add_u32_e32 v2, s60, v9
	v_mul_lo_u32 v1, v1, s41
	v_mul_lo_u32 v2, v2, s43
	v_sub_u32_e32 v1, v1, v2
	v_cmp_lt_u32_e64 s[28:29], s61, v1
	s_and_b64 s[84:85], s[28:29], exec
; %bb.29:
	s_or_b64 exec, exec, s[46:47]
	v_add_u32_e32 v1, s37, v30
	v_add_u32_e32 v2, s39, v30
	v_mul_lo_u32 v1, v1, s36
	v_mul_lo_u32 v2, v2, s38
	v_sub_u32_e32 v1, v1, v2
	v_cmp_ge_u32_e64 s[28:29], s40, v1
	s_mov_b64 s[46:47], -1
	s_mov_b64 s[78:79], 0
	s_mov_b64 s[58:59], 0
	s_and_saveexec_b64 s[88:89], s[28:29]
; %bb.30:
	v_add_u32_e32 v1, s42, v30
	v_add_u32_e32 v2, s60, v30
	v_mul_lo_u32 v1, v1, s41
	v_mul_lo_u32 v2, v2, s43
	v_sub_u32_e32 v1, v1, v2
	v_cmp_lt_u32_e64 s[28:29], s61, v1
	s_and_b64 s[58:59], s[28:29], exec
	s_xor_b64 s[46:47], exec, -1
; %bb.31:
	s_or_b64 exec, exec, s[88:89]
	v_cndmask_b32_e64 v52, 0, 1, s[86:87]
	v_cndmask_b32_e64 v55, 0, 1, s[24:25]
	;; [unrolled: 1-line block ×22, first 2 shown]
	v_cndmask_b32_e64 v32, 0, 1, vcc
	v_cndmask_b32_e64 v54, 0, 1, s[84:85]
	s_load_dwordx2 s[12:13], s[4:5], 0x78
	s_add_i32 s18, s7, 0xd00
	s_and_b64 vcc, exec, s[78:79]
	s_cbranch_vccnz .LBB1380_33
	s_branch .LBB1380_86
.LBB1380_32:
                                        ; implicit-def: $sgpr46_sgpr47
                                        ; implicit-def: $sgpr58_sgpr59
                                        ; implicit-def: $vgpr54
                                        ; implicit-def: $vgpr52
                                        ; implicit-def: $vgpr50
                                        ; implicit-def: $vgpr48
                                        ; implicit-def: $vgpr46
                                        ; implicit-def: $vgpr44
                                        ; implicit-def: $vgpr42
                                        ; implicit-def: $vgpr40
                                        ; implicit-def: $vgpr38
                                        ; implicit-def: $vgpr32
                                        ; implicit-def: $vgpr34
                                        ; implicit-def: $vgpr36
                                        ; implicit-def: $vgpr39
                                        ; implicit-def: $vgpr41
                                        ; implicit-def: $vgpr43
                                        ; implicit-def: $vgpr45
                                        ; implicit-def: $vgpr47
                                        ; implicit-def: $vgpr49
                                        ; implicit-def: $vgpr51
                                        ; implicit-def: $vgpr53
                                        ; implicit-def: $vgpr55
                                        ; implicit-def: $vgpr33
                                        ; implicit-def: $vgpr35
                                        ; implicit-def: $vgpr37
	s_load_dwordx2 s[12:13], s[4:5], 0x78
	s_add_i32 s18, s7, 0xd00
	s_cbranch_execz .LBB1380_86
.LBB1380_33:
	v_cmp_gt_u32_e32 vcc, s18, v31
	v_mov_b32_e32 v33, 0
	v_mov_b32_e32 v32, 0
	s_and_saveexec_b64 s[4:5], vcc
	s_cbranch_execz .LBB1380_37
; %bb.34:
	v_add_u32_e32 v1, s37, v18
	v_add_u32_e32 v2, s39, v18
	v_mul_lo_u32 v1, v1, s36
	v_mul_lo_u32 v2, v2, s38
	v_sub_u32_e32 v1, v1, v2
	v_cmp_lt_u32_e32 vcc, s40, v1
	v_cmp_ge_u32_e64 s[2:3], s40, v1
	s_mov_b64 s[10:11], 0
	s_and_saveexec_b64 s[8:9], s[2:3]
; %bb.35:
	v_add_u32_e32 v1, s42, v18
	v_add_u32_e32 v2, s60, v18
	v_mul_lo_u32 v1, v1, s41
	v_mul_lo_u32 v2, v2, s43
	v_sub_u32_e32 v1, v1, v2
	v_cmp_lt_u32_e64 s[2:3], s61, v1
	s_and_b64 s[10:11], s[2:3], exec
; %bb.36:
	s_or_b64 exec, exec, s[8:9]
	v_cndmask_b32_e64 v32, 0, 1, vcc
	v_cndmask_b32_e64 v33, 0, 1, s[10:11]
.LBB1380_37:
	s_or_b64 exec, exec, s[4:5]
	v_add_u32_e32 v1, 1, v31
	v_cmp_gt_u32_e32 vcc, s18, v1
	v_mov_b32_e32 v34, 0
	v_mov_b32_e32 v35, 0
	s_and_saveexec_b64 s[4:5], vcc
	s_cbranch_execz .LBB1380_41
; %bb.38:
	v_add_u32_e32 v1, s37, v19
	v_add_u32_e32 v2, s39, v19
	v_mul_lo_u32 v1, v1, s36
	v_mul_lo_u32 v2, v2, s38
	v_sub_u32_e32 v1, v1, v2
	v_cmp_lt_u32_e32 vcc, s40, v1
	v_cmp_ge_u32_e64 s[2:3], s40, v1
	s_mov_b64 s[10:11], 0
	s_and_saveexec_b64 s[8:9], s[2:3]
; %bb.39:
	v_add_u32_e32 v1, s42, v19
	v_add_u32_e32 v2, s60, v19
	v_mul_lo_u32 v1, v1, s41
	v_mul_lo_u32 v2, v2, s43
	v_sub_u32_e32 v1, v1, v2
	v_cmp_lt_u32_e64 s[2:3], s61, v1
	s_and_b64 s[10:11], s[2:3], exec
; %bb.40:
	s_or_b64 exec, exec, s[8:9]
	v_cndmask_b32_e64 v34, 0, 1, vcc
	v_cndmask_b32_e64 v35, 0, 1, s[10:11]
.LBB1380_41:
	s_or_b64 exec, exec, s[4:5]
	v_add_u32_e32 v1, 2, v31
	;; [unrolled: 30-line block ×12, first 2 shown]
	v_cmp_gt_u32_e32 vcc, s18, v1
	s_mov_b64 s[46:47], 0
	s_mov_b64 s[58:59], 0
	s_and_saveexec_b64 s[2:3], vcc
	s_cbranch_execz .LBB1380_85
; %bb.82:
	v_add_u32_e32 v1, s37, v30
	v_add_u32_e32 v2, s39, v30
	v_mul_lo_u32 v1, v1, s36
	v_mul_lo_u32 v2, v2, s38
	v_sub_u32_e32 v1, v1, v2
	v_cmp_ge_u32_e32 vcc, s40, v1
	s_mov_b64 s[8:9], -1
	s_mov_b64 s[10:11], 0
	s_and_saveexec_b64 s[4:5], vcc
; %bb.83:
	v_add_u32_e32 v1, s42, v30
	v_add_u32_e32 v2, s60, v30
	v_mul_lo_u32 v1, v1, s41
	v_mul_lo_u32 v2, v2, s43
	v_sub_u32_e32 v1, v1, v2
	v_cmp_lt_u32_e32 vcc, s61, v1
	s_and_b64 s[10:11], vcc, exec
	s_xor_b64 s[8:9], exec, -1
; %bb.84:
	s_or_b64 exec, exec, s[4:5]
	s_and_b64 s[58:59], s[10:11], exec
	s_and_b64 s[46:47], s[8:9], exec
.LBB1380_85:
	s_or_b64 exec, exec, s[2:3]
.LBB1380_86:
	v_and_b32_e32 v63, 0xff, v33
	v_and_b32_e32 v74, 0xff, v35
	;; [unrolled: 1-line block ×5, first 2 shown]
	v_add3_u32 v2, v74, v65, v63
	v_and_b32_e32 v76, 0xff, v42
	v_and_b32_e32 v69, 0xff, v44
	v_add3_u32 v2, v2, v75, v67
	v_and_b32_e32 v62, 0xff, v32
	v_and_b32_e32 v56, 0xff, v34
	;; [unrolled: 1-line block ×5, first 2 shown]
	v_add3_u32 v2, v2, v76, v69
	v_and_b32_e32 v57, 0xff, v39
	v_and_b32_e32 v66, 0xff, v41
	;; [unrolled: 1-line block ×4, first 2 shown]
	v_add3_u32 v3, v56, v64, v62
	v_add3_u32 v2, v2, v77, v71
	v_and_b32_e32 v58, 0xff, v43
	v_and_b32_e32 v68, 0xff, v45
	;; [unrolled: 1-line block ×3, first 2 shown]
	v_cndmask_b32_e64 v1, 0, 1, s[58:59]
	v_add3_u32 v3, v3, v57, v66
	v_add3_u32 v2, v2, v78, v73
	v_and_b32_e32 v59, 0xff, v47
	v_and_b32_e32 v70, 0xff, v49
	v_add3_u32 v3, v3, v58, v68
	v_add3_u32 v86, v2, v79, v1
	v_mbcnt_lo_u32_b32 v1, -1, 0
	v_and_b32_e32 v60, 0xff, v51
	v_and_b32_e32 v72, 0xff, v53
	v_add3_u32 v3, v3, v59, v70
	v_mbcnt_hi_u32_b32 v80, -1, v1
	v_and_b32_e32 v61, 0xff, v55
	v_add3_u32 v3, v3, v60, v72
	v_cndmask_b32_e64 v4, 0, 1, s[46:47]
	v_and_b32_e32 v84, 15, v80
	s_cmp_lg_u32 s6, 0
	v_add3_u32 v85, v3, v61, v4
	v_cmp_eq_u32_e64 s[4:5], 0, v84
	v_cmp_lt_u32_e64 s[2:3], 1, v84
	v_cmp_lt_u32_e64 s[8:9], 3, v84
	;; [unrolled: 1-line block ×3, first 2 shown]
	v_and_b32_e32 v83, 16, v80
	v_cmp_lt_u32_e32 vcc, 31, v80
	v_lshrrev_b32_e32 v81, 6, v0
	v_or_b32_e32 v82, 63, v0
	s_cbranch_scc0 .LBB1380_119
; %bb.87:
	v_mov_b32_dpp v1, v85 row_shr:1 row_mask:0xf bank_mask:0xf
	v_mov_b32_dpp v2, v86 row_shr:1 row_mask:0xf bank_mask:0xf
	v_add_u32_e32 v1, v1, v85
	v_add_u32_e32 v2, v2, v86
	v_cndmask_b32_e64 v2, v2, v86, s[4:5]
	v_cndmask_b32_e64 v1, v1, v85, s[4:5]
	s_nop 0
	v_mov_b32_dpp v4, v2 row_shr:2 row_mask:0xf bank_mask:0xf
	v_mov_b32_dpp v3, v1 row_shr:2 row_mask:0xf bank_mask:0xf
	v_add_u32_e32 v3, v1, v3
	v_add_u32_e32 v4, v2, v4
	v_cndmask_b32_e64 v2, v2, v4, s[2:3]
	v_cndmask_b32_e64 v1, v1, v3, s[2:3]
	s_nop 0
	v_mov_b32_dpp v4, v2 row_shr:4 row_mask:0xf bank_mask:0xf
	v_mov_b32_dpp v3, v1 row_shr:4 row_mask:0xf bank_mask:0xf
	v_add_u32_e32 v3, v1, v3
	v_add_u32_e32 v4, v2, v4
	v_cndmask_b32_e64 v2, v2, v4, s[8:9]
	v_cndmask_b32_e64 v1, v1, v3, s[8:9]
	v_cmp_eq_u32_e64 s[8:9], 0, v83
	v_mov_b32_dpp v4, v2 row_shr:8 row_mask:0xf bank_mask:0xf
	v_mov_b32_dpp v3, v1 row_shr:8 row_mask:0xf bank_mask:0xf
	v_add_u32_e32 v3, v1, v3
	v_add_u32_e32 v4, v2, v4
	v_cndmask_b32_e64 v2, v2, v4, s[10:11]
	v_cndmask_b32_e64 v1, v1, v3, s[10:11]
	s_nop 0
	v_mov_b32_dpp v4, v2 row_bcast:15 row_mask:0xf bank_mask:0xf
	v_mov_b32_dpp v3, v1 row_bcast:15 row_mask:0xf bank_mask:0xf
	v_add_u32_e32 v3, v1, v3
	v_add_u32_e32 v4, v2, v4
	v_cndmask_b32_e64 v2, v4, v2, s[8:9]
	v_cndmask_b32_e64 v1, v3, v1, s[8:9]
	s_nop 0
	v_mov_b32_dpp v4, v2 row_bcast:31 row_mask:0xf bank_mask:0xf
	v_mov_b32_dpp v3, v1 row_bcast:31 row_mask:0xf bank_mask:0xf
	v_add_u32_e32 v4, v2, v4
	v_add_u32_e32 v5, v1, v3
	v_cndmask_b32_e32 v3, v2, v4, vcc
	v_cndmask_b32_e32 v2, v1, v5, vcc
	v_cmp_eq_u32_e32 vcc, v82, v0
	s_and_saveexec_b64 s[8:9], vcc
	s_cbranch_execz .LBB1380_89
; %bb.88:
	v_lshlrev_b32_e32 v1, 3, v81
	ds_write_b64 v1, v[2:3]
.LBB1380_89:
	s_or_b64 exec, exec, s[8:9]
	v_cmp_gt_u32_e32 vcc, 4, v0
	s_waitcnt lgkmcnt(0)
	s_barrier
	s_and_saveexec_b64 s[8:9], vcc
	s_cbranch_execz .LBB1380_91
; %bb.90:
	v_lshlrev_b32_e32 v1, 3, v0
	ds_read_b64 v[4:5], v1
	v_and_b32_e32 v6, 3, v80
	v_cmp_eq_u32_e32 vcc, 0, v6
	s_waitcnt lgkmcnt(0)
	v_mov_b32_dpp v7, v4 row_shr:1 row_mask:0xf bank_mask:0xf
	v_mov_b32_dpp v20, v5 row_shr:1 row_mask:0xf bank_mask:0xf
	v_add_u32_e32 v7, v7, v4
	v_add_u32_e32 v20, v20, v5
	v_cndmask_b32_e32 v5, v20, v5, vcc
	v_cndmask_b32_e32 v4, v7, v4, vcc
	v_cmp_lt_u32_e32 vcc, 1, v6
	v_mov_b32_dpp v20, v5 row_shr:2 row_mask:0xf bank_mask:0xf
	v_mov_b32_dpp v7, v4 row_shr:2 row_mask:0xf bank_mask:0xf
	v_cndmask_b32_e32 v6, 0, v7, vcc
	v_cndmask_b32_e32 v7, 0, v20, vcc
	v_add_u32_e32 v5, v7, v5
	v_add_u32_e32 v4, v6, v4
	ds_write_b64 v1, v[4:5]
.LBB1380_91:
	s_or_b64 exec, exec, s[8:9]
	v_cmp_gt_u32_e32 vcc, 64, v0
	v_cmp_lt_u32_e64 s[8:9], 63, v0
	s_waitcnt lgkmcnt(0)
	s_barrier
	s_waitcnt lgkmcnt(0)
                                        ; implicit-def: $vgpr21
	s_and_saveexec_b64 s[10:11], s[8:9]
	s_xor_b64 s[8:9], exec, s[10:11]
	s_cbranch_execz .LBB1380_93
; %bb.92:
	v_lshl_add_u32 v1, v81, 3, -8
	ds_read_b64 v[20:21], v1
	s_waitcnt lgkmcnt(0)
	v_add_u32_e32 v3, v21, v3
	v_add_u32_e32 v2, v20, v2
.LBB1380_93:
	s_andn2_saveexec_b64 s[8:9], s[8:9]
; %bb.94:
                                        ; implicit-def: $vgpr20
; %bb.95:
	s_or_b64 exec, exec, s[8:9]
	v_add_u32_e32 v1, -1, v80
	v_and_b32_e32 v4, 64, v80
	v_cmp_lt_i32_e64 s[8:9], v1, v4
	v_cndmask_b32_e64 v1, v1, v80, s[8:9]
	v_lshlrev_b32_e32 v4, 2, v1
	ds_bpermute_b32 v1, v4, v2
	ds_bpermute_b32 v87, v4, v3
	v_cmp_eq_u32_e64 s[8:9], 0, v80
	s_and_saveexec_b64 s[10:11], vcc
	s_cbranch_execz .LBB1380_118
; %bb.96:
	v_mov_b32_e32 v7, 0
	ds_read_b64 v[22:23], v7 offset:24
	s_and_saveexec_b64 s[14:15], s[8:9]
	s_cbranch_execz .LBB1380_98
; %bb.97:
	s_add_i32 s16, s6, 64
	s_mov_b32 s17, 0
	s_lshl_b64 s[16:17], s[16:17], 4
	s_waitcnt lgkmcnt(0)
	v_and_b32_e32 v2, 0xff000000, v23
	v_and_b32_e32 v3, 0xff0000, v23
	s_add_u32 s16, s12, s16
	v_or_b32_e32 v2, v3, v2
	v_and_b32_e32 v3, 0xff00, v23
	s_addc_u32 s17, s13, s17
	v_or_b32_e32 v2, v2, v3
	v_or_b32_sdwa v5, v2, v23 dst_sel:DWORD dst_unused:UNUSED_PAD src0_sel:DWORD src1_sel:BYTE_0
	v_mov_b32_e32 v6, 1
	v_mov_b32_e32 v4, v22
	v_pk_mov_b32 v[2:3], s[16:17], s[16:17] op_sel:[0,1]
	;;#ASMSTART
	global_store_dwordx4 v[2:3], v[4:7] off	
s_waitcnt vmcnt(0)
	;;#ASMEND
.LBB1380_98:
	s_or_b64 exec, exec, s[14:15]
	v_xad_u32 v24, v80, -1, s6
	v_add_u32_e32 v6, 64, v24
	v_lshlrev_b64 v[2:3], 4, v[6:7]
	v_mov_b32_e32 v4, s13
	v_add_co_u32_e32 v26, vcc, s12, v2
	v_addc_co_u32_e32 v27, vcc, v4, v3, vcc
	;;#ASMSTART
	global_load_dwordx4 v[2:5], v[26:27] off glc	
s_waitcnt vmcnt(0)
	;;#ASMEND
	v_and_b32_e32 v5, 0xff, v3
	v_and_b32_e32 v6, 0xff00, v3
	v_or3_b32 v5, 0, v5, v6
	v_or3_b32 v2, v2, 0, 0
	v_and_b32_e32 v6, 0xff000000, v3
	v_and_b32_e32 v3, 0xff0000, v3
	v_or3_b32 v3, v5, v3, v6
	v_or3_b32 v2, v2, 0, 0
	v_cmp_eq_u16_sdwa s[16:17], v4, v7 src0_sel:BYTE_0 src1_sel:DWORD
	s_and_saveexec_b64 s[14:15], s[16:17]
	s_cbranch_execz .LBB1380_104
; %bb.99:
	s_mov_b32 s7, 1
	s_mov_b64 s[16:17], 0
	v_mov_b32_e32 v6, 0
.LBB1380_100:                           ; =>This Loop Header: Depth=1
                                        ;     Child Loop BB1380_101 Depth 2
	s_max_u32 s19, s7, 1
.LBB1380_101:                           ;   Parent Loop BB1380_100 Depth=1
                                        ; =>  This Inner Loop Header: Depth=2
	s_add_i32 s19, s19, -1
	s_cmp_eq_u32 s19, 0
	s_sleep 1
	s_cbranch_scc0 .LBB1380_101
; %bb.102:                              ;   in Loop: Header=BB1380_100 Depth=1
	s_cmp_lt_u32 s7, 32
	s_cselect_b64 s[20:21], -1, 0
	s_cmp_lg_u64 s[20:21], 0
	s_addc_u32 s7, s7, 0
	;;#ASMSTART
	global_load_dwordx4 v[2:5], v[26:27] off glc	
s_waitcnt vmcnt(0)
	;;#ASMEND
	v_cmp_ne_u16_sdwa s[20:21], v4, v6 src0_sel:BYTE_0 src1_sel:DWORD
	s_or_b64 s[16:17], s[20:21], s[16:17]
	s_andn2_b64 exec, exec, s[16:17]
	s_cbranch_execnz .LBB1380_100
; %bb.103:
	s_or_b64 exec, exec, s[16:17]
.LBB1380_104:
	s_or_b64 exec, exec, s[14:15]
	v_and_b32_e32 v89, 63, v80
	v_cmp_ne_u32_e32 vcc, 63, v89
	v_mov_b32_e32 v88, 2
	v_addc_co_u32_e32 v26, vcc, 0, v80, vcc
	v_cmp_eq_u16_sdwa s[14:15], v4, v88 src0_sel:BYTE_0 src1_sel:DWORD
	v_lshlrev_b64 v[6:7], v80, -1
	v_lshlrev_b32_e32 v90, 2, v26
	v_and_b32_e32 v5, s15, v7
	ds_bpermute_b32 v26, v90, v2
	ds_bpermute_b32 v27, v90, v3
	v_or_b32_e32 v5, 0x80000000, v5
	v_and_b32_e32 v25, s14, v6
	v_ffbl_b32_e32 v5, v5
	v_add_u32_e32 v5, 32, v5
	v_ffbl_b32_e32 v25, v25
	v_min_u32_e32 v5, v25, v5
	s_waitcnt lgkmcnt(1)
	v_add_u32_e32 v25, v26, v2
	s_waitcnt lgkmcnt(0)
	v_add_u32_e32 v26, v27, v3
	v_cmp_lt_u32_e32 vcc, v89, v5
	v_cndmask_b32_e32 v3, v3, v26, vcc
	v_cndmask_b32_e32 v2, v2, v25, vcc
	v_cmp_gt_u32_e32 vcc, 62, v89
	v_cndmask_b32_e64 v25, 0, 1, vcc
	v_lshlrev_b32_e32 v25, 1, v25
	v_add_lshl_u32 v91, v25, v80, 2
	ds_bpermute_b32 v25, v91, v2
	ds_bpermute_b32 v26, v91, v3
	v_add_u32_e32 v92, 2, v89
	v_cmp_gt_u32_e32 vcc, v92, v5
	v_add_u32_e32 v94, 4, v89
	s_waitcnt lgkmcnt(1)
	v_add_u32_e32 v25, v2, v25
	s_waitcnt lgkmcnt(0)
	v_add_u32_e32 v26, v3, v26
	v_cndmask_b32_e32 v3, v26, v3, vcc
	v_cndmask_b32_e32 v2, v25, v2, vcc
	v_cmp_gt_u32_e32 vcc, 60, v89
	v_cndmask_b32_e64 v25, 0, 1, vcc
	v_lshlrev_b32_e32 v25, 2, v25
	v_add_lshl_u32 v93, v25, v80, 2
	ds_bpermute_b32 v25, v93, v2
	ds_bpermute_b32 v26, v93, v3
	v_cmp_gt_u32_e32 vcc, v94, v5
	v_add_u32_e32 v96, 8, v89
	v_add_u32_e32 v98, 16, v89
	s_waitcnt lgkmcnt(1)
	v_add_u32_e32 v25, v2, v25
	s_waitcnt lgkmcnt(0)
	v_add_u32_e32 v26, v3, v26
	v_cndmask_b32_e32 v3, v26, v3, vcc
	v_cndmask_b32_e32 v2, v25, v2, vcc
	v_cmp_gt_u32_e32 vcc, 56, v89
	v_cndmask_b32_e64 v25, 0, 1, vcc
	v_lshlrev_b32_e32 v25, 3, v25
	v_add_lshl_u32 v95, v25, v80, 2
	ds_bpermute_b32 v25, v95, v2
	ds_bpermute_b32 v26, v95, v3
	v_cmp_gt_u32_e32 vcc, v96, v5
	v_add_u32_e32 v100, 32, v89
	s_waitcnt lgkmcnt(1)
	v_add_u32_e32 v25, v2, v25
	s_waitcnt lgkmcnt(0)
	v_add_u32_e32 v26, v3, v26
	v_cndmask_b32_e32 v3, v26, v3, vcc
	v_cndmask_b32_e32 v2, v25, v2, vcc
	v_cmp_gt_u32_e32 vcc, 48, v89
	v_cndmask_b32_e64 v25, 0, 1, vcc
	v_lshlrev_b32_e32 v25, 4, v25
	v_add_lshl_u32 v97, v25, v80, 2
	ds_bpermute_b32 v25, v97, v2
	ds_bpermute_b32 v26, v97, v3
	v_cmp_gt_u32_e32 vcc, v98, v5
	s_waitcnt lgkmcnt(1)
	v_add_u32_e32 v25, v2, v25
	s_waitcnt lgkmcnt(0)
	v_add_u32_e32 v26, v3, v26
	v_cndmask_b32_e32 v3, v26, v3, vcc
	v_cndmask_b32_e32 v2, v25, v2, vcc
	v_cmp_gt_u32_e32 vcc, 32, v89
	v_cndmask_b32_e64 v25, 0, 1, vcc
	v_lshlrev_b32_e32 v25, 5, v25
	v_add_lshl_u32 v99, v25, v80, 2
	ds_bpermute_b32 v25, v99, v2
	ds_bpermute_b32 v26, v99, v3
	v_cmp_le_u32_e32 vcc, v100, v5
	s_waitcnt lgkmcnt(1)
	v_cndmask_b32_e32 v5, 0, v25, vcc
	s_waitcnt lgkmcnt(0)
	v_cndmask_b32_e32 v25, 0, v26, vcc
	v_add_u32_e32 v3, v3, v25
	v_add_u32_e32 v2, v2, v5
	v_mov_b32_e32 v25, 0
	s_branch .LBB1380_106
.LBB1380_105:                           ;   in Loop: Header=BB1380_106 Depth=1
	s_or_b64 exec, exec, s[14:15]
	v_cmp_eq_u16_sdwa s[14:15], v4, v88 src0_sel:BYTE_0 src1_sel:DWORD
	v_and_b32_e32 v5, s15, v7
	ds_bpermute_b32 v29, v90, v2
	ds_bpermute_b32 v101, v90, v3
	v_or_b32_e32 v5, 0x80000000, v5
	v_and_b32_e32 v28, s14, v6
	v_ffbl_b32_e32 v5, v5
	v_add_u32_e32 v5, 32, v5
	v_ffbl_b32_e32 v28, v28
	v_min_u32_e32 v5, v28, v5
	s_waitcnt lgkmcnt(1)
	v_add_u32_e32 v28, v29, v2
	s_waitcnt lgkmcnt(0)
	v_add_u32_e32 v29, v101, v3
	v_cmp_lt_u32_e32 vcc, v89, v5
	v_cndmask_b32_e32 v3, v3, v29, vcc
	v_cndmask_b32_e32 v2, v2, v28, vcc
	ds_bpermute_b32 v28, v91, v2
	ds_bpermute_b32 v29, v91, v3
	v_cmp_gt_u32_e32 vcc, v92, v5
	v_subrev_u32_e32 v24, 64, v24
	s_waitcnt lgkmcnt(1)
	v_add_u32_e32 v28, v2, v28
	s_waitcnt lgkmcnt(0)
	v_add_u32_e32 v29, v3, v29
	v_cndmask_b32_e32 v3, v29, v3, vcc
	v_cndmask_b32_e32 v2, v28, v2, vcc
	ds_bpermute_b32 v28, v93, v2
	ds_bpermute_b32 v29, v93, v3
	v_cmp_gt_u32_e32 vcc, v94, v5
	s_waitcnt lgkmcnt(1)
	v_add_u32_e32 v28, v2, v28
	s_waitcnt lgkmcnt(0)
	v_add_u32_e32 v29, v3, v29
	v_cndmask_b32_e32 v3, v29, v3, vcc
	v_cndmask_b32_e32 v2, v28, v2, vcc
	ds_bpermute_b32 v28, v95, v2
	ds_bpermute_b32 v29, v95, v3
	v_cmp_gt_u32_e32 vcc, v96, v5
	;; [unrolled: 9-line block ×3, first 2 shown]
	s_waitcnt lgkmcnt(1)
	v_add_u32_e32 v28, v2, v28
	s_waitcnt lgkmcnt(0)
	v_add_u32_e32 v29, v3, v29
	v_cndmask_b32_e32 v3, v29, v3, vcc
	v_cndmask_b32_e32 v2, v28, v2, vcc
	ds_bpermute_b32 v28, v99, v2
	ds_bpermute_b32 v29, v99, v3
	v_cmp_le_u32_e32 vcc, v100, v5
	s_waitcnt lgkmcnt(1)
	v_cndmask_b32_e32 v5, 0, v28, vcc
	s_waitcnt lgkmcnt(0)
	v_cndmask_b32_e32 v28, 0, v29, vcc
	v_add3_u32 v3, v28, v27, v3
	v_add3_u32 v2, v5, v26, v2
.LBB1380_106:                           ; =>This Loop Header: Depth=1
                                        ;     Child Loop BB1380_109 Depth 2
                                        ;       Child Loop BB1380_110 Depth 3
	v_cmp_ne_u16_sdwa s[14:15], v4, v88 src0_sel:BYTE_0 src1_sel:DWORD
	v_cndmask_b32_e64 v4, 0, 1, s[14:15]
	;;#ASMSTART
	;;#ASMEND
	v_cmp_ne_u32_e32 vcc, 0, v4
	s_cmp_lg_u64 vcc, exec
	v_pk_mov_b32 v[26:27], v[2:3], v[2:3] op_sel:[0,1]
	s_cbranch_scc1 .LBB1380_113
; %bb.107:                              ;   in Loop: Header=BB1380_106 Depth=1
	v_lshlrev_b64 v[2:3], 4, v[24:25]
	v_mov_b32_e32 v4, s13
	v_add_co_u32_e32 v28, vcc, s12, v2
	v_addc_co_u32_e32 v29, vcc, v4, v3, vcc
	;;#ASMSTART
	global_load_dwordx4 v[2:5], v[28:29] off glc	
s_waitcnt vmcnt(0)
	;;#ASMEND
	v_and_b32_e32 v5, 0xff, v3
	v_and_b32_e32 v101, 0xff00, v3
	v_or3_b32 v5, 0, v5, v101
	v_or3_b32 v2, v2, 0, 0
	v_and_b32_e32 v101, 0xff000000, v3
	v_and_b32_e32 v3, 0xff0000, v3
	v_or3_b32 v3, v5, v3, v101
	v_or3_b32 v2, v2, 0, 0
	v_cmp_eq_u16_sdwa s[16:17], v4, v25 src0_sel:BYTE_0 src1_sel:DWORD
	s_and_saveexec_b64 s[14:15], s[16:17]
	s_cbranch_execz .LBB1380_105
; %bb.108:                              ;   in Loop: Header=BB1380_106 Depth=1
	s_mov_b32 s7, 1
	s_mov_b64 s[16:17], 0
.LBB1380_109:                           ;   Parent Loop BB1380_106 Depth=1
                                        ; =>  This Loop Header: Depth=2
                                        ;       Child Loop BB1380_110 Depth 3
	s_max_u32 s19, s7, 1
.LBB1380_110:                           ;   Parent Loop BB1380_106 Depth=1
                                        ;     Parent Loop BB1380_109 Depth=2
                                        ; =>    This Inner Loop Header: Depth=3
	s_add_i32 s19, s19, -1
	s_cmp_eq_u32 s19, 0
	s_sleep 1
	s_cbranch_scc0 .LBB1380_110
; %bb.111:                              ;   in Loop: Header=BB1380_109 Depth=2
	s_cmp_lt_u32 s7, 32
	s_cselect_b64 s[20:21], -1, 0
	s_cmp_lg_u64 s[20:21], 0
	s_addc_u32 s7, s7, 0
	;;#ASMSTART
	global_load_dwordx4 v[2:5], v[28:29] off glc	
s_waitcnt vmcnt(0)
	;;#ASMEND
	v_cmp_ne_u16_sdwa s[20:21], v4, v25 src0_sel:BYTE_0 src1_sel:DWORD
	s_or_b64 s[16:17], s[20:21], s[16:17]
	s_andn2_b64 exec, exec, s[16:17]
	s_cbranch_execnz .LBB1380_109
; %bb.112:                              ;   in Loop: Header=BB1380_106 Depth=1
	s_or_b64 exec, exec, s[16:17]
	s_branch .LBB1380_105
.LBB1380_113:                           ;   in Loop: Header=BB1380_106 Depth=1
                                        ; implicit-def: $vgpr4
                                        ; implicit-def: $vgpr2_vgpr3
	s_cbranch_execz .LBB1380_106
; %bb.114:
	s_and_saveexec_b64 s[14:15], s[8:9]
	s_cbranch_execz .LBB1380_116
; %bb.115:
	s_add_i32 s6, s6, 64
	s_mov_b32 s7, 0
	v_add_u32_e32 v3, v27, v23
	s_lshl_b64 s[6:7], s[6:7], 4
	s_add_u32 s6, s12, s6
	v_and_b32_e32 v4, 0xff000000, v3
	v_and_b32_e32 v6, 0xff0000, v3
	s_addc_u32 s7, s13, s7
	v_or_b32_e32 v4, v6, v4
	v_and_b32_e32 v6, 0xff00, v3
	v_and_b32_e32 v3, 0xff, v3
	v_add_u32_e32 v2, v26, v22
	v_mov_b32_e32 v5, 0
	v_or3_b32 v3, v4, v6, v3
	v_mov_b32_e32 v4, 2
	v_pk_mov_b32 v[6:7], s[6:7], s[6:7] op_sel:[0,1]
	;;#ASMSTART
	global_store_dwordx4 v[6:7], v[2:5] off	
s_waitcnt vmcnt(0)
	;;#ASMEND
	s_movk_i32 s6, 0x3400
	v_add_u32_e64 v2, s6, 0
	ds_write2_b32 v2, v22, v23 offset1:2
	ds_write2_b32 v2, v26, v27 offset0:4 offset1:6
.LBB1380_116:
	s_or_b64 exec, exec, s[14:15]
	v_cmp_eq_u32_e32 vcc, 0, v0
	s_and_b64 exec, exec, vcc
	s_cbranch_execz .LBB1380_118
; %bb.117:
	v_mov_b32_e32 v2, 0
	ds_write_b64 v2, v[26:27] offset:24
.LBB1380_118:
	s_or_b64 exec, exec, s[10:11]
	v_mov_b32_e32 v2, 0
	s_waitcnt lgkmcnt(0)
	s_barrier
	ds_read_b64 v[6:7], v2 offset:24
	s_movk_i32 s6, 0x3400
	v_cndmask_b32_e64 v2, v87, v21, s[8:9]
	v_cndmask_b32_e64 v1, v1, v20, s[8:9]
	v_add_u32_e64 v4, s6, 0
	s_waitcnt lgkmcnt(0)
	v_add_u32_e32 v20, v6, v1
	v_add_u32_e32 v1, v7, v2
	s_barrier
	ds_read2_b32 v[2:3], v4 offset1:2
	ds_read2_b32 v[4:5], v4 offset0:4 offset1:6
	v_cmp_eq_u32_e32 vcc, 0, v0
	v_cndmask_b32_e32 v1, v1, v7, vcc
	v_cndmask_b32_e32 v20, v20, v6, vcc
	s_branch .LBB1380_129
.LBB1380_119:
                                        ; implicit-def: $vgpr1
                                        ; implicit-def: $vgpr4
                                        ; implicit-def: $vgpr2
                                        ; implicit-def: $vgpr20_vgpr21
	s_cbranch_execz .LBB1380_129
; %bb.120:
	s_nop 0
	v_mov_b32_dpp v1, v85 row_shr:1 row_mask:0xf bank_mask:0xf
	s_waitcnt lgkmcnt(0)
	v_mov_b32_dpp v2, v86 row_shr:1 row_mask:0xf bank_mask:0xf
	v_add_u32_e32 v1, v1, v85
	v_add_u32_e32 v2, v2, v86
	v_cndmask_b32_e64 v2, v2, v86, s[4:5]
	v_cndmask_b32_e64 v1, v1, v85, s[4:5]
	v_cmp_lt_u32_e32 vcc, 3, v84
	v_mov_b32_dpp v4, v2 row_shr:2 row_mask:0xf bank_mask:0xf
	v_mov_b32_dpp v3, v1 row_shr:2 row_mask:0xf bank_mask:0xf
	v_add_u32_e32 v3, v1, v3
	v_add_u32_e32 v4, v2, v4
	v_cndmask_b32_e64 v2, v2, v4, s[2:3]
	v_cndmask_b32_e64 v1, v1, v3, s[2:3]
	s_nop 0
	v_mov_b32_dpp v4, v2 row_shr:4 row_mask:0xf bank_mask:0xf
	v_mov_b32_dpp v3, v1 row_shr:4 row_mask:0xf bank_mask:0xf
	v_add_u32_e32 v3, v1, v3
	v_add_u32_e32 v4, v2, v4
	v_cndmask_b32_e32 v2, v2, v4, vcc
	v_cndmask_b32_e32 v1, v1, v3, vcc
	v_cmp_lt_u32_e32 vcc, 7, v84
	v_mov_b32_dpp v4, v2 row_shr:8 row_mask:0xf bank_mask:0xf
	v_mov_b32_dpp v3, v1 row_shr:8 row_mask:0xf bank_mask:0xf
	v_add_u32_e32 v3, v1, v3
	v_add_u32_e32 v4, v2, v4
	v_cndmask_b32_e32 v2, v2, v4, vcc
	v_cndmask_b32_e32 v1, v1, v3, vcc
	v_cmp_eq_u32_e32 vcc, 0, v83
	v_mov_b32_dpp v4, v2 row_bcast:15 row_mask:0xf bank_mask:0xf
	v_mov_b32_dpp v3, v1 row_bcast:15 row_mask:0xf bank_mask:0xf
	v_add_u32_e32 v3, v1, v3
	v_add_u32_e32 v4, v2, v4
	v_cndmask_b32_e32 v2, v4, v2, vcc
	v_cndmask_b32_e32 v1, v3, v1, vcc
	v_cmp_lt_u32_e32 vcc, 31, v80
	v_mov_b32_dpp v4, v2 row_bcast:31 row_mask:0xf bank_mask:0xf
	v_mov_b32_dpp v3, v1 row_bcast:31 row_mask:0xf bank_mask:0xf
	v_add_u32_e32 v4, v2, v4
	v_add_u32_e32 v5, v1, v3
	v_cndmask_b32_e32 v3, v2, v4, vcc
	v_cndmask_b32_e32 v2, v1, v5, vcc
	v_cmp_eq_u32_e32 vcc, v82, v0
	s_and_saveexec_b64 s[2:3], vcc
	s_cbranch_execz .LBB1380_122
; %bb.121:
	v_lshlrev_b32_e32 v1, 3, v81
	ds_write_b64 v1, v[2:3]
.LBB1380_122:
	s_or_b64 exec, exec, s[2:3]
	v_cmp_gt_u32_e32 vcc, 4, v0
	s_waitcnt lgkmcnt(0)
	s_barrier
	s_and_saveexec_b64 s[2:3], vcc
	s_cbranch_execz .LBB1380_124
; %bb.123:
	v_lshlrev_b32_e32 v1, 3, v0
	ds_read_b64 v[4:5], v1
	v_and_b32_e32 v6, 3, v80
	v_cmp_eq_u32_e32 vcc, 0, v6
	s_waitcnt lgkmcnt(0)
	v_mov_b32_dpp v7, v4 row_shr:1 row_mask:0xf bank_mask:0xf
	v_mov_b32_dpp v20, v5 row_shr:1 row_mask:0xf bank_mask:0xf
	v_add_u32_e32 v7, v7, v4
	v_add_u32_e32 v20, v20, v5
	v_cndmask_b32_e32 v5, v20, v5, vcc
	v_cndmask_b32_e32 v4, v7, v4, vcc
	v_cmp_lt_u32_e32 vcc, 1, v6
	v_mov_b32_dpp v20, v5 row_shr:2 row_mask:0xf bank_mask:0xf
	v_mov_b32_dpp v7, v4 row_shr:2 row_mask:0xf bank_mask:0xf
	v_cndmask_b32_e32 v6, 0, v7, vcc
	v_cndmask_b32_e32 v7, 0, v20, vcc
	v_add_u32_e32 v5, v7, v5
	v_add_u32_e32 v4, v6, v4
	ds_write_b64 v1, v[4:5]
.LBB1380_124:
	s_or_b64 exec, exec, s[2:3]
	v_cmp_lt_u32_e32 vcc, 63, v0
	v_mov_b32_e32 v4, 0
	v_mov_b32_e32 v6, 0
	;; [unrolled: 1-line block ×3, first 2 shown]
	s_waitcnt lgkmcnt(0)
	s_barrier
	s_and_saveexec_b64 s[2:3], vcc
	s_cbranch_execz .LBB1380_126
; %bb.125:
	v_lshl_add_u32 v1, v81, 3, -8
	ds_read_b64 v[6:7], v1
.LBB1380_126:
	s_or_b64 exec, exec, s[2:3]
	s_waitcnt lgkmcnt(0)
	v_add_u32_e32 v5, v7, v3
	v_add_u32_e32 v1, v6, v2
	v_add_u32_e32 v2, -1, v80
	v_and_b32_e32 v3, 64, v80
	v_cmp_lt_i32_e32 vcc, v2, v3
	v_cndmask_b32_e32 v2, v2, v80, vcc
	v_lshlrev_b32_e32 v20, 2, v2
	ds_read_b64 v[2:3], v4 offset:24
	ds_bpermute_b32 v1, v20, v1
	ds_bpermute_b32 v20, v20, v5
	v_cmp_eq_u32_e32 vcc, 0, v0
	s_waitcnt lgkmcnt(2)
	v_readfirstlane_b32 s4, v3
	s_and_saveexec_b64 s[2:3], vcc
	s_cbranch_execz .LBB1380_128
; %bb.127:
	s_add_u32 s6, s12, 0x400
	s_mov_b32 s8, 0
	s_addc_u32 s7, s13, 0
	s_and_b32 s9, s4, 0xff000000
	s_and_b32 s11, s4, 0xff0000
	s_mov_b32 s10, s8
	s_or_b64 s[10:11], s[10:11], s[8:9]
	s_and_b32 s9, s4, 0xff00
	s_or_b64 s[10:11], s[10:11], s[8:9]
	s_and_b32 s9, s4, 0xff
	s_or_b64 s[8:9], s[10:11], s[8:9]
	v_mov_b32_e32 v3, s9
	v_mov_b32_e32 v4, 2
	;; [unrolled: 1-line block ×3, first 2 shown]
	v_pk_mov_b32 v[22:23], s[6:7], s[6:7] op_sel:[0,1]
	;;#ASMSTART
	global_store_dwordx4 v[22:23], v[2:5] off	
s_waitcnt vmcnt(0)
	;;#ASMEND
.LBB1380_128:
	s_or_b64 exec, exec, s[2:3]
	v_cmp_eq_u32_e64 s[2:3], 0, v80
	s_waitcnt lgkmcnt(1)
	v_cndmask_b32_e64 v3, v1, v6, s[2:3]
	s_waitcnt lgkmcnt(0)
	v_cndmask_b32_e64 v1, v20, v7, s[2:3]
	v_mov_b32_e32 v4, 0
	v_cndmask_b32_e64 v1, v1, 0, vcc
	v_cndmask_b32_e64 v20, v3, 0, vcc
	s_barrier
	v_mov_b32_e32 v3, s4
	v_mov_b32_e32 v5, 0
.LBB1380_129:
	v_add_u32_e32 v24, v1, v63
	v_add_u32_e32 v25, v24, v74
	;; [unrolled: 1-line block ×14, first 2 shown]
	v_mov_b32_e32 v7, s49
	s_waitcnt lgkmcnt(0)
	v_add_co_u32_e32 v6, vcc, s48, v4
	v_add_u32_e32 v64, v58, v68
	v_add_u32_e32 v68, v66, v71
	v_addc_co_u32_e32 v7, vcc, 0, v7, vcc
	v_add_u32_e32 v69, v68, v78
	v_mov_b32_e32 v22, s51
	v_sub_co_u32_e32 v23, vcc, s50, v2
	v_add_u32_e32 v71, v69, v73
	v_subbrev_co_u32_e32 v73, vcc, 0, v22, vcc
	v_add_co_u32_e32 v22, vcc, v23, v5
	v_addc_co_u32_e32 v23, vcc, 0, v73, vcc
	v_lshlrev_b32_e32 v73, 1, v2
	v_sub_u32_e32 v1, v1, v5
	v_add_u32_e32 v74, v73, v3
	v_sub_u32_e32 v20, v20, v4
	v_add_u32_e32 v1, v1, v2
	v_add_u32_e32 v31, v74, v31
	v_and_b32_e32 v33, 1, v33
	v_add_u32_e32 v74, v20, v1
	v_and_b32_e32 v32, 1, v32
	v_sub_u32_e32 v74, v31, v74
	v_cmp_eq_u32_e32 vcc, 1, v33
	v_cndmask_b32_e32 v1, v74, v1, vcc
	v_cmp_eq_u32_e32 vcc, 1, v32
	v_cndmask_b32_e32 v1, v1, v20, vcc
	v_lshlrev_b32_e32 v1, 2, v1
	v_sub_u32_e32 v20, v24, v5
	ds_write_b32 v1, v18
	v_sub_u32_e32 v1, v21, v4
	v_add_u32_e32 v20, v20, v2
	v_add_u32_e32 v24, v20, v1
	v_and_b32_e32 v21, 1, v35
	v_sub_u32_e32 v24, v31, v24
	v_and_b32_e32 v18, 1, v34
	v_add_u32_e32 v24, 1, v24
	v_cmp_eq_u32_e32 vcc, 1, v21
	v_cndmask_b32_e32 v20, v24, v20, vcc
	v_cmp_eq_u32_e32 vcc, 1, v18
	v_cndmask_b32_e32 v1, v20, v1, vcc
	v_lshlrev_b32_e32 v1, 2, v1
	ds_write_b32 v1, v19
	v_sub_u32_e32 v19, v25, v5
	v_sub_u32_e32 v1, v26, v4
	v_add_u32_e32 v19, v19, v2
	v_add_u32_e32 v21, v19, v1
	v_and_b32_e32 v20, 1, v37
	v_sub_u32_e32 v21, v31, v21
	v_and_b32_e32 v18, 1, v36
	v_add_u32_e32 v21, 2, v21
	v_cmp_eq_u32_e32 vcc, 1, v20
	v_cndmask_b32_e32 v19, v21, v19, vcc
	v_cmp_eq_u32_e32 vcc, 1, v18
	v_cndmask_b32_e32 v1, v19, v1, vcc
	v_lshlrev_b32_e32 v1, 2, v1
	v_sub_u32_e32 v18, v28, v5
	ds_write_b32 v1, v16
	v_sub_u32_e32 v1, v27, v4
	v_add_u32_e32 v18, v18, v2
	v_add_u32_e32 v20, v1, v18
	v_and_b32_e32 v19, 1, v38
	v_sub_u32_e32 v20, v31, v20
	v_and_b32_e32 v16, 1, v39
	v_add_u32_e32 v20, 3, v20
	v_cmp_eq_u32_e32 vcc, 1, v19
	v_cndmask_b32_e32 v18, v20, v18, vcc
	v_cmp_eq_u32_e32 vcc, 1, v16
	v_cndmask_b32_e32 v1, v18, v1, vcc
	v_lshlrev_b32_e32 v1, 2, v1
	ds_write_b32 v1, v17
	v_sub_u32_e32 v17, v29, v5
	v_sub_u32_e32 v1, v56, v4
	v_add_u32_e32 v17, v17, v2
	v_add_u32_e32 v19, v1, v17
	v_and_b32_e32 v18, 1, v40
	v_sub_u32_e32 v19, v31, v19
	v_and_b32_e32 v16, 1, v41
	v_add_u32_e32 v19, 4, v19
	;; [unrolled: 28-line block ×3, first 2 shown]
	v_cmp_eq_u32_e32 vcc, 1, v16
	v_cndmask_b32_e32 v15, v17, v15, vcc
	v_cmp_eq_u32_e32 vcc, 1, v14
	v_cndmask_b32_e32 v1, v15, v1, vcc
	v_lshlrev_b32_e32 v1, 2, v1
	v_sub_u32_e32 v14, v65, v5
	ds_write_b32 v1, v12
	v_sub_u32_e32 v1, v64, v4
	v_add_u32_e32 v14, v14, v2
	v_add_u32_e32 v16, v1, v14
	v_and_b32_e32 v15, 1, v46
	v_sub_u32_e32 v16, v31, v16
	v_and_b32_e32 v12, 1, v47
	v_add_u32_e32 v16, 7, v16
	v_cmp_eq_u32_e32 vcc, 1, v15
	v_cndmask_b32_e32 v14, v16, v14, vcc
	v_cmp_eq_u32_e32 vcc, 1, v12
	v_cndmask_b32_e32 v1, v14, v1, vcc
	v_lshlrev_b32_e32 v1, 2, v1
	v_add_u32_e32 v59, v64, v59
	ds_write_b32 v1, v13
	v_sub_u32_e32 v13, v66, v5
	v_sub_u32_e32 v1, v59, v4
	v_add_u32_e32 v13, v13, v2
	v_add_u32_e32 v15, v1, v13
	v_and_b32_e32 v14, 1, v48
	v_sub_u32_e32 v15, v31, v15
	v_and_b32_e32 v12, 1, v49
	v_add_u32_e32 v15, 8, v15
	v_cmp_eq_u32_e32 vcc, 1, v14
	v_cndmask_b32_e32 v13, v15, v13, vcc
	v_cmp_eq_u32_e32 vcc, 1, v12
	v_cndmask_b32_e32 v1, v13, v1, vcc
	v_add_u32_e32 v67, v59, v70
	v_lshlrev_b32_e32 v1, 2, v1
	v_sub_u32_e32 v12, v68, v5
	ds_write_b32 v1, v10
	v_sub_u32_e32 v1, v67, v4
	v_add_u32_e32 v12, v12, v2
	v_add_u32_e32 v14, v1, v12
	v_and_b32_e32 v13, 1, v50
	v_sub_u32_e32 v14, v31, v14
	v_and_b32_e32 v10, 1, v51
	v_add_u32_e32 v14, 9, v14
	v_cmp_eq_u32_e32 vcc, 1, v13
	v_cndmask_b32_e32 v12, v14, v12, vcc
	v_cmp_eq_u32_e32 vcc, 1, v10
	v_cndmask_b32_e32 v1, v12, v1, vcc
	v_lshlrev_b32_e32 v1, 2, v1
	v_add_u32_e32 v60, v67, v60
	ds_write_b32 v1, v11
	v_sub_u32_e32 v11, v69, v5
	v_sub_u32_e32 v1, v60, v4
	v_add_u32_e32 v11, v11, v2
	v_add_u32_e32 v13, v1, v11
	v_and_b32_e32 v12, 1, v52
	v_sub_u32_e32 v13, v31, v13
	v_and_b32_e32 v10, 1, v53
	v_add_u32_e32 v13, 10, v13
	v_cmp_eq_u32_e32 vcc, 1, v12
	v_cndmask_b32_e32 v11, v13, v11, vcc
	v_cmp_eq_u32_e32 vcc, 1, v10
	v_cndmask_b32_e32 v1, v11, v1, vcc
	v_add_u32_e32 v70, v60, v72
	v_lshlrev_b32_e32 v1, 2, v1
	v_sub_u32_e32 v10, v71, v5
	ds_write_b32 v1, v8
	v_sub_u32_e32 v1, v70, v4
	v_add_u32_e32 v10, v10, v2
	v_add_u32_e32 v12, v1, v10
	v_and_b32_e32 v11, 1, v54
	v_sub_u32_e32 v12, v31, v12
	v_and_b32_e32 v8, 1, v55
	v_add_u32_e32 v12, 11, v12
	v_cmp_eq_u32_e32 vcc, 1, v11
	v_cndmask_b32_e32 v10, v12, v10, vcc
	v_cmp_eq_u32_e32 vcc, 1, v8
	v_cndmask_b32_e32 v1, v10, v1, vcc
	v_add_u32_e32 v72, v71, v79
	v_add_u32_e32 v61, v70, v61
	v_lshlrev_b32_e32 v1, 2, v1
	ds_write_b32 v1, v9
	v_sub_u32_e32 v1, v61, v4
	v_sub_u32_e32 v4, v72, v5
	v_add_u32_e32 v4, v4, v2
	v_add_u32_e32 v8, v1, v4
	v_sub_u32_e32 v8, v31, v8
	v_add_u32_e32 v8, 12, v8
	v_cndmask_b32_e64 v4, v8, v4, s[58:59]
	v_cndmask_b32_e64 v1, v4, v1, s[46:47]
	v_lshlrev_b32_e32 v1, 2, v1
	ds_write_b32 v1, v30
	v_add_co_u32_e32 v1, vcc, v3, v73
	v_addc_co_u32_e64 v4, s[2:3], 0, 0, vcc
	v_add_co_u32_e32 v1, vcc, v1, v22
	v_addc_co_u32_e32 v4, vcc, v4, v23, vcc
	s_add_u32 s4, s56, s33
	v_add_co_u32_e32 v1, vcc, v1, v6
	s_addc_u32 s5, s57, 0
	v_addc_co_u32_e32 v4, vcc, v4, v7, vcc
	v_mov_b32_e32 v8, s5
	v_sub_co_u32_e32 v1, vcc, s4, v1
	v_subb_co_u32_e32 v4, vcc, v8, v4, vcc
	v_lshlrev_b64 v[8:9], 2, v[22:23]
	v_mov_b32_e32 v10, s55
	v_add_co_u32_e32 v8, vcc, s54, v8
	v_addc_co_u32_e32 v9, vcc, v10, v9, vcc
	v_lshlrev_b64 v[10:11], 2, v[6:7]
	v_mov_b32_e32 v13, s53
	v_add_co_u32_e32 v10, vcc, s52, v10
	s_add_u32 s6, s34, -4
	v_addc_co_u32_e32 v11, vcc, v13, v11, vcc
	s_addc_u32 s7, s35, -1
	v_add_u32_e32 v12, v2, v3
	s_and_b64 vcc, exec, s[0:1]
	s_mov_b64 s[0:1], -1
	s_waitcnt lgkmcnt(0)
	s_barrier
	s_cbranch_vccz .LBB1380_133
; %bb.130:
	s_and_b64 vcc, exec, s[0:1]
	s_cbranch_vccnz .LBB1380_238
.LBB1380_131:
	v_cmp_eq_u32_e32 vcc, 0, v0
	s_and_b64 s[0:1], vcc, s[30:31]
	s_and_saveexec_b64 s[2:3], s[0:1]
	s_cbranch_execnz .LBB1380_356
.LBB1380_132:
	s_endpgm
.LBB1380_133:
	v_cmp_le_u32_e32 vcc, v2, v0
	s_and_saveexec_b64 s[0:1], vcc
	s_xor_b64 s[0:1], exec, s[0:1]
	s_cbranch_execz .LBB1380_139
; %bb.134:
	v_cmp_le_u32_e32 vcc, v12, v0
	s_and_saveexec_b64 s[2:3], vcc
	s_xor_b64 s[2:3], exec, s[2:3]
	s_cbranch_execz .LBB1380_136
; %bb.135:
	v_lshlrev_b32_e32 v13, 2, v0
	v_add_co_u32_e32 v14, vcc, v1, v0
	ds_read_b32 v13, v13
	v_addc_co_u32_e32 v15, vcc, 0, v4, vcc
	v_lshlrev_b64 v[14:15], 2, v[14:15]
	v_mov_b32_e32 v16, s35
	v_sub_co_u32_e32 v14, vcc, s34, v14
	v_subb_co_u32_e32 v15, vcc, v16, v15, vcc
	s_waitcnt lgkmcnt(0)
	global_store_dword v[14:15], v13, off offset:-4
.LBB1380_136:
	s_andn2_saveexec_b64 s[2:3], s[2:3]
	s_cbranch_execz .LBB1380_138
; %bb.137:
	v_lshlrev_b32_e32 v13, 2, v0
	ds_read_b32 v14, v13
	v_readfirstlane_b32 s4, v8
	v_readfirstlane_b32 s5, v9
	s_waitcnt lgkmcnt(0)
	s_nop 3
	global_store_dword v13, v14, s[4:5]
.LBB1380_138:
	s_or_b64 exec, exec, s[2:3]
.LBB1380_139:
	s_andn2_saveexec_b64 s[0:1], s[0:1]
	s_cbranch_execz .LBB1380_141
; %bb.140:
	v_lshlrev_b32_e32 v13, 2, v0
	ds_read_b32 v14, v13
	v_readfirstlane_b32 s2, v10
	v_readfirstlane_b32 s3, v11
	s_waitcnt lgkmcnt(0)
	s_nop 3
	global_store_dword v13, v14, s[2:3]
.LBB1380_141:
	s_or_b64 exec, exec, s[0:1]
	v_or_b32_e32 v13, 0x100, v0
	v_cmp_le_u32_e32 vcc, v2, v13
	s_and_saveexec_b64 s[0:1], vcc
	s_xor_b64 s[0:1], exec, s[0:1]
	s_cbranch_execz .LBB1380_147
; %bb.142:
	v_cmp_le_u32_e32 vcc, v12, v13
	s_and_saveexec_b64 s[2:3], vcc
	s_xor_b64 s[2:3], exec, s[2:3]
	s_cbranch_execz .LBB1380_144
; %bb.143:
	v_lshlrev_b32_e32 v13, 2, v0
	ds_read_b32 v13, v13 offset:1024
	v_add_co_u32_e32 v14, vcc, v1, v0
	v_addc_co_u32_e32 v15, vcc, 0, v4, vcc
	v_lshlrev_b64 v[14:15], 2, v[14:15]
	v_mov_b32_e32 v16, s7
	v_sub_co_u32_e32 v14, vcc, s6, v14
	v_subb_co_u32_e32 v15, vcc, v16, v15, vcc
	s_waitcnt lgkmcnt(0)
	global_store_dword v[14:15], v13, off offset:-1024
.LBB1380_144:
	s_andn2_saveexec_b64 s[2:3], s[2:3]
	s_cbranch_execz .LBB1380_146
; %bb.145:
	v_lshlrev_b32_e32 v13, 2, v0
	ds_read_b32 v14, v13 offset:1024
	v_readfirstlane_b32 s4, v8
	v_readfirstlane_b32 s5, v9
	s_waitcnt lgkmcnt(0)
	s_nop 3
	global_store_dword v13, v14, s[4:5] offset:1024
.LBB1380_146:
	s_or_b64 exec, exec, s[2:3]
.LBB1380_147:
	s_andn2_saveexec_b64 s[0:1], s[0:1]
	s_cbranch_execz .LBB1380_149
; %bb.148:
	v_lshlrev_b32_e32 v13, 2, v0
	ds_read_b32 v14, v13 offset:1024
	v_readfirstlane_b32 s2, v10
	v_readfirstlane_b32 s3, v11
	s_waitcnt lgkmcnt(0)
	s_nop 3
	global_store_dword v13, v14, s[2:3] offset:1024
.LBB1380_149:
	s_or_b64 exec, exec, s[0:1]
	v_or_b32_e32 v13, 0x200, v0
	v_cmp_le_u32_e32 vcc, v2, v13
	s_and_saveexec_b64 s[0:1], vcc
	s_xor_b64 s[0:1], exec, s[0:1]
	s_cbranch_execz .LBB1380_155
; %bb.150:
	v_cmp_le_u32_e32 vcc, v12, v13
	s_and_saveexec_b64 s[2:3], vcc
	s_xor_b64 s[2:3], exec, s[2:3]
	s_cbranch_execz .LBB1380_152
; %bb.151:
	v_lshlrev_b32_e32 v13, 2, v0
	ds_read_b32 v13, v13 offset:2048
	v_add_co_u32_e32 v14, vcc, v1, v0
	v_addc_co_u32_e32 v15, vcc, 0, v4, vcc
	v_lshlrev_b64 v[14:15], 2, v[14:15]
	v_mov_b32_e32 v16, s7
	v_sub_co_u32_e32 v14, vcc, s6, v14
	v_subb_co_u32_e32 v15, vcc, v16, v15, vcc
	s_waitcnt lgkmcnt(0)
	global_store_dword v[14:15], v13, off offset:-2048
.LBB1380_152:
	s_andn2_saveexec_b64 s[2:3], s[2:3]
	s_cbranch_execz .LBB1380_154
; %bb.153:
	v_lshlrev_b32_e32 v13, 2, v0
	ds_read_b32 v14, v13 offset:2048
	v_readfirstlane_b32 s4, v8
	v_readfirstlane_b32 s5, v9
	s_waitcnt lgkmcnt(0)
	s_nop 3
	global_store_dword v13, v14, s[4:5] offset:2048
.LBB1380_154:
	s_or_b64 exec, exec, s[2:3]
.LBB1380_155:
	s_andn2_saveexec_b64 s[0:1], s[0:1]
	s_cbranch_execz .LBB1380_157
; %bb.156:
	v_lshlrev_b32_e32 v13, 2, v0
	ds_read_b32 v14, v13 offset:2048
	v_readfirstlane_b32 s2, v10
	v_readfirstlane_b32 s3, v11
	s_waitcnt lgkmcnt(0)
	s_nop 3
	global_store_dword v13, v14, s[2:3] offset:2048
.LBB1380_157:
	;; [unrolled: 47-line block ×3, first 2 shown]
	s_or_b64 exec, exec, s[0:1]
	v_or_b32_e32 v13, 0x400, v0
	v_cmp_le_u32_e32 vcc, v2, v13
	s_and_saveexec_b64 s[0:1], vcc
	s_xor_b64 s[0:1], exec, s[0:1]
	s_cbranch_execz .LBB1380_171
; %bb.166:
	v_cmp_le_u32_e32 vcc, v12, v13
	s_and_saveexec_b64 s[2:3], vcc
	s_xor_b64 s[2:3], exec, s[2:3]
	s_cbranch_execz .LBB1380_168
; %bb.167:
	v_lshlrev_b32_e32 v13, 2, v0
	ds_read_b32 v13, v13 offset:4096
	v_add_co_u32_e32 v14, vcc, v1, v0
	v_addc_co_u32_e32 v15, vcc, 0, v4, vcc
	v_lshlrev_b64 v[14:15], 2, v[14:15]
	v_mov_b32_e32 v16, s7
	v_sub_co_u32_e32 v14, vcc, s6, v14
	v_subb_co_u32_e32 v15, vcc, v16, v15, vcc
	s_waitcnt lgkmcnt(0)
	global_store_dword v[14:15], v13, off offset:-4096
                                        ; implicit-def: $vgpr13
.LBB1380_168:
	s_andn2_saveexec_b64 s[2:3], s[2:3]
	s_cbranch_execz .LBB1380_170
; %bb.169:
	v_lshlrev_b32_e32 v14, 2, v0
	ds_read_b32 v14, v14 offset:4096
	v_lshlrev_b32_e32 v13, 2, v13
	v_readfirstlane_b32 s4, v8
	v_readfirstlane_b32 s5, v9
	s_waitcnt lgkmcnt(0)
	s_nop 3
	global_store_dword v13, v14, s[4:5]
.LBB1380_170:
	s_or_b64 exec, exec, s[2:3]
                                        ; implicit-def: $vgpr13
.LBB1380_171:
	s_andn2_saveexec_b64 s[0:1], s[0:1]
	s_cbranch_execz .LBB1380_173
; %bb.172:
	v_lshlrev_b32_e32 v14, 2, v0
	ds_read_b32 v14, v14 offset:4096
	v_lshlrev_b32_e32 v13, 2, v13
	v_readfirstlane_b32 s2, v10
	v_readfirstlane_b32 s3, v11
	s_waitcnt lgkmcnt(0)
	s_nop 3
	global_store_dword v13, v14, s[2:3]
.LBB1380_173:
	s_or_b64 exec, exec, s[0:1]
	v_or_b32_e32 v13, 0x500, v0
	v_cmp_le_u32_e32 vcc, v2, v13
	s_and_saveexec_b64 s[0:1], vcc
	s_xor_b64 s[0:1], exec, s[0:1]
	s_cbranch_execz .LBB1380_179
; %bb.174:
	v_cmp_le_u32_e32 vcc, v12, v13
	s_and_saveexec_b64 s[2:3], vcc
	s_xor_b64 s[2:3], exec, s[2:3]
	s_cbranch_execz .LBB1380_176
; %bb.175:
	v_add_co_u32_e32 v14, vcc, v1, v13
	v_lshlrev_b32_e32 v13, 2, v0
	ds_read_b32 v13, v13 offset:5120
	v_addc_co_u32_e32 v15, vcc, 0, v4, vcc
	v_lshlrev_b64 v[14:15], 2, v[14:15]
	v_mov_b32_e32 v16, s7
	v_sub_co_u32_e32 v14, vcc, s6, v14
	v_subb_co_u32_e32 v15, vcc, v16, v15, vcc
	s_waitcnt lgkmcnt(0)
	global_store_dword v[14:15], v13, off
                                        ; implicit-def: $vgpr13
.LBB1380_176:
	s_andn2_saveexec_b64 s[2:3], s[2:3]
	s_cbranch_execz .LBB1380_178
; %bb.177:
	v_lshlrev_b32_e32 v14, 2, v0
	ds_read_b32 v14, v14 offset:5120
	v_lshlrev_b32_e32 v13, 2, v13
	v_readfirstlane_b32 s4, v8
	v_readfirstlane_b32 s5, v9
	s_waitcnt lgkmcnt(0)
	s_nop 3
	global_store_dword v13, v14, s[4:5]
.LBB1380_178:
	s_or_b64 exec, exec, s[2:3]
                                        ; implicit-def: $vgpr13
.LBB1380_179:
	s_andn2_saveexec_b64 s[0:1], s[0:1]
	s_cbranch_execz .LBB1380_181
; %bb.180:
	v_lshlrev_b32_e32 v14, 2, v0
	ds_read_b32 v14, v14 offset:5120
	v_lshlrev_b32_e32 v13, 2, v13
	v_readfirstlane_b32 s2, v10
	v_readfirstlane_b32 s3, v11
	s_waitcnt lgkmcnt(0)
	s_nop 3
	global_store_dword v13, v14, s[2:3]
.LBB1380_181:
	s_or_b64 exec, exec, s[0:1]
	v_or_b32_e32 v13, 0x600, v0
	v_cmp_le_u32_e32 vcc, v2, v13
	s_and_saveexec_b64 s[0:1], vcc
	s_xor_b64 s[0:1], exec, s[0:1]
	s_cbranch_execz .LBB1380_187
; %bb.182:
	v_cmp_le_u32_e32 vcc, v12, v13
	s_and_saveexec_b64 s[2:3], vcc
	s_xor_b64 s[2:3], exec, s[2:3]
	s_cbranch_execz .LBB1380_184
; %bb.183:
	v_add_co_u32_e32 v14, vcc, v1, v13
	v_lshlrev_b32_e32 v13, 2, v0
	ds_read_b32 v13, v13 offset:6144
	v_addc_co_u32_e32 v15, vcc, 0, v4, vcc
	v_lshlrev_b64 v[14:15], 2, v[14:15]
	v_mov_b32_e32 v16, s7
	v_sub_co_u32_e32 v14, vcc, s6, v14
	v_subb_co_u32_e32 v15, vcc, v16, v15, vcc
	s_waitcnt lgkmcnt(0)
	global_store_dword v[14:15], v13, off
                                        ; implicit-def: $vgpr13
.LBB1380_184:
	s_andn2_saveexec_b64 s[2:3], s[2:3]
	s_cbranch_execz .LBB1380_186
; %bb.185:
	v_lshlrev_b32_e32 v14, 2, v0
	ds_read_b32 v14, v14 offset:6144
	v_lshlrev_b32_e32 v13, 2, v13
	v_readfirstlane_b32 s4, v8
	v_readfirstlane_b32 s5, v9
	s_waitcnt lgkmcnt(0)
	s_nop 3
	global_store_dword v13, v14, s[4:5]
.LBB1380_186:
	s_or_b64 exec, exec, s[2:3]
                                        ; implicit-def: $vgpr13
.LBB1380_187:
	;; [unrolled: 51-line block ×8, first 2 shown]
	s_andn2_saveexec_b64 s[0:1], s[0:1]
	s_cbranch_execz .LBB1380_237
; %bb.236:
	v_lshlrev_b32_e32 v14, 2, v0
	ds_read_b32 v14, v14 offset:12288
	v_lshlrev_b32_e32 v13, 2, v13
	v_readfirstlane_b32 s2, v10
	v_readfirstlane_b32 s3, v11
	s_waitcnt lgkmcnt(0)
	s_nop 3
	global_store_dword v13, v14, s[2:3]
.LBB1380_237:
	s_or_b64 exec, exec, s[0:1]
	s_branch .LBB1380_131
.LBB1380_238:
	v_cmp_gt_u32_e32 vcc, s18, v0
	s_and_saveexec_b64 s[0:1], vcc
	s_cbranch_execz .LBB1380_247
; %bb.239:
	v_cmp_le_u32_e32 vcc, v2, v0
	s_and_saveexec_b64 s[2:3], vcc
	s_xor_b64 s[2:3], exec, s[2:3]
	s_cbranch_execz .LBB1380_245
; %bb.240:
	v_cmp_le_u32_e32 vcc, v12, v0
	s_and_saveexec_b64 s[4:5], vcc
	s_xor_b64 s[4:5], exec, s[4:5]
	s_cbranch_execz .LBB1380_242
; %bb.241:
	v_lshlrev_b32_e32 v13, 2, v0
	v_add_co_u32_e32 v14, vcc, v1, v0
	ds_read_b32 v13, v13
	v_addc_co_u32_e32 v15, vcc, 0, v4, vcc
	v_lshlrev_b64 v[14:15], 2, v[14:15]
	v_mov_b32_e32 v16, s35
	v_sub_co_u32_e32 v14, vcc, s34, v14
	v_subb_co_u32_e32 v15, vcc, v16, v15, vcc
	s_waitcnt lgkmcnt(0)
	global_store_dword v[14:15], v13, off offset:-4
.LBB1380_242:
	s_andn2_saveexec_b64 s[4:5], s[4:5]
	s_cbranch_execz .LBB1380_244
; %bb.243:
	v_lshlrev_b32_e32 v13, 2, v0
	ds_read_b32 v14, v13
	v_readfirstlane_b32 s8, v8
	v_readfirstlane_b32 s9, v9
	s_waitcnt lgkmcnt(0)
	s_nop 3
	global_store_dword v13, v14, s[8:9]
.LBB1380_244:
	s_or_b64 exec, exec, s[4:5]
.LBB1380_245:
	s_andn2_saveexec_b64 s[2:3], s[2:3]
	s_cbranch_execz .LBB1380_247
; %bb.246:
	v_lshlrev_b32_e32 v13, 2, v0
	ds_read_b32 v14, v13
	v_readfirstlane_b32 s2, v10
	v_readfirstlane_b32 s3, v11
	s_waitcnt lgkmcnt(0)
	s_nop 3
	global_store_dword v13, v14, s[2:3]
.LBB1380_247:
	s_or_b64 exec, exec, s[0:1]
	v_or_b32_e32 v13, 0x100, v0
	v_cmp_gt_u32_e32 vcc, s18, v13
	s_and_saveexec_b64 s[0:1], vcc
	s_cbranch_execz .LBB1380_256
; %bb.248:
	v_cmp_le_u32_e32 vcc, v2, v13
	s_and_saveexec_b64 s[2:3], vcc
	s_xor_b64 s[2:3], exec, s[2:3]
	s_cbranch_execz .LBB1380_254
; %bb.249:
	v_cmp_le_u32_e32 vcc, v12, v13
	s_and_saveexec_b64 s[4:5], vcc
	s_xor_b64 s[4:5], exec, s[4:5]
	s_cbranch_execz .LBB1380_251
; %bb.250:
	v_lshlrev_b32_e32 v13, 2, v0
	ds_read_b32 v13, v13 offset:1024
	v_add_co_u32_e32 v14, vcc, v1, v0
	v_addc_co_u32_e32 v15, vcc, 0, v4, vcc
	v_lshlrev_b64 v[14:15], 2, v[14:15]
	v_mov_b32_e32 v16, s7
	v_sub_co_u32_e32 v14, vcc, s6, v14
	v_subb_co_u32_e32 v15, vcc, v16, v15, vcc
	s_waitcnt lgkmcnt(0)
	global_store_dword v[14:15], v13, off offset:-1024
.LBB1380_251:
	s_andn2_saveexec_b64 s[4:5], s[4:5]
	s_cbranch_execz .LBB1380_253
; %bb.252:
	v_lshlrev_b32_e32 v13, 2, v0
	ds_read_b32 v14, v13 offset:1024
	v_readfirstlane_b32 s8, v8
	v_readfirstlane_b32 s9, v9
	s_waitcnt lgkmcnt(0)
	s_nop 3
	global_store_dword v13, v14, s[8:9] offset:1024
.LBB1380_253:
	s_or_b64 exec, exec, s[4:5]
.LBB1380_254:
	s_andn2_saveexec_b64 s[2:3], s[2:3]
	s_cbranch_execz .LBB1380_256
; %bb.255:
	v_lshlrev_b32_e32 v13, 2, v0
	ds_read_b32 v14, v13 offset:1024
	v_readfirstlane_b32 s2, v10
	v_readfirstlane_b32 s3, v11
	s_waitcnt lgkmcnt(0)
	s_nop 3
	global_store_dword v13, v14, s[2:3] offset:1024
.LBB1380_256:
	s_or_b64 exec, exec, s[0:1]
	v_or_b32_e32 v13, 0x200, v0
	v_cmp_gt_u32_e32 vcc, s18, v13
	s_and_saveexec_b64 s[0:1], vcc
	s_cbranch_execz .LBB1380_265
; %bb.257:
	v_cmp_le_u32_e32 vcc, v2, v13
	s_and_saveexec_b64 s[2:3], vcc
	s_xor_b64 s[2:3], exec, s[2:3]
	s_cbranch_execz .LBB1380_263
; %bb.258:
	v_cmp_le_u32_e32 vcc, v12, v13
	s_and_saveexec_b64 s[4:5], vcc
	s_xor_b64 s[4:5], exec, s[4:5]
	s_cbranch_execz .LBB1380_260
; %bb.259:
	v_lshlrev_b32_e32 v13, 2, v0
	ds_read_b32 v13, v13 offset:2048
	v_add_co_u32_e32 v14, vcc, v1, v0
	v_addc_co_u32_e32 v15, vcc, 0, v4, vcc
	v_lshlrev_b64 v[14:15], 2, v[14:15]
	v_mov_b32_e32 v16, s7
	v_sub_co_u32_e32 v14, vcc, s6, v14
	v_subb_co_u32_e32 v15, vcc, v16, v15, vcc
	s_waitcnt lgkmcnt(0)
	global_store_dword v[14:15], v13, off offset:-2048
.LBB1380_260:
	s_andn2_saveexec_b64 s[4:5], s[4:5]
	s_cbranch_execz .LBB1380_262
; %bb.261:
	v_lshlrev_b32_e32 v13, 2, v0
	ds_read_b32 v14, v13 offset:2048
	v_readfirstlane_b32 s8, v8
	v_readfirstlane_b32 s9, v9
	s_waitcnt lgkmcnt(0)
	s_nop 3
	global_store_dword v13, v14, s[8:9] offset:2048
.LBB1380_262:
	s_or_b64 exec, exec, s[4:5]
.LBB1380_263:
	s_andn2_saveexec_b64 s[2:3], s[2:3]
	s_cbranch_execz .LBB1380_265
; %bb.264:
	v_lshlrev_b32_e32 v13, 2, v0
	ds_read_b32 v14, v13 offset:2048
	v_readfirstlane_b32 s2, v10
	v_readfirstlane_b32 s3, v11
	s_waitcnt lgkmcnt(0)
	s_nop 3
	global_store_dword v13, v14, s[2:3] offset:2048
.LBB1380_265:
	;; [unrolled: 51-line block ×3, first 2 shown]
	s_or_b64 exec, exec, s[0:1]
	v_or_b32_e32 v13, 0x400, v0
	v_cmp_gt_u32_e32 vcc, s18, v13
	s_and_saveexec_b64 s[0:1], vcc
	s_cbranch_execz .LBB1380_283
; %bb.275:
	v_cmp_le_u32_e32 vcc, v2, v13
	s_and_saveexec_b64 s[2:3], vcc
	s_xor_b64 s[2:3], exec, s[2:3]
	s_cbranch_execz .LBB1380_281
; %bb.276:
	v_cmp_le_u32_e32 vcc, v12, v13
	s_and_saveexec_b64 s[4:5], vcc
	s_xor_b64 s[4:5], exec, s[4:5]
	s_cbranch_execz .LBB1380_278
; %bb.277:
	v_lshlrev_b32_e32 v13, 2, v0
	ds_read_b32 v13, v13 offset:4096
	v_add_co_u32_e32 v14, vcc, v1, v0
	v_addc_co_u32_e32 v15, vcc, 0, v4, vcc
	v_lshlrev_b64 v[14:15], 2, v[14:15]
	v_mov_b32_e32 v16, s7
	v_sub_co_u32_e32 v14, vcc, s6, v14
	v_subb_co_u32_e32 v15, vcc, v16, v15, vcc
	s_waitcnt lgkmcnt(0)
	global_store_dword v[14:15], v13, off offset:-4096
                                        ; implicit-def: $vgpr13
.LBB1380_278:
	s_andn2_saveexec_b64 s[4:5], s[4:5]
	s_cbranch_execz .LBB1380_280
; %bb.279:
	v_lshlrev_b32_e32 v14, 2, v0
	ds_read_b32 v14, v14 offset:4096
	v_lshlrev_b32_e32 v13, 2, v13
	v_readfirstlane_b32 s8, v8
	v_readfirstlane_b32 s9, v9
	s_waitcnt lgkmcnt(0)
	s_nop 3
	global_store_dword v13, v14, s[8:9]
.LBB1380_280:
	s_or_b64 exec, exec, s[4:5]
                                        ; implicit-def: $vgpr13
.LBB1380_281:
	s_andn2_saveexec_b64 s[2:3], s[2:3]
	s_cbranch_execz .LBB1380_283
; %bb.282:
	v_lshlrev_b32_e32 v14, 2, v0
	ds_read_b32 v14, v14 offset:4096
	v_lshlrev_b32_e32 v13, 2, v13
	v_readfirstlane_b32 s2, v10
	v_readfirstlane_b32 s3, v11
	s_waitcnt lgkmcnt(0)
	s_nop 3
	global_store_dword v13, v14, s[2:3]
.LBB1380_283:
	s_or_b64 exec, exec, s[0:1]
	v_or_b32_e32 v13, 0x500, v0
	v_cmp_gt_u32_e32 vcc, s18, v13
	s_and_saveexec_b64 s[0:1], vcc
	s_cbranch_execz .LBB1380_292
; %bb.284:
	v_cmp_le_u32_e32 vcc, v2, v13
	s_and_saveexec_b64 s[2:3], vcc
	s_xor_b64 s[2:3], exec, s[2:3]
	s_cbranch_execz .LBB1380_290
; %bb.285:
	v_cmp_le_u32_e32 vcc, v12, v13
	s_and_saveexec_b64 s[4:5], vcc
	s_xor_b64 s[4:5], exec, s[4:5]
	s_cbranch_execz .LBB1380_287
; %bb.286:
	v_add_co_u32_e32 v14, vcc, v1, v13
	v_lshlrev_b32_e32 v13, 2, v0
	ds_read_b32 v13, v13 offset:5120
	v_addc_co_u32_e32 v15, vcc, 0, v4, vcc
	v_lshlrev_b64 v[14:15], 2, v[14:15]
	v_mov_b32_e32 v16, s7
	v_sub_co_u32_e32 v14, vcc, s6, v14
	v_subb_co_u32_e32 v15, vcc, v16, v15, vcc
	s_waitcnt lgkmcnt(0)
	global_store_dword v[14:15], v13, off
                                        ; implicit-def: $vgpr13
.LBB1380_287:
	s_andn2_saveexec_b64 s[4:5], s[4:5]
	s_cbranch_execz .LBB1380_289
; %bb.288:
	v_lshlrev_b32_e32 v14, 2, v0
	ds_read_b32 v14, v14 offset:5120
	v_lshlrev_b32_e32 v13, 2, v13
	v_readfirstlane_b32 s8, v8
	v_readfirstlane_b32 s9, v9
	s_waitcnt lgkmcnt(0)
	s_nop 3
	global_store_dword v13, v14, s[8:9]
.LBB1380_289:
	s_or_b64 exec, exec, s[4:5]
                                        ; implicit-def: $vgpr13
.LBB1380_290:
	s_andn2_saveexec_b64 s[2:3], s[2:3]
	s_cbranch_execz .LBB1380_292
; %bb.291:
	v_lshlrev_b32_e32 v14, 2, v0
	ds_read_b32 v14, v14 offset:5120
	v_lshlrev_b32_e32 v13, 2, v13
	v_readfirstlane_b32 s2, v10
	v_readfirstlane_b32 s3, v11
	s_waitcnt lgkmcnt(0)
	s_nop 3
	global_store_dword v13, v14, s[2:3]
.LBB1380_292:
	s_or_b64 exec, exec, s[0:1]
	v_or_b32_e32 v13, 0x600, v0
	v_cmp_gt_u32_e32 vcc, s18, v13
	s_and_saveexec_b64 s[0:1], vcc
	s_cbranch_execz .LBB1380_301
; %bb.293:
	v_cmp_le_u32_e32 vcc, v2, v13
	s_and_saveexec_b64 s[2:3], vcc
	s_xor_b64 s[2:3], exec, s[2:3]
	s_cbranch_execz .LBB1380_299
; %bb.294:
	v_cmp_le_u32_e32 vcc, v12, v13
	s_and_saveexec_b64 s[4:5], vcc
	s_xor_b64 s[4:5], exec, s[4:5]
	s_cbranch_execz .LBB1380_296
; %bb.295:
	v_add_co_u32_e32 v14, vcc, v1, v13
	v_lshlrev_b32_e32 v13, 2, v0
	ds_read_b32 v13, v13 offset:6144
	v_addc_co_u32_e32 v15, vcc, 0, v4, vcc
	v_lshlrev_b64 v[14:15], 2, v[14:15]
	v_mov_b32_e32 v16, s7
	v_sub_co_u32_e32 v14, vcc, s6, v14
	v_subb_co_u32_e32 v15, vcc, v16, v15, vcc
	s_waitcnt lgkmcnt(0)
	global_store_dword v[14:15], v13, off
                                        ; implicit-def: $vgpr13
.LBB1380_296:
	s_andn2_saveexec_b64 s[4:5], s[4:5]
	s_cbranch_execz .LBB1380_298
; %bb.297:
	v_lshlrev_b32_e32 v14, 2, v0
	ds_read_b32 v14, v14 offset:6144
	v_lshlrev_b32_e32 v13, 2, v13
	v_readfirstlane_b32 s8, v8
	v_readfirstlane_b32 s9, v9
	s_waitcnt lgkmcnt(0)
	s_nop 3
	global_store_dword v13, v14, s[8:9]
.LBB1380_298:
	s_or_b64 exec, exec, s[4:5]
                                        ; implicit-def: $vgpr13
.LBB1380_299:
	s_andn2_saveexec_b64 s[2:3], s[2:3]
	s_cbranch_execz .LBB1380_301
; %bb.300:
	v_lshlrev_b32_e32 v14, 2, v0
	ds_read_b32 v14, v14 offset:6144
	v_lshlrev_b32_e32 v13, 2, v13
	v_readfirstlane_b32 s2, v10
	v_readfirstlane_b32 s3, v11
	s_waitcnt lgkmcnt(0)
	s_nop 3
	global_store_dword v13, v14, s[2:3]
.LBB1380_301:
	;; [unrolled: 55-line block ×7, first 2 shown]
	s_or_b64 exec, exec, s[0:1]
	v_or_b32_e32 v13, 0xc00, v0
	v_cmp_gt_u32_e32 vcc, s18, v13
	s_and_saveexec_b64 s[0:1], vcc
	s_cbranch_execz .LBB1380_355
; %bb.347:
	v_cmp_le_u32_e32 vcc, v2, v13
	s_and_saveexec_b64 s[2:3], vcc
	s_xor_b64 s[2:3], exec, s[2:3]
	s_cbranch_execz .LBB1380_353
; %bb.348:
	v_cmp_le_u32_e32 vcc, v12, v13
	s_and_saveexec_b64 s[4:5], vcc
	s_xor_b64 s[4:5], exec, s[4:5]
	s_cbranch_execz .LBB1380_350
; %bb.349:
	v_add_co_u32_e32 v8, vcc, v1, v13
	v_lshlrev_b32_e32 v1, 2, v0
	ds_read_b32 v1, v1 offset:12288
	v_addc_co_u32_e32 v9, vcc, 0, v4, vcc
	v_lshlrev_b64 v[8:9], 2, v[8:9]
	v_mov_b32_e32 v4, s7
	v_sub_co_u32_e32 v8, vcc, s6, v8
	v_subb_co_u32_e32 v9, vcc, v4, v9, vcc
	s_waitcnt lgkmcnt(0)
	global_store_dword v[8:9], v1, off
                                        ; implicit-def: $vgpr13
                                        ; implicit-def: $vgpr8_vgpr9
.LBB1380_350:
	s_andn2_saveexec_b64 s[4:5], s[4:5]
	s_cbranch_execz .LBB1380_352
; %bb.351:
	v_lshlrev_b32_e32 v1, 2, v0
	ds_read_b32 v1, v1 offset:12288
	v_lshlrev_b32_e32 v4, 2, v13
	v_readfirstlane_b32 s6, v8
	v_readfirstlane_b32 s7, v9
	s_waitcnt lgkmcnt(0)
	s_nop 3
	global_store_dword v4, v1, s[6:7]
.LBB1380_352:
	s_or_b64 exec, exec, s[4:5]
                                        ; implicit-def: $vgpr13
                                        ; implicit-def: $vgpr10_vgpr11
.LBB1380_353:
	s_andn2_saveexec_b64 s[2:3], s[2:3]
	s_cbranch_execz .LBB1380_355
; %bb.354:
	v_lshlrev_b32_e32 v1, 2, v0
	ds_read_b32 v1, v1 offset:12288
	v_lshlrev_b32_e32 v4, 2, v13
	v_readfirstlane_b32 s2, v10
	v_readfirstlane_b32 s3, v11
	s_waitcnt lgkmcnt(0)
	s_nop 3
	global_store_dword v4, v1, s[2:3]
.LBB1380_355:
	s_or_b64 exec, exec, s[0:1]
	v_cmp_eq_u32_e32 vcc, 0, v0
	s_and_b64 s[0:1], vcc, s[30:31]
	s_and_saveexec_b64 s[2:3], s[0:1]
	s_cbranch_execz .LBB1380_132
.LBB1380_356:
	v_add_co_u32_e32 v0, vcc, v6, v2
	v_addc_co_u32_e32 v1, vcc, 0, v7, vcc
	v_mov_b32_e32 v2, s51
	v_add_co_u32_e32 v3, vcc, s50, v3
	v_addc_co_u32_e32 v6, vcc, 0, v2, vcc
	v_add_co_u32_e32 v2, vcc, v3, v5
	v_mov_b32_e32 v4, 0
	v_addc_co_u32_e32 v3, vcc, 0, v6, vcc
	global_store_dwordx4 v4, v[0:3], s[44:45]
	s_endpgm
	.section	.rodata,"a",@progbits
	.p2align	6, 0x0
	.amdhsa_kernel _ZN7rocprim17ROCPRIM_400000_NS6detail17trampoline_kernelINS0_13select_configILj256ELj13ELNS0_17block_load_methodE3ELS4_3ELS4_3ELNS0_20block_scan_algorithmE0ELj4294967295EEENS1_25partition_config_selectorILNS1_17partition_subalgoE4EjNS0_10empty_typeEbEEZZNS1_14partition_implILS8_4ELb0ES6_15HIP_vector_typeIjLj2EENS0_17counting_iteratorIjlEEPS9_SG_NS0_5tupleIJPjSI_NS0_16reverse_iteratorISI_EEEEENSH_IJSG_SG_SG_EEES9_SI_JZNS1_25segmented_radix_sort_implINS0_14default_configELb0EPKfPfPKlPlN2at6native12_GLOBAL__N_18offset_tEEE10hipError_tPvRmT1_PNSt15iterator_traitsIS12_E10value_typeET2_T3_PNS13_IS18_E10value_typeET4_jRbjT5_S1E_jjP12ihipStream_tbEUljE_ZNSN_ISO_Lb0ESQ_SR_ST_SU_SY_EESZ_S10_S11_S12_S16_S17_S18_S1B_S1C_jS1D_jS1E_S1E_jjS1G_bEUljE0_EEESZ_S10_S11_S18_S1C_S1E_T6_T7_T9_mT8_S1G_bDpT10_ENKUlT_T0_E_clISt17integral_constantIbLb1EES1T_IbLb0EEEEDaS1P_S1Q_EUlS1P_E_NS1_11comp_targetILNS1_3genE4ELNS1_11target_archE910ELNS1_3gpuE8ELNS1_3repE0EEENS1_30default_config_static_selectorELNS0_4arch9wavefront6targetE1EEEvS12_
		.amdhsa_group_segment_fixed_size 13340
		.amdhsa_private_segment_fixed_size 0
		.amdhsa_kernarg_size 176
		.amdhsa_user_sgpr_count 6
		.amdhsa_user_sgpr_private_segment_buffer 1
		.amdhsa_user_sgpr_dispatch_ptr 0
		.amdhsa_user_sgpr_queue_ptr 0
		.amdhsa_user_sgpr_kernarg_segment_ptr 1
		.amdhsa_user_sgpr_dispatch_id 0
		.amdhsa_user_sgpr_flat_scratch_init 0
		.amdhsa_user_sgpr_kernarg_preload_length 0
		.amdhsa_user_sgpr_kernarg_preload_offset 0
		.amdhsa_user_sgpr_private_segment_size 0
		.amdhsa_uses_dynamic_stack 0
		.amdhsa_system_sgpr_private_segment_wavefront_offset 0
		.amdhsa_system_sgpr_workgroup_id_x 1
		.amdhsa_system_sgpr_workgroup_id_y 0
		.amdhsa_system_sgpr_workgroup_id_z 0
		.amdhsa_system_sgpr_workgroup_info 0
		.amdhsa_system_vgpr_workitem_id 0
		.amdhsa_next_free_vgpr 102
		.amdhsa_next_free_sgpr 90
		.amdhsa_accum_offset 104
		.amdhsa_reserve_vcc 1
		.amdhsa_reserve_flat_scratch 0
		.amdhsa_float_round_mode_32 0
		.amdhsa_float_round_mode_16_64 0
		.amdhsa_float_denorm_mode_32 3
		.amdhsa_float_denorm_mode_16_64 3
		.amdhsa_dx10_clamp 1
		.amdhsa_ieee_mode 1
		.amdhsa_fp16_overflow 0
		.amdhsa_tg_split 0
		.amdhsa_exception_fp_ieee_invalid_op 0
		.amdhsa_exception_fp_denorm_src 0
		.amdhsa_exception_fp_ieee_div_zero 0
		.amdhsa_exception_fp_ieee_overflow 0
		.amdhsa_exception_fp_ieee_underflow 0
		.amdhsa_exception_fp_ieee_inexact 0
		.amdhsa_exception_int_div_zero 0
	.end_amdhsa_kernel
	.section	.text._ZN7rocprim17ROCPRIM_400000_NS6detail17trampoline_kernelINS0_13select_configILj256ELj13ELNS0_17block_load_methodE3ELS4_3ELS4_3ELNS0_20block_scan_algorithmE0ELj4294967295EEENS1_25partition_config_selectorILNS1_17partition_subalgoE4EjNS0_10empty_typeEbEEZZNS1_14partition_implILS8_4ELb0ES6_15HIP_vector_typeIjLj2EENS0_17counting_iteratorIjlEEPS9_SG_NS0_5tupleIJPjSI_NS0_16reverse_iteratorISI_EEEEENSH_IJSG_SG_SG_EEES9_SI_JZNS1_25segmented_radix_sort_implINS0_14default_configELb0EPKfPfPKlPlN2at6native12_GLOBAL__N_18offset_tEEE10hipError_tPvRmT1_PNSt15iterator_traitsIS12_E10value_typeET2_T3_PNS13_IS18_E10value_typeET4_jRbjT5_S1E_jjP12ihipStream_tbEUljE_ZNSN_ISO_Lb0ESQ_SR_ST_SU_SY_EESZ_S10_S11_S12_S16_S17_S18_S1B_S1C_jS1D_jS1E_S1E_jjS1G_bEUljE0_EEESZ_S10_S11_S18_S1C_S1E_T6_T7_T9_mT8_S1G_bDpT10_ENKUlT_T0_E_clISt17integral_constantIbLb1EES1T_IbLb0EEEEDaS1P_S1Q_EUlS1P_E_NS1_11comp_targetILNS1_3genE4ELNS1_11target_archE910ELNS1_3gpuE8ELNS1_3repE0EEENS1_30default_config_static_selectorELNS0_4arch9wavefront6targetE1EEEvS12_,"axG",@progbits,_ZN7rocprim17ROCPRIM_400000_NS6detail17trampoline_kernelINS0_13select_configILj256ELj13ELNS0_17block_load_methodE3ELS4_3ELS4_3ELNS0_20block_scan_algorithmE0ELj4294967295EEENS1_25partition_config_selectorILNS1_17partition_subalgoE4EjNS0_10empty_typeEbEEZZNS1_14partition_implILS8_4ELb0ES6_15HIP_vector_typeIjLj2EENS0_17counting_iteratorIjlEEPS9_SG_NS0_5tupleIJPjSI_NS0_16reverse_iteratorISI_EEEEENSH_IJSG_SG_SG_EEES9_SI_JZNS1_25segmented_radix_sort_implINS0_14default_configELb0EPKfPfPKlPlN2at6native12_GLOBAL__N_18offset_tEEE10hipError_tPvRmT1_PNSt15iterator_traitsIS12_E10value_typeET2_T3_PNS13_IS18_E10value_typeET4_jRbjT5_S1E_jjP12ihipStream_tbEUljE_ZNSN_ISO_Lb0ESQ_SR_ST_SU_SY_EESZ_S10_S11_S12_S16_S17_S18_S1B_S1C_jS1D_jS1E_S1E_jjS1G_bEUljE0_EEESZ_S10_S11_S18_S1C_S1E_T6_T7_T9_mT8_S1G_bDpT10_ENKUlT_T0_E_clISt17integral_constantIbLb1EES1T_IbLb0EEEEDaS1P_S1Q_EUlS1P_E_NS1_11comp_targetILNS1_3genE4ELNS1_11target_archE910ELNS1_3gpuE8ELNS1_3repE0EEENS1_30default_config_static_selectorELNS0_4arch9wavefront6targetE1EEEvS12_,comdat
.Lfunc_end1380:
	.size	_ZN7rocprim17ROCPRIM_400000_NS6detail17trampoline_kernelINS0_13select_configILj256ELj13ELNS0_17block_load_methodE3ELS4_3ELS4_3ELNS0_20block_scan_algorithmE0ELj4294967295EEENS1_25partition_config_selectorILNS1_17partition_subalgoE4EjNS0_10empty_typeEbEEZZNS1_14partition_implILS8_4ELb0ES6_15HIP_vector_typeIjLj2EENS0_17counting_iteratorIjlEEPS9_SG_NS0_5tupleIJPjSI_NS0_16reverse_iteratorISI_EEEEENSH_IJSG_SG_SG_EEES9_SI_JZNS1_25segmented_radix_sort_implINS0_14default_configELb0EPKfPfPKlPlN2at6native12_GLOBAL__N_18offset_tEEE10hipError_tPvRmT1_PNSt15iterator_traitsIS12_E10value_typeET2_T3_PNS13_IS18_E10value_typeET4_jRbjT5_S1E_jjP12ihipStream_tbEUljE_ZNSN_ISO_Lb0ESQ_SR_ST_SU_SY_EESZ_S10_S11_S12_S16_S17_S18_S1B_S1C_jS1D_jS1E_S1E_jjS1G_bEUljE0_EEESZ_S10_S11_S18_S1C_S1E_T6_T7_T9_mT8_S1G_bDpT10_ENKUlT_T0_E_clISt17integral_constantIbLb1EES1T_IbLb0EEEEDaS1P_S1Q_EUlS1P_E_NS1_11comp_targetILNS1_3genE4ELNS1_11target_archE910ELNS1_3gpuE8ELNS1_3repE0EEENS1_30default_config_static_selectorELNS0_4arch9wavefront6targetE1EEEvS12_, .Lfunc_end1380-_ZN7rocprim17ROCPRIM_400000_NS6detail17trampoline_kernelINS0_13select_configILj256ELj13ELNS0_17block_load_methodE3ELS4_3ELS4_3ELNS0_20block_scan_algorithmE0ELj4294967295EEENS1_25partition_config_selectorILNS1_17partition_subalgoE4EjNS0_10empty_typeEbEEZZNS1_14partition_implILS8_4ELb0ES6_15HIP_vector_typeIjLj2EENS0_17counting_iteratorIjlEEPS9_SG_NS0_5tupleIJPjSI_NS0_16reverse_iteratorISI_EEEEENSH_IJSG_SG_SG_EEES9_SI_JZNS1_25segmented_radix_sort_implINS0_14default_configELb0EPKfPfPKlPlN2at6native12_GLOBAL__N_18offset_tEEE10hipError_tPvRmT1_PNSt15iterator_traitsIS12_E10value_typeET2_T3_PNS13_IS18_E10value_typeET4_jRbjT5_S1E_jjP12ihipStream_tbEUljE_ZNSN_ISO_Lb0ESQ_SR_ST_SU_SY_EESZ_S10_S11_S12_S16_S17_S18_S1B_S1C_jS1D_jS1E_S1E_jjS1G_bEUljE0_EEESZ_S10_S11_S18_S1C_S1E_T6_T7_T9_mT8_S1G_bDpT10_ENKUlT_T0_E_clISt17integral_constantIbLb1EES1T_IbLb0EEEEDaS1P_S1Q_EUlS1P_E_NS1_11comp_targetILNS1_3genE4ELNS1_11target_archE910ELNS1_3gpuE8ELNS1_3repE0EEENS1_30default_config_static_selectorELNS0_4arch9wavefront6targetE1EEEvS12_
                                        ; -- End function
	.section	.AMDGPU.csdata,"",@progbits
; Kernel info:
; codeLenInByte = 13412
; NumSgprs: 94
; NumVgprs: 102
; NumAgprs: 0
; TotalNumVgprs: 102
; ScratchSize: 0
; MemoryBound: 0
; FloatMode: 240
; IeeeMode: 1
; LDSByteSize: 13340 bytes/workgroup (compile time only)
; SGPRBlocks: 11
; VGPRBlocks: 12
; NumSGPRsForWavesPerEU: 94
; NumVGPRsForWavesPerEU: 102
; AccumOffset: 104
; Occupancy: 4
; WaveLimiterHint : 1
; COMPUTE_PGM_RSRC2:SCRATCH_EN: 0
; COMPUTE_PGM_RSRC2:USER_SGPR: 6
; COMPUTE_PGM_RSRC2:TRAP_HANDLER: 0
; COMPUTE_PGM_RSRC2:TGID_X_EN: 1
; COMPUTE_PGM_RSRC2:TGID_Y_EN: 0
; COMPUTE_PGM_RSRC2:TGID_Z_EN: 0
; COMPUTE_PGM_RSRC2:TIDIG_COMP_CNT: 0
; COMPUTE_PGM_RSRC3_GFX90A:ACCUM_OFFSET: 25
; COMPUTE_PGM_RSRC3_GFX90A:TG_SPLIT: 0
	.section	.text._ZN7rocprim17ROCPRIM_400000_NS6detail17trampoline_kernelINS0_13select_configILj256ELj13ELNS0_17block_load_methodE3ELS4_3ELS4_3ELNS0_20block_scan_algorithmE0ELj4294967295EEENS1_25partition_config_selectorILNS1_17partition_subalgoE4EjNS0_10empty_typeEbEEZZNS1_14partition_implILS8_4ELb0ES6_15HIP_vector_typeIjLj2EENS0_17counting_iteratorIjlEEPS9_SG_NS0_5tupleIJPjSI_NS0_16reverse_iteratorISI_EEEEENSH_IJSG_SG_SG_EEES9_SI_JZNS1_25segmented_radix_sort_implINS0_14default_configELb0EPKfPfPKlPlN2at6native12_GLOBAL__N_18offset_tEEE10hipError_tPvRmT1_PNSt15iterator_traitsIS12_E10value_typeET2_T3_PNS13_IS18_E10value_typeET4_jRbjT5_S1E_jjP12ihipStream_tbEUljE_ZNSN_ISO_Lb0ESQ_SR_ST_SU_SY_EESZ_S10_S11_S12_S16_S17_S18_S1B_S1C_jS1D_jS1E_S1E_jjS1G_bEUljE0_EEESZ_S10_S11_S18_S1C_S1E_T6_T7_T9_mT8_S1G_bDpT10_ENKUlT_T0_E_clISt17integral_constantIbLb1EES1T_IbLb0EEEEDaS1P_S1Q_EUlS1P_E_NS1_11comp_targetILNS1_3genE3ELNS1_11target_archE908ELNS1_3gpuE7ELNS1_3repE0EEENS1_30default_config_static_selectorELNS0_4arch9wavefront6targetE1EEEvS12_,"axG",@progbits,_ZN7rocprim17ROCPRIM_400000_NS6detail17trampoline_kernelINS0_13select_configILj256ELj13ELNS0_17block_load_methodE3ELS4_3ELS4_3ELNS0_20block_scan_algorithmE0ELj4294967295EEENS1_25partition_config_selectorILNS1_17partition_subalgoE4EjNS0_10empty_typeEbEEZZNS1_14partition_implILS8_4ELb0ES6_15HIP_vector_typeIjLj2EENS0_17counting_iteratorIjlEEPS9_SG_NS0_5tupleIJPjSI_NS0_16reverse_iteratorISI_EEEEENSH_IJSG_SG_SG_EEES9_SI_JZNS1_25segmented_radix_sort_implINS0_14default_configELb0EPKfPfPKlPlN2at6native12_GLOBAL__N_18offset_tEEE10hipError_tPvRmT1_PNSt15iterator_traitsIS12_E10value_typeET2_T3_PNS13_IS18_E10value_typeET4_jRbjT5_S1E_jjP12ihipStream_tbEUljE_ZNSN_ISO_Lb0ESQ_SR_ST_SU_SY_EESZ_S10_S11_S12_S16_S17_S18_S1B_S1C_jS1D_jS1E_S1E_jjS1G_bEUljE0_EEESZ_S10_S11_S18_S1C_S1E_T6_T7_T9_mT8_S1G_bDpT10_ENKUlT_T0_E_clISt17integral_constantIbLb1EES1T_IbLb0EEEEDaS1P_S1Q_EUlS1P_E_NS1_11comp_targetILNS1_3genE3ELNS1_11target_archE908ELNS1_3gpuE7ELNS1_3repE0EEENS1_30default_config_static_selectorELNS0_4arch9wavefront6targetE1EEEvS12_,comdat
	.globl	_ZN7rocprim17ROCPRIM_400000_NS6detail17trampoline_kernelINS0_13select_configILj256ELj13ELNS0_17block_load_methodE3ELS4_3ELS4_3ELNS0_20block_scan_algorithmE0ELj4294967295EEENS1_25partition_config_selectorILNS1_17partition_subalgoE4EjNS0_10empty_typeEbEEZZNS1_14partition_implILS8_4ELb0ES6_15HIP_vector_typeIjLj2EENS0_17counting_iteratorIjlEEPS9_SG_NS0_5tupleIJPjSI_NS0_16reverse_iteratorISI_EEEEENSH_IJSG_SG_SG_EEES9_SI_JZNS1_25segmented_radix_sort_implINS0_14default_configELb0EPKfPfPKlPlN2at6native12_GLOBAL__N_18offset_tEEE10hipError_tPvRmT1_PNSt15iterator_traitsIS12_E10value_typeET2_T3_PNS13_IS18_E10value_typeET4_jRbjT5_S1E_jjP12ihipStream_tbEUljE_ZNSN_ISO_Lb0ESQ_SR_ST_SU_SY_EESZ_S10_S11_S12_S16_S17_S18_S1B_S1C_jS1D_jS1E_S1E_jjS1G_bEUljE0_EEESZ_S10_S11_S18_S1C_S1E_T6_T7_T9_mT8_S1G_bDpT10_ENKUlT_T0_E_clISt17integral_constantIbLb1EES1T_IbLb0EEEEDaS1P_S1Q_EUlS1P_E_NS1_11comp_targetILNS1_3genE3ELNS1_11target_archE908ELNS1_3gpuE7ELNS1_3repE0EEENS1_30default_config_static_selectorELNS0_4arch9wavefront6targetE1EEEvS12_ ; -- Begin function _ZN7rocprim17ROCPRIM_400000_NS6detail17trampoline_kernelINS0_13select_configILj256ELj13ELNS0_17block_load_methodE3ELS4_3ELS4_3ELNS0_20block_scan_algorithmE0ELj4294967295EEENS1_25partition_config_selectorILNS1_17partition_subalgoE4EjNS0_10empty_typeEbEEZZNS1_14partition_implILS8_4ELb0ES6_15HIP_vector_typeIjLj2EENS0_17counting_iteratorIjlEEPS9_SG_NS0_5tupleIJPjSI_NS0_16reverse_iteratorISI_EEEEENSH_IJSG_SG_SG_EEES9_SI_JZNS1_25segmented_radix_sort_implINS0_14default_configELb0EPKfPfPKlPlN2at6native12_GLOBAL__N_18offset_tEEE10hipError_tPvRmT1_PNSt15iterator_traitsIS12_E10value_typeET2_T3_PNS13_IS18_E10value_typeET4_jRbjT5_S1E_jjP12ihipStream_tbEUljE_ZNSN_ISO_Lb0ESQ_SR_ST_SU_SY_EESZ_S10_S11_S12_S16_S17_S18_S1B_S1C_jS1D_jS1E_S1E_jjS1G_bEUljE0_EEESZ_S10_S11_S18_S1C_S1E_T6_T7_T9_mT8_S1G_bDpT10_ENKUlT_T0_E_clISt17integral_constantIbLb1EES1T_IbLb0EEEEDaS1P_S1Q_EUlS1P_E_NS1_11comp_targetILNS1_3genE3ELNS1_11target_archE908ELNS1_3gpuE7ELNS1_3repE0EEENS1_30default_config_static_selectorELNS0_4arch9wavefront6targetE1EEEvS12_
	.p2align	8
	.type	_ZN7rocprim17ROCPRIM_400000_NS6detail17trampoline_kernelINS0_13select_configILj256ELj13ELNS0_17block_load_methodE3ELS4_3ELS4_3ELNS0_20block_scan_algorithmE0ELj4294967295EEENS1_25partition_config_selectorILNS1_17partition_subalgoE4EjNS0_10empty_typeEbEEZZNS1_14partition_implILS8_4ELb0ES6_15HIP_vector_typeIjLj2EENS0_17counting_iteratorIjlEEPS9_SG_NS0_5tupleIJPjSI_NS0_16reverse_iteratorISI_EEEEENSH_IJSG_SG_SG_EEES9_SI_JZNS1_25segmented_radix_sort_implINS0_14default_configELb0EPKfPfPKlPlN2at6native12_GLOBAL__N_18offset_tEEE10hipError_tPvRmT1_PNSt15iterator_traitsIS12_E10value_typeET2_T3_PNS13_IS18_E10value_typeET4_jRbjT5_S1E_jjP12ihipStream_tbEUljE_ZNSN_ISO_Lb0ESQ_SR_ST_SU_SY_EESZ_S10_S11_S12_S16_S17_S18_S1B_S1C_jS1D_jS1E_S1E_jjS1G_bEUljE0_EEESZ_S10_S11_S18_S1C_S1E_T6_T7_T9_mT8_S1G_bDpT10_ENKUlT_T0_E_clISt17integral_constantIbLb1EES1T_IbLb0EEEEDaS1P_S1Q_EUlS1P_E_NS1_11comp_targetILNS1_3genE3ELNS1_11target_archE908ELNS1_3gpuE7ELNS1_3repE0EEENS1_30default_config_static_selectorELNS0_4arch9wavefront6targetE1EEEvS12_,@function
_ZN7rocprim17ROCPRIM_400000_NS6detail17trampoline_kernelINS0_13select_configILj256ELj13ELNS0_17block_load_methodE3ELS4_3ELS4_3ELNS0_20block_scan_algorithmE0ELj4294967295EEENS1_25partition_config_selectorILNS1_17partition_subalgoE4EjNS0_10empty_typeEbEEZZNS1_14partition_implILS8_4ELb0ES6_15HIP_vector_typeIjLj2EENS0_17counting_iteratorIjlEEPS9_SG_NS0_5tupleIJPjSI_NS0_16reverse_iteratorISI_EEEEENSH_IJSG_SG_SG_EEES9_SI_JZNS1_25segmented_radix_sort_implINS0_14default_configELb0EPKfPfPKlPlN2at6native12_GLOBAL__N_18offset_tEEE10hipError_tPvRmT1_PNSt15iterator_traitsIS12_E10value_typeET2_T3_PNS13_IS18_E10value_typeET4_jRbjT5_S1E_jjP12ihipStream_tbEUljE_ZNSN_ISO_Lb0ESQ_SR_ST_SU_SY_EESZ_S10_S11_S12_S16_S17_S18_S1B_S1C_jS1D_jS1E_S1E_jjS1G_bEUljE0_EEESZ_S10_S11_S18_S1C_S1E_T6_T7_T9_mT8_S1G_bDpT10_ENKUlT_T0_E_clISt17integral_constantIbLb1EES1T_IbLb0EEEEDaS1P_S1Q_EUlS1P_E_NS1_11comp_targetILNS1_3genE3ELNS1_11target_archE908ELNS1_3gpuE7ELNS1_3repE0EEENS1_30default_config_static_selectorELNS0_4arch9wavefront6targetE1EEEvS12_: ; @_ZN7rocprim17ROCPRIM_400000_NS6detail17trampoline_kernelINS0_13select_configILj256ELj13ELNS0_17block_load_methodE3ELS4_3ELS4_3ELNS0_20block_scan_algorithmE0ELj4294967295EEENS1_25partition_config_selectorILNS1_17partition_subalgoE4EjNS0_10empty_typeEbEEZZNS1_14partition_implILS8_4ELb0ES6_15HIP_vector_typeIjLj2EENS0_17counting_iteratorIjlEEPS9_SG_NS0_5tupleIJPjSI_NS0_16reverse_iteratorISI_EEEEENSH_IJSG_SG_SG_EEES9_SI_JZNS1_25segmented_radix_sort_implINS0_14default_configELb0EPKfPfPKlPlN2at6native12_GLOBAL__N_18offset_tEEE10hipError_tPvRmT1_PNSt15iterator_traitsIS12_E10value_typeET2_T3_PNS13_IS18_E10value_typeET4_jRbjT5_S1E_jjP12ihipStream_tbEUljE_ZNSN_ISO_Lb0ESQ_SR_ST_SU_SY_EESZ_S10_S11_S12_S16_S17_S18_S1B_S1C_jS1D_jS1E_S1E_jjS1G_bEUljE0_EEESZ_S10_S11_S18_S1C_S1E_T6_T7_T9_mT8_S1G_bDpT10_ENKUlT_T0_E_clISt17integral_constantIbLb1EES1T_IbLb0EEEEDaS1P_S1Q_EUlS1P_E_NS1_11comp_targetILNS1_3genE3ELNS1_11target_archE908ELNS1_3gpuE7ELNS1_3repE0EEENS1_30default_config_static_selectorELNS0_4arch9wavefront6targetE1EEEvS12_
; %bb.0:
	.section	.rodata,"a",@progbits
	.p2align	6, 0x0
	.amdhsa_kernel _ZN7rocprim17ROCPRIM_400000_NS6detail17trampoline_kernelINS0_13select_configILj256ELj13ELNS0_17block_load_methodE3ELS4_3ELS4_3ELNS0_20block_scan_algorithmE0ELj4294967295EEENS1_25partition_config_selectorILNS1_17partition_subalgoE4EjNS0_10empty_typeEbEEZZNS1_14partition_implILS8_4ELb0ES6_15HIP_vector_typeIjLj2EENS0_17counting_iteratorIjlEEPS9_SG_NS0_5tupleIJPjSI_NS0_16reverse_iteratorISI_EEEEENSH_IJSG_SG_SG_EEES9_SI_JZNS1_25segmented_radix_sort_implINS0_14default_configELb0EPKfPfPKlPlN2at6native12_GLOBAL__N_18offset_tEEE10hipError_tPvRmT1_PNSt15iterator_traitsIS12_E10value_typeET2_T3_PNS13_IS18_E10value_typeET4_jRbjT5_S1E_jjP12ihipStream_tbEUljE_ZNSN_ISO_Lb0ESQ_SR_ST_SU_SY_EESZ_S10_S11_S12_S16_S17_S18_S1B_S1C_jS1D_jS1E_S1E_jjS1G_bEUljE0_EEESZ_S10_S11_S18_S1C_S1E_T6_T7_T9_mT8_S1G_bDpT10_ENKUlT_T0_E_clISt17integral_constantIbLb1EES1T_IbLb0EEEEDaS1P_S1Q_EUlS1P_E_NS1_11comp_targetILNS1_3genE3ELNS1_11target_archE908ELNS1_3gpuE7ELNS1_3repE0EEENS1_30default_config_static_selectorELNS0_4arch9wavefront6targetE1EEEvS12_
		.amdhsa_group_segment_fixed_size 0
		.amdhsa_private_segment_fixed_size 0
		.amdhsa_kernarg_size 176
		.amdhsa_user_sgpr_count 6
		.amdhsa_user_sgpr_private_segment_buffer 1
		.amdhsa_user_sgpr_dispatch_ptr 0
		.amdhsa_user_sgpr_queue_ptr 0
		.amdhsa_user_sgpr_kernarg_segment_ptr 1
		.amdhsa_user_sgpr_dispatch_id 0
		.amdhsa_user_sgpr_flat_scratch_init 0
		.amdhsa_user_sgpr_kernarg_preload_length 0
		.amdhsa_user_sgpr_kernarg_preload_offset 0
		.amdhsa_user_sgpr_private_segment_size 0
		.amdhsa_uses_dynamic_stack 0
		.amdhsa_system_sgpr_private_segment_wavefront_offset 0
		.amdhsa_system_sgpr_workgroup_id_x 1
		.amdhsa_system_sgpr_workgroup_id_y 0
		.amdhsa_system_sgpr_workgroup_id_z 0
		.amdhsa_system_sgpr_workgroup_info 0
		.amdhsa_system_vgpr_workitem_id 0
		.amdhsa_next_free_vgpr 1
		.amdhsa_next_free_sgpr 0
		.amdhsa_accum_offset 4
		.amdhsa_reserve_vcc 0
		.amdhsa_reserve_flat_scratch 0
		.amdhsa_float_round_mode_32 0
		.amdhsa_float_round_mode_16_64 0
		.amdhsa_float_denorm_mode_32 3
		.amdhsa_float_denorm_mode_16_64 3
		.amdhsa_dx10_clamp 1
		.amdhsa_ieee_mode 1
		.amdhsa_fp16_overflow 0
		.amdhsa_tg_split 0
		.amdhsa_exception_fp_ieee_invalid_op 0
		.amdhsa_exception_fp_denorm_src 0
		.amdhsa_exception_fp_ieee_div_zero 0
		.amdhsa_exception_fp_ieee_overflow 0
		.amdhsa_exception_fp_ieee_underflow 0
		.amdhsa_exception_fp_ieee_inexact 0
		.amdhsa_exception_int_div_zero 0
	.end_amdhsa_kernel
	.section	.text._ZN7rocprim17ROCPRIM_400000_NS6detail17trampoline_kernelINS0_13select_configILj256ELj13ELNS0_17block_load_methodE3ELS4_3ELS4_3ELNS0_20block_scan_algorithmE0ELj4294967295EEENS1_25partition_config_selectorILNS1_17partition_subalgoE4EjNS0_10empty_typeEbEEZZNS1_14partition_implILS8_4ELb0ES6_15HIP_vector_typeIjLj2EENS0_17counting_iteratorIjlEEPS9_SG_NS0_5tupleIJPjSI_NS0_16reverse_iteratorISI_EEEEENSH_IJSG_SG_SG_EEES9_SI_JZNS1_25segmented_radix_sort_implINS0_14default_configELb0EPKfPfPKlPlN2at6native12_GLOBAL__N_18offset_tEEE10hipError_tPvRmT1_PNSt15iterator_traitsIS12_E10value_typeET2_T3_PNS13_IS18_E10value_typeET4_jRbjT5_S1E_jjP12ihipStream_tbEUljE_ZNSN_ISO_Lb0ESQ_SR_ST_SU_SY_EESZ_S10_S11_S12_S16_S17_S18_S1B_S1C_jS1D_jS1E_S1E_jjS1G_bEUljE0_EEESZ_S10_S11_S18_S1C_S1E_T6_T7_T9_mT8_S1G_bDpT10_ENKUlT_T0_E_clISt17integral_constantIbLb1EES1T_IbLb0EEEEDaS1P_S1Q_EUlS1P_E_NS1_11comp_targetILNS1_3genE3ELNS1_11target_archE908ELNS1_3gpuE7ELNS1_3repE0EEENS1_30default_config_static_selectorELNS0_4arch9wavefront6targetE1EEEvS12_,"axG",@progbits,_ZN7rocprim17ROCPRIM_400000_NS6detail17trampoline_kernelINS0_13select_configILj256ELj13ELNS0_17block_load_methodE3ELS4_3ELS4_3ELNS0_20block_scan_algorithmE0ELj4294967295EEENS1_25partition_config_selectorILNS1_17partition_subalgoE4EjNS0_10empty_typeEbEEZZNS1_14partition_implILS8_4ELb0ES6_15HIP_vector_typeIjLj2EENS0_17counting_iteratorIjlEEPS9_SG_NS0_5tupleIJPjSI_NS0_16reverse_iteratorISI_EEEEENSH_IJSG_SG_SG_EEES9_SI_JZNS1_25segmented_radix_sort_implINS0_14default_configELb0EPKfPfPKlPlN2at6native12_GLOBAL__N_18offset_tEEE10hipError_tPvRmT1_PNSt15iterator_traitsIS12_E10value_typeET2_T3_PNS13_IS18_E10value_typeET4_jRbjT5_S1E_jjP12ihipStream_tbEUljE_ZNSN_ISO_Lb0ESQ_SR_ST_SU_SY_EESZ_S10_S11_S12_S16_S17_S18_S1B_S1C_jS1D_jS1E_S1E_jjS1G_bEUljE0_EEESZ_S10_S11_S18_S1C_S1E_T6_T7_T9_mT8_S1G_bDpT10_ENKUlT_T0_E_clISt17integral_constantIbLb1EES1T_IbLb0EEEEDaS1P_S1Q_EUlS1P_E_NS1_11comp_targetILNS1_3genE3ELNS1_11target_archE908ELNS1_3gpuE7ELNS1_3repE0EEENS1_30default_config_static_selectorELNS0_4arch9wavefront6targetE1EEEvS12_,comdat
.Lfunc_end1381:
	.size	_ZN7rocprim17ROCPRIM_400000_NS6detail17trampoline_kernelINS0_13select_configILj256ELj13ELNS0_17block_load_methodE3ELS4_3ELS4_3ELNS0_20block_scan_algorithmE0ELj4294967295EEENS1_25partition_config_selectorILNS1_17partition_subalgoE4EjNS0_10empty_typeEbEEZZNS1_14partition_implILS8_4ELb0ES6_15HIP_vector_typeIjLj2EENS0_17counting_iteratorIjlEEPS9_SG_NS0_5tupleIJPjSI_NS0_16reverse_iteratorISI_EEEEENSH_IJSG_SG_SG_EEES9_SI_JZNS1_25segmented_radix_sort_implINS0_14default_configELb0EPKfPfPKlPlN2at6native12_GLOBAL__N_18offset_tEEE10hipError_tPvRmT1_PNSt15iterator_traitsIS12_E10value_typeET2_T3_PNS13_IS18_E10value_typeET4_jRbjT5_S1E_jjP12ihipStream_tbEUljE_ZNSN_ISO_Lb0ESQ_SR_ST_SU_SY_EESZ_S10_S11_S12_S16_S17_S18_S1B_S1C_jS1D_jS1E_S1E_jjS1G_bEUljE0_EEESZ_S10_S11_S18_S1C_S1E_T6_T7_T9_mT8_S1G_bDpT10_ENKUlT_T0_E_clISt17integral_constantIbLb1EES1T_IbLb0EEEEDaS1P_S1Q_EUlS1P_E_NS1_11comp_targetILNS1_3genE3ELNS1_11target_archE908ELNS1_3gpuE7ELNS1_3repE0EEENS1_30default_config_static_selectorELNS0_4arch9wavefront6targetE1EEEvS12_, .Lfunc_end1381-_ZN7rocprim17ROCPRIM_400000_NS6detail17trampoline_kernelINS0_13select_configILj256ELj13ELNS0_17block_load_methodE3ELS4_3ELS4_3ELNS0_20block_scan_algorithmE0ELj4294967295EEENS1_25partition_config_selectorILNS1_17partition_subalgoE4EjNS0_10empty_typeEbEEZZNS1_14partition_implILS8_4ELb0ES6_15HIP_vector_typeIjLj2EENS0_17counting_iteratorIjlEEPS9_SG_NS0_5tupleIJPjSI_NS0_16reverse_iteratorISI_EEEEENSH_IJSG_SG_SG_EEES9_SI_JZNS1_25segmented_radix_sort_implINS0_14default_configELb0EPKfPfPKlPlN2at6native12_GLOBAL__N_18offset_tEEE10hipError_tPvRmT1_PNSt15iterator_traitsIS12_E10value_typeET2_T3_PNS13_IS18_E10value_typeET4_jRbjT5_S1E_jjP12ihipStream_tbEUljE_ZNSN_ISO_Lb0ESQ_SR_ST_SU_SY_EESZ_S10_S11_S12_S16_S17_S18_S1B_S1C_jS1D_jS1E_S1E_jjS1G_bEUljE0_EEESZ_S10_S11_S18_S1C_S1E_T6_T7_T9_mT8_S1G_bDpT10_ENKUlT_T0_E_clISt17integral_constantIbLb1EES1T_IbLb0EEEEDaS1P_S1Q_EUlS1P_E_NS1_11comp_targetILNS1_3genE3ELNS1_11target_archE908ELNS1_3gpuE7ELNS1_3repE0EEENS1_30default_config_static_selectorELNS0_4arch9wavefront6targetE1EEEvS12_
                                        ; -- End function
	.section	.AMDGPU.csdata,"",@progbits
; Kernel info:
; codeLenInByte = 0
; NumSgprs: 4
; NumVgprs: 0
; NumAgprs: 0
; TotalNumVgprs: 0
; ScratchSize: 0
; MemoryBound: 0
; FloatMode: 240
; IeeeMode: 1
; LDSByteSize: 0 bytes/workgroup (compile time only)
; SGPRBlocks: 0
; VGPRBlocks: 0
; NumSGPRsForWavesPerEU: 4
; NumVGPRsForWavesPerEU: 1
; AccumOffset: 4
; Occupancy: 8
; WaveLimiterHint : 0
; COMPUTE_PGM_RSRC2:SCRATCH_EN: 0
; COMPUTE_PGM_RSRC2:USER_SGPR: 6
; COMPUTE_PGM_RSRC2:TRAP_HANDLER: 0
; COMPUTE_PGM_RSRC2:TGID_X_EN: 1
; COMPUTE_PGM_RSRC2:TGID_Y_EN: 0
; COMPUTE_PGM_RSRC2:TGID_Z_EN: 0
; COMPUTE_PGM_RSRC2:TIDIG_COMP_CNT: 0
; COMPUTE_PGM_RSRC3_GFX90A:ACCUM_OFFSET: 0
; COMPUTE_PGM_RSRC3_GFX90A:TG_SPLIT: 0
	.section	.text._ZN7rocprim17ROCPRIM_400000_NS6detail17trampoline_kernelINS0_13select_configILj256ELj13ELNS0_17block_load_methodE3ELS4_3ELS4_3ELNS0_20block_scan_algorithmE0ELj4294967295EEENS1_25partition_config_selectorILNS1_17partition_subalgoE4EjNS0_10empty_typeEbEEZZNS1_14partition_implILS8_4ELb0ES6_15HIP_vector_typeIjLj2EENS0_17counting_iteratorIjlEEPS9_SG_NS0_5tupleIJPjSI_NS0_16reverse_iteratorISI_EEEEENSH_IJSG_SG_SG_EEES9_SI_JZNS1_25segmented_radix_sort_implINS0_14default_configELb0EPKfPfPKlPlN2at6native12_GLOBAL__N_18offset_tEEE10hipError_tPvRmT1_PNSt15iterator_traitsIS12_E10value_typeET2_T3_PNS13_IS18_E10value_typeET4_jRbjT5_S1E_jjP12ihipStream_tbEUljE_ZNSN_ISO_Lb0ESQ_SR_ST_SU_SY_EESZ_S10_S11_S12_S16_S17_S18_S1B_S1C_jS1D_jS1E_S1E_jjS1G_bEUljE0_EEESZ_S10_S11_S18_S1C_S1E_T6_T7_T9_mT8_S1G_bDpT10_ENKUlT_T0_E_clISt17integral_constantIbLb1EES1T_IbLb0EEEEDaS1P_S1Q_EUlS1P_E_NS1_11comp_targetILNS1_3genE2ELNS1_11target_archE906ELNS1_3gpuE6ELNS1_3repE0EEENS1_30default_config_static_selectorELNS0_4arch9wavefront6targetE1EEEvS12_,"axG",@progbits,_ZN7rocprim17ROCPRIM_400000_NS6detail17trampoline_kernelINS0_13select_configILj256ELj13ELNS0_17block_load_methodE3ELS4_3ELS4_3ELNS0_20block_scan_algorithmE0ELj4294967295EEENS1_25partition_config_selectorILNS1_17partition_subalgoE4EjNS0_10empty_typeEbEEZZNS1_14partition_implILS8_4ELb0ES6_15HIP_vector_typeIjLj2EENS0_17counting_iteratorIjlEEPS9_SG_NS0_5tupleIJPjSI_NS0_16reverse_iteratorISI_EEEEENSH_IJSG_SG_SG_EEES9_SI_JZNS1_25segmented_radix_sort_implINS0_14default_configELb0EPKfPfPKlPlN2at6native12_GLOBAL__N_18offset_tEEE10hipError_tPvRmT1_PNSt15iterator_traitsIS12_E10value_typeET2_T3_PNS13_IS18_E10value_typeET4_jRbjT5_S1E_jjP12ihipStream_tbEUljE_ZNSN_ISO_Lb0ESQ_SR_ST_SU_SY_EESZ_S10_S11_S12_S16_S17_S18_S1B_S1C_jS1D_jS1E_S1E_jjS1G_bEUljE0_EEESZ_S10_S11_S18_S1C_S1E_T6_T7_T9_mT8_S1G_bDpT10_ENKUlT_T0_E_clISt17integral_constantIbLb1EES1T_IbLb0EEEEDaS1P_S1Q_EUlS1P_E_NS1_11comp_targetILNS1_3genE2ELNS1_11target_archE906ELNS1_3gpuE6ELNS1_3repE0EEENS1_30default_config_static_selectorELNS0_4arch9wavefront6targetE1EEEvS12_,comdat
	.globl	_ZN7rocprim17ROCPRIM_400000_NS6detail17trampoline_kernelINS0_13select_configILj256ELj13ELNS0_17block_load_methodE3ELS4_3ELS4_3ELNS0_20block_scan_algorithmE0ELj4294967295EEENS1_25partition_config_selectorILNS1_17partition_subalgoE4EjNS0_10empty_typeEbEEZZNS1_14partition_implILS8_4ELb0ES6_15HIP_vector_typeIjLj2EENS0_17counting_iteratorIjlEEPS9_SG_NS0_5tupleIJPjSI_NS0_16reverse_iteratorISI_EEEEENSH_IJSG_SG_SG_EEES9_SI_JZNS1_25segmented_radix_sort_implINS0_14default_configELb0EPKfPfPKlPlN2at6native12_GLOBAL__N_18offset_tEEE10hipError_tPvRmT1_PNSt15iterator_traitsIS12_E10value_typeET2_T3_PNS13_IS18_E10value_typeET4_jRbjT5_S1E_jjP12ihipStream_tbEUljE_ZNSN_ISO_Lb0ESQ_SR_ST_SU_SY_EESZ_S10_S11_S12_S16_S17_S18_S1B_S1C_jS1D_jS1E_S1E_jjS1G_bEUljE0_EEESZ_S10_S11_S18_S1C_S1E_T6_T7_T9_mT8_S1G_bDpT10_ENKUlT_T0_E_clISt17integral_constantIbLb1EES1T_IbLb0EEEEDaS1P_S1Q_EUlS1P_E_NS1_11comp_targetILNS1_3genE2ELNS1_11target_archE906ELNS1_3gpuE6ELNS1_3repE0EEENS1_30default_config_static_selectorELNS0_4arch9wavefront6targetE1EEEvS12_ ; -- Begin function _ZN7rocprim17ROCPRIM_400000_NS6detail17trampoline_kernelINS0_13select_configILj256ELj13ELNS0_17block_load_methodE3ELS4_3ELS4_3ELNS0_20block_scan_algorithmE0ELj4294967295EEENS1_25partition_config_selectorILNS1_17partition_subalgoE4EjNS0_10empty_typeEbEEZZNS1_14partition_implILS8_4ELb0ES6_15HIP_vector_typeIjLj2EENS0_17counting_iteratorIjlEEPS9_SG_NS0_5tupleIJPjSI_NS0_16reverse_iteratorISI_EEEEENSH_IJSG_SG_SG_EEES9_SI_JZNS1_25segmented_radix_sort_implINS0_14default_configELb0EPKfPfPKlPlN2at6native12_GLOBAL__N_18offset_tEEE10hipError_tPvRmT1_PNSt15iterator_traitsIS12_E10value_typeET2_T3_PNS13_IS18_E10value_typeET4_jRbjT5_S1E_jjP12ihipStream_tbEUljE_ZNSN_ISO_Lb0ESQ_SR_ST_SU_SY_EESZ_S10_S11_S12_S16_S17_S18_S1B_S1C_jS1D_jS1E_S1E_jjS1G_bEUljE0_EEESZ_S10_S11_S18_S1C_S1E_T6_T7_T9_mT8_S1G_bDpT10_ENKUlT_T0_E_clISt17integral_constantIbLb1EES1T_IbLb0EEEEDaS1P_S1Q_EUlS1P_E_NS1_11comp_targetILNS1_3genE2ELNS1_11target_archE906ELNS1_3gpuE6ELNS1_3repE0EEENS1_30default_config_static_selectorELNS0_4arch9wavefront6targetE1EEEvS12_
	.p2align	8
	.type	_ZN7rocprim17ROCPRIM_400000_NS6detail17trampoline_kernelINS0_13select_configILj256ELj13ELNS0_17block_load_methodE3ELS4_3ELS4_3ELNS0_20block_scan_algorithmE0ELj4294967295EEENS1_25partition_config_selectorILNS1_17partition_subalgoE4EjNS0_10empty_typeEbEEZZNS1_14partition_implILS8_4ELb0ES6_15HIP_vector_typeIjLj2EENS0_17counting_iteratorIjlEEPS9_SG_NS0_5tupleIJPjSI_NS0_16reverse_iteratorISI_EEEEENSH_IJSG_SG_SG_EEES9_SI_JZNS1_25segmented_radix_sort_implINS0_14default_configELb0EPKfPfPKlPlN2at6native12_GLOBAL__N_18offset_tEEE10hipError_tPvRmT1_PNSt15iterator_traitsIS12_E10value_typeET2_T3_PNS13_IS18_E10value_typeET4_jRbjT5_S1E_jjP12ihipStream_tbEUljE_ZNSN_ISO_Lb0ESQ_SR_ST_SU_SY_EESZ_S10_S11_S12_S16_S17_S18_S1B_S1C_jS1D_jS1E_S1E_jjS1G_bEUljE0_EEESZ_S10_S11_S18_S1C_S1E_T6_T7_T9_mT8_S1G_bDpT10_ENKUlT_T0_E_clISt17integral_constantIbLb1EES1T_IbLb0EEEEDaS1P_S1Q_EUlS1P_E_NS1_11comp_targetILNS1_3genE2ELNS1_11target_archE906ELNS1_3gpuE6ELNS1_3repE0EEENS1_30default_config_static_selectorELNS0_4arch9wavefront6targetE1EEEvS12_,@function
_ZN7rocprim17ROCPRIM_400000_NS6detail17trampoline_kernelINS0_13select_configILj256ELj13ELNS0_17block_load_methodE3ELS4_3ELS4_3ELNS0_20block_scan_algorithmE0ELj4294967295EEENS1_25partition_config_selectorILNS1_17partition_subalgoE4EjNS0_10empty_typeEbEEZZNS1_14partition_implILS8_4ELb0ES6_15HIP_vector_typeIjLj2EENS0_17counting_iteratorIjlEEPS9_SG_NS0_5tupleIJPjSI_NS0_16reverse_iteratorISI_EEEEENSH_IJSG_SG_SG_EEES9_SI_JZNS1_25segmented_radix_sort_implINS0_14default_configELb0EPKfPfPKlPlN2at6native12_GLOBAL__N_18offset_tEEE10hipError_tPvRmT1_PNSt15iterator_traitsIS12_E10value_typeET2_T3_PNS13_IS18_E10value_typeET4_jRbjT5_S1E_jjP12ihipStream_tbEUljE_ZNSN_ISO_Lb0ESQ_SR_ST_SU_SY_EESZ_S10_S11_S12_S16_S17_S18_S1B_S1C_jS1D_jS1E_S1E_jjS1G_bEUljE0_EEESZ_S10_S11_S18_S1C_S1E_T6_T7_T9_mT8_S1G_bDpT10_ENKUlT_T0_E_clISt17integral_constantIbLb1EES1T_IbLb0EEEEDaS1P_S1Q_EUlS1P_E_NS1_11comp_targetILNS1_3genE2ELNS1_11target_archE906ELNS1_3gpuE6ELNS1_3repE0EEENS1_30default_config_static_selectorELNS0_4arch9wavefront6targetE1EEEvS12_: ; @_ZN7rocprim17ROCPRIM_400000_NS6detail17trampoline_kernelINS0_13select_configILj256ELj13ELNS0_17block_load_methodE3ELS4_3ELS4_3ELNS0_20block_scan_algorithmE0ELj4294967295EEENS1_25partition_config_selectorILNS1_17partition_subalgoE4EjNS0_10empty_typeEbEEZZNS1_14partition_implILS8_4ELb0ES6_15HIP_vector_typeIjLj2EENS0_17counting_iteratorIjlEEPS9_SG_NS0_5tupleIJPjSI_NS0_16reverse_iteratorISI_EEEEENSH_IJSG_SG_SG_EEES9_SI_JZNS1_25segmented_radix_sort_implINS0_14default_configELb0EPKfPfPKlPlN2at6native12_GLOBAL__N_18offset_tEEE10hipError_tPvRmT1_PNSt15iterator_traitsIS12_E10value_typeET2_T3_PNS13_IS18_E10value_typeET4_jRbjT5_S1E_jjP12ihipStream_tbEUljE_ZNSN_ISO_Lb0ESQ_SR_ST_SU_SY_EESZ_S10_S11_S12_S16_S17_S18_S1B_S1C_jS1D_jS1E_S1E_jjS1G_bEUljE0_EEESZ_S10_S11_S18_S1C_S1E_T6_T7_T9_mT8_S1G_bDpT10_ENKUlT_T0_E_clISt17integral_constantIbLb1EES1T_IbLb0EEEEDaS1P_S1Q_EUlS1P_E_NS1_11comp_targetILNS1_3genE2ELNS1_11target_archE906ELNS1_3gpuE6ELNS1_3repE0EEENS1_30default_config_static_selectorELNS0_4arch9wavefront6targetE1EEEvS12_
; %bb.0:
	.section	.rodata,"a",@progbits
	.p2align	6, 0x0
	.amdhsa_kernel _ZN7rocprim17ROCPRIM_400000_NS6detail17trampoline_kernelINS0_13select_configILj256ELj13ELNS0_17block_load_methodE3ELS4_3ELS4_3ELNS0_20block_scan_algorithmE0ELj4294967295EEENS1_25partition_config_selectorILNS1_17partition_subalgoE4EjNS0_10empty_typeEbEEZZNS1_14partition_implILS8_4ELb0ES6_15HIP_vector_typeIjLj2EENS0_17counting_iteratorIjlEEPS9_SG_NS0_5tupleIJPjSI_NS0_16reverse_iteratorISI_EEEEENSH_IJSG_SG_SG_EEES9_SI_JZNS1_25segmented_radix_sort_implINS0_14default_configELb0EPKfPfPKlPlN2at6native12_GLOBAL__N_18offset_tEEE10hipError_tPvRmT1_PNSt15iterator_traitsIS12_E10value_typeET2_T3_PNS13_IS18_E10value_typeET4_jRbjT5_S1E_jjP12ihipStream_tbEUljE_ZNSN_ISO_Lb0ESQ_SR_ST_SU_SY_EESZ_S10_S11_S12_S16_S17_S18_S1B_S1C_jS1D_jS1E_S1E_jjS1G_bEUljE0_EEESZ_S10_S11_S18_S1C_S1E_T6_T7_T9_mT8_S1G_bDpT10_ENKUlT_T0_E_clISt17integral_constantIbLb1EES1T_IbLb0EEEEDaS1P_S1Q_EUlS1P_E_NS1_11comp_targetILNS1_3genE2ELNS1_11target_archE906ELNS1_3gpuE6ELNS1_3repE0EEENS1_30default_config_static_selectorELNS0_4arch9wavefront6targetE1EEEvS12_
		.amdhsa_group_segment_fixed_size 0
		.amdhsa_private_segment_fixed_size 0
		.amdhsa_kernarg_size 176
		.amdhsa_user_sgpr_count 6
		.amdhsa_user_sgpr_private_segment_buffer 1
		.amdhsa_user_sgpr_dispatch_ptr 0
		.amdhsa_user_sgpr_queue_ptr 0
		.amdhsa_user_sgpr_kernarg_segment_ptr 1
		.amdhsa_user_sgpr_dispatch_id 0
		.amdhsa_user_sgpr_flat_scratch_init 0
		.amdhsa_user_sgpr_kernarg_preload_length 0
		.amdhsa_user_sgpr_kernarg_preload_offset 0
		.amdhsa_user_sgpr_private_segment_size 0
		.amdhsa_uses_dynamic_stack 0
		.amdhsa_system_sgpr_private_segment_wavefront_offset 0
		.amdhsa_system_sgpr_workgroup_id_x 1
		.amdhsa_system_sgpr_workgroup_id_y 0
		.amdhsa_system_sgpr_workgroup_id_z 0
		.amdhsa_system_sgpr_workgroup_info 0
		.amdhsa_system_vgpr_workitem_id 0
		.amdhsa_next_free_vgpr 1
		.amdhsa_next_free_sgpr 0
		.amdhsa_accum_offset 4
		.amdhsa_reserve_vcc 0
		.amdhsa_reserve_flat_scratch 0
		.amdhsa_float_round_mode_32 0
		.amdhsa_float_round_mode_16_64 0
		.amdhsa_float_denorm_mode_32 3
		.amdhsa_float_denorm_mode_16_64 3
		.amdhsa_dx10_clamp 1
		.amdhsa_ieee_mode 1
		.amdhsa_fp16_overflow 0
		.amdhsa_tg_split 0
		.amdhsa_exception_fp_ieee_invalid_op 0
		.amdhsa_exception_fp_denorm_src 0
		.amdhsa_exception_fp_ieee_div_zero 0
		.amdhsa_exception_fp_ieee_overflow 0
		.amdhsa_exception_fp_ieee_underflow 0
		.amdhsa_exception_fp_ieee_inexact 0
		.amdhsa_exception_int_div_zero 0
	.end_amdhsa_kernel
	.section	.text._ZN7rocprim17ROCPRIM_400000_NS6detail17trampoline_kernelINS0_13select_configILj256ELj13ELNS0_17block_load_methodE3ELS4_3ELS4_3ELNS0_20block_scan_algorithmE0ELj4294967295EEENS1_25partition_config_selectorILNS1_17partition_subalgoE4EjNS0_10empty_typeEbEEZZNS1_14partition_implILS8_4ELb0ES6_15HIP_vector_typeIjLj2EENS0_17counting_iteratorIjlEEPS9_SG_NS0_5tupleIJPjSI_NS0_16reverse_iteratorISI_EEEEENSH_IJSG_SG_SG_EEES9_SI_JZNS1_25segmented_radix_sort_implINS0_14default_configELb0EPKfPfPKlPlN2at6native12_GLOBAL__N_18offset_tEEE10hipError_tPvRmT1_PNSt15iterator_traitsIS12_E10value_typeET2_T3_PNS13_IS18_E10value_typeET4_jRbjT5_S1E_jjP12ihipStream_tbEUljE_ZNSN_ISO_Lb0ESQ_SR_ST_SU_SY_EESZ_S10_S11_S12_S16_S17_S18_S1B_S1C_jS1D_jS1E_S1E_jjS1G_bEUljE0_EEESZ_S10_S11_S18_S1C_S1E_T6_T7_T9_mT8_S1G_bDpT10_ENKUlT_T0_E_clISt17integral_constantIbLb1EES1T_IbLb0EEEEDaS1P_S1Q_EUlS1P_E_NS1_11comp_targetILNS1_3genE2ELNS1_11target_archE906ELNS1_3gpuE6ELNS1_3repE0EEENS1_30default_config_static_selectorELNS0_4arch9wavefront6targetE1EEEvS12_,"axG",@progbits,_ZN7rocprim17ROCPRIM_400000_NS6detail17trampoline_kernelINS0_13select_configILj256ELj13ELNS0_17block_load_methodE3ELS4_3ELS4_3ELNS0_20block_scan_algorithmE0ELj4294967295EEENS1_25partition_config_selectorILNS1_17partition_subalgoE4EjNS0_10empty_typeEbEEZZNS1_14partition_implILS8_4ELb0ES6_15HIP_vector_typeIjLj2EENS0_17counting_iteratorIjlEEPS9_SG_NS0_5tupleIJPjSI_NS0_16reverse_iteratorISI_EEEEENSH_IJSG_SG_SG_EEES9_SI_JZNS1_25segmented_radix_sort_implINS0_14default_configELb0EPKfPfPKlPlN2at6native12_GLOBAL__N_18offset_tEEE10hipError_tPvRmT1_PNSt15iterator_traitsIS12_E10value_typeET2_T3_PNS13_IS18_E10value_typeET4_jRbjT5_S1E_jjP12ihipStream_tbEUljE_ZNSN_ISO_Lb0ESQ_SR_ST_SU_SY_EESZ_S10_S11_S12_S16_S17_S18_S1B_S1C_jS1D_jS1E_S1E_jjS1G_bEUljE0_EEESZ_S10_S11_S18_S1C_S1E_T6_T7_T9_mT8_S1G_bDpT10_ENKUlT_T0_E_clISt17integral_constantIbLb1EES1T_IbLb0EEEEDaS1P_S1Q_EUlS1P_E_NS1_11comp_targetILNS1_3genE2ELNS1_11target_archE906ELNS1_3gpuE6ELNS1_3repE0EEENS1_30default_config_static_selectorELNS0_4arch9wavefront6targetE1EEEvS12_,comdat
.Lfunc_end1382:
	.size	_ZN7rocprim17ROCPRIM_400000_NS6detail17trampoline_kernelINS0_13select_configILj256ELj13ELNS0_17block_load_methodE3ELS4_3ELS4_3ELNS0_20block_scan_algorithmE0ELj4294967295EEENS1_25partition_config_selectorILNS1_17partition_subalgoE4EjNS0_10empty_typeEbEEZZNS1_14partition_implILS8_4ELb0ES6_15HIP_vector_typeIjLj2EENS0_17counting_iteratorIjlEEPS9_SG_NS0_5tupleIJPjSI_NS0_16reverse_iteratorISI_EEEEENSH_IJSG_SG_SG_EEES9_SI_JZNS1_25segmented_radix_sort_implINS0_14default_configELb0EPKfPfPKlPlN2at6native12_GLOBAL__N_18offset_tEEE10hipError_tPvRmT1_PNSt15iterator_traitsIS12_E10value_typeET2_T3_PNS13_IS18_E10value_typeET4_jRbjT5_S1E_jjP12ihipStream_tbEUljE_ZNSN_ISO_Lb0ESQ_SR_ST_SU_SY_EESZ_S10_S11_S12_S16_S17_S18_S1B_S1C_jS1D_jS1E_S1E_jjS1G_bEUljE0_EEESZ_S10_S11_S18_S1C_S1E_T6_T7_T9_mT8_S1G_bDpT10_ENKUlT_T0_E_clISt17integral_constantIbLb1EES1T_IbLb0EEEEDaS1P_S1Q_EUlS1P_E_NS1_11comp_targetILNS1_3genE2ELNS1_11target_archE906ELNS1_3gpuE6ELNS1_3repE0EEENS1_30default_config_static_selectorELNS0_4arch9wavefront6targetE1EEEvS12_, .Lfunc_end1382-_ZN7rocprim17ROCPRIM_400000_NS6detail17trampoline_kernelINS0_13select_configILj256ELj13ELNS0_17block_load_methodE3ELS4_3ELS4_3ELNS0_20block_scan_algorithmE0ELj4294967295EEENS1_25partition_config_selectorILNS1_17partition_subalgoE4EjNS0_10empty_typeEbEEZZNS1_14partition_implILS8_4ELb0ES6_15HIP_vector_typeIjLj2EENS0_17counting_iteratorIjlEEPS9_SG_NS0_5tupleIJPjSI_NS0_16reverse_iteratorISI_EEEEENSH_IJSG_SG_SG_EEES9_SI_JZNS1_25segmented_radix_sort_implINS0_14default_configELb0EPKfPfPKlPlN2at6native12_GLOBAL__N_18offset_tEEE10hipError_tPvRmT1_PNSt15iterator_traitsIS12_E10value_typeET2_T3_PNS13_IS18_E10value_typeET4_jRbjT5_S1E_jjP12ihipStream_tbEUljE_ZNSN_ISO_Lb0ESQ_SR_ST_SU_SY_EESZ_S10_S11_S12_S16_S17_S18_S1B_S1C_jS1D_jS1E_S1E_jjS1G_bEUljE0_EEESZ_S10_S11_S18_S1C_S1E_T6_T7_T9_mT8_S1G_bDpT10_ENKUlT_T0_E_clISt17integral_constantIbLb1EES1T_IbLb0EEEEDaS1P_S1Q_EUlS1P_E_NS1_11comp_targetILNS1_3genE2ELNS1_11target_archE906ELNS1_3gpuE6ELNS1_3repE0EEENS1_30default_config_static_selectorELNS0_4arch9wavefront6targetE1EEEvS12_
                                        ; -- End function
	.section	.AMDGPU.csdata,"",@progbits
; Kernel info:
; codeLenInByte = 0
; NumSgprs: 4
; NumVgprs: 0
; NumAgprs: 0
; TotalNumVgprs: 0
; ScratchSize: 0
; MemoryBound: 0
; FloatMode: 240
; IeeeMode: 1
; LDSByteSize: 0 bytes/workgroup (compile time only)
; SGPRBlocks: 0
; VGPRBlocks: 0
; NumSGPRsForWavesPerEU: 4
; NumVGPRsForWavesPerEU: 1
; AccumOffset: 4
; Occupancy: 8
; WaveLimiterHint : 0
; COMPUTE_PGM_RSRC2:SCRATCH_EN: 0
; COMPUTE_PGM_RSRC2:USER_SGPR: 6
; COMPUTE_PGM_RSRC2:TRAP_HANDLER: 0
; COMPUTE_PGM_RSRC2:TGID_X_EN: 1
; COMPUTE_PGM_RSRC2:TGID_Y_EN: 0
; COMPUTE_PGM_RSRC2:TGID_Z_EN: 0
; COMPUTE_PGM_RSRC2:TIDIG_COMP_CNT: 0
; COMPUTE_PGM_RSRC3_GFX90A:ACCUM_OFFSET: 0
; COMPUTE_PGM_RSRC3_GFX90A:TG_SPLIT: 0
	.section	.text._ZN7rocprim17ROCPRIM_400000_NS6detail17trampoline_kernelINS0_13select_configILj256ELj13ELNS0_17block_load_methodE3ELS4_3ELS4_3ELNS0_20block_scan_algorithmE0ELj4294967295EEENS1_25partition_config_selectorILNS1_17partition_subalgoE4EjNS0_10empty_typeEbEEZZNS1_14partition_implILS8_4ELb0ES6_15HIP_vector_typeIjLj2EENS0_17counting_iteratorIjlEEPS9_SG_NS0_5tupleIJPjSI_NS0_16reverse_iteratorISI_EEEEENSH_IJSG_SG_SG_EEES9_SI_JZNS1_25segmented_radix_sort_implINS0_14default_configELb0EPKfPfPKlPlN2at6native12_GLOBAL__N_18offset_tEEE10hipError_tPvRmT1_PNSt15iterator_traitsIS12_E10value_typeET2_T3_PNS13_IS18_E10value_typeET4_jRbjT5_S1E_jjP12ihipStream_tbEUljE_ZNSN_ISO_Lb0ESQ_SR_ST_SU_SY_EESZ_S10_S11_S12_S16_S17_S18_S1B_S1C_jS1D_jS1E_S1E_jjS1G_bEUljE0_EEESZ_S10_S11_S18_S1C_S1E_T6_T7_T9_mT8_S1G_bDpT10_ENKUlT_T0_E_clISt17integral_constantIbLb1EES1T_IbLb0EEEEDaS1P_S1Q_EUlS1P_E_NS1_11comp_targetILNS1_3genE10ELNS1_11target_archE1200ELNS1_3gpuE4ELNS1_3repE0EEENS1_30default_config_static_selectorELNS0_4arch9wavefront6targetE1EEEvS12_,"axG",@progbits,_ZN7rocprim17ROCPRIM_400000_NS6detail17trampoline_kernelINS0_13select_configILj256ELj13ELNS0_17block_load_methodE3ELS4_3ELS4_3ELNS0_20block_scan_algorithmE0ELj4294967295EEENS1_25partition_config_selectorILNS1_17partition_subalgoE4EjNS0_10empty_typeEbEEZZNS1_14partition_implILS8_4ELb0ES6_15HIP_vector_typeIjLj2EENS0_17counting_iteratorIjlEEPS9_SG_NS0_5tupleIJPjSI_NS0_16reverse_iteratorISI_EEEEENSH_IJSG_SG_SG_EEES9_SI_JZNS1_25segmented_radix_sort_implINS0_14default_configELb0EPKfPfPKlPlN2at6native12_GLOBAL__N_18offset_tEEE10hipError_tPvRmT1_PNSt15iterator_traitsIS12_E10value_typeET2_T3_PNS13_IS18_E10value_typeET4_jRbjT5_S1E_jjP12ihipStream_tbEUljE_ZNSN_ISO_Lb0ESQ_SR_ST_SU_SY_EESZ_S10_S11_S12_S16_S17_S18_S1B_S1C_jS1D_jS1E_S1E_jjS1G_bEUljE0_EEESZ_S10_S11_S18_S1C_S1E_T6_T7_T9_mT8_S1G_bDpT10_ENKUlT_T0_E_clISt17integral_constantIbLb1EES1T_IbLb0EEEEDaS1P_S1Q_EUlS1P_E_NS1_11comp_targetILNS1_3genE10ELNS1_11target_archE1200ELNS1_3gpuE4ELNS1_3repE0EEENS1_30default_config_static_selectorELNS0_4arch9wavefront6targetE1EEEvS12_,comdat
	.globl	_ZN7rocprim17ROCPRIM_400000_NS6detail17trampoline_kernelINS0_13select_configILj256ELj13ELNS0_17block_load_methodE3ELS4_3ELS4_3ELNS0_20block_scan_algorithmE0ELj4294967295EEENS1_25partition_config_selectorILNS1_17partition_subalgoE4EjNS0_10empty_typeEbEEZZNS1_14partition_implILS8_4ELb0ES6_15HIP_vector_typeIjLj2EENS0_17counting_iteratorIjlEEPS9_SG_NS0_5tupleIJPjSI_NS0_16reverse_iteratorISI_EEEEENSH_IJSG_SG_SG_EEES9_SI_JZNS1_25segmented_radix_sort_implINS0_14default_configELb0EPKfPfPKlPlN2at6native12_GLOBAL__N_18offset_tEEE10hipError_tPvRmT1_PNSt15iterator_traitsIS12_E10value_typeET2_T3_PNS13_IS18_E10value_typeET4_jRbjT5_S1E_jjP12ihipStream_tbEUljE_ZNSN_ISO_Lb0ESQ_SR_ST_SU_SY_EESZ_S10_S11_S12_S16_S17_S18_S1B_S1C_jS1D_jS1E_S1E_jjS1G_bEUljE0_EEESZ_S10_S11_S18_S1C_S1E_T6_T7_T9_mT8_S1G_bDpT10_ENKUlT_T0_E_clISt17integral_constantIbLb1EES1T_IbLb0EEEEDaS1P_S1Q_EUlS1P_E_NS1_11comp_targetILNS1_3genE10ELNS1_11target_archE1200ELNS1_3gpuE4ELNS1_3repE0EEENS1_30default_config_static_selectorELNS0_4arch9wavefront6targetE1EEEvS12_ ; -- Begin function _ZN7rocprim17ROCPRIM_400000_NS6detail17trampoline_kernelINS0_13select_configILj256ELj13ELNS0_17block_load_methodE3ELS4_3ELS4_3ELNS0_20block_scan_algorithmE0ELj4294967295EEENS1_25partition_config_selectorILNS1_17partition_subalgoE4EjNS0_10empty_typeEbEEZZNS1_14partition_implILS8_4ELb0ES6_15HIP_vector_typeIjLj2EENS0_17counting_iteratorIjlEEPS9_SG_NS0_5tupleIJPjSI_NS0_16reverse_iteratorISI_EEEEENSH_IJSG_SG_SG_EEES9_SI_JZNS1_25segmented_radix_sort_implINS0_14default_configELb0EPKfPfPKlPlN2at6native12_GLOBAL__N_18offset_tEEE10hipError_tPvRmT1_PNSt15iterator_traitsIS12_E10value_typeET2_T3_PNS13_IS18_E10value_typeET4_jRbjT5_S1E_jjP12ihipStream_tbEUljE_ZNSN_ISO_Lb0ESQ_SR_ST_SU_SY_EESZ_S10_S11_S12_S16_S17_S18_S1B_S1C_jS1D_jS1E_S1E_jjS1G_bEUljE0_EEESZ_S10_S11_S18_S1C_S1E_T6_T7_T9_mT8_S1G_bDpT10_ENKUlT_T0_E_clISt17integral_constantIbLb1EES1T_IbLb0EEEEDaS1P_S1Q_EUlS1P_E_NS1_11comp_targetILNS1_3genE10ELNS1_11target_archE1200ELNS1_3gpuE4ELNS1_3repE0EEENS1_30default_config_static_selectorELNS0_4arch9wavefront6targetE1EEEvS12_
	.p2align	8
	.type	_ZN7rocprim17ROCPRIM_400000_NS6detail17trampoline_kernelINS0_13select_configILj256ELj13ELNS0_17block_load_methodE3ELS4_3ELS4_3ELNS0_20block_scan_algorithmE0ELj4294967295EEENS1_25partition_config_selectorILNS1_17partition_subalgoE4EjNS0_10empty_typeEbEEZZNS1_14partition_implILS8_4ELb0ES6_15HIP_vector_typeIjLj2EENS0_17counting_iteratorIjlEEPS9_SG_NS0_5tupleIJPjSI_NS0_16reverse_iteratorISI_EEEEENSH_IJSG_SG_SG_EEES9_SI_JZNS1_25segmented_radix_sort_implINS0_14default_configELb0EPKfPfPKlPlN2at6native12_GLOBAL__N_18offset_tEEE10hipError_tPvRmT1_PNSt15iterator_traitsIS12_E10value_typeET2_T3_PNS13_IS18_E10value_typeET4_jRbjT5_S1E_jjP12ihipStream_tbEUljE_ZNSN_ISO_Lb0ESQ_SR_ST_SU_SY_EESZ_S10_S11_S12_S16_S17_S18_S1B_S1C_jS1D_jS1E_S1E_jjS1G_bEUljE0_EEESZ_S10_S11_S18_S1C_S1E_T6_T7_T9_mT8_S1G_bDpT10_ENKUlT_T0_E_clISt17integral_constantIbLb1EES1T_IbLb0EEEEDaS1P_S1Q_EUlS1P_E_NS1_11comp_targetILNS1_3genE10ELNS1_11target_archE1200ELNS1_3gpuE4ELNS1_3repE0EEENS1_30default_config_static_selectorELNS0_4arch9wavefront6targetE1EEEvS12_,@function
_ZN7rocprim17ROCPRIM_400000_NS6detail17trampoline_kernelINS0_13select_configILj256ELj13ELNS0_17block_load_methodE3ELS4_3ELS4_3ELNS0_20block_scan_algorithmE0ELj4294967295EEENS1_25partition_config_selectorILNS1_17partition_subalgoE4EjNS0_10empty_typeEbEEZZNS1_14partition_implILS8_4ELb0ES6_15HIP_vector_typeIjLj2EENS0_17counting_iteratorIjlEEPS9_SG_NS0_5tupleIJPjSI_NS0_16reverse_iteratorISI_EEEEENSH_IJSG_SG_SG_EEES9_SI_JZNS1_25segmented_radix_sort_implINS0_14default_configELb0EPKfPfPKlPlN2at6native12_GLOBAL__N_18offset_tEEE10hipError_tPvRmT1_PNSt15iterator_traitsIS12_E10value_typeET2_T3_PNS13_IS18_E10value_typeET4_jRbjT5_S1E_jjP12ihipStream_tbEUljE_ZNSN_ISO_Lb0ESQ_SR_ST_SU_SY_EESZ_S10_S11_S12_S16_S17_S18_S1B_S1C_jS1D_jS1E_S1E_jjS1G_bEUljE0_EEESZ_S10_S11_S18_S1C_S1E_T6_T7_T9_mT8_S1G_bDpT10_ENKUlT_T0_E_clISt17integral_constantIbLb1EES1T_IbLb0EEEEDaS1P_S1Q_EUlS1P_E_NS1_11comp_targetILNS1_3genE10ELNS1_11target_archE1200ELNS1_3gpuE4ELNS1_3repE0EEENS1_30default_config_static_selectorELNS0_4arch9wavefront6targetE1EEEvS12_: ; @_ZN7rocprim17ROCPRIM_400000_NS6detail17trampoline_kernelINS0_13select_configILj256ELj13ELNS0_17block_load_methodE3ELS4_3ELS4_3ELNS0_20block_scan_algorithmE0ELj4294967295EEENS1_25partition_config_selectorILNS1_17partition_subalgoE4EjNS0_10empty_typeEbEEZZNS1_14partition_implILS8_4ELb0ES6_15HIP_vector_typeIjLj2EENS0_17counting_iteratorIjlEEPS9_SG_NS0_5tupleIJPjSI_NS0_16reverse_iteratorISI_EEEEENSH_IJSG_SG_SG_EEES9_SI_JZNS1_25segmented_radix_sort_implINS0_14default_configELb0EPKfPfPKlPlN2at6native12_GLOBAL__N_18offset_tEEE10hipError_tPvRmT1_PNSt15iterator_traitsIS12_E10value_typeET2_T3_PNS13_IS18_E10value_typeET4_jRbjT5_S1E_jjP12ihipStream_tbEUljE_ZNSN_ISO_Lb0ESQ_SR_ST_SU_SY_EESZ_S10_S11_S12_S16_S17_S18_S1B_S1C_jS1D_jS1E_S1E_jjS1G_bEUljE0_EEESZ_S10_S11_S18_S1C_S1E_T6_T7_T9_mT8_S1G_bDpT10_ENKUlT_T0_E_clISt17integral_constantIbLb1EES1T_IbLb0EEEEDaS1P_S1Q_EUlS1P_E_NS1_11comp_targetILNS1_3genE10ELNS1_11target_archE1200ELNS1_3gpuE4ELNS1_3repE0EEENS1_30default_config_static_selectorELNS0_4arch9wavefront6targetE1EEEvS12_
; %bb.0:
	.section	.rodata,"a",@progbits
	.p2align	6, 0x0
	.amdhsa_kernel _ZN7rocprim17ROCPRIM_400000_NS6detail17trampoline_kernelINS0_13select_configILj256ELj13ELNS0_17block_load_methodE3ELS4_3ELS4_3ELNS0_20block_scan_algorithmE0ELj4294967295EEENS1_25partition_config_selectorILNS1_17partition_subalgoE4EjNS0_10empty_typeEbEEZZNS1_14partition_implILS8_4ELb0ES6_15HIP_vector_typeIjLj2EENS0_17counting_iteratorIjlEEPS9_SG_NS0_5tupleIJPjSI_NS0_16reverse_iteratorISI_EEEEENSH_IJSG_SG_SG_EEES9_SI_JZNS1_25segmented_radix_sort_implINS0_14default_configELb0EPKfPfPKlPlN2at6native12_GLOBAL__N_18offset_tEEE10hipError_tPvRmT1_PNSt15iterator_traitsIS12_E10value_typeET2_T3_PNS13_IS18_E10value_typeET4_jRbjT5_S1E_jjP12ihipStream_tbEUljE_ZNSN_ISO_Lb0ESQ_SR_ST_SU_SY_EESZ_S10_S11_S12_S16_S17_S18_S1B_S1C_jS1D_jS1E_S1E_jjS1G_bEUljE0_EEESZ_S10_S11_S18_S1C_S1E_T6_T7_T9_mT8_S1G_bDpT10_ENKUlT_T0_E_clISt17integral_constantIbLb1EES1T_IbLb0EEEEDaS1P_S1Q_EUlS1P_E_NS1_11comp_targetILNS1_3genE10ELNS1_11target_archE1200ELNS1_3gpuE4ELNS1_3repE0EEENS1_30default_config_static_selectorELNS0_4arch9wavefront6targetE1EEEvS12_
		.amdhsa_group_segment_fixed_size 0
		.amdhsa_private_segment_fixed_size 0
		.amdhsa_kernarg_size 176
		.amdhsa_user_sgpr_count 6
		.amdhsa_user_sgpr_private_segment_buffer 1
		.amdhsa_user_sgpr_dispatch_ptr 0
		.amdhsa_user_sgpr_queue_ptr 0
		.amdhsa_user_sgpr_kernarg_segment_ptr 1
		.amdhsa_user_sgpr_dispatch_id 0
		.amdhsa_user_sgpr_flat_scratch_init 0
		.amdhsa_user_sgpr_kernarg_preload_length 0
		.amdhsa_user_sgpr_kernarg_preload_offset 0
		.amdhsa_user_sgpr_private_segment_size 0
		.amdhsa_uses_dynamic_stack 0
		.amdhsa_system_sgpr_private_segment_wavefront_offset 0
		.amdhsa_system_sgpr_workgroup_id_x 1
		.amdhsa_system_sgpr_workgroup_id_y 0
		.amdhsa_system_sgpr_workgroup_id_z 0
		.amdhsa_system_sgpr_workgroup_info 0
		.amdhsa_system_vgpr_workitem_id 0
		.amdhsa_next_free_vgpr 1
		.amdhsa_next_free_sgpr 0
		.amdhsa_accum_offset 4
		.amdhsa_reserve_vcc 0
		.amdhsa_reserve_flat_scratch 0
		.amdhsa_float_round_mode_32 0
		.amdhsa_float_round_mode_16_64 0
		.amdhsa_float_denorm_mode_32 3
		.amdhsa_float_denorm_mode_16_64 3
		.amdhsa_dx10_clamp 1
		.amdhsa_ieee_mode 1
		.amdhsa_fp16_overflow 0
		.amdhsa_tg_split 0
		.amdhsa_exception_fp_ieee_invalid_op 0
		.amdhsa_exception_fp_denorm_src 0
		.amdhsa_exception_fp_ieee_div_zero 0
		.amdhsa_exception_fp_ieee_overflow 0
		.amdhsa_exception_fp_ieee_underflow 0
		.amdhsa_exception_fp_ieee_inexact 0
		.amdhsa_exception_int_div_zero 0
	.end_amdhsa_kernel
	.section	.text._ZN7rocprim17ROCPRIM_400000_NS6detail17trampoline_kernelINS0_13select_configILj256ELj13ELNS0_17block_load_methodE3ELS4_3ELS4_3ELNS0_20block_scan_algorithmE0ELj4294967295EEENS1_25partition_config_selectorILNS1_17partition_subalgoE4EjNS0_10empty_typeEbEEZZNS1_14partition_implILS8_4ELb0ES6_15HIP_vector_typeIjLj2EENS0_17counting_iteratorIjlEEPS9_SG_NS0_5tupleIJPjSI_NS0_16reverse_iteratorISI_EEEEENSH_IJSG_SG_SG_EEES9_SI_JZNS1_25segmented_radix_sort_implINS0_14default_configELb0EPKfPfPKlPlN2at6native12_GLOBAL__N_18offset_tEEE10hipError_tPvRmT1_PNSt15iterator_traitsIS12_E10value_typeET2_T3_PNS13_IS18_E10value_typeET4_jRbjT5_S1E_jjP12ihipStream_tbEUljE_ZNSN_ISO_Lb0ESQ_SR_ST_SU_SY_EESZ_S10_S11_S12_S16_S17_S18_S1B_S1C_jS1D_jS1E_S1E_jjS1G_bEUljE0_EEESZ_S10_S11_S18_S1C_S1E_T6_T7_T9_mT8_S1G_bDpT10_ENKUlT_T0_E_clISt17integral_constantIbLb1EES1T_IbLb0EEEEDaS1P_S1Q_EUlS1P_E_NS1_11comp_targetILNS1_3genE10ELNS1_11target_archE1200ELNS1_3gpuE4ELNS1_3repE0EEENS1_30default_config_static_selectorELNS0_4arch9wavefront6targetE1EEEvS12_,"axG",@progbits,_ZN7rocprim17ROCPRIM_400000_NS6detail17trampoline_kernelINS0_13select_configILj256ELj13ELNS0_17block_load_methodE3ELS4_3ELS4_3ELNS0_20block_scan_algorithmE0ELj4294967295EEENS1_25partition_config_selectorILNS1_17partition_subalgoE4EjNS0_10empty_typeEbEEZZNS1_14partition_implILS8_4ELb0ES6_15HIP_vector_typeIjLj2EENS0_17counting_iteratorIjlEEPS9_SG_NS0_5tupleIJPjSI_NS0_16reverse_iteratorISI_EEEEENSH_IJSG_SG_SG_EEES9_SI_JZNS1_25segmented_radix_sort_implINS0_14default_configELb0EPKfPfPKlPlN2at6native12_GLOBAL__N_18offset_tEEE10hipError_tPvRmT1_PNSt15iterator_traitsIS12_E10value_typeET2_T3_PNS13_IS18_E10value_typeET4_jRbjT5_S1E_jjP12ihipStream_tbEUljE_ZNSN_ISO_Lb0ESQ_SR_ST_SU_SY_EESZ_S10_S11_S12_S16_S17_S18_S1B_S1C_jS1D_jS1E_S1E_jjS1G_bEUljE0_EEESZ_S10_S11_S18_S1C_S1E_T6_T7_T9_mT8_S1G_bDpT10_ENKUlT_T0_E_clISt17integral_constantIbLb1EES1T_IbLb0EEEEDaS1P_S1Q_EUlS1P_E_NS1_11comp_targetILNS1_3genE10ELNS1_11target_archE1200ELNS1_3gpuE4ELNS1_3repE0EEENS1_30default_config_static_selectorELNS0_4arch9wavefront6targetE1EEEvS12_,comdat
.Lfunc_end1383:
	.size	_ZN7rocprim17ROCPRIM_400000_NS6detail17trampoline_kernelINS0_13select_configILj256ELj13ELNS0_17block_load_methodE3ELS4_3ELS4_3ELNS0_20block_scan_algorithmE0ELj4294967295EEENS1_25partition_config_selectorILNS1_17partition_subalgoE4EjNS0_10empty_typeEbEEZZNS1_14partition_implILS8_4ELb0ES6_15HIP_vector_typeIjLj2EENS0_17counting_iteratorIjlEEPS9_SG_NS0_5tupleIJPjSI_NS0_16reverse_iteratorISI_EEEEENSH_IJSG_SG_SG_EEES9_SI_JZNS1_25segmented_radix_sort_implINS0_14default_configELb0EPKfPfPKlPlN2at6native12_GLOBAL__N_18offset_tEEE10hipError_tPvRmT1_PNSt15iterator_traitsIS12_E10value_typeET2_T3_PNS13_IS18_E10value_typeET4_jRbjT5_S1E_jjP12ihipStream_tbEUljE_ZNSN_ISO_Lb0ESQ_SR_ST_SU_SY_EESZ_S10_S11_S12_S16_S17_S18_S1B_S1C_jS1D_jS1E_S1E_jjS1G_bEUljE0_EEESZ_S10_S11_S18_S1C_S1E_T6_T7_T9_mT8_S1G_bDpT10_ENKUlT_T0_E_clISt17integral_constantIbLb1EES1T_IbLb0EEEEDaS1P_S1Q_EUlS1P_E_NS1_11comp_targetILNS1_3genE10ELNS1_11target_archE1200ELNS1_3gpuE4ELNS1_3repE0EEENS1_30default_config_static_selectorELNS0_4arch9wavefront6targetE1EEEvS12_, .Lfunc_end1383-_ZN7rocprim17ROCPRIM_400000_NS6detail17trampoline_kernelINS0_13select_configILj256ELj13ELNS0_17block_load_methodE3ELS4_3ELS4_3ELNS0_20block_scan_algorithmE0ELj4294967295EEENS1_25partition_config_selectorILNS1_17partition_subalgoE4EjNS0_10empty_typeEbEEZZNS1_14partition_implILS8_4ELb0ES6_15HIP_vector_typeIjLj2EENS0_17counting_iteratorIjlEEPS9_SG_NS0_5tupleIJPjSI_NS0_16reverse_iteratorISI_EEEEENSH_IJSG_SG_SG_EEES9_SI_JZNS1_25segmented_radix_sort_implINS0_14default_configELb0EPKfPfPKlPlN2at6native12_GLOBAL__N_18offset_tEEE10hipError_tPvRmT1_PNSt15iterator_traitsIS12_E10value_typeET2_T3_PNS13_IS18_E10value_typeET4_jRbjT5_S1E_jjP12ihipStream_tbEUljE_ZNSN_ISO_Lb0ESQ_SR_ST_SU_SY_EESZ_S10_S11_S12_S16_S17_S18_S1B_S1C_jS1D_jS1E_S1E_jjS1G_bEUljE0_EEESZ_S10_S11_S18_S1C_S1E_T6_T7_T9_mT8_S1G_bDpT10_ENKUlT_T0_E_clISt17integral_constantIbLb1EES1T_IbLb0EEEEDaS1P_S1Q_EUlS1P_E_NS1_11comp_targetILNS1_3genE10ELNS1_11target_archE1200ELNS1_3gpuE4ELNS1_3repE0EEENS1_30default_config_static_selectorELNS0_4arch9wavefront6targetE1EEEvS12_
                                        ; -- End function
	.section	.AMDGPU.csdata,"",@progbits
; Kernel info:
; codeLenInByte = 0
; NumSgprs: 4
; NumVgprs: 0
; NumAgprs: 0
; TotalNumVgprs: 0
; ScratchSize: 0
; MemoryBound: 0
; FloatMode: 240
; IeeeMode: 1
; LDSByteSize: 0 bytes/workgroup (compile time only)
; SGPRBlocks: 0
; VGPRBlocks: 0
; NumSGPRsForWavesPerEU: 4
; NumVGPRsForWavesPerEU: 1
; AccumOffset: 4
; Occupancy: 8
; WaveLimiterHint : 0
; COMPUTE_PGM_RSRC2:SCRATCH_EN: 0
; COMPUTE_PGM_RSRC2:USER_SGPR: 6
; COMPUTE_PGM_RSRC2:TRAP_HANDLER: 0
; COMPUTE_PGM_RSRC2:TGID_X_EN: 1
; COMPUTE_PGM_RSRC2:TGID_Y_EN: 0
; COMPUTE_PGM_RSRC2:TGID_Z_EN: 0
; COMPUTE_PGM_RSRC2:TIDIG_COMP_CNT: 0
; COMPUTE_PGM_RSRC3_GFX90A:ACCUM_OFFSET: 0
; COMPUTE_PGM_RSRC3_GFX90A:TG_SPLIT: 0
	.section	.text._ZN7rocprim17ROCPRIM_400000_NS6detail17trampoline_kernelINS0_13select_configILj256ELj13ELNS0_17block_load_methodE3ELS4_3ELS4_3ELNS0_20block_scan_algorithmE0ELj4294967295EEENS1_25partition_config_selectorILNS1_17partition_subalgoE4EjNS0_10empty_typeEbEEZZNS1_14partition_implILS8_4ELb0ES6_15HIP_vector_typeIjLj2EENS0_17counting_iteratorIjlEEPS9_SG_NS0_5tupleIJPjSI_NS0_16reverse_iteratorISI_EEEEENSH_IJSG_SG_SG_EEES9_SI_JZNS1_25segmented_radix_sort_implINS0_14default_configELb0EPKfPfPKlPlN2at6native12_GLOBAL__N_18offset_tEEE10hipError_tPvRmT1_PNSt15iterator_traitsIS12_E10value_typeET2_T3_PNS13_IS18_E10value_typeET4_jRbjT5_S1E_jjP12ihipStream_tbEUljE_ZNSN_ISO_Lb0ESQ_SR_ST_SU_SY_EESZ_S10_S11_S12_S16_S17_S18_S1B_S1C_jS1D_jS1E_S1E_jjS1G_bEUljE0_EEESZ_S10_S11_S18_S1C_S1E_T6_T7_T9_mT8_S1G_bDpT10_ENKUlT_T0_E_clISt17integral_constantIbLb1EES1T_IbLb0EEEEDaS1P_S1Q_EUlS1P_E_NS1_11comp_targetILNS1_3genE9ELNS1_11target_archE1100ELNS1_3gpuE3ELNS1_3repE0EEENS1_30default_config_static_selectorELNS0_4arch9wavefront6targetE1EEEvS12_,"axG",@progbits,_ZN7rocprim17ROCPRIM_400000_NS6detail17trampoline_kernelINS0_13select_configILj256ELj13ELNS0_17block_load_methodE3ELS4_3ELS4_3ELNS0_20block_scan_algorithmE0ELj4294967295EEENS1_25partition_config_selectorILNS1_17partition_subalgoE4EjNS0_10empty_typeEbEEZZNS1_14partition_implILS8_4ELb0ES6_15HIP_vector_typeIjLj2EENS0_17counting_iteratorIjlEEPS9_SG_NS0_5tupleIJPjSI_NS0_16reverse_iteratorISI_EEEEENSH_IJSG_SG_SG_EEES9_SI_JZNS1_25segmented_radix_sort_implINS0_14default_configELb0EPKfPfPKlPlN2at6native12_GLOBAL__N_18offset_tEEE10hipError_tPvRmT1_PNSt15iterator_traitsIS12_E10value_typeET2_T3_PNS13_IS18_E10value_typeET4_jRbjT5_S1E_jjP12ihipStream_tbEUljE_ZNSN_ISO_Lb0ESQ_SR_ST_SU_SY_EESZ_S10_S11_S12_S16_S17_S18_S1B_S1C_jS1D_jS1E_S1E_jjS1G_bEUljE0_EEESZ_S10_S11_S18_S1C_S1E_T6_T7_T9_mT8_S1G_bDpT10_ENKUlT_T0_E_clISt17integral_constantIbLb1EES1T_IbLb0EEEEDaS1P_S1Q_EUlS1P_E_NS1_11comp_targetILNS1_3genE9ELNS1_11target_archE1100ELNS1_3gpuE3ELNS1_3repE0EEENS1_30default_config_static_selectorELNS0_4arch9wavefront6targetE1EEEvS12_,comdat
	.globl	_ZN7rocprim17ROCPRIM_400000_NS6detail17trampoline_kernelINS0_13select_configILj256ELj13ELNS0_17block_load_methodE3ELS4_3ELS4_3ELNS0_20block_scan_algorithmE0ELj4294967295EEENS1_25partition_config_selectorILNS1_17partition_subalgoE4EjNS0_10empty_typeEbEEZZNS1_14partition_implILS8_4ELb0ES6_15HIP_vector_typeIjLj2EENS0_17counting_iteratorIjlEEPS9_SG_NS0_5tupleIJPjSI_NS0_16reverse_iteratorISI_EEEEENSH_IJSG_SG_SG_EEES9_SI_JZNS1_25segmented_radix_sort_implINS0_14default_configELb0EPKfPfPKlPlN2at6native12_GLOBAL__N_18offset_tEEE10hipError_tPvRmT1_PNSt15iterator_traitsIS12_E10value_typeET2_T3_PNS13_IS18_E10value_typeET4_jRbjT5_S1E_jjP12ihipStream_tbEUljE_ZNSN_ISO_Lb0ESQ_SR_ST_SU_SY_EESZ_S10_S11_S12_S16_S17_S18_S1B_S1C_jS1D_jS1E_S1E_jjS1G_bEUljE0_EEESZ_S10_S11_S18_S1C_S1E_T6_T7_T9_mT8_S1G_bDpT10_ENKUlT_T0_E_clISt17integral_constantIbLb1EES1T_IbLb0EEEEDaS1P_S1Q_EUlS1P_E_NS1_11comp_targetILNS1_3genE9ELNS1_11target_archE1100ELNS1_3gpuE3ELNS1_3repE0EEENS1_30default_config_static_selectorELNS0_4arch9wavefront6targetE1EEEvS12_ ; -- Begin function _ZN7rocprim17ROCPRIM_400000_NS6detail17trampoline_kernelINS0_13select_configILj256ELj13ELNS0_17block_load_methodE3ELS4_3ELS4_3ELNS0_20block_scan_algorithmE0ELj4294967295EEENS1_25partition_config_selectorILNS1_17partition_subalgoE4EjNS0_10empty_typeEbEEZZNS1_14partition_implILS8_4ELb0ES6_15HIP_vector_typeIjLj2EENS0_17counting_iteratorIjlEEPS9_SG_NS0_5tupleIJPjSI_NS0_16reverse_iteratorISI_EEEEENSH_IJSG_SG_SG_EEES9_SI_JZNS1_25segmented_radix_sort_implINS0_14default_configELb0EPKfPfPKlPlN2at6native12_GLOBAL__N_18offset_tEEE10hipError_tPvRmT1_PNSt15iterator_traitsIS12_E10value_typeET2_T3_PNS13_IS18_E10value_typeET4_jRbjT5_S1E_jjP12ihipStream_tbEUljE_ZNSN_ISO_Lb0ESQ_SR_ST_SU_SY_EESZ_S10_S11_S12_S16_S17_S18_S1B_S1C_jS1D_jS1E_S1E_jjS1G_bEUljE0_EEESZ_S10_S11_S18_S1C_S1E_T6_T7_T9_mT8_S1G_bDpT10_ENKUlT_T0_E_clISt17integral_constantIbLb1EES1T_IbLb0EEEEDaS1P_S1Q_EUlS1P_E_NS1_11comp_targetILNS1_3genE9ELNS1_11target_archE1100ELNS1_3gpuE3ELNS1_3repE0EEENS1_30default_config_static_selectorELNS0_4arch9wavefront6targetE1EEEvS12_
	.p2align	8
	.type	_ZN7rocprim17ROCPRIM_400000_NS6detail17trampoline_kernelINS0_13select_configILj256ELj13ELNS0_17block_load_methodE3ELS4_3ELS4_3ELNS0_20block_scan_algorithmE0ELj4294967295EEENS1_25partition_config_selectorILNS1_17partition_subalgoE4EjNS0_10empty_typeEbEEZZNS1_14partition_implILS8_4ELb0ES6_15HIP_vector_typeIjLj2EENS0_17counting_iteratorIjlEEPS9_SG_NS0_5tupleIJPjSI_NS0_16reverse_iteratorISI_EEEEENSH_IJSG_SG_SG_EEES9_SI_JZNS1_25segmented_radix_sort_implINS0_14default_configELb0EPKfPfPKlPlN2at6native12_GLOBAL__N_18offset_tEEE10hipError_tPvRmT1_PNSt15iterator_traitsIS12_E10value_typeET2_T3_PNS13_IS18_E10value_typeET4_jRbjT5_S1E_jjP12ihipStream_tbEUljE_ZNSN_ISO_Lb0ESQ_SR_ST_SU_SY_EESZ_S10_S11_S12_S16_S17_S18_S1B_S1C_jS1D_jS1E_S1E_jjS1G_bEUljE0_EEESZ_S10_S11_S18_S1C_S1E_T6_T7_T9_mT8_S1G_bDpT10_ENKUlT_T0_E_clISt17integral_constantIbLb1EES1T_IbLb0EEEEDaS1P_S1Q_EUlS1P_E_NS1_11comp_targetILNS1_3genE9ELNS1_11target_archE1100ELNS1_3gpuE3ELNS1_3repE0EEENS1_30default_config_static_selectorELNS0_4arch9wavefront6targetE1EEEvS12_,@function
_ZN7rocprim17ROCPRIM_400000_NS6detail17trampoline_kernelINS0_13select_configILj256ELj13ELNS0_17block_load_methodE3ELS4_3ELS4_3ELNS0_20block_scan_algorithmE0ELj4294967295EEENS1_25partition_config_selectorILNS1_17partition_subalgoE4EjNS0_10empty_typeEbEEZZNS1_14partition_implILS8_4ELb0ES6_15HIP_vector_typeIjLj2EENS0_17counting_iteratorIjlEEPS9_SG_NS0_5tupleIJPjSI_NS0_16reverse_iteratorISI_EEEEENSH_IJSG_SG_SG_EEES9_SI_JZNS1_25segmented_radix_sort_implINS0_14default_configELb0EPKfPfPKlPlN2at6native12_GLOBAL__N_18offset_tEEE10hipError_tPvRmT1_PNSt15iterator_traitsIS12_E10value_typeET2_T3_PNS13_IS18_E10value_typeET4_jRbjT5_S1E_jjP12ihipStream_tbEUljE_ZNSN_ISO_Lb0ESQ_SR_ST_SU_SY_EESZ_S10_S11_S12_S16_S17_S18_S1B_S1C_jS1D_jS1E_S1E_jjS1G_bEUljE0_EEESZ_S10_S11_S18_S1C_S1E_T6_T7_T9_mT8_S1G_bDpT10_ENKUlT_T0_E_clISt17integral_constantIbLb1EES1T_IbLb0EEEEDaS1P_S1Q_EUlS1P_E_NS1_11comp_targetILNS1_3genE9ELNS1_11target_archE1100ELNS1_3gpuE3ELNS1_3repE0EEENS1_30default_config_static_selectorELNS0_4arch9wavefront6targetE1EEEvS12_: ; @_ZN7rocprim17ROCPRIM_400000_NS6detail17trampoline_kernelINS0_13select_configILj256ELj13ELNS0_17block_load_methodE3ELS4_3ELS4_3ELNS0_20block_scan_algorithmE0ELj4294967295EEENS1_25partition_config_selectorILNS1_17partition_subalgoE4EjNS0_10empty_typeEbEEZZNS1_14partition_implILS8_4ELb0ES6_15HIP_vector_typeIjLj2EENS0_17counting_iteratorIjlEEPS9_SG_NS0_5tupleIJPjSI_NS0_16reverse_iteratorISI_EEEEENSH_IJSG_SG_SG_EEES9_SI_JZNS1_25segmented_radix_sort_implINS0_14default_configELb0EPKfPfPKlPlN2at6native12_GLOBAL__N_18offset_tEEE10hipError_tPvRmT1_PNSt15iterator_traitsIS12_E10value_typeET2_T3_PNS13_IS18_E10value_typeET4_jRbjT5_S1E_jjP12ihipStream_tbEUljE_ZNSN_ISO_Lb0ESQ_SR_ST_SU_SY_EESZ_S10_S11_S12_S16_S17_S18_S1B_S1C_jS1D_jS1E_S1E_jjS1G_bEUljE0_EEESZ_S10_S11_S18_S1C_S1E_T6_T7_T9_mT8_S1G_bDpT10_ENKUlT_T0_E_clISt17integral_constantIbLb1EES1T_IbLb0EEEEDaS1P_S1Q_EUlS1P_E_NS1_11comp_targetILNS1_3genE9ELNS1_11target_archE1100ELNS1_3gpuE3ELNS1_3repE0EEENS1_30default_config_static_selectorELNS0_4arch9wavefront6targetE1EEEvS12_
; %bb.0:
	.section	.rodata,"a",@progbits
	.p2align	6, 0x0
	.amdhsa_kernel _ZN7rocprim17ROCPRIM_400000_NS6detail17trampoline_kernelINS0_13select_configILj256ELj13ELNS0_17block_load_methodE3ELS4_3ELS4_3ELNS0_20block_scan_algorithmE0ELj4294967295EEENS1_25partition_config_selectorILNS1_17partition_subalgoE4EjNS0_10empty_typeEbEEZZNS1_14partition_implILS8_4ELb0ES6_15HIP_vector_typeIjLj2EENS0_17counting_iteratorIjlEEPS9_SG_NS0_5tupleIJPjSI_NS0_16reverse_iteratorISI_EEEEENSH_IJSG_SG_SG_EEES9_SI_JZNS1_25segmented_radix_sort_implINS0_14default_configELb0EPKfPfPKlPlN2at6native12_GLOBAL__N_18offset_tEEE10hipError_tPvRmT1_PNSt15iterator_traitsIS12_E10value_typeET2_T3_PNS13_IS18_E10value_typeET4_jRbjT5_S1E_jjP12ihipStream_tbEUljE_ZNSN_ISO_Lb0ESQ_SR_ST_SU_SY_EESZ_S10_S11_S12_S16_S17_S18_S1B_S1C_jS1D_jS1E_S1E_jjS1G_bEUljE0_EEESZ_S10_S11_S18_S1C_S1E_T6_T7_T9_mT8_S1G_bDpT10_ENKUlT_T0_E_clISt17integral_constantIbLb1EES1T_IbLb0EEEEDaS1P_S1Q_EUlS1P_E_NS1_11comp_targetILNS1_3genE9ELNS1_11target_archE1100ELNS1_3gpuE3ELNS1_3repE0EEENS1_30default_config_static_selectorELNS0_4arch9wavefront6targetE1EEEvS12_
		.amdhsa_group_segment_fixed_size 0
		.amdhsa_private_segment_fixed_size 0
		.amdhsa_kernarg_size 176
		.amdhsa_user_sgpr_count 6
		.amdhsa_user_sgpr_private_segment_buffer 1
		.amdhsa_user_sgpr_dispatch_ptr 0
		.amdhsa_user_sgpr_queue_ptr 0
		.amdhsa_user_sgpr_kernarg_segment_ptr 1
		.amdhsa_user_sgpr_dispatch_id 0
		.amdhsa_user_sgpr_flat_scratch_init 0
		.amdhsa_user_sgpr_kernarg_preload_length 0
		.amdhsa_user_sgpr_kernarg_preload_offset 0
		.amdhsa_user_sgpr_private_segment_size 0
		.amdhsa_uses_dynamic_stack 0
		.amdhsa_system_sgpr_private_segment_wavefront_offset 0
		.amdhsa_system_sgpr_workgroup_id_x 1
		.amdhsa_system_sgpr_workgroup_id_y 0
		.amdhsa_system_sgpr_workgroup_id_z 0
		.amdhsa_system_sgpr_workgroup_info 0
		.amdhsa_system_vgpr_workitem_id 0
		.amdhsa_next_free_vgpr 1
		.amdhsa_next_free_sgpr 0
		.amdhsa_accum_offset 4
		.amdhsa_reserve_vcc 0
		.amdhsa_reserve_flat_scratch 0
		.amdhsa_float_round_mode_32 0
		.amdhsa_float_round_mode_16_64 0
		.amdhsa_float_denorm_mode_32 3
		.amdhsa_float_denorm_mode_16_64 3
		.amdhsa_dx10_clamp 1
		.amdhsa_ieee_mode 1
		.amdhsa_fp16_overflow 0
		.amdhsa_tg_split 0
		.amdhsa_exception_fp_ieee_invalid_op 0
		.amdhsa_exception_fp_denorm_src 0
		.amdhsa_exception_fp_ieee_div_zero 0
		.amdhsa_exception_fp_ieee_overflow 0
		.amdhsa_exception_fp_ieee_underflow 0
		.amdhsa_exception_fp_ieee_inexact 0
		.amdhsa_exception_int_div_zero 0
	.end_amdhsa_kernel
	.section	.text._ZN7rocprim17ROCPRIM_400000_NS6detail17trampoline_kernelINS0_13select_configILj256ELj13ELNS0_17block_load_methodE3ELS4_3ELS4_3ELNS0_20block_scan_algorithmE0ELj4294967295EEENS1_25partition_config_selectorILNS1_17partition_subalgoE4EjNS0_10empty_typeEbEEZZNS1_14partition_implILS8_4ELb0ES6_15HIP_vector_typeIjLj2EENS0_17counting_iteratorIjlEEPS9_SG_NS0_5tupleIJPjSI_NS0_16reverse_iteratorISI_EEEEENSH_IJSG_SG_SG_EEES9_SI_JZNS1_25segmented_radix_sort_implINS0_14default_configELb0EPKfPfPKlPlN2at6native12_GLOBAL__N_18offset_tEEE10hipError_tPvRmT1_PNSt15iterator_traitsIS12_E10value_typeET2_T3_PNS13_IS18_E10value_typeET4_jRbjT5_S1E_jjP12ihipStream_tbEUljE_ZNSN_ISO_Lb0ESQ_SR_ST_SU_SY_EESZ_S10_S11_S12_S16_S17_S18_S1B_S1C_jS1D_jS1E_S1E_jjS1G_bEUljE0_EEESZ_S10_S11_S18_S1C_S1E_T6_T7_T9_mT8_S1G_bDpT10_ENKUlT_T0_E_clISt17integral_constantIbLb1EES1T_IbLb0EEEEDaS1P_S1Q_EUlS1P_E_NS1_11comp_targetILNS1_3genE9ELNS1_11target_archE1100ELNS1_3gpuE3ELNS1_3repE0EEENS1_30default_config_static_selectorELNS0_4arch9wavefront6targetE1EEEvS12_,"axG",@progbits,_ZN7rocprim17ROCPRIM_400000_NS6detail17trampoline_kernelINS0_13select_configILj256ELj13ELNS0_17block_load_methodE3ELS4_3ELS4_3ELNS0_20block_scan_algorithmE0ELj4294967295EEENS1_25partition_config_selectorILNS1_17partition_subalgoE4EjNS0_10empty_typeEbEEZZNS1_14partition_implILS8_4ELb0ES6_15HIP_vector_typeIjLj2EENS0_17counting_iteratorIjlEEPS9_SG_NS0_5tupleIJPjSI_NS0_16reverse_iteratorISI_EEEEENSH_IJSG_SG_SG_EEES9_SI_JZNS1_25segmented_radix_sort_implINS0_14default_configELb0EPKfPfPKlPlN2at6native12_GLOBAL__N_18offset_tEEE10hipError_tPvRmT1_PNSt15iterator_traitsIS12_E10value_typeET2_T3_PNS13_IS18_E10value_typeET4_jRbjT5_S1E_jjP12ihipStream_tbEUljE_ZNSN_ISO_Lb0ESQ_SR_ST_SU_SY_EESZ_S10_S11_S12_S16_S17_S18_S1B_S1C_jS1D_jS1E_S1E_jjS1G_bEUljE0_EEESZ_S10_S11_S18_S1C_S1E_T6_T7_T9_mT8_S1G_bDpT10_ENKUlT_T0_E_clISt17integral_constantIbLb1EES1T_IbLb0EEEEDaS1P_S1Q_EUlS1P_E_NS1_11comp_targetILNS1_3genE9ELNS1_11target_archE1100ELNS1_3gpuE3ELNS1_3repE0EEENS1_30default_config_static_selectorELNS0_4arch9wavefront6targetE1EEEvS12_,comdat
.Lfunc_end1384:
	.size	_ZN7rocprim17ROCPRIM_400000_NS6detail17trampoline_kernelINS0_13select_configILj256ELj13ELNS0_17block_load_methodE3ELS4_3ELS4_3ELNS0_20block_scan_algorithmE0ELj4294967295EEENS1_25partition_config_selectorILNS1_17partition_subalgoE4EjNS0_10empty_typeEbEEZZNS1_14partition_implILS8_4ELb0ES6_15HIP_vector_typeIjLj2EENS0_17counting_iteratorIjlEEPS9_SG_NS0_5tupleIJPjSI_NS0_16reverse_iteratorISI_EEEEENSH_IJSG_SG_SG_EEES9_SI_JZNS1_25segmented_radix_sort_implINS0_14default_configELb0EPKfPfPKlPlN2at6native12_GLOBAL__N_18offset_tEEE10hipError_tPvRmT1_PNSt15iterator_traitsIS12_E10value_typeET2_T3_PNS13_IS18_E10value_typeET4_jRbjT5_S1E_jjP12ihipStream_tbEUljE_ZNSN_ISO_Lb0ESQ_SR_ST_SU_SY_EESZ_S10_S11_S12_S16_S17_S18_S1B_S1C_jS1D_jS1E_S1E_jjS1G_bEUljE0_EEESZ_S10_S11_S18_S1C_S1E_T6_T7_T9_mT8_S1G_bDpT10_ENKUlT_T0_E_clISt17integral_constantIbLb1EES1T_IbLb0EEEEDaS1P_S1Q_EUlS1P_E_NS1_11comp_targetILNS1_3genE9ELNS1_11target_archE1100ELNS1_3gpuE3ELNS1_3repE0EEENS1_30default_config_static_selectorELNS0_4arch9wavefront6targetE1EEEvS12_, .Lfunc_end1384-_ZN7rocprim17ROCPRIM_400000_NS6detail17trampoline_kernelINS0_13select_configILj256ELj13ELNS0_17block_load_methodE3ELS4_3ELS4_3ELNS0_20block_scan_algorithmE0ELj4294967295EEENS1_25partition_config_selectorILNS1_17partition_subalgoE4EjNS0_10empty_typeEbEEZZNS1_14partition_implILS8_4ELb0ES6_15HIP_vector_typeIjLj2EENS0_17counting_iteratorIjlEEPS9_SG_NS0_5tupleIJPjSI_NS0_16reverse_iteratorISI_EEEEENSH_IJSG_SG_SG_EEES9_SI_JZNS1_25segmented_radix_sort_implINS0_14default_configELb0EPKfPfPKlPlN2at6native12_GLOBAL__N_18offset_tEEE10hipError_tPvRmT1_PNSt15iterator_traitsIS12_E10value_typeET2_T3_PNS13_IS18_E10value_typeET4_jRbjT5_S1E_jjP12ihipStream_tbEUljE_ZNSN_ISO_Lb0ESQ_SR_ST_SU_SY_EESZ_S10_S11_S12_S16_S17_S18_S1B_S1C_jS1D_jS1E_S1E_jjS1G_bEUljE0_EEESZ_S10_S11_S18_S1C_S1E_T6_T7_T9_mT8_S1G_bDpT10_ENKUlT_T0_E_clISt17integral_constantIbLb1EES1T_IbLb0EEEEDaS1P_S1Q_EUlS1P_E_NS1_11comp_targetILNS1_3genE9ELNS1_11target_archE1100ELNS1_3gpuE3ELNS1_3repE0EEENS1_30default_config_static_selectorELNS0_4arch9wavefront6targetE1EEEvS12_
                                        ; -- End function
	.section	.AMDGPU.csdata,"",@progbits
; Kernel info:
; codeLenInByte = 0
; NumSgprs: 4
; NumVgprs: 0
; NumAgprs: 0
; TotalNumVgprs: 0
; ScratchSize: 0
; MemoryBound: 0
; FloatMode: 240
; IeeeMode: 1
; LDSByteSize: 0 bytes/workgroup (compile time only)
; SGPRBlocks: 0
; VGPRBlocks: 0
; NumSGPRsForWavesPerEU: 4
; NumVGPRsForWavesPerEU: 1
; AccumOffset: 4
; Occupancy: 8
; WaveLimiterHint : 0
; COMPUTE_PGM_RSRC2:SCRATCH_EN: 0
; COMPUTE_PGM_RSRC2:USER_SGPR: 6
; COMPUTE_PGM_RSRC2:TRAP_HANDLER: 0
; COMPUTE_PGM_RSRC2:TGID_X_EN: 1
; COMPUTE_PGM_RSRC2:TGID_Y_EN: 0
; COMPUTE_PGM_RSRC2:TGID_Z_EN: 0
; COMPUTE_PGM_RSRC2:TIDIG_COMP_CNT: 0
; COMPUTE_PGM_RSRC3_GFX90A:ACCUM_OFFSET: 0
; COMPUTE_PGM_RSRC3_GFX90A:TG_SPLIT: 0
	.section	.text._ZN7rocprim17ROCPRIM_400000_NS6detail17trampoline_kernelINS0_13select_configILj256ELj13ELNS0_17block_load_methodE3ELS4_3ELS4_3ELNS0_20block_scan_algorithmE0ELj4294967295EEENS1_25partition_config_selectorILNS1_17partition_subalgoE4EjNS0_10empty_typeEbEEZZNS1_14partition_implILS8_4ELb0ES6_15HIP_vector_typeIjLj2EENS0_17counting_iteratorIjlEEPS9_SG_NS0_5tupleIJPjSI_NS0_16reverse_iteratorISI_EEEEENSH_IJSG_SG_SG_EEES9_SI_JZNS1_25segmented_radix_sort_implINS0_14default_configELb0EPKfPfPKlPlN2at6native12_GLOBAL__N_18offset_tEEE10hipError_tPvRmT1_PNSt15iterator_traitsIS12_E10value_typeET2_T3_PNS13_IS18_E10value_typeET4_jRbjT5_S1E_jjP12ihipStream_tbEUljE_ZNSN_ISO_Lb0ESQ_SR_ST_SU_SY_EESZ_S10_S11_S12_S16_S17_S18_S1B_S1C_jS1D_jS1E_S1E_jjS1G_bEUljE0_EEESZ_S10_S11_S18_S1C_S1E_T6_T7_T9_mT8_S1G_bDpT10_ENKUlT_T0_E_clISt17integral_constantIbLb1EES1T_IbLb0EEEEDaS1P_S1Q_EUlS1P_E_NS1_11comp_targetILNS1_3genE8ELNS1_11target_archE1030ELNS1_3gpuE2ELNS1_3repE0EEENS1_30default_config_static_selectorELNS0_4arch9wavefront6targetE1EEEvS12_,"axG",@progbits,_ZN7rocprim17ROCPRIM_400000_NS6detail17trampoline_kernelINS0_13select_configILj256ELj13ELNS0_17block_load_methodE3ELS4_3ELS4_3ELNS0_20block_scan_algorithmE0ELj4294967295EEENS1_25partition_config_selectorILNS1_17partition_subalgoE4EjNS0_10empty_typeEbEEZZNS1_14partition_implILS8_4ELb0ES6_15HIP_vector_typeIjLj2EENS0_17counting_iteratorIjlEEPS9_SG_NS0_5tupleIJPjSI_NS0_16reverse_iteratorISI_EEEEENSH_IJSG_SG_SG_EEES9_SI_JZNS1_25segmented_radix_sort_implINS0_14default_configELb0EPKfPfPKlPlN2at6native12_GLOBAL__N_18offset_tEEE10hipError_tPvRmT1_PNSt15iterator_traitsIS12_E10value_typeET2_T3_PNS13_IS18_E10value_typeET4_jRbjT5_S1E_jjP12ihipStream_tbEUljE_ZNSN_ISO_Lb0ESQ_SR_ST_SU_SY_EESZ_S10_S11_S12_S16_S17_S18_S1B_S1C_jS1D_jS1E_S1E_jjS1G_bEUljE0_EEESZ_S10_S11_S18_S1C_S1E_T6_T7_T9_mT8_S1G_bDpT10_ENKUlT_T0_E_clISt17integral_constantIbLb1EES1T_IbLb0EEEEDaS1P_S1Q_EUlS1P_E_NS1_11comp_targetILNS1_3genE8ELNS1_11target_archE1030ELNS1_3gpuE2ELNS1_3repE0EEENS1_30default_config_static_selectorELNS0_4arch9wavefront6targetE1EEEvS12_,comdat
	.globl	_ZN7rocprim17ROCPRIM_400000_NS6detail17trampoline_kernelINS0_13select_configILj256ELj13ELNS0_17block_load_methodE3ELS4_3ELS4_3ELNS0_20block_scan_algorithmE0ELj4294967295EEENS1_25partition_config_selectorILNS1_17partition_subalgoE4EjNS0_10empty_typeEbEEZZNS1_14partition_implILS8_4ELb0ES6_15HIP_vector_typeIjLj2EENS0_17counting_iteratorIjlEEPS9_SG_NS0_5tupleIJPjSI_NS0_16reverse_iteratorISI_EEEEENSH_IJSG_SG_SG_EEES9_SI_JZNS1_25segmented_radix_sort_implINS0_14default_configELb0EPKfPfPKlPlN2at6native12_GLOBAL__N_18offset_tEEE10hipError_tPvRmT1_PNSt15iterator_traitsIS12_E10value_typeET2_T3_PNS13_IS18_E10value_typeET4_jRbjT5_S1E_jjP12ihipStream_tbEUljE_ZNSN_ISO_Lb0ESQ_SR_ST_SU_SY_EESZ_S10_S11_S12_S16_S17_S18_S1B_S1C_jS1D_jS1E_S1E_jjS1G_bEUljE0_EEESZ_S10_S11_S18_S1C_S1E_T6_T7_T9_mT8_S1G_bDpT10_ENKUlT_T0_E_clISt17integral_constantIbLb1EES1T_IbLb0EEEEDaS1P_S1Q_EUlS1P_E_NS1_11comp_targetILNS1_3genE8ELNS1_11target_archE1030ELNS1_3gpuE2ELNS1_3repE0EEENS1_30default_config_static_selectorELNS0_4arch9wavefront6targetE1EEEvS12_ ; -- Begin function _ZN7rocprim17ROCPRIM_400000_NS6detail17trampoline_kernelINS0_13select_configILj256ELj13ELNS0_17block_load_methodE3ELS4_3ELS4_3ELNS0_20block_scan_algorithmE0ELj4294967295EEENS1_25partition_config_selectorILNS1_17partition_subalgoE4EjNS0_10empty_typeEbEEZZNS1_14partition_implILS8_4ELb0ES6_15HIP_vector_typeIjLj2EENS0_17counting_iteratorIjlEEPS9_SG_NS0_5tupleIJPjSI_NS0_16reverse_iteratorISI_EEEEENSH_IJSG_SG_SG_EEES9_SI_JZNS1_25segmented_radix_sort_implINS0_14default_configELb0EPKfPfPKlPlN2at6native12_GLOBAL__N_18offset_tEEE10hipError_tPvRmT1_PNSt15iterator_traitsIS12_E10value_typeET2_T3_PNS13_IS18_E10value_typeET4_jRbjT5_S1E_jjP12ihipStream_tbEUljE_ZNSN_ISO_Lb0ESQ_SR_ST_SU_SY_EESZ_S10_S11_S12_S16_S17_S18_S1B_S1C_jS1D_jS1E_S1E_jjS1G_bEUljE0_EEESZ_S10_S11_S18_S1C_S1E_T6_T7_T9_mT8_S1G_bDpT10_ENKUlT_T0_E_clISt17integral_constantIbLb1EES1T_IbLb0EEEEDaS1P_S1Q_EUlS1P_E_NS1_11comp_targetILNS1_3genE8ELNS1_11target_archE1030ELNS1_3gpuE2ELNS1_3repE0EEENS1_30default_config_static_selectorELNS0_4arch9wavefront6targetE1EEEvS12_
	.p2align	8
	.type	_ZN7rocprim17ROCPRIM_400000_NS6detail17trampoline_kernelINS0_13select_configILj256ELj13ELNS0_17block_load_methodE3ELS4_3ELS4_3ELNS0_20block_scan_algorithmE0ELj4294967295EEENS1_25partition_config_selectorILNS1_17partition_subalgoE4EjNS0_10empty_typeEbEEZZNS1_14partition_implILS8_4ELb0ES6_15HIP_vector_typeIjLj2EENS0_17counting_iteratorIjlEEPS9_SG_NS0_5tupleIJPjSI_NS0_16reverse_iteratorISI_EEEEENSH_IJSG_SG_SG_EEES9_SI_JZNS1_25segmented_radix_sort_implINS0_14default_configELb0EPKfPfPKlPlN2at6native12_GLOBAL__N_18offset_tEEE10hipError_tPvRmT1_PNSt15iterator_traitsIS12_E10value_typeET2_T3_PNS13_IS18_E10value_typeET4_jRbjT5_S1E_jjP12ihipStream_tbEUljE_ZNSN_ISO_Lb0ESQ_SR_ST_SU_SY_EESZ_S10_S11_S12_S16_S17_S18_S1B_S1C_jS1D_jS1E_S1E_jjS1G_bEUljE0_EEESZ_S10_S11_S18_S1C_S1E_T6_T7_T9_mT8_S1G_bDpT10_ENKUlT_T0_E_clISt17integral_constantIbLb1EES1T_IbLb0EEEEDaS1P_S1Q_EUlS1P_E_NS1_11comp_targetILNS1_3genE8ELNS1_11target_archE1030ELNS1_3gpuE2ELNS1_3repE0EEENS1_30default_config_static_selectorELNS0_4arch9wavefront6targetE1EEEvS12_,@function
_ZN7rocprim17ROCPRIM_400000_NS6detail17trampoline_kernelINS0_13select_configILj256ELj13ELNS0_17block_load_methodE3ELS4_3ELS4_3ELNS0_20block_scan_algorithmE0ELj4294967295EEENS1_25partition_config_selectorILNS1_17partition_subalgoE4EjNS0_10empty_typeEbEEZZNS1_14partition_implILS8_4ELb0ES6_15HIP_vector_typeIjLj2EENS0_17counting_iteratorIjlEEPS9_SG_NS0_5tupleIJPjSI_NS0_16reverse_iteratorISI_EEEEENSH_IJSG_SG_SG_EEES9_SI_JZNS1_25segmented_radix_sort_implINS0_14default_configELb0EPKfPfPKlPlN2at6native12_GLOBAL__N_18offset_tEEE10hipError_tPvRmT1_PNSt15iterator_traitsIS12_E10value_typeET2_T3_PNS13_IS18_E10value_typeET4_jRbjT5_S1E_jjP12ihipStream_tbEUljE_ZNSN_ISO_Lb0ESQ_SR_ST_SU_SY_EESZ_S10_S11_S12_S16_S17_S18_S1B_S1C_jS1D_jS1E_S1E_jjS1G_bEUljE0_EEESZ_S10_S11_S18_S1C_S1E_T6_T7_T9_mT8_S1G_bDpT10_ENKUlT_T0_E_clISt17integral_constantIbLb1EES1T_IbLb0EEEEDaS1P_S1Q_EUlS1P_E_NS1_11comp_targetILNS1_3genE8ELNS1_11target_archE1030ELNS1_3gpuE2ELNS1_3repE0EEENS1_30default_config_static_selectorELNS0_4arch9wavefront6targetE1EEEvS12_: ; @_ZN7rocprim17ROCPRIM_400000_NS6detail17trampoline_kernelINS0_13select_configILj256ELj13ELNS0_17block_load_methodE3ELS4_3ELS4_3ELNS0_20block_scan_algorithmE0ELj4294967295EEENS1_25partition_config_selectorILNS1_17partition_subalgoE4EjNS0_10empty_typeEbEEZZNS1_14partition_implILS8_4ELb0ES6_15HIP_vector_typeIjLj2EENS0_17counting_iteratorIjlEEPS9_SG_NS0_5tupleIJPjSI_NS0_16reverse_iteratorISI_EEEEENSH_IJSG_SG_SG_EEES9_SI_JZNS1_25segmented_radix_sort_implINS0_14default_configELb0EPKfPfPKlPlN2at6native12_GLOBAL__N_18offset_tEEE10hipError_tPvRmT1_PNSt15iterator_traitsIS12_E10value_typeET2_T3_PNS13_IS18_E10value_typeET4_jRbjT5_S1E_jjP12ihipStream_tbEUljE_ZNSN_ISO_Lb0ESQ_SR_ST_SU_SY_EESZ_S10_S11_S12_S16_S17_S18_S1B_S1C_jS1D_jS1E_S1E_jjS1G_bEUljE0_EEESZ_S10_S11_S18_S1C_S1E_T6_T7_T9_mT8_S1G_bDpT10_ENKUlT_T0_E_clISt17integral_constantIbLb1EES1T_IbLb0EEEEDaS1P_S1Q_EUlS1P_E_NS1_11comp_targetILNS1_3genE8ELNS1_11target_archE1030ELNS1_3gpuE2ELNS1_3repE0EEENS1_30default_config_static_selectorELNS0_4arch9wavefront6targetE1EEEvS12_
; %bb.0:
	.section	.rodata,"a",@progbits
	.p2align	6, 0x0
	.amdhsa_kernel _ZN7rocprim17ROCPRIM_400000_NS6detail17trampoline_kernelINS0_13select_configILj256ELj13ELNS0_17block_load_methodE3ELS4_3ELS4_3ELNS0_20block_scan_algorithmE0ELj4294967295EEENS1_25partition_config_selectorILNS1_17partition_subalgoE4EjNS0_10empty_typeEbEEZZNS1_14partition_implILS8_4ELb0ES6_15HIP_vector_typeIjLj2EENS0_17counting_iteratorIjlEEPS9_SG_NS0_5tupleIJPjSI_NS0_16reverse_iteratorISI_EEEEENSH_IJSG_SG_SG_EEES9_SI_JZNS1_25segmented_radix_sort_implINS0_14default_configELb0EPKfPfPKlPlN2at6native12_GLOBAL__N_18offset_tEEE10hipError_tPvRmT1_PNSt15iterator_traitsIS12_E10value_typeET2_T3_PNS13_IS18_E10value_typeET4_jRbjT5_S1E_jjP12ihipStream_tbEUljE_ZNSN_ISO_Lb0ESQ_SR_ST_SU_SY_EESZ_S10_S11_S12_S16_S17_S18_S1B_S1C_jS1D_jS1E_S1E_jjS1G_bEUljE0_EEESZ_S10_S11_S18_S1C_S1E_T6_T7_T9_mT8_S1G_bDpT10_ENKUlT_T0_E_clISt17integral_constantIbLb1EES1T_IbLb0EEEEDaS1P_S1Q_EUlS1P_E_NS1_11comp_targetILNS1_3genE8ELNS1_11target_archE1030ELNS1_3gpuE2ELNS1_3repE0EEENS1_30default_config_static_selectorELNS0_4arch9wavefront6targetE1EEEvS12_
		.amdhsa_group_segment_fixed_size 0
		.amdhsa_private_segment_fixed_size 0
		.amdhsa_kernarg_size 176
		.amdhsa_user_sgpr_count 6
		.amdhsa_user_sgpr_private_segment_buffer 1
		.amdhsa_user_sgpr_dispatch_ptr 0
		.amdhsa_user_sgpr_queue_ptr 0
		.amdhsa_user_sgpr_kernarg_segment_ptr 1
		.amdhsa_user_sgpr_dispatch_id 0
		.amdhsa_user_sgpr_flat_scratch_init 0
		.amdhsa_user_sgpr_kernarg_preload_length 0
		.amdhsa_user_sgpr_kernarg_preload_offset 0
		.amdhsa_user_sgpr_private_segment_size 0
		.amdhsa_uses_dynamic_stack 0
		.amdhsa_system_sgpr_private_segment_wavefront_offset 0
		.amdhsa_system_sgpr_workgroup_id_x 1
		.amdhsa_system_sgpr_workgroup_id_y 0
		.amdhsa_system_sgpr_workgroup_id_z 0
		.amdhsa_system_sgpr_workgroup_info 0
		.amdhsa_system_vgpr_workitem_id 0
		.amdhsa_next_free_vgpr 1
		.amdhsa_next_free_sgpr 0
		.amdhsa_accum_offset 4
		.amdhsa_reserve_vcc 0
		.amdhsa_reserve_flat_scratch 0
		.amdhsa_float_round_mode_32 0
		.amdhsa_float_round_mode_16_64 0
		.amdhsa_float_denorm_mode_32 3
		.amdhsa_float_denorm_mode_16_64 3
		.amdhsa_dx10_clamp 1
		.amdhsa_ieee_mode 1
		.amdhsa_fp16_overflow 0
		.amdhsa_tg_split 0
		.amdhsa_exception_fp_ieee_invalid_op 0
		.amdhsa_exception_fp_denorm_src 0
		.amdhsa_exception_fp_ieee_div_zero 0
		.amdhsa_exception_fp_ieee_overflow 0
		.amdhsa_exception_fp_ieee_underflow 0
		.amdhsa_exception_fp_ieee_inexact 0
		.amdhsa_exception_int_div_zero 0
	.end_amdhsa_kernel
	.section	.text._ZN7rocprim17ROCPRIM_400000_NS6detail17trampoline_kernelINS0_13select_configILj256ELj13ELNS0_17block_load_methodE3ELS4_3ELS4_3ELNS0_20block_scan_algorithmE0ELj4294967295EEENS1_25partition_config_selectorILNS1_17partition_subalgoE4EjNS0_10empty_typeEbEEZZNS1_14partition_implILS8_4ELb0ES6_15HIP_vector_typeIjLj2EENS0_17counting_iteratorIjlEEPS9_SG_NS0_5tupleIJPjSI_NS0_16reverse_iteratorISI_EEEEENSH_IJSG_SG_SG_EEES9_SI_JZNS1_25segmented_radix_sort_implINS0_14default_configELb0EPKfPfPKlPlN2at6native12_GLOBAL__N_18offset_tEEE10hipError_tPvRmT1_PNSt15iterator_traitsIS12_E10value_typeET2_T3_PNS13_IS18_E10value_typeET4_jRbjT5_S1E_jjP12ihipStream_tbEUljE_ZNSN_ISO_Lb0ESQ_SR_ST_SU_SY_EESZ_S10_S11_S12_S16_S17_S18_S1B_S1C_jS1D_jS1E_S1E_jjS1G_bEUljE0_EEESZ_S10_S11_S18_S1C_S1E_T6_T7_T9_mT8_S1G_bDpT10_ENKUlT_T0_E_clISt17integral_constantIbLb1EES1T_IbLb0EEEEDaS1P_S1Q_EUlS1P_E_NS1_11comp_targetILNS1_3genE8ELNS1_11target_archE1030ELNS1_3gpuE2ELNS1_3repE0EEENS1_30default_config_static_selectorELNS0_4arch9wavefront6targetE1EEEvS12_,"axG",@progbits,_ZN7rocprim17ROCPRIM_400000_NS6detail17trampoline_kernelINS0_13select_configILj256ELj13ELNS0_17block_load_methodE3ELS4_3ELS4_3ELNS0_20block_scan_algorithmE0ELj4294967295EEENS1_25partition_config_selectorILNS1_17partition_subalgoE4EjNS0_10empty_typeEbEEZZNS1_14partition_implILS8_4ELb0ES6_15HIP_vector_typeIjLj2EENS0_17counting_iteratorIjlEEPS9_SG_NS0_5tupleIJPjSI_NS0_16reverse_iteratorISI_EEEEENSH_IJSG_SG_SG_EEES9_SI_JZNS1_25segmented_radix_sort_implINS0_14default_configELb0EPKfPfPKlPlN2at6native12_GLOBAL__N_18offset_tEEE10hipError_tPvRmT1_PNSt15iterator_traitsIS12_E10value_typeET2_T3_PNS13_IS18_E10value_typeET4_jRbjT5_S1E_jjP12ihipStream_tbEUljE_ZNSN_ISO_Lb0ESQ_SR_ST_SU_SY_EESZ_S10_S11_S12_S16_S17_S18_S1B_S1C_jS1D_jS1E_S1E_jjS1G_bEUljE0_EEESZ_S10_S11_S18_S1C_S1E_T6_T7_T9_mT8_S1G_bDpT10_ENKUlT_T0_E_clISt17integral_constantIbLb1EES1T_IbLb0EEEEDaS1P_S1Q_EUlS1P_E_NS1_11comp_targetILNS1_3genE8ELNS1_11target_archE1030ELNS1_3gpuE2ELNS1_3repE0EEENS1_30default_config_static_selectorELNS0_4arch9wavefront6targetE1EEEvS12_,comdat
.Lfunc_end1385:
	.size	_ZN7rocprim17ROCPRIM_400000_NS6detail17trampoline_kernelINS0_13select_configILj256ELj13ELNS0_17block_load_methodE3ELS4_3ELS4_3ELNS0_20block_scan_algorithmE0ELj4294967295EEENS1_25partition_config_selectorILNS1_17partition_subalgoE4EjNS0_10empty_typeEbEEZZNS1_14partition_implILS8_4ELb0ES6_15HIP_vector_typeIjLj2EENS0_17counting_iteratorIjlEEPS9_SG_NS0_5tupleIJPjSI_NS0_16reverse_iteratorISI_EEEEENSH_IJSG_SG_SG_EEES9_SI_JZNS1_25segmented_radix_sort_implINS0_14default_configELb0EPKfPfPKlPlN2at6native12_GLOBAL__N_18offset_tEEE10hipError_tPvRmT1_PNSt15iterator_traitsIS12_E10value_typeET2_T3_PNS13_IS18_E10value_typeET4_jRbjT5_S1E_jjP12ihipStream_tbEUljE_ZNSN_ISO_Lb0ESQ_SR_ST_SU_SY_EESZ_S10_S11_S12_S16_S17_S18_S1B_S1C_jS1D_jS1E_S1E_jjS1G_bEUljE0_EEESZ_S10_S11_S18_S1C_S1E_T6_T7_T9_mT8_S1G_bDpT10_ENKUlT_T0_E_clISt17integral_constantIbLb1EES1T_IbLb0EEEEDaS1P_S1Q_EUlS1P_E_NS1_11comp_targetILNS1_3genE8ELNS1_11target_archE1030ELNS1_3gpuE2ELNS1_3repE0EEENS1_30default_config_static_selectorELNS0_4arch9wavefront6targetE1EEEvS12_, .Lfunc_end1385-_ZN7rocprim17ROCPRIM_400000_NS6detail17trampoline_kernelINS0_13select_configILj256ELj13ELNS0_17block_load_methodE3ELS4_3ELS4_3ELNS0_20block_scan_algorithmE0ELj4294967295EEENS1_25partition_config_selectorILNS1_17partition_subalgoE4EjNS0_10empty_typeEbEEZZNS1_14partition_implILS8_4ELb0ES6_15HIP_vector_typeIjLj2EENS0_17counting_iteratorIjlEEPS9_SG_NS0_5tupleIJPjSI_NS0_16reverse_iteratorISI_EEEEENSH_IJSG_SG_SG_EEES9_SI_JZNS1_25segmented_radix_sort_implINS0_14default_configELb0EPKfPfPKlPlN2at6native12_GLOBAL__N_18offset_tEEE10hipError_tPvRmT1_PNSt15iterator_traitsIS12_E10value_typeET2_T3_PNS13_IS18_E10value_typeET4_jRbjT5_S1E_jjP12ihipStream_tbEUljE_ZNSN_ISO_Lb0ESQ_SR_ST_SU_SY_EESZ_S10_S11_S12_S16_S17_S18_S1B_S1C_jS1D_jS1E_S1E_jjS1G_bEUljE0_EEESZ_S10_S11_S18_S1C_S1E_T6_T7_T9_mT8_S1G_bDpT10_ENKUlT_T0_E_clISt17integral_constantIbLb1EES1T_IbLb0EEEEDaS1P_S1Q_EUlS1P_E_NS1_11comp_targetILNS1_3genE8ELNS1_11target_archE1030ELNS1_3gpuE2ELNS1_3repE0EEENS1_30default_config_static_selectorELNS0_4arch9wavefront6targetE1EEEvS12_
                                        ; -- End function
	.section	.AMDGPU.csdata,"",@progbits
; Kernel info:
; codeLenInByte = 0
; NumSgprs: 4
; NumVgprs: 0
; NumAgprs: 0
; TotalNumVgprs: 0
; ScratchSize: 0
; MemoryBound: 0
; FloatMode: 240
; IeeeMode: 1
; LDSByteSize: 0 bytes/workgroup (compile time only)
; SGPRBlocks: 0
; VGPRBlocks: 0
; NumSGPRsForWavesPerEU: 4
; NumVGPRsForWavesPerEU: 1
; AccumOffset: 4
; Occupancy: 8
; WaveLimiterHint : 0
; COMPUTE_PGM_RSRC2:SCRATCH_EN: 0
; COMPUTE_PGM_RSRC2:USER_SGPR: 6
; COMPUTE_PGM_RSRC2:TRAP_HANDLER: 0
; COMPUTE_PGM_RSRC2:TGID_X_EN: 1
; COMPUTE_PGM_RSRC2:TGID_Y_EN: 0
; COMPUTE_PGM_RSRC2:TGID_Z_EN: 0
; COMPUTE_PGM_RSRC2:TIDIG_COMP_CNT: 0
; COMPUTE_PGM_RSRC3_GFX90A:ACCUM_OFFSET: 0
; COMPUTE_PGM_RSRC3_GFX90A:TG_SPLIT: 0
	.section	.text._ZN7rocprim17ROCPRIM_400000_NS6detail17trampoline_kernelINS0_13select_configILj256ELj13ELNS0_17block_load_methodE3ELS4_3ELS4_3ELNS0_20block_scan_algorithmE0ELj4294967295EEENS1_25partition_config_selectorILNS1_17partition_subalgoE4EjNS0_10empty_typeEbEEZZNS1_14partition_implILS8_4ELb0ES6_15HIP_vector_typeIjLj2EENS0_17counting_iteratorIjlEEPS9_SG_NS0_5tupleIJPjSI_NS0_16reverse_iteratorISI_EEEEENSH_IJSG_SG_SG_EEES9_SI_JZNS1_25segmented_radix_sort_implINS0_14default_configELb0EPKfPfPKlPlN2at6native12_GLOBAL__N_18offset_tEEE10hipError_tPvRmT1_PNSt15iterator_traitsIS12_E10value_typeET2_T3_PNS13_IS18_E10value_typeET4_jRbjT5_S1E_jjP12ihipStream_tbEUljE_ZNSN_ISO_Lb0ESQ_SR_ST_SU_SY_EESZ_S10_S11_S12_S16_S17_S18_S1B_S1C_jS1D_jS1E_S1E_jjS1G_bEUljE0_EEESZ_S10_S11_S18_S1C_S1E_T6_T7_T9_mT8_S1G_bDpT10_ENKUlT_T0_E_clISt17integral_constantIbLb0EES1T_IbLb1EEEEDaS1P_S1Q_EUlS1P_E_NS1_11comp_targetILNS1_3genE0ELNS1_11target_archE4294967295ELNS1_3gpuE0ELNS1_3repE0EEENS1_30default_config_static_selectorELNS0_4arch9wavefront6targetE1EEEvS12_,"axG",@progbits,_ZN7rocprim17ROCPRIM_400000_NS6detail17trampoline_kernelINS0_13select_configILj256ELj13ELNS0_17block_load_methodE3ELS4_3ELS4_3ELNS0_20block_scan_algorithmE0ELj4294967295EEENS1_25partition_config_selectorILNS1_17partition_subalgoE4EjNS0_10empty_typeEbEEZZNS1_14partition_implILS8_4ELb0ES6_15HIP_vector_typeIjLj2EENS0_17counting_iteratorIjlEEPS9_SG_NS0_5tupleIJPjSI_NS0_16reverse_iteratorISI_EEEEENSH_IJSG_SG_SG_EEES9_SI_JZNS1_25segmented_radix_sort_implINS0_14default_configELb0EPKfPfPKlPlN2at6native12_GLOBAL__N_18offset_tEEE10hipError_tPvRmT1_PNSt15iterator_traitsIS12_E10value_typeET2_T3_PNS13_IS18_E10value_typeET4_jRbjT5_S1E_jjP12ihipStream_tbEUljE_ZNSN_ISO_Lb0ESQ_SR_ST_SU_SY_EESZ_S10_S11_S12_S16_S17_S18_S1B_S1C_jS1D_jS1E_S1E_jjS1G_bEUljE0_EEESZ_S10_S11_S18_S1C_S1E_T6_T7_T9_mT8_S1G_bDpT10_ENKUlT_T0_E_clISt17integral_constantIbLb0EES1T_IbLb1EEEEDaS1P_S1Q_EUlS1P_E_NS1_11comp_targetILNS1_3genE0ELNS1_11target_archE4294967295ELNS1_3gpuE0ELNS1_3repE0EEENS1_30default_config_static_selectorELNS0_4arch9wavefront6targetE1EEEvS12_,comdat
	.globl	_ZN7rocprim17ROCPRIM_400000_NS6detail17trampoline_kernelINS0_13select_configILj256ELj13ELNS0_17block_load_methodE3ELS4_3ELS4_3ELNS0_20block_scan_algorithmE0ELj4294967295EEENS1_25partition_config_selectorILNS1_17partition_subalgoE4EjNS0_10empty_typeEbEEZZNS1_14partition_implILS8_4ELb0ES6_15HIP_vector_typeIjLj2EENS0_17counting_iteratorIjlEEPS9_SG_NS0_5tupleIJPjSI_NS0_16reverse_iteratorISI_EEEEENSH_IJSG_SG_SG_EEES9_SI_JZNS1_25segmented_radix_sort_implINS0_14default_configELb0EPKfPfPKlPlN2at6native12_GLOBAL__N_18offset_tEEE10hipError_tPvRmT1_PNSt15iterator_traitsIS12_E10value_typeET2_T3_PNS13_IS18_E10value_typeET4_jRbjT5_S1E_jjP12ihipStream_tbEUljE_ZNSN_ISO_Lb0ESQ_SR_ST_SU_SY_EESZ_S10_S11_S12_S16_S17_S18_S1B_S1C_jS1D_jS1E_S1E_jjS1G_bEUljE0_EEESZ_S10_S11_S18_S1C_S1E_T6_T7_T9_mT8_S1G_bDpT10_ENKUlT_T0_E_clISt17integral_constantIbLb0EES1T_IbLb1EEEEDaS1P_S1Q_EUlS1P_E_NS1_11comp_targetILNS1_3genE0ELNS1_11target_archE4294967295ELNS1_3gpuE0ELNS1_3repE0EEENS1_30default_config_static_selectorELNS0_4arch9wavefront6targetE1EEEvS12_ ; -- Begin function _ZN7rocprim17ROCPRIM_400000_NS6detail17trampoline_kernelINS0_13select_configILj256ELj13ELNS0_17block_load_methodE3ELS4_3ELS4_3ELNS0_20block_scan_algorithmE0ELj4294967295EEENS1_25partition_config_selectorILNS1_17partition_subalgoE4EjNS0_10empty_typeEbEEZZNS1_14partition_implILS8_4ELb0ES6_15HIP_vector_typeIjLj2EENS0_17counting_iteratorIjlEEPS9_SG_NS0_5tupleIJPjSI_NS0_16reverse_iteratorISI_EEEEENSH_IJSG_SG_SG_EEES9_SI_JZNS1_25segmented_radix_sort_implINS0_14default_configELb0EPKfPfPKlPlN2at6native12_GLOBAL__N_18offset_tEEE10hipError_tPvRmT1_PNSt15iterator_traitsIS12_E10value_typeET2_T3_PNS13_IS18_E10value_typeET4_jRbjT5_S1E_jjP12ihipStream_tbEUljE_ZNSN_ISO_Lb0ESQ_SR_ST_SU_SY_EESZ_S10_S11_S12_S16_S17_S18_S1B_S1C_jS1D_jS1E_S1E_jjS1G_bEUljE0_EEESZ_S10_S11_S18_S1C_S1E_T6_T7_T9_mT8_S1G_bDpT10_ENKUlT_T0_E_clISt17integral_constantIbLb0EES1T_IbLb1EEEEDaS1P_S1Q_EUlS1P_E_NS1_11comp_targetILNS1_3genE0ELNS1_11target_archE4294967295ELNS1_3gpuE0ELNS1_3repE0EEENS1_30default_config_static_selectorELNS0_4arch9wavefront6targetE1EEEvS12_
	.p2align	8
	.type	_ZN7rocprim17ROCPRIM_400000_NS6detail17trampoline_kernelINS0_13select_configILj256ELj13ELNS0_17block_load_methodE3ELS4_3ELS4_3ELNS0_20block_scan_algorithmE0ELj4294967295EEENS1_25partition_config_selectorILNS1_17partition_subalgoE4EjNS0_10empty_typeEbEEZZNS1_14partition_implILS8_4ELb0ES6_15HIP_vector_typeIjLj2EENS0_17counting_iteratorIjlEEPS9_SG_NS0_5tupleIJPjSI_NS0_16reverse_iteratorISI_EEEEENSH_IJSG_SG_SG_EEES9_SI_JZNS1_25segmented_radix_sort_implINS0_14default_configELb0EPKfPfPKlPlN2at6native12_GLOBAL__N_18offset_tEEE10hipError_tPvRmT1_PNSt15iterator_traitsIS12_E10value_typeET2_T3_PNS13_IS18_E10value_typeET4_jRbjT5_S1E_jjP12ihipStream_tbEUljE_ZNSN_ISO_Lb0ESQ_SR_ST_SU_SY_EESZ_S10_S11_S12_S16_S17_S18_S1B_S1C_jS1D_jS1E_S1E_jjS1G_bEUljE0_EEESZ_S10_S11_S18_S1C_S1E_T6_T7_T9_mT8_S1G_bDpT10_ENKUlT_T0_E_clISt17integral_constantIbLb0EES1T_IbLb1EEEEDaS1P_S1Q_EUlS1P_E_NS1_11comp_targetILNS1_3genE0ELNS1_11target_archE4294967295ELNS1_3gpuE0ELNS1_3repE0EEENS1_30default_config_static_selectorELNS0_4arch9wavefront6targetE1EEEvS12_,@function
_ZN7rocprim17ROCPRIM_400000_NS6detail17trampoline_kernelINS0_13select_configILj256ELj13ELNS0_17block_load_methodE3ELS4_3ELS4_3ELNS0_20block_scan_algorithmE0ELj4294967295EEENS1_25partition_config_selectorILNS1_17partition_subalgoE4EjNS0_10empty_typeEbEEZZNS1_14partition_implILS8_4ELb0ES6_15HIP_vector_typeIjLj2EENS0_17counting_iteratorIjlEEPS9_SG_NS0_5tupleIJPjSI_NS0_16reverse_iteratorISI_EEEEENSH_IJSG_SG_SG_EEES9_SI_JZNS1_25segmented_radix_sort_implINS0_14default_configELb0EPKfPfPKlPlN2at6native12_GLOBAL__N_18offset_tEEE10hipError_tPvRmT1_PNSt15iterator_traitsIS12_E10value_typeET2_T3_PNS13_IS18_E10value_typeET4_jRbjT5_S1E_jjP12ihipStream_tbEUljE_ZNSN_ISO_Lb0ESQ_SR_ST_SU_SY_EESZ_S10_S11_S12_S16_S17_S18_S1B_S1C_jS1D_jS1E_S1E_jjS1G_bEUljE0_EEESZ_S10_S11_S18_S1C_S1E_T6_T7_T9_mT8_S1G_bDpT10_ENKUlT_T0_E_clISt17integral_constantIbLb0EES1T_IbLb1EEEEDaS1P_S1Q_EUlS1P_E_NS1_11comp_targetILNS1_3genE0ELNS1_11target_archE4294967295ELNS1_3gpuE0ELNS1_3repE0EEENS1_30default_config_static_selectorELNS0_4arch9wavefront6targetE1EEEvS12_: ; @_ZN7rocprim17ROCPRIM_400000_NS6detail17trampoline_kernelINS0_13select_configILj256ELj13ELNS0_17block_load_methodE3ELS4_3ELS4_3ELNS0_20block_scan_algorithmE0ELj4294967295EEENS1_25partition_config_selectorILNS1_17partition_subalgoE4EjNS0_10empty_typeEbEEZZNS1_14partition_implILS8_4ELb0ES6_15HIP_vector_typeIjLj2EENS0_17counting_iteratorIjlEEPS9_SG_NS0_5tupleIJPjSI_NS0_16reverse_iteratorISI_EEEEENSH_IJSG_SG_SG_EEES9_SI_JZNS1_25segmented_radix_sort_implINS0_14default_configELb0EPKfPfPKlPlN2at6native12_GLOBAL__N_18offset_tEEE10hipError_tPvRmT1_PNSt15iterator_traitsIS12_E10value_typeET2_T3_PNS13_IS18_E10value_typeET4_jRbjT5_S1E_jjP12ihipStream_tbEUljE_ZNSN_ISO_Lb0ESQ_SR_ST_SU_SY_EESZ_S10_S11_S12_S16_S17_S18_S1B_S1C_jS1D_jS1E_S1E_jjS1G_bEUljE0_EEESZ_S10_S11_S18_S1C_S1E_T6_T7_T9_mT8_S1G_bDpT10_ENKUlT_T0_E_clISt17integral_constantIbLb0EES1T_IbLb1EEEEDaS1P_S1Q_EUlS1P_E_NS1_11comp_targetILNS1_3genE0ELNS1_11target_archE4294967295ELNS1_3gpuE0ELNS1_3repE0EEENS1_30default_config_static_selectorELNS0_4arch9wavefront6targetE1EEEvS12_
; %bb.0:
	.section	.rodata,"a",@progbits
	.p2align	6, 0x0
	.amdhsa_kernel _ZN7rocprim17ROCPRIM_400000_NS6detail17trampoline_kernelINS0_13select_configILj256ELj13ELNS0_17block_load_methodE3ELS4_3ELS4_3ELNS0_20block_scan_algorithmE0ELj4294967295EEENS1_25partition_config_selectorILNS1_17partition_subalgoE4EjNS0_10empty_typeEbEEZZNS1_14partition_implILS8_4ELb0ES6_15HIP_vector_typeIjLj2EENS0_17counting_iteratorIjlEEPS9_SG_NS0_5tupleIJPjSI_NS0_16reverse_iteratorISI_EEEEENSH_IJSG_SG_SG_EEES9_SI_JZNS1_25segmented_radix_sort_implINS0_14default_configELb0EPKfPfPKlPlN2at6native12_GLOBAL__N_18offset_tEEE10hipError_tPvRmT1_PNSt15iterator_traitsIS12_E10value_typeET2_T3_PNS13_IS18_E10value_typeET4_jRbjT5_S1E_jjP12ihipStream_tbEUljE_ZNSN_ISO_Lb0ESQ_SR_ST_SU_SY_EESZ_S10_S11_S12_S16_S17_S18_S1B_S1C_jS1D_jS1E_S1E_jjS1G_bEUljE0_EEESZ_S10_S11_S18_S1C_S1E_T6_T7_T9_mT8_S1G_bDpT10_ENKUlT_T0_E_clISt17integral_constantIbLb0EES1T_IbLb1EEEEDaS1P_S1Q_EUlS1P_E_NS1_11comp_targetILNS1_3genE0ELNS1_11target_archE4294967295ELNS1_3gpuE0ELNS1_3repE0EEENS1_30default_config_static_selectorELNS0_4arch9wavefront6targetE1EEEvS12_
		.amdhsa_group_segment_fixed_size 0
		.amdhsa_private_segment_fixed_size 0
		.amdhsa_kernarg_size 184
		.amdhsa_user_sgpr_count 6
		.amdhsa_user_sgpr_private_segment_buffer 1
		.amdhsa_user_sgpr_dispatch_ptr 0
		.amdhsa_user_sgpr_queue_ptr 0
		.amdhsa_user_sgpr_kernarg_segment_ptr 1
		.amdhsa_user_sgpr_dispatch_id 0
		.amdhsa_user_sgpr_flat_scratch_init 0
		.amdhsa_user_sgpr_kernarg_preload_length 0
		.amdhsa_user_sgpr_kernarg_preload_offset 0
		.amdhsa_user_sgpr_private_segment_size 0
		.amdhsa_uses_dynamic_stack 0
		.amdhsa_system_sgpr_private_segment_wavefront_offset 0
		.amdhsa_system_sgpr_workgroup_id_x 1
		.amdhsa_system_sgpr_workgroup_id_y 0
		.amdhsa_system_sgpr_workgroup_id_z 0
		.amdhsa_system_sgpr_workgroup_info 0
		.amdhsa_system_vgpr_workitem_id 0
		.amdhsa_next_free_vgpr 1
		.amdhsa_next_free_sgpr 0
		.amdhsa_accum_offset 4
		.amdhsa_reserve_vcc 0
		.amdhsa_reserve_flat_scratch 0
		.amdhsa_float_round_mode_32 0
		.amdhsa_float_round_mode_16_64 0
		.amdhsa_float_denorm_mode_32 3
		.amdhsa_float_denorm_mode_16_64 3
		.amdhsa_dx10_clamp 1
		.amdhsa_ieee_mode 1
		.amdhsa_fp16_overflow 0
		.amdhsa_tg_split 0
		.amdhsa_exception_fp_ieee_invalid_op 0
		.amdhsa_exception_fp_denorm_src 0
		.amdhsa_exception_fp_ieee_div_zero 0
		.amdhsa_exception_fp_ieee_overflow 0
		.amdhsa_exception_fp_ieee_underflow 0
		.amdhsa_exception_fp_ieee_inexact 0
		.amdhsa_exception_int_div_zero 0
	.end_amdhsa_kernel
	.section	.text._ZN7rocprim17ROCPRIM_400000_NS6detail17trampoline_kernelINS0_13select_configILj256ELj13ELNS0_17block_load_methodE3ELS4_3ELS4_3ELNS0_20block_scan_algorithmE0ELj4294967295EEENS1_25partition_config_selectorILNS1_17partition_subalgoE4EjNS0_10empty_typeEbEEZZNS1_14partition_implILS8_4ELb0ES6_15HIP_vector_typeIjLj2EENS0_17counting_iteratorIjlEEPS9_SG_NS0_5tupleIJPjSI_NS0_16reverse_iteratorISI_EEEEENSH_IJSG_SG_SG_EEES9_SI_JZNS1_25segmented_radix_sort_implINS0_14default_configELb0EPKfPfPKlPlN2at6native12_GLOBAL__N_18offset_tEEE10hipError_tPvRmT1_PNSt15iterator_traitsIS12_E10value_typeET2_T3_PNS13_IS18_E10value_typeET4_jRbjT5_S1E_jjP12ihipStream_tbEUljE_ZNSN_ISO_Lb0ESQ_SR_ST_SU_SY_EESZ_S10_S11_S12_S16_S17_S18_S1B_S1C_jS1D_jS1E_S1E_jjS1G_bEUljE0_EEESZ_S10_S11_S18_S1C_S1E_T6_T7_T9_mT8_S1G_bDpT10_ENKUlT_T0_E_clISt17integral_constantIbLb0EES1T_IbLb1EEEEDaS1P_S1Q_EUlS1P_E_NS1_11comp_targetILNS1_3genE0ELNS1_11target_archE4294967295ELNS1_3gpuE0ELNS1_3repE0EEENS1_30default_config_static_selectorELNS0_4arch9wavefront6targetE1EEEvS12_,"axG",@progbits,_ZN7rocprim17ROCPRIM_400000_NS6detail17trampoline_kernelINS0_13select_configILj256ELj13ELNS0_17block_load_methodE3ELS4_3ELS4_3ELNS0_20block_scan_algorithmE0ELj4294967295EEENS1_25partition_config_selectorILNS1_17partition_subalgoE4EjNS0_10empty_typeEbEEZZNS1_14partition_implILS8_4ELb0ES6_15HIP_vector_typeIjLj2EENS0_17counting_iteratorIjlEEPS9_SG_NS0_5tupleIJPjSI_NS0_16reverse_iteratorISI_EEEEENSH_IJSG_SG_SG_EEES9_SI_JZNS1_25segmented_radix_sort_implINS0_14default_configELb0EPKfPfPKlPlN2at6native12_GLOBAL__N_18offset_tEEE10hipError_tPvRmT1_PNSt15iterator_traitsIS12_E10value_typeET2_T3_PNS13_IS18_E10value_typeET4_jRbjT5_S1E_jjP12ihipStream_tbEUljE_ZNSN_ISO_Lb0ESQ_SR_ST_SU_SY_EESZ_S10_S11_S12_S16_S17_S18_S1B_S1C_jS1D_jS1E_S1E_jjS1G_bEUljE0_EEESZ_S10_S11_S18_S1C_S1E_T6_T7_T9_mT8_S1G_bDpT10_ENKUlT_T0_E_clISt17integral_constantIbLb0EES1T_IbLb1EEEEDaS1P_S1Q_EUlS1P_E_NS1_11comp_targetILNS1_3genE0ELNS1_11target_archE4294967295ELNS1_3gpuE0ELNS1_3repE0EEENS1_30default_config_static_selectorELNS0_4arch9wavefront6targetE1EEEvS12_,comdat
.Lfunc_end1386:
	.size	_ZN7rocprim17ROCPRIM_400000_NS6detail17trampoline_kernelINS0_13select_configILj256ELj13ELNS0_17block_load_methodE3ELS4_3ELS4_3ELNS0_20block_scan_algorithmE0ELj4294967295EEENS1_25partition_config_selectorILNS1_17partition_subalgoE4EjNS0_10empty_typeEbEEZZNS1_14partition_implILS8_4ELb0ES6_15HIP_vector_typeIjLj2EENS0_17counting_iteratorIjlEEPS9_SG_NS0_5tupleIJPjSI_NS0_16reverse_iteratorISI_EEEEENSH_IJSG_SG_SG_EEES9_SI_JZNS1_25segmented_radix_sort_implINS0_14default_configELb0EPKfPfPKlPlN2at6native12_GLOBAL__N_18offset_tEEE10hipError_tPvRmT1_PNSt15iterator_traitsIS12_E10value_typeET2_T3_PNS13_IS18_E10value_typeET4_jRbjT5_S1E_jjP12ihipStream_tbEUljE_ZNSN_ISO_Lb0ESQ_SR_ST_SU_SY_EESZ_S10_S11_S12_S16_S17_S18_S1B_S1C_jS1D_jS1E_S1E_jjS1G_bEUljE0_EEESZ_S10_S11_S18_S1C_S1E_T6_T7_T9_mT8_S1G_bDpT10_ENKUlT_T0_E_clISt17integral_constantIbLb0EES1T_IbLb1EEEEDaS1P_S1Q_EUlS1P_E_NS1_11comp_targetILNS1_3genE0ELNS1_11target_archE4294967295ELNS1_3gpuE0ELNS1_3repE0EEENS1_30default_config_static_selectorELNS0_4arch9wavefront6targetE1EEEvS12_, .Lfunc_end1386-_ZN7rocprim17ROCPRIM_400000_NS6detail17trampoline_kernelINS0_13select_configILj256ELj13ELNS0_17block_load_methodE3ELS4_3ELS4_3ELNS0_20block_scan_algorithmE0ELj4294967295EEENS1_25partition_config_selectorILNS1_17partition_subalgoE4EjNS0_10empty_typeEbEEZZNS1_14partition_implILS8_4ELb0ES6_15HIP_vector_typeIjLj2EENS0_17counting_iteratorIjlEEPS9_SG_NS0_5tupleIJPjSI_NS0_16reverse_iteratorISI_EEEEENSH_IJSG_SG_SG_EEES9_SI_JZNS1_25segmented_radix_sort_implINS0_14default_configELb0EPKfPfPKlPlN2at6native12_GLOBAL__N_18offset_tEEE10hipError_tPvRmT1_PNSt15iterator_traitsIS12_E10value_typeET2_T3_PNS13_IS18_E10value_typeET4_jRbjT5_S1E_jjP12ihipStream_tbEUljE_ZNSN_ISO_Lb0ESQ_SR_ST_SU_SY_EESZ_S10_S11_S12_S16_S17_S18_S1B_S1C_jS1D_jS1E_S1E_jjS1G_bEUljE0_EEESZ_S10_S11_S18_S1C_S1E_T6_T7_T9_mT8_S1G_bDpT10_ENKUlT_T0_E_clISt17integral_constantIbLb0EES1T_IbLb1EEEEDaS1P_S1Q_EUlS1P_E_NS1_11comp_targetILNS1_3genE0ELNS1_11target_archE4294967295ELNS1_3gpuE0ELNS1_3repE0EEENS1_30default_config_static_selectorELNS0_4arch9wavefront6targetE1EEEvS12_
                                        ; -- End function
	.section	.AMDGPU.csdata,"",@progbits
; Kernel info:
; codeLenInByte = 0
; NumSgprs: 4
; NumVgprs: 0
; NumAgprs: 0
; TotalNumVgprs: 0
; ScratchSize: 0
; MemoryBound: 0
; FloatMode: 240
; IeeeMode: 1
; LDSByteSize: 0 bytes/workgroup (compile time only)
; SGPRBlocks: 0
; VGPRBlocks: 0
; NumSGPRsForWavesPerEU: 4
; NumVGPRsForWavesPerEU: 1
; AccumOffset: 4
; Occupancy: 8
; WaveLimiterHint : 0
; COMPUTE_PGM_RSRC2:SCRATCH_EN: 0
; COMPUTE_PGM_RSRC2:USER_SGPR: 6
; COMPUTE_PGM_RSRC2:TRAP_HANDLER: 0
; COMPUTE_PGM_RSRC2:TGID_X_EN: 1
; COMPUTE_PGM_RSRC2:TGID_Y_EN: 0
; COMPUTE_PGM_RSRC2:TGID_Z_EN: 0
; COMPUTE_PGM_RSRC2:TIDIG_COMP_CNT: 0
; COMPUTE_PGM_RSRC3_GFX90A:ACCUM_OFFSET: 0
; COMPUTE_PGM_RSRC3_GFX90A:TG_SPLIT: 0
	.section	.text._ZN7rocprim17ROCPRIM_400000_NS6detail17trampoline_kernelINS0_13select_configILj256ELj13ELNS0_17block_load_methodE3ELS4_3ELS4_3ELNS0_20block_scan_algorithmE0ELj4294967295EEENS1_25partition_config_selectorILNS1_17partition_subalgoE4EjNS0_10empty_typeEbEEZZNS1_14partition_implILS8_4ELb0ES6_15HIP_vector_typeIjLj2EENS0_17counting_iteratorIjlEEPS9_SG_NS0_5tupleIJPjSI_NS0_16reverse_iteratorISI_EEEEENSH_IJSG_SG_SG_EEES9_SI_JZNS1_25segmented_radix_sort_implINS0_14default_configELb0EPKfPfPKlPlN2at6native12_GLOBAL__N_18offset_tEEE10hipError_tPvRmT1_PNSt15iterator_traitsIS12_E10value_typeET2_T3_PNS13_IS18_E10value_typeET4_jRbjT5_S1E_jjP12ihipStream_tbEUljE_ZNSN_ISO_Lb0ESQ_SR_ST_SU_SY_EESZ_S10_S11_S12_S16_S17_S18_S1B_S1C_jS1D_jS1E_S1E_jjS1G_bEUljE0_EEESZ_S10_S11_S18_S1C_S1E_T6_T7_T9_mT8_S1G_bDpT10_ENKUlT_T0_E_clISt17integral_constantIbLb0EES1T_IbLb1EEEEDaS1P_S1Q_EUlS1P_E_NS1_11comp_targetILNS1_3genE5ELNS1_11target_archE942ELNS1_3gpuE9ELNS1_3repE0EEENS1_30default_config_static_selectorELNS0_4arch9wavefront6targetE1EEEvS12_,"axG",@progbits,_ZN7rocprim17ROCPRIM_400000_NS6detail17trampoline_kernelINS0_13select_configILj256ELj13ELNS0_17block_load_methodE3ELS4_3ELS4_3ELNS0_20block_scan_algorithmE0ELj4294967295EEENS1_25partition_config_selectorILNS1_17partition_subalgoE4EjNS0_10empty_typeEbEEZZNS1_14partition_implILS8_4ELb0ES6_15HIP_vector_typeIjLj2EENS0_17counting_iteratorIjlEEPS9_SG_NS0_5tupleIJPjSI_NS0_16reverse_iteratorISI_EEEEENSH_IJSG_SG_SG_EEES9_SI_JZNS1_25segmented_radix_sort_implINS0_14default_configELb0EPKfPfPKlPlN2at6native12_GLOBAL__N_18offset_tEEE10hipError_tPvRmT1_PNSt15iterator_traitsIS12_E10value_typeET2_T3_PNS13_IS18_E10value_typeET4_jRbjT5_S1E_jjP12ihipStream_tbEUljE_ZNSN_ISO_Lb0ESQ_SR_ST_SU_SY_EESZ_S10_S11_S12_S16_S17_S18_S1B_S1C_jS1D_jS1E_S1E_jjS1G_bEUljE0_EEESZ_S10_S11_S18_S1C_S1E_T6_T7_T9_mT8_S1G_bDpT10_ENKUlT_T0_E_clISt17integral_constantIbLb0EES1T_IbLb1EEEEDaS1P_S1Q_EUlS1P_E_NS1_11comp_targetILNS1_3genE5ELNS1_11target_archE942ELNS1_3gpuE9ELNS1_3repE0EEENS1_30default_config_static_selectorELNS0_4arch9wavefront6targetE1EEEvS12_,comdat
	.globl	_ZN7rocprim17ROCPRIM_400000_NS6detail17trampoline_kernelINS0_13select_configILj256ELj13ELNS0_17block_load_methodE3ELS4_3ELS4_3ELNS0_20block_scan_algorithmE0ELj4294967295EEENS1_25partition_config_selectorILNS1_17partition_subalgoE4EjNS0_10empty_typeEbEEZZNS1_14partition_implILS8_4ELb0ES6_15HIP_vector_typeIjLj2EENS0_17counting_iteratorIjlEEPS9_SG_NS0_5tupleIJPjSI_NS0_16reverse_iteratorISI_EEEEENSH_IJSG_SG_SG_EEES9_SI_JZNS1_25segmented_radix_sort_implINS0_14default_configELb0EPKfPfPKlPlN2at6native12_GLOBAL__N_18offset_tEEE10hipError_tPvRmT1_PNSt15iterator_traitsIS12_E10value_typeET2_T3_PNS13_IS18_E10value_typeET4_jRbjT5_S1E_jjP12ihipStream_tbEUljE_ZNSN_ISO_Lb0ESQ_SR_ST_SU_SY_EESZ_S10_S11_S12_S16_S17_S18_S1B_S1C_jS1D_jS1E_S1E_jjS1G_bEUljE0_EEESZ_S10_S11_S18_S1C_S1E_T6_T7_T9_mT8_S1G_bDpT10_ENKUlT_T0_E_clISt17integral_constantIbLb0EES1T_IbLb1EEEEDaS1P_S1Q_EUlS1P_E_NS1_11comp_targetILNS1_3genE5ELNS1_11target_archE942ELNS1_3gpuE9ELNS1_3repE0EEENS1_30default_config_static_selectorELNS0_4arch9wavefront6targetE1EEEvS12_ ; -- Begin function _ZN7rocprim17ROCPRIM_400000_NS6detail17trampoline_kernelINS0_13select_configILj256ELj13ELNS0_17block_load_methodE3ELS4_3ELS4_3ELNS0_20block_scan_algorithmE0ELj4294967295EEENS1_25partition_config_selectorILNS1_17partition_subalgoE4EjNS0_10empty_typeEbEEZZNS1_14partition_implILS8_4ELb0ES6_15HIP_vector_typeIjLj2EENS0_17counting_iteratorIjlEEPS9_SG_NS0_5tupleIJPjSI_NS0_16reverse_iteratorISI_EEEEENSH_IJSG_SG_SG_EEES9_SI_JZNS1_25segmented_radix_sort_implINS0_14default_configELb0EPKfPfPKlPlN2at6native12_GLOBAL__N_18offset_tEEE10hipError_tPvRmT1_PNSt15iterator_traitsIS12_E10value_typeET2_T3_PNS13_IS18_E10value_typeET4_jRbjT5_S1E_jjP12ihipStream_tbEUljE_ZNSN_ISO_Lb0ESQ_SR_ST_SU_SY_EESZ_S10_S11_S12_S16_S17_S18_S1B_S1C_jS1D_jS1E_S1E_jjS1G_bEUljE0_EEESZ_S10_S11_S18_S1C_S1E_T6_T7_T9_mT8_S1G_bDpT10_ENKUlT_T0_E_clISt17integral_constantIbLb0EES1T_IbLb1EEEEDaS1P_S1Q_EUlS1P_E_NS1_11comp_targetILNS1_3genE5ELNS1_11target_archE942ELNS1_3gpuE9ELNS1_3repE0EEENS1_30default_config_static_selectorELNS0_4arch9wavefront6targetE1EEEvS12_
	.p2align	8
	.type	_ZN7rocprim17ROCPRIM_400000_NS6detail17trampoline_kernelINS0_13select_configILj256ELj13ELNS0_17block_load_methodE3ELS4_3ELS4_3ELNS0_20block_scan_algorithmE0ELj4294967295EEENS1_25partition_config_selectorILNS1_17partition_subalgoE4EjNS0_10empty_typeEbEEZZNS1_14partition_implILS8_4ELb0ES6_15HIP_vector_typeIjLj2EENS0_17counting_iteratorIjlEEPS9_SG_NS0_5tupleIJPjSI_NS0_16reverse_iteratorISI_EEEEENSH_IJSG_SG_SG_EEES9_SI_JZNS1_25segmented_radix_sort_implINS0_14default_configELb0EPKfPfPKlPlN2at6native12_GLOBAL__N_18offset_tEEE10hipError_tPvRmT1_PNSt15iterator_traitsIS12_E10value_typeET2_T3_PNS13_IS18_E10value_typeET4_jRbjT5_S1E_jjP12ihipStream_tbEUljE_ZNSN_ISO_Lb0ESQ_SR_ST_SU_SY_EESZ_S10_S11_S12_S16_S17_S18_S1B_S1C_jS1D_jS1E_S1E_jjS1G_bEUljE0_EEESZ_S10_S11_S18_S1C_S1E_T6_T7_T9_mT8_S1G_bDpT10_ENKUlT_T0_E_clISt17integral_constantIbLb0EES1T_IbLb1EEEEDaS1P_S1Q_EUlS1P_E_NS1_11comp_targetILNS1_3genE5ELNS1_11target_archE942ELNS1_3gpuE9ELNS1_3repE0EEENS1_30default_config_static_selectorELNS0_4arch9wavefront6targetE1EEEvS12_,@function
_ZN7rocprim17ROCPRIM_400000_NS6detail17trampoline_kernelINS0_13select_configILj256ELj13ELNS0_17block_load_methodE3ELS4_3ELS4_3ELNS0_20block_scan_algorithmE0ELj4294967295EEENS1_25partition_config_selectorILNS1_17partition_subalgoE4EjNS0_10empty_typeEbEEZZNS1_14partition_implILS8_4ELb0ES6_15HIP_vector_typeIjLj2EENS0_17counting_iteratorIjlEEPS9_SG_NS0_5tupleIJPjSI_NS0_16reverse_iteratorISI_EEEEENSH_IJSG_SG_SG_EEES9_SI_JZNS1_25segmented_radix_sort_implINS0_14default_configELb0EPKfPfPKlPlN2at6native12_GLOBAL__N_18offset_tEEE10hipError_tPvRmT1_PNSt15iterator_traitsIS12_E10value_typeET2_T3_PNS13_IS18_E10value_typeET4_jRbjT5_S1E_jjP12ihipStream_tbEUljE_ZNSN_ISO_Lb0ESQ_SR_ST_SU_SY_EESZ_S10_S11_S12_S16_S17_S18_S1B_S1C_jS1D_jS1E_S1E_jjS1G_bEUljE0_EEESZ_S10_S11_S18_S1C_S1E_T6_T7_T9_mT8_S1G_bDpT10_ENKUlT_T0_E_clISt17integral_constantIbLb0EES1T_IbLb1EEEEDaS1P_S1Q_EUlS1P_E_NS1_11comp_targetILNS1_3genE5ELNS1_11target_archE942ELNS1_3gpuE9ELNS1_3repE0EEENS1_30default_config_static_selectorELNS0_4arch9wavefront6targetE1EEEvS12_: ; @_ZN7rocprim17ROCPRIM_400000_NS6detail17trampoline_kernelINS0_13select_configILj256ELj13ELNS0_17block_load_methodE3ELS4_3ELS4_3ELNS0_20block_scan_algorithmE0ELj4294967295EEENS1_25partition_config_selectorILNS1_17partition_subalgoE4EjNS0_10empty_typeEbEEZZNS1_14partition_implILS8_4ELb0ES6_15HIP_vector_typeIjLj2EENS0_17counting_iteratorIjlEEPS9_SG_NS0_5tupleIJPjSI_NS0_16reverse_iteratorISI_EEEEENSH_IJSG_SG_SG_EEES9_SI_JZNS1_25segmented_radix_sort_implINS0_14default_configELb0EPKfPfPKlPlN2at6native12_GLOBAL__N_18offset_tEEE10hipError_tPvRmT1_PNSt15iterator_traitsIS12_E10value_typeET2_T3_PNS13_IS18_E10value_typeET4_jRbjT5_S1E_jjP12ihipStream_tbEUljE_ZNSN_ISO_Lb0ESQ_SR_ST_SU_SY_EESZ_S10_S11_S12_S16_S17_S18_S1B_S1C_jS1D_jS1E_S1E_jjS1G_bEUljE0_EEESZ_S10_S11_S18_S1C_S1E_T6_T7_T9_mT8_S1G_bDpT10_ENKUlT_T0_E_clISt17integral_constantIbLb0EES1T_IbLb1EEEEDaS1P_S1Q_EUlS1P_E_NS1_11comp_targetILNS1_3genE5ELNS1_11target_archE942ELNS1_3gpuE9ELNS1_3repE0EEENS1_30default_config_static_selectorELNS0_4arch9wavefront6targetE1EEEvS12_
; %bb.0:
	.section	.rodata,"a",@progbits
	.p2align	6, 0x0
	.amdhsa_kernel _ZN7rocprim17ROCPRIM_400000_NS6detail17trampoline_kernelINS0_13select_configILj256ELj13ELNS0_17block_load_methodE3ELS4_3ELS4_3ELNS0_20block_scan_algorithmE0ELj4294967295EEENS1_25partition_config_selectorILNS1_17partition_subalgoE4EjNS0_10empty_typeEbEEZZNS1_14partition_implILS8_4ELb0ES6_15HIP_vector_typeIjLj2EENS0_17counting_iteratorIjlEEPS9_SG_NS0_5tupleIJPjSI_NS0_16reverse_iteratorISI_EEEEENSH_IJSG_SG_SG_EEES9_SI_JZNS1_25segmented_radix_sort_implINS0_14default_configELb0EPKfPfPKlPlN2at6native12_GLOBAL__N_18offset_tEEE10hipError_tPvRmT1_PNSt15iterator_traitsIS12_E10value_typeET2_T3_PNS13_IS18_E10value_typeET4_jRbjT5_S1E_jjP12ihipStream_tbEUljE_ZNSN_ISO_Lb0ESQ_SR_ST_SU_SY_EESZ_S10_S11_S12_S16_S17_S18_S1B_S1C_jS1D_jS1E_S1E_jjS1G_bEUljE0_EEESZ_S10_S11_S18_S1C_S1E_T6_T7_T9_mT8_S1G_bDpT10_ENKUlT_T0_E_clISt17integral_constantIbLb0EES1T_IbLb1EEEEDaS1P_S1Q_EUlS1P_E_NS1_11comp_targetILNS1_3genE5ELNS1_11target_archE942ELNS1_3gpuE9ELNS1_3repE0EEENS1_30default_config_static_selectorELNS0_4arch9wavefront6targetE1EEEvS12_
		.amdhsa_group_segment_fixed_size 0
		.amdhsa_private_segment_fixed_size 0
		.amdhsa_kernarg_size 184
		.amdhsa_user_sgpr_count 6
		.amdhsa_user_sgpr_private_segment_buffer 1
		.amdhsa_user_sgpr_dispatch_ptr 0
		.amdhsa_user_sgpr_queue_ptr 0
		.amdhsa_user_sgpr_kernarg_segment_ptr 1
		.amdhsa_user_sgpr_dispatch_id 0
		.amdhsa_user_sgpr_flat_scratch_init 0
		.amdhsa_user_sgpr_kernarg_preload_length 0
		.amdhsa_user_sgpr_kernarg_preload_offset 0
		.amdhsa_user_sgpr_private_segment_size 0
		.amdhsa_uses_dynamic_stack 0
		.amdhsa_system_sgpr_private_segment_wavefront_offset 0
		.amdhsa_system_sgpr_workgroup_id_x 1
		.amdhsa_system_sgpr_workgroup_id_y 0
		.amdhsa_system_sgpr_workgroup_id_z 0
		.amdhsa_system_sgpr_workgroup_info 0
		.amdhsa_system_vgpr_workitem_id 0
		.amdhsa_next_free_vgpr 1
		.amdhsa_next_free_sgpr 0
		.amdhsa_accum_offset 4
		.amdhsa_reserve_vcc 0
		.amdhsa_reserve_flat_scratch 0
		.amdhsa_float_round_mode_32 0
		.amdhsa_float_round_mode_16_64 0
		.amdhsa_float_denorm_mode_32 3
		.amdhsa_float_denorm_mode_16_64 3
		.amdhsa_dx10_clamp 1
		.amdhsa_ieee_mode 1
		.amdhsa_fp16_overflow 0
		.amdhsa_tg_split 0
		.amdhsa_exception_fp_ieee_invalid_op 0
		.amdhsa_exception_fp_denorm_src 0
		.amdhsa_exception_fp_ieee_div_zero 0
		.amdhsa_exception_fp_ieee_overflow 0
		.amdhsa_exception_fp_ieee_underflow 0
		.amdhsa_exception_fp_ieee_inexact 0
		.amdhsa_exception_int_div_zero 0
	.end_amdhsa_kernel
	.section	.text._ZN7rocprim17ROCPRIM_400000_NS6detail17trampoline_kernelINS0_13select_configILj256ELj13ELNS0_17block_load_methodE3ELS4_3ELS4_3ELNS0_20block_scan_algorithmE0ELj4294967295EEENS1_25partition_config_selectorILNS1_17partition_subalgoE4EjNS0_10empty_typeEbEEZZNS1_14partition_implILS8_4ELb0ES6_15HIP_vector_typeIjLj2EENS0_17counting_iteratorIjlEEPS9_SG_NS0_5tupleIJPjSI_NS0_16reverse_iteratorISI_EEEEENSH_IJSG_SG_SG_EEES9_SI_JZNS1_25segmented_radix_sort_implINS0_14default_configELb0EPKfPfPKlPlN2at6native12_GLOBAL__N_18offset_tEEE10hipError_tPvRmT1_PNSt15iterator_traitsIS12_E10value_typeET2_T3_PNS13_IS18_E10value_typeET4_jRbjT5_S1E_jjP12ihipStream_tbEUljE_ZNSN_ISO_Lb0ESQ_SR_ST_SU_SY_EESZ_S10_S11_S12_S16_S17_S18_S1B_S1C_jS1D_jS1E_S1E_jjS1G_bEUljE0_EEESZ_S10_S11_S18_S1C_S1E_T6_T7_T9_mT8_S1G_bDpT10_ENKUlT_T0_E_clISt17integral_constantIbLb0EES1T_IbLb1EEEEDaS1P_S1Q_EUlS1P_E_NS1_11comp_targetILNS1_3genE5ELNS1_11target_archE942ELNS1_3gpuE9ELNS1_3repE0EEENS1_30default_config_static_selectorELNS0_4arch9wavefront6targetE1EEEvS12_,"axG",@progbits,_ZN7rocprim17ROCPRIM_400000_NS6detail17trampoline_kernelINS0_13select_configILj256ELj13ELNS0_17block_load_methodE3ELS4_3ELS4_3ELNS0_20block_scan_algorithmE0ELj4294967295EEENS1_25partition_config_selectorILNS1_17partition_subalgoE4EjNS0_10empty_typeEbEEZZNS1_14partition_implILS8_4ELb0ES6_15HIP_vector_typeIjLj2EENS0_17counting_iteratorIjlEEPS9_SG_NS0_5tupleIJPjSI_NS0_16reverse_iteratorISI_EEEEENSH_IJSG_SG_SG_EEES9_SI_JZNS1_25segmented_radix_sort_implINS0_14default_configELb0EPKfPfPKlPlN2at6native12_GLOBAL__N_18offset_tEEE10hipError_tPvRmT1_PNSt15iterator_traitsIS12_E10value_typeET2_T3_PNS13_IS18_E10value_typeET4_jRbjT5_S1E_jjP12ihipStream_tbEUljE_ZNSN_ISO_Lb0ESQ_SR_ST_SU_SY_EESZ_S10_S11_S12_S16_S17_S18_S1B_S1C_jS1D_jS1E_S1E_jjS1G_bEUljE0_EEESZ_S10_S11_S18_S1C_S1E_T6_T7_T9_mT8_S1G_bDpT10_ENKUlT_T0_E_clISt17integral_constantIbLb0EES1T_IbLb1EEEEDaS1P_S1Q_EUlS1P_E_NS1_11comp_targetILNS1_3genE5ELNS1_11target_archE942ELNS1_3gpuE9ELNS1_3repE0EEENS1_30default_config_static_selectorELNS0_4arch9wavefront6targetE1EEEvS12_,comdat
.Lfunc_end1387:
	.size	_ZN7rocprim17ROCPRIM_400000_NS6detail17trampoline_kernelINS0_13select_configILj256ELj13ELNS0_17block_load_methodE3ELS4_3ELS4_3ELNS0_20block_scan_algorithmE0ELj4294967295EEENS1_25partition_config_selectorILNS1_17partition_subalgoE4EjNS0_10empty_typeEbEEZZNS1_14partition_implILS8_4ELb0ES6_15HIP_vector_typeIjLj2EENS0_17counting_iteratorIjlEEPS9_SG_NS0_5tupleIJPjSI_NS0_16reverse_iteratorISI_EEEEENSH_IJSG_SG_SG_EEES9_SI_JZNS1_25segmented_radix_sort_implINS0_14default_configELb0EPKfPfPKlPlN2at6native12_GLOBAL__N_18offset_tEEE10hipError_tPvRmT1_PNSt15iterator_traitsIS12_E10value_typeET2_T3_PNS13_IS18_E10value_typeET4_jRbjT5_S1E_jjP12ihipStream_tbEUljE_ZNSN_ISO_Lb0ESQ_SR_ST_SU_SY_EESZ_S10_S11_S12_S16_S17_S18_S1B_S1C_jS1D_jS1E_S1E_jjS1G_bEUljE0_EEESZ_S10_S11_S18_S1C_S1E_T6_T7_T9_mT8_S1G_bDpT10_ENKUlT_T0_E_clISt17integral_constantIbLb0EES1T_IbLb1EEEEDaS1P_S1Q_EUlS1P_E_NS1_11comp_targetILNS1_3genE5ELNS1_11target_archE942ELNS1_3gpuE9ELNS1_3repE0EEENS1_30default_config_static_selectorELNS0_4arch9wavefront6targetE1EEEvS12_, .Lfunc_end1387-_ZN7rocprim17ROCPRIM_400000_NS6detail17trampoline_kernelINS0_13select_configILj256ELj13ELNS0_17block_load_methodE3ELS4_3ELS4_3ELNS0_20block_scan_algorithmE0ELj4294967295EEENS1_25partition_config_selectorILNS1_17partition_subalgoE4EjNS0_10empty_typeEbEEZZNS1_14partition_implILS8_4ELb0ES6_15HIP_vector_typeIjLj2EENS0_17counting_iteratorIjlEEPS9_SG_NS0_5tupleIJPjSI_NS0_16reverse_iteratorISI_EEEEENSH_IJSG_SG_SG_EEES9_SI_JZNS1_25segmented_radix_sort_implINS0_14default_configELb0EPKfPfPKlPlN2at6native12_GLOBAL__N_18offset_tEEE10hipError_tPvRmT1_PNSt15iterator_traitsIS12_E10value_typeET2_T3_PNS13_IS18_E10value_typeET4_jRbjT5_S1E_jjP12ihipStream_tbEUljE_ZNSN_ISO_Lb0ESQ_SR_ST_SU_SY_EESZ_S10_S11_S12_S16_S17_S18_S1B_S1C_jS1D_jS1E_S1E_jjS1G_bEUljE0_EEESZ_S10_S11_S18_S1C_S1E_T6_T7_T9_mT8_S1G_bDpT10_ENKUlT_T0_E_clISt17integral_constantIbLb0EES1T_IbLb1EEEEDaS1P_S1Q_EUlS1P_E_NS1_11comp_targetILNS1_3genE5ELNS1_11target_archE942ELNS1_3gpuE9ELNS1_3repE0EEENS1_30default_config_static_selectorELNS0_4arch9wavefront6targetE1EEEvS12_
                                        ; -- End function
	.section	.AMDGPU.csdata,"",@progbits
; Kernel info:
; codeLenInByte = 0
; NumSgprs: 4
; NumVgprs: 0
; NumAgprs: 0
; TotalNumVgprs: 0
; ScratchSize: 0
; MemoryBound: 0
; FloatMode: 240
; IeeeMode: 1
; LDSByteSize: 0 bytes/workgroup (compile time only)
; SGPRBlocks: 0
; VGPRBlocks: 0
; NumSGPRsForWavesPerEU: 4
; NumVGPRsForWavesPerEU: 1
; AccumOffset: 4
; Occupancy: 8
; WaveLimiterHint : 0
; COMPUTE_PGM_RSRC2:SCRATCH_EN: 0
; COMPUTE_PGM_RSRC2:USER_SGPR: 6
; COMPUTE_PGM_RSRC2:TRAP_HANDLER: 0
; COMPUTE_PGM_RSRC2:TGID_X_EN: 1
; COMPUTE_PGM_RSRC2:TGID_Y_EN: 0
; COMPUTE_PGM_RSRC2:TGID_Z_EN: 0
; COMPUTE_PGM_RSRC2:TIDIG_COMP_CNT: 0
; COMPUTE_PGM_RSRC3_GFX90A:ACCUM_OFFSET: 0
; COMPUTE_PGM_RSRC3_GFX90A:TG_SPLIT: 0
	.section	.text._ZN7rocprim17ROCPRIM_400000_NS6detail17trampoline_kernelINS0_13select_configILj256ELj13ELNS0_17block_load_methodE3ELS4_3ELS4_3ELNS0_20block_scan_algorithmE0ELj4294967295EEENS1_25partition_config_selectorILNS1_17partition_subalgoE4EjNS0_10empty_typeEbEEZZNS1_14partition_implILS8_4ELb0ES6_15HIP_vector_typeIjLj2EENS0_17counting_iteratorIjlEEPS9_SG_NS0_5tupleIJPjSI_NS0_16reverse_iteratorISI_EEEEENSH_IJSG_SG_SG_EEES9_SI_JZNS1_25segmented_radix_sort_implINS0_14default_configELb0EPKfPfPKlPlN2at6native12_GLOBAL__N_18offset_tEEE10hipError_tPvRmT1_PNSt15iterator_traitsIS12_E10value_typeET2_T3_PNS13_IS18_E10value_typeET4_jRbjT5_S1E_jjP12ihipStream_tbEUljE_ZNSN_ISO_Lb0ESQ_SR_ST_SU_SY_EESZ_S10_S11_S12_S16_S17_S18_S1B_S1C_jS1D_jS1E_S1E_jjS1G_bEUljE0_EEESZ_S10_S11_S18_S1C_S1E_T6_T7_T9_mT8_S1G_bDpT10_ENKUlT_T0_E_clISt17integral_constantIbLb0EES1T_IbLb1EEEEDaS1P_S1Q_EUlS1P_E_NS1_11comp_targetILNS1_3genE4ELNS1_11target_archE910ELNS1_3gpuE8ELNS1_3repE0EEENS1_30default_config_static_selectorELNS0_4arch9wavefront6targetE1EEEvS12_,"axG",@progbits,_ZN7rocprim17ROCPRIM_400000_NS6detail17trampoline_kernelINS0_13select_configILj256ELj13ELNS0_17block_load_methodE3ELS4_3ELS4_3ELNS0_20block_scan_algorithmE0ELj4294967295EEENS1_25partition_config_selectorILNS1_17partition_subalgoE4EjNS0_10empty_typeEbEEZZNS1_14partition_implILS8_4ELb0ES6_15HIP_vector_typeIjLj2EENS0_17counting_iteratorIjlEEPS9_SG_NS0_5tupleIJPjSI_NS0_16reverse_iteratorISI_EEEEENSH_IJSG_SG_SG_EEES9_SI_JZNS1_25segmented_radix_sort_implINS0_14default_configELb0EPKfPfPKlPlN2at6native12_GLOBAL__N_18offset_tEEE10hipError_tPvRmT1_PNSt15iterator_traitsIS12_E10value_typeET2_T3_PNS13_IS18_E10value_typeET4_jRbjT5_S1E_jjP12ihipStream_tbEUljE_ZNSN_ISO_Lb0ESQ_SR_ST_SU_SY_EESZ_S10_S11_S12_S16_S17_S18_S1B_S1C_jS1D_jS1E_S1E_jjS1G_bEUljE0_EEESZ_S10_S11_S18_S1C_S1E_T6_T7_T9_mT8_S1G_bDpT10_ENKUlT_T0_E_clISt17integral_constantIbLb0EES1T_IbLb1EEEEDaS1P_S1Q_EUlS1P_E_NS1_11comp_targetILNS1_3genE4ELNS1_11target_archE910ELNS1_3gpuE8ELNS1_3repE0EEENS1_30default_config_static_selectorELNS0_4arch9wavefront6targetE1EEEvS12_,comdat
	.globl	_ZN7rocprim17ROCPRIM_400000_NS6detail17trampoline_kernelINS0_13select_configILj256ELj13ELNS0_17block_load_methodE3ELS4_3ELS4_3ELNS0_20block_scan_algorithmE0ELj4294967295EEENS1_25partition_config_selectorILNS1_17partition_subalgoE4EjNS0_10empty_typeEbEEZZNS1_14partition_implILS8_4ELb0ES6_15HIP_vector_typeIjLj2EENS0_17counting_iteratorIjlEEPS9_SG_NS0_5tupleIJPjSI_NS0_16reverse_iteratorISI_EEEEENSH_IJSG_SG_SG_EEES9_SI_JZNS1_25segmented_radix_sort_implINS0_14default_configELb0EPKfPfPKlPlN2at6native12_GLOBAL__N_18offset_tEEE10hipError_tPvRmT1_PNSt15iterator_traitsIS12_E10value_typeET2_T3_PNS13_IS18_E10value_typeET4_jRbjT5_S1E_jjP12ihipStream_tbEUljE_ZNSN_ISO_Lb0ESQ_SR_ST_SU_SY_EESZ_S10_S11_S12_S16_S17_S18_S1B_S1C_jS1D_jS1E_S1E_jjS1G_bEUljE0_EEESZ_S10_S11_S18_S1C_S1E_T6_T7_T9_mT8_S1G_bDpT10_ENKUlT_T0_E_clISt17integral_constantIbLb0EES1T_IbLb1EEEEDaS1P_S1Q_EUlS1P_E_NS1_11comp_targetILNS1_3genE4ELNS1_11target_archE910ELNS1_3gpuE8ELNS1_3repE0EEENS1_30default_config_static_selectorELNS0_4arch9wavefront6targetE1EEEvS12_ ; -- Begin function _ZN7rocprim17ROCPRIM_400000_NS6detail17trampoline_kernelINS0_13select_configILj256ELj13ELNS0_17block_load_methodE3ELS4_3ELS4_3ELNS0_20block_scan_algorithmE0ELj4294967295EEENS1_25partition_config_selectorILNS1_17partition_subalgoE4EjNS0_10empty_typeEbEEZZNS1_14partition_implILS8_4ELb0ES6_15HIP_vector_typeIjLj2EENS0_17counting_iteratorIjlEEPS9_SG_NS0_5tupleIJPjSI_NS0_16reverse_iteratorISI_EEEEENSH_IJSG_SG_SG_EEES9_SI_JZNS1_25segmented_radix_sort_implINS0_14default_configELb0EPKfPfPKlPlN2at6native12_GLOBAL__N_18offset_tEEE10hipError_tPvRmT1_PNSt15iterator_traitsIS12_E10value_typeET2_T3_PNS13_IS18_E10value_typeET4_jRbjT5_S1E_jjP12ihipStream_tbEUljE_ZNSN_ISO_Lb0ESQ_SR_ST_SU_SY_EESZ_S10_S11_S12_S16_S17_S18_S1B_S1C_jS1D_jS1E_S1E_jjS1G_bEUljE0_EEESZ_S10_S11_S18_S1C_S1E_T6_T7_T9_mT8_S1G_bDpT10_ENKUlT_T0_E_clISt17integral_constantIbLb0EES1T_IbLb1EEEEDaS1P_S1Q_EUlS1P_E_NS1_11comp_targetILNS1_3genE4ELNS1_11target_archE910ELNS1_3gpuE8ELNS1_3repE0EEENS1_30default_config_static_selectorELNS0_4arch9wavefront6targetE1EEEvS12_
	.p2align	8
	.type	_ZN7rocprim17ROCPRIM_400000_NS6detail17trampoline_kernelINS0_13select_configILj256ELj13ELNS0_17block_load_methodE3ELS4_3ELS4_3ELNS0_20block_scan_algorithmE0ELj4294967295EEENS1_25partition_config_selectorILNS1_17partition_subalgoE4EjNS0_10empty_typeEbEEZZNS1_14partition_implILS8_4ELb0ES6_15HIP_vector_typeIjLj2EENS0_17counting_iteratorIjlEEPS9_SG_NS0_5tupleIJPjSI_NS0_16reverse_iteratorISI_EEEEENSH_IJSG_SG_SG_EEES9_SI_JZNS1_25segmented_radix_sort_implINS0_14default_configELb0EPKfPfPKlPlN2at6native12_GLOBAL__N_18offset_tEEE10hipError_tPvRmT1_PNSt15iterator_traitsIS12_E10value_typeET2_T3_PNS13_IS18_E10value_typeET4_jRbjT5_S1E_jjP12ihipStream_tbEUljE_ZNSN_ISO_Lb0ESQ_SR_ST_SU_SY_EESZ_S10_S11_S12_S16_S17_S18_S1B_S1C_jS1D_jS1E_S1E_jjS1G_bEUljE0_EEESZ_S10_S11_S18_S1C_S1E_T6_T7_T9_mT8_S1G_bDpT10_ENKUlT_T0_E_clISt17integral_constantIbLb0EES1T_IbLb1EEEEDaS1P_S1Q_EUlS1P_E_NS1_11comp_targetILNS1_3genE4ELNS1_11target_archE910ELNS1_3gpuE8ELNS1_3repE0EEENS1_30default_config_static_selectorELNS0_4arch9wavefront6targetE1EEEvS12_,@function
_ZN7rocprim17ROCPRIM_400000_NS6detail17trampoline_kernelINS0_13select_configILj256ELj13ELNS0_17block_load_methodE3ELS4_3ELS4_3ELNS0_20block_scan_algorithmE0ELj4294967295EEENS1_25partition_config_selectorILNS1_17partition_subalgoE4EjNS0_10empty_typeEbEEZZNS1_14partition_implILS8_4ELb0ES6_15HIP_vector_typeIjLj2EENS0_17counting_iteratorIjlEEPS9_SG_NS0_5tupleIJPjSI_NS0_16reverse_iteratorISI_EEEEENSH_IJSG_SG_SG_EEES9_SI_JZNS1_25segmented_radix_sort_implINS0_14default_configELb0EPKfPfPKlPlN2at6native12_GLOBAL__N_18offset_tEEE10hipError_tPvRmT1_PNSt15iterator_traitsIS12_E10value_typeET2_T3_PNS13_IS18_E10value_typeET4_jRbjT5_S1E_jjP12ihipStream_tbEUljE_ZNSN_ISO_Lb0ESQ_SR_ST_SU_SY_EESZ_S10_S11_S12_S16_S17_S18_S1B_S1C_jS1D_jS1E_S1E_jjS1G_bEUljE0_EEESZ_S10_S11_S18_S1C_S1E_T6_T7_T9_mT8_S1G_bDpT10_ENKUlT_T0_E_clISt17integral_constantIbLb0EES1T_IbLb1EEEEDaS1P_S1Q_EUlS1P_E_NS1_11comp_targetILNS1_3genE4ELNS1_11target_archE910ELNS1_3gpuE8ELNS1_3repE0EEENS1_30default_config_static_selectorELNS0_4arch9wavefront6targetE1EEEvS12_: ; @_ZN7rocprim17ROCPRIM_400000_NS6detail17trampoline_kernelINS0_13select_configILj256ELj13ELNS0_17block_load_methodE3ELS4_3ELS4_3ELNS0_20block_scan_algorithmE0ELj4294967295EEENS1_25partition_config_selectorILNS1_17partition_subalgoE4EjNS0_10empty_typeEbEEZZNS1_14partition_implILS8_4ELb0ES6_15HIP_vector_typeIjLj2EENS0_17counting_iteratorIjlEEPS9_SG_NS0_5tupleIJPjSI_NS0_16reverse_iteratorISI_EEEEENSH_IJSG_SG_SG_EEES9_SI_JZNS1_25segmented_radix_sort_implINS0_14default_configELb0EPKfPfPKlPlN2at6native12_GLOBAL__N_18offset_tEEE10hipError_tPvRmT1_PNSt15iterator_traitsIS12_E10value_typeET2_T3_PNS13_IS18_E10value_typeET4_jRbjT5_S1E_jjP12ihipStream_tbEUljE_ZNSN_ISO_Lb0ESQ_SR_ST_SU_SY_EESZ_S10_S11_S12_S16_S17_S18_S1B_S1C_jS1D_jS1E_S1E_jjS1G_bEUljE0_EEESZ_S10_S11_S18_S1C_S1E_T6_T7_T9_mT8_S1G_bDpT10_ENKUlT_T0_E_clISt17integral_constantIbLb0EES1T_IbLb1EEEEDaS1P_S1Q_EUlS1P_E_NS1_11comp_targetILNS1_3genE4ELNS1_11target_archE910ELNS1_3gpuE8ELNS1_3repE0EEENS1_30default_config_static_selectorELNS0_4arch9wavefront6targetE1EEEvS12_
; %bb.0:
	s_load_dwordx2 s[48:49], s[4:5], 0x10
	s_load_dwordx4 s[44:47], s[4:5], 0x28
	s_load_dwordx2 s[34:35], s[4:5], 0x38
	s_load_dwordx4 s[28:31], s[4:5], 0x58
	s_load_dwordx2 s[2:3], s[4:5], 0x68
	s_load_dwordx2 s[50:51], s[4:5], 0x78
	;; [unrolled: 1-line block ×3, first 2 shown]
	s_load_dwordx8 s[36:43], s[4:5], 0x90
	v_cmp_eq_u32_e64 s[0:1], 0, v0
	s_and_saveexec_b64 s[6:7], s[0:1]
	s_cbranch_execz .LBB1388_4
; %bb.1:
	s_mov_b64 s[10:11], exec
	v_mbcnt_lo_u32_b32 v1, s10, 0
	v_mbcnt_hi_u32_b32 v1, s11, v1
	v_cmp_eq_u32_e32 vcc, 0, v1
                                        ; implicit-def: $vgpr2
	s_and_saveexec_b64 s[8:9], vcc
	s_cbranch_execz .LBB1388_3
; %bb.2:
	s_load_dwordx2 s[12:13], s[4:5], 0x88
	s_bcnt1_i32_b64 s10, s[10:11]
	v_mov_b32_e32 v2, 0
	v_mov_b32_e32 v3, s10
	s_waitcnt lgkmcnt(0)
	global_atomic_add v2, v2, v3, s[12:13] glc
.LBB1388_3:
	s_or_b64 exec, exec, s[8:9]
	s_waitcnt vmcnt(0)
	v_readfirstlane_b32 s8, v2
	v_add_u32_e32 v1, s8, v1
	v_mov_b32_e32 v2, 0
	ds_write_b32 v2, v1
.LBB1388_4:
	s_or_b64 exec, exec, s[6:7]
	v_mov_b32_e32 v1, 0
	s_load_dword s7, s[4:5], 0x8
	s_load_dword s6, s[4:5], 0x80
	s_waitcnt lgkmcnt(0)
	s_barrier
	ds_read_b32 v8, v1
	s_waitcnt lgkmcnt(0)
	s_barrier
	global_load_dwordx4 v[2:5], v1, s[30:31]
	v_mov_b32_e32 v7, s3
	s_movk_i32 s3, 0xd00
	s_add_i32 s8, s7, s48
	v_mul_lo_u32 v34, v8, s3
	s_add_i32 s7, s6, -1
	s_mul_i32 s3, s6, 0xd00
	s_add_u32 s4, s48, s3
	v_readfirstlane_b32 s33, v8
	s_addc_u32 s5, s49, 0
	s_cmp_eq_u32 s33, s7
	v_mov_b32_e32 v6, s2
	s_cselect_b64 s[30:31], -1, 0
	s_cmp_lg_u32 s33, s7
	v_cmp_lt_u64_e32 vcc, s[4:5], v[6:7]
	s_cselect_b64 s[4:5], -1, 0
	s_or_b64 s[4:5], vcc, s[4:5]
	v_add_u32_e32 v1, s8, v34
	s_mov_b64 s[6:7], -1
	s_and_b64 vcc, exec, s[4:5]
	v_add_u32_e32 v1, v1, v0
	s_cbranch_vccz .LBB1388_6
; %bb.5:
	v_add_u32_e32 v6, 0x100, v1
	v_lshlrev_b32_e32 v18, 2, v0
	v_add_u32_e32 v7, 0x200, v1
	v_add_u32_e32 v8, 0x300, v1
	;; [unrolled: 1-line block ×11, first 2 shown]
	ds_write2st64_b32 v18, v1, v6 offset1:4
	ds_write2st64_b32 v18, v7, v8 offset0:8 offset1:12
	ds_write2st64_b32 v18, v9, v10 offset0:16 offset1:20
	;; [unrolled: 1-line block ×5, first 2 shown]
	ds_write_b32 v18, v17 offset:12288
	s_waitcnt lgkmcnt(0)
	s_barrier
	s_mov_b64 s[6:7], 0
.LBB1388_6:
	s_andn2_b64 vcc, exec, s[6:7]
	s_add_i32 s3, s3, s48
	s_cbranch_vccnz .LBB1388_8
; %bb.7:
	v_add_u32_e32 v6, 0x100, v1
	v_lshlrev_b32_e32 v18, 2, v0
	v_add_u32_e32 v7, 0x200, v1
	v_add_u32_e32 v8, 0x300, v1
	;; [unrolled: 1-line block ×11, first 2 shown]
	ds_write2st64_b32 v18, v1, v6 offset1:4
	ds_write2st64_b32 v18, v7, v8 offset0:8 offset1:12
	ds_write2st64_b32 v18, v9, v10 offset0:16 offset1:20
	;; [unrolled: 1-line block ×5, first 2 shown]
	ds_write_b32 v18, v17 offset:12288
	s_waitcnt lgkmcnt(0)
	s_barrier
.LBB1388_8:
	v_mul_u32_u24_e32 v36, 13, v0
	v_lshlrev_b32_e32 v1, 2, v36
	ds_read2_b32 v[22:23], v1 offset1:1
	ds_read2_b32 v[20:21], v1 offset0:2 offset1:3
	ds_read2_b32 v[18:19], v1 offset0:4 offset1:5
	;; [unrolled: 1-line block ×5, first 2 shown]
	ds_read_b32 v35, v1 offset:48
	v_cndmask_b32_e64 v1, 0, 1, s[4:5]
	s_sub_i32 s86, s2, s3
	v_cmp_ne_u32_e64 s[2:3], 1, v1
	s_andn2_b64 vcc, exec, s[4:5]
	s_waitcnt lgkmcnt(0)
	s_barrier
	s_cbranch_vccnz .LBB1388_36
; %bb.9:
	v_add_u32_e32 v1, s37, v22
	v_add_u32_e32 v6, s39, v22
	v_mul_lo_u32 v1, v1, s36
	v_mul_lo_u32 v6, v6, s38
	v_sub_u32_e32 v1, v1, v6
	v_cmp_lt_u32_e32 vcc, s40, v1
	v_cmp_ge_u32_e64 s[4:5], s40, v1
	s_mov_b64 s[60:61], 0
	s_mov_b64 s[58:59], 0
	s_and_saveexec_b64 s[6:7], s[4:5]
; %bb.10:
	v_add_u32_e32 v1, s42, v22
	v_add_u32_e32 v6, s56, v22
	v_mul_lo_u32 v1, v1, s41
	v_mul_lo_u32 v6, v6, s43
	v_sub_u32_e32 v1, v1, v6
	v_cmp_lt_u32_e64 s[4:5], s57, v1
	s_and_b64 s[58:59], s[4:5], exec
; %bb.11:
	s_or_b64 exec, exec, s[6:7]
	v_add_u32_e32 v1, s37, v23
	v_add_u32_e32 v6, s39, v23
	v_mul_lo_u32 v1, v1, s36
	v_mul_lo_u32 v6, v6, s38
	v_sub_u32_e32 v1, v1, v6
	v_cmp_lt_u32_e64 s[4:5], s40, v1
	v_cmp_ge_u32_e64 s[6:7], s40, v1
	s_and_saveexec_b64 s[8:9], s[6:7]
; %bb.12:
	v_add_u32_e32 v1, s42, v23
	v_add_u32_e32 v6, s56, v23
	v_mul_lo_u32 v1, v1, s41
	v_mul_lo_u32 v6, v6, s43
	v_sub_u32_e32 v1, v1, v6
	v_cmp_lt_u32_e64 s[6:7], s57, v1
	s_and_b64 s[60:61], s[6:7], exec
; %bb.13:
	s_or_b64 exec, exec, s[8:9]
	v_add_u32_e32 v1, s37, v20
	v_add_u32_e32 v6, s39, v20
	v_mul_lo_u32 v1, v1, s36
	v_mul_lo_u32 v6, v6, s38
	v_sub_u32_e32 v1, v1, v6
	v_cmp_lt_u32_e64 s[6:7], s40, v1
	v_cmp_ge_u32_e64 s[8:9], s40, v1
	s_mov_b64 s[64:65], 0
	s_mov_b64 s[62:63], 0
	s_and_saveexec_b64 s[10:11], s[8:9]
; %bb.14:
	v_add_u32_e32 v1, s42, v20
	v_add_u32_e32 v6, s56, v20
	v_mul_lo_u32 v1, v1, s41
	v_mul_lo_u32 v6, v6, s43
	v_sub_u32_e32 v1, v1, v6
	v_cmp_lt_u32_e64 s[8:9], s57, v1
	s_and_b64 s[62:63], s[8:9], exec
; %bb.15:
	s_or_b64 exec, exec, s[10:11]
	v_add_u32_e32 v1, s37, v21
	v_add_u32_e32 v6, s39, v21
	v_mul_lo_u32 v1, v1, s36
	v_mul_lo_u32 v6, v6, s38
	v_sub_u32_e32 v1, v1, v6
	v_cmp_lt_u32_e64 s[8:9], s40, v1
	v_cmp_ge_u32_e64 s[10:11], s40, v1
	s_and_saveexec_b64 s[12:13], s[10:11]
; %bb.16:
	v_add_u32_e32 v1, s42, v21
	v_add_u32_e32 v6, s56, v21
	v_mul_lo_u32 v1, v1, s41
	v_mul_lo_u32 v6, v6, s43
	v_sub_u32_e32 v1, v1, v6
	v_cmp_lt_u32_e64 s[10:11], s57, v1
	s_and_b64 s[64:65], s[10:11], exec
; %bb.17:
	s_or_b64 exec, exec, s[12:13]
	v_add_u32_e32 v1, s37, v18
	v_add_u32_e32 v6, s39, v18
	v_mul_lo_u32 v1, v1, s36
	v_mul_lo_u32 v6, v6, s38
	v_sub_u32_e32 v1, v1, v6
	v_cmp_lt_u32_e64 s[10:11], s40, v1
	;; [unrolled: 38-line block ×5, first 2 shown]
	v_cmp_ge_u32_e64 s[24:25], s40, v1
	s_mov_b64 s[80:81], 0
	s_mov_b64 s[82:83], 0
	s_and_saveexec_b64 s[26:27], s[24:25]
; %bb.30:
	v_add_u32_e32 v1, s42, v12
	v_add_u32_e32 v6, s56, v12
	v_mul_lo_u32 v1, v1, s41
	v_mul_lo_u32 v6, v6, s43
	v_sub_u32_e32 v1, v1, v6
	v_cmp_lt_u32_e64 s[24:25], s57, v1
	s_and_b64 s[82:83], s[24:25], exec
; %bb.31:
	s_or_b64 exec, exec, s[26:27]
	v_add_u32_e32 v1, s37, v13
	v_add_u32_e32 v6, s39, v13
	v_mul_lo_u32 v1, v1, s36
	v_mul_lo_u32 v6, v6, s38
	v_sub_u32_e32 v1, v1, v6
	v_cmp_lt_u32_e64 s[24:25], s40, v1
	v_cmp_ge_u32_e64 s[26:27], s40, v1
	s_and_saveexec_b64 s[52:53], s[26:27]
; %bb.32:
	v_add_u32_e32 v1, s42, v13
	v_add_u32_e32 v6, s56, v13
	v_mul_lo_u32 v1, v1, s41
	v_mul_lo_u32 v6, v6, s43
	v_sub_u32_e32 v1, v1, v6
	v_cmp_lt_u32_e64 s[26:27], s57, v1
	s_and_b64 s[80:81], s[26:27], exec
; %bb.33:
	s_or_b64 exec, exec, s[52:53]
	v_add_u32_e32 v1, s37, v35
	v_add_u32_e32 v6, s39, v35
	v_mul_lo_u32 v1, v1, s36
	v_mul_lo_u32 v6, v6, s38
	v_sub_u32_e32 v1, v1, v6
	v_cmp_ge_u32_e64 s[26:27], s40, v1
	s_mov_b64 s[52:53], -1
	s_mov_b64 s[74:75], 0
	s_mov_b64 s[54:55], 0
	s_and_saveexec_b64 s[84:85], s[26:27]
; %bb.34:
	v_add_u32_e32 v1, s42, v35
	v_add_u32_e32 v6, s56, v35
	v_mul_lo_u32 v1, v1, s41
	v_mul_lo_u32 v6, v6, s43
	v_sub_u32_e32 v1, v1, v6
	v_cmp_lt_u32_e64 s[26:27], s57, v1
	s_and_b64 s[54:55], s[26:27], exec
	s_xor_b64 s[52:53], exec, -1
; %bb.35:
	s_or_b64 exec, exec, s[84:85]
	v_cndmask_b32_e64 v57, 0, 1, s[82:83]
	v_cndmask_b32_e64 v60, 0, 1, s[24:25]
	;; [unrolled: 1-line block ×22, first 2 shown]
	v_cndmask_b32_e64 v37, 0, 1, vcc
	v_cndmask_b32_e64 v59, 0, 1, s[80:81]
	s_add_i32 s16, s86, 0xd00
	s_and_b64 vcc, exec, s[74:75]
	s_cbranch_vccnz .LBB1388_37
	s_branch .LBB1388_90
.LBB1388_36:
                                        ; implicit-def: $sgpr52_sgpr53
                                        ; implicit-def: $sgpr54_sgpr55
                                        ; implicit-def: $vgpr59
                                        ; implicit-def: $vgpr57
                                        ; implicit-def: $vgpr55
                                        ; implicit-def: $vgpr53
                                        ; implicit-def: $vgpr51
                                        ; implicit-def: $vgpr49
                                        ; implicit-def: $vgpr47
                                        ; implicit-def: $vgpr45
                                        ; implicit-def: $vgpr43
                                        ; implicit-def: $vgpr37
                                        ; implicit-def: $vgpr39
                                        ; implicit-def: $vgpr41
                                        ; implicit-def: $vgpr44
                                        ; implicit-def: $vgpr46
                                        ; implicit-def: $vgpr48
                                        ; implicit-def: $vgpr50
                                        ; implicit-def: $vgpr52
                                        ; implicit-def: $vgpr54
                                        ; implicit-def: $vgpr56
                                        ; implicit-def: $vgpr58
                                        ; implicit-def: $vgpr60
                                        ; implicit-def: $vgpr38
                                        ; implicit-def: $vgpr40
                                        ; implicit-def: $vgpr42
	s_add_i32 s16, s86, 0xd00
	s_cbranch_execz .LBB1388_90
.LBB1388_37:
	v_cmp_gt_u32_e32 vcc, s16, v36
	v_mov_b32_e32 v38, 0
	v_mov_b32_e32 v37, 0
	s_and_saveexec_b64 s[6:7], vcc
	s_cbranch_execz .LBB1388_41
; %bb.38:
	v_add_u32_e32 v1, s37, v22
	v_add_u32_e32 v6, s39, v22
	v_mul_lo_u32 v1, v1, s36
	v_mul_lo_u32 v6, v6, s38
	v_sub_u32_e32 v1, v1, v6
	v_cmp_lt_u32_e32 vcc, s40, v1
	v_cmp_ge_u32_e64 s[4:5], s40, v1
	s_mov_b64 s[10:11], 0
	s_and_saveexec_b64 s[8:9], s[4:5]
; %bb.39:
	v_add_u32_e32 v1, s42, v22
	v_add_u32_e32 v6, s56, v22
	v_mul_lo_u32 v1, v1, s41
	v_mul_lo_u32 v6, v6, s43
	v_sub_u32_e32 v1, v1, v6
	v_cmp_lt_u32_e64 s[4:5], s57, v1
	s_and_b64 s[10:11], s[4:5], exec
; %bb.40:
	s_or_b64 exec, exec, s[8:9]
	v_cndmask_b32_e64 v37, 0, 1, vcc
	v_cndmask_b32_e64 v38, 0, 1, s[10:11]
.LBB1388_41:
	s_or_b64 exec, exec, s[6:7]
	v_add_u32_e32 v1, 1, v36
	v_cmp_gt_u32_e32 vcc, s16, v1
	v_mov_b32_e32 v39, 0
	v_mov_b32_e32 v40, 0
	s_and_saveexec_b64 s[6:7], vcc
	s_cbranch_execz .LBB1388_45
; %bb.42:
	v_add_u32_e32 v1, s37, v23
	v_add_u32_e32 v6, s39, v23
	v_mul_lo_u32 v1, v1, s36
	v_mul_lo_u32 v6, v6, s38
	v_sub_u32_e32 v1, v1, v6
	v_cmp_lt_u32_e32 vcc, s40, v1
	v_cmp_ge_u32_e64 s[4:5], s40, v1
	s_mov_b64 s[10:11], 0
	s_and_saveexec_b64 s[8:9], s[4:5]
; %bb.43:
	v_add_u32_e32 v1, s42, v23
	v_add_u32_e32 v6, s56, v23
	v_mul_lo_u32 v1, v1, s41
	v_mul_lo_u32 v6, v6, s43
	v_sub_u32_e32 v1, v1, v6
	v_cmp_lt_u32_e64 s[4:5], s57, v1
	s_and_b64 s[10:11], s[4:5], exec
; %bb.44:
	s_or_b64 exec, exec, s[8:9]
	v_cndmask_b32_e64 v39, 0, 1, vcc
	v_cndmask_b32_e64 v40, 0, 1, s[10:11]
.LBB1388_45:
	s_or_b64 exec, exec, s[6:7]
	v_add_u32_e32 v1, 2, v36
	;; [unrolled: 30-line block ×12, first 2 shown]
	v_cmp_gt_u32_e32 vcc, s16, v1
	s_mov_b64 s[52:53], 0
	s_mov_b64 s[54:55], 0
	s_and_saveexec_b64 s[4:5], vcc
	s_cbranch_execz .LBB1388_89
; %bb.86:
	v_add_u32_e32 v1, s37, v35
	v_add_u32_e32 v6, s39, v35
	v_mul_lo_u32 v1, v1, s36
	v_mul_lo_u32 v6, v6, s38
	v_sub_u32_e32 v1, v1, v6
	v_cmp_ge_u32_e32 vcc, s40, v1
	s_mov_b64 s[8:9], -1
	s_mov_b64 s[10:11], 0
	s_and_saveexec_b64 s[6:7], vcc
; %bb.87:
	v_add_u32_e32 v1, s42, v35
	v_add_u32_e32 v6, s56, v35
	v_mul_lo_u32 v1, v1, s41
	v_mul_lo_u32 v6, v6, s43
	v_sub_u32_e32 v1, v1, v6
	v_cmp_lt_u32_e32 vcc, s57, v1
	s_and_b64 s[10:11], vcc, exec
	s_xor_b64 s[8:9], exec, -1
; %bb.88:
	s_or_b64 exec, exec, s[6:7]
	s_and_b64 s[54:55], s[10:11], exec
	s_and_b64 s[52:53], s[8:9], exec
.LBB1388_89:
	s_or_b64 exec, exec, s[4:5]
.LBB1388_90:
	v_and_b32_e32 v68, 0xff, v38
	v_and_b32_e32 v79, 0xff, v40
	;; [unrolled: 1-line block ×5, first 2 shown]
	v_add3_u32 v6, v79, v70, v68
	v_and_b32_e32 v81, 0xff, v47
	v_and_b32_e32 v74, 0xff, v49
	v_add3_u32 v6, v6, v80, v72
	v_and_b32_e32 v67, 0xff, v37
	v_and_b32_e32 v61, 0xff, v39
	;; [unrolled: 1-line block ×5, first 2 shown]
	v_add3_u32 v6, v6, v81, v74
	v_and_b32_e32 v62, 0xff, v44
	v_and_b32_e32 v71, 0xff, v46
	;; [unrolled: 1-line block ×4, first 2 shown]
	v_add3_u32 v7, v61, v69, v67
	v_add3_u32 v6, v6, v82, v76
	v_and_b32_e32 v63, 0xff, v48
	v_and_b32_e32 v73, 0xff, v50
	;; [unrolled: 1-line block ×3, first 2 shown]
	v_cndmask_b32_e64 v1, 0, 1, s[54:55]
	v_add3_u32 v7, v7, v62, v71
	v_add3_u32 v6, v6, v83, v78
	v_and_b32_e32 v64, 0xff, v52
	v_and_b32_e32 v75, 0xff, v54
	v_add3_u32 v7, v7, v63, v73
	v_add3_u32 v91, v6, v84, v1
	v_mbcnt_lo_u32_b32 v1, -1, 0
	v_and_b32_e32 v65, 0xff, v56
	v_and_b32_e32 v77, 0xff, v58
	v_add3_u32 v7, v7, v64, v75
	v_mbcnt_hi_u32_b32 v85, -1, v1
	v_and_b32_e32 v66, 0xff, v60
	v_add3_u32 v7, v7, v65, v77
	v_cndmask_b32_e64 v8, 0, 1, s[52:53]
	v_and_b32_e32 v89, 15, v85
	s_cmp_lg_u32 s33, 0
	v_add3_u32 v90, v7, v66, v8
	v_cmp_eq_u32_e64 s[6:7], 0, v89
	v_cmp_lt_u32_e64 s[4:5], 1, v89
	v_cmp_lt_u32_e64 s[10:11], 3, v89
	;; [unrolled: 1-line block ×3, first 2 shown]
	v_and_b32_e32 v88, 16, v85
	v_cmp_lt_u32_e32 vcc, 31, v85
	v_lshrrev_b32_e32 v86, 6, v0
	v_or_b32_e32 v87, 63, v0
	s_cbranch_scc0 .LBB1388_119
; %bb.91:
	v_mov_b32_dpp v1, v90 row_shr:1 row_mask:0xf bank_mask:0xf
	v_mov_b32_dpp v6, v91 row_shr:1 row_mask:0xf bank_mask:0xf
	v_add_u32_e32 v1, v1, v90
	v_add_u32_e32 v6, v6, v91
	v_cndmask_b32_e64 v6, v6, v91, s[6:7]
	v_cndmask_b32_e64 v1, v1, v90, s[6:7]
	s_nop 0
	v_mov_b32_dpp v8, v6 row_shr:2 row_mask:0xf bank_mask:0xf
	v_mov_b32_dpp v7, v1 row_shr:2 row_mask:0xf bank_mask:0xf
	v_add_u32_e32 v7, v1, v7
	v_add_u32_e32 v8, v6, v8
	v_cndmask_b32_e64 v6, v6, v8, s[4:5]
	v_cndmask_b32_e64 v1, v1, v7, s[4:5]
	s_nop 0
	v_mov_b32_dpp v8, v6 row_shr:4 row_mask:0xf bank_mask:0xf
	v_mov_b32_dpp v7, v1 row_shr:4 row_mask:0xf bank_mask:0xf
	v_add_u32_e32 v7, v1, v7
	v_add_u32_e32 v8, v6, v8
	v_cndmask_b32_e64 v6, v6, v8, s[10:11]
	v_cndmask_b32_e64 v1, v1, v7, s[10:11]
	s_nop 0
	v_mov_b32_dpp v8, v6 row_shr:8 row_mask:0xf bank_mask:0xf
	v_mov_b32_dpp v7, v1 row_shr:8 row_mask:0xf bank_mask:0xf
	v_add_u32_e32 v7, v1, v7
	v_add_u32_e32 v8, v6, v8
	v_cndmask_b32_e64 v6, v6, v8, s[8:9]
	v_cndmask_b32_e64 v1, v1, v7, s[8:9]
	v_cmp_eq_u32_e64 s[8:9], 0, v88
	v_mov_b32_dpp v8, v6 row_bcast:15 row_mask:0xf bank_mask:0xf
	v_mov_b32_dpp v7, v1 row_bcast:15 row_mask:0xf bank_mask:0xf
	v_add_u32_e32 v7, v1, v7
	v_add_u32_e32 v8, v6, v8
	v_cndmask_b32_e64 v6, v8, v6, s[8:9]
	v_cndmask_b32_e64 v1, v7, v1, s[8:9]
	s_nop 0
	v_mov_b32_dpp v8, v6 row_bcast:31 row_mask:0xf bank_mask:0xf
	v_mov_b32_dpp v7, v1 row_bcast:31 row_mask:0xf bank_mask:0xf
	v_add_u32_e32 v8, v6, v8
	v_add_u32_e32 v9, v1, v7
	v_cndmask_b32_e32 v7, v6, v8, vcc
	v_cndmask_b32_e32 v6, v1, v9, vcc
	v_cmp_eq_u32_e32 vcc, v87, v0
	s_and_saveexec_b64 s[8:9], vcc
	s_cbranch_execz .LBB1388_93
; %bb.92:
	v_lshlrev_b32_e32 v1, 3, v86
	ds_write_b64 v1, v[6:7]
.LBB1388_93:
	s_or_b64 exec, exec, s[8:9]
	v_cmp_gt_u32_e32 vcc, 4, v0
	s_waitcnt lgkmcnt(0)
	s_barrier
	s_and_saveexec_b64 s[8:9], vcc
	s_cbranch_execz .LBB1388_95
; %bb.94:
	v_lshlrev_b32_e32 v1, 3, v0
	ds_read_b64 v[8:9], v1
	v_and_b32_e32 v10, 3, v85
	v_cmp_eq_u32_e32 vcc, 0, v10
	s_waitcnt lgkmcnt(0)
	v_mov_b32_dpp v11, v8 row_shr:1 row_mask:0xf bank_mask:0xf
	v_mov_b32_dpp v24, v9 row_shr:1 row_mask:0xf bank_mask:0xf
	v_add_u32_e32 v11, v11, v8
	v_add_u32_e32 v24, v24, v9
	v_cndmask_b32_e32 v9, v24, v9, vcc
	v_cndmask_b32_e32 v8, v11, v8, vcc
	v_cmp_lt_u32_e32 vcc, 1, v10
	v_mov_b32_dpp v24, v9 row_shr:2 row_mask:0xf bank_mask:0xf
	v_mov_b32_dpp v11, v8 row_shr:2 row_mask:0xf bank_mask:0xf
	v_cndmask_b32_e32 v10, 0, v11, vcc
	v_cndmask_b32_e32 v11, 0, v24, vcc
	v_add_u32_e32 v9, v11, v9
	v_add_u32_e32 v8, v10, v8
	ds_write_b64 v1, v[8:9]
.LBB1388_95:
	s_or_b64 exec, exec, s[8:9]
	v_cmp_gt_u32_e32 vcc, 64, v0
	v_cmp_lt_u32_e64 s[8:9], 63, v0
	s_waitcnt lgkmcnt(0)
	s_barrier
	s_waitcnt lgkmcnt(0)
                                        ; implicit-def: $vgpr25
	s_and_saveexec_b64 s[10:11], s[8:9]
	s_xor_b64 s[8:9], exec, s[10:11]
	s_cbranch_execz .LBB1388_97
; %bb.96:
	v_lshl_add_u32 v1, v86, 3, -8
	ds_read_b64 v[24:25], v1
	s_waitcnt lgkmcnt(0)
	v_add_u32_e32 v7, v25, v7
	v_add_u32_e32 v6, v24, v6
.LBB1388_97:
	s_andn2_saveexec_b64 s[8:9], s[8:9]
; %bb.98:
                                        ; implicit-def: $vgpr24
; %bb.99:
	s_or_b64 exec, exec, s[8:9]
	v_add_u32_e32 v1, -1, v85
	v_and_b32_e32 v8, 64, v85
	v_cmp_lt_i32_e64 s[8:9], v1, v8
	v_cndmask_b32_e64 v1, v1, v85, s[8:9]
	v_lshlrev_b32_e32 v8, 2, v1
	ds_bpermute_b32 v1, v8, v6
	ds_bpermute_b32 v92, v8, v7
	v_cmp_eq_u32_e64 s[8:9], 0, v85
	s_and_saveexec_b64 s[10:11], vcc
	s_cbranch_execz .LBB1388_118
; %bb.100:
	v_mov_b32_e32 v11, 0
	ds_read_b64 v[26:27], v11 offset:24
	s_and_saveexec_b64 s[12:13], s[8:9]
	s_cbranch_execz .LBB1388_102
; %bb.101:
	s_add_i32 s14, s33, 64
	s_mov_b32 s15, 0
	s_lshl_b64 s[14:15], s[14:15], 4
	s_waitcnt lgkmcnt(0)
	v_and_b32_e32 v6, 0xff000000, v27
	v_and_b32_e32 v7, 0xff0000, v27
	s_add_u32 s14, s50, s14
	v_or_b32_e32 v6, v7, v6
	v_and_b32_e32 v7, 0xff00, v27
	s_addc_u32 s15, s51, s15
	v_or_b32_e32 v6, v6, v7
	v_or_b32_sdwa v9, v6, v27 dst_sel:DWORD dst_unused:UNUSED_PAD src0_sel:DWORD src1_sel:BYTE_0
	v_mov_b32_e32 v10, 1
	v_mov_b32_e32 v8, v26
	v_pk_mov_b32 v[6:7], s[14:15], s[14:15] op_sel:[0,1]
	;;#ASMSTART
	global_store_dwordx4 v[6:7], v[8:11] off	
s_waitcnt vmcnt(0)
	;;#ASMEND
.LBB1388_102:
	s_or_b64 exec, exec, s[12:13]
	v_xad_u32 v28, v85, -1, s33
	v_add_u32_e32 v10, 64, v28
	v_lshlrev_b64 v[6:7], 4, v[10:11]
	v_mov_b32_e32 v8, s51
	v_add_co_u32_e32 v30, vcc, s50, v6
	v_addc_co_u32_e32 v31, vcc, v8, v7, vcc
	;;#ASMSTART
	global_load_dwordx4 v[6:9], v[30:31] off glc	
s_waitcnt vmcnt(0)
	;;#ASMEND
	v_and_b32_e32 v9, 0xff, v7
	v_and_b32_e32 v10, 0xff00, v7
	v_or3_b32 v9, 0, v9, v10
	v_or3_b32 v6, v6, 0, 0
	v_and_b32_e32 v10, 0xff000000, v7
	v_and_b32_e32 v7, 0xff0000, v7
	v_or3_b32 v7, v9, v7, v10
	v_or3_b32 v6, v6, 0, 0
	v_cmp_eq_u16_sdwa s[14:15], v8, v11 src0_sel:BYTE_0 src1_sel:DWORD
	s_and_saveexec_b64 s[12:13], s[14:15]
	s_cbranch_execz .LBB1388_106
; %bb.103:
	s_mov_b64 s[14:15], 0
	v_mov_b32_e32 v10, 0
.LBB1388_104:                           ; =>This Inner Loop Header: Depth=1
	;;#ASMSTART
	global_load_dwordx4 v[6:9], v[30:31] off glc	
s_waitcnt vmcnt(0)
	;;#ASMEND
	v_cmp_ne_u16_sdwa s[18:19], v8, v10 src0_sel:BYTE_0 src1_sel:DWORD
	s_or_b64 s[14:15], s[18:19], s[14:15]
	s_andn2_b64 exec, exec, s[14:15]
	s_cbranch_execnz .LBB1388_104
; %bb.105:
	s_or_b64 exec, exec, s[14:15]
.LBB1388_106:
	s_or_b64 exec, exec, s[12:13]
	v_and_b32_e32 v94, 63, v85
	v_cmp_ne_u32_e32 vcc, 63, v94
	v_mov_b32_e32 v93, 2
	v_addc_co_u32_e32 v30, vcc, 0, v85, vcc
	v_cmp_eq_u16_sdwa s[12:13], v8, v93 src0_sel:BYTE_0 src1_sel:DWORD
	v_lshlrev_b64 v[10:11], v85, -1
	v_lshlrev_b32_e32 v95, 2, v30
	v_and_b32_e32 v9, s13, v11
	ds_bpermute_b32 v30, v95, v6
	ds_bpermute_b32 v31, v95, v7
	v_or_b32_e32 v9, 0x80000000, v9
	v_and_b32_e32 v29, s12, v10
	v_ffbl_b32_e32 v9, v9
	v_add_u32_e32 v9, 32, v9
	v_ffbl_b32_e32 v29, v29
	v_min_u32_e32 v9, v29, v9
	s_waitcnt lgkmcnt(1)
	v_add_u32_e32 v29, v30, v6
	s_waitcnt lgkmcnt(0)
	v_add_u32_e32 v30, v31, v7
	v_cmp_lt_u32_e32 vcc, v94, v9
	v_cndmask_b32_e32 v7, v7, v30, vcc
	v_cndmask_b32_e32 v6, v6, v29, vcc
	v_cmp_gt_u32_e32 vcc, 62, v94
	v_cndmask_b32_e64 v29, 0, 1, vcc
	v_lshlrev_b32_e32 v29, 1, v29
	v_add_lshl_u32 v96, v29, v85, 2
	ds_bpermute_b32 v29, v96, v6
	ds_bpermute_b32 v30, v96, v7
	v_add_u32_e32 v97, 2, v94
	v_cmp_gt_u32_e32 vcc, v97, v9
	v_add_u32_e32 v99, 4, v94
	s_waitcnt lgkmcnt(1)
	v_add_u32_e32 v29, v6, v29
	s_waitcnt lgkmcnt(0)
	v_add_u32_e32 v30, v7, v30
	v_cndmask_b32_e32 v7, v30, v7, vcc
	v_cndmask_b32_e32 v6, v29, v6, vcc
	v_cmp_gt_u32_e32 vcc, 60, v94
	v_cndmask_b32_e64 v29, 0, 1, vcc
	v_lshlrev_b32_e32 v29, 2, v29
	v_add_lshl_u32 v98, v29, v85, 2
	ds_bpermute_b32 v29, v98, v6
	ds_bpermute_b32 v30, v98, v7
	v_cmp_gt_u32_e32 vcc, v99, v9
	v_add_u32_e32 v101, 8, v94
	v_add_u32_e32 v103, 16, v94
	s_waitcnt lgkmcnt(1)
	v_add_u32_e32 v29, v6, v29
	s_waitcnt lgkmcnt(0)
	v_add_u32_e32 v30, v7, v30
	v_cndmask_b32_e32 v7, v30, v7, vcc
	v_cndmask_b32_e32 v6, v29, v6, vcc
	v_cmp_gt_u32_e32 vcc, 56, v94
	v_cndmask_b32_e64 v29, 0, 1, vcc
	v_lshlrev_b32_e32 v29, 3, v29
	v_add_lshl_u32 v100, v29, v85, 2
	ds_bpermute_b32 v29, v100, v6
	ds_bpermute_b32 v30, v100, v7
	v_cmp_gt_u32_e32 vcc, v101, v9
	v_add_u32_e32 v105, 32, v94
	s_waitcnt lgkmcnt(1)
	v_add_u32_e32 v29, v6, v29
	s_waitcnt lgkmcnt(0)
	v_add_u32_e32 v30, v7, v30
	v_cndmask_b32_e32 v7, v30, v7, vcc
	v_cndmask_b32_e32 v6, v29, v6, vcc
	v_cmp_gt_u32_e32 vcc, 48, v94
	v_cndmask_b32_e64 v29, 0, 1, vcc
	v_lshlrev_b32_e32 v29, 4, v29
	v_add_lshl_u32 v102, v29, v85, 2
	ds_bpermute_b32 v29, v102, v6
	ds_bpermute_b32 v30, v102, v7
	v_cmp_gt_u32_e32 vcc, v103, v9
	s_waitcnt lgkmcnt(1)
	v_add_u32_e32 v29, v6, v29
	s_waitcnt lgkmcnt(0)
	v_add_u32_e32 v30, v7, v30
	v_cndmask_b32_e32 v7, v30, v7, vcc
	v_cndmask_b32_e32 v6, v29, v6, vcc
	v_cmp_gt_u32_e32 vcc, 32, v94
	v_cndmask_b32_e64 v29, 0, 1, vcc
	v_lshlrev_b32_e32 v29, 5, v29
	v_add_lshl_u32 v104, v29, v85, 2
	ds_bpermute_b32 v29, v104, v6
	ds_bpermute_b32 v30, v104, v7
	v_cmp_le_u32_e32 vcc, v105, v9
	s_waitcnt lgkmcnt(1)
	v_cndmask_b32_e32 v9, 0, v29, vcc
	s_waitcnt lgkmcnt(0)
	v_cndmask_b32_e32 v29, 0, v30, vcc
	v_add_u32_e32 v7, v7, v29
	v_add_u32_e32 v6, v6, v9
	v_mov_b32_e32 v29, 0
	s_branch .LBB1388_108
.LBB1388_107:                           ;   in Loop: Header=BB1388_108 Depth=1
	s_or_b64 exec, exec, s[12:13]
	v_cmp_eq_u16_sdwa s[12:13], v8, v93 src0_sel:BYTE_0 src1_sel:DWORD
	v_and_b32_e32 v9, s13, v11
	ds_bpermute_b32 v33, v95, v6
	ds_bpermute_b32 v106, v95, v7
	v_or_b32_e32 v9, 0x80000000, v9
	v_and_b32_e32 v32, s12, v10
	v_ffbl_b32_e32 v9, v9
	v_add_u32_e32 v9, 32, v9
	v_ffbl_b32_e32 v32, v32
	v_min_u32_e32 v9, v32, v9
	s_waitcnt lgkmcnt(1)
	v_add_u32_e32 v32, v33, v6
	s_waitcnt lgkmcnt(0)
	v_add_u32_e32 v33, v106, v7
	v_cmp_lt_u32_e32 vcc, v94, v9
	v_cndmask_b32_e32 v7, v7, v33, vcc
	v_cndmask_b32_e32 v6, v6, v32, vcc
	ds_bpermute_b32 v32, v96, v6
	ds_bpermute_b32 v33, v96, v7
	v_cmp_gt_u32_e32 vcc, v97, v9
	v_subrev_u32_e32 v28, 64, v28
	s_waitcnt lgkmcnt(1)
	v_add_u32_e32 v32, v6, v32
	s_waitcnt lgkmcnt(0)
	v_add_u32_e32 v33, v7, v33
	v_cndmask_b32_e32 v7, v33, v7, vcc
	v_cndmask_b32_e32 v6, v32, v6, vcc
	ds_bpermute_b32 v32, v98, v6
	ds_bpermute_b32 v33, v98, v7
	v_cmp_gt_u32_e32 vcc, v99, v9
	s_waitcnt lgkmcnt(1)
	v_add_u32_e32 v32, v6, v32
	s_waitcnt lgkmcnt(0)
	v_add_u32_e32 v33, v7, v33
	v_cndmask_b32_e32 v7, v33, v7, vcc
	v_cndmask_b32_e32 v6, v32, v6, vcc
	ds_bpermute_b32 v32, v100, v6
	ds_bpermute_b32 v33, v100, v7
	v_cmp_gt_u32_e32 vcc, v101, v9
	;; [unrolled: 9-line block ×3, first 2 shown]
	s_waitcnt lgkmcnt(1)
	v_add_u32_e32 v32, v6, v32
	s_waitcnt lgkmcnt(0)
	v_add_u32_e32 v33, v7, v33
	v_cndmask_b32_e32 v7, v33, v7, vcc
	v_cndmask_b32_e32 v6, v32, v6, vcc
	ds_bpermute_b32 v32, v104, v6
	ds_bpermute_b32 v33, v104, v7
	v_cmp_le_u32_e32 vcc, v105, v9
	s_waitcnt lgkmcnt(1)
	v_cndmask_b32_e32 v9, 0, v32, vcc
	s_waitcnt lgkmcnt(0)
	v_cndmask_b32_e32 v32, 0, v33, vcc
	v_add3_u32 v7, v32, v31, v7
	v_add3_u32 v6, v9, v30, v6
.LBB1388_108:                           ; =>This Loop Header: Depth=1
                                        ;     Child Loop BB1388_111 Depth 2
	v_cmp_ne_u16_sdwa s[12:13], v8, v93 src0_sel:BYTE_0 src1_sel:DWORD
	v_cndmask_b32_e64 v8, 0, 1, s[12:13]
	;;#ASMSTART
	;;#ASMEND
	v_cmp_ne_u32_e32 vcc, 0, v8
	s_cmp_lg_u64 vcc, exec
	v_pk_mov_b32 v[30:31], v[6:7], v[6:7] op_sel:[0,1]
	s_cbranch_scc1 .LBB1388_113
; %bb.109:                              ;   in Loop: Header=BB1388_108 Depth=1
	v_lshlrev_b64 v[6:7], 4, v[28:29]
	v_mov_b32_e32 v8, s51
	v_add_co_u32_e32 v32, vcc, s50, v6
	v_addc_co_u32_e32 v33, vcc, v8, v7, vcc
	;;#ASMSTART
	global_load_dwordx4 v[6:9], v[32:33] off glc	
s_waitcnt vmcnt(0)
	;;#ASMEND
	v_and_b32_e32 v9, 0xff, v7
	v_and_b32_e32 v106, 0xff00, v7
	v_or3_b32 v9, 0, v9, v106
	v_or3_b32 v6, v6, 0, 0
	v_and_b32_e32 v106, 0xff000000, v7
	v_and_b32_e32 v7, 0xff0000, v7
	v_or3_b32 v7, v9, v7, v106
	v_or3_b32 v6, v6, 0, 0
	v_cmp_eq_u16_sdwa s[14:15], v8, v29 src0_sel:BYTE_0 src1_sel:DWORD
	s_and_saveexec_b64 s[12:13], s[14:15]
	s_cbranch_execz .LBB1388_107
; %bb.110:                              ;   in Loop: Header=BB1388_108 Depth=1
	s_mov_b64 s[14:15], 0
.LBB1388_111:                           ;   Parent Loop BB1388_108 Depth=1
                                        ; =>  This Inner Loop Header: Depth=2
	;;#ASMSTART
	global_load_dwordx4 v[6:9], v[32:33] off glc	
s_waitcnt vmcnt(0)
	;;#ASMEND
	v_cmp_ne_u16_sdwa s[18:19], v8, v29 src0_sel:BYTE_0 src1_sel:DWORD
	s_or_b64 s[14:15], s[18:19], s[14:15]
	s_andn2_b64 exec, exec, s[14:15]
	s_cbranch_execnz .LBB1388_111
; %bb.112:                              ;   in Loop: Header=BB1388_108 Depth=1
	s_or_b64 exec, exec, s[14:15]
	s_branch .LBB1388_107
.LBB1388_113:                           ;   in Loop: Header=BB1388_108 Depth=1
                                        ; implicit-def: $vgpr8
                                        ; implicit-def: $vgpr6_vgpr7
	s_cbranch_execz .LBB1388_108
; %bb.114:
	s_and_saveexec_b64 s[12:13], s[8:9]
	s_cbranch_execz .LBB1388_116
; %bb.115:
	s_add_i32 s14, s33, 64
	s_mov_b32 s15, 0
	v_add_u32_e32 v7, v31, v27
	s_lshl_b64 s[14:15], s[14:15], 4
	s_add_u32 s14, s50, s14
	v_and_b32_e32 v8, 0xff000000, v7
	v_and_b32_e32 v10, 0xff0000, v7
	s_addc_u32 s15, s51, s15
	v_or_b32_e32 v8, v10, v8
	v_and_b32_e32 v10, 0xff00, v7
	v_and_b32_e32 v7, 0xff, v7
	v_add_u32_e32 v6, v30, v26
	v_mov_b32_e32 v9, 0
	v_or3_b32 v7, v8, v10, v7
	v_mov_b32_e32 v8, 2
	v_pk_mov_b32 v[10:11], s[14:15], s[14:15] op_sel:[0,1]
	;;#ASMSTART
	global_store_dwordx4 v[10:11], v[6:9] off	
s_waitcnt vmcnt(0)
	;;#ASMEND
	s_movk_i32 s14, 0x3400
	v_add_u32_e64 v6, s14, 0
	ds_write2_b32 v6, v26, v27 offset1:2
	ds_write2_b32 v6, v30, v31 offset0:4 offset1:6
.LBB1388_116:
	s_or_b64 exec, exec, s[12:13]
	s_and_b64 exec, exec, s[0:1]
	s_cbranch_execz .LBB1388_118
; %bb.117:
	v_mov_b32_e32 v6, 0
	ds_write_b64 v6, v[30:31] offset:24
.LBB1388_118:
	s_or_b64 exec, exec, s[10:11]
	v_mov_b32_e32 v6, 0
	s_waitcnt lgkmcnt(0)
	s_barrier
	ds_read_b64 v[10:11], v6 offset:24
	v_cndmask_b32_e64 v25, v92, v25, s[8:9]
	v_cndmask_b32_e64 v1, v1, v24, s[8:9]
	s_movk_i32 s8, 0x3400
	s_waitcnt lgkmcnt(0)
	v_add_u32_e32 v24, v10, v1
	v_add_u32_e64 v1, s8, 0
	s_barrier
	ds_read2_b32 v[6:7], v1 offset1:2
	ds_read2_b32 v[8:9], v1 offset0:4 offset1:6
	v_add_u32_e32 v1, v11, v25
	v_cndmask_b32_e64 v1, v1, v11, s[0:1]
	v_cndmask_b32_e64 v10, v24, v10, s[0:1]
	s_branch .LBB1388_129
.LBB1388_119:
                                        ; implicit-def: $vgpr1
                                        ; implicit-def: $vgpr8
                                        ; implicit-def: $vgpr6
                                        ; implicit-def: $vgpr10_vgpr11
	s_cbranch_execz .LBB1388_129
; %bb.120:
	s_nop 0
	v_mov_b32_dpp v1, v90 row_shr:1 row_mask:0xf bank_mask:0xf
	s_waitcnt lgkmcnt(1)
	v_mov_b32_dpp v6, v91 row_shr:1 row_mask:0xf bank_mask:0xf
	v_add_u32_e32 v1, v1, v90
	v_add_u32_e32 v6, v6, v91
	v_cndmask_b32_e64 v6, v6, v91, s[6:7]
	v_cndmask_b32_e64 v1, v1, v90, s[6:7]
	v_cmp_lt_u32_e32 vcc, 3, v89
	s_waitcnt lgkmcnt(0)
	v_mov_b32_dpp v8, v6 row_shr:2 row_mask:0xf bank_mask:0xf
	v_mov_b32_dpp v7, v1 row_shr:2 row_mask:0xf bank_mask:0xf
	v_add_u32_e32 v7, v1, v7
	v_add_u32_e32 v8, v6, v8
	v_cndmask_b32_e64 v6, v6, v8, s[4:5]
	v_cndmask_b32_e64 v1, v1, v7, s[4:5]
	s_nop 0
	v_mov_b32_dpp v8, v6 row_shr:4 row_mask:0xf bank_mask:0xf
	v_mov_b32_dpp v7, v1 row_shr:4 row_mask:0xf bank_mask:0xf
	v_add_u32_e32 v7, v1, v7
	v_add_u32_e32 v8, v6, v8
	v_cndmask_b32_e32 v6, v6, v8, vcc
	v_cndmask_b32_e32 v1, v1, v7, vcc
	v_cmp_lt_u32_e32 vcc, 7, v89
	v_mov_b32_dpp v8, v6 row_shr:8 row_mask:0xf bank_mask:0xf
	v_mov_b32_dpp v7, v1 row_shr:8 row_mask:0xf bank_mask:0xf
	v_add_u32_e32 v7, v1, v7
	v_add_u32_e32 v8, v6, v8
	v_cndmask_b32_e32 v6, v6, v8, vcc
	v_cndmask_b32_e32 v1, v1, v7, vcc
	v_cmp_eq_u32_e32 vcc, 0, v88
	v_mov_b32_dpp v8, v6 row_bcast:15 row_mask:0xf bank_mask:0xf
	v_mov_b32_dpp v7, v1 row_bcast:15 row_mask:0xf bank_mask:0xf
	v_add_u32_e32 v7, v1, v7
	v_add_u32_e32 v8, v6, v8
	v_cndmask_b32_e32 v6, v8, v6, vcc
	v_cndmask_b32_e32 v1, v7, v1, vcc
	v_cmp_lt_u32_e32 vcc, 31, v85
	v_mov_b32_dpp v8, v6 row_bcast:31 row_mask:0xf bank_mask:0xf
	v_mov_b32_dpp v7, v1 row_bcast:31 row_mask:0xf bank_mask:0xf
	v_add_u32_e32 v8, v6, v8
	v_add_u32_e32 v9, v1, v7
	v_cndmask_b32_e32 v7, v6, v8, vcc
	v_cndmask_b32_e32 v6, v1, v9, vcc
	v_cmp_eq_u32_e32 vcc, v87, v0
	s_and_saveexec_b64 s[4:5], vcc
	s_cbranch_execz .LBB1388_122
; %bb.121:
	v_lshlrev_b32_e32 v1, 3, v86
	ds_write_b64 v1, v[6:7]
.LBB1388_122:
	s_or_b64 exec, exec, s[4:5]
	v_cmp_gt_u32_e32 vcc, 4, v0
	s_waitcnt lgkmcnt(0)
	s_barrier
	s_and_saveexec_b64 s[4:5], vcc
	s_cbranch_execz .LBB1388_124
; %bb.123:
	v_lshlrev_b32_e32 v1, 3, v0
	ds_read_b64 v[8:9], v1
	v_and_b32_e32 v10, 3, v85
	v_cmp_eq_u32_e32 vcc, 0, v10
	s_waitcnt lgkmcnt(0)
	v_mov_b32_dpp v11, v8 row_shr:1 row_mask:0xf bank_mask:0xf
	v_mov_b32_dpp v24, v9 row_shr:1 row_mask:0xf bank_mask:0xf
	v_add_u32_e32 v11, v11, v8
	v_add_u32_e32 v24, v24, v9
	v_cndmask_b32_e32 v9, v24, v9, vcc
	v_cndmask_b32_e32 v8, v11, v8, vcc
	v_cmp_lt_u32_e32 vcc, 1, v10
	v_mov_b32_dpp v24, v9 row_shr:2 row_mask:0xf bank_mask:0xf
	v_mov_b32_dpp v11, v8 row_shr:2 row_mask:0xf bank_mask:0xf
	v_cndmask_b32_e32 v10, 0, v11, vcc
	v_cndmask_b32_e32 v11, 0, v24, vcc
	v_add_u32_e32 v9, v11, v9
	v_add_u32_e32 v8, v10, v8
	ds_write_b64 v1, v[8:9]
.LBB1388_124:
	s_or_b64 exec, exec, s[4:5]
	v_cmp_lt_u32_e32 vcc, 63, v0
	v_mov_b32_e32 v8, 0
	v_mov_b32_e32 v10, 0
	;; [unrolled: 1-line block ×3, first 2 shown]
	s_waitcnt lgkmcnt(0)
	s_barrier
	s_and_saveexec_b64 s[4:5], vcc
	s_cbranch_execz .LBB1388_126
; %bb.125:
	v_lshl_add_u32 v1, v86, 3, -8
	ds_read_b64 v[10:11], v1
.LBB1388_126:
	s_or_b64 exec, exec, s[4:5]
	s_waitcnt lgkmcnt(0)
	v_add_u32_e32 v9, v11, v7
	v_add_u32_e32 v1, v10, v6
	v_add_u32_e32 v6, -1, v85
	v_and_b32_e32 v7, 64, v85
	v_cmp_lt_i32_e32 vcc, v6, v7
	v_cndmask_b32_e32 v6, v6, v85, vcc
	v_lshlrev_b32_e32 v24, 2, v6
	ds_read_b64 v[6:7], v8 offset:24
	ds_bpermute_b32 v1, v24, v1
	ds_bpermute_b32 v24, v24, v9
	s_waitcnt lgkmcnt(2)
	v_readfirstlane_b32 s6, v7
	s_and_saveexec_b64 s[4:5], s[0:1]
	s_cbranch_execz .LBB1388_128
; %bb.127:
	s_add_u32 s8, s50, 0x400
	s_mov_b32 s10, 0
	s_addc_u32 s9, s51, 0
	s_and_b32 s11, s6, 0xff000000
	s_and_b32 s13, s6, 0xff0000
	s_mov_b32 s12, s10
	s_or_b64 s[12:13], s[12:13], s[10:11]
	s_and_b32 s11, s6, 0xff00
	s_or_b64 s[12:13], s[12:13], s[10:11]
	s_and_b32 s11, s6, 0xff
	s_or_b64 s[10:11], s[12:13], s[10:11]
	v_mov_b32_e32 v7, s11
	v_mov_b32_e32 v8, 2
	;; [unrolled: 1-line block ×3, first 2 shown]
	v_pk_mov_b32 v[26:27], s[8:9], s[8:9] op_sel:[0,1]
	;;#ASMSTART
	global_store_dwordx4 v[26:27], v[6:9] off	
s_waitcnt vmcnt(0)
	;;#ASMEND
.LBB1388_128:
	s_or_b64 exec, exec, s[4:5]
	v_cmp_eq_u32_e32 vcc, 0, v85
	s_waitcnt lgkmcnt(1)
	v_cndmask_b32_e32 v7, v1, v10, vcc
	s_waitcnt lgkmcnt(0)
	v_cndmask_b32_e32 v1, v24, v11, vcc
	v_mov_b32_e32 v8, 0
	v_cndmask_b32_e64 v1, v1, 0, s[0:1]
	v_cndmask_b32_e64 v10, v7, 0, s[0:1]
	s_barrier
	v_mov_b32_e32 v7, s6
	v_mov_b32_e32 v9, 0
.LBB1388_129:
	v_add_u32_e32 v11, v10, v67
	v_add_u32_e32 v26, v1, v68
	;; [unrolled: 1-line block ×13, first 2 shown]
	s_waitcnt vmcnt(0) lgkmcnt(0)
	v_add_co_u32_e32 v2, vcc, v2, v8
	v_add_u32_e32 v68, v62, v74
	v_add_u32_e32 v64, v67, v64
	v_addc_co_u32_e32 v3, vcc, 0, v3, vcc
	v_add_u32_e32 v69, v68, v82
	v_add_u32_e32 v70, v64, v75
	v_sub_co_u32_e32 v24, vcc, v4, v6
	v_add_u32_e32 v71, v69, v76
	v_add_u32_e32 v65, v70, v65
	v_subbrev_co_u32_e32 v25, vcc, 0, v5, vcc
	v_lshlrev_b32_e32 v76, 1, v6
	v_sub_u32_e32 v1, v1, v9
	v_add_u32_e32 v73, v65, v77
	v_add_co_u32_e32 v24, vcc, v24, v9
	v_add_u32_e32 v77, v76, v7
	v_sub_u32_e32 v10, v10, v8
	v_add_u32_e32 v1, v1, v6
	v_addc_co_u32_e32 v25, vcc, 0, v25, vcc
	v_add_u32_e32 v36, v77, v36
	v_and_b32_e32 v38, 1, v38
	v_add_u32_e32 v77, v10, v1
	v_and_b32_e32 v37, 1, v37
	v_sub_u32_e32 v77, v36, v77
	v_cmp_eq_u32_e32 vcc, 1, v38
	v_cndmask_b32_e32 v1, v77, v1, vcc
	v_cmp_eq_u32_e32 vcc, 1, v37
	v_cndmask_b32_e32 v1, v1, v10, vcc
	v_lshlrev_b32_e32 v1, 2, v1
	ds_write_b32 v1, v22
	v_sub_u32_e32 v1, v11, v8
	v_sub_u32_e32 v11, v26, v9
	v_add_u32_e32 v11, v11, v6
	v_add_u32_e32 v26, v11, v1
	v_and_b32_e32 v22, 1, v40
	v_sub_u32_e32 v26, v36, v26
	v_and_b32_e32 v10, 1, v39
	v_add_u32_e32 v26, 1, v26
	v_cmp_eq_u32_e32 vcc, 1, v22
	v_cndmask_b32_e32 v11, v26, v11, vcc
	v_cmp_eq_u32_e32 vcc, 1, v10
	v_cndmask_b32_e32 v1, v11, v1, vcc
	v_lshlrev_b32_e32 v1, 2, v1
	v_sub_u32_e32 v11, v27, v9
	ds_write_b32 v1, v23
	v_sub_u32_e32 v1, v28, v8
	v_add_u32_e32 v11, v11, v6
	v_add_u32_e32 v23, v11, v1
	v_and_b32_e32 v22, 1, v42
	v_sub_u32_e32 v23, v36, v23
	v_and_b32_e32 v10, 1, v41
	v_add_u32_e32 v23, 2, v23
	v_cmp_eq_u32_e32 vcc, 1, v22
	v_cndmask_b32_e32 v11, v23, v11, vcc
	v_cmp_eq_u32_e32 vcc, 1, v10
	v_cndmask_b32_e32 v1, v11, v1, vcc
	v_lshlrev_b32_e32 v1, 2, v1
	v_sub_u32_e32 v11, v30, v9
	ds_write_b32 v1, v20
	;; [unrolled: 14-line block ×8, first 2 shown]
	v_sub_u32_e32 v1, v70, v8
	v_add_u32_e32 v11, v11, v6
	v_add_u32_e32 v16, v1, v11
	v_and_b32_e32 v14, 1, v55
	v_sub_u32_e32 v16, v36, v16
	v_and_b32_e32 v10, 1, v56
	v_add_u32_e32 v16, 9, v16
	v_cmp_eq_u32_e32 vcc, 1, v14
	v_cndmask_b32_e32 v11, v16, v11, vcc
	v_cmp_eq_u32_e32 vcc, 1, v10
	v_add_u32_e32 v72, v71, v83
	v_cndmask_b32_e32 v1, v11, v1, vcc
	v_lshlrev_b32_e32 v1, 2, v1
	v_sub_u32_e32 v11, v72, v9
	ds_write_b32 v1, v15
	v_sub_u32_e32 v1, v65, v8
	v_add_u32_e32 v11, v11, v6
	v_add_u32_e32 v15, v1, v11
	v_and_b32_e32 v14, 1, v57
	v_sub_u32_e32 v15, v36, v15
	v_and_b32_e32 v10, 1, v58
	v_add_u32_e32 v15, 10, v15
	v_cmp_eq_u32_e32 vcc, 1, v14
	v_cndmask_b32_e32 v11, v15, v11, vcc
	v_cmp_eq_u32_e32 vcc, 1, v10
	v_add_u32_e32 v74, v72, v78
	v_cndmask_b32_e32 v1, v11, v1, vcc
	v_lshlrev_b32_e32 v1, 2, v1
	v_sub_u32_e32 v11, v74, v9
	ds_write_b32 v1, v12
	v_sub_u32_e32 v1, v73, v8
	v_add_u32_e32 v11, v11, v6
	v_add_u32_e32 v14, v1, v11
	v_and_b32_e32 v12, 1, v59
	v_sub_u32_e32 v14, v36, v14
	v_and_b32_e32 v10, 1, v60
	v_add_u32_e32 v14, 11, v14
	v_cmp_eq_u32_e32 vcc, 1, v12
	v_cndmask_b32_e32 v11, v14, v11, vcc
	v_cmp_eq_u32_e32 vcc, 1, v10
	v_cndmask_b32_e32 v1, v11, v1, vcc
	v_add_u32_e32 v75, v74, v84
	v_add_u32_e32 v66, v73, v66
	v_lshlrev_b32_e32 v1, 2, v1
	ds_write_b32 v1, v13
	v_sub_u32_e32 v1, v66, v8
	v_sub_u32_e32 v8, v75, v9
	v_add_u32_e32 v8, v8, v6
	v_add_u32_e32 v10, v1, v8
	v_sub_u32_e32 v10, v36, v10
	v_add_u32_e32 v10, 12, v10
	v_cndmask_b32_e64 v8, v10, v8, s[54:55]
	v_cndmask_b32_e64 v1, v8, v1, s[52:53]
	v_lshlrev_b32_e32 v1, 2, v1
	ds_write_b32 v1, v35
	v_mov_b32_e32 v1, s49
	v_add_co_u32_e32 v8, vcc, s48, v34
	v_addc_co_u32_e32 v10, vcc, 0, v1, vcc
	v_add_co_u32_e32 v1, vcc, v7, v76
	v_addc_co_u32_e64 v11, s[4:5], 0, 0, vcc
	v_add_co_u32_e32 v1, vcc, v1, v24
	v_addc_co_u32_e32 v11, vcc, v11, v25, vcc
	v_add_co_u32_e32 v1, vcc, v1, v2
	v_addc_co_u32_e32 v11, vcc, v11, v3, vcc
	v_sub_co_u32_e32 v1, vcc, v8, v1
	v_subb_co_u32_e32 v8, vcc, v10, v11, vcc
	v_lshlrev_b64 v[10:11], 2, v[24:25]
	v_mov_b32_e32 v12, s47
	v_add_co_u32_e32 v10, vcc, s46, v10
	v_addc_co_u32_e32 v11, vcc, v12, v11, vcc
	v_lshlrev_b64 v[12:13], 2, v[2:3]
	v_mov_b32_e32 v15, s45
	v_add_co_u32_e32 v12, vcc, s44, v12
	s_add_u32 s8, s34, -4
	v_addc_co_u32_e32 v13, vcc, v15, v13, vcc
	s_addc_u32 s9, s35, -1
	v_add_u32_e32 v14, v6, v7
	s_and_b64 vcc, exec, s[2:3]
	s_mov_b64 s[2:3], -1
	s_waitcnt lgkmcnt(0)
	s_barrier
	s_cbranch_vccz .LBB1388_133
; %bb.130:
	s_and_b64 vcc, exec, s[2:3]
	s_cbranch_vccnz .LBB1388_238
.LBB1388_131:
	s_and_b64 s[0:1], s[0:1], s[30:31]
	s_and_saveexec_b64 s[2:3], s[0:1]
	s_cbranch_execnz .LBB1388_356
.LBB1388_132:
	s_endpgm
.LBB1388_133:
	v_cmp_le_u32_e32 vcc, v6, v0
	s_and_saveexec_b64 s[2:3], vcc
	s_xor_b64 s[2:3], exec, s[2:3]
	s_cbranch_execz .LBB1388_139
; %bb.134:
	v_cmp_le_u32_e32 vcc, v14, v0
	s_and_saveexec_b64 s[4:5], vcc
	s_xor_b64 s[4:5], exec, s[4:5]
	s_cbranch_execz .LBB1388_136
; %bb.135:
	v_lshlrev_b32_e32 v15, 2, v0
	v_add_co_u32_e32 v16, vcc, v1, v0
	ds_read_b32 v15, v15
	v_addc_co_u32_e32 v17, vcc, 0, v8, vcc
	v_lshlrev_b64 v[16:17], 2, v[16:17]
	v_mov_b32_e32 v18, s35
	v_sub_co_u32_e32 v16, vcc, s34, v16
	v_subb_co_u32_e32 v17, vcc, v18, v17, vcc
	s_waitcnt lgkmcnt(0)
	global_store_dword v[16:17], v15, off offset:-4
.LBB1388_136:
	s_andn2_saveexec_b64 s[4:5], s[4:5]
	s_cbranch_execz .LBB1388_138
; %bb.137:
	v_lshlrev_b32_e32 v15, 2, v0
	ds_read_b32 v16, v15
	v_readfirstlane_b32 s6, v10
	v_readfirstlane_b32 s7, v11
	s_waitcnt lgkmcnt(0)
	s_nop 3
	global_store_dword v15, v16, s[6:7]
.LBB1388_138:
	s_or_b64 exec, exec, s[4:5]
.LBB1388_139:
	s_andn2_saveexec_b64 s[2:3], s[2:3]
	s_cbranch_execz .LBB1388_141
; %bb.140:
	v_lshlrev_b32_e32 v15, 2, v0
	ds_read_b32 v16, v15
	v_readfirstlane_b32 s4, v12
	v_readfirstlane_b32 s5, v13
	s_waitcnt lgkmcnt(0)
	s_nop 3
	global_store_dword v15, v16, s[4:5]
.LBB1388_141:
	s_or_b64 exec, exec, s[2:3]
	v_or_b32_e32 v15, 0x100, v0
	v_cmp_le_u32_e32 vcc, v6, v15
	s_and_saveexec_b64 s[2:3], vcc
	s_xor_b64 s[2:3], exec, s[2:3]
	s_cbranch_execz .LBB1388_147
; %bb.142:
	v_cmp_le_u32_e32 vcc, v14, v15
	s_and_saveexec_b64 s[4:5], vcc
	s_xor_b64 s[4:5], exec, s[4:5]
	s_cbranch_execz .LBB1388_144
; %bb.143:
	v_lshlrev_b32_e32 v15, 2, v0
	ds_read_b32 v15, v15 offset:1024
	v_add_co_u32_e32 v16, vcc, v1, v0
	v_addc_co_u32_e32 v17, vcc, 0, v8, vcc
	v_lshlrev_b64 v[16:17], 2, v[16:17]
	v_mov_b32_e32 v18, s9
	v_sub_co_u32_e32 v16, vcc, s8, v16
	v_subb_co_u32_e32 v17, vcc, v18, v17, vcc
	s_waitcnt lgkmcnt(0)
	global_store_dword v[16:17], v15, off offset:-1024
.LBB1388_144:
	s_andn2_saveexec_b64 s[4:5], s[4:5]
	s_cbranch_execz .LBB1388_146
; %bb.145:
	v_lshlrev_b32_e32 v15, 2, v0
	ds_read_b32 v16, v15 offset:1024
	v_readfirstlane_b32 s6, v10
	v_readfirstlane_b32 s7, v11
	s_waitcnt lgkmcnt(0)
	s_nop 3
	global_store_dword v15, v16, s[6:7] offset:1024
.LBB1388_146:
	s_or_b64 exec, exec, s[4:5]
.LBB1388_147:
	s_andn2_saveexec_b64 s[2:3], s[2:3]
	s_cbranch_execz .LBB1388_149
; %bb.148:
	v_lshlrev_b32_e32 v15, 2, v0
	ds_read_b32 v16, v15 offset:1024
	v_readfirstlane_b32 s4, v12
	v_readfirstlane_b32 s5, v13
	s_waitcnt lgkmcnt(0)
	s_nop 3
	global_store_dword v15, v16, s[4:5] offset:1024
.LBB1388_149:
	s_or_b64 exec, exec, s[2:3]
	v_or_b32_e32 v15, 0x200, v0
	v_cmp_le_u32_e32 vcc, v6, v15
	s_and_saveexec_b64 s[2:3], vcc
	s_xor_b64 s[2:3], exec, s[2:3]
	s_cbranch_execz .LBB1388_155
; %bb.150:
	v_cmp_le_u32_e32 vcc, v14, v15
	s_and_saveexec_b64 s[4:5], vcc
	s_xor_b64 s[4:5], exec, s[4:5]
	s_cbranch_execz .LBB1388_152
; %bb.151:
	v_lshlrev_b32_e32 v15, 2, v0
	ds_read_b32 v15, v15 offset:2048
	v_add_co_u32_e32 v16, vcc, v1, v0
	v_addc_co_u32_e32 v17, vcc, 0, v8, vcc
	v_lshlrev_b64 v[16:17], 2, v[16:17]
	v_mov_b32_e32 v18, s9
	v_sub_co_u32_e32 v16, vcc, s8, v16
	v_subb_co_u32_e32 v17, vcc, v18, v17, vcc
	s_waitcnt lgkmcnt(0)
	global_store_dword v[16:17], v15, off offset:-2048
.LBB1388_152:
	s_andn2_saveexec_b64 s[4:5], s[4:5]
	s_cbranch_execz .LBB1388_154
; %bb.153:
	v_lshlrev_b32_e32 v15, 2, v0
	ds_read_b32 v16, v15 offset:2048
	v_readfirstlane_b32 s6, v10
	v_readfirstlane_b32 s7, v11
	s_waitcnt lgkmcnt(0)
	s_nop 3
	global_store_dword v15, v16, s[6:7] offset:2048
.LBB1388_154:
	s_or_b64 exec, exec, s[4:5]
.LBB1388_155:
	s_andn2_saveexec_b64 s[2:3], s[2:3]
	s_cbranch_execz .LBB1388_157
; %bb.156:
	v_lshlrev_b32_e32 v15, 2, v0
	ds_read_b32 v16, v15 offset:2048
	v_readfirstlane_b32 s4, v12
	v_readfirstlane_b32 s5, v13
	s_waitcnt lgkmcnt(0)
	s_nop 3
	global_store_dword v15, v16, s[4:5] offset:2048
.LBB1388_157:
	;; [unrolled: 47-line block ×3, first 2 shown]
	s_or_b64 exec, exec, s[2:3]
	v_or_b32_e32 v15, 0x400, v0
	v_cmp_le_u32_e32 vcc, v6, v15
	s_and_saveexec_b64 s[2:3], vcc
	s_xor_b64 s[2:3], exec, s[2:3]
	s_cbranch_execz .LBB1388_171
; %bb.166:
	v_cmp_le_u32_e32 vcc, v14, v15
	s_and_saveexec_b64 s[4:5], vcc
	s_xor_b64 s[4:5], exec, s[4:5]
	s_cbranch_execz .LBB1388_168
; %bb.167:
	v_lshlrev_b32_e32 v15, 2, v0
	ds_read_b32 v15, v15 offset:4096
	v_add_co_u32_e32 v16, vcc, v1, v0
	v_addc_co_u32_e32 v17, vcc, 0, v8, vcc
	v_lshlrev_b64 v[16:17], 2, v[16:17]
	v_mov_b32_e32 v18, s9
	v_sub_co_u32_e32 v16, vcc, s8, v16
	v_subb_co_u32_e32 v17, vcc, v18, v17, vcc
	s_waitcnt lgkmcnt(0)
	global_store_dword v[16:17], v15, off offset:-4096
                                        ; implicit-def: $vgpr15
.LBB1388_168:
	s_andn2_saveexec_b64 s[4:5], s[4:5]
	s_cbranch_execz .LBB1388_170
; %bb.169:
	v_lshlrev_b32_e32 v16, 2, v0
	ds_read_b32 v16, v16 offset:4096
	v_lshlrev_b32_e32 v15, 2, v15
	v_readfirstlane_b32 s6, v10
	v_readfirstlane_b32 s7, v11
	s_waitcnt lgkmcnt(0)
	s_nop 3
	global_store_dword v15, v16, s[6:7]
.LBB1388_170:
	s_or_b64 exec, exec, s[4:5]
                                        ; implicit-def: $vgpr15
.LBB1388_171:
	s_andn2_saveexec_b64 s[2:3], s[2:3]
	s_cbranch_execz .LBB1388_173
; %bb.172:
	v_lshlrev_b32_e32 v16, 2, v0
	ds_read_b32 v16, v16 offset:4096
	v_lshlrev_b32_e32 v15, 2, v15
	v_readfirstlane_b32 s4, v12
	v_readfirstlane_b32 s5, v13
	s_waitcnt lgkmcnt(0)
	s_nop 3
	global_store_dword v15, v16, s[4:5]
.LBB1388_173:
	s_or_b64 exec, exec, s[2:3]
	v_or_b32_e32 v15, 0x500, v0
	v_cmp_le_u32_e32 vcc, v6, v15
	s_and_saveexec_b64 s[2:3], vcc
	s_xor_b64 s[2:3], exec, s[2:3]
	s_cbranch_execz .LBB1388_179
; %bb.174:
	v_cmp_le_u32_e32 vcc, v14, v15
	s_and_saveexec_b64 s[4:5], vcc
	s_xor_b64 s[4:5], exec, s[4:5]
	s_cbranch_execz .LBB1388_176
; %bb.175:
	v_add_co_u32_e32 v16, vcc, v1, v15
	v_lshlrev_b32_e32 v15, 2, v0
	ds_read_b32 v15, v15 offset:5120
	v_addc_co_u32_e32 v17, vcc, 0, v8, vcc
	v_lshlrev_b64 v[16:17], 2, v[16:17]
	v_mov_b32_e32 v18, s9
	v_sub_co_u32_e32 v16, vcc, s8, v16
	v_subb_co_u32_e32 v17, vcc, v18, v17, vcc
	s_waitcnt lgkmcnt(0)
	global_store_dword v[16:17], v15, off
                                        ; implicit-def: $vgpr15
.LBB1388_176:
	s_andn2_saveexec_b64 s[4:5], s[4:5]
	s_cbranch_execz .LBB1388_178
; %bb.177:
	v_lshlrev_b32_e32 v16, 2, v0
	ds_read_b32 v16, v16 offset:5120
	v_lshlrev_b32_e32 v15, 2, v15
	v_readfirstlane_b32 s6, v10
	v_readfirstlane_b32 s7, v11
	s_waitcnt lgkmcnt(0)
	s_nop 3
	global_store_dword v15, v16, s[6:7]
.LBB1388_178:
	s_or_b64 exec, exec, s[4:5]
                                        ; implicit-def: $vgpr15
.LBB1388_179:
	s_andn2_saveexec_b64 s[2:3], s[2:3]
	s_cbranch_execz .LBB1388_181
; %bb.180:
	v_lshlrev_b32_e32 v16, 2, v0
	ds_read_b32 v16, v16 offset:5120
	v_lshlrev_b32_e32 v15, 2, v15
	v_readfirstlane_b32 s4, v12
	v_readfirstlane_b32 s5, v13
	s_waitcnt lgkmcnt(0)
	s_nop 3
	global_store_dword v15, v16, s[4:5]
.LBB1388_181:
	s_or_b64 exec, exec, s[2:3]
	v_or_b32_e32 v15, 0x600, v0
	v_cmp_le_u32_e32 vcc, v6, v15
	s_and_saveexec_b64 s[2:3], vcc
	s_xor_b64 s[2:3], exec, s[2:3]
	s_cbranch_execz .LBB1388_187
; %bb.182:
	v_cmp_le_u32_e32 vcc, v14, v15
	s_and_saveexec_b64 s[4:5], vcc
	s_xor_b64 s[4:5], exec, s[4:5]
	s_cbranch_execz .LBB1388_184
; %bb.183:
	v_add_co_u32_e32 v16, vcc, v1, v15
	v_lshlrev_b32_e32 v15, 2, v0
	ds_read_b32 v15, v15 offset:6144
	v_addc_co_u32_e32 v17, vcc, 0, v8, vcc
	v_lshlrev_b64 v[16:17], 2, v[16:17]
	v_mov_b32_e32 v18, s9
	v_sub_co_u32_e32 v16, vcc, s8, v16
	v_subb_co_u32_e32 v17, vcc, v18, v17, vcc
	s_waitcnt lgkmcnt(0)
	global_store_dword v[16:17], v15, off
                                        ; implicit-def: $vgpr15
.LBB1388_184:
	s_andn2_saveexec_b64 s[4:5], s[4:5]
	s_cbranch_execz .LBB1388_186
; %bb.185:
	v_lshlrev_b32_e32 v16, 2, v0
	ds_read_b32 v16, v16 offset:6144
	v_lshlrev_b32_e32 v15, 2, v15
	v_readfirstlane_b32 s6, v10
	v_readfirstlane_b32 s7, v11
	s_waitcnt lgkmcnt(0)
	s_nop 3
	global_store_dword v15, v16, s[6:7]
.LBB1388_186:
	s_or_b64 exec, exec, s[4:5]
                                        ; implicit-def: $vgpr15
.LBB1388_187:
	;; [unrolled: 51-line block ×8, first 2 shown]
	s_andn2_saveexec_b64 s[2:3], s[2:3]
	s_cbranch_execz .LBB1388_237
; %bb.236:
	v_lshlrev_b32_e32 v16, 2, v0
	ds_read_b32 v16, v16 offset:12288
	v_lshlrev_b32_e32 v15, 2, v15
	v_readfirstlane_b32 s4, v12
	v_readfirstlane_b32 s5, v13
	s_waitcnt lgkmcnt(0)
	s_nop 3
	global_store_dword v15, v16, s[4:5]
.LBB1388_237:
	s_or_b64 exec, exec, s[2:3]
	s_branch .LBB1388_131
.LBB1388_238:
	v_cmp_gt_u32_e32 vcc, s16, v0
	s_and_saveexec_b64 s[2:3], vcc
	s_cbranch_execz .LBB1388_247
; %bb.239:
	v_cmp_le_u32_e32 vcc, v6, v0
	s_and_saveexec_b64 s[4:5], vcc
	s_xor_b64 s[4:5], exec, s[4:5]
	s_cbranch_execz .LBB1388_245
; %bb.240:
	v_cmp_le_u32_e32 vcc, v14, v0
	s_and_saveexec_b64 s[6:7], vcc
	s_xor_b64 s[6:7], exec, s[6:7]
	s_cbranch_execz .LBB1388_242
; %bb.241:
	v_lshlrev_b32_e32 v15, 2, v0
	v_add_co_u32_e32 v16, vcc, v1, v0
	ds_read_b32 v15, v15
	v_addc_co_u32_e32 v17, vcc, 0, v8, vcc
	v_lshlrev_b64 v[16:17], 2, v[16:17]
	v_mov_b32_e32 v18, s35
	v_sub_co_u32_e32 v16, vcc, s34, v16
	v_subb_co_u32_e32 v17, vcc, v18, v17, vcc
	s_waitcnt lgkmcnt(0)
	global_store_dword v[16:17], v15, off offset:-4
.LBB1388_242:
	s_andn2_saveexec_b64 s[6:7], s[6:7]
	s_cbranch_execz .LBB1388_244
; %bb.243:
	v_lshlrev_b32_e32 v15, 2, v0
	ds_read_b32 v16, v15
	v_readfirstlane_b32 s10, v10
	v_readfirstlane_b32 s11, v11
	s_waitcnt lgkmcnt(0)
	s_nop 3
	global_store_dword v15, v16, s[10:11]
.LBB1388_244:
	s_or_b64 exec, exec, s[6:7]
.LBB1388_245:
	s_andn2_saveexec_b64 s[4:5], s[4:5]
	s_cbranch_execz .LBB1388_247
; %bb.246:
	v_lshlrev_b32_e32 v15, 2, v0
	ds_read_b32 v16, v15
	v_readfirstlane_b32 s4, v12
	v_readfirstlane_b32 s5, v13
	s_waitcnt lgkmcnt(0)
	s_nop 3
	global_store_dword v15, v16, s[4:5]
.LBB1388_247:
	s_or_b64 exec, exec, s[2:3]
	v_or_b32_e32 v15, 0x100, v0
	v_cmp_gt_u32_e32 vcc, s16, v15
	s_and_saveexec_b64 s[2:3], vcc
	s_cbranch_execz .LBB1388_256
; %bb.248:
	v_cmp_le_u32_e32 vcc, v6, v15
	s_and_saveexec_b64 s[4:5], vcc
	s_xor_b64 s[4:5], exec, s[4:5]
	s_cbranch_execz .LBB1388_254
; %bb.249:
	v_cmp_le_u32_e32 vcc, v14, v15
	s_and_saveexec_b64 s[6:7], vcc
	s_xor_b64 s[6:7], exec, s[6:7]
	s_cbranch_execz .LBB1388_251
; %bb.250:
	v_lshlrev_b32_e32 v15, 2, v0
	ds_read_b32 v15, v15 offset:1024
	v_add_co_u32_e32 v16, vcc, v1, v0
	v_addc_co_u32_e32 v17, vcc, 0, v8, vcc
	v_lshlrev_b64 v[16:17], 2, v[16:17]
	v_mov_b32_e32 v18, s9
	v_sub_co_u32_e32 v16, vcc, s8, v16
	v_subb_co_u32_e32 v17, vcc, v18, v17, vcc
	s_waitcnt lgkmcnt(0)
	global_store_dword v[16:17], v15, off offset:-1024
.LBB1388_251:
	s_andn2_saveexec_b64 s[6:7], s[6:7]
	s_cbranch_execz .LBB1388_253
; %bb.252:
	v_lshlrev_b32_e32 v15, 2, v0
	ds_read_b32 v16, v15 offset:1024
	v_readfirstlane_b32 s10, v10
	v_readfirstlane_b32 s11, v11
	s_waitcnt lgkmcnt(0)
	s_nop 3
	global_store_dword v15, v16, s[10:11] offset:1024
.LBB1388_253:
	s_or_b64 exec, exec, s[6:7]
.LBB1388_254:
	s_andn2_saveexec_b64 s[4:5], s[4:5]
	s_cbranch_execz .LBB1388_256
; %bb.255:
	v_lshlrev_b32_e32 v15, 2, v0
	ds_read_b32 v16, v15 offset:1024
	v_readfirstlane_b32 s4, v12
	v_readfirstlane_b32 s5, v13
	s_waitcnt lgkmcnt(0)
	s_nop 3
	global_store_dword v15, v16, s[4:5] offset:1024
.LBB1388_256:
	s_or_b64 exec, exec, s[2:3]
	v_or_b32_e32 v15, 0x200, v0
	v_cmp_gt_u32_e32 vcc, s16, v15
	s_and_saveexec_b64 s[2:3], vcc
	s_cbranch_execz .LBB1388_265
; %bb.257:
	v_cmp_le_u32_e32 vcc, v6, v15
	s_and_saveexec_b64 s[4:5], vcc
	s_xor_b64 s[4:5], exec, s[4:5]
	s_cbranch_execz .LBB1388_263
; %bb.258:
	v_cmp_le_u32_e32 vcc, v14, v15
	s_and_saveexec_b64 s[6:7], vcc
	s_xor_b64 s[6:7], exec, s[6:7]
	s_cbranch_execz .LBB1388_260
; %bb.259:
	v_lshlrev_b32_e32 v15, 2, v0
	ds_read_b32 v15, v15 offset:2048
	v_add_co_u32_e32 v16, vcc, v1, v0
	v_addc_co_u32_e32 v17, vcc, 0, v8, vcc
	v_lshlrev_b64 v[16:17], 2, v[16:17]
	v_mov_b32_e32 v18, s9
	v_sub_co_u32_e32 v16, vcc, s8, v16
	v_subb_co_u32_e32 v17, vcc, v18, v17, vcc
	s_waitcnt lgkmcnt(0)
	global_store_dword v[16:17], v15, off offset:-2048
.LBB1388_260:
	s_andn2_saveexec_b64 s[6:7], s[6:7]
	s_cbranch_execz .LBB1388_262
; %bb.261:
	v_lshlrev_b32_e32 v15, 2, v0
	ds_read_b32 v16, v15 offset:2048
	v_readfirstlane_b32 s10, v10
	v_readfirstlane_b32 s11, v11
	s_waitcnt lgkmcnt(0)
	s_nop 3
	global_store_dword v15, v16, s[10:11] offset:2048
.LBB1388_262:
	s_or_b64 exec, exec, s[6:7]
.LBB1388_263:
	s_andn2_saveexec_b64 s[4:5], s[4:5]
	s_cbranch_execz .LBB1388_265
; %bb.264:
	v_lshlrev_b32_e32 v15, 2, v0
	ds_read_b32 v16, v15 offset:2048
	v_readfirstlane_b32 s4, v12
	v_readfirstlane_b32 s5, v13
	s_waitcnt lgkmcnt(0)
	s_nop 3
	global_store_dword v15, v16, s[4:5] offset:2048
.LBB1388_265:
	;; [unrolled: 51-line block ×3, first 2 shown]
	s_or_b64 exec, exec, s[2:3]
	v_or_b32_e32 v15, 0x400, v0
	v_cmp_gt_u32_e32 vcc, s16, v15
	s_and_saveexec_b64 s[2:3], vcc
	s_cbranch_execz .LBB1388_283
; %bb.275:
	v_cmp_le_u32_e32 vcc, v6, v15
	s_and_saveexec_b64 s[4:5], vcc
	s_xor_b64 s[4:5], exec, s[4:5]
	s_cbranch_execz .LBB1388_281
; %bb.276:
	v_cmp_le_u32_e32 vcc, v14, v15
	s_and_saveexec_b64 s[6:7], vcc
	s_xor_b64 s[6:7], exec, s[6:7]
	s_cbranch_execz .LBB1388_278
; %bb.277:
	v_lshlrev_b32_e32 v15, 2, v0
	ds_read_b32 v15, v15 offset:4096
	v_add_co_u32_e32 v16, vcc, v1, v0
	v_addc_co_u32_e32 v17, vcc, 0, v8, vcc
	v_lshlrev_b64 v[16:17], 2, v[16:17]
	v_mov_b32_e32 v18, s9
	v_sub_co_u32_e32 v16, vcc, s8, v16
	v_subb_co_u32_e32 v17, vcc, v18, v17, vcc
	s_waitcnt lgkmcnt(0)
	global_store_dword v[16:17], v15, off offset:-4096
                                        ; implicit-def: $vgpr15
.LBB1388_278:
	s_andn2_saveexec_b64 s[6:7], s[6:7]
	s_cbranch_execz .LBB1388_280
; %bb.279:
	v_lshlrev_b32_e32 v16, 2, v0
	ds_read_b32 v16, v16 offset:4096
	v_lshlrev_b32_e32 v15, 2, v15
	v_readfirstlane_b32 s10, v10
	v_readfirstlane_b32 s11, v11
	s_waitcnt lgkmcnt(0)
	s_nop 3
	global_store_dword v15, v16, s[10:11]
.LBB1388_280:
	s_or_b64 exec, exec, s[6:7]
                                        ; implicit-def: $vgpr15
.LBB1388_281:
	s_andn2_saveexec_b64 s[4:5], s[4:5]
	s_cbranch_execz .LBB1388_283
; %bb.282:
	v_lshlrev_b32_e32 v16, 2, v0
	ds_read_b32 v16, v16 offset:4096
	v_lshlrev_b32_e32 v15, 2, v15
	v_readfirstlane_b32 s4, v12
	v_readfirstlane_b32 s5, v13
	s_waitcnt lgkmcnt(0)
	s_nop 3
	global_store_dword v15, v16, s[4:5]
.LBB1388_283:
	s_or_b64 exec, exec, s[2:3]
	v_or_b32_e32 v15, 0x500, v0
	v_cmp_gt_u32_e32 vcc, s16, v15
	s_and_saveexec_b64 s[2:3], vcc
	s_cbranch_execz .LBB1388_292
; %bb.284:
	v_cmp_le_u32_e32 vcc, v6, v15
	s_and_saveexec_b64 s[4:5], vcc
	s_xor_b64 s[4:5], exec, s[4:5]
	s_cbranch_execz .LBB1388_290
; %bb.285:
	v_cmp_le_u32_e32 vcc, v14, v15
	s_and_saveexec_b64 s[6:7], vcc
	s_xor_b64 s[6:7], exec, s[6:7]
	s_cbranch_execz .LBB1388_287
; %bb.286:
	v_add_co_u32_e32 v16, vcc, v1, v15
	v_lshlrev_b32_e32 v15, 2, v0
	ds_read_b32 v15, v15 offset:5120
	v_addc_co_u32_e32 v17, vcc, 0, v8, vcc
	v_lshlrev_b64 v[16:17], 2, v[16:17]
	v_mov_b32_e32 v18, s9
	v_sub_co_u32_e32 v16, vcc, s8, v16
	v_subb_co_u32_e32 v17, vcc, v18, v17, vcc
	s_waitcnt lgkmcnt(0)
	global_store_dword v[16:17], v15, off
                                        ; implicit-def: $vgpr15
.LBB1388_287:
	s_andn2_saveexec_b64 s[6:7], s[6:7]
	s_cbranch_execz .LBB1388_289
; %bb.288:
	v_lshlrev_b32_e32 v16, 2, v0
	ds_read_b32 v16, v16 offset:5120
	v_lshlrev_b32_e32 v15, 2, v15
	v_readfirstlane_b32 s10, v10
	v_readfirstlane_b32 s11, v11
	s_waitcnt lgkmcnt(0)
	s_nop 3
	global_store_dword v15, v16, s[10:11]
.LBB1388_289:
	s_or_b64 exec, exec, s[6:7]
                                        ; implicit-def: $vgpr15
.LBB1388_290:
	s_andn2_saveexec_b64 s[4:5], s[4:5]
	s_cbranch_execz .LBB1388_292
; %bb.291:
	v_lshlrev_b32_e32 v16, 2, v0
	ds_read_b32 v16, v16 offset:5120
	v_lshlrev_b32_e32 v15, 2, v15
	v_readfirstlane_b32 s4, v12
	v_readfirstlane_b32 s5, v13
	s_waitcnt lgkmcnt(0)
	s_nop 3
	global_store_dword v15, v16, s[4:5]
.LBB1388_292:
	s_or_b64 exec, exec, s[2:3]
	v_or_b32_e32 v15, 0x600, v0
	v_cmp_gt_u32_e32 vcc, s16, v15
	s_and_saveexec_b64 s[2:3], vcc
	s_cbranch_execz .LBB1388_301
; %bb.293:
	v_cmp_le_u32_e32 vcc, v6, v15
	s_and_saveexec_b64 s[4:5], vcc
	s_xor_b64 s[4:5], exec, s[4:5]
	s_cbranch_execz .LBB1388_299
; %bb.294:
	v_cmp_le_u32_e32 vcc, v14, v15
	s_and_saveexec_b64 s[6:7], vcc
	s_xor_b64 s[6:7], exec, s[6:7]
	s_cbranch_execz .LBB1388_296
; %bb.295:
	v_add_co_u32_e32 v16, vcc, v1, v15
	v_lshlrev_b32_e32 v15, 2, v0
	ds_read_b32 v15, v15 offset:6144
	v_addc_co_u32_e32 v17, vcc, 0, v8, vcc
	v_lshlrev_b64 v[16:17], 2, v[16:17]
	v_mov_b32_e32 v18, s9
	v_sub_co_u32_e32 v16, vcc, s8, v16
	v_subb_co_u32_e32 v17, vcc, v18, v17, vcc
	s_waitcnt lgkmcnt(0)
	global_store_dword v[16:17], v15, off
                                        ; implicit-def: $vgpr15
.LBB1388_296:
	s_andn2_saveexec_b64 s[6:7], s[6:7]
	s_cbranch_execz .LBB1388_298
; %bb.297:
	v_lshlrev_b32_e32 v16, 2, v0
	ds_read_b32 v16, v16 offset:6144
	v_lshlrev_b32_e32 v15, 2, v15
	v_readfirstlane_b32 s10, v10
	v_readfirstlane_b32 s11, v11
	s_waitcnt lgkmcnt(0)
	s_nop 3
	global_store_dword v15, v16, s[10:11]
.LBB1388_298:
	s_or_b64 exec, exec, s[6:7]
                                        ; implicit-def: $vgpr15
.LBB1388_299:
	s_andn2_saveexec_b64 s[4:5], s[4:5]
	s_cbranch_execz .LBB1388_301
; %bb.300:
	v_lshlrev_b32_e32 v16, 2, v0
	ds_read_b32 v16, v16 offset:6144
	v_lshlrev_b32_e32 v15, 2, v15
	v_readfirstlane_b32 s4, v12
	v_readfirstlane_b32 s5, v13
	s_waitcnt lgkmcnt(0)
	s_nop 3
	global_store_dword v15, v16, s[4:5]
.LBB1388_301:
	;; [unrolled: 55-line block ×7, first 2 shown]
	s_or_b64 exec, exec, s[2:3]
	v_or_b32_e32 v15, 0xc00, v0
	v_cmp_gt_u32_e32 vcc, s16, v15
	s_and_saveexec_b64 s[2:3], vcc
	s_cbranch_execz .LBB1388_355
; %bb.347:
	v_cmp_le_u32_e32 vcc, v6, v15
	s_and_saveexec_b64 s[4:5], vcc
	s_xor_b64 s[4:5], exec, s[4:5]
	s_cbranch_execz .LBB1388_353
; %bb.348:
	v_cmp_le_u32_e32 vcc, v14, v15
	s_and_saveexec_b64 s[6:7], vcc
	s_xor_b64 s[6:7], exec, s[6:7]
	s_cbranch_execz .LBB1388_350
; %bb.349:
	v_add_co_u32_e32 v10, vcc, v1, v15
	v_lshlrev_b32_e32 v0, 2, v0
	v_addc_co_u32_e32 v11, vcc, 0, v8, vcc
	ds_read_b32 v8, v0 offset:12288
	v_lshlrev_b64 v[0:1], 2, v[10:11]
	v_mov_b32_e32 v10, s9
	v_sub_co_u32_e32 v0, vcc, s8, v0
	v_subb_co_u32_e32 v1, vcc, v10, v1, vcc
	s_waitcnt lgkmcnt(0)
	global_store_dword v[0:1], v8, off
                                        ; implicit-def: $vgpr0
                                        ; implicit-def: $vgpr15
                                        ; implicit-def: $vgpr10_vgpr11
.LBB1388_350:
	s_andn2_saveexec_b64 s[6:7], s[6:7]
	s_cbranch_execz .LBB1388_352
; %bb.351:
	v_lshlrev_b32_e32 v0, 2, v0
	ds_read_b32 v0, v0 offset:12288
	v_lshlrev_b32_e32 v1, 2, v15
	v_readfirstlane_b32 s8, v10
	v_readfirstlane_b32 s9, v11
	s_waitcnt lgkmcnt(0)
	s_nop 3
	global_store_dword v1, v0, s[8:9]
.LBB1388_352:
	s_or_b64 exec, exec, s[6:7]
                                        ; implicit-def: $vgpr0
                                        ; implicit-def: $vgpr15
                                        ; implicit-def: $vgpr12_vgpr13
.LBB1388_353:
	s_andn2_saveexec_b64 s[4:5], s[4:5]
	s_cbranch_execz .LBB1388_355
; %bb.354:
	v_lshlrev_b32_e32 v0, 2, v0
	ds_read_b32 v0, v0 offset:12288
	v_lshlrev_b32_e32 v1, 2, v15
	v_readfirstlane_b32 s4, v12
	v_readfirstlane_b32 s5, v13
	s_waitcnt lgkmcnt(0)
	s_nop 3
	global_store_dword v1, v0, s[4:5]
.LBB1388_355:
	s_or_b64 exec, exec, s[2:3]
	s_and_b64 s[0:1], s[0:1], s[30:31]
	s_and_saveexec_b64 s[2:3], s[0:1]
	s_cbranch_execz .LBB1388_132
.LBB1388_356:
	v_add_co_u32_e32 v0, vcc, v2, v6
	v_addc_co_u32_e32 v1, vcc, 0, v3, vcc
	v_add_co_u32_e32 v2, vcc, v4, v7
	v_addc_co_u32_e32 v3, vcc, 0, v5, vcc
	v_add_co_u32_e32 v2, vcc, v2, v9
	v_mov_b32_e32 v8, 0
	v_addc_co_u32_e32 v3, vcc, 0, v3, vcc
	global_store_dwordx4 v8, v[0:3], s[28:29]
	s_endpgm
	.section	.rodata,"a",@progbits
	.p2align	6, 0x0
	.amdhsa_kernel _ZN7rocprim17ROCPRIM_400000_NS6detail17trampoline_kernelINS0_13select_configILj256ELj13ELNS0_17block_load_methodE3ELS4_3ELS4_3ELNS0_20block_scan_algorithmE0ELj4294967295EEENS1_25partition_config_selectorILNS1_17partition_subalgoE4EjNS0_10empty_typeEbEEZZNS1_14partition_implILS8_4ELb0ES6_15HIP_vector_typeIjLj2EENS0_17counting_iteratorIjlEEPS9_SG_NS0_5tupleIJPjSI_NS0_16reverse_iteratorISI_EEEEENSH_IJSG_SG_SG_EEES9_SI_JZNS1_25segmented_radix_sort_implINS0_14default_configELb0EPKfPfPKlPlN2at6native12_GLOBAL__N_18offset_tEEE10hipError_tPvRmT1_PNSt15iterator_traitsIS12_E10value_typeET2_T3_PNS13_IS18_E10value_typeET4_jRbjT5_S1E_jjP12ihipStream_tbEUljE_ZNSN_ISO_Lb0ESQ_SR_ST_SU_SY_EESZ_S10_S11_S12_S16_S17_S18_S1B_S1C_jS1D_jS1E_S1E_jjS1G_bEUljE0_EEESZ_S10_S11_S18_S1C_S1E_T6_T7_T9_mT8_S1G_bDpT10_ENKUlT_T0_E_clISt17integral_constantIbLb0EES1T_IbLb1EEEEDaS1P_S1Q_EUlS1P_E_NS1_11comp_targetILNS1_3genE4ELNS1_11target_archE910ELNS1_3gpuE8ELNS1_3repE0EEENS1_30default_config_static_selectorELNS0_4arch9wavefront6targetE1EEEvS12_
		.amdhsa_group_segment_fixed_size 13340
		.amdhsa_private_segment_fixed_size 0
		.amdhsa_kernarg_size 184
		.amdhsa_user_sgpr_count 6
		.amdhsa_user_sgpr_private_segment_buffer 1
		.amdhsa_user_sgpr_dispatch_ptr 0
		.amdhsa_user_sgpr_queue_ptr 0
		.amdhsa_user_sgpr_kernarg_segment_ptr 1
		.amdhsa_user_sgpr_dispatch_id 0
		.amdhsa_user_sgpr_flat_scratch_init 0
		.amdhsa_user_sgpr_kernarg_preload_length 0
		.amdhsa_user_sgpr_kernarg_preload_offset 0
		.amdhsa_user_sgpr_private_segment_size 0
		.amdhsa_uses_dynamic_stack 0
		.amdhsa_system_sgpr_private_segment_wavefront_offset 0
		.amdhsa_system_sgpr_workgroup_id_x 1
		.amdhsa_system_sgpr_workgroup_id_y 0
		.amdhsa_system_sgpr_workgroup_id_z 0
		.amdhsa_system_sgpr_workgroup_info 0
		.amdhsa_system_vgpr_workitem_id 0
		.amdhsa_next_free_vgpr 107
		.amdhsa_next_free_sgpr 87
		.amdhsa_accum_offset 108
		.amdhsa_reserve_vcc 1
		.amdhsa_reserve_flat_scratch 0
		.amdhsa_float_round_mode_32 0
		.amdhsa_float_round_mode_16_64 0
		.amdhsa_float_denorm_mode_32 3
		.amdhsa_float_denorm_mode_16_64 3
		.amdhsa_dx10_clamp 1
		.amdhsa_ieee_mode 1
		.amdhsa_fp16_overflow 0
		.amdhsa_tg_split 0
		.amdhsa_exception_fp_ieee_invalid_op 0
		.amdhsa_exception_fp_denorm_src 0
		.amdhsa_exception_fp_ieee_div_zero 0
		.amdhsa_exception_fp_ieee_overflow 0
		.amdhsa_exception_fp_ieee_underflow 0
		.amdhsa_exception_fp_ieee_inexact 0
		.amdhsa_exception_int_div_zero 0
	.end_amdhsa_kernel
	.section	.text._ZN7rocprim17ROCPRIM_400000_NS6detail17trampoline_kernelINS0_13select_configILj256ELj13ELNS0_17block_load_methodE3ELS4_3ELS4_3ELNS0_20block_scan_algorithmE0ELj4294967295EEENS1_25partition_config_selectorILNS1_17partition_subalgoE4EjNS0_10empty_typeEbEEZZNS1_14partition_implILS8_4ELb0ES6_15HIP_vector_typeIjLj2EENS0_17counting_iteratorIjlEEPS9_SG_NS0_5tupleIJPjSI_NS0_16reverse_iteratorISI_EEEEENSH_IJSG_SG_SG_EEES9_SI_JZNS1_25segmented_radix_sort_implINS0_14default_configELb0EPKfPfPKlPlN2at6native12_GLOBAL__N_18offset_tEEE10hipError_tPvRmT1_PNSt15iterator_traitsIS12_E10value_typeET2_T3_PNS13_IS18_E10value_typeET4_jRbjT5_S1E_jjP12ihipStream_tbEUljE_ZNSN_ISO_Lb0ESQ_SR_ST_SU_SY_EESZ_S10_S11_S12_S16_S17_S18_S1B_S1C_jS1D_jS1E_S1E_jjS1G_bEUljE0_EEESZ_S10_S11_S18_S1C_S1E_T6_T7_T9_mT8_S1G_bDpT10_ENKUlT_T0_E_clISt17integral_constantIbLb0EES1T_IbLb1EEEEDaS1P_S1Q_EUlS1P_E_NS1_11comp_targetILNS1_3genE4ELNS1_11target_archE910ELNS1_3gpuE8ELNS1_3repE0EEENS1_30default_config_static_selectorELNS0_4arch9wavefront6targetE1EEEvS12_,"axG",@progbits,_ZN7rocprim17ROCPRIM_400000_NS6detail17trampoline_kernelINS0_13select_configILj256ELj13ELNS0_17block_load_methodE3ELS4_3ELS4_3ELNS0_20block_scan_algorithmE0ELj4294967295EEENS1_25partition_config_selectorILNS1_17partition_subalgoE4EjNS0_10empty_typeEbEEZZNS1_14partition_implILS8_4ELb0ES6_15HIP_vector_typeIjLj2EENS0_17counting_iteratorIjlEEPS9_SG_NS0_5tupleIJPjSI_NS0_16reverse_iteratorISI_EEEEENSH_IJSG_SG_SG_EEES9_SI_JZNS1_25segmented_radix_sort_implINS0_14default_configELb0EPKfPfPKlPlN2at6native12_GLOBAL__N_18offset_tEEE10hipError_tPvRmT1_PNSt15iterator_traitsIS12_E10value_typeET2_T3_PNS13_IS18_E10value_typeET4_jRbjT5_S1E_jjP12ihipStream_tbEUljE_ZNSN_ISO_Lb0ESQ_SR_ST_SU_SY_EESZ_S10_S11_S12_S16_S17_S18_S1B_S1C_jS1D_jS1E_S1E_jjS1G_bEUljE0_EEESZ_S10_S11_S18_S1C_S1E_T6_T7_T9_mT8_S1G_bDpT10_ENKUlT_T0_E_clISt17integral_constantIbLb0EES1T_IbLb1EEEEDaS1P_S1Q_EUlS1P_E_NS1_11comp_targetILNS1_3genE4ELNS1_11target_archE910ELNS1_3gpuE8ELNS1_3repE0EEENS1_30default_config_static_selectorELNS0_4arch9wavefront6targetE1EEEvS12_,comdat
.Lfunc_end1388:
	.size	_ZN7rocprim17ROCPRIM_400000_NS6detail17trampoline_kernelINS0_13select_configILj256ELj13ELNS0_17block_load_methodE3ELS4_3ELS4_3ELNS0_20block_scan_algorithmE0ELj4294967295EEENS1_25partition_config_selectorILNS1_17partition_subalgoE4EjNS0_10empty_typeEbEEZZNS1_14partition_implILS8_4ELb0ES6_15HIP_vector_typeIjLj2EENS0_17counting_iteratorIjlEEPS9_SG_NS0_5tupleIJPjSI_NS0_16reverse_iteratorISI_EEEEENSH_IJSG_SG_SG_EEES9_SI_JZNS1_25segmented_radix_sort_implINS0_14default_configELb0EPKfPfPKlPlN2at6native12_GLOBAL__N_18offset_tEEE10hipError_tPvRmT1_PNSt15iterator_traitsIS12_E10value_typeET2_T3_PNS13_IS18_E10value_typeET4_jRbjT5_S1E_jjP12ihipStream_tbEUljE_ZNSN_ISO_Lb0ESQ_SR_ST_SU_SY_EESZ_S10_S11_S12_S16_S17_S18_S1B_S1C_jS1D_jS1E_S1E_jjS1G_bEUljE0_EEESZ_S10_S11_S18_S1C_S1E_T6_T7_T9_mT8_S1G_bDpT10_ENKUlT_T0_E_clISt17integral_constantIbLb0EES1T_IbLb1EEEEDaS1P_S1Q_EUlS1P_E_NS1_11comp_targetILNS1_3genE4ELNS1_11target_archE910ELNS1_3gpuE8ELNS1_3repE0EEENS1_30default_config_static_selectorELNS0_4arch9wavefront6targetE1EEEvS12_, .Lfunc_end1388-_ZN7rocprim17ROCPRIM_400000_NS6detail17trampoline_kernelINS0_13select_configILj256ELj13ELNS0_17block_load_methodE3ELS4_3ELS4_3ELNS0_20block_scan_algorithmE0ELj4294967295EEENS1_25partition_config_selectorILNS1_17partition_subalgoE4EjNS0_10empty_typeEbEEZZNS1_14partition_implILS8_4ELb0ES6_15HIP_vector_typeIjLj2EENS0_17counting_iteratorIjlEEPS9_SG_NS0_5tupleIJPjSI_NS0_16reverse_iteratorISI_EEEEENSH_IJSG_SG_SG_EEES9_SI_JZNS1_25segmented_radix_sort_implINS0_14default_configELb0EPKfPfPKlPlN2at6native12_GLOBAL__N_18offset_tEEE10hipError_tPvRmT1_PNSt15iterator_traitsIS12_E10value_typeET2_T3_PNS13_IS18_E10value_typeET4_jRbjT5_S1E_jjP12ihipStream_tbEUljE_ZNSN_ISO_Lb0ESQ_SR_ST_SU_SY_EESZ_S10_S11_S12_S16_S17_S18_S1B_S1C_jS1D_jS1E_S1E_jjS1G_bEUljE0_EEESZ_S10_S11_S18_S1C_S1E_T6_T7_T9_mT8_S1G_bDpT10_ENKUlT_T0_E_clISt17integral_constantIbLb0EES1T_IbLb1EEEEDaS1P_S1Q_EUlS1P_E_NS1_11comp_targetILNS1_3genE4ELNS1_11target_archE910ELNS1_3gpuE8ELNS1_3repE0EEENS1_30default_config_static_selectorELNS0_4arch9wavefront6targetE1EEEvS12_
                                        ; -- End function
	.section	.AMDGPU.csdata,"",@progbits
; Kernel info:
; codeLenInByte = 13432
; NumSgprs: 91
; NumVgprs: 107
; NumAgprs: 0
; TotalNumVgprs: 107
; ScratchSize: 0
; MemoryBound: 0
; FloatMode: 240
; IeeeMode: 1
; LDSByteSize: 13340 bytes/workgroup (compile time only)
; SGPRBlocks: 11
; VGPRBlocks: 13
; NumSGPRsForWavesPerEU: 91
; NumVGPRsForWavesPerEU: 107
; AccumOffset: 108
; Occupancy: 4
; WaveLimiterHint : 1
; COMPUTE_PGM_RSRC2:SCRATCH_EN: 0
; COMPUTE_PGM_RSRC2:USER_SGPR: 6
; COMPUTE_PGM_RSRC2:TRAP_HANDLER: 0
; COMPUTE_PGM_RSRC2:TGID_X_EN: 1
; COMPUTE_PGM_RSRC2:TGID_Y_EN: 0
; COMPUTE_PGM_RSRC2:TGID_Z_EN: 0
; COMPUTE_PGM_RSRC2:TIDIG_COMP_CNT: 0
; COMPUTE_PGM_RSRC3_GFX90A:ACCUM_OFFSET: 26
; COMPUTE_PGM_RSRC3_GFX90A:TG_SPLIT: 0
	.section	.text._ZN7rocprim17ROCPRIM_400000_NS6detail17trampoline_kernelINS0_13select_configILj256ELj13ELNS0_17block_load_methodE3ELS4_3ELS4_3ELNS0_20block_scan_algorithmE0ELj4294967295EEENS1_25partition_config_selectorILNS1_17partition_subalgoE4EjNS0_10empty_typeEbEEZZNS1_14partition_implILS8_4ELb0ES6_15HIP_vector_typeIjLj2EENS0_17counting_iteratorIjlEEPS9_SG_NS0_5tupleIJPjSI_NS0_16reverse_iteratorISI_EEEEENSH_IJSG_SG_SG_EEES9_SI_JZNS1_25segmented_radix_sort_implINS0_14default_configELb0EPKfPfPKlPlN2at6native12_GLOBAL__N_18offset_tEEE10hipError_tPvRmT1_PNSt15iterator_traitsIS12_E10value_typeET2_T3_PNS13_IS18_E10value_typeET4_jRbjT5_S1E_jjP12ihipStream_tbEUljE_ZNSN_ISO_Lb0ESQ_SR_ST_SU_SY_EESZ_S10_S11_S12_S16_S17_S18_S1B_S1C_jS1D_jS1E_S1E_jjS1G_bEUljE0_EEESZ_S10_S11_S18_S1C_S1E_T6_T7_T9_mT8_S1G_bDpT10_ENKUlT_T0_E_clISt17integral_constantIbLb0EES1T_IbLb1EEEEDaS1P_S1Q_EUlS1P_E_NS1_11comp_targetILNS1_3genE3ELNS1_11target_archE908ELNS1_3gpuE7ELNS1_3repE0EEENS1_30default_config_static_selectorELNS0_4arch9wavefront6targetE1EEEvS12_,"axG",@progbits,_ZN7rocprim17ROCPRIM_400000_NS6detail17trampoline_kernelINS0_13select_configILj256ELj13ELNS0_17block_load_methodE3ELS4_3ELS4_3ELNS0_20block_scan_algorithmE0ELj4294967295EEENS1_25partition_config_selectorILNS1_17partition_subalgoE4EjNS0_10empty_typeEbEEZZNS1_14partition_implILS8_4ELb0ES6_15HIP_vector_typeIjLj2EENS0_17counting_iteratorIjlEEPS9_SG_NS0_5tupleIJPjSI_NS0_16reverse_iteratorISI_EEEEENSH_IJSG_SG_SG_EEES9_SI_JZNS1_25segmented_radix_sort_implINS0_14default_configELb0EPKfPfPKlPlN2at6native12_GLOBAL__N_18offset_tEEE10hipError_tPvRmT1_PNSt15iterator_traitsIS12_E10value_typeET2_T3_PNS13_IS18_E10value_typeET4_jRbjT5_S1E_jjP12ihipStream_tbEUljE_ZNSN_ISO_Lb0ESQ_SR_ST_SU_SY_EESZ_S10_S11_S12_S16_S17_S18_S1B_S1C_jS1D_jS1E_S1E_jjS1G_bEUljE0_EEESZ_S10_S11_S18_S1C_S1E_T6_T7_T9_mT8_S1G_bDpT10_ENKUlT_T0_E_clISt17integral_constantIbLb0EES1T_IbLb1EEEEDaS1P_S1Q_EUlS1P_E_NS1_11comp_targetILNS1_3genE3ELNS1_11target_archE908ELNS1_3gpuE7ELNS1_3repE0EEENS1_30default_config_static_selectorELNS0_4arch9wavefront6targetE1EEEvS12_,comdat
	.globl	_ZN7rocprim17ROCPRIM_400000_NS6detail17trampoline_kernelINS0_13select_configILj256ELj13ELNS0_17block_load_methodE3ELS4_3ELS4_3ELNS0_20block_scan_algorithmE0ELj4294967295EEENS1_25partition_config_selectorILNS1_17partition_subalgoE4EjNS0_10empty_typeEbEEZZNS1_14partition_implILS8_4ELb0ES6_15HIP_vector_typeIjLj2EENS0_17counting_iteratorIjlEEPS9_SG_NS0_5tupleIJPjSI_NS0_16reverse_iteratorISI_EEEEENSH_IJSG_SG_SG_EEES9_SI_JZNS1_25segmented_radix_sort_implINS0_14default_configELb0EPKfPfPKlPlN2at6native12_GLOBAL__N_18offset_tEEE10hipError_tPvRmT1_PNSt15iterator_traitsIS12_E10value_typeET2_T3_PNS13_IS18_E10value_typeET4_jRbjT5_S1E_jjP12ihipStream_tbEUljE_ZNSN_ISO_Lb0ESQ_SR_ST_SU_SY_EESZ_S10_S11_S12_S16_S17_S18_S1B_S1C_jS1D_jS1E_S1E_jjS1G_bEUljE0_EEESZ_S10_S11_S18_S1C_S1E_T6_T7_T9_mT8_S1G_bDpT10_ENKUlT_T0_E_clISt17integral_constantIbLb0EES1T_IbLb1EEEEDaS1P_S1Q_EUlS1P_E_NS1_11comp_targetILNS1_3genE3ELNS1_11target_archE908ELNS1_3gpuE7ELNS1_3repE0EEENS1_30default_config_static_selectorELNS0_4arch9wavefront6targetE1EEEvS12_ ; -- Begin function _ZN7rocprim17ROCPRIM_400000_NS6detail17trampoline_kernelINS0_13select_configILj256ELj13ELNS0_17block_load_methodE3ELS4_3ELS4_3ELNS0_20block_scan_algorithmE0ELj4294967295EEENS1_25partition_config_selectorILNS1_17partition_subalgoE4EjNS0_10empty_typeEbEEZZNS1_14partition_implILS8_4ELb0ES6_15HIP_vector_typeIjLj2EENS0_17counting_iteratorIjlEEPS9_SG_NS0_5tupleIJPjSI_NS0_16reverse_iteratorISI_EEEEENSH_IJSG_SG_SG_EEES9_SI_JZNS1_25segmented_radix_sort_implINS0_14default_configELb0EPKfPfPKlPlN2at6native12_GLOBAL__N_18offset_tEEE10hipError_tPvRmT1_PNSt15iterator_traitsIS12_E10value_typeET2_T3_PNS13_IS18_E10value_typeET4_jRbjT5_S1E_jjP12ihipStream_tbEUljE_ZNSN_ISO_Lb0ESQ_SR_ST_SU_SY_EESZ_S10_S11_S12_S16_S17_S18_S1B_S1C_jS1D_jS1E_S1E_jjS1G_bEUljE0_EEESZ_S10_S11_S18_S1C_S1E_T6_T7_T9_mT8_S1G_bDpT10_ENKUlT_T0_E_clISt17integral_constantIbLb0EES1T_IbLb1EEEEDaS1P_S1Q_EUlS1P_E_NS1_11comp_targetILNS1_3genE3ELNS1_11target_archE908ELNS1_3gpuE7ELNS1_3repE0EEENS1_30default_config_static_selectorELNS0_4arch9wavefront6targetE1EEEvS12_
	.p2align	8
	.type	_ZN7rocprim17ROCPRIM_400000_NS6detail17trampoline_kernelINS0_13select_configILj256ELj13ELNS0_17block_load_methodE3ELS4_3ELS4_3ELNS0_20block_scan_algorithmE0ELj4294967295EEENS1_25partition_config_selectorILNS1_17partition_subalgoE4EjNS0_10empty_typeEbEEZZNS1_14partition_implILS8_4ELb0ES6_15HIP_vector_typeIjLj2EENS0_17counting_iteratorIjlEEPS9_SG_NS0_5tupleIJPjSI_NS0_16reverse_iteratorISI_EEEEENSH_IJSG_SG_SG_EEES9_SI_JZNS1_25segmented_radix_sort_implINS0_14default_configELb0EPKfPfPKlPlN2at6native12_GLOBAL__N_18offset_tEEE10hipError_tPvRmT1_PNSt15iterator_traitsIS12_E10value_typeET2_T3_PNS13_IS18_E10value_typeET4_jRbjT5_S1E_jjP12ihipStream_tbEUljE_ZNSN_ISO_Lb0ESQ_SR_ST_SU_SY_EESZ_S10_S11_S12_S16_S17_S18_S1B_S1C_jS1D_jS1E_S1E_jjS1G_bEUljE0_EEESZ_S10_S11_S18_S1C_S1E_T6_T7_T9_mT8_S1G_bDpT10_ENKUlT_T0_E_clISt17integral_constantIbLb0EES1T_IbLb1EEEEDaS1P_S1Q_EUlS1P_E_NS1_11comp_targetILNS1_3genE3ELNS1_11target_archE908ELNS1_3gpuE7ELNS1_3repE0EEENS1_30default_config_static_selectorELNS0_4arch9wavefront6targetE1EEEvS12_,@function
_ZN7rocprim17ROCPRIM_400000_NS6detail17trampoline_kernelINS0_13select_configILj256ELj13ELNS0_17block_load_methodE3ELS4_3ELS4_3ELNS0_20block_scan_algorithmE0ELj4294967295EEENS1_25partition_config_selectorILNS1_17partition_subalgoE4EjNS0_10empty_typeEbEEZZNS1_14partition_implILS8_4ELb0ES6_15HIP_vector_typeIjLj2EENS0_17counting_iteratorIjlEEPS9_SG_NS0_5tupleIJPjSI_NS0_16reverse_iteratorISI_EEEEENSH_IJSG_SG_SG_EEES9_SI_JZNS1_25segmented_radix_sort_implINS0_14default_configELb0EPKfPfPKlPlN2at6native12_GLOBAL__N_18offset_tEEE10hipError_tPvRmT1_PNSt15iterator_traitsIS12_E10value_typeET2_T3_PNS13_IS18_E10value_typeET4_jRbjT5_S1E_jjP12ihipStream_tbEUljE_ZNSN_ISO_Lb0ESQ_SR_ST_SU_SY_EESZ_S10_S11_S12_S16_S17_S18_S1B_S1C_jS1D_jS1E_S1E_jjS1G_bEUljE0_EEESZ_S10_S11_S18_S1C_S1E_T6_T7_T9_mT8_S1G_bDpT10_ENKUlT_T0_E_clISt17integral_constantIbLb0EES1T_IbLb1EEEEDaS1P_S1Q_EUlS1P_E_NS1_11comp_targetILNS1_3genE3ELNS1_11target_archE908ELNS1_3gpuE7ELNS1_3repE0EEENS1_30default_config_static_selectorELNS0_4arch9wavefront6targetE1EEEvS12_: ; @_ZN7rocprim17ROCPRIM_400000_NS6detail17trampoline_kernelINS0_13select_configILj256ELj13ELNS0_17block_load_methodE3ELS4_3ELS4_3ELNS0_20block_scan_algorithmE0ELj4294967295EEENS1_25partition_config_selectorILNS1_17partition_subalgoE4EjNS0_10empty_typeEbEEZZNS1_14partition_implILS8_4ELb0ES6_15HIP_vector_typeIjLj2EENS0_17counting_iteratorIjlEEPS9_SG_NS0_5tupleIJPjSI_NS0_16reverse_iteratorISI_EEEEENSH_IJSG_SG_SG_EEES9_SI_JZNS1_25segmented_radix_sort_implINS0_14default_configELb0EPKfPfPKlPlN2at6native12_GLOBAL__N_18offset_tEEE10hipError_tPvRmT1_PNSt15iterator_traitsIS12_E10value_typeET2_T3_PNS13_IS18_E10value_typeET4_jRbjT5_S1E_jjP12ihipStream_tbEUljE_ZNSN_ISO_Lb0ESQ_SR_ST_SU_SY_EESZ_S10_S11_S12_S16_S17_S18_S1B_S1C_jS1D_jS1E_S1E_jjS1G_bEUljE0_EEESZ_S10_S11_S18_S1C_S1E_T6_T7_T9_mT8_S1G_bDpT10_ENKUlT_T0_E_clISt17integral_constantIbLb0EES1T_IbLb1EEEEDaS1P_S1Q_EUlS1P_E_NS1_11comp_targetILNS1_3genE3ELNS1_11target_archE908ELNS1_3gpuE7ELNS1_3repE0EEENS1_30default_config_static_selectorELNS0_4arch9wavefront6targetE1EEEvS12_
; %bb.0:
	.section	.rodata,"a",@progbits
	.p2align	6, 0x0
	.amdhsa_kernel _ZN7rocprim17ROCPRIM_400000_NS6detail17trampoline_kernelINS0_13select_configILj256ELj13ELNS0_17block_load_methodE3ELS4_3ELS4_3ELNS0_20block_scan_algorithmE0ELj4294967295EEENS1_25partition_config_selectorILNS1_17partition_subalgoE4EjNS0_10empty_typeEbEEZZNS1_14partition_implILS8_4ELb0ES6_15HIP_vector_typeIjLj2EENS0_17counting_iteratorIjlEEPS9_SG_NS0_5tupleIJPjSI_NS0_16reverse_iteratorISI_EEEEENSH_IJSG_SG_SG_EEES9_SI_JZNS1_25segmented_radix_sort_implINS0_14default_configELb0EPKfPfPKlPlN2at6native12_GLOBAL__N_18offset_tEEE10hipError_tPvRmT1_PNSt15iterator_traitsIS12_E10value_typeET2_T3_PNS13_IS18_E10value_typeET4_jRbjT5_S1E_jjP12ihipStream_tbEUljE_ZNSN_ISO_Lb0ESQ_SR_ST_SU_SY_EESZ_S10_S11_S12_S16_S17_S18_S1B_S1C_jS1D_jS1E_S1E_jjS1G_bEUljE0_EEESZ_S10_S11_S18_S1C_S1E_T6_T7_T9_mT8_S1G_bDpT10_ENKUlT_T0_E_clISt17integral_constantIbLb0EES1T_IbLb1EEEEDaS1P_S1Q_EUlS1P_E_NS1_11comp_targetILNS1_3genE3ELNS1_11target_archE908ELNS1_3gpuE7ELNS1_3repE0EEENS1_30default_config_static_selectorELNS0_4arch9wavefront6targetE1EEEvS12_
		.amdhsa_group_segment_fixed_size 0
		.amdhsa_private_segment_fixed_size 0
		.amdhsa_kernarg_size 184
		.amdhsa_user_sgpr_count 6
		.amdhsa_user_sgpr_private_segment_buffer 1
		.amdhsa_user_sgpr_dispatch_ptr 0
		.amdhsa_user_sgpr_queue_ptr 0
		.amdhsa_user_sgpr_kernarg_segment_ptr 1
		.amdhsa_user_sgpr_dispatch_id 0
		.amdhsa_user_sgpr_flat_scratch_init 0
		.amdhsa_user_sgpr_kernarg_preload_length 0
		.amdhsa_user_sgpr_kernarg_preload_offset 0
		.amdhsa_user_sgpr_private_segment_size 0
		.amdhsa_uses_dynamic_stack 0
		.amdhsa_system_sgpr_private_segment_wavefront_offset 0
		.amdhsa_system_sgpr_workgroup_id_x 1
		.amdhsa_system_sgpr_workgroup_id_y 0
		.amdhsa_system_sgpr_workgroup_id_z 0
		.amdhsa_system_sgpr_workgroup_info 0
		.amdhsa_system_vgpr_workitem_id 0
		.amdhsa_next_free_vgpr 1
		.amdhsa_next_free_sgpr 0
		.amdhsa_accum_offset 4
		.amdhsa_reserve_vcc 0
		.amdhsa_reserve_flat_scratch 0
		.amdhsa_float_round_mode_32 0
		.amdhsa_float_round_mode_16_64 0
		.amdhsa_float_denorm_mode_32 3
		.amdhsa_float_denorm_mode_16_64 3
		.amdhsa_dx10_clamp 1
		.amdhsa_ieee_mode 1
		.amdhsa_fp16_overflow 0
		.amdhsa_tg_split 0
		.amdhsa_exception_fp_ieee_invalid_op 0
		.amdhsa_exception_fp_denorm_src 0
		.amdhsa_exception_fp_ieee_div_zero 0
		.amdhsa_exception_fp_ieee_overflow 0
		.amdhsa_exception_fp_ieee_underflow 0
		.amdhsa_exception_fp_ieee_inexact 0
		.amdhsa_exception_int_div_zero 0
	.end_amdhsa_kernel
	.section	.text._ZN7rocprim17ROCPRIM_400000_NS6detail17trampoline_kernelINS0_13select_configILj256ELj13ELNS0_17block_load_methodE3ELS4_3ELS4_3ELNS0_20block_scan_algorithmE0ELj4294967295EEENS1_25partition_config_selectorILNS1_17partition_subalgoE4EjNS0_10empty_typeEbEEZZNS1_14partition_implILS8_4ELb0ES6_15HIP_vector_typeIjLj2EENS0_17counting_iteratorIjlEEPS9_SG_NS0_5tupleIJPjSI_NS0_16reverse_iteratorISI_EEEEENSH_IJSG_SG_SG_EEES9_SI_JZNS1_25segmented_radix_sort_implINS0_14default_configELb0EPKfPfPKlPlN2at6native12_GLOBAL__N_18offset_tEEE10hipError_tPvRmT1_PNSt15iterator_traitsIS12_E10value_typeET2_T3_PNS13_IS18_E10value_typeET4_jRbjT5_S1E_jjP12ihipStream_tbEUljE_ZNSN_ISO_Lb0ESQ_SR_ST_SU_SY_EESZ_S10_S11_S12_S16_S17_S18_S1B_S1C_jS1D_jS1E_S1E_jjS1G_bEUljE0_EEESZ_S10_S11_S18_S1C_S1E_T6_T7_T9_mT8_S1G_bDpT10_ENKUlT_T0_E_clISt17integral_constantIbLb0EES1T_IbLb1EEEEDaS1P_S1Q_EUlS1P_E_NS1_11comp_targetILNS1_3genE3ELNS1_11target_archE908ELNS1_3gpuE7ELNS1_3repE0EEENS1_30default_config_static_selectorELNS0_4arch9wavefront6targetE1EEEvS12_,"axG",@progbits,_ZN7rocprim17ROCPRIM_400000_NS6detail17trampoline_kernelINS0_13select_configILj256ELj13ELNS0_17block_load_methodE3ELS4_3ELS4_3ELNS0_20block_scan_algorithmE0ELj4294967295EEENS1_25partition_config_selectorILNS1_17partition_subalgoE4EjNS0_10empty_typeEbEEZZNS1_14partition_implILS8_4ELb0ES6_15HIP_vector_typeIjLj2EENS0_17counting_iteratorIjlEEPS9_SG_NS0_5tupleIJPjSI_NS0_16reverse_iteratorISI_EEEEENSH_IJSG_SG_SG_EEES9_SI_JZNS1_25segmented_radix_sort_implINS0_14default_configELb0EPKfPfPKlPlN2at6native12_GLOBAL__N_18offset_tEEE10hipError_tPvRmT1_PNSt15iterator_traitsIS12_E10value_typeET2_T3_PNS13_IS18_E10value_typeET4_jRbjT5_S1E_jjP12ihipStream_tbEUljE_ZNSN_ISO_Lb0ESQ_SR_ST_SU_SY_EESZ_S10_S11_S12_S16_S17_S18_S1B_S1C_jS1D_jS1E_S1E_jjS1G_bEUljE0_EEESZ_S10_S11_S18_S1C_S1E_T6_T7_T9_mT8_S1G_bDpT10_ENKUlT_T0_E_clISt17integral_constantIbLb0EES1T_IbLb1EEEEDaS1P_S1Q_EUlS1P_E_NS1_11comp_targetILNS1_3genE3ELNS1_11target_archE908ELNS1_3gpuE7ELNS1_3repE0EEENS1_30default_config_static_selectorELNS0_4arch9wavefront6targetE1EEEvS12_,comdat
.Lfunc_end1389:
	.size	_ZN7rocprim17ROCPRIM_400000_NS6detail17trampoline_kernelINS0_13select_configILj256ELj13ELNS0_17block_load_methodE3ELS4_3ELS4_3ELNS0_20block_scan_algorithmE0ELj4294967295EEENS1_25partition_config_selectorILNS1_17partition_subalgoE4EjNS0_10empty_typeEbEEZZNS1_14partition_implILS8_4ELb0ES6_15HIP_vector_typeIjLj2EENS0_17counting_iteratorIjlEEPS9_SG_NS0_5tupleIJPjSI_NS0_16reverse_iteratorISI_EEEEENSH_IJSG_SG_SG_EEES9_SI_JZNS1_25segmented_radix_sort_implINS0_14default_configELb0EPKfPfPKlPlN2at6native12_GLOBAL__N_18offset_tEEE10hipError_tPvRmT1_PNSt15iterator_traitsIS12_E10value_typeET2_T3_PNS13_IS18_E10value_typeET4_jRbjT5_S1E_jjP12ihipStream_tbEUljE_ZNSN_ISO_Lb0ESQ_SR_ST_SU_SY_EESZ_S10_S11_S12_S16_S17_S18_S1B_S1C_jS1D_jS1E_S1E_jjS1G_bEUljE0_EEESZ_S10_S11_S18_S1C_S1E_T6_T7_T9_mT8_S1G_bDpT10_ENKUlT_T0_E_clISt17integral_constantIbLb0EES1T_IbLb1EEEEDaS1P_S1Q_EUlS1P_E_NS1_11comp_targetILNS1_3genE3ELNS1_11target_archE908ELNS1_3gpuE7ELNS1_3repE0EEENS1_30default_config_static_selectorELNS0_4arch9wavefront6targetE1EEEvS12_, .Lfunc_end1389-_ZN7rocprim17ROCPRIM_400000_NS6detail17trampoline_kernelINS0_13select_configILj256ELj13ELNS0_17block_load_methodE3ELS4_3ELS4_3ELNS0_20block_scan_algorithmE0ELj4294967295EEENS1_25partition_config_selectorILNS1_17partition_subalgoE4EjNS0_10empty_typeEbEEZZNS1_14partition_implILS8_4ELb0ES6_15HIP_vector_typeIjLj2EENS0_17counting_iteratorIjlEEPS9_SG_NS0_5tupleIJPjSI_NS0_16reverse_iteratorISI_EEEEENSH_IJSG_SG_SG_EEES9_SI_JZNS1_25segmented_radix_sort_implINS0_14default_configELb0EPKfPfPKlPlN2at6native12_GLOBAL__N_18offset_tEEE10hipError_tPvRmT1_PNSt15iterator_traitsIS12_E10value_typeET2_T3_PNS13_IS18_E10value_typeET4_jRbjT5_S1E_jjP12ihipStream_tbEUljE_ZNSN_ISO_Lb0ESQ_SR_ST_SU_SY_EESZ_S10_S11_S12_S16_S17_S18_S1B_S1C_jS1D_jS1E_S1E_jjS1G_bEUljE0_EEESZ_S10_S11_S18_S1C_S1E_T6_T7_T9_mT8_S1G_bDpT10_ENKUlT_T0_E_clISt17integral_constantIbLb0EES1T_IbLb1EEEEDaS1P_S1Q_EUlS1P_E_NS1_11comp_targetILNS1_3genE3ELNS1_11target_archE908ELNS1_3gpuE7ELNS1_3repE0EEENS1_30default_config_static_selectorELNS0_4arch9wavefront6targetE1EEEvS12_
                                        ; -- End function
	.section	.AMDGPU.csdata,"",@progbits
; Kernel info:
; codeLenInByte = 0
; NumSgprs: 4
; NumVgprs: 0
; NumAgprs: 0
; TotalNumVgprs: 0
; ScratchSize: 0
; MemoryBound: 0
; FloatMode: 240
; IeeeMode: 1
; LDSByteSize: 0 bytes/workgroup (compile time only)
; SGPRBlocks: 0
; VGPRBlocks: 0
; NumSGPRsForWavesPerEU: 4
; NumVGPRsForWavesPerEU: 1
; AccumOffset: 4
; Occupancy: 8
; WaveLimiterHint : 0
; COMPUTE_PGM_RSRC2:SCRATCH_EN: 0
; COMPUTE_PGM_RSRC2:USER_SGPR: 6
; COMPUTE_PGM_RSRC2:TRAP_HANDLER: 0
; COMPUTE_PGM_RSRC2:TGID_X_EN: 1
; COMPUTE_PGM_RSRC2:TGID_Y_EN: 0
; COMPUTE_PGM_RSRC2:TGID_Z_EN: 0
; COMPUTE_PGM_RSRC2:TIDIG_COMP_CNT: 0
; COMPUTE_PGM_RSRC3_GFX90A:ACCUM_OFFSET: 0
; COMPUTE_PGM_RSRC3_GFX90A:TG_SPLIT: 0
	.section	.text._ZN7rocprim17ROCPRIM_400000_NS6detail17trampoline_kernelINS0_13select_configILj256ELj13ELNS0_17block_load_methodE3ELS4_3ELS4_3ELNS0_20block_scan_algorithmE0ELj4294967295EEENS1_25partition_config_selectorILNS1_17partition_subalgoE4EjNS0_10empty_typeEbEEZZNS1_14partition_implILS8_4ELb0ES6_15HIP_vector_typeIjLj2EENS0_17counting_iteratorIjlEEPS9_SG_NS0_5tupleIJPjSI_NS0_16reverse_iteratorISI_EEEEENSH_IJSG_SG_SG_EEES9_SI_JZNS1_25segmented_radix_sort_implINS0_14default_configELb0EPKfPfPKlPlN2at6native12_GLOBAL__N_18offset_tEEE10hipError_tPvRmT1_PNSt15iterator_traitsIS12_E10value_typeET2_T3_PNS13_IS18_E10value_typeET4_jRbjT5_S1E_jjP12ihipStream_tbEUljE_ZNSN_ISO_Lb0ESQ_SR_ST_SU_SY_EESZ_S10_S11_S12_S16_S17_S18_S1B_S1C_jS1D_jS1E_S1E_jjS1G_bEUljE0_EEESZ_S10_S11_S18_S1C_S1E_T6_T7_T9_mT8_S1G_bDpT10_ENKUlT_T0_E_clISt17integral_constantIbLb0EES1T_IbLb1EEEEDaS1P_S1Q_EUlS1P_E_NS1_11comp_targetILNS1_3genE2ELNS1_11target_archE906ELNS1_3gpuE6ELNS1_3repE0EEENS1_30default_config_static_selectorELNS0_4arch9wavefront6targetE1EEEvS12_,"axG",@progbits,_ZN7rocprim17ROCPRIM_400000_NS6detail17trampoline_kernelINS0_13select_configILj256ELj13ELNS0_17block_load_methodE3ELS4_3ELS4_3ELNS0_20block_scan_algorithmE0ELj4294967295EEENS1_25partition_config_selectorILNS1_17partition_subalgoE4EjNS0_10empty_typeEbEEZZNS1_14partition_implILS8_4ELb0ES6_15HIP_vector_typeIjLj2EENS0_17counting_iteratorIjlEEPS9_SG_NS0_5tupleIJPjSI_NS0_16reverse_iteratorISI_EEEEENSH_IJSG_SG_SG_EEES9_SI_JZNS1_25segmented_radix_sort_implINS0_14default_configELb0EPKfPfPKlPlN2at6native12_GLOBAL__N_18offset_tEEE10hipError_tPvRmT1_PNSt15iterator_traitsIS12_E10value_typeET2_T3_PNS13_IS18_E10value_typeET4_jRbjT5_S1E_jjP12ihipStream_tbEUljE_ZNSN_ISO_Lb0ESQ_SR_ST_SU_SY_EESZ_S10_S11_S12_S16_S17_S18_S1B_S1C_jS1D_jS1E_S1E_jjS1G_bEUljE0_EEESZ_S10_S11_S18_S1C_S1E_T6_T7_T9_mT8_S1G_bDpT10_ENKUlT_T0_E_clISt17integral_constantIbLb0EES1T_IbLb1EEEEDaS1P_S1Q_EUlS1P_E_NS1_11comp_targetILNS1_3genE2ELNS1_11target_archE906ELNS1_3gpuE6ELNS1_3repE0EEENS1_30default_config_static_selectorELNS0_4arch9wavefront6targetE1EEEvS12_,comdat
	.globl	_ZN7rocprim17ROCPRIM_400000_NS6detail17trampoline_kernelINS0_13select_configILj256ELj13ELNS0_17block_load_methodE3ELS4_3ELS4_3ELNS0_20block_scan_algorithmE0ELj4294967295EEENS1_25partition_config_selectorILNS1_17partition_subalgoE4EjNS0_10empty_typeEbEEZZNS1_14partition_implILS8_4ELb0ES6_15HIP_vector_typeIjLj2EENS0_17counting_iteratorIjlEEPS9_SG_NS0_5tupleIJPjSI_NS0_16reverse_iteratorISI_EEEEENSH_IJSG_SG_SG_EEES9_SI_JZNS1_25segmented_radix_sort_implINS0_14default_configELb0EPKfPfPKlPlN2at6native12_GLOBAL__N_18offset_tEEE10hipError_tPvRmT1_PNSt15iterator_traitsIS12_E10value_typeET2_T3_PNS13_IS18_E10value_typeET4_jRbjT5_S1E_jjP12ihipStream_tbEUljE_ZNSN_ISO_Lb0ESQ_SR_ST_SU_SY_EESZ_S10_S11_S12_S16_S17_S18_S1B_S1C_jS1D_jS1E_S1E_jjS1G_bEUljE0_EEESZ_S10_S11_S18_S1C_S1E_T6_T7_T9_mT8_S1G_bDpT10_ENKUlT_T0_E_clISt17integral_constantIbLb0EES1T_IbLb1EEEEDaS1P_S1Q_EUlS1P_E_NS1_11comp_targetILNS1_3genE2ELNS1_11target_archE906ELNS1_3gpuE6ELNS1_3repE0EEENS1_30default_config_static_selectorELNS0_4arch9wavefront6targetE1EEEvS12_ ; -- Begin function _ZN7rocprim17ROCPRIM_400000_NS6detail17trampoline_kernelINS0_13select_configILj256ELj13ELNS0_17block_load_methodE3ELS4_3ELS4_3ELNS0_20block_scan_algorithmE0ELj4294967295EEENS1_25partition_config_selectorILNS1_17partition_subalgoE4EjNS0_10empty_typeEbEEZZNS1_14partition_implILS8_4ELb0ES6_15HIP_vector_typeIjLj2EENS0_17counting_iteratorIjlEEPS9_SG_NS0_5tupleIJPjSI_NS0_16reverse_iteratorISI_EEEEENSH_IJSG_SG_SG_EEES9_SI_JZNS1_25segmented_radix_sort_implINS0_14default_configELb0EPKfPfPKlPlN2at6native12_GLOBAL__N_18offset_tEEE10hipError_tPvRmT1_PNSt15iterator_traitsIS12_E10value_typeET2_T3_PNS13_IS18_E10value_typeET4_jRbjT5_S1E_jjP12ihipStream_tbEUljE_ZNSN_ISO_Lb0ESQ_SR_ST_SU_SY_EESZ_S10_S11_S12_S16_S17_S18_S1B_S1C_jS1D_jS1E_S1E_jjS1G_bEUljE0_EEESZ_S10_S11_S18_S1C_S1E_T6_T7_T9_mT8_S1G_bDpT10_ENKUlT_T0_E_clISt17integral_constantIbLb0EES1T_IbLb1EEEEDaS1P_S1Q_EUlS1P_E_NS1_11comp_targetILNS1_3genE2ELNS1_11target_archE906ELNS1_3gpuE6ELNS1_3repE0EEENS1_30default_config_static_selectorELNS0_4arch9wavefront6targetE1EEEvS12_
	.p2align	8
	.type	_ZN7rocprim17ROCPRIM_400000_NS6detail17trampoline_kernelINS0_13select_configILj256ELj13ELNS0_17block_load_methodE3ELS4_3ELS4_3ELNS0_20block_scan_algorithmE0ELj4294967295EEENS1_25partition_config_selectorILNS1_17partition_subalgoE4EjNS0_10empty_typeEbEEZZNS1_14partition_implILS8_4ELb0ES6_15HIP_vector_typeIjLj2EENS0_17counting_iteratorIjlEEPS9_SG_NS0_5tupleIJPjSI_NS0_16reverse_iteratorISI_EEEEENSH_IJSG_SG_SG_EEES9_SI_JZNS1_25segmented_radix_sort_implINS0_14default_configELb0EPKfPfPKlPlN2at6native12_GLOBAL__N_18offset_tEEE10hipError_tPvRmT1_PNSt15iterator_traitsIS12_E10value_typeET2_T3_PNS13_IS18_E10value_typeET4_jRbjT5_S1E_jjP12ihipStream_tbEUljE_ZNSN_ISO_Lb0ESQ_SR_ST_SU_SY_EESZ_S10_S11_S12_S16_S17_S18_S1B_S1C_jS1D_jS1E_S1E_jjS1G_bEUljE0_EEESZ_S10_S11_S18_S1C_S1E_T6_T7_T9_mT8_S1G_bDpT10_ENKUlT_T0_E_clISt17integral_constantIbLb0EES1T_IbLb1EEEEDaS1P_S1Q_EUlS1P_E_NS1_11comp_targetILNS1_3genE2ELNS1_11target_archE906ELNS1_3gpuE6ELNS1_3repE0EEENS1_30default_config_static_selectorELNS0_4arch9wavefront6targetE1EEEvS12_,@function
_ZN7rocprim17ROCPRIM_400000_NS6detail17trampoline_kernelINS0_13select_configILj256ELj13ELNS0_17block_load_methodE3ELS4_3ELS4_3ELNS0_20block_scan_algorithmE0ELj4294967295EEENS1_25partition_config_selectorILNS1_17partition_subalgoE4EjNS0_10empty_typeEbEEZZNS1_14partition_implILS8_4ELb0ES6_15HIP_vector_typeIjLj2EENS0_17counting_iteratorIjlEEPS9_SG_NS0_5tupleIJPjSI_NS0_16reverse_iteratorISI_EEEEENSH_IJSG_SG_SG_EEES9_SI_JZNS1_25segmented_radix_sort_implINS0_14default_configELb0EPKfPfPKlPlN2at6native12_GLOBAL__N_18offset_tEEE10hipError_tPvRmT1_PNSt15iterator_traitsIS12_E10value_typeET2_T3_PNS13_IS18_E10value_typeET4_jRbjT5_S1E_jjP12ihipStream_tbEUljE_ZNSN_ISO_Lb0ESQ_SR_ST_SU_SY_EESZ_S10_S11_S12_S16_S17_S18_S1B_S1C_jS1D_jS1E_S1E_jjS1G_bEUljE0_EEESZ_S10_S11_S18_S1C_S1E_T6_T7_T9_mT8_S1G_bDpT10_ENKUlT_T0_E_clISt17integral_constantIbLb0EES1T_IbLb1EEEEDaS1P_S1Q_EUlS1P_E_NS1_11comp_targetILNS1_3genE2ELNS1_11target_archE906ELNS1_3gpuE6ELNS1_3repE0EEENS1_30default_config_static_selectorELNS0_4arch9wavefront6targetE1EEEvS12_: ; @_ZN7rocprim17ROCPRIM_400000_NS6detail17trampoline_kernelINS0_13select_configILj256ELj13ELNS0_17block_load_methodE3ELS4_3ELS4_3ELNS0_20block_scan_algorithmE0ELj4294967295EEENS1_25partition_config_selectorILNS1_17partition_subalgoE4EjNS0_10empty_typeEbEEZZNS1_14partition_implILS8_4ELb0ES6_15HIP_vector_typeIjLj2EENS0_17counting_iteratorIjlEEPS9_SG_NS0_5tupleIJPjSI_NS0_16reverse_iteratorISI_EEEEENSH_IJSG_SG_SG_EEES9_SI_JZNS1_25segmented_radix_sort_implINS0_14default_configELb0EPKfPfPKlPlN2at6native12_GLOBAL__N_18offset_tEEE10hipError_tPvRmT1_PNSt15iterator_traitsIS12_E10value_typeET2_T3_PNS13_IS18_E10value_typeET4_jRbjT5_S1E_jjP12ihipStream_tbEUljE_ZNSN_ISO_Lb0ESQ_SR_ST_SU_SY_EESZ_S10_S11_S12_S16_S17_S18_S1B_S1C_jS1D_jS1E_S1E_jjS1G_bEUljE0_EEESZ_S10_S11_S18_S1C_S1E_T6_T7_T9_mT8_S1G_bDpT10_ENKUlT_T0_E_clISt17integral_constantIbLb0EES1T_IbLb1EEEEDaS1P_S1Q_EUlS1P_E_NS1_11comp_targetILNS1_3genE2ELNS1_11target_archE906ELNS1_3gpuE6ELNS1_3repE0EEENS1_30default_config_static_selectorELNS0_4arch9wavefront6targetE1EEEvS12_
; %bb.0:
	.section	.rodata,"a",@progbits
	.p2align	6, 0x0
	.amdhsa_kernel _ZN7rocprim17ROCPRIM_400000_NS6detail17trampoline_kernelINS0_13select_configILj256ELj13ELNS0_17block_load_methodE3ELS4_3ELS4_3ELNS0_20block_scan_algorithmE0ELj4294967295EEENS1_25partition_config_selectorILNS1_17partition_subalgoE4EjNS0_10empty_typeEbEEZZNS1_14partition_implILS8_4ELb0ES6_15HIP_vector_typeIjLj2EENS0_17counting_iteratorIjlEEPS9_SG_NS0_5tupleIJPjSI_NS0_16reverse_iteratorISI_EEEEENSH_IJSG_SG_SG_EEES9_SI_JZNS1_25segmented_radix_sort_implINS0_14default_configELb0EPKfPfPKlPlN2at6native12_GLOBAL__N_18offset_tEEE10hipError_tPvRmT1_PNSt15iterator_traitsIS12_E10value_typeET2_T3_PNS13_IS18_E10value_typeET4_jRbjT5_S1E_jjP12ihipStream_tbEUljE_ZNSN_ISO_Lb0ESQ_SR_ST_SU_SY_EESZ_S10_S11_S12_S16_S17_S18_S1B_S1C_jS1D_jS1E_S1E_jjS1G_bEUljE0_EEESZ_S10_S11_S18_S1C_S1E_T6_T7_T9_mT8_S1G_bDpT10_ENKUlT_T0_E_clISt17integral_constantIbLb0EES1T_IbLb1EEEEDaS1P_S1Q_EUlS1P_E_NS1_11comp_targetILNS1_3genE2ELNS1_11target_archE906ELNS1_3gpuE6ELNS1_3repE0EEENS1_30default_config_static_selectorELNS0_4arch9wavefront6targetE1EEEvS12_
		.amdhsa_group_segment_fixed_size 0
		.amdhsa_private_segment_fixed_size 0
		.amdhsa_kernarg_size 184
		.amdhsa_user_sgpr_count 6
		.amdhsa_user_sgpr_private_segment_buffer 1
		.amdhsa_user_sgpr_dispatch_ptr 0
		.amdhsa_user_sgpr_queue_ptr 0
		.amdhsa_user_sgpr_kernarg_segment_ptr 1
		.amdhsa_user_sgpr_dispatch_id 0
		.amdhsa_user_sgpr_flat_scratch_init 0
		.amdhsa_user_sgpr_kernarg_preload_length 0
		.amdhsa_user_sgpr_kernarg_preload_offset 0
		.amdhsa_user_sgpr_private_segment_size 0
		.amdhsa_uses_dynamic_stack 0
		.amdhsa_system_sgpr_private_segment_wavefront_offset 0
		.amdhsa_system_sgpr_workgroup_id_x 1
		.amdhsa_system_sgpr_workgroup_id_y 0
		.amdhsa_system_sgpr_workgroup_id_z 0
		.amdhsa_system_sgpr_workgroup_info 0
		.amdhsa_system_vgpr_workitem_id 0
		.amdhsa_next_free_vgpr 1
		.amdhsa_next_free_sgpr 0
		.amdhsa_accum_offset 4
		.amdhsa_reserve_vcc 0
		.amdhsa_reserve_flat_scratch 0
		.amdhsa_float_round_mode_32 0
		.amdhsa_float_round_mode_16_64 0
		.amdhsa_float_denorm_mode_32 3
		.amdhsa_float_denorm_mode_16_64 3
		.amdhsa_dx10_clamp 1
		.amdhsa_ieee_mode 1
		.amdhsa_fp16_overflow 0
		.amdhsa_tg_split 0
		.amdhsa_exception_fp_ieee_invalid_op 0
		.amdhsa_exception_fp_denorm_src 0
		.amdhsa_exception_fp_ieee_div_zero 0
		.amdhsa_exception_fp_ieee_overflow 0
		.amdhsa_exception_fp_ieee_underflow 0
		.amdhsa_exception_fp_ieee_inexact 0
		.amdhsa_exception_int_div_zero 0
	.end_amdhsa_kernel
	.section	.text._ZN7rocprim17ROCPRIM_400000_NS6detail17trampoline_kernelINS0_13select_configILj256ELj13ELNS0_17block_load_methodE3ELS4_3ELS4_3ELNS0_20block_scan_algorithmE0ELj4294967295EEENS1_25partition_config_selectorILNS1_17partition_subalgoE4EjNS0_10empty_typeEbEEZZNS1_14partition_implILS8_4ELb0ES6_15HIP_vector_typeIjLj2EENS0_17counting_iteratorIjlEEPS9_SG_NS0_5tupleIJPjSI_NS0_16reverse_iteratorISI_EEEEENSH_IJSG_SG_SG_EEES9_SI_JZNS1_25segmented_radix_sort_implINS0_14default_configELb0EPKfPfPKlPlN2at6native12_GLOBAL__N_18offset_tEEE10hipError_tPvRmT1_PNSt15iterator_traitsIS12_E10value_typeET2_T3_PNS13_IS18_E10value_typeET4_jRbjT5_S1E_jjP12ihipStream_tbEUljE_ZNSN_ISO_Lb0ESQ_SR_ST_SU_SY_EESZ_S10_S11_S12_S16_S17_S18_S1B_S1C_jS1D_jS1E_S1E_jjS1G_bEUljE0_EEESZ_S10_S11_S18_S1C_S1E_T6_T7_T9_mT8_S1G_bDpT10_ENKUlT_T0_E_clISt17integral_constantIbLb0EES1T_IbLb1EEEEDaS1P_S1Q_EUlS1P_E_NS1_11comp_targetILNS1_3genE2ELNS1_11target_archE906ELNS1_3gpuE6ELNS1_3repE0EEENS1_30default_config_static_selectorELNS0_4arch9wavefront6targetE1EEEvS12_,"axG",@progbits,_ZN7rocprim17ROCPRIM_400000_NS6detail17trampoline_kernelINS0_13select_configILj256ELj13ELNS0_17block_load_methodE3ELS4_3ELS4_3ELNS0_20block_scan_algorithmE0ELj4294967295EEENS1_25partition_config_selectorILNS1_17partition_subalgoE4EjNS0_10empty_typeEbEEZZNS1_14partition_implILS8_4ELb0ES6_15HIP_vector_typeIjLj2EENS0_17counting_iteratorIjlEEPS9_SG_NS0_5tupleIJPjSI_NS0_16reverse_iteratorISI_EEEEENSH_IJSG_SG_SG_EEES9_SI_JZNS1_25segmented_radix_sort_implINS0_14default_configELb0EPKfPfPKlPlN2at6native12_GLOBAL__N_18offset_tEEE10hipError_tPvRmT1_PNSt15iterator_traitsIS12_E10value_typeET2_T3_PNS13_IS18_E10value_typeET4_jRbjT5_S1E_jjP12ihipStream_tbEUljE_ZNSN_ISO_Lb0ESQ_SR_ST_SU_SY_EESZ_S10_S11_S12_S16_S17_S18_S1B_S1C_jS1D_jS1E_S1E_jjS1G_bEUljE0_EEESZ_S10_S11_S18_S1C_S1E_T6_T7_T9_mT8_S1G_bDpT10_ENKUlT_T0_E_clISt17integral_constantIbLb0EES1T_IbLb1EEEEDaS1P_S1Q_EUlS1P_E_NS1_11comp_targetILNS1_3genE2ELNS1_11target_archE906ELNS1_3gpuE6ELNS1_3repE0EEENS1_30default_config_static_selectorELNS0_4arch9wavefront6targetE1EEEvS12_,comdat
.Lfunc_end1390:
	.size	_ZN7rocprim17ROCPRIM_400000_NS6detail17trampoline_kernelINS0_13select_configILj256ELj13ELNS0_17block_load_methodE3ELS4_3ELS4_3ELNS0_20block_scan_algorithmE0ELj4294967295EEENS1_25partition_config_selectorILNS1_17partition_subalgoE4EjNS0_10empty_typeEbEEZZNS1_14partition_implILS8_4ELb0ES6_15HIP_vector_typeIjLj2EENS0_17counting_iteratorIjlEEPS9_SG_NS0_5tupleIJPjSI_NS0_16reverse_iteratorISI_EEEEENSH_IJSG_SG_SG_EEES9_SI_JZNS1_25segmented_radix_sort_implINS0_14default_configELb0EPKfPfPKlPlN2at6native12_GLOBAL__N_18offset_tEEE10hipError_tPvRmT1_PNSt15iterator_traitsIS12_E10value_typeET2_T3_PNS13_IS18_E10value_typeET4_jRbjT5_S1E_jjP12ihipStream_tbEUljE_ZNSN_ISO_Lb0ESQ_SR_ST_SU_SY_EESZ_S10_S11_S12_S16_S17_S18_S1B_S1C_jS1D_jS1E_S1E_jjS1G_bEUljE0_EEESZ_S10_S11_S18_S1C_S1E_T6_T7_T9_mT8_S1G_bDpT10_ENKUlT_T0_E_clISt17integral_constantIbLb0EES1T_IbLb1EEEEDaS1P_S1Q_EUlS1P_E_NS1_11comp_targetILNS1_3genE2ELNS1_11target_archE906ELNS1_3gpuE6ELNS1_3repE0EEENS1_30default_config_static_selectorELNS0_4arch9wavefront6targetE1EEEvS12_, .Lfunc_end1390-_ZN7rocprim17ROCPRIM_400000_NS6detail17trampoline_kernelINS0_13select_configILj256ELj13ELNS0_17block_load_methodE3ELS4_3ELS4_3ELNS0_20block_scan_algorithmE0ELj4294967295EEENS1_25partition_config_selectorILNS1_17partition_subalgoE4EjNS0_10empty_typeEbEEZZNS1_14partition_implILS8_4ELb0ES6_15HIP_vector_typeIjLj2EENS0_17counting_iteratorIjlEEPS9_SG_NS0_5tupleIJPjSI_NS0_16reverse_iteratorISI_EEEEENSH_IJSG_SG_SG_EEES9_SI_JZNS1_25segmented_radix_sort_implINS0_14default_configELb0EPKfPfPKlPlN2at6native12_GLOBAL__N_18offset_tEEE10hipError_tPvRmT1_PNSt15iterator_traitsIS12_E10value_typeET2_T3_PNS13_IS18_E10value_typeET4_jRbjT5_S1E_jjP12ihipStream_tbEUljE_ZNSN_ISO_Lb0ESQ_SR_ST_SU_SY_EESZ_S10_S11_S12_S16_S17_S18_S1B_S1C_jS1D_jS1E_S1E_jjS1G_bEUljE0_EEESZ_S10_S11_S18_S1C_S1E_T6_T7_T9_mT8_S1G_bDpT10_ENKUlT_T0_E_clISt17integral_constantIbLb0EES1T_IbLb1EEEEDaS1P_S1Q_EUlS1P_E_NS1_11comp_targetILNS1_3genE2ELNS1_11target_archE906ELNS1_3gpuE6ELNS1_3repE0EEENS1_30default_config_static_selectorELNS0_4arch9wavefront6targetE1EEEvS12_
                                        ; -- End function
	.section	.AMDGPU.csdata,"",@progbits
; Kernel info:
; codeLenInByte = 0
; NumSgprs: 4
; NumVgprs: 0
; NumAgprs: 0
; TotalNumVgprs: 0
; ScratchSize: 0
; MemoryBound: 0
; FloatMode: 240
; IeeeMode: 1
; LDSByteSize: 0 bytes/workgroup (compile time only)
; SGPRBlocks: 0
; VGPRBlocks: 0
; NumSGPRsForWavesPerEU: 4
; NumVGPRsForWavesPerEU: 1
; AccumOffset: 4
; Occupancy: 8
; WaveLimiterHint : 0
; COMPUTE_PGM_RSRC2:SCRATCH_EN: 0
; COMPUTE_PGM_RSRC2:USER_SGPR: 6
; COMPUTE_PGM_RSRC2:TRAP_HANDLER: 0
; COMPUTE_PGM_RSRC2:TGID_X_EN: 1
; COMPUTE_PGM_RSRC2:TGID_Y_EN: 0
; COMPUTE_PGM_RSRC2:TGID_Z_EN: 0
; COMPUTE_PGM_RSRC2:TIDIG_COMP_CNT: 0
; COMPUTE_PGM_RSRC3_GFX90A:ACCUM_OFFSET: 0
; COMPUTE_PGM_RSRC3_GFX90A:TG_SPLIT: 0
	.section	.text._ZN7rocprim17ROCPRIM_400000_NS6detail17trampoline_kernelINS0_13select_configILj256ELj13ELNS0_17block_load_methodE3ELS4_3ELS4_3ELNS0_20block_scan_algorithmE0ELj4294967295EEENS1_25partition_config_selectorILNS1_17partition_subalgoE4EjNS0_10empty_typeEbEEZZNS1_14partition_implILS8_4ELb0ES6_15HIP_vector_typeIjLj2EENS0_17counting_iteratorIjlEEPS9_SG_NS0_5tupleIJPjSI_NS0_16reverse_iteratorISI_EEEEENSH_IJSG_SG_SG_EEES9_SI_JZNS1_25segmented_radix_sort_implINS0_14default_configELb0EPKfPfPKlPlN2at6native12_GLOBAL__N_18offset_tEEE10hipError_tPvRmT1_PNSt15iterator_traitsIS12_E10value_typeET2_T3_PNS13_IS18_E10value_typeET4_jRbjT5_S1E_jjP12ihipStream_tbEUljE_ZNSN_ISO_Lb0ESQ_SR_ST_SU_SY_EESZ_S10_S11_S12_S16_S17_S18_S1B_S1C_jS1D_jS1E_S1E_jjS1G_bEUljE0_EEESZ_S10_S11_S18_S1C_S1E_T6_T7_T9_mT8_S1G_bDpT10_ENKUlT_T0_E_clISt17integral_constantIbLb0EES1T_IbLb1EEEEDaS1P_S1Q_EUlS1P_E_NS1_11comp_targetILNS1_3genE10ELNS1_11target_archE1200ELNS1_3gpuE4ELNS1_3repE0EEENS1_30default_config_static_selectorELNS0_4arch9wavefront6targetE1EEEvS12_,"axG",@progbits,_ZN7rocprim17ROCPRIM_400000_NS6detail17trampoline_kernelINS0_13select_configILj256ELj13ELNS0_17block_load_methodE3ELS4_3ELS4_3ELNS0_20block_scan_algorithmE0ELj4294967295EEENS1_25partition_config_selectorILNS1_17partition_subalgoE4EjNS0_10empty_typeEbEEZZNS1_14partition_implILS8_4ELb0ES6_15HIP_vector_typeIjLj2EENS0_17counting_iteratorIjlEEPS9_SG_NS0_5tupleIJPjSI_NS0_16reverse_iteratorISI_EEEEENSH_IJSG_SG_SG_EEES9_SI_JZNS1_25segmented_radix_sort_implINS0_14default_configELb0EPKfPfPKlPlN2at6native12_GLOBAL__N_18offset_tEEE10hipError_tPvRmT1_PNSt15iterator_traitsIS12_E10value_typeET2_T3_PNS13_IS18_E10value_typeET4_jRbjT5_S1E_jjP12ihipStream_tbEUljE_ZNSN_ISO_Lb0ESQ_SR_ST_SU_SY_EESZ_S10_S11_S12_S16_S17_S18_S1B_S1C_jS1D_jS1E_S1E_jjS1G_bEUljE0_EEESZ_S10_S11_S18_S1C_S1E_T6_T7_T9_mT8_S1G_bDpT10_ENKUlT_T0_E_clISt17integral_constantIbLb0EES1T_IbLb1EEEEDaS1P_S1Q_EUlS1P_E_NS1_11comp_targetILNS1_3genE10ELNS1_11target_archE1200ELNS1_3gpuE4ELNS1_3repE0EEENS1_30default_config_static_selectorELNS0_4arch9wavefront6targetE1EEEvS12_,comdat
	.globl	_ZN7rocprim17ROCPRIM_400000_NS6detail17trampoline_kernelINS0_13select_configILj256ELj13ELNS0_17block_load_methodE3ELS4_3ELS4_3ELNS0_20block_scan_algorithmE0ELj4294967295EEENS1_25partition_config_selectorILNS1_17partition_subalgoE4EjNS0_10empty_typeEbEEZZNS1_14partition_implILS8_4ELb0ES6_15HIP_vector_typeIjLj2EENS0_17counting_iteratorIjlEEPS9_SG_NS0_5tupleIJPjSI_NS0_16reverse_iteratorISI_EEEEENSH_IJSG_SG_SG_EEES9_SI_JZNS1_25segmented_radix_sort_implINS0_14default_configELb0EPKfPfPKlPlN2at6native12_GLOBAL__N_18offset_tEEE10hipError_tPvRmT1_PNSt15iterator_traitsIS12_E10value_typeET2_T3_PNS13_IS18_E10value_typeET4_jRbjT5_S1E_jjP12ihipStream_tbEUljE_ZNSN_ISO_Lb0ESQ_SR_ST_SU_SY_EESZ_S10_S11_S12_S16_S17_S18_S1B_S1C_jS1D_jS1E_S1E_jjS1G_bEUljE0_EEESZ_S10_S11_S18_S1C_S1E_T6_T7_T9_mT8_S1G_bDpT10_ENKUlT_T0_E_clISt17integral_constantIbLb0EES1T_IbLb1EEEEDaS1P_S1Q_EUlS1P_E_NS1_11comp_targetILNS1_3genE10ELNS1_11target_archE1200ELNS1_3gpuE4ELNS1_3repE0EEENS1_30default_config_static_selectorELNS0_4arch9wavefront6targetE1EEEvS12_ ; -- Begin function _ZN7rocprim17ROCPRIM_400000_NS6detail17trampoline_kernelINS0_13select_configILj256ELj13ELNS0_17block_load_methodE3ELS4_3ELS4_3ELNS0_20block_scan_algorithmE0ELj4294967295EEENS1_25partition_config_selectorILNS1_17partition_subalgoE4EjNS0_10empty_typeEbEEZZNS1_14partition_implILS8_4ELb0ES6_15HIP_vector_typeIjLj2EENS0_17counting_iteratorIjlEEPS9_SG_NS0_5tupleIJPjSI_NS0_16reverse_iteratorISI_EEEEENSH_IJSG_SG_SG_EEES9_SI_JZNS1_25segmented_radix_sort_implINS0_14default_configELb0EPKfPfPKlPlN2at6native12_GLOBAL__N_18offset_tEEE10hipError_tPvRmT1_PNSt15iterator_traitsIS12_E10value_typeET2_T3_PNS13_IS18_E10value_typeET4_jRbjT5_S1E_jjP12ihipStream_tbEUljE_ZNSN_ISO_Lb0ESQ_SR_ST_SU_SY_EESZ_S10_S11_S12_S16_S17_S18_S1B_S1C_jS1D_jS1E_S1E_jjS1G_bEUljE0_EEESZ_S10_S11_S18_S1C_S1E_T6_T7_T9_mT8_S1G_bDpT10_ENKUlT_T0_E_clISt17integral_constantIbLb0EES1T_IbLb1EEEEDaS1P_S1Q_EUlS1P_E_NS1_11comp_targetILNS1_3genE10ELNS1_11target_archE1200ELNS1_3gpuE4ELNS1_3repE0EEENS1_30default_config_static_selectorELNS0_4arch9wavefront6targetE1EEEvS12_
	.p2align	8
	.type	_ZN7rocprim17ROCPRIM_400000_NS6detail17trampoline_kernelINS0_13select_configILj256ELj13ELNS0_17block_load_methodE3ELS4_3ELS4_3ELNS0_20block_scan_algorithmE0ELj4294967295EEENS1_25partition_config_selectorILNS1_17partition_subalgoE4EjNS0_10empty_typeEbEEZZNS1_14partition_implILS8_4ELb0ES6_15HIP_vector_typeIjLj2EENS0_17counting_iteratorIjlEEPS9_SG_NS0_5tupleIJPjSI_NS0_16reverse_iteratorISI_EEEEENSH_IJSG_SG_SG_EEES9_SI_JZNS1_25segmented_radix_sort_implINS0_14default_configELb0EPKfPfPKlPlN2at6native12_GLOBAL__N_18offset_tEEE10hipError_tPvRmT1_PNSt15iterator_traitsIS12_E10value_typeET2_T3_PNS13_IS18_E10value_typeET4_jRbjT5_S1E_jjP12ihipStream_tbEUljE_ZNSN_ISO_Lb0ESQ_SR_ST_SU_SY_EESZ_S10_S11_S12_S16_S17_S18_S1B_S1C_jS1D_jS1E_S1E_jjS1G_bEUljE0_EEESZ_S10_S11_S18_S1C_S1E_T6_T7_T9_mT8_S1G_bDpT10_ENKUlT_T0_E_clISt17integral_constantIbLb0EES1T_IbLb1EEEEDaS1P_S1Q_EUlS1P_E_NS1_11comp_targetILNS1_3genE10ELNS1_11target_archE1200ELNS1_3gpuE4ELNS1_3repE0EEENS1_30default_config_static_selectorELNS0_4arch9wavefront6targetE1EEEvS12_,@function
_ZN7rocprim17ROCPRIM_400000_NS6detail17trampoline_kernelINS0_13select_configILj256ELj13ELNS0_17block_load_methodE3ELS4_3ELS4_3ELNS0_20block_scan_algorithmE0ELj4294967295EEENS1_25partition_config_selectorILNS1_17partition_subalgoE4EjNS0_10empty_typeEbEEZZNS1_14partition_implILS8_4ELb0ES6_15HIP_vector_typeIjLj2EENS0_17counting_iteratorIjlEEPS9_SG_NS0_5tupleIJPjSI_NS0_16reverse_iteratorISI_EEEEENSH_IJSG_SG_SG_EEES9_SI_JZNS1_25segmented_radix_sort_implINS0_14default_configELb0EPKfPfPKlPlN2at6native12_GLOBAL__N_18offset_tEEE10hipError_tPvRmT1_PNSt15iterator_traitsIS12_E10value_typeET2_T3_PNS13_IS18_E10value_typeET4_jRbjT5_S1E_jjP12ihipStream_tbEUljE_ZNSN_ISO_Lb0ESQ_SR_ST_SU_SY_EESZ_S10_S11_S12_S16_S17_S18_S1B_S1C_jS1D_jS1E_S1E_jjS1G_bEUljE0_EEESZ_S10_S11_S18_S1C_S1E_T6_T7_T9_mT8_S1G_bDpT10_ENKUlT_T0_E_clISt17integral_constantIbLb0EES1T_IbLb1EEEEDaS1P_S1Q_EUlS1P_E_NS1_11comp_targetILNS1_3genE10ELNS1_11target_archE1200ELNS1_3gpuE4ELNS1_3repE0EEENS1_30default_config_static_selectorELNS0_4arch9wavefront6targetE1EEEvS12_: ; @_ZN7rocprim17ROCPRIM_400000_NS6detail17trampoline_kernelINS0_13select_configILj256ELj13ELNS0_17block_load_methodE3ELS4_3ELS4_3ELNS0_20block_scan_algorithmE0ELj4294967295EEENS1_25partition_config_selectorILNS1_17partition_subalgoE4EjNS0_10empty_typeEbEEZZNS1_14partition_implILS8_4ELb0ES6_15HIP_vector_typeIjLj2EENS0_17counting_iteratorIjlEEPS9_SG_NS0_5tupleIJPjSI_NS0_16reverse_iteratorISI_EEEEENSH_IJSG_SG_SG_EEES9_SI_JZNS1_25segmented_radix_sort_implINS0_14default_configELb0EPKfPfPKlPlN2at6native12_GLOBAL__N_18offset_tEEE10hipError_tPvRmT1_PNSt15iterator_traitsIS12_E10value_typeET2_T3_PNS13_IS18_E10value_typeET4_jRbjT5_S1E_jjP12ihipStream_tbEUljE_ZNSN_ISO_Lb0ESQ_SR_ST_SU_SY_EESZ_S10_S11_S12_S16_S17_S18_S1B_S1C_jS1D_jS1E_S1E_jjS1G_bEUljE0_EEESZ_S10_S11_S18_S1C_S1E_T6_T7_T9_mT8_S1G_bDpT10_ENKUlT_T0_E_clISt17integral_constantIbLb0EES1T_IbLb1EEEEDaS1P_S1Q_EUlS1P_E_NS1_11comp_targetILNS1_3genE10ELNS1_11target_archE1200ELNS1_3gpuE4ELNS1_3repE0EEENS1_30default_config_static_selectorELNS0_4arch9wavefront6targetE1EEEvS12_
; %bb.0:
	.section	.rodata,"a",@progbits
	.p2align	6, 0x0
	.amdhsa_kernel _ZN7rocprim17ROCPRIM_400000_NS6detail17trampoline_kernelINS0_13select_configILj256ELj13ELNS0_17block_load_methodE3ELS4_3ELS4_3ELNS0_20block_scan_algorithmE0ELj4294967295EEENS1_25partition_config_selectorILNS1_17partition_subalgoE4EjNS0_10empty_typeEbEEZZNS1_14partition_implILS8_4ELb0ES6_15HIP_vector_typeIjLj2EENS0_17counting_iteratorIjlEEPS9_SG_NS0_5tupleIJPjSI_NS0_16reverse_iteratorISI_EEEEENSH_IJSG_SG_SG_EEES9_SI_JZNS1_25segmented_radix_sort_implINS0_14default_configELb0EPKfPfPKlPlN2at6native12_GLOBAL__N_18offset_tEEE10hipError_tPvRmT1_PNSt15iterator_traitsIS12_E10value_typeET2_T3_PNS13_IS18_E10value_typeET4_jRbjT5_S1E_jjP12ihipStream_tbEUljE_ZNSN_ISO_Lb0ESQ_SR_ST_SU_SY_EESZ_S10_S11_S12_S16_S17_S18_S1B_S1C_jS1D_jS1E_S1E_jjS1G_bEUljE0_EEESZ_S10_S11_S18_S1C_S1E_T6_T7_T9_mT8_S1G_bDpT10_ENKUlT_T0_E_clISt17integral_constantIbLb0EES1T_IbLb1EEEEDaS1P_S1Q_EUlS1P_E_NS1_11comp_targetILNS1_3genE10ELNS1_11target_archE1200ELNS1_3gpuE4ELNS1_3repE0EEENS1_30default_config_static_selectorELNS0_4arch9wavefront6targetE1EEEvS12_
		.amdhsa_group_segment_fixed_size 0
		.amdhsa_private_segment_fixed_size 0
		.amdhsa_kernarg_size 184
		.amdhsa_user_sgpr_count 6
		.amdhsa_user_sgpr_private_segment_buffer 1
		.amdhsa_user_sgpr_dispatch_ptr 0
		.amdhsa_user_sgpr_queue_ptr 0
		.amdhsa_user_sgpr_kernarg_segment_ptr 1
		.amdhsa_user_sgpr_dispatch_id 0
		.amdhsa_user_sgpr_flat_scratch_init 0
		.amdhsa_user_sgpr_kernarg_preload_length 0
		.amdhsa_user_sgpr_kernarg_preload_offset 0
		.amdhsa_user_sgpr_private_segment_size 0
		.amdhsa_uses_dynamic_stack 0
		.amdhsa_system_sgpr_private_segment_wavefront_offset 0
		.amdhsa_system_sgpr_workgroup_id_x 1
		.amdhsa_system_sgpr_workgroup_id_y 0
		.amdhsa_system_sgpr_workgroup_id_z 0
		.amdhsa_system_sgpr_workgroup_info 0
		.amdhsa_system_vgpr_workitem_id 0
		.amdhsa_next_free_vgpr 1
		.amdhsa_next_free_sgpr 0
		.amdhsa_accum_offset 4
		.amdhsa_reserve_vcc 0
		.amdhsa_reserve_flat_scratch 0
		.amdhsa_float_round_mode_32 0
		.amdhsa_float_round_mode_16_64 0
		.amdhsa_float_denorm_mode_32 3
		.amdhsa_float_denorm_mode_16_64 3
		.amdhsa_dx10_clamp 1
		.amdhsa_ieee_mode 1
		.amdhsa_fp16_overflow 0
		.amdhsa_tg_split 0
		.amdhsa_exception_fp_ieee_invalid_op 0
		.amdhsa_exception_fp_denorm_src 0
		.amdhsa_exception_fp_ieee_div_zero 0
		.amdhsa_exception_fp_ieee_overflow 0
		.amdhsa_exception_fp_ieee_underflow 0
		.amdhsa_exception_fp_ieee_inexact 0
		.amdhsa_exception_int_div_zero 0
	.end_amdhsa_kernel
	.section	.text._ZN7rocprim17ROCPRIM_400000_NS6detail17trampoline_kernelINS0_13select_configILj256ELj13ELNS0_17block_load_methodE3ELS4_3ELS4_3ELNS0_20block_scan_algorithmE0ELj4294967295EEENS1_25partition_config_selectorILNS1_17partition_subalgoE4EjNS0_10empty_typeEbEEZZNS1_14partition_implILS8_4ELb0ES6_15HIP_vector_typeIjLj2EENS0_17counting_iteratorIjlEEPS9_SG_NS0_5tupleIJPjSI_NS0_16reverse_iteratorISI_EEEEENSH_IJSG_SG_SG_EEES9_SI_JZNS1_25segmented_radix_sort_implINS0_14default_configELb0EPKfPfPKlPlN2at6native12_GLOBAL__N_18offset_tEEE10hipError_tPvRmT1_PNSt15iterator_traitsIS12_E10value_typeET2_T3_PNS13_IS18_E10value_typeET4_jRbjT5_S1E_jjP12ihipStream_tbEUljE_ZNSN_ISO_Lb0ESQ_SR_ST_SU_SY_EESZ_S10_S11_S12_S16_S17_S18_S1B_S1C_jS1D_jS1E_S1E_jjS1G_bEUljE0_EEESZ_S10_S11_S18_S1C_S1E_T6_T7_T9_mT8_S1G_bDpT10_ENKUlT_T0_E_clISt17integral_constantIbLb0EES1T_IbLb1EEEEDaS1P_S1Q_EUlS1P_E_NS1_11comp_targetILNS1_3genE10ELNS1_11target_archE1200ELNS1_3gpuE4ELNS1_3repE0EEENS1_30default_config_static_selectorELNS0_4arch9wavefront6targetE1EEEvS12_,"axG",@progbits,_ZN7rocprim17ROCPRIM_400000_NS6detail17trampoline_kernelINS0_13select_configILj256ELj13ELNS0_17block_load_methodE3ELS4_3ELS4_3ELNS0_20block_scan_algorithmE0ELj4294967295EEENS1_25partition_config_selectorILNS1_17partition_subalgoE4EjNS0_10empty_typeEbEEZZNS1_14partition_implILS8_4ELb0ES6_15HIP_vector_typeIjLj2EENS0_17counting_iteratorIjlEEPS9_SG_NS0_5tupleIJPjSI_NS0_16reverse_iteratorISI_EEEEENSH_IJSG_SG_SG_EEES9_SI_JZNS1_25segmented_radix_sort_implINS0_14default_configELb0EPKfPfPKlPlN2at6native12_GLOBAL__N_18offset_tEEE10hipError_tPvRmT1_PNSt15iterator_traitsIS12_E10value_typeET2_T3_PNS13_IS18_E10value_typeET4_jRbjT5_S1E_jjP12ihipStream_tbEUljE_ZNSN_ISO_Lb0ESQ_SR_ST_SU_SY_EESZ_S10_S11_S12_S16_S17_S18_S1B_S1C_jS1D_jS1E_S1E_jjS1G_bEUljE0_EEESZ_S10_S11_S18_S1C_S1E_T6_T7_T9_mT8_S1G_bDpT10_ENKUlT_T0_E_clISt17integral_constantIbLb0EES1T_IbLb1EEEEDaS1P_S1Q_EUlS1P_E_NS1_11comp_targetILNS1_3genE10ELNS1_11target_archE1200ELNS1_3gpuE4ELNS1_3repE0EEENS1_30default_config_static_selectorELNS0_4arch9wavefront6targetE1EEEvS12_,comdat
.Lfunc_end1391:
	.size	_ZN7rocprim17ROCPRIM_400000_NS6detail17trampoline_kernelINS0_13select_configILj256ELj13ELNS0_17block_load_methodE3ELS4_3ELS4_3ELNS0_20block_scan_algorithmE0ELj4294967295EEENS1_25partition_config_selectorILNS1_17partition_subalgoE4EjNS0_10empty_typeEbEEZZNS1_14partition_implILS8_4ELb0ES6_15HIP_vector_typeIjLj2EENS0_17counting_iteratorIjlEEPS9_SG_NS0_5tupleIJPjSI_NS0_16reverse_iteratorISI_EEEEENSH_IJSG_SG_SG_EEES9_SI_JZNS1_25segmented_radix_sort_implINS0_14default_configELb0EPKfPfPKlPlN2at6native12_GLOBAL__N_18offset_tEEE10hipError_tPvRmT1_PNSt15iterator_traitsIS12_E10value_typeET2_T3_PNS13_IS18_E10value_typeET4_jRbjT5_S1E_jjP12ihipStream_tbEUljE_ZNSN_ISO_Lb0ESQ_SR_ST_SU_SY_EESZ_S10_S11_S12_S16_S17_S18_S1B_S1C_jS1D_jS1E_S1E_jjS1G_bEUljE0_EEESZ_S10_S11_S18_S1C_S1E_T6_T7_T9_mT8_S1G_bDpT10_ENKUlT_T0_E_clISt17integral_constantIbLb0EES1T_IbLb1EEEEDaS1P_S1Q_EUlS1P_E_NS1_11comp_targetILNS1_3genE10ELNS1_11target_archE1200ELNS1_3gpuE4ELNS1_3repE0EEENS1_30default_config_static_selectorELNS0_4arch9wavefront6targetE1EEEvS12_, .Lfunc_end1391-_ZN7rocprim17ROCPRIM_400000_NS6detail17trampoline_kernelINS0_13select_configILj256ELj13ELNS0_17block_load_methodE3ELS4_3ELS4_3ELNS0_20block_scan_algorithmE0ELj4294967295EEENS1_25partition_config_selectorILNS1_17partition_subalgoE4EjNS0_10empty_typeEbEEZZNS1_14partition_implILS8_4ELb0ES6_15HIP_vector_typeIjLj2EENS0_17counting_iteratorIjlEEPS9_SG_NS0_5tupleIJPjSI_NS0_16reverse_iteratorISI_EEEEENSH_IJSG_SG_SG_EEES9_SI_JZNS1_25segmented_radix_sort_implINS0_14default_configELb0EPKfPfPKlPlN2at6native12_GLOBAL__N_18offset_tEEE10hipError_tPvRmT1_PNSt15iterator_traitsIS12_E10value_typeET2_T3_PNS13_IS18_E10value_typeET4_jRbjT5_S1E_jjP12ihipStream_tbEUljE_ZNSN_ISO_Lb0ESQ_SR_ST_SU_SY_EESZ_S10_S11_S12_S16_S17_S18_S1B_S1C_jS1D_jS1E_S1E_jjS1G_bEUljE0_EEESZ_S10_S11_S18_S1C_S1E_T6_T7_T9_mT8_S1G_bDpT10_ENKUlT_T0_E_clISt17integral_constantIbLb0EES1T_IbLb1EEEEDaS1P_S1Q_EUlS1P_E_NS1_11comp_targetILNS1_3genE10ELNS1_11target_archE1200ELNS1_3gpuE4ELNS1_3repE0EEENS1_30default_config_static_selectorELNS0_4arch9wavefront6targetE1EEEvS12_
                                        ; -- End function
	.section	.AMDGPU.csdata,"",@progbits
; Kernel info:
; codeLenInByte = 0
; NumSgprs: 4
; NumVgprs: 0
; NumAgprs: 0
; TotalNumVgprs: 0
; ScratchSize: 0
; MemoryBound: 0
; FloatMode: 240
; IeeeMode: 1
; LDSByteSize: 0 bytes/workgroup (compile time only)
; SGPRBlocks: 0
; VGPRBlocks: 0
; NumSGPRsForWavesPerEU: 4
; NumVGPRsForWavesPerEU: 1
; AccumOffset: 4
; Occupancy: 8
; WaveLimiterHint : 0
; COMPUTE_PGM_RSRC2:SCRATCH_EN: 0
; COMPUTE_PGM_RSRC2:USER_SGPR: 6
; COMPUTE_PGM_RSRC2:TRAP_HANDLER: 0
; COMPUTE_PGM_RSRC2:TGID_X_EN: 1
; COMPUTE_PGM_RSRC2:TGID_Y_EN: 0
; COMPUTE_PGM_RSRC2:TGID_Z_EN: 0
; COMPUTE_PGM_RSRC2:TIDIG_COMP_CNT: 0
; COMPUTE_PGM_RSRC3_GFX90A:ACCUM_OFFSET: 0
; COMPUTE_PGM_RSRC3_GFX90A:TG_SPLIT: 0
	.section	.text._ZN7rocprim17ROCPRIM_400000_NS6detail17trampoline_kernelINS0_13select_configILj256ELj13ELNS0_17block_load_methodE3ELS4_3ELS4_3ELNS0_20block_scan_algorithmE0ELj4294967295EEENS1_25partition_config_selectorILNS1_17partition_subalgoE4EjNS0_10empty_typeEbEEZZNS1_14partition_implILS8_4ELb0ES6_15HIP_vector_typeIjLj2EENS0_17counting_iteratorIjlEEPS9_SG_NS0_5tupleIJPjSI_NS0_16reverse_iteratorISI_EEEEENSH_IJSG_SG_SG_EEES9_SI_JZNS1_25segmented_radix_sort_implINS0_14default_configELb0EPKfPfPKlPlN2at6native12_GLOBAL__N_18offset_tEEE10hipError_tPvRmT1_PNSt15iterator_traitsIS12_E10value_typeET2_T3_PNS13_IS18_E10value_typeET4_jRbjT5_S1E_jjP12ihipStream_tbEUljE_ZNSN_ISO_Lb0ESQ_SR_ST_SU_SY_EESZ_S10_S11_S12_S16_S17_S18_S1B_S1C_jS1D_jS1E_S1E_jjS1G_bEUljE0_EEESZ_S10_S11_S18_S1C_S1E_T6_T7_T9_mT8_S1G_bDpT10_ENKUlT_T0_E_clISt17integral_constantIbLb0EES1T_IbLb1EEEEDaS1P_S1Q_EUlS1P_E_NS1_11comp_targetILNS1_3genE9ELNS1_11target_archE1100ELNS1_3gpuE3ELNS1_3repE0EEENS1_30default_config_static_selectorELNS0_4arch9wavefront6targetE1EEEvS12_,"axG",@progbits,_ZN7rocprim17ROCPRIM_400000_NS6detail17trampoline_kernelINS0_13select_configILj256ELj13ELNS0_17block_load_methodE3ELS4_3ELS4_3ELNS0_20block_scan_algorithmE0ELj4294967295EEENS1_25partition_config_selectorILNS1_17partition_subalgoE4EjNS0_10empty_typeEbEEZZNS1_14partition_implILS8_4ELb0ES6_15HIP_vector_typeIjLj2EENS0_17counting_iteratorIjlEEPS9_SG_NS0_5tupleIJPjSI_NS0_16reverse_iteratorISI_EEEEENSH_IJSG_SG_SG_EEES9_SI_JZNS1_25segmented_radix_sort_implINS0_14default_configELb0EPKfPfPKlPlN2at6native12_GLOBAL__N_18offset_tEEE10hipError_tPvRmT1_PNSt15iterator_traitsIS12_E10value_typeET2_T3_PNS13_IS18_E10value_typeET4_jRbjT5_S1E_jjP12ihipStream_tbEUljE_ZNSN_ISO_Lb0ESQ_SR_ST_SU_SY_EESZ_S10_S11_S12_S16_S17_S18_S1B_S1C_jS1D_jS1E_S1E_jjS1G_bEUljE0_EEESZ_S10_S11_S18_S1C_S1E_T6_T7_T9_mT8_S1G_bDpT10_ENKUlT_T0_E_clISt17integral_constantIbLb0EES1T_IbLb1EEEEDaS1P_S1Q_EUlS1P_E_NS1_11comp_targetILNS1_3genE9ELNS1_11target_archE1100ELNS1_3gpuE3ELNS1_3repE0EEENS1_30default_config_static_selectorELNS0_4arch9wavefront6targetE1EEEvS12_,comdat
	.globl	_ZN7rocprim17ROCPRIM_400000_NS6detail17trampoline_kernelINS0_13select_configILj256ELj13ELNS0_17block_load_methodE3ELS4_3ELS4_3ELNS0_20block_scan_algorithmE0ELj4294967295EEENS1_25partition_config_selectorILNS1_17partition_subalgoE4EjNS0_10empty_typeEbEEZZNS1_14partition_implILS8_4ELb0ES6_15HIP_vector_typeIjLj2EENS0_17counting_iteratorIjlEEPS9_SG_NS0_5tupleIJPjSI_NS0_16reverse_iteratorISI_EEEEENSH_IJSG_SG_SG_EEES9_SI_JZNS1_25segmented_radix_sort_implINS0_14default_configELb0EPKfPfPKlPlN2at6native12_GLOBAL__N_18offset_tEEE10hipError_tPvRmT1_PNSt15iterator_traitsIS12_E10value_typeET2_T3_PNS13_IS18_E10value_typeET4_jRbjT5_S1E_jjP12ihipStream_tbEUljE_ZNSN_ISO_Lb0ESQ_SR_ST_SU_SY_EESZ_S10_S11_S12_S16_S17_S18_S1B_S1C_jS1D_jS1E_S1E_jjS1G_bEUljE0_EEESZ_S10_S11_S18_S1C_S1E_T6_T7_T9_mT8_S1G_bDpT10_ENKUlT_T0_E_clISt17integral_constantIbLb0EES1T_IbLb1EEEEDaS1P_S1Q_EUlS1P_E_NS1_11comp_targetILNS1_3genE9ELNS1_11target_archE1100ELNS1_3gpuE3ELNS1_3repE0EEENS1_30default_config_static_selectorELNS0_4arch9wavefront6targetE1EEEvS12_ ; -- Begin function _ZN7rocprim17ROCPRIM_400000_NS6detail17trampoline_kernelINS0_13select_configILj256ELj13ELNS0_17block_load_methodE3ELS4_3ELS4_3ELNS0_20block_scan_algorithmE0ELj4294967295EEENS1_25partition_config_selectorILNS1_17partition_subalgoE4EjNS0_10empty_typeEbEEZZNS1_14partition_implILS8_4ELb0ES6_15HIP_vector_typeIjLj2EENS0_17counting_iteratorIjlEEPS9_SG_NS0_5tupleIJPjSI_NS0_16reverse_iteratorISI_EEEEENSH_IJSG_SG_SG_EEES9_SI_JZNS1_25segmented_radix_sort_implINS0_14default_configELb0EPKfPfPKlPlN2at6native12_GLOBAL__N_18offset_tEEE10hipError_tPvRmT1_PNSt15iterator_traitsIS12_E10value_typeET2_T3_PNS13_IS18_E10value_typeET4_jRbjT5_S1E_jjP12ihipStream_tbEUljE_ZNSN_ISO_Lb0ESQ_SR_ST_SU_SY_EESZ_S10_S11_S12_S16_S17_S18_S1B_S1C_jS1D_jS1E_S1E_jjS1G_bEUljE0_EEESZ_S10_S11_S18_S1C_S1E_T6_T7_T9_mT8_S1G_bDpT10_ENKUlT_T0_E_clISt17integral_constantIbLb0EES1T_IbLb1EEEEDaS1P_S1Q_EUlS1P_E_NS1_11comp_targetILNS1_3genE9ELNS1_11target_archE1100ELNS1_3gpuE3ELNS1_3repE0EEENS1_30default_config_static_selectorELNS0_4arch9wavefront6targetE1EEEvS12_
	.p2align	8
	.type	_ZN7rocprim17ROCPRIM_400000_NS6detail17trampoline_kernelINS0_13select_configILj256ELj13ELNS0_17block_load_methodE3ELS4_3ELS4_3ELNS0_20block_scan_algorithmE0ELj4294967295EEENS1_25partition_config_selectorILNS1_17partition_subalgoE4EjNS0_10empty_typeEbEEZZNS1_14partition_implILS8_4ELb0ES6_15HIP_vector_typeIjLj2EENS0_17counting_iteratorIjlEEPS9_SG_NS0_5tupleIJPjSI_NS0_16reverse_iteratorISI_EEEEENSH_IJSG_SG_SG_EEES9_SI_JZNS1_25segmented_radix_sort_implINS0_14default_configELb0EPKfPfPKlPlN2at6native12_GLOBAL__N_18offset_tEEE10hipError_tPvRmT1_PNSt15iterator_traitsIS12_E10value_typeET2_T3_PNS13_IS18_E10value_typeET4_jRbjT5_S1E_jjP12ihipStream_tbEUljE_ZNSN_ISO_Lb0ESQ_SR_ST_SU_SY_EESZ_S10_S11_S12_S16_S17_S18_S1B_S1C_jS1D_jS1E_S1E_jjS1G_bEUljE0_EEESZ_S10_S11_S18_S1C_S1E_T6_T7_T9_mT8_S1G_bDpT10_ENKUlT_T0_E_clISt17integral_constantIbLb0EES1T_IbLb1EEEEDaS1P_S1Q_EUlS1P_E_NS1_11comp_targetILNS1_3genE9ELNS1_11target_archE1100ELNS1_3gpuE3ELNS1_3repE0EEENS1_30default_config_static_selectorELNS0_4arch9wavefront6targetE1EEEvS12_,@function
_ZN7rocprim17ROCPRIM_400000_NS6detail17trampoline_kernelINS0_13select_configILj256ELj13ELNS0_17block_load_methodE3ELS4_3ELS4_3ELNS0_20block_scan_algorithmE0ELj4294967295EEENS1_25partition_config_selectorILNS1_17partition_subalgoE4EjNS0_10empty_typeEbEEZZNS1_14partition_implILS8_4ELb0ES6_15HIP_vector_typeIjLj2EENS0_17counting_iteratorIjlEEPS9_SG_NS0_5tupleIJPjSI_NS0_16reverse_iteratorISI_EEEEENSH_IJSG_SG_SG_EEES9_SI_JZNS1_25segmented_radix_sort_implINS0_14default_configELb0EPKfPfPKlPlN2at6native12_GLOBAL__N_18offset_tEEE10hipError_tPvRmT1_PNSt15iterator_traitsIS12_E10value_typeET2_T3_PNS13_IS18_E10value_typeET4_jRbjT5_S1E_jjP12ihipStream_tbEUljE_ZNSN_ISO_Lb0ESQ_SR_ST_SU_SY_EESZ_S10_S11_S12_S16_S17_S18_S1B_S1C_jS1D_jS1E_S1E_jjS1G_bEUljE0_EEESZ_S10_S11_S18_S1C_S1E_T6_T7_T9_mT8_S1G_bDpT10_ENKUlT_T0_E_clISt17integral_constantIbLb0EES1T_IbLb1EEEEDaS1P_S1Q_EUlS1P_E_NS1_11comp_targetILNS1_3genE9ELNS1_11target_archE1100ELNS1_3gpuE3ELNS1_3repE0EEENS1_30default_config_static_selectorELNS0_4arch9wavefront6targetE1EEEvS12_: ; @_ZN7rocprim17ROCPRIM_400000_NS6detail17trampoline_kernelINS0_13select_configILj256ELj13ELNS0_17block_load_methodE3ELS4_3ELS4_3ELNS0_20block_scan_algorithmE0ELj4294967295EEENS1_25partition_config_selectorILNS1_17partition_subalgoE4EjNS0_10empty_typeEbEEZZNS1_14partition_implILS8_4ELb0ES6_15HIP_vector_typeIjLj2EENS0_17counting_iteratorIjlEEPS9_SG_NS0_5tupleIJPjSI_NS0_16reverse_iteratorISI_EEEEENSH_IJSG_SG_SG_EEES9_SI_JZNS1_25segmented_radix_sort_implINS0_14default_configELb0EPKfPfPKlPlN2at6native12_GLOBAL__N_18offset_tEEE10hipError_tPvRmT1_PNSt15iterator_traitsIS12_E10value_typeET2_T3_PNS13_IS18_E10value_typeET4_jRbjT5_S1E_jjP12ihipStream_tbEUljE_ZNSN_ISO_Lb0ESQ_SR_ST_SU_SY_EESZ_S10_S11_S12_S16_S17_S18_S1B_S1C_jS1D_jS1E_S1E_jjS1G_bEUljE0_EEESZ_S10_S11_S18_S1C_S1E_T6_T7_T9_mT8_S1G_bDpT10_ENKUlT_T0_E_clISt17integral_constantIbLb0EES1T_IbLb1EEEEDaS1P_S1Q_EUlS1P_E_NS1_11comp_targetILNS1_3genE9ELNS1_11target_archE1100ELNS1_3gpuE3ELNS1_3repE0EEENS1_30default_config_static_selectorELNS0_4arch9wavefront6targetE1EEEvS12_
; %bb.0:
	.section	.rodata,"a",@progbits
	.p2align	6, 0x0
	.amdhsa_kernel _ZN7rocprim17ROCPRIM_400000_NS6detail17trampoline_kernelINS0_13select_configILj256ELj13ELNS0_17block_load_methodE3ELS4_3ELS4_3ELNS0_20block_scan_algorithmE0ELj4294967295EEENS1_25partition_config_selectorILNS1_17partition_subalgoE4EjNS0_10empty_typeEbEEZZNS1_14partition_implILS8_4ELb0ES6_15HIP_vector_typeIjLj2EENS0_17counting_iteratorIjlEEPS9_SG_NS0_5tupleIJPjSI_NS0_16reverse_iteratorISI_EEEEENSH_IJSG_SG_SG_EEES9_SI_JZNS1_25segmented_radix_sort_implINS0_14default_configELb0EPKfPfPKlPlN2at6native12_GLOBAL__N_18offset_tEEE10hipError_tPvRmT1_PNSt15iterator_traitsIS12_E10value_typeET2_T3_PNS13_IS18_E10value_typeET4_jRbjT5_S1E_jjP12ihipStream_tbEUljE_ZNSN_ISO_Lb0ESQ_SR_ST_SU_SY_EESZ_S10_S11_S12_S16_S17_S18_S1B_S1C_jS1D_jS1E_S1E_jjS1G_bEUljE0_EEESZ_S10_S11_S18_S1C_S1E_T6_T7_T9_mT8_S1G_bDpT10_ENKUlT_T0_E_clISt17integral_constantIbLb0EES1T_IbLb1EEEEDaS1P_S1Q_EUlS1P_E_NS1_11comp_targetILNS1_3genE9ELNS1_11target_archE1100ELNS1_3gpuE3ELNS1_3repE0EEENS1_30default_config_static_selectorELNS0_4arch9wavefront6targetE1EEEvS12_
		.amdhsa_group_segment_fixed_size 0
		.amdhsa_private_segment_fixed_size 0
		.amdhsa_kernarg_size 184
		.amdhsa_user_sgpr_count 6
		.amdhsa_user_sgpr_private_segment_buffer 1
		.amdhsa_user_sgpr_dispatch_ptr 0
		.amdhsa_user_sgpr_queue_ptr 0
		.amdhsa_user_sgpr_kernarg_segment_ptr 1
		.amdhsa_user_sgpr_dispatch_id 0
		.amdhsa_user_sgpr_flat_scratch_init 0
		.amdhsa_user_sgpr_kernarg_preload_length 0
		.amdhsa_user_sgpr_kernarg_preload_offset 0
		.amdhsa_user_sgpr_private_segment_size 0
		.amdhsa_uses_dynamic_stack 0
		.amdhsa_system_sgpr_private_segment_wavefront_offset 0
		.amdhsa_system_sgpr_workgroup_id_x 1
		.amdhsa_system_sgpr_workgroup_id_y 0
		.amdhsa_system_sgpr_workgroup_id_z 0
		.amdhsa_system_sgpr_workgroup_info 0
		.amdhsa_system_vgpr_workitem_id 0
		.amdhsa_next_free_vgpr 1
		.amdhsa_next_free_sgpr 0
		.amdhsa_accum_offset 4
		.amdhsa_reserve_vcc 0
		.amdhsa_reserve_flat_scratch 0
		.amdhsa_float_round_mode_32 0
		.amdhsa_float_round_mode_16_64 0
		.amdhsa_float_denorm_mode_32 3
		.amdhsa_float_denorm_mode_16_64 3
		.amdhsa_dx10_clamp 1
		.amdhsa_ieee_mode 1
		.amdhsa_fp16_overflow 0
		.amdhsa_tg_split 0
		.amdhsa_exception_fp_ieee_invalid_op 0
		.amdhsa_exception_fp_denorm_src 0
		.amdhsa_exception_fp_ieee_div_zero 0
		.amdhsa_exception_fp_ieee_overflow 0
		.amdhsa_exception_fp_ieee_underflow 0
		.amdhsa_exception_fp_ieee_inexact 0
		.amdhsa_exception_int_div_zero 0
	.end_amdhsa_kernel
	.section	.text._ZN7rocprim17ROCPRIM_400000_NS6detail17trampoline_kernelINS0_13select_configILj256ELj13ELNS0_17block_load_methodE3ELS4_3ELS4_3ELNS0_20block_scan_algorithmE0ELj4294967295EEENS1_25partition_config_selectorILNS1_17partition_subalgoE4EjNS0_10empty_typeEbEEZZNS1_14partition_implILS8_4ELb0ES6_15HIP_vector_typeIjLj2EENS0_17counting_iteratorIjlEEPS9_SG_NS0_5tupleIJPjSI_NS0_16reverse_iteratorISI_EEEEENSH_IJSG_SG_SG_EEES9_SI_JZNS1_25segmented_radix_sort_implINS0_14default_configELb0EPKfPfPKlPlN2at6native12_GLOBAL__N_18offset_tEEE10hipError_tPvRmT1_PNSt15iterator_traitsIS12_E10value_typeET2_T3_PNS13_IS18_E10value_typeET4_jRbjT5_S1E_jjP12ihipStream_tbEUljE_ZNSN_ISO_Lb0ESQ_SR_ST_SU_SY_EESZ_S10_S11_S12_S16_S17_S18_S1B_S1C_jS1D_jS1E_S1E_jjS1G_bEUljE0_EEESZ_S10_S11_S18_S1C_S1E_T6_T7_T9_mT8_S1G_bDpT10_ENKUlT_T0_E_clISt17integral_constantIbLb0EES1T_IbLb1EEEEDaS1P_S1Q_EUlS1P_E_NS1_11comp_targetILNS1_3genE9ELNS1_11target_archE1100ELNS1_3gpuE3ELNS1_3repE0EEENS1_30default_config_static_selectorELNS0_4arch9wavefront6targetE1EEEvS12_,"axG",@progbits,_ZN7rocprim17ROCPRIM_400000_NS6detail17trampoline_kernelINS0_13select_configILj256ELj13ELNS0_17block_load_methodE3ELS4_3ELS4_3ELNS0_20block_scan_algorithmE0ELj4294967295EEENS1_25partition_config_selectorILNS1_17partition_subalgoE4EjNS0_10empty_typeEbEEZZNS1_14partition_implILS8_4ELb0ES6_15HIP_vector_typeIjLj2EENS0_17counting_iteratorIjlEEPS9_SG_NS0_5tupleIJPjSI_NS0_16reverse_iteratorISI_EEEEENSH_IJSG_SG_SG_EEES9_SI_JZNS1_25segmented_radix_sort_implINS0_14default_configELb0EPKfPfPKlPlN2at6native12_GLOBAL__N_18offset_tEEE10hipError_tPvRmT1_PNSt15iterator_traitsIS12_E10value_typeET2_T3_PNS13_IS18_E10value_typeET4_jRbjT5_S1E_jjP12ihipStream_tbEUljE_ZNSN_ISO_Lb0ESQ_SR_ST_SU_SY_EESZ_S10_S11_S12_S16_S17_S18_S1B_S1C_jS1D_jS1E_S1E_jjS1G_bEUljE0_EEESZ_S10_S11_S18_S1C_S1E_T6_T7_T9_mT8_S1G_bDpT10_ENKUlT_T0_E_clISt17integral_constantIbLb0EES1T_IbLb1EEEEDaS1P_S1Q_EUlS1P_E_NS1_11comp_targetILNS1_3genE9ELNS1_11target_archE1100ELNS1_3gpuE3ELNS1_3repE0EEENS1_30default_config_static_selectorELNS0_4arch9wavefront6targetE1EEEvS12_,comdat
.Lfunc_end1392:
	.size	_ZN7rocprim17ROCPRIM_400000_NS6detail17trampoline_kernelINS0_13select_configILj256ELj13ELNS0_17block_load_methodE3ELS4_3ELS4_3ELNS0_20block_scan_algorithmE0ELj4294967295EEENS1_25partition_config_selectorILNS1_17partition_subalgoE4EjNS0_10empty_typeEbEEZZNS1_14partition_implILS8_4ELb0ES6_15HIP_vector_typeIjLj2EENS0_17counting_iteratorIjlEEPS9_SG_NS0_5tupleIJPjSI_NS0_16reverse_iteratorISI_EEEEENSH_IJSG_SG_SG_EEES9_SI_JZNS1_25segmented_radix_sort_implINS0_14default_configELb0EPKfPfPKlPlN2at6native12_GLOBAL__N_18offset_tEEE10hipError_tPvRmT1_PNSt15iterator_traitsIS12_E10value_typeET2_T3_PNS13_IS18_E10value_typeET4_jRbjT5_S1E_jjP12ihipStream_tbEUljE_ZNSN_ISO_Lb0ESQ_SR_ST_SU_SY_EESZ_S10_S11_S12_S16_S17_S18_S1B_S1C_jS1D_jS1E_S1E_jjS1G_bEUljE0_EEESZ_S10_S11_S18_S1C_S1E_T6_T7_T9_mT8_S1G_bDpT10_ENKUlT_T0_E_clISt17integral_constantIbLb0EES1T_IbLb1EEEEDaS1P_S1Q_EUlS1P_E_NS1_11comp_targetILNS1_3genE9ELNS1_11target_archE1100ELNS1_3gpuE3ELNS1_3repE0EEENS1_30default_config_static_selectorELNS0_4arch9wavefront6targetE1EEEvS12_, .Lfunc_end1392-_ZN7rocprim17ROCPRIM_400000_NS6detail17trampoline_kernelINS0_13select_configILj256ELj13ELNS0_17block_load_methodE3ELS4_3ELS4_3ELNS0_20block_scan_algorithmE0ELj4294967295EEENS1_25partition_config_selectorILNS1_17partition_subalgoE4EjNS0_10empty_typeEbEEZZNS1_14partition_implILS8_4ELb0ES6_15HIP_vector_typeIjLj2EENS0_17counting_iteratorIjlEEPS9_SG_NS0_5tupleIJPjSI_NS0_16reverse_iteratorISI_EEEEENSH_IJSG_SG_SG_EEES9_SI_JZNS1_25segmented_radix_sort_implINS0_14default_configELb0EPKfPfPKlPlN2at6native12_GLOBAL__N_18offset_tEEE10hipError_tPvRmT1_PNSt15iterator_traitsIS12_E10value_typeET2_T3_PNS13_IS18_E10value_typeET4_jRbjT5_S1E_jjP12ihipStream_tbEUljE_ZNSN_ISO_Lb0ESQ_SR_ST_SU_SY_EESZ_S10_S11_S12_S16_S17_S18_S1B_S1C_jS1D_jS1E_S1E_jjS1G_bEUljE0_EEESZ_S10_S11_S18_S1C_S1E_T6_T7_T9_mT8_S1G_bDpT10_ENKUlT_T0_E_clISt17integral_constantIbLb0EES1T_IbLb1EEEEDaS1P_S1Q_EUlS1P_E_NS1_11comp_targetILNS1_3genE9ELNS1_11target_archE1100ELNS1_3gpuE3ELNS1_3repE0EEENS1_30default_config_static_selectorELNS0_4arch9wavefront6targetE1EEEvS12_
                                        ; -- End function
	.section	.AMDGPU.csdata,"",@progbits
; Kernel info:
; codeLenInByte = 0
; NumSgprs: 4
; NumVgprs: 0
; NumAgprs: 0
; TotalNumVgprs: 0
; ScratchSize: 0
; MemoryBound: 0
; FloatMode: 240
; IeeeMode: 1
; LDSByteSize: 0 bytes/workgroup (compile time only)
; SGPRBlocks: 0
; VGPRBlocks: 0
; NumSGPRsForWavesPerEU: 4
; NumVGPRsForWavesPerEU: 1
; AccumOffset: 4
; Occupancy: 8
; WaveLimiterHint : 0
; COMPUTE_PGM_RSRC2:SCRATCH_EN: 0
; COMPUTE_PGM_RSRC2:USER_SGPR: 6
; COMPUTE_PGM_RSRC2:TRAP_HANDLER: 0
; COMPUTE_PGM_RSRC2:TGID_X_EN: 1
; COMPUTE_PGM_RSRC2:TGID_Y_EN: 0
; COMPUTE_PGM_RSRC2:TGID_Z_EN: 0
; COMPUTE_PGM_RSRC2:TIDIG_COMP_CNT: 0
; COMPUTE_PGM_RSRC3_GFX90A:ACCUM_OFFSET: 0
; COMPUTE_PGM_RSRC3_GFX90A:TG_SPLIT: 0
	.section	.text._ZN7rocprim17ROCPRIM_400000_NS6detail17trampoline_kernelINS0_13select_configILj256ELj13ELNS0_17block_load_methodE3ELS4_3ELS4_3ELNS0_20block_scan_algorithmE0ELj4294967295EEENS1_25partition_config_selectorILNS1_17partition_subalgoE4EjNS0_10empty_typeEbEEZZNS1_14partition_implILS8_4ELb0ES6_15HIP_vector_typeIjLj2EENS0_17counting_iteratorIjlEEPS9_SG_NS0_5tupleIJPjSI_NS0_16reverse_iteratorISI_EEEEENSH_IJSG_SG_SG_EEES9_SI_JZNS1_25segmented_radix_sort_implINS0_14default_configELb0EPKfPfPKlPlN2at6native12_GLOBAL__N_18offset_tEEE10hipError_tPvRmT1_PNSt15iterator_traitsIS12_E10value_typeET2_T3_PNS13_IS18_E10value_typeET4_jRbjT5_S1E_jjP12ihipStream_tbEUljE_ZNSN_ISO_Lb0ESQ_SR_ST_SU_SY_EESZ_S10_S11_S12_S16_S17_S18_S1B_S1C_jS1D_jS1E_S1E_jjS1G_bEUljE0_EEESZ_S10_S11_S18_S1C_S1E_T6_T7_T9_mT8_S1G_bDpT10_ENKUlT_T0_E_clISt17integral_constantIbLb0EES1T_IbLb1EEEEDaS1P_S1Q_EUlS1P_E_NS1_11comp_targetILNS1_3genE8ELNS1_11target_archE1030ELNS1_3gpuE2ELNS1_3repE0EEENS1_30default_config_static_selectorELNS0_4arch9wavefront6targetE1EEEvS12_,"axG",@progbits,_ZN7rocprim17ROCPRIM_400000_NS6detail17trampoline_kernelINS0_13select_configILj256ELj13ELNS0_17block_load_methodE3ELS4_3ELS4_3ELNS0_20block_scan_algorithmE0ELj4294967295EEENS1_25partition_config_selectorILNS1_17partition_subalgoE4EjNS0_10empty_typeEbEEZZNS1_14partition_implILS8_4ELb0ES6_15HIP_vector_typeIjLj2EENS0_17counting_iteratorIjlEEPS9_SG_NS0_5tupleIJPjSI_NS0_16reverse_iteratorISI_EEEEENSH_IJSG_SG_SG_EEES9_SI_JZNS1_25segmented_radix_sort_implINS0_14default_configELb0EPKfPfPKlPlN2at6native12_GLOBAL__N_18offset_tEEE10hipError_tPvRmT1_PNSt15iterator_traitsIS12_E10value_typeET2_T3_PNS13_IS18_E10value_typeET4_jRbjT5_S1E_jjP12ihipStream_tbEUljE_ZNSN_ISO_Lb0ESQ_SR_ST_SU_SY_EESZ_S10_S11_S12_S16_S17_S18_S1B_S1C_jS1D_jS1E_S1E_jjS1G_bEUljE0_EEESZ_S10_S11_S18_S1C_S1E_T6_T7_T9_mT8_S1G_bDpT10_ENKUlT_T0_E_clISt17integral_constantIbLb0EES1T_IbLb1EEEEDaS1P_S1Q_EUlS1P_E_NS1_11comp_targetILNS1_3genE8ELNS1_11target_archE1030ELNS1_3gpuE2ELNS1_3repE0EEENS1_30default_config_static_selectorELNS0_4arch9wavefront6targetE1EEEvS12_,comdat
	.globl	_ZN7rocprim17ROCPRIM_400000_NS6detail17trampoline_kernelINS0_13select_configILj256ELj13ELNS0_17block_load_methodE3ELS4_3ELS4_3ELNS0_20block_scan_algorithmE0ELj4294967295EEENS1_25partition_config_selectorILNS1_17partition_subalgoE4EjNS0_10empty_typeEbEEZZNS1_14partition_implILS8_4ELb0ES6_15HIP_vector_typeIjLj2EENS0_17counting_iteratorIjlEEPS9_SG_NS0_5tupleIJPjSI_NS0_16reverse_iteratorISI_EEEEENSH_IJSG_SG_SG_EEES9_SI_JZNS1_25segmented_radix_sort_implINS0_14default_configELb0EPKfPfPKlPlN2at6native12_GLOBAL__N_18offset_tEEE10hipError_tPvRmT1_PNSt15iterator_traitsIS12_E10value_typeET2_T3_PNS13_IS18_E10value_typeET4_jRbjT5_S1E_jjP12ihipStream_tbEUljE_ZNSN_ISO_Lb0ESQ_SR_ST_SU_SY_EESZ_S10_S11_S12_S16_S17_S18_S1B_S1C_jS1D_jS1E_S1E_jjS1G_bEUljE0_EEESZ_S10_S11_S18_S1C_S1E_T6_T7_T9_mT8_S1G_bDpT10_ENKUlT_T0_E_clISt17integral_constantIbLb0EES1T_IbLb1EEEEDaS1P_S1Q_EUlS1P_E_NS1_11comp_targetILNS1_3genE8ELNS1_11target_archE1030ELNS1_3gpuE2ELNS1_3repE0EEENS1_30default_config_static_selectorELNS0_4arch9wavefront6targetE1EEEvS12_ ; -- Begin function _ZN7rocprim17ROCPRIM_400000_NS6detail17trampoline_kernelINS0_13select_configILj256ELj13ELNS0_17block_load_methodE3ELS4_3ELS4_3ELNS0_20block_scan_algorithmE0ELj4294967295EEENS1_25partition_config_selectorILNS1_17partition_subalgoE4EjNS0_10empty_typeEbEEZZNS1_14partition_implILS8_4ELb0ES6_15HIP_vector_typeIjLj2EENS0_17counting_iteratorIjlEEPS9_SG_NS0_5tupleIJPjSI_NS0_16reverse_iteratorISI_EEEEENSH_IJSG_SG_SG_EEES9_SI_JZNS1_25segmented_radix_sort_implINS0_14default_configELb0EPKfPfPKlPlN2at6native12_GLOBAL__N_18offset_tEEE10hipError_tPvRmT1_PNSt15iterator_traitsIS12_E10value_typeET2_T3_PNS13_IS18_E10value_typeET4_jRbjT5_S1E_jjP12ihipStream_tbEUljE_ZNSN_ISO_Lb0ESQ_SR_ST_SU_SY_EESZ_S10_S11_S12_S16_S17_S18_S1B_S1C_jS1D_jS1E_S1E_jjS1G_bEUljE0_EEESZ_S10_S11_S18_S1C_S1E_T6_T7_T9_mT8_S1G_bDpT10_ENKUlT_T0_E_clISt17integral_constantIbLb0EES1T_IbLb1EEEEDaS1P_S1Q_EUlS1P_E_NS1_11comp_targetILNS1_3genE8ELNS1_11target_archE1030ELNS1_3gpuE2ELNS1_3repE0EEENS1_30default_config_static_selectorELNS0_4arch9wavefront6targetE1EEEvS12_
	.p2align	8
	.type	_ZN7rocprim17ROCPRIM_400000_NS6detail17trampoline_kernelINS0_13select_configILj256ELj13ELNS0_17block_load_methodE3ELS4_3ELS4_3ELNS0_20block_scan_algorithmE0ELj4294967295EEENS1_25partition_config_selectorILNS1_17partition_subalgoE4EjNS0_10empty_typeEbEEZZNS1_14partition_implILS8_4ELb0ES6_15HIP_vector_typeIjLj2EENS0_17counting_iteratorIjlEEPS9_SG_NS0_5tupleIJPjSI_NS0_16reverse_iteratorISI_EEEEENSH_IJSG_SG_SG_EEES9_SI_JZNS1_25segmented_radix_sort_implINS0_14default_configELb0EPKfPfPKlPlN2at6native12_GLOBAL__N_18offset_tEEE10hipError_tPvRmT1_PNSt15iterator_traitsIS12_E10value_typeET2_T3_PNS13_IS18_E10value_typeET4_jRbjT5_S1E_jjP12ihipStream_tbEUljE_ZNSN_ISO_Lb0ESQ_SR_ST_SU_SY_EESZ_S10_S11_S12_S16_S17_S18_S1B_S1C_jS1D_jS1E_S1E_jjS1G_bEUljE0_EEESZ_S10_S11_S18_S1C_S1E_T6_T7_T9_mT8_S1G_bDpT10_ENKUlT_T0_E_clISt17integral_constantIbLb0EES1T_IbLb1EEEEDaS1P_S1Q_EUlS1P_E_NS1_11comp_targetILNS1_3genE8ELNS1_11target_archE1030ELNS1_3gpuE2ELNS1_3repE0EEENS1_30default_config_static_selectorELNS0_4arch9wavefront6targetE1EEEvS12_,@function
_ZN7rocprim17ROCPRIM_400000_NS6detail17trampoline_kernelINS0_13select_configILj256ELj13ELNS0_17block_load_methodE3ELS4_3ELS4_3ELNS0_20block_scan_algorithmE0ELj4294967295EEENS1_25partition_config_selectorILNS1_17partition_subalgoE4EjNS0_10empty_typeEbEEZZNS1_14partition_implILS8_4ELb0ES6_15HIP_vector_typeIjLj2EENS0_17counting_iteratorIjlEEPS9_SG_NS0_5tupleIJPjSI_NS0_16reverse_iteratorISI_EEEEENSH_IJSG_SG_SG_EEES9_SI_JZNS1_25segmented_radix_sort_implINS0_14default_configELb0EPKfPfPKlPlN2at6native12_GLOBAL__N_18offset_tEEE10hipError_tPvRmT1_PNSt15iterator_traitsIS12_E10value_typeET2_T3_PNS13_IS18_E10value_typeET4_jRbjT5_S1E_jjP12ihipStream_tbEUljE_ZNSN_ISO_Lb0ESQ_SR_ST_SU_SY_EESZ_S10_S11_S12_S16_S17_S18_S1B_S1C_jS1D_jS1E_S1E_jjS1G_bEUljE0_EEESZ_S10_S11_S18_S1C_S1E_T6_T7_T9_mT8_S1G_bDpT10_ENKUlT_T0_E_clISt17integral_constantIbLb0EES1T_IbLb1EEEEDaS1P_S1Q_EUlS1P_E_NS1_11comp_targetILNS1_3genE8ELNS1_11target_archE1030ELNS1_3gpuE2ELNS1_3repE0EEENS1_30default_config_static_selectorELNS0_4arch9wavefront6targetE1EEEvS12_: ; @_ZN7rocprim17ROCPRIM_400000_NS6detail17trampoline_kernelINS0_13select_configILj256ELj13ELNS0_17block_load_methodE3ELS4_3ELS4_3ELNS0_20block_scan_algorithmE0ELj4294967295EEENS1_25partition_config_selectorILNS1_17partition_subalgoE4EjNS0_10empty_typeEbEEZZNS1_14partition_implILS8_4ELb0ES6_15HIP_vector_typeIjLj2EENS0_17counting_iteratorIjlEEPS9_SG_NS0_5tupleIJPjSI_NS0_16reverse_iteratorISI_EEEEENSH_IJSG_SG_SG_EEES9_SI_JZNS1_25segmented_radix_sort_implINS0_14default_configELb0EPKfPfPKlPlN2at6native12_GLOBAL__N_18offset_tEEE10hipError_tPvRmT1_PNSt15iterator_traitsIS12_E10value_typeET2_T3_PNS13_IS18_E10value_typeET4_jRbjT5_S1E_jjP12ihipStream_tbEUljE_ZNSN_ISO_Lb0ESQ_SR_ST_SU_SY_EESZ_S10_S11_S12_S16_S17_S18_S1B_S1C_jS1D_jS1E_S1E_jjS1G_bEUljE0_EEESZ_S10_S11_S18_S1C_S1E_T6_T7_T9_mT8_S1G_bDpT10_ENKUlT_T0_E_clISt17integral_constantIbLb0EES1T_IbLb1EEEEDaS1P_S1Q_EUlS1P_E_NS1_11comp_targetILNS1_3genE8ELNS1_11target_archE1030ELNS1_3gpuE2ELNS1_3repE0EEENS1_30default_config_static_selectorELNS0_4arch9wavefront6targetE1EEEvS12_
; %bb.0:
	.section	.rodata,"a",@progbits
	.p2align	6, 0x0
	.amdhsa_kernel _ZN7rocprim17ROCPRIM_400000_NS6detail17trampoline_kernelINS0_13select_configILj256ELj13ELNS0_17block_load_methodE3ELS4_3ELS4_3ELNS0_20block_scan_algorithmE0ELj4294967295EEENS1_25partition_config_selectorILNS1_17partition_subalgoE4EjNS0_10empty_typeEbEEZZNS1_14partition_implILS8_4ELb0ES6_15HIP_vector_typeIjLj2EENS0_17counting_iteratorIjlEEPS9_SG_NS0_5tupleIJPjSI_NS0_16reverse_iteratorISI_EEEEENSH_IJSG_SG_SG_EEES9_SI_JZNS1_25segmented_radix_sort_implINS0_14default_configELb0EPKfPfPKlPlN2at6native12_GLOBAL__N_18offset_tEEE10hipError_tPvRmT1_PNSt15iterator_traitsIS12_E10value_typeET2_T3_PNS13_IS18_E10value_typeET4_jRbjT5_S1E_jjP12ihipStream_tbEUljE_ZNSN_ISO_Lb0ESQ_SR_ST_SU_SY_EESZ_S10_S11_S12_S16_S17_S18_S1B_S1C_jS1D_jS1E_S1E_jjS1G_bEUljE0_EEESZ_S10_S11_S18_S1C_S1E_T6_T7_T9_mT8_S1G_bDpT10_ENKUlT_T0_E_clISt17integral_constantIbLb0EES1T_IbLb1EEEEDaS1P_S1Q_EUlS1P_E_NS1_11comp_targetILNS1_3genE8ELNS1_11target_archE1030ELNS1_3gpuE2ELNS1_3repE0EEENS1_30default_config_static_selectorELNS0_4arch9wavefront6targetE1EEEvS12_
		.amdhsa_group_segment_fixed_size 0
		.amdhsa_private_segment_fixed_size 0
		.amdhsa_kernarg_size 184
		.amdhsa_user_sgpr_count 6
		.amdhsa_user_sgpr_private_segment_buffer 1
		.amdhsa_user_sgpr_dispatch_ptr 0
		.amdhsa_user_sgpr_queue_ptr 0
		.amdhsa_user_sgpr_kernarg_segment_ptr 1
		.amdhsa_user_sgpr_dispatch_id 0
		.amdhsa_user_sgpr_flat_scratch_init 0
		.amdhsa_user_sgpr_kernarg_preload_length 0
		.amdhsa_user_sgpr_kernarg_preload_offset 0
		.amdhsa_user_sgpr_private_segment_size 0
		.amdhsa_uses_dynamic_stack 0
		.amdhsa_system_sgpr_private_segment_wavefront_offset 0
		.amdhsa_system_sgpr_workgroup_id_x 1
		.amdhsa_system_sgpr_workgroup_id_y 0
		.amdhsa_system_sgpr_workgroup_id_z 0
		.amdhsa_system_sgpr_workgroup_info 0
		.amdhsa_system_vgpr_workitem_id 0
		.amdhsa_next_free_vgpr 1
		.amdhsa_next_free_sgpr 0
		.amdhsa_accum_offset 4
		.amdhsa_reserve_vcc 0
		.amdhsa_reserve_flat_scratch 0
		.amdhsa_float_round_mode_32 0
		.amdhsa_float_round_mode_16_64 0
		.amdhsa_float_denorm_mode_32 3
		.amdhsa_float_denorm_mode_16_64 3
		.amdhsa_dx10_clamp 1
		.amdhsa_ieee_mode 1
		.amdhsa_fp16_overflow 0
		.amdhsa_tg_split 0
		.amdhsa_exception_fp_ieee_invalid_op 0
		.amdhsa_exception_fp_denorm_src 0
		.amdhsa_exception_fp_ieee_div_zero 0
		.amdhsa_exception_fp_ieee_overflow 0
		.amdhsa_exception_fp_ieee_underflow 0
		.amdhsa_exception_fp_ieee_inexact 0
		.amdhsa_exception_int_div_zero 0
	.end_amdhsa_kernel
	.section	.text._ZN7rocprim17ROCPRIM_400000_NS6detail17trampoline_kernelINS0_13select_configILj256ELj13ELNS0_17block_load_methodE3ELS4_3ELS4_3ELNS0_20block_scan_algorithmE0ELj4294967295EEENS1_25partition_config_selectorILNS1_17partition_subalgoE4EjNS0_10empty_typeEbEEZZNS1_14partition_implILS8_4ELb0ES6_15HIP_vector_typeIjLj2EENS0_17counting_iteratorIjlEEPS9_SG_NS0_5tupleIJPjSI_NS0_16reverse_iteratorISI_EEEEENSH_IJSG_SG_SG_EEES9_SI_JZNS1_25segmented_radix_sort_implINS0_14default_configELb0EPKfPfPKlPlN2at6native12_GLOBAL__N_18offset_tEEE10hipError_tPvRmT1_PNSt15iterator_traitsIS12_E10value_typeET2_T3_PNS13_IS18_E10value_typeET4_jRbjT5_S1E_jjP12ihipStream_tbEUljE_ZNSN_ISO_Lb0ESQ_SR_ST_SU_SY_EESZ_S10_S11_S12_S16_S17_S18_S1B_S1C_jS1D_jS1E_S1E_jjS1G_bEUljE0_EEESZ_S10_S11_S18_S1C_S1E_T6_T7_T9_mT8_S1G_bDpT10_ENKUlT_T0_E_clISt17integral_constantIbLb0EES1T_IbLb1EEEEDaS1P_S1Q_EUlS1P_E_NS1_11comp_targetILNS1_3genE8ELNS1_11target_archE1030ELNS1_3gpuE2ELNS1_3repE0EEENS1_30default_config_static_selectorELNS0_4arch9wavefront6targetE1EEEvS12_,"axG",@progbits,_ZN7rocprim17ROCPRIM_400000_NS6detail17trampoline_kernelINS0_13select_configILj256ELj13ELNS0_17block_load_methodE3ELS4_3ELS4_3ELNS0_20block_scan_algorithmE0ELj4294967295EEENS1_25partition_config_selectorILNS1_17partition_subalgoE4EjNS0_10empty_typeEbEEZZNS1_14partition_implILS8_4ELb0ES6_15HIP_vector_typeIjLj2EENS0_17counting_iteratorIjlEEPS9_SG_NS0_5tupleIJPjSI_NS0_16reverse_iteratorISI_EEEEENSH_IJSG_SG_SG_EEES9_SI_JZNS1_25segmented_radix_sort_implINS0_14default_configELb0EPKfPfPKlPlN2at6native12_GLOBAL__N_18offset_tEEE10hipError_tPvRmT1_PNSt15iterator_traitsIS12_E10value_typeET2_T3_PNS13_IS18_E10value_typeET4_jRbjT5_S1E_jjP12ihipStream_tbEUljE_ZNSN_ISO_Lb0ESQ_SR_ST_SU_SY_EESZ_S10_S11_S12_S16_S17_S18_S1B_S1C_jS1D_jS1E_S1E_jjS1G_bEUljE0_EEESZ_S10_S11_S18_S1C_S1E_T6_T7_T9_mT8_S1G_bDpT10_ENKUlT_T0_E_clISt17integral_constantIbLb0EES1T_IbLb1EEEEDaS1P_S1Q_EUlS1P_E_NS1_11comp_targetILNS1_3genE8ELNS1_11target_archE1030ELNS1_3gpuE2ELNS1_3repE0EEENS1_30default_config_static_selectorELNS0_4arch9wavefront6targetE1EEEvS12_,comdat
.Lfunc_end1393:
	.size	_ZN7rocprim17ROCPRIM_400000_NS6detail17trampoline_kernelINS0_13select_configILj256ELj13ELNS0_17block_load_methodE3ELS4_3ELS4_3ELNS0_20block_scan_algorithmE0ELj4294967295EEENS1_25partition_config_selectorILNS1_17partition_subalgoE4EjNS0_10empty_typeEbEEZZNS1_14partition_implILS8_4ELb0ES6_15HIP_vector_typeIjLj2EENS0_17counting_iteratorIjlEEPS9_SG_NS0_5tupleIJPjSI_NS0_16reverse_iteratorISI_EEEEENSH_IJSG_SG_SG_EEES9_SI_JZNS1_25segmented_radix_sort_implINS0_14default_configELb0EPKfPfPKlPlN2at6native12_GLOBAL__N_18offset_tEEE10hipError_tPvRmT1_PNSt15iterator_traitsIS12_E10value_typeET2_T3_PNS13_IS18_E10value_typeET4_jRbjT5_S1E_jjP12ihipStream_tbEUljE_ZNSN_ISO_Lb0ESQ_SR_ST_SU_SY_EESZ_S10_S11_S12_S16_S17_S18_S1B_S1C_jS1D_jS1E_S1E_jjS1G_bEUljE0_EEESZ_S10_S11_S18_S1C_S1E_T6_T7_T9_mT8_S1G_bDpT10_ENKUlT_T0_E_clISt17integral_constantIbLb0EES1T_IbLb1EEEEDaS1P_S1Q_EUlS1P_E_NS1_11comp_targetILNS1_3genE8ELNS1_11target_archE1030ELNS1_3gpuE2ELNS1_3repE0EEENS1_30default_config_static_selectorELNS0_4arch9wavefront6targetE1EEEvS12_, .Lfunc_end1393-_ZN7rocprim17ROCPRIM_400000_NS6detail17trampoline_kernelINS0_13select_configILj256ELj13ELNS0_17block_load_methodE3ELS4_3ELS4_3ELNS0_20block_scan_algorithmE0ELj4294967295EEENS1_25partition_config_selectorILNS1_17partition_subalgoE4EjNS0_10empty_typeEbEEZZNS1_14partition_implILS8_4ELb0ES6_15HIP_vector_typeIjLj2EENS0_17counting_iteratorIjlEEPS9_SG_NS0_5tupleIJPjSI_NS0_16reverse_iteratorISI_EEEEENSH_IJSG_SG_SG_EEES9_SI_JZNS1_25segmented_radix_sort_implINS0_14default_configELb0EPKfPfPKlPlN2at6native12_GLOBAL__N_18offset_tEEE10hipError_tPvRmT1_PNSt15iterator_traitsIS12_E10value_typeET2_T3_PNS13_IS18_E10value_typeET4_jRbjT5_S1E_jjP12ihipStream_tbEUljE_ZNSN_ISO_Lb0ESQ_SR_ST_SU_SY_EESZ_S10_S11_S12_S16_S17_S18_S1B_S1C_jS1D_jS1E_S1E_jjS1G_bEUljE0_EEESZ_S10_S11_S18_S1C_S1E_T6_T7_T9_mT8_S1G_bDpT10_ENKUlT_T0_E_clISt17integral_constantIbLb0EES1T_IbLb1EEEEDaS1P_S1Q_EUlS1P_E_NS1_11comp_targetILNS1_3genE8ELNS1_11target_archE1030ELNS1_3gpuE2ELNS1_3repE0EEENS1_30default_config_static_selectorELNS0_4arch9wavefront6targetE1EEEvS12_
                                        ; -- End function
	.section	.AMDGPU.csdata,"",@progbits
; Kernel info:
; codeLenInByte = 0
; NumSgprs: 4
; NumVgprs: 0
; NumAgprs: 0
; TotalNumVgprs: 0
; ScratchSize: 0
; MemoryBound: 0
; FloatMode: 240
; IeeeMode: 1
; LDSByteSize: 0 bytes/workgroup (compile time only)
; SGPRBlocks: 0
; VGPRBlocks: 0
; NumSGPRsForWavesPerEU: 4
; NumVGPRsForWavesPerEU: 1
; AccumOffset: 4
; Occupancy: 8
; WaveLimiterHint : 0
; COMPUTE_PGM_RSRC2:SCRATCH_EN: 0
; COMPUTE_PGM_RSRC2:USER_SGPR: 6
; COMPUTE_PGM_RSRC2:TRAP_HANDLER: 0
; COMPUTE_PGM_RSRC2:TGID_X_EN: 1
; COMPUTE_PGM_RSRC2:TGID_Y_EN: 0
; COMPUTE_PGM_RSRC2:TGID_Z_EN: 0
; COMPUTE_PGM_RSRC2:TIDIG_COMP_CNT: 0
; COMPUTE_PGM_RSRC3_GFX90A:ACCUM_OFFSET: 0
; COMPUTE_PGM_RSRC3_GFX90A:TG_SPLIT: 0
	.section	.text._ZN7rocprim17ROCPRIM_400000_NS6detail17trampoline_kernelINS0_13select_configILj256ELj13ELNS0_17block_load_methodE3ELS4_3ELS4_3ELNS0_20block_scan_algorithmE0ELj4294967295EEENS1_25partition_config_selectorILNS1_17partition_subalgoE3EjNS0_10empty_typeEbEEZZNS1_14partition_implILS8_3ELb0ES6_jNS0_17counting_iteratorIjlEEPS9_SE_NS0_5tupleIJPjSE_EEENSF_IJSE_SE_EEES9_SG_JZNS1_25segmented_radix_sort_implINS0_14default_configELb0EPKfPfPKlPlN2at6native12_GLOBAL__N_18offset_tEEE10hipError_tPvRmT1_PNSt15iterator_traitsISY_E10value_typeET2_T3_PNSZ_IS14_E10value_typeET4_jRbjT5_S1A_jjP12ihipStream_tbEUljE_EEESV_SW_SX_S14_S18_S1A_T6_T7_T9_mT8_S1C_bDpT10_ENKUlT_T0_E_clISt17integral_constantIbLb0EES1P_EEDaS1K_S1L_EUlS1K_E_NS1_11comp_targetILNS1_3genE0ELNS1_11target_archE4294967295ELNS1_3gpuE0ELNS1_3repE0EEENS1_30default_config_static_selectorELNS0_4arch9wavefront6targetE1EEEvSY_,"axG",@progbits,_ZN7rocprim17ROCPRIM_400000_NS6detail17trampoline_kernelINS0_13select_configILj256ELj13ELNS0_17block_load_methodE3ELS4_3ELS4_3ELNS0_20block_scan_algorithmE0ELj4294967295EEENS1_25partition_config_selectorILNS1_17partition_subalgoE3EjNS0_10empty_typeEbEEZZNS1_14partition_implILS8_3ELb0ES6_jNS0_17counting_iteratorIjlEEPS9_SE_NS0_5tupleIJPjSE_EEENSF_IJSE_SE_EEES9_SG_JZNS1_25segmented_radix_sort_implINS0_14default_configELb0EPKfPfPKlPlN2at6native12_GLOBAL__N_18offset_tEEE10hipError_tPvRmT1_PNSt15iterator_traitsISY_E10value_typeET2_T3_PNSZ_IS14_E10value_typeET4_jRbjT5_S1A_jjP12ihipStream_tbEUljE_EEESV_SW_SX_S14_S18_S1A_T6_T7_T9_mT8_S1C_bDpT10_ENKUlT_T0_E_clISt17integral_constantIbLb0EES1P_EEDaS1K_S1L_EUlS1K_E_NS1_11comp_targetILNS1_3genE0ELNS1_11target_archE4294967295ELNS1_3gpuE0ELNS1_3repE0EEENS1_30default_config_static_selectorELNS0_4arch9wavefront6targetE1EEEvSY_,comdat
	.globl	_ZN7rocprim17ROCPRIM_400000_NS6detail17trampoline_kernelINS0_13select_configILj256ELj13ELNS0_17block_load_methodE3ELS4_3ELS4_3ELNS0_20block_scan_algorithmE0ELj4294967295EEENS1_25partition_config_selectorILNS1_17partition_subalgoE3EjNS0_10empty_typeEbEEZZNS1_14partition_implILS8_3ELb0ES6_jNS0_17counting_iteratorIjlEEPS9_SE_NS0_5tupleIJPjSE_EEENSF_IJSE_SE_EEES9_SG_JZNS1_25segmented_radix_sort_implINS0_14default_configELb0EPKfPfPKlPlN2at6native12_GLOBAL__N_18offset_tEEE10hipError_tPvRmT1_PNSt15iterator_traitsISY_E10value_typeET2_T3_PNSZ_IS14_E10value_typeET4_jRbjT5_S1A_jjP12ihipStream_tbEUljE_EEESV_SW_SX_S14_S18_S1A_T6_T7_T9_mT8_S1C_bDpT10_ENKUlT_T0_E_clISt17integral_constantIbLb0EES1P_EEDaS1K_S1L_EUlS1K_E_NS1_11comp_targetILNS1_3genE0ELNS1_11target_archE4294967295ELNS1_3gpuE0ELNS1_3repE0EEENS1_30default_config_static_selectorELNS0_4arch9wavefront6targetE1EEEvSY_ ; -- Begin function _ZN7rocprim17ROCPRIM_400000_NS6detail17trampoline_kernelINS0_13select_configILj256ELj13ELNS0_17block_load_methodE3ELS4_3ELS4_3ELNS0_20block_scan_algorithmE0ELj4294967295EEENS1_25partition_config_selectorILNS1_17partition_subalgoE3EjNS0_10empty_typeEbEEZZNS1_14partition_implILS8_3ELb0ES6_jNS0_17counting_iteratorIjlEEPS9_SE_NS0_5tupleIJPjSE_EEENSF_IJSE_SE_EEES9_SG_JZNS1_25segmented_radix_sort_implINS0_14default_configELb0EPKfPfPKlPlN2at6native12_GLOBAL__N_18offset_tEEE10hipError_tPvRmT1_PNSt15iterator_traitsISY_E10value_typeET2_T3_PNSZ_IS14_E10value_typeET4_jRbjT5_S1A_jjP12ihipStream_tbEUljE_EEESV_SW_SX_S14_S18_S1A_T6_T7_T9_mT8_S1C_bDpT10_ENKUlT_T0_E_clISt17integral_constantIbLb0EES1P_EEDaS1K_S1L_EUlS1K_E_NS1_11comp_targetILNS1_3genE0ELNS1_11target_archE4294967295ELNS1_3gpuE0ELNS1_3repE0EEENS1_30default_config_static_selectorELNS0_4arch9wavefront6targetE1EEEvSY_
	.p2align	8
	.type	_ZN7rocprim17ROCPRIM_400000_NS6detail17trampoline_kernelINS0_13select_configILj256ELj13ELNS0_17block_load_methodE3ELS4_3ELS4_3ELNS0_20block_scan_algorithmE0ELj4294967295EEENS1_25partition_config_selectorILNS1_17partition_subalgoE3EjNS0_10empty_typeEbEEZZNS1_14partition_implILS8_3ELb0ES6_jNS0_17counting_iteratorIjlEEPS9_SE_NS0_5tupleIJPjSE_EEENSF_IJSE_SE_EEES9_SG_JZNS1_25segmented_radix_sort_implINS0_14default_configELb0EPKfPfPKlPlN2at6native12_GLOBAL__N_18offset_tEEE10hipError_tPvRmT1_PNSt15iterator_traitsISY_E10value_typeET2_T3_PNSZ_IS14_E10value_typeET4_jRbjT5_S1A_jjP12ihipStream_tbEUljE_EEESV_SW_SX_S14_S18_S1A_T6_T7_T9_mT8_S1C_bDpT10_ENKUlT_T0_E_clISt17integral_constantIbLb0EES1P_EEDaS1K_S1L_EUlS1K_E_NS1_11comp_targetILNS1_3genE0ELNS1_11target_archE4294967295ELNS1_3gpuE0ELNS1_3repE0EEENS1_30default_config_static_selectorELNS0_4arch9wavefront6targetE1EEEvSY_,@function
_ZN7rocprim17ROCPRIM_400000_NS6detail17trampoline_kernelINS0_13select_configILj256ELj13ELNS0_17block_load_methodE3ELS4_3ELS4_3ELNS0_20block_scan_algorithmE0ELj4294967295EEENS1_25partition_config_selectorILNS1_17partition_subalgoE3EjNS0_10empty_typeEbEEZZNS1_14partition_implILS8_3ELb0ES6_jNS0_17counting_iteratorIjlEEPS9_SE_NS0_5tupleIJPjSE_EEENSF_IJSE_SE_EEES9_SG_JZNS1_25segmented_radix_sort_implINS0_14default_configELb0EPKfPfPKlPlN2at6native12_GLOBAL__N_18offset_tEEE10hipError_tPvRmT1_PNSt15iterator_traitsISY_E10value_typeET2_T3_PNSZ_IS14_E10value_typeET4_jRbjT5_S1A_jjP12ihipStream_tbEUljE_EEESV_SW_SX_S14_S18_S1A_T6_T7_T9_mT8_S1C_bDpT10_ENKUlT_T0_E_clISt17integral_constantIbLb0EES1P_EEDaS1K_S1L_EUlS1K_E_NS1_11comp_targetILNS1_3genE0ELNS1_11target_archE4294967295ELNS1_3gpuE0ELNS1_3repE0EEENS1_30default_config_static_selectorELNS0_4arch9wavefront6targetE1EEEvSY_: ; @_ZN7rocprim17ROCPRIM_400000_NS6detail17trampoline_kernelINS0_13select_configILj256ELj13ELNS0_17block_load_methodE3ELS4_3ELS4_3ELNS0_20block_scan_algorithmE0ELj4294967295EEENS1_25partition_config_selectorILNS1_17partition_subalgoE3EjNS0_10empty_typeEbEEZZNS1_14partition_implILS8_3ELb0ES6_jNS0_17counting_iteratorIjlEEPS9_SE_NS0_5tupleIJPjSE_EEENSF_IJSE_SE_EEES9_SG_JZNS1_25segmented_radix_sort_implINS0_14default_configELb0EPKfPfPKlPlN2at6native12_GLOBAL__N_18offset_tEEE10hipError_tPvRmT1_PNSt15iterator_traitsISY_E10value_typeET2_T3_PNSZ_IS14_E10value_typeET4_jRbjT5_S1A_jjP12ihipStream_tbEUljE_EEESV_SW_SX_S14_S18_S1A_T6_T7_T9_mT8_S1C_bDpT10_ENKUlT_T0_E_clISt17integral_constantIbLb0EES1P_EEDaS1K_S1L_EUlS1K_E_NS1_11comp_targetILNS1_3genE0ELNS1_11target_archE4294967295ELNS1_3gpuE0ELNS1_3repE0EEENS1_30default_config_static_selectorELNS0_4arch9wavefront6targetE1EEEvSY_
; %bb.0:
	.section	.rodata,"a",@progbits
	.p2align	6, 0x0
	.amdhsa_kernel _ZN7rocprim17ROCPRIM_400000_NS6detail17trampoline_kernelINS0_13select_configILj256ELj13ELNS0_17block_load_methodE3ELS4_3ELS4_3ELNS0_20block_scan_algorithmE0ELj4294967295EEENS1_25partition_config_selectorILNS1_17partition_subalgoE3EjNS0_10empty_typeEbEEZZNS1_14partition_implILS8_3ELb0ES6_jNS0_17counting_iteratorIjlEEPS9_SE_NS0_5tupleIJPjSE_EEENSF_IJSE_SE_EEES9_SG_JZNS1_25segmented_radix_sort_implINS0_14default_configELb0EPKfPfPKlPlN2at6native12_GLOBAL__N_18offset_tEEE10hipError_tPvRmT1_PNSt15iterator_traitsISY_E10value_typeET2_T3_PNSZ_IS14_E10value_typeET4_jRbjT5_S1A_jjP12ihipStream_tbEUljE_EEESV_SW_SX_S14_S18_S1A_T6_T7_T9_mT8_S1C_bDpT10_ENKUlT_T0_E_clISt17integral_constantIbLb0EES1P_EEDaS1K_S1L_EUlS1K_E_NS1_11comp_targetILNS1_3genE0ELNS1_11target_archE4294967295ELNS1_3gpuE0ELNS1_3repE0EEENS1_30default_config_static_selectorELNS0_4arch9wavefront6targetE1EEEvSY_
		.amdhsa_group_segment_fixed_size 0
		.amdhsa_private_segment_fixed_size 0
		.amdhsa_kernarg_size 144
		.amdhsa_user_sgpr_count 6
		.amdhsa_user_sgpr_private_segment_buffer 1
		.amdhsa_user_sgpr_dispatch_ptr 0
		.amdhsa_user_sgpr_queue_ptr 0
		.amdhsa_user_sgpr_kernarg_segment_ptr 1
		.amdhsa_user_sgpr_dispatch_id 0
		.amdhsa_user_sgpr_flat_scratch_init 0
		.amdhsa_user_sgpr_kernarg_preload_length 0
		.amdhsa_user_sgpr_kernarg_preload_offset 0
		.amdhsa_user_sgpr_private_segment_size 0
		.amdhsa_uses_dynamic_stack 0
		.amdhsa_system_sgpr_private_segment_wavefront_offset 0
		.amdhsa_system_sgpr_workgroup_id_x 1
		.amdhsa_system_sgpr_workgroup_id_y 0
		.amdhsa_system_sgpr_workgroup_id_z 0
		.amdhsa_system_sgpr_workgroup_info 0
		.amdhsa_system_vgpr_workitem_id 0
		.amdhsa_next_free_vgpr 1
		.amdhsa_next_free_sgpr 0
		.amdhsa_accum_offset 4
		.amdhsa_reserve_vcc 0
		.amdhsa_reserve_flat_scratch 0
		.amdhsa_float_round_mode_32 0
		.amdhsa_float_round_mode_16_64 0
		.amdhsa_float_denorm_mode_32 3
		.amdhsa_float_denorm_mode_16_64 3
		.amdhsa_dx10_clamp 1
		.amdhsa_ieee_mode 1
		.amdhsa_fp16_overflow 0
		.amdhsa_tg_split 0
		.amdhsa_exception_fp_ieee_invalid_op 0
		.amdhsa_exception_fp_denorm_src 0
		.amdhsa_exception_fp_ieee_div_zero 0
		.amdhsa_exception_fp_ieee_overflow 0
		.amdhsa_exception_fp_ieee_underflow 0
		.amdhsa_exception_fp_ieee_inexact 0
		.amdhsa_exception_int_div_zero 0
	.end_amdhsa_kernel
	.section	.text._ZN7rocprim17ROCPRIM_400000_NS6detail17trampoline_kernelINS0_13select_configILj256ELj13ELNS0_17block_load_methodE3ELS4_3ELS4_3ELNS0_20block_scan_algorithmE0ELj4294967295EEENS1_25partition_config_selectorILNS1_17partition_subalgoE3EjNS0_10empty_typeEbEEZZNS1_14partition_implILS8_3ELb0ES6_jNS0_17counting_iteratorIjlEEPS9_SE_NS0_5tupleIJPjSE_EEENSF_IJSE_SE_EEES9_SG_JZNS1_25segmented_radix_sort_implINS0_14default_configELb0EPKfPfPKlPlN2at6native12_GLOBAL__N_18offset_tEEE10hipError_tPvRmT1_PNSt15iterator_traitsISY_E10value_typeET2_T3_PNSZ_IS14_E10value_typeET4_jRbjT5_S1A_jjP12ihipStream_tbEUljE_EEESV_SW_SX_S14_S18_S1A_T6_T7_T9_mT8_S1C_bDpT10_ENKUlT_T0_E_clISt17integral_constantIbLb0EES1P_EEDaS1K_S1L_EUlS1K_E_NS1_11comp_targetILNS1_3genE0ELNS1_11target_archE4294967295ELNS1_3gpuE0ELNS1_3repE0EEENS1_30default_config_static_selectorELNS0_4arch9wavefront6targetE1EEEvSY_,"axG",@progbits,_ZN7rocprim17ROCPRIM_400000_NS6detail17trampoline_kernelINS0_13select_configILj256ELj13ELNS0_17block_load_methodE3ELS4_3ELS4_3ELNS0_20block_scan_algorithmE0ELj4294967295EEENS1_25partition_config_selectorILNS1_17partition_subalgoE3EjNS0_10empty_typeEbEEZZNS1_14partition_implILS8_3ELb0ES6_jNS0_17counting_iteratorIjlEEPS9_SE_NS0_5tupleIJPjSE_EEENSF_IJSE_SE_EEES9_SG_JZNS1_25segmented_radix_sort_implINS0_14default_configELb0EPKfPfPKlPlN2at6native12_GLOBAL__N_18offset_tEEE10hipError_tPvRmT1_PNSt15iterator_traitsISY_E10value_typeET2_T3_PNSZ_IS14_E10value_typeET4_jRbjT5_S1A_jjP12ihipStream_tbEUljE_EEESV_SW_SX_S14_S18_S1A_T6_T7_T9_mT8_S1C_bDpT10_ENKUlT_T0_E_clISt17integral_constantIbLb0EES1P_EEDaS1K_S1L_EUlS1K_E_NS1_11comp_targetILNS1_3genE0ELNS1_11target_archE4294967295ELNS1_3gpuE0ELNS1_3repE0EEENS1_30default_config_static_selectorELNS0_4arch9wavefront6targetE1EEEvSY_,comdat
.Lfunc_end1394:
	.size	_ZN7rocprim17ROCPRIM_400000_NS6detail17trampoline_kernelINS0_13select_configILj256ELj13ELNS0_17block_load_methodE3ELS4_3ELS4_3ELNS0_20block_scan_algorithmE0ELj4294967295EEENS1_25partition_config_selectorILNS1_17partition_subalgoE3EjNS0_10empty_typeEbEEZZNS1_14partition_implILS8_3ELb0ES6_jNS0_17counting_iteratorIjlEEPS9_SE_NS0_5tupleIJPjSE_EEENSF_IJSE_SE_EEES9_SG_JZNS1_25segmented_radix_sort_implINS0_14default_configELb0EPKfPfPKlPlN2at6native12_GLOBAL__N_18offset_tEEE10hipError_tPvRmT1_PNSt15iterator_traitsISY_E10value_typeET2_T3_PNSZ_IS14_E10value_typeET4_jRbjT5_S1A_jjP12ihipStream_tbEUljE_EEESV_SW_SX_S14_S18_S1A_T6_T7_T9_mT8_S1C_bDpT10_ENKUlT_T0_E_clISt17integral_constantIbLb0EES1P_EEDaS1K_S1L_EUlS1K_E_NS1_11comp_targetILNS1_3genE0ELNS1_11target_archE4294967295ELNS1_3gpuE0ELNS1_3repE0EEENS1_30default_config_static_selectorELNS0_4arch9wavefront6targetE1EEEvSY_, .Lfunc_end1394-_ZN7rocprim17ROCPRIM_400000_NS6detail17trampoline_kernelINS0_13select_configILj256ELj13ELNS0_17block_load_methodE3ELS4_3ELS4_3ELNS0_20block_scan_algorithmE0ELj4294967295EEENS1_25partition_config_selectorILNS1_17partition_subalgoE3EjNS0_10empty_typeEbEEZZNS1_14partition_implILS8_3ELb0ES6_jNS0_17counting_iteratorIjlEEPS9_SE_NS0_5tupleIJPjSE_EEENSF_IJSE_SE_EEES9_SG_JZNS1_25segmented_radix_sort_implINS0_14default_configELb0EPKfPfPKlPlN2at6native12_GLOBAL__N_18offset_tEEE10hipError_tPvRmT1_PNSt15iterator_traitsISY_E10value_typeET2_T3_PNSZ_IS14_E10value_typeET4_jRbjT5_S1A_jjP12ihipStream_tbEUljE_EEESV_SW_SX_S14_S18_S1A_T6_T7_T9_mT8_S1C_bDpT10_ENKUlT_T0_E_clISt17integral_constantIbLb0EES1P_EEDaS1K_S1L_EUlS1K_E_NS1_11comp_targetILNS1_3genE0ELNS1_11target_archE4294967295ELNS1_3gpuE0ELNS1_3repE0EEENS1_30default_config_static_selectorELNS0_4arch9wavefront6targetE1EEEvSY_
                                        ; -- End function
	.section	.AMDGPU.csdata,"",@progbits
; Kernel info:
; codeLenInByte = 0
; NumSgprs: 4
; NumVgprs: 0
; NumAgprs: 0
; TotalNumVgprs: 0
; ScratchSize: 0
; MemoryBound: 0
; FloatMode: 240
; IeeeMode: 1
; LDSByteSize: 0 bytes/workgroup (compile time only)
; SGPRBlocks: 0
; VGPRBlocks: 0
; NumSGPRsForWavesPerEU: 4
; NumVGPRsForWavesPerEU: 1
; AccumOffset: 4
; Occupancy: 8
; WaveLimiterHint : 0
; COMPUTE_PGM_RSRC2:SCRATCH_EN: 0
; COMPUTE_PGM_RSRC2:USER_SGPR: 6
; COMPUTE_PGM_RSRC2:TRAP_HANDLER: 0
; COMPUTE_PGM_RSRC2:TGID_X_EN: 1
; COMPUTE_PGM_RSRC2:TGID_Y_EN: 0
; COMPUTE_PGM_RSRC2:TGID_Z_EN: 0
; COMPUTE_PGM_RSRC2:TIDIG_COMP_CNT: 0
; COMPUTE_PGM_RSRC3_GFX90A:ACCUM_OFFSET: 0
; COMPUTE_PGM_RSRC3_GFX90A:TG_SPLIT: 0
	.section	.text._ZN7rocprim17ROCPRIM_400000_NS6detail17trampoline_kernelINS0_13select_configILj256ELj13ELNS0_17block_load_methodE3ELS4_3ELS4_3ELNS0_20block_scan_algorithmE0ELj4294967295EEENS1_25partition_config_selectorILNS1_17partition_subalgoE3EjNS0_10empty_typeEbEEZZNS1_14partition_implILS8_3ELb0ES6_jNS0_17counting_iteratorIjlEEPS9_SE_NS0_5tupleIJPjSE_EEENSF_IJSE_SE_EEES9_SG_JZNS1_25segmented_radix_sort_implINS0_14default_configELb0EPKfPfPKlPlN2at6native12_GLOBAL__N_18offset_tEEE10hipError_tPvRmT1_PNSt15iterator_traitsISY_E10value_typeET2_T3_PNSZ_IS14_E10value_typeET4_jRbjT5_S1A_jjP12ihipStream_tbEUljE_EEESV_SW_SX_S14_S18_S1A_T6_T7_T9_mT8_S1C_bDpT10_ENKUlT_T0_E_clISt17integral_constantIbLb0EES1P_EEDaS1K_S1L_EUlS1K_E_NS1_11comp_targetILNS1_3genE5ELNS1_11target_archE942ELNS1_3gpuE9ELNS1_3repE0EEENS1_30default_config_static_selectorELNS0_4arch9wavefront6targetE1EEEvSY_,"axG",@progbits,_ZN7rocprim17ROCPRIM_400000_NS6detail17trampoline_kernelINS0_13select_configILj256ELj13ELNS0_17block_load_methodE3ELS4_3ELS4_3ELNS0_20block_scan_algorithmE0ELj4294967295EEENS1_25partition_config_selectorILNS1_17partition_subalgoE3EjNS0_10empty_typeEbEEZZNS1_14partition_implILS8_3ELb0ES6_jNS0_17counting_iteratorIjlEEPS9_SE_NS0_5tupleIJPjSE_EEENSF_IJSE_SE_EEES9_SG_JZNS1_25segmented_radix_sort_implINS0_14default_configELb0EPKfPfPKlPlN2at6native12_GLOBAL__N_18offset_tEEE10hipError_tPvRmT1_PNSt15iterator_traitsISY_E10value_typeET2_T3_PNSZ_IS14_E10value_typeET4_jRbjT5_S1A_jjP12ihipStream_tbEUljE_EEESV_SW_SX_S14_S18_S1A_T6_T7_T9_mT8_S1C_bDpT10_ENKUlT_T0_E_clISt17integral_constantIbLb0EES1P_EEDaS1K_S1L_EUlS1K_E_NS1_11comp_targetILNS1_3genE5ELNS1_11target_archE942ELNS1_3gpuE9ELNS1_3repE0EEENS1_30default_config_static_selectorELNS0_4arch9wavefront6targetE1EEEvSY_,comdat
	.globl	_ZN7rocprim17ROCPRIM_400000_NS6detail17trampoline_kernelINS0_13select_configILj256ELj13ELNS0_17block_load_methodE3ELS4_3ELS4_3ELNS0_20block_scan_algorithmE0ELj4294967295EEENS1_25partition_config_selectorILNS1_17partition_subalgoE3EjNS0_10empty_typeEbEEZZNS1_14partition_implILS8_3ELb0ES6_jNS0_17counting_iteratorIjlEEPS9_SE_NS0_5tupleIJPjSE_EEENSF_IJSE_SE_EEES9_SG_JZNS1_25segmented_radix_sort_implINS0_14default_configELb0EPKfPfPKlPlN2at6native12_GLOBAL__N_18offset_tEEE10hipError_tPvRmT1_PNSt15iterator_traitsISY_E10value_typeET2_T3_PNSZ_IS14_E10value_typeET4_jRbjT5_S1A_jjP12ihipStream_tbEUljE_EEESV_SW_SX_S14_S18_S1A_T6_T7_T9_mT8_S1C_bDpT10_ENKUlT_T0_E_clISt17integral_constantIbLb0EES1P_EEDaS1K_S1L_EUlS1K_E_NS1_11comp_targetILNS1_3genE5ELNS1_11target_archE942ELNS1_3gpuE9ELNS1_3repE0EEENS1_30default_config_static_selectorELNS0_4arch9wavefront6targetE1EEEvSY_ ; -- Begin function _ZN7rocprim17ROCPRIM_400000_NS6detail17trampoline_kernelINS0_13select_configILj256ELj13ELNS0_17block_load_methodE3ELS4_3ELS4_3ELNS0_20block_scan_algorithmE0ELj4294967295EEENS1_25partition_config_selectorILNS1_17partition_subalgoE3EjNS0_10empty_typeEbEEZZNS1_14partition_implILS8_3ELb0ES6_jNS0_17counting_iteratorIjlEEPS9_SE_NS0_5tupleIJPjSE_EEENSF_IJSE_SE_EEES9_SG_JZNS1_25segmented_radix_sort_implINS0_14default_configELb0EPKfPfPKlPlN2at6native12_GLOBAL__N_18offset_tEEE10hipError_tPvRmT1_PNSt15iterator_traitsISY_E10value_typeET2_T3_PNSZ_IS14_E10value_typeET4_jRbjT5_S1A_jjP12ihipStream_tbEUljE_EEESV_SW_SX_S14_S18_S1A_T6_T7_T9_mT8_S1C_bDpT10_ENKUlT_T0_E_clISt17integral_constantIbLb0EES1P_EEDaS1K_S1L_EUlS1K_E_NS1_11comp_targetILNS1_3genE5ELNS1_11target_archE942ELNS1_3gpuE9ELNS1_3repE0EEENS1_30default_config_static_selectorELNS0_4arch9wavefront6targetE1EEEvSY_
	.p2align	8
	.type	_ZN7rocprim17ROCPRIM_400000_NS6detail17trampoline_kernelINS0_13select_configILj256ELj13ELNS0_17block_load_methodE3ELS4_3ELS4_3ELNS0_20block_scan_algorithmE0ELj4294967295EEENS1_25partition_config_selectorILNS1_17partition_subalgoE3EjNS0_10empty_typeEbEEZZNS1_14partition_implILS8_3ELb0ES6_jNS0_17counting_iteratorIjlEEPS9_SE_NS0_5tupleIJPjSE_EEENSF_IJSE_SE_EEES9_SG_JZNS1_25segmented_radix_sort_implINS0_14default_configELb0EPKfPfPKlPlN2at6native12_GLOBAL__N_18offset_tEEE10hipError_tPvRmT1_PNSt15iterator_traitsISY_E10value_typeET2_T3_PNSZ_IS14_E10value_typeET4_jRbjT5_S1A_jjP12ihipStream_tbEUljE_EEESV_SW_SX_S14_S18_S1A_T6_T7_T9_mT8_S1C_bDpT10_ENKUlT_T0_E_clISt17integral_constantIbLb0EES1P_EEDaS1K_S1L_EUlS1K_E_NS1_11comp_targetILNS1_3genE5ELNS1_11target_archE942ELNS1_3gpuE9ELNS1_3repE0EEENS1_30default_config_static_selectorELNS0_4arch9wavefront6targetE1EEEvSY_,@function
_ZN7rocprim17ROCPRIM_400000_NS6detail17trampoline_kernelINS0_13select_configILj256ELj13ELNS0_17block_load_methodE3ELS4_3ELS4_3ELNS0_20block_scan_algorithmE0ELj4294967295EEENS1_25partition_config_selectorILNS1_17partition_subalgoE3EjNS0_10empty_typeEbEEZZNS1_14partition_implILS8_3ELb0ES6_jNS0_17counting_iteratorIjlEEPS9_SE_NS0_5tupleIJPjSE_EEENSF_IJSE_SE_EEES9_SG_JZNS1_25segmented_radix_sort_implINS0_14default_configELb0EPKfPfPKlPlN2at6native12_GLOBAL__N_18offset_tEEE10hipError_tPvRmT1_PNSt15iterator_traitsISY_E10value_typeET2_T3_PNSZ_IS14_E10value_typeET4_jRbjT5_S1A_jjP12ihipStream_tbEUljE_EEESV_SW_SX_S14_S18_S1A_T6_T7_T9_mT8_S1C_bDpT10_ENKUlT_T0_E_clISt17integral_constantIbLb0EES1P_EEDaS1K_S1L_EUlS1K_E_NS1_11comp_targetILNS1_3genE5ELNS1_11target_archE942ELNS1_3gpuE9ELNS1_3repE0EEENS1_30default_config_static_selectorELNS0_4arch9wavefront6targetE1EEEvSY_: ; @_ZN7rocprim17ROCPRIM_400000_NS6detail17trampoline_kernelINS0_13select_configILj256ELj13ELNS0_17block_load_methodE3ELS4_3ELS4_3ELNS0_20block_scan_algorithmE0ELj4294967295EEENS1_25partition_config_selectorILNS1_17partition_subalgoE3EjNS0_10empty_typeEbEEZZNS1_14partition_implILS8_3ELb0ES6_jNS0_17counting_iteratorIjlEEPS9_SE_NS0_5tupleIJPjSE_EEENSF_IJSE_SE_EEES9_SG_JZNS1_25segmented_radix_sort_implINS0_14default_configELb0EPKfPfPKlPlN2at6native12_GLOBAL__N_18offset_tEEE10hipError_tPvRmT1_PNSt15iterator_traitsISY_E10value_typeET2_T3_PNSZ_IS14_E10value_typeET4_jRbjT5_S1A_jjP12ihipStream_tbEUljE_EEESV_SW_SX_S14_S18_S1A_T6_T7_T9_mT8_S1C_bDpT10_ENKUlT_T0_E_clISt17integral_constantIbLb0EES1P_EEDaS1K_S1L_EUlS1K_E_NS1_11comp_targetILNS1_3genE5ELNS1_11target_archE942ELNS1_3gpuE9ELNS1_3repE0EEENS1_30default_config_static_selectorELNS0_4arch9wavefront6targetE1EEEvSY_
; %bb.0:
	.section	.rodata,"a",@progbits
	.p2align	6, 0x0
	.amdhsa_kernel _ZN7rocprim17ROCPRIM_400000_NS6detail17trampoline_kernelINS0_13select_configILj256ELj13ELNS0_17block_load_methodE3ELS4_3ELS4_3ELNS0_20block_scan_algorithmE0ELj4294967295EEENS1_25partition_config_selectorILNS1_17partition_subalgoE3EjNS0_10empty_typeEbEEZZNS1_14partition_implILS8_3ELb0ES6_jNS0_17counting_iteratorIjlEEPS9_SE_NS0_5tupleIJPjSE_EEENSF_IJSE_SE_EEES9_SG_JZNS1_25segmented_radix_sort_implINS0_14default_configELb0EPKfPfPKlPlN2at6native12_GLOBAL__N_18offset_tEEE10hipError_tPvRmT1_PNSt15iterator_traitsISY_E10value_typeET2_T3_PNSZ_IS14_E10value_typeET4_jRbjT5_S1A_jjP12ihipStream_tbEUljE_EEESV_SW_SX_S14_S18_S1A_T6_T7_T9_mT8_S1C_bDpT10_ENKUlT_T0_E_clISt17integral_constantIbLb0EES1P_EEDaS1K_S1L_EUlS1K_E_NS1_11comp_targetILNS1_3genE5ELNS1_11target_archE942ELNS1_3gpuE9ELNS1_3repE0EEENS1_30default_config_static_selectorELNS0_4arch9wavefront6targetE1EEEvSY_
		.amdhsa_group_segment_fixed_size 0
		.amdhsa_private_segment_fixed_size 0
		.amdhsa_kernarg_size 144
		.amdhsa_user_sgpr_count 6
		.amdhsa_user_sgpr_private_segment_buffer 1
		.amdhsa_user_sgpr_dispatch_ptr 0
		.amdhsa_user_sgpr_queue_ptr 0
		.amdhsa_user_sgpr_kernarg_segment_ptr 1
		.amdhsa_user_sgpr_dispatch_id 0
		.amdhsa_user_sgpr_flat_scratch_init 0
		.amdhsa_user_sgpr_kernarg_preload_length 0
		.amdhsa_user_sgpr_kernarg_preload_offset 0
		.amdhsa_user_sgpr_private_segment_size 0
		.amdhsa_uses_dynamic_stack 0
		.amdhsa_system_sgpr_private_segment_wavefront_offset 0
		.amdhsa_system_sgpr_workgroup_id_x 1
		.amdhsa_system_sgpr_workgroup_id_y 0
		.amdhsa_system_sgpr_workgroup_id_z 0
		.amdhsa_system_sgpr_workgroup_info 0
		.amdhsa_system_vgpr_workitem_id 0
		.amdhsa_next_free_vgpr 1
		.amdhsa_next_free_sgpr 0
		.amdhsa_accum_offset 4
		.amdhsa_reserve_vcc 0
		.amdhsa_reserve_flat_scratch 0
		.amdhsa_float_round_mode_32 0
		.amdhsa_float_round_mode_16_64 0
		.amdhsa_float_denorm_mode_32 3
		.amdhsa_float_denorm_mode_16_64 3
		.amdhsa_dx10_clamp 1
		.amdhsa_ieee_mode 1
		.amdhsa_fp16_overflow 0
		.amdhsa_tg_split 0
		.amdhsa_exception_fp_ieee_invalid_op 0
		.amdhsa_exception_fp_denorm_src 0
		.amdhsa_exception_fp_ieee_div_zero 0
		.amdhsa_exception_fp_ieee_overflow 0
		.amdhsa_exception_fp_ieee_underflow 0
		.amdhsa_exception_fp_ieee_inexact 0
		.amdhsa_exception_int_div_zero 0
	.end_amdhsa_kernel
	.section	.text._ZN7rocprim17ROCPRIM_400000_NS6detail17trampoline_kernelINS0_13select_configILj256ELj13ELNS0_17block_load_methodE3ELS4_3ELS4_3ELNS0_20block_scan_algorithmE0ELj4294967295EEENS1_25partition_config_selectorILNS1_17partition_subalgoE3EjNS0_10empty_typeEbEEZZNS1_14partition_implILS8_3ELb0ES6_jNS0_17counting_iteratorIjlEEPS9_SE_NS0_5tupleIJPjSE_EEENSF_IJSE_SE_EEES9_SG_JZNS1_25segmented_radix_sort_implINS0_14default_configELb0EPKfPfPKlPlN2at6native12_GLOBAL__N_18offset_tEEE10hipError_tPvRmT1_PNSt15iterator_traitsISY_E10value_typeET2_T3_PNSZ_IS14_E10value_typeET4_jRbjT5_S1A_jjP12ihipStream_tbEUljE_EEESV_SW_SX_S14_S18_S1A_T6_T7_T9_mT8_S1C_bDpT10_ENKUlT_T0_E_clISt17integral_constantIbLb0EES1P_EEDaS1K_S1L_EUlS1K_E_NS1_11comp_targetILNS1_3genE5ELNS1_11target_archE942ELNS1_3gpuE9ELNS1_3repE0EEENS1_30default_config_static_selectorELNS0_4arch9wavefront6targetE1EEEvSY_,"axG",@progbits,_ZN7rocprim17ROCPRIM_400000_NS6detail17trampoline_kernelINS0_13select_configILj256ELj13ELNS0_17block_load_methodE3ELS4_3ELS4_3ELNS0_20block_scan_algorithmE0ELj4294967295EEENS1_25partition_config_selectorILNS1_17partition_subalgoE3EjNS0_10empty_typeEbEEZZNS1_14partition_implILS8_3ELb0ES6_jNS0_17counting_iteratorIjlEEPS9_SE_NS0_5tupleIJPjSE_EEENSF_IJSE_SE_EEES9_SG_JZNS1_25segmented_radix_sort_implINS0_14default_configELb0EPKfPfPKlPlN2at6native12_GLOBAL__N_18offset_tEEE10hipError_tPvRmT1_PNSt15iterator_traitsISY_E10value_typeET2_T3_PNSZ_IS14_E10value_typeET4_jRbjT5_S1A_jjP12ihipStream_tbEUljE_EEESV_SW_SX_S14_S18_S1A_T6_T7_T9_mT8_S1C_bDpT10_ENKUlT_T0_E_clISt17integral_constantIbLb0EES1P_EEDaS1K_S1L_EUlS1K_E_NS1_11comp_targetILNS1_3genE5ELNS1_11target_archE942ELNS1_3gpuE9ELNS1_3repE0EEENS1_30default_config_static_selectorELNS0_4arch9wavefront6targetE1EEEvSY_,comdat
.Lfunc_end1395:
	.size	_ZN7rocprim17ROCPRIM_400000_NS6detail17trampoline_kernelINS0_13select_configILj256ELj13ELNS0_17block_load_methodE3ELS4_3ELS4_3ELNS0_20block_scan_algorithmE0ELj4294967295EEENS1_25partition_config_selectorILNS1_17partition_subalgoE3EjNS0_10empty_typeEbEEZZNS1_14partition_implILS8_3ELb0ES6_jNS0_17counting_iteratorIjlEEPS9_SE_NS0_5tupleIJPjSE_EEENSF_IJSE_SE_EEES9_SG_JZNS1_25segmented_radix_sort_implINS0_14default_configELb0EPKfPfPKlPlN2at6native12_GLOBAL__N_18offset_tEEE10hipError_tPvRmT1_PNSt15iterator_traitsISY_E10value_typeET2_T3_PNSZ_IS14_E10value_typeET4_jRbjT5_S1A_jjP12ihipStream_tbEUljE_EEESV_SW_SX_S14_S18_S1A_T6_T7_T9_mT8_S1C_bDpT10_ENKUlT_T0_E_clISt17integral_constantIbLb0EES1P_EEDaS1K_S1L_EUlS1K_E_NS1_11comp_targetILNS1_3genE5ELNS1_11target_archE942ELNS1_3gpuE9ELNS1_3repE0EEENS1_30default_config_static_selectorELNS0_4arch9wavefront6targetE1EEEvSY_, .Lfunc_end1395-_ZN7rocprim17ROCPRIM_400000_NS6detail17trampoline_kernelINS0_13select_configILj256ELj13ELNS0_17block_load_methodE3ELS4_3ELS4_3ELNS0_20block_scan_algorithmE0ELj4294967295EEENS1_25partition_config_selectorILNS1_17partition_subalgoE3EjNS0_10empty_typeEbEEZZNS1_14partition_implILS8_3ELb0ES6_jNS0_17counting_iteratorIjlEEPS9_SE_NS0_5tupleIJPjSE_EEENSF_IJSE_SE_EEES9_SG_JZNS1_25segmented_radix_sort_implINS0_14default_configELb0EPKfPfPKlPlN2at6native12_GLOBAL__N_18offset_tEEE10hipError_tPvRmT1_PNSt15iterator_traitsISY_E10value_typeET2_T3_PNSZ_IS14_E10value_typeET4_jRbjT5_S1A_jjP12ihipStream_tbEUljE_EEESV_SW_SX_S14_S18_S1A_T6_T7_T9_mT8_S1C_bDpT10_ENKUlT_T0_E_clISt17integral_constantIbLb0EES1P_EEDaS1K_S1L_EUlS1K_E_NS1_11comp_targetILNS1_3genE5ELNS1_11target_archE942ELNS1_3gpuE9ELNS1_3repE0EEENS1_30default_config_static_selectorELNS0_4arch9wavefront6targetE1EEEvSY_
                                        ; -- End function
	.section	.AMDGPU.csdata,"",@progbits
; Kernel info:
; codeLenInByte = 0
; NumSgprs: 4
; NumVgprs: 0
; NumAgprs: 0
; TotalNumVgprs: 0
; ScratchSize: 0
; MemoryBound: 0
; FloatMode: 240
; IeeeMode: 1
; LDSByteSize: 0 bytes/workgroup (compile time only)
; SGPRBlocks: 0
; VGPRBlocks: 0
; NumSGPRsForWavesPerEU: 4
; NumVGPRsForWavesPerEU: 1
; AccumOffset: 4
; Occupancy: 8
; WaveLimiterHint : 0
; COMPUTE_PGM_RSRC2:SCRATCH_EN: 0
; COMPUTE_PGM_RSRC2:USER_SGPR: 6
; COMPUTE_PGM_RSRC2:TRAP_HANDLER: 0
; COMPUTE_PGM_RSRC2:TGID_X_EN: 1
; COMPUTE_PGM_RSRC2:TGID_Y_EN: 0
; COMPUTE_PGM_RSRC2:TGID_Z_EN: 0
; COMPUTE_PGM_RSRC2:TIDIG_COMP_CNT: 0
; COMPUTE_PGM_RSRC3_GFX90A:ACCUM_OFFSET: 0
; COMPUTE_PGM_RSRC3_GFX90A:TG_SPLIT: 0
	.section	.text._ZN7rocprim17ROCPRIM_400000_NS6detail17trampoline_kernelINS0_13select_configILj256ELj13ELNS0_17block_load_methodE3ELS4_3ELS4_3ELNS0_20block_scan_algorithmE0ELj4294967295EEENS1_25partition_config_selectorILNS1_17partition_subalgoE3EjNS0_10empty_typeEbEEZZNS1_14partition_implILS8_3ELb0ES6_jNS0_17counting_iteratorIjlEEPS9_SE_NS0_5tupleIJPjSE_EEENSF_IJSE_SE_EEES9_SG_JZNS1_25segmented_radix_sort_implINS0_14default_configELb0EPKfPfPKlPlN2at6native12_GLOBAL__N_18offset_tEEE10hipError_tPvRmT1_PNSt15iterator_traitsISY_E10value_typeET2_T3_PNSZ_IS14_E10value_typeET4_jRbjT5_S1A_jjP12ihipStream_tbEUljE_EEESV_SW_SX_S14_S18_S1A_T6_T7_T9_mT8_S1C_bDpT10_ENKUlT_T0_E_clISt17integral_constantIbLb0EES1P_EEDaS1K_S1L_EUlS1K_E_NS1_11comp_targetILNS1_3genE4ELNS1_11target_archE910ELNS1_3gpuE8ELNS1_3repE0EEENS1_30default_config_static_selectorELNS0_4arch9wavefront6targetE1EEEvSY_,"axG",@progbits,_ZN7rocprim17ROCPRIM_400000_NS6detail17trampoline_kernelINS0_13select_configILj256ELj13ELNS0_17block_load_methodE3ELS4_3ELS4_3ELNS0_20block_scan_algorithmE0ELj4294967295EEENS1_25partition_config_selectorILNS1_17partition_subalgoE3EjNS0_10empty_typeEbEEZZNS1_14partition_implILS8_3ELb0ES6_jNS0_17counting_iteratorIjlEEPS9_SE_NS0_5tupleIJPjSE_EEENSF_IJSE_SE_EEES9_SG_JZNS1_25segmented_radix_sort_implINS0_14default_configELb0EPKfPfPKlPlN2at6native12_GLOBAL__N_18offset_tEEE10hipError_tPvRmT1_PNSt15iterator_traitsISY_E10value_typeET2_T3_PNSZ_IS14_E10value_typeET4_jRbjT5_S1A_jjP12ihipStream_tbEUljE_EEESV_SW_SX_S14_S18_S1A_T6_T7_T9_mT8_S1C_bDpT10_ENKUlT_T0_E_clISt17integral_constantIbLb0EES1P_EEDaS1K_S1L_EUlS1K_E_NS1_11comp_targetILNS1_3genE4ELNS1_11target_archE910ELNS1_3gpuE8ELNS1_3repE0EEENS1_30default_config_static_selectorELNS0_4arch9wavefront6targetE1EEEvSY_,comdat
	.globl	_ZN7rocprim17ROCPRIM_400000_NS6detail17trampoline_kernelINS0_13select_configILj256ELj13ELNS0_17block_load_methodE3ELS4_3ELS4_3ELNS0_20block_scan_algorithmE0ELj4294967295EEENS1_25partition_config_selectorILNS1_17partition_subalgoE3EjNS0_10empty_typeEbEEZZNS1_14partition_implILS8_3ELb0ES6_jNS0_17counting_iteratorIjlEEPS9_SE_NS0_5tupleIJPjSE_EEENSF_IJSE_SE_EEES9_SG_JZNS1_25segmented_radix_sort_implINS0_14default_configELb0EPKfPfPKlPlN2at6native12_GLOBAL__N_18offset_tEEE10hipError_tPvRmT1_PNSt15iterator_traitsISY_E10value_typeET2_T3_PNSZ_IS14_E10value_typeET4_jRbjT5_S1A_jjP12ihipStream_tbEUljE_EEESV_SW_SX_S14_S18_S1A_T6_T7_T9_mT8_S1C_bDpT10_ENKUlT_T0_E_clISt17integral_constantIbLb0EES1P_EEDaS1K_S1L_EUlS1K_E_NS1_11comp_targetILNS1_3genE4ELNS1_11target_archE910ELNS1_3gpuE8ELNS1_3repE0EEENS1_30default_config_static_selectorELNS0_4arch9wavefront6targetE1EEEvSY_ ; -- Begin function _ZN7rocprim17ROCPRIM_400000_NS6detail17trampoline_kernelINS0_13select_configILj256ELj13ELNS0_17block_load_methodE3ELS4_3ELS4_3ELNS0_20block_scan_algorithmE0ELj4294967295EEENS1_25partition_config_selectorILNS1_17partition_subalgoE3EjNS0_10empty_typeEbEEZZNS1_14partition_implILS8_3ELb0ES6_jNS0_17counting_iteratorIjlEEPS9_SE_NS0_5tupleIJPjSE_EEENSF_IJSE_SE_EEES9_SG_JZNS1_25segmented_radix_sort_implINS0_14default_configELb0EPKfPfPKlPlN2at6native12_GLOBAL__N_18offset_tEEE10hipError_tPvRmT1_PNSt15iterator_traitsISY_E10value_typeET2_T3_PNSZ_IS14_E10value_typeET4_jRbjT5_S1A_jjP12ihipStream_tbEUljE_EEESV_SW_SX_S14_S18_S1A_T6_T7_T9_mT8_S1C_bDpT10_ENKUlT_T0_E_clISt17integral_constantIbLb0EES1P_EEDaS1K_S1L_EUlS1K_E_NS1_11comp_targetILNS1_3genE4ELNS1_11target_archE910ELNS1_3gpuE8ELNS1_3repE0EEENS1_30default_config_static_selectorELNS0_4arch9wavefront6targetE1EEEvSY_
	.p2align	8
	.type	_ZN7rocprim17ROCPRIM_400000_NS6detail17trampoline_kernelINS0_13select_configILj256ELj13ELNS0_17block_load_methodE3ELS4_3ELS4_3ELNS0_20block_scan_algorithmE0ELj4294967295EEENS1_25partition_config_selectorILNS1_17partition_subalgoE3EjNS0_10empty_typeEbEEZZNS1_14partition_implILS8_3ELb0ES6_jNS0_17counting_iteratorIjlEEPS9_SE_NS0_5tupleIJPjSE_EEENSF_IJSE_SE_EEES9_SG_JZNS1_25segmented_radix_sort_implINS0_14default_configELb0EPKfPfPKlPlN2at6native12_GLOBAL__N_18offset_tEEE10hipError_tPvRmT1_PNSt15iterator_traitsISY_E10value_typeET2_T3_PNSZ_IS14_E10value_typeET4_jRbjT5_S1A_jjP12ihipStream_tbEUljE_EEESV_SW_SX_S14_S18_S1A_T6_T7_T9_mT8_S1C_bDpT10_ENKUlT_T0_E_clISt17integral_constantIbLb0EES1P_EEDaS1K_S1L_EUlS1K_E_NS1_11comp_targetILNS1_3genE4ELNS1_11target_archE910ELNS1_3gpuE8ELNS1_3repE0EEENS1_30default_config_static_selectorELNS0_4arch9wavefront6targetE1EEEvSY_,@function
_ZN7rocprim17ROCPRIM_400000_NS6detail17trampoline_kernelINS0_13select_configILj256ELj13ELNS0_17block_load_methodE3ELS4_3ELS4_3ELNS0_20block_scan_algorithmE0ELj4294967295EEENS1_25partition_config_selectorILNS1_17partition_subalgoE3EjNS0_10empty_typeEbEEZZNS1_14partition_implILS8_3ELb0ES6_jNS0_17counting_iteratorIjlEEPS9_SE_NS0_5tupleIJPjSE_EEENSF_IJSE_SE_EEES9_SG_JZNS1_25segmented_radix_sort_implINS0_14default_configELb0EPKfPfPKlPlN2at6native12_GLOBAL__N_18offset_tEEE10hipError_tPvRmT1_PNSt15iterator_traitsISY_E10value_typeET2_T3_PNSZ_IS14_E10value_typeET4_jRbjT5_S1A_jjP12ihipStream_tbEUljE_EEESV_SW_SX_S14_S18_S1A_T6_T7_T9_mT8_S1C_bDpT10_ENKUlT_T0_E_clISt17integral_constantIbLb0EES1P_EEDaS1K_S1L_EUlS1K_E_NS1_11comp_targetILNS1_3genE4ELNS1_11target_archE910ELNS1_3gpuE8ELNS1_3repE0EEENS1_30default_config_static_selectorELNS0_4arch9wavefront6targetE1EEEvSY_: ; @_ZN7rocprim17ROCPRIM_400000_NS6detail17trampoline_kernelINS0_13select_configILj256ELj13ELNS0_17block_load_methodE3ELS4_3ELS4_3ELNS0_20block_scan_algorithmE0ELj4294967295EEENS1_25partition_config_selectorILNS1_17partition_subalgoE3EjNS0_10empty_typeEbEEZZNS1_14partition_implILS8_3ELb0ES6_jNS0_17counting_iteratorIjlEEPS9_SE_NS0_5tupleIJPjSE_EEENSF_IJSE_SE_EEES9_SG_JZNS1_25segmented_radix_sort_implINS0_14default_configELb0EPKfPfPKlPlN2at6native12_GLOBAL__N_18offset_tEEE10hipError_tPvRmT1_PNSt15iterator_traitsISY_E10value_typeET2_T3_PNSZ_IS14_E10value_typeET4_jRbjT5_S1A_jjP12ihipStream_tbEUljE_EEESV_SW_SX_S14_S18_S1A_T6_T7_T9_mT8_S1C_bDpT10_ENKUlT_T0_E_clISt17integral_constantIbLb0EES1P_EEDaS1K_S1L_EUlS1K_E_NS1_11comp_targetILNS1_3genE4ELNS1_11target_archE910ELNS1_3gpuE8ELNS1_3repE0EEENS1_30default_config_static_selectorELNS0_4arch9wavefront6targetE1EEEvSY_
; %bb.0:
	s_load_dwordx2 s[26:27], s[4:5], 0x58
	s_load_dwordx4 s[20:23], s[4:5], 0x48
	s_load_dword s13, s[4:5], 0x8
	s_load_dwordx2 s[28:29], s[4:5], 0x10
	s_load_dword s12, s[4:5], 0x70
	s_load_dword s7, s[4:5], 0x88
	s_load_dwordx4 s[8:11], s[4:5], 0x78
	s_waitcnt lgkmcnt(0)
	s_load_dwordx2 s[30:31], s[22:23], 0x0
	v_pk_mov_b32 v[2:3], s[26:27], s[26:27] op_sel:[0,1]
	s_add_i32 s2, s12, -1
	s_mulk_i32 s12, 0xd00
	s_add_u32 s0, s28, s12
	s_addc_u32 s1, s29, 0
	s_cmp_eq_u32 s6, s2
	s_cselect_b64 s[22:23], -1, 0
	s_cmp_lg_u32 s6, s2
	s_mul_i32 s42, s6, 0xd00
	v_cmp_lt_u64_e32 vcc, s[0:1], v[2:3]
	s_cselect_b64 s[0:1], -1, 0
	s_or_b64 s[2:3], s[0:1], vcc
	s_add_i32 s0, s13, s42
	s_add_i32 s0, s0, s28
	v_add_u32_e32 v2, s0, v0
	s_mov_b64 s[0:1], -1
	s_and_b64 vcc, exec, s[2:3]
	v_lshlrev_b32_e32 v1, 2, v0
	s_cbranch_vccz .LBB1396_2
; %bb.1:
	v_add_u32_e32 v3, 0x100, v2
	v_add_u32_e32 v4, 0x200, v2
	;; [unrolled: 1-line block ×12, first 2 shown]
	ds_write2st64_b32 v1, v2, v3 offset1:4
	ds_write2st64_b32 v1, v4, v5 offset0:8 offset1:12
	ds_write2st64_b32 v1, v6, v7 offset0:16 offset1:20
	;; [unrolled: 1-line block ×5, first 2 shown]
	ds_write_b32 v1, v14 offset:12288
	s_waitcnt lgkmcnt(0)
	s_barrier
	s_mov_b64 s[0:1], 0
.LBB1396_2:
	s_andn2_b64 vcc, exec, s[0:1]
	s_add_i32 s12, s12, s28
	s_cbranch_vccnz .LBB1396_4
; %bb.3:
	v_add_u32_e32 v3, 0x100, v2
	v_add_u32_e32 v4, 0x200, v2
	;; [unrolled: 1-line block ×12, first 2 shown]
	ds_write2st64_b32 v1, v2, v3 offset1:4
	ds_write2st64_b32 v1, v4, v5 offset0:8 offset1:12
	ds_write2st64_b32 v1, v6, v7 offset0:16 offset1:20
	ds_write2st64_b32 v1, v8, v9 offset0:24 offset1:28
	ds_write2st64_b32 v1, v10, v11 offset0:32 offset1:36
	ds_write2st64_b32 v1, v12, v13 offset0:40 offset1:44
	ds_write_b32 v1, v14 offset:12288
	s_waitcnt lgkmcnt(0)
	s_barrier
.LBB1396_4:
	v_mul_u32_u24_e32 v33, 13, v0
	v_lshlrev_b32_e32 v2, 2, v33
	s_waitcnt lgkmcnt(0)
	ds_read2_b32 v[30:31], v2 offset1:1
	ds_read2_b32 v[28:29], v2 offset0:2 offset1:3
	ds_read2_b32 v[26:27], v2 offset0:4 offset1:5
	;; [unrolled: 1-line block ×5, first 2 shown]
	ds_read_b32 v32, v2 offset:48
	v_cndmask_b32_e64 v2, 0, 1, s[2:3]
	s_sub_i32 s33, s26, s12
	v_cmp_ne_u32_e64 s[0:1], 1, v2
	s_andn2_b64 vcc, exec, s[2:3]
	s_waitcnt lgkmcnt(0)
	s_barrier
	s_cbranch_vccnz .LBB1396_6
; %bb.5:
	v_add_u32_e32 v2, s9, v30
	v_add_u32_e32 v3, s11, v30
	v_mul_lo_u32 v2, v2, s8
	v_mul_lo_u32 v3, v3, s10
	v_sub_u32_e32 v2, v2, v3
	v_add_u32_e32 v3, s9, v31
	v_add_u32_e32 v4, s11, v31
	v_mul_lo_u32 v3, v3, s8
	v_mul_lo_u32 v4, v4, s10
	v_sub_u32_e32 v3, v3, v4
	;; [unrolled: 5-line block ×6, first 2 shown]
	v_add_u32_e32 v8, s9, v24
	v_add_u32_e32 v9, s11, v24
	v_mul_lo_u32 v8, v8, s8
	v_mul_lo_u32 v9, v9, s10
	v_cmp_lt_u32_e32 vcc, s7, v2
	v_sub_u32_e32 v8, v8, v9
	v_add_u32_e32 v9, s9, v25
	v_add_u32_e32 v10, s11, v25
	v_cndmask_b32_e64 v2, 0, 1, vcc
	v_cmp_lt_u32_e32 vcc, s7, v3
	v_mul_lo_u32 v9, v9, s8
	v_mul_lo_u32 v10, v10, s10
	v_cndmask_b32_e64 v3, 0, 1, vcc
	v_cmp_lt_u32_e32 vcc, s7, v4
	v_sub_u32_e32 v9, v9, v10
	v_add_u32_e32 v10, s9, v22
	v_add_u32_e32 v11, s11, v22
	v_cndmask_b32_e64 v4, 0, 1, vcc
	v_cmp_lt_u32_e32 vcc, s7, v5
	v_mul_lo_u32 v10, v10, s8
	v_mul_lo_u32 v11, v11, s10
	v_cndmask_b32_e64 v5, 0, 1, vcc
	;; [unrolled: 9-line block ×4, first 2 shown]
	v_cmp_lt_u32_e32 vcc, s7, v10
	v_sub_u32_e32 v12, v12, v13
	v_add_u32_e32 v13, s9, v21
	v_add_u32_e32 v14, s11, v21
	v_lshlrev_b16_e32 v3, 8, v3
	v_cndmask_b32_e64 v10, 0, 1, vcc
	v_cmp_lt_u32_e32 vcc, s7, v11
	v_mul_lo_u32 v13, v13, s8
	v_mul_lo_u32 v14, v14, s10
	v_or_b32_e32 v2, v2, v3
	v_lshlrev_b16_e32 v3, 8, v5
	v_cndmask_b32_e64 v11, 0, 1, vcc
	v_cmp_lt_u32_e32 vcc, s7, v12
	v_sub_u32_e32 v13, v13, v14
	v_or_b32_sdwa v3, v4, v3 dst_sel:WORD_1 dst_unused:UNUSED_PAD src0_sel:DWORD src1_sel:DWORD
	v_cndmask_b32_e64 v12, 0, 1, vcc
	v_cmp_lt_u32_e32 vcc, s7, v13
	v_add_u32_e32 v14, s9, v32
	v_add_u32_e32 v15, s11, v32
	v_or_b32_sdwa v37, v2, v3 dst_sel:DWORD dst_unused:UNUSED_PAD src0_sel:WORD_0 src1_sel:DWORD
	v_lshlrev_b16_e32 v2, 8, v7
	v_lshlrev_b16_e32 v3, 8, v9
	v_cndmask_b32_e64 v13, 0, 1, vcc
	v_mul_lo_u32 v14, v14, s8
	v_mul_lo_u32 v15, v15, s10
	v_or_b32_e32 v2, v6, v2
	v_or_b32_sdwa v3, v8, v3 dst_sel:WORD_1 dst_unused:UNUSED_PAD src0_sel:DWORD src1_sel:DWORD
	v_sub_u32_e32 v14, v14, v15
	v_or_b32_sdwa v36, v2, v3 dst_sel:DWORD dst_unused:UNUSED_PAD src0_sel:WORD_0 src1_sel:DWORD
	v_lshlrev_b16_e32 v2, 8, v11
	v_lshlrev_b16_e32 v3, 8, v13
	v_cmp_lt_u32_e32 vcc, s7, v14
	v_or_b32_e32 v2, v10, v2
	v_or_b32_sdwa v3, v12, v3 dst_sel:WORD_1 dst_unused:UNUSED_PAD src0_sel:DWORD src1_sel:DWORD
	v_cndmask_b32_e64 v34, 0, 1, vcc
	v_or_b32_sdwa v35, v2, v3 dst_sel:DWORD dst_unused:UNUSED_PAD src0_sel:WORD_0 src1_sel:DWORD
	s_mov_b64 s[2:3], 0
	s_branch .LBB1396_7
.LBB1396_6:
	s_mov_b64 s[2:3], -1
                                        ; implicit-def: $vgpr34
                                        ; implicit-def: $vgpr35
                                        ; implicit-def: $vgpr36
                                        ; implicit-def: $vgpr37
.LBB1396_7:
	s_load_dwordx2 s[24:25], s[4:5], 0x28
	s_load_dwordx2 s[34:35], s[4:5], 0x68
	s_andn2_b64 vcc, exec, s[2:3]
	s_addk_i32 s33, 0xd00
	s_cbranch_vccnz .LBB1396_35
; %bb.8:
	v_cmp_gt_u32_e32 vcc, s33, v33
	v_mov_b32_e32 v3, 0
	v_mov_b32_e32 v2, 0
	s_and_saveexec_b64 s[2:3], vcc
; %bb.9:
	v_add_u32_e32 v2, s9, v30
	v_add_u32_e32 v4, s11, v30
	v_mul_lo_u32 v2, v2, s8
	v_mul_lo_u32 v4, v4, s10
	v_sub_u32_e32 v2, v2, v4
	v_cmp_lt_u32_e32 vcc, s7, v2
	v_cndmask_b32_e64 v2, 0, 1, vcc
; %bb.10:
	s_or_b64 exec, exec, s[2:3]
	v_add_u32_e32 v4, 1, v33
	v_cmp_gt_u32_e32 vcc, s33, v4
	s_and_saveexec_b64 s[2:3], vcc
; %bb.11:
	v_add_u32_e32 v3, s9, v31
	v_add_u32_e32 v4, s11, v31
	v_mul_lo_u32 v3, v3, s8
	v_mul_lo_u32 v4, v4, s10
	v_sub_u32_e32 v3, v3, v4
	v_cmp_lt_u32_e32 vcc, s7, v3
	v_cndmask_b32_e64 v3, 0, 1, vcc
; %bb.12:
	s_or_b64 exec, exec, s[2:3]
	v_add_u32_e32 v4, 2, v33
	v_cmp_gt_u32_e32 vcc, s33, v4
	v_mov_b32_e32 v5, 0
	v_mov_b32_e32 v4, 0
	s_and_saveexec_b64 s[2:3], vcc
; %bb.13:
	v_add_u32_e32 v4, s9, v28
	v_add_u32_e32 v6, s11, v28
	v_mul_lo_u32 v4, v4, s8
	v_mul_lo_u32 v6, v6, s10
	v_sub_u32_e32 v4, v4, v6
	v_cmp_lt_u32_e32 vcc, s7, v4
	v_cndmask_b32_e64 v4, 0, 1, vcc
; %bb.14:
	s_or_b64 exec, exec, s[2:3]
	v_add_u32_e32 v6, 3, v33
	v_cmp_gt_u32_e32 vcc, s33, v6
	s_and_saveexec_b64 s[2:3], vcc
; %bb.15:
	v_add_u32_e32 v5, s9, v29
	v_add_u32_e32 v6, s11, v29
	v_mul_lo_u32 v5, v5, s8
	v_mul_lo_u32 v6, v6, s10
	v_sub_u32_e32 v5, v5, v6
	v_cmp_lt_u32_e32 vcc, s7, v5
	v_cndmask_b32_e64 v5, 0, 1, vcc
; %bb.16:
	s_or_b64 exec, exec, s[2:3]
	v_add_u32_e32 v6, 4, v33
	;; [unrolled: 28-line block ×6, first 2 shown]
	v_cmp_gt_u32_e32 vcc, s33, v14
	v_mov_b32_e32 v34, 0
	s_and_saveexec_b64 s[2:3], vcc
; %bb.33:
	v_add_u32_e32 v14, s9, v32
	v_add_u32_e32 v15, s11, v32
	v_mul_lo_u32 v14, v14, s8
	v_mul_lo_u32 v15, v15, s10
	v_sub_u32_e32 v14, v14, v15
	v_cmp_lt_u32_e32 vcc, s7, v14
	v_cndmask_b32_e64 v34, 0, 1, vcc
; %bb.34:
	s_or_b64 exec, exec, s[2:3]
	v_lshlrev_b16_e32 v3, 8, v3
	v_or_b32_e32 v2, v2, v3
	v_lshlrev_b16_e32 v3, 8, v5
	v_or_b32_sdwa v3, v4, v3 dst_sel:WORD_1 dst_unused:UNUSED_PAD src0_sel:DWORD src1_sel:DWORD
	v_or_b32_sdwa v37, v2, v3 dst_sel:DWORD dst_unused:UNUSED_PAD src0_sel:WORD_0 src1_sel:DWORD
	v_lshlrev_b16_e32 v2, 8, v7
	v_lshlrev_b16_e32 v3, 8, v9
	v_or_b32_e32 v2, v6, v2
	v_or_b32_sdwa v3, v8, v3 dst_sel:WORD_1 dst_unused:UNUSED_PAD src0_sel:DWORD src1_sel:DWORD
	v_or_b32_sdwa v36, v2, v3 dst_sel:DWORD dst_unused:UNUSED_PAD src0_sel:WORD_0 src1_sel:DWORD
	v_lshlrev_b16_e32 v2, 8, v11
	v_lshlrev_b16_e32 v3, 8, v13
	v_or_b32_e32 v2, v10, v2
	v_or_b32_sdwa v3, v12, v3 dst_sel:WORD_1 dst_unused:UNUSED_PAD src0_sel:DWORD src1_sel:DWORD
	v_or_b32_sdwa v35, v2, v3 dst_sel:DWORD dst_unused:UNUSED_PAD src0_sel:WORD_0 src1_sel:DWORD
.LBB1396_35:
	v_and_b32_e32 v41, 0xff, v37
	v_bfe_u32 v42, v37, 8, 8
	v_bfe_u32 v43, v37, 16, 8
	v_lshrrev_b32_e32 v40, 24, v37
	v_and_b32_e32 v44, 0xff, v36
	v_add3_u32 v3, v42, v41, v43
	v_bfe_u32 v45, v36, 8, 8
	v_bfe_u32 v46, v36, 16, 8
	v_add3_u32 v3, v3, v40, v44
	v_lshrrev_b32_e32 v39, 24, v36
	v_and_b32_e32 v47, 0xff, v35
	v_add3_u32 v3, v3, v45, v46
	v_bfe_u32 v48, v35, 8, 8
	v_bfe_u32 v49, v35, 16, 8
	v_add3_u32 v3, v3, v39, v47
	v_lshrrev_b32_e32 v38, 24, v35
	v_and_b32_e32 v2, 0xff, v34
	v_add3_u32 v3, v3, v48, v49
	v_add3_u32 v52, v3, v38, v2
	v_mbcnt_lo_u32_b32 v2, -1, 0
	v_mbcnt_hi_u32_b32 v50, -1, v2
	v_and_b32_e32 v2, 15, v50
	v_cmp_eq_u32_e64 s[14:15], 0, v2
	v_cmp_lt_u32_e64 s[12:13], 1, v2
	v_cmp_lt_u32_e64 s[10:11], 3, v2
	;; [unrolled: 1-line block ×3, first 2 shown]
	v_and_b32_e32 v2, 16, v50
	v_cmp_eq_u32_e64 s[18:19], 0, v2
	v_or_b32_e32 v2, 63, v0
	s_cmp_lg_u32 s6, 0
	v_cmp_lt_u32_e64 s[2:3], 31, v50
	v_lshrrev_b32_e32 v51, 6, v0
	v_cmp_eq_u32_e64 s[4:5], v2, v0
	s_cbranch_scc0 .LBB1396_62
; %bb.36:
	v_mov_b32_dpp v2, v52 row_shr:1 row_mask:0xf bank_mask:0xf
	v_cndmask_b32_e64 v2, v2, 0, s[14:15]
	v_add_u32_e32 v2, v2, v52
	s_nop 1
	v_mov_b32_dpp v3, v2 row_shr:2 row_mask:0xf bank_mask:0xf
	v_cndmask_b32_e64 v3, 0, v3, s[12:13]
	v_add_u32_e32 v2, v2, v3
	s_nop 1
	;; [unrolled: 4-line block ×4, first 2 shown]
	v_mov_b32_dpp v3, v2 row_bcast:15 row_mask:0xf bank_mask:0xf
	v_cndmask_b32_e64 v3, v3, 0, s[18:19]
	v_add_u32_e32 v2, v2, v3
	s_nop 1
	v_mov_b32_dpp v3, v2 row_bcast:31 row_mask:0xf bank_mask:0xf
	v_cndmask_b32_e64 v3, 0, v3, s[2:3]
	v_add_u32_e32 v2, v2, v3
	s_and_saveexec_b64 s[16:17], s[4:5]
	s_cbranch_execz .LBB1396_38
; %bb.37:
	v_lshlrev_b32_e32 v3, 2, v51
	ds_write_b32 v3, v2
.LBB1396_38:
	s_or_b64 exec, exec, s[16:17]
	v_cmp_gt_u32_e32 vcc, 4, v0
	s_waitcnt lgkmcnt(0)
	s_barrier
	s_and_saveexec_b64 s[16:17], vcc
	s_cbranch_execz .LBB1396_40
; %bb.39:
	ds_read_b32 v3, v1
	v_and_b32_e32 v4, 3, v50
	v_cmp_ne_u32_e32 vcc, 0, v4
	s_waitcnt lgkmcnt(0)
	v_mov_b32_dpp v5, v3 row_shr:1 row_mask:0xf bank_mask:0xf
	v_cndmask_b32_e32 v5, 0, v5, vcc
	v_add_u32_e32 v3, v5, v3
	v_cmp_lt_u32_e32 vcc, 1, v4
	s_nop 0
	v_mov_b32_dpp v5, v3 row_shr:2 row_mask:0xf bank_mask:0xf
	v_cndmask_b32_e32 v4, 0, v5, vcc
	v_add_u32_e32 v3, v3, v4
	ds_write_b32 v1, v3
.LBB1396_40:
	s_or_b64 exec, exec, s[16:17]
	v_cmp_gt_u32_e32 vcc, 64, v0
	v_cmp_lt_u32_e64 s[16:17], 63, v0
	s_waitcnt lgkmcnt(0)
	s_barrier
	s_waitcnt lgkmcnt(0)
                                        ; implicit-def: $vgpr12
	s_and_saveexec_b64 s[36:37], s[16:17]
	s_cbranch_execz .LBB1396_42
; %bb.41:
	v_lshl_add_u32 v3, v51, 2, -4
	ds_read_b32 v12, v3
	s_waitcnt lgkmcnt(0)
	v_add_u32_e32 v2, v12, v2
.LBB1396_42:
	s_or_b64 exec, exec, s[36:37]
	v_add_u32_e32 v3, -1, v50
	v_and_b32_e32 v4, 64, v50
	v_cmp_lt_i32_e64 s[16:17], v3, v4
	v_cndmask_b32_e64 v3, v3, v50, s[16:17]
	v_lshlrev_b32_e32 v3, 2, v3
	ds_bpermute_b32 v13, v3, v2
	v_cmp_eq_u32_e64 s[16:17], 0, v50
	s_and_saveexec_b64 s[36:37], vcc
	s_cbranch_execz .LBB1396_61
; %bb.43:
	v_mov_b32_e32 v9, 0
	ds_read_b32 v2, v9 offset:12
	s_and_saveexec_b64 s[38:39], s[16:17]
	s_cbranch_execz .LBB1396_45
; %bb.44:
	s_add_i32 s40, s6, 64
	s_mov_b32 s41, 0
	s_lshl_b64 s[40:41], s[40:41], 3
	s_add_u32 s40, s34, s40
	v_mov_b32_e32 v3, 1
	s_addc_u32 s41, s35, s41
	s_waitcnt lgkmcnt(0)
	global_store_dwordx2 v9, v[2:3], s[40:41]
.LBB1396_45:
	s_or_b64 exec, exec, s[38:39]
	v_xad_u32 v4, v50, -1, s6
	v_add_u32_e32 v8, 64, v4
	v_lshlrev_b64 v[6:7], 3, v[8:9]
	v_mov_b32_e32 v3, s35
	v_add_co_u32_e32 v10, vcc, s34, v6
	v_addc_co_u32_e32 v11, vcc, v3, v7, vcc
	global_load_dwordx2 v[6:7], v[10:11], off glc
	s_waitcnt vmcnt(0)
	v_cmp_eq_u16_sdwa s[40:41], v7, v9 src0_sel:BYTE_0 src1_sel:DWORD
	s_and_saveexec_b64 s[38:39], s[40:41]
	s_cbranch_execz .LBB1396_49
; %bb.46:
	s_mov_b64 s[40:41], 0
	v_mov_b32_e32 v3, 0
.LBB1396_47:                            ; =>This Inner Loop Header: Depth=1
	global_load_dwordx2 v[6:7], v[10:11], off glc
	s_waitcnt vmcnt(0)
	v_cmp_ne_u16_sdwa s[44:45], v7, v3 src0_sel:BYTE_0 src1_sel:DWORD
	s_or_b64 s[40:41], s[44:45], s[40:41]
	s_andn2_b64 exec, exec, s[40:41]
	s_cbranch_execnz .LBB1396_47
; %bb.48:
	s_or_b64 exec, exec, s[40:41]
.LBB1396_49:
	s_or_b64 exec, exec, s[38:39]
	v_and_b32_e32 v14, 63, v50
	v_mov_b32_e32 v3, 2
	v_cmp_ne_u32_e32 vcc, 63, v14
	v_cmp_eq_u16_sdwa s[38:39], v7, v3 src0_sel:BYTE_0 src1_sel:DWORD
	v_lshlrev_b64 v[8:9], v50, -1
	v_addc_co_u32_e32 v11, vcc, 0, v50, vcc
	v_and_b32_e32 v5, s39, v9
	v_lshlrev_b32_e32 v15, 2, v11
	v_or_b32_e32 v5, 0x80000000, v5
	ds_bpermute_b32 v11, v15, v6
	v_and_b32_e32 v10, s38, v8
	v_ffbl_b32_e32 v5, v5
	v_add_u32_e32 v5, 32, v5
	v_ffbl_b32_e32 v10, v10
	v_min_u32_e32 v5, v10, v5
	v_cmp_lt_u32_e32 vcc, v14, v5
	s_waitcnt lgkmcnt(0)
	v_cndmask_b32_e32 v10, 0, v11, vcc
	v_cmp_gt_u32_e32 vcc, 62, v14
	v_add_u32_e32 v6, v10, v6
	v_cndmask_b32_e64 v10, 0, 1, vcc
	v_lshlrev_b32_e32 v10, 1, v10
	v_add_lshl_u32 v16, v10, v50, 2
	ds_bpermute_b32 v10, v16, v6
	v_add_u32_e32 v17, 2, v14
	v_cmp_le_u32_e32 vcc, v17, v5
	v_add_u32_e32 v19, 4, v14
	v_add_u32_e32 v54, 8, v14
	s_waitcnt lgkmcnt(0)
	v_cndmask_b32_e32 v10, 0, v10, vcc
	v_cmp_gt_u32_e32 vcc, 60, v14
	v_add_u32_e32 v6, v6, v10
	v_cndmask_b32_e64 v10, 0, 1, vcc
	v_lshlrev_b32_e32 v10, 2, v10
	v_add_lshl_u32 v18, v10, v50, 2
	ds_bpermute_b32 v10, v18, v6
	v_cmp_le_u32_e32 vcc, v19, v5
	v_add_u32_e32 v57, 16, v14
	v_add_u32_e32 v59, 32, v14
	s_waitcnt lgkmcnt(0)
	v_cndmask_b32_e32 v10, 0, v10, vcc
	v_cmp_gt_u32_e32 vcc, 56, v14
	v_add_u32_e32 v6, v6, v10
	v_cndmask_b32_e64 v10, 0, 1, vcc
	v_lshlrev_b32_e32 v10, 3, v10
	v_add_lshl_u32 v53, v10, v50, 2
	ds_bpermute_b32 v10, v53, v6
	v_cmp_le_u32_e32 vcc, v54, v5
	s_waitcnt lgkmcnt(0)
	v_cndmask_b32_e32 v10, 0, v10, vcc
	v_cmp_gt_u32_e32 vcc, 48, v14
	v_add_u32_e32 v6, v6, v10
	v_cndmask_b32_e64 v10, 0, 1, vcc
	v_lshlrev_b32_e32 v10, 4, v10
	v_add_lshl_u32 v56, v10, v50, 2
	ds_bpermute_b32 v10, v56, v6
	v_cmp_le_u32_e32 vcc, v57, v5
	;; [unrolled: 9-line block ×3, first 2 shown]
	s_waitcnt lgkmcnt(0)
	v_cndmask_b32_e32 v5, 0, v10, vcc
	v_add_u32_e32 v6, v6, v5
	v_mov_b32_e32 v5, 0
	s_branch .LBB1396_51
.LBB1396_50:                            ;   in Loop: Header=BB1396_51 Depth=1
	s_or_b64 exec, exec, s[38:39]
	v_cmp_eq_u16_sdwa s[38:39], v7, v3 src0_sel:BYTE_0 src1_sel:DWORD
	v_and_b32_e32 v10, s39, v9
	v_or_b32_e32 v10, 0x80000000, v10
	ds_bpermute_b32 v60, v15, v6
	v_and_b32_e32 v11, s38, v8
	v_ffbl_b32_e32 v10, v10
	v_add_u32_e32 v10, 32, v10
	v_ffbl_b32_e32 v11, v11
	v_min_u32_e32 v10, v11, v10
	v_cmp_lt_u32_e32 vcc, v14, v10
	s_waitcnt lgkmcnt(0)
	v_cndmask_b32_e32 v11, 0, v60, vcc
	v_add_u32_e32 v6, v11, v6
	ds_bpermute_b32 v11, v16, v6
	v_cmp_le_u32_e32 vcc, v17, v10
	v_subrev_u32_e32 v4, 64, v4
	s_waitcnt lgkmcnt(0)
	v_cndmask_b32_e32 v11, 0, v11, vcc
	v_add_u32_e32 v6, v6, v11
	ds_bpermute_b32 v11, v18, v6
	v_cmp_le_u32_e32 vcc, v19, v10
	s_waitcnt lgkmcnt(0)
	v_cndmask_b32_e32 v11, 0, v11, vcc
	v_add_u32_e32 v6, v6, v11
	ds_bpermute_b32 v11, v53, v6
	v_cmp_le_u32_e32 vcc, v54, v10
	s_waitcnt lgkmcnt(0)
	v_cndmask_b32_e32 v11, 0, v11, vcc
	v_add_u32_e32 v6, v6, v11
	ds_bpermute_b32 v11, v56, v6
	v_cmp_le_u32_e32 vcc, v57, v10
	s_waitcnt lgkmcnt(0)
	v_cndmask_b32_e32 v11, 0, v11, vcc
	v_add_u32_e32 v6, v6, v11
	ds_bpermute_b32 v11, v58, v6
	v_cmp_le_u32_e32 vcc, v59, v10
	s_waitcnt lgkmcnt(0)
	v_cndmask_b32_e32 v10, 0, v11, vcc
	v_add3_u32 v6, v10, v55, v6
.LBB1396_51:                            ; =>This Loop Header: Depth=1
                                        ;     Child Loop BB1396_54 Depth 2
	v_cmp_ne_u16_sdwa s[38:39], v7, v3 src0_sel:BYTE_0 src1_sel:DWORD
	v_cndmask_b32_e64 v7, 0, 1, s[38:39]
	;;#ASMSTART
	;;#ASMEND
	v_cmp_ne_u32_e32 vcc, 0, v7
	s_cmp_lg_u64 vcc, exec
	v_mov_b32_e32 v55, v6
	s_cbranch_scc1 .LBB1396_56
; %bb.52:                               ;   in Loop: Header=BB1396_51 Depth=1
	v_lshlrev_b64 v[6:7], 3, v[4:5]
	v_mov_b32_e32 v11, s35
	v_add_co_u32_e32 v10, vcc, s34, v6
	v_addc_co_u32_e32 v11, vcc, v11, v7, vcc
	global_load_dwordx2 v[6:7], v[10:11], off glc
	s_waitcnt vmcnt(0)
	v_cmp_eq_u16_sdwa s[40:41], v7, v5 src0_sel:BYTE_0 src1_sel:DWORD
	s_and_saveexec_b64 s[38:39], s[40:41]
	s_cbranch_execz .LBB1396_50
; %bb.53:                               ;   in Loop: Header=BB1396_51 Depth=1
	s_mov_b64 s[40:41], 0
.LBB1396_54:                            ;   Parent Loop BB1396_51 Depth=1
                                        ; =>  This Inner Loop Header: Depth=2
	global_load_dwordx2 v[6:7], v[10:11], off glc
	s_waitcnt vmcnt(0)
	v_cmp_ne_u16_sdwa s[44:45], v7, v5 src0_sel:BYTE_0 src1_sel:DWORD
	s_or_b64 s[40:41], s[44:45], s[40:41]
	s_andn2_b64 exec, exec, s[40:41]
	s_cbranch_execnz .LBB1396_54
; %bb.55:                               ;   in Loop: Header=BB1396_51 Depth=1
	s_or_b64 exec, exec, s[40:41]
	s_branch .LBB1396_50
.LBB1396_56:                            ;   in Loop: Header=BB1396_51 Depth=1
                                        ; implicit-def: $vgpr6
                                        ; implicit-def: $vgpr7
	s_cbranch_execz .LBB1396_51
; %bb.57:
	s_and_saveexec_b64 s[38:39], s[16:17]
	s_cbranch_execz .LBB1396_59
; %bb.58:
	s_add_i32 s6, s6, 64
	s_mov_b32 s7, 0
	s_lshl_b64 s[6:7], s[6:7], 3
	s_add_u32 s6, s34, s6
	v_add_u32_e32 v4, v55, v2
	v_mov_b32_e32 v5, 2
	s_addc_u32 s7, s35, s7
	v_mov_b32_e32 v3, 0
	global_store_dwordx2 v3, v[4:5], s[6:7]
	s_movk_i32 s6, 0x3400
	v_add_u32_e64 v3, s6, 0
	ds_write2_b32 v3, v2, v55 offset1:2
.LBB1396_59:
	s_or_b64 exec, exec, s[38:39]
	v_cmp_eq_u32_e32 vcc, 0, v0
	s_and_b64 exec, exec, vcc
	s_cbranch_execz .LBB1396_61
; %bb.60:
	v_mov_b32_e32 v2, 0
	ds_write_b32 v2, v55 offset:12
.LBB1396_61:
	s_or_b64 exec, exec, s[36:37]
	v_mov_b32_e32 v2, 0
	s_waitcnt lgkmcnt(0)
	s_barrier
	ds_read_b32 v2, v2 offset:12
	v_cndmask_b32_e64 v3, v13, v12, s[16:17]
	v_cmp_ne_u32_e32 vcc, 0, v0
	v_cndmask_b32_e32 v3, 0, v3, vcc
	s_movk_i32 s6, 0x3400
	s_waitcnt lgkmcnt(0)
	v_add_u32_e32 v2, v2, v3
	v_add_u32_e32 v3, v2, v41
	;; [unrolled: 1-line block ×8, first 2 shown]
	v_add_u32_e64 v12, s6, 0
	v_add_u32_e32 v10, v9, v39
	s_barrier
	ds_read2_b32 v[18:19], v12 offset1:2
	v_add_u32_e32 v11, v10, v47
	v_add_u32_e32 v12, v11, v48
	;; [unrolled: 1-line block ×4, first 2 shown]
	s_branch .LBB1396_72
.LBB1396_62:
                                        ; implicit-def: $vgpr19
                                        ; implicit-def: $vgpr2_vgpr3_vgpr4_vgpr5_vgpr6_vgpr7_vgpr8_vgpr9_vgpr10_vgpr11_vgpr12_vgpr13_vgpr14_vgpr15_vgpr16_vgpr17
	s_cbranch_execz .LBB1396_72
; %bb.63:
	s_nop 0
	v_mov_b32_dpp v2, v52 row_shr:1 row_mask:0xf bank_mask:0xf
	v_cndmask_b32_e64 v2, v2, 0, s[14:15]
	v_add_u32_e32 v2, v2, v52
	s_nop 1
	v_mov_b32_dpp v3, v2 row_shr:2 row_mask:0xf bank_mask:0xf
	v_cndmask_b32_e64 v3, 0, v3, s[12:13]
	v_add_u32_e32 v2, v2, v3
	s_nop 1
	v_mov_b32_dpp v3, v2 row_shr:4 row_mask:0xf bank_mask:0xf
	v_cndmask_b32_e64 v3, 0, v3, s[10:11]
	v_add_u32_e32 v2, v2, v3
	s_nop 1
	v_mov_b32_dpp v3, v2 row_shr:8 row_mask:0xf bank_mask:0xf
	v_cndmask_b32_e64 v3, 0, v3, s[8:9]
	v_add_u32_e32 v2, v2, v3
	s_nop 1
	v_mov_b32_dpp v3, v2 row_bcast:15 row_mask:0xf bank_mask:0xf
	v_cndmask_b32_e64 v3, v3, 0, s[18:19]
	v_add_u32_e32 v2, v2, v3
	s_nop 1
	v_mov_b32_dpp v3, v2 row_bcast:31 row_mask:0xf bank_mask:0xf
	v_cndmask_b32_e64 v3, 0, v3, s[2:3]
	v_add_u32_e32 v2, v2, v3
	s_and_saveexec_b64 s[2:3], s[4:5]
	s_cbranch_execz .LBB1396_65
; %bb.64:
	v_lshlrev_b32_e32 v3, 2, v51
	ds_write_b32 v3, v2
.LBB1396_65:
	s_or_b64 exec, exec, s[2:3]
	v_cmp_gt_u32_e32 vcc, 4, v0
	s_waitcnt lgkmcnt(0)
	s_barrier
	s_and_saveexec_b64 s[2:3], vcc
	s_cbranch_execz .LBB1396_67
; %bb.66:
	ds_read_b32 v3, v1
	v_and_b32_e32 v4, 3, v50
	v_cmp_ne_u32_e32 vcc, 0, v4
	s_waitcnt lgkmcnt(0)
	v_mov_b32_dpp v5, v3 row_shr:1 row_mask:0xf bank_mask:0xf
	v_cndmask_b32_e32 v5, 0, v5, vcc
	v_add_u32_e32 v3, v5, v3
	v_cmp_lt_u32_e32 vcc, 1, v4
	s_nop 0
	v_mov_b32_dpp v5, v3 row_shr:2 row_mask:0xf bank_mask:0xf
	v_cndmask_b32_e32 v4, 0, v5, vcc
	v_add_u32_e32 v3, v3, v4
	ds_write_b32 v1, v3
.LBB1396_67:
	s_or_b64 exec, exec, s[2:3]
	v_cmp_lt_u32_e32 vcc, 63, v0
	v_mov_b32_e32 v4, 0
	v_mov_b32_e32 v3, 0
	s_waitcnt lgkmcnt(0)
	s_barrier
	s_and_saveexec_b64 s[2:3], vcc
	s_cbranch_execz .LBB1396_69
; %bb.68:
	v_lshl_add_u32 v3, v51, 2, -4
	ds_read_b32 v3, v3
.LBB1396_69:
	s_or_b64 exec, exec, s[2:3]
	v_add_u32_e32 v5, -1, v50
	v_and_b32_e32 v6, 64, v50
	v_cmp_lt_i32_e32 vcc, v5, v6
	v_cndmask_b32_e32 v5, v5, v50, vcc
	s_waitcnt lgkmcnt(0)
	v_add_u32_e32 v2, v3, v2
	v_lshlrev_b32_e32 v5, 2, v5
	ds_bpermute_b32 v2, v5, v2
	ds_read_b32 v18, v4 offset:12
	v_cmp_eq_u32_e32 vcc, 0, v0
	s_and_saveexec_b64 s[2:3], vcc
	s_cbranch_execz .LBB1396_71
; %bb.70:
	v_mov_b32_e32 v4, 0
	v_mov_b32_e32 v19, 2
	s_waitcnt lgkmcnt(0)
	global_store_dwordx2 v4, v[18:19], s[34:35] offset:512
.LBB1396_71:
	s_or_b64 exec, exec, s[2:3]
	v_cmp_eq_u32_e64 s[2:3], 0, v50
	s_waitcnt lgkmcnt(1)
	v_cndmask_b32_e64 v2, v2, v3, s[2:3]
	v_cndmask_b32_e64 v2, v2, 0, vcc
	v_add_u32_e32 v3, v2, v41
	v_add_u32_e32 v4, v3, v42
	v_add_u32_e32 v5, v4, v43
	v_add_u32_e32 v6, v5, v40
	v_add_u32_e32 v7, v6, v44
	v_add_u32_e32 v8, v7, v45
	v_add_u32_e32 v9, v8, v46
	v_add_u32_e32 v10, v9, v39
	v_add_u32_e32 v11, v10, v47
	v_add_u32_e32 v12, v11, v48
	v_add_u32_e32 v13, v12, v49
	v_mov_b32_e32 v19, 0
	v_add_u32_e32 v14, v13, v38
	s_waitcnt lgkmcnt(0)
	s_barrier
.LBB1396_72:
	s_waitcnt lgkmcnt(0)
	v_add_u32_e32 v33, v18, v33
	v_sub_u32_e32 v2, v2, v19
	v_and_b32_e32 v42, 1, v37
	v_sub_u32_e32 v41, v33, v2
	v_cmp_eq_u32_e32 vcc, 1, v42
	v_cndmask_b32_e32 v2, v41, v2, vcc
	v_lshlrev_b32_e32 v2, 2, v2
	v_lshrrev_b32_e32 v17, 8, v37
	ds_write_b32 v2, v30
	v_sub_u32_e32 v2, v3, v19
	v_sub_u32_e32 v3, v33, v2
	v_and_b32_e32 v17, 1, v17
	v_add_u32_e32 v3, 1, v3
	v_cmp_eq_u32_e32 vcc, 1, v17
	v_cndmask_b32_e32 v2, v3, v2, vcc
	v_lshlrev_b32_e32 v2, 2, v2
	ds_write_b32 v2, v31
	v_sub_u32_e32 v2, v4, v19
	v_mov_b32_e32 v4, 1
	v_sub_u32_e32 v3, v33, v2
	v_and_b32_sdwa v17, v4, v37 dst_sel:DWORD dst_unused:UNUSED_PAD src0_sel:DWORD src1_sel:WORD_1
	v_add_u32_e32 v3, 2, v3
	v_cmp_eq_u32_e32 vcc, 1, v17
	v_cndmask_b32_e32 v2, v3, v2, vcc
	v_lshlrev_b32_e32 v2, 2, v2
	ds_write_b32 v2, v28
	v_sub_u32_e32 v2, v5, v19
	v_sub_u32_e32 v3, v33, v2
	v_and_b32_e32 v5, 1, v40
	v_add_u32_e32 v3, 3, v3
	v_cmp_eq_u32_e32 vcc, 1, v5
	v_cndmask_b32_e32 v2, v3, v2, vcc
	v_lshlrev_b32_e32 v2, 2, v2
	ds_write_b32 v2, v29
	v_sub_u32_e32 v2, v6, v19
	v_sub_u32_e32 v3, v33, v2
	v_and_b32_e32 v5, 1, v36
	v_add_u32_e32 v3, 4, v3
	v_cmp_eq_u32_e32 vcc, 1, v5
	v_cndmask_b32_e32 v2, v3, v2, vcc
	v_lshlrev_b32_e32 v2, 2, v2
	v_lshrrev_b32_e32 v16, 8, v36
	ds_write_b32 v2, v26
	v_sub_u32_e32 v2, v7, v19
	v_sub_u32_e32 v3, v33, v2
	v_and_b32_e32 v5, 1, v16
	v_add_u32_e32 v3, 5, v3
	v_cmp_eq_u32_e32 vcc, 1, v5
	v_cndmask_b32_e32 v2, v3, v2, vcc
	v_lshlrev_b32_e32 v2, 2, v2
	ds_write_b32 v2, v27
	v_sub_u32_e32 v2, v8, v19
	v_sub_u32_e32 v3, v33, v2
	v_and_b32_sdwa v5, v4, v36 dst_sel:DWORD dst_unused:UNUSED_PAD src0_sel:DWORD src1_sel:WORD_1
	v_add_u32_e32 v3, 6, v3
	v_cmp_eq_u32_e32 vcc, 1, v5
	v_cndmask_b32_e32 v2, v3, v2, vcc
	v_lshlrev_b32_e32 v2, 2, v2
	ds_write_b32 v2, v24
	v_sub_u32_e32 v2, v9, v19
	v_sub_u32_e32 v3, v33, v2
	v_and_b32_e32 v5, 1, v39
	v_add_u32_e32 v3, 7, v3
	v_cmp_eq_u32_e32 vcc, 1, v5
	v_cndmask_b32_e32 v2, v3, v2, vcc
	v_lshlrev_b32_e32 v2, 2, v2
	ds_write_b32 v2, v25
	v_sub_u32_e32 v2, v10, v19
	v_sub_u32_e32 v3, v33, v2
	v_and_b32_e32 v5, 1, v35
	v_add_u32_e32 v3, 8, v3
	v_cmp_eq_u32_e32 vcc, 1, v5
	v_cndmask_b32_e32 v2, v3, v2, vcc
	v_lshlrev_b32_e32 v2, 2, v2
	v_lshrrev_b32_e32 v15, 8, v35
	ds_write_b32 v2, v22
	v_sub_u32_e32 v2, v11, v19
	v_sub_u32_e32 v3, v33, v2
	v_and_b32_e32 v5, 1, v15
	v_add_u32_e32 v3, 9, v3
	v_cmp_eq_u32_e32 vcc, 1, v5
	v_cndmask_b32_e32 v2, v3, v2, vcc
	v_lshlrev_b32_e32 v2, 2, v2
	ds_write_b32 v2, v23
	v_sub_u32_e32 v2, v12, v19
	v_sub_u32_e32 v3, v33, v2
	v_and_b32_sdwa v4, v4, v35 dst_sel:DWORD dst_unused:UNUSED_PAD src0_sel:DWORD src1_sel:WORD_1
	v_add_u32_e32 v3, 10, v3
	v_cmp_eq_u32_e32 vcc, 1, v4
	v_cndmask_b32_e32 v2, v3, v2, vcc
	v_lshlrev_b32_e32 v2, 2, v2
	ds_write_b32 v2, v20
	v_sub_u32_e32 v2, v13, v19
	v_sub_u32_e32 v3, v33, v2
	v_and_b32_e32 v4, 1, v38
	v_add_u32_e32 v3, 11, v3
	v_cmp_eq_u32_e32 vcc, 1, v4
	v_cndmask_b32_e32 v2, v3, v2, vcc
	v_lshlrev_b32_e32 v2, 2, v2
	ds_write_b32 v2, v21
	v_sub_u32_e32 v2, v14, v19
	v_sub_u32_e32 v3, v33, v2
	v_and_b32_e32 v4, 1, v34
	v_add_u32_e32 v3, 12, v3
	v_cmp_eq_u32_e32 vcc, 1, v4
	v_cndmask_b32_e32 v2, v3, v2, vcc
	s_add_u32 s2, s28, s42
	v_lshlrev_b32_e32 v2, 2, v2
	s_addc_u32 s3, s29, 0
	ds_write_b32 v2, v32
	s_waitcnt lgkmcnt(0)
	s_barrier
	ds_read2st64_b32 v[12:13], v1 offset1:4
	ds_read2st64_b32 v[10:11], v1 offset0:8 offset1:12
	ds_read2st64_b32 v[8:9], v1 offset0:16 offset1:20
	;; [unrolled: 1-line block ×5, first 2 shown]
	ds_read_b32 v17, v1 offset:12288
	v_mov_b32_e32 v14, s31
	v_add_co_u32_e32 v1, vcc, s30, v19
	s_sub_u32 s2, s26, s2
	v_addc_co_u32_e32 v16, vcc, 0, v14, vcc
	s_subb_u32 s3, s27, s3
	v_mov_b32_e32 v14, s3
	v_add_co_u32_e32 v15, vcc, s2, v18
	v_addc_co_u32_e32 v14, vcc, 0, v14, vcc
	s_and_b64 vcc, exec, s[0:1]
	v_add_co_u32_e64 v19, s[0:1], v15, v1
	v_or_b32_e32 v32, 0x100, v0
	v_or_b32_e32 v31, 0x200, v0
	;; [unrolled: 1-line block ×12, first 2 shown]
	v_addc_co_u32_e64 v21, s[0:1], v14, v16, s[0:1]
	s_cbranch_vccnz .LBB1396_126
; %bb.73:
	v_cmp_ge_u32_e32 vcc, v0, v18
                                        ; implicit-def: $vgpr14_vgpr15
	s_and_saveexec_b64 s[0:1], vcc
	s_xor_b64 s[0:1], exec, s[0:1]
; %bb.74:
	v_not_b32_e32 v14, v0
	v_ashrrev_i32_e32 v15, 31, v14
	v_add_co_u32_e32 v14, vcc, v19, v14
	v_addc_co_u32_e32 v15, vcc, v21, v15, vcc
; %bb.75:
	s_andn2_saveexec_b64 s[0:1], s[0:1]
; %bb.76:
	v_add_co_u32_e32 v14, vcc, v1, v0
	v_addc_co_u32_e32 v15, vcc, 0, v16, vcc
; %bb.77:
	s_or_b64 exec, exec, s[0:1]
	v_lshlrev_b64 v[14:15], 2, v[14:15]
	v_mov_b32_e32 v33, s25
	v_add_co_u32_e32 v14, vcc, s24, v14
	v_addc_co_u32_e32 v15, vcc, v33, v15, vcc
	v_cmp_ge_u32_e32 vcc, v32, v18
	s_waitcnt lgkmcnt(6)
	global_store_dword v[14:15], v12, off
                                        ; implicit-def: $vgpr14_vgpr15
	s_and_saveexec_b64 s[0:1], vcc
	s_xor_b64 s[0:1], exec, s[0:1]
; %bb.78:
	v_xor_b32_e32 v14, 0xfffffeff, v0
	v_ashrrev_i32_e32 v15, 31, v14
	v_add_co_u32_e32 v14, vcc, v19, v14
	v_addc_co_u32_e32 v15, vcc, v21, v15, vcc
; %bb.79:
	s_andn2_saveexec_b64 s[0:1], s[0:1]
; %bb.80:
	v_add_co_u32_e32 v14, vcc, v1, v32
	v_addc_co_u32_e32 v15, vcc, 0, v16, vcc
; %bb.81:
	s_or_b64 exec, exec, s[0:1]
	v_lshlrev_b64 v[14:15], 2, v[14:15]
	v_mov_b32_e32 v33, s25
	v_add_co_u32_e32 v14, vcc, s24, v14
	v_addc_co_u32_e32 v15, vcc, v33, v15, vcc
	v_cmp_ge_u32_e32 vcc, v31, v18
	global_store_dword v[14:15], v13, off
                                        ; implicit-def: $vgpr14_vgpr15
	s_and_saveexec_b64 s[0:1], vcc
	s_xor_b64 s[0:1], exec, s[0:1]
; %bb.82:
	v_xor_b32_e32 v14, 0xfffffdff, v0
	v_ashrrev_i32_e32 v15, 31, v14
	v_add_co_u32_e32 v14, vcc, v19, v14
	v_addc_co_u32_e32 v15, vcc, v21, v15, vcc
; %bb.83:
	s_andn2_saveexec_b64 s[0:1], s[0:1]
; %bb.84:
	v_add_co_u32_e32 v14, vcc, v1, v31
	v_addc_co_u32_e32 v15, vcc, 0, v16, vcc
; %bb.85:
	s_or_b64 exec, exec, s[0:1]
	v_lshlrev_b64 v[14:15], 2, v[14:15]
	v_mov_b32_e32 v33, s25
	v_add_co_u32_e32 v14, vcc, s24, v14
	v_addc_co_u32_e32 v15, vcc, v33, v15, vcc
	v_cmp_ge_u32_e32 vcc, v30, v18
	s_waitcnt lgkmcnt(5)
	global_store_dword v[14:15], v10, off
                                        ; implicit-def: $vgpr14_vgpr15
	s_and_saveexec_b64 s[0:1], vcc
	s_xor_b64 s[0:1], exec, s[0:1]
; %bb.86:
	v_xor_b32_e32 v14, 0xfffffcff, v0
	v_ashrrev_i32_e32 v15, 31, v14
	v_add_co_u32_e32 v14, vcc, v19, v14
	v_addc_co_u32_e32 v15, vcc, v21, v15, vcc
; %bb.87:
	s_andn2_saveexec_b64 s[0:1], s[0:1]
; %bb.88:
	v_add_co_u32_e32 v14, vcc, v1, v30
	v_addc_co_u32_e32 v15, vcc, 0, v16, vcc
; %bb.89:
	s_or_b64 exec, exec, s[0:1]
	v_lshlrev_b64 v[14:15], 2, v[14:15]
	v_mov_b32_e32 v33, s25
	v_add_co_u32_e32 v14, vcc, s24, v14
	v_addc_co_u32_e32 v15, vcc, v33, v15, vcc
	v_cmp_ge_u32_e32 vcc, v29, v18
	global_store_dword v[14:15], v11, off
                                        ; implicit-def: $vgpr14_vgpr15
	s_and_saveexec_b64 s[0:1], vcc
	s_xor_b64 s[0:1], exec, s[0:1]
; %bb.90:
	v_xor_b32_e32 v14, 0xfffffbff, v0
	;; [unrolled: 43-line block ×6, first 2 shown]
	v_ashrrev_i32_e32 v15, 31, v14
	v_add_co_u32_e32 v14, vcc, v19, v14
	v_addc_co_u32_e32 v15, vcc, v21, v15, vcc
; %bb.123:
	s_andn2_saveexec_b64 s[0:1], s[0:1]
; %bb.124:
	v_add_co_u32_e32 v14, vcc, v1, v20
	v_addc_co_u32_e32 v15, vcc, 0, v16, vcc
; %bb.125:
	s_or_b64 exec, exec, s[0:1]
	s_mov_b64 s[0:1], -1
	s_branch .LBB1396_206
.LBB1396_126:
	s_mov_b64 s[0:1], 0
                                        ; implicit-def: $vgpr14_vgpr15
	s_cbranch_execz .LBB1396_206
; %bb.127:
	v_cmp_gt_u32_e32 vcc, s33, v0
	s_and_saveexec_b64 s[2:3], vcc
	s_cbranch_execz .LBB1396_163
; %bb.128:
	v_cmp_ge_u32_e32 vcc, v0, v18
                                        ; implicit-def: $vgpr14_vgpr15
	s_and_saveexec_b64 s[4:5], vcc
	s_xor_b64 s[4:5], exec, s[4:5]
; %bb.129:
	v_not_b32_e32 v14, v0
	v_ashrrev_i32_e32 v15, 31, v14
	v_add_co_u32_e32 v14, vcc, v19, v14
	v_addc_co_u32_e32 v15, vcc, v21, v15, vcc
; %bb.130:
	s_andn2_saveexec_b64 s[4:5], s[4:5]
; %bb.131:
	v_add_co_u32_e32 v14, vcc, v1, v0
	v_addc_co_u32_e32 v15, vcc, 0, v16, vcc
; %bb.132:
	s_or_b64 exec, exec, s[4:5]
	v_lshlrev_b64 v[14:15], 2, v[14:15]
	v_mov_b32_e32 v33, s25
	v_add_co_u32_e32 v14, vcc, s24, v14
	v_addc_co_u32_e32 v15, vcc, v33, v15, vcc
	s_waitcnt lgkmcnt(6)
	global_store_dword v[14:15], v12, off
	s_or_b64 exec, exec, s[2:3]
	v_cmp_gt_u32_e32 vcc, s33, v32
	s_and_saveexec_b64 s[2:3], vcc
	s_cbranch_execnz .LBB1396_164
.LBB1396_133:
	s_or_b64 exec, exec, s[2:3]
	v_cmp_gt_u32_e32 vcc, s33, v31
	s_and_saveexec_b64 s[2:3], vcc
	s_cbranch_execz .LBB1396_169
.LBB1396_134:
	v_cmp_ge_u32_e32 vcc, v31, v18
                                        ; implicit-def: $vgpr12_vgpr13
	s_and_saveexec_b64 s[4:5], vcc
	s_xor_b64 s[4:5], exec, s[4:5]
	s_cbranch_execz .LBB1396_136
; %bb.135:
	s_waitcnt lgkmcnt(6)
	v_xor_b32_e32 v12, 0xfffffdff, v0
	v_ashrrev_i32_e32 v13, 31, v12
	v_add_co_u32_e32 v12, vcc, v19, v12
	v_addc_co_u32_e32 v13, vcc, v21, v13, vcc
                                        ; implicit-def: $vgpr31
.LBB1396_136:
	s_andn2_saveexec_b64 s[4:5], s[4:5]
	s_cbranch_execz .LBB1396_138
; %bb.137:
	s_waitcnt lgkmcnt(6)
	v_add_co_u32_e32 v12, vcc, v1, v31
	v_addc_co_u32_e32 v13, vcc, 0, v16, vcc
.LBB1396_138:
	s_or_b64 exec, exec, s[4:5]
	s_waitcnt lgkmcnt(6)
	v_lshlrev_b64 v[12:13], 2, v[12:13]
	v_mov_b32_e32 v14, s25
	v_add_co_u32_e32 v12, vcc, s24, v12
	v_addc_co_u32_e32 v13, vcc, v14, v13, vcc
	s_waitcnt lgkmcnt(5)
	global_store_dword v[12:13], v10, off
	s_or_b64 exec, exec, s[2:3]
	v_cmp_gt_u32_e32 vcc, s33, v30
	s_and_saveexec_b64 s[2:3], vcc
	s_cbranch_execnz .LBB1396_170
.LBB1396_139:
	s_or_b64 exec, exec, s[2:3]
	v_cmp_gt_u32_e32 vcc, s33, v29
	s_and_saveexec_b64 s[2:3], vcc
	s_cbranch_execz .LBB1396_175
.LBB1396_140:
	v_cmp_ge_u32_e32 vcc, v29, v18
                                        ; implicit-def: $vgpr10_vgpr11
	s_and_saveexec_b64 s[4:5], vcc
	s_xor_b64 s[4:5], exec, s[4:5]
	s_cbranch_execz .LBB1396_142
; %bb.141:
	s_waitcnt lgkmcnt(5)
	v_xor_b32_e32 v10, 0xfffffbff, v0
	v_ashrrev_i32_e32 v11, 31, v10
	v_add_co_u32_e32 v10, vcc, v19, v10
	v_addc_co_u32_e32 v11, vcc, v21, v11, vcc
                                        ; implicit-def: $vgpr29
.LBB1396_142:
	s_andn2_saveexec_b64 s[4:5], s[4:5]
	s_cbranch_execz .LBB1396_144
; %bb.143:
	s_waitcnt lgkmcnt(5)
	v_add_co_u32_e32 v10, vcc, v1, v29
	v_addc_co_u32_e32 v11, vcc, 0, v16, vcc
.LBB1396_144:
	s_or_b64 exec, exec, s[4:5]
	s_waitcnt lgkmcnt(5)
	v_lshlrev_b64 v[10:11], 2, v[10:11]
	v_mov_b32_e32 v12, s25
	v_add_co_u32_e32 v10, vcc, s24, v10
	v_addc_co_u32_e32 v11, vcc, v12, v11, vcc
	s_waitcnt lgkmcnt(4)
	global_store_dword v[10:11], v8, off
	s_or_b64 exec, exec, s[2:3]
	v_cmp_gt_u32_e32 vcc, s33, v28
	s_and_saveexec_b64 s[2:3], vcc
	s_cbranch_execnz .LBB1396_176
.LBB1396_145:
	s_or_b64 exec, exec, s[2:3]
	v_cmp_gt_u32_e32 vcc, s33, v27
	s_and_saveexec_b64 s[2:3], vcc
	s_cbranch_execz .LBB1396_181
.LBB1396_146:
	v_cmp_ge_u32_e32 vcc, v27, v18
                                        ; implicit-def: $vgpr8_vgpr9
	s_and_saveexec_b64 s[4:5], vcc
	s_xor_b64 s[4:5], exec, s[4:5]
	s_cbranch_execz .LBB1396_148
; %bb.147:
	s_waitcnt lgkmcnt(4)
	v_xor_b32_e32 v8, 0xfffff9ff, v0
	v_ashrrev_i32_e32 v9, 31, v8
	v_add_co_u32_e32 v8, vcc, v19, v8
	v_addc_co_u32_e32 v9, vcc, v21, v9, vcc
                                        ; implicit-def: $vgpr27
.LBB1396_148:
	s_andn2_saveexec_b64 s[4:5], s[4:5]
	s_cbranch_execz .LBB1396_150
; %bb.149:
	s_waitcnt lgkmcnt(4)
	v_add_co_u32_e32 v8, vcc, v1, v27
	v_addc_co_u32_e32 v9, vcc, 0, v16, vcc
.LBB1396_150:
	s_or_b64 exec, exec, s[4:5]
	s_waitcnt lgkmcnt(4)
	v_lshlrev_b64 v[8:9], 2, v[8:9]
	v_mov_b32_e32 v10, s25
	v_add_co_u32_e32 v8, vcc, s24, v8
	v_addc_co_u32_e32 v9, vcc, v10, v9, vcc
	s_waitcnt lgkmcnt(3)
	global_store_dword v[8:9], v6, off
	s_or_b64 exec, exec, s[2:3]
	v_cmp_gt_u32_e32 vcc, s33, v26
	s_and_saveexec_b64 s[2:3], vcc
	s_cbranch_execnz .LBB1396_182
.LBB1396_151:
	s_or_b64 exec, exec, s[2:3]
	v_cmp_gt_u32_e32 vcc, s33, v25
	s_and_saveexec_b64 s[2:3], vcc
	s_cbranch_execz .LBB1396_187
.LBB1396_152:
	v_cmp_ge_u32_e32 vcc, v25, v18
                                        ; implicit-def: $vgpr6_vgpr7
	s_and_saveexec_b64 s[4:5], vcc
	s_xor_b64 s[4:5], exec, s[4:5]
	s_cbranch_execz .LBB1396_154
; %bb.153:
	s_waitcnt lgkmcnt(3)
	v_xor_b32_e32 v6, 0xfffff7ff, v0
	v_ashrrev_i32_e32 v7, 31, v6
	v_add_co_u32_e32 v6, vcc, v19, v6
	v_addc_co_u32_e32 v7, vcc, v21, v7, vcc
                                        ; implicit-def: $vgpr25
.LBB1396_154:
	s_andn2_saveexec_b64 s[4:5], s[4:5]
	s_cbranch_execz .LBB1396_156
; %bb.155:
	s_waitcnt lgkmcnt(3)
	v_add_co_u32_e32 v6, vcc, v1, v25
	v_addc_co_u32_e32 v7, vcc, 0, v16, vcc
.LBB1396_156:
	s_or_b64 exec, exec, s[4:5]
	s_waitcnt lgkmcnt(3)
	v_lshlrev_b64 v[6:7], 2, v[6:7]
	v_mov_b32_e32 v8, s25
	v_add_co_u32_e32 v6, vcc, s24, v6
	v_addc_co_u32_e32 v7, vcc, v8, v7, vcc
	s_waitcnt lgkmcnt(2)
	global_store_dword v[6:7], v4, off
	s_or_b64 exec, exec, s[2:3]
	v_cmp_gt_u32_e32 vcc, s33, v24
	s_and_saveexec_b64 s[2:3], vcc
	s_cbranch_execnz .LBB1396_188
.LBB1396_157:
	s_or_b64 exec, exec, s[2:3]
	v_cmp_gt_u32_e32 vcc, s33, v23
	s_and_saveexec_b64 s[2:3], vcc
	s_cbranch_execz .LBB1396_193
.LBB1396_158:
	v_cmp_ge_u32_e32 vcc, v23, v18
                                        ; implicit-def: $vgpr4_vgpr5
	s_and_saveexec_b64 s[4:5], vcc
	s_xor_b64 s[4:5], exec, s[4:5]
	s_cbranch_execz .LBB1396_160
; %bb.159:
	s_waitcnt lgkmcnt(2)
	v_xor_b32_e32 v4, 0xfffff5ff, v0
	v_ashrrev_i32_e32 v5, 31, v4
	v_add_co_u32_e32 v4, vcc, v19, v4
	v_addc_co_u32_e32 v5, vcc, v21, v5, vcc
                                        ; implicit-def: $vgpr23
.LBB1396_160:
	s_andn2_saveexec_b64 s[4:5], s[4:5]
	s_cbranch_execz .LBB1396_162
; %bb.161:
	s_waitcnt lgkmcnt(2)
	v_add_co_u32_e32 v4, vcc, v1, v23
	v_addc_co_u32_e32 v5, vcc, 0, v16, vcc
.LBB1396_162:
	s_or_b64 exec, exec, s[4:5]
	s_waitcnt lgkmcnt(2)
	v_lshlrev_b64 v[4:5], 2, v[4:5]
	v_mov_b32_e32 v6, s25
	v_add_co_u32_e32 v4, vcc, s24, v4
	v_addc_co_u32_e32 v5, vcc, v6, v5, vcc
	s_waitcnt lgkmcnt(1)
	global_store_dword v[4:5], v2, off
	s_or_b64 exec, exec, s[2:3]
	v_cmp_gt_u32_e32 vcc, s33, v22
	s_and_saveexec_b64 s[2:3], vcc
	s_cbranch_execz .LBB1396_199
	s_branch .LBB1396_194
.LBB1396_163:
	s_or_b64 exec, exec, s[2:3]
	v_cmp_gt_u32_e32 vcc, s33, v32
	s_and_saveexec_b64 s[2:3], vcc
	s_cbranch_execz .LBB1396_133
.LBB1396_164:
	v_cmp_ge_u32_e32 vcc, v32, v18
                                        ; implicit-def: $vgpr14_vgpr15
	s_and_saveexec_b64 s[4:5], vcc
	s_xor_b64 s[4:5], exec, s[4:5]
	s_cbranch_execz .LBB1396_166
; %bb.165:
	s_waitcnt lgkmcnt(6)
	v_xor_b32_e32 v12, 0xfffffeff, v0
	v_ashrrev_i32_e32 v15, 31, v12
	v_add_co_u32_e32 v14, vcc, v19, v12
	v_addc_co_u32_e32 v15, vcc, v21, v15, vcc
                                        ; implicit-def: $vgpr32
.LBB1396_166:
	s_andn2_saveexec_b64 s[4:5], s[4:5]
; %bb.167:
	v_add_co_u32_e32 v14, vcc, v1, v32
	v_addc_co_u32_e32 v15, vcc, 0, v16, vcc
; %bb.168:
	s_or_b64 exec, exec, s[4:5]
	v_lshlrev_b64 v[14:15], 2, v[14:15]
	s_waitcnt lgkmcnt(6)
	v_mov_b32_e32 v12, s25
	v_add_co_u32_e32 v14, vcc, s24, v14
	v_addc_co_u32_e32 v15, vcc, v12, v15, vcc
	global_store_dword v[14:15], v13, off
	s_or_b64 exec, exec, s[2:3]
	v_cmp_gt_u32_e32 vcc, s33, v31
	s_and_saveexec_b64 s[2:3], vcc
	s_cbranch_execnz .LBB1396_134
.LBB1396_169:
	s_or_b64 exec, exec, s[2:3]
	v_cmp_gt_u32_e32 vcc, s33, v30
	s_and_saveexec_b64 s[2:3], vcc
	s_cbranch_execz .LBB1396_139
.LBB1396_170:
	v_cmp_ge_u32_e32 vcc, v30, v18
                                        ; implicit-def: $vgpr12_vgpr13
	s_and_saveexec_b64 s[4:5], vcc
	s_xor_b64 s[4:5], exec, s[4:5]
	s_cbranch_execz .LBB1396_172
; %bb.171:
	s_waitcnt lgkmcnt(5)
	v_xor_b32_e32 v10, 0xfffffcff, v0
	v_ashrrev_i32_e32 v13, 31, v10
	v_add_co_u32_e32 v12, vcc, v19, v10
	v_addc_co_u32_e32 v13, vcc, v21, v13, vcc
                                        ; implicit-def: $vgpr30
.LBB1396_172:
	s_andn2_saveexec_b64 s[4:5], s[4:5]
	s_cbranch_execz .LBB1396_174
; %bb.173:
	s_waitcnt lgkmcnt(6)
	v_add_co_u32_e32 v12, vcc, v1, v30
	v_addc_co_u32_e32 v13, vcc, 0, v16, vcc
.LBB1396_174:
	s_or_b64 exec, exec, s[4:5]
	s_waitcnt lgkmcnt(6)
	v_lshlrev_b64 v[12:13], 2, v[12:13]
	s_waitcnt lgkmcnt(5)
	v_mov_b32_e32 v10, s25
	v_add_co_u32_e32 v12, vcc, s24, v12
	v_addc_co_u32_e32 v13, vcc, v10, v13, vcc
	global_store_dword v[12:13], v11, off
	s_or_b64 exec, exec, s[2:3]
	v_cmp_gt_u32_e32 vcc, s33, v29
	s_and_saveexec_b64 s[2:3], vcc
	s_cbranch_execnz .LBB1396_140
.LBB1396_175:
	s_or_b64 exec, exec, s[2:3]
	v_cmp_gt_u32_e32 vcc, s33, v28
	s_and_saveexec_b64 s[2:3], vcc
	s_cbranch_execz .LBB1396_145
.LBB1396_176:
	v_cmp_ge_u32_e32 vcc, v28, v18
                                        ; implicit-def: $vgpr10_vgpr11
	s_and_saveexec_b64 s[4:5], vcc
	s_xor_b64 s[4:5], exec, s[4:5]
	s_cbranch_execz .LBB1396_178
; %bb.177:
	s_waitcnt lgkmcnt(4)
	v_xor_b32_e32 v8, 0xfffffaff, v0
	v_ashrrev_i32_e32 v11, 31, v8
	v_add_co_u32_e32 v10, vcc, v19, v8
	v_addc_co_u32_e32 v11, vcc, v21, v11, vcc
                                        ; implicit-def: $vgpr28
.LBB1396_178:
	s_andn2_saveexec_b64 s[4:5], s[4:5]
	s_cbranch_execz .LBB1396_180
; %bb.179:
	s_waitcnt lgkmcnt(5)
	v_add_co_u32_e32 v10, vcc, v1, v28
	v_addc_co_u32_e32 v11, vcc, 0, v16, vcc
.LBB1396_180:
	s_or_b64 exec, exec, s[4:5]
	s_waitcnt lgkmcnt(5)
	v_lshlrev_b64 v[10:11], 2, v[10:11]
	s_waitcnt lgkmcnt(4)
	v_mov_b32_e32 v8, s25
	v_add_co_u32_e32 v10, vcc, s24, v10
	v_addc_co_u32_e32 v11, vcc, v8, v11, vcc
	global_store_dword v[10:11], v9, off
	s_or_b64 exec, exec, s[2:3]
	v_cmp_gt_u32_e32 vcc, s33, v27
	s_and_saveexec_b64 s[2:3], vcc
	s_cbranch_execnz .LBB1396_146
.LBB1396_181:
	s_or_b64 exec, exec, s[2:3]
	v_cmp_gt_u32_e32 vcc, s33, v26
	s_and_saveexec_b64 s[2:3], vcc
	s_cbranch_execz .LBB1396_151
.LBB1396_182:
	v_cmp_ge_u32_e32 vcc, v26, v18
                                        ; implicit-def: $vgpr8_vgpr9
	s_and_saveexec_b64 s[4:5], vcc
	s_xor_b64 s[4:5], exec, s[4:5]
	s_cbranch_execz .LBB1396_184
; %bb.183:
	s_waitcnt lgkmcnt(3)
	v_xor_b32_e32 v6, 0xfffff8ff, v0
	v_ashrrev_i32_e32 v9, 31, v6
	v_add_co_u32_e32 v8, vcc, v19, v6
	v_addc_co_u32_e32 v9, vcc, v21, v9, vcc
                                        ; implicit-def: $vgpr26
.LBB1396_184:
	s_andn2_saveexec_b64 s[4:5], s[4:5]
	s_cbranch_execz .LBB1396_186
; %bb.185:
	s_waitcnt lgkmcnt(4)
	v_add_co_u32_e32 v8, vcc, v1, v26
	v_addc_co_u32_e32 v9, vcc, 0, v16, vcc
.LBB1396_186:
	s_or_b64 exec, exec, s[4:5]
	s_waitcnt lgkmcnt(4)
	v_lshlrev_b64 v[8:9], 2, v[8:9]
	s_waitcnt lgkmcnt(3)
	v_mov_b32_e32 v6, s25
	v_add_co_u32_e32 v8, vcc, s24, v8
	v_addc_co_u32_e32 v9, vcc, v6, v9, vcc
	global_store_dword v[8:9], v7, off
	s_or_b64 exec, exec, s[2:3]
	v_cmp_gt_u32_e32 vcc, s33, v25
	s_and_saveexec_b64 s[2:3], vcc
	s_cbranch_execnz .LBB1396_152
.LBB1396_187:
	s_or_b64 exec, exec, s[2:3]
	v_cmp_gt_u32_e32 vcc, s33, v24
	s_and_saveexec_b64 s[2:3], vcc
	s_cbranch_execz .LBB1396_157
.LBB1396_188:
	v_cmp_ge_u32_e32 vcc, v24, v18
                                        ; implicit-def: $vgpr6_vgpr7
	s_and_saveexec_b64 s[4:5], vcc
	s_xor_b64 s[4:5], exec, s[4:5]
	s_cbranch_execz .LBB1396_190
; %bb.189:
	s_waitcnt lgkmcnt(2)
	v_xor_b32_e32 v4, 0xfffff6ff, v0
	v_ashrrev_i32_e32 v7, 31, v4
	v_add_co_u32_e32 v6, vcc, v19, v4
	v_addc_co_u32_e32 v7, vcc, v21, v7, vcc
                                        ; implicit-def: $vgpr24
.LBB1396_190:
	s_andn2_saveexec_b64 s[4:5], s[4:5]
	s_cbranch_execz .LBB1396_192
; %bb.191:
	s_waitcnt lgkmcnt(3)
	v_add_co_u32_e32 v6, vcc, v1, v24
	v_addc_co_u32_e32 v7, vcc, 0, v16, vcc
.LBB1396_192:
	s_or_b64 exec, exec, s[4:5]
	s_waitcnt lgkmcnt(3)
	v_lshlrev_b64 v[6:7], 2, v[6:7]
	s_waitcnt lgkmcnt(2)
	v_mov_b32_e32 v4, s25
	v_add_co_u32_e32 v6, vcc, s24, v6
	v_addc_co_u32_e32 v7, vcc, v4, v7, vcc
	global_store_dword v[6:7], v5, off
	s_or_b64 exec, exec, s[2:3]
	v_cmp_gt_u32_e32 vcc, s33, v23
	s_and_saveexec_b64 s[2:3], vcc
	s_cbranch_execnz .LBB1396_158
.LBB1396_193:
	s_or_b64 exec, exec, s[2:3]
	v_cmp_gt_u32_e32 vcc, s33, v22
	s_and_saveexec_b64 s[2:3], vcc
	s_cbranch_execz .LBB1396_199
.LBB1396_194:
	v_cmp_ge_u32_e32 vcc, v22, v18
                                        ; implicit-def: $vgpr4_vgpr5
	s_and_saveexec_b64 s[4:5], vcc
	s_xor_b64 s[4:5], exec, s[4:5]
	s_cbranch_execz .LBB1396_196
; %bb.195:
	s_waitcnt lgkmcnt(1)
	v_xor_b32_e32 v2, 0xfffff4ff, v0
	v_ashrrev_i32_e32 v5, 31, v2
	v_add_co_u32_e32 v4, vcc, v19, v2
	v_addc_co_u32_e32 v5, vcc, v21, v5, vcc
                                        ; implicit-def: $vgpr22
.LBB1396_196:
	s_andn2_saveexec_b64 s[4:5], s[4:5]
	s_cbranch_execz .LBB1396_198
; %bb.197:
	s_waitcnt lgkmcnt(2)
	v_add_co_u32_e32 v4, vcc, v1, v22
	v_addc_co_u32_e32 v5, vcc, 0, v16, vcc
.LBB1396_198:
	s_or_b64 exec, exec, s[4:5]
	s_waitcnt lgkmcnt(2)
	v_lshlrev_b64 v[4:5], 2, v[4:5]
	s_waitcnt lgkmcnt(1)
	v_mov_b32_e32 v2, s25
	v_add_co_u32_e32 v4, vcc, s24, v4
	v_addc_co_u32_e32 v5, vcc, v2, v5, vcc
	global_store_dword v[4:5], v3, off
.LBB1396_199:
	s_or_b64 exec, exec, s[2:3]
	v_cmp_gt_u32_e32 vcc, s33, v20
                                        ; implicit-def: $vgpr14_vgpr15
	s_and_saveexec_b64 s[2:3], vcc
	s_cbranch_execz .LBB1396_205
; %bb.200:
	v_cmp_ge_u32_e32 vcc, v20, v18
                                        ; implicit-def: $vgpr14_vgpr15
	s_and_saveexec_b64 s[4:5], vcc
	s_xor_b64 s[4:5], exec, s[4:5]
	s_cbranch_execz .LBB1396_202
; %bb.201:
	s_waitcnt lgkmcnt(1)
	v_xor_b32_e32 v2, 0xfffff3ff, v0
	v_ashrrev_i32_e32 v3, 31, v2
	v_add_co_u32_e32 v14, vcc, v19, v2
	v_addc_co_u32_e32 v15, vcc, v21, v3, vcc
                                        ; implicit-def: $vgpr20
.LBB1396_202:
	s_andn2_saveexec_b64 s[4:5], s[4:5]
; %bb.203:
	v_add_co_u32_e32 v14, vcc, v1, v20
	v_addc_co_u32_e32 v15, vcc, 0, v16, vcc
; %bb.204:
	s_or_b64 exec, exec, s[4:5]
	s_or_b64 s[0:1], s[0:1], exec
.LBB1396_205:
	s_or_b64 exec, exec, s[2:3]
.LBB1396_206:
	s_and_saveexec_b64 s[2:3], s[0:1]
	s_cbranch_execz .LBB1396_208
; %bb.207:
	s_waitcnt lgkmcnt(1)
	v_lshlrev_b64 v[2:3], 2, v[14:15]
	v_mov_b32_e32 v4, s25
	v_add_co_u32_e32 v2, vcc, s24, v2
	v_addc_co_u32_e32 v3, vcc, v4, v3, vcc
	s_waitcnt lgkmcnt(0)
	global_store_dword v[2:3], v17, off
.LBB1396_208:
	s_or_b64 exec, exec, s[2:3]
	v_cmp_eq_u32_e32 vcc, 0, v0
	s_and_b64 s[0:1], vcc, s[22:23]
	s_and_saveexec_b64 s[2:3], s[0:1]
	s_cbranch_execz .LBB1396_210
; %bb.209:
	v_add_co_u32_e32 v0, vcc, v1, v18
	s_waitcnt lgkmcnt(1)
	v_mov_b32_e32 v2, 0
	v_addc_co_u32_e32 v1, vcc, 0, v16, vcc
	global_store_dwordx2 v2, v[0:1], s[20:21]
.LBB1396_210:
	s_endpgm
	.section	.rodata,"a",@progbits
	.p2align	6, 0x0
	.amdhsa_kernel _ZN7rocprim17ROCPRIM_400000_NS6detail17trampoline_kernelINS0_13select_configILj256ELj13ELNS0_17block_load_methodE3ELS4_3ELS4_3ELNS0_20block_scan_algorithmE0ELj4294967295EEENS1_25partition_config_selectorILNS1_17partition_subalgoE3EjNS0_10empty_typeEbEEZZNS1_14partition_implILS8_3ELb0ES6_jNS0_17counting_iteratorIjlEEPS9_SE_NS0_5tupleIJPjSE_EEENSF_IJSE_SE_EEES9_SG_JZNS1_25segmented_radix_sort_implINS0_14default_configELb0EPKfPfPKlPlN2at6native12_GLOBAL__N_18offset_tEEE10hipError_tPvRmT1_PNSt15iterator_traitsISY_E10value_typeET2_T3_PNSZ_IS14_E10value_typeET4_jRbjT5_S1A_jjP12ihipStream_tbEUljE_EEESV_SW_SX_S14_S18_S1A_T6_T7_T9_mT8_S1C_bDpT10_ENKUlT_T0_E_clISt17integral_constantIbLb0EES1P_EEDaS1K_S1L_EUlS1K_E_NS1_11comp_targetILNS1_3genE4ELNS1_11target_archE910ELNS1_3gpuE8ELNS1_3repE0EEENS1_30default_config_static_selectorELNS0_4arch9wavefront6targetE1EEEvSY_
		.amdhsa_group_segment_fixed_size 13324
		.amdhsa_private_segment_fixed_size 0
		.amdhsa_kernarg_size 144
		.amdhsa_user_sgpr_count 6
		.amdhsa_user_sgpr_private_segment_buffer 1
		.amdhsa_user_sgpr_dispatch_ptr 0
		.amdhsa_user_sgpr_queue_ptr 0
		.amdhsa_user_sgpr_kernarg_segment_ptr 1
		.amdhsa_user_sgpr_dispatch_id 0
		.amdhsa_user_sgpr_flat_scratch_init 0
		.amdhsa_user_sgpr_kernarg_preload_length 0
		.amdhsa_user_sgpr_kernarg_preload_offset 0
		.amdhsa_user_sgpr_private_segment_size 0
		.amdhsa_uses_dynamic_stack 0
		.amdhsa_system_sgpr_private_segment_wavefront_offset 0
		.amdhsa_system_sgpr_workgroup_id_x 1
		.amdhsa_system_sgpr_workgroup_id_y 0
		.amdhsa_system_sgpr_workgroup_id_z 0
		.amdhsa_system_sgpr_workgroup_info 0
		.amdhsa_system_vgpr_workitem_id 0
		.amdhsa_next_free_vgpr 61
		.amdhsa_next_free_sgpr 46
		.amdhsa_accum_offset 64
		.amdhsa_reserve_vcc 1
		.amdhsa_reserve_flat_scratch 0
		.amdhsa_float_round_mode_32 0
		.amdhsa_float_round_mode_16_64 0
		.amdhsa_float_denorm_mode_32 3
		.amdhsa_float_denorm_mode_16_64 3
		.amdhsa_dx10_clamp 1
		.amdhsa_ieee_mode 1
		.amdhsa_fp16_overflow 0
		.amdhsa_tg_split 0
		.amdhsa_exception_fp_ieee_invalid_op 0
		.amdhsa_exception_fp_denorm_src 0
		.amdhsa_exception_fp_ieee_div_zero 0
		.amdhsa_exception_fp_ieee_overflow 0
		.amdhsa_exception_fp_ieee_underflow 0
		.amdhsa_exception_fp_ieee_inexact 0
		.amdhsa_exception_int_div_zero 0
	.end_amdhsa_kernel
	.section	.text._ZN7rocprim17ROCPRIM_400000_NS6detail17trampoline_kernelINS0_13select_configILj256ELj13ELNS0_17block_load_methodE3ELS4_3ELS4_3ELNS0_20block_scan_algorithmE0ELj4294967295EEENS1_25partition_config_selectorILNS1_17partition_subalgoE3EjNS0_10empty_typeEbEEZZNS1_14partition_implILS8_3ELb0ES6_jNS0_17counting_iteratorIjlEEPS9_SE_NS0_5tupleIJPjSE_EEENSF_IJSE_SE_EEES9_SG_JZNS1_25segmented_radix_sort_implINS0_14default_configELb0EPKfPfPKlPlN2at6native12_GLOBAL__N_18offset_tEEE10hipError_tPvRmT1_PNSt15iterator_traitsISY_E10value_typeET2_T3_PNSZ_IS14_E10value_typeET4_jRbjT5_S1A_jjP12ihipStream_tbEUljE_EEESV_SW_SX_S14_S18_S1A_T6_T7_T9_mT8_S1C_bDpT10_ENKUlT_T0_E_clISt17integral_constantIbLb0EES1P_EEDaS1K_S1L_EUlS1K_E_NS1_11comp_targetILNS1_3genE4ELNS1_11target_archE910ELNS1_3gpuE8ELNS1_3repE0EEENS1_30default_config_static_selectorELNS0_4arch9wavefront6targetE1EEEvSY_,"axG",@progbits,_ZN7rocprim17ROCPRIM_400000_NS6detail17trampoline_kernelINS0_13select_configILj256ELj13ELNS0_17block_load_methodE3ELS4_3ELS4_3ELNS0_20block_scan_algorithmE0ELj4294967295EEENS1_25partition_config_selectorILNS1_17partition_subalgoE3EjNS0_10empty_typeEbEEZZNS1_14partition_implILS8_3ELb0ES6_jNS0_17counting_iteratorIjlEEPS9_SE_NS0_5tupleIJPjSE_EEENSF_IJSE_SE_EEES9_SG_JZNS1_25segmented_radix_sort_implINS0_14default_configELb0EPKfPfPKlPlN2at6native12_GLOBAL__N_18offset_tEEE10hipError_tPvRmT1_PNSt15iterator_traitsISY_E10value_typeET2_T3_PNSZ_IS14_E10value_typeET4_jRbjT5_S1A_jjP12ihipStream_tbEUljE_EEESV_SW_SX_S14_S18_S1A_T6_T7_T9_mT8_S1C_bDpT10_ENKUlT_T0_E_clISt17integral_constantIbLb0EES1P_EEDaS1K_S1L_EUlS1K_E_NS1_11comp_targetILNS1_3genE4ELNS1_11target_archE910ELNS1_3gpuE8ELNS1_3repE0EEENS1_30default_config_static_selectorELNS0_4arch9wavefront6targetE1EEEvSY_,comdat
.Lfunc_end1396:
	.size	_ZN7rocprim17ROCPRIM_400000_NS6detail17trampoline_kernelINS0_13select_configILj256ELj13ELNS0_17block_load_methodE3ELS4_3ELS4_3ELNS0_20block_scan_algorithmE0ELj4294967295EEENS1_25partition_config_selectorILNS1_17partition_subalgoE3EjNS0_10empty_typeEbEEZZNS1_14partition_implILS8_3ELb0ES6_jNS0_17counting_iteratorIjlEEPS9_SE_NS0_5tupleIJPjSE_EEENSF_IJSE_SE_EEES9_SG_JZNS1_25segmented_radix_sort_implINS0_14default_configELb0EPKfPfPKlPlN2at6native12_GLOBAL__N_18offset_tEEE10hipError_tPvRmT1_PNSt15iterator_traitsISY_E10value_typeET2_T3_PNSZ_IS14_E10value_typeET4_jRbjT5_S1A_jjP12ihipStream_tbEUljE_EEESV_SW_SX_S14_S18_S1A_T6_T7_T9_mT8_S1C_bDpT10_ENKUlT_T0_E_clISt17integral_constantIbLb0EES1P_EEDaS1K_S1L_EUlS1K_E_NS1_11comp_targetILNS1_3genE4ELNS1_11target_archE910ELNS1_3gpuE8ELNS1_3repE0EEENS1_30default_config_static_selectorELNS0_4arch9wavefront6targetE1EEEvSY_, .Lfunc_end1396-_ZN7rocprim17ROCPRIM_400000_NS6detail17trampoline_kernelINS0_13select_configILj256ELj13ELNS0_17block_load_methodE3ELS4_3ELS4_3ELNS0_20block_scan_algorithmE0ELj4294967295EEENS1_25partition_config_selectorILNS1_17partition_subalgoE3EjNS0_10empty_typeEbEEZZNS1_14partition_implILS8_3ELb0ES6_jNS0_17counting_iteratorIjlEEPS9_SE_NS0_5tupleIJPjSE_EEENSF_IJSE_SE_EEES9_SG_JZNS1_25segmented_radix_sort_implINS0_14default_configELb0EPKfPfPKlPlN2at6native12_GLOBAL__N_18offset_tEEE10hipError_tPvRmT1_PNSt15iterator_traitsISY_E10value_typeET2_T3_PNSZ_IS14_E10value_typeET4_jRbjT5_S1A_jjP12ihipStream_tbEUljE_EEESV_SW_SX_S14_S18_S1A_T6_T7_T9_mT8_S1C_bDpT10_ENKUlT_T0_E_clISt17integral_constantIbLb0EES1P_EEDaS1K_S1L_EUlS1K_E_NS1_11comp_targetILNS1_3genE4ELNS1_11target_archE910ELNS1_3gpuE8ELNS1_3repE0EEENS1_30default_config_static_selectorELNS0_4arch9wavefront6targetE1EEEvSY_
                                        ; -- End function
	.section	.AMDGPU.csdata,"",@progbits
; Kernel info:
; codeLenInByte = 7676
; NumSgprs: 50
; NumVgprs: 61
; NumAgprs: 0
; TotalNumVgprs: 61
; ScratchSize: 0
; MemoryBound: 0
; FloatMode: 240
; IeeeMode: 1
; LDSByteSize: 13324 bytes/workgroup (compile time only)
; SGPRBlocks: 6
; VGPRBlocks: 7
; NumSGPRsForWavesPerEU: 50
; NumVGPRsForWavesPerEU: 61
; AccumOffset: 64
; Occupancy: 4
; WaveLimiterHint : 0
; COMPUTE_PGM_RSRC2:SCRATCH_EN: 0
; COMPUTE_PGM_RSRC2:USER_SGPR: 6
; COMPUTE_PGM_RSRC2:TRAP_HANDLER: 0
; COMPUTE_PGM_RSRC2:TGID_X_EN: 1
; COMPUTE_PGM_RSRC2:TGID_Y_EN: 0
; COMPUTE_PGM_RSRC2:TGID_Z_EN: 0
; COMPUTE_PGM_RSRC2:TIDIG_COMP_CNT: 0
; COMPUTE_PGM_RSRC3_GFX90A:ACCUM_OFFSET: 15
; COMPUTE_PGM_RSRC3_GFX90A:TG_SPLIT: 0
	.section	.text._ZN7rocprim17ROCPRIM_400000_NS6detail17trampoline_kernelINS0_13select_configILj256ELj13ELNS0_17block_load_methodE3ELS4_3ELS4_3ELNS0_20block_scan_algorithmE0ELj4294967295EEENS1_25partition_config_selectorILNS1_17partition_subalgoE3EjNS0_10empty_typeEbEEZZNS1_14partition_implILS8_3ELb0ES6_jNS0_17counting_iteratorIjlEEPS9_SE_NS0_5tupleIJPjSE_EEENSF_IJSE_SE_EEES9_SG_JZNS1_25segmented_radix_sort_implINS0_14default_configELb0EPKfPfPKlPlN2at6native12_GLOBAL__N_18offset_tEEE10hipError_tPvRmT1_PNSt15iterator_traitsISY_E10value_typeET2_T3_PNSZ_IS14_E10value_typeET4_jRbjT5_S1A_jjP12ihipStream_tbEUljE_EEESV_SW_SX_S14_S18_S1A_T6_T7_T9_mT8_S1C_bDpT10_ENKUlT_T0_E_clISt17integral_constantIbLb0EES1P_EEDaS1K_S1L_EUlS1K_E_NS1_11comp_targetILNS1_3genE3ELNS1_11target_archE908ELNS1_3gpuE7ELNS1_3repE0EEENS1_30default_config_static_selectorELNS0_4arch9wavefront6targetE1EEEvSY_,"axG",@progbits,_ZN7rocprim17ROCPRIM_400000_NS6detail17trampoline_kernelINS0_13select_configILj256ELj13ELNS0_17block_load_methodE3ELS4_3ELS4_3ELNS0_20block_scan_algorithmE0ELj4294967295EEENS1_25partition_config_selectorILNS1_17partition_subalgoE3EjNS0_10empty_typeEbEEZZNS1_14partition_implILS8_3ELb0ES6_jNS0_17counting_iteratorIjlEEPS9_SE_NS0_5tupleIJPjSE_EEENSF_IJSE_SE_EEES9_SG_JZNS1_25segmented_radix_sort_implINS0_14default_configELb0EPKfPfPKlPlN2at6native12_GLOBAL__N_18offset_tEEE10hipError_tPvRmT1_PNSt15iterator_traitsISY_E10value_typeET2_T3_PNSZ_IS14_E10value_typeET4_jRbjT5_S1A_jjP12ihipStream_tbEUljE_EEESV_SW_SX_S14_S18_S1A_T6_T7_T9_mT8_S1C_bDpT10_ENKUlT_T0_E_clISt17integral_constantIbLb0EES1P_EEDaS1K_S1L_EUlS1K_E_NS1_11comp_targetILNS1_3genE3ELNS1_11target_archE908ELNS1_3gpuE7ELNS1_3repE0EEENS1_30default_config_static_selectorELNS0_4arch9wavefront6targetE1EEEvSY_,comdat
	.globl	_ZN7rocprim17ROCPRIM_400000_NS6detail17trampoline_kernelINS0_13select_configILj256ELj13ELNS0_17block_load_methodE3ELS4_3ELS4_3ELNS0_20block_scan_algorithmE0ELj4294967295EEENS1_25partition_config_selectorILNS1_17partition_subalgoE3EjNS0_10empty_typeEbEEZZNS1_14partition_implILS8_3ELb0ES6_jNS0_17counting_iteratorIjlEEPS9_SE_NS0_5tupleIJPjSE_EEENSF_IJSE_SE_EEES9_SG_JZNS1_25segmented_radix_sort_implINS0_14default_configELb0EPKfPfPKlPlN2at6native12_GLOBAL__N_18offset_tEEE10hipError_tPvRmT1_PNSt15iterator_traitsISY_E10value_typeET2_T3_PNSZ_IS14_E10value_typeET4_jRbjT5_S1A_jjP12ihipStream_tbEUljE_EEESV_SW_SX_S14_S18_S1A_T6_T7_T9_mT8_S1C_bDpT10_ENKUlT_T0_E_clISt17integral_constantIbLb0EES1P_EEDaS1K_S1L_EUlS1K_E_NS1_11comp_targetILNS1_3genE3ELNS1_11target_archE908ELNS1_3gpuE7ELNS1_3repE0EEENS1_30default_config_static_selectorELNS0_4arch9wavefront6targetE1EEEvSY_ ; -- Begin function _ZN7rocprim17ROCPRIM_400000_NS6detail17trampoline_kernelINS0_13select_configILj256ELj13ELNS0_17block_load_methodE3ELS4_3ELS4_3ELNS0_20block_scan_algorithmE0ELj4294967295EEENS1_25partition_config_selectorILNS1_17partition_subalgoE3EjNS0_10empty_typeEbEEZZNS1_14partition_implILS8_3ELb0ES6_jNS0_17counting_iteratorIjlEEPS9_SE_NS0_5tupleIJPjSE_EEENSF_IJSE_SE_EEES9_SG_JZNS1_25segmented_radix_sort_implINS0_14default_configELb0EPKfPfPKlPlN2at6native12_GLOBAL__N_18offset_tEEE10hipError_tPvRmT1_PNSt15iterator_traitsISY_E10value_typeET2_T3_PNSZ_IS14_E10value_typeET4_jRbjT5_S1A_jjP12ihipStream_tbEUljE_EEESV_SW_SX_S14_S18_S1A_T6_T7_T9_mT8_S1C_bDpT10_ENKUlT_T0_E_clISt17integral_constantIbLb0EES1P_EEDaS1K_S1L_EUlS1K_E_NS1_11comp_targetILNS1_3genE3ELNS1_11target_archE908ELNS1_3gpuE7ELNS1_3repE0EEENS1_30default_config_static_selectorELNS0_4arch9wavefront6targetE1EEEvSY_
	.p2align	8
	.type	_ZN7rocprim17ROCPRIM_400000_NS6detail17trampoline_kernelINS0_13select_configILj256ELj13ELNS0_17block_load_methodE3ELS4_3ELS4_3ELNS0_20block_scan_algorithmE0ELj4294967295EEENS1_25partition_config_selectorILNS1_17partition_subalgoE3EjNS0_10empty_typeEbEEZZNS1_14partition_implILS8_3ELb0ES6_jNS0_17counting_iteratorIjlEEPS9_SE_NS0_5tupleIJPjSE_EEENSF_IJSE_SE_EEES9_SG_JZNS1_25segmented_radix_sort_implINS0_14default_configELb0EPKfPfPKlPlN2at6native12_GLOBAL__N_18offset_tEEE10hipError_tPvRmT1_PNSt15iterator_traitsISY_E10value_typeET2_T3_PNSZ_IS14_E10value_typeET4_jRbjT5_S1A_jjP12ihipStream_tbEUljE_EEESV_SW_SX_S14_S18_S1A_T6_T7_T9_mT8_S1C_bDpT10_ENKUlT_T0_E_clISt17integral_constantIbLb0EES1P_EEDaS1K_S1L_EUlS1K_E_NS1_11comp_targetILNS1_3genE3ELNS1_11target_archE908ELNS1_3gpuE7ELNS1_3repE0EEENS1_30default_config_static_selectorELNS0_4arch9wavefront6targetE1EEEvSY_,@function
_ZN7rocprim17ROCPRIM_400000_NS6detail17trampoline_kernelINS0_13select_configILj256ELj13ELNS0_17block_load_methodE3ELS4_3ELS4_3ELNS0_20block_scan_algorithmE0ELj4294967295EEENS1_25partition_config_selectorILNS1_17partition_subalgoE3EjNS0_10empty_typeEbEEZZNS1_14partition_implILS8_3ELb0ES6_jNS0_17counting_iteratorIjlEEPS9_SE_NS0_5tupleIJPjSE_EEENSF_IJSE_SE_EEES9_SG_JZNS1_25segmented_radix_sort_implINS0_14default_configELb0EPKfPfPKlPlN2at6native12_GLOBAL__N_18offset_tEEE10hipError_tPvRmT1_PNSt15iterator_traitsISY_E10value_typeET2_T3_PNSZ_IS14_E10value_typeET4_jRbjT5_S1A_jjP12ihipStream_tbEUljE_EEESV_SW_SX_S14_S18_S1A_T6_T7_T9_mT8_S1C_bDpT10_ENKUlT_T0_E_clISt17integral_constantIbLb0EES1P_EEDaS1K_S1L_EUlS1K_E_NS1_11comp_targetILNS1_3genE3ELNS1_11target_archE908ELNS1_3gpuE7ELNS1_3repE0EEENS1_30default_config_static_selectorELNS0_4arch9wavefront6targetE1EEEvSY_: ; @_ZN7rocprim17ROCPRIM_400000_NS6detail17trampoline_kernelINS0_13select_configILj256ELj13ELNS0_17block_load_methodE3ELS4_3ELS4_3ELNS0_20block_scan_algorithmE0ELj4294967295EEENS1_25partition_config_selectorILNS1_17partition_subalgoE3EjNS0_10empty_typeEbEEZZNS1_14partition_implILS8_3ELb0ES6_jNS0_17counting_iteratorIjlEEPS9_SE_NS0_5tupleIJPjSE_EEENSF_IJSE_SE_EEES9_SG_JZNS1_25segmented_radix_sort_implINS0_14default_configELb0EPKfPfPKlPlN2at6native12_GLOBAL__N_18offset_tEEE10hipError_tPvRmT1_PNSt15iterator_traitsISY_E10value_typeET2_T3_PNSZ_IS14_E10value_typeET4_jRbjT5_S1A_jjP12ihipStream_tbEUljE_EEESV_SW_SX_S14_S18_S1A_T6_T7_T9_mT8_S1C_bDpT10_ENKUlT_T0_E_clISt17integral_constantIbLb0EES1P_EEDaS1K_S1L_EUlS1K_E_NS1_11comp_targetILNS1_3genE3ELNS1_11target_archE908ELNS1_3gpuE7ELNS1_3repE0EEENS1_30default_config_static_selectorELNS0_4arch9wavefront6targetE1EEEvSY_
; %bb.0:
	.section	.rodata,"a",@progbits
	.p2align	6, 0x0
	.amdhsa_kernel _ZN7rocprim17ROCPRIM_400000_NS6detail17trampoline_kernelINS0_13select_configILj256ELj13ELNS0_17block_load_methodE3ELS4_3ELS4_3ELNS0_20block_scan_algorithmE0ELj4294967295EEENS1_25partition_config_selectorILNS1_17partition_subalgoE3EjNS0_10empty_typeEbEEZZNS1_14partition_implILS8_3ELb0ES6_jNS0_17counting_iteratorIjlEEPS9_SE_NS0_5tupleIJPjSE_EEENSF_IJSE_SE_EEES9_SG_JZNS1_25segmented_radix_sort_implINS0_14default_configELb0EPKfPfPKlPlN2at6native12_GLOBAL__N_18offset_tEEE10hipError_tPvRmT1_PNSt15iterator_traitsISY_E10value_typeET2_T3_PNSZ_IS14_E10value_typeET4_jRbjT5_S1A_jjP12ihipStream_tbEUljE_EEESV_SW_SX_S14_S18_S1A_T6_T7_T9_mT8_S1C_bDpT10_ENKUlT_T0_E_clISt17integral_constantIbLb0EES1P_EEDaS1K_S1L_EUlS1K_E_NS1_11comp_targetILNS1_3genE3ELNS1_11target_archE908ELNS1_3gpuE7ELNS1_3repE0EEENS1_30default_config_static_selectorELNS0_4arch9wavefront6targetE1EEEvSY_
		.amdhsa_group_segment_fixed_size 0
		.amdhsa_private_segment_fixed_size 0
		.amdhsa_kernarg_size 144
		.amdhsa_user_sgpr_count 6
		.amdhsa_user_sgpr_private_segment_buffer 1
		.amdhsa_user_sgpr_dispatch_ptr 0
		.amdhsa_user_sgpr_queue_ptr 0
		.amdhsa_user_sgpr_kernarg_segment_ptr 1
		.amdhsa_user_sgpr_dispatch_id 0
		.amdhsa_user_sgpr_flat_scratch_init 0
		.amdhsa_user_sgpr_kernarg_preload_length 0
		.amdhsa_user_sgpr_kernarg_preload_offset 0
		.amdhsa_user_sgpr_private_segment_size 0
		.amdhsa_uses_dynamic_stack 0
		.amdhsa_system_sgpr_private_segment_wavefront_offset 0
		.amdhsa_system_sgpr_workgroup_id_x 1
		.amdhsa_system_sgpr_workgroup_id_y 0
		.amdhsa_system_sgpr_workgroup_id_z 0
		.amdhsa_system_sgpr_workgroup_info 0
		.amdhsa_system_vgpr_workitem_id 0
		.amdhsa_next_free_vgpr 1
		.amdhsa_next_free_sgpr 0
		.amdhsa_accum_offset 4
		.amdhsa_reserve_vcc 0
		.amdhsa_reserve_flat_scratch 0
		.amdhsa_float_round_mode_32 0
		.amdhsa_float_round_mode_16_64 0
		.amdhsa_float_denorm_mode_32 3
		.amdhsa_float_denorm_mode_16_64 3
		.amdhsa_dx10_clamp 1
		.amdhsa_ieee_mode 1
		.amdhsa_fp16_overflow 0
		.amdhsa_tg_split 0
		.amdhsa_exception_fp_ieee_invalid_op 0
		.amdhsa_exception_fp_denorm_src 0
		.amdhsa_exception_fp_ieee_div_zero 0
		.amdhsa_exception_fp_ieee_overflow 0
		.amdhsa_exception_fp_ieee_underflow 0
		.amdhsa_exception_fp_ieee_inexact 0
		.amdhsa_exception_int_div_zero 0
	.end_amdhsa_kernel
	.section	.text._ZN7rocprim17ROCPRIM_400000_NS6detail17trampoline_kernelINS0_13select_configILj256ELj13ELNS0_17block_load_methodE3ELS4_3ELS4_3ELNS0_20block_scan_algorithmE0ELj4294967295EEENS1_25partition_config_selectorILNS1_17partition_subalgoE3EjNS0_10empty_typeEbEEZZNS1_14partition_implILS8_3ELb0ES6_jNS0_17counting_iteratorIjlEEPS9_SE_NS0_5tupleIJPjSE_EEENSF_IJSE_SE_EEES9_SG_JZNS1_25segmented_radix_sort_implINS0_14default_configELb0EPKfPfPKlPlN2at6native12_GLOBAL__N_18offset_tEEE10hipError_tPvRmT1_PNSt15iterator_traitsISY_E10value_typeET2_T3_PNSZ_IS14_E10value_typeET4_jRbjT5_S1A_jjP12ihipStream_tbEUljE_EEESV_SW_SX_S14_S18_S1A_T6_T7_T9_mT8_S1C_bDpT10_ENKUlT_T0_E_clISt17integral_constantIbLb0EES1P_EEDaS1K_S1L_EUlS1K_E_NS1_11comp_targetILNS1_3genE3ELNS1_11target_archE908ELNS1_3gpuE7ELNS1_3repE0EEENS1_30default_config_static_selectorELNS0_4arch9wavefront6targetE1EEEvSY_,"axG",@progbits,_ZN7rocprim17ROCPRIM_400000_NS6detail17trampoline_kernelINS0_13select_configILj256ELj13ELNS0_17block_load_methodE3ELS4_3ELS4_3ELNS0_20block_scan_algorithmE0ELj4294967295EEENS1_25partition_config_selectorILNS1_17partition_subalgoE3EjNS0_10empty_typeEbEEZZNS1_14partition_implILS8_3ELb0ES6_jNS0_17counting_iteratorIjlEEPS9_SE_NS0_5tupleIJPjSE_EEENSF_IJSE_SE_EEES9_SG_JZNS1_25segmented_radix_sort_implINS0_14default_configELb0EPKfPfPKlPlN2at6native12_GLOBAL__N_18offset_tEEE10hipError_tPvRmT1_PNSt15iterator_traitsISY_E10value_typeET2_T3_PNSZ_IS14_E10value_typeET4_jRbjT5_S1A_jjP12ihipStream_tbEUljE_EEESV_SW_SX_S14_S18_S1A_T6_T7_T9_mT8_S1C_bDpT10_ENKUlT_T0_E_clISt17integral_constantIbLb0EES1P_EEDaS1K_S1L_EUlS1K_E_NS1_11comp_targetILNS1_3genE3ELNS1_11target_archE908ELNS1_3gpuE7ELNS1_3repE0EEENS1_30default_config_static_selectorELNS0_4arch9wavefront6targetE1EEEvSY_,comdat
.Lfunc_end1397:
	.size	_ZN7rocprim17ROCPRIM_400000_NS6detail17trampoline_kernelINS0_13select_configILj256ELj13ELNS0_17block_load_methodE3ELS4_3ELS4_3ELNS0_20block_scan_algorithmE0ELj4294967295EEENS1_25partition_config_selectorILNS1_17partition_subalgoE3EjNS0_10empty_typeEbEEZZNS1_14partition_implILS8_3ELb0ES6_jNS0_17counting_iteratorIjlEEPS9_SE_NS0_5tupleIJPjSE_EEENSF_IJSE_SE_EEES9_SG_JZNS1_25segmented_radix_sort_implINS0_14default_configELb0EPKfPfPKlPlN2at6native12_GLOBAL__N_18offset_tEEE10hipError_tPvRmT1_PNSt15iterator_traitsISY_E10value_typeET2_T3_PNSZ_IS14_E10value_typeET4_jRbjT5_S1A_jjP12ihipStream_tbEUljE_EEESV_SW_SX_S14_S18_S1A_T6_T7_T9_mT8_S1C_bDpT10_ENKUlT_T0_E_clISt17integral_constantIbLb0EES1P_EEDaS1K_S1L_EUlS1K_E_NS1_11comp_targetILNS1_3genE3ELNS1_11target_archE908ELNS1_3gpuE7ELNS1_3repE0EEENS1_30default_config_static_selectorELNS0_4arch9wavefront6targetE1EEEvSY_, .Lfunc_end1397-_ZN7rocprim17ROCPRIM_400000_NS6detail17trampoline_kernelINS0_13select_configILj256ELj13ELNS0_17block_load_methodE3ELS4_3ELS4_3ELNS0_20block_scan_algorithmE0ELj4294967295EEENS1_25partition_config_selectorILNS1_17partition_subalgoE3EjNS0_10empty_typeEbEEZZNS1_14partition_implILS8_3ELb0ES6_jNS0_17counting_iteratorIjlEEPS9_SE_NS0_5tupleIJPjSE_EEENSF_IJSE_SE_EEES9_SG_JZNS1_25segmented_radix_sort_implINS0_14default_configELb0EPKfPfPKlPlN2at6native12_GLOBAL__N_18offset_tEEE10hipError_tPvRmT1_PNSt15iterator_traitsISY_E10value_typeET2_T3_PNSZ_IS14_E10value_typeET4_jRbjT5_S1A_jjP12ihipStream_tbEUljE_EEESV_SW_SX_S14_S18_S1A_T6_T7_T9_mT8_S1C_bDpT10_ENKUlT_T0_E_clISt17integral_constantIbLb0EES1P_EEDaS1K_S1L_EUlS1K_E_NS1_11comp_targetILNS1_3genE3ELNS1_11target_archE908ELNS1_3gpuE7ELNS1_3repE0EEENS1_30default_config_static_selectorELNS0_4arch9wavefront6targetE1EEEvSY_
                                        ; -- End function
	.section	.AMDGPU.csdata,"",@progbits
; Kernel info:
; codeLenInByte = 0
; NumSgprs: 4
; NumVgprs: 0
; NumAgprs: 0
; TotalNumVgprs: 0
; ScratchSize: 0
; MemoryBound: 0
; FloatMode: 240
; IeeeMode: 1
; LDSByteSize: 0 bytes/workgroup (compile time only)
; SGPRBlocks: 0
; VGPRBlocks: 0
; NumSGPRsForWavesPerEU: 4
; NumVGPRsForWavesPerEU: 1
; AccumOffset: 4
; Occupancy: 8
; WaveLimiterHint : 0
; COMPUTE_PGM_RSRC2:SCRATCH_EN: 0
; COMPUTE_PGM_RSRC2:USER_SGPR: 6
; COMPUTE_PGM_RSRC2:TRAP_HANDLER: 0
; COMPUTE_PGM_RSRC2:TGID_X_EN: 1
; COMPUTE_PGM_RSRC2:TGID_Y_EN: 0
; COMPUTE_PGM_RSRC2:TGID_Z_EN: 0
; COMPUTE_PGM_RSRC2:TIDIG_COMP_CNT: 0
; COMPUTE_PGM_RSRC3_GFX90A:ACCUM_OFFSET: 0
; COMPUTE_PGM_RSRC3_GFX90A:TG_SPLIT: 0
	.section	.text._ZN7rocprim17ROCPRIM_400000_NS6detail17trampoline_kernelINS0_13select_configILj256ELj13ELNS0_17block_load_methodE3ELS4_3ELS4_3ELNS0_20block_scan_algorithmE0ELj4294967295EEENS1_25partition_config_selectorILNS1_17partition_subalgoE3EjNS0_10empty_typeEbEEZZNS1_14partition_implILS8_3ELb0ES6_jNS0_17counting_iteratorIjlEEPS9_SE_NS0_5tupleIJPjSE_EEENSF_IJSE_SE_EEES9_SG_JZNS1_25segmented_radix_sort_implINS0_14default_configELb0EPKfPfPKlPlN2at6native12_GLOBAL__N_18offset_tEEE10hipError_tPvRmT1_PNSt15iterator_traitsISY_E10value_typeET2_T3_PNSZ_IS14_E10value_typeET4_jRbjT5_S1A_jjP12ihipStream_tbEUljE_EEESV_SW_SX_S14_S18_S1A_T6_T7_T9_mT8_S1C_bDpT10_ENKUlT_T0_E_clISt17integral_constantIbLb0EES1P_EEDaS1K_S1L_EUlS1K_E_NS1_11comp_targetILNS1_3genE2ELNS1_11target_archE906ELNS1_3gpuE6ELNS1_3repE0EEENS1_30default_config_static_selectorELNS0_4arch9wavefront6targetE1EEEvSY_,"axG",@progbits,_ZN7rocprim17ROCPRIM_400000_NS6detail17trampoline_kernelINS0_13select_configILj256ELj13ELNS0_17block_load_methodE3ELS4_3ELS4_3ELNS0_20block_scan_algorithmE0ELj4294967295EEENS1_25partition_config_selectorILNS1_17partition_subalgoE3EjNS0_10empty_typeEbEEZZNS1_14partition_implILS8_3ELb0ES6_jNS0_17counting_iteratorIjlEEPS9_SE_NS0_5tupleIJPjSE_EEENSF_IJSE_SE_EEES9_SG_JZNS1_25segmented_radix_sort_implINS0_14default_configELb0EPKfPfPKlPlN2at6native12_GLOBAL__N_18offset_tEEE10hipError_tPvRmT1_PNSt15iterator_traitsISY_E10value_typeET2_T3_PNSZ_IS14_E10value_typeET4_jRbjT5_S1A_jjP12ihipStream_tbEUljE_EEESV_SW_SX_S14_S18_S1A_T6_T7_T9_mT8_S1C_bDpT10_ENKUlT_T0_E_clISt17integral_constantIbLb0EES1P_EEDaS1K_S1L_EUlS1K_E_NS1_11comp_targetILNS1_3genE2ELNS1_11target_archE906ELNS1_3gpuE6ELNS1_3repE0EEENS1_30default_config_static_selectorELNS0_4arch9wavefront6targetE1EEEvSY_,comdat
	.globl	_ZN7rocprim17ROCPRIM_400000_NS6detail17trampoline_kernelINS0_13select_configILj256ELj13ELNS0_17block_load_methodE3ELS4_3ELS4_3ELNS0_20block_scan_algorithmE0ELj4294967295EEENS1_25partition_config_selectorILNS1_17partition_subalgoE3EjNS0_10empty_typeEbEEZZNS1_14partition_implILS8_3ELb0ES6_jNS0_17counting_iteratorIjlEEPS9_SE_NS0_5tupleIJPjSE_EEENSF_IJSE_SE_EEES9_SG_JZNS1_25segmented_radix_sort_implINS0_14default_configELb0EPKfPfPKlPlN2at6native12_GLOBAL__N_18offset_tEEE10hipError_tPvRmT1_PNSt15iterator_traitsISY_E10value_typeET2_T3_PNSZ_IS14_E10value_typeET4_jRbjT5_S1A_jjP12ihipStream_tbEUljE_EEESV_SW_SX_S14_S18_S1A_T6_T7_T9_mT8_S1C_bDpT10_ENKUlT_T0_E_clISt17integral_constantIbLb0EES1P_EEDaS1K_S1L_EUlS1K_E_NS1_11comp_targetILNS1_3genE2ELNS1_11target_archE906ELNS1_3gpuE6ELNS1_3repE0EEENS1_30default_config_static_selectorELNS0_4arch9wavefront6targetE1EEEvSY_ ; -- Begin function _ZN7rocprim17ROCPRIM_400000_NS6detail17trampoline_kernelINS0_13select_configILj256ELj13ELNS0_17block_load_methodE3ELS4_3ELS4_3ELNS0_20block_scan_algorithmE0ELj4294967295EEENS1_25partition_config_selectorILNS1_17partition_subalgoE3EjNS0_10empty_typeEbEEZZNS1_14partition_implILS8_3ELb0ES6_jNS0_17counting_iteratorIjlEEPS9_SE_NS0_5tupleIJPjSE_EEENSF_IJSE_SE_EEES9_SG_JZNS1_25segmented_radix_sort_implINS0_14default_configELb0EPKfPfPKlPlN2at6native12_GLOBAL__N_18offset_tEEE10hipError_tPvRmT1_PNSt15iterator_traitsISY_E10value_typeET2_T3_PNSZ_IS14_E10value_typeET4_jRbjT5_S1A_jjP12ihipStream_tbEUljE_EEESV_SW_SX_S14_S18_S1A_T6_T7_T9_mT8_S1C_bDpT10_ENKUlT_T0_E_clISt17integral_constantIbLb0EES1P_EEDaS1K_S1L_EUlS1K_E_NS1_11comp_targetILNS1_3genE2ELNS1_11target_archE906ELNS1_3gpuE6ELNS1_3repE0EEENS1_30default_config_static_selectorELNS0_4arch9wavefront6targetE1EEEvSY_
	.p2align	8
	.type	_ZN7rocprim17ROCPRIM_400000_NS6detail17trampoline_kernelINS0_13select_configILj256ELj13ELNS0_17block_load_methodE3ELS4_3ELS4_3ELNS0_20block_scan_algorithmE0ELj4294967295EEENS1_25partition_config_selectorILNS1_17partition_subalgoE3EjNS0_10empty_typeEbEEZZNS1_14partition_implILS8_3ELb0ES6_jNS0_17counting_iteratorIjlEEPS9_SE_NS0_5tupleIJPjSE_EEENSF_IJSE_SE_EEES9_SG_JZNS1_25segmented_radix_sort_implINS0_14default_configELb0EPKfPfPKlPlN2at6native12_GLOBAL__N_18offset_tEEE10hipError_tPvRmT1_PNSt15iterator_traitsISY_E10value_typeET2_T3_PNSZ_IS14_E10value_typeET4_jRbjT5_S1A_jjP12ihipStream_tbEUljE_EEESV_SW_SX_S14_S18_S1A_T6_T7_T9_mT8_S1C_bDpT10_ENKUlT_T0_E_clISt17integral_constantIbLb0EES1P_EEDaS1K_S1L_EUlS1K_E_NS1_11comp_targetILNS1_3genE2ELNS1_11target_archE906ELNS1_3gpuE6ELNS1_3repE0EEENS1_30default_config_static_selectorELNS0_4arch9wavefront6targetE1EEEvSY_,@function
_ZN7rocprim17ROCPRIM_400000_NS6detail17trampoline_kernelINS0_13select_configILj256ELj13ELNS0_17block_load_methodE3ELS4_3ELS4_3ELNS0_20block_scan_algorithmE0ELj4294967295EEENS1_25partition_config_selectorILNS1_17partition_subalgoE3EjNS0_10empty_typeEbEEZZNS1_14partition_implILS8_3ELb0ES6_jNS0_17counting_iteratorIjlEEPS9_SE_NS0_5tupleIJPjSE_EEENSF_IJSE_SE_EEES9_SG_JZNS1_25segmented_radix_sort_implINS0_14default_configELb0EPKfPfPKlPlN2at6native12_GLOBAL__N_18offset_tEEE10hipError_tPvRmT1_PNSt15iterator_traitsISY_E10value_typeET2_T3_PNSZ_IS14_E10value_typeET4_jRbjT5_S1A_jjP12ihipStream_tbEUljE_EEESV_SW_SX_S14_S18_S1A_T6_T7_T9_mT8_S1C_bDpT10_ENKUlT_T0_E_clISt17integral_constantIbLb0EES1P_EEDaS1K_S1L_EUlS1K_E_NS1_11comp_targetILNS1_3genE2ELNS1_11target_archE906ELNS1_3gpuE6ELNS1_3repE0EEENS1_30default_config_static_selectorELNS0_4arch9wavefront6targetE1EEEvSY_: ; @_ZN7rocprim17ROCPRIM_400000_NS6detail17trampoline_kernelINS0_13select_configILj256ELj13ELNS0_17block_load_methodE3ELS4_3ELS4_3ELNS0_20block_scan_algorithmE0ELj4294967295EEENS1_25partition_config_selectorILNS1_17partition_subalgoE3EjNS0_10empty_typeEbEEZZNS1_14partition_implILS8_3ELb0ES6_jNS0_17counting_iteratorIjlEEPS9_SE_NS0_5tupleIJPjSE_EEENSF_IJSE_SE_EEES9_SG_JZNS1_25segmented_radix_sort_implINS0_14default_configELb0EPKfPfPKlPlN2at6native12_GLOBAL__N_18offset_tEEE10hipError_tPvRmT1_PNSt15iterator_traitsISY_E10value_typeET2_T3_PNSZ_IS14_E10value_typeET4_jRbjT5_S1A_jjP12ihipStream_tbEUljE_EEESV_SW_SX_S14_S18_S1A_T6_T7_T9_mT8_S1C_bDpT10_ENKUlT_T0_E_clISt17integral_constantIbLb0EES1P_EEDaS1K_S1L_EUlS1K_E_NS1_11comp_targetILNS1_3genE2ELNS1_11target_archE906ELNS1_3gpuE6ELNS1_3repE0EEENS1_30default_config_static_selectorELNS0_4arch9wavefront6targetE1EEEvSY_
; %bb.0:
	.section	.rodata,"a",@progbits
	.p2align	6, 0x0
	.amdhsa_kernel _ZN7rocprim17ROCPRIM_400000_NS6detail17trampoline_kernelINS0_13select_configILj256ELj13ELNS0_17block_load_methodE3ELS4_3ELS4_3ELNS0_20block_scan_algorithmE0ELj4294967295EEENS1_25partition_config_selectorILNS1_17partition_subalgoE3EjNS0_10empty_typeEbEEZZNS1_14partition_implILS8_3ELb0ES6_jNS0_17counting_iteratorIjlEEPS9_SE_NS0_5tupleIJPjSE_EEENSF_IJSE_SE_EEES9_SG_JZNS1_25segmented_radix_sort_implINS0_14default_configELb0EPKfPfPKlPlN2at6native12_GLOBAL__N_18offset_tEEE10hipError_tPvRmT1_PNSt15iterator_traitsISY_E10value_typeET2_T3_PNSZ_IS14_E10value_typeET4_jRbjT5_S1A_jjP12ihipStream_tbEUljE_EEESV_SW_SX_S14_S18_S1A_T6_T7_T9_mT8_S1C_bDpT10_ENKUlT_T0_E_clISt17integral_constantIbLb0EES1P_EEDaS1K_S1L_EUlS1K_E_NS1_11comp_targetILNS1_3genE2ELNS1_11target_archE906ELNS1_3gpuE6ELNS1_3repE0EEENS1_30default_config_static_selectorELNS0_4arch9wavefront6targetE1EEEvSY_
		.amdhsa_group_segment_fixed_size 0
		.amdhsa_private_segment_fixed_size 0
		.amdhsa_kernarg_size 144
		.amdhsa_user_sgpr_count 6
		.amdhsa_user_sgpr_private_segment_buffer 1
		.amdhsa_user_sgpr_dispatch_ptr 0
		.amdhsa_user_sgpr_queue_ptr 0
		.amdhsa_user_sgpr_kernarg_segment_ptr 1
		.amdhsa_user_sgpr_dispatch_id 0
		.amdhsa_user_sgpr_flat_scratch_init 0
		.amdhsa_user_sgpr_kernarg_preload_length 0
		.amdhsa_user_sgpr_kernarg_preload_offset 0
		.amdhsa_user_sgpr_private_segment_size 0
		.amdhsa_uses_dynamic_stack 0
		.amdhsa_system_sgpr_private_segment_wavefront_offset 0
		.amdhsa_system_sgpr_workgroup_id_x 1
		.amdhsa_system_sgpr_workgroup_id_y 0
		.amdhsa_system_sgpr_workgroup_id_z 0
		.amdhsa_system_sgpr_workgroup_info 0
		.amdhsa_system_vgpr_workitem_id 0
		.amdhsa_next_free_vgpr 1
		.amdhsa_next_free_sgpr 0
		.amdhsa_accum_offset 4
		.amdhsa_reserve_vcc 0
		.amdhsa_reserve_flat_scratch 0
		.amdhsa_float_round_mode_32 0
		.amdhsa_float_round_mode_16_64 0
		.amdhsa_float_denorm_mode_32 3
		.amdhsa_float_denorm_mode_16_64 3
		.amdhsa_dx10_clamp 1
		.amdhsa_ieee_mode 1
		.amdhsa_fp16_overflow 0
		.amdhsa_tg_split 0
		.amdhsa_exception_fp_ieee_invalid_op 0
		.amdhsa_exception_fp_denorm_src 0
		.amdhsa_exception_fp_ieee_div_zero 0
		.amdhsa_exception_fp_ieee_overflow 0
		.amdhsa_exception_fp_ieee_underflow 0
		.amdhsa_exception_fp_ieee_inexact 0
		.amdhsa_exception_int_div_zero 0
	.end_amdhsa_kernel
	.section	.text._ZN7rocprim17ROCPRIM_400000_NS6detail17trampoline_kernelINS0_13select_configILj256ELj13ELNS0_17block_load_methodE3ELS4_3ELS4_3ELNS0_20block_scan_algorithmE0ELj4294967295EEENS1_25partition_config_selectorILNS1_17partition_subalgoE3EjNS0_10empty_typeEbEEZZNS1_14partition_implILS8_3ELb0ES6_jNS0_17counting_iteratorIjlEEPS9_SE_NS0_5tupleIJPjSE_EEENSF_IJSE_SE_EEES9_SG_JZNS1_25segmented_radix_sort_implINS0_14default_configELb0EPKfPfPKlPlN2at6native12_GLOBAL__N_18offset_tEEE10hipError_tPvRmT1_PNSt15iterator_traitsISY_E10value_typeET2_T3_PNSZ_IS14_E10value_typeET4_jRbjT5_S1A_jjP12ihipStream_tbEUljE_EEESV_SW_SX_S14_S18_S1A_T6_T7_T9_mT8_S1C_bDpT10_ENKUlT_T0_E_clISt17integral_constantIbLb0EES1P_EEDaS1K_S1L_EUlS1K_E_NS1_11comp_targetILNS1_3genE2ELNS1_11target_archE906ELNS1_3gpuE6ELNS1_3repE0EEENS1_30default_config_static_selectorELNS0_4arch9wavefront6targetE1EEEvSY_,"axG",@progbits,_ZN7rocprim17ROCPRIM_400000_NS6detail17trampoline_kernelINS0_13select_configILj256ELj13ELNS0_17block_load_methodE3ELS4_3ELS4_3ELNS0_20block_scan_algorithmE0ELj4294967295EEENS1_25partition_config_selectorILNS1_17partition_subalgoE3EjNS0_10empty_typeEbEEZZNS1_14partition_implILS8_3ELb0ES6_jNS0_17counting_iteratorIjlEEPS9_SE_NS0_5tupleIJPjSE_EEENSF_IJSE_SE_EEES9_SG_JZNS1_25segmented_radix_sort_implINS0_14default_configELb0EPKfPfPKlPlN2at6native12_GLOBAL__N_18offset_tEEE10hipError_tPvRmT1_PNSt15iterator_traitsISY_E10value_typeET2_T3_PNSZ_IS14_E10value_typeET4_jRbjT5_S1A_jjP12ihipStream_tbEUljE_EEESV_SW_SX_S14_S18_S1A_T6_T7_T9_mT8_S1C_bDpT10_ENKUlT_T0_E_clISt17integral_constantIbLb0EES1P_EEDaS1K_S1L_EUlS1K_E_NS1_11comp_targetILNS1_3genE2ELNS1_11target_archE906ELNS1_3gpuE6ELNS1_3repE0EEENS1_30default_config_static_selectorELNS0_4arch9wavefront6targetE1EEEvSY_,comdat
.Lfunc_end1398:
	.size	_ZN7rocprim17ROCPRIM_400000_NS6detail17trampoline_kernelINS0_13select_configILj256ELj13ELNS0_17block_load_methodE3ELS4_3ELS4_3ELNS0_20block_scan_algorithmE0ELj4294967295EEENS1_25partition_config_selectorILNS1_17partition_subalgoE3EjNS0_10empty_typeEbEEZZNS1_14partition_implILS8_3ELb0ES6_jNS0_17counting_iteratorIjlEEPS9_SE_NS0_5tupleIJPjSE_EEENSF_IJSE_SE_EEES9_SG_JZNS1_25segmented_radix_sort_implINS0_14default_configELb0EPKfPfPKlPlN2at6native12_GLOBAL__N_18offset_tEEE10hipError_tPvRmT1_PNSt15iterator_traitsISY_E10value_typeET2_T3_PNSZ_IS14_E10value_typeET4_jRbjT5_S1A_jjP12ihipStream_tbEUljE_EEESV_SW_SX_S14_S18_S1A_T6_T7_T9_mT8_S1C_bDpT10_ENKUlT_T0_E_clISt17integral_constantIbLb0EES1P_EEDaS1K_S1L_EUlS1K_E_NS1_11comp_targetILNS1_3genE2ELNS1_11target_archE906ELNS1_3gpuE6ELNS1_3repE0EEENS1_30default_config_static_selectorELNS0_4arch9wavefront6targetE1EEEvSY_, .Lfunc_end1398-_ZN7rocprim17ROCPRIM_400000_NS6detail17trampoline_kernelINS0_13select_configILj256ELj13ELNS0_17block_load_methodE3ELS4_3ELS4_3ELNS0_20block_scan_algorithmE0ELj4294967295EEENS1_25partition_config_selectorILNS1_17partition_subalgoE3EjNS0_10empty_typeEbEEZZNS1_14partition_implILS8_3ELb0ES6_jNS0_17counting_iteratorIjlEEPS9_SE_NS0_5tupleIJPjSE_EEENSF_IJSE_SE_EEES9_SG_JZNS1_25segmented_radix_sort_implINS0_14default_configELb0EPKfPfPKlPlN2at6native12_GLOBAL__N_18offset_tEEE10hipError_tPvRmT1_PNSt15iterator_traitsISY_E10value_typeET2_T3_PNSZ_IS14_E10value_typeET4_jRbjT5_S1A_jjP12ihipStream_tbEUljE_EEESV_SW_SX_S14_S18_S1A_T6_T7_T9_mT8_S1C_bDpT10_ENKUlT_T0_E_clISt17integral_constantIbLb0EES1P_EEDaS1K_S1L_EUlS1K_E_NS1_11comp_targetILNS1_3genE2ELNS1_11target_archE906ELNS1_3gpuE6ELNS1_3repE0EEENS1_30default_config_static_selectorELNS0_4arch9wavefront6targetE1EEEvSY_
                                        ; -- End function
	.section	.AMDGPU.csdata,"",@progbits
; Kernel info:
; codeLenInByte = 0
; NumSgprs: 4
; NumVgprs: 0
; NumAgprs: 0
; TotalNumVgprs: 0
; ScratchSize: 0
; MemoryBound: 0
; FloatMode: 240
; IeeeMode: 1
; LDSByteSize: 0 bytes/workgroup (compile time only)
; SGPRBlocks: 0
; VGPRBlocks: 0
; NumSGPRsForWavesPerEU: 4
; NumVGPRsForWavesPerEU: 1
; AccumOffset: 4
; Occupancy: 8
; WaveLimiterHint : 0
; COMPUTE_PGM_RSRC2:SCRATCH_EN: 0
; COMPUTE_PGM_RSRC2:USER_SGPR: 6
; COMPUTE_PGM_RSRC2:TRAP_HANDLER: 0
; COMPUTE_PGM_RSRC2:TGID_X_EN: 1
; COMPUTE_PGM_RSRC2:TGID_Y_EN: 0
; COMPUTE_PGM_RSRC2:TGID_Z_EN: 0
; COMPUTE_PGM_RSRC2:TIDIG_COMP_CNT: 0
; COMPUTE_PGM_RSRC3_GFX90A:ACCUM_OFFSET: 0
; COMPUTE_PGM_RSRC3_GFX90A:TG_SPLIT: 0
	.section	.text._ZN7rocprim17ROCPRIM_400000_NS6detail17trampoline_kernelINS0_13select_configILj256ELj13ELNS0_17block_load_methodE3ELS4_3ELS4_3ELNS0_20block_scan_algorithmE0ELj4294967295EEENS1_25partition_config_selectorILNS1_17partition_subalgoE3EjNS0_10empty_typeEbEEZZNS1_14partition_implILS8_3ELb0ES6_jNS0_17counting_iteratorIjlEEPS9_SE_NS0_5tupleIJPjSE_EEENSF_IJSE_SE_EEES9_SG_JZNS1_25segmented_radix_sort_implINS0_14default_configELb0EPKfPfPKlPlN2at6native12_GLOBAL__N_18offset_tEEE10hipError_tPvRmT1_PNSt15iterator_traitsISY_E10value_typeET2_T3_PNSZ_IS14_E10value_typeET4_jRbjT5_S1A_jjP12ihipStream_tbEUljE_EEESV_SW_SX_S14_S18_S1A_T6_T7_T9_mT8_S1C_bDpT10_ENKUlT_T0_E_clISt17integral_constantIbLb0EES1P_EEDaS1K_S1L_EUlS1K_E_NS1_11comp_targetILNS1_3genE10ELNS1_11target_archE1200ELNS1_3gpuE4ELNS1_3repE0EEENS1_30default_config_static_selectorELNS0_4arch9wavefront6targetE1EEEvSY_,"axG",@progbits,_ZN7rocprim17ROCPRIM_400000_NS6detail17trampoline_kernelINS0_13select_configILj256ELj13ELNS0_17block_load_methodE3ELS4_3ELS4_3ELNS0_20block_scan_algorithmE0ELj4294967295EEENS1_25partition_config_selectorILNS1_17partition_subalgoE3EjNS0_10empty_typeEbEEZZNS1_14partition_implILS8_3ELb0ES6_jNS0_17counting_iteratorIjlEEPS9_SE_NS0_5tupleIJPjSE_EEENSF_IJSE_SE_EEES9_SG_JZNS1_25segmented_radix_sort_implINS0_14default_configELb0EPKfPfPKlPlN2at6native12_GLOBAL__N_18offset_tEEE10hipError_tPvRmT1_PNSt15iterator_traitsISY_E10value_typeET2_T3_PNSZ_IS14_E10value_typeET4_jRbjT5_S1A_jjP12ihipStream_tbEUljE_EEESV_SW_SX_S14_S18_S1A_T6_T7_T9_mT8_S1C_bDpT10_ENKUlT_T0_E_clISt17integral_constantIbLb0EES1P_EEDaS1K_S1L_EUlS1K_E_NS1_11comp_targetILNS1_3genE10ELNS1_11target_archE1200ELNS1_3gpuE4ELNS1_3repE0EEENS1_30default_config_static_selectorELNS0_4arch9wavefront6targetE1EEEvSY_,comdat
	.globl	_ZN7rocprim17ROCPRIM_400000_NS6detail17trampoline_kernelINS0_13select_configILj256ELj13ELNS0_17block_load_methodE3ELS4_3ELS4_3ELNS0_20block_scan_algorithmE0ELj4294967295EEENS1_25partition_config_selectorILNS1_17partition_subalgoE3EjNS0_10empty_typeEbEEZZNS1_14partition_implILS8_3ELb0ES6_jNS0_17counting_iteratorIjlEEPS9_SE_NS0_5tupleIJPjSE_EEENSF_IJSE_SE_EEES9_SG_JZNS1_25segmented_radix_sort_implINS0_14default_configELb0EPKfPfPKlPlN2at6native12_GLOBAL__N_18offset_tEEE10hipError_tPvRmT1_PNSt15iterator_traitsISY_E10value_typeET2_T3_PNSZ_IS14_E10value_typeET4_jRbjT5_S1A_jjP12ihipStream_tbEUljE_EEESV_SW_SX_S14_S18_S1A_T6_T7_T9_mT8_S1C_bDpT10_ENKUlT_T0_E_clISt17integral_constantIbLb0EES1P_EEDaS1K_S1L_EUlS1K_E_NS1_11comp_targetILNS1_3genE10ELNS1_11target_archE1200ELNS1_3gpuE4ELNS1_3repE0EEENS1_30default_config_static_selectorELNS0_4arch9wavefront6targetE1EEEvSY_ ; -- Begin function _ZN7rocprim17ROCPRIM_400000_NS6detail17trampoline_kernelINS0_13select_configILj256ELj13ELNS0_17block_load_methodE3ELS4_3ELS4_3ELNS0_20block_scan_algorithmE0ELj4294967295EEENS1_25partition_config_selectorILNS1_17partition_subalgoE3EjNS0_10empty_typeEbEEZZNS1_14partition_implILS8_3ELb0ES6_jNS0_17counting_iteratorIjlEEPS9_SE_NS0_5tupleIJPjSE_EEENSF_IJSE_SE_EEES9_SG_JZNS1_25segmented_radix_sort_implINS0_14default_configELb0EPKfPfPKlPlN2at6native12_GLOBAL__N_18offset_tEEE10hipError_tPvRmT1_PNSt15iterator_traitsISY_E10value_typeET2_T3_PNSZ_IS14_E10value_typeET4_jRbjT5_S1A_jjP12ihipStream_tbEUljE_EEESV_SW_SX_S14_S18_S1A_T6_T7_T9_mT8_S1C_bDpT10_ENKUlT_T0_E_clISt17integral_constantIbLb0EES1P_EEDaS1K_S1L_EUlS1K_E_NS1_11comp_targetILNS1_3genE10ELNS1_11target_archE1200ELNS1_3gpuE4ELNS1_3repE0EEENS1_30default_config_static_selectorELNS0_4arch9wavefront6targetE1EEEvSY_
	.p2align	8
	.type	_ZN7rocprim17ROCPRIM_400000_NS6detail17trampoline_kernelINS0_13select_configILj256ELj13ELNS0_17block_load_methodE3ELS4_3ELS4_3ELNS0_20block_scan_algorithmE0ELj4294967295EEENS1_25partition_config_selectorILNS1_17partition_subalgoE3EjNS0_10empty_typeEbEEZZNS1_14partition_implILS8_3ELb0ES6_jNS0_17counting_iteratorIjlEEPS9_SE_NS0_5tupleIJPjSE_EEENSF_IJSE_SE_EEES9_SG_JZNS1_25segmented_radix_sort_implINS0_14default_configELb0EPKfPfPKlPlN2at6native12_GLOBAL__N_18offset_tEEE10hipError_tPvRmT1_PNSt15iterator_traitsISY_E10value_typeET2_T3_PNSZ_IS14_E10value_typeET4_jRbjT5_S1A_jjP12ihipStream_tbEUljE_EEESV_SW_SX_S14_S18_S1A_T6_T7_T9_mT8_S1C_bDpT10_ENKUlT_T0_E_clISt17integral_constantIbLb0EES1P_EEDaS1K_S1L_EUlS1K_E_NS1_11comp_targetILNS1_3genE10ELNS1_11target_archE1200ELNS1_3gpuE4ELNS1_3repE0EEENS1_30default_config_static_selectorELNS0_4arch9wavefront6targetE1EEEvSY_,@function
_ZN7rocprim17ROCPRIM_400000_NS6detail17trampoline_kernelINS0_13select_configILj256ELj13ELNS0_17block_load_methodE3ELS4_3ELS4_3ELNS0_20block_scan_algorithmE0ELj4294967295EEENS1_25partition_config_selectorILNS1_17partition_subalgoE3EjNS0_10empty_typeEbEEZZNS1_14partition_implILS8_3ELb0ES6_jNS0_17counting_iteratorIjlEEPS9_SE_NS0_5tupleIJPjSE_EEENSF_IJSE_SE_EEES9_SG_JZNS1_25segmented_radix_sort_implINS0_14default_configELb0EPKfPfPKlPlN2at6native12_GLOBAL__N_18offset_tEEE10hipError_tPvRmT1_PNSt15iterator_traitsISY_E10value_typeET2_T3_PNSZ_IS14_E10value_typeET4_jRbjT5_S1A_jjP12ihipStream_tbEUljE_EEESV_SW_SX_S14_S18_S1A_T6_T7_T9_mT8_S1C_bDpT10_ENKUlT_T0_E_clISt17integral_constantIbLb0EES1P_EEDaS1K_S1L_EUlS1K_E_NS1_11comp_targetILNS1_3genE10ELNS1_11target_archE1200ELNS1_3gpuE4ELNS1_3repE0EEENS1_30default_config_static_selectorELNS0_4arch9wavefront6targetE1EEEvSY_: ; @_ZN7rocprim17ROCPRIM_400000_NS6detail17trampoline_kernelINS0_13select_configILj256ELj13ELNS0_17block_load_methodE3ELS4_3ELS4_3ELNS0_20block_scan_algorithmE0ELj4294967295EEENS1_25partition_config_selectorILNS1_17partition_subalgoE3EjNS0_10empty_typeEbEEZZNS1_14partition_implILS8_3ELb0ES6_jNS0_17counting_iteratorIjlEEPS9_SE_NS0_5tupleIJPjSE_EEENSF_IJSE_SE_EEES9_SG_JZNS1_25segmented_radix_sort_implINS0_14default_configELb0EPKfPfPKlPlN2at6native12_GLOBAL__N_18offset_tEEE10hipError_tPvRmT1_PNSt15iterator_traitsISY_E10value_typeET2_T3_PNSZ_IS14_E10value_typeET4_jRbjT5_S1A_jjP12ihipStream_tbEUljE_EEESV_SW_SX_S14_S18_S1A_T6_T7_T9_mT8_S1C_bDpT10_ENKUlT_T0_E_clISt17integral_constantIbLb0EES1P_EEDaS1K_S1L_EUlS1K_E_NS1_11comp_targetILNS1_3genE10ELNS1_11target_archE1200ELNS1_3gpuE4ELNS1_3repE0EEENS1_30default_config_static_selectorELNS0_4arch9wavefront6targetE1EEEvSY_
; %bb.0:
	.section	.rodata,"a",@progbits
	.p2align	6, 0x0
	.amdhsa_kernel _ZN7rocprim17ROCPRIM_400000_NS6detail17trampoline_kernelINS0_13select_configILj256ELj13ELNS0_17block_load_methodE3ELS4_3ELS4_3ELNS0_20block_scan_algorithmE0ELj4294967295EEENS1_25partition_config_selectorILNS1_17partition_subalgoE3EjNS0_10empty_typeEbEEZZNS1_14partition_implILS8_3ELb0ES6_jNS0_17counting_iteratorIjlEEPS9_SE_NS0_5tupleIJPjSE_EEENSF_IJSE_SE_EEES9_SG_JZNS1_25segmented_radix_sort_implINS0_14default_configELb0EPKfPfPKlPlN2at6native12_GLOBAL__N_18offset_tEEE10hipError_tPvRmT1_PNSt15iterator_traitsISY_E10value_typeET2_T3_PNSZ_IS14_E10value_typeET4_jRbjT5_S1A_jjP12ihipStream_tbEUljE_EEESV_SW_SX_S14_S18_S1A_T6_T7_T9_mT8_S1C_bDpT10_ENKUlT_T0_E_clISt17integral_constantIbLb0EES1P_EEDaS1K_S1L_EUlS1K_E_NS1_11comp_targetILNS1_3genE10ELNS1_11target_archE1200ELNS1_3gpuE4ELNS1_3repE0EEENS1_30default_config_static_selectorELNS0_4arch9wavefront6targetE1EEEvSY_
		.amdhsa_group_segment_fixed_size 0
		.amdhsa_private_segment_fixed_size 0
		.amdhsa_kernarg_size 144
		.amdhsa_user_sgpr_count 6
		.amdhsa_user_sgpr_private_segment_buffer 1
		.amdhsa_user_sgpr_dispatch_ptr 0
		.amdhsa_user_sgpr_queue_ptr 0
		.amdhsa_user_sgpr_kernarg_segment_ptr 1
		.amdhsa_user_sgpr_dispatch_id 0
		.amdhsa_user_sgpr_flat_scratch_init 0
		.amdhsa_user_sgpr_kernarg_preload_length 0
		.amdhsa_user_sgpr_kernarg_preload_offset 0
		.amdhsa_user_sgpr_private_segment_size 0
		.amdhsa_uses_dynamic_stack 0
		.amdhsa_system_sgpr_private_segment_wavefront_offset 0
		.amdhsa_system_sgpr_workgroup_id_x 1
		.amdhsa_system_sgpr_workgroup_id_y 0
		.amdhsa_system_sgpr_workgroup_id_z 0
		.amdhsa_system_sgpr_workgroup_info 0
		.amdhsa_system_vgpr_workitem_id 0
		.amdhsa_next_free_vgpr 1
		.amdhsa_next_free_sgpr 0
		.amdhsa_accum_offset 4
		.amdhsa_reserve_vcc 0
		.amdhsa_reserve_flat_scratch 0
		.amdhsa_float_round_mode_32 0
		.amdhsa_float_round_mode_16_64 0
		.amdhsa_float_denorm_mode_32 3
		.amdhsa_float_denorm_mode_16_64 3
		.amdhsa_dx10_clamp 1
		.amdhsa_ieee_mode 1
		.amdhsa_fp16_overflow 0
		.amdhsa_tg_split 0
		.amdhsa_exception_fp_ieee_invalid_op 0
		.amdhsa_exception_fp_denorm_src 0
		.amdhsa_exception_fp_ieee_div_zero 0
		.amdhsa_exception_fp_ieee_overflow 0
		.amdhsa_exception_fp_ieee_underflow 0
		.amdhsa_exception_fp_ieee_inexact 0
		.amdhsa_exception_int_div_zero 0
	.end_amdhsa_kernel
	.section	.text._ZN7rocprim17ROCPRIM_400000_NS6detail17trampoline_kernelINS0_13select_configILj256ELj13ELNS0_17block_load_methodE3ELS4_3ELS4_3ELNS0_20block_scan_algorithmE0ELj4294967295EEENS1_25partition_config_selectorILNS1_17partition_subalgoE3EjNS0_10empty_typeEbEEZZNS1_14partition_implILS8_3ELb0ES6_jNS0_17counting_iteratorIjlEEPS9_SE_NS0_5tupleIJPjSE_EEENSF_IJSE_SE_EEES9_SG_JZNS1_25segmented_radix_sort_implINS0_14default_configELb0EPKfPfPKlPlN2at6native12_GLOBAL__N_18offset_tEEE10hipError_tPvRmT1_PNSt15iterator_traitsISY_E10value_typeET2_T3_PNSZ_IS14_E10value_typeET4_jRbjT5_S1A_jjP12ihipStream_tbEUljE_EEESV_SW_SX_S14_S18_S1A_T6_T7_T9_mT8_S1C_bDpT10_ENKUlT_T0_E_clISt17integral_constantIbLb0EES1P_EEDaS1K_S1L_EUlS1K_E_NS1_11comp_targetILNS1_3genE10ELNS1_11target_archE1200ELNS1_3gpuE4ELNS1_3repE0EEENS1_30default_config_static_selectorELNS0_4arch9wavefront6targetE1EEEvSY_,"axG",@progbits,_ZN7rocprim17ROCPRIM_400000_NS6detail17trampoline_kernelINS0_13select_configILj256ELj13ELNS0_17block_load_methodE3ELS4_3ELS4_3ELNS0_20block_scan_algorithmE0ELj4294967295EEENS1_25partition_config_selectorILNS1_17partition_subalgoE3EjNS0_10empty_typeEbEEZZNS1_14partition_implILS8_3ELb0ES6_jNS0_17counting_iteratorIjlEEPS9_SE_NS0_5tupleIJPjSE_EEENSF_IJSE_SE_EEES9_SG_JZNS1_25segmented_radix_sort_implINS0_14default_configELb0EPKfPfPKlPlN2at6native12_GLOBAL__N_18offset_tEEE10hipError_tPvRmT1_PNSt15iterator_traitsISY_E10value_typeET2_T3_PNSZ_IS14_E10value_typeET4_jRbjT5_S1A_jjP12ihipStream_tbEUljE_EEESV_SW_SX_S14_S18_S1A_T6_T7_T9_mT8_S1C_bDpT10_ENKUlT_T0_E_clISt17integral_constantIbLb0EES1P_EEDaS1K_S1L_EUlS1K_E_NS1_11comp_targetILNS1_3genE10ELNS1_11target_archE1200ELNS1_3gpuE4ELNS1_3repE0EEENS1_30default_config_static_selectorELNS0_4arch9wavefront6targetE1EEEvSY_,comdat
.Lfunc_end1399:
	.size	_ZN7rocprim17ROCPRIM_400000_NS6detail17trampoline_kernelINS0_13select_configILj256ELj13ELNS0_17block_load_methodE3ELS4_3ELS4_3ELNS0_20block_scan_algorithmE0ELj4294967295EEENS1_25partition_config_selectorILNS1_17partition_subalgoE3EjNS0_10empty_typeEbEEZZNS1_14partition_implILS8_3ELb0ES6_jNS0_17counting_iteratorIjlEEPS9_SE_NS0_5tupleIJPjSE_EEENSF_IJSE_SE_EEES9_SG_JZNS1_25segmented_radix_sort_implINS0_14default_configELb0EPKfPfPKlPlN2at6native12_GLOBAL__N_18offset_tEEE10hipError_tPvRmT1_PNSt15iterator_traitsISY_E10value_typeET2_T3_PNSZ_IS14_E10value_typeET4_jRbjT5_S1A_jjP12ihipStream_tbEUljE_EEESV_SW_SX_S14_S18_S1A_T6_T7_T9_mT8_S1C_bDpT10_ENKUlT_T0_E_clISt17integral_constantIbLb0EES1P_EEDaS1K_S1L_EUlS1K_E_NS1_11comp_targetILNS1_3genE10ELNS1_11target_archE1200ELNS1_3gpuE4ELNS1_3repE0EEENS1_30default_config_static_selectorELNS0_4arch9wavefront6targetE1EEEvSY_, .Lfunc_end1399-_ZN7rocprim17ROCPRIM_400000_NS6detail17trampoline_kernelINS0_13select_configILj256ELj13ELNS0_17block_load_methodE3ELS4_3ELS4_3ELNS0_20block_scan_algorithmE0ELj4294967295EEENS1_25partition_config_selectorILNS1_17partition_subalgoE3EjNS0_10empty_typeEbEEZZNS1_14partition_implILS8_3ELb0ES6_jNS0_17counting_iteratorIjlEEPS9_SE_NS0_5tupleIJPjSE_EEENSF_IJSE_SE_EEES9_SG_JZNS1_25segmented_radix_sort_implINS0_14default_configELb0EPKfPfPKlPlN2at6native12_GLOBAL__N_18offset_tEEE10hipError_tPvRmT1_PNSt15iterator_traitsISY_E10value_typeET2_T3_PNSZ_IS14_E10value_typeET4_jRbjT5_S1A_jjP12ihipStream_tbEUljE_EEESV_SW_SX_S14_S18_S1A_T6_T7_T9_mT8_S1C_bDpT10_ENKUlT_T0_E_clISt17integral_constantIbLb0EES1P_EEDaS1K_S1L_EUlS1K_E_NS1_11comp_targetILNS1_3genE10ELNS1_11target_archE1200ELNS1_3gpuE4ELNS1_3repE0EEENS1_30default_config_static_selectorELNS0_4arch9wavefront6targetE1EEEvSY_
                                        ; -- End function
	.section	.AMDGPU.csdata,"",@progbits
; Kernel info:
; codeLenInByte = 0
; NumSgprs: 4
; NumVgprs: 0
; NumAgprs: 0
; TotalNumVgprs: 0
; ScratchSize: 0
; MemoryBound: 0
; FloatMode: 240
; IeeeMode: 1
; LDSByteSize: 0 bytes/workgroup (compile time only)
; SGPRBlocks: 0
; VGPRBlocks: 0
; NumSGPRsForWavesPerEU: 4
; NumVGPRsForWavesPerEU: 1
; AccumOffset: 4
; Occupancy: 8
; WaveLimiterHint : 0
; COMPUTE_PGM_RSRC2:SCRATCH_EN: 0
; COMPUTE_PGM_RSRC2:USER_SGPR: 6
; COMPUTE_PGM_RSRC2:TRAP_HANDLER: 0
; COMPUTE_PGM_RSRC2:TGID_X_EN: 1
; COMPUTE_PGM_RSRC2:TGID_Y_EN: 0
; COMPUTE_PGM_RSRC2:TGID_Z_EN: 0
; COMPUTE_PGM_RSRC2:TIDIG_COMP_CNT: 0
; COMPUTE_PGM_RSRC3_GFX90A:ACCUM_OFFSET: 0
; COMPUTE_PGM_RSRC3_GFX90A:TG_SPLIT: 0
	.section	.text._ZN7rocprim17ROCPRIM_400000_NS6detail17trampoline_kernelINS0_13select_configILj256ELj13ELNS0_17block_load_methodE3ELS4_3ELS4_3ELNS0_20block_scan_algorithmE0ELj4294967295EEENS1_25partition_config_selectorILNS1_17partition_subalgoE3EjNS0_10empty_typeEbEEZZNS1_14partition_implILS8_3ELb0ES6_jNS0_17counting_iteratorIjlEEPS9_SE_NS0_5tupleIJPjSE_EEENSF_IJSE_SE_EEES9_SG_JZNS1_25segmented_radix_sort_implINS0_14default_configELb0EPKfPfPKlPlN2at6native12_GLOBAL__N_18offset_tEEE10hipError_tPvRmT1_PNSt15iterator_traitsISY_E10value_typeET2_T3_PNSZ_IS14_E10value_typeET4_jRbjT5_S1A_jjP12ihipStream_tbEUljE_EEESV_SW_SX_S14_S18_S1A_T6_T7_T9_mT8_S1C_bDpT10_ENKUlT_T0_E_clISt17integral_constantIbLb0EES1P_EEDaS1K_S1L_EUlS1K_E_NS1_11comp_targetILNS1_3genE9ELNS1_11target_archE1100ELNS1_3gpuE3ELNS1_3repE0EEENS1_30default_config_static_selectorELNS0_4arch9wavefront6targetE1EEEvSY_,"axG",@progbits,_ZN7rocprim17ROCPRIM_400000_NS6detail17trampoline_kernelINS0_13select_configILj256ELj13ELNS0_17block_load_methodE3ELS4_3ELS4_3ELNS0_20block_scan_algorithmE0ELj4294967295EEENS1_25partition_config_selectorILNS1_17partition_subalgoE3EjNS0_10empty_typeEbEEZZNS1_14partition_implILS8_3ELb0ES6_jNS0_17counting_iteratorIjlEEPS9_SE_NS0_5tupleIJPjSE_EEENSF_IJSE_SE_EEES9_SG_JZNS1_25segmented_radix_sort_implINS0_14default_configELb0EPKfPfPKlPlN2at6native12_GLOBAL__N_18offset_tEEE10hipError_tPvRmT1_PNSt15iterator_traitsISY_E10value_typeET2_T3_PNSZ_IS14_E10value_typeET4_jRbjT5_S1A_jjP12ihipStream_tbEUljE_EEESV_SW_SX_S14_S18_S1A_T6_T7_T9_mT8_S1C_bDpT10_ENKUlT_T0_E_clISt17integral_constantIbLb0EES1P_EEDaS1K_S1L_EUlS1K_E_NS1_11comp_targetILNS1_3genE9ELNS1_11target_archE1100ELNS1_3gpuE3ELNS1_3repE0EEENS1_30default_config_static_selectorELNS0_4arch9wavefront6targetE1EEEvSY_,comdat
	.globl	_ZN7rocprim17ROCPRIM_400000_NS6detail17trampoline_kernelINS0_13select_configILj256ELj13ELNS0_17block_load_methodE3ELS4_3ELS4_3ELNS0_20block_scan_algorithmE0ELj4294967295EEENS1_25partition_config_selectorILNS1_17partition_subalgoE3EjNS0_10empty_typeEbEEZZNS1_14partition_implILS8_3ELb0ES6_jNS0_17counting_iteratorIjlEEPS9_SE_NS0_5tupleIJPjSE_EEENSF_IJSE_SE_EEES9_SG_JZNS1_25segmented_radix_sort_implINS0_14default_configELb0EPKfPfPKlPlN2at6native12_GLOBAL__N_18offset_tEEE10hipError_tPvRmT1_PNSt15iterator_traitsISY_E10value_typeET2_T3_PNSZ_IS14_E10value_typeET4_jRbjT5_S1A_jjP12ihipStream_tbEUljE_EEESV_SW_SX_S14_S18_S1A_T6_T7_T9_mT8_S1C_bDpT10_ENKUlT_T0_E_clISt17integral_constantIbLb0EES1P_EEDaS1K_S1L_EUlS1K_E_NS1_11comp_targetILNS1_3genE9ELNS1_11target_archE1100ELNS1_3gpuE3ELNS1_3repE0EEENS1_30default_config_static_selectorELNS0_4arch9wavefront6targetE1EEEvSY_ ; -- Begin function _ZN7rocprim17ROCPRIM_400000_NS6detail17trampoline_kernelINS0_13select_configILj256ELj13ELNS0_17block_load_methodE3ELS4_3ELS4_3ELNS0_20block_scan_algorithmE0ELj4294967295EEENS1_25partition_config_selectorILNS1_17partition_subalgoE3EjNS0_10empty_typeEbEEZZNS1_14partition_implILS8_3ELb0ES6_jNS0_17counting_iteratorIjlEEPS9_SE_NS0_5tupleIJPjSE_EEENSF_IJSE_SE_EEES9_SG_JZNS1_25segmented_radix_sort_implINS0_14default_configELb0EPKfPfPKlPlN2at6native12_GLOBAL__N_18offset_tEEE10hipError_tPvRmT1_PNSt15iterator_traitsISY_E10value_typeET2_T3_PNSZ_IS14_E10value_typeET4_jRbjT5_S1A_jjP12ihipStream_tbEUljE_EEESV_SW_SX_S14_S18_S1A_T6_T7_T9_mT8_S1C_bDpT10_ENKUlT_T0_E_clISt17integral_constantIbLb0EES1P_EEDaS1K_S1L_EUlS1K_E_NS1_11comp_targetILNS1_3genE9ELNS1_11target_archE1100ELNS1_3gpuE3ELNS1_3repE0EEENS1_30default_config_static_selectorELNS0_4arch9wavefront6targetE1EEEvSY_
	.p2align	8
	.type	_ZN7rocprim17ROCPRIM_400000_NS6detail17trampoline_kernelINS0_13select_configILj256ELj13ELNS0_17block_load_methodE3ELS4_3ELS4_3ELNS0_20block_scan_algorithmE0ELj4294967295EEENS1_25partition_config_selectorILNS1_17partition_subalgoE3EjNS0_10empty_typeEbEEZZNS1_14partition_implILS8_3ELb0ES6_jNS0_17counting_iteratorIjlEEPS9_SE_NS0_5tupleIJPjSE_EEENSF_IJSE_SE_EEES9_SG_JZNS1_25segmented_radix_sort_implINS0_14default_configELb0EPKfPfPKlPlN2at6native12_GLOBAL__N_18offset_tEEE10hipError_tPvRmT1_PNSt15iterator_traitsISY_E10value_typeET2_T3_PNSZ_IS14_E10value_typeET4_jRbjT5_S1A_jjP12ihipStream_tbEUljE_EEESV_SW_SX_S14_S18_S1A_T6_T7_T9_mT8_S1C_bDpT10_ENKUlT_T0_E_clISt17integral_constantIbLb0EES1P_EEDaS1K_S1L_EUlS1K_E_NS1_11comp_targetILNS1_3genE9ELNS1_11target_archE1100ELNS1_3gpuE3ELNS1_3repE0EEENS1_30default_config_static_selectorELNS0_4arch9wavefront6targetE1EEEvSY_,@function
_ZN7rocprim17ROCPRIM_400000_NS6detail17trampoline_kernelINS0_13select_configILj256ELj13ELNS0_17block_load_methodE3ELS4_3ELS4_3ELNS0_20block_scan_algorithmE0ELj4294967295EEENS1_25partition_config_selectorILNS1_17partition_subalgoE3EjNS0_10empty_typeEbEEZZNS1_14partition_implILS8_3ELb0ES6_jNS0_17counting_iteratorIjlEEPS9_SE_NS0_5tupleIJPjSE_EEENSF_IJSE_SE_EEES9_SG_JZNS1_25segmented_radix_sort_implINS0_14default_configELb0EPKfPfPKlPlN2at6native12_GLOBAL__N_18offset_tEEE10hipError_tPvRmT1_PNSt15iterator_traitsISY_E10value_typeET2_T3_PNSZ_IS14_E10value_typeET4_jRbjT5_S1A_jjP12ihipStream_tbEUljE_EEESV_SW_SX_S14_S18_S1A_T6_T7_T9_mT8_S1C_bDpT10_ENKUlT_T0_E_clISt17integral_constantIbLb0EES1P_EEDaS1K_S1L_EUlS1K_E_NS1_11comp_targetILNS1_3genE9ELNS1_11target_archE1100ELNS1_3gpuE3ELNS1_3repE0EEENS1_30default_config_static_selectorELNS0_4arch9wavefront6targetE1EEEvSY_: ; @_ZN7rocprim17ROCPRIM_400000_NS6detail17trampoline_kernelINS0_13select_configILj256ELj13ELNS0_17block_load_methodE3ELS4_3ELS4_3ELNS0_20block_scan_algorithmE0ELj4294967295EEENS1_25partition_config_selectorILNS1_17partition_subalgoE3EjNS0_10empty_typeEbEEZZNS1_14partition_implILS8_3ELb0ES6_jNS0_17counting_iteratorIjlEEPS9_SE_NS0_5tupleIJPjSE_EEENSF_IJSE_SE_EEES9_SG_JZNS1_25segmented_radix_sort_implINS0_14default_configELb0EPKfPfPKlPlN2at6native12_GLOBAL__N_18offset_tEEE10hipError_tPvRmT1_PNSt15iterator_traitsISY_E10value_typeET2_T3_PNSZ_IS14_E10value_typeET4_jRbjT5_S1A_jjP12ihipStream_tbEUljE_EEESV_SW_SX_S14_S18_S1A_T6_T7_T9_mT8_S1C_bDpT10_ENKUlT_T0_E_clISt17integral_constantIbLb0EES1P_EEDaS1K_S1L_EUlS1K_E_NS1_11comp_targetILNS1_3genE9ELNS1_11target_archE1100ELNS1_3gpuE3ELNS1_3repE0EEENS1_30default_config_static_selectorELNS0_4arch9wavefront6targetE1EEEvSY_
; %bb.0:
	.section	.rodata,"a",@progbits
	.p2align	6, 0x0
	.amdhsa_kernel _ZN7rocprim17ROCPRIM_400000_NS6detail17trampoline_kernelINS0_13select_configILj256ELj13ELNS0_17block_load_methodE3ELS4_3ELS4_3ELNS0_20block_scan_algorithmE0ELj4294967295EEENS1_25partition_config_selectorILNS1_17partition_subalgoE3EjNS0_10empty_typeEbEEZZNS1_14partition_implILS8_3ELb0ES6_jNS0_17counting_iteratorIjlEEPS9_SE_NS0_5tupleIJPjSE_EEENSF_IJSE_SE_EEES9_SG_JZNS1_25segmented_radix_sort_implINS0_14default_configELb0EPKfPfPKlPlN2at6native12_GLOBAL__N_18offset_tEEE10hipError_tPvRmT1_PNSt15iterator_traitsISY_E10value_typeET2_T3_PNSZ_IS14_E10value_typeET4_jRbjT5_S1A_jjP12ihipStream_tbEUljE_EEESV_SW_SX_S14_S18_S1A_T6_T7_T9_mT8_S1C_bDpT10_ENKUlT_T0_E_clISt17integral_constantIbLb0EES1P_EEDaS1K_S1L_EUlS1K_E_NS1_11comp_targetILNS1_3genE9ELNS1_11target_archE1100ELNS1_3gpuE3ELNS1_3repE0EEENS1_30default_config_static_selectorELNS0_4arch9wavefront6targetE1EEEvSY_
		.amdhsa_group_segment_fixed_size 0
		.amdhsa_private_segment_fixed_size 0
		.amdhsa_kernarg_size 144
		.amdhsa_user_sgpr_count 6
		.amdhsa_user_sgpr_private_segment_buffer 1
		.amdhsa_user_sgpr_dispatch_ptr 0
		.amdhsa_user_sgpr_queue_ptr 0
		.amdhsa_user_sgpr_kernarg_segment_ptr 1
		.amdhsa_user_sgpr_dispatch_id 0
		.amdhsa_user_sgpr_flat_scratch_init 0
		.amdhsa_user_sgpr_kernarg_preload_length 0
		.amdhsa_user_sgpr_kernarg_preload_offset 0
		.amdhsa_user_sgpr_private_segment_size 0
		.amdhsa_uses_dynamic_stack 0
		.amdhsa_system_sgpr_private_segment_wavefront_offset 0
		.amdhsa_system_sgpr_workgroup_id_x 1
		.amdhsa_system_sgpr_workgroup_id_y 0
		.amdhsa_system_sgpr_workgroup_id_z 0
		.amdhsa_system_sgpr_workgroup_info 0
		.amdhsa_system_vgpr_workitem_id 0
		.amdhsa_next_free_vgpr 1
		.amdhsa_next_free_sgpr 0
		.amdhsa_accum_offset 4
		.amdhsa_reserve_vcc 0
		.amdhsa_reserve_flat_scratch 0
		.amdhsa_float_round_mode_32 0
		.amdhsa_float_round_mode_16_64 0
		.amdhsa_float_denorm_mode_32 3
		.amdhsa_float_denorm_mode_16_64 3
		.amdhsa_dx10_clamp 1
		.amdhsa_ieee_mode 1
		.amdhsa_fp16_overflow 0
		.amdhsa_tg_split 0
		.amdhsa_exception_fp_ieee_invalid_op 0
		.amdhsa_exception_fp_denorm_src 0
		.amdhsa_exception_fp_ieee_div_zero 0
		.amdhsa_exception_fp_ieee_overflow 0
		.amdhsa_exception_fp_ieee_underflow 0
		.amdhsa_exception_fp_ieee_inexact 0
		.amdhsa_exception_int_div_zero 0
	.end_amdhsa_kernel
	.section	.text._ZN7rocprim17ROCPRIM_400000_NS6detail17trampoline_kernelINS0_13select_configILj256ELj13ELNS0_17block_load_methodE3ELS4_3ELS4_3ELNS0_20block_scan_algorithmE0ELj4294967295EEENS1_25partition_config_selectorILNS1_17partition_subalgoE3EjNS0_10empty_typeEbEEZZNS1_14partition_implILS8_3ELb0ES6_jNS0_17counting_iteratorIjlEEPS9_SE_NS0_5tupleIJPjSE_EEENSF_IJSE_SE_EEES9_SG_JZNS1_25segmented_radix_sort_implINS0_14default_configELb0EPKfPfPKlPlN2at6native12_GLOBAL__N_18offset_tEEE10hipError_tPvRmT1_PNSt15iterator_traitsISY_E10value_typeET2_T3_PNSZ_IS14_E10value_typeET4_jRbjT5_S1A_jjP12ihipStream_tbEUljE_EEESV_SW_SX_S14_S18_S1A_T6_T7_T9_mT8_S1C_bDpT10_ENKUlT_T0_E_clISt17integral_constantIbLb0EES1P_EEDaS1K_S1L_EUlS1K_E_NS1_11comp_targetILNS1_3genE9ELNS1_11target_archE1100ELNS1_3gpuE3ELNS1_3repE0EEENS1_30default_config_static_selectorELNS0_4arch9wavefront6targetE1EEEvSY_,"axG",@progbits,_ZN7rocprim17ROCPRIM_400000_NS6detail17trampoline_kernelINS0_13select_configILj256ELj13ELNS0_17block_load_methodE3ELS4_3ELS4_3ELNS0_20block_scan_algorithmE0ELj4294967295EEENS1_25partition_config_selectorILNS1_17partition_subalgoE3EjNS0_10empty_typeEbEEZZNS1_14partition_implILS8_3ELb0ES6_jNS0_17counting_iteratorIjlEEPS9_SE_NS0_5tupleIJPjSE_EEENSF_IJSE_SE_EEES9_SG_JZNS1_25segmented_radix_sort_implINS0_14default_configELb0EPKfPfPKlPlN2at6native12_GLOBAL__N_18offset_tEEE10hipError_tPvRmT1_PNSt15iterator_traitsISY_E10value_typeET2_T3_PNSZ_IS14_E10value_typeET4_jRbjT5_S1A_jjP12ihipStream_tbEUljE_EEESV_SW_SX_S14_S18_S1A_T6_T7_T9_mT8_S1C_bDpT10_ENKUlT_T0_E_clISt17integral_constantIbLb0EES1P_EEDaS1K_S1L_EUlS1K_E_NS1_11comp_targetILNS1_3genE9ELNS1_11target_archE1100ELNS1_3gpuE3ELNS1_3repE0EEENS1_30default_config_static_selectorELNS0_4arch9wavefront6targetE1EEEvSY_,comdat
.Lfunc_end1400:
	.size	_ZN7rocprim17ROCPRIM_400000_NS6detail17trampoline_kernelINS0_13select_configILj256ELj13ELNS0_17block_load_methodE3ELS4_3ELS4_3ELNS0_20block_scan_algorithmE0ELj4294967295EEENS1_25partition_config_selectorILNS1_17partition_subalgoE3EjNS0_10empty_typeEbEEZZNS1_14partition_implILS8_3ELb0ES6_jNS0_17counting_iteratorIjlEEPS9_SE_NS0_5tupleIJPjSE_EEENSF_IJSE_SE_EEES9_SG_JZNS1_25segmented_radix_sort_implINS0_14default_configELb0EPKfPfPKlPlN2at6native12_GLOBAL__N_18offset_tEEE10hipError_tPvRmT1_PNSt15iterator_traitsISY_E10value_typeET2_T3_PNSZ_IS14_E10value_typeET4_jRbjT5_S1A_jjP12ihipStream_tbEUljE_EEESV_SW_SX_S14_S18_S1A_T6_T7_T9_mT8_S1C_bDpT10_ENKUlT_T0_E_clISt17integral_constantIbLb0EES1P_EEDaS1K_S1L_EUlS1K_E_NS1_11comp_targetILNS1_3genE9ELNS1_11target_archE1100ELNS1_3gpuE3ELNS1_3repE0EEENS1_30default_config_static_selectorELNS0_4arch9wavefront6targetE1EEEvSY_, .Lfunc_end1400-_ZN7rocprim17ROCPRIM_400000_NS6detail17trampoline_kernelINS0_13select_configILj256ELj13ELNS0_17block_load_methodE3ELS4_3ELS4_3ELNS0_20block_scan_algorithmE0ELj4294967295EEENS1_25partition_config_selectorILNS1_17partition_subalgoE3EjNS0_10empty_typeEbEEZZNS1_14partition_implILS8_3ELb0ES6_jNS0_17counting_iteratorIjlEEPS9_SE_NS0_5tupleIJPjSE_EEENSF_IJSE_SE_EEES9_SG_JZNS1_25segmented_radix_sort_implINS0_14default_configELb0EPKfPfPKlPlN2at6native12_GLOBAL__N_18offset_tEEE10hipError_tPvRmT1_PNSt15iterator_traitsISY_E10value_typeET2_T3_PNSZ_IS14_E10value_typeET4_jRbjT5_S1A_jjP12ihipStream_tbEUljE_EEESV_SW_SX_S14_S18_S1A_T6_T7_T9_mT8_S1C_bDpT10_ENKUlT_T0_E_clISt17integral_constantIbLb0EES1P_EEDaS1K_S1L_EUlS1K_E_NS1_11comp_targetILNS1_3genE9ELNS1_11target_archE1100ELNS1_3gpuE3ELNS1_3repE0EEENS1_30default_config_static_selectorELNS0_4arch9wavefront6targetE1EEEvSY_
                                        ; -- End function
	.section	.AMDGPU.csdata,"",@progbits
; Kernel info:
; codeLenInByte = 0
; NumSgprs: 4
; NumVgprs: 0
; NumAgprs: 0
; TotalNumVgprs: 0
; ScratchSize: 0
; MemoryBound: 0
; FloatMode: 240
; IeeeMode: 1
; LDSByteSize: 0 bytes/workgroup (compile time only)
; SGPRBlocks: 0
; VGPRBlocks: 0
; NumSGPRsForWavesPerEU: 4
; NumVGPRsForWavesPerEU: 1
; AccumOffset: 4
; Occupancy: 8
; WaveLimiterHint : 0
; COMPUTE_PGM_RSRC2:SCRATCH_EN: 0
; COMPUTE_PGM_RSRC2:USER_SGPR: 6
; COMPUTE_PGM_RSRC2:TRAP_HANDLER: 0
; COMPUTE_PGM_RSRC2:TGID_X_EN: 1
; COMPUTE_PGM_RSRC2:TGID_Y_EN: 0
; COMPUTE_PGM_RSRC2:TGID_Z_EN: 0
; COMPUTE_PGM_RSRC2:TIDIG_COMP_CNT: 0
; COMPUTE_PGM_RSRC3_GFX90A:ACCUM_OFFSET: 0
; COMPUTE_PGM_RSRC3_GFX90A:TG_SPLIT: 0
	.section	.text._ZN7rocprim17ROCPRIM_400000_NS6detail17trampoline_kernelINS0_13select_configILj256ELj13ELNS0_17block_load_methodE3ELS4_3ELS4_3ELNS0_20block_scan_algorithmE0ELj4294967295EEENS1_25partition_config_selectorILNS1_17partition_subalgoE3EjNS0_10empty_typeEbEEZZNS1_14partition_implILS8_3ELb0ES6_jNS0_17counting_iteratorIjlEEPS9_SE_NS0_5tupleIJPjSE_EEENSF_IJSE_SE_EEES9_SG_JZNS1_25segmented_radix_sort_implINS0_14default_configELb0EPKfPfPKlPlN2at6native12_GLOBAL__N_18offset_tEEE10hipError_tPvRmT1_PNSt15iterator_traitsISY_E10value_typeET2_T3_PNSZ_IS14_E10value_typeET4_jRbjT5_S1A_jjP12ihipStream_tbEUljE_EEESV_SW_SX_S14_S18_S1A_T6_T7_T9_mT8_S1C_bDpT10_ENKUlT_T0_E_clISt17integral_constantIbLb0EES1P_EEDaS1K_S1L_EUlS1K_E_NS1_11comp_targetILNS1_3genE8ELNS1_11target_archE1030ELNS1_3gpuE2ELNS1_3repE0EEENS1_30default_config_static_selectorELNS0_4arch9wavefront6targetE1EEEvSY_,"axG",@progbits,_ZN7rocprim17ROCPRIM_400000_NS6detail17trampoline_kernelINS0_13select_configILj256ELj13ELNS0_17block_load_methodE3ELS4_3ELS4_3ELNS0_20block_scan_algorithmE0ELj4294967295EEENS1_25partition_config_selectorILNS1_17partition_subalgoE3EjNS0_10empty_typeEbEEZZNS1_14partition_implILS8_3ELb0ES6_jNS0_17counting_iteratorIjlEEPS9_SE_NS0_5tupleIJPjSE_EEENSF_IJSE_SE_EEES9_SG_JZNS1_25segmented_radix_sort_implINS0_14default_configELb0EPKfPfPKlPlN2at6native12_GLOBAL__N_18offset_tEEE10hipError_tPvRmT1_PNSt15iterator_traitsISY_E10value_typeET2_T3_PNSZ_IS14_E10value_typeET4_jRbjT5_S1A_jjP12ihipStream_tbEUljE_EEESV_SW_SX_S14_S18_S1A_T6_T7_T9_mT8_S1C_bDpT10_ENKUlT_T0_E_clISt17integral_constantIbLb0EES1P_EEDaS1K_S1L_EUlS1K_E_NS1_11comp_targetILNS1_3genE8ELNS1_11target_archE1030ELNS1_3gpuE2ELNS1_3repE0EEENS1_30default_config_static_selectorELNS0_4arch9wavefront6targetE1EEEvSY_,comdat
	.globl	_ZN7rocprim17ROCPRIM_400000_NS6detail17trampoline_kernelINS0_13select_configILj256ELj13ELNS0_17block_load_methodE3ELS4_3ELS4_3ELNS0_20block_scan_algorithmE0ELj4294967295EEENS1_25partition_config_selectorILNS1_17partition_subalgoE3EjNS0_10empty_typeEbEEZZNS1_14partition_implILS8_3ELb0ES6_jNS0_17counting_iteratorIjlEEPS9_SE_NS0_5tupleIJPjSE_EEENSF_IJSE_SE_EEES9_SG_JZNS1_25segmented_radix_sort_implINS0_14default_configELb0EPKfPfPKlPlN2at6native12_GLOBAL__N_18offset_tEEE10hipError_tPvRmT1_PNSt15iterator_traitsISY_E10value_typeET2_T3_PNSZ_IS14_E10value_typeET4_jRbjT5_S1A_jjP12ihipStream_tbEUljE_EEESV_SW_SX_S14_S18_S1A_T6_T7_T9_mT8_S1C_bDpT10_ENKUlT_T0_E_clISt17integral_constantIbLb0EES1P_EEDaS1K_S1L_EUlS1K_E_NS1_11comp_targetILNS1_3genE8ELNS1_11target_archE1030ELNS1_3gpuE2ELNS1_3repE0EEENS1_30default_config_static_selectorELNS0_4arch9wavefront6targetE1EEEvSY_ ; -- Begin function _ZN7rocprim17ROCPRIM_400000_NS6detail17trampoline_kernelINS0_13select_configILj256ELj13ELNS0_17block_load_methodE3ELS4_3ELS4_3ELNS0_20block_scan_algorithmE0ELj4294967295EEENS1_25partition_config_selectorILNS1_17partition_subalgoE3EjNS0_10empty_typeEbEEZZNS1_14partition_implILS8_3ELb0ES6_jNS0_17counting_iteratorIjlEEPS9_SE_NS0_5tupleIJPjSE_EEENSF_IJSE_SE_EEES9_SG_JZNS1_25segmented_radix_sort_implINS0_14default_configELb0EPKfPfPKlPlN2at6native12_GLOBAL__N_18offset_tEEE10hipError_tPvRmT1_PNSt15iterator_traitsISY_E10value_typeET2_T3_PNSZ_IS14_E10value_typeET4_jRbjT5_S1A_jjP12ihipStream_tbEUljE_EEESV_SW_SX_S14_S18_S1A_T6_T7_T9_mT8_S1C_bDpT10_ENKUlT_T0_E_clISt17integral_constantIbLb0EES1P_EEDaS1K_S1L_EUlS1K_E_NS1_11comp_targetILNS1_3genE8ELNS1_11target_archE1030ELNS1_3gpuE2ELNS1_3repE0EEENS1_30default_config_static_selectorELNS0_4arch9wavefront6targetE1EEEvSY_
	.p2align	8
	.type	_ZN7rocprim17ROCPRIM_400000_NS6detail17trampoline_kernelINS0_13select_configILj256ELj13ELNS0_17block_load_methodE3ELS4_3ELS4_3ELNS0_20block_scan_algorithmE0ELj4294967295EEENS1_25partition_config_selectorILNS1_17partition_subalgoE3EjNS0_10empty_typeEbEEZZNS1_14partition_implILS8_3ELb0ES6_jNS0_17counting_iteratorIjlEEPS9_SE_NS0_5tupleIJPjSE_EEENSF_IJSE_SE_EEES9_SG_JZNS1_25segmented_radix_sort_implINS0_14default_configELb0EPKfPfPKlPlN2at6native12_GLOBAL__N_18offset_tEEE10hipError_tPvRmT1_PNSt15iterator_traitsISY_E10value_typeET2_T3_PNSZ_IS14_E10value_typeET4_jRbjT5_S1A_jjP12ihipStream_tbEUljE_EEESV_SW_SX_S14_S18_S1A_T6_T7_T9_mT8_S1C_bDpT10_ENKUlT_T0_E_clISt17integral_constantIbLb0EES1P_EEDaS1K_S1L_EUlS1K_E_NS1_11comp_targetILNS1_3genE8ELNS1_11target_archE1030ELNS1_3gpuE2ELNS1_3repE0EEENS1_30default_config_static_selectorELNS0_4arch9wavefront6targetE1EEEvSY_,@function
_ZN7rocprim17ROCPRIM_400000_NS6detail17trampoline_kernelINS0_13select_configILj256ELj13ELNS0_17block_load_methodE3ELS4_3ELS4_3ELNS0_20block_scan_algorithmE0ELj4294967295EEENS1_25partition_config_selectorILNS1_17partition_subalgoE3EjNS0_10empty_typeEbEEZZNS1_14partition_implILS8_3ELb0ES6_jNS0_17counting_iteratorIjlEEPS9_SE_NS0_5tupleIJPjSE_EEENSF_IJSE_SE_EEES9_SG_JZNS1_25segmented_radix_sort_implINS0_14default_configELb0EPKfPfPKlPlN2at6native12_GLOBAL__N_18offset_tEEE10hipError_tPvRmT1_PNSt15iterator_traitsISY_E10value_typeET2_T3_PNSZ_IS14_E10value_typeET4_jRbjT5_S1A_jjP12ihipStream_tbEUljE_EEESV_SW_SX_S14_S18_S1A_T6_T7_T9_mT8_S1C_bDpT10_ENKUlT_T0_E_clISt17integral_constantIbLb0EES1P_EEDaS1K_S1L_EUlS1K_E_NS1_11comp_targetILNS1_3genE8ELNS1_11target_archE1030ELNS1_3gpuE2ELNS1_3repE0EEENS1_30default_config_static_selectorELNS0_4arch9wavefront6targetE1EEEvSY_: ; @_ZN7rocprim17ROCPRIM_400000_NS6detail17trampoline_kernelINS0_13select_configILj256ELj13ELNS0_17block_load_methodE3ELS4_3ELS4_3ELNS0_20block_scan_algorithmE0ELj4294967295EEENS1_25partition_config_selectorILNS1_17partition_subalgoE3EjNS0_10empty_typeEbEEZZNS1_14partition_implILS8_3ELb0ES6_jNS0_17counting_iteratorIjlEEPS9_SE_NS0_5tupleIJPjSE_EEENSF_IJSE_SE_EEES9_SG_JZNS1_25segmented_radix_sort_implINS0_14default_configELb0EPKfPfPKlPlN2at6native12_GLOBAL__N_18offset_tEEE10hipError_tPvRmT1_PNSt15iterator_traitsISY_E10value_typeET2_T3_PNSZ_IS14_E10value_typeET4_jRbjT5_S1A_jjP12ihipStream_tbEUljE_EEESV_SW_SX_S14_S18_S1A_T6_T7_T9_mT8_S1C_bDpT10_ENKUlT_T0_E_clISt17integral_constantIbLb0EES1P_EEDaS1K_S1L_EUlS1K_E_NS1_11comp_targetILNS1_3genE8ELNS1_11target_archE1030ELNS1_3gpuE2ELNS1_3repE0EEENS1_30default_config_static_selectorELNS0_4arch9wavefront6targetE1EEEvSY_
; %bb.0:
	.section	.rodata,"a",@progbits
	.p2align	6, 0x0
	.amdhsa_kernel _ZN7rocprim17ROCPRIM_400000_NS6detail17trampoline_kernelINS0_13select_configILj256ELj13ELNS0_17block_load_methodE3ELS4_3ELS4_3ELNS0_20block_scan_algorithmE0ELj4294967295EEENS1_25partition_config_selectorILNS1_17partition_subalgoE3EjNS0_10empty_typeEbEEZZNS1_14partition_implILS8_3ELb0ES6_jNS0_17counting_iteratorIjlEEPS9_SE_NS0_5tupleIJPjSE_EEENSF_IJSE_SE_EEES9_SG_JZNS1_25segmented_radix_sort_implINS0_14default_configELb0EPKfPfPKlPlN2at6native12_GLOBAL__N_18offset_tEEE10hipError_tPvRmT1_PNSt15iterator_traitsISY_E10value_typeET2_T3_PNSZ_IS14_E10value_typeET4_jRbjT5_S1A_jjP12ihipStream_tbEUljE_EEESV_SW_SX_S14_S18_S1A_T6_T7_T9_mT8_S1C_bDpT10_ENKUlT_T0_E_clISt17integral_constantIbLb0EES1P_EEDaS1K_S1L_EUlS1K_E_NS1_11comp_targetILNS1_3genE8ELNS1_11target_archE1030ELNS1_3gpuE2ELNS1_3repE0EEENS1_30default_config_static_selectorELNS0_4arch9wavefront6targetE1EEEvSY_
		.amdhsa_group_segment_fixed_size 0
		.amdhsa_private_segment_fixed_size 0
		.amdhsa_kernarg_size 144
		.amdhsa_user_sgpr_count 6
		.amdhsa_user_sgpr_private_segment_buffer 1
		.amdhsa_user_sgpr_dispatch_ptr 0
		.amdhsa_user_sgpr_queue_ptr 0
		.amdhsa_user_sgpr_kernarg_segment_ptr 1
		.amdhsa_user_sgpr_dispatch_id 0
		.amdhsa_user_sgpr_flat_scratch_init 0
		.amdhsa_user_sgpr_kernarg_preload_length 0
		.amdhsa_user_sgpr_kernarg_preload_offset 0
		.amdhsa_user_sgpr_private_segment_size 0
		.amdhsa_uses_dynamic_stack 0
		.amdhsa_system_sgpr_private_segment_wavefront_offset 0
		.amdhsa_system_sgpr_workgroup_id_x 1
		.amdhsa_system_sgpr_workgroup_id_y 0
		.amdhsa_system_sgpr_workgroup_id_z 0
		.amdhsa_system_sgpr_workgroup_info 0
		.amdhsa_system_vgpr_workitem_id 0
		.amdhsa_next_free_vgpr 1
		.amdhsa_next_free_sgpr 0
		.amdhsa_accum_offset 4
		.amdhsa_reserve_vcc 0
		.amdhsa_reserve_flat_scratch 0
		.amdhsa_float_round_mode_32 0
		.amdhsa_float_round_mode_16_64 0
		.amdhsa_float_denorm_mode_32 3
		.amdhsa_float_denorm_mode_16_64 3
		.amdhsa_dx10_clamp 1
		.amdhsa_ieee_mode 1
		.amdhsa_fp16_overflow 0
		.amdhsa_tg_split 0
		.amdhsa_exception_fp_ieee_invalid_op 0
		.amdhsa_exception_fp_denorm_src 0
		.amdhsa_exception_fp_ieee_div_zero 0
		.amdhsa_exception_fp_ieee_overflow 0
		.amdhsa_exception_fp_ieee_underflow 0
		.amdhsa_exception_fp_ieee_inexact 0
		.amdhsa_exception_int_div_zero 0
	.end_amdhsa_kernel
	.section	.text._ZN7rocprim17ROCPRIM_400000_NS6detail17trampoline_kernelINS0_13select_configILj256ELj13ELNS0_17block_load_methodE3ELS4_3ELS4_3ELNS0_20block_scan_algorithmE0ELj4294967295EEENS1_25partition_config_selectorILNS1_17partition_subalgoE3EjNS0_10empty_typeEbEEZZNS1_14partition_implILS8_3ELb0ES6_jNS0_17counting_iteratorIjlEEPS9_SE_NS0_5tupleIJPjSE_EEENSF_IJSE_SE_EEES9_SG_JZNS1_25segmented_radix_sort_implINS0_14default_configELb0EPKfPfPKlPlN2at6native12_GLOBAL__N_18offset_tEEE10hipError_tPvRmT1_PNSt15iterator_traitsISY_E10value_typeET2_T3_PNSZ_IS14_E10value_typeET4_jRbjT5_S1A_jjP12ihipStream_tbEUljE_EEESV_SW_SX_S14_S18_S1A_T6_T7_T9_mT8_S1C_bDpT10_ENKUlT_T0_E_clISt17integral_constantIbLb0EES1P_EEDaS1K_S1L_EUlS1K_E_NS1_11comp_targetILNS1_3genE8ELNS1_11target_archE1030ELNS1_3gpuE2ELNS1_3repE0EEENS1_30default_config_static_selectorELNS0_4arch9wavefront6targetE1EEEvSY_,"axG",@progbits,_ZN7rocprim17ROCPRIM_400000_NS6detail17trampoline_kernelINS0_13select_configILj256ELj13ELNS0_17block_load_methodE3ELS4_3ELS4_3ELNS0_20block_scan_algorithmE0ELj4294967295EEENS1_25partition_config_selectorILNS1_17partition_subalgoE3EjNS0_10empty_typeEbEEZZNS1_14partition_implILS8_3ELb0ES6_jNS0_17counting_iteratorIjlEEPS9_SE_NS0_5tupleIJPjSE_EEENSF_IJSE_SE_EEES9_SG_JZNS1_25segmented_radix_sort_implINS0_14default_configELb0EPKfPfPKlPlN2at6native12_GLOBAL__N_18offset_tEEE10hipError_tPvRmT1_PNSt15iterator_traitsISY_E10value_typeET2_T3_PNSZ_IS14_E10value_typeET4_jRbjT5_S1A_jjP12ihipStream_tbEUljE_EEESV_SW_SX_S14_S18_S1A_T6_T7_T9_mT8_S1C_bDpT10_ENKUlT_T0_E_clISt17integral_constantIbLb0EES1P_EEDaS1K_S1L_EUlS1K_E_NS1_11comp_targetILNS1_3genE8ELNS1_11target_archE1030ELNS1_3gpuE2ELNS1_3repE0EEENS1_30default_config_static_selectorELNS0_4arch9wavefront6targetE1EEEvSY_,comdat
.Lfunc_end1401:
	.size	_ZN7rocprim17ROCPRIM_400000_NS6detail17trampoline_kernelINS0_13select_configILj256ELj13ELNS0_17block_load_methodE3ELS4_3ELS4_3ELNS0_20block_scan_algorithmE0ELj4294967295EEENS1_25partition_config_selectorILNS1_17partition_subalgoE3EjNS0_10empty_typeEbEEZZNS1_14partition_implILS8_3ELb0ES6_jNS0_17counting_iteratorIjlEEPS9_SE_NS0_5tupleIJPjSE_EEENSF_IJSE_SE_EEES9_SG_JZNS1_25segmented_radix_sort_implINS0_14default_configELb0EPKfPfPKlPlN2at6native12_GLOBAL__N_18offset_tEEE10hipError_tPvRmT1_PNSt15iterator_traitsISY_E10value_typeET2_T3_PNSZ_IS14_E10value_typeET4_jRbjT5_S1A_jjP12ihipStream_tbEUljE_EEESV_SW_SX_S14_S18_S1A_T6_T7_T9_mT8_S1C_bDpT10_ENKUlT_T0_E_clISt17integral_constantIbLb0EES1P_EEDaS1K_S1L_EUlS1K_E_NS1_11comp_targetILNS1_3genE8ELNS1_11target_archE1030ELNS1_3gpuE2ELNS1_3repE0EEENS1_30default_config_static_selectorELNS0_4arch9wavefront6targetE1EEEvSY_, .Lfunc_end1401-_ZN7rocprim17ROCPRIM_400000_NS6detail17trampoline_kernelINS0_13select_configILj256ELj13ELNS0_17block_load_methodE3ELS4_3ELS4_3ELNS0_20block_scan_algorithmE0ELj4294967295EEENS1_25partition_config_selectorILNS1_17partition_subalgoE3EjNS0_10empty_typeEbEEZZNS1_14partition_implILS8_3ELb0ES6_jNS0_17counting_iteratorIjlEEPS9_SE_NS0_5tupleIJPjSE_EEENSF_IJSE_SE_EEES9_SG_JZNS1_25segmented_radix_sort_implINS0_14default_configELb0EPKfPfPKlPlN2at6native12_GLOBAL__N_18offset_tEEE10hipError_tPvRmT1_PNSt15iterator_traitsISY_E10value_typeET2_T3_PNSZ_IS14_E10value_typeET4_jRbjT5_S1A_jjP12ihipStream_tbEUljE_EEESV_SW_SX_S14_S18_S1A_T6_T7_T9_mT8_S1C_bDpT10_ENKUlT_T0_E_clISt17integral_constantIbLb0EES1P_EEDaS1K_S1L_EUlS1K_E_NS1_11comp_targetILNS1_3genE8ELNS1_11target_archE1030ELNS1_3gpuE2ELNS1_3repE0EEENS1_30default_config_static_selectorELNS0_4arch9wavefront6targetE1EEEvSY_
                                        ; -- End function
	.section	.AMDGPU.csdata,"",@progbits
; Kernel info:
; codeLenInByte = 0
; NumSgprs: 4
; NumVgprs: 0
; NumAgprs: 0
; TotalNumVgprs: 0
; ScratchSize: 0
; MemoryBound: 0
; FloatMode: 240
; IeeeMode: 1
; LDSByteSize: 0 bytes/workgroup (compile time only)
; SGPRBlocks: 0
; VGPRBlocks: 0
; NumSGPRsForWavesPerEU: 4
; NumVGPRsForWavesPerEU: 1
; AccumOffset: 4
; Occupancy: 8
; WaveLimiterHint : 0
; COMPUTE_PGM_RSRC2:SCRATCH_EN: 0
; COMPUTE_PGM_RSRC2:USER_SGPR: 6
; COMPUTE_PGM_RSRC2:TRAP_HANDLER: 0
; COMPUTE_PGM_RSRC2:TGID_X_EN: 1
; COMPUTE_PGM_RSRC2:TGID_Y_EN: 0
; COMPUTE_PGM_RSRC2:TGID_Z_EN: 0
; COMPUTE_PGM_RSRC2:TIDIG_COMP_CNT: 0
; COMPUTE_PGM_RSRC3_GFX90A:ACCUM_OFFSET: 0
; COMPUTE_PGM_RSRC3_GFX90A:TG_SPLIT: 0
	.section	.text._ZN7rocprim17ROCPRIM_400000_NS6detail17trampoline_kernelINS0_13select_configILj256ELj13ELNS0_17block_load_methodE3ELS4_3ELS4_3ELNS0_20block_scan_algorithmE0ELj4294967295EEENS1_25partition_config_selectorILNS1_17partition_subalgoE3EjNS0_10empty_typeEbEEZZNS1_14partition_implILS8_3ELb0ES6_jNS0_17counting_iteratorIjlEEPS9_SE_NS0_5tupleIJPjSE_EEENSF_IJSE_SE_EEES9_SG_JZNS1_25segmented_radix_sort_implINS0_14default_configELb0EPKfPfPKlPlN2at6native12_GLOBAL__N_18offset_tEEE10hipError_tPvRmT1_PNSt15iterator_traitsISY_E10value_typeET2_T3_PNSZ_IS14_E10value_typeET4_jRbjT5_S1A_jjP12ihipStream_tbEUljE_EEESV_SW_SX_S14_S18_S1A_T6_T7_T9_mT8_S1C_bDpT10_ENKUlT_T0_E_clISt17integral_constantIbLb1EES1P_EEDaS1K_S1L_EUlS1K_E_NS1_11comp_targetILNS1_3genE0ELNS1_11target_archE4294967295ELNS1_3gpuE0ELNS1_3repE0EEENS1_30default_config_static_selectorELNS0_4arch9wavefront6targetE1EEEvSY_,"axG",@progbits,_ZN7rocprim17ROCPRIM_400000_NS6detail17trampoline_kernelINS0_13select_configILj256ELj13ELNS0_17block_load_methodE3ELS4_3ELS4_3ELNS0_20block_scan_algorithmE0ELj4294967295EEENS1_25partition_config_selectorILNS1_17partition_subalgoE3EjNS0_10empty_typeEbEEZZNS1_14partition_implILS8_3ELb0ES6_jNS0_17counting_iteratorIjlEEPS9_SE_NS0_5tupleIJPjSE_EEENSF_IJSE_SE_EEES9_SG_JZNS1_25segmented_radix_sort_implINS0_14default_configELb0EPKfPfPKlPlN2at6native12_GLOBAL__N_18offset_tEEE10hipError_tPvRmT1_PNSt15iterator_traitsISY_E10value_typeET2_T3_PNSZ_IS14_E10value_typeET4_jRbjT5_S1A_jjP12ihipStream_tbEUljE_EEESV_SW_SX_S14_S18_S1A_T6_T7_T9_mT8_S1C_bDpT10_ENKUlT_T0_E_clISt17integral_constantIbLb1EES1P_EEDaS1K_S1L_EUlS1K_E_NS1_11comp_targetILNS1_3genE0ELNS1_11target_archE4294967295ELNS1_3gpuE0ELNS1_3repE0EEENS1_30default_config_static_selectorELNS0_4arch9wavefront6targetE1EEEvSY_,comdat
	.globl	_ZN7rocprim17ROCPRIM_400000_NS6detail17trampoline_kernelINS0_13select_configILj256ELj13ELNS0_17block_load_methodE3ELS4_3ELS4_3ELNS0_20block_scan_algorithmE0ELj4294967295EEENS1_25partition_config_selectorILNS1_17partition_subalgoE3EjNS0_10empty_typeEbEEZZNS1_14partition_implILS8_3ELb0ES6_jNS0_17counting_iteratorIjlEEPS9_SE_NS0_5tupleIJPjSE_EEENSF_IJSE_SE_EEES9_SG_JZNS1_25segmented_radix_sort_implINS0_14default_configELb0EPKfPfPKlPlN2at6native12_GLOBAL__N_18offset_tEEE10hipError_tPvRmT1_PNSt15iterator_traitsISY_E10value_typeET2_T3_PNSZ_IS14_E10value_typeET4_jRbjT5_S1A_jjP12ihipStream_tbEUljE_EEESV_SW_SX_S14_S18_S1A_T6_T7_T9_mT8_S1C_bDpT10_ENKUlT_T0_E_clISt17integral_constantIbLb1EES1P_EEDaS1K_S1L_EUlS1K_E_NS1_11comp_targetILNS1_3genE0ELNS1_11target_archE4294967295ELNS1_3gpuE0ELNS1_3repE0EEENS1_30default_config_static_selectorELNS0_4arch9wavefront6targetE1EEEvSY_ ; -- Begin function _ZN7rocprim17ROCPRIM_400000_NS6detail17trampoline_kernelINS0_13select_configILj256ELj13ELNS0_17block_load_methodE3ELS4_3ELS4_3ELNS0_20block_scan_algorithmE0ELj4294967295EEENS1_25partition_config_selectorILNS1_17partition_subalgoE3EjNS0_10empty_typeEbEEZZNS1_14partition_implILS8_3ELb0ES6_jNS0_17counting_iteratorIjlEEPS9_SE_NS0_5tupleIJPjSE_EEENSF_IJSE_SE_EEES9_SG_JZNS1_25segmented_radix_sort_implINS0_14default_configELb0EPKfPfPKlPlN2at6native12_GLOBAL__N_18offset_tEEE10hipError_tPvRmT1_PNSt15iterator_traitsISY_E10value_typeET2_T3_PNSZ_IS14_E10value_typeET4_jRbjT5_S1A_jjP12ihipStream_tbEUljE_EEESV_SW_SX_S14_S18_S1A_T6_T7_T9_mT8_S1C_bDpT10_ENKUlT_T0_E_clISt17integral_constantIbLb1EES1P_EEDaS1K_S1L_EUlS1K_E_NS1_11comp_targetILNS1_3genE0ELNS1_11target_archE4294967295ELNS1_3gpuE0ELNS1_3repE0EEENS1_30default_config_static_selectorELNS0_4arch9wavefront6targetE1EEEvSY_
	.p2align	8
	.type	_ZN7rocprim17ROCPRIM_400000_NS6detail17trampoline_kernelINS0_13select_configILj256ELj13ELNS0_17block_load_methodE3ELS4_3ELS4_3ELNS0_20block_scan_algorithmE0ELj4294967295EEENS1_25partition_config_selectorILNS1_17partition_subalgoE3EjNS0_10empty_typeEbEEZZNS1_14partition_implILS8_3ELb0ES6_jNS0_17counting_iteratorIjlEEPS9_SE_NS0_5tupleIJPjSE_EEENSF_IJSE_SE_EEES9_SG_JZNS1_25segmented_radix_sort_implINS0_14default_configELb0EPKfPfPKlPlN2at6native12_GLOBAL__N_18offset_tEEE10hipError_tPvRmT1_PNSt15iterator_traitsISY_E10value_typeET2_T3_PNSZ_IS14_E10value_typeET4_jRbjT5_S1A_jjP12ihipStream_tbEUljE_EEESV_SW_SX_S14_S18_S1A_T6_T7_T9_mT8_S1C_bDpT10_ENKUlT_T0_E_clISt17integral_constantIbLb1EES1P_EEDaS1K_S1L_EUlS1K_E_NS1_11comp_targetILNS1_3genE0ELNS1_11target_archE4294967295ELNS1_3gpuE0ELNS1_3repE0EEENS1_30default_config_static_selectorELNS0_4arch9wavefront6targetE1EEEvSY_,@function
_ZN7rocprim17ROCPRIM_400000_NS6detail17trampoline_kernelINS0_13select_configILj256ELj13ELNS0_17block_load_methodE3ELS4_3ELS4_3ELNS0_20block_scan_algorithmE0ELj4294967295EEENS1_25partition_config_selectorILNS1_17partition_subalgoE3EjNS0_10empty_typeEbEEZZNS1_14partition_implILS8_3ELb0ES6_jNS0_17counting_iteratorIjlEEPS9_SE_NS0_5tupleIJPjSE_EEENSF_IJSE_SE_EEES9_SG_JZNS1_25segmented_radix_sort_implINS0_14default_configELb0EPKfPfPKlPlN2at6native12_GLOBAL__N_18offset_tEEE10hipError_tPvRmT1_PNSt15iterator_traitsISY_E10value_typeET2_T3_PNSZ_IS14_E10value_typeET4_jRbjT5_S1A_jjP12ihipStream_tbEUljE_EEESV_SW_SX_S14_S18_S1A_T6_T7_T9_mT8_S1C_bDpT10_ENKUlT_T0_E_clISt17integral_constantIbLb1EES1P_EEDaS1K_S1L_EUlS1K_E_NS1_11comp_targetILNS1_3genE0ELNS1_11target_archE4294967295ELNS1_3gpuE0ELNS1_3repE0EEENS1_30default_config_static_selectorELNS0_4arch9wavefront6targetE1EEEvSY_: ; @_ZN7rocprim17ROCPRIM_400000_NS6detail17trampoline_kernelINS0_13select_configILj256ELj13ELNS0_17block_load_methodE3ELS4_3ELS4_3ELNS0_20block_scan_algorithmE0ELj4294967295EEENS1_25partition_config_selectorILNS1_17partition_subalgoE3EjNS0_10empty_typeEbEEZZNS1_14partition_implILS8_3ELb0ES6_jNS0_17counting_iteratorIjlEEPS9_SE_NS0_5tupleIJPjSE_EEENSF_IJSE_SE_EEES9_SG_JZNS1_25segmented_radix_sort_implINS0_14default_configELb0EPKfPfPKlPlN2at6native12_GLOBAL__N_18offset_tEEE10hipError_tPvRmT1_PNSt15iterator_traitsISY_E10value_typeET2_T3_PNSZ_IS14_E10value_typeET4_jRbjT5_S1A_jjP12ihipStream_tbEUljE_EEESV_SW_SX_S14_S18_S1A_T6_T7_T9_mT8_S1C_bDpT10_ENKUlT_T0_E_clISt17integral_constantIbLb1EES1P_EEDaS1K_S1L_EUlS1K_E_NS1_11comp_targetILNS1_3genE0ELNS1_11target_archE4294967295ELNS1_3gpuE0ELNS1_3repE0EEENS1_30default_config_static_selectorELNS0_4arch9wavefront6targetE1EEEvSY_
; %bb.0:
	.section	.rodata,"a",@progbits
	.p2align	6, 0x0
	.amdhsa_kernel _ZN7rocprim17ROCPRIM_400000_NS6detail17trampoline_kernelINS0_13select_configILj256ELj13ELNS0_17block_load_methodE3ELS4_3ELS4_3ELNS0_20block_scan_algorithmE0ELj4294967295EEENS1_25partition_config_selectorILNS1_17partition_subalgoE3EjNS0_10empty_typeEbEEZZNS1_14partition_implILS8_3ELb0ES6_jNS0_17counting_iteratorIjlEEPS9_SE_NS0_5tupleIJPjSE_EEENSF_IJSE_SE_EEES9_SG_JZNS1_25segmented_radix_sort_implINS0_14default_configELb0EPKfPfPKlPlN2at6native12_GLOBAL__N_18offset_tEEE10hipError_tPvRmT1_PNSt15iterator_traitsISY_E10value_typeET2_T3_PNSZ_IS14_E10value_typeET4_jRbjT5_S1A_jjP12ihipStream_tbEUljE_EEESV_SW_SX_S14_S18_S1A_T6_T7_T9_mT8_S1C_bDpT10_ENKUlT_T0_E_clISt17integral_constantIbLb1EES1P_EEDaS1K_S1L_EUlS1K_E_NS1_11comp_targetILNS1_3genE0ELNS1_11target_archE4294967295ELNS1_3gpuE0ELNS1_3repE0EEENS1_30default_config_static_selectorELNS0_4arch9wavefront6targetE1EEEvSY_
		.amdhsa_group_segment_fixed_size 0
		.amdhsa_private_segment_fixed_size 0
		.amdhsa_kernarg_size 152
		.amdhsa_user_sgpr_count 6
		.amdhsa_user_sgpr_private_segment_buffer 1
		.amdhsa_user_sgpr_dispatch_ptr 0
		.amdhsa_user_sgpr_queue_ptr 0
		.amdhsa_user_sgpr_kernarg_segment_ptr 1
		.amdhsa_user_sgpr_dispatch_id 0
		.amdhsa_user_sgpr_flat_scratch_init 0
		.amdhsa_user_sgpr_kernarg_preload_length 0
		.amdhsa_user_sgpr_kernarg_preload_offset 0
		.amdhsa_user_sgpr_private_segment_size 0
		.amdhsa_uses_dynamic_stack 0
		.amdhsa_system_sgpr_private_segment_wavefront_offset 0
		.amdhsa_system_sgpr_workgroup_id_x 1
		.amdhsa_system_sgpr_workgroup_id_y 0
		.amdhsa_system_sgpr_workgroup_id_z 0
		.amdhsa_system_sgpr_workgroup_info 0
		.amdhsa_system_vgpr_workitem_id 0
		.amdhsa_next_free_vgpr 1
		.amdhsa_next_free_sgpr 0
		.amdhsa_accum_offset 4
		.amdhsa_reserve_vcc 0
		.amdhsa_reserve_flat_scratch 0
		.amdhsa_float_round_mode_32 0
		.amdhsa_float_round_mode_16_64 0
		.amdhsa_float_denorm_mode_32 3
		.amdhsa_float_denorm_mode_16_64 3
		.amdhsa_dx10_clamp 1
		.amdhsa_ieee_mode 1
		.amdhsa_fp16_overflow 0
		.amdhsa_tg_split 0
		.amdhsa_exception_fp_ieee_invalid_op 0
		.amdhsa_exception_fp_denorm_src 0
		.amdhsa_exception_fp_ieee_div_zero 0
		.amdhsa_exception_fp_ieee_overflow 0
		.amdhsa_exception_fp_ieee_underflow 0
		.amdhsa_exception_fp_ieee_inexact 0
		.amdhsa_exception_int_div_zero 0
	.end_amdhsa_kernel
	.section	.text._ZN7rocprim17ROCPRIM_400000_NS6detail17trampoline_kernelINS0_13select_configILj256ELj13ELNS0_17block_load_methodE3ELS4_3ELS4_3ELNS0_20block_scan_algorithmE0ELj4294967295EEENS1_25partition_config_selectorILNS1_17partition_subalgoE3EjNS0_10empty_typeEbEEZZNS1_14partition_implILS8_3ELb0ES6_jNS0_17counting_iteratorIjlEEPS9_SE_NS0_5tupleIJPjSE_EEENSF_IJSE_SE_EEES9_SG_JZNS1_25segmented_radix_sort_implINS0_14default_configELb0EPKfPfPKlPlN2at6native12_GLOBAL__N_18offset_tEEE10hipError_tPvRmT1_PNSt15iterator_traitsISY_E10value_typeET2_T3_PNSZ_IS14_E10value_typeET4_jRbjT5_S1A_jjP12ihipStream_tbEUljE_EEESV_SW_SX_S14_S18_S1A_T6_T7_T9_mT8_S1C_bDpT10_ENKUlT_T0_E_clISt17integral_constantIbLb1EES1P_EEDaS1K_S1L_EUlS1K_E_NS1_11comp_targetILNS1_3genE0ELNS1_11target_archE4294967295ELNS1_3gpuE0ELNS1_3repE0EEENS1_30default_config_static_selectorELNS0_4arch9wavefront6targetE1EEEvSY_,"axG",@progbits,_ZN7rocprim17ROCPRIM_400000_NS6detail17trampoline_kernelINS0_13select_configILj256ELj13ELNS0_17block_load_methodE3ELS4_3ELS4_3ELNS0_20block_scan_algorithmE0ELj4294967295EEENS1_25partition_config_selectorILNS1_17partition_subalgoE3EjNS0_10empty_typeEbEEZZNS1_14partition_implILS8_3ELb0ES6_jNS0_17counting_iteratorIjlEEPS9_SE_NS0_5tupleIJPjSE_EEENSF_IJSE_SE_EEES9_SG_JZNS1_25segmented_radix_sort_implINS0_14default_configELb0EPKfPfPKlPlN2at6native12_GLOBAL__N_18offset_tEEE10hipError_tPvRmT1_PNSt15iterator_traitsISY_E10value_typeET2_T3_PNSZ_IS14_E10value_typeET4_jRbjT5_S1A_jjP12ihipStream_tbEUljE_EEESV_SW_SX_S14_S18_S1A_T6_T7_T9_mT8_S1C_bDpT10_ENKUlT_T0_E_clISt17integral_constantIbLb1EES1P_EEDaS1K_S1L_EUlS1K_E_NS1_11comp_targetILNS1_3genE0ELNS1_11target_archE4294967295ELNS1_3gpuE0ELNS1_3repE0EEENS1_30default_config_static_selectorELNS0_4arch9wavefront6targetE1EEEvSY_,comdat
.Lfunc_end1402:
	.size	_ZN7rocprim17ROCPRIM_400000_NS6detail17trampoline_kernelINS0_13select_configILj256ELj13ELNS0_17block_load_methodE3ELS4_3ELS4_3ELNS0_20block_scan_algorithmE0ELj4294967295EEENS1_25partition_config_selectorILNS1_17partition_subalgoE3EjNS0_10empty_typeEbEEZZNS1_14partition_implILS8_3ELb0ES6_jNS0_17counting_iteratorIjlEEPS9_SE_NS0_5tupleIJPjSE_EEENSF_IJSE_SE_EEES9_SG_JZNS1_25segmented_radix_sort_implINS0_14default_configELb0EPKfPfPKlPlN2at6native12_GLOBAL__N_18offset_tEEE10hipError_tPvRmT1_PNSt15iterator_traitsISY_E10value_typeET2_T3_PNSZ_IS14_E10value_typeET4_jRbjT5_S1A_jjP12ihipStream_tbEUljE_EEESV_SW_SX_S14_S18_S1A_T6_T7_T9_mT8_S1C_bDpT10_ENKUlT_T0_E_clISt17integral_constantIbLb1EES1P_EEDaS1K_S1L_EUlS1K_E_NS1_11comp_targetILNS1_3genE0ELNS1_11target_archE4294967295ELNS1_3gpuE0ELNS1_3repE0EEENS1_30default_config_static_selectorELNS0_4arch9wavefront6targetE1EEEvSY_, .Lfunc_end1402-_ZN7rocprim17ROCPRIM_400000_NS6detail17trampoline_kernelINS0_13select_configILj256ELj13ELNS0_17block_load_methodE3ELS4_3ELS4_3ELNS0_20block_scan_algorithmE0ELj4294967295EEENS1_25partition_config_selectorILNS1_17partition_subalgoE3EjNS0_10empty_typeEbEEZZNS1_14partition_implILS8_3ELb0ES6_jNS0_17counting_iteratorIjlEEPS9_SE_NS0_5tupleIJPjSE_EEENSF_IJSE_SE_EEES9_SG_JZNS1_25segmented_radix_sort_implINS0_14default_configELb0EPKfPfPKlPlN2at6native12_GLOBAL__N_18offset_tEEE10hipError_tPvRmT1_PNSt15iterator_traitsISY_E10value_typeET2_T3_PNSZ_IS14_E10value_typeET4_jRbjT5_S1A_jjP12ihipStream_tbEUljE_EEESV_SW_SX_S14_S18_S1A_T6_T7_T9_mT8_S1C_bDpT10_ENKUlT_T0_E_clISt17integral_constantIbLb1EES1P_EEDaS1K_S1L_EUlS1K_E_NS1_11comp_targetILNS1_3genE0ELNS1_11target_archE4294967295ELNS1_3gpuE0ELNS1_3repE0EEENS1_30default_config_static_selectorELNS0_4arch9wavefront6targetE1EEEvSY_
                                        ; -- End function
	.section	.AMDGPU.csdata,"",@progbits
; Kernel info:
; codeLenInByte = 0
; NumSgprs: 4
; NumVgprs: 0
; NumAgprs: 0
; TotalNumVgprs: 0
; ScratchSize: 0
; MemoryBound: 0
; FloatMode: 240
; IeeeMode: 1
; LDSByteSize: 0 bytes/workgroup (compile time only)
; SGPRBlocks: 0
; VGPRBlocks: 0
; NumSGPRsForWavesPerEU: 4
; NumVGPRsForWavesPerEU: 1
; AccumOffset: 4
; Occupancy: 8
; WaveLimiterHint : 0
; COMPUTE_PGM_RSRC2:SCRATCH_EN: 0
; COMPUTE_PGM_RSRC2:USER_SGPR: 6
; COMPUTE_PGM_RSRC2:TRAP_HANDLER: 0
; COMPUTE_PGM_RSRC2:TGID_X_EN: 1
; COMPUTE_PGM_RSRC2:TGID_Y_EN: 0
; COMPUTE_PGM_RSRC2:TGID_Z_EN: 0
; COMPUTE_PGM_RSRC2:TIDIG_COMP_CNT: 0
; COMPUTE_PGM_RSRC3_GFX90A:ACCUM_OFFSET: 0
; COMPUTE_PGM_RSRC3_GFX90A:TG_SPLIT: 0
	.section	.text._ZN7rocprim17ROCPRIM_400000_NS6detail17trampoline_kernelINS0_13select_configILj256ELj13ELNS0_17block_load_methodE3ELS4_3ELS4_3ELNS0_20block_scan_algorithmE0ELj4294967295EEENS1_25partition_config_selectorILNS1_17partition_subalgoE3EjNS0_10empty_typeEbEEZZNS1_14partition_implILS8_3ELb0ES6_jNS0_17counting_iteratorIjlEEPS9_SE_NS0_5tupleIJPjSE_EEENSF_IJSE_SE_EEES9_SG_JZNS1_25segmented_radix_sort_implINS0_14default_configELb0EPKfPfPKlPlN2at6native12_GLOBAL__N_18offset_tEEE10hipError_tPvRmT1_PNSt15iterator_traitsISY_E10value_typeET2_T3_PNSZ_IS14_E10value_typeET4_jRbjT5_S1A_jjP12ihipStream_tbEUljE_EEESV_SW_SX_S14_S18_S1A_T6_T7_T9_mT8_S1C_bDpT10_ENKUlT_T0_E_clISt17integral_constantIbLb1EES1P_EEDaS1K_S1L_EUlS1K_E_NS1_11comp_targetILNS1_3genE5ELNS1_11target_archE942ELNS1_3gpuE9ELNS1_3repE0EEENS1_30default_config_static_selectorELNS0_4arch9wavefront6targetE1EEEvSY_,"axG",@progbits,_ZN7rocprim17ROCPRIM_400000_NS6detail17trampoline_kernelINS0_13select_configILj256ELj13ELNS0_17block_load_methodE3ELS4_3ELS4_3ELNS0_20block_scan_algorithmE0ELj4294967295EEENS1_25partition_config_selectorILNS1_17partition_subalgoE3EjNS0_10empty_typeEbEEZZNS1_14partition_implILS8_3ELb0ES6_jNS0_17counting_iteratorIjlEEPS9_SE_NS0_5tupleIJPjSE_EEENSF_IJSE_SE_EEES9_SG_JZNS1_25segmented_radix_sort_implINS0_14default_configELb0EPKfPfPKlPlN2at6native12_GLOBAL__N_18offset_tEEE10hipError_tPvRmT1_PNSt15iterator_traitsISY_E10value_typeET2_T3_PNSZ_IS14_E10value_typeET4_jRbjT5_S1A_jjP12ihipStream_tbEUljE_EEESV_SW_SX_S14_S18_S1A_T6_T7_T9_mT8_S1C_bDpT10_ENKUlT_T0_E_clISt17integral_constantIbLb1EES1P_EEDaS1K_S1L_EUlS1K_E_NS1_11comp_targetILNS1_3genE5ELNS1_11target_archE942ELNS1_3gpuE9ELNS1_3repE0EEENS1_30default_config_static_selectorELNS0_4arch9wavefront6targetE1EEEvSY_,comdat
	.globl	_ZN7rocprim17ROCPRIM_400000_NS6detail17trampoline_kernelINS0_13select_configILj256ELj13ELNS0_17block_load_methodE3ELS4_3ELS4_3ELNS0_20block_scan_algorithmE0ELj4294967295EEENS1_25partition_config_selectorILNS1_17partition_subalgoE3EjNS0_10empty_typeEbEEZZNS1_14partition_implILS8_3ELb0ES6_jNS0_17counting_iteratorIjlEEPS9_SE_NS0_5tupleIJPjSE_EEENSF_IJSE_SE_EEES9_SG_JZNS1_25segmented_radix_sort_implINS0_14default_configELb0EPKfPfPKlPlN2at6native12_GLOBAL__N_18offset_tEEE10hipError_tPvRmT1_PNSt15iterator_traitsISY_E10value_typeET2_T3_PNSZ_IS14_E10value_typeET4_jRbjT5_S1A_jjP12ihipStream_tbEUljE_EEESV_SW_SX_S14_S18_S1A_T6_T7_T9_mT8_S1C_bDpT10_ENKUlT_T0_E_clISt17integral_constantIbLb1EES1P_EEDaS1K_S1L_EUlS1K_E_NS1_11comp_targetILNS1_3genE5ELNS1_11target_archE942ELNS1_3gpuE9ELNS1_3repE0EEENS1_30default_config_static_selectorELNS0_4arch9wavefront6targetE1EEEvSY_ ; -- Begin function _ZN7rocprim17ROCPRIM_400000_NS6detail17trampoline_kernelINS0_13select_configILj256ELj13ELNS0_17block_load_methodE3ELS4_3ELS4_3ELNS0_20block_scan_algorithmE0ELj4294967295EEENS1_25partition_config_selectorILNS1_17partition_subalgoE3EjNS0_10empty_typeEbEEZZNS1_14partition_implILS8_3ELb0ES6_jNS0_17counting_iteratorIjlEEPS9_SE_NS0_5tupleIJPjSE_EEENSF_IJSE_SE_EEES9_SG_JZNS1_25segmented_radix_sort_implINS0_14default_configELb0EPKfPfPKlPlN2at6native12_GLOBAL__N_18offset_tEEE10hipError_tPvRmT1_PNSt15iterator_traitsISY_E10value_typeET2_T3_PNSZ_IS14_E10value_typeET4_jRbjT5_S1A_jjP12ihipStream_tbEUljE_EEESV_SW_SX_S14_S18_S1A_T6_T7_T9_mT8_S1C_bDpT10_ENKUlT_T0_E_clISt17integral_constantIbLb1EES1P_EEDaS1K_S1L_EUlS1K_E_NS1_11comp_targetILNS1_3genE5ELNS1_11target_archE942ELNS1_3gpuE9ELNS1_3repE0EEENS1_30default_config_static_selectorELNS0_4arch9wavefront6targetE1EEEvSY_
	.p2align	8
	.type	_ZN7rocprim17ROCPRIM_400000_NS6detail17trampoline_kernelINS0_13select_configILj256ELj13ELNS0_17block_load_methodE3ELS4_3ELS4_3ELNS0_20block_scan_algorithmE0ELj4294967295EEENS1_25partition_config_selectorILNS1_17partition_subalgoE3EjNS0_10empty_typeEbEEZZNS1_14partition_implILS8_3ELb0ES6_jNS0_17counting_iteratorIjlEEPS9_SE_NS0_5tupleIJPjSE_EEENSF_IJSE_SE_EEES9_SG_JZNS1_25segmented_radix_sort_implINS0_14default_configELb0EPKfPfPKlPlN2at6native12_GLOBAL__N_18offset_tEEE10hipError_tPvRmT1_PNSt15iterator_traitsISY_E10value_typeET2_T3_PNSZ_IS14_E10value_typeET4_jRbjT5_S1A_jjP12ihipStream_tbEUljE_EEESV_SW_SX_S14_S18_S1A_T6_T7_T9_mT8_S1C_bDpT10_ENKUlT_T0_E_clISt17integral_constantIbLb1EES1P_EEDaS1K_S1L_EUlS1K_E_NS1_11comp_targetILNS1_3genE5ELNS1_11target_archE942ELNS1_3gpuE9ELNS1_3repE0EEENS1_30default_config_static_selectorELNS0_4arch9wavefront6targetE1EEEvSY_,@function
_ZN7rocprim17ROCPRIM_400000_NS6detail17trampoline_kernelINS0_13select_configILj256ELj13ELNS0_17block_load_methodE3ELS4_3ELS4_3ELNS0_20block_scan_algorithmE0ELj4294967295EEENS1_25partition_config_selectorILNS1_17partition_subalgoE3EjNS0_10empty_typeEbEEZZNS1_14partition_implILS8_3ELb0ES6_jNS0_17counting_iteratorIjlEEPS9_SE_NS0_5tupleIJPjSE_EEENSF_IJSE_SE_EEES9_SG_JZNS1_25segmented_radix_sort_implINS0_14default_configELb0EPKfPfPKlPlN2at6native12_GLOBAL__N_18offset_tEEE10hipError_tPvRmT1_PNSt15iterator_traitsISY_E10value_typeET2_T3_PNSZ_IS14_E10value_typeET4_jRbjT5_S1A_jjP12ihipStream_tbEUljE_EEESV_SW_SX_S14_S18_S1A_T6_T7_T9_mT8_S1C_bDpT10_ENKUlT_T0_E_clISt17integral_constantIbLb1EES1P_EEDaS1K_S1L_EUlS1K_E_NS1_11comp_targetILNS1_3genE5ELNS1_11target_archE942ELNS1_3gpuE9ELNS1_3repE0EEENS1_30default_config_static_selectorELNS0_4arch9wavefront6targetE1EEEvSY_: ; @_ZN7rocprim17ROCPRIM_400000_NS6detail17trampoline_kernelINS0_13select_configILj256ELj13ELNS0_17block_load_methodE3ELS4_3ELS4_3ELNS0_20block_scan_algorithmE0ELj4294967295EEENS1_25partition_config_selectorILNS1_17partition_subalgoE3EjNS0_10empty_typeEbEEZZNS1_14partition_implILS8_3ELb0ES6_jNS0_17counting_iteratorIjlEEPS9_SE_NS0_5tupleIJPjSE_EEENSF_IJSE_SE_EEES9_SG_JZNS1_25segmented_radix_sort_implINS0_14default_configELb0EPKfPfPKlPlN2at6native12_GLOBAL__N_18offset_tEEE10hipError_tPvRmT1_PNSt15iterator_traitsISY_E10value_typeET2_T3_PNSZ_IS14_E10value_typeET4_jRbjT5_S1A_jjP12ihipStream_tbEUljE_EEESV_SW_SX_S14_S18_S1A_T6_T7_T9_mT8_S1C_bDpT10_ENKUlT_T0_E_clISt17integral_constantIbLb1EES1P_EEDaS1K_S1L_EUlS1K_E_NS1_11comp_targetILNS1_3genE5ELNS1_11target_archE942ELNS1_3gpuE9ELNS1_3repE0EEENS1_30default_config_static_selectorELNS0_4arch9wavefront6targetE1EEEvSY_
; %bb.0:
	.section	.rodata,"a",@progbits
	.p2align	6, 0x0
	.amdhsa_kernel _ZN7rocprim17ROCPRIM_400000_NS6detail17trampoline_kernelINS0_13select_configILj256ELj13ELNS0_17block_load_methodE3ELS4_3ELS4_3ELNS0_20block_scan_algorithmE0ELj4294967295EEENS1_25partition_config_selectorILNS1_17partition_subalgoE3EjNS0_10empty_typeEbEEZZNS1_14partition_implILS8_3ELb0ES6_jNS0_17counting_iteratorIjlEEPS9_SE_NS0_5tupleIJPjSE_EEENSF_IJSE_SE_EEES9_SG_JZNS1_25segmented_radix_sort_implINS0_14default_configELb0EPKfPfPKlPlN2at6native12_GLOBAL__N_18offset_tEEE10hipError_tPvRmT1_PNSt15iterator_traitsISY_E10value_typeET2_T3_PNSZ_IS14_E10value_typeET4_jRbjT5_S1A_jjP12ihipStream_tbEUljE_EEESV_SW_SX_S14_S18_S1A_T6_T7_T9_mT8_S1C_bDpT10_ENKUlT_T0_E_clISt17integral_constantIbLb1EES1P_EEDaS1K_S1L_EUlS1K_E_NS1_11comp_targetILNS1_3genE5ELNS1_11target_archE942ELNS1_3gpuE9ELNS1_3repE0EEENS1_30default_config_static_selectorELNS0_4arch9wavefront6targetE1EEEvSY_
		.amdhsa_group_segment_fixed_size 0
		.amdhsa_private_segment_fixed_size 0
		.amdhsa_kernarg_size 152
		.amdhsa_user_sgpr_count 6
		.amdhsa_user_sgpr_private_segment_buffer 1
		.amdhsa_user_sgpr_dispatch_ptr 0
		.amdhsa_user_sgpr_queue_ptr 0
		.amdhsa_user_sgpr_kernarg_segment_ptr 1
		.amdhsa_user_sgpr_dispatch_id 0
		.amdhsa_user_sgpr_flat_scratch_init 0
		.amdhsa_user_sgpr_kernarg_preload_length 0
		.amdhsa_user_sgpr_kernarg_preload_offset 0
		.amdhsa_user_sgpr_private_segment_size 0
		.amdhsa_uses_dynamic_stack 0
		.amdhsa_system_sgpr_private_segment_wavefront_offset 0
		.amdhsa_system_sgpr_workgroup_id_x 1
		.amdhsa_system_sgpr_workgroup_id_y 0
		.amdhsa_system_sgpr_workgroup_id_z 0
		.amdhsa_system_sgpr_workgroup_info 0
		.amdhsa_system_vgpr_workitem_id 0
		.amdhsa_next_free_vgpr 1
		.amdhsa_next_free_sgpr 0
		.amdhsa_accum_offset 4
		.amdhsa_reserve_vcc 0
		.amdhsa_reserve_flat_scratch 0
		.amdhsa_float_round_mode_32 0
		.amdhsa_float_round_mode_16_64 0
		.amdhsa_float_denorm_mode_32 3
		.amdhsa_float_denorm_mode_16_64 3
		.amdhsa_dx10_clamp 1
		.amdhsa_ieee_mode 1
		.amdhsa_fp16_overflow 0
		.amdhsa_tg_split 0
		.amdhsa_exception_fp_ieee_invalid_op 0
		.amdhsa_exception_fp_denorm_src 0
		.amdhsa_exception_fp_ieee_div_zero 0
		.amdhsa_exception_fp_ieee_overflow 0
		.amdhsa_exception_fp_ieee_underflow 0
		.amdhsa_exception_fp_ieee_inexact 0
		.amdhsa_exception_int_div_zero 0
	.end_amdhsa_kernel
	.section	.text._ZN7rocprim17ROCPRIM_400000_NS6detail17trampoline_kernelINS0_13select_configILj256ELj13ELNS0_17block_load_methodE3ELS4_3ELS4_3ELNS0_20block_scan_algorithmE0ELj4294967295EEENS1_25partition_config_selectorILNS1_17partition_subalgoE3EjNS0_10empty_typeEbEEZZNS1_14partition_implILS8_3ELb0ES6_jNS0_17counting_iteratorIjlEEPS9_SE_NS0_5tupleIJPjSE_EEENSF_IJSE_SE_EEES9_SG_JZNS1_25segmented_radix_sort_implINS0_14default_configELb0EPKfPfPKlPlN2at6native12_GLOBAL__N_18offset_tEEE10hipError_tPvRmT1_PNSt15iterator_traitsISY_E10value_typeET2_T3_PNSZ_IS14_E10value_typeET4_jRbjT5_S1A_jjP12ihipStream_tbEUljE_EEESV_SW_SX_S14_S18_S1A_T6_T7_T9_mT8_S1C_bDpT10_ENKUlT_T0_E_clISt17integral_constantIbLb1EES1P_EEDaS1K_S1L_EUlS1K_E_NS1_11comp_targetILNS1_3genE5ELNS1_11target_archE942ELNS1_3gpuE9ELNS1_3repE0EEENS1_30default_config_static_selectorELNS0_4arch9wavefront6targetE1EEEvSY_,"axG",@progbits,_ZN7rocprim17ROCPRIM_400000_NS6detail17trampoline_kernelINS0_13select_configILj256ELj13ELNS0_17block_load_methodE3ELS4_3ELS4_3ELNS0_20block_scan_algorithmE0ELj4294967295EEENS1_25partition_config_selectorILNS1_17partition_subalgoE3EjNS0_10empty_typeEbEEZZNS1_14partition_implILS8_3ELb0ES6_jNS0_17counting_iteratorIjlEEPS9_SE_NS0_5tupleIJPjSE_EEENSF_IJSE_SE_EEES9_SG_JZNS1_25segmented_radix_sort_implINS0_14default_configELb0EPKfPfPKlPlN2at6native12_GLOBAL__N_18offset_tEEE10hipError_tPvRmT1_PNSt15iterator_traitsISY_E10value_typeET2_T3_PNSZ_IS14_E10value_typeET4_jRbjT5_S1A_jjP12ihipStream_tbEUljE_EEESV_SW_SX_S14_S18_S1A_T6_T7_T9_mT8_S1C_bDpT10_ENKUlT_T0_E_clISt17integral_constantIbLb1EES1P_EEDaS1K_S1L_EUlS1K_E_NS1_11comp_targetILNS1_3genE5ELNS1_11target_archE942ELNS1_3gpuE9ELNS1_3repE0EEENS1_30default_config_static_selectorELNS0_4arch9wavefront6targetE1EEEvSY_,comdat
.Lfunc_end1403:
	.size	_ZN7rocprim17ROCPRIM_400000_NS6detail17trampoline_kernelINS0_13select_configILj256ELj13ELNS0_17block_load_methodE3ELS4_3ELS4_3ELNS0_20block_scan_algorithmE0ELj4294967295EEENS1_25partition_config_selectorILNS1_17partition_subalgoE3EjNS0_10empty_typeEbEEZZNS1_14partition_implILS8_3ELb0ES6_jNS0_17counting_iteratorIjlEEPS9_SE_NS0_5tupleIJPjSE_EEENSF_IJSE_SE_EEES9_SG_JZNS1_25segmented_radix_sort_implINS0_14default_configELb0EPKfPfPKlPlN2at6native12_GLOBAL__N_18offset_tEEE10hipError_tPvRmT1_PNSt15iterator_traitsISY_E10value_typeET2_T3_PNSZ_IS14_E10value_typeET4_jRbjT5_S1A_jjP12ihipStream_tbEUljE_EEESV_SW_SX_S14_S18_S1A_T6_T7_T9_mT8_S1C_bDpT10_ENKUlT_T0_E_clISt17integral_constantIbLb1EES1P_EEDaS1K_S1L_EUlS1K_E_NS1_11comp_targetILNS1_3genE5ELNS1_11target_archE942ELNS1_3gpuE9ELNS1_3repE0EEENS1_30default_config_static_selectorELNS0_4arch9wavefront6targetE1EEEvSY_, .Lfunc_end1403-_ZN7rocprim17ROCPRIM_400000_NS6detail17trampoline_kernelINS0_13select_configILj256ELj13ELNS0_17block_load_methodE3ELS4_3ELS4_3ELNS0_20block_scan_algorithmE0ELj4294967295EEENS1_25partition_config_selectorILNS1_17partition_subalgoE3EjNS0_10empty_typeEbEEZZNS1_14partition_implILS8_3ELb0ES6_jNS0_17counting_iteratorIjlEEPS9_SE_NS0_5tupleIJPjSE_EEENSF_IJSE_SE_EEES9_SG_JZNS1_25segmented_radix_sort_implINS0_14default_configELb0EPKfPfPKlPlN2at6native12_GLOBAL__N_18offset_tEEE10hipError_tPvRmT1_PNSt15iterator_traitsISY_E10value_typeET2_T3_PNSZ_IS14_E10value_typeET4_jRbjT5_S1A_jjP12ihipStream_tbEUljE_EEESV_SW_SX_S14_S18_S1A_T6_T7_T9_mT8_S1C_bDpT10_ENKUlT_T0_E_clISt17integral_constantIbLb1EES1P_EEDaS1K_S1L_EUlS1K_E_NS1_11comp_targetILNS1_3genE5ELNS1_11target_archE942ELNS1_3gpuE9ELNS1_3repE0EEENS1_30default_config_static_selectorELNS0_4arch9wavefront6targetE1EEEvSY_
                                        ; -- End function
	.section	.AMDGPU.csdata,"",@progbits
; Kernel info:
; codeLenInByte = 0
; NumSgprs: 4
; NumVgprs: 0
; NumAgprs: 0
; TotalNumVgprs: 0
; ScratchSize: 0
; MemoryBound: 0
; FloatMode: 240
; IeeeMode: 1
; LDSByteSize: 0 bytes/workgroup (compile time only)
; SGPRBlocks: 0
; VGPRBlocks: 0
; NumSGPRsForWavesPerEU: 4
; NumVGPRsForWavesPerEU: 1
; AccumOffset: 4
; Occupancy: 8
; WaveLimiterHint : 0
; COMPUTE_PGM_RSRC2:SCRATCH_EN: 0
; COMPUTE_PGM_RSRC2:USER_SGPR: 6
; COMPUTE_PGM_RSRC2:TRAP_HANDLER: 0
; COMPUTE_PGM_RSRC2:TGID_X_EN: 1
; COMPUTE_PGM_RSRC2:TGID_Y_EN: 0
; COMPUTE_PGM_RSRC2:TGID_Z_EN: 0
; COMPUTE_PGM_RSRC2:TIDIG_COMP_CNT: 0
; COMPUTE_PGM_RSRC3_GFX90A:ACCUM_OFFSET: 0
; COMPUTE_PGM_RSRC3_GFX90A:TG_SPLIT: 0
	.section	.text._ZN7rocprim17ROCPRIM_400000_NS6detail17trampoline_kernelINS0_13select_configILj256ELj13ELNS0_17block_load_methodE3ELS4_3ELS4_3ELNS0_20block_scan_algorithmE0ELj4294967295EEENS1_25partition_config_selectorILNS1_17partition_subalgoE3EjNS0_10empty_typeEbEEZZNS1_14partition_implILS8_3ELb0ES6_jNS0_17counting_iteratorIjlEEPS9_SE_NS0_5tupleIJPjSE_EEENSF_IJSE_SE_EEES9_SG_JZNS1_25segmented_radix_sort_implINS0_14default_configELb0EPKfPfPKlPlN2at6native12_GLOBAL__N_18offset_tEEE10hipError_tPvRmT1_PNSt15iterator_traitsISY_E10value_typeET2_T3_PNSZ_IS14_E10value_typeET4_jRbjT5_S1A_jjP12ihipStream_tbEUljE_EEESV_SW_SX_S14_S18_S1A_T6_T7_T9_mT8_S1C_bDpT10_ENKUlT_T0_E_clISt17integral_constantIbLb1EES1P_EEDaS1K_S1L_EUlS1K_E_NS1_11comp_targetILNS1_3genE4ELNS1_11target_archE910ELNS1_3gpuE8ELNS1_3repE0EEENS1_30default_config_static_selectorELNS0_4arch9wavefront6targetE1EEEvSY_,"axG",@progbits,_ZN7rocprim17ROCPRIM_400000_NS6detail17trampoline_kernelINS0_13select_configILj256ELj13ELNS0_17block_load_methodE3ELS4_3ELS4_3ELNS0_20block_scan_algorithmE0ELj4294967295EEENS1_25partition_config_selectorILNS1_17partition_subalgoE3EjNS0_10empty_typeEbEEZZNS1_14partition_implILS8_3ELb0ES6_jNS0_17counting_iteratorIjlEEPS9_SE_NS0_5tupleIJPjSE_EEENSF_IJSE_SE_EEES9_SG_JZNS1_25segmented_radix_sort_implINS0_14default_configELb0EPKfPfPKlPlN2at6native12_GLOBAL__N_18offset_tEEE10hipError_tPvRmT1_PNSt15iterator_traitsISY_E10value_typeET2_T3_PNSZ_IS14_E10value_typeET4_jRbjT5_S1A_jjP12ihipStream_tbEUljE_EEESV_SW_SX_S14_S18_S1A_T6_T7_T9_mT8_S1C_bDpT10_ENKUlT_T0_E_clISt17integral_constantIbLb1EES1P_EEDaS1K_S1L_EUlS1K_E_NS1_11comp_targetILNS1_3genE4ELNS1_11target_archE910ELNS1_3gpuE8ELNS1_3repE0EEENS1_30default_config_static_selectorELNS0_4arch9wavefront6targetE1EEEvSY_,comdat
	.globl	_ZN7rocprim17ROCPRIM_400000_NS6detail17trampoline_kernelINS0_13select_configILj256ELj13ELNS0_17block_load_methodE3ELS4_3ELS4_3ELNS0_20block_scan_algorithmE0ELj4294967295EEENS1_25partition_config_selectorILNS1_17partition_subalgoE3EjNS0_10empty_typeEbEEZZNS1_14partition_implILS8_3ELb0ES6_jNS0_17counting_iteratorIjlEEPS9_SE_NS0_5tupleIJPjSE_EEENSF_IJSE_SE_EEES9_SG_JZNS1_25segmented_radix_sort_implINS0_14default_configELb0EPKfPfPKlPlN2at6native12_GLOBAL__N_18offset_tEEE10hipError_tPvRmT1_PNSt15iterator_traitsISY_E10value_typeET2_T3_PNSZ_IS14_E10value_typeET4_jRbjT5_S1A_jjP12ihipStream_tbEUljE_EEESV_SW_SX_S14_S18_S1A_T6_T7_T9_mT8_S1C_bDpT10_ENKUlT_T0_E_clISt17integral_constantIbLb1EES1P_EEDaS1K_S1L_EUlS1K_E_NS1_11comp_targetILNS1_3genE4ELNS1_11target_archE910ELNS1_3gpuE8ELNS1_3repE0EEENS1_30default_config_static_selectorELNS0_4arch9wavefront6targetE1EEEvSY_ ; -- Begin function _ZN7rocprim17ROCPRIM_400000_NS6detail17trampoline_kernelINS0_13select_configILj256ELj13ELNS0_17block_load_methodE3ELS4_3ELS4_3ELNS0_20block_scan_algorithmE0ELj4294967295EEENS1_25partition_config_selectorILNS1_17partition_subalgoE3EjNS0_10empty_typeEbEEZZNS1_14partition_implILS8_3ELb0ES6_jNS0_17counting_iteratorIjlEEPS9_SE_NS0_5tupleIJPjSE_EEENSF_IJSE_SE_EEES9_SG_JZNS1_25segmented_radix_sort_implINS0_14default_configELb0EPKfPfPKlPlN2at6native12_GLOBAL__N_18offset_tEEE10hipError_tPvRmT1_PNSt15iterator_traitsISY_E10value_typeET2_T3_PNSZ_IS14_E10value_typeET4_jRbjT5_S1A_jjP12ihipStream_tbEUljE_EEESV_SW_SX_S14_S18_S1A_T6_T7_T9_mT8_S1C_bDpT10_ENKUlT_T0_E_clISt17integral_constantIbLb1EES1P_EEDaS1K_S1L_EUlS1K_E_NS1_11comp_targetILNS1_3genE4ELNS1_11target_archE910ELNS1_3gpuE8ELNS1_3repE0EEENS1_30default_config_static_selectorELNS0_4arch9wavefront6targetE1EEEvSY_
	.p2align	8
	.type	_ZN7rocprim17ROCPRIM_400000_NS6detail17trampoline_kernelINS0_13select_configILj256ELj13ELNS0_17block_load_methodE3ELS4_3ELS4_3ELNS0_20block_scan_algorithmE0ELj4294967295EEENS1_25partition_config_selectorILNS1_17partition_subalgoE3EjNS0_10empty_typeEbEEZZNS1_14partition_implILS8_3ELb0ES6_jNS0_17counting_iteratorIjlEEPS9_SE_NS0_5tupleIJPjSE_EEENSF_IJSE_SE_EEES9_SG_JZNS1_25segmented_radix_sort_implINS0_14default_configELb0EPKfPfPKlPlN2at6native12_GLOBAL__N_18offset_tEEE10hipError_tPvRmT1_PNSt15iterator_traitsISY_E10value_typeET2_T3_PNSZ_IS14_E10value_typeET4_jRbjT5_S1A_jjP12ihipStream_tbEUljE_EEESV_SW_SX_S14_S18_S1A_T6_T7_T9_mT8_S1C_bDpT10_ENKUlT_T0_E_clISt17integral_constantIbLb1EES1P_EEDaS1K_S1L_EUlS1K_E_NS1_11comp_targetILNS1_3genE4ELNS1_11target_archE910ELNS1_3gpuE8ELNS1_3repE0EEENS1_30default_config_static_selectorELNS0_4arch9wavefront6targetE1EEEvSY_,@function
_ZN7rocprim17ROCPRIM_400000_NS6detail17trampoline_kernelINS0_13select_configILj256ELj13ELNS0_17block_load_methodE3ELS4_3ELS4_3ELNS0_20block_scan_algorithmE0ELj4294967295EEENS1_25partition_config_selectorILNS1_17partition_subalgoE3EjNS0_10empty_typeEbEEZZNS1_14partition_implILS8_3ELb0ES6_jNS0_17counting_iteratorIjlEEPS9_SE_NS0_5tupleIJPjSE_EEENSF_IJSE_SE_EEES9_SG_JZNS1_25segmented_radix_sort_implINS0_14default_configELb0EPKfPfPKlPlN2at6native12_GLOBAL__N_18offset_tEEE10hipError_tPvRmT1_PNSt15iterator_traitsISY_E10value_typeET2_T3_PNSZ_IS14_E10value_typeET4_jRbjT5_S1A_jjP12ihipStream_tbEUljE_EEESV_SW_SX_S14_S18_S1A_T6_T7_T9_mT8_S1C_bDpT10_ENKUlT_T0_E_clISt17integral_constantIbLb1EES1P_EEDaS1K_S1L_EUlS1K_E_NS1_11comp_targetILNS1_3genE4ELNS1_11target_archE910ELNS1_3gpuE8ELNS1_3repE0EEENS1_30default_config_static_selectorELNS0_4arch9wavefront6targetE1EEEvSY_: ; @_ZN7rocprim17ROCPRIM_400000_NS6detail17trampoline_kernelINS0_13select_configILj256ELj13ELNS0_17block_load_methodE3ELS4_3ELS4_3ELNS0_20block_scan_algorithmE0ELj4294967295EEENS1_25partition_config_selectorILNS1_17partition_subalgoE3EjNS0_10empty_typeEbEEZZNS1_14partition_implILS8_3ELb0ES6_jNS0_17counting_iteratorIjlEEPS9_SE_NS0_5tupleIJPjSE_EEENSF_IJSE_SE_EEES9_SG_JZNS1_25segmented_radix_sort_implINS0_14default_configELb0EPKfPfPKlPlN2at6native12_GLOBAL__N_18offset_tEEE10hipError_tPvRmT1_PNSt15iterator_traitsISY_E10value_typeET2_T3_PNSZ_IS14_E10value_typeET4_jRbjT5_S1A_jjP12ihipStream_tbEUljE_EEESV_SW_SX_S14_S18_S1A_T6_T7_T9_mT8_S1C_bDpT10_ENKUlT_T0_E_clISt17integral_constantIbLb1EES1P_EEDaS1K_S1L_EUlS1K_E_NS1_11comp_targetILNS1_3genE4ELNS1_11target_archE910ELNS1_3gpuE8ELNS1_3repE0EEENS1_30default_config_static_selectorELNS0_4arch9wavefront6targetE1EEEvSY_
; %bb.0:
	s_load_dwordx2 s[28:29], s[4:5], 0x10
	s_load_dwordx2 s[24:25], s[4:5], 0x28
	;; [unrolled: 1-line block ×3, first 2 shown]
	s_load_dwordx4 s[20:23], s[4:5], 0x48
	s_load_dword s14, s[4:5], 0x90
	s_load_dwordx2 s[30:31], s[4:5], 0x68
	s_load_dwordx4 s[8:11], s[4:5], 0x80
	v_cmp_eq_u32_e64 s[0:1], 0, v0
	s_and_saveexec_b64 s[2:3], s[0:1]
	s_cbranch_execz .LBB1404_4
; %bb.1:
	s_mov_b64 s[12:13], exec
	v_mbcnt_lo_u32_b32 v1, s12, 0
	v_mbcnt_hi_u32_b32 v1, s13, v1
	v_cmp_eq_u32_e32 vcc, 0, v1
                                        ; implicit-def: $vgpr2
	s_and_saveexec_b64 s[6:7], vcc
	s_cbranch_execz .LBB1404_3
; %bb.2:
	s_load_dwordx2 s[16:17], s[4:5], 0x78
	s_bcnt1_i32_b64 s12, s[12:13]
	v_mov_b32_e32 v2, 0
	v_mov_b32_e32 v3, s12
	s_waitcnt lgkmcnt(0)
	global_atomic_add v2, v2, v3, s[16:17] glc
.LBB1404_3:
	s_or_b64 exec, exec, s[6:7]
	s_waitcnt vmcnt(0)
	v_readfirstlane_b32 s6, v2
	v_add_u32_e32 v1, s6, v1
	v_mov_b32_e32 v2, 0
	ds_write_b32 v2, v1
.LBB1404_4:
	s_or_b64 exec, exec, s[2:3]
	v_mov_b32_e32 v1, 0
	s_load_dword s2, s[4:5], 0x8
	s_load_dword s6, s[4:5], 0x70
	s_waitcnt lgkmcnt(0)
	s_barrier
	ds_read_b32 v2, v1
	s_waitcnt lgkmcnt(0)
	s_barrier
	global_load_dwordx2 v[20:21], v1, s[22:23]
	s_add_i32 s7, s2, s28
	s_movk_i32 s2, 0xd00
	s_add_i32 s4, s6, -1
	s_mulk_i32 s6, 0xd00
	v_mul_lo_u32 v1, v2, s2
	s_add_u32 s2, s28, s6
	v_readfirstlane_b32 s40, v2
	s_addc_u32 s3, s29, 0
	s_cmp_eq_u32 s40, s4
	v_pk_mov_b32 v[2:3], s[26:27], s[26:27] op_sel:[0,1]
	s_cselect_b64 s[22:23], -1, 0
	s_cmp_lg_u32 s40, s4
	v_cmp_lt_u64_e32 vcc, s[2:3], v[2:3]
	s_cselect_b64 s[2:3], -1, 0
	s_or_b64 s[4:5], vcc, s[2:3]
	v_add_u32_e32 v2, s7, v1
	s_mov_b64 s[2:3], -1
	s_and_b64 vcc, exec, s[4:5]
	v_add_u32_e32 v2, v2, v0
	v_lshlrev_b32_e32 v34, 2, v0
	s_cbranch_vccz .LBB1404_6
; %bb.5:
	v_add_u32_e32 v3, 0x100, v2
	v_add_u32_e32 v4, 0x200, v2
	v_add_u32_e32 v5, 0x300, v2
	v_add_u32_e32 v6, 0x400, v2
	v_add_u32_e32 v7, 0x500, v2
	v_add_u32_e32 v8, 0x600, v2
	v_add_u32_e32 v9, 0x700, v2
	v_add_u32_e32 v10, 0x800, v2
	v_add_u32_e32 v11, 0x900, v2
	v_add_u32_e32 v12, 0xa00, v2
	v_add_u32_e32 v13, 0xb00, v2
	v_add_u32_e32 v14, 0xc00, v2
	ds_write2st64_b32 v34, v2, v3 offset1:4
	ds_write2st64_b32 v34, v4, v5 offset0:8 offset1:12
	ds_write2st64_b32 v34, v6, v7 offset0:16 offset1:20
	;; [unrolled: 1-line block ×5, first 2 shown]
	ds_write_b32 v34, v14 offset:12288
	s_waitcnt lgkmcnt(0)
	s_barrier
	s_mov_b64 s[2:3], 0
.LBB1404_6:
	s_andn2_b64 vcc, exec, s[2:3]
	s_add_i32 s6, s6, s28
	s_cbranch_vccnz .LBB1404_8
; %bb.7:
	v_add_u32_e32 v3, 0x100, v2
	v_add_u32_e32 v4, 0x200, v2
	;; [unrolled: 1-line block ×12, first 2 shown]
	ds_write2st64_b32 v34, v2, v3 offset1:4
	ds_write2st64_b32 v34, v4, v5 offset0:8 offset1:12
	ds_write2st64_b32 v34, v6, v7 offset0:16 offset1:20
	ds_write2st64_b32 v34, v8, v9 offset0:24 offset1:28
	ds_write2st64_b32 v34, v10, v11 offset0:32 offset1:36
	ds_write2st64_b32 v34, v12, v13 offset0:40 offset1:44
	ds_write_b32 v34, v14 offset:12288
	s_waitcnt lgkmcnt(0)
	s_barrier
.LBB1404_8:
	v_mul_u32_u24_e32 v36, 13, v0
	v_lshlrev_b32_e32 v2, 2, v36
	ds_read2_b32 v[32:33], v2 offset1:1
	ds_read2_b32 v[30:31], v2 offset0:2 offset1:3
	ds_read2_b32 v[28:29], v2 offset0:4 offset1:5
	;; [unrolled: 1-line block ×5, first 2 shown]
	ds_read_b32 v35, v2 offset:48
	v_cndmask_b32_e64 v2, 0, 1, s[4:5]
	s_sub_i32 s33, s26, s6
	v_cmp_ne_u32_e64 s[2:3], 1, v2
	s_andn2_b64 vcc, exec, s[4:5]
	s_waitcnt lgkmcnt(0)
	s_barrier
	s_cbranch_vccnz .LBB1404_10
; %bb.9:
	v_add_u32_e32 v2, s9, v32
	v_add_u32_e32 v3, s11, v32
	v_mul_lo_u32 v2, v2, s8
	v_mul_lo_u32 v3, v3, s10
	v_sub_u32_e32 v2, v2, v3
	v_add_u32_e32 v3, s9, v33
	v_add_u32_e32 v4, s11, v33
	v_mul_lo_u32 v3, v3, s8
	v_mul_lo_u32 v4, v4, s10
	v_sub_u32_e32 v3, v3, v4
	;; [unrolled: 5-line block ×6, first 2 shown]
	v_add_u32_e32 v8, s9, v26
	v_add_u32_e32 v9, s11, v26
	v_mul_lo_u32 v8, v8, s8
	v_mul_lo_u32 v9, v9, s10
	v_cmp_lt_u32_e32 vcc, s14, v2
	v_sub_u32_e32 v8, v8, v9
	v_add_u32_e32 v9, s9, v27
	v_add_u32_e32 v10, s11, v27
	v_cndmask_b32_e64 v2, 0, 1, vcc
	v_cmp_lt_u32_e32 vcc, s14, v3
	v_mul_lo_u32 v9, v9, s8
	v_mul_lo_u32 v10, v10, s10
	v_cndmask_b32_e64 v3, 0, 1, vcc
	v_cmp_lt_u32_e32 vcc, s14, v4
	v_sub_u32_e32 v9, v9, v10
	v_add_u32_e32 v10, s9, v24
	v_add_u32_e32 v11, s11, v24
	v_cndmask_b32_e64 v4, 0, 1, vcc
	v_cmp_lt_u32_e32 vcc, s14, v5
	v_mul_lo_u32 v10, v10, s8
	v_mul_lo_u32 v11, v11, s10
	v_cndmask_b32_e64 v5, 0, 1, vcc
	;; [unrolled: 9-line block ×4, first 2 shown]
	v_cmp_lt_u32_e32 vcc, s14, v10
	v_sub_u32_e32 v12, v12, v13
	v_add_u32_e32 v13, s9, v23
	v_add_u32_e32 v14, s11, v23
	v_lshlrev_b16_e32 v3, 8, v3
	v_cndmask_b32_e64 v10, 0, 1, vcc
	v_cmp_lt_u32_e32 vcc, s14, v11
	v_mul_lo_u32 v13, v13, s8
	v_mul_lo_u32 v14, v14, s10
	v_or_b32_e32 v2, v2, v3
	v_lshlrev_b16_e32 v3, 8, v5
	v_cndmask_b32_e64 v11, 0, 1, vcc
	v_cmp_lt_u32_e32 vcc, s14, v12
	v_sub_u32_e32 v13, v13, v14
	v_or_b32_sdwa v3, v4, v3 dst_sel:WORD_1 dst_unused:UNUSED_PAD src0_sel:DWORD src1_sel:DWORD
	v_cndmask_b32_e64 v12, 0, 1, vcc
	v_cmp_lt_u32_e32 vcc, s14, v13
	v_add_u32_e32 v14, s9, v35
	v_add_u32_e32 v15, s11, v35
	v_or_b32_sdwa v40, v2, v3 dst_sel:DWORD dst_unused:UNUSED_PAD src0_sel:WORD_0 src1_sel:DWORD
	v_lshlrev_b16_e32 v2, 8, v7
	v_lshlrev_b16_e32 v3, 8, v9
	v_cndmask_b32_e64 v13, 0, 1, vcc
	v_mul_lo_u32 v14, v14, s8
	v_mul_lo_u32 v15, v15, s10
	v_or_b32_e32 v2, v6, v2
	v_or_b32_sdwa v3, v8, v3 dst_sel:WORD_1 dst_unused:UNUSED_PAD src0_sel:DWORD src1_sel:DWORD
	v_sub_u32_e32 v14, v14, v15
	v_or_b32_sdwa v39, v2, v3 dst_sel:DWORD dst_unused:UNUSED_PAD src0_sel:WORD_0 src1_sel:DWORD
	v_lshlrev_b16_e32 v2, 8, v11
	v_lshlrev_b16_e32 v3, 8, v13
	v_cmp_lt_u32_e32 vcc, s14, v14
	v_or_b32_e32 v2, v10, v2
	v_or_b32_sdwa v3, v12, v3 dst_sel:WORD_1 dst_unused:UNUSED_PAD src0_sel:DWORD src1_sel:DWORD
	v_cndmask_b32_e64 v37, 0, 1, vcc
	v_or_b32_sdwa v38, v2, v3 dst_sel:DWORD dst_unused:UNUSED_PAD src0_sel:WORD_0 src1_sel:DWORD
	s_addk_i32 s33, 0xd00
	s_cbranch_execz .LBB1404_11
	s_branch .LBB1404_38
.LBB1404_10:
                                        ; implicit-def: $vgpr37
                                        ; implicit-def: $vgpr38
                                        ; implicit-def: $vgpr39
                                        ; implicit-def: $vgpr40
	s_addk_i32 s33, 0xd00
.LBB1404_11:
	v_cmp_gt_u32_e32 vcc, s33, v36
	v_mov_b32_e32 v3, 0
	v_mov_b32_e32 v2, 0
	s_and_saveexec_b64 s[4:5], vcc
; %bb.12:
	v_add_u32_e32 v2, s9, v32
	v_add_u32_e32 v4, s11, v32
	v_mul_lo_u32 v2, v2, s8
	v_mul_lo_u32 v4, v4, s10
	v_sub_u32_e32 v2, v2, v4
	v_cmp_lt_u32_e32 vcc, s14, v2
	v_cndmask_b32_e64 v2, 0, 1, vcc
; %bb.13:
	s_or_b64 exec, exec, s[4:5]
	v_add_u32_e32 v4, 1, v36
	v_cmp_gt_u32_e32 vcc, s33, v4
	s_and_saveexec_b64 s[4:5], vcc
; %bb.14:
	v_add_u32_e32 v3, s9, v33
	v_add_u32_e32 v4, s11, v33
	v_mul_lo_u32 v3, v3, s8
	v_mul_lo_u32 v4, v4, s10
	v_sub_u32_e32 v3, v3, v4
	v_cmp_lt_u32_e32 vcc, s14, v3
	v_cndmask_b32_e64 v3, 0, 1, vcc
; %bb.15:
	s_or_b64 exec, exec, s[4:5]
	v_add_u32_e32 v4, 2, v36
	v_cmp_gt_u32_e32 vcc, s33, v4
	v_mov_b32_e32 v5, 0
	v_mov_b32_e32 v4, 0
	s_and_saveexec_b64 s[4:5], vcc
; %bb.16:
	v_add_u32_e32 v4, s9, v30
	v_add_u32_e32 v6, s11, v30
	v_mul_lo_u32 v4, v4, s8
	v_mul_lo_u32 v6, v6, s10
	v_sub_u32_e32 v4, v4, v6
	v_cmp_lt_u32_e32 vcc, s14, v4
	v_cndmask_b32_e64 v4, 0, 1, vcc
; %bb.17:
	s_or_b64 exec, exec, s[4:5]
	v_add_u32_e32 v6, 3, v36
	v_cmp_gt_u32_e32 vcc, s33, v6
	s_and_saveexec_b64 s[4:5], vcc
; %bb.18:
	v_add_u32_e32 v5, s9, v31
	v_add_u32_e32 v6, s11, v31
	v_mul_lo_u32 v5, v5, s8
	v_mul_lo_u32 v6, v6, s10
	v_sub_u32_e32 v5, v5, v6
	v_cmp_lt_u32_e32 vcc, s14, v5
	v_cndmask_b32_e64 v5, 0, 1, vcc
; %bb.19:
	s_or_b64 exec, exec, s[4:5]
	v_add_u32_e32 v6, 4, v36
	;; [unrolled: 28-line block ×6, first 2 shown]
	v_cmp_gt_u32_e32 vcc, s33, v14
	v_mov_b32_e32 v37, 0
	s_and_saveexec_b64 s[4:5], vcc
; %bb.36:
	v_add_u32_e32 v14, s9, v35
	v_add_u32_e32 v15, s11, v35
	v_mul_lo_u32 v14, v14, s8
	v_mul_lo_u32 v15, v15, s10
	v_sub_u32_e32 v14, v14, v15
	v_cmp_lt_u32_e32 vcc, s14, v14
	v_cndmask_b32_e64 v37, 0, 1, vcc
; %bb.37:
	s_or_b64 exec, exec, s[4:5]
	v_lshlrev_b16_e32 v3, 8, v3
	v_or_b32_e32 v2, v2, v3
	v_lshlrev_b16_e32 v3, 8, v5
	v_or_b32_sdwa v3, v4, v3 dst_sel:WORD_1 dst_unused:UNUSED_PAD src0_sel:DWORD src1_sel:DWORD
	v_or_b32_sdwa v40, v2, v3 dst_sel:DWORD dst_unused:UNUSED_PAD src0_sel:WORD_0 src1_sel:DWORD
	v_lshlrev_b16_e32 v2, 8, v7
	v_lshlrev_b16_e32 v3, 8, v9
	v_or_b32_e32 v2, v6, v2
	v_or_b32_sdwa v3, v8, v3 dst_sel:WORD_1 dst_unused:UNUSED_PAD src0_sel:DWORD src1_sel:DWORD
	v_or_b32_sdwa v39, v2, v3 dst_sel:DWORD dst_unused:UNUSED_PAD src0_sel:WORD_0 src1_sel:DWORD
	v_lshlrev_b16_e32 v2, 8, v11
	v_lshlrev_b16_e32 v3, 8, v13
	v_or_b32_e32 v2, v10, v2
	v_or_b32_sdwa v3, v12, v3 dst_sel:WORD_1 dst_unused:UNUSED_PAD src0_sel:DWORD src1_sel:DWORD
	v_or_b32_sdwa v38, v2, v3 dst_sel:DWORD dst_unused:UNUSED_PAD src0_sel:WORD_0 src1_sel:DWORD
.LBB1404_38:
	v_and_b32_e32 v44, 0xff, v40
	v_bfe_u32 v45, v40, 8, 8
	v_bfe_u32 v46, v40, 16, 8
	v_lshrrev_b32_e32 v43, 24, v40
	v_and_b32_e32 v47, 0xff, v39
	v_add3_u32 v3, v45, v44, v46
	v_bfe_u32 v48, v39, 8, 8
	v_bfe_u32 v49, v39, 16, 8
	v_add3_u32 v3, v3, v43, v47
	v_lshrrev_b32_e32 v42, 24, v39
	v_and_b32_e32 v50, 0xff, v38
	v_add3_u32 v3, v3, v48, v49
	v_bfe_u32 v51, v38, 8, 8
	v_bfe_u32 v52, v38, 16, 8
	v_add3_u32 v3, v3, v42, v50
	v_lshrrev_b32_e32 v41, 24, v38
	v_and_b32_e32 v2, 0xff, v37
	v_add3_u32 v3, v3, v51, v52
	v_add3_u32 v55, v3, v41, v2
	v_mbcnt_lo_u32_b32 v2, -1, 0
	v_mbcnt_hi_u32_b32 v53, -1, v2
	v_and_b32_e32 v2, 15, v53
	v_cmp_eq_u32_e64 s[16:17], 0, v2
	v_cmp_lt_u32_e64 s[14:15], 1, v2
	v_cmp_lt_u32_e64 s[12:13], 3, v2
	;; [unrolled: 1-line block ×3, first 2 shown]
	v_and_b32_e32 v2, 16, v53
	v_cmp_eq_u32_e64 s[8:9], 0, v2
	v_or_b32_e32 v2, 63, v0
	s_cmp_lg_u32 s40, 0
	v_cmp_lt_u32_e64 s[4:5], 31, v53
	v_lshrrev_b32_e32 v54, 6, v0
	v_cmp_eq_u32_e64 s[6:7], v2, v0
	s_cbranch_scc0 .LBB1404_69
; %bb.39:
	v_mov_b32_dpp v2, v55 row_shr:1 row_mask:0xf bank_mask:0xf
	v_cndmask_b32_e64 v2, v2, 0, s[16:17]
	v_add_u32_e32 v2, v2, v55
	s_nop 1
	v_mov_b32_dpp v3, v2 row_shr:2 row_mask:0xf bank_mask:0xf
	v_cndmask_b32_e64 v3, 0, v3, s[14:15]
	v_add_u32_e32 v2, v2, v3
	s_nop 1
	v_mov_b32_dpp v3, v2 row_shr:4 row_mask:0xf bank_mask:0xf
	v_cndmask_b32_e64 v3, 0, v3, s[12:13]
	v_add_u32_e32 v2, v2, v3
	s_nop 1
	v_mov_b32_dpp v3, v2 row_shr:8 row_mask:0xf bank_mask:0xf
	v_cndmask_b32_e64 v3, 0, v3, s[10:11]
	v_add_u32_e32 v2, v2, v3
	s_nop 1
	v_mov_b32_dpp v3, v2 row_bcast:15 row_mask:0xf bank_mask:0xf
	v_cndmask_b32_e64 v3, v3, 0, s[8:9]
	v_add_u32_e32 v2, v2, v3
	s_nop 1
	v_mov_b32_dpp v3, v2 row_bcast:31 row_mask:0xf bank_mask:0xf
	v_cndmask_b32_e64 v3, 0, v3, s[4:5]
	v_add_u32_e32 v2, v2, v3
	s_and_saveexec_b64 s[18:19], s[6:7]
	s_cbranch_execz .LBB1404_41
; %bb.40:
	v_lshlrev_b32_e32 v3, 2, v54
	ds_write_b32 v3, v2
.LBB1404_41:
	s_or_b64 exec, exec, s[18:19]
	v_cmp_gt_u32_e32 vcc, 4, v0
	s_waitcnt lgkmcnt(0)
	s_barrier
	s_and_saveexec_b64 s[18:19], vcc
	s_cbranch_execz .LBB1404_43
; %bb.42:
	ds_read_b32 v3, v34
	v_and_b32_e32 v4, 3, v53
	v_cmp_ne_u32_e32 vcc, 0, v4
	s_waitcnt lgkmcnt(0)
	v_mov_b32_dpp v5, v3 row_shr:1 row_mask:0xf bank_mask:0xf
	v_cndmask_b32_e32 v5, 0, v5, vcc
	v_add_u32_e32 v3, v5, v3
	v_cmp_lt_u32_e32 vcc, 1, v4
	s_nop 0
	v_mov_b32_dpp v5, v3 row_shr:2 row_mask:0xf bank_mask:0xf
	v_cndmask_b32_e32 v4, 0, v5, vcc
	v_add_u32_e32 v3, v3, v4
	ds_write_b32 v34, v3
.LBB1404_43:
	s_or_b64 exec, exec, s[18:19]
	v_cmp_gt_u32_e32 vcc, 64, v0
	v_cmp_lt_u32_e64 s[18:19], 63, v0
	s_waitcnt lgkmcnt(0)
	s_barrier
	s_waitcnt lgkmcnt(0)
                                        ; implicit-def: $vgpr12
	s_and_saveexec_b64 s[34:35], s[18:19]
	s_cbranch_execz .LBB1404_45
; %bb.44:
	v_lshl_add_u32 v3, v54, 2, -4
	ds_read_b32 v12, v3
	s_waitcnt lgkmcnt(0)
	v_add_u32_e32 v2, v12, v2
.LBB1404_45:
	s_or_b64 exec, exec, s[34:35]
	v_add_u32_e32 v3, -1, v53
	v_and_b32_e32 v4, 64, v53
	v_cmp_lt_i32_e64 s[18:19], v3, v4
	v_cndmask_b32_e64 v3, v3, v53, s[18:19]
	v_lshlrev_b32_e32 v3, 2, v3
	ds_bpermute_b32 v13, v3, v2
	v_cmp_eq_u32_e64 s[18:19], 0, v53
	s_and_saveexec_b64 s[34:35], vcc
	s_cbranch_execz .LBB1404_68
; %bb.46:
	v_mov_b32_e32 v11, 0
	ds_read_b32 v2, v11 offset:12
	s_and_saveexec_b64 s[36:37], s[18:19]
	s_cbranch_execz .LBB1404_48
; %bb.47:
	s_add_i32 s38, s40, 64
	s_mov_b32 s39, 0
	s_lshl_b64 s[38:39], s[38:39], 3
	s_add_u32 s38, s30, s38
	v_mov_b32_e32 v3, 1
	s_addc_u32 s39, s31, s39
	s_waitcnt lgkmcnt(0)
	global_store_dwordx2 v11, v[2:3], s[38:39]
.LBB1404_48:
	s_or_b64 exec, exec, s[36:37]
	v_xad_u32 v4, v53, -1, s40
	v_add_u32_e32 v10, 64, v4
	v_lshlrev_b64 v[6:7], 3, v[10:11]
	v_mov_b32_e32 v3, s31
	v_add_co_u32_e32 v6, vcc, s30, v6
	v_addc_co_u32_e32 v7, vcc, v3, v7, vcc
	global_load_dwordx2 v[8:9], v[6:7], off glc
	s_waitcnt vmcnt(0)
	v_cmp_eq_u16_sdwa s[38:39], v9, v11 src0_sel:BYTE_0 src1_sel:DWORD
	s_and_saveexec_b64 s[36:37], s[38:39]
	s_cbranch_execz .LBB1404_54
; %bb.49:
	s_mov_b32 s41, 1
	s_mov_b64 s[38:39], 0
	v_mov_b32_e32 v3, 0
.LBB1404_50:                            ; =>This Loop Header: Depth=1
                                        ;     Child Loop BB1404_51 Depth 2
	s_max_u32 s42, s41, 1
.LBB1404_51:                            ;   Parent Loop BB1404_50 Depth=1
                                        ; =>  This Inner Loop Header: Depth=2
	s_add_i32 s42, s42, -1
	s_cmp_eq_u32 s42, 0
	s_sleep 1
	s_cbranch_scc0 .LBB1404_51
; %bb.52:                               ;   in Loop: Header=BB1404_50 Depth=1
	global_load_dwordx2 v[8:9], v[6:7], off glc
	s_cmp_lt_u32 s41, 32
	s_cselect_b64 s[42:43], -1, 0
	s_cmp_lg_u64 s[42:43], 0
	s_addc_u32 s41, s41, 0
	s_waitcnt vmcnt(0)
	v_cmp_ne_u16_sdwa s[42:43], v9, v3 src0_sel:BYTE_0 src1_sel:DWORD
	s_or_b64 s[38:39], s[42:43], s[38:39]
	s_andn2_b64 exec, exec, s[38:39]
	s_cbranch_execnz .LBB1404_50
; %bb.53:
	s_or_b64 exec, exec, s[38:39]
.LBB1404_54:
	s_or_b64 exec, exec, s[36:37]
	v_and_b32_e32 v14, 63, v53
	v_mov_b32_e32 v3, 2
	v_cmp_ne_u32_e32 vcc, 63, v14
	v_cmp_eq_u16_sdwa s[36:37], v9, v3 src0_sel:BYTE_0 src1_sel:DWORD
	v_lshlrev_b64 v[6:7], v53, -1
	v_addc_co_u32_e32 v11, vcc, 0, v53, vcc
	v_and_b32_e32 v5, s37, v7
	v_lshlrev_b32_e32 v15, 2, v11
	v_or_b32_e32 v5, 0x80000000, v5
	ds_bpermute_b32 v11, v15, v8
	v_and_b32_e32 v10, s36, v6
	v_ffbl_b32_e32 v5, v5
	v_add_u32_e32 v5, 32, v5
	v_ffbl_b32_e32 v10, v10
	v_min_u32_e32 v5, v10, v5
	v_cmp_lt_u32_e32 vcc, v14, v5
	s_waitcnt lgkmcnt(0)
	v_cndmask_b32_e32 v10, 0, v11, vcc
	v_cmp_gt_u32_e32 vcc, 62, v14
	v_add_u32_e32 v8, v10, v8
	v_cndmask_b32_e64 v10, 0, 1, vcc
	v_lshlrev_b32_e32 v10, 1, v10
	v_add_lshl_u32 v16, v10, v53, 2
	ds_bpermute_b32 v10, v16, v8
	v_add_u32_e32 v17, 2, v14
	v_cmp_le_u32_e32 vcc, v17, v5
	v_add_u32_e32 v19, 4, v14
	v_add_u32_e32 v57, 8, v14
	s_waitcnt lgkmcnt(0)
	v_cndmask_b32_e32 v10, 0, v10, vcc
	v_cmp_gt_u32_e32 vcc, 60, v14
	v_add_u32_e32 v8, v8, v10
	v_cndmask_b32_e64 v10, 0, 1, vcc
	v_lshlrev_b32_e32 v10, 2, v10
	v_add_lshl_u32 v18, v10, v53, 2
	ds_bpermute_b32 v10, v18, v8
	v_cmp_le_u32_e32 vcc, v19, v5
	v_add_u32_e32 v60, 16, v14
	v_add_u32_e32 v62, 32, v14
	s_waitcnt lgkmcnt(0)
	v_cndmask_b32_e32 v10, 0, v10, vcc
	v_cmp_gt_u32_e32 vcc, 56, v14
	v_add_u32_e32 v8, v8, v10
	v_cndmask_b32_e64 v10, 0, 1, vcc
	v_lshlrev_b32_e32 v10, 3, v10
	v_add_lshl_u32 v56, v10, v53, 2
	ds_bpermute_b32 v10, v56, v8
	v_cmp_le_u32_e32 vcc, v57, v5
	s_waitcnt lgkmcnt(0)
	v_cndmask_b32_e32 v10, 0, v10, vcc
	v_cmp_gt_u32_e32 vcc, 48, v14
	v_add_u32_e32 v8, v8, v10
	v_cndmask_b32_e64 v10, 0, 1, vcc
	v_lshlrev_b32_e32 v10, 4, v10
	v_add_lshl_u32 v59, v10, v53, 2
	ds_bpermute_b32 v10, v59, v8
	v_cmp_le_u32_e32 vcc, v60, v5
	;; [unrolled: 9-line block ×3, first 2 shown]
	s_waitcnt lgkmcnt(0)
	v_cndmask_b32_e32 v5, 0, v10, vcc
	v_add_u32_e32 v8, v8, v5
	v_mov_b32_e32 v5, 0
	s_branch .LBB1404_56
.LBB1404_55:                            ;   in Loop: Header=BB1404_56 Depth=1
	s_or_b64 exec, exec, s[36:37]
	v_cmp_eq_u16_sdwa s[36:37], v9, v3 src0_sel:BYTE_0 src1_sel:DWORD
	v_and_b32_e32 v10, s37, v7
	v_or_b32_e32 v10, 0x80000000, v10
	ds_bpermute_b32 v63, v15, v8
	v_and_b32_e32 v11, s36, v6
	v_ffbl_b32_e32 v10, v10
	v_add_u32_e32 v10, 32, v10
	v_ffbl_b32_e32 v11, v11
	v_min_u32_e32 v10, v11, v10
	v_cmp_lt_u32_e32 vcc, v14, v10
	s_waitcnt lgkmcnt(0)
	v_cndmask_b32_e32 v11, 0, v63, vcc
	v_add_u32_e32 v8, v11, v8
	ds_bpermute_b32 v11, v16, v8
	v_cmp_le_u32_e32 vcc, v17, v10
	v_subrev_u32_e32 v4, 64, v4
	s_waitcnt lgkmcnt(0)
	v_cndmask_b32_e32 v11, 0, v11, vcc
	v_add_u32_e32 v8, v8, v11
	ds_bpermute_b32 v11, v18, v8
	v_cmp_le_u32_e32 vcc, v19, v10
	s_waitcnt lgkmcnt(0)
	v_cndmask_b32_e32 v11, 0, v11, vcc
	v_add_u32_e32 v8, v8, v11
	ds_bpermute_b32 v11, v56, v8
	v_cmp_le_u32_e32 vcc, v57, v10
	;; [unrolled: 5-line block ×4, first 2 shown]
	s_waitcnt lgkmcnt(0)
	v_cndmask_b32_e32 v10, 0, v11, vcc
	v_add3_u32 v8, v10, v58, v8
.LBB1404_56:                            ; =>This Loop Header: Depth=1
                                        ;     Child Loop BB1404_59 Depth 2
                                        ;       Child Loop BB1404_60 Depth 3
	v_cmp_ne_u16_sdwa s[36:37], v9, v3 src0_sel:BYTE_0 src1_sel:DWORD
	v_cndmask_b32_e64 v9, 0, 1, s[36:37]
	;;#ASMSTART
	;;#ASMEND
	v_cmp_ne_u32_e32 vcc, 0, v9
	s_cmp_lg_u64 vcc, exec
	v_mov_b32_e32 v58, v8
	s_cbranch_scc1 .LBB1404_63
; %bb.57:                               ;   in Loop: Header=BB1404_56 Depth=1
	v_lshlrev_b64 v[8:9], 3, v[4:5]
	v_mov_b32_e32 v11, s31
	v_add_co_u32_e32 v10, vcc, s30, v8
	v_addc_co_u32_e32 v11, vcc, v11, v9, vcc
	global_load_dwordx2 v[8:9], v[10:11], off glc
	s_waitcnt vmcnt(0)
	v_cmp_eq_u16_sdwa s[38:39], v9, v5 src0_sel:BYTE_0 src1_sel:DWORD
	s_and_saveexec_b64 s[36:37], s[38:39]
	s_cbranch_execz .LBB1404_55
; %bb.58:                               ;   in Loop: Header=BB1404_56 Depth=1
	s_mov_b32 s41, 1
	s_mov_b64 s[38:39], 0
.LBB1404_59:                            ;   Parent Loop BB1404_56 Depth=1
                                        ; =>  This Loop Header: Depth=2
                                        ;       Child Loop BB1404_60 Depth 3
	s_max_u32 s42, s41, 1
.LBB1404_60:                            ;   Parent Loop BB1404_56 Depth=1
                                        ;     Parent Loop BB1404_59 Depth=2
                                        ; =>    This Inner Loop Header: Depth=3
	s_add_i32 s42, s42, -1
	s_cmp_eq_u32 s42, 0
	s_sleep 1
	s_cbranch_scc0 .LBB1404_60
; %bb.61:                               ;   in Loop: Header=BB1404_59 Depth=2
	global_load_dwordx2 v[8:9], v[10:11], off glc
	s_cmp_lt_u32 s41, 32
	s_cselect_b64 s[42:43], -1, 0
	s_cmp_lg_u64 s[42:43], 0
	s_addc_u32 s41, s41, 0
	s_waitcnt vmcnt(0)
	v_cmp_ne_u16_sdwa s[42:43], v9, v5 src0_sel:BYTE_0 src1_sel:DWORD
	s_or_b64 s[38:39], s[42:43], s[38:39]
	s_andn2_b64 exec, exec, s[38:39]
	s_cbranch_execnz .LBB1404_59
; %bb.62:                               ;   in Loop: Header=BB1404_56 Depth=1
	s_or_b64 exec, exec, s[38:39]
	s_branch .LBB1404_55
.LBB1404_63:                            ;   in Loop: Header=BB1404_56 Depth=1
                                        ; implicit-def: $vgpr8
                                        ; implicit-def: $vgpr9
	s_cbranch_execz .LBB1404_56
; %bb.64:
	s_and_saveexec_b64 s[36:37], s[18:19]
	s_cbranch_execz .LBB1404_66
; %bb.65:
	s_add_i32 s38, s40, 64
	s_mov_b32 s39, 0
	s_lshl_b64 s[38:39], s[38:39], 3
	s_add_u32 s38, s30, s38
	v_add_u32_e32 v4, v58, v2
	v_mov_b32_e32 v5, 2
	s_addc_u32 s39, s31, s39
	v_mov_b32_e32 v3, 0
	global_store_dwordx2 v3, v[4:5], s[38:39]
	s_movk_i32 s38, 0x3400
	v_add_u32_e64 v3, s38, 0
	ds_write2_b32 v3, v2, v58 offset1:2
.LBB1404_66:
	s_or_b64 exec, exec, s[36:37]
	s_and_b64 exec, exec, s[0:1]
	s_cbranch_execz .LBB1404_68
; %bb.67:
	v_mov_b32_e32 v2, 0
	ds_write_b32 v2, v58 offset:12
.LBB1404_68:
	s_or_b64 exec, exec, s[34:35]
	v_mov_b32_e32 v2, 0
	s_waitcnt lgkmcnt(0)
	s_barrier
	ds_read_b32 v2, v2 offset:12
	v_cndmask_b32_e64 v3, v13, v12, s[18:19]
	v_cndmask_b32_e64 v3, v3, 0, s[0:1]
	s_movk_i32 s18, 0x3400
	v_add_u32_e64 v12, s18, 0
	s_waitcnt lgkmcnt(0)
	v_add_u32_e32 v2, v2, v3
	v_add_u32_e32 v3, v2, v44
	;; [unrolled: 1-line block ×9, first 2 shown]
	s_barrier
	ds_read2_b32 v[18:19], v12 offset1:2
	v_add_u32_e32 v11, v10, v50
	v_add_u32_e32 v12, v11, v51
	;; [unrolled: 1-line block ×4, first 2 shown]
	s_branch .LBB1404_79
.LBB1404_69:
                                        ; implicit-def: $vgpr19
                                        ; implicit-def: $vgpr2_vgpr3_vgpr4_vgpr5_vgpr6_vgpr7_vgpr8_vgpr9_vgpr10_vgpr11_vgpr12_vgpr13_vgpr14_vgpr15_vgpr16_vgpr17
	s_cbranch_execz .LBB1404_79
; %bb.70:
	s_nop 0
	v_mov_b32_dpp v2, v55 row_shr:1 row_mask:0xf bank_mask:0xf
	v_cndmask_b32_e64 v2, v2, 0, s[16:17]
	v_add_u32_e32 v2, v2, v55
	s_nop 1
	v_mov_b32_dpp v3, v2 row_shr:2 row_mask:0xf bank_mask:0xf
	v_cndmask_b32_e64 v3, 0, v3, s[14:15]
	v_add_u32_e32 v2, v2, v3
	;; [unrolled: 4-line block ×4, first 2 shown]
	s_nop 1
	v_mov_b32_dpp v3, v2 row_bcast:15 row_mask:0xf bank_mask:0xf
	v_cndmask_b32_e64 v3, v3, 0, s[8:9]
	v_add_u32_e32 v2, v2, v3
	s_nop 1
	v_mov_b32_dpp v3, v2 row_bcast:31 row_mask:0xf bank_mask:0xf
	v_cndmask_b32_e64 v3, 0, v3, s[4:5]
	v_add_u32_e32 v2, v2, v3
	s_and_saveexec_b64 s[4:5], s[6:7]
	s_cbranch_execz .LBB1404_72
; %bb.71:
	v_lshlrev_b32_e32 v3, 2, v54
	ds_write_b32 v3, v2
.LBB1404_72:
	s_or_b64 exec, exec, s[4:5]
	v_cmp_gt_u32_e32 vcc, 4, v0
	s_waitcnt lgkmcnt(0)
	s_barrier
	s_and_saveexec_b64 s[4:5], vcc
	s_cbranch_execz .LBB1404_74
; %bb.73:
	ds_read_b32 v3, v34
	v_and_b32_e32 v4, 3, v53
	v_cmp_ne_u32_e32 vcc, 0, v4
	s_waitcnt lgkmcnt(0)
	v_mov_b32_dpp v5, v3 row_shr:1 row_mask:0xf bank_mask:0xf
	v_cndmask_b32_e32 v5, 0, v5, vcc
	v_add_u32_e32 v3, v5, v3
	v_cmp_lt_u32_e32 vcc, 1, v4
	s_nop 0
	v_mov_b32_dpp v5, v3 row_shr:2 row_mask:0xf bank_mask:0xf
	v_cndmask_b32_e32 v4, 0, v5, vcc
	v_add_u32_e32 v3, v3, v4
	ds_write_b32 v34, v3
.LBB1404_74:
	s_or_b64 exec, exec, s[4:5]
	v_cmp_lt_u32_e32 vcc, 63, v0
	v_mov_b32_e32 v4, 0
	v_mov_b32_e32 v3, 0
	s_waitcnt lgkmcnt(0)
	s_barrier
	s_and_saveexec_b64 s[4:5], vcc
	s_cbranch_execz .LBB1404_76
; %bb.75:
	v_lshl_add_u32 v3, v54, 2, -4
	ds_read_b32 v3, v3
.LBB1404_76:
	s_or_b64 exec, exec, s[4:5]
	v_add_u32_e32 v5, -1, v53
	v_and_b32_e32 v6, 64, v53
	v_cmp_lt_i32_e32 vcc, v5, v6
	v_cndmask_b32_e32 v5, v5, v53, vcc
	s_waitcnt lgkmcnt(0)
	v_add_u32_e32 v2, v3, v2
	v_lshlrev_b32_e32 v5, 2, v5
	ds_bpermute_b32 v2, v5, v2
	ds_read_b32 v18, v4 offset:12
	s_and_saveexec_b64 s[4:5], s[0:1]
	s_cbranch_execz .LBB1404_78
; %bb.77:
	v_mov_b32_e32 v4, 0
	v_mov_b32_e32 v19, 2
	s_waitcnt lgkmcnt(0)
	global_store_dwordx2 v4, v[18:19], s[30:31] offset:512
.LBB1404_78:
	s_or_b64 exec, exec, s[4:5]
	v_cmp_eq_u32_e32 vcc, 0, v53
	s_waitcnt lgkmcnt(1)
	v_cndmask_b32_e32 v2, v2, v3, vcc
	v_cndmask_b32_e64 v2, v2, 0, s[0:1]
	v_add_u32_e32 v3, v2, v44
	v_add_u32_e32 v4, v3, v45
	;; [unrolled: 1-line block ×11, first 2 shown]
	v_mov_b32_e32 v19, 0
	v_add_u32_e32 v14, v13, v41
	s_waitcnt lgkmcnt(0)
	s_barrier
.LBB1404_79:
	s_waitcnt lgkmcnt(0)
	v_add_u32_e32 v36, v18, v36
	v_sub_u32_e32 v2, v2, v19
	v_and_b32_e32 v45, 1, v40
	v_sub_u32_e32 v44, v36, v2
	v_cmp_eq_u32_e32 vcc, 1, v45
	v_cndmask_b32_e32 v2, v44, v2, vcc
	v_lshlrev_b32_e32 v2, 2, v2
	v_lshrrev_b32_e32 v17, 8, v40
	ds_write_b32 v2, v32
	v_sub_u32_e32 v2, v3, v19
	v_sub_u32_e32 v3, v36, v2
	v_and_b32_e32 v17, 1, v17
	v_add_u32_e32 v3, 1, v3
	v_cmp_eq_u32_e32 vcc, 1, v17
	v_cndmask_b32_e32 v2, v3, v2, vcc
	v_lshlrev_b32_e32 v2, 2, v2
	ds_write_b32 v2, v33
	v_sub_u32_e32 v2, v4, v19
	v_mov_b32_e32 v4, 1
	v_sub_u32_e32 v3, v36, v2
	v_and_b32_sdwa v17, v4, v40 dst_sel:DWORD dst_unused:UNUSED_PAD src0_sel:DWORD src1_sel:WORD_1
	v_add_u32_e32 v3, 2, v3
	v_cmp_eq_u32_e32 vcc, 1, v17
	v_cndmask_b32_e32 v2, v3, v2, vcc
	v_lshlrev_b32_e32 v2, 2, v2
	ds_write_b32 v2, v30
	v_sub_u32_e32 v2, v5, v19
	v_sub_u32_e32 v3, v36, v2
	v_and_b32_e32 v5, 1, v43
	v_add_u32_e32 v3, 3, v3
	v_cmp_eq_u32_e32 vcc, 1, v5
	v_cndmask_b32_e32 v2, v3, v2, vcc
	v_lshlrev_b32_e32 v2, 2, v2
	ds_write_b32 v2, v31
	v_sub_u32_e32 v2, v6, v19
	v_sub_u32_e32 v3, v36, v2
	v_and_b32_e32 v5, 1, v39
	v_add_u32_e32 v3, 4, v3
	v_cmp_eq_u32_e32 vcc, 1, v5
	v_cndmask_b32_e32 v2, v3, v2, vcc
	v_lshlrev_b32_e32 v2, 2, v2
	v_lshrrev_b32_e32 v16, 8, v39
	ds_write_b32 v2, v28
	v_sub_u32_e32 v2, v7, v19
	v_sub_u32_e32 v3, v36, v2
	v_and_b32_e32 v5, 1, v16
	v_add_u32_e32 v3, 5, v3
	v_cmp_eq_u32_e32 vcc, 1, v5
	v_cndmask_b32_e32 v2, v3, v2, vcc
	v_lshlrev_b32_e32 v2, 2, v2
	ds_write_b32 v2, v29
	v_sub_u32_e32 v2, v8, v19
	v_sub_u32_e32 v3, v36, v2
	v_and_b32_sdwa v5, v4, v39 dst_sel:DWORD dst_unused:UNUSED_PAD src0_sel:DWORD src1_sel:WORD_1
	v_add_u32_e32 v3, 6, v3
	v_cmp_eq_u32_e32 vcc, 1, v5
	v_cndmask_b32_e32 v2, v3, v2, vcc
	v_lshlrev_b32_e32 v2, 2, v2
	ds_write_b32 v2, v26
	v_sub_u32_e32 v2, v9, v19
	v_sub_u32_e32 v3, v36, v2
	v_and_b32_e32 v5, 1, v42
	v_add_u32_e32 v3, 7, v3
	v_cmp_eq_u32_e32 vcc, 1, v5
	v_cndmask_b32_e32 v2, v3, v2, vcc
	v_lshlrev_b32_e32 v2, 2, v2
	ds_write_b32 v2, v27
	v_sub_u32_e32 v2, v10, v19
	v_sub_u32_e32 v3, v36, v2
	v_and_b32_e32 v5, 1, v38
	v_add_u32_e32 v3, 8, v3
	v_cmp_eq_u32_e32 vcc, 1, v5
	v_cndmask_b32_e32 v2, v3, v2, vcc
	v_lshlrev_b32_e32 v2, 2, v2
	v_lshrrev_b32_e32 v15, 8, v38
	ds_write_b32 v2, v24
	v_sub_u32_e32 v2, v11, v19
	v_sub_u32_e32 v3, v36, v2
	v_and_b32_e32 v5, 1, v15
	v_add_u32_e32 v3, 9, v3
	v_cmp_eq_u32_e32 vcc, 1, v5
	v_cndmask_b32_e32 v2, v3, v2, vcc
	v_lshlrev_b32_e32 v2, 2, v2
	ds_write_b32 v2, v25
	v_sub_u32_e32 v2, v12, v19
	v_sub_u32_e32 v3, v36, v2
	v_and_b32_sdwa v4, v4, v38 dst_sel:DWORD dst_unused:UNUSED_PAD src0_sel:DWORD src1_sel:WORD_1
	v_add_u32_e32 v3, 10, v3
	v_cmp_eq_u32_e32 vcc, 1, v4
	v_cndmask_b32_e32 v2, v3, v2, vcc
	v_lshlrev_b32_e32 v2, 2, v2
	ds_write_b32 v2, v22
	v_sub_u32_e32 v2, v13, v19
	v_sub_u32_e32 v3, v36, v2
	v_and_b32_e32 v4, 1, v41
	v_add_u32_e32 v3, 11, v3
	v_cmp_eq_u32_e32 vcc, 1, v4
	v_cndmask_b32_e32 v2, v3, v2, vcc
	v_lshlrev_b32_e32 v2, 2, v2
	ds_write_b32 v2, v23
	v_sub_u32_e32 v2, v14, v19
	v_sub_u32_e32 v3, v36, v2
	v_and_b32_e32 v4, 1, v37
	v_add_u32_e32 v3, 12, v3
	v_cmp_eq_u32_e32 vcc, 1, v4
	v_cndmask_b32_e32 v2, v3, v2, vcc
	s_waitcnt vmcnt(0)
	v_add_co_u32_e32 v16, vcc, v20, v19
	v_addc_co_u32_e32 v17, vcc, 0, v21, vcc
	v_mov_b32_e32 v14, s29
	v_add_co_u32_e32 v1, vcc, s28, v1
	v_addc_co_u32_e32 v14, vcc, 0, v14, vcc
	v_lshlrev_b32_e32 v2, 2, v2
	v_mov_b32_e32 v15, s27
	v_sub_co_u32_e32 v1, vcc, s26, v1
	ds_write_b32 v2, v35
	s_waitcnt lgkmcnt(0)
	s_barrier
	ds_read2st64_b32 v[12:13], v34 offset1:4
	ds_read2st64_b32 v[10:11], v34 offset0:8 offset1:12
	ds_read2st64_b32 v[8:9], v34 offset0:16 offset1:20
	;; [unrolled: 1-line block ×5, first 2 shown]
	ds_read_b32 v22, v34 offset:12288
	v_subb_co_u32_e32 v14, vcc, v15, v14, vcc
	v_add_co_u32_e32 v1, vcc, v1, v18
	v_addc_co_u32_e32 v14, vcc, 0, v14, vcc
	s_and_b64 vcc, exec, s[2:3]
	v_add_co_u32_e64 v1, s[2:3], v1, v16
	v_or_b32_e32 v35, 0x100, v0
	v_or_b32_e32 v33, 0x200, v0
	;; [unrolled: 1-line block ×12, first 2 shown]
	v_addc_co_u32_e64 v19, s[2:3], v14, v17, s[2:3]
	s_cbranch_vccnz .LBB1404_136
; %bb.80:
	v_cmp_ge_u32_e32 vcc, v0, v18
                                        ; implicit-def: $vgpr14_vgpr15
	s_and_saveexec_b64 s[2:3], vcc
	s_xor_b64 s[2:3], exec, s[2:3]
; %bb.81:
	v_not_b32_e32 v14, v0
	v_ashrrev_i32_e32 v15, 31, v14
	v_add_co_u32_e32 v14, vcc, v1, v14
	v_addc_co_u32_e32 v15, vcc, v19, v15, vcc
; %bb.82:
	s_andn2_saveexec_b64 s[2:3], s[2:3]
; %bb.83:
	v_add_co_u32_e32 v14, vcc, v16, v0
	v_addc_co_u32_e32 v15, vcc, 0, v17, vcc
; %bb.84:
	s_or_b64 exec, exec, s[2:3]
	v_lshlrev_b64 v[14:15], 2, v[14:15]
	v_mov_b32_e32 v20, s25
	v_add_co_u32_e32 v14, vcc, s24, v14
	v_addc_co_u32_e32 v15, vcc, v20, v15, vcc
	v_cmp_ge_u32_e32 vcc, v35, v18
	s_waitcnt lgkmcnt(6)
	global_store_dword v[14:15], v12, off
                                        ; implicit-def: $vgpr14_vgpr15
	s_and_saveexec_b64 s[2:3], vcc
	s_xor_b64 s[2:3], exec, s[2:3]
; %bb.85:
	v_xor_b32_e32 v14, 0xfffffeff, v0
	v_ashrrev_i32_e32 v15, 31, v14
	v_add_co_u32_e32 v14, vcc, v1, v14
	v_addc_co_u32_e32 v15, vcc, v19, v15, vcc
; %bb.86:
	s_andn2_saveexec_b64 s[2:3], s[2:3]
; %bb.87:
	v_add_co_u32_e32 v14, vcc, v16, v35
	v_addc_co_u32_e32 v15, vcc, 0, v17, vcc
; %bb.88:
	s_or_b64 exec, exec, s[2:3]
	v_lshlrev_b64 v[14:15], 2, v[14:15]
	v_mov_b32_e32 v20, s25
	v_add_co_u32_e32 v14, vcc, s24, v14
	v_addc_co_u32_e32 v15, vcc, v20, v15, vcc
	v_cmp_ge_u32_e32 vcc, v33, v18
	global_store_dword v[14:15], v13, off
                                        ; implicit-def: $vgpr14_vgpr15
	s_and_saveexec_b64 s[2:3], vcc
	s_xor_b64 s[2:3], exec, s[2:3]
; %bb.89:
	v_xor_b32_e32 v14, 0xfffffdff, v0
	v_ashrrev_i32_e32 v15, 31, v14
	v_add_co_u32_e32 v14, vcc, v1, v14
	v_addc_co_u32_e32 v15, vcc, v19, v15, vcc
; %bb.90:
	s_andn2_saveexec_b64 s[2:3], s[2:3]
; %bb.91:
	v_add_co_u32_e32 v14, vcc, v16, v33
	v_addc_co_u32_e32 v15, vcc, 0, v17, vcc
; %bb.92:
	s_or_b64 exec, exec, s[2:3]
	v_lshlrev_b64 v[14:15], 2, v[14:15]
	v_mov_b32_e32 v20, s25
	v_add_co_u32_e32 v14, vcc, s24, v14
	v_addc_co_u32_e32 v15, vcc, v20, v15, vcc
	v_cmp_ge_u32_e32 vcc, v32, v18
	s_waitcnt lgkmcnt(5)
	global_store_dword v[14:15], v10, off
                                        ; implicit-def: $vgpr14_vgpr15
	s_and_saveexec_b64 s[2:3], vcc
	s_xor_b64 s[2:3], exec, s[2:3]
; %bb.93:
	v_xor_b32_e32 v14, 0xfffffcff, v0
	v_ashrrev_i32_e32 v15, 31, v14
	v_add_co_u32_e32 v14, vcc, v1, v14
	v_addc_co_u32_e32 v15, vcc, v19, v15, vcc
; %bb.94:
	s_andn2_saveexec_b64 s[2:3], s[2:3]
; %bb.95:
	v_add_co_u32_e32 v14, vcc, v16, v32
	v_addc_co_u32_e32 v15, vcc, 0, v17, vcc
; %bb.96:
	s_or_b64 exec, exec, s[2:3]
	v_lshlrev_b64 v[14:15], 2, v[14:15]
	v_mov_b32_e32 v20, s25
	v_add_co_u32_e32 v14, vcc, s24, v14
	v_addc_co_u32_e32 v15, vcc, v20, v15, vcc
	v_cmp_ge_u32_e32 vcc, v31, v18
	global_store_dword v[14:15], v11, off
                                        ; implicit-def: $vgpr14_vgpr15
	s_and_saveexec_b64 s[2:3], vcc
	s_xor_b64 s[2:3], exec, s[2:3]
; %bb.97:
	v_xor_b32_e32 v14, 0xfffffbff, v0
	;; [unrolled: 43-line block ×6, first 2 shown]
	v_ashrrev_i32_e32 v15, 31, v14
	v_add_co_u32_e32 v14, vcc, v1, v14
	v_addc_co_u32_e32 v15, vcc, v19, v15, vcc
; %bb.130:
	s_andn2_saveexec_b64 s[2:3], s[2:3]
; %bb.131:
	v_add_co_u32_e32 v14, vcc, v16, v23
	v_addc_co_u32_e32 v15, vcc, 0, v17, vcc
; %bb.132:
	s_or_b64 exec, exec, s[2:3]
	s_mov_b64 s[2:3], -1
.LBB1404_133:
	s_and_saveexec_b64 s[4:5], s[2:3]
	s_cbranch_execz .LBB1404_216
.LBB1404_134:
	v_lshlrev_b64 v[0:1], 2, v[14:15]
	s_waitcnt lgkmcnt(1)
	v_mov_b32_e32 v2, s25
	v_add_co_u32_e32 v0, vcc, s24, v0
	v_addc_co_u32_e32 v1, vcc, v2, v1, vcc
	s_waitcnt lgkmcnt(0)
	global_store_dword v[0:1], v22, off
	s_or_b64 exec, exec, s[4:5]
	s_and_b64 s[0:1], s[0:1], s[22:23]
	s_and_saveexec_b64 s[2:3], s[0:1]
	s_cbranch_execnz .LBB1404_217
.LBB1404_135:
	s_endpgm
.LBB1404_136:
	s_mov_b64 s[2:3], 0
                                        ; implicit-def: $vgpr14_vgpr15
	s_cbranch_execz .LBB1404_133
; %bb.137:
	v_cmp_gt_u32_e32 vcc, s33, v0
	s_and_saveexec_b64 s[4:5], vcc
	s_cbranch_execz .LBB1404_173
; %bb.138:
	v_cmp_ge_u32_e32 vcc, v0, v18
                                        ; implicit-def: $vgpr14_vgpr15
	s_and_saveexec_b64 s[6:7], vcc
	s_xor_b64 s[6:7], exec, s[6:7]
; %bb.139:
	v_not_b32_e32 v14, v0
	v_ashrrev_i32_e32 v15, 31, v14
	v_add_co_u32_e32 v14, vcc, v1, v14
	v_addc_co_u32_e32 v15, vcc, v19, v15, vcc
; %bb.140:
	s_andn2_saveexec_b64 s[6:7], s[6:7]
; %bb.141:
	v_add_co_u32_e32 v14, vcc, v16, v0
	v_addc_co_u32_e32 v15, vcc, 0, v17, vcc
; %bb.142:
	s_or_b64 exec, exec, s[6:7]
	v_lshlrev_b64 v[14:15], 2, v[14:15]
	v_mov_b32_e32 v20, s25
	v_add_co_u32_e32 v14, vcc, s24, v14
	v_addc_co_u32_e32 v15, vcc, v20, v15, vcc
	s_waitcnt lgkmcnt(6)
	global_store_dword v[14:15], v12, off
	s_or_b64 exec, exec, s[4:5]
	v_cmp_gt_u32_e32 vcc, s33, v35
	s_and_saveexec_b64 s[4:5], vcc
	s_cbranch_execnz .LBB1404_174
.LBB1404_143:
	s_or_b64 exec, exec, s[4:5]
	v_cmp_gt_u32_e32 vcc, s33, v33
	s_and_saveexec_b64 s[4:5], vcc
	s_cbranch_execz .LBB1404_179
.LBB1404_144:
	v_cmp_ge_u32_e32 vcc, v33, v18
                                        ; implicit-def: $vgpr12_vgpr13
	s_and_saveexec_b64 s[6:7], vcc
	s_xor_b64 s[6:7], exec, s[6:7]
	s_cbranch_execz .LBB1404_146
; %bb.145:
	s_waitcnt lgkmcnt(6)
	v_xor_b32_e32 v12, 0xfffffdff, v0
	v_ashrrev_i32_e32 v13, 31, v12
	v_add_co_u32_e32 v12, vcc, v1, v12
	v_addc_co_u32_e32 v13, vcc, v19, v13, vcc
                                        ; implicit-def: $vgpr33
.LBB1404_146:
	s_andn2_saveexec_b64 s[6:7], s[6:7]
	s_cbranch_execz .LBB1404_148
; %bb.147:
	s_waitcnt lgkmcnt(6)
	v_add_co_u32_e32 v12, vcc, v16, v33
	v_addc_co_u32_e32 v13, vcc, 0, v17, vcc
.LBB1404_148:
	s_or_b64 exec, exec, s[6:7]
	s_waitcnt lgkmcnt(6)
	v_lshlrev_b64 v[12:13], 2, v[12:13]
	v_mov_b32_e32 v14, s25
	v_add_co_u32_e32 v12, vcc, s24, v12
	v_addc_co_u32_e32 v13, vcc, v14, v13, vcc
	s_waitcnt lgkmcnt(5)
	global_store_dword v[12:13], v10, off
	s_or_b64 exec, exec, s[4:5]
	v_cmp_gt_u32_e32 vcc, s33, v32
	s_and_saveexec_b64 s[4:5], vcc
	s_cbranch_execnz .LBB1404_180
.LBB1404_149:
	s_or_b64 exec, exec, s[4:5]
	v_cmp_gt_u32_e32 vcc, s33, v31
	s_and_saveexec_b64 s[4:5], vcc
	s_cbranch_execz .LBB1404_185
.LBB1404_150:
	v_cmp_ge_u32_e32 vcc, v31, v18
                                        ; implicit-def: $vgpr10_vgpr11
	s_and_saveexec_b64 s[6:7], vcc
	s_xor_b64 s[6:7], exec, s[6:7]
	s_cbranch_execz .LBB1404_152
; %bb.151:
	s_waitcnt lgkmcnt(5)
	v_xor_b32_e32 v10, 0xfffffbff, v0
	v_ashrrev_i32_e32 v11, 31, v10
	v_add_co_u32_e32 v10, vcc, v1, v10
	v_addc_co_u32_e32 v11, vcc, v19, v11, vcc
                                        ; implicit-def: $vgpr31
.LBB1404_152:
	s_andn2_saveexec_b64 s[6:7], s[6:7]
	s_cbranch_execz .LBB1404_154
; %bb.153:
	s_waitcnt lgkmcnt(5)
	v_add_co_u32_e32 v10, vcc, v16, v31
	v_addc_co_u32_e32 v11, vcc, 0, v17, vcc
.LBB1404_154:
	s_or_b64 exec, exec, s[6:7]
	s_waitcnt lgkmcnt(5)
	v_lshlrev_b64 v[10:11], 2, v[10:11]
	v_mov_b32_e32 v12, s25
	v_add_co_u32_e32 v10, vcc, s24, v10
	v_addc_co_u32_e32 v11, vcc, v12, v11, vcc
	s_waitcnt lgkmcnt(4)
	global_store_dword v[10:11], v8, off
	s_or_b64 exec, exec, s[4:5]
	v_cmp_gt_u32_e32 vcc, s33, v30
	s_and_saveexec_b64 s[4:5], vcc
	s_cbranch_execnz .LBB1404_186
.LBB1404_155:
	s_or_b64 exec, exec, s[4:5]
	v_cmp_gt_u32_e32 vcc, s33, v29
	s_and_saveexec_b64 s[4:5], vcc
	s_cbranch_execz .LBB1404_191
.LBB1404_156:
	v_cmp_ge_u32_e32 vcc, v29, v18
                                        ; implicit-def: $vgpr8_vgpr9
	s_and_saveexec_b64 s[6:7], vcc
	s_xor_b64 s[6:7], exec, s[6:7]
	s_cbranch_execz .LBB1404_158
; %bb.157:
	s_waitcnt lgkmcnt(4)
	v_xor_b32_e32 v8, 0xfffff9ff, v0
	v_ashrrev_i32_e32 v9, 31, v8
	v_add_co_u32_e32 v8, vcc, v1, v8
	v_addc_co_u32_e32 v9, vcc, v19, v9, vcc
                                        ; implicit-def: $vgpr29
.LBB1404_158:
	s_andn2_saveexec_b64 s[6:7], s[6:7]
	s_cbranch_execz .LBB1404_160
; %bb.159:
	s_waitcnt lgkmcnt(4)
	v_add_co_u32_e32 v8, vcc, v16, v29
	v_addc_co_u32_e32 v9, vcc, 0, v17, vcc
.LBB1404_160:
	s_or_b64 exec, exec, s[6:7]
	s_waitcnt lgkmcnt(4)
	v_lshlrev_b64 v[8:9], 2, v[8:9]
	v_mov_b32_e32 v10, s25
	v_add_co_u32_e32 v8, vcc, s24, v8
	v_addc_co_u32_e32 v9, vcc, v10, v9, vcc
	s_waitcnt lgkmcnt(3)
	global_store_dword v[8:9], v6, off
	s_or_b64 exec, exec, s[4:5]
	v_cmp_gt_u32_e32 vcc, s33, v28
	s_and_saveexec_b64 s[4:5], vcc
	s_cbranch_execnz .LBB1404_192
.LBB1404_161:
	s_or_b64 exec, exec, s[4:5]
	v_cmp_gt_u32_e32 vcc, s33, v27
	s_and_saveexec_b64 s[4:5], vcc
	s_cbranch_execz .LBB1404_197
.LBB1404_162:
	v_cmp_ge_u32_e32 vcc, v27, v18
                                        ; implicit-def: $vgpr6_vgpr7
	s_and_saveexec_b64 s[6:7], vcc
	s_xor_b64 s[6:7], exec, s[6:7]
	s_cbranch_execz .LBB1404_164
; %bb.163:
	s_waitcnt lgkmcnt(3)
	v_xor_b32_e32 v6, 0xfffff7ff, v0
	v_ashrrev_i32_e32 v7, 31, v6
	v_add_co_u32_e32 v6, vcc, v1, v6
	v_addc_co_u32_e32 v7, vcc, v19, v7, vcc
                                        ; implicit-def: $vgpr27
.LBB1404_164:
	s_andn2_saveexec_b64 s[6:7], s[6:7]
	s_cbranch_execz .LBB1404_166
; %bb.165:
	s_waitcnt lgkmcnt(3)
	v_add_co_u32_e32 v6, vcc, v16, v27
	v_addc_co_u32_e32 v7, vcc, 0, v17, vcc
.LBB1404_166:
	s_or_b64 exec, exec, s[6:7]
	s_waitcnt lgkmcnt(3)
	v_lshlrev_b64 v[6:7], 2, v[6:7]
	v_mov_b32_e32 v8, s25
	v_add_co_u32_e32 v6, vcc, s24, v6
	v_addc_co_u32_e32 v7, vcc, v8, v7, vcc
	s_waitcnt lgkmcnt(2)
	global_store_dword v[6:7], v4, off
	s_or_b64 exec, exec, s[4:5]
	v_cmp_gt_u32_e32 vcc, s33, v26
	s_and_saveexec_b64 s[4:5], vcc
	s_cbranch_execnz .LBB1404_198
.LBB1404_167:
	s_or_b64 exec, exec, s[4:5]
	v_cmp_gt_u32_e32 vcc, s33, v25
	s_and_saveexec_b64 s[4:5], vcc
	s_cbranch_execz .LBB1404_203
.LBB1404_168:
	v_cmp_ge_u32_e32 vcc, v25, v18
                                        ; implicit-def: $vgpr4_vgpr5
	s_and_saveexec_b64 s[6:7], vcc
	s_xor_b64 s[6:7], exec, s[6:7]
	s_cbranch_execz .LBB1404_170
; %bb.169:
	s_waitcnt lgkmcnt(2)
	v_xor_b32_e32 v4, 0xfffff5ff, v0
	v_ashrrev_i32_e32 v5, 31, v4
	v_add_co_u32_e32 v4, vcc, v1, v4
	v_addc_co_u32_e32 v5, vcc, v19, v5, vcc
                                        ; implicit-def: $vgpr25
.LBB1404_170:
	s_andn2_saveexec_b64 s[6:7], s[6:7]
	s_cbranch_execz .LBB1404_172
; %bb.171:
	s_waitcnt lgkmcnt(2)
	v_add_co_u32_e32 v4, vcc, v16, v25
	v_addc_co_u32_e32 v5, vcc, 0, v17, vcc
.LBB1404_172:
	s_or_b64 exec, exec, s[6:7]
	s_waitcnt lgkmcnt(2)
	v_lshlrev_b64 v[4:5], 2, v[4:5]
	v_mov_b32_e32 v6, s25
	v_add_co_u32_e32 v4, vcc, s24, v4
	v_addc_co_u32_e32 v5, vcc, v6, v5, vcc
	s_waitcnt lgkmcnt(1)
	global_store_dword v[4:5], v2, off
	s_or_b64 exec, exec, s[4:5]
	v_cmp_gt_u32_e32 vcc, s33, v24
	s_and_saveexec_b64 s[4:5], vcc
	s_cbranch_execz .LBB1404_209
	s_branch .LBB1404_204
.LBB1404_173:
	s_or_b64 exec, exec, s[4:5]
	v_cmp_gt_u32_e32 vcc, s33, v35
	s_and_saveexec_b64 s[4:5], vcc
	s_cbranch_execz .LBB1404_143
.LBB1404_174:
	v_cmp_ge_u32_e32 vcc, v35, v18
                                        ; implicit-def: $vgpr14_vgpr15
	s_and_saveexec_b64 s[6:7], vcc
	s_xor_b64 s[6:7], exec, s[6:7]
	s_cbranch_execz .LBB1404_176
; %bb.175:
	s_waitcnt lgkmcnt(6)
	v_xor_b32_e32 v12, 0xfffffeff, v0
	v_ashrrev_i32_e32 v15, 31, v12
	v_add_co_u32_e32 v14, vcc, v1, v12
	v_addc_co_u32_e32 v15, vcc, v19, v15, vcc
                                        ; implicit-def: $vgpr35
.LBB1404_176:
	s_andn2_saveexec_b64 s[6:7], s[6:7]
; %bb.177:
	v_add_co_u32_e32 v14, vcc, v16, v35
	v_addc_co_u32_e32 v15, vcc, 0, v17, vcc
; %bb.178:
	s_or_b64 exec, exec, s[6:7]
	v_lshlrev_b64 v[14:15], 2, v[14:15]
	s_waitcnt lgkmcnt(6)
	v_mov_b32_e32 v12, s25
	v_add_co_u32_e32 v14, vcc, s24, v14
	v_addc_co_u32_e32 v15, vcc, v12, v15, vcc
	global_store_dword v[14:15], v13, off
	s_or_b64 exec, exec, s[4:5]
	v_cmp_gt_u32_e32 vcc, s33, v33
	s_and_saveexec_b64 s[4:5], vcc
	s_cbranch_execnz .LBB1404_144
.LBB1404_179:
	s_or_b64 exec, exec, s[4:5]
	v_cmp_gt_u32_e32 vcc, s33, v32
	s_and_saveexec_b64 s[4:5], vcc
	s_cbranch_execz .LBB1404_149
.LBB1404_180:
	v_cmp_ge_u32_e32 vcc, v32, v18
                                        ; implicit-def: $vgpr12_vgpr13
	s_and_saveexec_b64 s[6:7], vcc
	s_xor_b64 s[6:7], exec, s[6:7]
	s_cbranch_execz .LBB1404_182
; %bb.181:
	s_waitcnt lgkmcnt(5)
	v_xor_b32_e32 v10, 0xfffffcff, v0
	v_ashrrev_i32_e32 v13, 31, v10
	v_add_co_u32_e32 v12, vcc, v1, v10
	v_addc_co_u32_e32 v13, vcc, v19, v13, vcc
                                        ; implicit-def: $vgpr32
.LBB1404_182:
	s_andn2_saveexec_b64 s[6:7], s[6:7]
	s_cbranch_execz .LBB1404_184
; %bb.183:
	s_waitcnt lgkmcnt(6)
	v_add_co_u32_e32 v12, vcc, v16, v32
	v_addc_co_u32_e32 v13, vcc, 0, v17, vcc
.LBB1404_184:
	s_or_b64 exec, exec, s[6:7]
	s_waitcnt lgkmcnt(6)
	v_lshlrev_b64 v[12:13], 2, v[12:13]
	s_waitcnt lgkmcnt(5)
	v_mov_b32_e32 v10, s25
	v_add_co_u32_e32 v12, vcc, s24, v12
	v_addc_co_u32_e32 v13, vcc, v10, v13, vcc
	global_store_dword v[12:13], v11, off
	s_or_b64 exec, exec, s[4:5]
	v_cmp_gt_u32_e32 vcc, s33, v31
	s_and_saveexec_b64 s[4:5], vcc
	s_cbranch_execnz .LBB1404_150
.LBB1404_185:
	s_or_b64 exec, exec, s[4:5]
	v_cmp_gt_u32_e32 vcc, s33, v30
	s_and_saveexec_b64 s[4:5], vcc
	s_cbranch_execz .LBB1404_155
.LBB1404_186:
	v_cmp_ge_u32_e32 vcc, v30, v18
                                        ; implicit-def: $vgpr10_vgpr11
	s_and_saveexec_b64 s[6:7], vcc
	s_xor_b64 s[6:7], exec, s[6:7]
	s_cbranch_execz .LBB1404_188
; %bb.187:
	s_waitcnt lgkmcnt(4)
	v_xor_b32_e32 v8, 0xfffffaff, v0
	v_ashrrev_i32_e32 v11, 31, v8
	v_add_co_u32_e32 v10, vcc, v1, v8
	v_addc_co_u32_e32 v11, vcc, v19, v11, vcc
                                        ; implicit-def: $vgpr30
.LBB1404_188:
	s_andn2_saveexec_b64 s[6:7], s[6:7]
	s_cbranch_execz .LBB1404_190
; %bb.189:
	s_waitcnt lgkmcnt(5)
	v_add_co_u32_e32 v10, vcc, v16, v30
	v_addc_co_u32_e32 v11, vcc, 0, v17, vcc
.LBB1404_190:
	s_or_b64 exec, exec, s[6:7]
	s_waitcnt lgkmcnt(5)
	v_lshlrev_b64 v[10:11], 2, v[10:11]
	s_waitcnt lgkmcnt(4)
	v_mov_b32_e32 v8, s25
	v_add_co_u32_e32 v10, vcc, s24, v10
	v_addc_co_u32_e32 v11, vcc, v8, v11, vcc
	global_store_dword v[10:11], v9, off
	s_or_b64 exec, exec, s[4:5]
	v_cmp_gt_u32_e32 vcc, s33, v29
	s_and_saveexec_b64 s[4:5], vcc
	s_cbranch_execnz .LBB1404_156
.LBB1404_191:
	s_or_b64 exec, exec, s[4:5]
	v_cmp_gt_u32_e32 vcc, s33, v28
	s_and_saveexec_b64 s[4:5], vcc
	s_cbranch_execz .LBB1404_161
.LBB1404_192:
	v_cmp_ge_u32_e32 vcc, v28, v18
                                        ; implicit-def: $vgpr8_vgpr9
	s_and_saveexec_b64 s[6:7], vcc
	s_xor_b64 s[6:7], exec, s[6:7]
	s_cbranch_execz .LBB1404_194
; %bb.193:
	s_waitcnt lgkmcnt(3)
	v_xor_b32_e32 v6, 0xfffff8ff, v0
	v_ashrrev_i32_e32 v9, 31, v6
	v_add_co_u32_e32 v8, vcc, v1, v6
	v_addc_co_u32_e32 v9, vcc, v19, v9, vcc
                                        ; implicit-def: $vgpr28
.LBB1404_194:
	s_andn2_saveexec_b64 s[6:7], s[6:7]
	s_cbranch_execz .LBB1404_196
; %bb.195:
	s_waitcnt lgkmcnt(4)
	v_add_co_u32_e32 v8, vcc, v16, v28
	v_addc_co_u32_e32 v9, vcc, 0, v17, vcc
.LBB1404_196:
	s_or_b64 exec, exec, s[6:7]
	s_waitcnt lgkmcnt(4)
	v_lshlrev_b64 v[8:9], 2, v[8:9]
	s_waitcnt lgkmcnt(3)
	v_mov_b32_e32 v6, s25
	v_add_co_u32_e32 v8, vcc, s24, v8
	v_addc_co_u32_e32 v9, vcc, v6, v9, vcc
	global_store_dword v[8:9], v7, off
	s_or_b64 exec, exec, s[4:5]
	v_cmp_gt_u32_e32 vcc, s33, v27
	s_and_saveexec_b64 s[4:5], vcc
	s_cbranch_execnz .LBB1404_162
.LBB1404_197:
	s_or_b64 exec, exec, s[4:5]
	v_cmp_gt_u32_e32 vcc, s33, v26
	s_and_saveexec_b64 s[4:5], vcc
	s_cbranch_execz .LBB1404_167
.LBB1404_198:
	v_cmp_ge_u32_e32 vcc, v26, v18
                                        ; implicit-def: $vgpr6_vgpr7
	s_and_saveexec_b64 s[6:7], vcc
	s_xor_b64 s[6:7], exec, s[6:7]
	s_cbranch_execz .LBB1404_200
; %bb.199:
	s_waitcnt lgkmcnt(2)
	v_xor_b32_e32 v4, 0xfffff6ff, v0
	v_ashrrev_i32_e32 v7, 31, v4
	v_add_co_u32_e32 v6, vcc, v1, v4
	v_addc_co_u32_e32 v7, vcc, v19, v7, vcc
                                        ; implicit-def: $vgpr26
.LBB1404_200:
	s_andn2_saveexec_b64 s[6:7], s[6:7]
	s_cbranch_execz .LBB1404_202
; %bb.201:
	s_waitcnt lgkmcnt(3)
	v_add_co_u32_e32 v6, vcc, v16, v26
	v_addc_co_u32_e32 v7, vcc, 0, v17, vcc
.LBB1404_202:
	s_or_b64 exec, exec, s[6:7]
	s_waitcnt lgkmcnt(3)
	v_lshlrev_b64 v[6:7], 2, v[6:7]
	s_waitcnt lgkmcnt(2)
	v_mov_b32_e32 v4, s25
	v_add_co_u32_e32 v6, vcc, s24, v6
	v_addc_co_u32_e32 v7, vcc, v4, v7, vcc
	global_store_dword v[6:7], v5, off
	s_or_b64 exec, exec, s[4:5]
	v_cmp_gt_u32_e32 vcc, s33, v25
	s_and_saveexec_b64 s[4:5], vcc
	s_cbranch_execnz .LBB1404_168
.LBB1404_203:
	s_or_b64 exec, exec, s[4:5]
	v_cmp_gt_u32_e32 vcc, s33, v24
	s_and_saveexec_b64 s[4:5], vcc
	s_cbranch_execz .LBB1404_209
.LBB1404_204:
	v_cmp_ge_u32_e32 vcc, v24, v18
                                        ; implicit-def: $vgpr4_vgpr5
	s_and_saveexec_b64 s[6:7], vcc
	s_xor_b64 s[6:7], exec, s[6:7]
	s_cbranch_execz .LBB1404_206
; %bb.205:
	s_waitcnt lgkmcnt(1)
	v_xor_b32_e32 v2, 0xfffff4ff, v0
	v_ashrrev_i32_e32 v5, 31, v2
	v_add_co_u32_e32 v4, vcc, v1, v2
	v_addc_co_u32_e32 v5, vcc, v19, v5, vcc
                                        ; implicit-def: $vgpr24
.LBB1404_206:
	s_andn2_saveexec_b64 s[6:7], s[6:7]
	s_cbranch_execz .LBB1404_208
; %bb.207:
	s_waitcnt lgkmcnt(2)
	v_add_co_u32_e32 v4, vcc, v16, v24
	v_addc_co_u32_e32 v5, vcc, 0, v17, vcc
.LBB1404_208:
	s_or_b64 exec, exec, s[6:7]
	s_waitcnt lgkmcnt(2)
	v_lshlrev_b64 v[4:5], 2, v[4:5]
	s_waitcnt lgkmcnt(1)
	v_mov_b32_e32 v2, s25
	v_add_co_u32_e32 v4, vcc, s24, v4
	v_addc_co_u32_e32 v5, vcc, v2, v5, vcc
	global_store_dword v[4:5], v3, off
.LBB1404_209:
	s_or_b64 exec, exec, s[4:5]
	v_cmp_gt_u32_e32 vcc, s33, v23
                                        ; implicit-def: $vgpr14_vgpr15
	s_and_saveexec_b64 s[4:5], vcc
	s_cbranch_execz .LBB1404_215
; %bb.210:
	v_cmp_ge_u32_e32 vcc, v23, v18
                                        ; implicit-def: $vgpr14_vgpr15
	s_and_saveexec_b64 s[6:7], vcc
	s_xor_b64 s[6:7], exec, s[6:7]
	s_cbranch_execz .LBB1404_212
; %bb.211:
	v_xor_b32_e32 v0, 0xfffff3ff, v0
	s_waitcnt lgkmcnt(1)
	v_ashrrev_i32_e32 v2, 31, v0
	v_add_co_u32_e32 v14, vcc, v1, v0
	v_addc_co_u32_e32 v15, vcc, v19, v2, vcc
                                        ; implicit-def: $vgpr23
.LBB1404_212:
	s_andn2_saveexec_b64 s[6:7], s[6:7]
; %bb.213:
	v_add_co_u32_e32 v14, vcc, v16, v23
	v_addc_co_u32_e32 v15, vcc, 0, v17, vcc
; %bb.214:
	s_or_b64 exec, exec, s[6:7]
	s_or_b64 s[2:3], s[2:3], exec
.LBB1404_215:
	s_or_b64 exec, exec, s[4:5]
	s_and_saveexec_b64 s[4:5], s[2:3]
	s_cbranch_execnz .LBB1404_134
.LBB1404_216:
	s_or_b64 exec, exec, s[4:5]
	s_and_b64 s[0:1], s[0:1], s[22:23]
	s_and_saveexec_b64 s[2:3], s[0:1]
	s_cbranch_execz .LBB1404_135
.LBB1404_217:
	v_add_co_u32_e32 v0, vcc, v16, v18
	s_waitcnt lgkmcnt(1)
	v_mov_b32_e32 v2, 0
	v_addc_co_u32_e32 v1, vcc, 0, v17, vcc
	global_store_dwordx2 v2, v[0:1], s[20:21]
	s_endpgm
	.section	.rodata,"a",@progbits
	.p2align	6, 0x0
	.amdhsa_kernel _ZN7rocprim17ROCPRIM_400000_NS6detail17trampoline_kernelINS0_13select_configILj256ELj13ELNS0_17block_load_methodE3ELS4_3ELS4_3ELNS0_20block_scan_algorithmE0ELj4294967295EEENS1_25partition_config_selectorILNS1_17partition_subalgoE3EjNS0_10empty_typeEbEEZZNS1_14partition_implILS8_3ELb0ES6_jNS0_17counting_iteratorIjlEEPS9_SE_NS0_5tupleIJPjSE_EEENSF_IJSE_SE_EEES9_SG_JZNS1_25segmented_radix_sort_implINS0_14default_configELb0EPKfPfPKlPlN2at6native12_GLOBAL__N_18offset_tEEE10hipError_tPvRmT1_PNSt15iterator_traitsISY_E10value_typeET2_T3_PNSZ_IS14_E10value_typeET4_jRbjT5_S1A_jjP12ihipStream_tbEUljE_EEESV_SW_SX_S14_S18_S1A_T6_T7_T9_mT8_S1C_bDpT10_ENKUlT_T0_E_clISt17integral_constantIbLb1EES1P_EEDaS1K_S1L_EUlS1K_E_NS1_11comp_targetILNS1_3genE4ELNS1_11target_archE910ELNS1_3gpuE8ELNS1_3repE0EEENS1_30default_config_static_selectorELNS0_4arch9wavefront6targetE1EEEvSY_
		.amdhsa_group_segment_fixed_size 13324
		.amdhsa_private_segment_fixed_size 0
		.amdhsa_kernarg_size 152
		.amdhsa_user_sgpr_count 6
		.amdhsa_user_sgpr_private_segment_buffer 1
		.amdhsa_user_sgpr_dispatch_ptr 0
		.amdhsa_user_sgpr_queue_ptr 0
		.amdhsa_user_sgpr_kernarg_segment_ptr 1
		.amdhsa_user_sgpr_dispatch_id 0
		.amdhsa_user_sgpr_flat_scratch_init 0
		.amdhsa_user_sgpr_kernarg_preload_length 0
		.amdhsa_user_sgpr_kernarg_preload_offset 0
		.amdhsa_user_sgpr_private_segment_size 0
		.amdhsa_uses_dynamic_stack 0
		.amdhsa_system_sgpr_private_segment_wavefront_offset 0
		.amdhsa_system_sgpr_workgroup_id_x 1
		.amdhsa_system_sgpr_workgroup_id_y 0
		.amdhsa_system_sgpr_workgroup_id_z 0
		.amdhsa_system_sgpr_workgroup_info 0
		.amdhsa_system_vgpr_workitem_id 0
		.amdhsa_next_free_vgpr 64
		.amdhsa_next_free_sgpr 44
		.amdhsa_accum_offset 64
		.amdhsa_reserve_vcc 1
		.amdhsa_reserve_flat_scratch 0
		.amdhsa_float_round_mode_32 0
		.amdhsa_float_round_mode_16_64 0
		.amdhsa_float_denorm_mode_32 3
		.amdhsa_float_denorm_mode_16_64 3
		.amdhsa_dx10_clamp 1
		.amdhsa_ieee_mode 1
		.amdhsa_fp16_overflow 0
		.amdhsa_tg_split 0
		.amdhsa_exception_fp_ieee_invalid_op 0
		.amdhsa_exception_fp_denorm_src 0
		.amdhsa_exception_fp_ieee_div_zero 0
		.amdhsa_exception_fp_ieee_overflow 0
		.amdhsa_exception_fp_ieee_underflow 0
		.amdhsa_exception_fp_ieee_inexact 0
		.amdhsa_exception_int_div_zero 0
	.end_amdhsa_kernel
	.section	.text._ZN7rocprim17ROCPRIM_400000_NS6detail17trampoline_kernelINS0_13select_configILj256ELj13ELNS0_17block_load_methodE3ELS4_3ELS4_3ELNS0_20block_scan_algorithmE0ELj4294967295EEENS1_25partition_config_selectorILNS1_17partition_subalgoE3EjNS0_10empty_typeEbEEZZNS1_14partition_implILS8_3ELb0ES6_jNS0_17counting_iteratorIjlEEPS9_SE_NS0_5tupleIJPjSE_EEENSF_IJSE_SE_EEES9_SG_JZNS1_25segmented_radix_sort_implINS0_14default_configELb0EPKfPfPKlPlN2at6native12_GLOBAL__N_18offset_tEEE10hipError_tPvRmT1_PNSt15iterator_traitsISY_E10value_typeET2_T3_PNSZ_IS14_E10value_typeET4_jRbjT5_S1A_jjP12ihipStream_tbEUljE_EEESV_SW_SX_S14_S18_S1A_T6_T7_T9_mT8_S1C_bDpT10_ENKUlT_T0_E_clISt17integral_constantIbLb1EES1P_EEDaS1K_S1L_EUlS1K_E_NS1_11comp_targetILNS1_3genE4ELNS1_11target_archE910ELNS1_3gpuE8ELNS1_3repE0EEENS1_30default_config_static_selectorELNS0_4arch9wavefront6targetE1EEEvSY_,"axG",@progbits,_ZN7rocprim17ROCPRIM_400000_NS6detail17trampoline_kernelINS0_13select_configILj256ELj13ELNS0_17block_load_methodE3ELS4_3ELS4_3ELNS0_20block_scan_algorithmE0ELj4294967295EEENS1_25partition_config_selectorILNS1_17partition_subalgoE3EjNS0_10empty_typeEbEEZZNS1_14partition_implILS8_3ELb0ES6_jNS0_17counting_iteratorIjlEEPS9_SE_NS0_5tupleIJPjSE_EEENSF_IJSE_SE_EEES9_SG_JZNS1_25segmented_radix_sort_implINS0_14default_configELb0EPKfPfPKlPlN2at6native12_GLOBAL__N_18offset_tEEE10hipError_tPvRmT1_PNSt15iterator_traitsISY_E10value_typeET2_T3_PNSZ_IS14_E10value_typeET4_jRbjT5_S1A_jjP12ihipStream_tbEUljE_EEESV_SW_SX_S14_S18_S1A_T6_T7_T9_mT8_S1C_bDpT10_ENKUlT_T0_E_clISt17integral_constantIbLb1EES1P_EEDaS1K_S1L_EUlS1K_E_NS1_11comp_targetILNS1_3genE4ELNS1_11target_archE910ELNS1_3gpuE8ELNS1_3repE0EEENS1_30default_config_static_selectorELNS0_4arch9wavefront6targetE1EEEvSY_,comdat
.Lfunc_end1404:
	.size	_ZN7rocprim17ROCPRIM_400000_NS6detail17trampoline_kernelINS0_13select_configILj256ELj13ELNS0_17block_load_methodE3ELS4_3ELS4_3ELNS0_20block_scan_algorithmE0ELj4294967295EEENS1_25partition_config_selectorILNS1_17partition_subalgoE3EjNS0_10empty_typeEbEEZZNS1_14partition_implILS8_3ELb0ES6_jNS0_17counting_iteratorIjlEEPS9_SE_NS0_5tupleIJPjSE_EEENSF_IJSE_SE_EEES9_SG_JZNS1_25segmented_radix_sort_implINS0_14default_configELb0EPKfPfPKlPlN2at6native12_GLOBAL__N_18offset_tEEE10hipError_tPvRmT1_PNSt15iterator_traitsISY_E10value_typeET2_T3_PNSZ_IS14_E10value_typeET4_jRbjT5_S1A_jjP12ihipStream_tbEUljE_EEESV_SW_SX_S14_S18_S1A_T6_T7_T9_mT8_S1C_bDpT10_ENKUlT_T0_E_clISt17integral_constantIbLb1EES1P_EEDaS1K_S1L_EUlS1K_E_NS1_11comp_targetILNS1_3genE4ELNS1_11target_archE910ELNS1_3gpuE8ELNS1_3repE0EEENS1_30default_config_static_selectorELNS0_4arch9wavefront6targetE1EEEvSY_, .Lfunc_end1404-_ZN7rocprim17ROCPRIM_400000_NS6detail17trampoline_kernelINS0_13select_configILj256ELj13ELNS0_17block_load_methodE3ELS4_3ELS4_3ELNS0_20block_scan_algorithmE0ELj4294967295EEENS1_25partition_config_selectorILNS1_17partition_subalgoE3EjNS0_10empty_typeEbEEZZNS1_14partition_implILS8_3ELb0ES6_jNS0_17counting_iteratorIjlEEPS9_SE_NS0_5tupleIJPjSE_EEENSF_IJSE_SE_EEES9_SG_JZNS1_25segmented_radix_sort_implINS0_14default_configELb0EPKfPfPKlPlN2at6native12_GLOBAL__N_18offset_tEEE10hipError_tPvRmT1_PNSt15iterator_traitsISY_E10value_typeET2_T3_PNSZ_IS14_E10value_typeET4_jRbjT5_S1A_jjP12ihipStream_tbEUljE_EEESV_SW_SX_S14_S18_S1A_T6_T7_T9_mT8_S1C_bDpT10_ENKUlT_T0_E_clISt17integral_constantIbLb1EES1P_EEDaS1K_S1L_EUlS1K_E_NS1_11comp_targetILNS1_3genE4ELNS1_11target_archE910ELNS1_3gpuE8ELNS1_3repE0EEENS1_30default_config_static_selectorELNS0_4arch9wavefront6targetE1EEEvSY_
                                        ; -- End function
	.section	.AMDGPU.csdata,"",@progbits
; Kernel info:
; codeLenInByte = 7896
; NumSgprs: 48
; NumVgprs: 64
; NumAgprs: 0
; TotalNumVgprs: 64
; ScratchSize: 0
; MemoryBound: 0
; FloatMode: 240
; IeeeMode: 1
; LDSByteSize: 13324 bytes/workgroup (compile time only)
; SGPRBlocks: 5
; VGPRBlocks: 7
; NumSGPRsForWavesPerEU: 48
; NumVGPRsForWavesPerEU: 64
; AccumOffset: 64
; Occupancy: 4
; WaveLimiterHint : 0
; COMPUTE_PGM_RSRC2:SCRATCH_EN: 0
; COMPUTE_PGM_RSRC2:USER_SGPR: 6
; COMPUTE_PGM_RSRC2:TRAP_HANDLER: 0
; COMPUTE_PGM_RSRC2:TGID_X_EN: 1
; COMPUTE_PGM_RSRC2:TGID_Y_EN: 0
; COMPUTE_PGM_RSRC2:TGID_Z_EN: 0
; COMPUTE_PGM_RSRC2:TIDIG_COMP_CNT: 0
; COMPUTE_PGM_RSRC3_GFX90A:ACCUM_OFFSET: 15
; COMPUTE_PGM_RSRC3_GFX90A:TG_SPLIT: 0
	.section	.text._ZN7rocprim17ROCPRIM_400000_NS6detail17trampoline_kernelINS0_13select_configILj256ELj13ELNS0_17block_load_methodE3ELS4_3ELS4_3ELNS0_20block_scan_algorithmE0ELj4294967295EEENS1_25partition_config_selectorILNS1_17partition_subalgoE3EjNS0_10empty_typeEbEEZZNS1_14partition_implILS8_3ELb0ES6_jNS0_17counting_iteratorIjlEEPS9_SE_NS0_5tupleIJPjSE_EEENSF_IJSE_SE_EEES9_SG_JZNS1_25segmented_radix_sort_implINS0_14default_configELb0EPKfPfPKlPlN2at6native12_GLOBAL__N_18offset_tEEE10hipError_tPvRmT1_PNSt15iterator_traitsISY_E10value_typeET2_T3_PNSZ_IS14_E10value_typeET4_jRbjT5_S1A_jjP12ihipStream_tbEUljE_EEESV_SW_SX_S14_S18_S1A_T6_T7_T9_mT8_S1C_bDpT10_ENKUlT_T0_E_clISt17integral_constantIbLb1EES1P_EEDaS1K_S1L_EUlS1K_E_NS1_11comp_targetILNS1_3genE3ELNS1_11target_archE908ELNS1_3gpuE7ELNS1_3repE0EEENS1_30default_config_static_selectorELNS0_4arch9wavefront6targetE1EEEvSY_,"axG",@progbits,_ZN7rocprim17ROCPRIM_400000_NS6detail17trampoline_kernelINS0_13select_configILj256ELj13ELNS0_17block_load_methodE3ELS4_3ELS4_3ELNS0_20block_scan_algorithmE0ELj4294967295EEENS1_25partition_config_selectorILNS1_17partition_subalgoE3EjNS0_10empty_typeEbEEZZNS1_14partition_implILS8_3ELb0ES6_jNS0_17counting_iteratorIjlEEPS9_SE_NS0_5tupleIJPjSE_EEENSF_IJSE_SE_EEES9_SG_JZNS1_25segmented_radix_sort_implINS0_14default_configELb0EPKfPfPKlPlN2at6native12_GLOBAL__N_18offset_tEEE10hipError_tPvRmT1_PNSt15iterator_traitsISY_E10value_typeET2_T3_PNSZ_IS14_E10value_typeET4_jRbjT5_S1A_jjP12ihipStream_tbEUljE_EEESV_SW_SX_S14_S18_S1A_T6_T7_T9_mT8_S1C_bDpT10_ENKUlT_T0_E_clISt17integral_constantIbLb1EES1P_EEDaS1K_S1L_EUlS1K_E_NS1_11comp_targetILNS1_3genE3ELNS1_11target_archE908ELNS1_3gpuE7ELNS1_3repE0EEENS1_30default_config_static_selectorELNS0_4arch9wavefront6targetE1EEEvSY_,comdat
	.globl	_ZN7rocprim17ROCPRIM_400000_NS6detail17trampoline_kernelINS0_13select_configILj256ELj13ELNS0_17block_load_methodE3ELS4_3ELS4_3ELNS0_20block_scan_algorithmE0ELj4294967295EEENS1_25partition_config_selectorILNS1_17partition_subalgoE3EjNS0_10empty_typeEbEEZZNS1_14partition_implILS8_3ELb0ES6_jNS0_17counting_iteratorIjlEEPS9_SE_NS0_5tupleIJPjSE_EEENSF_IJSE_SE_EEES9_SG_JZNS1_25segmented_radix_sort_implINS0_14default_configELb0EPKfPfPKlPlN2at6native12_GLOBAL__N_18offset_tEEE10hipError_tPvRmT1_PNSt15iterator_traitsISY_E10value_typeET2_T3_PNSZ_IS14_E10value_typeET4_jRbjT5_S1A_jjP12ihipStream_tbEUljE_EEESV_SW_SX_S14_S18_S1A_T6_T7_T9_mT8_S1C_bDpT10_ENKUlT_T0_E_clISt17integral_constantIbLb1EES1P_EEDaS1K_S1L_EUlS1K_E_NS1_11comp_targetILNS1_3genE3ELNS1_11target_archE908ELNS1_3gpuE7ELNS1_3repE0EEENS1_30default_config_static_selectorELNS0_4arch9wavefront6targetE1EEEvSY_ ; -- Begin function _ZN7rocprim17ROCPRIM_400000_NS6detail17trampoline_kernelINS0_13select_configILj256ELj13ELNS0_17block_load_methodE3ELS4_3ELS4_3ELNS0_20block_scan_algorithmE0ELj4294967295EEENS1_25partition_config_selectorILNS1_17partition_subalgoE3EjNS0_10empty_typeEbEEZZNS1_14partition_implILS8_3ELb0ES6_jNS0_17counting_iteratorIjlEEPS9_SE_NS0_5tupleIJPjSE_EEENSF_IJSE_SE_EEES9_SG_JZNS1_25segmented_radix_sort_implINS0_14default_configELb0EPKfPfPKlPlN2at6native12_GLOBAL__N_18offset_tEEE10hipError_tPvRmT1_PNSt15iterator_traitsISY_E10value_typeET2_T3_PNSZ_IS14_E10value_typeET4_jRbjT5_S1A_jjP12ihipStream_tbEUljE_EEESV_SW_SX_S14_S18_S1A_T6_T7_T9_mT8_S1C_bDpT10_ENKUlT_T0_E_clISt17integral_constantIbLb1EES1P_EEDaS1K_S1L_EUlS1K_E_NS1_11comp_targetILNS1_3genE3ELNS1_11target_archE908ELNS1_3gpuE7ELNS1_3repE0EEENS1_30default_config_static_selectorELNS0_4arch9wavefront6targetE1EEEvSY_
	.p2align	8
	.type	_ZN7rocprim17ROCPRIM_400000_NS6detail17trampoline_kernelINS0_13select_configILj256ELj13ELNS0_17block_load_methodE3ELS4_3ELS4_3ELNS0_20block_scan_algorithmE0ELj4294967295EEENS1_25partition_config_selectorILNS1_17partition_subalgoE3EjNS0_10empty_typeEbEEZZNS1_14partition_implILS8_3ELb0ES6_jNS0_17counting_iteratorIjlEEPS9_SE_NS0_5tupleIJPjSE_EEENSF_IJSE_SE_EEES9_SG_JZNS1_25segmented_radix_sort_implINS0_14default_configELb0EPKfPfPKlPlN2at6native12_GLOBAL__N_18offset_tEEE10hipError_tPvRmT1_PNSt15iterator_traitsISY_E10value_typeET2_T3_PNSZ_IS14_E10value_typeET4_jRbjT5_S1A_jjP12ihipStream_tbEUljE_EEESV_SW_SX_S14_S18_S1A_T6_T7_T9_mT8_S1C_bDpT10_ENKUlT_T0_E_clISt17integral_constantIbLb1EES1P_EEDaS1K_S1L_EUlS1K_E_NS1_11comp_targetILNS1_3genE3ELNS1_11target_archE908ELNS1_3gpuE7ELNS1_3repE0EEENS1_30default_config_static_selectorELNS0_4arch9wavefront6targetE1EEEvSY_,@function
_ZN7rocprim17ROCPRIM_400000_NS6detail17trampoline_kernelINS0_13select_configILj256ELj13ELNS0_17block_load_methodE3ELS4_3ELS4_3ELNS0_20block_scan_algorithmE0ELj4294967295EEENS1_25partition_config_selectorILNS1_17partition_subalgoE3EjNS0_10empty_typeEbEEZZNS1_14partition_implILS8_3ELb0ES6_jNS0_17counting_iteratorIjlEEPS9_SE_NS0_5tupleIJPjSE_EEENSF_IJSE_SE_EEES9_SG_JZNS1_25segmented_radix_sort_implINS0_14default_configELb0EPKfPfPKlPlN2at6native12_GLOBAL__N_18offset_tEEE10hipError_tPvRmT1_PNSt15iterator_traitsISY_E10value_typeET2_T3_PNSZ_IS14_E10value_typeET4_jRbjT5_S1A_jjP12ihipStream_tbEUljE_EEESV_SW_SX_S14_S18_S1A_T6_T7_T9_mT8_S1C_bDpT10_ENKUlT_T0_E_clISt17integral_constantIbLb1EES1P_EEDaS1K_S1L_EUlS1K_E_NS1_11comp_targetILNS1_3genE3ELNS1_11target_archE908ELNS1_3gpuE7ELNS1_3repE0EEENS1_30default_config_static_selectorELNS0_4arch9wavefront6targetE1EEEvSY_: ; @_ZN7rocprim17ROCPRIM_400000_NS6detail17trampoline_kernelINS0_13select_configILj256ELj13ELNS0_17block_load_methodE3ELS4_3ELS4_3ELNS0_20block_scan_algorithmE0ELj4294967295EEENS1_25partition_config_selectorILNS1_17partition_subalgoE3EjNS0_10empty_typeEbEEZZNS1_14partition_implILS8_3ELb0ES6_jNS0_17counting_iteratorIjlEEPS9_SE_NS0_5tupleIJPjSE_EEENSF_IJSE_SE_EEES9_SG_JZNS1_25segmented_radix_sort_implINS0_14default_configELb0EPKfPfPKlPlN2at6native12_GLOBAL__N_18offset_tEEE10hipError_tPvRmT1_PNSt15iterator_traitsISY_E10value_typeET2_T3_PNSZ_IS14_E10value_typeET4_jRbjT5_S1A_jjP12ihipStream_tbEUljE_EEESV_SW_SX_S14_S18_S1A_T6_T7_T9_mT8_S1C_bDpT10_ENKUlT_T0_E_clISt17integral_constantIbLb1EES1P_EEDaS1K_S1L_EUlS1K_E_NS1_11comp_targetILNS1_3genE3ELNS1_11target_archE908ELNS1_3gpuE7ELNS1_3repE0EEENS1_30default_config_static_selectorELNS0_4arch9wavefront6targetE1EEEvSY_
; %bb.0:
	.section	.rodata,"a",@progbits
	.p2align	6, 0x0
	.amdhsa_kernel _ZN7rocprim17ROCPRIM_400000_NS6detail17trampoline_kernelINS0_13select_configILj256ELj13ELNS0_17block_load_methodE3ELS4_3ELS4_3ELNS0_20block_scan_algorithmE0ELj4294967295EEENS1_25partition_config_selectorILNS1_17partition_subalgoE3EjNS0_10empty_typeEbEEZZNS1_14partition_implILS8_3ELb0ES6_jNS0_17counting_iteratorIjlEEPS9_SE_NS0_5tupleIJPjSE_EEENSF_IJSE_SE_EEES9_SG_JZNS1_25segmented_radix_sort_implINS0_14default_configELb0EPKfPfPKlPlN2at6native12_GLOBAL__N_18offset_tEEE10hipError_tPvRmT1_PNSt15iterator_traitsISY_E10value_typeET2_T3_PNSZ_IS14_E10value_typeET4_jRbjT5_S1A_jjP12ihipStream_tbEUljE_EEESV_SW_SX_S14_S18_S1A_T6_T7_T9_mT8_S1C_bDpT10_ENKUlT_T0_E_clISt17integral_constantIbLb1EES1P_EEDaS1K_S1L_EUlS1K_E_NS1_11comp_targetILNS1_3genE3ELNS1_11target_archE908ELNS1_3gpuE7ELNS1_3repE0EEENS1_30default_config_static_selectorELNS0_4arch9wavefront6targetE1EEEvSY_
		.amdhsa_group_segment_fixed_size 0
		.amdhsa_private_segment_fixed_size 0
		.amdhsa_kernarg_size 152
		.amdhsa_user_sgpr_count 6
		.amdhsa_user_sgpr_private_segment_buffer 1
		.amdhsa_user_sgpr_dispatch_ptr 0
		.amdhsa_user_sgpr_queue_ptr 0
		.amdhsa_user_sgpr_kernarg_segment_ptr 1
		.amdhsa_user_sgpr_dispatch_id 0
		.amdhsa_user_sgpr_flat_scratch_init 0
		.amdhsa_user_sgpr_kernarg_preload_length 0
		.amdhsa_user_sgpr_kernarg_preload_offset 0
		.amdhsa_user_sgpr_private_segment_size 0
		.amdhsa_uses_dynamic_stack 0
		.amdhsa_system_sgpr_private_segment_wavefront_offset 0
		.amdhsa_system_sgpr_workgroup_id_x 1
		.amdhsa_system_sgpr_workgroup_id_y 0
		.amdhsa_system_sgpr_workgroup_id_z 0
		.amdhsa_system_sgpr_workgroup_info 0
		.amdhsa_system_vgpr_workitem_id 0
		.amdhsa_next_free_vgpr 1
		.amdhsa_next_free_sgpr 0
		.amdhsa_accum_offset 4
		.amdhsa_reserve_vcc 0
		.amdhsa_reserve_flat_scratch 0
		.amdhsa_float_round_mode_32 0
		.amdhsa_float_round_mode_16_64 0
		.amdhsa_float_denorm_mode_32 3
		.amdhsa_float_denorm_mode_16_64 3
		.amdhsa_dx10_clamp 1
		.amdhsa_ieee_mode 1
		.amdhsa_fp16_overflow 0
		.amdhsa_tg_split 0
		.amdhsa_exception_fp_ieee_invalid_op 0
		.amdhsa_exception_fp_denorm_src 0
		.amdhsa_exception_fp_ieee_div_zero 0
		.amdhsa_exception_fp_ieee_overflow 0
		.amdhsa_exception_fp_ieee_underflow 0
		.amdhsa_exception_fp_ieee_inexact 0
		.amdhsa_exception_int_div_zero 0
	.end_amdhsa_kernel
	.section	.text._ZN7rocprim17ROCPRIM_400000_NS6detail17trampoline_kernelINS0_13select_configILj256ELj13ELNS0_17block_load_methodE3ELS4_3ELS4_3ELNS0_20block_scan_algorithmE0ELj4294967295EEENS1_25partition_config_selectorILNS1_17partition_subalgoE3EjNS0_10empty_typeEbEEZZNS1_14partition_implILS8_3ELb0ES6_jNS0_17counting_iteratorIjlEEPS9_SE_NS0_5tupleIJPjSE_EEENSF_IJSE_SE_EEES9_SG_JZNS1_25segmented_radix_sort_implINS0_14default_configELb0EPKfPfPKlPlN2at6native12_GLOBAL__N_18offset_tEEE10hipError_tPvRmT1_PNSt15iterator_traitsISY_E10value_typeET2_T3_PNSZ_IS14_E10value_typeET4_jRbjT5_S1A_jjP12ihipStream_tbEUljE_EEESV_SW_SX_S14_S18_S1A_T6_T7_T9_mT8_S1C_bDpT10_ENKUlT_T0_E_clISt17integral_constantIbLb1EES1P_EEDaS1K_S1L_EUlS1K_E_NS1_11comp_targetILNS1_3genE3ELNS1_11target_archE908ELNS1_3gpuE7ELNS1_3repE0EEENS1_30default_config_static_selectorELNS0_4arch9wavefront6targetE1EEEvSY_,"axG",@progbits,_ZN7rocprim17ROCPRIM_400000_NS6detail17trampoline_kernelINS0_13select_configILj256ELj13ELNS0_17block_load_methodE3ELS4_3ELS4_3ELNS0_20block_scan_algorithmE0ELj4294967295EEENS1_25partition_config_selectorILNS1_17partition_subalgoE3EjNS0_10empty_typeEbEEZZNS1_14partition_implILS8_3ELb0ES6_jNS0_17counting_iteratorIjlEEPS9_SE_NS0_5tupleIJPjSE_EEENSF_IJSE_SE_EEES9_SG_JZNS1_25segmented_radix_sort_implINS0_14default_configELb0EPKfPfPKlPlN2at6native12_GLOBAL__N_18offset_tEEE10hipError_tPvRmT1_PNSt15iterator_traitsISY_E10value_typeET2_T3_PNSZ_IS14_E10value_typeET4_jRbjT5_S1A_jjP12ihipStream_tbEUljE_EEESV_SW_SX_S14_S18_S1A_T6_T7_T9_mT8_S1C_bDpT10_ENKUlT_T0_E_clISt17integral_constantIbLb1EES1P_EEDaS1K_S1L_EUlS1K_E_NS1_11comp_targetILNS1_3genE3ELNS1_11target_archE908ELNS1_3gpuE7ELNS1_3repE0EEENS1_30default_config_static_selectorELNS0_4arch9wavefront6targetE1EEEvSY_,comdat
.Lfunc_end1405:
	.size	_ZN7rocprim17ROCPRIM_400000_NS6detail17trampoline_kernelINS0_13select_configILj256ELj13ELNS0_17block_load_methodE3ELS4_3ELS4_3ELNS0_20block_scan_algorithmE0ELj4294967295EEENS1_25partition_config_selectorILNS1_17partition_subalgoE3EjNS0_10empty_typeEbEEZZNS1_14partition_implILS8_3ELb0ES6_jNS0_17counting_iteratorIjlEEPS9_SE_NS0_5tupleIJPjSE_EEENSF_IJSE_SE_EEES9_SG_JZNS1_25segmented_radix_sort_implINS0_14default_configELb0EPKfPfPKlPlN2at6native12_GLOBAL__N_18offset_tEEE10hipError_tPvRmT1_PNSt15iterator_traitsISY_E10value_typeET2_T3_PNSZ_IS14_E10value_typeET4_jRbjT5_S1A_jjP12ihipStream_tbEUljE_EEESV_SW_SX_S14_S18_S1A_T6_T7_T9_mT8_S1C_bDpT10_ENKUlT_T0_E_clISt17integral_constantIbLb1EES1P_EEDaS1K_S1L_EUlS1K_E_NS1_11comp_targetILNS1_3genE3ELNS1_11target_archE908ELNS1_3gpuE7ELNS1_3repE0EEENS1_30default_config_static_selectorELNS0_4arch9wavefront6targetE1EEEvSY_, .Lfunc_end1405-_ZN7rocprim17ROCPRIM_400000_NS6detail17trampoline_kernelINS0_13select_configILj256ELj13ELNS0_17block_load_methodE3ELS4_3ELS4_3ELNS0_20block_scan_algorithmE0ELj4294967295EEENS1_25partition_config_selectorILNS1_17partition_subalgoE3EjNS0_10empty_typeEbEEZZNS1_14partition_implILS8_3ELb0ES6_jNS0_17counting_iteratorIjlEEPS9_SE_NS0_5tupleIJPjSE_EEENSF_IJSE_SE_EEES9_SG_JZNS1_25segmented_radix_sort_implINS0_14default_configELb0EPKfPfPKlPlN2at6native12_GLOBAL__N_18offset_tEEE10hipError_tPvRmT1_PNSt15iterator_traitsISY_E10value_typeET2_T3_PNSZ_IS14_E10value_typeET4_jRbjT5_S1A_jjP12ihipStream_tbEUljE_EEESV_SW_SX_S14_S18_S1A_T6_T7_T9_mT8_S1C_bDpT10_ENKUlT_T0_E_clISt17integral_constantIbLb1EES1P_EEDaS1K_S1L_EUlS1K_E_NS1_11comp_targetILNS1_3genE3ELNS1_11target_archE908ELNS1_3gpuE7ELNS1_3repE0EEENS1_30default_config_static_selectorELNS0_4arch9wavefront6targetE1EEEvSY_
                                        ; -- End function
	.section	.AMDGPU.csdata,"",@progbits
; Kernel info:
; codeLenInByte = 0
; NumSgprs: 4
; NumVgprs: 0
; NumAgprs: 0
; TotalNumVgprs: 0
; ScratchSize: 0
; MemoryBound: 0
; FloatMode: 240
; IeeeMode: 1
; LDSByteSize: 0 bytes/workgroup (compile time only)
; SGPRBlocks: 0
; VGPRBlocks: 0
; NumSGPRsForWavesPerEU: 4
; NumVGPRsForWavesPerEU: 1
; AccumOffset: 4
; Occupancy: 8
; WaveLimiterHint : 0
; COMPUTE_PGM_RSRC2:SCRATCH_EN: 0
; COMPUTE_PGM_RSRC2:USER_SGPR: 6
; COMPUTE_PGM_RSRC2:TRAP_HANDLER: 0
; COMPUTE_PGM_RSRC2:TGID_X_EN: 1
; COMPUTE_PGM_RSRC2:TGID_Y_EN: 0
; COMPUTE_PGM_RSRC2:TGID_Z_EN: 0
; COMPUTE_PGM_RSRC2:TIDIG_COMP_CNT: 0
; COMPUTE_PGM_RSRC3_GFX90A:ACCUM_OFFSET: 0
; COMPUTE_PGM_RSRC3_GFX90A:TG_SPLIT: 0
	.section	.text._ZN7rocprim17ROCPRIM_400000_NS6detail17trampoline_kernelINS0_13select_configILj256ELj13ELNS0_17block_load_methodE3ELS4_3ELS4_3ELNS0_20block_scan_algorithmE0ELj4294967295EEENS1_25partition_config_selectorILNS1_17partition_subalgoE3EjNS0_10empty_typeEbEEZZNS1_14partition_implILS8_3ELb0ES6_jNS0_17counting_iteratorIjlEEPS9_SE_NS0_5tupleIJPjSE_EEENSF_IJSE_SE_EEES9_SG_JZNS1_25segmented_radix_sort_implINS0_14default_configELb0EPKfPfPKlPlN2at6native12_GLOBAL__N_18offset_tEEE10hipError_tPvRmT1_PNSt15iterator_traitsISY_E10value_typeET2_T3_PNSZ_IS14_E10value_typeET4_jRbjT5_S1A_jjP12ihipStream_tbEUljE_EEESV_SW_SX_S14_S18_S1A_T6_T7_T9_mT8_S1C_bDpT10_ENKUlT_T0_E_clISt17integral_constantIbLb1EES1P_EEDaS1K_S1L_EUlS1K_E_NS1_11comp_targetILNS1_3genE2ELNS1_11target_archE906ELNS1_3gpuE6ELNS1_3repE0EEENS1_30default_config_static_selectorELNS0_4arch9wavefront6targetE1EEEvSY_,"axG",@progbits,_ZN7rocprim17ROCPRIM_400000_NS6detail17trampoline_kernelINS0_13select_configILj256ELj13ELNS0_17block_load_methodE3ELS4_3ELS4_3ELNS0_20block_scan_algorithmE0ELj4294967295EEENS1_25partition_config_selectorILNS1_17partition_subalgoE3EjNS0_10empty_typeEbEEZZNS1_14partition_implILS8_3ELb0ES6_jNS0_17counting_iteratorIjlEEPS9_SE_NS0_5tupleIJPjSE_EEENSF_IJSE_SE_EEES9_SG_JZNS1_25segmented_radix_sort_implINS0_14default_configELb0EPKfPfPKlPlN2at6native12_GLOBAL__N_18offset_tEEE10hipError_tPvRmT1_PNSt15iterator_traitsISY_E10value_typeET2_T3_PNSZ_IS14_E10value_typeET4_jRbjT5_S1A_jjP12ihipStream_tbEUljE_EEESV_SW_SX_S14_S18_S1A_T6_T7_T9_mT8_S1C_bDpT10_ENKUlT_T0_E_clISt17integral_constantIbLb1EES1P_EEDaS1K_S1L_EUlS1K_E_NS1_11comp_targetILNS1_3genE2ELNS1_11target_archE906ELNS1_3gpuE6ELNS1_3repE0EEENS1_30default_config_static_selectorELNS0_4arch9wavefront6targetE1EEEvSY_,comdat
	.globl	_ZN7rocprim17ROCPRIM_400000_NS6detail17trampoline_kernelINS0_13select_configILj256ELj13ELNS0_17block_load_methodE3ELS4_3ELS4_3ELNS0_20block_scan_algorithmE0ELj4294967295EEENS1_25partition_config_selectorILNS1_17partition_subalgoE3EjNS0_10empty_typeEbEEZZNS1_14partition_implILS8_3ELb0ES6_jNS0_17counting_iteratorIjlEEPS9_SE_NS0_5tupleIJPjSE_EEENSF_IJSE_SE_EEES9_SG_JZNS1_25segmented_radix_sort_implINS0_14default_configELb0EPKfPfPKlPlN2at6native12_GLOBAL__N_18offset_tEEE10hipError_tPvRmT1_PNSt15iterator_traitsISY_E10value_typeET2_T3_PNSZ_IS14_E10value_typeET4_jRbjT5_S1A_jjP12ihipStream_tbEUljE_EEESV_SW_SX_S14_S18_S1A_T6_T7_T9_mT8_S1C_bDpT10_ENKUlT_T0_E_clISt17integral_constantIbLb1EES1P_EEDaS1K_S1L_EUlS1K_E_NS1_11comp_targetILNS1_3genE2ELNS1_11target_archE906ELNS1_3gpuE6ELNS1_3repE0EEENS1_30default_config_static_selectorELNS0_4arch9wavefront6targetE1EEEvSY_ ; -- Begin function _ZN7rocprim17ROCPRIM_400000_NS6detail17trampoline_kernelINS0_13select_configILj256ELj13ELNS0_17block_load_methodE3ELS4_3ELS4_3ELNS0_20block_scan_algorithmE0ELj4294967295EEENS1_25partition_config_selectorILNS1_17partition_subalgoE3EjNS0_10empty_typeEbEEZZNS1_14partition_implILS8_3ELb0ES6_jNS0_17counting_iteratorIjlEEPS9_SE_NS0_5tupleIJPjSE_EEENSF_IJSE_SE_EEES9_SG_JZNS1_25segmented_radix_sort_implINS0_14default_configELb0EPKfPfPKlPlN2at6native12_GLOBAL__N_18offset_tEEE10hipError_tPvRmT1_PNSt15iterator_traitsISY_E10value_typeET2_T3_PNSZ_IS14_E10value_typeET4_jRbjT5_S1A_jjP12ihipStream_tbEUljE_EEESV_SW_SX_S14_S18_S1A_T6_T7_T9_mT8_S1C_bDpT10_ENKUlT_T0_E_clISt17integral_constantIbLb1EES1P_EEDaS1K_S1L_EUlS1K_E_NS1_11comp_targetILNS1_3genE2ELNS1_11target_archE906ELNS1_3gpuE6ELNS1_3repE0EEENS1_30default_config_static_selectorELNS0_4arch9wavefront6targetE1EEEvSY_
	.p2align	8
	.type	_ZN7rocprim17ROCPRIM_400000_NS6detail17trampoline_kernelINS0_13select_configILj256ELj13ELNS0_17block_load_methodE3ELS4_3ELS4_3ELNS0_20block_scan_algorithmE0ELj4294967295EEENS1_25partition_config_selectorILNS1_17partition_subalgoE3EjNS0_10empty_typeEbEEZZNS1_14partition_implILS8_3ELb0ES6_jNS0_17counting_iteratorIjlEEPS9_SE_NS0_5tupleIJPjSE_EEENSF_IJSE_SE_EEES9_SG_JZNS1_25segmented_radix_sort_implINS0_14default_configELb0EPKfPfPKlPlN2at6native12_GLOBAL__N_18offset_tEEE10hipError_tPvRmT1_PNSt15iterator_traitsISY_E10value_typeET2_T3_PNSZ_IS14_E10value_typeET4_jRbjT5_S1A_jjP12ihipStream_tbEUljE_EEESV_SW_SX_S14_S18_S1A_T6_T7_T9_mT8_S1C_bDpT10_ENKUlT_T0_E_clISt17integral_constantIbLb1EES1P_EEDaS1K_S1L_EUlS1K_E_NS1_11comp_targetILNS1_3genE2ELNS1_11target_archE906ELNS1_3gpuE6ELNS1_3repE0EEENS1_30default_config_static_selectorELNS0_4arch9wavefront6targetE1EEEvSY_,@function
_ZN7rocprim17ROCPRIM_400000_NS6detail17trampoline_kernelINS0_13select_configILj256ELj13ELNS0_17block_load_methodE3ELS4_3ELS4_3ELNS0_20block_scan_algorithmE0ELj4294967295EEENS1_25partition_config_selectorILNS1_17partition_subalgoE3EjNS0_10empty_typeEbEEZZNS1_14partition_implILS8_3ELb0ES6_jNS0_17counting_iteratorIjlEEPS9_SE_NS0_5tupleIJPjSE_EEENSF_IJSE_SE_EEES9_SG_JZNS1_25segmented_radix_sort_implINS0_14default_configELb0EPKfPfPKlPlN2at6native12_GLOBAL__N_18offset_tEEE10hipError_tPvRmT1_PNSt15iterator_traitsISY_E10value_typeET2_T3_PNSZ_IS14_E10value_typeET4_jRbjT5_S1A_jjP12ihipStream_tbEUljE_EEESV_SW_SX_S14_S18_S1A_T6_T7_T9_mT8_S1C_bDpT10_ENKUlT_T0_E_clISt17integral_constantIbLb1EES1P_EEDaS1K_S1L_EUlS1K_E_NS1_11comp_targetILNS1_3genE2ELNS1_11target_archE906ELNS1_3gpuE6ELNS1_3repE0EEENS1_30default_config_static_selectorELNS0_4arch9wavefront6targetE1EEEvSY_: ; @_ZN7rocprim17ROCPRIM_400000_NS6detail17trampoline_kernelINS0_13select_configILj256ELj13ELNS0_17block_load_methodE3ELS4_3ELS4_3ELNS0_20block_scan_algorithmE0ELj4294967295EEENS1_25partition_config_selectorILNS1_17partition_subalgoE3EjNS0_10empty_typeEbEEZZNS1_14partition_implILS8_3ELb0ES6_jNS0_17counting_iteratorIjlEEPS9_SE_NS0_5tupleIJPjSE_EEENSF_IJSE_SE_EEES9_SG_JZNS1_25segmented_radix_sort_implINS0_14default_configELb0EPKfPfPKlPlN2at6native12_GLOBAL__N_18offset_tEEE10hipError_tPvRmT1_PNSt15iterator_traitsISY_E10value_typeET2_T3_PNSZ_IS14_E10value_typeET4_jRbjT5_S1A_jjP12ihipStream_tbEUljE_EEESV_SW_SX_S14_S18_S1A_T6_T7_T9_mT8_S1C_bDpT10_ENKUlT_T0_E_clISt17integral_constantIbLb1EES1P_EEDaS1K_S1L_EUlS1K_E_NS1_11comp_targetILNS1_3genE2ELNS1_11target_archE906ELNS1_3gpuE6ELNS1_3repE0EEENS1_30default_config_static_selectorELNS0_4arch9wavefront6targetE1EEEvSY_
; %bb.0:
	.section	.rodata,"a",@progbits
	.p2align	6, 0x0
	.amdhsa_kernel _ZN7rocprim17ROCPRIM_400000_NS6detail17trampoline_kernelINS0_13select_configILj256ELj13ELNS0_17block_load_methodE3ELS4_3ELS4_3ELNS0_20block_scan_algorithmE0ELj4294967295EEENS1_25partition_config_selectorILNS1_17partition_subalgoE3EjNS0_10empty_typeEbEEZZNS1_14partition_implILS8_3ELb0ES6_jNS0_17counting_iteratorIjlEEPS9_SE_NS0_5tupleIJPjSE_EEENSF_IJSE_SE_EEES9_SG_JZNS1_25segmented_radix_sort_implINS0_14default_configELb0EPKfPfPKlPlN2at6native12_GLOBAL__N_18offset_tEEE10hipError_tPvRmT1_PNSt15iterator_traitsISY_E10value_typeET2_T3_PNSZ_IS14_E10value_typeET4_jRbjT5_S1A_jjP12ihipStream_tbEUljE_EEESV_SW_SX_S14_S18_S1A_T6_T7_T9_mT8_S1C_bDpT10_ENKUlT_T0_E_clISt17integral_constantIbLb1EES1P_EEDaS1K_S1L_EUlS1K_E_NS1_11comp_targetILNS1_3genE2ELNS1_11target_archE906ELNS1_3gpuE6ELNS1_3repE0EEENS1_30default_config_static_selectorELNS0_4arch9wavefront6targetE1EEEvSY_
		.amdhsa_group_segment_fixed_size 0
		.amdhsa_private_segment_fixed_size 0
		.amdhsa_kernarg_size 152
		.amdhsa_user_sgpr_count 6
		.amdhsa_user_sgpr_private_segment_buffer 1
		.amdhsa_user_sgpr_dispatch_ptr 0
		.amdhsa_user_sgpr_queue_ptr 0
		.amdhsa_user_sgpr_kernarg_segment_ptr 1
		.amdhsa_user_sgpr_dispatch_id 0
		.amdhsa_user_sgpr_flat_scratch_init 0
		.amdhsa_user_sgpr_kernarg_preload_length 0
		.amdhsa_user_sgpr_kernarg_preload_offset 0
		.amdhsa_user_sgpr_private_segment_size 0
		.amdhsa_uses_dynamic_stack 0
		.amdhsa_system_sgpr_private_segment_wavefront_offset 0
		.amdhsa_system_sgpr_workgroup_id_x 1
		.amdhsa_system_sgpr_workgroup_id_y 0
		.amdhsa_system_sgpr_workgroup_id_z 0
		.amdhsa_system_sgpr_workgroup_info 0
		.amdhsa_system_vgpr_workitem_id 0
		.amdhsa_next_free_vgpr 1
		.amdhsa_next_free_sgpr 0
		.amdhsa_accum_offset 4
		.amdhsa_reserve_vcc 0
		.amdhsa_reserve_flat_scratch 0
		.amdhsa_float_round_mode_32 0
		.amdhsa_float_round_mode_16_64 0
		.amdhsa_float_denorm_mode_32 3
		.amdhsa_float_denorm_mode_16_64 3
		.amdhsa_dx10_clamp 1
		.amdhsa_ieee_mode 1
		.amdhsa_fp16_overflow 0
		.amdhsa_tg_split 0
		.amdhsa_exception_fp_ieee_invalid_op 0
		.amdhsa_exception_fp_denorm_src 0
		.amdhsa_exception_fp_ieee_div_zero 0
		.amdhsa_exception_fp_ieee_overflow 0
		.amdhsa_exception_fp_ieee_underflow 0
		.amdhsa_exception_fp_ieee_inexact 0
		.amdhsa_exception_int_div_zero 0
	.end_amdhsa_kernel
	.section	.text._ZN7rocprim17ROCPRIM_400000_NS6detail17trampoline_kernelINS0_13select_configILj256ELj13ELNS0_17block_load_methodE3ELS4_3ELS4_3ELNS0_20block_scan_algorithmE0ELj4294967295EEENS1_25partition_config_selectorILNS1_17partition_subalgoE3EjNS0_10empty_typeEbEEZZNS1_14partition_implILS8_3ELb0ES6_jNS0_17counting_iteratorIjlEEPS9_SE_NS0_5tupleIJPjSE_EEENSF_IJSE_SE_EEES9_SG_JZNS1_25segmented_radix_sort_implINS0_14default_configELb0EPKfPfPKlPlN2at6native12_GLOBAL__N_18offset_tEEE10hipError_tPvRmT1_PNSt15iterator_traitsISY_E10value_typeET2_T3_PNSZ_IS14_E10value_typeET4_jRbjT5_S1A_jjP12ihipStream_tbEUljE_EEESV_SW_SX_S14_S18_S1A_T6_T7_T9_mT8_S1C_bDpT10_ENKUlT_T0_E_clISt17integral_constantIbLb1EES1P_EEDaS1K_S1L_EUlS1K_E_NS1_11comp_targetILNS1_3genE2ELNS1_11target_archE906ELNS1_3gpuE6ELNS1_3repE0EEENS1_30default_config_static_selectorELNS0_4arch9wavefront6targetE1EEEvSY_,"axG",@progbits,_ZN7rocprim17ROCPRIM_400000_NS6detail17trampoline_kernelINS0_13select_configILj256ELj13ELNS0_17block_load_methodE3ELS4_3ELS4_3ELNS0_20block_scan_algorithmE0ELj4294967295EEENS1_25partition_config_selectorILNS1_17partition_subalgoE3EjNS0_10empty_typeEbEEZZNS1_14partition_implILS8_3ELb0ES6_jNS0_17counting_iteratorIjlEEPS9_SE_NS0_5tupleIJPjSE_EEENSF_IJSE_SE_EEES9_SG_JZNS1_25segmented_radix_sort_implINS0_14default_configELb0EPKfPfPKlPlN2at6native12_GLOBAL__N_18offset_tEEE10hipError_tPvRmT1_PNSt15iterator_traitsISY_E10value_typeET2_T3_PNSZ_IS14_E10value_typeET4_jRbjT5_S1A_jjP12ihipStream_tbEUljE_EEESV_SW_SX_S14_S18_S1A_T6_T7_T9_mT8_S1C_bDpT10_ENKUlT_T0_E_clISt17integral_constantIbLb1EES1P_EEDaS1K_S1L_EUlS1K_E_NS1_11comp_targetILNS1_3genE2ELNS1_11target_archE906ELNS1_3gpuE6ELNS1_3repE0EEENS1_30default_config_static_selectorELNS0_4arch9wavefront6targetE1EEEvSY_,comdat
.Lfunc_end1406:
	.size	_ZN7rocprim17ROCPRIM_400000_NS6detail17trampoline_kernelINS0_13select_configILj256ELj13ELNS0_17block_load_methodE3ELS4_3ELS4_3ELNS0_20block_scan_algorithmE0ELj4294967295EEENS1_25partition_config_selectorILNS1_17partition_subalgoE3EjNS0_10empty_typeEbEEZZNS1_14partition_implILS8_3ELb0ES6_jNS0_17counting_iteratorIjlEEPS9_SE_NS0_5tupleIJPjSE_EEENSF_IJSE_SE_EEES9_SG_JZNS1_25segmented_radix_sort_implINS0_14default_configELb0EPKfPfPKlPlN2at6native12_GLOBAL__N_18offset_tEEE10hipError_tPvRmT1_PNSt15iterator_traitsISY_E10value_typeET2_T3_PNSZ_IS14_E10value_typeET4_jRbjT5_S1A_jjP12ihipStream_tbEUljE_EEESV_SW_SX_S14_S18_S1A_T6_T7_T9_mT8_S1C_bDpT10_ENKUlT_T0_E_clISt17integral_constantIbLb1EES1P_EEDaS1K_S1L_EUlS1K_E_NS1_11comp_targetILNS1_3genE2ELNS1_11target_archE906ELNS1_3gpuE6ELNS1_3repE0EEENS1_30default_config_static_selectorELNS0_4arch9wavefront6targetE1EEEvSY_, .Lfunc_end1406-_ZN7rocprim17ROCPRIM_400000_NS6detail17trampoline_kernelINS0_13select_configILj256ELj13ELNS0_17block_load_methodE3ELS4_3ELS4_3ELNS0_20block_scan_algorithmE0ELj4294967295EEENS1_25partition_config_selectorILNS1_17partition_subalgoE3EjNS0_10empty_typeEbEEZZNS1_14partition_implILS8_3ELb0ES6_jNS0_17counting_iteratorIjlEEPS9_SE_NS0_5tupleIJPjSE_EEENSF_IJSE_SE_EEES9_SG_JZNS1_25segmented_radix_sort_implINS0_14default_configELb0EPKfPfPKlPlN2at6native12_GLOBAL__N_18offset_tEEE10hipError_tPvRmT1_PNSt15iterator_traitsISY_E10value_typeET2_T3_PNSZ_IS14_E10value_typeET4_jRbjT5_S1A_jjP12ihipStream_tbEUljE_EEESV_SW_SX_S14_S18_S1A_T6_T7_T9_mT8_S1C_bDpT10_ENKUlT_T0_E_clISt17integral_constantIbLb1EES1P_EEDaS1K_S1L_EUlS1K_E_NS1_11comp_targetILNS1_3genE2ELNS1_11target_archE906ELNS1_3gpuE6ELNS1_3repE0EEENS1_30default_config_static_selectorELNS0_4arch9wavefront6targetE1EEEvSY_
                                        ; -- End function
	.section	.AMDGPU.csdata,"",@progbits
; Kernel info:
; codeLenInByte = 0
; NumSgprs: 4
; NumVgprs: 0
; NumAgprs: 0
; TotalNumVgprs: 0
; ScratchSize: 0
; MemoryBound: 0
; FloatMode: 240
; IeeeMode: 1
; LDSByteSize: 0 bytes/workgroup (compile time only)
; SGPRBlocks: 0
; VGPRBlocks: 0
; NumSGPRsForWavesPerEU: 4
; NumVGPRsForWavesPerEU: 1
; AccumOffset: 4
; Occupancy: 8
; WaveLimiterHint : 0
; COMPUTE_PGM_RSRC2:SCRATCH_EN: 0
; COMPUTE_PGM_RSRC2:USER_SGPR: 6
; COMPUTE_PGM_RSRC2:TRAP_HANDLER: 0
; COMPUTE_PGM_RSRC2:TGID_X_EN: 1
; COMPUTE_PGM_RSRC2:TGID_Y_EN: 0
; COMPUTE_PGM_RSRC2:TGID_Z_EN: 0
; COMPUTE_PGM_RSRC2:TIDIG_COMP_CNT: 0
; COMPUTE_PGM_RSRC3_GFX90A:ACCUM_OFFSET: 0
; COMPUTE_PGM_RSRC3_GFX90A:TG_SPLIT: 0
	.section	.text._ZN7rocprim17ROCPRIM_400000_NS6detail17trampoline_kernelINS0_13select_configILj256ELj13ELNS0_17block_load_methodE3ELS4_3ELS4_3ELNS0_20block_scan_algorithmE0ELj4294967295EEENS1_25partition_config_selectorILNS1_17partition_subalgoE3EjNS0_10empty_typeEbEEZZNS1_14partition_implILS8_3ELb0ES6_jNS0_17counting_iteratorIjlEEPS9_SE_NS0_5tupleIJPjSE_EEENSF_IJSE_SE_EEES9_SG_JZNS1_25segmented_radix_sort_implINS0_14default_configELb0EPKfPfPKlPlN2at6native12_GLOBAL__N_18offset_tEEE10hipError_tPvRmT1_PNSt15iterator_traitsISY_E10value_typeET2_T3_PNSZ_IS14_E10value_typeET4_jRbjT5_S1A_jjP12ihipStream_tbEUljE_EEESV_SW_SX_S14_S18_S1A_T6_T7_T9_mT8_S1C_bDpT10_ENKUlT_T0_E_clISt17integral_constantIbLb1EES1P_EEDaS1K_S1L_EUlS1K_E_NS1_11comp_targetILNS1_3genE10ELNS1_11target_archE1200ELNS1_3gpuE4ELNS1_3repE0EEENS1_30default_config_static_selectorELNS0_4arch9wavefront6targetE1EEEvSY_,"axG",@progbits,_ZN7rocprim17ROCPRIM_400000_NS6detail17trampoline_kernelINS0_13select_configILj256ELj13ELNS0_17block_load_methodE3ELS4_3ELS4_3ELNS0_20block_scan_algorithmE0ELj4294967295EEENS1_25partition_config_selectorILNS1_17partition_subalgoE3EjNS0_10empty_typeEbEEZZNS1_14partition_implILS8_3ELb0ES6_jNS0_17counting_iteratorIjlEEPS9_SE_NS0_5tupleIJPjSE_EEENSF_IJSE_SE_EEES9_SG_JZNS1_25segmented_radix_sort_implINS0_14default_configELb0EPKfPfPKlPlN2at6native12_GLOBAL__N_18offset_tEEE10hipError_tPvRmT1_PNSt15iterator_traitsISY_E10value_typeET2_T3_PNSZ_IS14_E10value_typeET4_jRbjT5_S1A_jjP12ihipStream_tbEUljE_EEESV_SW_SX_S14_S18_S1A_T6_T7_T9_mT8_S1C_bDpT10_ENKUlT_T0_E_clISt17integral_constantIbLb1EES1P_EEDaS1K_S1L_EUlS1K_E_NS1_11comp_targetILNS1_3genE10ELNS1_11target_archE1200ELNS1_3gpuE4ELNS1_3repE0EEENS1_30default_config_static_selectorELNS0_4arch9wavefront6targetE1EEEvSY_,comdat
	.globl	_ZN7rocprim17ROCPRIM_400000_NS6detail17trampoline_kernelINS0_13select_configILj256ELj13ELNS0_17block_load_methodE3ELS4_3ELS4_3ELNS0_20block_scan_algorithmE0ELj4294967295EEENS1_25partition_config_selectorILNS1_17partition_subalgoE3EjNS0_10empty_typeEbEEZZNS1_14partition_implILS8_3ELb0ES6_jNS0_17counting_iteratorIjlEEPS9_SE_NS0_5tupleIJPjSE_EEENSF_IJSE_SE_EEES9_SG_JZNS1_25segmented_radix_sort_implINS0_14default_configELb0EPKfPfPKlPlN2at6native12_GLOBAL__N_18offset_tEEE10hipError_tPvRmT1_PNSt15iterator_traitsISY_E10value_typeET2_T3_PNSZ_IS14_E10value_typeET4_jRbjT5_S1A_jjP12ihipStream_tbEUljE_EEESV_SW_SX_S14_S18_S1A_T6_T7_T9_mT8_S1C_bDpT10_ENKUlT_T0_E_clISt17integral_constantIbLb1EES1P_EEDaS1K_S1L_EUlS1K_E_NS1_11comp_targetILNS1_3genE10ELNS1_11target_archE1200ELNS1_3gpuE4ELNS1_3repE0EEENS1_30default_config_static_selectorELNS0_4arch9wavefront6targetE1EEEvSY_ ; -- Begin function _ZN7rocprim17ROCPRIM_400000_NS6detail17trampoline_kernelINS0_13select_configILj256ELj13ELNS0_17block_load_methodE3ELS4_3ELS4_3ELNS0_20block_scan_algorithmE0ELj4294967295EEENS1_25partition_config_selectorILNS1_17partition_subalgoE3EjNS0_10empty_typeEbEEZZNS1_14partition_implILS8_3ELb0ES6_jNS0_17counting_iteratorIjlEEPS9_SE_NS0_5tupleIJPjSE_EEENSF_IJSE_SE_EEES9_SG_JZNS1_25segmented_radix_sort_implINS0_14default_configELb0EPKfPfPKlPlN2at6native12_GLOBAL__N_18offset_tEEE10hipError_tPvRmT1_PNSt15iterator_traitsISY_E10value_typeET2_T3_PNSZ_IS14_E10value_typeET4_jRbjT5_S1A_jjP12ihipStream_tbEUljE_EEESV_SW_SX_S14_S18_S1A_T6_T7_T9_mT8_S1C_bDpT10_ENKUlT_T0_E_clISt17integral_constantIbLb1EES1P_EEDaS1K_S1L_EUlS1K_E_NS1_11comp_targetILNS1_3genE10ELNS1_11target_archE1200ELNS1_3gpuE4ELNS1_3repE0EEENS1_30default_config_static_selectorELNS0_4arch9wavefront6targetE1EEEvSY_
	.p2align	8
	.type	_ZN7rocprim17ROCPRIM_400000_NS6detail17trampoline_kernelINS0_13select_configILj256ELj13ELNS0_17block_load_methodE3ELS4_3ELS4_3ELNS0_20block_scan_algorithmE0ELj4294967295EEENS1_25partition_config_selectorILNS1_17partition_subalgoE3EjNS0_10empty_typeEbEEZZNS1_14partition_implILS8_3ELb0ES6_jNS0_17counting_iteratorIjlEEPS9_SE_NS0_5tupleIJPjSE_EEENSF_IJSE_SE_EEES9_SG_JZNS1_25segmented_radix_sort_implINS0_14default_configELb0EPKfPfPKlPlN2at6native12_GLOBAL__N_18offset_tEEE10hipError_tPvRmT1_PNSt15iterator_traitsISY_E10value_typeET2_T3_PNSZ_IS14_E10value_typeET4_jRbjT5_S1A_jjP12ihipStream_tbEUljE_EEESV_SW_SX_S14_S18_S1A_T6_T7_T9_mT8_S1C_bDpT10_ENKUlT_T0_E_clISt17integral_constantIbLb1EES1P_EEDaS1K_S1L_EUlS1K_E_NS1_11comp_targetILNS1_3genE10ELNS1_11target_archE1200ELNS1_3gpuE4ELNS1_3repE0EEENS1_30default_config_static_selectorELNS0_4arch9wavefront6targetE1EEEvSY_,@function
_ZN7rocprim17ROCPRIM_400000_NS6detail17trampoline_kernelINS0_13select_configILj256ELj13ELNS0_17block_load_methodE3ELS4_3ELS4_3ELNS0_20block_scan_algorithmE0ELj4294967295EEENS1_25partition_config_selectorILNS1_17partition_subalgoE3EjNS0_10empty_typeEbEEZZNS1_14partition_implILS8_3ELb0ES6_jNS0_17counting_iteratorIjlEEPS9_SE_NS0_5tupleIJPjSE_EEENSF_IJSE_SE_EEES9_SG_JZNS1_25segmented_radix_sort_implINS0_14default_configELb0EPKfPfPKlPlN2at6native12_GLOBAL__N_18offset_tEEE10hipError_tPvRmT1_PNSt15iterator_traitsISY_E10value_typeET2_T3_PNSZ_IS14_E10value_typeET4_jRbjT5_S1A_jjP12ihipStream_tbEUljE_EEESV_SW_SX_S14_S18_S1A_T6_T7_T9_mT8_S1C_bDpT10_ENKUlT_T0_E_clISt17integral_constantIbLb1EES1P_EEDaS1K_S1L_EUlS1K_E_NS1_11comp_targetILNS1_3genE10ELNS1_11target_archE1200ELNS1_3gpuE4ELNS1_3repE0EEENS1_30default_config_static_selectorELNS0_4arch9wavefront6targetE1EEEvSY_: ; @_ZN7rocprim17ROCPRIM_400000_NS6detail17trampoline_kernelINS0_13select_configILj256ELj13ELNS0_17block_load_methodE3ELS4_3ELS4_3ELNS0_20block_scan_algorithmE0ELj4294967295EEENS1_25partition_config_selectorILNS1_17partition_subalgoE3EjNS0_10empty_typeEbEEZZNS1_14partition_implILS8_3ELb0ES6_jNS0_17counting_iteratorIjlEEPS9_SE_NS0_5tupleIJPjSE_EEENSF_IJSE_SE_EEES9_SG_JZNS1_25segmented_radix_sort_implINS0_14default_configELb0EPKfPfPKlPlN2at6native12_GLOBAL__N_18offset_tEEE10hipError_tPvRmT1_PNSt15iterator_traitsISY_E10value_typeET2_T3_PNSZ_IS14_E10value_typeET4_jRbjT5_S1A_jjP12ihipStream_tbEUljE_EEESV_SW_SX_S14_S18_S1A_T6_T7_T9_mT8_S1C_bDpT10_ENKUlT_T0_E_clISt17integral_constantIbLb1EES1P_EEDaS1K_S1L_EUlS1K_E_NS1_11comp_targetILNS1_3genE10ELNS1_11target_archE1200ELNS1_3gpuE4ELNS1_3repE0EEENS1_30default_config_static_selectorELNS0_4arch9wavefront6targetE1EEEvSY_
; %bb.0:
	.section	.rodata,"a",@progbits
	.p2align	6, 0x0
	.amdhsa_kernel _ZN7rocprim17ROCPRIM_400000_NS6detail17trampoline_kernelINS0_13select_configILj256ELj13ELNS0_17block_load_methodE3ELS4_3ELS4_3ELNS0_20block_scan_algorithmE0ELj4294967295EEENS1_25partition_config_selectorILNS1_17partition_subalgoE3EjNS0_10empty_typeEbEEZZNS1_14partition_implILS8_3ELb0ES6_jNS0_17counting_iteratorIjlEEPS9_SE_NS0_5tupleIJPjSE_EEENSF_IJSE_SE_EEES9_SG_JZNS1_25segmented_radix_sort_implINS0_14default_configELb0EPKfPfPKlPlN2at6native12_GLOBAL__N_18offset_tEEE10hipError_tPvRmT1_PNSt15iterator_traitsISY_E10value_typeET2_T3_PNSZ_IS14_E10value_typeET4_jRbjT5_S1A_jjP12ihipStream_tbEUljE_EEESV_SW_SX_S14_S18_S1A_T6_T7_T9_mT8_S1C_bDpT10_ENKUlT_T0_E_clISt17integral_constantIbLb1EES1P_EEDaS1K_S1L_EUlS1K_E_NS1_11comp_targetILNS1_3genE10ELNS1_11target_archE1200ELNS1_3gpuE4ELNS1_3repE0EEENS1_30default_config_static_selectorELNS0_4arch9wavefront6targetE1EEEvSY_
		.amdhsa_group_segment_fixed_size 0
		.amdhsa_private_segment_fixed_size 0
		.amdhsa_kernarg_size 152
		.amdhsa_user_sgpr_count 6
		.amdhsa_user_sgpr_private_segment_buffer 1
		.amdhsa_user_sgpr_dispatch_ptr 0
		.amdhsa_user_sgpr_queue_ptr 0
		.amdhsa_user_sgpr_kernarg_segment_ptr 1
		.amdhsa_user_sgpr_dispatch_id 0
		.amdhsa_user_sgpr_flat_scratch_init 0
		.amdhsa_user_sgpr_kernarg_preload_length 0
		.amdhsa_user_sgpr_kernarg_preload_offset 0
		.amdhsa_user_sgpr_private_segment_size 0
		.amdhsa_uses_dynamic_stack 0
		.amdhsa_system_sgpr_private_segment_wavefront_offset 0
		.amdhsa_system_sgpr_workgroup_id_x 1
		.amdhsa_system_sgpr_workgroup_id_y 0
		.amdhsa_system_sgpr_workgroup_id_z 0
		.amdhsa_system_sgpr_workgroup_info 0
		.amdhsa_system_vgpr_workitem_id 0
		.amdhsa_next_free_vgpr 1
		.amdhsa_next_free_sgpr 0
		.amdhsa_accum_offset 4
		.amdhsa_reserve_vcc 0
		.amdhsa_reserve_flat_scratch 0
		.amdhsa_float_round_mode_32 0
		.amdhsa_float_round_mode_16_64 0
		.amdhsa_float_denorm_mode_32 3
		.amdhsa_float_denorm_mode_16_64 3
		.amdhsa_dx10_clamp 1
		.amdhsa_ieee_mode 1
		.amdhsa_fp16_overflow 0
		.amdhsa_tg_split 0
		.amdhsa_exception_fp_ieee_invalid_op 0
		.amdhsa_exception_fp_denorm_src 0
		.amdhsa_exception_fp_ieee_div_zero 0
		.amdhsa_exception_fp_ieee_overflow 0
		.amdhsa_exception_fp_ieee_underflow 0
		.amdhsa_exception_fp_ieee_inexact 0
		.amdhsa_exception_int_div_zero 0
	.end_amdhsa_kernel
	.section	.text._ZN7rocprim17ROCPRIM_400000_NS6detail17trampoline_kernelINS0_13select_configILj256ELj13ELNS0_17block_load_methodE3ELS4_3ELS4_3ELNS0_20block_scan_algorithmE0ELj4294967295EEENS1_25partition_config_selectorILNS1_17partition_subalgoE3EjNS0_10empty_typeEbEEZZNS1_14partition_implILS8_3ELb0ES6_jNS0_17counting_iteratorIjlEEPS9_SE_NS0_5tupleIJPjSE_EEENSF_IJSE_SE_EEES9_SG_JZNS1_25segmented_radix_sort_implINS0_14default_configELb0EPKfPfPKlPlN2at6native12_GLOBAL__N_18offset_tEEE10hipError_tPvRmT1_PNSt15iterator_traitsISY_E10value_typeET2_T3_PNSZ_IS14_E10value_typeET4_jRbjT5_S1A_jjP12ihipStream_tbEUljE_EEESV_SW_SX_S14_S18_S1A_T6_T7_T9_mT8_S1C_bDpT10_ENKUlT_T0_E_clISt17integral_constantIbLb1EES1P_EEDaS1K_S1L_EUlS1K_E_NS1_11comp_targetILNS1_3genE10ELNS1_11target_archE1200ELNS1_3gpuE4ELNS1_3repE0EEENS1_30default_config_static_selectorELNS0_4arch9wavefront6targetE1EEEvSY_,"axG",@progbits,_ZN7rocprim17ROCPRIM_400000_NS6detail17trampoline_kernelINS0_13select_configILj256ELj13ELNS0_17block_load_methodE3ELS4_3ELS4_3ELNS0_20block_scan_algorithmE0ELj4294967295EEENS1_25partition_config_selectorILNS1_17partition_subalgoE3EjNS0_10empty_typeEbEEZZNS1_14partition_implILS8_3ELb0ES6_jNS0_17counting_iteratorIjlEEPS9_SE_NS0_5tupleIJPjSE_EEENSF_IJSE_SE_EEES9_SG_JZNS1_25segmented_radix_sort_implINS0_14default_configELb0EPKfPfPKlPlN2at6native12_GLOBAL__N_18offset_tEEE10hipError_tPvRmT1_PNSt15iterator_traitsISY_E10value_typeET2_T3_PNSZ_IS14_E10value_typeET4_jRbjT5_S1A_jjP12ihipStream_tbEUljE_EEESV_SW_SX_S14_S18_S1A_T6_T7_T9_mT8_S1C_bDpT10_ENKUlT_T0_E_clISt17integral_constantIbLb1EES1P_EEDaS1K_S1L_EUlS1K_E_NS1_11comp_targetILNS1_3genE10ELNS1_11target_archE1200ELNS1_3gpuE4ELNS1_3repE0EEENS1_30default_config_static_selectorELNS0_4arch9wavefront6targetE1EEEvSY_,comdat
.Lfunc_end1407:
	.size	_ZN7rocprim17ROCPRIM_400000_NS6detail17trampoline_kernelINS0_13select_configILj256ELj13ELNS0_17block_load_methodE3ELS4_3ELS4_3ELNS0_20block_scan_algorithmE0ELj4294967295EEENS1_25partition_config_selectorILNS1_17partition_subalgoE3EjNS0_10empty_typeEbEEZZNS1_14partition_implILS8_3ELb0ES6_jNS0_17counting_iteratorIjlEEPS9_SE_NS0_5tupleIJPjSE_EEENSF_IJSE_SE_EEES9_SG_JZNS1_25segmented_radix_sort_implINS0_14default_configELb0EPKfPfPKlPlN2at6native12_GLOBAL__N_18offset_tEEE10hipError_tPvRmT1_PNSt15iterator_traitsISY_E10value_typeET2_T3_PNSZ_IS14_E10value_typeET4_jRbjT5_S1A_jjP12ihipStream_tbEUljE_EEESV_SW_SX_S14_S18_S1A_T6_T7_T9_mT8_S1C_bDpT10_ENKUlT_T0_E_clISt17integral_constantIbLb1EES1P_EEDaS1K_S1L_EUlS1K_E_NS1_11comp_targetILNS1_3genE10ELNS1_11target_archE1200ELNS1_3gpuE4ELNS1_3repE0EEENS1_30default_config_static_selectorELNS0_4arch9wavefront6targetE1EEEvSY_, .Lfunc_end1407-_ZN7rocprim17ROCPRIM_400000_NS6detail17trampoline_kernelINS0_13select_configILj256ELj13ELNS0_17block_load_methodE3ELS4_3ELS4_3ELNS0_20block_scan_algorithmE0ELj4294967295EEENS1_25partition_config_selectorILNS1_17partition_subalgoE3EjNS0_10empty_typeEbEEZZNS1_14partition_implILS8_3ELb0ES6_jNS0_17counting_iteratorIjlEEPS9_SE_NS0_5tupleIJPjSE_EEENSF_IJSE_SE_EEES9_SG_JZNS1_25segmented_radix_sort_implINS0_14default_configELb0EPKfPfPKlPlN2at6native12_GLOBAL__N_18offset_tEEE10hipError_tPvRmT1_PNSt15iterator_traitsISY_E10value_typeET2_T3_PNSZ_IS14_E10value_typeET4_jRbjT5_S1A_jjP12ihipStream_tbEUljE_EEESV_SW_SX_S14_S18_S1A_T6_T7_T9_mT8_S1C_bDpT10_ENKUlT_T0_E_clISt17integral_constantIbLb1EES1P_EEDaS1K_S1L_EUlS1K_E_NS1_11comp_targetILNS1_3genE10ELNS1_11target_archE1200ELNS1_3gpuE4ELNS1_3repE0EEENS1_30default_config_static_selectorELNS0_4arch9wavefront6targetE1EEEvSY_
                                        ; -- End function
	.section	.AMDGPU.csdata,"",@progbits
; Kernel info:
; codeLenInByte = 0
; NumSgprs: 4
; NumVgprs: 0
; NumAgprs: 0
; TotalNumVgprs: 0
; ScratchSize: 0
; MemoryBound: 0
; FloatMode: 240
; IeeeMode: 1
; LDSByteSize: 0 bytes/workgroup (compile time only)
; SGPRBlocks: 0
; VGPRBlocks: 0
; NumSGPRsForWavesPerEU: 4
; NumVGPRsForWavesPerEU: 1
; AccumOffset: 4
; Occupancy: 8
; WaveLimiterHint : 0
; COMPUTE_PGM_RSRC2:SCRATCH_EN: 0
; COMPUTE_PGM_RSRC2:USER_SGPR: 6
; COMPUTE_PGM_RSRC2:TRAP_HANDLER: 0
; COMPUTE_PGM_RSRC2:TGID_X_EN: 1
; COMPUTE_PGM_RSRC2:TGID_Y_EN: 0
; COMPUTE_PGM_RSRC2:TGID_Z_EN: 0
; COMPUTE_PGM_RSRC2:TIDIG_COMP_CNT: 0
; COMPUTE_PGM_RSRC3_GFX90A:ACCUM_OFFSET: 0
; COMPUTE_PGM_RSRC3_GFX90A:TG_SPLIT: 0
	.section	.text._ZN7rocprim17ROCPRIM_400000_NS6detail17trampoline_kernelINS0_13select_configILj256ELj13ELNS0_17block_load_methodE3ELS4_3ELS4_3ELNS0_20block_scan_algorithmE0ELj4294967295EEENS1_25partition_config_selectorILNS1_17partition_subalgoE3EjNS0_10empty_typeEbEEZZNS1_14partition_implILS8_3ELb0ES6_jNS0_17counting_iteratorIjlEEPS9_SE_NS0_5tupleIJPjSE_EEENSF_IJSE_SE_EEES9_SG_JZNS1_25segmented_radix_sort_implINS0_14default_configELb0EPKfPfPKlPlN2at6native12_GLOBAL__N_18offset_tEEE10hipError_tPvRmT1_PNSt15iterator_traitsISY_E10value_typeET2_T3_PNSZ_IS14_E10value_typeET4_jRbjT5_S1A_jjP12ihipStream_tbEUljE_EEESV_SW_SX_S14_S18_S1A_T6_T7_T9_mT8_S1C_bDpT10_ENKUlT_T0_E_clISt17integral_constantIbLb1EES1P_EEDaS1K_S1L_EUlS1K_E_NS1_11comp_targetILNS1_3genE9ELNS1_11target_archE1100ELNS1_3gpuE3ELNS1_3repE0EEENS1_30default_config_static_selectorELNS0_4arch9wavefront6targetE1EEEvSY_,"axG",@progbits,_ZN7rocprim17ROCPRIM_400000_NS6detail17trampoline_kernelINS0_13select_configILj256ELj13ELNS0_17block_load_methodE3ELS4_3ELS4_3ELNS0_20block_scan_algorithmE0ELj4294967295EEENS1_25partition_config_selectorILNS1_17partition_subalgoE3EjNS0_10empty_typeEbEEZZNS1_14partition_implILS8_3ELb0ES6_jNS0_17counting_iteratorIjlEEPS9_SE_NS0_5tupleIJPjSE_EEENSF_IJSE_SE_EEES9_SG_JZNS1_25segmented_radix_sort_implINS0_14default_configELb0EPKfPfPKlPlN2at6native12_GLOBAL__N_18offset_tEEE10hipError_tPvRmT1_PNSt15iterator_traitsISY_E10value_typeET2_T3_PNSZ_IS14_E10value_typeET4_jRbjT5_S1A_jjP12ihipStream_tbEUljE_EEESV_SW_SX_S14_S18_S1A_T6_T7_T9_mT8_S1C_bDpT10_ENKUlT_T0_E_clISt17integral_constantIbLb1EES1P_EEDaS1K_S1L_EUlS1K_E_NS1_11comp_targetILNS1_3genE9ELNS1_11target_archE1100ELNS1_3gpuE3ELNS1_3repE0EEENS1_30default_config_static_selectorELNS0_4arch9wavefront6targetE1EEEvSY_,comdat
	.globl	_ZN7rocprim17ROCPRIM_400000_NS6detail17trampoline_kernelINS0_13select_configILj256ELj13ELNS0_17block_load_methodE3ELS4_3ELS4_3ELNS0_20block_scan_algorithmE0ELj4294967295EEENS1_25partition_config_selectorILNS1_17partition_subalgoE3EjNS0_10empty_typeEbEEZZNS1_14partition_implILS8_3ELb0ES6_jNS0_17counting_iteratorIjlEEPS9_SE_NS0_5tupleIJPjSE_EEENSF_IJSE_SE_EEES9_SG_JZNS1_25segmented_radix_sort_implINS0_14default_configELb0EPKfPfPKlPlN2at6native12_GLOBAL__N_18offset_tEEE10hipError_tPvRmT1_PNSt15iterator_traitsISY_E10value_typeET2_T3_PNSZ_IS14_E10value_typeET4_jRbjT5_S1A_jjP12ihipStream_tbEUljE_EEESV_SW_SX_S14_S18_S1A_T6_T7_T9_mT8_S1C_bDpT10_ENKUlT_T0_E_clISt17integral_constantIbLb1EES1P_EEDaS1K_S1L_EUlS1K_E_NS1_11comp_targetILNS1_3genE9ELNS1_11target_archE1100ELNS1_3gpuE3ELNS1_3repE0EEENS1_30default_config_static_selectorELNS0_4arch9wavefront6targetE1EEEvSY_ ; -- Begin function _ZN7rocprim17ROCPRIM_400000_NS6detail17trampoline_kernelINS0_13select_configILj256ELj13ELNS0_17block_load_methodE3ELS4_3ELS4_3ELNS0_20block_scan_algorithmE0ELj4294967295EEENS1_25partition_config_selectorILNS1_17partition_subalgoE3EjNS0_10empty_typeEbEEZZNS1_14partition_implILS8_3ELb0ES6_jNS0_17counting_iteratorIjlEEPS9_SE_NS0_5tupleIJPjSE_EEENSF_IJSE_SE_EEES9_SG_JZNS1_25segmented_radix_sort_implINS0_14default_configELb0EPKfPfPKlPlN2at6native12_GLOBAL__N_18offset_tEEE10hipError_tPvRmT1_PNSt15iterator_traitsISY_E10value_typeET2_T3_PNSZ_IS14_E10value_typeET4_jRbjT5_S1A_jjP12ihipStream_tbEUljE_EEESV_SW_SX_S14_S18_S1A_T6_T7_T9_mT8_S1C_bDpT10_ENKUlT_T0_E_clISt17integral_constantIbLb1EES1P_EEDaS1K_S1L_EUlS1K_E_NS1_11comp_targetILNS1_3genE9ELNS1_11target_archE1100ELNS1_3gpuE3ELNS1_3repE0EEENS1_30default_config_static_selectorELNS0_4arch9wavefront6targetE1EEEvSY_
	.p2align	8
	.type	_ZN7rocprim17ROCPRIM_400000_NS6detail17trampoline_kernelINS0_13select_configILj256ELj13ELNS0_17block_load_methodE3ELS4_3ELS4_3ELNS0_20block_scan_algorithmE0ELj4294967295EEENS1_25partition_config_selectorILNS1_17partition_subalgoE3EjNS0_10empty_typeEbEEZZNS1_14partition_implILS8_3ELb0ES6_jNS0_17counting_iteratorIjlEEPS9_SE_NS0_5tupleIJPjSE_EEENSF_IJSE_SE_EEES9_SG_JZNS1_25segmented_radix_sort_implINS0_14default_configELb0EPKfPfPKlPlN2at6native12_GLOBAL__N_18offset_tEEE10hipError_tPvRmT1_PNSt15iterator_traitsISY_E10value_typeET2_T3_PNSZ_IS14_E10value_typeET4_jRbjT5_S1A_jjP12ihipStream_tbEUljE_EEESV_SW_SX_S14_S18_S1A_T6_T7_T9_mT8_S1C_bDpT10_ENKUlT_T0_E_clISt17integral_constantIbLb1EES1P_EEDaS1K_S1L_EUlS1K_E_NS1_11comp_targetILNS1_3genE9ELNS1_11target_archE1100ELNS1_3gpuE3ELNS1_3repE0EEENS1_30default_config_static_selectorELNS0_4arch9wavefront6targetE1EEEvSY_,@function
_ZN7rocprim17ROCPRIM_400000_NS6detail17trampoline_kernelINS0_13select_configILj256ELj13ELNS0_17block_load_methodE3ELS4_3ELS4_3ELNS0_20block_scan_algorithmE0ELj4294967295EEENS1_25partition_config_selectorILNS1_17partition_subalgoE3EjNS0_10empty_typeEbEEZZNS1_14partition_implILS8_3ELb0ES6_jNS0_17counting_iteratorIjlEEPS9_SE_NS0_5tupleIJPjSE_EEENSF_IJSE_SE_EEES9_SG_JZNS1_25segmented_radix_sort_implINS0_14default_configELb0EPKfPfPKlPlN2at6native12_GLOBAL__N_18offset_tEEE10hipError_tPvRmT1_PNSt15iterator_traitsISY_E10value_typeET2_T3_PNSZ_IS14_E10value_typeET4_jRbjT5_S1A_jjP12ihipStream_tbEUljE_EEESV_SW_SX_S14_S18_S1A_T6_T7_T9_mT8_S1C_bDpT10_ENKUlT_T0_E_clISt17integral_constantIbLb1EES1P_EEDaS1K_S1L_EUlS1K_E_NS1_11comp_targetILNS1_3genE9ELNS1_11target_archE1100ELNS1_3gpuE3ELNS1_3repE0EEENS1_30default_config_static_selectorELNS0_4arch9wavefront6targetE1EEEvSY_: ; @_ZN7rocprim17ROCPRIM_400000_NS6detail17trampoline_kernelINS0_13select_configILj256ELj13ELNS0_17block_load_methodE3ELS4_3ELS4_3ELNS0_20block_scan_algorithmE0ELj4294967295EEENS1_25partition_config_selectorILNS1_17partition_subalgoE3EjNS0_10empty_typeEbEEZZNS1_14partition_implILS8_3ELb0ES6_jNS0_17counting_iteratorIjlEEPS9_SE_NS0_5tupleIJPjSE_EEENSF_IJSE_SE_EEES9_SG_JZNS1_25segmented_radix_sort_implINS0_14default_configELb0EPKfPfPKlPlN2at6native12_GLOBAL__N_18offset_tEEE10hipError_tPvRmT1_PNSt15iterator_traitsISY_E10value_typeET2_T3_PNSZ_IS14_E10value_typeET4_jRbjT5_S1A_jjP12ihipStream_tbEUljE_EEESV_SW_SX_S14_S18_S1A_T6_T7_T9_mT8_S1C_bDpT10_ENKUlT_T0_E_clISt17integral_constantIbLb1EES1P_EEDaS1K_S1L_EUlS1K_E_NS1_11comp_targetILNS1_3genE9ELNS1_11target_archE1100ELNS1_3gpuE3ELNS1_3repE0EEENS1_30default_config_static_selectorELNS0_4arch9wavefront6targetE1EEEvSY_
; %bb.0:
	.section	.rodata,"a",@progbits
	.p2align	6, 0x0
	.amdhsa_kernel _ZN7rocprim17ROCPRIM_400000_NS6detail17trampoline_kernelINS0_13select_configILj256ELj13ELNS0_17block_load_methodE3ELS4_3ELS4_3ELNS0_20block_scan_algorithmE0ELj4294967295EEENS1_25partition_config_selectorILNS1_17partition_subalgoE3EjNS0_10empty_typeEbEEZZNS1_14partition_implILS8_3ELb0ES6_jNS0_17counting_iteratorIjlEEPS9_SE_NS0_5tupleIJPjSE_EEENSF_IJSE_SE_EEES9_SG_JZNS1_25segmented_radix_sort_implINS0_14default_configELb0EPKfPfPKlPlN2at6native12_GLOBAL__N_18offset_tEEE10hipError_tPvRmT1_PNSt15iterator_traitsISY_E10value_typeET2_T3_PNSZ_IS14_E10value_typeET4_jRbjT5_S1A_jjP12ihipStream_tbEUljE_EEESV_SW_SX_S14_S18_S1A_T6_T7_T9_mT8_S1C_bDpT10_ENKUlT_T0_E_clISt17integral_constantIbLb1EES1P_EEDaS1K_S1L_EUlS1K_E_NS1_11comp_targetILNS1_3genE9ELNS1_11target_archE1100ELNS1_3gpuE3ELNS1_3repE0EEENS1_30default_config_static_selectorELNS0_4arch9wavefront6targetE1EEEvSY_
		.amdhsa_group_segment_fixed_size 0
		.amdhsa_private_segment_fixed_size 0
		.amdhsa_kernarg_size 152
		.amdhsa_user_sgpr_count 6
		.amdhsa_user_sgpr_private_segment_buffer 1
		.amdhsa_user_sgpr_dispatch_ptr 0
		.amdhsa_user_sgpr_queue_ptr 0
		.amdhsa_user_sgpr_kernarg_segment_ptr 1
		.amdhsa_user_sgpr_dispatch_id 0
		.amdhsa_user_sgpr_flat_scratch_init 0
		.amdhsa_user_sgpr_kernarg_preload_length 0
		.amdhsa_user_sgpr_kernarg_preload_offset 0
		.amdhsa_user_sgpr_private_segment_size 0
		.amdhsa_uses_dynamic_stack 0
		.amdhsa_system_sgpr_private_segment_wavefront_offset 0
		.amdhsa_system_sgpr_workgroup_id_x 1
		.amdhsa_system_sgpr_workgroup_id_y 0
		.amdhsa_system_sgpr_workgroup_id_z 0
		.amdhsa_system_sgpr_workgroup_info 0
		.amdhsa_system_vgpr_workitem_id 0
		.amdhsa_next_free_vgpr 1
		.amdhsa_next_free_sgpr 0
		.amdhsa_accum_offset 4
		.amdhsa_reserve_vcc 0
		.amdhsa_reserve_flat_scratch 0
		.amdhsa_float_round_mode_32 0
		.amdhsa_float_round_mode_16_64 0
		.amdhsa_float_denorm_mode_32 3
		.amdhsa_float_denorm_mode_16_64 3
		.amdhsa_dx10_clamp 1
		.amdhsa_ieee_mode 1
		.amdhsa_fp16_overflow 0
		.amdhsa_tg_split 0
		.amdhsa_exception_fp_ieee_invalid_op 0
		.amdhsa_exception_fp_denorm_src 0
		.amdhsa_exception_fp_ieee_div_zero 0
		.amdhsa_exception_fp_ieee_overflow 0
		.amdhsa_exception_fp_ieee_underflow 0
		.amdhsa_exception_fp_ieee_inexact 0
		.amdhsa_exception_int_div_zero 0
	.end_amdhsa_kernel
	.section	.text._ZN7rocprim17ROCPRIM_400000_NS6detail17trampoline_kernelINS0_13select_configILj256ELj13ELNS0_17block_load_methodE3ELS4_3ELS4_3ELNS0_20block_scan_algorithmE0ELj4294967295EEENS1_25partition_config_selectorILNS1_17partition_subalgoE3EjNS0_10empty_typeEbEEZZNS1_14partition_implILS8_3ELb0ES6_jNS0_17counting_iteratorIjlEEPS9_SE_NS0_5tupleIJPjSE_EEENSF_IJSE_SE_EEES9_SG_JZNS1_25segmented_radix_sort_implINS0_14default_configELb0EPKfPfPKlPlN2at6native12_GLOBAL__N_18offset_tEEE10hipError_tPvRmT1_PNSt15iterator_traitsISY_E10value_typeET2_T3_PNSZ_IS14_E10value_typeET4_jRbjT5_S1A_jjP12ihipStream_tbEUljE_EEESV_SW_SX_S14_S18_S1A_T6_T7_T9_mT8_S1C_bDpT10_ENKUlT_T0_E_clISt17integral_constantIbLb1EES1P_EEDaS1K_S1L_EUlS1K_E_NS1_11comp_targetILNS1_3genE9ELNS1_11target_archE1100ELNS1_3gpuE3ELNS1_3repE0EEENS1_30default_config_static_selectorELNS0_4arch9wavefront6targetE1EEEvSY_,"axG",@progbits,_ZN7rocprim17ROCPRIM_400000_NS6detail17trampoline_kernelINS0_13select_configILj256ELj13ELNS0_17block_load_methodE3ELS4_3ELS4_3ELNS0_20block_scan_algorithmE0ELj4294967295EEENS1_25partition_config_selectorILNS1_17partition_subalgoE3EjNS0_10empty_typeEbEEZZNS1_14partition_implILS8_3ELb0ES6_jNS0_17counting_iteratorIjlEEPS9_SE_NS0_5tupleIJPjSE_EEENSF_IJSE_SE_EEES9_SG_JZNS1_25segmented_radix_sort_implINS0_14default_configELb0EPKfPfPKlPlN2at6native12_GLOBAL__N_18offset_tEEE10hipError_tPvRmT1_PNSt15iterator_traitsISY_E10value_typeET2_T3_PNSZ_IS14_E10value_typeET4_jRbjT5_S1A_jjP12ihipStream_tbEUljE_EEESV_SW_SX_S14_S18_S1A_T6_T7_T9_mT8_S1C_bDpT10_ENKUlT_T0_E_clISt17integral_constantIbLb1EES1P_EEDaS1K_S1L_EUlS1K_E_NS1_11comp_targetILNS1_3genE9ELNS1_11target_archE1100ELNS1_3gpuE3ELNS1_3repE0EEENS1_30default_config_static_selectorELNS0_4arch9wavefront6targetE1EEEvSY_,comdat
.Lfunc_end1408:
	.size	_ZN7rocprim17ROCPRIM_400000_NS6detail17trampoline_kernelINS0_13select_configILj256ELj13ELNS0_17block_load_methodE3ELS4_3ELS4_3ELNS0_20block_scan_algorithmE0ELj4294967295EEENS1_25partition_config_selectorILNS1_17partition_subalgoE3EjNS0_10empty_typeEbEEZZNS1_14partition_implILS8_3ELb0ES6_jNS0_17counting_iteratorIjlEEPS9_SE_NS0_5tupleIJPjSE_EEENSF_IJSE_SE_EEES9_SG_JZNS1_25segmented_radix_sort_implINS0_14default_configELb0EPKfPfPKlPlN2at6native12_GLOBAL__N_18offset_tEEE10hipError_tPvRmT1_PNSt15iterator_traitsISY_E10value_typeET2_T3_PNSZ_IS14_E10value_typeET4_jRbjT5_S1A_jjP12ihipStream_tbEUljE_EEESV_SW_SX_S14_S18_S1A_T6_T7_T9_mT8_S1C_bDpT10_ENKUlT_T0_E_clISt17integral_constantIbLb1EES1P_EEDaS1K_S1L_EUlS1K_E_NS1_11comp_targetILNS1_3genE9ELNS1_11target_archE1100ELNS1_3gpuE3ELNS1_3repE0EEENS1_30default_config_static_selectorELNS0_4arch9wavefront6targetE1EEEvSY_, .Lfunc_end1408-_ZN7rocprim17ROCPRIM_400000_NS6detail17trampoline_kernelINS0_13select_configILj256ELj13ELNS0_17block_load_methodE3ELS4_3ELS4_3ELNS0_20block_scan_algorithmE0ELj4294967295EEENS1_25partition_config_selectorILNS1_17partition_subalgoE3EjNS0_10empty_typeEbEEZZNS1_14partition_implILS8_3ELb0ES6_jNS0_17counting_iteratorIjlEEPS9_SE_NS0_5tupleIJPjSE_EEENSF_IJSE_SE_EEES9_SG_JZNS1_25segmented_radix_sort_implINS0_14default_configELb0EPKfPfPKlPlN2at6native12_GLOBAL__N_18offset_tEEE10hipError_tPvRmT1_PNSt15iterator_traitsISY_E10value_typeET2_T3_PNSZ_IS14_E10value_typeET4_jRbjT5_S1A_jjP12ihipStream_tbEUljE_EEESV_SW_SX_S14_S18_S1A_T6_T7_T9_mT8_S1C_bDpT10_ENKUlT_T0_E_clISt17integral_constantIbLb1EES1P_EEDaS1K_S1L_EUlS1K_E_NS1_11comp_targetILNS1_3genE9ELNS1_11target_archE1100ELNS1_3gpuE3ELNS1_3repE0EEENS1_30default_config_static_selectorELNS0_4arch9wavefront6targetE1EEEvSY_
                                        ; -- End function
	.section	.AMDGPU.csdata,"",@progbits
; Kernel info:
; codeLenInByte = 0
; NumSgprs: 4
; NumVgprs: 0
; NumAgprs: 0
; TotalNumVgprs: 0
; ScratchSize: 0
; MemoryBound: 0
; FloatMode: 240
; IeeeMode: 1
; LDSByteSize: 0 bytes/workgroup (compile time only)
; SGPRBlocks: 0
; VGPRBlocks: 0
; NumSGPRsForWavesPerEU: 4
; NumVGPRsForWavesPerEU: 1
; AccumOffset: 4
; Occupancy: 8
; WaveLimiterHint : 0
; COMPUTE_PGM_RSRC2:SCRATCH_EN: 0
; COMPUTE_PGM_RSRC2:USER_SGPR: 6
; COMPUTE_PGM_RSRC2:TRAP_HANDLER: 0
; COMPUTE_PGM_RSRC2:TGID_X_EN: 1
; COMPUTE_PGM_RSRC2:TGID_Y_EN: 0
; COMPUTE_PGM_RSRC2:TGID_Z_EN: 0
; COMPUTE_PGM_RSRC2:TIDIG_COMP_CNT: 0
; COMPUTE_PGM_RSRC3_GFX90A:ACCUM_OFFSET: 0
; COMPUTE_PGM_RSRC3_GFX90A:TG_SPLIT: 0
	.section	.text._ZN7rocprim17ROCPRIM_400000_NS6detail17trampoline_kernelINS0_13select_configILj256ELj13ELNS0_17block_load_methodE3ELS4_3ELS4_3ELNS0_20block_scan_algorithmE0ELj4294967295EEENS1_25partition_config_selectorILNS1_17partition_subalgoE3EjNS0_10empty_typeEbEEZZNS1_14partition_implILS8_3ELb0ES6_jNS0_17counting_iteratorIjlEEPS9_SE_NS0_5tupleIJPjSE_EEENSF_IJSE_SE_EEES9_SG_JZNS1_25segmented_radix_sort_implINS0_14default_configELb0EPKfPfPKlPlN2at6native12_GLOBAL__N_18offset_tEEE10hipError_tPvRmT1_PNSt15iterator_traitsISY_E10value_typeET2_T3_PNSZ_IS14_E10value_typeET4_jRbjT5_S1A_jjP12ihipStream_tbEUljE_EEESV_SW_SX_S14_S18_S1A_T6_T7_T9_mT8_S1C_bDpT10_ENKUlT_T0_E_clISt17integral_constantIbLb1EES1P_EEDaS1K_S1L_EUlS1K_E_NS1_11comp_targetILNS1_3genE8ELNS1_11target_archE1030ELNS1_3gpuE2ELNS1_3repE0EEENS1_30default_config_static_selectorELNS0_4arch9wavefront6targetE1EEEvSY_,"axG",@progbits,_ZN7rocprim17ROCPRIM_400000_NS6detail17trampoline_kernelINS0_13select_configILj256ELj13ELNS0_17block_load_methodE3ELS4_3ELS4_3ELNS0_20block_scan_algorithmE0ELj4294967295EEENS1_25partition_config_selectorILNS1_17partition_subalgoE3EjNS0_10empty_typeEbEEZZNS1_14partition_implILS8_3ELb0ES6_jNS0_17counting_iteratorIjlEEPS9_SE_NS0_5tupleIJPjSE_EEENSF_IJSE_SE_EEES9_SG_JZNS1_25segmented_radix_sort_implINS0_14default_configELb0EPKfPfPKlPlN2at6native12_GLOBAL__N_18offset_tEEE10hipError_tPvRmT1_PNSt15iterator_traitsISY_E10value_typeET2_T3_PNSZ_IS14_E10value_typeET4_jRbjT5_S1A_jjP12ihipStream_tbEUljE_EEESV_SW_SX_S14_S18_S1A_T6_T7_T9_mT8_S1C_bDpT10_ENKUlT_T0_E_clISt17integral_constantIbLb1EES1P_EEDaS1K_S1L_EUlS1K_E_NS1_11comp_targetILNS1_3genE8ELNS1_11target_archE1030ELNS1_3gpuE2ELNS1_3repE0EEENS1_30default_config_static_selectorELNS0_4arch9wavefront6targetE1EEEvSY_,comdat
	.globl	_ZN7rocprim17ROCPRIM_400000_NS6detail17trampoline_kernelINS0_13select_configILj256ELj13ELNS0_17block_load_methodE3ELS4_3ELS4_3ELNS0_20block_scan_algorithmE0ELj4294967295EEENS1_25partition_config_selectorILNS1_17partition_subalgoE3EjNS0_10empty_typeEbEEZZNS1_14partition_implILS8_3ELb0ES6_jNS0_17counting_iteratorIjlEEPS9_SE_NS0_5tupleIJPjSE_EEENSF_IJSE_SE_EEES9_SG_JZNS1_25segmented_radix_sort_implINS0_14default_configELb0EPKfPfPKlPlN2at6native12_GLOBAL__N_18offset_tEEE10hipError_tPvRmT1_PNSt15iterator_traitsISY_E10value_typeET2_T3_PNSZ_IS14_E10value_typeET4_jRbjT5_S1A_jjP12ihipStream_tbEUljE_EEESV_SW_SX_S14_S18_S1A_T6_T7_T9_mT8_S1C_bDpT10_ENKUlT_T0_E_clISt17integral_constantIbLb1EES1P_EEDaS1K_S1L_EUlS1K_E_NS1_11comp_targetILNS1_3genE8ELNS1_11target_archE1030ELNS1_3gpuE2ELNS1_3repE0EEENS1_30default_config_static_selectorELNS0_4arch9wavefront6targetE1EEEvSY_ ; -- Begin function _ZN7rocprim17ROCPRIM_400000_NS6detail17trampoline_kernelINS0_13select_configILj256ELj13ELNS0_17block_load_methodE3ELS4_3ELS4_3ELNS0_20block_scan_algorithmE0ELj4294967295EEENS1_25partition_config_selectorILNS1_17partition_subalgoE3EjNS0_10empty_typeEbEEZZNS1_14partition_implILS8_3ELb0ES6_jNS0_17counting_iteratorIjlEEPS9_SE_NS0_5tupleIJPjSE_EEENSF_IJSE_SE_EEES9_SG_JZNS1_25segmented_radix_sort_implINS0_14default_configELb0EPKfPfPKlPlN2at6native12_GLOBAL__N_18offset_tEEE10hipError_tPvRmT1_PNSt15iterator_traitsISY_E10value_typeET2_T3_PNSZ_IS14_E10value_typeET4_jRbjT5_S1A_jjP12ihipStream_tbEUljE_EEESV_SW_SX_S14_S18_S1A_T6_T7_T9_mT8_S1C_bDpT10_ENKUlT_T0_E_clISt17integral_constantIbLb1EES1P_EEDaS1K_S1L_EUlS1K_E_NS1_11comp_targetILNS1_3genE8ELNS1_11target_archE1030ELNS1_3gpuE2ELNS1_3repE0EEENS1_30default_config_static_selectorELNS0_4arch9wavefront6targetE1EEEvSY_
	.p2align	8
	.type	_ZN7rocprim17ROCPRIM_400000_NS6detail17trampoline_kernelINS0_13select_configILj256ELj13ELNS0_17block_load_methodE3ELS4_3ELS4_3ELNS0_20block_scan_algorithmE0ELj4294967295EEENS1_25partition_config_selectorILNS1_17partition_subalgoE3EjNS0_10empty_typeEbEEZZNS1_14partition_implILS8_3ELb0ES6_jNS0_17counting_iteratorIjlEEPS9_SE_NS0_5tupleIJPjSE_EEENSF_IJSE_SE_EEES9_SG_JZNS1_25segmented_radix_sort_implINS0_14default_configELb0EPKfPfPKlPlN2at6native12_GLOBAL__N_18offset_tEEE10hipError_tPvRmT1_PNSt15iterator_traitsISY_E10value_typeET2_T3_PNSZ_IS14_E10value_typeET4_jRbjT5_S1A_jjP12ihipStream_tbEUljE_EEESV_SW_SX_S14_S18_S1A_T6_T7_T9_mT8_S1C_bDpT10_ENKUlT_T0_E_clISt17integral_constantIbLb1EES1P_EEDaS1K_S1L_EUlS1K_E_NS1_11comp_targetILNS1_3genE8ELNS1_11target_archE1030ELNS1_3gpuE2ELNS1_3repE0EEENS1_30default_config_static_selectorELNS0_4arch9wavefront6targetE1EEEvSY_,@function
_ZN7rocprim17ROCPRIM_400000_NS6detail17trampoline_kernelINS0_13select_configILj256ELj13ELNS0_17block_load_methodE3ELS4_3ELS4_3ELNS0_20block_scan_algorithmE0ELj4294967295EEENS1_25partition_config_selectorILNS1_17partition_subalgoE3EjNS0_10empty_typeEbEEZZNS1_14partition_implILS8_3ELb0ES6_jNS0_17counting_iteratorIjlEEPS9_SE_NS0_5tupleIJPjSE_EEENSF_IJSE_SE_EEES9_SG_JZNS1_25segmented_radix_sort_implINS0_14default_configELb0EPKfPfPKlPlN2at6native12_GLOBAL__N_18offset_tEEE10hipError_tPvRmT1_PNSt15iterator_traitsISY_E10value_typeET2_T3_PNSZ_IS14_E10value_typeET4_jRbjT5_S1A_jjP12ihipStream_tbEUljE_EEESV_SW_SX_S14_S18_S1A_T6_T7_T9_mT8_S1C_bDpT10_ENKUlT_T0_E_clISt17integral_constantIbLb1EES1P_EEDaS1K_S1L_EUlS1K_E_NS1_11comp_targetILNS1_3genE8ELNS1_11target_archE1030ELNS1_3gpuE2ELNS1_3repE0EEENS1_30default_config_static_selectorELNS0_4arch9wavefront6targetE1EEEvSY_: ; @_ZN7rocprim17ROCPRIM_400000_NS6detail17trampoline_kernelINS0_13select_configILj256ELj13ELNS0_17block_load_methodE3ELS4_3ELS4_3ELNS0_20block_scan_algorithmE0ELj4294967295EEENS1_25partition_config_selectorILNS1_17partition_subalgoE3EjNS0_10empty_typeEbEEZZNS1_14partition_implILS8_3ELb0ES6_jNS0_17counting_iteratorIjlEEPS9_SE_NS0_5tupleIJPjSE_EEENSF_IJSE_SE_EEES9_SG_JZNS1_25segmented_radix_sort_implINS0_14default_configELb0EPKfPfPKlPlN2at6native12_GLOBAL__N_18offset_tEEE10hipError_tPvRmT1_PNSt15iterator_traitsISY_E10value_typeET2_T3_PNSZ_IS14_E10value_typeET4_jRbjT5_S1A_jjP12ihipStream_tbEUljE_EEESV_SW_SX_S14_S18_S1A_T6_T7_T9_mT8_S1C_bDpT10_ENKUlT_T0_E_clISt17integral_constantIbLb1EES1P_EEDaS1K_S1L_EUlS1K_E_NS1_11comp_targetILNS1_3genE8ELNS1_11target_archE1030ELNS1_3gpuE2ELNS1_3repE0EEENS1_30default_config_static_selectorELNS0_4arch9wavefront6targetE1EEEvSY_
; %bb.0:
	.section	.rodata,"a",@progbits
	.p2align	6, 0x0
	.amdhsa_kernel _ZN7rocprim17ROCPRIM_400000_NS6detail17trampoline_kernelINS0_13select_configILj256ELj13ELNS0_17block_load_methodE3ELS4_3ELS4_3ELNS0_20block_scan_algorithmE0ELj4294967295EEENS1_25partition_config_selectorILNS1_17partition_subalgoE3EjNS0_10empty_typeEbEEZZNS1_14partition_implILS8_3ELb0ES6_jNS0_17counting_iteratorIjlEEPS9_SE_NS0_5tupleIJPjSE_EEENSF_IJSE_SE_EEES9_SG_JZNS1_25segmented_radix_sort_implINS0_14default_configELb0EPKfPfPKlPlN2at6native12_GLOBAL__N_18offset_tEEE10hipError_tPvRmT1_PNSt15iterator_traitsISY_E10value_typeET2_T3_PNSZ_IS14_E10value_typeET4_jRbjT5_S1A_jjP12ihipStream_tbEUljE_EEESV_SW_SX_S14_S18_S1A_T6_T7_T9_mT8_S1C_bDpT10_ENKUlT_T0_E_clISt17integral_constantIbLb1EES1P_EEDaS1K_S1L_EUlS1K_E_NS1_11comp_targetILNS1_3genE8ELNS1_11target_archE1030ELNS1_3gpuE2ELNS1_3repE0EEENS1_30default_config_static_selectorELNS0_4arch9wavefront6targetE1EEEvSY_
		.amdhsa_group_segment_fixed_size 0
		.amdhsa_private_segment_fixed_size 0
		.amdhsa_kernarg_size 152
		.amdhsa_user_sgpr_count 6
		.amdhsa_user_sgpr_private_segment_buffer 1
		.amdhsa_user_sgpr_dispatch_ptr 0
		.amdhsa_user_sgpr_queue_ptr 0
		.amdhsa_user_sgpr_kernarg_segment_ptr 1
		.amdhsa_user_sgpr_dispatch_id 0
		.amdhsa_user_sgpr_flat_scratch_init 0
		.amdhsa_user_sgpr_kernarg_preload_length 0
		.amdhsa_user_sgpr_kernarg_preload_offset 0
		.amdhsa_user_sgpr_private_segment_size 0
		.amdhsa_uses_dynamic_stack 0
		.amdhsa_system_sgpr_private_segment_wavefront_offset 0
		.amdhsa_system_sgpr_workgroup_id_x 1
		.amdhsa_system_sgpr_workgroup_id_y 0
		.amdhsa_system_sgpr_workgroup_id_z 0
		.amdhsa_system_sgpr_workgroup_info 0
		.amdhsa_system_vgpr_workitem_id 0
		.amdhsa_next_free_vgpr 1
		.amdhsa_next_free_sgpr 0
		.amdhsa_accum_offset 4
		.amdhsa_reserve_vcc 0
		.amdhsa_reserve_flat_scratch 0
		.amdhsa_float_round_mode_32 0
		.amdhsa_float_round_mode_16_64 0
		.amdhsa_float_denorm_mode_32 3
		.amdhsa_float_denorm_mode_16_64 3
		.amdhsa_dx10_clamp 1
		.amdhsa_ieee_mode 1
		.amdhsa_fp16_overflow 0
		.amdhsa_tg_split 0
		.amdhsa_exception_fp_ieee_invalid_op 0
		.amdhsa_exception_fp_denorm_src 0
		.amdhsa_exception_fp_ieee_div_zero 0
		.amdhsa_exception_fp_ieee_overflow 0
		.amdhsa_exception_fp_ieee_underflow 0
		.amdhsa_exception_fp_ieee_inexact 0
		.amdhsa_exception_int_div_zero 0
	.end_amdhsa_kernel
	.section	.text._ZN7rocprim17ROCPRIM_400000_NS6detail17trampoline_kernelINS0_13select_configILj256ELj13ELNS0_17block_load_methodE3ELS4_3ELS4_3ELNS0_20block_scan_algorithmE0ELj4294967295EEENS1_25partition_config_selectorILNS1_17partition_subalgoE3EjNS0_10empty_typeEbEEZZNS1_14partition_implILS8_3ELb0ES6_jNS0_17counting_iteratorIjlEEPS9_SE_NS0_5tupleIJPjSE_EEENSF_IJSE_SE_EEES9_SG_JZNS1_25segmented_radix_sort_implINS0_14default_configELb0EPKfPfPKlPlN2at6native12_GLOBAL__N_18offset_tEEE10hipError_tPvRmT1_PNSt15iterator_traitsISY_E10value_typeET2_T3_PNSZ_IS14_E10value_typeET4_jRbjT5_S1A_jjP12ihipStream_tbEUljE_EEESV_SW_SX_S14_S18_S1A_T6_T7_T9_mT8_S1C_bDpT10_ENKUlT_T0_E_clISt17integral_constantIbLb1EES1P_EEDaS1K_S1L_EUlS1K_E_NS1_11comp_targetILNS1_3genE8ELNS1_11target_archE1030ELNS1_3gpuE2ELNS1_3repE0EEENS1_30default_config_static_selectorELNS0_4arch9wavefront6targetE1EEEvSY_,"axG",@progbits,_ZN7rocprim17ROCPRIM_400000_NS6detail17trampoline_kernelINS0_13select_configILj256ELj13ELNS0_17block_load_methodE3ELS4_3ELS4_3ELNS0_20block_scan_algorithmE0ELj4294967295EEENS1_25partition_config_selectorILNS1_17partition_subalgoE3EjNS0_10empty_typeEbEEZZNS1_14partition_implILS8_3ELb0ES6_jNS0_17counting_iteratorIjlEEPS9_SE_NS0_5tupleIJPjSE_EEENSF_IJSE_SE_EEES9_SG_JZNS1_25segmented_radix_sort_implINS0_14default_configELb0EPKfPfPKlPlN2at6native12_GLOBAL__N_18offset_tEEE10hipError_tPvRmT1_PNSt15iterator_traitsISY_E10value_typeET2_T3_PNSZ_IS14_E10value_typeET4_jRbjT5_S1A_jjP12ihipStream_tbEUljE_EEESV_SW_SX_S14_S18_S1A_T6_T7_T9_mT8_S1C_bDpT10_ENKUlT_T0_E_clISt17integral_constantIbLb1EES1P_EEDaS1K_S1L_EUlS1K_E_NS1_11comp_targetILNS1_3genE8ELNS1_11target_archE1030ELNS1_3gpuE2ELNS1_3repE0EEENS1_30default_config_static_selectorELNS0_4arch9wavefront6targetE1EEEvSY_,comdat
.Lfunc_end1409:
	.size	_ZN7rocprim17ROCPRIM_400000_NS6detail17trampoline_kernelINS0_13select_configILj256ELj13ELNS0_17block_load_methodE3ELS4_3ELS4_3ELNS0_20block_scan_algorithmE0ELj4294967295EEENS1_25partition_config_selectorILNS1_17partition_subalgoE3EjNS0_10empty_typeEbEEZZNS1_14partition_implILS8_3ELb0ES6_jNS0_17counting_iteratorIjlEEPS9_SE_NS0_5tupleIJPjSE_EEENSF_IJSE_SE_EEES9_SG_JZNS1_25segmented_radix_sort_implINS0_14default_configELb0EPKfPfPKlPlN2at6native12_GLOBAL__N_18offset_tEEE10hipError_tPvRmT1_PNSt15iterator_traitsISY_E10value_typeET2_T3_PNSZ_IS14_E10value_typeET4_jRbjT5_S1A_jjP12ihipStream_tbEUljE_EEESV_SW_SX_S14_S18_S1A_T6_T7_T9_mT8_S1C_bDpT10_ENKUlT_T0_E_clISt17integral_constantIbLb1EES1P_EEDaS1K_S1L_EUlS1K_E_NS1_11comp_targetILNS1_3genE8ELNS1_11target_archE1030ELNS1_3gpuE2ELNS1_3repE0EEENS1_30default_config_static_selectorELNS0_4arch9wavefront6targetE1EEEvSY_, .Lfunc_end1409-_ZN7rocprim17ROCPRIM_400000_NS6detail17trampoline_kernelINS0_13select_configILj256ELj13ELNS0_17block_load_methodE3ELS4_3ELS4_3ELNS0_20block_scan_algorithmE0ELj4294967295EEENS1_25partition_config_selectorILNS1_17partition_subalgoE3EjNS0_10empty_typeEbEEZZNS1_14partition_implILS8_3ELb0ES6_jNS0_17counting_iteratorIjlEEPS9_SE_NS0_5tupleIJPjSE_EEENSF_IJSE_SE_EEES9_SG_JZNS1_25segmented_radix_sort_implINS0_14default_configELb0EPKfPfPKlPlN2at6native12_GLOBAL__N_18offset_tEEE10hipError_tPvRmT1_PNSt15iterator_traitsISY_E10value_typeET2_T3_PNSZ_IS14_E10value_typeET4_jRbjT5_S1A_jjP12ihipStream_tbEUljE_EEESV_SW_SX_S14_S18_S1A_T6_T7_T9_mT8_S1C_bDpT10_ENKUlT_T0_E_clISt17integral_constantIbLb1EES1P_EEDaS1K_S1L_EUlS1K_E_NS1_11comp_targetILNS1_3genE8ELNS1_11target_archE1030ELNS1_3gpuE2ELNS1_3repE0EEENS1_30default_config_static_selectorELNS0_4arch9wavefront6targetE1EEEvSY_
                                        ; -- End function
	.section	.AMDGPU.csdata,"",@progbits
; Kernel info:
; codeLenInByte = 0
; NumSgprs: 4
; NumVgprs: 0
; NumAgprs: 0
; TotalNumVgprs: 0
; ScratchSize: 0
; MemoryBound: 0
; FloatMode: 240
; IeeeMode: 1
; LDSByteSize: 0 bytes/workgroup (compile time only)
; SGPRBlocks: 0
; VGPRBlocks: 0
; NumSGPRsForWavesPerEU: 4
; NumVGPRsForWavesPerEU: 1
; AccumOffset: 4
; Occupancy: 8
; WaveLimiterHint : 0
; COMPUTE_PGM_RSRC2:SCRATCH_EN: 0
; COMPUTE_PGM_RSRC2:USER_SGPR: 6
; COMPUTE_PGM_RSRC2:TRAP_HANDLER: 0
; COMPUTE_PGM_RSRC2:TGID_X_EN: 1
; COMPUTE_PGM_RSRC2:TGID_Y_EN: 0
; COMPUTE_PGM_RSRC2:TGID_Z_EN: 0
; COMPUTE_PGM_RSRC2:TIDIG_COMP_CNT: 0
; COMPUTE_PGM_RSRC3_GFX90A:ACCUM_OFFSET: 0
; COMPUTE_PGM_RSRC3_GFX90A:TG_SPLIT: 0
	.section	.text._ZN7rocprim17ROCPRIM_400000_NS6detail17trampoline_kernelINS0_13select_configILj256ELj13ELNS0_17block_load_methodE3ELS4_3ELS4_3ELNS0_20block_scan_algorithmE0ELj4294967295EEENS1_25partition_config_selectorILNS1_17partition_subalgoE3EjNS0_10empty_typeEbEEZZNS1_14partition_implILS8_3ELb0ES6_jNS0_17counting_iteratorIjlEEPS9_SE_NS0_5tupleIJPjSE_EEENSF_IJSE_SE_EEES9_SG_JZNS1_25segmented_radix_sort_implINS0_14default_configELb0EPKfPfPKlPlN2at6native12_GLOBAL__N_18offset_tEEE10hipError_tPvRmT1_PNSt15iterator_traitsISY_E10value_typeET2_T3_PNSZ_IS14_E10value_typeET4_jRbjT5_S1A_jjP12ihipStream_tbEUljE_EEESV_SW_SX_S14_S18_S1A_T6_T7_T9_mT8_S1C_bDpT10_ENKUlT_T0_E_clISt17integral_constantIbLb1EES1O_IbLb0EEEEDaS1K_S1L_EUlS1K_E_NS1_11comp_targetILNS1_3genE0ELNS1_11target_archE4294967295ELNS1_3gpuE0ELNS1_3repE0EEENS1_30default_config_static_selectorELNS0_4arch9wavefront6targetE1EEEvSY_,"axG",@progbits,_ZN7rocprim17ROCPRIM_400000_NS6detail17trampoline_kernelINS0_13select_configILj256ELj13ELNS0_17block_load_methodE3ELS4_3ELS4_3ELNS0_20block_scan_algorithmE0ELj4294967295EEENS1_25partition_config_selectorILNS1_17partition_subalgoE3EjNS0_10empty_typeEbEEZZNS1_14partition_implILS8_3ELb0ES6_jNS0_17counting_iteratorIjlEEPS9_SE_NS0_5tupleIJPjSE_EEENSF_IJSE_SE_EEES9_SG_JZNS1_25segmented_radix_sort_implINS0_14default_configELb0EPKfPfPKlPlN2at6native12_GLOBAL__N_18offset_tEEE10hipError_tPvRmT1_PNSt15iterator_traitsISY_E10value_typeET2_T3_PNSZ_IS14_E10value_typeET4_jRbjT5_S1A_jjP12ihipStream_tbEUljE_EEESV_SW_SX_S14_S18_S1A_T6_T7_T9_mT8_S1C_bDpT10_ENKUlT_T0_E_clISt17integral_constantIbLb1EES1O_IbLb0EEEEDaS1K_S1L_EUlS1K_E_NS1_11comp_targetILNS1_3genE0ELNS1_11target_archE4294967295ELNS1_3gpuE0ELNS1_3repE0EEENS1_30default_config_static_selectorELNS0_4arch9wavefront6targetE1EEEvSY_,comdat
	.globl	_ZN7rocprim17ROCPRIM_400000_NS6detail17trampoline_kernelINS0_13select_configILj256ELj13ELNS0_17block_load_methodE3ELS4_3ELS4_3ELNS0_20block_scan_algorithmE0ELj4294967295EEENS1_25partition_config_selectorILNS1_17partition_subalgoE3EjNS0_10empty_typeEbEEZZNS1_14partition_implILS8_3ELb0ES6_jNS0_17counting_iteratorIjlEEPS9_SE_NS0_5tupleIJPjSE_EEENSF_IJSE_SE_EEES9_SG_JZNS1_25segmented_radix_sort_implINS0_14default_configELb0EPKfPfPKlPlN2at6native12_GLOBAL__N_18offset_tEEE10hipError_tPvRmT1_PNSt15iterator_traitsISY_E10value_typeET2_T3_PNSZ_IS14_E10value_typeET4_jRbjT5_S1A_jjP12ihipStream_tbEUljE_EEESV_SW_SX_S14_S18_S1A_T6_T7_T9_mT8_S1C_bDpT10_ENKUlT_T0_E_clISt17integral_constantIbLb1EES1O_IbLb0EEEEDaS1K_S1L_EUlS1K_E_NS1_11comp_targetILNS1_3genE0ELNS1_11target_archE4294967295ELNS1_3gpuE0ELNS1_3repE0EEENS1_30default_config_static_selectorELNS0_4arch9wavefront6targetE1EEEvSY_ ; -- Begin function _ZN7rocprim17ROCPRIM_400000_NS6detail17trampoline_kernelINS0_13select_configILj256ELj13ELNS0_17block_load_methodE3ELS4_3ELS4_3ELNS0_20block_scan_algorithmE0ELj4294967295EEENS1_25partition_config_selectorILNS1_17partition_subalgoE3EjNS0_10empty_typeEbEEZZNS1_14partition_implILS8_3ELb0ES6_jNS0_17counting_iteratorIjlEEPS9_SE_NS0_5tupleIJPjSE_EEENSF_IJSE_SE_EEES9_SG_JZNS1_25segmented_radix_sort_implINS0_14default_configELb0EPKfPfPKlPlN2at6native12_GLOBAL__N_18offset_tEEE10hipError_tPvRmT1_PNSt15iterator_traitsISY_E10value_typeET2_T3_PNSZ_IS14_E10value_typeET4_jRbjT5_S1A_jjP12ihipStream_tbEUljE_EEESV_SW_SX_S14_S18_S1A_T6_T7_T9_mT8_S1C_bDpT10_ENKUlT_T0_E_clISt17integral_constantIbLb1EES1O_IbLb0EEEEDaS1K_S1L_EUlS1K_E_NS1_11comp_targetILNS1_3genE0ELNS1_11target_archE4294967295ELNS1_3gpuE0ELNS1_3repE0EEENS1_30default_config_static_selectorELNS0_4arch9wavefront6targetE1EEEvSY_
	.p2align	8
	.type	_ZN7rocprim17ROCPRIM_400000_NS6detail17trampoline_kernelINS0_13select_configILj256ELj13ELNS0_17block_load_methodE3ELS4_3ELS4_3ELNS0_20block_scan_algorithmE0ELj4294967295EEENS1_25partition_config_selectorILNS1_17partition_subalgoE3EjNS0_10empty_typeEbEEZZNS1_14partition_implILS8_3ELb0ES6_jNS0_17counting_iteratorIjlEEPS9_SE_NS0_5tupleIJPjSE_EEENSF_IJSE_SE_EEES9_SG_JZNS1_25segmented_radix_sort_implINS0_14default_configELb0EPKfPfPKlPlN2at6native12_GLOBAL__N_18offset_tEEE10hipError_tPvRmT1_PNSt15iterator_traitsISY_E10value_typeET2_T3_PNSZ_IS14_E10value_typeET4_jRbjT5_S1A_jjP12ihipStream_tbEUljE_EEESV_SW_SX_S14_S18_S1A_T6_T7_T9_mT8_S1C_bDpT10_ENKUlT_T0_E_clISt17integral_constantIbLb1EES1O_IbLb0EEEEDaS1K_S1L_EUlS1K_E_NS1_11comp_targetILNS1_3genE0ELNS1_11target_archE4294967295ELNS1_3gpuE0ELNS1_3repE0EEENS1_30default_config_static_selectorELNS0_4arch9wavefront6targetE1EEEvSY_,@function
_ZN7rocprim17ROCPRIM_400000_NS6detail17trampoline_kernelINS0_13select_configILj256ELj13ELNS0_17block_load_methodE3ELS4_3ELS4_3ELNS0_20block_scan_algorithmE0ELj4294967295EEENS1_25partition_config_selectorILNS1_17partition_subalgoE3EjNS0_10empty_typeEbEEZZNS1_14partition_implILS8_3ELb0ES6_jNS0_17counting_iteratorIjlEEPS9_SE_NS0_5tupleIJPjSE_EEENSF_IJSE_SE_EEES9_SG_JZNS1_25segmented_radix_sort_implINS0_14default_configELb0EPKfPfPKlPlN2at6native12_GLOBAL__N_18offset_tEEE10hipError_tPvRmT1_PNSt15iterator_traitsISY_E10value_typeET2_T3_PNSZ_IS14_E10value_typeET4_jRbjT5_S1A_jjP12ihipStream_tbEUljE_EEESV_SW_SX_S14_S18_S1A_T6_T7_T9_mT8_S1C_bDpT10_ENKUlT_T0_E_clISt17integral_constantIbLb1EES1O_IbLb0EEEEDaS1K_S1L_EUlS1K_E_NS1_11comp_targetILNS1_3genE0ELNS1_11target_archE4294967295ELNS1_3gpuE0ELNS1_3repE0EEENS1_30default_config_static_selectorELNS0_4arch9wavefront6targetE1EEEvSY_: ; @_ZN7rocprim17ROCPRIM_400000_NS6detail17trampoline_kernelINS0_13select_configILj256ELj13ELNS0_17block_load_methodE3ELS4_3ELS4_3ELNS0_20block_scan_algorithmE0ELj4294967295EEENS1_25partition_config_selectorILNS1_17partition_subalgoE3EjNS0_10empty_typeEbEEZZNS1_14partition_implILS8_3ELb0ES6_jNS0_17counting_iteratorIjlEEPS9_SE_NS0_5tupleIJPjSE_EEENSF_IJSE_SE_EEES9_SG_JZNS1_25segmented_radix_sort_implINS0_14default_configELb0EPKfPfPKlPlN2at6native12_GLOBAL__N_18offset_tEEE10hipError_tPvRmT1_PNSt15iterator_traitsISY_E10value_typeET2_T3_PNSZ_IS14_E10value_typeET4_jRbjT5_S1A_jjP12ihipStream_tbEUljE_EEESV_SW_SX_S14_S18_S1A_T6_T7_T9_mT8_S1C_bDpT10_ENKUlT_T0_E_clISt17integral_constantIbLb1EES1O_IbLb0EEEEDaS1K_S1L_EUlS1K_E_NS1_11comp_targetILNS1_3genE0ELNS1_11target_archE4294967295ELNS1_3gpuE0ELNS1_3repE0EEENS1_30default_config_static_selectorELNS0_4arch9wavefront6targetE1EEEvSY_
; %bb.0:
	.section	.rodata,"a",@progbits
	.p2align	6, 0x0
	.amdhsa_kernel _ZN7rocprim17ROCPRIM_400000_NS6detail17trampoline_kernelINS0_13select_configILj256ELj13ELNS0_17block_load_methodE3ELS4_3ELS4_3ELNS0_20block_scan_algorithmE0ELj4294967295EEENS1_25partition_config_selectorILNS1_17partition_subalgoE3EjNS0_10empty_typeEbEEZZNS1_14partition_implILS8_3ELb0ES6_jNS0_17counting_iteratorIjlEEPS9_SE_NS0_5tupleIJPjSE_EEENSF_IJSE_SE_EEES9_SG_JZNS1_25segmented_radix_sort_implINS0_14default_configELb0EPKfPfPKlPlN2at6native12_GLOBAL__N_18offset_tEEE10hipError_tPvRmT1_PNSt15iterator_traitsISY_E10value_typeET2_T3_PNSZ_IS14_E10value_typeET4_jRbjT5_S1A_jjP12ihipStream_tbEUljE_EEESV_SW_SX_S14_S18_S1A_T6_T7_T9_mT8_S1C_bDpT10_ENKUlT_T0_E_clISt17integral_constantIbLb1EES1O_IbLb0EEEEDaS1K_S1L_EUlS1K_E_NS1_11comp_targetILNS1_3genE0ELNS1_11target_archE4294967295ELNS1_3gpuE0ELNS1_3repE0EEENS1_30default_config_static_selectorELNS0_4arch9wavefront6targetE1EEEvSY_
		.amdhsa_group_segment_fixed_size 0
		.amdhsa_private_segment_fixed_size 0
		.amdhsa_kernarg_size 144
		.amdhsa_user_sgpr_count 6
		.amdhsa_user_sgpr_private_segment_buffer 1
		.amdhsa_user_sgpr_dispatch_ptr 0
		.amdhsa_user_sgpr_queue_ptr 0
		.amdhsa_user_sgpr_kernarg_segment_ptr 1
		.amdhsa_user_sgpr_dispatch_id 0
		.amdhsa_user_sgpr_flat_scratch_init 0
		.amdhsa_user_sgpr_kernarg_preload_length 0
		.amdhsa_user_sgpr_kernarg_preload_offset 0
		.amdhsa_user_sgpr_private_segment_size 0
		.amdhsa_uses_dynamic_stack 0
		.amdhsa_system_sgpr_private_segment_wavefront_offset 0
		.amdhsa_system_sgpr_workgroup_id_x 1
		.amdhsa_system_sgpr_workgroup_id_y 0
		.amdhsa_system_sgpr_workgroup_id_z 0
		.amdhsa_system_sgpr_workgroup_info 0
		.amdhsa_system_vgpr_workitem_id 0
		.amdhsa_next_free_vgpr 1
		.amdhsa_next_free_sgpr 0
		.amdhsa_accum_offset 4
		.amdhsa_reserve_vcc 0
		.amdhsa_reserve_flat_scratch 0
		.amdhsa_float_round_mode_32 0
		.amdhsa_float_round_mode_16_64 0
		.amdhsa_float_denorm_mode_32 3
		.amdhsa_float_denorm_mode_16_64 3
		.amdhsa_dx10_clamp 1
		.amdhsa_ieee_mode 1
		.amdhsa_fp16_overflow 0
		.amdhsa_tg_split 0
		.amdhsa_exception_fp_ieee_invalid_op 0
		.amdhsa_exception_fp_denorm_src 0
		.amdhsa_exception_fp_ieee_div_zero 0
		.amdhsa_exception_fp_ieee_overflow 0
		.amdhsa_exception_fp_ieee_underflow 0
		.amdhsa_exception_fp_ieee_inexact 0
		.amdhsa_exception_int_div_zero 0
	.end_amdhsa_kernel
	.section	.text._ZN7rocprim17ROCPRIM_400000_NS6detail17trampoline_kernelINS0_13select_configILj256ELj13ELNS0_17block_load_methodE3ELS4_3ELS4_3ELNS0_20block_scan_algorithmE0ELj4294967295EEENS1_25partition_config_selectorILNS1_17partition_subalgoE3EjNS0_10empty_typeEbEEZZNS1_14partition_implILS8_3ELb0ES6_jNS0_17counting_iteratorIjlEEPS9_SE_NS0_5tupleIJPjSE_EEENSF_IJSE_SE_EEES9_SG_JZNS1_25segmented_radix_sort_implINS0_14default_configELb0EPKfPfPKlPlN2at6native12_GLOBAL__N_18offset_tEEE10hipError_tPvRmT1_PNSt15iterator_traitsISY_E10value_typeET2_T3_PNSZ_IS14_E10value_typeET4_jRbjT5_S1A_jjP12ihipStream_tbEUljE_EEESV_SW_SX_S14_S18_S1A_T6_T7_T9_mT8_S1C_bDpT10_ENKUlT_T0_E_clISt17integral_constantIbLb1EES1O_IbLb0EEEEDaS1K_S1L_EUlS1K_E_NS1_11comp_targetILNS1_3genE0ELNS1_11target_archE4294967295ELNS1_3gpuE0ELNS1_3repE0EEENS1_30default_config_static_selectorELNS0_4arch9wavefront6targetE1EEEvSY_,"axG",@progbits,_ZN7rocprim17ROCPRIM_400000_NS6detail17trampoline_kernelINS0_13select_configILj256ELj13ELNS0_17block_load_methodE3ELS4_3ELS4_3ELNS0_20block_scan_algorithmE0ELj4294967295EEENS1_25partition_config_selectorILNS1_17partition_subalgoE3EjNS0_10empty_typeEbEEZZNS1_14partition_implILS8_3ELb0ES6_jNS0_17counting_iteratorIjlEEPS9_SE_NS0_5tupleIJPjSE_EEENSF_IJSE_SE_EEES9_SG_JZNS1_25segmented_radix_sort_implINS0_14default_configELb0EPKfPfPKlPlN2at6native12_GLOBAL__N_18offset_tEEE10hipError_tPvRmT1_PNSt15iterator_traitsISY_E10value_typeET2_T3_PNSZ_IS14_E10value_typeET4_jRbjT5_S1A_jjP12ihipStream_tbEUljE_EEESV_SW_SX_S14_S18_S1A_T6_T7_T9_mT8_S1C_bDpT10_ENKUlT_T0_E_clISt17integral_constantIbLb1EES1O_IbLb0EEEEDaS1K_S1L_EUlS1K_E_NS1_11comp_targetILNS1_3genE0ELNS1_11target_archE4294967295ELNS1_3gpuE0ELNS1_3repE0EEENS1_30default_config_static_selectorELNS0_4arch9wavefront6targetE1EEEvSY_,comdat
.Lfunc_end1410:
	.size	_ZN7rocprim17ROCPRIM_400000_NS6detail17trampoline_kernelINS0_13select_configILj256ELj13ELNS0_17block_load_methodE3ELS4_3ELS4_3ELNS0_20block_scan_algorithmE0ELj4294967295EEENS1_25partition_config_selectorILNS1_17partition_subalgoE3EjNS0_10empty_typeEbEEZZNS1_14partition_implILS8_3ELb0ES6_jNS0_17counting_iteratorIjlEEPS9_SE_NS0_5tupleIJPjSE_EEENSF_IJSE_SE_EEES9_SG_JZNS1_25segmented_radix_sort_implINS0_14default_configELb0EPKfPfPKlPlN2at6native12_GLOBAL__N_18offset_tEEE10hipError_tPvRmT1_PNSt15iterator_traitsISY_E10value_typeET2_T3_PNSZ_IS14_E10value_typeET4_jRbjT5_S1A_jjP12ihipStream_tbEUljE_EEESV_SW_SX_S14_S18_S1A_T6_T7_T9_mT8_S1C_bDpT10_ENKUlT_T0_E_clISt17integral_constantIbLb1EES1O_IbLb0EEEEDaS1K_S1L_EUlS1K_E_NS1_11comp_targetILNS1_3genE0ELNS1_11target_archE4294967295ELNS1_3gpuE0ELNS1_3repE0EEENS1_30default_config_static_selectorELNS0_4arch9wavefront6targetE1EEEvSY_, .Lfunc_end1410-_ZN7rocprim17ROCPRIM_400000_NS6detail17trampoline_kernelINS0_13select_configILj256ELj13ELNS0_17block_load_methodE3ELS4_3ELS4_3ELNS0_20block_scan_algorithmE0ELj4294967295EEENS1_25partition_config_selectorILNS1_17partition_subalgoE3EjNS0_10empty_typeEbEEZZNS1_14partition_implILS8_3ELb0ES6_jNS0_17counting_iteratorIjlEEPS9_SE_NS0_5tupleIJPjSE_EEENSF_IJSE_SE_EEES9_SG_JZNS1_25segmented_radix_sort_implINS0_14default_configELb0EPKfPfPKlPlN2at6native12_GLOBAL__N_18offset_tEEE10hipError_tPvRmT1_PNSt15iterator_traitsISY_E10value_typeET2_T3_PNSZ_IS14_E10value_typeET4_jRbjT5_S1A_jjP12ihipStream_tbEUljE_EEESV_SW_SX_S14_S18_S1A_T6_T7_T9_mT8_S1C_bDpT10_ENKUlT_T0_E_clISt17integral_constantIbLb1EES1O_IbLb0EEEEDaS1K_S1L_EUlS1K_E_NS1_11comp_targetILNS1_3genE0ELNS1_11target_archE4294967295ELNS1_3gpuE0ELNS1_3repE0EEENS1_30default_config_static_selectorELNS0_4arch9wavefront6targetE1EEEvSY_
                                        ; -- End function
	.section	.AMDGPU.csdata,"",@progbits
; Kernel info:
; codeLenInByte = 0
; NumSgprs: 4
; NumVgprs: 0
; NumAgprs: 0
; TotalNumVgprs: 0
; ScratchSize: 0
; MemoryBound: 0
; FloatMode: 240
; IeeeMode: 1
; LDSByteSize: 0 bytes/workgroup (compile time only)
; SGPRBlocks: 0
; VGPRBlocks: 0
; NumSGPRsForWavesPerEU: 4
; NumVGPRsForWavesPerEU: 1
; AccumOffset: 4
; Occupancy: 8
; WaveLimiterHint : 0
; COMPUTE_PGM_RSRC2:SCRATCH_EN: 0
; COMPUTE_PGM_RSRC2:USER_SGPR: 6
; COMPUTE_PGM_RSRC2:TRAP_HANDLER: 0
; COMPUTE_PGM_RSRC2:TGID_X_EN: 1
; COMPUTE_PGM_RSRC2:TGID_Y_EN: 0
; COMPUTE_PGM_RSRC2:TGID_Z_EN: 0
; COMPUTE_PGM_RSRC2:TIDIG_COMP_CNT: 0
; COMPUTE_PGM_RSRC3_GFX90A:ACCUM_OFFSET: 0
; COMPUTE_PGM_RSRC3_GFX90A:TG_SPLIT: 0
	.section	.text._ZN7rocprim17ROCPRIM_400000_NS6detail17trampoline_kernelINS0_13select_configILj256ELj13ELNS0_17block_load_methodE3ELS4_3ELS4_3ELNS0_20block_scan_algorithmE0ELj4294967295EEENS1_25partition_config_selectorILNS1_17partition_subalgoE3EjNS0_10empty_typeEbEEZZNS1_14partition_implILS8_3ELb0ES6_jNS0_17counting_iteratorIjlEEPS9_SE_NS0_5tupleIJPjSE_EEENSF_IJSE_SE_EEES9_SG_JZNS1_25segmented_radix_sort_implINS0_14default_configELb0EPKfPfPKlPlN2at6native12_GLOBAL__N_18offset_tEEE10hipError_tPvRmT1_PNSt15iterator_traitsISY_E10value_typeET2_T3_PNSZ_IS14_E10value_typeET4_jRbjT5_S1A_jjP12ihipStream_tbEUljE_EEESV_SW_SX_S14_S18_S1A_T6_T7_T9_mT8_S1C_bDpT10_ENKUlT_T0_E_clISt17integral_constantIbLb1EES1O_IbLb0EEEEDaS1K_S1L_EUlS1K_E_NS1_11comp_targetILNS1_3genE5ELNS1_11target_archE942ELNS1_3gpuE9ELNS1_3repE0EEENS1_30default_config_static_selectorELNS0_4arch9wavefront6targetE1EEEvSY_,"axG",@progbits,_ZN7rocprim17ROCPRIM_400000_NS6detail17trampoline_kernelINS0_13select_configILj256ELj13ELNS0_17block_load_methodE3ELS4_3ELS4_3ELNS0_20block_scan_algorithmE0ELj4294967295EEENS1_25partition_config_selectorILNS1_17partition_subalgoE3EjNS0_10empty_typeEbEEZZNS1_14partition_implILS8_3ELb0ES6_jNS0_17counting_iteratorIjlEEPS9_SE_NS0_5tupleIJPjSE_EEENSF_IJSE_SE_EEES9_SG_JZNS1_25segmented_radix_sort_implINS0_14default_configELb0EPKfPfPKlPlN2at6native12_GLOBAL__N_18offset_tEEE10hipError_tPvRmT1_PNSt15iterator_traitsISY_E10value_typeET2_T3_PNSZ_IS14_E10value_typeET4_jRbjT5_S1A_jjP12ihipStream_tbEUljE_EEESV_SW_SX_S14_S18_S1A_T6_T7_T9_mT8_S1C_bDpT10_ENKUlT_T0_E_clISt17integral_constantIbLb1EES1O_IbLb0EEEEDaS1K_S1L_EUlS1K_E_NS1_11comp_targetILNS1_3genE5ELNS1_11target_archE942ELNS1_3gpuE9ELNS1_3repE0EEENS1_30default_config_static_selectorELNS0_4arch9wavefront6targetE1EEEvSY_,comdat
	.globl	_ZN7rocprim17ROCPRIM_400000_NS6detail17trampoline_kernelINS0_13select_configILj256ELj13ELNS0_17block_load_methodE3ELS4_3ELS4_3ELNS0_20block_scan_algorithmE0ELj4294967295EEENS1_25partition_config_selectorILNS1_17partition_subalgoE3EjNS0_10empty_typeEbEEZZNS1_14partition_implILS8_3ELb0ES6_jNS0_17counting_iteratorIjlEEPS9_SE_NS0_5tupleIJPjSE_EEENSF_IJSE_SE_EEES9_SG_JZNS1_25segmented_radix_sort_implINS0_14default_configELb0EPKfPfPKlPlN2at6native12_GLOBAL__N_18offset_tEEE10hipError_tPvRmT1_PNSt15iterator_traitsISY_E10value_typeET2_T3_PNSZ_IS14_E10value_typeET4_jRbjT5_S1A_jjP12ihipStream_tbEUljE_EEESV_SW_SX_S14_S18_S1A_T6_T7_T9_mT8_S1C_bDpT10_ENKUlT_T0_E_clISt17integral_constantIbLb1EES1O_IbLb0EEEEDaS1K_S1L_EUlS1K_E_NS1_11comp_targetILNS1_3genE5ELNS1_11target_archE942ELNS1_3gpuE9ELNS1_3repE0EEENS1_30default_config_static_selectorELNS0_4arch9wavefront6targetE1EEEvSY_ ; -- Begin function _ZN7rocprim17ROCPRIM_400000_NS6detail17trampoline_kernelINS0_13select_configILj256ELj13ELNS0_17block_load_methodE3ELS4_3ELS4_3ELNS0_20block_scan_algorithmE0ELj4294967295EEENS1_25partition_config_selectorILNS1_17partition_subalgoE3EjNS0_10empty_typeEbEEZZNS1_14partition_implILS8_3ELb0ES6_jNS0_17counting_iteratorIjlEEPS9_SE_NS0_5tupleIJPjSE_EEENSF_IJSE_SE_EEES9_SG_JZNS1_25segmented_radix_sort_implINS0_14default_configELb0EPKfPfPKlPlN2at6native12_GLOBAL__N_18offset_tEEE10hipError_tPvRmT1_PNSt15iterator_traitsISY_E10value_typeET2_T3_PNSZ_IS14_E10value_typeET4_jRbjT5_S1A_jjP12ihipStream_tbEUljE_EEESV_SW_SX_S14_S18_S1A_T6_T7_T9_mT8_S1C_bDpT10_ENKUlT_T0_E_clISt17integral_constantIbLb1EES1O_IbLb0EEEEDaS1K_S1L_EUlS1K_E_NS1_11comp_targetILNS1_3genE5ELNS1_11target_archE942ELNS1_3gpuE9ELNS1_3repE0EEENS1_30default_config_static_selectorELNS0_4arch9wavefront6targetE1EEEvSY_
	.p2align	8
	.type	_ZN7rocprim17ROCPRIM_400000_NS6detail17trampoline_kernelINS0_13select_configILj256ELj13ELNS0_17block_load_methodE3ELS4_3ELS4_3ELNS0_20block_scan_algorithmE0ELj4294967295EEENS1_25partition_config_selectorILNS1_17partition_subalgoE3EjNS0_10empty_typeEbEEZZNS1_14partition_implILS8_3ELb0ES6_jNS0_17counting_iteratorIjlEEPS9_SE_NS0_5tupleIJPjSE_EEENSF_IJSE_SE_EEES9_SG_JZNS1_25segmented_radix_sort_implINS0_14default_configELb0EPKfPfPKlPlN2at6native12_GLOBAL__N_18offset_tEEE10hipError_tPvRmT1_PNSt15iterator_traitsISY_E10value_typeET2_T3_PNSZ_IS14_E10value_typeET4_jRbjT5_S1A_jjP12ihipStream_tbEUljE_EEESV_SW_SX_S14_S18_S1A_T6_T7_T9_mT8_S1C_bDpT10_ENKUlT_T0_E_clISt17integral_constantIbLb1EES1O_IbLb0EEEEDaS1K_S1L_EUlS1K_E_NS1_11comp_targetILNS1_3genE5ELNS1_11target_archE942ELNS1_3gpuE9ELNS1_3repE0EEENS1_30default_config_static_selectorELNS0_4arch9wavefront6targetE1EEEvSY_,@function
_ZN7rocprim17ROCPRIM_400000_NS6detail17trampoline_kernelINS0_13select_configILj256ELj13ELNS0_17block_load_methodE3ELS4_3ELS4_3ELNS0_20block_scan_algorithmE0ELj4294967295EEENS1_25partition_config_selectorILNS1_17partition_subalgoE3EjNS0_10empty_typeEbEEZZNS1_14partition_implILS8_3ELb0ES6_jNS0_17counting_iteratorIjlEEPS9_SE_NS0_5tupleIJPjSE_EEENSF_IJSE_SE_EEES9_SG_JZNS1_25segmented_radix_sort_implINS0_14default_configELb0EPKfPfPKlPlN2at6native12_GLOBAL__N_18offset_tEEE10hipError_tPvRmT1_PNSt15iterator_traitsISY_E10value_typeET2_T3_PNSZ_IS14_E10value_typeET4_jRbjT5_S1A_jjP12ihipStream_tbEUljE_EEESV_SW_SX_S14_S18_S1A_T6_T7_T9_mT8_S1C_bDpT10_ENKUlT_T0_E_clISt17integral_constantIbLb1EES1O_IbLb0EEEEDaS1K_S1L_EUlS1K_E_NS1_11comp_targetILNS1_3genE5ELNS1_11target_archE942ELNS1_3gpuE9ELNS1_3repE0EEENS1_30default_config_static_selectorELNS0_4arch9wavefront6targetE1EEEvSY_: ; @_ZN7rocprim17ROCPRIM_400000_NS6detail17trampoline_kernelINS0_13select_configILj256ELj13ELNS0_17block_load_methodE3ELS4_3ELS4_3ELNS0_20block_scan_algorithmE0ELj4294967295EEENS1_25partition_config_selectorILNS1_17partition_subalgoE3EjNS0_10empty_typeEbEEZZNS1_14partition_implILS8_3ELb0ES6_jNS0_17counting_iteratorIjlEEPS9_SE_NS0_5tupleIJPjSE_EEENSF_IJSE_SE_EEES9_SG_JZNS1_25segmented_radix_sort_implINS0_14default_configELb0EPKfPfPKlPlN2at6native12_GLOBAL__N_18offset_tEEE10hipError_tPvRmT1_PNSt15iterator_traitsISY_E10value_typeET2_T3_PNSZ_IS14_E10value_typeET4_jRbjT5_S1A_jjP12ihipStream_tbEUljE_EEESV_SW_SX_S14_S18_S1A_T6_T7_T9_mT8_S1C_bDpT10_ENKUlT_T0_E_clISt17integral_constantIbLb1EES1O_IbLb0EEEEDaS1K_S1L_EUlS1K_E_NS1_11comp_targetILNS1_3genE5ELNS1_11target_archE942ELNS1_3gpuE9ELNS1_3repE0EEENS1_30default_config_static_selectorELNS0_4arch9wavefront6targetE1EEEvSY_
; %bb.0:
	.section	.rodata,"a",@progbits
	.p2align	6, 0x0
	.amdhsa_kernel _ZN7rocprim17ROCPRIM_400000_NS6detail17trampoline_kernelINS0_13select_configILj256ELj13ELNS0_17block_load_methodE3ELS4_3ELS4_3ELNS0_20block_scan_algorithmE0ELj4294967295EEENS1_25partition_config_selectorILNS1_17partition_subalgoE3EjNS0_10empty_typeEbEEZZNS1_14partition_implILS8_3ELb0ES6_jNS0_17counting_iteratorIjlEEPS9_SE_NS0_5tupleIJPjSE_EEENSF_IJSE_SE_EEES9_SG_JZNS1_25segmented_radix_sort_implINS0_14default_configELb0EPKfPfPKlPlN2at6native12_GLOBAL__N_18offset_tEEE10hipError_tPvRmT1_PNSt15iterator_traitsISY_E10value_typeET2_T3_PNSZ_IS14_E10value_typeET4_jRbjT5_S1A_jjP12ihipStream_tbEUljE_EEESV_SW_SX_S14_S18_S1A_T6_T7_T9_mT8_S1C_bDpT10_ENKUlT_T0_E_clISt17integral_constantIbLb1EES1O_IbLb0EEEEDaS1K_S1L_EUlS1K_E_NS1_11comp_targetILNS1_3genE5ELNS1_11target_archE942ELNS1_3gpuE9ELNS1_3repE0EEENS1_30default_config_static_selectorELNS0_4arch9wavefront6targetE1EEEvSY_
		.amdhsa_group_segment_fixed_size 0
		.amdhsa_private_segment_fixed_size 0
		.amdhsa_kernarg_size 144
		.amdhsa_user_sgpr_count 6
		.amdhsa_user_sgpr_private_segment_buffer 1
		.amdhsa_user_sgpr_dispatch_ptr 0
		.amdhsa_user_sgpr_queue_ptr 0
		.amdhsa_user_sgpr_kernarg_segment_ptr 1
		.amdhsa_user_sgpr_dispatch_id 0
		.amdhsa_user_sgpr_flat_scratch_init 0
		.amdhsa_user_sgpr_kernarg_preload_length 0
		.amdhsa_user_sgpr_kernarg_preload_offset 0
		.amdhsa_user_sgpr_private_segment_size 0
		.amdhsa_uses_dynamic_stack 0
		.amdhsa_system_sgpr_private_segment_wavefront_offset 0
		.amdhsa_system_sgpr_workgroup_id_x 1
		.amdhsa_system_sgpr_workgroup_id_y 0
		.amdhsa_system_sgpr_workgroup_id_z 0
		.amdhsa_system_sgpr_workgroup_info 0
		.amdhsa_system_vgpr_workitem_id 0
		.amdhsa_next_free_vgpr 1
		.amdhsa_next_free_sgpr 0
		.amdhsa_accum_offset 4
		.amdhsa_reserve_vcc 0
		.amdhsa_reserve_flat_scratch 0
		.amdhsa_float_round_mode_32 0
		.amdhsa_float_round_mode_16_64 0
		.amdhsa_float_denorm_mode_32 3
		.amdhsa_float_denorm_mode_16_64 3
		.amdhsa_dx10_clamp 1
		.amdhsa_ieee_mode 1
		.amdhsa_fp16_overflow 0
		.amdhsa_tg_split 0
		.amdhsa_exception_fp_ieee_invalid_op 0
		.amdhsa_exception_fp_denorm_src 0
		.amdhsa_exception_fp_ieee_div_zero 0
		.amdhsa_exception_fp_ieee_overflow 0
		.amdhsa_exception_fp_ieee_underflow 0
		.amdhsa_exception_fp_ieee_inexact 0
		.amdhsa_exception_int_div_zero 0
	.end_amdhsa_kernel
	.section	.text._ZN7rocprim17ROCPRIM_400000_NS6detail17trampoline_kernelINS0_13select_configILj256ELj13ELNS0_17block_load_methodE3ELS4_3ELS4_3ELNS0_20block_scan_algorithmE0ELj4294967295EEENS1_25partition_config_selectorILNS1_17partition_subalgoE3EjNS0_10empty_typeEbEEZZNS1_14partition_implILS8_3ELb0ES6_jNS0_17counting_iteratorIjlEEPS9_SE_NS0_5tupleIJPjSE_EEENSF_IJSE_SE_EEES9_SG_JZNS1_25segmented_radix_sort_implINS0_14default_configELb0EPKfPfPKlPlN2at6native12_GLOBAL__N_18offset_tEEE10hipError_tPvRmT1_PNSt15iterator_traitsISY_E10value_typeET2_T3_PNSZ_IS14_E10value_typeET4_jRbjT5_S1A_jjP12ihipStream_tbEUljE_EEESV_SW_SX_S14_S18_S1A_T6_T7_T9_mT8_S1C_bDpT10_ENKUlT_T0_E_clISt17integral_constantIbLb1EES1O_IbLb0EEEEDaS1K_S1L_EUlS1K_E_NS1_11comp_targetILNS1_3genE5ELNS1_11target_archE942ELNS1_3gpuE9ELNS1_3repE0EEENS1_30default_config_static_selectorELNS0_4arch9wavefront6targetE1EEEvSY_,"axG",@progbits,_ZN7rocprim17ROCPRIM_400000_NS6detail17trampoline_kernelINS0_13select_configILj256ELj13ELNS0_17block_load_methodE3ELS4_3ELS4_3ELNS0_20block_scan_algorithmE0ELj4294967295EEENS1_25partition_config_selectorILNS1_17partition_subalgoE3EjNS0_10empty_typeEbEEZZNS1_14partition_implILS8_3ELb0ES6_jNS0_17counting_iteratorIjlEEPS9_SE_NS0_5tupleIJPjSE_EEENSF_IJSE_SE_EEES9_SG_JZNS1_25segmented_radix_sort_implINS0_14default_configELb0EPKfPfPKlPlN2at6native12_GLOBAL__N_18offset_tEEE10hipError_tPvRmT1_PNSt15iterator_traitsISY_E10value_typeET2_T3_PNSZ_IS14_E10value_typeET4_jRbjT5_S1A_jjP12ihipStream_tbEUljE_EEESV_SW_SX_S14_S18_S1A_T6_T7_T9_mT8_S1C_bDpT10_ENKUlT_T0_E_clISt17integral_constantIbLb1EES1O_IbLb0EEEEDaS1K_S1L_EUlS1K_E_NS1_11comp_targetILNS1_3genE5ELNS1_11target_archE942ELNS1_3gpuE9ELNS1_3repE0EEENS1_30default_config_static_selectorELNS0_4arch9wavefront6targetE1EEEvSY_,comdat
.Lfunc_end1411:
	.size	_ZN7rocprim17ROCPRIM_400000_NS6detail17trampoline_kernelINS0_13select_configILj256ELj13ELNS0_17block_load_methodE3ELS4_3ELS4_3ELNS0_20block_scan_algorithmE0ELj4294967295EEENS1_25partition_config_selectorILNS1_17partition_subalgoE3EjNS0_10empty_typeEbEEZZNS1_14partition_implILS8_3ELb0ES6_jNS0_17counting_iteratorIjlEEPS9_SE_NS0_5tupleIJPjSE_EEENSF_IJSE_SE_EEES9_SG_JZNS1_25segmented_radix_sort_implINS0_14default_configELb0EPKfPfPKlPlN2at6native12_GLOBAL__N_18offset_tEEE10hipError_tPvRmT1_PNSt15iterator_traitsISY_E10value_typeET2_T3_PNSZ_IS14_E10value_typeET4_jRbjT5_S1A_jjP12ihipStream_tbEUljE_EEESV_SW_SX_S14_S18_S1A_T6_T7_T9_mT8_S1C_bDpT10_ENKUlT_T0_E_clISt17integral_constantIbLb1EES1O_IbLb0EEEEDaS1K_S1L_EUlS1K_E_NS1_11comp_targetILNS1_3genE5ELNS1_11target_archE942ELNS1_3gpuE9ELNS1_3repE0EEENS1_30default_config_static_selectorELNS0_4arch9wavefront6targetE1EEEvSY_, .Lfunc_end1411-_ZN7rocprim17ROCPRIM_400000_NS6detail17trampoline_kernelINS0_13select_configILj256ELj13ELNS0_17block_load_methodE3ELS4_3ELS4_3ELNS0_20block_scan_algorithmE0ELj4294967295EEENS1_25partition_config_selectorILNS1_17partition_subalgoE3EjNS0_10empty_typeEbEEZZNS1_14partition_implILS8_3ELb0ES6_jNS0_17counting_iteratorIjlEEPS9_SE_NS0_5tupleIJPjSE_EEENSF_IJSE_SE_EEES9_SG_JZNS1_25segmented_radix_sort_implINS0_14default_configELb0EPKfPfPKlPlN2at6native12_GLOBAL__N_18offset_tEEE10hipError_tPvRmT1_PNSt15iterator_traitsISY_E10value_typeET2_T3_PNSZ_IS14_E10value_typeET4_jRbjT5_S1A_jjP12ihipStream_tbEUljE_EEESV_SW_SX_S14_S18_S1A_T6_T7_T9_mT8_S1C_bDpT10_ENKUlT_T0_E_clISt17integral_constantIbLb1EES1O_IbLb0EEEEDaS1K_S1L_EUlS1K_E_NS1_11comp_targetILNS1_3genE5ELNS1_11target_archE942ELNS1_3gpuE9ELNS1_3repE0EEENS1_30default_config_static_selectorELNS0_4arch9wavefront6targetE1EEEvSY_
                                        ; -- End function
	.section	.AMDGPU.csdata,"",@progbits
; Kernel info:
; codeLenInByte = 0
; NumSgprs: 4
; NumVgprs: 0
; NumAgprs: 0
; TotalNumVgprs: 0
; ScratchSize: 0
; MemoryBound: 0
; FloatMode: 240
; IeeeMode: 1
; LDSByteSize: 0 bytes/workgroup (compile time only)
; SGPRBlocks: 0
; VGPRBlocks: 0
; NumSGPRsForWavesPerEU: 4
; NumVGPRsForWavesPerEU: 1
; AccumOffset: 4
; Occupancy: 8
; WaveLimiterHint : 0
; COMPUTE_PGM_RSRC2:SCRATCH_EN: 0
; COMPUTE_PGM_RSRC2:USER_SGPR: 6
; COMPUTE_PGM_RSRC2:TRAP_HANDLER: 0
; COMPUTE_PGM_RSRC2:TGID_X_EN: 1
; COMPUTE_PGM_RSRC2:TGID_Y_EN: 0
; COMPUTE_PGM_RSRC2:TGID_Z_EN: 0
; COMPUTE_PGM_RSRC2:TIDIG_COMP_CNT: 0
; COMPUTE_PGM_RSRC3_GFX90A:ACCUM_OFFSET: 0
; COMPUTE_PGM_RSRC3_GFX90A:TG_SPLIT: 0
	.section	.text._ZN7rocprim17ROCPRIM_400000_NS6detail17trampoline_kernelINS0_13select_configILj256ELj13ELNS0_17block_load_methodE3ELS4_3ELS4_3ELNS0_20block_scan_algorithmE0ELj4294967295EEENS1_25partition_config_selectorILNS1_17partition_subalgoE3EjNS0_10empty_typeEbEEZZNS1_14partition_implILS8_3ELb0ES6_jNS0_17counting_iteratorIjlEEPS9_SE_NS0_5tupleIJPjSE_EEENSF_IJSE_SE_EEES9_SG_JZNS1_25segmented_radix_sort_implINS0_14default_configELb0EPKfPfPKlPlN2at6native12_GLOBAL__N_18offset_tEEE10hipError_tPvRmT1_PNSt15iterator_traitsISY_E10value_typeET2_T3_PNSZ_IS14_E10value_typeET4_jRbjT5_S1A_jjP12ihipStream_tbEUljE_EEESV_SW_SX_S14_S18_S1A_T6_T7_T9_mT8_S1C_bDpT10_ENKUlT_T0_E_clISt17integral_constantIbLb1EES1O_IbLb0EEEEDaS1K_S1L_EUlS1K_E_NS1_11comp_targetILNS1_3genE4ELNS1_11target_archE910ELNS1_3gpuE8ELNS1_3repE0EEENS1_30default_config_static_selectorELNS0_4arch9wavefront6targetE1EEEvSY_,"axG",@progbits,_ZN7rocprim17ROCPRIM_400000_NS6detail17trampoline_kernelINS0_13select_configILj256ELj13ELNS0_17block_load_methodE3ELS4_3ELS4_3ELNS0_20block_scan_algorithmE0ELj4294967295EEENS1_25partition_config_selectorILNS1_17partition_subalgoE3EjNS0_10empty_typeEbEEZZNS1_14partition_implILS8_3ELb0ES6_jNS0_17counting_iteratorIjlEEPS9_SE_NS0_5tupleIJPjSE_EEENSF_IJSE_SE_EEES9_SG_JZNS1_25segmented_radix_sort_implINS0_14default_configELb0EPKfPfPKlPlN2at6native12_GLOBAL__N_18offset_tEEE10hipError_tPvRmT1_PNSt15iterator_traitsISY_E10value_typeET2_T3_PNSZ_IS14_E10value_typeET4_jRbjT5_S1A_jjP12ihipStream_tbEUljE_EEESV_SW_SX_S14_S18_S1A_T6_T7_T9_mT8_S1C_bDpT10_ENKUlT_T0_E_clISt17integral_constantIbLb1EES1O_IbLb0EEEEDaS1K_S1L_EUlS1K_E_NS1_11comp_targetILNS1_3genE4ELNS1_11target_archE910ELNS1_3gpuE8ELNS1_3repE0EEENS1_30default_config_static_selectorELNS0_4arch9wavefront6targetE1EEEvSY_,comdat
	.globl	_ZN7rocprim17ROCPRIM_400000_NS6detail17trampoline_kernelINS0_13select_configILj256ELj13ELNS0_17block_load_methodE3ELS4_3ELS4_3ELNS0_20block_scan_algorithmE0ELj4294967295EEENS1_25partition_config_selectorILNS1_17partition_subalgoE3EjNS0_10empty_typeEbEEZZNS1_14partition_implILS8_3ELb0ES6_jNS0_17counting_iteratorIjlEEPS9_SE_NS0_5tupleIJPjSE_EEENSF_IJSE_SE_EEES9_SG_JZNS1_25segmented_radix_sort_implINS0_14default_configELb0EPKfPfPKlPlN2at6native12_GLOBAL__N_18offset_tEEE10hipError_tPvRmT1_PNSt15iterator_traitsISY_E10value_typeET2_T3_PNSZ_IS14_E10value_typeET4_jRbjT5_S1A_jjP12ihipStream_tbEUljE_EEESV_SW_SX_S14_S18_S1A_T6_T7_T9_mT8_S1C_bDpT10_ENKUlT_T0_E_clISt17integral_constantIbLb1EES1O_IbLb0EEEEDaS1K_S1L_EUlS1K_E_NS1_11comp_targetILNS1_3genE4ELNS1_11target_archE910ELNS1_3gpuE8ELNS1_3repE0EEENS1_30default_config_static_selectorELNS0_4arch9wavefront6targetE1EEEvSY_ ; -- Begin function _ZN7rocprim17ROCPRIM_400000_NS6detail17trampoline_kernelINS0_13select_configILj256ELj13ELNS0_17block_load_methodE3ELS4_3ELS4_3ELNS0_20block_scan_algorithmE0ELj4294967295EEENS1_25partition_config_selectorILNS1_17partition_subalgoE3EjNS0_10empty_typeEbEEZZNS1_14partition_implILS8_3ELb0ES6_jNS0_17counting_iteratorIjlEEPS9_SE_NS0_5tupleIJPjSE_EEENSF_IJSE_SE_EEES9_SG_JZNS1_25segmented_radix_sort_implINS0_14default_configELb0EPKfPfPKlPlN2at6native12_GLOBAL__N_18offset_tEEE10hipError_tPvRmT1_PNSt15iterator_traitsISY_E10value_typeET2_T3_PNSZ_IS14_E10value_typeET4_jRbjT5_S1A_jjP12ihipStream_tbEUljE_EEESV_SW_SX_S14_S18_S1A_T6_T7_T9_mT8_S1C_bDpT10_ENKUlT_T0_E_clISt17integral_constantIbLb1EES1O_IbLb0EEEEDaS1K_S1L_EUlS1K_E_NS1_11comp_targetILNS1_3genE4ELNS1_11target_archE910ELNS1_3gpuE8ELNS1_3repE0EEENS1_30default_config_static_selectorELNS0_4arch9wavefront6targetE1EEEvSY_
	.p2align	8
	.type	_ZN7rocprim17ROCPRIM_400000_NS6detail17trampoline_kernelINS0_13select_configILj256ELj13ELNS0_17block_load_methodE3ELS4_3ELS4_3ELNS0_20block_scan_algorithmE0ELj4294967295EEENS1_25partition_config_selectorILNS1_17partition_subalgoE3EjNS0_10empty_typeEbEEZZNS1_14partition_implILS8_3ELb0ES6_jNS0_17counting_iteratorIjlEEPS9_SE_NS0_5tupleIJPjSE_EEENSF_IJSE_SE_EEES9_SG_JZNS1_25segmented_radix_sort_implINS0_14default_configELb0EPKfPfPKlPlN2at6native12_GLOBAL__N_18offset_tEEE10hipError_tPvRmT1_PNSt15iterator_traitsISY_E10value_typeET2_T3_PNSZ_IS14_E10value_typeET4_jRbjT5_S1A_jjP12ihipStream_tbEUljE_EEESV_SW_SX_S14_S18_S1A_T6_T7_T9_mT8_S1C_bDpT10_ENKUlT_T0_E_clISt17integral_constantIbLb1EES1O_IbLb0EEEEDaS1K_S1L_EUlS1K_E_NS1_11comp_targetILNS1_3genE4ELNS1_11target_archE910ELNS1_3gpuE8ELNS1_3repE0EEENS1_30default_config_static_selectorELNS0_4arch9wavefront6targetE1EEEvSY_,@function
_ZN7rocprim17ROCPRIM_400000_NS6detail17trampoline_kernelINS0_13select_configILj256ELj13ELNS0_17block_load_methodE3ELS4_3ELS4_3ELNS0_20block_scan_algorithmE0ELj4294967295EEENS1_25partition_config_selectorILNS1_17partition_subalgoE3EjNS0_10empty_typeEbEEZZNS1_14partition_implILS8_3ELb0ES6_jNS0_17counting_iteratorIjlEEPS9_SE_NS0_5tupleIJPjSE_EEENSF_IJSE_SE_EEES9_SG_JZNS1_25segmented_radix_sort_implINS0_14default_configELb0EPKfPfPKlPlN2at6native12_GLOBAL__N_18offset_tEEE10hipError_tPvRmT1_PNSt15iterator_traitsISY_E10value_typeET2_T3_PNSZ_IS14_E10value_typeET4_jRbjT5_S1A_jjP12ihipStream_tbEUljE_EEESV_SW_SX_S14_S18_S1A_T6_T7_T9_mT8_S1C_bDpT10_ENKUlT_T0_E_clISt17integral_constantIbLb1EES1O_IbLb0EEEEDaS1K_S1L_EUlS1K_E_NS1_11comp_targetILNS1_3genE4ELNS1_11target_archE910ELNS1_3gpuE8ELNS1_3repE0EEENS1_30default_config_static_selectorELNS0_4arch9wavefront6targetE1EEEvSY_: ; @_ZN7rocprim17ROCPRIM_400000_NS6detail17trampoline_kernelINS0_13select_configILj256ELj13ELNS0_17block_load_methodE3ELS4_3ELS4_3ELNS0_20block_scan_algorithmE0ELj4294967295EEENS1_25partition_config_selectorILNS1_17partition_subalgoE3EjNS0_10empty_typeEbEEZZNS1_14partition_implILS8_3ELb0ES6_jNS0_17counting_iteratorIjlEEPS9_SE_NS0_5tupleIJPjSE_EEENSF_IJSE_SE_EEES9_SG_JZNS1_25segmented_radix_sort_implINS0_14default_configELb0EPKfPfPKlPlN2at6native12_GLOBAL__N_18offset_tEEE10hipError_tPvRmT1_PNSt15iterator_traitsISY_E10value_typeET2_T3_PNSZ_IS14_E10value_typeET4_jRbjT5_S1A_jjP12ihipStream_tbEUljE_EEESV_SW_SX_S14_S18_S1A_T6_T7_T9_mT8_S1C_bDpT10_ENKUlT_T0_E_clISt17integral_constantIbLb1EES1O_IbLb0EEEEDaS1K_S1L_EUlS1K_E_NS1_11comp_targetILNS1_3genE4ELNS1_11target_archE910ELNS1_3gpuE8ELNS1_3repE0EEENS1_30default_config_static_selectorELNS0_4arch9wavefront6targetE1EEEvSY_
; %bb.0:
	s_load_dwordx2 s[26:27], s[4:5], 0x58
	s_load_dwordx4 s[20:23], s[4:5], 0x48
	s_load_dword s13, s[4:5], 0x8
	s_load_dwordx2 s[28:29], s[4:5], 0x10
	s_load_dword s12, s[4:5], 0x70
	s_load_dword s7, s[4:5], 0x88
	s_load_dwordx4 s[8:11], s[4:5], 0x78
	s_waitcnt lgkmcnt(0)
	s_load_dwordx2 s[30:31], s[22:23], 0x0
	v_pk_mov_b32 v[2:3], s[26:27], s[26:27] op_sel:[0,1]
	s_add_i32 s2, s12, -1
	s_mulk_i32 s12, 0xd00
	s_add_u32 s0, s28, s12
	s_addc_u32 s1, s29, 0
	s_cmp_eq_u32 s6, s2
	s_cselect_b64 s[22:23], -1, 0
	s_cmp_lg_u32 s6, s2
	s_mul_i32 s42, s6, 0xd00
	v_cmp_lt_u64_e32 vcc, s[0:1], v[2:3]
	s_cselect_b64 s[0:1], -1, 0
	s_or_b64 s[2:3], s[0:1], vcc
	s_add_i32 s0, s13, s42
	s_add_i32 s0, s0, s28
	v_add_u32_e32 v2, s0, v0
	s_mov_b64 s[0:1], -1
	s_and_b64 vcc, exec, s[2:3]
	v_lshlrev_b32_e32 v1, 2, v0
	s_cbranch_vccz .LBB1412_2
; %bb.1:
	v_add_u32_e32 v3, 0x100, v2
	v_add_u32_e32 v4, 0x200, v2
	;; [unrolled: 1-line block ×12, first 2 shown]
	ds_write2st64_b32 v1, v2, v3 offset1:4
	ds_write2st64_b32 v1, v4, v5 offset0:8 offset1:12
	ds_write2st64_b32 v1, v6, v7 offset0:16 offset1:20
	;; [unrolled: 1-line block ×5, first 2 shown]
	ds_write_b32 v1, v14 offset:12288
	s_waitcnt lgkmcnt(0)
	s_barrier
	s_mov_b64 s[0:1], 0
.LBB1412_2:
	s_andn2_b64 vcc, exec, s[0:1]
	s_add_i32 s12, s12, s28
	s_cbranch_vccnz .LBB1412_4
; %bb.3:
	v_add_u32_e32 v3, 0x100, v2
	v_add_u32_e32 v4, 0x200, v2
	v_add_u32_e32 v5, 0x300, v2
	v_add_u32_e32 v6, 0x400, v2
	v_add_u32_e32 v7, 0x500, v2
	v_add_u32_e32 v8, 0x600, v2
	v_add_u32_e32 v9, 0x700, v2
	v_add_u32_e32 v10, 0x800, v2
	v_add_u32_e32 v11, 0x900, v2
	v_add_u32_e32 v12, 0xa00, v2
	v_add_u32_e32 v13, 0xb00, v2
	v_add_u32_e32 v14, 0xc00, v2
	ds_write2st64_b32 v1, v2, v3 offset1:4
	ds_write2st64_b32 v1, v4, v5 offset0:8 offset1:12
	ds_write2st64_b32 v1, v6, v7 offset0:16 offset1:20
	;; [unrolled: 1-line block ×5, first 2 shown]
	ds_write_b32 v1, v14 offset:12288
	s_waitcnt lgkmcnt(0)
	s_barrier
.LBB1412_4:
	v_mul_u32_u24_e32 v33, 13, v0
	v_lshlrev_b32_e32 v2, 2, v33
	s_waitcnt lgkmcnt(0)
	ds_read2_b32 v[30:31], v2 offset1:1
	ds_read2_b32 v[28:29], v2 offset0:2 offset1:3
	ds_read2_b32 v[26:27], v2 offset0:4 offset1:5
	;; [unrolled: 1-line block ×5, first 2 shown]
	ds_read_b32 v32, v2 offset:48
	v_cndmask_b32_e64 v2, 0, 1, s[2:3]
	s_sub_i32 s33, s26, s12
	v_cmp_ne_u32_e64 s[0:1], 1, v2
	s_andn2_b64 vcc, exec, s[2:3]
	s_waitcnt lgkmcnt(0)
	s_barrier
	s_cbranch_vccnz .LBB1412_6
; %bb.5:
	v_add_u32_e32 v2, s9, v30
	v_add_u32_e32 v3, s11, v30
	v_mul_lo_u32 v2, v2, s8
	v_mul_lo_u32 v3, v3, s10
	v_sub_u32_e32 v2, v2, v3
	v_add_u32_e32 v3, s9, v31
	v_add_u32_e32 v4, s11, v31
	v_mul_lo_u32 v3, v3, s8
	v_mul_lo_u32 v4, v4, s10
	v_sub_u32_e32 v3, v3, v4
	;; [unrolled: 5-line block ×6, first 2 shown]
	v_add_u32_e32 v8, s9, v24
	v_add_u32_e32 v9, s11, v24
	v_mul_lo_u32 v8, v8, s8
	v_mul_lo_u32 v9, v9, s10
	v_cmp_lt_u32_e32 vcc, s7, v2
	v_sub_u32_e32 v8, v8, v9
	v_add_u32_e32 v9, s9, v25
	v_add_u32_e32 v10, s11, v25
	v_cndmask_b32_e64 v2, 0, 1, vcc
	v_cmp_lt_u32_e32 vcc, s7, v3
	v_mul_lo_u32 v9, v9, s8
	v_mul_lo_u32 v10, v10, s10
	v_cndmask_b32_e64 v3, 0, 1, vcc
	v_cmp_lt_u32_e32 vcc, s7, v4
	v_sub_u32_e32 v9, v9, v10
	v_add_u32_e32 v10, s9, v22
	v_add_u32_e32 v11, s11, v22
	v_cndmask_b32_e64 v4, 0, 1, vcc
	v_cmp_lt_u32_e32 vcc, s7, v5
	v_mul_lo_u32 v10, v10, s8
	v_mul_lo_u32 v11, v11, s10
	v_cndmask_b32_e64 v5, 0, 1, vcc
	;; [unrolled: 9-line block ×4, first 2 shown]
	v_cmp_lt_u32_e32 vcc, s7, v10
	v_sub_u32_e32 v12, v12, v13
	v_add_u32_e32 v13, s9, v21
	v_add_u32_e32 v14, s11, v21
	v_lshlrev_b16_e32 v3, 8, v3
	v_cndmask_b32_e64 v10, 0, 1, vcc
	v_cmp_lt_u32_e32 vcc, s7, v11
	v_mul_lo_u32 v13, v13, s8
	v_mul_lo_u32 v14, v14, s10
	v_or_b32_e32 v2, v2, v3
	v_lshlrev_b16_e32 v3, 8, v5
	v_cndmask_b32_e64 v11, 0, 1, vcc
	v_cmp_lt_u32_e32 vcc, s7, v12
	v_sub_u32_e32 v13, v13, v14
	v_or_b32_sdwa v3, v4, v3 dst_sel:WORD_1 dst_unused:UNUSED_PAD src0_sel:DWORD src1_sel:DWORD
	v_cndmask_b32_e64 v12, 0, 1, vcc
	v_cmp_lt_u32_e32 vcc, s7, v13
	v_add_u32_e32 v14, s9, v32
	v_add_u32_e32 v15, s11, v32
	v_or_b32_sdwa v37, v2, v3 dst_sel:DWORD dst_unused:UNUSED_PAD src0_sel:WORD_0 src1_sel:DWORD
	v_lshlrev_b16_e32 v2, 8, v7
	v_lshlrev_b16_e32 v3, 8, v9
	v_cndmask_b32_e64 v13, 0, 1, vcc
	v_mul_lo_u32 v14, v14, s8
	v_mul_lo_u32 v15, v15, s10
	v_or_b32_e32 v2, v6, v2
	v_or_b32_sdwa v3, v8, v3 dst_sel:WORD_1 dst_unused:UNUSED_PAD src0_sel:DWORD src1_sel:DWORD
	v_sub_u32_e32 v14, v14, v15
	v_or_b32_sdwa v36, v2, v3 dst_sel:DWORD dst_unused:UNUSED_PAD src0_sel:WORD_0 src1_sel:DWORD
	v_lshlrev_b16_e32 v2, 8, v11
	v_lshlrev_b16_e32 v3, 8, v13
	v_cmp_lt_u32_e32 vcc, s7, v14
	v_or_b32_e32 v2, v10, v2
	v_or_b32_sdwa v3, v12, v3 dst_sel:WORD_1 dst_unused:UNUSED_PAD src0_sel:DWORD src1_sel:DWORD
	v_cndmask_b32_e64 v34, 0, 1, vcc
	v_or_b32_sdwa v35, v2, v3 dst_sel:DWORD dst_unused:UNUSED_PAD src0_sel:WORD_0 src1_sel:DWORD
	s_mov_b64 s[2:3], 0
	s_branch .LBB1412_7
.LBB1412_6:
	s_mov_b64 s[2:3], -1
                                        ; implicit-def: $vgpr34
                                        ; implicit-def: $vgpr35
                                        ; implicit-def: $vgpr36
                                        ; implicit-def: $vgpr37
.LBB1412_7:
	s_load_dwordx2 s[24:25], s[4:5], 0x28
	s_load_dwordx2 s[34:35], s[4:5], 0x68
	s_andn2_b64 vcc, exec, s[2:3]
	s_addk_i32 s33, 0xd00
	s_cbranch_vccnz .LBB1412_35
; %bb.8:
	v_cmp_gt_u32_e32 vcc, s33, v33
	v_mov_b32_e32 v3, 0
	v_mov_b32_e32 v2, 0
	s_and_saveexec_b64 s[2:3], vcc
; %bb.9:
	v_add_u32_e32 v2, s9, v30
	v_add_u32_e32 v4, s11, v30
	v_mul_lo_u32 v2, v2, s8
	v_mul_lo_u32 v4, v4, s10
	v_sub_u32_e32 v2, v2, v4
	v_cmp_lt_u32_e32 vcc, s7, v2
	v_cndmask_b32_e64 v2, 0, 1, vcc
; %bb.10:
	s_or_b64 exec, exec, s[2:3]
	v_add_u32_e32 v4, 1, v33
	v_cmp_gt_u32_e32 vcc, s33, v4
	s_and_saveexec_b64 s[2:3], vcc
; %bb.11:
	v_add_u32_e32 v3, s9, v31
	v_add_u32_e32 v4, s11, v31
	v_mul_lo_u32 v3, v3, s8
	v_mul_lo_u32 v4, v4, s10
	v_sub_u32_e32 v3, v3, v4
	v_cmp_lt_u32_e32 vcc, s7, v3
	v_cndmask_b32_e64 v3, 0, 1, vcc
; %bb.12:
	s_or_b64 exec, exec, s[2:3]
	v_add_u32_e32 v4, 2, v33
	v_cmp_gt_u32_e32 vcc, s33, v4
	v_mov_b32_e32 v5, 0
	v_mov_b32_e32 v4, 0
	s_and_saveexec_b64 s[2:3], vcc
; %bb.13:
	v_add_u32_e32 v4, s9, v28
	v_add_u32_e32 v6, s11, v28
	v_mul_lo_u32 v4, v4, s8
	v_mul_lo_u32 v6, v6, s10
	v_sub_u32_e32 v4, v4, v6
	v_cmp_lt_u32_e32 vcc, s7, v4
	v_cndmask_b32_e64 v4, 0, 1, vcc
; %bb.14:
	s_or_b64 exec, exec, s[2:3]
	v_add_u32_e32 v6, 3, v33
	v_cmp_gt_u32_e32 vcc, s33, v6
	s_and_saveexec_b64 s[2:3], vcc
; %bb.15:
	v_add_u32_e32 v5, s9, v29
	v_add_u32_e32 v6, s11, v29
	v_mul_lo_u32 v5, v5, s8
	v_mul_lo_u32 v6, v6, s10
	v_sub_u32_e32 v5, v5, v6
	v_cmp_lt_u32_e32 vcc, s7, v5
	v_cndmask_b32_e64 v5, 0, 1, vcc
; %bb.16:
	s_or_b64 exec, exec, s[2:3]
	v_add_u32_e32 v6, 4, v33
	;; [unrolled: 28-line block ×6, first 2 shown]
	v_cmp_gt_u32_e32 vcc, s33, v14
	v_mov_b32_e32 v34, 0
	s_and_saveexec_b64 s[2:3], vcc
; %bb.33:
	v_add_u32_e32 v14, s9, v32
	v_add_u32_e32 v15, s11, v32
	v_mul_lo_u32 v14, v14, s8
	v_mul_lo_u32 v15, v15, s10
	v_sub_u32_e32 v14, v14, v15
	v_cmp_lt_u32_e32 vcc, s7, v14
	v_cndmask_b32_e64 v34, 0, 1, vcc
; %bb.34:
	s_or_b64 exec, exec, s[2:3]
	v_lshlrev_b16_e32 v3, 8, v3
	v_or_b32_e32 v2, v2, v3
	v_lshlrev_b16_e32 v3, 8, v5
	v_or_b32_sdwa v3, v4, v3 dst_sel:WORD_1 dst_unused:UNUSED_PAD src0_sel:DWORD src1_sel:DWORD
	v_or_b32_sdwa v37, v2, v3 dst_sel:DWORD dst_unused:UNUSED_PAD src0_sel:WORD_0 src1_sel:DWORD
	v_lshlrev_b16_e32 v2, 8, v7
	v_lshlrev_b16_e32 v3, 8, v9
	v_or_b32_e32 v2, v6, v2
	v_or_b32_sdwa v3, v8, v3 dst_sel:WORD_1 dst_unused:UNUSED_PAD src0_sel:DWORD src1_sel:DWORD
	v_or_b32_sdwa v36, v2, v3 dst_sel:DWORD dst_unused:UNUSED_PAD src0_sel:WORD_0 src1_sel:DWORD
	v_lshlrev_b16_e32 v2, 8, v11
	v_lshlrev_b16_e32 v3, 8, v13
	v_or_b32_e32 v2, v10, v2
	v_or_b32_sdwa v3, v12, v3 dst_sel:WORD_1 dst_unused:UNUSED_PAD src0_sel:DWORD src1_sel:DWORD
	v_or_b32_sdwa v35, v2, v3 dst_sel:DWORD dst_unused:UNUSED_PAD src0_sel:WORD_0 src1_sel:DWORD
.LBB1412_35:
	v_and_b32_e32 v41, 0xff, v37
	v_bfe_u32 v42, v37, 8, 8
	v_bfe_u32 v43, v37, 16, 8
	v_lshrrev_b32_e32 v40, 24, v37
	v_and_b32_e32 v44, 0xff, v36
	v_add3_u32 v3, v42, v41, v43
	v_bfe_u32 v45, v36, 8, 8
	v_bfe_u32 v46, v36, 16, 8
	v_add3_u32 v3, v3, v40, v44
	v_lshrrev_b32_e32 v39, 24, v36
	v_and_b32_e32 v47, 0xff, v35
	v_add3_u32 v3, v3, v45, v46
	v_bfe_u32 v48, v35, 8, 8
	v_bfe_u32 v49, v35, 16, 8
	v_add3_u32 v3, v3, v39, v47
	v_lshrrev_b32_e32 v38, 24, v35
	v_and_b32_e32 v2, 0xff, v34
	v_add3_u32 v3, v3, v48, v49
	v_add3_u32 v52, v3, v38, v2
	v_mbcnt_lo_u32_b32 v2, -1, 0
	v_mbcnt_hi_u32_b32 v50, -1, v2
	v_and_b32_e32 v2, 15, v50
	v_cmp_eq_u32_e64 s[14:15], 0, v2
	v_cmp_lt_u32_e64 s[12:13], 1, v2
	v_cmp_lt_u32_e64 s[10:11], 3, v2
	;; [unrolled: 1-line block ×3, first 2 shown]
	v_and_b32_e32 v2, 16, v50
	v_cmp_eq_u32_e64 s[18:19], 0, v2
	v_or_b32_e32 v2, 63, v0
	s_cmp_lg_u32 s6, 0
	v_cmp_lt_u32_e64 s[2:3], 31, v50
	v_lshrrev_b32_e32 v51, 6, v0
	v_cmp_eq_u32_e64 s[4:5], v2, v0
	s_cbranch_scc0 .LBB1412_66
; %bb.36:
	v_mov_b32_dpp v2, v52 row_shr:1 row_mask:0xf bank_mask:0xf
	v_cndmask_b32_e64 v2, v2, 0, s[14:15]
	v_add_u32_e32 v2, v2, v52
	s_nop 1
	v_mov_b32_dpp v3, v2 row_shr:2 row_mask:0xf bank_mask:0xf
	v_cndmask_b32_e64 v3, 0, v3, s[12:13]
	v_add_u32_e32 v2, v2, v3
	s_nop 1
	;; [unrolled: 4-line block ×4, first 2 shown]
	v_mov_b32_dpp v3, v2 row_bcast:15 row_mask:0xf bank_mask:0xf
	v_cndmask_b32_e64 v3, v3, 0, s[18:19]
	v_add_u32_e32 v2, v2, v3
	s_nop 1
	v_mov_b32_dpp v3, v2 row_bcast:31 row_mask:0xf bank_mask:0xf
	v_cndmask_b32_e64 v3, 0, v3, s[2:3]
	v_add_u32_e32 v2, v2, v3
	s_and_saveexec_b64 s[16:17], s[4:5]
	s_cbranch_execz .LBB1412_38
; %bb.37:
	v_lshlrev_b32_e32 v3, 2, v51
	ds_write_b32 v3, v2
.LBB1412_38:
	s_or_b64 exec, exec, s[16:17]
	v_cmp_gt_u32_e32 vcc, 4, v0
	s_waitcnt lgkmcnt(0)
	s_barrier
	s_and_saveexec_b64 s[16:17], vcc
	s_cbranch_execz .LBB1412_40
; %bb.39:
	ds_read_b32 v3, v1
	v_and_b32_e32 v4, 3, v50
	v_cmp_ne_u32_e32 vcc, 0, v4
	s_waitcnt lgkmcnt(0)
	v_mov_b32_dpp v5, v3 row_shr:1 row_mask:0xf bank_mask:0xf
	v_cndmask_b32_e32 v5, 0, v5, vcc
	v_add_u32_e32 v3, v5, v3
	v_cmp_lt_u32_e32 vcc, 1, v4
	s_nop 0
	v_mov_b32_dpp v5, v3 row_shr:2 row_mask:0xf bank_mask:0xf
	v_cndmask_b32_e32 v4, 0, v5, vcc
	v_add_u32_e32 v3, v3, v4
	ds_write_b32 v1, v3
.LBB1412_40:
	s_or_b64 exec, exec, s[16:17]
	v_cmp_gt_u32_e32 vcc, 64, v0
	v_cmp_lt_u32_e64 s[16:17], 63, v0
	s_waitcnt lgkmcnt(0)
	s_barrier
	s_waitcnt lgkmcnt(0)
                                        ; implicit-def: $vgpr12
	s_and_saveexec_b64 s[36:37], s[16:17]
	s_cbranch_execz .LBB1412_42
; %bb.41:
	v_lshl_add_u32 v3, v51, 2, -4
	ds_read_b32 v12, v3
	s_waitcnt lgkmcnt(0)
	v_add_u32_e32 v2, v12, v2
.LBB1412_42:
	s_or_b64 exec, exec, s[36:37]
	v_add_u32_e32 v3, -1, v50
	v_and_b32_e32 v4, 64, v50
	v_cmp_lt_i32_e64 s[16:17], v3, v4
	v_cndmask_b32_e64 v3, v3, v50, s[16:17]
	v_lshlrev_b32_e32 v3, 2, v3
	ds_bpermute_b32 v13, v3, v2
	v_cmp_eq_u32_e64 s[16:17], 0, v50
	s_and_saveexec_b64 s[36:37], vcc
	s_cbranch_execz .LBB1412_65
; %bb.43:
	v_mov_b32_e32 v11, 0
	ds_read_b32 v2, v11 offset:12
	s_and_saveexec_b64 s[38:39], s[16:17]
	s_cbranch_execz .LBB1412_45
; %bb.44:
	s_add_i32 s40, s6, 64
	s_mov_b32 s41, 0
	s_lshl_b64 s[40:41], s[40:41], 3
	s_add_u32 s40, s34, s40
	v_mov_b32_e32 v3, 1
	s_addc_u32 s41, s35, s41
	s_waitcnt lgkmcnt(0)
	global_store_dwordx2 v11, v[2:3], s[40:41]
.LBB1412_45:
	s_or_b64 exec, exec, s[38:39]
	v_xad_u32 v4, v50, -1, s6
	v_add_u32_e32 v10, 64, v4
	v_lshlrev_b64 v[6:7], 3, v[10:11]
	v_mov_b32_e32 v3, s35
	v_add_co_u32_e32 v6, vcc, s34, v6
	v_addc_co_u32_e32 v7, vcc, v3, v7, vcc
	global_load_dwordx2 v[8:9], v[6:7], off glc
	s_waitcnt vmcnt(0)
	v_cmp_eq_u16_sdwa s[40:41], v9, v11 src0_sel:BYTE_0 src1_sel:DWORD
	s_and_saveexec_b64 s[38:39], s[40:41]
	s_cbranch_execz .LBB1412_51
; %bb.46:
	s_mov_b32 s7, 1
	s_mov_b64 s[40:41], 0
	v_mov_b32_e32 v3, 0
.LBB1412_47:                            ; =>This Loop Header: Depth=1
                                        ;     Child Loop BB1412_48 Depth 2
	s_max_u32 s43, s7, 1
.LBB1412_48:                            ;   Parent Loop BB1412_47 Depth=1
                                        ; =>  This Inner Loop Header: Depth=2
	s_add_i32 s43, s43, -1
	s_cmp_eq_u32 s43, 0
	s_sleep 1
	s_cbranch_scc0 .LBB1412_48
; %bb.49:                               ;   in Loop: Header=BB1412_47 Depth=1
	global_load_dwordx2 v[8:9], v[6:7], off glc
	s_cmp_lt_u32 s7, 32
	s_cselect_b64 s[44:45], -1, 0
	s_cmp_lg_u64 s[44:45], 0
	s_addc_u32 s7, s7, 0
	s_waitcnt vmcnt(0)
	v_cmp_ne_u16_sdwa s[44:45], v9, v3 src0_sel:BYTE_0 src1_sel:DWORD
	s_or_b64 s[40:41], s[44:45], s[40:41]
	s_andn2_b64 exec, exec, s[40:41]
	s_cbranch_execnz .LBB1412_47
; %bb.50:
	s_or_b64 exec, exec, s[40:41]
.LBB1412_51:
	s_or_b64 exec, exec, s[38:39]
	v_and_b32_e32 v14, 63, v50
	v_mov_b32_e32 v3, 2
	v_cmp_ne_u32_e32 vcc, 63, v14
	v_cmp_eq_u16_sdwa s[38:39], v9, v3 src0_sel:BYTE_0 src1_sel:DWORD
	v_lshlrev_b64 v[6:7], v50, -1
	v_addc_co_u32_e32 v11, vcc, 0, v50, vcc
	v_and_b32_e32 v5, s39, v7
	v_lshlrev_b32_e32 v15, 2, v11
	v_or_b32_e32 v5, 0x80000000, v5
	ds_bpermute_b32 v11, v15, v8
	v_and_b32_e32 v10, s38, v6
	v_ffbl_b32_e32 v5, v5
	v_add_u32_e32 v5, 32, v5
	v_ffbl_b32_e32 v10, v10
	v_min_u32_e32 v5, v10, v5
	v_cmp_lt_u32_e32 vcc, v14, v5
	s_waitcnt lgkmcnt(0)
	v_cndmask_b32_e32 v10, 0, v11, vcc
	v_cmp_gt_u32_e32 vcc, 62, v14
	v_add_u32_e32 v8, v10, v8
	v_cndmask_b32_e64 v10, 0, 1, vcc
	v_lshlrev_b32_e32 v10, 1, v10
	v_add_lshl_u32 v16, v10, v50, 2
	ds_bpermute_b32 v10, v16, v8
	v_add_u32_e32 v17, 2, v14
	v_cmp_le_u32_e32 vcc, v17, v5
	v_add_u32_e32 v19, 4, v14
	v_add_u32_e32 v54, 8, v14
	s_waitcnt lgkmcnt(0)
	v_cndmask_b32_e32 v10, 0, v10, vcc
	v_cmp_gt_u32_e32 vcc, 60, v14
	v_add_u32_e32 v8, v8, v10
	v_cndmask_b32_e64 v10, 0, 1, vcc
	v_lshlrev_b32_e32 v10, 2, v10
	v_add_lshl_u32 v18, v10, v50, 2
	ds_bpermute_b32 v10, v18, v8
	v_cmp_le_u32_e32 vcc, v19, v5
	v_add_u32_e32 v57, 16, v14
	v_add_u32_e32 v59, 32, v14
	s_waitcnt lgkmcnt(0)
	v_cndmask_b32_e32 v10, 0, v10, vcc
	v_cmp_gt_u32_e32 vcc, 56, v14
	v_add_u32_e32 v8, v8, v10
	v_cndmask_b32_e64 v10, 0, 1, vcc
	v_lshlrev_b32_e32 v10, 3, v10
	v_add_lshl_u32 v53, v10, v50, 2
	ds_bpermute_b32 v10, v53, v8
	v_cmp_le_u32_e32 vcc, v54, v5
	s_waitcnt lgkmcnt(0)
	v_cndmask_b32_e32 v10, 0, v10, vcc
	v_cmp_gt_u32_e32 vcc, 48, v14
	v_add_u32_e32 v8, v8, v10
	v_cndmask_b32_e64 v10, 0, 1, vcc
	v_lshlrev_b32_e32 v10, 4, v10
	v_add_lshl_u32 v56, v10, v50, 2
	ds_bpermute_b32 v10, v56, v8
	v_cmp_le_u32_e32 vcc, v57, v5
	;; [unrolled: 9-line block ×3, first 2 shown]
	s_waitcnt lgkmcnt(0)
	v_cndmask_b32_e32 v5, 0, v10, vcc
	v_add_u32_e32 v8, v8, v5
	v_mov_b32_e32 v5, 0
	s_branch .LBB1412_53
.LBB1412_52:                            ;   in Loop: Header=BB1412_53 Depth=1
	s_or_b64 exec, exec, s[38:39]
	v_cmp_eq_u16_sdwa s[38:39], v9, v3 src0_sel:BYTE_0 src1_sel:DWORD
	v_and_b32_e32 v10, s39, v7
	v_or_b32_e32 v10, 0x80000000, v10
	ds_bpermute_b32 v60, v15, v8
	v_and_b32_e32 v11, s38, v6
	v_ffbl_b32_e32 v10, v10
	v_add_u32_e32 v10, 32, v10
	v_ffbl_b32_e32 v11, v11
	v_min_u32_e32 v10, v11, v10
	v_cmp_lt_u32_e32 vcc, v14, v10
	s_waitcnt lgkmcnt(0)
	v_cndmask_b32_e32 v11, 0, v60, vcc
	v_add_u32_e32 v8, v11, v8
	ds_bpermute_b32 v11, v16, v8
	v_cmp_le_u32_e32 vcc, v17, v10
	v_subrev_u32_e32 v4, 64, v4
	s_waitcnt lgkmcnt(0)
	v_cndmask_b32_e32 v11, 0, v11, vcc
	v_add_u32_e32 v8, v8, v11
	ds_bpermute_b32 v11, v18, v8
	v_cmp_le_u32_e32 vcc, v19, v10
	s_waitcnt lgkmcnt(0)
	v_cndmask_b32_e32 v11, 0, v11, vcc
	v_add_u32_e32 v8, v8, v11
	ds_bpermute_b32 v11, v53, v8
	v_cmp_le_u32_e32 vcc, v54, v10
	;; [unrolled: 5-line block ×4, first 2 shown]
	s_waitcnt lgkmcnt(0)
	v_cndmask_b32_e32 v10, 0, v11, vcc
	v_add3_u32 v8, v10, v55, v8
.LBB1412_53:                            ; =>This Loop Header: Depth=1
                                        ;     Child Loop BB1412_56 Depth 2
                                        ;       Child Loop BB1412_57 Depth 3
	v_cmp_ne_u16_sdwa s[38:39], v9, v3 src0_sel:BYTE_0 src1_sel:DWORD
	v_cndmask_b32_e64 v9, 0, 1, s[38:39]
	;;#ASMSTART
	;;#ASMEND
	v_cmp_ne_u32_e32 vcc, 0, v9
	s_cmp_lg_u64 vcc, exec
	v_mov_b32_e32 v55, v8
	s_cbranch_scc1 .LBB1412_60
; %bb.54:                               ;   in Loop: Header=BB1412_53 Depth=1
	v_lshlrev_b64 v[8:9], 3, v[4:5]
	v_mov_b32_e32 v11, s35
	v_add_co_u32_e32 v10, vcc, s34, v8
	v_addc_co_u32_e32 v11, vcc, v11, v9, vcc
	global_load_dwordx2 v[8:9], v[10:11], off glc
	s_waitcnt vmcnt(0)
	v_cmp_eq_u16_sdwa s[40:41], v9, v5 src0_sel:BYTE_0 src1_sel:DWORD
	s_and_saveexec_b64 s[38:39], s[40:41]
	s_cbranch_execz .LBB1412_52
; %bb.55:                               ;   in Loop: Header=BB1412_53 Depth=1
	s_mov_b32 s7, 1
	s_mov_b64 s[40:41], 0
.LBB1412_56:                            ;   Parent Loop BB1412_53 Depth=1
                                        ; =>  This Loop Header: Depth=2
                                        ;       Child Loop BB1412_57 Depth 3
	s_max_u32 s43, s7, 1
.LBB1412_57:                            ;   Parent Loop BB1412_53 Depth=1
                                        ;     Parent Loop BB1412_56 Depth=2
                                        ; =>    This Inner Loop Header: Depth=3
	s_add_i32 s43, s43, -1
	s_cmp_eq_u32 s43, 0
	s_sleep 1
	s_cbranch_scc0 .LBB1412_57
; %bb.58:                               ;   in Loop: Header=BB1412_56 Depth=2
	global_load_dwordx2 v[8:9], v[10:11], off glc
	s_cmp_lt_u32 s7, 32
	s_cselect_b64 s[44:45], -1, 0
	s_cmp_lg_u64 s[44:45], 0
	s_addc_u32 s7, s7, 0
	s_waitcnt vmcnt(0)
	v_cmp_ne_u16_sdwa s[44:45], v9, v5 src0_sel:BYTE_0 src1_sel:DWORD
	s_or_b64 s[40:41], s[44:45], s[40:41]
	s_andn2_b64 exec, exec, s[40:41]
	s_cbranch_execnz .LBB1412_56
; %bb.59:                               ;   in Loop: Header=BB1412_53 Depth=1
	s_or_b64 exec, exec, s[40:41]
	s_branch .LBB1412_52
.LBB1412_60:                            ;   in Loop: Header=BB1412_53 Depth=1
                                        ; implicit-def: $vgpr8
                                        ; implicit-def: $vgpr9
	s_cbranch_execz .LBB1412_53
; %bb.61:
	s_and_saveexec_b64 s[38:39], s[16:17]
	s_cbranch_execz .LBB1412_63
; %bb.62:
	s_add_i32 s6, s6, 64
	s_mov_b32 s7, 0
	s_lshl_b64 s[6:7], s[6:7], 3
	s_add_u32 s6, s34, s6
	v_add_u32_e32 v4, v55, v2
	v_mov_b32_e32 v5, 2
	s_addc_u32 s7, s35, s7
	v_mov_b32_e32 v3, 0
	global_store_dwordx2 v3, v[4:5], s[6:7]
	s_movk_i32 s6, 0x3400
	v_add_u32_e64 v3, s6, 0
	ds_write2_b32 v3, v2, v55 offset1:2
.LBB1412_63:
	s_or_b64 exec, exec, s[38:39]
	v_cmp_eq_u32_e32 vcc, 0, v0
	s_and_b64 exec, exec, vcc
	s_cbranch_execz .LBB1412_65
; %bb.64:
	v_mov_b32_e32 v2, 0
	ds_write_b32 v2, v55 offset:12
.LBB1412_65:
	s_or_b64 exec, exec, s[36:37]
	v_mov_b32_e32 v2, 0
	s_waitcnt lgkmcnt(0)
	s_barrier
	ds_read_b32 v2, v2 offset:12
	v_cndmask_b32_e64 v3, v13, v12, s[16:17]
	v_cmp_ne_u32_e32 vcc, 0, v0
	v_cndmask_b32_e32 v3, 0, v3, vcc
	s_movk_i32 s6, 0x3400
	s_waitcnt lgkmcnt(0)
	v_add_u32_e32 v2, v2, v3
	v_add_u32_e32 v3, v2, v41
	;; [unrolled: 1-line block ×8, first 2 shown]
	v_add_u32_e64 v12, s6, 0
	v_add_u32_e32 v10, v9, v39
	s_barrier
	ds_read2_b32 v[18:19], v12 offset1:2
	v_add_u32_e32 v11, v10, v47
	v_add_u32_e32 v12, v11, v48
	v_add_u32_e32 v13, v12, v49
	v_add_u32_e32 v14, v13, v38
	s_branch .LBB1412_76
.LBB1412_66:
                                        ; implicit-def: $vgpr19
                                        ; implicit-def: $vgpr2_vgpr3_vgpr4_vgpr5_vgpr6_vgpr7_vgpr8_vgpr9_vgpr10_vgpr11_vgpr12_vgpr13_vgpr14_vgpr15_vgpr16_vgpr17
	s_cbranch_execz .LBB1412_76
; %bb.67:
	s_nop 0
	v_mov_b32_dpp v2, v52 row_shr:1 row_mask:0xf bank_mask:0xf
	v_cndmask_b32_e64 v2, v2, 0, s[14:15]
	v_add_u32_e32 v2, v2, v52
	s_nop 1
	v_mov_b32_dpp v3, v2 row_shr:2 row_mask:0xf bank_mask:0xf
	v_cndmask_b32_e64 v3, 0, v3, s[12:13]
	v_add_u32_e32 v2, v2, v3
	;; [unrolled: 4-line block ×4, first 2 shown]
	s_nop 1
	v_mov_b32_dpp v3, v2 row_bcast:15 row_mask:0xf bank_mask:0xf
	v_cndmask_b32_e64 v3, v3, 0, s[18:19]
	v_add_u32_e32 v2, v2, v3
	s_nop 1
	v_mov_b32_dpp v3, v2 row_bcast:31 row_mask:0xf bank_mask:0xf
	v_cndmask_b32_e64 v3, 0, v3, s[2:3]
	v_add_u32_e32 v2, v2, v3
	s_and_saveexec_b64 s[2:3], s[4:5]
	s_cbranch_execz .LBB1412_69
; %bb.68:
	v_lshlrev_b32_e32 v3, 2, v51
	ds_write_b32 v3, v2
.LBB1412_69:
	s_or_b64 exec, exec, s[2:3]
	v_cmp_gt_u32_e32 vcc, 4, v0
	s_waitcnt lgkmcnt(0)
	s_barrier
	s_and_saveexec_b64 s[2:3], vcc
	s_cbranch_execz .LBB1412_71
; %bb.70:
	ds_read_b32 v3, v1
	v_and_b32_e32 v4, 3, v50
	v_cmp_ne_u32_e32 vcc, 0, v4
	s_waitcnt lgkmcnt(0)
	v_mov_b32_dpp v5, v3 row_shr:1 row_mask:0xf bank_mask:0xf
	v_cndmask_b32_e32 v5, 0, v5, vcc
	v_add_u32_e32 v3, v5, v3
	v_cmp_lt_u32_e32 vcc, 1, v4
	s_nop 0
	v_mov_b32_dpp v5, v3 row_shr:2 row_mask:0xf bank_mask:0xf
	v_cndmask_b32_e32 v4, 0, v5, vcc
	v_add_u32_e32 v3, v3, v4
	ds_write_b32 v1, v3
.LBB1412_71:
	s_or_b64 exec, exec, s[2:3]
	v_cmp_lt_u32_e32 vcc, 63, v0
	v_mov_b32_e32 v4, 0
	v_mov_b32_e32 v3, 0
	s_waitcnt lgkmcnt(0)
	s_barrier
	s_and_saveexec_b64 s[2:3], vcc
	s_cbranch_execz .LBB1412_73
; %bb.72:
	v_lshl_add_u32 v3, v51, 2, -4
	ds_read_b32 v3, v3
.LBB1412_73:
	s_or_b64 exec, exec, s[2:3]
	v_add_u32_e32 v5, -1, v50
	v_and_b32_e32 v6, 64, v50
	v_cmp_lt_i32_e32 vcc, v5, v6
	v_cndmask_b32_e32 v5, v5, v50, vcc
	s_waitcnt lgkmcnt(0)
	v_add_u32_e32 v2, v3, v2
	v_lshlrev_b32_e32 v5, 2, v5
	ds_bpermute_b32 v2, v5, v2
	ds_read_b32 v18, v4 offset:12
	v_cmp_eq_u32_e32 vcc, 0, v0
	s_and_saveexec_b64 s[2:3], vcc
	s_cbranch_execz .LBB1412_75
; %bb.74:
	v_mov_b32_e32 v4, 0
	v_mov_b32_e32 v19, 2
	s_waitcnt lgkmcnt(0)
	global_store_dwordx2 v4, v[18:19], s[34:35] offset:512
.LBB1412_75:
	s_or_b64 exec, exec, s[2:3]
	v_cmp_eq_u32_e64 s[2:3], 0, v50
	s_waitcnt lgkmcnt(1)
	v_cndmask_b32_e64 v2, v2, v3, s[2:3]
	v_cndmask_b32_e64 v2, v2, 0, vcc
	v_add_u32_e32 v3, v2, v41
	v_add_u32_e32 v4, v3, v42
	;; [unrolled: 1-line block ×11, first 2 shown]
	v_mov_b32_e32 v19, 0
	v_add_u32_e32 v14, v13, v38
	s_waitcnt lgkmcnt(0)
	s_barrier
.LBB1412_76:
	s_waitcnt lgkmcnt(0)
	v_add_u32_e32 v33, v18, v33
	v_sub_u32_e32 v2, v2, v19
	v_and_b32_e32 v42, 1, v37
	v_sub_u32_e32 v41, v33, v2
	v_cmp_eq_u32_e32 vcc, 1, v42
	v_cndmask_b32_e32 v2, v41, v2, vcc
	v_lshlrev_b32_e32 v2, 2, v2
	v_lshrrev_b32_e32 v17, 8, v37
	ds_write_b32 v2, v30
	v_sub_u32_e32 v2, v3, v19
	v_sub_u32_e32 v3, v33, v2
	v_and_b32_e32 v17, 1, v17
	v_add_u32_e32 v3, 1, v3
	v_cmp_eq_u32_e32 vcc, 1, v17
	v_cndmask_b32_e32 v2, v3, v2, vcc
	v_lshlrev_b32_e32 v2, 2, v2
	ds_write_b32 v2, v31
	v_sub_u32_e32 v2, v4, v19
	v_mov_b32_e32 v4, 1
	v_sub_u32_e32 v3, v33, v2
	v_and_b32_sdwa v17, v4, v37 dst_sel:DWORD dst_unused:UNUSED_PAD src0_sel:DWORD src1_sel:WORD_1
	v_add_u32_e32 v3, 2, v3
	v_cmp_eq_u32_e32 vcc, 1, v17
	v_cndmask_b32_e32 v2, v3, v2, vcc
	v_lshlrev_b32_e32 v2, 2, v2
	ds_write_b32 v2, v28
	v_sub_u32_e32 v2, v5, v19
	v_sub_u32_e32 v3, v33, v2
	v_and_b32_e32 v5, 1, v40
	v_add_u32_e32 v3, 3, v3
	v_cmp_eq_u32_e32 vcc, 1, v5
	v_cndmask_b32_e32 v2, v3, v2, vcc
	v_lshlrev_b32_e32 v2, 2, v2
	ds_write_b32 v2, v29
	v_sub_u32_e32 v2, v6, v19
	v_sub_u32_e32 v3, v33, v2
	v_and_b32_e32 v5, 1, v36
	v_add_u32_e32 v3, 4, v3
	v_cmp_eq_u32_e32 vcc, 1, v5
	v_cndmask_b32_e32 v2, v3, v2, vcc
	v_lshlrev_b32_e32 v2, 2, v2
	v_lshrrev_b32_e32 v16, 8, v36
	ds_write_b32 v2, v26
	v_sub_u32_e32 v2, v7, v19
	v_sub_u32_e32 v3, v33, v2
	v_and_b32_e32 v5, 1, v16
	v_add_u32_e32 v3, 5, v3
	v_cmp_eq_u32_e32 vcc, 1, v5
	v_cndmask_b32_e32 v2, v3, v2, vcc
	v_lshlrev_b32_e32 v2, 2, v2
	ds_write_b32 v2, v27
	v_sub_u32_e32 v2, v8, v19
	v_sub_u32_e32 v3, v33, v2
	v_and_b32_sdwa v5, v4, v36 dst_sel:DWORD dst_unused:UNUSED_PAD src0_sel:DWORD src1_sel:WORD_1
	v_add_u32_e32 v3, 6, v3
	v_cmp_eq_u32_e32 vcc, 1, v5
	v_cndmask_b32_e32 v2, v3, v2, vcc
	v_lshlrev_b32_e32 v2, 2, v2
	ds_write_b32 v2, v24
	v_sub_u32_e32 v2, v9, v19
	v_sub_u32_e32 v3, v33, v2
	v_and_b32_e32 v5, 1, v39
	v_add_u32_e32 v3, 7, v3
	v_cmp_eq_u32_e32 vcc, 1, v5
	v_cndmask_b32_e32 v2, v3, v2, vcc
	v_lshlrev_b32_e32 v2, 2, v2
	ds_write_b32 v2, v25
	v_sub_u32_e32 v2, v10, v19
	v_sub_u32_e32 v3, v33, v2
	v_and_b32_e32 v5, 1, v35
	v_add_u32_e32 v3, 8, v3
	v_cmp_eq_u32_e32 vcc, 1, v5
	v_cndmask_b32_e32 v2, v3, v2, vcc
	v_lshlrev_b32_e32 v2, 2, v2
	v_lshrrev_b32_e32 v15, 8, v35
	ds_write_b32 v2, v22
	v_sub_u32_e32 v2, v11, v19
	v_sub_u32_e32 v3, v33, v2
	v_and_b32_e32 v5, 1, v15
	v_add_u32_e32 v3, 9, v3
	v_cmp_eq_u32_e32 vcc, 1, v5
	v_cndmask_b32_e32 v2, v3, v2, vcc
	v_lshlrev_b32_e32 v2, 2, v2
	ds_write_b32 v2, v23
	v_sub_u32_e32 v2, v12, v19
	v_sub_u32_e32 v3, v33, v2
	v_and_b32_sdwa v4, v4, v35 dst_sel:DWORD dst_unused:UNUSED_PAD src0_sel:DWORD src1_sel:WORD_1
	v_add_u32_e32 v3, 10, v3
	v_cmp_eq_u32_e32 vcc, 1, v4
	v_cndmask_b32_e32 v2, v3, v2, vcc
	v_lshlrev_b32_e32 v2, 2, v2
	ds_write_b32 v2, v20
	v_sub_u32_e32 v2, v13, v19
	v_sub_u32_e32 v3, v33, v2
	v_and_b32_e32 v4, 1, v38
	v_add_u32_e32 v3, 11, v3
	v_cmp_eq_u32_e32 vcc, 1, v4
	v_cndmask_b32_e32 v2, v3, v2, vcc
	v_lshlrev_b32_e32 v2, 2, v2
	ds_write_b32 v2, v21
	v_sub_u32_e32 v2, v14, v19
	v_sub_u32_e32 v3, v33, v2
	v_and_b32_e32 v4, 1, v34
	v_add_u32_e32 v3, 12, v3
	v_cmp_eq_u32_e32 vcc, 1, v4
	v_cndmask_b32_e32 v2, v3, v2, vcc
	s_add_u32 s2, s28, s42
	v_lshlrev_b32_e32 v2, 2, v2
	s_addc_u32 s3, s29, 0
	ds_write_b32 v2, v32
	s_waitcnt lgkmcnt(0)
	s_barrier
	ds_read2st64_b32 v[12:13], v1 offset1:4
	ds_read2st64_b32 v[10:11], v1 offset0:8 offset1:12
	ds_read2st64_b32 v[8:9], v1 offset0:16 offset1:20
	;; [unrolled: 1-line block ×5, first 2 shown]
	ds_read_b32 v17, v1 offset:12288
	v_mov_b32_e32 v14, s31
	v_add_co_u32_e32 v1, vcc, s30, v19
	s_sub_u32 s2, s26, s2
	v_addc_co_u32_e32 v16, vcc, 0, v14, vcc
	s_subb_u32 s3, s27, s3
	v_mov_b32_e32 v14, s3
	v_add_co_u32_e32 v15, vcc, s2, v18
	v_addc_co_u32_e32 v14, vcc, 0, v14, vcc
	s_and_b64 vcc, exec, s[0:1]
	v_add_co_u32_e64 v19, s[0:1], v15, v1
	v_or_b32_e32 v32, 0x100, v0
	v_or_b32_e32 v31, 0x200, v0
	;; [unrolled: 1-line block ×12, first 2 shown]
	v_addc_co_u32_e64 v21, s[0:1], v14, v16, s[0:1]
	s_cbranch_vccnz .LBB1412_130
; %bb.77:
	v_cmp_ge_u32_e32 vcc, v0, v18
                                        ; implicit-def: $vgpr14_vgpr15
	s_and_saveexec_b64 s[0:1], vcc
	s_xor_b64 s[0:1], exec, s[0:1]
; %bb.78:
	v_not_b32_e32 v14, v0
	v_ashrrev_i32_e32 v15, 31, v14
	v_add_co_u32_e32 v14, vcc, v19, v14
	v_addc_co_u32_e32 v15, vcc, v21, v15, vcc
; %bb.79:
	s_andn2_saveexec_b64 s[0:1], s[0:1]
; %bb.80:
	v_add_co_u32_e32 v14, vcc, v1, v0
	v_addc_co_u32_e32 v15, vcc, 0, v16, vcc
; %bb.81:
	s_or_b64 exec, exec, s[0:1]
	v_lshlrev_b64 v[14:15], 2, v[14:15]
	v_mov_b32_e32 v33, s25
	v_add_co_u32_e32 v14, vcc, s24, v14
	v_addc_co_u32_e32 v15, vcc, v33, v15, vcc
	v_cmp_ge_u32_e32 vcc, v32, v18
	s_waitcnt lgkmcnt(6)
	global_store_dword v[14:15], v12, off
                                        ; implicit-def: $vgpr14_vgpr15
	s_and_saveexec_b64 s[0:1], vcc
	s_xor_b64 s[0:1], exec, s[0:1]
; %bb.82:
	v_xor_b32_e32 v14, 0xfffffeff, v0
	v_ashrrev_i32_e32 v15, 31, v14
	v_add_co_u32_e32 v14, vcc, v19, v14
	v_addc_co_u32_e32 v15, vcc, v21, v15, vcc
; %bb.83:
	s_andn2_saveexec_b64 s[0:1], s[0:1]
; %bb.84:
	v_add_co_u32_e32 v14, vcc, v1, v32
	v_addc_co_u32_e32 v15, vcc, 0, v16, vcc
; %bb.85:
	s_or_b64 exec, exec, s[0:1]
	v_lshlrev_b64 v[14:15], 2, v[14:15]
	v_mov_b32_e32 v33, s25
	v_add_co_u32_e32 v14, vcc, s24, v14
	v_addc_co_u32_e32 v15, vcc, v33, v15, vcc
	v_cmp_ge_u32_e32 vcc, v31, v18
	global_store_dword v[14:15], v13, off
                                        ; implicit-def: $vgpr14_vgpr15
	s_and_saveexec_b64 s[0:1], vcc
	s_xor_b64 s[0:1], exec, s[0:1]
; %bb.86:
	v_xor_b32_e32 v14, 0xfffffdff, v0
	v_ashrrev_i32_e32 v15, 31, v14
	v_add_co_u32_e32 v14, vcc, v19, v14
	v_addc_co_u32_e32 v15, vcc, v21, v15, vcc
; %bb.87:
	s_andn2_saveexec_b64 s[0:1], s[0:1]
; %bb.88:
	v_add_co_u32_e32 v14, vcc, v1, v31
	v_addc_co_u32_e32 v15, vcc, 0, v16, vcc
; %bb.89:
	s_or_b64 exec, exec, s[0:1]
	v_lshlrev_b64 v[14:15], 2, v[14:15]
	v_mov_b32_e32 v33, s25
	v_add_co_u32_e32 v14, vcc, s24, v14
	v_addc_co_u32_e32 v15, vcc, v33, v15, vcc
	v_cmp_ge_u32_e32 vcc, v30, v18
	s_waitcnt lgkmcnt(5)
	global_store_dword v[14:15], v10, off
                                        ; implicit-def: $vgpr14_vgpr15
	s_and_saveexec_b64 s[0:1], vcc
	s_xor_b64 s[0:1], exec, s[0:1]
; %bb.90:
	v_xor_b32_e32 v14, 0xfffffcff, v0
	v_ashrrev_i32_e32 v15, 31, v14
	v_add_co_u32_e32 v14, vcc, v19, v14
	v_addc_co_u32_e32 v15, vcc, v21, v15, vcc
; %bb.91:
	s_andn2_saveexec_b64 s[0:1], s[0:1]
; %bb.92:
	v_add_co_u32_e32 v14, vcc, v1, v30
	v_addc_co_u32_e32 v15, vcc, 0, v16, vcc
; %bb.93:
	s_or_b64 exec, exec, s[0:1]
	v_lshlrev_b64 v[14:15], 2, v[14:15]
	v_mov_b32_e32 v33, s25
	v_add_co_u32_e32 v14, vcc, s24, v14
	v_addc_co_u32_e32 v15, vcc, v33, v15, vcc
	v_cmp_ge_u32_e32 vcc, v29, v18
	global_store_dword v[14:15], v11, off
                                        ; implicit-def: $vgpr14_vgpr15
	s_and_saveexec_b64 s[0:1], vcc
	s_xor_b64 s[0:1], exec, s[0:1]
; %bb.94:
	v_xor_b32_e32 v14, 0xfffffbff, v0
	;; [unrolled: 43-line block ×6, first 2 shown]
	v_ashrrev_i32_e32 v15, 31, v14
	v_add_co_u32_e32 v14, vcc, v19, v14
	v_addc_co_u32_e32 v15, vcc, v21, v15, vcc
; %bb.127:
	s_andn2_saveexec_b64 s[0:1], s[0:1]
; %bb.128:
	v_add_co_u32_e32 v14, vcc, v1, v20
	v_addc_co_u32_e32 v15, vcc, 0, v16, vcc
; %bb.129:
	s_or_b64 exec, exec, s[0:1]
	s_mov_b64 s[0:1], -1
	s_branch .LBB1412_210
.LBB1412_130:
	s_mov_b64 s[0:1], 0
                                        ; implicit-def: $vgpr14_vgpr15
	s_cbranch_execz .LBB1412_210
; %bb.131:
	v_cmp_gt_u32_e32 vcc, s33, v0
	s_and_saveexec_b64 s[2:3], vcc
	s_cbranch_execz .LBB1412_167
; %bb.132:
	v_cmp_ge_u32_e32 vcc, v0, v18
                                        ; implicit-def: $vgpr14_vgpr15
	s_and_saveexec_b64 s[4:5], vcc
	s_xor_b64 s[4:5], exec, s[4:5]
; %bb.133:
	v_not_b32_e32 v14, v0
	v_ashrrev_i32_e32 v15, 31, v14
	v_add_co_u32_e32 v14, vcc, v19, v14
	v_addc_co_u32_e32 v15, vcc, v21, v15, vcc
; %bb.134:
	s_andn2_saveexec_b64 s[4:5], s[4:5]
; %bb.135:
	v_add_co_u32_e32 v14, vcc, v1, v0
	v_addc_co_u32_e32 v15, vcc, 0, v16, vcc
; %bb.136:
	s_or_b64 exec, exec, s[4:5]
	v_lshlrev_b64 v[14:15], 2, v[14:15]
	v_mov_b32_e32 v33, s25
	v_add_co_u32_e32 v14, vcc, s24, v14
	v_addc_co_u32_e32 v15, vcc, v33, v15, vcc
	s_waitcnt lgkmcnt(6)
	global_store_dword v[14:15], v12, off
	s_or_b64 exec, exec, s[2:3]
	v_cmp_gt_u32_e32 vcc, s33, v32
	s_and_saveexec_b64 s[2:3], vcc
	s_cbranch_execnz .LBB1412_168
.LBB1412_137:
	s_or_b64 exec, exec, s[2:3]
	v_cmp_gt_u32_e32 vcc, s33, v31
	s_and_saveexec_b64 s[2:3], vcc
	s_cbranch_execz .LBB1412_173
.LBB1412_138:
	v_cmp_ge_u32_e32 vcc, v31, v18
                                        ; implicit-def: $vgpr12_vgpr13
	s_and_saveexec_b64 s[4:5], vcc
	s_xor_b64 s[4:5], exec, s[4:5]
	s_cbranch_execz .LBB1412_140
; %bb.139:
	s_waitcnt lgkmcnt(6)
	v_xor_b32_e32 v12, 0xfffffdff, v0
	v_ashrrev_i32_e32 v13, 31, v12
	v_add_co_u32_e32 v12, vcc, v19, v12
	v_addc_co_u32_e32 v13, vcc, v21, v13, vcc
                                        ; implicit-def: $vgpr31
.LBB1412_140:
	s_andn2_saveexec_b64 s[4:5], s[4:5]
	s_cbranch_execz .LBB1412_142
; %bb.141:
	s_waitcnt lgkmcnt(6)
	v_add_co_u32_e32 v12, vcc, v1, v31
	v_addc_co_u32_e32 v13, vcc, 0, v16, vcc
.LBB1412_142:
	s_or_b64 exec, exec, s[4:5]
	s_waitcnt lgkmcnt(6)
	v_lshlrev_b64 v[12:13], 2, v[12:13]
	v_mov_b32_e32 v14, s25
	v_add_co_u32_e32 v12, vcc, s24, v12
	v_addc_co_u32_e32 v13, vcc, v14, v13, vcc
	s_waitcnt lgkmcnt(5)
	global_store_dword v[12:13], v10, off
	s_or_b64 exec, exec, s[2:3]
	v_cmp_gt_u32_e32 vcc, s33, v30
	s_and_saveexec_b64 s[2:3], vcc
	s_cbranch_execnz .LBB1412_174
.LBB1412_143:
	s_or_b64 exec, exec, s[2:3]
	v_cmp_gt_u32_e32 vcc, s33, v29
	s_and_saveexec_b64 s[2:3], vcc
	s_cbranch_execz .LBB1412_179
.LBB1412_144:
	v_cmp_ge_u32_e32 vcc, v29, v18
                                        ; implicit-def: $vgpr10_vgpr11
	s_and_saveexec_b64 s[4:5], vcc
	s_xor_b64 s[4:5], exec, s[4:5]
	s_cbranch_execz .LBB1412_146
; %bb.145:
	s_waitcnt lgkmcnt(5)
	v_xor_b32_e32 v10, 0xfffffbff, v0
	v_ashrrev_i32_e32 v11, 31, v10
	v_add_co_u32_e32 v10, vcc, v19, v10
	v_addc_co_u32_e32 v11, vcc, v21, v11, vcc
                                        ; implicit-def: $vgpr29
.LBB1412_146:
	s_andn2_saveexec_b64 s[4:5], s[4:5]
	s_cbranch_execz .LBB1412_148
; %bb.147:
	s_waitcnt lgkmcnt(5)
	v_add_co_u32_e32 v10, vcc, v1, v29
	v_addc_co_u32_e32 v11, vcc, 0, v16, vcc
.LBB1412_148:
	s_or_b64 exec, exec, s[4:5]
	s_waitcnt lgkmcnt(5)
	v_lshlrev_b64 v[10:11], 2, v[10:11]
	v_mov_b32_e32 v12, s25
	v_add_co_u32_e32 v10, vcc, s24, v10
	v_addc_co_u32_e32 v11, vcc, v12, v11, vcc
	s_waitcnt lgkmcnt(4)
	global_store_dword v[10:11], v8, off
	s_or_b64 exec, exec, s[2:3]
	v_cmp_gt_u32_e32 vcc, s33, v28
	s_and_saveexec_b64 s[2:3], vcc
	s_cbranch_execnz .LBB1412_180
.LBB1412_149:
	s_or_b64 exec, exec, s[2:3]
	v_cmp_gt_u32_e32 vcc, s33, v27
	s_and_saveexec_b64 s[2:3], vcc
	s_cbranch_execz .LBB1412_185
.LBB1412_150:
	v_cmp_ge_u32_e32 vcc, v27, v18
                                        ; implicit-def: $vgpr8_vgpr9
	s_and_saveexec_b64 s[4:5], vcc
	s_xor_b64 s[4:5], exec, s[4:5]
	s_cbranch_execz .LBB1412_152
; %bb.151:
	s_waitcnt lgkmcnt(4)
	v_xor_b32_e32 v8, 0xfffff9ff, v0
	v_ashrrev_i32_e32 v9, 31, v8
	v_add_co_u32_e32 v8, vcc, v19, v8
	v_addc_co_u32_e32 v9, vcc, v21, v9, vcc
                                        ; implicit-def: $vgpr27
.LBB1412_152:
	s_andn2_saveexec_b64 s[4:5], s[4:5]
	s_cbranch_execz .LBB1412_154
; %bb.153:
	s_waitcnt lgkmcnt(4)
	v_add_co_u32_e32 v8, vcc, v1, v27
	v_addc_co_u32_e32 v9, vcc, 0, v16, vcc
.LBB1412_154:
	s_or_b64 exec, exec, s[4:5]
	s_waitcnt lgkmcnt(4)
	v_lshlrev_b64 v[8:9], 2, v[8:9]
	v_mov_b32_e32 v10, s25
	v_add_co_u32_e32 v8, vcc, s24, v8
	v_addc_co_u32_e32 v9, vcc, v10, v9, vcc
	s_waitcnt lgkmcnt(3)
	global_store_dword v[8:9], v6, off
	s_or_b64 exec, exec, s[2:3]
	v_cmp_gt_u32_e32 vcc, s33, v26
	s_and_saveexec_b64 s[2:3], vcc
	s_cbranch_execnz .LBB1412_186
.LBB1412_155:
	s_or_b64 exec, exec, s[2:3]
	v_cmp_gt_u32_e32 vcc, s33, v25
	s_and_saveexec_b64 s[2:3], vcc
	s_cbranch_execz .LBB1412_191
.LBB1412_156:
	v_cmp_ge_u32_e32 vcc, v25, v18
                                        ; implicit-def: $vgpr6_vgpr7
	s_and_saveexec_b64 s[4:5], vcc
	s_xor_b64 s[4:5], exec, s[4:5]
	s_cbranch_execz .LBB1412_158
; %bb.157:
	s_waitcnt lgkmcnt(3)
	v_xor_b32_e32 v6, 0xfffff7ff, v0
	v_ashrrev_i32_e32 v7, 31, v6
	v_add_co_u32_e32 v6, vcc, v19, v6
	v_addc_co_u32_e32 v7, vcc, v21, v7, vcc
                                        ; implicit-def: $vgpr25
.LBB1412_158:
	s_andn2_saveexec_b64 s[4:5], s[4:5]
	s_cbranch_execz .LBB1412_160
; %bb.159:
	s_waitcnt lgkmcnt(3)
	v_add_co_u32_e32 v6, vcc, v1, v25
	v_addc_co_u32_e32 v7, vcc, 0, v16, vcc
.LBB1412_160:
	s_or_b64 exec, exec, s[4:5]
	s_waitcnt lgkmcnt(3)
	v_lshlrev_b64 v[6:7], 2, v[6:7]
	v_mov_b32_e32 v8, s25
	v_add_co_u32_e32 v6, vcc, s24, v6
	v_addc_co_u32_e32 v7, vcc, v8, v7, vcc
	s_waitcnt lgkmcnt(2)
	global_store_dword v[6:7], v4, off
	s_or_b64 exec, exec, s[2:3]
	v_cmp_gt_u32_e32 vcc, s33, v24
	s_and_saveexec_b64 s[2:3], vcc
	s_cbranch_execnz .LBB1412_192
.LBB1412_161:
	s_or_b64 exec, exec, s[2:3]
	v_cmp_gt_u32_e32 vcc, s33, v23
	s_and_saveexec_b64 s[2:3], vcc
	s_cbranch_execz .LBB1412_197
.LBB1412_162:
	v_cmp_ge_u32_e32 vcc, v23, v18
                                        ; implicit-def: $vgpr4_vgpr5
	s_and_saveexec_b64 s[4:5], vcc
	s_xor_b64 s[4:5], exec, s[4:5]
	s_cbranch_execz .LBB1412_164
; %bb.163:
	s_waitcnt lgkmcnt(2)
	v_xor_b32_e32 v4, 0xfffff5ff, v0
	v_ashrrev_i32_e32 v5, 31, v4
	v_add_co_u32_e32 v4, vcc, v19, v4
	v_addc_co_u32_e32 v5, vcc, v21, v5, vcc
                                        ; implicit-def: $vgpr23
.LBB1412_164:
	s_andn2_saveexec_b64 s[4:5], s[4:5]
	s_cbranch_execz .LBB1412_166
; %bb.165:
	s_waitcnt lgkmcnt(2)
	v_add_co_u32_e32 v4, vcc, v1, v23
	v_addc_co_u32_e32 v5, vcc, 0, v16, vcc
.LBB1412_166:
	s_or_b64 exec, exec, s[4:5]
	s_waitcnt lgkmcnt(2)
	v_lshlrev_b64 v[4:5], 2, v[4:5]
	v_mov_b32_e32 v6, s25
	v_add_co_u32_e32 v4, vcc, s24, v4
	v_addc_co_u32_e32 v5, vcc, v6, v5, vcc
	s_waitcnt lgkmcnt(1)
	global_store_dword v[4:5], v2, off
	s_or_b64 exec, exec, s[2:3]
	v_cmp_gt_u32_e32 vcc, s33, v22
	s_and_saveexec_b64 s[2:3], vcc
	s_cbranch_execz .LBB1412_203
	s_branch .LBB1412_198
.LBB1412_167:
	s_or_b64 exec, exec, s[2:3]
	v_cmp_gt_u32_e32 vcc, s33, v32
	s_and_saveexec_b64 s[2:3], vcc
	s_cbranch_execz .LBB1412_137
.LBB1412_168:
	v_cmp_ge_u32_e32 vcc, v32, v18
                                        ; implicit-def: $vgpr14_vgpr15
	s_and_saveexec_b64 s[4:5], vcc
	s_xor_b64 s[4:5], exec, s[4:5]
	s_cbranch_execz .LBB1412_170
; %bb.169:
	s_waitcnt lgkmcnt(6)
	v_xor_b32_e32 v12, 0xfffffeff, v0
	v_ashrrev_i32_e32 v15, 31, v12
	v_add_co_u32_e32 v14, vcc, v19, v12
	v_addc_co_u32_e32 v15, vcc, v21, v15, vcc
                                        ; implicit-def: $vgpr32
.LBB1412_170:
	s_andn2_saveexec_b64 s[4:5], s[4:5]
; %bb.171:
	v_add_co_u32_e32 v14, vcc, v1, v32
	v_addc_co_u32_e32 v15, vcc, 0, v16, vcc
; %bb.172:
	s_or_b64 exec, exec, s[4:5]
	v_lshlrev_b64 v[14:15], 2, v[14:15]
	s_waitcnt lgkmcnt(6)
	v_mov_b32_e32 v12, s25
	v_add_co_u32_e32 v14, vcc, s24, v14
	v_addc_co_u32_e32 v15, vcc, v12, v15, vcc
	global_store_dword v[14:15], v13, off
	s_or_b64 exec, exec, s[2:3]
	v_cmp_gt_u32_e32 vcc, s33, v31
	s_and_saveexec_b64 s[2:3], vcc
	s_cbranch_execnz .LBB1412_138
.LBB1412_173:
	s_or_b64 exec, exec, s[2:3]
	v_cmp_gt_u32_e32 vcc, s33, v30
	s_and_saveexec_b64 s[2:3], vcc
	s_cbranch_execz .LBB1412_143
.LBB1412_174:
	v_cmp_ge_u32_e32 vcc, v30, v18
                                        ; implicit-def: $vgpr12_vgpr13
	s_and_saveexec_b64 s[4:5], vcc
	s_xor_b64 s[4:5], exec, s[4:5]
	s_cbranch_execz .LBB1412_176
; %bb.175:
	s_waitcnt lgkmcnt(5)
	v_xor_b32_e32 v10, 0xfffffcff, v0
	v_ashrrev_i32_e32 v13, 31, v10
	v_add_co_u32_e32 v12, vcc, v19, v10
	v_addc_co_u32_e32 v13, vcc, v21, v13, vcc
                                        ; implicit-def: $vgpr30
.LBB1412_176:
	s_andn2_saveexec_b64 s[4:5], s[4:5]
	s_cbranch_execz .LBB1412_178
; %bb.177:
	s_waitcnt lgkmcnt(6)
	v_add_co_u32_e32 v12, vcc, v1, v30
	v_addc_co_u32_e32 v13, vcc, 0, v16, vcc
.LBB1412_178:
	s_or_b64 exec, exec, s[4:5]
	s_waitcnt lgkmcnt(6)
	v_lshlrev_b64 v[12:13], 2, v[12:13]
	s_waitcnt lgkmcnt(5)
	v_mov_b32_e32 v10, s25
	v_add_co_u32_e32 v12, vcc, s24, v12
	v_addc_co_u32_e32 v13, vcc, v10, v13, vcc
	global_store_dword v[12:13], v11, off
	s_or_b64 exec, exec, s[2:3]
	v_cmp_gt_u32_e32 vcc, s33, v29
	s_and_saveexec_b64 s[2:3], vcc
	s_cbranch_execnz .LBB1412_144
.LBB1412_179:
	s_or_b64 exec, exec, s[2:3]
	v_cmp_gt_u32_e32 vcc, s33, v28
	s_and_saveexec_b64 s[2:3], vcc
	s_cbranch_execz .LBB1412_149
.LBB1412_180:
	v_cmp_ge_u32_e32 vcc, v28, v18
                                        ; implicit-def: $vgpr10_vgpr11
	s_and_saveexec_b64 s[4:5], vcc
	s_xor_b64 s[4:5], exec, s[4:5]
	s_cbranch_execz .LBB1412_182
; %bb.181:
	s_waitcnt lgkmcnt(4)
	v_xor_b32_e32 v8, 0xfffffaff, v0
	v_ashrrev_i32_e32 v11, 31, v8
	v_add_co_u32_e32 v10, vcc, v19, v8
	v_addc_co_u32_e32 v11, vcc, v21, v11, vcc
                                        ; implicit-def: $vgpr28
.LBB1412_182:
	s_andn2_saveexec_b64 s[4:5], s[4:5]
	s_cbranch_execz .LBB1412_184
; %bb.183:
	s_waitcnt lgkmcnt(5)
	v_add_co_u32_e32 v10, vcc, v1, v28
	v_addc_co_u32_e32 v11, vcc, 0, v16, vcc
.LBB1412_184:
	s_or_b64 exec, exec, s[4:5]
	s_waitcnt lgkmcnt(5)
	v_lshlrev_b64 v[10:11], 2, v[10:11]
	s_waitcnt lgkmcnt(4)
	v_mov_b32_e32 v8, s25
	v_add_co_u32_e32 v10, vcc, s24, v10
	v_addc_co_u32_e32 v11, vcc, v8, v11, vcc
	global_store_dword v[10:11], v9, off
	s_or_b64 exec, exec, s[2:3]
	v_cmp_gt_u32_e32 vcc, s33, v27
	s_and_saveexec_b64 s[2:3], vcc
	s_cbranch_execnz .LBB1412_150
.LBB1412_185:
	s_or_b64 exec, exec, s[2:3]
	v_cmp_gt_u32_e32 vcc, s33, v26
	s_and_saveexec_b64 s[2:3], vcc
	s_cbranch_execz .LBB1412_155
.LBB1412_186:
	v_cmp_ge_u32_e32 vcc, v26, v18
                                        ; implicit-def: $vgpr8_vgpr9
	s_and_saveexec_b64 s[4:5], vcc
	s_xor_b64 s[4:5], exec, s[4:5]
	s_cbranch_execz .LBB1412_188
; %bb.187:
	s_waitcnt lgkmcnt(3)
	v_xor_b32_e32 v6, 0xfffff8ff, v0
	v_ashrrev_i32_e32 v9, 31, v6
	v_add_co_u32_e32 v8, vcc, v19, v6
	v_addc_co_u32_e32 v9, vcc, v21, v9, vcc
                                        ; implicit-def: $vgpr26
.LBB1412_188:
	s_andn2_saveexec_b64 s[4:5], s[4:5]
	s_cbranch_execz .LBB1412_190
; %bb.189:
	s_waitcnt lgkmcnt(4)
	v_add_co_u32_e32 v8, vcc, v1, v26
	v_addc_co_u32_e32 v9, vcc, 0, v16, vcc
.LBB1412_190:
	s_or_b64 exec, exec, s[4:5]
	s_waitcnt lgkmcnt(4)
	v_lshlrev_b64 v[8:9], 2, v[8:9]
	s_waitcnt lgkmcnt(3)
	v_mov_b32_e32 v6, s25
	v_add_co_u32_e32 v8, vcc, s24, v8
	v_addc_co_u32_e32 v9, vcc, v6, v9, vcc
	global_store_dword v[8:9], v7, off
	s_or_b64 exec, exec, s[2:3]
	v_cmp_gt_u32_e32 vcc, s33, v25
	s_and_saveexec_b64 s[2:3], vcc
	s_cbranch_execnz .LBB1412_156
.LBB1412_191:
	s_or_b64 exec, exec, s[2:3]
	v_cmp_gt_u32_e32 vcc, s33, v24
	s_and_saveexec_b64 s[2:3], vcc
	s_cbranch_execz .LBB1412_161
.LBB1412_192:
	v_cmp_ge_u32_e32 vcc, v24, v18
                                        ; implicit-def: $vgpr6_vgpr7
	s_and_saveexec_b64 s[4:5], vcc
	s_xor_b64 s[4:5], exec, s[4:5]
	s_cbranch_execz .LBB1412_194
; %bb.193:
	s_waitcnt lgkmcnt(2)
	v_xor_b32_e32 v4, 0xfffff6ff, v0
	v_ashrrev_i32_e32 v7, 31, v4
	v_add_co_u32_e32 v6, vcc, v19, v4
	v_addc_co_u32_e32 v7, vcc, v21, v7, vcc
                                        ; implicit-def: $vgpr24
.LBB1412_194:
	s_andn2_saveexec_b64 s[4:5], s[4:5]
	s_cbranch_execz .LBB1412_196
; %bb.195:
	s_waitcnt lgkmcnt(3)
	v_add_co_u32_e32 v6, vcc, v1, v24
	v_addc_co_u32_e32 v7, vcc, 0, v16, vcc
.LBB1412_196:
	s_or_b64 exec, exec, s[4:5]
	s_waitcnt lgkmcnt(3)
	v_lshlrev_b64 v[6:7], 2, v[6:7]
	s_waitcnt lgkmcnt(2)
	v_mov_b32_e32 v4, s25
	v_add_co_u32_e32 v6, vcc, s24, v6
	v_addc_co_u32_e32 v7, vcc, v4, v7, vcc
	global_store_dword v[6:7], v5, off
	s_or_b64 exec, exec, s[2:3]
	v_cmp_gt_u32_e32 vcc, s33, v23
	s_and_saveexec_b64 s[2:3], vcc
	s_cbranch_execnz .LBB1412_162
.LBB1412_197:
	s_or_b64 exec, exec, s[2:3]
	v_cmp_gt_u32_e32 vcc, s33, v22
	s_and_saveexec_b64 s[2:3], vcc
	s_cbranch_execz .LBB1412_203
.LBB1412_198:
	v_cmp_ge_u32_e32 vcc, v22, v18
                                        ; implicit-def: $vgpr4_vgpr5
	s_and_saveexec_b64 s[4:5], vcc
	s_xor_b64 s[4:5], exec, s[4:5]
	s_cbranch_execz .LBB1412_200
; %bb.199:
	s_waitcnt lgkmcnt(1)
	v_xor_b32_e32 v2, 0xfffff4ff, v0
	v_ashrrev_i32_e32 v5, 31, v2
	v_add_co_u32_e32 v4, vcc, v19, v2
	v_addc_co_u32_e32 v5, vcc, v21, v5, vcc
                                        ; implicit-def: $vgpr22
.LBB1412_200:
	s_andn2_saveexec_b64 s[4:5], s[4:5]
	s_cbranch_execz .LBB1412_202
; %bb.201:
	s_waitcnt lgkmcnt(2)
	v_add_co_u32_e32 v4, vcc, v1, v22
	v_addc_co_u32_e32 v5, vcc, 0, v16, vcc
.LBB1412_202:
	s_or_b64 exec, exec, s[4:5]
	s_waitcnt lgkmcnt(2)
	v_lshlrev_b64 v[4:5], 2, v[4:5]
	s_waitcnt lgkmcnt(1)
	v_mov_b32_e32 v2, s25
	v_add_co_u32_e32 v4, vcc, s24, v4
	v_addc_co_u32_e32 v5, vcc, v2, v5, vcc
	global_store_dword v[4:5], v3, off
.LBB1412_203:
	s_or_b64 exec, exec, s[2:3]
	v_cmp_gt_u32_e32 vcc, s33, v20
                                        ; implicit-def: $vgpr14_vgpr15
	s_and_saveexec_b64 s[2:3], vcc
	s_cbranch_execz .LBB1412_209
; %bb.204:
	v_cmp_ge_u32_e32 vcc, v20, v18
                                        ; implicit-def: $vgpr14_vgpr15
	s_and_saveexec_b64 s[4:5], vcc
	s_xor_b64 s[4:5], exec, s[4:5]
	s_cbranch_execz .LBB1412_206
; %bb.205:
	s_waitcnt lgkmcnt(1)
	v_xor_b32_e32 v2, 0xfffff3ff, v0
	v_ashrrev_i32_e32 v3, 31, v2
	v_add_co_u32_e32 v14, vcc, v19, v2
	v_addc_co_u32_e32 v15, vcc, v21, v3, vcc
                                        ; implicit-def: $vgpr20
.LBB1412_206:
	s_andn2_saveexec_b64 s[4:5], s[4:5]
; %bb.207:
	v_add_co_u32_e32 v14, vcc, v1, v20
	v_addc_co_u32_e32 v15, vcc, 0, v16, vcc
; %bb.208:
	s_or_b64 exec, exec, s[4:5]
	s_or_b64 s[0:1], s[0:1], exec
.LBB1412_209:
	s_or_b64 exec, exec, s[2:3]
.LBB1412_210:
	s_and_saveexec_b64 s[2:3], s[0:1]
	s_cbranch_execz .LBB1412_212
; %bb.211:
	s_waitcnt lgkmcnt(1)
	v_lshlrev_b64 v[2:3], 2, v[14:15]
	v_mov_b32_e32 v4, s25
	v_add_co_u32_e32 v2, vcc, s24, v2
	v_addc_co_u32_e32 v3, vcc, v4, v3, vcc
	s_waitcnt lgkmcnt(0)
	global_store_dword v[2:3], v17, off
.LBB1412_212:
	s_or_b64 exec, exec, s[2:3]
	v_cmp_eq_u32_e32 vcc, 0, v0
	s_and_b64 s[0:1], vcc, s[22:23]
	s_and_saveexec_b64 s[2:3], s[0:1]
	s_cbranch_execz .LBB1412_214
; %bb.213:
	v_add_co_u32_e32 v0, vcc, v1, v18
	s_waitcnt lgkmcnt(1)
	v_mov_b32_e32 v2, 0
	v_addc_co_u32_e32 v1, vcc, 0, v16, vcc
	global_store_dwordx2 v2, v[0:1], s[20:21]
.LBB1412_214:
	s_endpgm
	.section	.rodata,"a",@progbits
	.p2align	6, 0x0
	.amdhsa_kernel _ZN7rocprim17ROCPRIM_400000_NS6detail17trampoline_kernelINS0_13select_configILj256ELj13ELNS0_17block_load_methodE3ELS4_3ELS4_3ELNS0_20block_scan_algorithmE0ELj4294967295EEENS1_25partition_config_selectorILNS1_17partition_subalgoE3EjNS0_10empty_typeEbEEZZNS1_14partition_implILS8_3ELb0ES6_jNS0_17counting_iteratorIjlEEPS9_SE_NS0_5tupleIJPjSE_EEENSF_IJSE_SE_EEES9_SG_JZNS1_25segmented_radix_sort_implINS0_14default_configELb0EPKfPfPKlPlN2at6native12_GLOBAL__N_18offset_tEEE10hipError_tPvRmT1_PNSt15iterator_traitsISY_E10value_typeET2_T3_PNSZ_IS14_E10value_typeET4_jRbjT5_S1A_jjP12ihipStream_tbEUljE_EEESV_SW_SX_S14_S18_S1A_T6_T7_T9_mT8_S1C_bDpT10_ENKUlT_T0_E_clISt17integral_constantIbLb1EES1O_IbLb0EEEEDaS1K_S1L_EUlS1K_E_NS1_11comp_targetILNS1_3genE4ELNS1_11target_archE910ELNS1_3gpuE8ELNS1_3repE0EEENS1_30default_config_static_selectorELNS0_4arch9wavefront6targetE1EEEvSY_
		.amdhsa_group_segment_fixed_size 13324
		.amdhsa_private_segment_fixed_size 0
		.amdhsa_kernarg_size 144
		.amdhsa_user_sgpr_count 6
		.amdhsa_user_sgpr_private_segment_buffer 1
		.amdhsa_user_sgpr_dispatch_ptr 0
		.amdhsa_user_sgpr_queue_ptr 0
		.amdhsa_user_sgpr_kernarg_segment_ptr 1
		.amdhsa_user_sgpr_dispatch_id 0
		.amdhsa_user_sgpr_flat_scratch_init 0
		.amdhsa_user_sgpr_kernarg_preload_length 0
		.amdhsa_user_sgpr_kernarg_preload_offset 0
		.amdhsa_user_sgpr_private_segment_size 0
		.amdhsa_uses_dynamic_stack 0
		.amdhsa_system_sgpr_private_segment_wavefront_offset 0
		.amdhsa_system_sgpr_workgroup_id_x 1
		.amdhsa_system_sgpr_workgroup_id_y 0
		.amdhsa_system_sgpr_workgroup_id_z 0
		.amdhsa_system_sgpr_workgroup_info 0
		.amdhsa_system_vgpr_workitem_id 0
		.amdhsa_next_free_vgpr 61
		.amdhsa_next_free_sgpr 46
		.amdhsa_accum_offset 64
		.amdhsa_reserve_vcc 1
		.amdhsa_reserve_flat_scratch 0
		.amdhsa_float_round_mode_32 0
		.amdhsa_float_round_mode_16_64 0
		.amdhsa_float_denorm_mode_32 3
		.amdhsa_float_denorm_mode_16_64 3
		.amdhsa_dx10_clamp 1
		.amdhsa_ieee_mode 1
		.amdhsa_fp16_overflow 0
		.amdhsa_tg_split 0
		.amdhsa_exception_fp_ieee_invalid_op 0
		.amdhsa_exception_fp_denorm_src 0
		.amdhsa_exception_fp_ieee_div_zero 0
		.amdhsa_exception_fp_ieee_overflow 0
		.amdhsa_exception_fp_ieee_underflow 0
		.amdhsa_exception_fp_ieee_inexact 0
		.amdhsa_exception_int_div_zero 0
	.end_amdhsa_kernel
	.section	.text._ZN7rocprim17ROCPRIM_400000_NS6detail17trampoline_kernelINS0_13select_configILj256ELj13ELNS0_17block_load_methodE3ELS4_3ELS4_3ELNS0_20block_scan_algorithmE0ELj4294967295EEENS1_25partition_config_selectorILNS1_17partition_subalgoE3EjNS0_10empty_typeEbEEZZNS1_14partition_implILS8_3ELb0ES6_jNS0_17counting_iteratorIjlEEPS9_SE_NS0_5tupleIJPjSE_EEENSF_IJSE_SE_EEES9_SG_JZNS1_25segmented_radix_sort_implINS0_14default_configELb0EPKfPfPKlPlN2at6native12_GLOBAL__N_18offset_tEEE10hipError_tPvRmT1_PNSt15iterator_traitsISY_E10value_typeET2_T3_PNSZ_IS14_E10value_typeET4_jRbjT5_S1A_jjP12ihipStream_tbEUljE_EEESV_SW_SX_S14_S18_S1A_T6_T7_T9_mT8_S1C_bDpT10_ENKUlT_T0_E_clISt17integral_constantIbLb1EES1O_IbLb0EEEEDaS1K_S1L_EUlS1K_E_NS1_11comp_targetILNS1_3genE4ELNS1_11target_archE910ELNS1_3gpuE8ELNS1_3repE0EEENS1_30default_config_static_selectorELNS0_4arch9wavefront6targetE1EEEvSY_,"axG",@progbits,_ZN7rocprim17ROCPRIM_400000_NS6detail17trampoline_kernelINS0_13select_configILj256ELj13ELNS0_17block_load_methodE3ELS4_3ELS4_3ELNS0_20block_scan_algorithmE0ELj4294967295EEENS1_25partition_config_selectorILNS1_17partition_subalgoE3EjNS0_10empty_typeEbEEZZNS1_14partition_implILS8_3ELb0ES6_jNS0_17counting_iteratorIjlEEPS9_SE_NS0_5tupleIJPjSE_EEENSF_IJSE_SE_EEES9_SG_JZNS1_25segmented_radix_sort_implINS0_14default_configELb0EPKfPfPKlPlN2at6native12_GLOBAL__N_18offset_tEEE10hipError_tPvRmT1_PNSt15iterator_traitsISY_E10value_typeET2_T3_PNSZ_IS14_E10value_typeET4_jRbjT5_S1A_jjP12ihipStream_tbEUljE_EEESV_SW_SX_S14_S18_S1A_T6_T7_T9_mT8_S1C_bDpT10_ENKUlT_T0_E_clISt17integral_constantIbLb1EES1O_IbLb0EEEEDaS1K_S1L_EUlS1K_E_NS1_11comp_targetILNS1_3genE4ELNS1_11target_archE910ELNS1_3gpuE8ELNS1_3repE0EEENS1_30default_config_static_selectorELNS0_4arch9wavefront6targetE1EEEvSY_,comdat
.Lfunc_end1412:
	.size	_ZN7rocprim17ROCPRIM_400000_NS6detail17trampoline_kernelINS0_13select_configILj256ELj13ELNS0_17block_load_methodE3ELS4_3ELS4_3ELNS0_20block_scan_algorithmE0ELj4294967295EEENS1_25partition_config_selectorILNS1_17partition_subalgoE3EjNS0_10empty_typeEbEEZZNS1_14partition_implILS8_3ELb0ES6_jNS0_17counting_iteratorIjlEEPS9_SE_NS0_5tupleIJPjSE_EEENSF_IJSE_SE_EEES9_SG_JZNS1_25segmented_radix_sort_implINS0_14default_configELb0EPKfPfPKlPlN2at6native12_GLOBAL__N_18offset_tEEE10hipError_tPvRmT1_PNSt15iterator_traitsISY_E10value_typeET2_T3_PNSZ_IS14_E10value_typeET4_jRbjT5_S1A_jjP12ihipStream_tbEUljE_EEESV_SW_SX_S14_S18_S1A_T6_T7_T9_mT8_S1C_bDpT10_ENKUlT_T0_E_clISt17integral_constantIbLb1EES1O_IbLb0EEEEDaS1K_S1L_EUlS1K_E_NS1_11comp_targetILNS1_3genE4ELNS1_11target_archE910ELNS1_3gpuE8ELNS1_3repE0EEENS1_30default_config_static_selectorELNS0_4arch9wavefront6targetE1EEEvSY_, .Lfunc_end1412-_ZN7rocprim17ROCPRIM_400000_NS6detail17trampoline_kernelINS0_13select_configILj256ELj13ELNS0_17block_load_methodE3ELS4_3ELS4_3ELNS0_20block_scan_algorithmE0ELj4294967295EEENS1_25partition_config_selectorILNS1_17partition_subalgoE3EjNS0_10empty_typeEbEEZZNS1_14partition_implILS8_3ELb0ES6_jNS0_17counting_iteratorIjlEEPS9_SE_NS0_5tupleIJPjSE_EEENSF_IJSE_SE_EEES9_SG_JZNS1_25segmented_radix_sort_implINS0_14default_configELb0EPKfPfPKlPlN2at6native12_GLOBAL__N_18offset_tEEE10hipError_tPvRmT1_PNSt15iterator_traitsISY_E10value_typeET2_T3_PNSZ_IS14_E10value_typeET4_jRbjT5_S1A_jjP12ihipStream_tbEUljE_EEESV_SW_SX_S14_S18_S1A_T6_T7_T9_mT8_S1C_bDpT10_ENKUlT_T0_E_clISt17integral_constantIbLb1EES1O_IbLb0EEEEDaS1K_S1L_EUlS1K_E_NS1_11comp_targetILNS1_3genE4ELNS1_11target_archE910ELNS1_3gpuE8ELNS1_3repE0EEENS1_30default_config_static_selectorELNS0_4arch9wavefront6targetE1EEEvSY_
                                        ; -- End function
	.section	.AMDGPU.csdata,"",@progbits
; Kernel info:
; codeLenInByte = 7756
; NumSgprs: 50
; NumVgprs: 61
; NumAgprs: 0
; TotalNumVgprs: 61
; ScratchSize: 0
; MemoryBound: 0
; FloatMode: 240
; IeeeMode: 1
; LDSByteSize: 13324 bytes/workgroup (compile time only)
; SGPRBlocks: 6
; VGPRBlocks: 7
; NumSGPRsForWavesPerEU: 50
; NumVGPRsForWavesPerEU: 61
; AccumOffset: 64
; Occupancy: 4
; WaveLimiterHint : 0
; COMPUTE_PGM_RSRC2:SCRATCH_EN: 0
; COMPUTE_PGM_RSRC2:USER_SGPR: 6
; COMPUTE_PGM_RSRC2:TRAP_HANDLER: 0
; COMPUTE_PGM_RSRC2:TGID_X_EN: 1
; COMPUTE_PGM_RSRC2:TGID_Y_EN: 0
; COMPUTE_PGM_RSRC2:TGID_Z_EN: 0
; COMPUTE_PGM_RSRC2:TIDIG_COMP_CNT: 0
; COMPUTE_PGM_RSRC3_GFX90A:ACCUM_OFFSET: 15
; COMPUTE_PGM_RSRC3_GFX90A:TG_SPLIT: 0
	.section	.text._ZN7rocprim17ROCPRIM_400000_NS6detail17trampoline_kernelINS0_13select_configILj256ELj13ELNS0_17block_load_methodE3ELS4_3ELS4_3ELNS0_20block_scan_algorithmE0ELj4294967295EEENS1_25partition_config_selectorILNS1_17partition_subalgoE3EjNS0_10empty_typeEbEEZZNS1_14partition_implILS8_3ELb0ES6_jNS0_17counting_iteratorIjlEEPS9_SE_NS0_5tupleIJPjSE_EEENSF_IJSE_SE_EEES9_SG_JZNS1_25segmented_radix_sort_implINS0_14default_configELb0EPKfPfPKlPlN2at6native12_GLOBAL__N_18offset_tEEE10hipError_tPvRmT1_PNSt15iterator_traitsISY_E10value_typeET2_T3_PNSZ_IS14_E10value_typeET4_jRbjT5_S1A_jjP12ihipStream_tbEUljE_EEESV_SW_SX_S14_S18_S1A_T6_T7_T9_mT8_S1C_bDpT10_ENKUlT_T0_E_clISt17integral_constantIbLb1EES1O_IbLb0EEEEDaS1K_S1L_EUlS1K_E_NS1_11comp_targetILNS1_3genE3ELNS1_11target_archE908ELNS1_3gpuE7ELNS1_3repE0EEENS1_30default_config_static_selectorELNS0_4arch9wavefront6targetE1EEEvSY_,"axG",@progbits,_ZN7rocprim17ROCPRIM_400000_NS6detail17trampoline_kernelINS0_13select_configILj256ELj13ELNS0_17block_load_methodE3ELS4_3ELS4_3ELNS0_20block_scan_algorithmE0ELj4294967295EEENS1_25partition_config_selectorILNS1_17partition_subalgoE3EjNS0_10empty_typeEbEEZZNS1_14partition_implILS8_3ELb0ES6_jNS0_17counting_iteratorIjlEEPS9_SE_NS0_5tupleIJPjSE_EEENSF_IJSE_SE_EEES9_SG_JZNS1_25segmented_radix_sort_implINS0_14default_configELb0EPKfPfPKlPlN2at6native12_GLOBAL__N_18offset_tEEE10hipError_tPvRmT1_PNSt15iterator_traitsISY_E10value_typeET2_T3_PNSZ_IS14_E10value_typeET4_jRbjT5_S1A_jjP12ihipStream_tbEUljE_EEESV_SW_SX_S14_S18_S1A_T6_T7_T9_mT8_S1C_bDpT10_ENKUlT_T0_E_clISt17integral_constantIbLb1EES1O_IbLb0EEEEDaS1K_S1L_EUlS1K_E_NS1_11comp_targetILNS1_3genE3ELNS1_11target_archE908ELNS1_3gpuE7ELNS1_3repE0EEENS1_30default_config_static_selectorELNS0_4arch9wavefront6targetE1EEEvSY_,comdat
	.globl	_ZN7rocprim17ROCPRIM_400000_NS6detail17trampoline_kernelINS0_13select_configILj256ELj13ELNS0_17block_load_methodE3ELS4_3ELS4_3ELNS0_20block_scan_algorithmE0ELj4294967295EEENS1_25partition_config_selectorILNS1_17partition_subalgoE3EjNS0_10empty_typeEbEEZZNS1_14partition_implILS8_3ELb0ES6_jNS0_17counting_iteratorIjlEEPS9_SE_NS0_5tupleIJPjSE_EEENSF_IJSE_SE_EEES9_SG_JZNS1_25segmented_radix_sort_implINS0_14default_configELb0EPKfPfPKlPlN2at6native12_GLOBAL__N_18offset_tEEE10hipError_tPvRmT1_PNSt15iterator_traitsISY_E10value_typeET2_T3_PNSZ_IS14_E10value_typeET4_jRbjT5_S1A_jjP12ihipStream_tbEUljE_EEESV_SW_SX_S14_S18_S1A_T6_T7_T9_mT8_S1C_bDpT10_ENKUlT_T0_E_clISt17integral_constantIbLb1EES1O_IbLb0EEEEDaS1K_S1L_EUlS1K_E_NS1_11comp_targetILNS1_3genE3ELNS1_11target_archE908ELNS1_3gpuE7ELNS1_3repE0EEENS1_30default_config_static_selectorELNS0_4arch9wavefront6targetE1EEEvSY_ ; -- Begin function _ZN7rocprim17ROCPRIM_400000_NS6detail17trampoline_kernelINS0_13select_configILj256ELj13ELNS0_17block_load_methodE3ELS4_3ELS4_3ELNS0_20block_scan_algorithmE0ELj4294967295EEENS1_25partition_config_selectorILNS1_17partition_subalgoE3EjNS0_10empty_typeEbEEZZNS1_14partition_implILS8_3ELb0ES6_jNS0_17counting_iteratorIjlEEPS9_SE_NS0_5tupleIJPjSE_EEENSF_IJSE_SE_EEES9_SG_JZNS1_25segmented_radix_sort_implINS0_14default_configELb0EPKfPfPKlPlN2at6native12_GLOBAL__N_18offset_tEEE10hipError_tPvRmT1_PNSt15iterator_traitsISY_E10value_typeET2_T3_PNSZ_IS14_E10value_typeET4_jRbjT5_S1A_jjP12ihipStream_tbEUljE_EEESV_SW_SX_S14_S18_S1A_T6_T7_T9_mT8_S1C_bDpT10_ENKUlT_T0_E_clISt17integral_constantIbLb1EES1O_IbLb0EEEEDaS1K_S1L_EUlS1K_E_NS1_11comp_targetILNS1_3genE3ELNS1_11target_archE908ELNS1_3gpuE7ELNS1_3repE0EEENS1_30default_config_static_selectorELNS0_4arch9wavefront6targetE1EEEvSY_
	.p2align	8
	.type	_ZN7rocprim17ROCPRIM_400000_NS6detail17trampoline_kernelINS0_13select_configILj256ELj13ELNS0_17block_load_methodE3ELS4_3ELS4_3ELNS0_20block_scan_algorithmE0ELj4294967295EEENS1_25partition_config_selectorILNS1_17partition_subalgoE3EjNS0_10empty_typeEbEEZZNS1_14partition_implILS8_3ELb0ES6_jNS0_17counting_iteratorIjlEEPS9_SE_NS0_5tupleIJPjSE_EEENSF_IJSE_SE_EEES9_SG_JZNS1_25segmented_radix_sort_implINS0_14default_configELb0EPKfPfPKlPlN2at6native12_GLOBAL__N_18offset_tEEE10hipError_tPvRmT1_PNSt15iterator_traitsISY_E10value_typeET2_T3_PNSZ_IS14_E10value_typeET4_jRbjT5_S1A_jjP12ihipStream_tbEUljE_EEESV_SW_SX_S14_S18_S1A_T6_T7_T9_mT8_S1C_bDpT10_ENKUlT_T0_E_clISt17integral_constantIbLb1EES1O_IbLb0EEEEDaS1K_S1L_EUlS1K_E_NS1_11comp_targetILNS1_3genE3ELNS1_11target_archE908ELNS1_3gpuE7ELNS1_3repE0EEENS1_30default_config_static_selectorELNS0_4arch9wavefront6targetE1EEEvSY_,@function
_ZN7rocprim17ROCPRIM_400000_NS6detail17trampoline_kernelINS0_13select_configILj256ELj13ELNS0_17block_load_methodE3ELS4_3ELS4_3ELNS0_20block_scan_algorithmE0ELj4294967295EEENS1_25partition_config_selectorILNS1_17partition_subalgoE3EjNS0_10empty_typeEbEEZZNS1_14partition_implILS8_3ELb0ES6_jNS0_17counting_iteratorIjlEEPS9_SE_NS0_5tupleIJPjSE_EEENSF_IJSE_SE_EEES9_SG_JZNS1_25segmented_radix_sort_implINS0_14default_configELb0EPKfPfPKlPlN2at6native12_GLOBAL__N_18offset_tEEE10hipError_tPvRmT1_PNSt15iterator_traitsISY_E10value_typeET2_T3_PNSZ_IS14_E10value_typeET4_jRbjT5_S1A_jjP12ihipStream_tbEUljE_EEESV_SW_SX_S14_S18_S1A_T6_T7_T9_mT8_S1C_bDpT10_ENKUlT_T0_E_clISt17integral_constantIbLb1EES1O_IbLb0EEEEDaS1K_S1L_EUlS1K_E_NS1_11comp_targetILNS1_3genE3ELNS1_11target_archE908ELNS1_3gpuE7ELNS1_3repE0EEENS1_30default_config_static_selectorELNS0_4arch9wavefront6targetE1EEEvSY_: ; @_ZN7rocprim17ROCPRIM_400000_NS6detail17trampoline_kernelINS0_13select_configILj256ELj13ELNS0_17block_load_methodE3ELS4_3ELS4_3ELNS0_20block_scan_algorithmE0ELj4294967295EEENS1_25partition_config_selectorILNS1_17partition_subalgoE3EjNS0_10empty_typeEbEEZZNS1_14partition_implILS8_3ELb0ES6_jNS0_17counting_iteratorIjlEEPS9_SE_NS0_5tupleIJPjSE_EEENSF_IJSE_SE_EEES9_SG_JZNS1_25segmented_radix_sort_implINS0_14default_configELb0EPKfPfPKlPlN2at6native12_GLOBAL__N_18offset_tEEE10hipError_tPvRmT1_PNSt15iterator_traitsISY_E10value_typeET2_T3_PNSZ_IS14_E10value_typeET4_jRbjT5_S1A_jjP12ihipStream_tbEUljE_EEESV_SW_SX_S14_S18_S1A_T6_T7_T9_mT8_S1C_bDpT10_ENKUlT_T0_E_clISt17integral_constantIbLb1EES1O_IbLb0EEEEDaS1K_S1L_EUlS1K_E_NS1_11comp_targetILNS1_3genE3ELNS1_11target_archE908ELNS1_3gpuE7ELNS1_3repE0EEENS1_30default_config_static_selectorELNS0_4arch9wavefront6targetE1EEEvSY_
; %bb.0:
	.section	.rodata,"a",@progbits
	.p2align	6, 0x0
	.amdhsa_kernel _ZN7rocprim17ROCPRIM_400000_NS6detail17trampoline_kernelINS0_13select_configILj256ELj13ELNS0_17block_load_methodE3ELS4_3ELS4_3ELNS0_20block_scan_algorithmE0ELj4294967295EEENS1_25partition_config_selectorILNS1_17partition_subalgoE3EjNS0_10empty_typeEbEEZZNS1_14partition_implILS8_3ELb0ES6_jNS0_17counting_iteratorIjlEEPS9_SE_NS0_5tupleIJPjSE_EEENSF_IJSE_SE_EEES9_SG_JZNS1_25segmented_radix_sort_implINS0_14default_configELb0EPKfPfPKlPlN2at6native12_GLOBAL__N_18offset_tEEE10hipError_tPvRmT1_PNSt15iterator_traitsISY_E10value_typeET2_T3_PNSZ_IS14_E10value_typeET4_jRbjT5_S1A_jjP12ihipStream_tbEUljE_EEESV_SW_SX_S14_S18_S1A_T6_T7_T9_mT8_S1C_bDpT10_ENKUlT_T0_E_clISt17integral_constantIbLb1EES1O_IbLb0EEEEDaS1K_S1L_EUlS1K_E_NS1_11comp_targetILNS1_3genE3ELNS1_11target_archE908ELNS1_3gpuE7ELNS1_3repE0EEENS1_30default_config_static_selectorELNS0_4arch9wavefront6targetE1EEEvSY_
		.amdhsa_group_segment_fixed_size 0
		.amdhsa_private_segment_fixed_size 0
		.amdhsa_kernarg_size 144
		.amdhsa_user_sgpr_count 6
		.amdhsa_user_sgpr_private_segment_buffer 1
		.amdhsa_user_sgpr_dispatch_ptr 0
		.amdhsa_user_sgpr_queue_ptr 0
		.amdhsa_user_sgpr_kernarg_segment_ptr 1
		.amdhsa_user_sgpr_dispatch_id 0
		.amdhsa_user_sgpr_flat_scratch_init 0
		.amdhsa_user_sgpr_kernarg_preload_length 0
		.amdhsa_user_sgpr_kernarg_preload_offset 0
		.amdhsa_user_sgpr_private_segment_size 0
		.amdhsa_uses_dynamic_stack 0
		.amdhsa_system_sgpr_private_segment_wavefront_offset 0
		.amdhsa_system_sgpr_workgroup_id_x 1
		.amdhsa_system_sgpr_workgroup_id_y 0
		.amdhsa_system_sgpr_workgroup_id_z 0
		.amdhsa_system_sgpr_workgroup_info 0
		.amdhsa_system_vgpr_workitem_id 0
		.amdhsa_next_free_vgpr 1
		.amdhsa_next_free_sgpr 0
		.amdhsa_accum_offset 4
		.amdhsa_reserve_vcc 0
		.amdhsa_reserve_flat_scratch 0
		.amdhsa_float_round_mode_32 0
		.amdhsa_float_round_mode_16_64 0
		.amdhsa_float_denorm_mode_32 3
		.amdhsa_float_denorm_mode_16_64 3
		.amdhsa_dx10_clamp 1
		.amdhsa_ieee_mode 1
		.amdhsa_fp16_overflow 0
		.amdhsa_tg_split 0
		.amdhsa_exception_fp_ieee_invalid_op 0
		.amdhsa_exception_fp_denorm_src 0
		.amdhsa_exception_fp_ieee_div_zero 0
		.amdhsa_exception_fp_ieee_overflow 0
		.amdhsa_exception_fp_ieee_underflow 0
		.amdhsa_exception_fp_ieee_inexact 0
		.amdhsa_exception_int_div_zero 0
	.end_amdhsa_kernel
	.section	.text._ZN7rocprim17ROCPRIM_400000_NS6detail17trampoline_kernelINS0_13select_configILj256ELj13ELNS0_17block_load_methodE3ELS4_3ELS4_3ELNS0_20block_scan_algorithmE0ELj4294967295EEENS1_25partition_config_selectorILNS1_17partition_subalgoE3EjNS0_10empty_typeEbEEZZNS1_14partition_implILS8_3ELb0ES6_jNS0_17counting_iteratorIjlEEPS9_SE_NS0_5tupleIJPjSE_EEENSF_IJSE_SE_EEES9_SG_JZNS1_25segmented_radix_sort_implINS0_14default_configELb0EPKfPfPKlPlN2at6native12_GLOBAL__N_18offset_tEEE10hipError_tPvRmT1_PNSt15iterator_traitsISY_E10value_typeET2_T3_PNSZ_IS14_E10value_typeET4_jRbjT5_S1A_jjP12ihipStream_tbEUljE_EEESV_SW_SX_S14_S18_S1A_T6_T7_T9_mT8_S1C_bDpT10_ENKUlT_T0_E_clISt17integral_constantIbLb1EES1O_IbLb0EEEEDaS1K_S1L_EUlS1K_E_NS1_11comp_targetILNS1_3genE3ELNS1_11target_archE908ELNS1_3gpuE7ELNS1_3repE0EEENS1_30default_config_static_selectorELNS0_4arch9wavefront6targetE1EEEvSY_,"axG",@progbits,_ZN7rocprim17ROCPRIM_400000_NS6detail17trampoline_kernelINS0_13select_configILj256ELj13ELNS0_17block_load_methodE3ELS4_3ELS4_3ELNS0_20block_scan_algorithmE0ELj4294967295EEENS1_25partition_config_selectorILNS1_17partition_subalgoE3EjNS0_10empty_typeEbEEZZNS1_14partition_implILS8_3ELb0ES6_jNS0_17counting_iteratorIjlEEPS9_SE_NS0_5tupleIJPjSE_EEENSF_IJSE_SE_EEES9_SG_JZNS1_25segmented_radix_sort_implINS0_14default_configELb0EPKfPfPKlPlN2at6native12_GLOBAL__N_18offset_tEEE10hipError_tPvRmT1_PNSt15iterator_traitsISY_E10value_typeET2_T3_PNSZ_IS14_E10value_typeET4_jRbjT5_S1A_jjP12ihipStream_tbEUljE_EEESV_SW_SX_S14_S18_S1A_T6_T7_T9_mT8_S1C_bDpT10_ENKUlT_T0_E_clISt17integral_constantIbLb1EES1O_IbLb0EEEEDaS1K_S1L_EUlS1K_E_NS1_11comp_targetILNS1_3genE3ELNS1_11target_archE908ELNS1_3gpuE7ELNS1_3repE0EEENS1_30default_config_static_selectorELNS0_4arch9wavefront6targetE1EEEvSY_,comdat
.Lfunc_end1413:
	.size	_ZN7rocprim17ROCPRIM_400000_NS6detail17trampoline_kernelINS0_13select_configILj256ELj13ELNS0_17block_load_methodE3ELS4_3ELS4_3ELNS0_20block_scan_algorithmE0ELj4294967295EEENS1_25partition_config_selectorILNS1_17partition_subalgoE3EjNS0_10empty_typeEbEEZZNS1_14partition_implILS8_3ELb0ES6_jNS0_17counting_iteratorIjlEEPS9_SE_NS0_5tupleIJPjSE_EEENSF_IJSE_SE_EEES9_SG_JZNS1_25segmented_radix_sort_implINS0_14default_configELb0EPKfPfPKlPlN2at6native12_GLOBAL__N_18offset_tEEE10hipError_tPvRmT1_PNSt15iterator_traitsISY_E10value_typeET2_T3_PNSZ_IS14_E10value_typeET4_jRbjT5_S1A_jjP12ihipStream_tbEUljE_EEESV_SW_SX_S14_S18_S1A_T6_T7_T9_mT8_S1C_bDpT10_ENKUlT_T0_E_clISt17integral_constantIbLb1EES1O_IbLb0EEEEDaS1K_S1L_EUlS1K_E_NS1_11comp_targetILNS1_3genE3ELNS1_11target_archE908ELNS1_3gpuE7ELNS1_3repE0EEENS1_30default_config_static_selectorELNS0_4arch9wavefront6targetE1EEEvSY_, .Lfunc_end1413-_ZN7rocprim17ROCPRIM_400000_NS6detail17trampoline_kernelINS0_13select_configILj256ELj13ELNS0_17block_load_methodE3ELS4_3ELS4_3ELNS0_20block_scan_algorithmE0ELj4294967295EEENS1_25partition_config_selectorILNS1_17partition_subalgoE3EjNS0_10empty_typeEbEEZZNS1_14partition_implILS8_3ELb0ES6_jNS0_17counting_iteratorIjlEEPS9_SE_NS0_5tupleIJPjSE_EEENSF_IJSE_SE_EEES9_SG_JZNS1_25segmented_radix_sort_implINS0_14default_configELb0EPKfPfPKlPlN2at6native12_GLOBAL__N_18offset_tEEE10hipError_tPvRmT1_PNSt15iterator_traitsISY_E10value_typeET2_T3_PNSZ_IS14_E10value_typeET4_jRbjT5_S1A_jjP12ihipStream_tbEUljE_EEESV_SW_SX_S14_S18_S1A_T6_T7_T9_mT8_S1C_bDpT10_ENKUlT_T0_E_clISt17integral_constantIbLb1EES1O_IbLb0EEEEDaS1K_S1L_EUlS1K_E_NS1_11comp_targetILNS1_3genE3ELNS1_11target_archE908ELNS1_3gpuE7ELNS1_3repE0EEENS1_30default_config_static_selectorELNS0_4arch9wavefront6targetE1EEEvSY_
                                        ; -- End function
	.section	.AMDGPU.csdata,"",@progbits
; Kernel info:
; codeLenInByte = 0
; NumSgprs: 4
; NumVgprs: 0
; NumAgprs: 0
; TotalNumVgprs: 0
; ScratchSize: 0
; MemoryBound: 0
; FloatMode: 240
; IeeeMode: 1
; LDSByteSize: 0 bytes/workgroup (compile time only)
; SGPRBlocks: 0
; VGPRBlocks: 0
; NumSGPRsForWavesPerEU: 4
; NumVGPRsForWavesPerEU: 1
; AccumOffset: 4
; Occupancy: 8
; WaveLimiterHint : 0
; COMPUTE_PGM_RSRC2:SCRATCH_EN: 0
; COMPUTE_PGM_RSRC2:USER_SGPR: 6
; COMPUTE_PGM_RSRC2:TRAP_HANDLER: 0
; COMPUTE_PGM_RSRC2:TGID_X_EN: 1
; COMPUTE_PGM_RSRC2:TGID_Y_EN: 0
; COMPUTE_PGM_RSRC2:TGID_Z_EN: 0
; COMPUTE_PGM_RSRC2:TIDIG_COMP_CNT: 0
; COMPUTE_PGM_RSRC3_GFX90A:ACCUM_OFFSET: 0
; COMPUTE_PGM_RSRC3_GFX90A:TG_SPLIT: 0
	.section	.text._ZN7rocprim17ROCPRIM_400000_NS6detail17trampoline_kernelINS0_13select_configILj256ELj13ELNS0_17block_load_methodE3ELS4_3ELS4_3ELNS0_20block_scan_algorithmE0ELj4294967295EEENS1_25partition_config_selectorILNS1_17partition_subalgoE3EjNS0_10empty_typeEbEEZZNS1_14partition_implILS8_3ELb0ES6_jNS0_17counting_iteratorIjlEEPS9_SE_NS0_5tupleIJPjSE_EEENSF_IJSE_SE_EEES9_SG_JZNS1_25segmented_radix_sort_implINS0_14default_configELb0EPKfPfPKlPlN2at6native12_GLOBAL__N_18offset_tEEE10hipError_tPvRmT1_PNSt15iterator_traitsISY_E10value_typeET2_T3_PNSZ_IS14_E10value_typeET4_jRbjT5_S1A_jjP12ihipStream_tbEUljE_EEESV_SW_SX_S14_S18_S1A_T6_T7_T9_mT8_S1C_bDpT10_ENKUlT_T0_E_clISt17integral_constantIbLb1EES1O_IbLb0EEEEDaS1K_S1L_EUlS1K_E_NS1_11comp_targetILNS1_3genE2ELNS1_11target_archE906ELNS1_3gpuE6ELNS1_3repE0EEENS1_30default_config_static_selectorELNS0_4arch9wavefront6targetE1EEEvSY_,"axG",@progbits,_ZN7rocprim17ROCPRIM_400000_NS6detail17trampoline_kernelINS0_13select_configILj256ELj13ELNS0_17block_load_methodE3ELS4_3ELS4_3ELNS0_20block_scan_algorithmE0ELj4294967295EEENS1_25partition_config_selectorILNS1_17partition_subalgoE3EjNS0_10empty_typeEbEEZZNS1_14partition_implILS8_3ELb0ES6_jNS0_17counting_iteratorIjlEEPS9_SE_NS0_5tupleIJPjSE_EEENSF_IJSE_SE_EEES9_SG_JZNS1_25segmented_radix_sort_implINS0_14default_configELb0EPKfPfPKlPlN2at6native12_GLOBAL__N_18offset_tEEE10hipError_tPvRmT1_PNSt15iterator_traitsISY_E10value_typeET2_T3_PNSZ_IS14_E10value_typeET4_jRbjT5_S1A_jjP12ihipStream_tbEUljE_EEESV_SW_SX_S14_S18_S1A_T6_T7_T9_mT8_S1C_bDpT10_ENKUlT_T0_E_clISt17integral_constantIbLb1EES1O_IbLb0EEEEDaS1K_S1L_EUlS1K_E_NS1_11comp_targetILNS1_3genE2ELNS1_11target_archE906ELNS1_3gpuE6ELNS1_3repE0EEENS1_30default_config_static_selectorELNS0_4arch9wavefront6targetE1EEEvSY_,comdat
	.globl	_ZN7rocprim17ROCPRIM_400000_NS6detail17trampoline_kernelINS0_13select_configILj256ELj13ELNS0_17block_load_methodE3ELS4_3ELS4_3ELNS0_20block_scan_algorithmE0ELj4294967295EEENS1_25partition_config_selectorILNS1_17partition_subalgoE3EjNS0_10empty_typeEbEEZZNS1_14partition_implILS8_3ELb0ES6_jNS0_17counting_iteratorIjlEEPS9_SE_NS0_5tupleIJPjSE_EEENSF_IJSE_SE_EEES9_SG_JZNS1_25segmented_radix_sort_implINS0_14default_configELb0EPKfPfPKlPlN2at6native12_GLOBAL__N_18offset_tEEE10hipError_tPvRmT1_PNSt15iterator_traitsISY_E10value_typeET2_T3_PNSZ_IS14_E10value_typeET4_jRbjT5_S1A_jjP12ihipStream_tbEUljE_EEESV_SW_SX_S14_S18_S1A_T6_T7_T9_mT8_S1C_bDpT10_ENKUlT_T0_E_clISt17integral_constantIbLb1EES1O_IbLb0EEEEDaS1K_S1L_EUlS1K_E_NS1_11comp_targetILNS1_3genE2ELNS1_11target_archE906ELNS1_3gpuE6ELNS1_3repE0EEENS1_30default_config_static_selectorELNS0_4arch9wavefront6targetE1EEEvSY_ ; -- Begin function _ZN7rocprim17ROCPRIM_400000_NS6detail17trampoline_kernelINS0_13select_configILj256ELj13ELNS0_17block_load_methodE3ELS4_3ELS4_3ELNS0_20block_scan_algorithmE0ELj4294967295EEENS1_25partition_config_selectorILNS1_17partition_subalgoE3EjNS0_10empty_typeEbEEZZNS1_14partition_implILS8_3ELb0ES6_jNS0_17counting_iteratorIjlEEPS9_SE_NS0_5tupleIJPjSE_EEENSF_IJSE_SE_EEES9_SG_JZNS1_25segmented_radix_sort_implINS0_14default_configELb0EPKfPfPKlPlN2at6native12_GLOBAL__N_18offset_tEEE10hipError_tPvRmT1_PNSt15iterator_traitsISY_E10value_typeET2_T3_PNSZ_IS14_E10value_typeET4_jRbjT5_S1A_jjP12ihipStream_tbEUljE_EEESV_SW_SX_S14_S18_S1A_T6_T7_T9_mT8_S1C_bDpT10_ENKUlT_T0_E_clISt17integral_constantIbLb1EES1O_IbLb0EEEEDaS1K_S1L_EUlS1K_E_NS1_11comp_targetILNS1_3genE2ELNS1_11target_archE906ELNS1_3gpuE6ELNS1_3repE0EEENS1_30default_config_static_selectorELNS0_4arch9wavefront6targetE1EEEvSY_
	.p2align	8
	.type	_ZN7rocprim17ROCPRIM_400000_NS6detail17trampoline_kernelINS0_13select_configILj256ELj13ELNS0_17block_load_methodE3ELS4_3ELS4_3ELNS0_20block_scan_algorithmE0ELj4294967295EEENS1_25partition_config_selectorILNS1_17partition_subalgoE3EjNS0_10empty_typeEbEEZZNS1_14partition_implILS8_3ELb0ES6_jNS0_17counting_iteratorIjlEEPS9_SE_NS0_5tupleIJPjSE_EEENSF_IJSE_SE_EEES9_SG_JZNS1_25segmented_radix_sort_implINS0_14default_configELb0EPKfPfPKlPlN2at6native12_GLOBAL__N_18offset_tEEE10hipError_tPvRmT1_PNSt15iterator_traitsISY_E10value_typeET2_T3_PNSZ_IS14_E10value_typeET4_jRbjT5_S1A_jjP12ihipStream_tbEUljE_EEESV_SW_SX_S14_S18_S1A_T6_T7_T9_mT8_S1C_bDpT10_ENKUlT_T0_E_clISt17integral_constantIbLb1EES1O_IbLb0EEEEDaS1K_S1L_EUlS1K_E_NS1_11comp_targetILNS1_3genE2ELNS1_11target_archE906ELNS1_3gpuE6ELNS1_3repE0EEENS1_30default_config_static_selectorELNS0_4arch9wavefront6targetE1EEEvSY_,@function
_ZN7rocprim17ROCPRIM_400000_NS6detail17trampoline_kernelINS0_13select_configILj256ELj13ELNS0_17block_load_methodE3ELS4_3ELS4_3ELNS0_20block_scan_algorithmE0ELj4294967295EEENS1_25partition_config_selectorILNS1_17partition_subalgoE3EjNS0_10empty_typeEbEEZZNS1_14partition_implILS8_3ELb0ES6_jNS0_17counting_iteratorIjlEEPS9_SE_NS0_5tupleIJPjSE_EEENSF_IJSE_SE_EEES9_SG_JZNS1_25segmented_radix_sort_implINS0_14default_configELb0EPKfPfPKlPlN2at6native12_GLOBAL__N_18offset_tEEE10hipError_tPvRmT1_PNSt15iterator_traitsISY_E10value_typeET2_T3_PNSZ_IS14_E10value_typeET4_jRbjT5_S1A_jjP12ihipStream_tbEUljE_EEESV_SW_SX_S14_S18_S1A_T6_T7_T9_mT8_S1C_bDpT10_ENKUlT_T0_E_clISt17integral_constantIbLb1EES1O_IbLb0EEEEDaS1K_S1L_EUlS1K_E_NS1_11comp_targetILNS1_3genE2ELNS1_11target_archE906ELNS1_3gpuE6ELNS1_3repE0EEENS1_30default_config_static_selectorELNS0_4arch9wavefront6targetE1EEEvSY_: ; @_ZN7rocprim17ROCPRIM_400000_NS6detail17trampoline_kernelINS0_13select_configILj256ELj13ELNS0_17block_load_methodE3ELS4_3ELS4_3ELNS0_20block_scan_algorithmE0ELj4294967295EEENS1_25partition_config_selectorILNS1_17partition_subalgoE3EjNS0_10empty_typeEbEEZZNS1_14partition_implILS8_3ELb0ES6_jNS0_17counting_iteratorIjlEEPS9_SE_NS0_5tupleIJPjSE_EEENSF_IJSE_SE_EEES9_SG_JZNS1_25segmented_radix_sort_implINS0_14default_configELb0EPKfPfPKlPlN2at6native12_GLOBAL__N_18offset_tEEE10hipError_tPvRmT1_PNSt15iterator_traitsISY_E10value_typeET2_T3_PNSZ_IS14_E10value_typeET4_jRbjT5_S1A_jjP12ihipStream_tbEUljE_EEESV_SW_SX_S14_S18_S1A_T6_T7_T9_mT8_S1C_bDpT10_ENKUlT_T0_E_clISt17integral_constantIbLb1EES1O_IbLb0EEEEDaS1K_S1L_EUlS1K_E_NS1_11comp_targetILNS1_3genE2ELNS1_11target_archE906ELNS1_3gpuE6ELNS1_3repE0EEENS1_30default_config_static_selectorELNS0_4arch9wavefront6targetE1EEEvSY_
; %bb.0:
	.section	.rodata,"a",@progbits
	.p2align	6, 0x0
	.amdhsa_kernel _ZN7rocprim17ROCPRIM_400000_NS6detail17trampoline_kernelINS0_13select_configILj256ELj13ELNS0_17block_load_methodE3ELS4_3ELS4_3ELNS0_20block_scan_algorithmE0ELj4294967295EEENS1_25partition_config_selectorILNS1_17partition_subalgoE3EjNS0_10empty_typeEbEEZZNS1_14partition_implILS8_3ELb0ES6_jNS0_17counting_iteratorIjlEEPS9_SE_NS0_5tupleIJPjSE_EEENSF_IJSE_SE_EEES9_SG_JZNS1_25segmented_radix_sort_implINS0_14default_configELb0EPKfPfPKlPlN2at6native12_GLOBAL__N_18offset_tEEE10hipError_tPvRmT1_PNSt15iterator_traitsISY_E10value_typeET2_T3_PNSZ_IS14_E10value_typeET4_jRbjT5_S1A_jjP12ihipStream_tbEUljE_EEESV_SW_SX_S14_S18_S1A_T6_T7_T9_mT8_S1C_bDpT10_ENKUlT_T0_E_clISt17integral_constantIbLb1EES1O_IbLb0EEEEDaS1K_S1L_EUlS1K_E_NS1_11comp_targetILNS1_3genE2ELNS1_11target_archE906ELNS1_3gpuE6ELNS1_3repE0EEENS1_30default_config_static_selectorELNS0_4arch9wavefront6targetE1EEEvSY_
		.amdhsa_group_segment_fixed_size 0
		.amdhsa_private_segment_fixed_size 0
		.amdhsa_kernarg_size 144
		.amdhsa_user_sgpr_count 6
		.amdhsa_user_sgpr_private_segment_buffer 1
		.amdhsa_user_sgpr_dispatch_ptr 0
		.amdhsa_user_sgpr_queue_ptr 0
		.amdhsa_user_sgpr_kernarg_segment_ptr 1
		.amdhsa_user_sgpr_dispatch_id 0
		.amdhsa_user_sgpr_flat_scratch_init 0
		.amdhsa_user_sgpr_kernarg_preload_length 0
		.amdhsa_user_sgpr_kernarg_preload_offset 0
		.amdhsa_user_sgpr_private_segment_size 0
		.amdhsa_uses_dynamic_stack 0
		.amdhsa_system_sgpr_private_segment_wavefront_offset 0
		.amdhsa_system_sgpr_workgroup_id_x 1
		.amdhsa_system_sgpr_workgroup_id_y 0
		.amdhsa_system_sgpr_workgroup_id_z 0
		.amdhsa_system_sgpr_workgroup_info 0
		.amdhsa_system_vgpr_workitem_id 0
		.amdhsa_next_free_vgpr 1
		.amdhsa_next_free_sgpr 0
		.amdhsa_accum_offset 4
		.amdhsa_reserve_vcc 0
		.amdhsa_reserve_flat_scratch 0
		.amdhsa_float_round_mode_32 0
		.amdhsa_float_round_mode_16_64 0
		.amdhsa_float_denorm_mode_32 3
		.amdhsa_float_denorm_mode_16_64 3
		.amdhsa_dx10_clamp 1
		.amdhsa_ieee_mode 1
		.amdhsa_fp16_overflow 0
		.amdhsa_tg_split 0
		.amdhsa_exception_fp_ieee_invalid_op 0
		.amdhsa_exception_fp_denorm_src 0
		.amdhsa_exception_fp_ieee_div_zero 0
		.amdhsa_exception_fp_ieee_overflow 0
		.amdhsa_exception_fp_ieee_underflow 0
		.amdhsa_exception_fp_ieee_inexact 0
		.amdhsa_exception_int_div_zero 0
	.end_amdhsa_kernel
	.section	.text._ZN7rocprim17ROCPRIM_400000_NS6detail17trampoline_kernelINS0_13select_configILj256ELj13ELNS0_17block_load_methodE3ELS4_3ELS4_3ELNS0_20block_scan_algorithmE0ELj4294967295EEENS1_25partition_config_selectorILNS1_17partition_subalgoE3EjNS0_10empty_typeEbEEZZNS1_14partition_implILS8_3ELb0ES6_jNS0_17counting_iteratorIjlEEPS9_SE_NS0_5tupleIJPjSE_EEENSF_IJSE_SE_EEES9_SG_JZNS1_25segmented_radix_sort_implINS0_14default_configELb0EPKfPfPKlPlN2at6native12_GLOBAL__N_18offset_tEEE10hipError_tPvRmT1_PNSt15iterator_traitsISY_E10value_typeET2_T3_PNSZ_IS14_E10value_typeET4_jRbjT5_S1A_jjP12ihipStream_tbEUljE_EEESV_SW_SX_S14_S18_S1A_T6_T7_T9_mT8_S1C_bDpT10_ENKUlT_T0_E_clISt17integral_constantIbLb1EES1O_IbLb0EEEEDaS1K_S1L_EUlS1K_E_NS1_11comp_targetILNS1_3genE2ELNS1_11target_archE906ELNS1_3gpuE6ELNS1_3repE0EEENS1_30default_config_static_selectorELNS0_4arch9wavefront6targetE1EEEvSY_,"axG",@progbits,_ZN7rocprim17ROCPRIM_400000_NS6detail17trampoline_kernelINS0_13select_configILj256ELj13ELNS0_17block_load_methodE3ELS4_3ELS4_3ELNS0_20block_scan_algorithmE0ELj4294967295EEENS1_25partition_config_selectorILNS1_17partition_subalgoE3EjNS0_10empty_typeEbEEZZNS1_14partition_implILS8_3ELb0ES6_jNS0_17counting_iteratorIjlEEPS9_SE_NS0_5tupleIJPjSE_EEENSF_IJSE_SE_EEES9_SG_JZNS1_25segmented_radix_sort_implINS0_14default_configELb0EPKfPfPKlPlN2at6native12_GLOBAL__N_18offset_tEEE10hipError_tPvRmT1_PNSt15iterator_traitsISY_E10value_typeET2_T3_PNSZ_IS14_E10value_typeET4_jRbjT5_S1A_jjP12ihipStream_tbEUljE_EEESV_SW_SX_S14_S18_S1A_T6_T7_T9_mT8_S1C_bDpT10_ENKUlT_T0_E_clISt17integral_constantIbLb1EES1O_IbLb0EEEEDaS1K_S1L_EUlS1K_E_NS1_11comp_targetILNS1_3genE2ELNS1_11target_archE906ELNS1_3gpuE6ELNS1_3repE0EEENS1_30default_config_static_selectorELNS0_4arch9wavefront6targetE1EEEvSY_,comdat
.Lfunc_end1414:
	.size	_ZN7rocprim17ROCPRIM_400000_NS6detail17trampoline_kernelINS0_13select_configILj256ELj13ELNS0_17block_load_methodE3ELS4_3ELS4_3ELNS0_20block_scan_algorithmE0ELj4294967295EEENS1_25partition_config_selectorILNS1_17partition_subalgoE3EjNS0_10empty_typeEbEEZZNS1_14partition_implILS8_3ELb0ES6_jNS0_17counting_iteratorIjlEEPS9_SE_NS0_5tupleIJPjSE_EEENSF_IJSE_SE_EEES9_SG_JZNS1_25segmented_radix_sort_implINS0_14default_configELb0EPKfPfPKlPlN2at6native12_GLOBAL__N_18offset_tEEE10hipError_tPvRmT1_PNSt15iterator_traitsISY_E10value_typeET2_T3_PNSZ_IS14_E10value_typeET4_jRbjT5_S1A_jjP12ihipStream_tbEUljE_EEESV_SW_SX_S14_S18_S1A_T6_T7_T9_mT8_S1C_bDpT10_ENKUlT_T0_E_clISt17integral_constantIbLb1EES1O_IbLb0EEEEDaS1K_S1L_EUlS1K_E_NS1_11comp_targetILNS1_3genE2ELNS1_11target_archE906ELNS1_3gpuE6ELNS1_3repE0EEENS1_30default_config_static_selectorELNS0_4arch9wavefront6targetE1EEEvSY_, .Lfunc_end1414-_ZN7rocprim17ROCPRIM_400000_NS6detail17trampoline_kernelINS0_13select_configILj256ELj13ELNS0_17block_load_methodE3ELS4_3ELS4_3ELNS0_20block_scan_algorithmE0ELj4294967295EEENS1_25partition_config_selectorILNS1_17partition_subalgoE3EjNS0_10empty_typeEbEEZZNS1_14partition_implILS8_3ELb0ES6_jNS0_17counting_iteratorIjlEEPS9_SE_NS0_5tupleIJPjSE_EEENSF_IJSE_SE_EEES9_SG_JZNS1_25segmented_radix_sort_implINS0_14default_configELb0EPKfPfPKlPlN2at6native12_GLOBAL__N_18offset_tEEE10hipError_tPvRmT1_PNSt15iterator_traitsISY_E10value_typeET2_T3_PNSZ_IS14_E10value_typeET4_jRbjT5_S1A_jjP12ihipStream_tbEUljE_EEESV_SW_SX_S14_S18_S1A_T6_T7_T9_mT8_S1C_bDpT10_ENKUlT_T0_E_clISt17integral_constantIbLb1EES1O_IbLb0EEEEDaS1K_S1L_EUlS1K_E_NS1_11comp_targetILNS1_3genE2ELNS1_11target_archE906ELNS1_3gpuE6ELNS1_3repE0EEENS1_30default_config_static_selectorELNS0_4arch9wavefront6targetE1EEEvSY_
                                        ; -- End function
	.section	.AMDGPU.csdata,"",@progbits
; Kernel info:
; codeLenInByte = 0
; NumSgprs: 4
; NumVgprs: 0
; NumAgprs: 0
; TotalNumVgprs: 0
; ScratchSize: 0
; MemoryBound: 0
; FloatMode: 240
; IeeeMode: 1
; LDSByteSize: 0 bytes/workgroup (compile time only)
; SGPRBlocks: 0
; VGPRBlocks: 0
; NumSGPRsForWavesPerEU: 4
; NumVGPRsForWavesPerEU: 1
; AccumOffset: 4
; Occupancy: 8
; WaveLimiterHint : 0
; COMPUTE_PGM_RSRC2:SCRATCH_EN: 0
; COMPUTE_PGM_RSRC2:USER_SGPR: 6
; COMPUTE_PGM_RSRC2:TRAP_HANDLER: 0
; COMPUTE_PGM_RSRC2:TGID_X_EN: 1
; COMPUTE_PGM_RSRC2:TGID_Y_EN: 0
; COMPUTE_PGM_RSRC2:TGID_Z_EN: 0
; COMPUTE_PGM_RSRC2:TIDIG_COMP_CNT: 0
; COMPUTE_PGM_RSRC3_GFX90A:ACCUM_OFFSET: 0
; COMPUTE_PGM_RSRC3_GFX90A:TG_SPLIT: 0
	.section	.text._ZN7rocprim17ROCPRIM_400000_NS6detail17trampoline_kernelINS0_13select_configILj256ELj13ELNS0_17block_load_methodE3ELS4_3ELS4_3ELNS0_20block_scan_algorithmE0ELj4294967295EEENS1_25partition_config_selectorILNS1_17partition_subalgoE3EjNS0_10empty_typeEbEEZZNS1_14partition_implILS8_3ELb0ES6_jNS0_17counting_iteratorIjlEEPS9_SE_NS0_5tupleIJPjSE_EEENSF_IJSE_SE_EEES9_SG_JZNS1_25segmented_radix_sort_implINS0_14default_configELb0EPKfPfPKlPlN2at6native12_GLOBAL__N_18offset_tEEE10hipError_tPvRmT1_PNSt15iterator_traitsISY_E10value_typeET2_T3_PNSZ_IS14_E10value_typeET4_jRbjT5_S1A_jjP12ihipStream_tbEUljE_EEESV_SW_SX_S14_S18_S1A_T6_T7_T9_mT8_S1C_bDpT10_ENKUlT_T0_E_clISt17integral_constantIbLb1EES1O_IbLb0EEEEDaS1K_S1L_EUlS1K_E_NS1_11comp_targetILNS1_3genE10ELNS1_11target_archE1200ELNS1_3gpuE4ELNS1_3repE0EEENS1_30default_config_static_selectorELNS0_4arch9wavefront6targetE1EEEvSY_,"axG",@progbits,_ZN7rocprim17ROCPRIM_400000_NS6detail17trampoline_kernelINS0_13select_configILj256ELj13ELNS0_17block_load_methodE3ELS4_3ELS4_3ELNS0_20block_scan_algorithmE0ELj4294967295EEENS1_25partition_config_selectorILNS1_17partition_subalgoE3EjNS0_10empty_typeEbEEZZNS1_14partition_implILS8_3ELb0ES6_jNS0_17counting_iteratorIjlEEPS9_SE_NS0_5tupleIJPjSE_EEENSF_IJSE_SE_EEES9_SG_JZNS1_25segmented_radix_sort_implINS0_14default_configELb0EPKfPfPKlPlN2at6native12_GLOBAL__N_18offset_tEEE10hipError_tPvRmT1_PNSt15iterator_traitsISY_E10value_typeET2_T3_PNSZ_IS14_E10value_typeET4_jRbjT5_S1A_jjP12ihipStream_tbEUljE_EEESV_SW_SX_S14_S18_S1A_T6_T7_T9_mT8_S1C_bDpT10_ENKUlT_T0_E_clISt17integral_constantIbLb1EES1O_IbLb0EEEEDaS1K_S1L_EUlS1K_E_NS1_11comp_targetILNS1_3genE10ELNS1_11target_archE1200ELNS1_3gpuE4ELNS1_3repE0EEENS1_30default_config_static_selectorELNS0_4arch9wavefront6targetE1EEEvSY_,comdat
	.globl	_ZN7rocprim17ROCPRIM_400000_NS6detail17trampoline_kernelINS0_13select_configILj256ELj13ELNS0_17block_load_methodE3ELS4_3ELS4_3ELNS0_20block_scan_algorithmE0ELj4294967295EEENS1_25partition_config_selectorILNS1_17partition_subalgoE3EjNS0_10empty_typeEbEEZZNS1_14partition_implILS8_3ELb0ES6_jNS0_17counting_iteratorIjlEEPS9_SE_NS0_5tupleIJPjSE_EEENSF_IJSE_SE_EEES9_SG_JZNS1_25segmented_radix_sort_implINS0_14default_configELb0EPKfPfPKlPlN2at6native12_GLOBAL__N_18offset_tEEE10hipError_tPvRmT1_PNSt15iterator_traitsISY_E10value_typeET2_T3_PNSZ_IS14_E10value_typeET4_jRbjT5_S1A_jjP12ihipStream_tbEUljE_EEESV_SW_SX_S14_S18_S1A_T6_T7_T9_mT8_S1C_bDpT10_ENKUlT_T0_E_clISt17integral_constantIbLb1EES1O_IbLb0EEEEDaS1K_S1L_EUlS1K_E_NS1_11comp_targetILNS1_3genE10ELNS1_11target_archE1200ELNS1_3gpuE4ELNS1_3repE0EEENS1_30default_config_static_selectorELNS0_4arch9wavefront6targetE1EEEvSY_ ; -- Begin function _ZN7rocprim17ROCPRIM_400000_NS6detail17trampoline_kernelINS0_13select_configILj256ELj13ELNS0_17block_load_methodE3ELS4_3ELS4_3ELNS0_20block_scan_algorithmE0ELj4294967295EEENS1_25partition_config_selectorILNS1_17partition_subalgoE3EjNS0_10empty_typeEbEEZZNS1_14partition_implILS8_3ELb0ES6_jNS0_17counting_iteratorIjlEEPS9_SE_NS0_5tupleIJPjSE_EEENSF_IJSE_SE_EEES9_SG_JZNS1_25segmented_radix_sort_implINS0_14default_configELb0EPKfPfPKlPlN2at6native12_GLOBAL__N_18offset_tEEE10hipError_tPvRmT1_PNSt15iterator_traitsISY_E10value_typeET2_T3_PNSZ_IS14_E10value_typeET4_jRbjT5_S1A_jjP12ihipStream_tbEUljE_EEESV_SW_SX_S14_S18_S1A_T6_T7_T9_mT8_S1C_bDpT10_ENKUlT_T0_E_clISt17integral_constantIbLb1EES1O_IbLb0EEEEDaS1K_S1L_EUlS1K_E_NS1_11comp_targetILNS1_3genE10ELNS1_11target_archE1200ELNS1_3gpuE4ELNS1_3repE0EEENS1_30default_config_static_selectorELNS0_4arch9wavefront6targetE1EEEvSY_
	.p2align	8
	.type	_ZN7rocprim17ROCPRIM_400000_NS6detail17trampoline_kernelINS0_13select_configILj256ELj13ELNS0_17block_load_methodE3ELS4_3ELS4_3ELNS0_20block_scan_algorithmE0ELj4294967295EEENS1_25partition_config_selectorILNS1_17partition_subalgoE3EjNS0_10empty_typeEbEEZZNS1_14partition_implILS8_3ELb0ES6_jNS0_17counting_iteratorIjlEEPS9_SE_NS0_5tupleIJPjSE_EEENSF_IJSE_SE_EEES9_SG_JZNS1_25segmented_radix_sort_implINS0_14default_configELb0EPKfPfPKlPlN2at6native12_GLOBAL__N_18offset_tEEE10hipError_tPvRmT1_PNSt15iterator_traitsISY_E10value_typeET2_T3_PNSZ_IS14_E10value_typeET4_jRbjT5_S1A_jjP12ihipStream_tbEUljE_EEESV_SW_SX_S14_S18_S1A_T6_T7_T9_mT8_S1C_bDpT10_ENKUlT_T0_E_clISt17integral_constantIbLb1EES1O_IbLb0EEEEDaS1K_S1L_EUlS1K_E_NS1_11comp_targetILNS1_3genE10ELNS1_11target_archE1200ELNS1_3gpuE4ELNS1_3repE0EEENS1_30default_config_static_selectorELNS0_4arch9wavefront6targetE1EEEvSY_,@function
_ZN7rocprim17ROCPRIM_400000_NS6detail17trampoline_kernelINS0_13select_configILj256ELj13ELNS0_17block_load_methodE3ELS4_3ELS4_3ELNS0_20block_scan_algorithmE0ELj4294967295EEENS1_25partition_config_selectorILNS1_17partition_subalgoE3EjNS0_10empty_typeEbEEZZNS1_14partition_implILS8_3ELb0ES6_jNS0_17counting_iteratorIjlEEPS9_SE_NS0_5tupleIJPjSE_EEENSF_IJSE_SE_EEES9_SG_JZNS1_25segmented_radix_sort_implINS0_14default_configELb0EPKfPfPKlPlN2at6native12_GLOBAL__N_18offset_tEEE10hipError_tPvRmT1_PNSt15iterator_traitsISY_E10value_typeET2_T3_PNSZ_IS14_E10value_typeET4_jRbjT5_S1A_jjP12ihipStream_tbEUljE_EEESV_SW_SX_S14_S18_S1A_T6_T7_T9_mT8_S1C_bDpT10_ENKUlT_T0_E_clISt17integral_constantIbLb1EES1O_IbLb0EEEEDaS1K_S1L_EUlS1K_E_NS1_11comp_targetILNS1_3genE10ELNS1_11target_archE1200ELNS1_3gpuE4ELNS1_3repE0EEENS1_30default_config_static_selectorELNS0_4arch9wavefront6targetE1EEEvSY_: ; @_ZN7rocprim17ROCPRIM_400000_NS6detail17trampoline_kernelINS0_13select_configILj256ELj13ELNS0_17block_load_methodE3ELS4_3ELS4_3ELNS0_20block_scan_algorithmE0ELj4294967295EEENS1_25partition_config_selectorILNS1_17partition_subalgoE3EjNS0_10empty_typeEbEEZZNS1_14partition_implILS8_3ELb0ES6_jNS0_17counting_iteratorIjlEEPS9_SE_NS0_5tupleIJPjSE_EEENSF_IJSE_SE_EEES9_SG_JZNS1_25segmented_radix_sort_implINS0_14default_configELb0EPKfPfPKlPlN2at6native12_GLOBAL__N_18offset_tEEE10hipError_tPvRmT1_PNSt15iterator_traitsISY_E10value_typeET2_T3_PNSZ_IS14_E10value_typeET4_jRbjT5_S1A_jjP12ihipStream_tbEUljE_EEESV_SW_SX_S14_S18_S1A_T6_T7_T9_mT8_S1C_bDpT10_ENKUlT_T0_E_clISt17integral_constantIbLb1EES1O_IbLb0EEEEDaS1K_S1L_EUlS1K_E_NS1_11comp_targetILNS1_3genE10ELNS1_11target_archE1200ELNS1_3gpuE4ELNS1_3repE0EEENS1_30default_config_static_selectorELNS0_4arch9wavefront6targetE1EEEvSY_
; %bb.0:
	.section	.rodata,"a",@progbits
	.p2align	6, 0x0
	.amdhsa_kernel _ZN7rocprim17ROCPRIM_400000_NS6detail17trampoline_kernelINS0_13select_configILj256ELj13ELNS0_17block_load_methodE3ELS4_3ELS4_3ELNS0_20block_scan_algorithmE0ELj4294967295EEENS1_25partition_config_selectorILNS1_17partition_subalgoE3EjNS0_10empty_typeEbEEZZNS1_14partition_implILS8_3ELb0ES6_jNS0_17counting_iteratorIjlEEPS9_SE_NS0_5tupleIJPjSE_EEENSF_IJSE_SE_EEES9_SG_JZNS1_25segmented_radix_sort_implINS0_14default_configELb0EPKfPfPKlPlN2at6native12_GLOBAL__N_18offset_tEEE10hipError_tPvRmT1_PNSt15iterator_traitsISY_E10value_typeET2_T3_PNSZ_IS14_E10value_typeET4_jRbjT5_S1A_jjP12ihipStream_tbEUljE_EEESV_SW_SX_S14_S18_S1A_T6_T7_T9_mT8_S1C_bDpT10_ENKUlT_T0_E_clISt17integral_constantIbLb1EES1O_IbLb0EEEEDaS1K_S1L_EUlS1K_E_NS1_11comp_targetILNS1_3genE10ELNS1_11target_archE1200ELNS1_3gpuE4ELNS1_3repE0EEENS1_30default_config_static_selectorELNS0_4arch9wavefront6targetE1EEEvSY_
		.amdhsa_group_segment_fixed_size 0
		.amdhsa_private_segment_fixed_size 0
		.amdhsa_kernarg_size 144
		.amdhsa_user_sgpr_count 6
		.amdhsa_user_sgpr_private_segment_buffer 1
		.amdhsa_user_sgpr_dispatch_ptr 0
		.amdhsa_user_sgpr_queue_ptr 0
		.amdhsa_user_sgpr_kernarg_segment_ptr 1
		.amdhsa_user_sgpr_dispatch_id 0
		.amdhsa_user_sgpr_flat_scratch_init 0
		.amdhsa_user_sgpr_kernarg_preload_length 0
		.amdhsa_user_sgpr_kernarg_preload_offset 0
		.amdhsa_user_sgpr_private_segment_size 0
		.amdhsa_uses_dynamic_stack 0
		.amdhsa_system_sgpr_private_segment_wavefront_offset 0
		.amdhsa_system_sgpr_workgroup_id_x 1
		.amdhsa_system_sgpr_workgroup_id_y 0
		.amdhsa_system_sgpr_workgroup_id_z 0
		.amdhsa_system_sgpr_workgroup_info 0
		.amdhsa_system_vgpr_workitem_id 0
		.amdhsa_next_free_vgpr 1
		.amdhsa_next_free_sgpr 0
		.amdhsa_accum_offset 4
		.amdhsa_reserve_vcc 0
		.amdhsa_reserve_flat_scratch 0
		.amdhsa_float_round_mode_32 0
		.amdhsa_float_round_mode_16_64 0
		.amdhsa_float_denorm_mode_32 3
		.amdhsa_float_denorm_mode_16_64 3
		.amdhsa_dx10_clamp 1
		.amdhsa_ieee_mode 1
		.amdhsa_fp16_overflow 0
		.amdhsa_tg_split 0
		.amdhsa_exception_fp_ieee_invalid_op 0
		.amdhsa_exception_fp_denorm_src 0
		.amdhsa_exception_fp_ieee_div_zero 0
		.amdhsa_exception_fp_ieee_overflow 0
		.amdhsa_exception_fp_ieee_underflow 0
		.amdhsa_exception_fp_ieee_inexact 0
		.amdhsa_exception_int_div_zero 0
	.end_amdhsa_kernel
	.section	.text._ZN7rocprim17ROCPRIM_400000_NS6detail17trampoline_kernelINS0_13select_configILj256ELj13ELNS0_17block_load_methodE3ELS4_3ELS4_3ELNS0_20block_scan_algorithmE0ELj4294967295EEENS1_25partition_config_selectorILNS1_17partition_subalgoE3EjNS0_10empty_typeEbEEZZNS1_14partition_implILS8_3ELb0ES6_jNS0_17counting_iteratorIjlEEPS9_SE_NS0_5tupleIJPjSE_EEENSF_IJSE_SE_EEES9_SG_JZNS1_25segmented_radix_sort_implINS0_14default_configELb0EPKfPfPKlPlN2at6native12_GLOBAL__N_18offset_tEEE10hipError_tPvRmT1_PNSt15iterator_traitsISY_E10value_typeET2_T3_PNSZ_IS14_E10value_typeET4_jRbjT5_S1A_jjP12ihipStream_tbEUljE_EEESV_SW_SX_S14_S18_S1A_T6_T7_T9_mT8_S1C_bDpT10_ENKUlT_T0_E_clISt17integral_constantIbLb1EES1O_IbLb0EEEEDaS1K_S1L_EUlS1K_E_NS1_11comp_targetILNS1_3genE10ELNS1_11target_archE1200ELNS1_3gpuE4ELNS1_3repE0EEENS1_30default_config_static_selectorELNS0_4arch9wavefront6targetE1EEEvSY_,"axG",@progbits,_ZN7rocprim17ROCPRIM_400000_NS6detail17trampoline_kernelINS0_13select_configILj256ELj13ELNS0_17block_load_methodE3ELS4_3ELS4_3ELNS0_20block_scan_algorithmE0ELj4294967295EEENS1_25partition_config_selectorILNS1_17partition_subalgoE3EjNS0_10empty_typeEbEEZZNS1_14partition_implILS8_3ELb0ES6_jNS0_17counting_iteratorIjlEEPS9_SE_NS0_5tupleIJPjSE_EEENSF_IJSE_SE_EEES9_SG_JZNS1_25segmented_radix_sort_implINS0_14default_configELb0EPKfPfPKlPlN2at6native12_GLOBAL__N_18offset_tEEE10hipError_tPvRmT1_PNSt15iterator_traitsISY_E10value_typeET2_T3_PNSZ_IS14_E10value_typeET4_jRbjT5_S1A_jjP12ihipStream_tbEUljE_EEESV_SW_SX_S14_S18_S1A_T6_T7_T9_mT8_S1C_bDpT10_ENKUlT_T0_E_clISt17integral_constantIbLb1EES1O_IbLb0EEEEDaS1K_S1L_EUlS1K_E_NS1_11comp_targetILNS1_3genE10ELNS1_11target_archE1200ELNS1_3gpuE4ELNS1_3repE0EEENS1_30default_config_static_selectorELNS0_4arch9wavefront6targetE1EEEvSY_,comdat
.Lfunc_end1415:
	.size	_ZN7rocprim17ROCPRIM_400000_NS6detail17trampoline_kernelINS0_13select_configILj256ELj13ELNS0_17block_load_methodE3ELS4_3ELS4_3ELNS0_20block_scan_algorithmE0ELj4294967295EEENS1_25partition_config_selectorILNS1_17partition_subalgoE3EjNS0_10empty_typeEbEEZZNS1_14partition_implILS8_3ELb0ES6_jNS0_17counting_iteratorIjlEEPS9_SE_NS0_5tupleIJPjSE_EEENSF_IJSE_SE_EEES9_SG_JZNS1_25segmented_radix_sort_implINS0_14default_configELb0EPKfPfPKlPlN2at6native12_GLOBAL__N_18offset_tEEE10hipError_tPvRmT1_PNSt15iterator_traitsISY_E10value_typeET2_T3_PNSZ_IS14_E10value_typeET4_jRbjT5_S1A_jjP12ihipStream_tbEUljE_EEESV_SW_SX_S14_S18_S1A_T6_T7_T9_mT8_S1C_bDpT10_ENKUlT_T0_E_clISt17integral_constantIbLb1EES1O_IbLb0EEEEDaS1K_S1L_EUlS1K_E_NS1_11comp_targetILNS1_3genE10ELNS1_11target_archE1200ELNS1_3gpuE4ELNS1_3repE0EEENS1_30default_config_static_selectorELNS0_4arch9wavefront6targetE1EEEvSY_, .Lfunc_end1415-_ZN7rocprim17ROCPRIM_400000_NS6detail17trampoline_kernelINS0_13select_configILj256ELj13ELNS0_17block_load_methodE3ELS4_3ELS4_3ELNS0_20block_scan_algorithmE0ELj4294967295EEENS1_25partition_config_selectorILNS1_17partition_subalgoE3EjNS0_10empty_typeEbEEZZNS1_14partition_implILS8_3ELb0ES6_jNS0_17counting_iteratorIjlEEPS9_SE_NS0_5tupleIJPjSE_EEENSF_IJSE_SE_EEES9_SG_JZNS1_25segmented_radix_sort_implINS0_14default_configELb0EPKfPfPKlPlN2at6native12_GLOBAL__N_18offset_tEEE10hipError_tPvRmT1_PNSt15iterator_traitsISY_E10value_typeET2_T3_PNSZ_IS14_E10value_typeET4_jRbjT5_S1A_jjP12ihipStream_tbEUljE_EEESV_SW_SX_S14_S18_S1A_T6_T7_T9_mT8_S1C_bDpT10_ENKUlT_T0_E_clISt17integral_constantIbLb1EES1O_IbLb0EEEEDaS1K_S1L_EUlS1K_E_NS1_11comp_targetILNS1_3genE10ELNS1_11target_archE1200ELNS1_3gpuE4ELNS1_3repE0EEENS1_30default_config_static_selectorELNS0_4arch9wavefront6targetE1EEEvSY_
                                        ; -- End function
	.section	.AMDGPU.csdata,"",@progbits
; Kernel info:
; codeLenInByte = 0
; NumSgprs: 4
; NumVgprs: 0
; NumAgprs: 0
; TotalNumVgprs: 0
; ScratchSize: 0
; MemoryBound: 0
; FloatMode: 240
; IeeeMode: 1
; LDSByteSize: 0 bytes/workgroup (compile time only)
; SGPRBlocks: 0
; VGPRBlocks: 0
; NumSGPRsForWavesPerEU: 4
; NumVGPRsForWavesPerEU: 1
; AccumOffset: 4
; Occupancy: 8
; WaveLimiterHint : 0
; COMPUTE_PGM_RSRC2:SCRATCH_EN: 0
; COMPUTE_PGM_RSRC2:USER_SGPR: 6
; COMPUTE_PGM_RSRC2:TRAP_HANDLER: 0
; COMPUTE_PGM_RSRC2:TGID_X_EN: 1
; COMPUTE_PGM_RSRC2:TGID_Y_EN: 0
; COMPUTE_PGM_RSRC2:TGID_Z_EN: 0
; COMPUTE_PGM_RSRC2:TIDIG_COMP_CNT: 0
; COMPUTE_PGM_RSRC3_GFX90A:ACCUM_OFFSET: 0
; COMPUTE_PGM_RSRC3_GFX90A:TG_SPLIT: 0
	.section	.text._ZN7rocprim17ROCPRIM_400000_NS6detail17trampoline_kernelINS0_13select_configILj256ELj13ELNS0_17block_load_methodE3ELS4_3ELS4_3ELNS0_20block_scan_algorithmE0ELj4294967295EEENS1_25partition_config_selectorILNS1_17partition_subalgoE3EjNS0_10empty_typeEbEEZZNS1_14partition_implILS8_3ELb0ES6_jNS0_17counting_iteratorIjlEEPS9_SE_NS0_5tupleIJPjSE_EEENSF_IJSE_SE_EEES9_SG_JZNS1_25segmented_radix_sort_implINS0_14default_configELb0EPKfPfPKlPlN2at6native12_GLOBAL__N_18offset_tEEE10hipError_tPvRmT1_PNSt15iterator_traitsISY_E10value_typeET2_T3_PNSZ_IS14_E10value_typeET4_jRbjT5_S1A_jjP12ihipStream_tbEUljE_EEESV_SW_SX_S14_S18_S1A_T6_T7_T9_mT8_S1C_bDpT10_ENKUlT_T0_E_clISt17integral_constantIbLb1EES1O_IbLb0EEEEDaS1K_S1L_EUlS1K_E_NS1_11comp_targetILNS1_3genE9ELNS1_11target_archE1100ELNS1_3gpuE3ELNS1_3repE0EEENS1_30default_config_static_selectorELNS0_4arch9wavefront6targetE1EEEvSY_,"axG",@progbits,_ZN7rocprim17ROCPRIM_400000_NS6detail17trampoline_kernelINS0_13select_configILj256ELj13ELNS0_17block_load_methodE3ELS4_3ELS4_3ELNS0_20block_scan_algorithmE0ELj4294967295EEENS1_25partition_config_selectorILNS1_17partition_subalgoE3EjNS0_10empty_typeEbEEZZNS1_14partition_implILS8_3ELb0ES6_jNS0_17counting_iteratorIjlEEPS9_SE_NS0_5tupleIJPjSE_EEENSF_IJSE_SE_EEES9_SG_JZNS1_25segmented_radix_sort_implINS0_14default_configELb0EPKfPfPKlPlN2at6native12_GLOBAL__N_18offset_tEEE10hipError_tPvRmT1_PNSt15iterator_traitsISY_E10value_typeET2_T3_PNSZ_IS14_E10value_typeET4_jRbjT5_S1A_jjP12ihipStream_tbEUljE_EEESV_SW_SX_S14_S18_S1A_T6_T7_T9_mT8_S1C_bDpT10_ENKUlT_T0_E_clISt17integral_constantIbLb1EES1O_IbLb0EEEEDaS1K_S1L_EUlS1K_E_NS1_11comp_targetILNS1_3genE9ELNS1_11target_archE1100ELNS1_3gpuE3ELNS1_3repE0EEENS1_30default_config_static_selectorELNS0_4arch9wavefront6targetE1EEEvSY_,comdat
	.globl	_ZN7rocprim17ROCPRIM_400000_NS6detail17trampoline_kernelINS0_13select_configILj256ELj13ELNS0_17block_load_methodE3ELS4_3ELS4_3ELNS0_20block_scan_algorithmE0ELj4294967295EEENS1_25partition_config_selectorILNS1_17partition_subalgoE3EjNS0_10empty_typeEbEEZZNS1_14partition_implILS8_3ELb0ES6_jNS0_17counting_iteratorIjlEEPS9_SE_NS0_5tupleIJPjSE_EEENSF_IJSE_SE_EEES9_SG_JZNS1_25segmented_radix_sort_implINS0_14default_configELb0EPKfPfPKlPlN2at6native12_GLOBAL__N_18offset_tEEE10hipError_tPvRmT1_PNSt15iterator_traitsISY_E10value_typeET2_T3_PNSZ_IS14_E10value_typeET4_jRbjT5_S1A_jjP12ihipStream_tbEUljE_EEESV_SW_SX_S14_S18_S1A_T6_T7_T9_mT8_S1C_bDpT10_ENKUlT_T0_E_clISt17integral_constantIbLb1EES1O_IbLb0EEEEDaS1K_S1L_EUlS1K_E_NS1_11comp_targetILNS1_3genE9ELNS1_11target_archE1100ELNS1_3gpuE3ELNS1_3repE0EEENS1_30default_config_static_selectorELNS0_4arch9wavefront6targetE1EEEvSY_ ; -- Begin function _ZN7rocprim17ROCPRIM_400000_NS6detail17trampoline_kernelINS0_13select_configILj256ELj13ELNS0_17block_load_methodE3ELS4_3ELS4_3ELNS0_20block_scan_algorithmE0ELj4294967295EEENS1_25partition_config_selectorILNS1_17partition_subalgoE3EjNS0_10empty_typeEbEEZZNS1_14partition_implILS8_3ELb0ES6_jNS0_17counting_iteratorIjlEEPS9_SE_NS0_5tupleIJPjSE_EEENSF_IJSE_SE_EEES9_SG_JZNS1_25segmented_radix_sort_implINS0_14default_configELb0EPKfPfPKlPlN2at6native12_GLOBAL__N_18offset_tEEE10hipError_tPvRmT1_PNSt15iterator_traitsISY_E10value_typeET2_T3_PNSZ_IS14_E10value_typeET4_jRbjT5_S1A_jjP12ihipStream_tbEUljE_EEESV_SW_SX_S14_S18_S1A_T6_T7_T9_mT8_S1C_bDpT10_ENKUlT_T0_E_clISt17integral_constantIbLb1EES1O_IbLb0EEEEDaS1K_S1L_EUlS1K_E_NS1_11comp_targetILNS1_3genE9ELNS1_11target_archE1100ELNS1_3gpuE3ELNS1_3repE0EEENS1_30default_config_static_selectorELNS0_4arch9wavefront6targetE1EEEvSY_
	.p2align	8
	.type	_ZN7rocprim17ROCPRIM_400000_NS6detail17trampoline_kernelINS0_13select_configILj256ELj13ELNS0_17block_load_methodE3ELS4_3ELS4_3ELNS0_20block_scan_algorithmE0ELj4294967295EEENS1_25partition_config_selectorILNS1_17partition_subalgoE3EjNS0_10empty_typeEbEEZZNS1_14partition_implILS8_3ELb0ES6_jNS0_17counting_iteratorIjlEEPS9_SE_NS0_5tupleIJPjSE_EEENSF_IJSE_SE_EEES9_SG_JZNS1_25segmented_radix_sort_implINS0_14default_configELb0EPKfPfPKlPlN2at6native12_GLOBAL__N_18offset_tEEE10hipError_tPvRmT1_PNSt15iterator_traitsISY_E10value_typeET2_T3_PNSZ_IS14_E10value_typeET4_jRbjT5_S1A_jjP12ihipStream_tbEUljE_EEESV_SW_SX_S14_S18_S1A_T6_T7_T9_mT8_S1C_bDpT10_ENKUlT_T0_E_clISt17integral_constantIbLb1EES1O_IbLb0EEEEDaS1K_S1L_EUlS1K_E_NS1_11comp_targetILNS1_3genE9ELNS1_11target_archE1100ELNS1_3gpuE3ELNS1_3repE0EEENS1_30default_config_static_selectorELNS0_4arch9wavefront6targetE1EEEvSY_,@function
_ZN7rocprim17ROCPRIM_400000_NS6detail17trampoline_kernelINS0_13select_configILj256ELj13ELNS0_17block_load_methodE3ELS4_3ELS4_3ELNS0_20block_scan_algorithmE0ELj4294967295EEENS1_25partition_config_selectorILNS1_17partition_subalgoE3EjNS0_10empty_typeEbEEZZNS1_14partition_implILS8_3ELb0ES6_jNS0_17counting_iteratorIjlEEPS9_SE_NS0_5tupleIJPjSE_EEENSF_IJSE_SE_EEES9_SG_JZNS1_25segmented_radix_sort_implINS0_14default_configELb0EPKfPfPKlPlN2at6native12_GLOBAL__N_18offset_tEEE10hipError_tPvRmT1_PNSt15iterator_traitsISY_E10value_typeET2_T3_PNSZ_IS14_E10value_typeET4_jRbjT5_S1A_jjP12ihipStream_tbEUljE_EEESV_SW_SX_S14_S18_S1A_T6_T7_T9_mT8_S1C_bDpT10_ENKUlT_T0_E_clISt17integral_constantIbLb1EES1O_IbLb0EEEEDaS1K_S1L_EUlS1K_E_NS1_11comp_targetILNS1_3genE9ELNS1_11target_archE1100ELNS1_3gpuE3ELNS1_3repE0EEENS1_30default_config_static_selectorELNS0_4arch9wavefront6targetE1EEEvSY_: ; @_ZN7rocprim17ROCPRIM_400000_NS6detail17trampoline_kernelINS0_13select_configILj256ELj13ELNS0_17block_load_methodE3ELS4_3ELS4_3ELNS0_20block_scan_algorithmE0ELj4294967295EEENS1_25partition_config_selectorILNS1_17partition_subalgoE3EjNS0_10empty_typeEbEEZZNS1_14partition_implILS8_3ELb0ES6_jNS0_17counting_iteratorIjlEEPS9_SE_NS0_5tupleIJPjSE_EEENSF_IJSE_SE_EEES9_SG_JZNS1_25segmented_radix_sort_implINS0_14default_configELb0EPKfPfPKlPlN2at6native12_GLOBAL__N_18offset_tEEE10hipError_tPvRmT1_PNSt15iterator_traitsISY_E10value_typeET2_T3_PNSZ_IS14_E10value_typeET4_jRbjT5_S1A_jjP12ihipStream_tbEUljE_EEESV_SW_SX_S14_S18_S1A_T6_T7_T9_mT8_S1C_bDpT10_ENKUlT_T0_E_clISt17integral_constantIbLb1EES1O_IbLb0EEEEDaS1K_S1L_EUlS1K_E_NS1_11comp_targetILNS1_3genE9ELNS1_11target_archE1100ELNS1_3gpuE3ELNS1_3repE0EEENS1_30default_config_static_selectorELNS0_4arch9wavefront6targetE1EEEvSY_
; %bb.0:
	.section	.rodata,"a",@progbits
	.p2align	6, 0x0
	.amdhsa_kernel _ZN7rocprim17ROCPRIM_400000_NS6detail17trampoline_kernelINS0_13select_configILj256ELj13ELNS0_17block_load_methodE3ELS4_3ELS4_3ELNS0_20block_scan_algorithmE0ELj4294967295EEENS1_25partition_config_selectorILNS1_17partition_subalgoE3EjNS0_10empty_typeEbEEZZNS1_14partition_implILS8_3ELb0ES6_jNS0_17counting_iteratorIjlEEPS9_SE_NS0_5tupleIJPjSE_EEENSF_IJSE_SE_EEES9_SG_JZNS1_25segmented_radix_sort_implINS0_14default_configELb0EPKfPfPKlPlN2at6native12_GLOBAL__N_18offset_tEEE10hipError_tPvRmT1_PNSt15iterator_traitsISY_E10value_typeET2_T3_PNSZ_IS14_E10value_typeET4_jRbjT5_S1A_jjP12ihipStream_tbEUljE_EEESV_SW_SX_S14_S18_S1A_T6_T7_T9_mT8_S1C_bDpT10_ENKUlT_T0_E_clISt17integral_constantIbLb1EES1O_IbLb0EEEEDaS1K_S1L_EUlS1K_E_NS1_11comp_targetILNS1_3genE9ELNS1_11target_archE1100ELNS1_3gpuE3ELNS1_3repE0EEENS1_30default_config_static_selectorELNS0_4arch9wavefront6targetE1EEEvSY_
		.amdhsa_group_segment_fixed_size 0
		.amdhsa_private_segment_fixed_size 0
		.amdhsa_kernarg_size 144
		.amdhsa_user_sgpr_count 6
		.amdhsa_user_sgpr_private_segment_buffer 1
		.amdhsa_user_sgpr_dispatch_ptr 0
		.amdhsa_user_sgpr_queue_ptr 0
		.amdhsa_user_sgpr_kernarg_segment_ptr 1
		.amdhsa_user_sgpr_dispatch_id 0
		.amdhsa_user_sgpr_flat_scratch_init 0
		.amdhsa_user_sgpr_kernarg_preload_length 0
		.amdhsa_user_sgpr_kernarg_preload_offset 0
		.amdhsa_user_sgpr_private_segment_size 0
		.amdhsa_uses_dynamic_stack 0
		.amdhsa_system_sgpr_private_segment_wavefront_offset 0
		.amdhsa_system_sgpr_workgroup_id_x 1
		.amdhsa_system_sgpr_workgroup_id_y 0
		.amdhsa_system_sgpr_workgroup_id_z 0
		.amdhsa_system_sgpr_workgroup_info 0
		.amdhsa_system_vgpr_workitem_id 0
		.amdhsa_next_free_vgpr 1
		.amdhsa_next_free_sgpr 0
		.amdhsa_accum_offset 4
		.amdhsa_reserve_vcc 0
		.amdhsa_reserve_flat_scratch 0
		.amdhsa_float_round_mode_32 0
		.amdhsa_float_round_mode_16_64 0
		.amdhsa_float_denorm_mode_32 3
		.amdhsa_float_denorm_mode_16_64 3
		.amdhsa_dx10_clamp 1
		.amdhsa_ieee_mode 1
		.amdhsa_fp16_overflow 0
		.amdhsa_tg_split 0
		.amdhsa_exception_fp_ieee_invalid_op 0
		.amdhsa_exception_fp_denorm_src 0
		.amdhsa_exception_fp_ieee_div_zero 0
		.amdhsa_exception_fp_ieee_overflow 0
		.amdhsa_exception_fp_ieee_underflow 0
		.amdhsa_exception_fp_ieee_inexact 0
		.amdhsa_exception_int_div_zero 0
	.end_amdhsa_kernel
	.section	.text._ZN7rocprim17ROCPRIM_400000_NS6detail17trampoline_kernelINS0_13select_configILj256ELj13ELNS0_17block_load_methodE3ELS4_3ELS4_3ELNS0_20block_scan_algorithmE0ELj4294967295EEENS1_25partition_config_selectorILNS1_17partition_subalgoE3EjNS0_10empty_typeEbEEZZNS1_14partition_implILS8_3ELb0ES6_jNS0_17counting_iteratorIjlEEPS9_SE_NS0_5tupleIJPjSE_EEENSF_IJSE_SE_EEES9_SG_JZNS1_25segmented_radix_sort_implINS0_14default_configELb0EPKfPfPKlPlN2at6native12_GLOBAL__N_18offset_tEEE10hipError_tPvRmT1_PNSt15iterator_traitsISY_E10value_typeET2_T3_PNSZ_IS14_E10value_typeET4_jRbjT5_S1A_jjP12ihipStream_tbEUljE_EEESV_SW_SX_S14_S18_S1A_T6_T7_T9_mT8_S1C_bDpT10_ENKUlT_T0_E_clISt17integral_constantIbLb1EES1O_IbLb0EEEEDaS1K_S1L_EUlS1K_E_NS1_11comp_targetILNS1_3genE9ELNS1_11target_archE1100ELNS1_3gpuE3ELNS1_3repE0EEENS1_30default_config_static_selectorELNS0_4arch9wavefront6targetE1EEEvSY_,"axG",@progbits,_ZN7rocprim17ROCPRIM_400000_NS6detail17trampoline_kernelINS0_13select_configILj256ELj13ELNS0_17block_load_methodE3ELS4_3ELS4_3ELNS0_20block_scan_algorithmE0ELj4294967295EEENS1_25partition_config_selectorILNS1_17partition_subalgoE3EjNS0_10empty_typeEbEEZZNS1_14partition_implILS8_3ELb0ES6_jNS0_17counting_iteratorIjlEEPS9_SE_NS0_5tupleIJPjSE_EEENSF_IJSE_SE_EEES9_SG_JZNS1_25segmented_radix_sort_implINS0_14default_configELb0EPKfPfPKlPlN2at6native12_GLOBAL__N_18offset_tEEE10hipError_tPvRmT1_PNSt15iterator_traitsISY_E10value_typeET2_T3_PNSZ_IS14_E10value_typeET4_jRbjT5_S1A_jjP12ihipStream_tbEUljE_EEESV_SW_SX_S14_S18_S1A_T6_T7_T9_mT8_S1C_bDpT10_ENKUlT_T0_E_clISt17integral_constantIbLb1EES1O_IbLb0EEEEDaS1K_S1L_EUlS1K_E_NS1_11comp_targetILNS1_3genE9ELNS1_11target_archE1100ELNS1_3gpuE3ELNS1_3repE0EEENS1_30default_config_static_selectorELNS0_4arch9wavefront6targetE1EEEvSY_,comdat
.Lfunc_end1416:
	.size	_ZN7rocprim17ROCPRIM_400000_NS6detail17trampoline_kernelINS0_13select_configILj256ELj13ELNS0_17block_load_methodE3ELS4_3ELS4_3ELNS0_20block_scan_algorithmE0ELj4294967295EEENS1_25partition_config_selectorILNS1_17partition_subalgoE3EjNS0_10empty_typeEbEEZZNS1_14partition_implILS8_3ELb0ES6_jNS0_17counting_iteratorIjlEEPS9_SE_NS0_5tupleIJPjSE_EEENSF_IJSE_SE_EEES9_SG_JZNS1_25segmented_radix_sort_implINS0_14default_configELb0EPKfPfPKlPlN2at6native12_GLOBAL__N_18offset_tEEE10hipError_tPvRmT1_PNSt15iterator_traitsISY_E10value_typeET2_T3_PNSZ_IS14_E10value_typeET4_jRbjT5_S1A_jjP12ihipStream_tbEUljE_EEESV_SW_SX_S14_S18_S1A_T6_T7_T9_mT8_S1C_bDpT10_ENKUlT_T0_E_clISt17integral_constantIbLb1EES1O_IbLb0EEEEDaS1K_S1L_EUlS1K_E_NS1_11comp_targetILNS1_3genE9ELNS1_11target_archE1100ELNS1_3gpuE3ELNS1_3repE0EEENS1_30default_config_static_selectorELNS0_4arch9wavefront6targetE1EEEvSY_, .Lfunc_end1416-_ZN7rocprim17ROCPRIM_400000_NS6detail17trampoline_kernelINS0_13select_configILj256ELj13ELNS0_17block_load_methodE3ELS4_3ELS4_3ELNS0_20block_scan_algorithmE0ELj4294967295EEENS1_25partition_config_selectorILNS1_17partition_subalgoE3EjNS0_10empty_typeEbEEZZNS1_14partition_implILS8_3ELb0ES6_jNS0_17counting_iteratorIjlEEPS9_SE_NS0_5tupleIJPjSE_EEENSF_IJSE_SE_EEES9_SG_JZNS1_25segmented_radix_sort_implINS0_14default_configELb0EPKfPfPKlPlN2at6native12_GLOBAL__N_18offset_tEEE10hipError_tPvRmT1_PNSt15iterator_traitsISY_E10value_typeET2_T3_PNSZ_IS14_E10value_typeET4_jRbjT5_S1A_jjP12ihipStream_tbEUljE_EEESV_SW_SX_S14_S18_S1A_T6_T7_T9_mT8_S1C_bDpT10_ENKUlT_T0_E_clISt17integral_constantIbLb1EES1O_IbLb0EEEEDaS1K_S1L_EUlS1K_E_NS1_11comp_targetILNS1_3genE9ELNS1_11target_archE1100ELNS1_3gpuE3ELNS1_3repE0EEENS1_30default_config_static_selectorELNS0_4arch9wavefront6targetE1EEEvSY_
                                        ; -- End function
	.section	.AMDGPU.csdata,"",@progbits
; Kernel info:
; codeLenInByte = 0
; NumSgprs: 4
; NumVgprs: 0
; NumAgprs: 0
; TotalNumVgprs: 0
; ScratchSize: 0
; MemoryBound: 0
; FloatMode: 240
; IeeeMode: 1
; LDSByteSize: 0 bytes/workgroup (compile time only)
; SGPRBlocks: 0
; VGPRBlocks: 0
; NumSGPRsForWavesPerEU: 4
; NumVGPRsForWavesPerEU: 1
; AccumOffset: 4
; Occupancy: 8
; WaveLimiterHint : 0
; COMPUTE_PGM_RSRC2:SCRATCH_EN: 0
; COMPUTE_PGM_RSRC2:USER_SGPR: 6
; COMPUTE_PGM_RSRC2:TRAP_HANDLER: 0
; COMPUTE_PGM_RSRC2:TGID_X_EN: 1
; COMPUTE_PGM_RSRC2:TGID_Y_EN: 0
; COMPUTE_PGM_RSRC2:TGID_Z_EN: 0
; COMPUTE_PGM_RSRC2:TIDIG_COMP_CNT: 0
; COMPUTE_PGM_RSRC3_GFX90A:ACCUM_OFFSET: 0
; COMPUTE_PGM_RSRC3_GFX90A:TG_SPLIT: 0
	.section	.text._ZN7rocprim17ROCPRIM_400000_NS6detail17trampoline_kernelINS0_13select_configILj256ELj13ELNS0_17block_load_methodE3ELS4_3ELS4_3ELNS0_20block_scan_algorithmE0ELj4294967295EEENS1_25partition_config_selectorILNS1_17partition_subalgoE3EjNS0_10empty_typeEbEEZZNS1_14partition_implILS8_3ELb0ES6_jNS0_17counting_iteratorIjlEEPS9_SE_NS0_5tupleIJPjSE_EEENSF_IJSE_SE_EEES9_SG_JZNS1_25segmented_radix_sort_implINS0_14default_configELb0EPKfPfPKlPlN2at6native12_GLOBAL__N_18offset_tEEE10hipError_tPvRmT1_PNSt15iterator_traitsISY_E10value_typeET2_T3_PNSZ_IS14_E10value_typeET4_jRbjT5_S1A_jjP12ihipStream_tbEUljE_EEESV_SW_SX_S14_S18_S1A_T6_T7_T9_mT8_S1C_bDpT10_ENKUlT_T0_E_clISt17integral_constantIbLb1EES1O_IbLb0EEEEDaS1K_S1L_EUlS1K_E_NS1_11comp_targetILNS1_3genE8ELNS1_11target_archE1030ELNS1_3gpuE2ELNS1_3repE0EEENS1_30default_config_static_selectorELNS0_4arch9wavefront6targetE1EEEvSY_,"axG",@progbits,_ZN7rocprim17ROCPRIM_400000_NS6detail17trampoline_kernelINS0_13select_configILj256ELj13ELNS0_17block_load_methodE3ELS4_3ELS4_3ELNS0_20block_scan_algorithmE0ELj4294967295EEENS1_25partition_config_selectorILNS1_17partition_subalgoE3EjNS0_10empty_typeEbEEZZNS1_14partition_implILS8_3ELb0ES6_jNS0_17counting_iteratorIjlEEPS9_SE_NS0_5tupleIJPjSE_EEENSF_IJSE_SE_EEES9_SG_JZNS1_25segmented_radix_sort_implINS0_14default_configELb0EPKfPfPKlPlN2at6native12_GLOBAL__N_18offset_tEEE10hipError_tPvRmT1_PNSt15iterator_traitsISY_E10value_typeET2_T3_PNSZ_IS14_E10value_typeET4_jRbjT5_S1A_jjP12ihipStream_tbEUljE_EEESV_SW_SX_S14_S18_S1A_T6_T7_T9_mT8_S1C_bDpT10_ENKUlT_T0_E_clISt17integral_constantIbLb1EES1O_IbLb0EEEEDaS1K_S1L_EUlS1K_E_NS1_11comp_targetILNS1_3genE8ELNS1_11target_archE1030ELNS1_3gpuE2ELNS1_3repE0EEENS1_30default_config_static_selectorELNS0_4arch9wavefront6targetE1EEEvSY_,comdat
	.globl	_ZN7rocprim17ROCPRIM_400000_NS6detail17trampoline_kernelINS0_13select_configILj256ELj13ELNS0_17block_load_methodE3ELS4_3ELS4_3ELNS0_20block_scan_algorithmE0ELj4294967295EEENS1_25partition_config_selectorILNS1_17partition_subalgoE3EjNS0_10empty_typeEbEEZZNS1_14partition_implILS8_3ELb0ES6_jNS0_17counting_iteratorIjlEEPS9_SE_NS0_5tupleIJPjSE_EEENSF_IJSE_SE_EEES9_SG_JZNS1_25segmented_radix_sort_implINS0_14default_configELb0EPKfPfPKlPlN2at6native12_GLOBAL__N_18offset_tEEE10hipError_tPvRmT1_PNSt15iterator_traitsISY_E10value_typeET2_T3_PNSZ_IS14_E10value_typeET4_jRbjT5_S1A_jjP12ihipStream_tbEUljE_EEESV_SW_SX_S14_S18_S1A_T6_T7_T9_mT8_S1C_bDpT10_ENKUlT_T0_E_clISt17integral_constantIbLb1EES1O_IbLb0EEEEDaS1K_S1L_EUlS1K_E_NS1_11comp_targetILNS1_3genE8ELNS1_11target_archE1030ELNS1_3gpuE2ELNS1_3repE0EEENS1_30default_config_static_selectorELNS0_4arch9wavefront6targetE1EEEvSY_ ; -- Begin function _ZN7rocprim17ROCPRIM_400000_NS6detail17trampoline_kernelINS0_13select_configILj256ELj13ELNS0_17block_load_methodE3ELS4_3ELS4_3ELNS0_20block_scan_algorithmE0ELj4294967295EEENS1_25partition_config_selectorILNS1_17partition_subalgoE3EjNS0_10empty_typeEbEEZZNS1_14partition_implILS8_3ELb0ES6_jNS0_17counting_iteratorIjlEEPS9_SE_NS0_5tupleIJPjSE_EEENSF_IJSE_SE_EEES9_SG_JZNS1_25segmented_radix_sort_implINS0_14default_configELb0EPKfPfPKlPlN2at6native12_GLOBAL__N_18offset_tEEE10hipError_tPvRmT1_PNSt15iterator_traitsISY_E10value_typeET2_T3_PNSZ_IS14_E10value_typeET4_jRbjT5_S1A_jjP12ihipStream_tbEUljE_EEESV_SW_SX_S14_S18_S1A_T6_T7_T9_mT8_S1C_bDpT10_ENKUlT_T0_E_clISt17integral_constantIbLb1EES1O_IbLb0EEEEDaS1K_S1L_EUlS1K_E_NS1_11comp_targetILNS1_3genE8ELNS1_11target_archE1030ELNS1_3gpuE2ELNS1_3repE0EEENS1_30default_config_static_selectorELNS0_4arch9wavefront6targetE1EEEvSY_
	.p2align	8
	.type	_ZN7rocprim17ROCPRIM_400000_NS6detail17trampoline_kernelINS0_13select_configILj256ELj13ELNS0_17block_load_methodE3ELS4_3ELS4_3ELNS0_20block_scan_algorithmE0ELj4294967295EEENS1_25partition_config_selectorILNS1_17partition_subalgoE3EjNS0_10empty_typeEbEEZZNS1_14partition_implILS8_3ELb0ES6_jNS0_17counting_iteratorIjlEEPS9_SE_NS0_5tupleIJPjSE_EEENSF_IJSE_SE_EEES9_SG_JZNS1_25segmented_radix_sort_implINS0_14default_configELb0EPKfPfPKlPlN2at6native12_GLOBAL__N_18offset_tEEE10hipError_tPvRmT1_PNSt15iterator_traitsISY_E10value_typeET2_T3_PNSZ_IS14_E10value_typeET4_jRbjT5_S1A_jjP12ihipStream_tbEUljE_EEESV_SW_SX_S14_S18_S1A_T6_T7_T9_mT8_S1C_bDpT10_ENKUlT_T0_E_clISt17integral_constantIbLb1EES1O_IbLb0EEEEDaS1K_S1L_EUlS1K_E_NS1_11comp_targetILNS1_3genE8ELNS1_11target_archE1030ELNS1_3gpuE2ELNS1_3repE0EEENS1_30default_config_static_selectorELNS0_4arch9wavefront6targetE1EEEvSY_,@function
_ZN7rocprim17ROCPRIM_400000_NS6detail17trampoline_kernelINS0_13select_configILj256ELj13ELNS0_17block_load_methodE3ELS4_3ELS4_3ELNS0_20block_scan_algorithmE0ELj4294967295EEENS1_25partition_config_selectorILNS1_17partition_subalgoE3EjNS0_10empty_typeEbEEZZNS1_14partition_implILS8_3ELb0ES6_jNS0_17counting_iteratorIjlEEPS9_SE_NS0_5tupleIJPjSE_EEENSF_IJSE_SE_EEES9_SG_JZNS1_25segmented_radix_sort_implINS0_14default_configELb0EPKfPfPKlPlN2at6native12_GLOBAL__N_18offset_tEEE10hipError_tPvRmT1_PNSt15iterator_traitsISY_E10value_typeET2_T3_PNSZ_IS14_E10value_typeET4_jRbjT5_S1A_jjP12ihipStream_tbEUljE_EEESV_SW_SX_S14_S18_S1A_T6_T7_T9_mT8_S1C_bDpT10_ENKUlT_T0_E_clISt17integral_constantIbLb1EES1O_IbLb0EEEEDaS1K_S1L_EUlS1K_E_NS1_11comp_targetILNS1_3genE8ELNS1_11target_archE1030ELNS1_3gpuE2ELNS1_3repE0EEENS1_30default_config_static_selectorELNS0_4arch9wavefront6targetE1EEEvSY_: ; @_ZN7rocprim17ROCPRIM_400000_NS6detail17trampoline_kernelINS0_13select_configILj256ELj13ELNS0_17block_load_methodE3ELS4_3ELS4_3ELNS0_20block_scan_algorithmE0ELj4294967295EEENS1_25partition_config_selectorILNS1_17partition_subalgoE3EjNS0_10empty_typeEbEEZZNS1_14partition_implILS8_3ELb0ES6_jNS0_17counting_iteratorIjlEEPS9_SE_NS0_5tupleIJPjSE_EEENSF_IJSE_SE_EEES9_SG_JZNS1_25segmented_radix_sort_implINS0_14default_configELb0EPKfPfPKlPlN2at6native12_GLOBAL__N_18offset_tEEE10hipError_tPvRmT1_PNSt15iterator_traitsISY_E10value_typeET2_T3_PNSZ_IS14_E10value_typeET4_jRbjT5_S1A_jjP12ihipStream_tbEUljE_EEESV_SW_SX_S14_S18_S1A_T6_T7_T9_mT8_S1C_bDpT10_ENKUlT_T0_E_clISt17integral_constantIbLb1EES1O_IbLb0EEEEDaS1K_S1L_EUlS1K_E_NS1_11comp_targetILNS1_3genE8ELNS1_11target_archE1030ELNS1_3gpuE2ELNS1_3repE0EEENS1_30default_config_static_selectorELNS0_4arch9wavefront6targetE1EEEvSY_
; %bb.0:
	.section	.rodata,"a",@progbits
	.p2align	6, 0x0
	.amdhsa_kernel _ZN7rocprim17ROCPRIM_400000_NS6detail17trampoline_kernelINS0_13select_configILj256ELj13ELNS0_17block_load_methodE3ELS4_3ELS4_3ELNS0_20block_scan_algorithmE0ELj4294967295EEENS1_25partition_config_selectorILNS1_17partition_subalgoE3EjNS0_10empty_typeEbEEZZNS1_14partition_implILS8_3ELb0ES6_jNS0_17counting_iteratorIjlEEPS9_SE_NS0_5tupleIJPjSE_EEENSF_IJSE_SE_EEES9_SG_JZNS1_25segmented_radix_sort_implINS0_14default_configELb0EPKfPfPKlPlN2at6native12_GLOBAL__N_18offset_tEEE10hipError_tPvRmT1_PNSt15iterator_traitsISY_E10value_typeET2_T3_PNSZ_IS14_E10value_typeET4_jRbjT5_S1A_jjP12ihipStream_tbEUljE_EEESV_SW_SX_S14_S18_S1A_T6_T7_T9_mT8_S1C_bDpT10_ENKUlT_T0_E_clISt17integral_constantIbLb1EES1O_IbLb0EEEEDaS1K_S1L_EUlS1K_E_NS1_11comp_targetILNS1_3genE8ELNS1_11target_archE1030ELNS1_3gpuE2ELNS1_3repE0EEENS1_30default_config_static_selectorELNS0_4arch9wavefront6targetE1EEEvSY_
		.amdhsa_group_segment_fixed_size 0
		.amdhsa_private_segment_fixed_size 0
		.amdhsa_kernarg_size 144
		.amdhsa_user_sgpr_count 6
		.amdhsa_user_sgpr_private_segment_buffer 1
		.amdhsa_user_sgpr_dispatch_ptr 0
		.amdhsa_user_sgpr_queue_ptr 0
		.amdhsa_user_sgpr_kernarg_segment_ptr 1
		.amdhsa_user_sgpr_dispatch_id 0
		.amdhsa_user_sgpr_flat_scratch_init 0
		.amdhsa_user_sgpr_kernarg_preload_length 0
		.amdhsa_user_sgpr_kernarg_preload_offset 0
		.amdhsa_user_sgpr_private_segment_size 0
		.amdhsa_uses_dynamic_stack 0
		.amdhsa_system_sgpr_private_segment_wavefront_offset 0
		.amdhsa_system_sgpr_workgroup_id_x 1
		.amdhsa_system_sgpr_workgroup_id_y 0
		.amdhsa_system_sgpr_workgroup_id_z 0
		.amdhsa_system_sgpr_workgroup_info 0
		.amdhsa_system_vgpr_workitem_id 0
		.amdhsa_next_free_vgpr 1
		.amdhsa_next_free_sgpr 0
		.amdhsa_accum_offset 4
		.amdhsa_reserve_vcc 0
		.amdhsa_reserve_flat_scratch 0
		.amdhsa_float_round_mode_32 0
		.amdhsa_float_round_mode_16_64 0
		.amdhsa_float_denorm_mode_32 3
		.amdhsa_float_denorm_mode_16_64 3
		.amdhsa_dx10_clamp 1
		.amdhsa_ieee_mode 1
		.amdhsa_fp16_overflow 0
		.amdhsa_tg_split 0
		.amdhsa_exception_fp_ieee_invalid_op 0
		.amdhsa_exception_fp_denorm_src 0
		.amdhsa_exception_fp_ieee_div_zero 0
		.amdhsa_exception_fp_ieee_overflow 0
		.amdhsa_exception_fp_ieee_underflow 0
		.amdhsa_exception_fp_ieee_inexact 0
		.amdhsa_exception_int_div_zero 0
	.end_amdhsa_kernel
	.section	.text._ZN7rocprim17ROCPRIM_400000_NS6detail17trampoline_kernelINS0_13select_configILj256ELj13ELNS0_17block_load_methodE3ELS4_3ELS4_3ELNS0_20block_scan_algorithmE0ELj4294967295EEENS1_25partition_config_selectorILNS1_17partition_subalgoE3EjNS0_10empty_typeEbEEZZNS1_14partition_implILS8_3ELb0ES6_jNS0_17counting_iteratorIjlEEPS9_SE_NS0_5tupleIJPjSE_EEENSF_IJSE_SE_EEES9_SG_JZNS1_25segmented_radix_sort_implINS0_14default_configELb0EPKfPfPKlPlN2at6native12_GLOBAL__N_18offset_tEEE10hipError_tPvRmT1_PNSt15iterator_traitsISY_E10value_typeET2_T3_PNSZ_IS14_E10value_typeET4_jRbjT5_S1A_jjP12ihipStream_tbEUljE_EEESV_SW_SX_S14_S18_S1A_T6_T7_T9_mT8_S1C_bDpT10_ENKUlT_T0_E_clISt17integral_constantIbLb1EES1O_IbLb0EEEEDaS1K_S1L_EUlS1K_E_NS1_11comp_targetILNS1_3genE8ELNS1_11target_archE1030ELNS1_3gpuE2ELNS1_3repE0EEENS1_30default_config_static_selectorELNS0_4arch9wavefront6targetE1EEEvSY_,"axG",@progbits,_ZN7rocprim17ROCPRIM_400000_NS6detail17trampoline_kernelINS0_13select_configILj256ELj13ELNS0_17block_load_methodE3ELS4_3ELS4_3ELNS0_20block_scan_algorithmE0ELj4294967295EEENS1_25partition_config_selectorILNS1_17partition_subalgoE3EjNS0_10empty_typeEbEEZZNS1_14partition_implILS8_3ELb0ES6_jNS0_17counting_iteratorIjlEEPS9_SE_NS0_5tupleIJPjSE_EEENSF_IJSE_SE_EEES9_SG_JZNS1_25segmented_radix_sort_implINS0_14default_configELb0EPKfPfPKlPlN2at6native12_GLOBAL__N_18offset_tEEE10hipError_tPvRmT1_PNSt15iterator_traitsISY_E10value_typeET2_T3_PNSZ_IS14_E10value_typeET4_jRbjT5_S1A_jjP12ihipStream_tbEUljE_EEESV_SW_SX_S14_S18_S1A_T6_T7_T9_mT8_S1C_bDpT10_ENKUlT_T0_E_clISt17integral_constantIbLb1EES1O_IbLb0EEEEDaS1K_S1L_EUlS1K_E_NS1_11comp_targetILNS1_3genE8ELNS1_11target_archE1030ELNS1_3gpuE2ELNS1_3repE0EEENS1_30default_config_static_selectorELNS0_4arch9wavefront6targetE1EEEvSY_,comdat
.Lfunc_end1417:
	.size	_ZN7rocprim17ROCPRIM_400000_NS6detail17trampoline_kernelINS0_13select_configILj256ELj13ELNS0_17block_load_methodE3ELS4_3ELS4_3ELNS0_20block_scan_algorithmE0ELj4294967295EEENS1_25partition_config_selectorILNS1_17partition_subalgoE3EjNS0_10empty_typeEbEEZZNS1_14partition_implILS8_3ELb0ES6_jNS0_17counting_iteratorIjlEEPS9_SE_NS0_5tupleIJPjSE_EEENSF_IJSE_SE_EEES9_SG_JZNS1_25segmented_radix_sort_implINS0_14default_configELb0EPKfPfPKlPlN2at6native12_GLOBAL__N_18offset_tEEE10hipError_tPvRmT1_PNSt15iterator_traitsISY_E10value_typeET2_T3_PNSZ_IS14_E10value_typeET4_jRbjT5_S1A_jjP12ihipStream_tbEUljE_EEESV_SW_SX_S14_S18_S1A_T6_T7_T9_mT8_S1C_bDpT10_ENKUlT_T0_E_clISt17integral_constantIbLb1EES1O_IbLb0EEEEDaS1K_S1L_EUlS1K_E_NS1_11comp_targetILNS1_3genE8ELNS1_11target_archE1030ELNS1_3gpuE2ELNS1_3repE0EEENS1_30default_config_static_selectorELNS0_4arch9wavefront6targetE1EEEvSY_, .Lfunc_end1417-_ZN7rocprim17ROCPRIM_400000_NS6detail17trampoline_kernelINS0_13select_configILj256ELj13ELNS0_17block_load_methodE3ELS4_3ELS4_3ELNS0_20block_scan_algorithmE0ELj4294967295EEENS1_25partition_config_selectorILNS1_17partition_subalgoE3EjNS0_10empty_typeEbEEZZNS1_14partition_implILS8_3ELb0ES6_jNS0_17counting_iteratorIjlEEPS9_SE_NS0_5tupleIJPjSE_EEENSF_IJSE_SE_EEES9_SG_JZNS1_25segmented_radix_sort_implINS0_14default_configELb0EPKfPfPKlPlN2at6native12_GLOBAL__N_18offset_tEEE10hipError_tPvRmT1_PNSt15iterator_traitsISY_E10value_typeET2_T3_PNSZ_IS14_E10value_typeET4_jRbjT5_S1A_jjP12ihipStream_tbEUljE_EEESV_SW_SX_S14_S18_S1A_T6_T7_T9_mT8_S1C_bDpT10_ENKUlT_T0_E_clISt17integral_constantIbLb1EES1O_IbLb0EEEEDaS1K_S1L_EUlS1K_E_NS1_11comp_targetILNS1_3genE8ELNS1_11target_archE1030ELNS1_3gpuE2ELNS1_3repE0EEENS1_30default_config_static_selectorELNS0_4arch9wavefront6targetE1EEEvSY_
                                        ; -- End function
	.section	.AMDGPU.csdata,"",@progbits
; Kernel info:
; codeLenInByte = 0
; NumSgprs: 4
; NumVgprs: 0
; NumAgprs: 0
; TotalNumVgprs: 0
; ScratchSize: 0
; MemoryBound: 0
; FloatMode: 240
; IeeeMode: 1
; LDSByteSize: 0 bytes/workgroup (compile time only)
; SGPRBlocks: 0
; VGPRBlocks: 0
; NumSGPRsForWavesPerEU: 4
; NumVGPRsForWavesPerEU: 1
; AccumOffset: 4
; Occupancy: 8
; WaveLimiterHint : 0
; COMPUTE_PGM_RSRC2:SCRATCH_EN: 0
; COMPUTE_PGM_RSRC2:USER_SGPR: 6
; COMPUTE_PGM_RSRC2:TRAP_HANDLER: 0
; COMPUTE_PGM_RSRC2:TGID_X_EN: 1
; COMPUTE_PGM_RSRC2:TGID_Y_EN: 0
; COMPUTE_PGM_RSRC2:TGID_Z_EN: 0
; COMPUTE_PGM_RSRC2:TIDIG_COMP_CNT: 0
; COMPUTE_PGM_RSRC3_GFX90A:ACCUM_OFFSET: 0
; COMPUTE_PGM_RSRC3_GFX90A:TG_SPLIT: 0
	.section	.text._ZN7rocprim17ROCPRIM_400000_NS6detail17trampoline_kernelINS0_13select_configILj256ELj13ELNS0_17block_load_methodE3ELS4_3ELS4_3ELNS0_20block_scan_algorithmE0ELj4294967295EEENS1_25partition_config_selectorILNS1_17partition_subalgoE3EjNS0_10empty_typeEbEEZZNS1_14partition_implILS8_3ELb0ES6_jNS0_17counting_iteratorIjlEEPS9_SE_NS0_5tupleIJPjSE_EEENSF_IJSE_SE_EEES9_SG_JZNS1_25segmented_radix_sort_implINS0_14default_configELb0EPKfPfPKlPlN2at6native12_GLOBAL__N_18offset_tEEE10hipError_tPvRmT1_PNSt15iterator_traitsISY_E10value_typeET2_T3_PNSZ_IS14_E10value_typeET4_jRbjT5_S1A_jjP12ihipStream_tbEUljE_EEESV_SW_SX_S14_S18_S1A_T6_T7_T9_mT8_S1C_bDpT10_ENKUlT_T0_E_clISt17integral_constantIbLb0EES1O_IbLb1EEEEDaS1K_S1L_EUlS1K_E_NS1_11comp_targetILNS1_3genE0ELNS1_11target_archE4294967295ELNS1_3gpuE0ELNS1_3repE0EEENS1_30default_config_static_selectorELNS0_4arch9wavefront6targetE1EEEvSY_,"axG",@progbits,_ZN7rocprim17ROCPRIM_400000_NS6detail17trampoline_kernelINS0_13select_configILj256ELj13ELNS0_17block_load_methodE3ELS4_3ELS4_3ELNS0_20block_scan_algorithmE0ELj4294967295EEENS1_25partition_config_selectorILNS1_17partition_subalgoE3EjNS0_10empty_typeEbEEZZNS1_14partition_implILS8_3ELb0ES6_jNS0_17counting_iteratorIjlEEPS9_SE_NS0_5tupleIJPjSE_EEENSF_IJSE_SE_EEES9_SG_JZNS1_25segmented_radix_sort_implINS0_14default_configELb0EPKfPfPKlPlN2at6native12_GLOBAL__N_18offset_tEEE10hipError_tPvRmT1_PNSt15iterator_traitsISY_E10value_typeET2_T3_PNSZ_IS14_E10value_typeET4_jRbjT5_S1A_jjP12ihipStream_tbEUljE_EEESV_SW_SX_S14_S18_S1A_T6_T7_T9_mT8_S1C_bDpT10_ENKUlT_T0_E_clISt17integral_constantIbLb0EES1O_IbLb1EEEEDaS1K_S1L_EUlS1K_E_NS1_11comp_targetILNS1_3genE0ELNS1_11target_archE4294967295ELNS1_3gpuE0ELNS1_3repE0EEENS1_30default_config_static_selectorELNS0_4arch9wavefront6targetE1EEEvSY_,comdat
	.globl	_ZN7rocprim17ROCPRIM_400000_NS6detail17trampoline_kernelINS0_13select_configILj256ELj13ELNS0_17block_load_methodE3ELS4_3ELS4_3ELNS0_20block_scan_algorithmE0ELj4294967295EEENS1_25partition_config_selectorILNS1_17partition_subalgoE3EjNS0_10empty_typeEbEEZZNS1_14partition_implILS8_3ELb0ES6_jNS0_17counting_iteratorIjlEEPS9_SE_NS0_5tupleIJPjSE_EEENSF_IJSE_SE_EEES9_SG_JZNS1_25segmented_radix_sort_implINS0_14default_configELb0EPKfPfPKlPlN2at6native12_GLOBAL__N_18offset_tEEE10hipError_tPvRmT1_PNSt15iterator_traitsISY_E10value_typeET2_T3_PNSZ_IS14_E10value_typeET4_jRbjT5_S1A_jjP12ihipStream_tbEUljE_EEESV_SW_SX_S14_S18_S1A_T6_T7_T9_mT8_S1C_bDpT10_ENKUlT_T0_E_clISt17integral_constantIbLb0EES1O_IbLb1EEEEDaS1K_S1L_EUlS1K_E_NS1_11comp_targetILNS1_3genE0ELNS1_11target_archE4294967295ELNS1_3gpuE0ELNS1_3repE0EEENS1_30default_config_static_selectorELNS0_4arch9wavefront6targetE1EEEvSY_ ; -- Begin function _ZN7rocprim17ROCPRIM_400000_NS6detail17trampoline_kernelINS0_13select_configILj256ELj13ELNS0_17block_load_methodE3ELS4_3ELS4_3ELNS0_20block_scan_algorithmE0ELj4294967295EEENS1_25partition_config_selectorILNS1_17partition_subalgoE3EjNS0_10empty_typeEbEEZZNS1_14partition_implILS8_3ELb0ES6_jNS0_17counting_iteratorIjlEEPS9_SE_NS0_5tupleIJPjSE_EEENSF_IJSE_SE_EEES9_SG_JZNS1_25segmented_radix_sort_implINS0_14default_configELb0EPKfPfPKlPlN2at6native12_GLOBAL__N_18offset_tEEE10hipError_tPvRmT1_PNSt15iterator_traitsISY_E10value_typeET2_T3_PNSZ_IS14_E10value_typeET4_jRbjT5_S1A_jjP12ihipStream_tbEUljE_EEESV_SW_SX_S14_S18_S1A_T6_T7_T9_mT8_S1C_bDpT10_ENKUlT_T0_E_clISt17integral_constantIbLb0EES1O_IbLb1EEEEDaS1K_S1L_EUlS1K_E_NS1_11comp_targetILNS1_3genE0ELNS1_11target_archE4294967295ELNS1_3gpuE0ELNS1_3repE0EEENS1_30default_config_static_selectorELNS0_4arch9wavefront6targetE1EEEvSY_
	.p2align	8
	.type	_ZN7rocprim17ROCPRIM_400000_NS6detail17trampoline_kernelINS0_13select_configILj256ELj13ELNS0_17block_load_methodE3ELS4_3ELS4_3ELNS0_20block_scan_algorithmE0ELj4294967295EEENS1_25partition_config_selectorILNS1_17partition_subalgoE3EjNS0_10empty_typeEbEEZZNS1_14partition_implILS8_3ELb0ES6_jNS0_17counting_iteratorIjlEEPS9_SE_NS0_5tupleIJPjSE_EEENSF_IJSE_SE_EEES9_SG_JZNS1_25segmented_radix_sort_implINS0_14default_configELb0EPKfPfPKlPlN2at6native12_GLOBAL__N_18offset_tEEE10hipError_tPvRmT1_PNSt15iterator_traitsISY_E10value_typeET2_T3_PNSZ_IS14_E10value_typeET4_jRbjT5_S1A_jjP12ihipStream_tbEUljE_EEESV_SW_SX_S14_S18_S1A_T6_T7_T9_mT8_S1C_bDpT10_ENKUlT_T0_E_clISt17integral_constantIbLb0EES1O_IbLb1EEEEDaS1K_S1L_EUlS1K_E_NS1_11comp_targetILNS1_3genE0ELNS1_11target_archE4294967295ELNS1_3gpuE0ELNS1_3repE0EEENS1_30default_config_static_selectorELNS0_4arch9wavefront6targetE1EEEvSY_,@function
_ZN7rocprim17ROCPRIM_400000_NS6detail17trampoline_kernelINS0_13select_configILj256ELj13ELNS0_17block_load_methodE3ELS4_3ELS4_3ELNS0_20block_scan_algorithmE0ELj4294967295EEENS1_25partition_config_selectorILNS1_17partition_subalgoE3EjNS0_10empty_typeEbEEZZNS1_14partition_implILS8_3ELb0ES6_jNS0_17counting_iteratorIjlEEPS9_SE_NS0_5tupleIJPjSE_EEENSF_IJSE_SE_EEES9_SG_JZNS1_25segmented_radix_sort_implINS0_14default_configELb0EPKfPfPKlPlN2at6native12_GLOBAL__N_18offset_tEEE10hipError_tPvRmT1_PNSt15iterator_traitsISY_E10value_typeET2_T3_PNSZ_IS14_E10value_typeET4_jRbjT5_S1A_jjP12ihipStream_tbEUljE_EEESV_SW_SX_S14_S18_S1A_T6_T7_T9_mT8_S1C_bDpT10_ENKUlT_T0_E_clISt17integral_constantIbLb0EES1O_IbLb1EEEEDaS1K_S1L_EUlS1K_E_NS1_11comp_targetILNS1_3genE0ELNS1_11target_archE4294967295ELNS1_3gpuE0ELNS1_3repE0EEENS1_30default_config_static_selectorELNS0_4arch9wavefront6targetE1EEEvSY_: ; @_ZN7rocprim17ROCPRIM_400000_NS6detail17trampoline_kernelINS0_13select_configILj256ELj13ELNS0_17block_load_methodE3ELS4_3ELS4_3ELNS0_20block_scan_algorithmE0ELj4294967295EEENS1_25partition_config_selectorILNS1_17partition_subalgoE3EjNS0_10empty_typeEbEEZZNS1_14partition_implILS8_3ELb0ES6_jNS0_17counting_iteratorIjlEEPS9_SE_NS0_5tupleIJPjSE_EEENSF_IJSE_SE_EEES9_SG_JZNS1_25segmented_radix_sort_implINS0_14default_configELb0EPKfPfPKlPlN2at6native12_GLOBAL__N_18offset_tEEE10hipError_tPvRmT1_PNSt15iterator_traitsISY_E10value_typeET2_T3_PNSZ_IS14_E10value_typeET4_jRbjT5_S1A_jjP12ihipStream_tbEUljE_EEESV_SW_SX_S14_S18_S1A_T6_T7_T9_mT8_S1C_bDpT10_ENKUlT_T0_E_clISt17integral_constantIbLb0EES1O_IbLb1EEEEDaS1K_S1L_EUlS1K_E_NS1_11comp_targetILNS1_3genE0ELNS1_11target_archE4294967295ELNS1_3gpuE0ELNS1_3repE0EEENS1_30default_config_static_selectorELNS0_4arch9wavefront6targetE1EEEvSY_
; %bb.0:
	.section	.rodata,"a",@progbits
	.p2align	6, 0x0
	.amdhsa_kernel _ZN7rocprim17ROCPRIM_400000_NS6detail17trampoline_kernelINS0_13select_configILj256ELj13ELNS0_17block_load_methodE3ELS4_3ELS4_3ELNS0_20block_scan_algorithmE0ELj4294967295EEENS1_25partition_config_selectorILNS1_17partition_subalgoE3EjNS0_10empty_typeEbEEZZNS1_14partition_implILS8_3ELb0ES6_jNS0_17counting_iteratorIjlEEPS9_SE_NS0_5tupleIJPjSE_EEENSF_IJSE_SE_EEES9_SG_JZNS1_25segmented_radix_sort_implINS0_14default_configELb0EPKfPfPKlPlN2at6native12_GLOBAL__N_18offset_tEEE10hipError_tPvRmT1_PNSt15iterator_traitsISY_E10value_typeET2_T3_PNSZ_IS14_E10value_typeET4_jRbjT5_S1A_jjP12ihipStream_tbEUljE_EEESV_SW_SX_S14_S18_S1A_T6_T7_T9_mT8_S1C_bDpT10_ENKUlT_T0_E_clISt17integral_constantIbLb0EES1O_IbLb1EEEEDaS1K_S1L_EUlS1K_E_NS1_11comp_targetILNS1_3genE0ELNS1_11target_archE4294967295ELNS1_3gpuE0ELNS1_3repE0EEENS1_30default_config_static_selectorELNS0_4arch9wavefront6targetE1EEEvSY_
		.amdhsa_group_segment_fixed_size 0
		.amdhsa_private_segment_fixed_size 0
		.amdhsa_kernarg_size 152
		.amdhsa_user_sgpr_count 6
		.amdhsa_user_sgpr_private_segment_buffer 1
		.amdhsa_user_sgpr_dispatch_ptr 0
		.amdhsa_user_sgpr_queue_ptr 0
		.amdhsa_user_sgpr_kernarg_segment_ptr 1
		.amdhsa_user_sgpr_dispatch_id 0
		.amdhsa_user_sgpr_flat_scratch_init 0
		.amdhsa_user_sgpr_kernarg_preload_length 0
		.amdhsa_user_sgpr_kernarg_preload_offset 0
		.amdhsa_user_sgpr_private_segment_size 0
		.amdhsa_uses_dynamic_stack 0
		.amdhsa_system_sgpr_private_segment_wavefront_offset 0
		.amdhsa_system_sgpr_workgroup_id_x 1
		.amdhsa_system_sgpr_workgroup_id_y 0
		.amdhsa_system_sgpr_workgroup_id_z 0
		.amdhsa_system_sgpr_workgroup_info 0
		.amdhsa_system_vgpr_workitem_id 0
		.amdhsa_next_free_vgpr 1
		.amdhsa_next_free_sgpr 0
		.amdhsa_accum_offset 4
		.amdhsa_reserve_vcc 0
		.amdhsa_reserve_flat_scratch 0
		.amdhsa_float_round_mode_32 0
		.amdhsa_float_round_mode_16_64 0
		.amdhsa_float_denorm_mode_32 3
		.amdhsa_float_denorm_mode_16_64 3
		.amdhsa_dx10_clamp 1
		.amdhsa_ieee_mode 1
		.amdhsa_fp16_overflow 0
		.amdhsa_tg_split 0
		.amdhsa_exception_fp_ieee_invalid_op 0
		.amdhsa_exception_fp_denorm_src 0
		.amdhsa_exception_fp_ieee_div_zero 0
		.amdhsa_exception_fp_ieee_overflow 0
		.amdhsa_exception_fp_ieee_underflow 0
		.amdhsa_exception_fp_ieee_inexact 0
		.amdhsa_exception_int_div_zero 0
	.end_amdhsa_kernel
	.section	.text._ZN7rocprim17ROCPRIM_400000_NS6detail17trampoline_kernelINS0_13select_configILj256ELj13ELNS0_17block_load_methodE3ELS4_3ELS4_3ELNS0_20block_scan_algorithmE0ELj4294967295EEENS1_25partition_config_selectorILNS1_17partition_subalgoE3EjNS0_10empty_typeEbEEZZNS1_14partition_implILS8_3ELb0ES6_jNS0_17counting_iteratorIjlEEPS9_SE_NS0_5tupleIJPjSE_EEENSF_IJSE_SE_EEES9_SG_JZNS1_25segmented_radix_sort_implINS0_14default_configELb0EPKfPfPKlPlN2at6native12_GLOBAL__N_18offset_tEEE10hipError_tPvRmT1_PNSt15iterator_traitsISY_E10value_typeET2_T3_PNSZ_IS14_E10value_typeET4_jRbjT5_S1A_jjP12ihipStream_tbEUljE_EEESV_SW_SX_S14_S18_S1A_T6_T7_T9_mT8_S1C_bDpT10_ENKUlT_T0_E_clISt17integral_constantIbLb0EES1O_IbLb1EEEEDaS1K_S1L_EUlS1K_E_NS1_11comp_targetILNS1_3genE0ELNS1_11target_archE4294967295ELNS1_3gpuE0ELNS1_3repE0EEENS1_30default_config_static_selectorELNS0_4arch9wavefront6targetE1EEEvSY_,"axG",@progbits,_ZN7rocprim17ROCPRIM_400000_NS6detail17trampoline_kernelINS0_13select_configILj256ELj13ELNS0_17block_load_methodE3ELS4_3ELS4_3ELNS0_20block_scan_algorithmE0ELj4294967295EEENS1_25partition_config_selectorILNS1_17partition_subalgoE3EjNS0_10empty_typeEbEEZZNS1_14partition_implILS8_3ELb0ES6_jNS0_17counting_iteratorIjlEEPS9_SE_NS0_5tupleIJPjSE_EEENSF_IJSE_SE_EEES9_SG_JZNS1_25segmented_radix_sort_implINS0_14default_configELb0EPKfPfPKlPlN2at6native12_GLOBAL__N_18offset_tEEE10hipError_tPvRmT1_PNSt15iterator_traitsISY_E10value_typeET2_T3_PNSZ_IS14_E10value_typeET4_jRbjT5_S1A_jjP12ihipStream_tbEUljE_EEESV_SW_SX_S14_S18_S1A_T6_T7_T9_mT8_S1C_bDpT10_ENKUlT_T0_E_clISt17integral_constantIbLb0EES1O_IbLb1EEEEDaS1K_S1L_EUlS1K_E_NS1_11comp_targetILNS1_3genE0ELNS1_11target_archE4294967295ELNS1_3gpuE0ELNS1_3repE0EEENS1_30default_config_static_selectorELNS0_4arch9wavefront6targetE1EEEvSY_,comdat
.Lfunc_end1418:
	.size	_ZN7rocprim17ROCPRIM_400000_NS6detail17trampoline_kernelINS0_13select_configILj256ELj13ELNS0_17block_load_methodE3ELS4_3ELS4_3ELNS0_20block_scan_algorithmE0ELj4294967295EEENS1_25partition_config_selectorILNS1_17partition_subalgoE3EjNS0_10empty_typeEbEEZZNS1_14partition_implILS8_3ELb0ES6_jNS0_17counting_iteratorIjlEEPS9_SE_NS0_5tupleIJPjSE_EEENSF_IJSE_SE_EEES9_SG_JZNS1_25segmented_radix_sort_implINS0_14default_configELb0EPKfPfPKlPlN2at6native12_GLOBAL__N_18offset_tEEE10hipError_tPvRmT1_PNSt15iterator_traitsISY_E10value_typeET2_T3_PNSZ_IS14_E10value_typeET4_jRbjT5_S1A_jjP12ihipStream_tbEUljE_EEESV_SW_SX_S14_S18_S1A_T6_T7_T9_mT8_S1C_bDpT10_ENKUlT_T0_E_clISt17integral_constantIbLb0EES1O_IbLb1EEEEDaS1K_S1L_EUlS1K_E_NS1_11comp_targetILNS1_3genE0ELNS1_11target_archE4294967295ELNS1_3gpuE0ELNS1_3repE0EEENS1_30default_config_static_selectorELNS0_4arch9wavefront6targetE1EEEvSY_, .Lfunc_end1418-_ZN7rocprim17ROCPRIM_400000_NS6detail17trampoline_kernelINS0_13select_configILj256ELj13ELNS0_17block_load_methodE3ELS4_3ELS4_3ELNS0_20block_scan_algorithmE0ELj4294967295EEENS1_25partition_config_selectorILNS1_17partition_subalgoE3EjNS0_10empty_typeEbEEZZNS1_14partition_implILS8_3ELb0ES6_jNS0_17counting_iteratorIjlEEPS9_SE_NS0_5tupleIJPjSE_EEENSF_IJSE_SE_EEES9_SG_JZNS1_25segmented_radix_sort_implINS0_14default_configELb0EPKfPfPKlPlN2at6native12_GLOBAL__N_18offset_tEEE10hipError_tPvRmT1_PNSt15iterator_traitsISY_E10value_typeET2_T3_PNSZ_IS14_E10value_typeET4_jRbjT5_S1A_jjP12ihipStream_tbEUljE_EEESV_SW_SX_S14_S18_S1A_T6_T7_T9_mT8_S1C_bDpT10_ENKUlT_T0_E_clISt17integral_constantIbLb0EES1O_IbLb1EEEEDaS1K_S1L_EUlS1K_E_NS1_11comp_targetILNS1_3genE0ELNS1_11target_archE4294967295ELNS1_3gpuE0ELNS1_3repE0EEENS1_30default_config_static_selectorELNS0_4arch9wavefront6targetE1EEEvSY_
                                        ; -- End function
	.section	.AMDGPU.csdata,"",@progbits
; Kernel info:
; codeLenInByte = 0
; NumSgprs: 4
; NumVgprs: 0
; NumAgprs: 0
; TotalNumVgprs: 0
; ScratchSize: 0
; MemoryBound: 0
; FloatMode: 240
; IeeeMode: 1
; LDSByteSize: 0 bytes/workgroup (compile time only)
; SGPRBlocks: 0
; VGPRBlocks: 0
; NumSGPRsForWavesPerEU: 4
; NumVGPRsForWavesPerEU: 1
; AccumOffset: 4
; Occupancy: 8
; WaveLimiterHint : 0
; COMPUTE_PGM_RSRC2:SCRATCH_EN: 0
; COMPUTE_PGM_RSRC2:USER_SGPR: 6
; COMPUTE_PGM_RSRC2:TRAP_HANDLER: 0
; COMPUTE_PGM_RSRC2:TGID_X_EN: 1
; COMPUTE_PGM_RSRC2:TGID_Y_EN: 0
; COMPUTE_PGM_RSRC2:TGID_Z_EN: 0
; COMPUTE_PGM_RSRC2:TIDIG_COMP_CNT: 0
; COMPUTE_PGM_RSRC3_GFX90A:ACCUM_OFFSET: 0
; COMPUTE_PGM_RSRC3_GFX90A:TG_SPLIT: 0
	.section	.text._ZN7rocprim17ROCPRIM_400000_NS6detail17trampoline_kernelINS0_13select_configILj256ELj13ELNS0_17block_load_methodE3ELS4_3ELS4_3ELNS0_20block_scan_algorithmE0ELj4294967295EEENS1_25partition_config_selectorILNS1_17partition_subalgoE3EjNS0_10empty_typeEbEEZZNS1_14partition_implILS8_3ELb0ES6_jNS0_17counting_iteratorIjlEEPS9_SE_NS0_5tupleIJPjSE_EEENSF_IJSE_SE_EEES9_SG_JZNS1_25segmented_radix_sort_implINS0_14default_configELb0EPKfPfPKlPlN2at6native12_GLOBAL__N_18offset_tEEE10hipError_tPvRmT1_PNSt15iterator_traitsISY_E10value_typeET2_T3_PNSZ_IS14_E10value_typeET4_jRbjT5_S1A_jjP12ihipStream_tbEUljE_EEESV_SW_SX_S14_S18_S1A_T6_T7_T9_mT8_S1C_bDpT10_ENKUlT_T0_E_clISt17integral_constantIbLb0EES1O_IbLb1EEEEDaS1K_S1L_EUlS1K_E_NS1_11comp_targetILNS1_3genE5ELNS1_11target_archE942ELNS1_3gpuE9ELNS1_3repE0EEENS1_30default_config_static_selectorELNS0_4arch9wavefront6targetE1EEEvSY_,"axG",@progbits,_ZN7rocprim17ROCPRIM_400000_NS6detail17trampoline_kernelINS0_13select_configILj256ELj13ELNS0_17block_load_methodE3ELS4_3ELS4_3ELNS0_20block_scan_algorithmE0ELj4294967295EEENS1_25partition_config_selectorILNS1_17partition_subalgoE3EjNS0_10empty_typeEbEEZZNS1_14partition_implILS8_3ELb0ES6_jNS0_17counting_iteratorIjlEEPS9_SE_NS0_5tupleIJPjSE_EEENSF_IJSE_SE_EEES9_SG_JZNS1_25segmented_radix_sort_implINS0_14default_configELb0EPKfPfPKlPlN2at6native12_GLOBAL__N_18offset_tEEE10hipError_tPvRmT1_PNSt15iterator_traitsISY_E10value_typeET2_T3_PNSZ_IS14_E10value_typeET4_jRbjT5_S1A_jjP12ihipStream_tbEUljE_EEESV_SW_SX_S14_S18_S1A_T6_T7_T9_mT8_S1C_bDpT10_ENKUlT_T0_E_clISt17integral_constantIbLb0EES1O_IbLb1EEEEDaS1K_S1L_EUlS1K_E_NS1_11comp_targetILNS1_3genE5ELNS1_11target_archE942ELNS1_3gpuE9ELNS1_3repE0EEENS1_30default_config_static_selectorELNS0_4arch9wavefront6targetE1EEEvSY_,comdat
	.globl	_ZN7rocprim17ROCPRIM_400000_NS6detail17trampoline_kernelINS0_13select_configILj256ELj13ELNS0_17block_load_methodE3ELS4_3ELS4_3ELNS0_20block_scan_algorithmE0ELj4294967295EEENS1_25partition_config_selectorILNS1_17partition_subalgoE3EjNS0_10empty_typeEbEEZZNS1_14partition_implILS8_3ELb0ES6_jNS0_17counting_iteratorIjlEEPS9_SE_NS0_5tupleIJPjSE_EEENSF_IJSE_SE_EEES9_SG_JZNS1_25segmented_radix_sort_implINS0_14default_configELb0EPKfPfPKlPlN2at6native12_GLOBAL__N_18offset_tEEE10hipError_tPvRmT1_PNSt15iterator_traitsISY_E10value_typeET2_T3_PNSZ_IS14_E10value_typeET4_jRbjT5_S1A_jjP12ihipStream_tbEUljE_EEESV_SW_SX_S14_S18_S1A_T6_T7_T9_mT8_S1C_bDpT10_ENKUlT_T0_E_clISt17integral_constantIbLb0EES1O_IbLb1EEEEDaS1K_S1L_EUlS1K_E_NS1_11comp_targetILNS1_3genE5ELNS1_11target_archE942ELNS1_3gpuE9ELNS1_3repE0EEENS1_30default_config_static_selectorELNS0_4arch9wavefront6targetE1EEEvSY_ ; -- Begin function _ZN7rocprim17ROCPRIM_400000_NS6detail17trampoline_kernelINS0_13select_configILj256ELj13ELNS0_17block_load_methodE3ELS4_3ELS4_3ELNS0_20block_scan_algorithmE0ELj4294967295EEENS1_25partition_config_selectorILNS1_17partition_subalgoE3EjNS0_10empty_typeEbEEZZNS1_14partition_implILS8_3ELb0ES6_jNS0_17counting_iteratorIjlEEPS9_SE_NS0_5tupleIJPjSE_EEENSF_IJSE_SE_EEES9_SG_JZNS1_25segmented_radix_sort_implINS0_14default_configELb0EPKfPfPKlPlN2at6native12_GLOBAL__N_18offset_tEEE10hipError_tPvRmT1_PNSt15iterator_traitsISY_E10value_typeET2_T3_PNSZ_IS14_E10value_typeET4_jRbjT5_S1A_jjP12ihipStream_tbEUljE_EEESV_SW_SX_S14_S18_S1A_T6_T7_T9_mT8_S1C_bDpT10_ENKUlT_T0_E_clISt17integral_constantIbLb0EES1O_IbLb1EEEEDaS1K_S1L_EUlS1K_E_NS1_11comp_targetILNS1_3genE5ELNS1_11target_archE942ELNS1_3gpuE9ELNS1_3repE0EEENS1_30default_config_static_selectorELNS0_4arch9wavefront6targetE1EEEvSY_
	.p2align	8
	.type	_ZN7rocprim17ROCPRIM_400000_NS6detail17trampoline_kernelINS0_13select_configILj256ELj13ELNS0_17block_load_methodE3ELS4_3ELS4_3ELNS0_20block_scan_algorithmE0ELj4294967295EEENS1_25partition_config_selectorILNS1_17partition_subalgoE3EjNS0_10empty_typeEbEEZZNS1_14partition_implILS8_3ELb0ES6_jNS0_17counting_iteratorIjlEEPS9_SE_NS0_5tupleIJPjSE_EEENSF_IJSE_SE_EEES9_SG_JZNS1_25segmented_radix_sort_implINS0_14default_configELb0EPKfPfPKlPlN2at6native12_GLOBAL__N_18offset_tEEE10hipError_tPvRmT1_PNSt15iterator_traitsISY_E10value_typeET2_T3_PNSZ_IS14_E10value_typeET4_jRbjT5_S1A_jjP12ihipStream_tbEUljE_EEESV_SW_SX_S14_S18_S1A_T6_T7_T9_mT8_S1C_bDpT10_ENKUlT_T0_E_clISt17integral_constantIbLb0EES1O_IbLb1EEEEDaS1K_S1L_EUlS1K_E_NS1_11comp_targetILNS1_3genE5ELNS1_11target_archE942ELNS1_3gpuE9ELNS1_3repE0EEENS1_30default_config_static_selectorELNS0_4arch9wavefront6targetE1EEEvSY_,@function
_ZN7rocprim17ROCPRIM_400000_NS6detail17trampoline_kernelINS0_13select_configILj256ELj13ELNS0_17block_load_methodE3ELS4_3ELS4_3ELNS0_20block_scan_algorithmE0ELj4294967295EEENS1_25partition_config_selectorILNS1_17partition_subalgoE3EjNS0_10empty_typeEbEEZZNS1_14partition_implILS8_3ELb0ES6_jNS0_17counting_iteratorIjlEEPS9_SE_NS0_5tupleIJPjSE_EEENSF_IJSE_SE_EEES9_SG_JZNS1_25segmented_radix_sort_implINS0_14default_configELb0EPKfPfPKlPlN2at6native12_GLOBAL__N_18offset_tEEE10hipError_tPvRmT1_PNSt15iterator_traitsISY_E10value_typeET2_T3_PNSZ_IS14_E10value_typeET4_jRbjT5_S1A_jjP12ihipStream_tbEUljE_EEESV_SW_SX_S14_S18_S1A_T6_T7_T9_mT8_S1C_bDpT10_ENKUlT_T0_E_clISt17integral_constantIbLb0EES1O_IbLb1EEEEDaS1K_S1L_EUlS1K_E_NS1_11comp_targetILNS1_3genE5ELNS1_11target_archE942ELNS1_3gpuE9ELNS1_3repE0EEENS1_30default_config_static_selectorELNS0_4arch9wavefront6targetE1EEEvSY_: ; @_ZN7rocprim17ROCPRIM_400000_NS6detail17trampoline_kernelINS0_13select_configILj256ELj13ELNS0_17block_load_methodE3ELS4_3ELS4_3ELNS0_20block_scan_algorithmE0ELj4294967295EEENS1_25partition_config_selectorILNS1_17partition_subalgoE3EjNS0_10empty_typeEbEEZZNS1_14partition_implILS8_3ELb0ES6_jNS0_17counting_iteratorIjlEEPS9_SE_NS0_5tupleIJPjSE_EEENSF_IJSE_SE_EEES9_SG_JZNS1_25segmented_radix_sort_implINS0_14default_configELb0EPKfPfPKlPlN2at6native12_GLOBAL__N_18offset_tEEE10hipError_tPvRmT1_PNSt15iterator_traitsISY_E10value_typeET2_T3_PNSZ_IS14_E10value_typeET4_jRbjT5_S1A_jjP12ihipStream_tbEUljE_EEESV_SW_SX_S14_S18_S1A_T6_T7_T9_mT8_S1C_bDpT10_ENKUlT_T0_E_clISt17integral_constantIbLb0EES1O_IbLb1EEEEDaS1K_S1L_EUlS1K_E_NS1_11comp_targetILNS1_3genE5ELNS1_11target_archE942ELNS1_3gpuE9ELNS1_3repE0EEENS1_30default_config_static_selectorELNS0_4arch9wavefront6targetE1EEEvSY_
; %bb.0:
	.section	.rodata,"a",@progbits
	.p2align	6, 0x0
	.amdhsa_kernel _ZN7rocprim17ROCPRIM_400000_NS6detail17trampoline_kernelINS0_13select_configILj256ELj13ELNS0_17block_load_methodE3ELS4_3ELS4_3ELNS0_20block_scan_algorithmE0ELj4294967295EEENS1_25partition_config_selectorILNS1_17partition_subalgoE3EjNS0_10empty_typeEbEEZZNS1_14partition_implILS8_3ELb0ES6_jNS0_17counting_iteratorIjlEEPS9_SE_NS0_5tupleIJPjSE_EEENSF_IJSE_SE_EEES9_SG_JZNS1_25segmented_radix_sort_implINS0_14default_configELb0EPKfPfPKlPlN2at6native12_GLOBAL__N_18offset_tEEE10hipError_tPvRmT1_PNSt15iterator_traitsISY_E10value_typeET2_T3_PNSZ_IS14_E10value_typeET4_jRbjT5_S1A_jjP12ihipStream_tbEUljE_EEESV_SW_SX_S14_S18_S1A_T6_T7_T9_mT8_S1C_bDpT10_ENKUlT_T0_E_clISt17integral_constantIbLb0EES1O_IbLb1EEEEDaS1K_S1L_EUlS1K_E_NS1_11comp_targetILNS1_3genE5ELNS1_11target_archE942ELNS1_3gpuE9ELNS1_3repE0EEENS1_30default_config_static_selectorELNS0_4arch9wavefront6targetE1EEEvSY_
		.amdhsa_group_segment_fixed_size 0
		.amdhsa_private_segment_fixed_size 0
		.amdhsa_kernarg_size 152
		.amdhsa_user_sgpr_count 6
		.amdhsa_user_sgpr_private_segment_buffer 1
		.amdhsa_user_sgpr_dispatch_ptr 0
		.amdhsa_user_sgpr_queue_ptr 0
		.amdhsa_user_sgpr_kernarg_segment_ptr 1
		.amdhsa_user_sgpr_dispatch_id 0
		.amdhsa_user_sgpr_flat_scratch_init 0
		.amdhsa_user_sgpr_kernarg_preload_length 0
		.amdhsa_user_sgpr_kernarg_preload_offset 0
		.amdhsa_user_sgpr_private_segment_size 0
		.amdhsa_uses_dynamic_stack 0
		.amdhsa_system_sgpr_private_segment_wavefront_offset 0
		.amdhsa_system_sgpr_workgroup_id_x 1
		.amdhsa_system_sgpr_workgroup_id_y 0
		.amdhsa_system_sgpr_workgroup_id_z 0
		.amdhsa_system_sgpr_workgroup_info 0
		.amdhsa_system_vgpr_workitem_id 0
		.amdhsa_next_free_vgpr 1
		.amdhsa_next_free_sgpr 0
		.amdhsa_accum_offset 4
		.amdhsa_reserve_vcc 0
		.amdhsa_reserve_flat_scratch 0
		.amdhsa_float_round_mode_32 0
		.amdhsa_float_round_mode_16_64 0
		.amdhsa_float_denorm_mode_32 3
		.amdhsa_float_denorm_mode_16_64 3
		.amdhsa_dx10_clamp 1
		.amdhsa_ieee_mode 1
		.amdhsa_fp16_overflow 0
		.amdhsa_tg_split 0
		.amdhsa_exception_fp_ieee_invalid_op 0
		.amdhsa_exception_fp_denorm_src 0
		.amdhsa_exception_fp_ieee_div_zero 0
		.amdhsa_exception_fp_ieee_overflow 0
		.amdhsa_exception_fp_ieee_underflow 0
		.amdhsa_exception_fp_ieee_inexact 0
		.amdhsa_exception_int_div_zero 0
	.end_amdhsa_kernel
	.section	.text._ZN7rocprim17ROCPRIM_400000_NS6detail17trampoline_kernelINS0_13select_configILj256ELj13ELNS0_17block_load_methodE3ELS4_3ELS4_3ELNS0_20block_scan_algorithmE0ELj4294967295EEENS1_25partition_config_selectorILNS1_17partition_subalgoE3EjNS0_10empty_typeEbEEZZNS1_14partition_implILS8_3ELb0ES6_jNS0_17counting_iteratorIjlEEPS9_SE_NS0_5tupleIJPjSE_EEENSF_IJSE_SE_EEES9_SG_JZNS1_25segmented_radix_sort_implINS0_14default_configELb0EPKfPfPKlPlN2at6native12_GLOBAL__N_18offset_tEEE10hipError_tPvRmT1_PNSt15iterator_traitsISY_E10value_typeET2_T3_PNSZ_IS14_E10value_typeET4_jRbjT5_S1A_jjP12ihipStream_tbEUljE_EEESV_SW_SX_S14_S18_S1A_T6_T7_T9_mT8_S1C_bDpT10_ENKUlT_T0_E_clISt17integral_constantIbLb0EES1O_IbLb1EEEEDaS1K_S1L_EUlS1K_E_NS1_11comp_targetILNS1_3genE5ELNS1_11target_archE942ELNS1_3gpuE9ELNS1_3repE0EEENS1_30default_config_static_selectorELNS0_4arch9wavefront6targetE1EEEvSY_,"axG",@progbits,_ZN7rocprim17ROCPRIM_400000_NS6detail17trampoline_kernelINS0_13select_configILj256ELj13ELNS0_17block_load_methodE3ELS4_3ELS4_3ELNS0_20block_scan_algorithmE0ELj4294967295EEENS1_25partition_config_selectorILNS1_17partition_subalgoE3EjNS0_10empty_typeEbEEZZNS1_14partition_implILS8_3ELb0ES6_jNS0_17counting_iteratorIjlEEPS9_SE_NS0_5tupleIJPjSE_EEENSF_IJSE_SE_EEES9_SG_JZNS1_25segmented_radix_sort_implINS0_14default_configELb0EPKfPfPKlPlN2at6native12_GLOBAL__N_18offset_tEEE10hipError_tPvRmT1_PNSt15iterator_traitsISY_E10value_typeET2_T3_PNSZ_IS14_E10value_typeET4_jRbjT5_S1A_jjP12ihipStream_tbEUljE_EEESV_SW_SX_S14_S18_S1A_T6_T7_T9_mT8_S1C_bDpT10_ENKUlT_T0_E_clISt17integral_constantIbLb0EES1O_IbLb1EEEEDaS1K_S1L_EUlS1K_E_NS1_11comp_targetILNS1_3genE5ELNS1_11target_archE942ELNS1_3gpuE9ELNS1_3repE0EEENS1_30default_config_static_selectorELNS0_4arch9wavefront6targetE1EEEvSY_,comdat
.Lfunc_end1419:
	.size	_ZN7rocprim17ROCPRIM_400000_NS6detail17trampoline_kernelINS0_13select_configILj256ELj13ELNS0_17block_load_methodE3ELS4_3ELS4_3ELNS0_20block_scan_algorithmE0ELj4294967295EEENS1_25partition_config_selectorILNS1_17partition_subalgoE3EjNS0_10empty_typeEbEEZZNS1_14partition_implILS8_3ELb0ES6_jNS0_17counting_iteratorIjlEEPS9_SE_NS0_5tupleIJPjSE_EEENSF_IJSE_SE_EEES9_SG_JZNS1_25segmented_radix_sort_implINS0_14default_configELb0EPKfPfPKlPlN2at6native12_GLOBAL__N_18offset_tEEE10hipError_tPvRmT1_PNSt15iterator_traitsISY_E10value_typeET2_T3_PNSZ_IS14_E10value_typeET4_jRbjT5_S1A_jjP12ihipStream_tbEUljE_EEESV_SW_SX_S14_S18_S1A_T6_T7_T9_mT8_S1C_bDpT10_ENKUlT_T0_E_clISt17integral_constantIbLb0EES1O_IbLb1EEEEDaS1K_S1L_EUlS1K_E_NS1_11comp_targetILNS1_3genE5ELNS1_11target_archE942ELNS1_3gpuE9ELNS1_3repE0EEENS1_30default_config_static_selectorELNS0_4arch9wavefront6targetE1EEEvSY_, .Lfunc_end1419-_ZN7rocprim17ROCPRIM_400000_NS6detail17trampoline_kernelINS0_13select_configILj256ELj13ELNS0_17block_load_methodE3ELS4_3ELS4_3ELNS0_20block_scan_algorithmE0ELj4294967295EEENS1_25partition_config_selectorILNS1_17partition_subalgoE3EjNS0_10empty_typeEbEEZZNS1_14partition_implILS8_3ELb0ES6_jNS0_17counting_iteratorIjlEEPS9_SE_NS0_5tupleIJPjSE_EEENSF_IJSE_SE_EEES9_SG_JZNS1_25segmented_radix_sort_implINS0_14default_configELb0EPKfPfPKlPlN2at6native12_GLOBAL__N_18offset_tEEE10hipError_tPvRmT1_PNSt15iterator_traitsISY_E10value_typeET2_T3_PNSZ_IS14_E10value_typeET4_jRbjT5_S1A_jjP12ihipStream_tbEUljE_EEESV_SW_SX_S14_S18_S1A_T6_T7_T9_mT8_S1C_bDpT10_ENKUlT_T0_E_clISt17integral_constantIbLb0EES1O_IbLb1EEEEDaS1K_S1L_EUlS1K_E_NS1_11comp_targetILNS1_3genE5ELNS1_11target_archE942ELNS1_3gpuE9ELNS1_3repE0EEENS1_30default_config_static_selectorELNS0_4arch9wavefront6targetE1EEEvSY_
                                        ; -- End function
	.section	.AMDGPU.csdata,"",@progbits
; Kernel info:
; codeLenInByte = 0
; NumSgprs: 4
; NumVgprs: 0
; NumAgprs: 0
; TotalNumVgprs: 0
; ScratchSize: 0
; MemoryBound: 0
; FloatMode: 240
; IeeeMode: 1
; LDSByteSize: 0 bytes/workgroup (compile time only)
; SGPRBlocks: 0
; VGPRBlocks: 0
; NumSGPRsForWavesPerEU: 4
; NumVGPRsForWavesPerEU: 1
; AccumOffset: 4
; Occupancy: 8
; WaveLimiterHint : 0
; COMPUTE_PGM_RSRC2:SCRATCH_EN: 0
; COMPUTE_PGM_RSRC2:USER_SGPR: 6
; COMPUTE_PGM_RSRC2:TRAP_HANDLER: 0
; COMPUTE_PGM_RSRC2:TGID_X_EN: 1
; COMPUTE_PGM_RSRC2:TGID_Y_EN: 0
; COMPUTE_PGM_RSRC2:TGID_Z_EN: 0
; COMPUTE_PGM_RSRC2:TIDIG_COMP_CNT: 0
; COMPUTE_PGM_RSRC3_GFX90A:ACCUM_OFFSET: 0
; COMPUTE_PGM_RSRC3_GFX90A:TG_SPLIT: 0
	.section	.text._ZN7rocprim17ROCPRIM_400000_NS6detail17trampoline_kernelINS0_13select_configILj256ELj13ELNS0_17block_load_methodE3ELS4_3ELS4_3ELNS0_20block_scan_algorithmE0ELj4294967295EEENS1_25partition_config_selectorILNS1_17partition_subalgoE3EjNS0_10empty_typeEbEEZZNS1_14partition_implILS8_3ELb0ES6_jNS0_17counting_iteratorIjlEEPS9_SE_NS0_5tupleIJPjSE_EEENSF_IJSE_SE_EEES9_SG_JZNS1_25segmented_radix_sort_implINS0_14default_configELb0EPKfPfPKlPlN2at6native12_GLOBAL__N_18offset_tEEE10hipError_tPvRmT1_PNSt15iterator_traitsISY_E10value_typeET2_T3_PNSZ_IS14_E10value_typeET4_jRbjT5_S1A_jjP12ihipStream_tbEUljE_EEESV_SW_SX_S14_S18_S1A_T6_T7_T9_mT8_S1C_bDpT10_ENKUlT_T0_E_clISt17integral_constantIbLb0EES1O_IbLb1EEEEDaS1K_S1L_EUlS1K_E_NS1_11comp_targetILNS1_3genE4ELNS1_11target_archE910ELNS1_3gpuE8ELNS1_3repE0EEENS1_30default_config_static_selectorELNS0_4arch9wavefront6targetE1EEEvSY_,"axG",@progbits,_ZN7rocprim17ROCPRIM_400000_NS6detail17trampoline_kernelINS0_13select_configILj256ELj13ELNS0_17block_load_methodE3ELS4_3ELS4_3ELNS0_20block_scan_algorithmE0ELj4294967295EEENS1_25partition_config_selectorILNS1_17partition_subalgoE3EjNS0_10empty_typeEbEEZZNS1_14partition_implILS8_3ELb0ES6_jNS0_17counting_iteratorIjlEEPS9_SE_NS0_5tupleIJPjSE_EEENSF_IJSE_SE_EEES9_SG_JZNS1_25segmented_radix_sort_implINS0_14default_configELb0EPKfPfPKlPlN2at6native12_GLOBAL__N_18offset_tEEE10hipError_tPvRmT1_PNSt15iterator_traitsISY_E10value_typeET2_T3_PNSZ_IS14_E10value_typeET4_jRbjT5_S1A_jjP12ihipStream_tbEUljE_EEESV_SW_SX_S14_S18_S1A_T6_T7_T9_mT8_S1C_bDpT10_ENKUlT_T0_E_clISt17integral_constantIbLb0EES1O_IbLb1EEEEDaS1K_S1L_EUlS1K_E_NS1_11comp_targetILNS1_3genE4ELNS1_11target_archE910ELNS1_3gpuE8ELNS1_3repE0EEENS1_30default_config_static_selectorELNS0_4arch9wavefront6targetE1EEEvSY_,comdat
	.globl	_ZN7rocprim17ROCPRIM_400000_NS6detail17trampoline_kernelINS0_13select_configILj256ELj13ELNS0_17block_load_methodE3ELS4_3ELS4_3ELNS0_20block_scan_algorithmE0ELj4294967295EEENS1_25partition_config_selectorILNS1_17partition_subalgoE3EjNS0_10empty_typeEbEEZZNS1_14partition_implILS8_3ELb0ES6_jNS0_17counting_iteratorIjlEEPS9_SE_NS0_5tupleIJPjSE_EEENSF_IJSE_SE_EEES9_SG_JZNS1_25segmented_radix_sort_implINS0_14default_configELb0EPKfPfPKlPlN2at6native12_GLOBAL__N_18offset_tEEE10hipError_tPvRmT1_PNSt15iterator_traitsISY_E10value_typeET2_T3_PNSZ_IS14_E10value_typeET4_jRbjT5_S1A_jjP12ihipStream_tbEUljE_EEESV_SW_SX_S14_S18_S1A_T6_T7_T9_mT8_S1C_bDpT10_ENKUlT_T0_E_clISt17integral_constantIbLb0EES1O_IbLb1EEEEDaS1K_S1L_EUlS1K_E_NS1_11comp_targetILNS1_3genE4ELNS1_11target_archE910ELNS1_3gpuE8ELNS1_3repE0EEENS1_30default_config_static_selectorELNS0_4arch9wavefront6targetE1EEEvSY_ ; -- Begin function _ZN7rocprim17ROCPRIM_400000_NS6detail17trampoline_kernelINS0_13select_configILj256ELj13ELNS0_17block_load_methodE3ELS4_3ELS4_3ELNS0_20block_scan_algorithmE0ELj4294967295EEENS1_25partition_config_selectorILNS1_17partition_subalgoE3EjNS0_10empty_typeEbEEZZNS1_14partition_implILS8_3ELb0ES6_jNS0_17counting_iteratorIjlEEPS9_SE_NS0_5tupleIJPjSE_EEENSF_IJSE_SE_EEES9_SG_JZNS1_25segmented_radix_sort_implINS0_14default_configELb0EPKfPfPKlPlN2at6native12_GLOBAL__N_18offset_tEEE10hipError_tPvRmT1_PNSt15iterator_traitsISY_E10value_typeET2_T3_PNSZ_IS14_E10value_typeET4_jRbjT5_S1A_jjP12ihipStream_tbEUljE_EEESV_SW_SX_S14_S18_S1A_T6_T7_T9_mT8_S1C_bDpT10_ENKUlT_T0_E_clISt17integral_constantIbLb0EES1O_IbLb1EEEEDaS1K_S1L_EUlS1K_E_NS1_11comp_targetILNS1_3genE4ELNS1_11target_archE910ELNS1_3gpuE8ELNS1_3repE0EEENS1_30default_config_static_selectorELNS0_4arch9wavefront6targetE1EEEvSY_
	.p2align	8
	.type	_ZN7rocprim17ROCPRIM_400000_NS6detail17trampoline_kernelINS0_13select_configILj256ELj13ELNS0_17block_load_methodE3ELS4_3ELS4_3ELNS0_20block_scan_algorithmE0ELj4294967295EEENS1_25partition_config_selectorILNS1_17partition_subalgoE3EjNS0_10empty_typeEbEEZZNS1_14partition_implILS8_3ELb0ES6_jNS0_17counting_iteratorIjlEEPS9_SE_NS0_5tupleIJPjSE_EEENSF_IJSE_SE_EEES9_SG_JZNS1_25segmented_radix_sort_implINS0_14default_configELb0EPKfPfPKlPlN2at6native12_GLOBAL__N_18offset_tEEE10hipError_tPvRmT1_PNSt15iterator_traitsISY_E10value_typeET2_T3_PNSZ_IS14_E10value_typeET4_jRbjT5_S1A_jjP12ihipStream_tbEUljE_EEESV_SW_SX_S14_S18_S1A_T6_T7_T9_mT8_S1C_bDpT10_ENKUlT_T0_E_clISt17integral_constantIbLb0EES1O_IbLb1EEEEDaS1K_S1L_EUlS1K_E_NS1_11comp_targetILNS1_3genE4ELNS1_11target_archE910ELNS1_3gpuE8ELNS1_3repE0EEENS1_30default_config_static_selectorELNS0_4arch9wavefront6targetE1EEEvSY_,@function
_ZN7rocprim17ROCPRIM_400000_NS6detail17trampoline_kernelINS0_13select_configILj256ELj13ELNS0_17block_load_methodE3ELS4_3ELS4_3ELNS0_20block_scan_algorithmE0ELj4294967295EEENS1_25partition_config_selectorILNS1_17partition_subalgoE3EjNS0_10empty_typeEbEEZZNS1_14partition_implILS8_3ELb0ES6_jNS0_17counting_iteratorIjlEEPS9_SE_NS0_5tupleIJPjSE_EEENSF_IJSE_SE_EEES9_SG_JZNS1_25segmented_radix_sort_implINS0_14default_configELb0EPKfPfPKlPlN2at6native12_GLOBAL__N_18offset_tEEE10hipError_tPvRmT1_PNSt15iterator_traitsISY_E10value_typeET2_T3_PNSZ_IS14_E10value_typeET4_jRbjT5_S1A_jjP12ihipStream_tbEUljE_EEESV_SW_SX_S14_S18_S1A_T6_T7_T9_mT8_S1C_bDpT10_ENKUlT_T0_E_clISt17integral_constantIbLb0EES1O_IbLb1EEEEDaS1K_S1L_EUlS1K_E_NS1_11comp_targetILNS1_3genE4ELNS1_11target_archE910ELNS1_3gpuE8ELNS1_3repE0EEENS1_30default_config_static_selectorELNS0_4arch9wavefront6targetE1EEEvSY_: ; @_ZN7rocprim17ROCPRIM_400000_NS6detail17trampoline_kernelINS0_13select_configILj256ELj13ELNS0_17block_load_methodE3ELS4_3ELS4_3ELNS0_20block_scan_algorithmE0ELj4294967295EEENS1_25partition_config_selectorILNS1_17partition_subalgoE3EjNS0_10empty_typeEbEEZZNS1_14partition_implILS8_3ELb0ES6_jNS0_17counting_iteratorIjlEEPS9_SE_NS0_5tupleIJPjSE_EEENSF_IJSE_SE_EEES9_SG_JZNS1_25segmented_radix_sort_implINS0_14default_configELb0EPKfPfPKlPlN2at6native12_GLOBAL__N_18offset_tEEE10hipError_tPvRmT1_PNSt15iterator_traitsISY_E10value_typeET2_T3_PNSZ_IS14_E10value_typeET4_jRbjT5_S1A_jjP12ihipStream_tbEUljE_EEESV_SW_SX_S14_S18_S1A_T6_T7_T9_mT8_S1C_bDpT10_ENKUlT_T0_E_clISt17integral_constantIbLb0EES1O_IbLb1EEEEDaS1K_S1L_EUlS1K_E_NS1_11comp_targetILNS1_3genE4ELNS1_11target_archE910ELNS1_3gpuE8ELNS1_3repE0EEENS1_30default_config_static_selectorELNS0_4arch9wavefront6targetE1EEEvSY_
; %bb.0:
	s_load_dwordx2 s[28:29], s[4:5], 0x10
	s_load_dwordx2 s[24:25], s[4:5], 0x28
	;; [unrolled: 1-line block ×3, first 2 shown]
	s_load_dwordx4 s[20:23], s[4:5], 0x48
	s_load_dword s14, s[4:5], 0x90
	s_load_dwordx2 s[30:31], s[4:5], 0x68
	s_load_dwordx4 s[8:11], s[4:5], 0x80
	v_cmp_eq_u32_e64 s[0:1], 0, v0
	s_and_saveexec_b64 s[2:3], s[0:1]
	s_cbranch_execz .LBB1420_4
; %bb.1:
	s_mov_b64 s[12:13], exec
	v_mbcnt_lo_u32_b32 v1, s12, 0
	v_mbcnt_hi_u32_b32 v1, s13, v1
	v_cmp_eq_u32_e32 vcc, 0, v1
                                        ; implicit-def: $vgpr2
	s_and_saveexec_b64 s[6:7], vcc
	s_cbranch_execz .LBB1420_3
; %bb.2:
	s_load_dwordx2 s[16:17], s[4:5], 0x78
	s_bcnt1_i32_b64 s12, s[12:13]
	v_mov_b32_e32 v2, 0
	v_mov_b32_e32 v3, s12
	s_waitcnt lgkmcnt(0)
	global_atomic_add v2, v2, v3, s[16:17] glc
.LBB1420_3:
	s_or_b64 exec, exec, s[6:7]
	s_waitcnt vmcnt(0)
	v_readfirstlane_b32 s6, v2
	v_add_u32_e32 v1, s6, v1
	v_mov_b32_e32 v2, 0
	ds_write_b32 v2, v1
.LBB1420_4:
	s_or_b64 exec, exec, s[2:3]
	v_mov_b32_e32 v1, 0
	s_load_dword s2, s[4:5], 0x8
	s_load_dword s6, s[4:5], 0x70
	s_waitcnt lgkmcnt(0)
	s_barrier
	ds_read_b32 v2, v1
	s_waitcnt lgkmcnt(0)
	s_barrier
	global_load_dwordx2 v[20:21], v1, s[22:23]
	s_add_i32 s7, s2, s28
	s_movk_i32 s2, 0xd00
	s_add_i32 s4, s6, -1
	s_mulk_i32 s6, 0xd00
	v_mul_lo_u32 v34, v2, s2
	s_add_u32 s2, s28, s6
	v_readfirstlane_b32 s40, v2
	s_addc_u32 s3, s29, 0
	s_cmp_eq_u32 s40, s4
	v_pk_mov_b32 v[2:3], s[26:27], s[26:27] op_sel:[0,1]
	s_cselect_b64 s[22:23], -1, 0
	s_cmp_lg_u32 s40, s4
	v_cmp_lt_u64_e32 vcc, s[2:3], v[2:3]
	s_cselect_b64 s[2:3], -1, 0
	s_or_b64 s[4:5], vcc, s[2:3]
	v_add_u32_e32 v1, s7, v34
	s_mov_b64 s[2:3], -1
	s_and_b64 vcc, exec, s[4:5]
	v_add_u32_e32 v2, v1, v0
	v_lshlrev_b32_e32 v1, 2, v0
	s_cbranch_vccz .LBB1420_6
; %bb.5:
	v_add_u32_e32 v3, 0x100, v2
	v_add_u32_e32 v4, 0x200, v2
	;; [unrolled: 1-line block ×12, first 2 shown]
	ds_write2st64_b32 v1, v2, v3 offset1:4
	ds_write2st64_b32 v1, v4, v5 offset0:8 offset1:12
	ds_write2st64_b32 v1, v6, v7 offset0:16 offset1:20
	ds_write2st64_b32 v1, v8, v9 offset0:24 offset1:28
	ds_write2st64_b32 v1, v10, v11 offset0:32 offset1:36
	ds_write2st64_b32 v1, v12, v13 offset0:40 offset1:44
	ds_write_b32 v1, v14 offset:12288
	s_waitcnt lgkmcnt(0)
	s_barrier
	s_mov_b64 s[2:3], 0
.LBB1420_6:
	s_andn2_b64 vcc, exec, s[2:3]
	s_add_i32 s6, s6, s28
	s_cbranch_vccnz .LBB1420_8
; %bb.7:
	v_add_u32_e32 v3, 0x100, v2
	v_add_u32_e32 v4, 0x200, v2
	;; [unrolled: 1-line block ×12, first 2 shown]
	ds_write2st64_b32 v1, v2, v3 offset1:4
	ds_write2st64_b32 v1, v4, v5 offset0:8 offset1:12
	ds_write2st64_b32 v1, v6, v7 offset0:16 offset1:20
	;; [unrolled: 1-line block ×5, first 2 shown]
	ds_write_b32 v1, v14 offset:12288
	s_waitcnt lgkmcnt(0)
	s_barrier
.LBB1420_8:
	v_mul_u32_u24_e32 v36, 13, v0
	v_lshlrev_b32_e32 v2, 2, v36
	ds_read2_b32 v[32:33], v2 offset1:1
	ds_read2_b32 v[30:31], v2 offset0:2 offset1:3
	ds_read2_b32 v[28:29], v2 offset0:4 offset1:5
	;; [unrolled: 1-line block ×5, first 2 shown]
	ds_read_b32 v35, v2 offset:48
	v_cndmask_b32_e64 v2, 0, 1, s[4:5]
	s_sub_i32 s33, s26, s6
	v_cmp_ne_u32_e64 s[2:3], 1, v2
	s_andn2_b64 vcc, exec, s[4:5]
	s_waitcnt lgkmcnt(0)
	s_barrier
	s_cbranch_vccnz .LBB1420_10
; %bb.9:
	v_add_u32_e32 v2, s9, v32
	v_add_u32_e32 v3, s11, v32
	v_mul_lo_u32 v2, v2, s8
	v_mul_lo_u32 v3, v3, s10
	v_sub_u32_e32 v2, v2, v3
	v_add_u32_e32 v3, s9, v33
	v_add_u32_e32 v4, s11, v33
	v_mul_lo_u32 v3, v3, s8
	v_mul_lo_u32 v4, v4, s10
	v_sub_u32_e32 v3, v3, v4
	;; [unrolled: 5-line block ×6, first 2 shown]
	v_add_u32_e32 v8, s9, v26
	v_add_u32_e32 v9, s11, v26
	v_mul_lo_u32 v8, v8, s8
	v_mul_lo_u32 v9, v9, s10
	v_cmp_lt_u32_e32 vcc, s14, v2
	v_sub_u32_e32 v8, v8, v9
	v_add_u32_e32 v9, s9, v27
	v_add_u32_e32 v10, s11, v27
	v_cndmask_b32_e64 v2, 0, 1, vcc
	v_cmp_lt_u32_e32 vcc, s14, v3
	v_mul_lo_u32 v9, v9, s8
	v_mul_lo_u32 v10, v10, s10
	v_cndmask_b32_e64 v3, 0, 1, vcc
	v_cmp_lt_u32_e32 vcc, s14, v4
	v_sub_u32_e32 v9, v9, v10
	v_add_u32_e32 v10, s9, v24
	v_add_u32_e32 v11, s11, v24
	v_cndmask_b32_e64 v4, 0, 1, vcc
	v_cmp_lt_u32_e32 vcc, s14, v5
	v_mul_lo_u32 v10, v10, s8
	v_mul_lo_u32 v11, v11, s10
	v_cndmask_b32_e64 v5, 0, 1, vcc
	;; [unrolled: 9-line block ×4, first 2 shown]
	v_cmp_lt_u32_e32 vcc, s14, v10
	v_sub_u32_e32 v12, v12, v13
	v_add_u32_e32 v13, s9, v23
	v_add_u32_e32 v14, s11, v23
	v_lshlrev_b16_e32 v3, 8, v3
	v_cndmask_b32_e64 v10, 0, 1, vcc
	v_cmp_lt_u32_e32 vcc, s14, v11
	v_mul_lo_u32 v13, v13, s8
	v_mul_lo_u32 v14, v14, s10
	v_or_b32_e32 v2, v2, v3
	v_lshlrev_b16_e32 v3, 8, v5
	v_cndmask_b32_e64 v11, 0, 1, vcc
	v_cmp_lt_u32_e32 vcc, s14, v12
	v_sub_u32_e32 v13, v13, v14
	v_or_b32_sdwa v3, v4, v3 dst_sel:WORD_1 dst_unused:UNUSED_PAD src0_sel:DWORD src1_sel:DWORD
	v_cndmask_b32_e64 v12, 0, 1, vcc
	v_cmp_lt_u32_e32 vcc, s14, v13
	v_add_u32_e32 v14, s9, v35
	v_add_u32_e32 v15, s11, v35
	v_or_b32_sdwa v40, v2, v3 dst_sel:DWORD dst_unused:UNUSED_PAD src0_sel:WORD_0 src1_sel:DWORD
	v_lshlrev_b16_e32 v2, 8, v7
	v_lshlrev_b16_e32 v3, 8, v9
	v_cndmask_b32_e64 v13, 0, 1, vcc
	v_mul_lo_u32 v14, v14, s8
	v_mul_lo_u32 v15, v15, s10
	v_or_b32_e32 v2, v6, v2
	v_or_b32_sdwa v3, v8, v3 dst_sel:WORD_1 dst_unused:UNUSED_PAD src0_sel:DWORD src1_sel:DWORD
	v_sub_u32_e32 v14, v14, v15
	v_or_b32_sdwa v39, v2, v3 dst_sel:DWORD dst_unused:UNUSED_PAD src0_sel:WORD_0 src1_sel:DWORD
	v_lshlrev_b16_e32 v2, 8, v11
	v_lshlrev_b16_e32 v3, 8, v13
	v_cmp_lt_u32_e32 vcc, s14, v14
	v_or_b32_e32 v2, v10, v2
	v_or_b32_sdwa v3, v12, v3 dst_sel:WORD_1 dst_unused:UNUSED_PAD src0_sel:DWORD src1_sel:DWORD
	v_cndmask_b32_e64 v37, 0, 1, vcc
	v_or_b32_sdwa v38, v2, v3 dst_sel:DWORD dst_unused:UNUSED_PAD src0_sel:WORD_0 src1_sel:DWORD
	s_addk_i32 s33, 0xd00
	s_cbranch_execz .LBB1420_11
	s_branch .LBB1420_38
.LBB1420_10:
                                        ; implicit-def: $vgpr37
                                        ; implicit-def: $vgpr38
                                        ; implicit-def: $vgpr39
                                        ; implicit-def: $vgpr40
	s_addk_i32 s33, 0xd00
.LBB1420_11:
	v_cmp_gt_u32_e32 vcc, s33, v36
	v_mov_b32_e32 v3, 0
	v_mov_b32_e32 v2, 0
	s_and_saveexec_b64 s[4:5], vcc
; %bb.12:
	v_add_u32_e32 v2, s9, v32
	v_add_u32_e32 v4, s11, v32
	v_mul_lo_u32 v2, v2, s8
	v_mul_lo_u32 v4, v4, s10
	v_sub_u32_e32 v2, v2, v4
	v_cmp_lt_u32_e32 vcc, s14, v2
	v_cndmask_b32_e64 v2, 0, 1, vcc
; %bb.13:
	s_or_b64 exec, exec, s[4:5]
	v_add_u32_e32 v4, 1, v36
	v_cmp_gt_u32_e32 vcc, s33, v4
	s_and_saveexec_b64 s[4:5], vcc
; %bb.14:
	v_add_u32_e32 v3, s9, v33
	v_add_u32_e32 v4, s11, v33
	v_mul_lo_u32 v3, v3, s8
	v_mul_lo_u32 v4, v4, s10
	v_sub_u32_e32 v3, v3, v4
	v_cmp_lt_u32_e32 vcc, s14, v3
	v_cndmask_b32_e64 v3, 0, 1, vcc
; %bb.15:
	s_or_b64 exec, exec, s[4:5]
	v_add_u32_e32 v4, 2, v36
	v_cmp_gt_u32_e32 vcc, s33, v4
	v_mov_b32_e32 v5, 0
	v_mov_b32_e32 v4, 0
	s_and_saveexec_b64 s[4:5], vcc
; %bb.16:
	v_add_u32_e32 v4, s9, v30
	v_add_u32_e32 v6, s11, v30
	v_mul_lo_u32 v4, v4, s8
	v_mul_lo_u32 v6, v6, s10
	v_sub_u32_e32 v4, v4, v6
	v_cmp_lt_u32_e32 vcc, s14, v4
	v_cndmask_b32_e64 v4, 0, 1, vcc
; %bb.17:
	s_or_b64 exec, exec, s[4:5]
	v_add_u32_e32 v6, 3, v36
	v_cmp_gt_u32_e32 vcc, s33, v6
	s_and_saveexec_b64 s[4:5], vcc
; %bb.18:
	v_add_u32_e32 v5, s9, v31
	v_add_u32_e32 v6, s11, v31
	v_mul_lo_u32 v5, v5, s8
	v_mul_lo_u32 v6, v6, s10
	v_sub_u32_e32 v5, v5, v6
	v_cmp_lt_u32_e32 vcc, s14, v5
	v_cndmask_b32_e64 v5, 0, 1, vcc
; %bb.19:
	s_or_b64 exec, exec, s[4:5]
	v_add_u32_e32 v6, 4, v36
	;; [unrolled: 28-line block ×6, first 2 shown]
	v_cmp_gt_u32_e32 vcc, s33, v14
	v_mov_b32_e32 v37, 0
	s_and_saveexec_b64 s[4:5], vcc
; %bb.36:
	v_add_u32_e32 v14, s9, v35
	v_add_u32_e32 v15, s11, v35
	v_mul_lo_u32 v14, v14, s8
	v_mul_lo_u32 v15, v15, s10
	v_sub_u32_e32 v14, v14, v15
	v_cmp_lt_u32_e32 vcc, s14, v14
	v_cndmask_b32_e64 v37, 0, 1, vcc
; %bb.37:
	s_or_b64 exec, exec, s[4:5]
	v_lshlrev_b16_e32 v3, 8, v3
	v_or_b32_e32 v2, v2, v3
	v_lshlrev_b16_e32 v3, 8, v5
	v_or_b32_sdwa v3, v4, v3 dst_sel:WORD_1 dst_unused:UNUSED_PAD src0_sel:DWORD src1_sel:DWORD
	v_or_b32_sdwa v40, v2, v3 dst_sel:DWORD dst_unused:UNUSED_PAD src0_sel:WORD_0 src1_sel:DWORD
	v_lshlrev_b16_e32 v2, 8, v7
	v_lshlrev_b16_e32 v3, 8, v9
	v_or_b32_e32 v2, v6, v2
	v_or_b32_sdwa v3, v8, v3 dst_sel:WORD_1 dst_unused:UNUSED_PAD src0_sel:DWORD src1_sel:DWORD
	v_or_b32_sdwa v39, v2, v3 dst_sel:DWORD dst_unused:UNUSED_PAD src0_sel:WORD_0 src1_sel:DWORD
	v_lshlrev_b16_e32 v2, 8, v11
	v_lshlrev_b16_e32 v3, 8, v13
	v_or_b32_e32 v2, v10, v2
	v_or_b32_sdwa v3, v12, v3 dst_sel:WORD_1 dst_unused:UNUSED_PAD src0_sel:DWORD src1_sel:DWORD
	v_or_b32_sdwa v38, v2, v3 dst_sel:DWORD dst_unused:UNUSED_PAD src0_sel:WORD_0 src1_sel:DWORD
.LBB1420_38:
	v_and_b32_e32 v44, 0xff, v40
	v_bfe_u32 v45, v40, 8, 8
	v_bfe_u32 v46, v40, 16, 8
	v_lshrrev_b32_e32 v43, 24, v40
	v_and_b32_e32 v47, 0xff, v39
	v_add3_u32 v3, v45, v44, v46
	v_bfe_u32 v48, v39, 8, 8
	v_bfe_u32 v49, v39, 16, 8
	v_add3_u32 v3, v3, v43, v47
	v_lshrrev_b32_e32 v42, 24, v39
	v_and_b32_e32 v50, 0xff, v38
	v_add3_u32 v3, v3, v48, v49
	v_bfe_u32 v51, v38, 8, 8
	v_bfe_u32 v52, v38, 16, 8
	v_add3_u32 v3, v3, v42, v50
	v_lshrrev_b32_e32 v41, 24, v38
	v_and_b32_e32 v2, 0xff, v37
	v_add3_u32 v3, v3, v51, v52
	v_add3_u32 v55, v3, v41, v2
	v_mbcnt_lo_u32_b32 v2, -1, 0
	v_mbcnt_hi_u32_b32 v53, -1, v2
	v_and_b32_e32 v2, 15, v53
	v_cmp_eq_u32_e64 s[16:17], 0, v2
	v_cmp_lt_u32_e64 s[14:15], 1, v2
	v_cmp_lt_u32_e64 s[12:13], 3, v2
	;; [unrolled: 1-line block ×3, first 2 shown]
	v_and_b32_e32 v2, 16, v53
	v_cmp_eq_u32_e64 s[8:9], 0, v2
	v_or_b32_e32 v2, 63, v0
	s_cmp_lg_u32 s40, 0
	v_cmp_lt_u32_e64 s[4:5], 31, v53
	v_lshrrev_b32_e32 v54, 6, v0
	v_cmp_eq_u32_e64 s[6:7], v2, v0
	s_cbranch_scc0 .LBB1420_65
; %bb.39:
	v_mov_b32_dpp v2, v55 row_shr:1 row_mask:0xf bank_mask:0xf
	v_cndmask_b32_e64 v2, v2, 0, s[16:17]
	v_add_u32_e32 v2, v2, v55
	s_nop 1
	v_mov_b32_dpp v3, v2 row_shr:2 row_mask:0xf bank_mask:0xf
	v_cndmask_b32_e64 v3, 0, v3, s[14:15]
	v_add_u32_e32 v2, v2, v3
	s_nop 1
	;; [unrolled: 4-line block ×4, first 2 shown]
	v_mov_b32_dpp v3, v2 row_bcast:15 row_mask:0xf bank_mask:0xf
	v_cndmask_b32_e64 v3, v3, 0, s[8:9]
	v_add_u32_e32 v2, v2, v3
	s_nop 1
	v_mov_b32_dpp v3, v2 row_bcast:31 row_mask:0xf bank_mask:0xf
	v_cndmask_b32_e64 v3, 0, v3, s[4:5]
	v_add_u32_e32 v2, v2, v3
	s_and_saveexec_b64 s[18:19], s[6:7]
	s_cbranch_execz .LBB1420_41
; %bb.40:
	v_lshlrev_b32_e32 v3, 2, v54
	ds_write_b32 v3, v2
.LBB1420_41:
	s_or_b64 exec, exec, s[18:19]
	v_cmp_gt_u32_e32 vcc, 4, v0
	s_waitcnt lgkmcnt(0)
	s_barrier
	s_and_saveexec_b64 s[18:19], vcc
	s_cbranch_execz .LBB1420_43
; %bb.42:
	ds_read_b32 v3, v1
	v_and_b32_e32 v4, 3, v53
	v_cmp_ne_u32_e32 vcc, 0, v4
	s_waitcnt lgkmcnt(0)
	v_mov_b32_dpp v5, v3 row_shr:1 row_mask:0xf bank_mask:0xf
	v_cndmask_b32_e32 v5, 0, v5, vcc
	v_add_u32_e32 v3, v5, v3
	v_cmp_lt_u32_e32 vcc, 1, v4
	s_nop 0
	v_mov_b32_dpp v5, v3 row_shr:2 row_mask:0xf bank_mask:0xf
	v_cndmask_b32_e32 v4, 0, v5, vcc
	v_add_u32_e32 v3, v3, v4
	ds_write_b32 v1, v3
.LBB1420_43:
	s_or_b64 exec, exec, s[18:19]
	v_cmp_gt_u32_e32 vcc, 64, v0
	v_cmp_lt_u32_e64 s[18:19], 63, v0
	s_waitcnt lgkmcnt(0)
	s_barrier
	s_waitcnt lgkmcnt(0)
                                        ; implicit-def: $vgpr12
	s_and_saveexec_b64 s[34:35], s[18:19]
	s_cbranch_execz .LBB1420_45
; %bb.44:
	v_lshl_add_u32 v3, v54, 2, -4
	ds_read_b32 v12, v3
	s_waitcnt lgkmcnt(0)
	v_add_u32_e32 v2, v12, v2
.LBB1420_45:
	s_or_b64 exec, exec, s[34:35]
	v_add_u32_e32 v3, -1, v53
	v_and_b32_e32 v4, 64, v53
	v_cmp_lt_i32_e64 s[18:19], v3, v4
	v_cndmask_b32_e64 v3, v3, v53, s[18:19]
	v_lshlrev_b32_e32 v3, 2, v3
	ds_bpermute_b32 v13, v3, v2
	v_cmp_eq_u32_e64 s[18:19], 0, v53
	s_and_saveexec_b64 s[34:35], vcc
	s_cbranch_execz .LBB1420_64
; %bb.46:
	v_mov_b32_e32 v9, 0
	ds_read_b32 v2, v9 offset:12
	s_and_saveexec_b64 s[36:37], s[18:19]
	s_cbranch_execz .LBB1420_48
; %bb.47:
	s_add_i32 s38, s40, 64
	s_mov_b32 s39, 0
	s_lshl_b64 s[38:39], s[38:39], 3
	s_add_u32 s38, s30, s38
	v_mov_b32_e32 v3, 1
	s_addc_u32 s39, s31, s39
	s_waitcnt lgkmcnt(0)
	global_store_dwordx2 v9, v[2:3], s[38:39]
.LBB1420_48:
	s_or_b64 exec, exec, s[36:37]
	v_xad_u32 v4, v53, -1, s40
	v_add_u32_e32 v8, 64, v4
	v_lshlrev_b64 v[6:7], 3, v[8:9]
	v_mov_b32_e32 v3, s31
	v_add_co_u32_e32 v10, vcc, s30, v6
	v_addc_co_u32_e32 v11, vcc, v3, v7, vcc
	global_load_dwordx2 v[6:7], v[10:11], off glc
	s_waitcnt vmcnt(0)
	v_cmp_eq_u16_sdwa s[38:39], v7, v9 src0_sel:BYTE_0 src1_sel:DWORD
	s_and_saveexec_b64 s[36:37], s[38:39]
	s_cbranch_execz .LBB1420_52
; %bb.49:
	s_mov_b64 s[38:39], 0
	v_mov_b32_e32 v3, 0
.LBB1420_50:                            ; =>This Inner Loop Header: Depth=1
	global_load_dwordx2 v[6:7], v[10:11], off glc
	s_waitcnt vmcnt(0)
	v_cmp_ne_u16_sdwa s[42:43], v7, v3 src0_sel:BYTE_0 src1_sel:DWORD
	s_or_b64 s[38:39], s[42:43], s[38:39]
	s_andn2_b64 exec, exec, s[38:39]
	s_cbranch_execnz .LBB1420_50
; %bb.51:
	s_or_b64 exec, exec, s[38:39]
.LBB1420_52:
	s_or_b64 exec, exec, s[36:37]
	v_and_b32_e32 v14, 63, v53
	v_mov_b32_e32 v3, 2
	v_cmp_ne_u32_e32 vcc, 63, v14
	v_cmp_eq_u16_sdwa s[36:37], v7, v3 src0_sel:BYTE_0 src1_sel:DWORD
	v_lshlrev_b64 v[8:9], v53, -1
	v_addc_co_u32_e32 v11, vcc, 0, v53, vcc
	v_and_b32_e32 v5, s37, v9
	v_lshlrev_b32_e32 v15, 2, v11
	v_or_b32_e32 v5, 0x80000000, v5
	ds_bpermute_b32 v11, v15, v6
	v_and_b32_e32 v10, s36, v8
	v_ffbl_b32_e32 v5, v5
	v_add_u32_e32 v5, 32, v5
	v_ffbl_b32_e32 v10, v10
	v_min_u32_e32 v5, v10, v5
	v_cmp_lt_u32_e32 vcc, v14, v5
	s_waitcnt lgkmcnt(0)
	v_cndmask_b32_e32 v10, 0, v11, vcc
	v_cmp_gt_u32_e32 vcc, 62, v14
	v_add_u32_e32 v6, v10, v6
	v_cndmask_b32_e64 v10, 0, 1, vcc
	v_lshlrev_b32_e32 v10, 1, v10
	v_add_lshl_u32 v16, v10, v53, 2
	ds_bpermute_b32 v10, v16, v6
	v_add_u32_e32 v17, 2, v14
	v_cmp_le_u32_e32 vcc, v17, v5
	v_add_u32_e32 v19, 4, v14
	v_add_u32_e32 v57, 8, v14
	s_waitcnt lgkmcnt(0)
	v_cndmask_b32_e32 v10, 0, v10, vcc
	v_cmp_gt_u32_e32 vcc, 60, v14
	v_add_u32_e32 v6, v6, v10
	v_cndmask_b32_e64 v10, 0, 1, vcc
	v_lshlrev_b32_e32 v10, 2, v10
	v_add_lshl_u32 v18, v10, v53, 2
	ds_bpermute_b32 v10, v18, v6
	v_cmp_le_u32_e32 vcc, v19, v5
	v_add_u32_e32 v60, 16, v14
	v_add_u32_e32 v62, 32, v14
	s_waitcnt lgkmcnt(0)
	v_cndmask_b32_e32 v10, 0, v10, vcc
	v_cmp_gt_u32_e32 vcc, 56, v14
	v_add_u32_e32 v6, v6, v10
	v_cndmask_b32_e64 v10, 0, 1, vcc
	v_lshlrev_b32_e32 v10, 3, v10
	v_add_lshl_u32 v56, v10, v53, 2
	ds_bpermute_b32 v10, v56, v6
	v_cmp_le_u32_e32 vcc, v57, v5
	s_waitcnt lgkmcnt(0)
	v_cndmask_b32_e32 v10, 0, v10, vcc
	v_cmp_gt_u32_e32 vcc, 48, v14
	v_add_u32_e32 v6, v6, v10
	v_cndmask_b32_e64 v10, 0, 1, vcc
	v_lshlrev_b32_e32 v10, 4, v10
	v_add_lshl_u32 v59, v10, v53, 2
	ds_bpermute_b32 v10, v59, v6
	v_cmp_le_u32_e32 vcc, v60, v5
	;; [unrolled: 9-line block ×3, first 2 shown]
	s_waitcnt lgkmcnt(0)
	v_cndmask_b32_e32 v5, 0, v10, vcc
	v_add_u32_e32 v6, v6, v5
	v_mov_b32_e32 v5, 0
	s_branch .LBB1420_54
.LBB1420_53:                            ;   in Loop: Header=BB1420_54 Depth=1
	s_or_b64 exec, exec, s[36:37]
	v_cmp_eq_u16_sdwa s[36:37], v7, v3 src0_sel:BYTE_0 src1_sel:DWORD
	v_and_b32_e32 v10, s37, v9
	v_or_b32_e32 v10, 0x80000000, v10
	ds_bpermute_b32 v63, v15, v6
	v_and_b32_e32 v11, s36, v8
	v_ffbl_b32_e32 v10, v10
	v_add_u32_e32 v10, 32, v10
	v_ffbl_b32_e32 v11, v11
	v_min_u32_e32 v10, v11, v10
	v_cmp_lt_u32_e32 vcc, v14, v10
	s_waitcnt lgkmcnt(0)
	v_cndmask_b32_e32 v11, 0, v63, vcc
	v_add_u32_e32 v6, v11, v6
	ds_bpermute_b32 v11, v16, v6
	v_cmp_le_u32_e32 vcc, v17, v10
	v_subrev_u32_e32 v4, 64, v4
	s_waitcnt lgkmcnt(0)
	v_cndmask_b32_e32 v11, 0, v11, vcc
	v_add_u32_e32 v6, v6, v11
	ds_bpermute_b32 v11, v18, v6
	v_cmp_le_u32_e32 vcc, v19, v10
	s_waitcnt lgkmcnt(0)
	v_cndmask_b32_e32 v11, 0, v11, vcc
	v_add_u32_e32 v6, v6, v11
	ds_bpermute_b32 v11, v56, v6
	v_cmp_le_u32_e32 vcc, v57, v10
	;; [unrolled: 5-line block ×4, first 2 shown]
	s_waitcnt lgkmcnt(0)
	v_cndmask_b32_e32 v10, 0, v11, vcc
	v_add3_u32 v6, v10, v58, v6
.LBB1420_54:                            ; =>This Loop Header: Depth=1
                                        ;     Child Loop BB1420_57 Depth 2
	v_cmp_ne_u16_sdwa s[36:37], v7, v3 src0_sel:BYTE_0 src1_sel:DWORD
	v_cndmask_b32_e64 v7, 0, 1, s[36:37]
	;;#ASMSTART
	;;#ASMEND
	v_cmp_ne_u32_e32 vcc, 0, v7
	s_cmp_lg_u64 vcc, exec
	v_mov_b32_e32 v58, v6
	s_cbranch_scc1 .LBB1420_59
; %bb.55:                               ;   in Loop: Header=BB1420_54 Depth=1
	v_lshlrev_b64 v[6:7], 3, v[4:5]
	v_mov_b32_e32 v11, s31
	v_add_co_u32_e32 v10, vcc, s30, v6
	v_addc_co_u32_e32 v11, vcc, v11, v7, vcc
	global_load_dwordx2 v[6:7], v[10:11], off glc
	s_waitcnt vmcnt(0)
	v_cmp_eq_u16_sdwa s[38:39], v7, v5 src0_sel:BYTE_0 src1_sel:DWORD
	s_and_saveexec_b64 s[36:37], s[38:39]
	s_cbranch_execz .LBB1420_53
; %bb.56:                               ;   in Loop: Header=BB1420_54 Depth=1
	s_mov_b64 s[38:39], 0
.LBB1420_57:                            ;   Parent Loop BB1420_54 Depth=1
                                        ; =>  This Inner Loop Header: Depth=2
	global_load_dwordx2 v[6:7], v[10:11], off glc
	s_waitcnt vmcnt(0)
	v_cmp_ne_u16_sdwa s[42:43], v7, v5 src0_sel:BYTE_0 src1_sel:DWORD
	s_or_b64 s[38:39], s[42:43], s[38:39]
	s_andn2_b64 exec, exec, s[38:39]
	s_cbranch_execnz .LBB1420_57
; %bb.58:                               ;   in Loop: Header=BB1420_54 Depth=1
	s_or_b64 exec, exec, s[38:39]
	s_branch .LBB1420_53
.LBB1420_59:                            ;   in Loop: Header=BB1420_54 Depth=1
                                        ; implicit-def: $vgpr6
                                        ; implicit-def: $vgpr7
	s_cbranch_execz .LBB1420_54
; %bb.60:
	s_and_saveexec_b64 s[36:37], s[18:19]
	s_cbranch_execz .LBB1420_62
; %bb.61:
	s_add_i32 s38, s40, 64
	s_mov_b32 s39, 0
	s_lshl_b64 s[38:39], s[38:39], 3
	s_add_u32 s38, s30, s38
	v_add_u32_e32 v4, v58, v2
	v_mov_b32_e32 v5, 2
	s_addc_u32 s39, s31, s39
	v_mov_b32_e32 v3, 0
	global_store_dwordx2 v3, v[4:5], s[38:39]
	s_movk_i32 s38, 0x3400
	v_add_u32_e64 v3, s38, 0
	ds_write2_b32 v3, v2, v58 offset1:2
.LBB1420_62:
	s_or_b64 exec, exec, s[36:37]
	s_and_b64 exec, exec, s[0:1]
	s_cbranch_execz .LBB1420_64
; %bb.63:
	v_mov_b32_e32 v2, 0
	ds_write_b32 v2, v58 offset:12
.LBB1420_64:
	s_or_b64 exec, exec, s[34:35]
	v_mov_b32_e32 v2, 0
	s_waitcnt lgkmcnt(0)
	s_barrier
	ds_read_b32 v2, v2 offset:12
	v_cndmask_b32_e64 v3, v13, v12, s[18:19]
	v_cndmask_b32_e64 v3, v3, 0, s[0:1]
	s_movk_i32 s18, 0x3400
	v_add_u32_e64 v12, s18, 0
	s_waitcnt lgkmcnt(0)
	v_add_u32_e32 v2, v2, v3
	v_add_u32_e32 v3, v2, v44
	;; [unrolled: 1-line block ×9, first 2 shown]
	s_barrier
	ds_read2_b32 v[18:19], v12 offset1:2
	v_add_u32_e32 v11, v10, v50
	v_add_u32_e32 v12, v11, v51
	;; [unrolled: 1-line block ×4, first 2 shown]
	s_branch .LBB1420_75
.LBB1420_65:
                                        ; implicit-def: $vgpr19
                                        ; implicit-def: $vgpr2_vgpr3_vgpr4_vgpr5_vgpr6_vgpr7_vgpr8_vgpr9_vgpr10_vgpr11_vgpr12_vgpr13_vgpr14_vgpr15_vgpr16_vgpr17
	s_cbranch_execz .LBB1420_75
; %bb.66:
	s_nop 0
	v_mov_b32_dpp v2, v55 row_shr:1 row_mask:0xf bank_mask:0xf
	v_cndmask_b32_e64 v2, v2, 0, s[16:17]
	v_add_u32_e32 v2, v2, v55
	s_nop 1
	v_mov_b32_dpp v3, v2 row_shr:2 row_mask:0xf bank_mask:0xf
	v_cndmask_b32_e64 v3, 0, v3, s[14:15]
	v_add_u32_e32 v2, v2, v3
	;; [unrolled: 4-line block ×4, first 2 shown]
	s_nop 1
	v_mov_b32_dpp v3, v2 row_bcast:15 row_mask:0xf bank_mask:0xf
	v_cndmask_b32_e64 v3, v3, 0, s[8:9]
	v_add_u32_e32 v2, v2, v3
	s_nop 1
	v_mov_b32_dpp v3, v2 row_bcast:31 row_mask:0xf bank_mask:0xf
	v_cndmask_b32_e64 v3, 0, v3, s[4:5]
	v_add_u32_e32 v2, v2, v3
	s_and_saveexec_b64 s[4:5], s[6:7]
	s_cbranch_execz .LBB1420_68
; %bb.67:
	v_lshlrev_b32_e32 v3, 2, v54
	ds_write_b32 v3, v2
.LBB1420_68:
	s_or_b64 exec, exec, s[4:5]
	v_cmp_gt_u32_e32 vcc, 4, v0
	s_waitcnt lgkmcnt(0)
	s_barrier
	s_and_saveexec_b64 s[4:5], vcc
	s_cbranch_execz .LBB1420_70
; %bb.69:
	ds_read_b32 v3, v1
	v_and_b32_e32 v4, 3, v53
	v_cmp_ne_u32_e32 vcc, 0, v4
	s_waitcnt lgkmcnt(0)
	v_mov_b32_dpp v5, v3 row_shr:1 row_mask:0xf bank_mask:0xf
	v_cndmask_b32_e32 v5, 0, v5, vcc
	v_add_u32_e32 v3, v5, v3
	v_cmp_lt_u32_e32 vcc, 1, v4
	s_nop 0
	v_mov_b32_dpp v5, v3 row_shr:2 row_mask:0xf bank_mask:0xf
	v_cndmask_b32_e32 v4, 0, v5, vcc
	v_add_u32_e32 v3, v3, v4
	ds_write_b32 v1, v3
.LBB1420_70:
	s_or_b64 exec, exec, s[4:5]
	v_cmp_lt_u32_e32 vcc, 63, v0
	v_mov_b32_e32 v4, 0
	v_mov_b32_e32 v3, 0
	s_waitcnt lgkmcnt(0)
	s_barrier
	s_and_saveexec_b64 s[4:5], vcc
	s_cbranch_execz .LBB1420_72
; %bb.71:
	v_lshl_add_u32 v3, v54, 2, -4
	ds_read_b32 v3, v3
.LBB1420_72:
	s_or_b64 exec, exec, s[4:5]
	v_add_u32_e32 v5, -1, v53
	v_and_b32_e32 v6, 64, v53
	v_cmp_lt_i32_e32 vcc, v5, v6
	v_cndmask_b32_e32 v5, v5, v53, vcc
	s_waitcnt lgkmcnt(0)
	v_add_u32_e32 v2, v3, v2
	v_lshlrev_b32_e32 v5, 2, v5
	ds_bpermute_b32 v2, v5, v2
	ds_read_b32 v18, v4 offset:12
	s_and_saveexec_b64 s[4:5], s[0:1]
	s_cbranch_execz .LBB1420_74
; %bb.73:
	v_mov_b32_e32 v4, 0
	v_mov_b32_e32 v19, 2
	s_waitcnt lgkmcnt(0)
	global_store_dwordx2 v4, v[18:19], s[30:31] offset:512
.LBB1420_74:
	s_or_b64 exec, exec, s[4:5]
	v_cmp_eq_u32_e32 vcc, 0, v53
	s_waitcnt lgkmcnt(1)
	v_cndmask_b32_e32 v2, v2, v3, vcc
	v_cndmask_b32_e64 v2, v2, 0, s[0:1]
	v_add_u32_e32 v3, v2, v44
	v_add_u32_e32 v4, v3, v45
	;; [unrolled: 1-line block ×11, first 2 shown]
	v_mov_b32_e32 v19, 0
	v_add_u32_e32 v14, v13, v41
	s_waitcnt lgkmcnt(0)
	s_barrier
.LBB1420_75:
	s_waitcnt lgkmcnt(0)
	v_add_u32_e32 v36, v18, v36
	v_sub_u32_e32 v2, v2, v19
	v_and_b32_e32 v45, 1, v40
	v_sub_u32_e32 v44, v36, v2
	v_cmp_eq_u32_e32 vcc, 1, v45
	v_cndmask_b32_e32 v2, v44, v2, vcc
	v_lshlrev_b32_e32 v2, 2, v2
	v_lshrrev_b32_e32 v17, 8, v40
	ds_write_b32 v2, v32
	v_sub_u32_e32 v2, v3, v19
	v_sub_u32_e32 v3, v36, v2
	v_and_b32_e32 v17, 1, v17
	v_add_u32_e32 v3, 1, v3
	v_cmp_eq_u32_e32 vcc, 1, v17
	v_cndmask_b32_e32 v2, v3, v2, vcc
	v_lshlrev_b32_e32 v2, 2, v2
	ds_write_b32 v2, v33
	v_sub_u32_e32 v2, v4, v19
	v_mov_b32_e32 v4, 1
	v_sub_u32_e32 v3, v36, v2
	v_and_b32_sdwa v17, v4, v40 dst_sel:DWORD dst_unused:UNUSED_PAD src0_sel:DWORD src1_sel:WORD_1
	v_add_u32_e32 v3, 2, v3
	v_cmp_eq_u32_e32 vcc, 1, v17
	v_cndmask_b32_e32 v2, v3, v2, vcc
	v_lshlrev_b32_e32 v2, 2, v2
	ds_write_b32 v2, v30
	v_sub_u32_e32 v2, v5, v19
	v_sub_u32_e32 v3, v36, v2
	v_and_b32_e32 v5, 1, v43
	v_add_u32_e32 v3, 3, v3
	v_cmp_eq_u32_e32 vcc, 1, v5
	v_cndmask_b32_e32 v2, v3, v2, vcc
	v_lshlrev_b32_e32 v2, 2, v2
	ds_write_b32 v2, v31
	v_sub_u32_e32 v2, v6, v19
	v_sub_u32_e32 v3, v36, v2
	v_and_b32_e32 v5, 1, v39
	v_add_u32_e32 v3, 4, v3
	v_cmp_eq_u32_e32 vcc, 1, v5
	v_cndmask_b32_e32 v2, v3, v2, vcc
	v_lshlrev_b32_e32 v2, 2, v2
	v_lshrrev_b32_e32 v16, 8, v39
	ds_write_b32 v2, v28
	v_sub_u32_e32 v2, v7, v19
	v_sub_u32_e32 v3, v36, v2
	v_and_b32_e32 v5, 1, v16
	v_add_u32_e32 v3, 5, v3
	v_cmp_eq_u32_e32 vcc, 1, v5
	v_cndmask_b32_e32 v2, v3, v2, vcc
	v_lshlrev_b32_e32 v2, 2, v2
	ds_write_b32 v2, v29
	v_sub_u32_e32 v2, v8, v19
	v_sub_u32_e32 v3, v36, v2
	v_and_b32_sdwa v5, v4, v39 dst_sel:DWORD dst_unused:UNUSED_PAD src0_sel:DWORD src1_sel:WORD_1
	v_add_u32_e32 v3, 6, v3
	v_cmp_eq_u32_e32 vcc, 1, v5
	v_cndmask_b32_e32 v2, v3, v2, vcc
	v_lshlrev_b32_e32 v2, 2, v2
	ds_write_b32 v2, v26
	v_sub_u32_e32 v2, v9, v19
	v_sub_u32_e32 v3, v36, v2
	v_and_b32_e32 v5, 1, v42
	v_add_u32_e32 v3, 7, v3
	v_cmp_eq_u32_e32 vcc, 1, v5
	v_cndmask_b32_e32 v2, v3, v2, vcc
	v_lshlrev_b32_e32 v2, 2, v2
	ds_write_b32 v2, v27
	v_sub_u32_e32 v2, v10, v19
	v_sub_u32_e32 v3, v36, v2
	v_and_b32_e32 v5, 1, v38
	v_add_u32_e32 v3, 8, v3
	v_cmp_eq_u32_e32 vcc, 1, v5
	v_cndmask_b32_e32 v2, v3, v2, vcc
	v_lshlrev_b32_e32 v2, 2, v2
	v_lshrrev_b32_e32 v15, 8, v38
	ds_write_b32 v2, v24
	v_sub_u32_e32 v2, v11, v19
	v_sub_u32_e32 v3, v36, v2
	v_and_b32_e32 v5, 1, v15
	v_add_u32_e32 v3, 9, v3
	v_cmp_eq_u32_e32 vcc, 1, v5
	v_cndmask_b32_e32 v2, v3, v2, vcc
	v_lshlrev_b32_e32 v2, 2, v2
	ds_write_b32 v2, v25
	v_sub_u32_e32 v2, v12, v19
	v_sub_u32_e32 v3, v36, v2
	v_and_b32_sdwa v4, v4, v38 dst_sel:DWORD dst_unused:UNUSED_PAD src0_sel:DWORD src1_sel:WORD_1
	v_add_u32_e32 v3, 10, v3
	v_cmp_eq_u32_e32 vcc, 1, v4
	v_cndmask_b32_e32 v2, v3, v2, vcc
	v_lshlrev_b32_e32 v2, 2, v2
	ds_write_b32 v2, v22
	v_sub_u32_e32 v2, v13, v19
	v_sub_u32_e32 v3, v36, v2
	v_and_b32_e32 v4, 1, v41
	v_add_u32_e32 v3, 11, v3
	v_cmp_eq_u32_e32 vcc, 1, v4
	v_cndmask_b32_e32 v2, v3, v2, vcc
	v_lshlrev_b32_e32 v2, 2, v2
	ds_write_b32 v2, v23
	v_sub_u32_e32 v2, v14, v19
	v_sub_u32_e32 v3, v36, v2
	v_and_b32_e32 v4, 1, v37
	v_add_u32_e32 v3, 12, v3
	v_cmp_eq_u32_e32 vcc, 1, v4
	v_cndmask_b32_e32 v2, v3, v2, vcc
	v_lshlrev_b32_e32 v2, 2, v2
	ds_write_b32 v2, v35
	s_waitcnt lgkmcnt(0)
	s_barrier
	ds_read2st64_b32 v[12:13], v1 offset1:4
	ds_read2st64_b32 v[10:11], v1 offset0:8 offset1:12
	ds_read2st64_b32 v[8:9], v1 offset0:16 offset1:20
	;; [unrolled: 1-line block ×5, first 2 shown]
	ds_read_b32 v17, v1 offset:12288
	s_waitcnt vmcnt(0)
	v_add_co_u32_e32 v1, vcc, v20, v19
	v_addc_co_u32_e32 v16, vcc, 0, v21, vcc
	v_mov_b32_e32 v14, s29
	v_add_co_u32_e32 v15, vcc, s28, v34
	v_addc_co_u32_e32 v14, vcc, 0, v14, vcc
	v_mov_b32_e32 v19, s27
	v_sub_co_u32_e32 v15, vcc, s26, v15
	v_subb_co_u32_e32 v14, vcc, v19, v14, vcc
	v_add_co_u32_e32 v15, vcc, v15, v18
	v_addc_co_u32_e32 v14, vcc, 0, v14, vcc
	s_and_b64 vcc, exec, s[2:3]
	v_add_co_u32_e64 v19, s[2:3], v15, v1
	v_or_b32_e32 v33, 0x100, v0
	v_or_b32_e32 v32, 0x200, v0
	;; [unrolled: 1-line block ×12, first 2 shown]
	v_addc_co_u32_e64 v20, s[2:3], v14, v16, s[2:3]
	s_cbranch_vccnz .LBB1420_132
; %bb.76:
	v_cmp_ge_u32_e32 vcc, v0, v18
                                        ; implicit-def: $vgpr14_vgpr15
	s_and_saveexec_b64 s[2:3], vcc
	s_xor_b64 s[2:3], exec, s[2:3]
; %bb.77:
	v_not_b32_e32 v14, v0
	v_ashrrev_i32_e32 v15, 31, v14
	v_add_co_u32_e32 v14, vcc, v19, v14
	v_addc_co_u32_e32 v15, vcc, v20, v15, vcc
; %bb.78:
	s_andn2_saveexec_b64 s[2:3], s[2:3]
; %bb.79:
	v_add_co_u32_e32 v14, vcc, v1, v0
	v_addc_co_u32_e32 v15, vcc, 0, v16, vcc
; %bb.80:
	s_or_b64 exec, exec, s[2:3]
	v_lshlrev_b64 v[14:15], 2, v[14:15]
	v_mov_b32_e32 v21, s25
	v_add_co_u32_e32 v14, vcc, s24, v14
	v_addc_co_u32_e32 v15, vcc, v21, v15, vcc
	v_cmp_ge_u32_e32 vcc, v33, v18
	s_waitcnt lgkmcnt(6)
	global_store_dword v[14:15], v12, off
                                        ; implicit-def: $vgpr14_vgpr15
	s_and_saveexec_b64 s[2:3], vcc
	s_xor_b64 s[2:3], exec, s[2:3]
; %bb.81:
	v_xor_b32_e32 v14, 0xfffffeff, v0
	v_ashrrev_i32_e32 v15, 31, v14
	v_add_co_u32_e32 v14, vcc, v19, v14
	v_addc_co_u32_e32 v15, vcc, v20, v15, vcc
; %bb.82:
	s_andn2_saveexec_b64 s[2:3], s[2:3]
; %bb.83:
	v_add_co_u32_e32 v14, vcc, v1, v33
	v_addc_co_u32_e32 v15, vcc, 0, v16, vcc
; %bb.84:
	s_or_b64 exec, exec, s[2:3]
	v_lshlrev_b64 v[14:15], 2, v[14:15]
	v_mov_b32_e32 v21, s25
	v_add_co_u32_e32 v14, vcc, s24, v14
	v_addc_co_u32_e32 v15, vcc, v21, v15, vcc
	v_cmp_ge_u32_e32 vcc, v32, v18
	global_store_dword v[14:15], v13, off
                                        ; implicit-def: $vgpr14_vgpr15
	s_and_saveexec_b64 s[2:3], vcc
	s_xor_b64 s[2:3], exec, s[2:3]
; %bb.85:
	v_xor_b32_e32 v14, 0xfffffdff, v0
	v_ashrrev_i32_e32 v15, 31, v14
	v_add_co_u32_e32 v14, vcc, v19, v14
	v_addc_co_u32_e32 v15, vcc, v20, v15, vcc
; %bb.86:
	s_andn2_saveexec_b64 s[2:3], s[2:3]
; %bb.87:
	v_add_co_u32_e32 v14, vcc, v1, v32
	v_addc_co_u32_e32 v15, vcc, 0, v16, vcc
; %bb.88:
	s_or_b64 exec, exec, s[2:3]
	v_lshlrev_b64 v[14:15], 2, v[14:15]
	v_mov_b32_e32 v21, s25
	v_add_co_u32_e32 v14, vcc, s24, v14
	v_addc_co_u32_e32 v15, vcc, v21, v15, vcc
	v_cmp_ge_u32_e32 vcc, v31, v18
	s_waitcnt lgkmcnt(5)
	global_store_dword v[14:15], v10, off
                                        ; implicit-def: $vgpr14_vgpr15
	s_and_saveexec_b64 s[2:3], vcc
	s_xor_b64 s[2:3], exec, s[2:3]
; %bb.89:
	v_xor_b32_e32 v14, 0xfffffcff, v0
	v_ashrrev_i32_e32 v15, 31, v14
	v_add_co_u32_e32 v14, vcc, v19, v14
	v_addc_co_u32_e32 v15, vcc, v20, v15, vcc
; %bb.90:
	s_andn2_saveexec_b64 s[2:3], s[2:3]
; %bb.91:
	v_add_co_u32_e32 v14, vcc, v1, v31
	v_addc_co_u32_e32 v15, vcc, 0, v16, vcc
; %bb.92:
	s_or_b64 exec, exec, s[2:3]
	v_lshlrev_b64 v[14:15], 2, v[14:15]
	v_mov_b32_e32 v21, s25
	v_add_co_u32_e32 v14, vcc, s24, v14
	v_addc_co_u32_e32 v15, vcc, v21, v15, vcc
	v_cmp_ge_u32_e32 vcc, v30, v18
	global_store_dword v[14:15], v11, off
                                        ; implicit-def: $vgpr14_vgpr15
	s_and_saveexec_b64 s[2:3], vcc
	s_xor_b64 s[2:3], exec, s[2:3]
; %bb.93:
	v_xor_b32_e32 v14, 0xfffffbff, v0
	;; [unrolled: 43-line block ×6, first 2 shown]
	v_ashrrev_i32_e32 v15, 31, v14
	v_add_co_u32_e32 v14, vcc, v19, v14
	v_addc_co_u32_e32 v15, vcc, v20, v15, vcc
; %bb.126:
	s_andn2_saveexec_b64 s[2:3], s[2:3]
; %bb.127:
	v_add_co_u32_e32 v14, vcc, v1, v22
	v_addc_co_u32_e32 v15, vcc, 0, v16, vcc
; %bb.128:
	s_or_b64 exec, exec, s[2:3]
	s_mov_b64 s[2:3], -1
.LBB1420_129:
	s_and_saveexec_b64 s[4:5], s[2:3]
	s_cbranch_execz .LBB1420_212
.LBB1420_130:
	s_waitcnt lgkmcnt(1)
	v_lshlrev_b64 v[2:3], 2, v[14:15]
	v_mov_b32_e32 v0, s25
	v_add_co_u32_e32 v2, vcc, s24, v2
	v_addc_co_u32_e32 v3, vcc, v0, v3, vcc
	s_waitcnt lgkmcnt(0)
	global_store_dword v[2:3], v17, off
	s_or_b64 exec, exec, s[4:5]
	s_and_b64 s[0:1], s[0:1], s[22:23]
	s_and_saveexec_b64 s[2:3], s[0:1]
	s_cbranch_execnz .LBB1420_213
.LBB1420_131:
	s_endpgm
.LBB1420_132:
	s_mov_b64 s[2:3], 0
                                        ; implicit-def: $vgpr14_vgpr15
	s_cbranch_execz .LBB1420_129
; %bb.133:
	v_cmp_gt_u32_e32 vcc, s33, v0
	s_and_saveexec_b64 s[4:5], vcc
	s_cbranch_execz .LBB1420_169
; %bb.134:
	v_cmp_ge_u32_e32 vcc, v0, v18
                                        ; implicit-def: $vgpr14_vgpr15
	s_and_saveexec_b64 s[6:7], vcc
	s_xor_b64 s[6:7], exec, s[6:7]
; %bb.135:
	v_not_b32_e32 v14, v0
	v_ashrrev_i32_e32 v15, 31, v14
	v_add_co_u32_e32 v14, vcc, v19, v14
	v_addc_co_u32_e32 v15, vcc, v20, v15, vcc
; %bb.136:
	s_andn2_saveexec_b64 s[6:7], s[6:7]
; %bb.137:
	v_add_co_u32_e32 v14, vcc, v1, v0
	v_addc_co_u32_e32 v15, vcc, 0, v16, vcc
; %bb.138:
	s_or_b64 exec, exec, s[6:7]
	v_lshlrev_b64 v[14:15], 2, v[14:15]
	v_mov_b32_e32 v21, s25
	v_add_co_u32_e32 v14, vcc, s24, v14
	v_addc_co_u32_e32 v15, vcc, v21, v15, vcc
	s_waitcnt lgkmcnt(6)
	global_store_dword v[14:15], v12, off
	s_or_b64 exec, exec, s[4:5]
	v_cmp_gt_u32_e32 vcc, s33, v33
	s_and_saveexec_b64 s[4:5], vcc
	s_cbranch_execnz .LBB1420_170
.LBB1420_139:
	s_or_b64 exec, exec, s[4:5]
	v_cmp_gt_u32_e32 vcc, s33, v32
	s_and_saveexec_b64 s[4:5], vcc
	s_cbranch_execz .LBB1420_175
.LBB1420_140:
	v_cmp_ge_u32_e32 vcc, v32, v18
                                        ; implicit-def: $vgpr12_vgpr13
	s_and_saveexec_b64 s[6:7], vcc
	s_xor_b64 s[6:7], exec, s[6:7]
	s_cbranch_execz .LBB1420_142
; %bb.141:
	s_waitcnt lgkmcnt(6)
	v_xor_b32_e32 v12, 0xfffffdff, v0
	v_ashrrev_i32_e32 v13, 31, v12
	v_add_co_u32_e32 v12, vcc, v19, v12
	v_addc_co_u32_e32 v13, vcc, v20, v13, vcc
                                        ; implicit-def: $vgpr32
.LBB1420_142:
	s_andn2_saveexec_b64 s[6:7], s[6:7]
	s_cbranch_execz .LBB1420_144
; %bb.143:
	s_waitcnt lgkmcnt(6)
	v_add_co_u32_e32 v12, vcc, v1, v32
	v_addc_co_u32_e32 v13, vcc, 0, v16, vcc
.LBB1420_144:
	s_or_b64 exec, exec, s[6:7]
	s_waitcnt lgkmcnt(6)
	v_lshlrev_b64 v[12:13], 2, v[12:13]
	v_mov_b32_e32 v14, s25
	v_add_co_u32_e32 v12, vcc, s24, v12
	v_addc_co_u32_e32 v13, vcc, v14, v13, vcc
	s_waitcnt lgkmcnt(5)
	global_store_dword v[12:13], v10, off
	s_or_b64 exec, exec, s[4:5]
	v_cmp_gt_u32_e32 vcc, s33, v31
	s_and_saveexec_b64 s[4:5], vcc
	s_cbranch_execnz .LBB1420_176
.LBB1420_145:
	s_or_b64 exec, exec, s[4:5]
	v_cmp_gt_u32_e32 vcc, s33, v30
	s_and_saveexec_b64 s[4:5], vcc
	s_cbranch_execz .LBB1420_181
.LBB1420_146:
	v_cmp_ge_u32_e32 vcc, v30, v18
                                        ; implicit-def: $vgpr10_vgpr11
	s_and_saveexec_b64 s[6:7], vcc
	s_xor_b64 s[6:7], exec, s[6:7]
	s_cbranch_execz .LBB1420_148
; %bb.147:
	s_waitcnt lgkmcnt(5)
	v_xor_b32_e32 v10, 0xfffffbff, v0
	v_ashrrev_i32_e32 v11, 31, v10
	v_add_co_u32_e32 v10, vcc, v19, v10
	v_addc_co_u32_e32 v11, vcc, v20, v11, vcc
                                        ; implicit-def: $vgpr30
.LBB1420_148:
	s_andn2_saveexec_b64 s[6:7], s[6:7]
	s_cbranch_execz .LBB1420_150
; %bb.149:
	s_waitcnt lgkmcnt(5)
	v_add_co_u32_e32 v10, vcc, v1, v30
	v_addc_co_u32_e32 v11, vcc, 0, v16, vcc
.LBB1420_150:
	s_or_b64 exec, exec, s[6:7]
	s_waitcnt lgkmcnt(5)
	v_lshlrev_b64 v[10:11], 2, v[10:11]
	v_mov_b32_e32 v12, s25
	v_add_co_u32_e32 v10, vcc, s24, v10
	v_addc_co_u32_e32 v11, vcc, v12, v11, vcc
	s_waitcnt lgkmcnt(4)
	global_store_dword v[10:11], v8, off
	s_or_b64 exec, exec, s[4:5]
	v_cmp_gt_u32_e32 vcc, s33, v29
	s_and_saveexec_b64 s[4:5], vcc
	s_cbranch_execnz .LBB1420_182
.LBB1420_151:
	s_or_b64 exec, exec, s[4:5]
	v_cmp_gt_u32_e32 vcc, s33, v28
	s_and_saveexec_b64 s[4:5], vcc
	s_cbranch_execz .LBB1420_187
.LBB1420_152:
	v_cmp_ge_u32_e32 vcc, v28, v18
                                        ; implicit-def: $vgpr8_vgpr9
	s_and_saveexec_b64 s[6:7], vcc
	s_xor_b64 s[6:7], exec, s[6:7]
	s_cbranch_execz .LBB1420_154
; %bb.153:
	s_waitcnt lgkmcnt(4)
	v_xor_b32_e32 v8, 0xfffff9ff, v0
	v_ashrrev_i32_e32 v9, 31, v8
	v_add_co_u32_e32 v8, vcc, v19, v8
	v_addc_co_u32_e32 v9, vcc, v20, v9, vcc
                                        ; implicit-def: $vgpr28
.LBB1420_154:
	s_andn2_saveexec_b64 s[6:7], s[6:7]
	s_cbranch_execz .LBB1420_156
; %bb.155:
	s_waitcnt lgkmcnt(4)
	v_add_co_u32_e32 v8, vcc, v1, v28
	v_addc_co_u32_e32 v9, vcc, 0, v16, vcc
.LBB1420_156:
	s_or_b64 exec, exec, s[6:7]
	s_waitcnt lgkmcnt(4)
	v_lshlrev_b64 v[8:9], 2, v[8:9]
	v_mov_b32_e32 v10, s25
	v_add_co_u32_e32 v8, vcc, s24, v8
	v_addc_co_u32_e32 v9, vcc, v10, v9, vcc
	s_waitcnt lgkmcnt(3)
	global_store_dword v[8:9], v6, off
	s_or_b64 exec, exec, s[4:5]
	v_cmp_gt_u32_e32 vcc, s33, v27
	s_and_saveexec_b64 s[4:5], vcc
	s_cbranch_execnz .LBB1420_188
.LBB1420_157:
	s_or_b64 exec, exec, s[4:5]
	v_cmp_gt_u32_e32 vcc, s33, v26
	s_and_saveexec_b64 s[4:5], vcc
	s_cbranch_execz .LBB1420_193
.LBB1420_158:
	v_cmp_ge_u32_e32 vcc, v26, v18
                                        ; implicit-def: $vgpr6_vgpr7
	s_and_saveexec_b64 s[6:7], vcc
	s_xor_b64 s[6:7], exec, s[6:7]
	s_cbranch_execz .LBB1420_160
; %bb.159:
	s_waitcnt lgkmcnt(3)
	v_xor_b32_e32 v6, 0xfffff7ff, v0
	v_ashrrev_i32_e32 v7, 31, v6
	v_add_co_u32_e32 v6, vcc, v19, v6
	v_addc_co_u32_e32 v7, vcc, v20, v7, vcc
                                        ; implicit-def: $vgpr26
.LBB1420_160:
	s_andn2_saveexec_b64 s[6:7], s[6:7]
	s_cbranch_execz .LBB1420_162
; %bb.161:
	s_waitcnt lgkmcnt(3)
	v_add_co_u32_e32 v6, vcc, v1, v26
	v_addc_co_u32_e32 v7, vcc, 0, v16, vcc
.LBB1420_162:
	s_or_b64 exec, exec, s[6:7]
	s_waitcnt lgkmcnt(3)
	v_lshlrev_b64 v[6:7], 2, v[6:7]
	v_mov_b32_e32 v8, s25
	v_add_co_u32_e32 v6, vcc, s24, v6
	v_addc_co_u32_e32 v7, vcc, v8, v7, vcc
	s_waitcnt lgkmcnt(2)
	global_store_dword v[6:7], v4, off
	s_or_b64 exec, exec, s[4:5]
	v_cmp_gt_u32_e32 vcc, s33, v25
	s_and_saveexec_b64 s[4:5], vcc
	s_cbranch_execnz .LBB1420_194
.LBB1420_163:
	s_or_b64 exec, exec, s[4:5]
	v_cmp_gt_u32_e32 vcc, s33, v24
	s_and_saveexec_b64 s[4:5], vcc
	s_cbranch_execz .LBB1420_199
.LBB1420_164:
	v_cmp_ge_u32_e32 vcc, v24, v18
                                        ; implicit-def: $vgpr4_vgpr5
	s_and_saveexec_b64 s[6:7], vcc
	s_xor_b64 s[6:7], exec, s[6:7]
	s_cbranch_execz .LBB1420_166
; %bb.165:
	s_waitcnt lgkmcnt(2)
	v_xor_b32_e32 v4, 0xfffff5ff, v0
	v_ashrrev_i32_e32 v5, 31, v4
	v_add_co_u32_e32 v4, vcc, v19, v4
	v_addc_co_u32_e32 v5, vcc, v20, v5, vcc
                                        ; implicit-def: $vgpr24
.LBB1420_166:
	s_andn2_saveexec_b64 s[6:7], s[6:7]
	s_cbranch_execz .LBB1420_168
; %bb.167:
	s_waitcnt lgkmcnt(2)
	v_add_co_u32_e32 v4, vcc, v1, v24
	v_addc_co_u32_e32 v5, vcc, 0, v16, vcc
.LBB1420_168:
	s_or_b64 exec, exec, s[6:7]
	s_waitcnt lgkmcnt(2)
	v_lshlrev_b64 v[4:5], 2, v[4:5]
	v_mov_b32_e32 v6, s25
	v_add_co_u32_e32 v4, vcc, s24, v4
	v_addc_co_u32_e32 v5, vcc, v6, v5, vcc
	s_waitcnt lgkmcnt(1)
	global_store_dword v[4:5], v2, off
	s_or_b64 exec, exec, s[4:5]
	v_cmp_gt_u32_e32 vcc, s33, v23
	s_and_saveexec_b64 s[4:5], vcc
	s_cbranch_execz .LBB1420_205
	s_branch .LBB1420_200
.LBB1420_169:
	s_or_b64 exec, exec, s[4:5]
	v_cmp_gt_u32_e32 vcc, s33, v33
	s_and_saveexec_b64 s[4:5], vcc
	s_cbranch_execz .LBB1420_139
.LBB1420_170:
	v_cmp_ge_u32_e32 vcc, v33, v18
                                        ; implicit-def: $vgpr14_vgpr15
	s_and_saveexec_b64 s[6:7], vcc
	s_xor_b64 s[6:7], exec, s[6:7]
	s_cbranch_execz .LBB1420_172
; %bb.171:
	s_waitcnt lgkmcnt(6)
	v_xor_b32_e32 v12, 0xfffffeff, v0
	v_ashrrev_i32_e32 v15, 31, v12
	v_add_co_u32_e32 v14, vcc, v19, v12
	v_addc_co_u32_e32 v15, vcc, v20, v15, vcc
                                        ; implicit-def: $vgpr33
.LBB1420_172:
	s_andn2_saveexec_b64 s[6:7], s[6:7]
; %bb.173:
	v_add_co_u32_e32 v14, vcc, v1, v33
	v_addc_co_u32_e32 v15, vcc, 0, v16, vcc
; %bb.174:
	s_or_b64 exec, exec, s[6:7]
	v_lshlrev_b64 v[14:15], 2, v[14:15]
	s_waitcnt lgkmcnt(6)
	v_mov_b32_e32 v12, s25
	v_add_co_u32_e32 v14, vcc, s24, v14
	v_addc_co_u32_e32 v15, vcc, v12, v15, vcc
	global_store_dword v[14:15], v13, off
	s_or_b64 exec, exec, s[4:5]
	v_cmp_gt_u32_e32 vcc, s33, v32
	s_and_saveexec_b64 s[4:5], vcc
	s_cbranch_execnz .LBB1420_140
.LBB1420_175:
	s_or_b64 exec, exec, s[4:5]
	v_cmp_gt_u32_e32 vcc, s33, v31
	s_and_saveexec_b64 s[4:5], vcc
	s_cbranch_execz .LBB1420_145
.LBB1420_176:
	v_cmp_ge_u32_e32 vcc, v31, v18
                                        ; implicit-def: $vgpr12_vgpr13
	s_and_saveexec_b64 s[6:7], vcc
	s_xor_b64 s[6:7], exec, s[6:7]
	s_cbranch_execz .LBB1420_178
; %bb.177:
	s_waitcnt lgkmcnt(5)
	v_xor_b32_e32 v10, 0xfffffcff, v0
	v_ashrrev_i32_e32 v13, 31, v10
	v_add_co_u32_e32 v12, vcc, v19, v10
	v_addc_co_u32_e32 v13, vcc, v20, v13, vcc
                                        ; implicit-def: $vgpr31
.LBB1420_178:
	s_andn2_saveexec_b64 s[6:7], s[6:7]
	s_cbranch_execz .LBB1420_180
; %bb.179:
	s_waitcnt lgkmcnt(6)
	v_add_co_u32_e32 v12, vcc, v1, v31
	v_addc_co_u32_e32 v13, vcc, 0, v16, vcc
.LBB1420_180:
	s_or_b64 exec, exec, s[6:7]
	s_waitcnt lgkmcnt(6)
	v_lshlrev_b64 v[12:13], 2, v[12:13]
	s_waitcnt lgkmcnt(5)
	v_mov_b32_e32 v10, s25
	v_add_co_u32_e32 v12, vcc, s24, v12
	v_addc_co_u32_e32 v13, vcc, v10, v13, vcc
	global_store_dword v[12:13], v11, off
	s_or_b64 exec, exec, s[4:5]
	v_cmp_gt_u32_e32 vcc, s33, v30
	s_and_saveexec_b64 s[4:5], vcc
	s_cbranch_execnz .LBB1420_146
.LBB1420_181:
	s_or_b64 exec, exec, s[4:5]
	v_cmp_gt_u32_e32 vcc, s33, v29
	s_and_saveexec_b64 s[4:5], vcc
	s_cbranch_execz .LBB1420_151
.LBB1420_182:
	v_cmp_ge_u32_e32 vcc, v29, v18
                                        ; implicit-def: $vgpr10_vgpr11
	s_and_saveexec_b64 s[6:7], vcc
	s_xor_b64 s[6:7], exec, s[6:7]
	s_cbranch_execz .LBB1420_184
; %bb.183:
	s_waitcnt lgkmcnt(4)
	v_xor_b32_e32 v8, 0xfffffaff, v0
	v_ashrrev_i32_e32 v11, 31, v8
	v_add_co_u32_e32 v10, vcc, v19, v8
	v_addc_co_u32_e32 v11, vcc, v20, v11, vcc
                                        ; implicit-def: $vgpr29
.LBB1420_184:
	s_andn2_saveexec_b64 s[6:7], s[6:7]
	s_cbranch_execz .LBB1420_186
; %bb.185:
	s_waitcnt lgkmcnt(5)
	v_add_co_u32_e32 v10, vcc, v1, v29
	v_addc_co_u32_e32 v11, vcc, 0, v16, vcc
.LBB1420_186:
	s_or_b64 exec, exec, s[6:7]
	s_waitcnt lgkmcnt(5)
	v_lshlrev_b64 v[10:11], 2, v[10:11]
	s_waitcnt lgkmcnt(4)
	v_mov_b32_e32 v8, s25
	v_add_co_u32_e32 v10, vcc, s24, v10
	v_addc_co_u32_e32 v11, vcc, v8, v11, vcc
	global_store_dword v[10:11], v9, off
	s_or_b64 exec, exec, s[4:5]
	v_cmp_gt_u32_e32 vcc, s33, v28
	s_and_saveexec_b64 s[4:5], vcc
	s_cbranch_execnz .LBB1420_152
.LBB1420_187:
	s_or_b64 exec, exec, s[4:5]
	v_cmp_gt_u32_e32 vcc, s33, v27
	s_and_saveexec_b64 s[4:5], vcc
	s_cbranch_execz .LBB1420_157
.LBB1420_188:
	v_cmp_ge_u32_e32 vcc, v27, v18
                                        ; implicit-def: $vgpr8_vgpr9
	s_and_saveexec_b64 s[6:7], vcc
	s_xor_b64 s[6:7], exec, s[6:7]
	s_cbranch_execz .LBB1420_190
; %bb.189:
	s_waitcnt lgkmcnt(3)
	v_xor_b32_e32 v6, 0xfffff8ff, v0
	v_ashrrev_i32_e32 v9, 31, v6
	v_add_co_u32_e32 v8, vcc, v19, v6
	v_addc_co_u32_e32 v9, vcc, v20, v9, vcc
                                        ; implicit-def: $vgpr27
.LBB1420_190:
	s_andn2_saveexec_b64 s[6:7], s[6:7]
	s_cbranch_execz .LBB1420_192
; %bb.191:
	s_waitcnt lgkmcnt(4)
	v_add_co_u32_e32 v8, vcc, v1, v27
	v_addc_co_u32_e32 v9, vcc, 0, v16, vcc
.LBB1420_192:
	s_or_b64 exec, exec, s[6:7]
	s_waitcnt lgkmcnt(4)
	v_lshlrev_b64 v[8:9], 2, v[8:9]
	s_waitcnt lgkmcnt(3)
	v_mov_b32_e32 v6, s25
	v_add_co_u32_e32 v8, vcc, s24, v8
	v_addc_co_u32_e32 v9, vcc, v6, v9, vcc
	global_store_dword v[8:9], v7, off
	s_or_b64 exec, exec, s[4:5]
	v_cmp_gt_u32_e32 vcc, s33, v26
	s_and_saveexec_b64 s[4:5], vcc
	s_cbranch_execnz .LBB1420_158
.LBB1420_193:
	s_or_b64 exec, exec, s[4:5]
	v_cmp_gt_u32_e32 vcc, s33, v25
	s_and_saveexec_b64 s[4:5], vcc
	s_cbranch_execz .LBB1420_163
.LBB1420_194:
	v_cmp_ge_u32_e32 vcc, v25, v18
                                        ; implicit-def: $vgpr6_vgpr7
	s_and_saveexec_b64 s[6:7], vcc
	s_xor_b64 s[6:7], exec, s[6:7]
	s_cbranch_execz .LBB1420_196
; %bb.195:
	s_waitcnt lgkmcnt(2)
	v_xor_b32_e32 v4, 0xfffff6ff, v0
	v_ashrrev_i32_e32 v7, 31, v4
	v_add_co_u32_e32 v6, vcc, v19, v4
	v_addc_co_u32_e32 v7, vcc, v20, v7, vcc
                                        ; implicit-def: $vgpr25
.LBB1420_196:
	s_andn2_saveexec_b64 s[6:7], s[6:7]
	s_cbranch_execz .LBB1420_198
; %bb.197:
	s_waitcnt lgkmcnt(3)
	v_add_co_u32_e32 v6, vcc, v1, v25
	v_addc_co_u32_e32 v7, vcc, 0, v16, vcc
.LBB1420_198:
	s_or_b64 exec, exec, s[6:7]
	s_waitcnt lgkmcnt(3)
	v_lshlrev_b64 v[6:7], 2, v[6:7]
	s_waitcnt lgkmcnt(2)
	v_mov_b32_e32 v4, s25
	v_add_co_u32_e32 v6, vcc, s24, v6
	v_addc_co_u32_e32 v7, vcc, v4, v7, vcc
	global_store_dword v[6:7], v5, off
	s_or_b64 exec, exec, s[4:5]
	v_cmp_gt_u32_e32 vcc, s33, v24
	s_and_saveexec_b64 s[4:5], vcc
	s_cbranch_execnz .LBB1420_164
.LBB1420_199:
	s_or_b64 exec, exec, s[4:5]
	v_cmp_gt_u32_e32 vcc, s33, v23
	s_and_saveexec_b64 s[4:5], vcc
	s_cbranch_execz .LBB1420_205
.LBB1420_200:
	v_cmp_ge_u32_e32 vcc, v23, v18
                                        ; implicit-def: $vgpr4_vgpr5
	s_and_saveexec_b64 s[6:7], vcc
	s_xor_b64 s[6:7], exec, s[6:7]
	s_cbranch_execz .LBB1420_202
; %bb.201:
	s_waitcnt lgkmcnt(1)
	v_xor_b32_e32 v2, 0xfffff4ff, v0
	v_ashrrev_i32_e32 v5, 31, v2
	v_add_co_u32_e32 v4, vcc, v19, v2
	v_addc_co_u32_e32 v5, vcc, v20, v5, vcc
                                        ; implicit-def: $vgpr23
.LBB1420_202:
	s_andn2_saveexec_b64 s[6:7], s[6:7]
	s_cbranch_execz .LBB1420_204
; %bb.203:
	s_waitcnt lgkmcnt(2)
	v_add_co_u32_e32 v4, vcc, v1, v23
	v_addc_co_u32_e32 v5, vcc, 0, v16, vcc
.LBB1420_204:
	s_or_b64 exec, exec, s[6:7]
	s_waitcnt lgkmcnt(2)
	v_lshlrev_b64 v[4:5], 2, v[4:5]
	s_waitcnt lgkmcnt(1)
	v_mov_b32_e32 v2, s25
	v_add_co_u32_e32 v4, vcc, s24, v4
	v_addc_co_u32_e32 v5, vcc, v2, v5, vcc
	global_store_dword v[4:5], v3, off
.LBB1420_205:
	s_or_b64 exec, exec, s[4:5]
	v_cmp_gt_u32_e32 vcc, s33, v22
                                        ; implicit-def: $vgpr14_vgpr15
	s_and_saveexec_b64 s[4:5], vcc
	s_cbranch_execz .LBB1420_211
; %bb.206:
	v_cmp_ge_u32_e32 vcc, v22, v18
                                        ; implicit-def: $vgpr14_vgpr15
	s_and_saveexec_b64 s[6:7], vcc
	s_xor_b64 s[6:7], exec, s[6:7]
	s_cbranch_execz .LBB1420_208
; %bb.207:
	v_xor_b32_e32 v0, 0xfffff3ff, v0
	s_waitcnt lgkmcnt(1)
	v_ashrrev_i32_e32 v2, 31, v0
	v_add_co_u32_e32 v14, vcc, v19, v0
	v_addc_co_u32_e32 v15, vcc, v20, v2, vcc
                                        ; implicit-def: $vgpr22
.LBB1420_208:
	s_andn2_saveexec_b64 s[6:7], s[6:7]
; %bb.209:
	v_add_co_u32_e32 v14, vcc, v1, v22
	v_addc_co_u32_e32 v15, vcc, 0, v16, vcc
; %bb.210:
	s_or_b64 exec, exec, s[6:7]
	s_or_b64 s[2:3], s[2:3], exec
.LBB1420_211:
	s_or_b64 exec, exec, s[4:5]
	s_and_saveexec_b64 s[4:5], s[2:3]
	s_cbranch_execnz .LBB1420_130
.LBB1420_212:
	s_or_b64 exec, exec, s[4:5]
	s_and_b64 s[0:1], s[0:1], s[22:23]
	s_and_saveexec_b64 s[2:3], s[0:1]
	s_cbranch_execz .LBB1420_131
.LBB1420_213:
	v_add_co_u32_e32 v0, vcc, v1, v18
	s_waitcnt lgkmcnt(1)
	v_mov_b32_e32 v2, 0
	v_addc_co_u32_e32 v1, vcc, 0, v16, vcc
	global_store_dwordx2 v2, v[0:1], s[20:21]
	s_endpgm
	.section	.rodata,"a",@progbits
	.p2align	6, 0x0
	.amdhsa_kernel _ZN7rocprim17ROCPRIM_400000_NS6detail17trampoline_kernelINS0_13select_configILj256ELj13ELNS0_17block_load_methodE3ELS4_3ELS4_3ELNS0_20block_scan_algorithmE0ELj4294967295EEENS1_25partition_config_selectorILNS1_17partition_subalgoE3EjNS0_10empty_typeEbEEZZNS1_14partition_implILS8_3ELb0ES6_jNS0_17counting_iteratorIjlEEPS9_SE_NS0_5tupleIJPjSE_EEENSF_IJSE_SE_EEES9_SG_JZNS1_25segmented_radix_sort_implINS0_14default_configELb0EPKfPfPKlPlN2at6native12_GLOBAL__N_18offset_tEEE10hipError_tPvRmT1_PNSt15iterator_traitsISY_E10value_typeET2_T3_PNSZ_IS14_E10value_typeET4_jRbjT5_S1A_jjP12ihipStream_tbEUljE_EEESV_SW_SX_S14_S18_S1A_T6_T7_T9_mT8_S1C_bDpT10_ENKUlT_T0_E_clISt17integral_constantIbLb0EES1O_IbLb1EEEEDaS1K_S1L_EUlS1K_E_NS1_11comp_targetILNS1_3genE4ELNS1_11target_archE910ELNS1_3gpuE8ELNS1_3repE0EEENS1_30default_config_static_selectorELNS0_4arch9wavefront6targetE1EEEvSY_
		.amdhsa_group_segment_fixed_size 13324
		.amdhsa_private_segment_fixed_size 0
		.amdhsa_kernarg_size 152
		.amdhsa_user_sgpr_count 6
		.amdhsa_user_sgpr_private_segment_buffer 1
		.amdhsa_user_sgpr_dispatch_ptr 0
		.amdhsa_user_sgpr_queue_ptr 0
		.amdhsa_user_sgpr_kernarg_segment_ptr 1
		.amdhsa_user_sgpr_dispatch_id 0
		.amdhsa_user_sgpr_flat_scratch_init 0
		.amdhsa_user_sgpr_kernarg_preload_length 0
		.amdhsa_user_sgpr_kernarg_preload_offset 0
		.amdhsa_user_sgpr_private_segment_size 0
		.amdhsa_uses_dynamic_stack 0
		.amdhsa_system_sgpr_private_segment_wavefront_offset 0
		.amdhsa_system_sgpr_workgroup_id_x 1
		.amdhsa_system_sgpr_workgroup_id_y 0
		.amdhsa_system_sgpr_workgroup_id_z 0
		.amdhsa_system_sgpr_workgroup_info 0
		.amdhsa_system_vgpr_workitem_id 0
		.amdhsa_next_free_vgpr 64
		.amdhsa_next_free_sgpr 44
		.amdhsa_accum_offset 64
		.amdhsa_reserve_vcc 1
		.amdhsa_reserve_flat_scratch 0
		.amdhsa_float_round_mode_32 0
		.amdhsa_float_round_mode_16_64 0
		.amdhsa_float_denorm_mode_32 3
		.amdhsa_float_denorm_mode_16_64 3
		.amdhsa_dx10_clamp 1
		.amdhsa_ieee_mode 1
		.amdhsa_fp16_overflow 0
		.amdhsa_tg_split 0
		.amdhsa_exception_fp_ieee_invalid_op 0
		.amdhsa_exception_fp_denorm_src 0
		.amdhsa_exception_fp_ieee_div_zero 0
		.amdhsa_exception_fp_ieee_overflow 0
		.amdhsa_exception_fp_ieee_underflow 0
		.amdhsa_exception_fp_ieee_inexact 0
		.amdhsa_exception_int_div_zero 0
	.end_amdhsa_kernel
	.section	.text._ZN7rocprim17ROCPRIM_400000_NS6detail17trampoline_kernelINS0_13select_configILj256ELj13ELNS0_17block_load_methodE3ELS4_3ELS4_3ELNS0_20block_scan_algorithmE0ELj4294967295EEENS1_25partition_config_selectorILNS1_17partition_subalgoE3EjNS0_10empty_typeEbEEZZNS1_14partition_implILS8_3ELb0ES6_jNS0_17counting_iteratorIjlEEPS9_SE_NS0_5tupleIJPjSE_EEENSF_IJSE_SE_EEES9_SG_JZNS1_25segmented_radix_sort_implINS0_14default_configELb0EPKfPfPKlPlN2at6native12_GLOBAL__N_18offset_tEEE10hipError_tPvRmT1_PNSt15iterator_traitsISY_E10value_typeET2_T3_PNSZ_IS14_E10value_typeET4_jRbjT5_S1A_jjP12ihipStream_tbEUljE_EEESV_SW_SX_S14_S18_S1A_T6_T7_T9_mT8_S1C_bDpT10_ENKUlT_T0_E_clISt17integral_constantIbLb0EES1O_IbLb1EEEEDaS1K_S1L_EUlS1K_E_NS1_11comp_targetILNS1_3genE4ELNS1_11target_archE910ELNS1_3gpuE8ELNS1_3repE0EEENS1_30default_config_static_selectorELNS0_4arch9wavefront6targetE1EEEvSY_,"axG",@progbits,_ZN7rocprim17ROCPRIM_400000_NS6detail17trampoline_kernelINS0_13select_configILj256ELj13ELNS0_17block_load_methodE3ELS4_3ELS4_3ELNS0_20block_scan_algorithmE0ELj4294967295EEENS1_25partition_config_selectorILNS1_17partition_subalgoE3EjNS0_10empty_typeEbEEZZNS1_14partition_implILS8_3ELb0ES6_jNS0_17counting_iteratorIjlEEPS9_SE_NS0_5tupleIJPjSE_EEENSF_IJSE_SE_EEES9_SG_JZNS1_25segmented_radix_sort_implINS0_14default_configELb0EPKfPfPKlPlN2at6native12_GLOBAL__N_18offset_tEEE10hipError_tPvRmT1_PNSt15iterator_traitsISY_E10value_typeET2_T3_PNSZ_IS14_E10value_typeET4_jRbjT5_S1A_jjP12ihipStream_tbEUljE_EEESV_SW_SX_S14_S18_S1A_T6_T7_T9_mT8_S1C_bDpT10_ENKUlT_T0_E_clISt17integral_constantIbLb0EES1O_IbLb1EEEEDaS1K_S1L_EUlS1K_E_NS1_11comp_targetILNS1_3genE4ELNS1_11target_archE910ELNS1_3gpuE8ELNS1_3repE0EEENS1_30default_config_static_selectorELNS0_4arch9wavefront6targetE1EEEvSY_,comdat
.Lfunc_end1420:
	.size	_ZN7rocprim17ROCPRIM_400000_NS6detail17trampoline_kernelINS0_13select_configILj256ELj13ELNS0_17block_load_methodE3ELS4_3ELS4_3ELNS0_20block_scan_algorithmE0ELj4294967295EEENS1_25partition_config_selectorILNS1_17partition_subalgoE3EjNS0_10empty_typeEbEEZZNS1_14partition_implILS8_3ELb0ES6_jNS0_17counting_iteratorIjlEEPS9_SE_NS0_5tupleIJPjSE_EEENSF_IJSE_SE_EEES9_SG_JZNS1_25segmented_radix_sort_implINS0_14default_configELb0EPKfPfPKlPlN2at6native12_GLOBAL__N_18offset_tEEE10hipError_tPvRmT1_PNSt15iterator_traitsISY_E10value_typeET2_T3_PNSZ_IS14_E10value_typeET4_jRbjT5_S1A_jjP12ihipStream_tbEUljE_EEESV_SW_SX_S14_S18_S1A_T6_T7_T9_mT8_S1C_bDpT10_ENKUlT_T0_E_clISt17integral_constantIbLb0EES1O_IbLb1EEEEDaS1K_S1L_EUlS1K_E_NS1_11comp_targetILNS1_3genE4ELNS1_11target_archE910ELNS1_3gpuE8ELNS1_3repE0EEENS1_30default_config_static_selectorELNS0_4arch9wavefront6targetE1EEEvSY_, .Lfunc_end1420-_ZN7rocprim17ROCPRIM_400000_NS6detail17trampoline_kernelINS0_13select_configILj256ELj13ELNS0_17block_load_methodE3ELS4_3ELS4_3ELNS0_20block_scan_algorithmE0ELj4294967295EEENS1_25partition_config_selectorILNS1_17partition_subalgoE3EjNS0_10empty_typeEbEEZZNS1_14partition_implILS8_3ELb0ES6_jNS0_17counting_iteratorIjlEEPS9_SE_NS0_5tupleIJPjSE_EEENSF_IJSE_SE_EEES9_SG_JZNS1_25segmented_radix_sort_implINS0_14default_configELb0EPKfPfPKlPlN2at6native12_GLOBAL__N_18offset_tEEE10hipError_tPvRmT1_PNSt15iterator_traitsISY_E10value_typeET2_T3_PNSZ_IS14_E10value_typeET4_jRbjT5_S1A_jjP12ihipStream_tbEUljE_EEESV_SW_SX_S14_S18_S1A_T6_T7_T9_mT8_S1C_bDpT10_ENKUlT_T0_E_clISt17integral_constantIbLb0EES1O_IbLb1EEEEDaS1K_S1L_EUlS1K_E_NS1_11comp_targetILNS1_3genE4ELNS1_11target_archE910ELNS1_3gpuE8ELNS1_3repE0EEENS1_30default_config_static_selectorELNS0_4arch9wavefront6targetE1EEEvSY_
                                        ; -- End function
	.section	.AMDGPU.csdata,"",@progbits
; Kernel info:
; codeLenInByte = 7816
; NumSgprs: 48
; NumVgprs: 64
; NumAgprs: 0
; TotalNumVgprs: 64
; ScratchSize: 0
; MemoryBound: 0
; FloatMode: 240
; IeeeMode: 1
; LDSByteSize: 13324 bytes/workgroup (compile time only)
; SGPRBlocks: 5
; VGPRBlocks: 7
; NumSGPRsForWavesPerEU: 48
; NumVGPRsForWavesPerEU: 64
; AccumOffset: 64
; Occupancy: 4
; WaveLimiterHint : 0
; COMPUTE_PGM_RSRC2:SCRATCH_EN: 0
; COMPUTE_PGM_RSRC2:USER_SGPR: 6
; COMPUTE_PGM_RSRC2:TRAP_HANDLER: 0
; COMPUTE_PGM_RSRC2:TGID_X_EN: 1
; COMPUTE_PGM_RSRC2:TGID_Y_EN: 0
; COMPUTE_PGM_RSRC2:TGID_Z_EN: 0
; COMPUTE_PGM_RSRC2:TIDIG_COMP_CNT: 0
; COMPUTE_PGM_RSRC3_GFX90A:ACCUM_OFFSET: 15
; COMPUTE_PGM_RSRC3_GFX90A:TG_SPLIT: 0
	.section	.text._ZN7rocprim17ROCPRIM_400000_NS6detail17trampoline_kernelINS0_13select_configILj256ELj13ELNS0_17block_load_methodE3ELS4_3ELS4_3ELNS0_20block_scan_algorithmE0ELj4294967295EEENS1_25partition_config_selectorILNS1_17partition_subalgoE3EjNS0_10empty_typeEbEEZZNS1_14partition_implILS8_3ELb0ES6_jNS0_17counting_iteratorIjlEEPS9_SE_NS0_5tupleIJPjSE_EEENSF_IJSE_SE_EEES9_SG_JZNS1_25segmented_radix_sort_implINS0_14default_configELb0EPKfPfPKlPlN2at6native12_GLOBAL__N_18offset_tEEE10hipError_tPvRmT1_PNSt15iterator_traitsISY_E10value_typeET2_T3_PNSZ_IS14_E10value_typeET4_jRbjT5_S1A_jjP12ihipStream_tbEUljE_EEESV_SW_SX_S14_S18_S1A_T6_T7_T9_mT8_S1C_bDpT10_ENKUlT_T0_E_clISt17integral_constantIbLb0EES1O_IbLb1EEEEDaS1K_S1L_EUlS1K_E_NS1_11comp_targetILNS1_3genE3ELNS1_11target_archE908ELNS1_3gpuE7ELNS1_3repE0EEENS1_30default_config_static_selectorELNS0_4arch9wavefront6targetE1EEEvSY_,"axG",@progbits,_ZN7rocprim17ROCPRIM_400000_NS6detail17trampoline_kernelINS0_13select_configILj256ELj13ELNS0_17block_load_methodE3ELS4_3ELS4_3ELNS0_20block_scan_algorithmE0ELj4294967295EEENS1_25partition_config_selectorILNS1_17partition_subalgoE3EjNS0_10empty_typeEbEEZZNS1_14partition_implILS8_3ELb0ES6_jNS0_17counting_iteratorIjlEEPS9_SE_NS0_5tupleIJPjSE_EEENSF_IJSE_SE_EEES9_SG_JZNS1_25segmented_radix_sort_implINS0_14default_configELb0EPKfPfPKlPlN2at6native12_GLOBAL__N_18offset_tEEE10hipError_tPvRmT1_PNSt15iterator_traitsISY_E10value_typeET2_T3_PNSZ_IS14_E10value_typeET4_jRbjT5_S1A_jjP12ihipStream_tbEUljE_EEESV_SW_SX_S14_S18_S1A_T6_T7_T9_mT8_S1C_bDpT10_ENKUlT_T0_E_clISt17integral_constantIbLb0EES1O_IbLb1EEEEDaS1K_S1L_EUlS1K_E_NS1_11comp_targetILNS1_3genE3ELNS1_11target_archE908ELNS1_3gpuE7ELNS1_3repE0EEENS1_30default_config_static_selectorELNS0_4arch9wavefront6targetE1EEEvSY_,comdat
	.globl	_ZN7rocprim17ROCPRIM_400000_NS6detail17trampoline_kernelINS0_13select_configILj256ELj13ELNS0_17block_load_methodE3ELS4_3ELS4_3ELNS0_20block_scan_algorithmE0ELj4294967295EEENS1_25partition_config_selectorILNS1_17partition_subalgoE3EjNS0_10empty_typeEbEEZZNS1_14partition_implILS8_3ELb0ES6_jNS0_17counting_iteratorIjlEEPS9_SE_NS0_5tupleIJPjSE_EEENSF_IJSE_SE_EEES9_SG_JZNS1_25segmented_radix_sort_implINS0_14default_configELb0EPKfPfPKlPlN2at6native12_GLOBAL__N_18offset_tEEE10hipError_tPvRmT1_PNSt15iterator_traitsISY_E10value_typeET2_T3_PNSZ_IS14_E10value_typeET4_jRbjT5_S1A_jjP12ihipStream_tbEUljE_EEESV_SW_SX_S14_S18_S1A_T6_T7_T9_mT8_S1C_bDpT10_ENKUlT_T0_E_clISt17integral_constantIbLb0EES1O_IbLb1EEEEDaS1K_S1L_EUlS1K_E_NS1_11comp_targetILNS1_3genE3ELNS1_11target_archE908ELNS1_3gpuE7ELNS1_3repE0EEENS1_30default_config_static_selectorELNS0_4arch9wavefront6targetE1EEEvSY_ ; -- Begin function _ZN7rocprim17ROCPRIM_400000_NS6detail17trampoline_kernelINS0_13select_configILj256ELj13ELNS0_17block_load_methodE3ELS4_3ELS4_3ELNS0_20block_scan_algorithmE0ELj4294967295EEENS1_25partition_config_selectorILNS1_17partition_subalgoE3EjNS0_10empty_typeEbEEZZNS1_14partition_implILS8_3ELb0ES6_jNS0_17counting_iteratorIjlEEPS9_SE_NS0_5tupleIJPjSE_EEENSF_IJSE_SE_EEES9_SG_JZNS1_25segmented_radix_sort_implINS0_14default_configELb0EPKfPfPKlPlN2at6native12_GLOBAL__N_18offset_tEEE10hipError_tPvRmT1_PNSt15iterator_traitsISY_E10value_typeET2_T3_PNSZ_IS14_E10value_typeET4_jRbjT5_S1A_jjP12ihipStream_tbEUljE_EEESV_SW_SX_S14_S18_S1A_T6_T7_T9_mT8_S1C_bDpT10_ENKUlT_T0_E_clISt17integral_constantIbLb0EES1O_IbLb1EEEEDaS1K_S1L_EUlS1K_E_NS1_11comp_targetILNS1_3genE3ELNS1_11target_archE908ELNS1_3gpuE7ELNS1_3repE0EEENS1_30default_config_static_selectorELNS0_4arch9wavefront6targetE1EEEvSY_
	.p2align	8
	.type	_ZN7rocprim17ROCPRIM_400000_NS6detail17trampoline_kernelINS0_13select_configILj256ELj13ELNS0_17block_load_methodE3ELS4_3ELS4_3ELNS0_20block_scan_algorithmE0ELj4294967295EEENS1_25partition_config_selectorILNS1_17partition_subalgoE3EjNS0_10empty_typeEbEEZZNS1_14partition_implILS8_3ELb0ES6_jNS0_17counting_iteratorIjlEEPS9_SE_NS0_5tupleIJPjSE_EEENSF_IJSE_SE_EEES9_SG_JZNS1_25segmented_radix_sort_implINS0_14default_configELb0EPKfPfPKlPlN2at6native12_GLOBAL__N_18offset_tEEE10hipError_tPvRmT1_PNSt15iterator_traitsISY_E10value_typeET2_T3_PNSZ_IS14_E10value_typeET4_jRbjT5_S1A_jjP12ihipStream_tbEUljE_EEESV_SW_SX_S14_S18_S1A_T6_T7_T9_mT8_S1C_bDpT10_ENKUlT_T0_E_clISt17integral_constantIbLb0EES1O_IbLb1EEEEDaS1K_S1L_EUlS1K_E_NS1_11comp_targetILNS1_3genE3ELNS1_11target_archE908ELNS1_3gpuE7ELNS1_3repE0EEENS1_30default_config_static_selectorELNS0_4arch9wavefront6targetE1EEEvSY_,@function
_ZN7rocprim17ROCPRIM_400000_NS6detail17trampoline_kernelINS0_13select_configILj256ELj13ELNS0_17block_load_methodE3ELS4_3ELS4_3ELNS0_20block_scan_algorithmE0ELj4294967295EEENS1_25partition_config_selectorILNS1_17partition_subalgoE3EjNS0_10empty_typeEbEEZZNS1_14partition_implILS8_3ELb0ES6_jNS0_17counting_iteratorIjlEEPS9_SE_NS0_5tupleIJPjSE_EEENSF_IJSE_SE_EEES9_SG_JZNS1_25segmented_radix_sort_implINS0_14default_configELb0EPKfPfPKlPlN2at6native12_GLOBAL__N_18offset_tEEE10hipError_tPvRmT1_PNSt15iterator_traitsISY_E10value_typeET2_T3_PNSZ_IS14_E10value_typeET4_jRbjT5_S1A_jjP12ihipStream_tbEUljE_EEESV_SW_SX_S14_S18_S1A_T6_T7_T9_mT8_S1C_bDpT10_ENKUlT_T0_E_clISt17integral_constantIbLb0EES1O_IbLb1EEEEDaS1K_S1L_EUlS1K_E_NS1_11comp_targetILNS1_3genE3ELNS1_11target_archE908ELNS1_3gpuE7ELNS1_3repE0EEENS1_30default_config_static_selectorELNS0_4arch9wavefront6targetE1EEEvSY_: ; @_ZN7rocprim17ROCPRIM_400000_NS6detail17trampoline_kernelINS0_13select_configILj256ELj13ELNS0_17block_load_methodE3ELS4_3ELS4_3ELNS0_20block_scan_algorithmE0ELj4294967295EEENS1_25partition_config_selectorILNS1_17partition_subalgoE3EjNS0_10empty_typeEbEEZZNS1_14partition_implILS8_3ELb0ES6_jNS0_17counting_iteratorIjlEEPS9_SE_NS0_5tupleIJPjSE_EEENSF_IJSE_SE_EEES9_SG_JZNS1_25segmented_radix_sort_implINS0_14default_configELb0EPKfPfPKlPlN2at6native12_GLOBAL__N_18offset_tEEE10hipError_tPvRmT1_PNSt15iterator_traitsISY_E10value_typeET2_T3_PNSZ_IS14_E10value_typeET4_jRbjT5_S1A_jjP12ihipStream_tbEUljE_EEESV_SW_SX_S14_S18_S1A_T6_T7_T9_mT8_S1C_bDpT10_ENKUlT_T0_E_clISt17integral_constantIbLb0EES1O_IbLb1EEEEDaS1K_S1L_EUlS1K_E_NS1_11comp_targetILNS1_3genE3ELNS1_11target_archE908ELNS1_3gpuE7ELNS1_3repE0EEENS1_30default_config_static_selectorELNS0_4arch9wavefront6targetE1EEEvSY_
; %bb.0:
	.section	.rodata,"a",@progbits
	.p2align	6, 0x0
	.amdhsa_kernel _ZN7rocprim17ROCPRIM_400000_NS6detail17trampoline_kernelINS0_13select_configILj256ELj13ELNS0_17block_load_methodE3ELS4_3ELS4_3ELNS0_20block_scan_algorithmE0ELj4294967295EEENS1_25partition_config_selectorILNS1_17partition_subalgoE3EjNS0_10empty_typeEbEEZZNS1_14partition_implILS8_3ELb0ES6_jNS0_17counting_iteratorIjlEEPS9_SE_NS0_5tupleIJPjSE_EEENSF_IJSE_SE_EEES9_SG_JZNS1_25segmented_radix_sort_implINS0_14default_configELb0EPKfPfPKlPlN2at6native12_GLOBAL__N_18offset_tEEE10hipError_tPvRmT1_PNSt15iterator_traitsISY_E10value_typeET2_T3_PNSZ_IS14_E10value_typeET4_jRbjT5_S1A_jjP12ihipStream_tbEUljE_EEESV_SW_SX_S14_S18_S1A_T6_T7_T9_mT8_S1C_bDpT10_ENKUlT_T0_E_clISt17integral_constantIbLb0EES1O_IbLb1EEEEDaS1K_S1L_EUlS1K_E_NS1_11comp_targetILNS1_3genE3ELNS1_11target_archE908ELNS1_3gpuE7ELNS1_3repE0EEENS1_30default_config_static_selectorELNS0_4arch9wavefront6targetE1EEEvSY_
		.amdhsa_group_segment_fixed_size 0
		.amdhsa_private_segment_fixed_size 0
		.amdhsa_kernarg_size 152
		.amdhsa_user_sgpr_count 6
		.amdhsa_user_sgpr_private_segment_buffer 1
		.amdhsa_user_sgpr_dispatch_ptr 0
		.amdhsa_user_sgpr_queue_ptr 0
		.amdhsa_user_sgpr_kernarg_segment_ptr 1
		.amdhsa_user_sgpr_dispatch_id 0
		.amdhsa_user_sgpr_flat_scratch_init 0
		.amdhsa_user_sgpr_kernarg_preload_length 0
		.amdhsa_user_sgpr_kernarg_preload_offset 0
		.amdhsa_user_sgpr_private_segment_size 0
		.amdhsa_uses_dynamic_stack 0
		.amdhsa_system_sgpr_private_segment_wavefront_offset 0
		.amdhsa_system_sgpr_workgroup_id_x 1
		.amdhsa_system_sgpr_workgroup_id_y 0
		.amdhsa_system_sgpr_workgroup_id_z 0
		.amdhsa_system_sgpr_workgroup_info 0
		.amdhsa_system_vgpr_workitem_id 0
		.amdhsa_next_free_vgpr 1
		.amdhsa_next_free_sgpr 0
		.amdhsa_accum_offset 4
		.amdhsa_reserve_vcc 0
		.amdhsa_reserve_flat_scratch 0
		.amdhsa_float_round_mode_32 0
		.amdhsa_float_round_mode_16_64 0
		.amdhsa_float_denorm_mode_32 3
		.amdhsa_float_denorm_mode_16_64 3
		.amdhsa_dx10_clamp 1
		.amdhsa_ieee_mode 1
		.amdhsa_fp16_overflow 0
		.amdhsa_tg_split 0
		.amdhsa_exception_fp_ieee_invalid_op 0
		.amdhsa_exception_fp_denorm_src 0
		.amdhsa_exception_fp_ieee_div_zero 0
		.amdhsa_exception_fp_ieee_overflow 0
		.amdhsa_exception_fp_ieee_underflow 0
		.amdhsa_exception_fp_ieee_inexact 0
		.amdhsa_exception_int_div_zero 0
	.end_amdhsa_kernel
	.section	.text._ZN7rocprim17ROCPRIM_400000_NS6detail17trampoline_kernelINS0_13select_configILj256ELj13ELNS0_17block_load_methodE3ELS4_3ELS4_3ELNS0_20block_scan_algorithmE0ELj4294967295EEENS1_25partition_config_selectorILNS1_17partition_subalgoE3EjNS0_10empty_typeEbEEZZNS1_14partition_implILS8_3ELb0ES6_jNS0_17counting_iteratorIjlEEPS9_SE_NS0_5tupleIJPjSE_EEENSF_IJSE_SE_EEES9_SG_JZNS1_25segmented_radix_sort_implINS0_14default_configELb0EPKfPfPKlPlN2at6native12_GLOBAL__N_18offset_tEEE10hipError_tPvRmT1_PNSt15iterator_traitsISY_E10value_typeET2_T3_PNSZ_IS14_E10value_typeET4_jRbjT5_S1A_jjP12ihipStream_tbEUljE_EEESV_SW_SX_S14_S18_S1A_T6_T7_T9_mT8_S1C_bDpT10_ENKUlT_T0_E_clISt17integral_constantIbLb0EES1O_IbLb1EEEEDaS1K_S1L_EUlS1K_E_NS1_11comp_targetILNS1_3genE3ELNS1_11target_archE908ELNS1_3gpuE7ELNS1_3repE0EEENS1_30default_config_static_selectorELNS0_4arch9wavefront6targetE1EEEvSY_,"axG",@progbits,_ZN7rocprim17ROCPRIM_400000_NS6detail17trampoline_kernelINS0_13select_configILj256ELj13ELNS0_17block_load_methodE3ELS4_3ELS4_3ELNS0_20block_scan_algorithmE0ELj4294967295EEENS1_25partition_config_selectorILNS1_17partition_subalgoE3EjNS0_10empty_typeEbEEZZNS1_14partition_implILS8_3ELb0ES6_jNS0_17counting_iteratorIjlEEPS9_SE_NS0_5tupleIJPjSE_EEENSF_IJSE_SE_EEES9_SG_JZNS1_25segmented_radix_sort_implINS0_14default_configELb0EPKfPfPKlPlN2at6native12_GLOBAL__N_18offset_tEEE10hipError_tPvRmT1_PNSt15iterator_traitsISY_E10value_typeET2_T3_PNSZ_IS14_E10value_typeET4_jRbjT5_S1A_jjP12ihipStream_tbEUljE_EEESV_SW_SX_S14_S18_S1A_T6_T7_T9_mT8_S1C_bDpT10_ENKUlT_T0_E_clISt17integral_constantIbLb0EES1O_IbLb1EEEEDaS1K_S1L_EUlS1K_E_NS1_11comp_targetILNS1_3genE3ELNS1_11target_archE908ELNS1_3gpuE7ELNS1_3repE0EEENS1_30default_config_static_selectorELNS0_4arch9wavefront6targetE1EEEvSY_,comdat
.Lfunc_end1421:
	.size	_ZN7rocprim17ROCPRIM_400000_NS6detail17trampoline_kernelINS0_13select_configILj256ELj13ELNS0_17block_load_methodE3ELS4_3ELS4_3ELNS0_20block_scan_algorithmE0ELj4294967295EEENS1_25partition_config_selectorILNS1_17partition_subalgoE3EjNS0_10empty_typeEbEEZZNS1_14partition_implILS8_3ELb0ES6_jNS0_17counting_iteratorIjlEEPS9_SE_NS0_5tupleIJPjSE_EEENSF_IJSE_SE_EEES9_SG_JZNS1_25segmented_radix_sort_implINS0_14default_configELb0EPKfPfPKlPlN2at6native12_GLOBAL__N_18offset_tEEE10hipError_tPvRmT1_PNSt15iterator_traitsISY_E10value_typeET2_T3_PNSZ_IS14_E10value_typeET4_jRbjT5_S1A_jjP12ihipStream_tbEUljE_EEESV_SW_SX_S14_S18_S1A_T6_T7_T9_mT8_S1C_bDpT10_ENKUlT_T0_E_clISt17integral_constantIbLb0EES1O_IbLb1EEEEDaS1K_S1L_EUlS1K_E_NS1_11comp_targetILNS1_3genE3ELNS1_11target_archE908ELNS1_3gpuE7ELNS1_3repE0EEENS1_30default_config_static_selectorELNS0_4arch9wavefront6targetE1EEEvSY_, .Lfunc_end1421-_ZN7rocprim17ROCPRIM_400000_NS6detail17trampoline_kernelINS0_13select_configILj256ELj13ELNS0_17block_load_methodE3ELS4_3ELS4_3ELNS0_20block_scan_algorithmE0ELj4294967295EEENS1_25partition_config_selectorILNS1_17partition_subalgoE3EjNS0_10empty_typeEbEEZZNS1_14partition_implILS8_3ELb0ES6_jNS0_17counting_iteratorIjlEEPS9_SE_NS0_5tupleIJPjSE_EEENSF_IJSE_SE_EEES9_SG_JZNS1_25segmented_radix_sort_implINS0_14default_configELb0EPKfPfPKlPlN2at6native12_GLOBAL__N_18offset_tEEE10hipError_tPvRmT1_PNSt15iterator_traitsISY_E10value_typeET2_T3_PNSZ_IS14_E10value_typeET4_jRbjT5_S1A_jjP12ihipStream_tbEUljE_EEESV_SW_SX_S14_S18_S1A_T6_T7_T9_mT8_S1C_bDpT10_ENKUlT_T0_E_clISt17integral_constantIbLb0EES1O_IbLb1EEEEDaS1K_S1L_EUlS1K_E_NS1_11comp_targetILNS1_3genE3ELNS1_11target_archE908ELNS1_3gpuE7ELNS1_3repE0EEENS1_30default_config_static_selectorELNS0_4arch9wavefront6targetE1EEEvSY_
                                        ; -- End function
	.section	.AMDGPU.csdata,"",@progbits
; Kernel info:
; codeLenInByte = 0
; NumSgprs: 4
; NumVgprs: 0
; NumAgprs: 0
; TotalNumVgprs: 0
; ScratchSize: 0
; MemoryBound: 0
; FloatMode: 240
; IeeeMode: 1
; LDSByteSize: 0 bytes/workgroup (compile time only)
; SGPRBlocks: 0
; VGPRBlocks: 0
; NumSGPRsForWavesPerEU: 4
; NumVGPRsForWavesPerEU: 1
; AccumOffset: 4
; Occupancy: 8
; WaveLimiterHint : 0
; COMPUTE_PGM_RSRC2:SCRATCH_EN: 0
; COMPUTE_PGM_RSRC2:USER_SGPR: 6
; COMPUTE_PGM_RSRC2:TRAP_HANDLER: 0
; COMPUTE_PGM_RSRC2:TGID_X_EN: 1
; COMPUTE_PGM_RSRC2:TGID_Y_EN: 0
; COMPUTE_PGM_RSRC2:TGID_Z_EN: 0
; COMPUTE_PGM_RSRC2:TIDIG_COMP_CNT: 0
; COMPUTE_PGM_RSRC3_GFX90A:ACCUM_OFFSET: 0
; COMPUTE_PGM_RSRC3_GFX90A:TG_SPLIT: 0
	.section	.text._ZN7rocprim17ROCPRIM_400000_NS6detail17trampoline_kernelINS0_13select_configILj256ELj13ELNS0_17block_load_methodE3ELS4_3ELS4_3ELNS0_20block_scan_algorithmE0ELj4294967295EEENS1_25partition_config_selectorILNS1_17partition_subalgoE3EjNS0_10empty_typeEbEEZZNS1_14partition_implILS8_3ELb0ES6_jNS0_17counting_iteratorIjlEEPS9_SE_NS0_5tupleIJPjSE_EEENSF_IJSE_SE_EEES9_SG_JZNS1_25segmented_radix_sort_implINS0_14default_configELb0EPKfPfPKlPlN2at6native12_GLOBAL__N_18offset_tEEE10hipError_tPvRmT1_PNSt15iterator_traitsISY_E10value_typeET2_T3_PNSZ_IS14_E10value_typeET4_jRbjT5_S1A_jjP12ihipStream_tbEUljE_EEESV_SW_SX_S14_S18_S1A_T6_T7_T9_mT8_S1C_bDpT10_ENKUlT_T0_E_clISt17integral_constantIbLb0EES1O_IbLb1EEEEDaS1K_S1L_EUlS1K_E_NS1_11comp_targetILNS1_3genE2ELNS1_11target_archE906ELNS1_3gpuE6ELNS1_3repE0EEENS1_30default_config_static_selectorELNS0_4arch9wavefront6targetE1EEEvSY_,"axG",@progbits,_ZN7rocprim17ROCPRIM_400000_NS6detail17trampoline_kernelINS0_13select_configILj256ELj13ELNS0_17block_load_methodE3ELS4_3ELS4_3ELNS0_20block_scan_algorithmE0ELj4294967295EEENS1_25partition_config_selectorILNS1_17partition_subalgoE3EjNS0_10empty_typeEbEEZZNS1_14partition_implILS8_3ELb0ES6_jNS0_17counting_iteratorIjlEEPS9_SE_NS0_5tupleIJPjSE_EEENSF_IJSE_SE_EEES9_SG_JZNS1_25segmented_radix_sort_implINS0_14default_configELb0EPKfPfPKlPlN2at6native12_GLOBAL__N_18offset_tEEE10hipError_tPvRmT1_PNSt15iterator_traitsISY_E10value_typeET2_T3_PNSZ_IS14_E10value_typeET4_jRbjT5_S1A_jjP12ihipStream_tbEUljE_EEESV_SW_SX_S14_S18_S1A_T6_T7_T9_mT8_S1C_bDpT10_ENKUlT_T0_E_clISt17integral_constantIbLb0EES1O_IbLb1EEEEDaS1K_S1L_EUlS1K_E_NS1_11comp_targetILNS1_3genE2ELNS1_11target_archE906ELNS1_3gpuE6ELNS1_3repE0EEENS1_30default_config_static_selectorELNS0_4arch9wavefront6targetE1EEEvSY_,comdat
	.globl	_ZN7rocprim17ROCPRIM_400000_NS6detail17trampoline_kernelINS0_13select_configILj256ELj13ELNS0_17block_load_methodE3ELS4_3ELS4_3ELNS0_20block_scan_algorithmE0ELj4294967295EEENS1_25partition_config_selectorILNS1_17partition_subalgoE3EjNS0_10empty_typeEbEEZZNS1_14partition_implILS8_3ELb0ES6_jNS0_17counting_iteratorIjlEEPS9_SE_NS0_5tupleIJPjSE_EEENSF_IJSE_SE_EEES9_SG_JZNS1_25segmented_radix_sort_implINS0_14default_configELb0EPKfPfPKlPlN2at6native12_GLOBAL__N_18offset_tEEE10hipError_tPvRmT1_PNSt15iterator_traitsISY_E10value_typeET2_T3_PNSZ_IS14_E10value_typeET4_jRbjT5_S1A_jjP12ihipStream_tbEUljE_EEESV_SW_SX_S14_S18_S1A_T6_T7_T9_mT8_S1C_bDpT10_ENKUlT_T0_E_clISt17integral_constantIbLb0EES1O_IbLb1EEEEDaS1K_S1L_EUlS1K_E_NS1_11comp_targetILNS1_3genE2ELNS1_11target_archE906ELNS1_3gpuE6ELNS1_3repE0EEENS1_30default_config_static_selectorELNS0_4arch9wavefront6targetE1EEEvSY_ ; -- Begin function _ZN7rocprim17ROCPRIM_400000_NS6detail17trampoline_kernelINS0_13select_configILj256ELj13ELNS0_17block_load_methodE3ELS4_3ELS4_3ELNS0_20block_scan_algorithmE0ELj4294967295EEENS1_25partition_config_selectorILNS1_17partition_subalgoE3EjNS0_10empty_typeEbEEZZNS1_14partition_implILS8_3ELb0ES6_jNS0_17counting_iteratorIjlEEPS9_SE_NS0_5tupleIJPjSE_EEENSF_IJSE_SE_EEES9_SG_JZNS1_25segmented_radix_sort_implINS0_14default_configELb0EPKfPfPKlPlN2at6native12_GLOBAL__N_18offset_tEEE10hipError_tPvRmT1_PNSt15iterator_traitsISY_E10value_typeET2_T3_PNSZ_IS14_E10value_typeET4_jRbjT5_S1A_jjP12ihipStream_tbEUljE_EEESV_SW_SX_S14_S18_S1A_T6_T7_T9_mT8_S1C_bDpT10_ENKUlT_T0_E_clISt17integral_constantIbLb0EES1O_IbLb1EEEEDaS1K_S1L_EUlS1K_E_NS1_11comp_targetILNS1_3genE2ELNS1_11target_archE906ELNS1_3gpuE6ELNS1_3repE0EEENS1_30default_config_static_selectorELNS0_4arch9wavefront6targetE1EEEvSY_
	.p2align	8
	.type	_ZN7rocprim17ROCPRIM_400000_NS6detail17trampoline_kernelINS0_13select_configILj256ELj13ELNS0_17block_load_methodE3ELS4_3ELS4_3ELNS0_20block_scan_algorithmE0ELj4294967295EEENS1_25partition_config_selectorILNS1_17partition_subalgoE3EjNS0_10empty_typeEbEEZZNS1_14partition_implILS8_3ELb0ES6_jNS0_17counting_iteratorIjlEEPS9_SE_NS0_5tupleIJPjSE_EEENSF_IJSE_SE_EEES9_SG_JZNS1_25segmented_radix_sort_implINS0_14default_configELb0EPKfPfPKlPlN2at6native12_GLOBAL__N_18offset_tEEE10hipError_tPvRmT1_PNSt15iterator_traitsISY_E10value_typeET2_T3_PNSZ_IS14_E10value_typeET4_jRbjT5_S1A_jjP12ihipStream_tbEUljE_EEESV_SW_SX_S14_S18_S1A_T6_T7_T9_mT8_S1C_bDpT10_ENKUlT_T0_E_clISt17integral_constantIbLb0EES1O_IbLb1EEEEDaS1K_S1L_EUlS1K_E_NS1_11comp_targetILNS1_3genE2ELNS1_11target_archE906ELNS1_3gpuE6ELNS1_3repE0EEENS1_30default_config_static_selectorELNS0_4arch9wavefront6targetE1EEEvSY_,@function
_ZN7rocprim17ROCPRIM_400000_NS6detail17trampoline_kernelINS0_13select_configILj256ELj13ELNS0_17block_load_methodE3ELS4_3ELS4_3ELNS0_20block_scan_algorithmE0ELj4294967295EEENS1_25partition_config_selectorILNS1_17partition_subalgoE3EjNS0_10empty_typeEbEEZZNS1_14partition_implILS8_3ELb0ES6_jNS0_17counting_iteratorIjlEEPS9_SE_NS0_5tupleIJPjSE_EEENSF_IJSE_SE_EEES9_SG_JZNS1_25segmented_radix_sort_implINS0_14default_configELb0EPKfPfPKlPlN2at6native12_GLOBAL__N_18offset_tEEE10hipError_tPvRmT1_PNSt15iterator_traitsISY_E10value_typeET2_T3_PNSZ_IS14_E10value_typeET4_jRbjT5_S1A_jjP12ihipStream_tbEUljE_EEESV_SW_SX_S14_S18_S1A_T6_T7_T9_mT8_S1C_bDpT10_ENKUlT_T0_E_clISt17integral_constantIbLb0EES1O_IbLb1EEEEDaS1K_S1L_EUlS1K_E_NS1_11comp_targetILNS1_3genE2ELNS1_11target_archE906ELNS1_3gpuE6ELNS1_3repE0EEENS1_30default_config_static_selectorELNS0_4arch9wavefront6targetE1EEEvSY_: ; @_ZN7rocprim17ROCPRIM_400000_NS6detail17trampoline_kernelINS0_13select_configILj256ELj13ELNS0_17block_load_methodE3ELS4_3ELS4_3ELNS0_20block_scan_algorithmE0ELj4294967295EEENS1_25partition_config_selectorILNS1_17partition_subalgoE3EjNS0_10empty_typeEbEEZZNS1_14partition_implILS8_3ELb0ES6_jNS0_17counting_iteratorIjlEEPS9_SE_NS0_5tupleIJPjSE_EEENSF_IJSE_SE_EEES9_SG_JZNS1_25segmented_radix_sort_implINS0_14default_configELb0EPKfPfPKlPlN2at6native12_GLOBAL__N_18offset_tEEE10hipError_tPvRmT1_PNSt15iterator_traitsISY_E10value_typeET2_T3_PNSZ_IS14_E10value_typeET4_jRbjT5_S1A_jjP12ihipStream_tbEUljE_EEESV_SW_SX_S14_S18_S1A_T6_T7_T9_mT8_S1C_bDpT10_ENKUlT_T0_E_clISt17integral_constantIbLb0EES1O_IbLb1EEEEDaS1K_S1L_EUlS1K_E_NS1_11comp_targetILNS1_3genE2ELNS1_11target_archE906ELNS1_3gpuE6ELNS1_3repE0EEENS1_30default_config_static_selectorELNS0_4arch9wavefront6targetE1EEEvSY_
; %bb.0:
	.section	.rodata,"a",@progbits
	.p2align	6, 0x0
	.amdhsa_kernel _ZN7rocprim17ROCPRIM_400000_NS6detail17trampoline_kernelINS0_13select_configILj256ELj13ELNS0_17block_load_methodE3ELS4_3ELS4_3ELNS0_20block_scan_algorithmE0ELj4294967295EEENS1_25partition_config_selectorILNS1_17partition_subalgoE3EjNS0_10empty_typeEbEEZZNS1_14partition_implILS8_3ELb0ES6_jNS0_17counting_iteratorIjlEEPS9_SE_NS0_5tupleIJPjSE_EEENSF_IJSE_SE_EEES9_SG_JZNS1_25segmented_radix_sort_implINS0_14default_configELb0EPKfPfPKlPlN2at6native12_GLOBAL__N_18offset_tEEE10hipError_tPvRmT1_PNSt15iterator_traitsISY_E10value_typeET2_T3_PNSZ_IS14_E10value_typeET4_jRbjT5_S1A_jjP12ihipStream_tbEUljE_EEESV_SW_SX_S14_S18_S1A_T6_T7_T9_mT8_S1C_bDpT10_ENKUlT_T0_E_clISt17integral_constantIbLb0EES1O_IbLb1EEEEDaS1K_S1L_EUlS1K_E_NS1_11comp_targetILNS1_3genE2ELNS1_11target_archE906ELNS1_3gpuE6ELNS1_3repE0EEENS1_30default_config_static_selectorELNS0_4arch9wavefront6targetE1EEEvSY_
		.amdhsa_group_segment_fixed_size 0
		.amdhsa_private_segment_fixed_size 0
		.amdhsa_kernarg_size 152
		.amdhsa_user_sgpr_count 6
		.amdhsa_user_sgpr_private_segment_buffer 1
		.amdhsa_user_sgpr_dispatch_ptr 0
		.amdhsa_user_sgpr_queue_ptr 0
		.amdhsa_user_sgpr_kernarg_segment_ptr 1
		.amdhsa_user_sgpr_dispatch_id 0
		.amdhsa_user_sgpr_flat_scratch_init 0
		.amdhsa_user_sgpr_kernarg_preload_length 0
		.amdhsa_user_sgpr_kernarg_preload_offset 0
		.amdhsa_user_sgpr_private_segment_size 0
		.amdhsa_uses_dynamic_stack 0
		.amdhsa_system_sgpr_private_segment_wavefront_offset 0
		.amdhsa_system_sgpr_workgroup_id_x 1
		.amdhsa_system_sgpr_workgroup_id_y 0
		.amdhsa_system_sgpr_workgroup_id_z 0
		.amdhsa_system_sgpr_workgroup_info 0
		.amdhsa_system_vgpr_workitem_id 0
		.amdhsa_next_free_vgpr 1
		.amdhsa_next_free_sgpr 0
		.amdhsa_accum_offset 4
		.amdhsa_reserve_vcc 0
		.amdhsa_reserve_flat_scratch 0
		.amdhsa_float_round_mode_32 0
		.amdhsa_float_round_mode_16_64 0
		.amdhsa_float_denorm_mode_32 3
		.amdhsa_float_denorm_mode_16_64 3
		.amdhsa_dx10_clamp 1
		.amdhsa_ieee_mode 1
		.amdhsa_fp16_overflow 0
		.amdhsa_tg_split 0
		.amdhsa_exception_fp_ieee_invalid_op 0
		.amdhsa_exception_fp_denorm_src 0
		.amdhsa_exception_fp_ieee_div_zero 0
		.amdhsa_exception_fp_ieee_overflow 0
		.amdhsa_exception_fp_ieee_underflow 0
		.amdhsa_exception_fp_ieee_inexact 0
		.amdhsa_exception_int_div_zero 0
	.end_amdhsa_kernel
	.section	.text._ZN7rocprim17ROCPRIM_400000_NS6detail17trampoline_kernelINS0_13select_configILj256ELj13ELNS0_17block_load_methodE3ELS4_3ELS4_3ELNS0_20block_scan_algorithmE0ELj4294967295EEENS1_25partition_config_selectorILNS1_17partition_subalgoE3EjNS0_10empty_typeEbEEZZNS1_14partition_implILS8_3ELb0ES6_jNS0_17counting_iteratorIjlEEPS9_SE_NS0_5tupleIJPjSE_EEENSF_IJSE_SE_EEES9_SG_JZNS1_25segmented_radix_sort_implINS0_14default_configELb0EPKfPfPKlPlN2at6native12_GLOBAL__N_18offset_tEEE10hipError_tPvRmT1_PNSt15iterator_traitsISY_E10value_typeET2_T3_PNSZ_IS14_E10value_typeET4_jRbjT5_S1A_jjP12ihipStream_tbEUljE_EEESV_SW_SX_S14_S18_S1A_T6_T7_T9_mT8_S1C_bDpT10_ENKUlT_T0_E_clISt17integral_constantIbLb0EES1O_IbLb1EEEEDaS1K_S1L_EUlS1K_E_NS1_11comp_targetILNS1_3genE2ELNS1_11target_archE906ELNS1_3gpuE6ELNS1_3repE0EEENS1_30default_config_static_selectorELNS0_4arch9wavefront6targetE1EEEvSY_,"axG",@progbits,_ZN7rocprim17ROCPRIM_400000_NS6detail17trampoline_kernelINS0_13select_configILj256ELj13ELNS0_17block_load_methodE3ELS4_3ELS4_3ELNS0_20block_scan_algorithmE0ELj4294967295EEENS1_25partition_config_selectorILNS1_17partition_subalgoE3EjNS0_10empty_typeEbEEZZNS1_14partition_implILS8_3ELb0ES6_jNS0_17counting_iteratorIjlEEPS9_SE_NS0_5tupleIJPjSE_EEENSF_IJSE_SE_EEES9_SG_JZNS1_25segmented_radix_sort_implINS0_14default_configELb0EPKfPfPKlPlN2at6native12_GLOBAL__N_18offset_tEEE10hipError_tPvRmT1_PNSt15iterator_traitsISY_E10value_typeET2_T3_PNSZ_IS14_E10value_typeET4_jRbjT5_S1A_jjP12ihipStream_tbEUljE_EEESV_SW_SX_S14_S18_S1A_T6_T7_T9_mT8_S1C_bDpT10_ENKUlT_T0_E_clISt17integral_constantIbLb0EES1O_IbLb1EEEEDaS1K_S1L_EUlS1K_E_NS1_11comp_targetILNS1_3genE2ELNS1_11target_archE906ELNS1_3gpuE6ELNS1_3repE0EEENS1_30default_config_static_selectorELNS0_4arch9wavefront6targetE1EEEvSY_,comdat
.Lfunc_end1422:
	.size	_ZN7rocprim17ROCPRIM_400000_NS6detail17trampoline_kernelINS0_13select_configILj256ELj13ELNS0_17block_load_methodE3ELS4_3ELS4_3ELNS0_20block_scan_algorithmE0ELj4294967295EEENS1_25partition_config_selectorILNS1_17partition_subalgoE3EjNS0_10empty_typeEbEEZZNS1_14partition_implILS8_3ELb0ES6_jNS0_17counting_iteratorIjlEEPS9_SE_NS0_5tupleIJPjSE_EEENSF_IJSE_SE_EEES9_SG_JZNS1_25segmented_radix_sort_implINS0_14default_configELb0EPKfPfPKlPlN2at6native12_GLOBAL__N_18offset_tEEE10hipError_tPvRmT1_PNSt15iterator_traitsISY_E10value_typeET2_T3_PNSZ_IS14_E10value_typeET4_jRbjT5_S1A_jjP12ihipStream_tbEUljE_EEESV_SW_SX_S14_S18_S1A_T6_T7_T9_mT8_S1C_bDpT10_ENKUlT_T0_E_clISt17integral_constantIbLb0EES1O_IbLb1EEEEDaS1K_S1L_EUlS1K_E_NS1_11comp_targetILNS1_3genE2ELNS1_11target_archE906ELNS1_3gpuE6ELNS1_3repE0EEENS1_30default_config_static_selectorELNS0_4arch9wavefront6targetE1EEEvSY_, .Lfunc_end1422-_ZN7rocprim17ROCPRIM_400000_NS6detail17trampoline_kernelINS0_13select_configILj256ELj13ELNS0_17block_load_methodE3ELS4_3ELS4_3ELNS0_20block_scan_algorithmE0ELj4294967295EEENS1_25partition_config_selectorILNS1_17partition_subalgoE3EjNS0_10empty_typeEbEEZZNS1_14partition_implILS8_3ELb0ES6_jNS0_17counting_iteratorIjlEEPS9_SE_NS0_5tupleIJPjSE_EEENSF_IJSE_SE_EEES9_SG_JZNS1_25segmented_radix_sort_implINS0_14default_configELb0EPKfPfPKlPlN2at6native12_GLOBAL__N_18offset_tEEE10hipError_tPvRmT1_PNSt15iterator_traitsISY_E10value_typeET2_T3_PNSZ_IS14_E10value_typeET4_jRbjT5_S1A_jjP12ihipStream_tbEUljE_EEESV_SW_SX_S14_S18_S1A_T6_T7_T9_mT8_S1C_bDpT10_ENKUlT_T0_E_clISt17integral_constantIbLb0EES1O_IbLb1EEEEDaS1K_S1L_EUlS1K_E_NS1_11comp_targetILNS1_3genE2ELNS1_11target_archE906ELNS1_3gpuE6ELNS1_3repE0EEENS1_30default_config_static_selectorELNS0_4arch9wavefront6targetE1EEEvSY_
                                        ; -- End function
	.section	.AMDGPU.csdata,"",@progbits
; Kernel info:
; codeLenInByte = 0
; NumSgprs: 4
; NumVgprs: 0
; NumAgprs: 0
; TotalNumVgprs: 0
; ScratchSize: 0
; MemoryBound: 0
; FloatMode: 240
; IeeeMode: 1
; LDSByteSize: 0 bytes/workgroup (compile time only)
; SGPRBlocks: 0
; VGPRBlocks: 0
; NumSGPRsForWavesPerEU: 4
; NumVGPRsForWavesPerEU: 1
; AccumOffset: 4
; Occupancy: 8
; WaveLimiterHint : 0
; COMPUTE_PGM_RSRC2:SCRATCH_EN: 0
; COMPUTE_PGM_RSRC2:USER_SGPR: 6
; COMPUTE_PGM_RSRC2:TRAP_HANDLER: 0
; COMPUTE_PGM_RSRC2:TGID_X_EN: 1
; COMPUTE_PGM_RSRC2:TGID_Y_EN: 0
; COMPUTE_PGM_RSRC2:TGID_Z_EN: 0
; COMPUTE_PGM_RSRC2:TIDIG_COMP_CNT: 0
; COMPUTE_PGM_RSRC3_GFX90A:ACCUM_OFFSET: 0
; COMPUTE_PGM_RSRC3_GFX90A:TG_SPLIT: 0
	.section	.text._ZN7rocprim17ROCPRIM_400000_NS6detail17trampoline_kernelINS0_13select_configILj256ELj13ELNS0_17block_load_methodE3ELS4_3ELS4_3ELNS0_20block_scan_algorithmE0ELj4294967295EEENS1_25partition_config_selectorILNS1_17partition_subalgoE3EjNS0_10empty_typeEbEEZZNS1_14partition_implILS8_3ELb0ES6_jNS0_17counting_iteratorIjlEEPS9_SE_NS0_5tupleIJPjSE_EEENSF_IJSE_SE_EEES9_SG_JZNS1_25segmented_radix_sort_implINS0_14default_configELb0EPKfPfPKlPlN2at6native12_GLOBAL__N_18offset_tEEE10hipError_tPvRmT1_PNSt15iterator_traitsISY_E10value_typeET2_T3_PNSZ_IS14_E10value_typeET4_jRbjT5_S1A_jjP12ihipStream_tbEUljE_EEESV_SW_SX_S14_S18_S1A_T6_T7_T9_mT8_S1C_bDpT10_ENKUlT_T0_E_clISt17integral_constantIbLb0EES1O_IbLb1EEEEDaS1K_S1L_EUlS1K_E_NS1_11comp_targetILNS1_3genE10ELNS1_11target_archE1200ELNS1_3gpuE4ELNS1_3repE0EEENS1_30default_config_static_selectorELNS0_4arch9wavefront6targetE1EEEvSY_,"axG",@progbits,_ZN7rocprim17ROCPRIM_400000_NS6detail17trampoline_kernelINS0_13select_configILj256ELj13ELNS0_17block_load_methodE3ELS4_3ELS4_3ELNS0_20block_scan_algorithmE0ELj4294967295EEENS1_25partition_config_selectorILNS1_17partition_subalgoE3EjNS0_10empty_typeEbEEZZNS1_14partition_implILS8_3ELb0ES6_jNS0_17counting_iteratorIjlEEPS9_SE_NS0_5tupleIJPjSE_EEENSF_IJSE_SE_EEES9_SG_JZNS1_25segmented_radix_sort_implINS0_14default_configELb0EPKfPfPKlPlN2at6native12_GLOBAL__N_18offset_tEEE10hipError_tPvRmT1_PNSt15iterator_traitsISY_E10value_typeET2_T3_PNSZ_IS14_E10value_typeET4_jRbjT5_S1A_jjP12ihipStream_tbEUljE_EEESV_SW_SX_S14_S18_S1A_T6_T7_T9_mT8_S1C_bDpT10_ENKUlT_T0_E_clISt17integral_constantIbLb0EES1O_IbLb1EEEEDaS1K_S1L_EUlS1K_E_NS1_11comp_targetILNS1_3genE10ELNS1_11target_archE1200ELNS1_3gpuE4ELNS1_3repE0EEENS1_30default_config_static_selectorELNS0_4arch9wavefront6targetE1EEEvSY_,comdat
	.globl	_ZN7rocprim17ROCPRIM_400000_NS6detail17trampoline_kernelINS0_13select_configILj256ELj13ELNS0_17block_load_methodE3ELS4_3ELS4_3ELNS0_20block_scan_algorithmE0ELj4294967295EEENS1_25partition_config_selectorILNS1_17partition_subalgoE3EjNS0_10empty_typeEbEEZZNS1_14partition_implILS8_3ELb0ES6_jNS0_17counting_iteratorIjlEEPS9_SE_NS0_5tupleIJPjSE_EEENSF_IJSE_SE_EEES9_SG_JZNS1_25segmented_radix_sort_implINS0_14default_configELb0EPKfPfPKlPlN2at6native12_GLOBAL__N_18offset_tEEE10hipError_tPvRmT1_PNSt15iterator_traitsISY_E10value_typeET2_T3_PNSZ_IS14_E10value_typeET4_jRbjT5_S1A_jjP12ihipStream_tbEUljE_EEESV_SW_SX_S14_S18_S1A_T6_T7_T9_mT8_S1C_bDpT10_ENKUlT_T0_E_clISt17integral_constantIbLb0EES1O_IbLb1EEEEDaS1K_S1L_EUlS1K_E_NS1_11comp_targetILNS1_3genE10ELNS1_11target_archE1200ELNS1_3gpuE4ELNS1_3repE0EEENS1_30default_config_static_selectorELNS0_4arch9wavefront6targetE1EEEvSY_ ; -- Begin function _ZN7rocprim17ROCPRIM_400000_NS6detail17trampoline_kernelINS0_13select_configILj256ELj13ELNS0_17block_load_methodE3ELS4_3ELS4_3ELNS0_20block_scan_algorithmE0ELj4294967295EEENS1_25partition_config_selectorILNS1_17partition_subalgoE3EjNS0_10empty_typeEbEEZZNS1_14partition_implILS8_3ELb0ES6_jNS0_17counting_iteratorIjlEEPS9_SE_NS0_5tupleIJPjSE_EEENSF_IJSE_SE_EEES9_SG_JZNS1_25segmented_radix_sort_implINS0_14default_configELb0EPKfPfPKlPlN2at6native12_GLOBAL__N_18offset_tEEE10hipError_tPvRmT1_PNSt15iterator_traitsISY_E10value_typeET2_T3_PNSZ_IS14_E10value_typeET4_jRbjT5_S1A_jjP12ihipStream_tbEUljE_EEESV_SW_SX_S14_S18_S1A_T6_T7_T9_mT8_S1C_bDpT10_ENKUlT_T0_E_clISt17integral_constantIbLb0EES1O_IbLb1EEEEDaS1K_S1L_EUlS1K_E_NS1_11comp_targetILNS1_3genE10ELNS1_11target_archE1200ELNS1_3gpuE4ELNS1_3repE0EEENS1_30default_config_static_selectorELNS0_4arch9wavefront6targetE1EEEvSY_
	.p2align	8
	.type	_ZN7rocprim17ROCPRIM_400000_NS6detail17trampoline_kernelINS0_13select_configILj256ELj13ELNS0_17block_load_methodE3ELS4_3ELS4_3ELNS0_20block_scan_algorithmE0ELj4294967295EEENS1_25partition_config_selectorILNS1_17partition_subalgoE3EjNS0_10empty_typeEbEEZZNS1_14partition_implILS8_3ELb0ES6_jNS0_17counting_iteratorIjlEEPS9_SE_NS0_5tupleIJPjSE_EEENSF_IJSE_SE_EEES9_SG_JZNS1_25segmented_radix_sort_implINS0_14default_configELb0EPKfPfPKlPlN2at6native12_GLOBAL__N_18offset_tEEE10hipError_tPvRmT1_PNSt15iterator_traitsISY_E10value_typeET2_T3_PNSZ_IS14_E10value_typeET4_jRbjT5_S1A_jjP12ihipStream_tbEUljE_EEESV_SW_SX_S14_S18_S1A_T6_T7_T9_mT8_S1C_bDpT10_ENKUlT_T0_E_clISt17integral_constantIbLb0EES1O_IbLb1EEEEDaS1K_S1L_EUlS1K_E_NS1_11comp_targetILNS1_3genE10ELNS1_11target_archE1200ELNS1_3gpuE4ELNS1_3repE0EEENS1_30default_config_static_selectorELNS0_4arch9wavefront6targetE1EEEvSY_,@function
_ZN7rocprim17ROCPRIM_400000_NS6detail17trampoline_kernelINS0_13select_configILj256ELj13ELNS0_17block_load_methodE3ELS4_3ELS4_3ELNS0_20block_scan_algorithmE0ELj4294967295EEENS1_25partition_config_selectorILNS1_17partition_subalgoE3EjNS0_10empty_typeEbEEZZNS1_14partition_implILS8_3ELb0ES6_jNS0_17counting_iteratorIjlEEPS9_SE_NS0_5tupleIJPjSE_EEENSF_IJSE_SE_EEES9_SG_JZNS1_25segmented_radix_sort_implINS0_14default_configELb0EPKfPfPKlPlN2at6native12_GLOBAL__N_18offset_tEEE10hipError_tPvRmT1_PNSt15iterator_traitsISY_E10value_typeET2_T3_PNSZ_IS14_E10value_typeET4_jRbjT5_S1A_jjP12ihipStream_tbEUljE_EEESV_SW_SX_S14_S18_S1A_T6_T7_T9_mT8_S1C_bDpT10_ENKUlT_T0_E_clISt17integral_constantIbLb0EES1O_IbLb1EEEEDaS1K_S1L_EUlS1K_E_NS1_11comp_targetILNS1_3genE10ELNS1_11target_archE1200ELNS1_3gpuE4ELNS1_3repE0EEENS1_30default_config_static_selectorELNS0_4arch9wavefront6targetE1EEEvSY_: ; @_ZN7rocprim17ROCPRIM_400000_NS6detail17trampoline_kernelINS0_13select_configILj256ELj13ELNS0_17block_load_methodE3ELS4_3ELS4_3ELNS0_20block_scan_algorithmE0ELj4294967295EEENS1_25partition_config_selectorILNS1_17partition_subalgoE3EjNS0_10empty_typeEbEEZZNS1_14partition_implILS8_3ELb0ES6_jNS0_17counting_iteratorIjlEEPS9_SE_NS0_5tupleIJPjSE_EEENSF_IJSE_SE_EEES9_SG_JZNS1_25segmented_radix_sort_implINS0_14default_configELb0EPKfPfPKlPlN2at6native12_GLOBAL__N_18offset_tEEE10hipError_tPvRmT1_PNSt15iterator_traitsISY_E10value_typeET2_T3_PNSZ_IS14_E10value_typeET4_jRbjT5_S1A_jjP12ihipStream_tbEUljE_EEESV_SW_SX_S14_S18_S1A_T6_T7_T9_mT8_S1C_bDpT10_ENKUlT_T0_E_clISt17integral_constantIbLb0EES1O_IbLb1EEEEDaS1K_S1L_EUlS1K_E_NS1_11comp_targetILNS1_3genE10ELNS1_11target_archE1200ELNS1_3gpuE4ELNS1_3repE0EEENS1_30default_config_static_selectorELNS0_4arch9wavefront6targetE1EEEvSY_
; %bb.0:
	.section	.rodata,"a",@progbits
	.p2align	6, 0x0
	.amdhsa_kernel _ZN7rocprim17ROCPRIM_400000_NS6detail17trampoline_kernelINS0_13select_configILj256ELj13ELNS0_17block_load_methodE3ELS4_3ELS4_3ELNS0_20block_scan_algorithmE0ELj4294967295EEENS1_25partition_config_selectorILNS1_17partition_subalgoE3EjNS0_10empty_typeEbEEZZNS1_14partition_implILS8_3ELb0ES6_jNS0_17counting_iteratorIjlEEPS9_SE_NS0_5tupleIJPjSE_EEENSF_IJSE_SE_EEES9_SG_JZNS1_25segmented_radix_sort_implINS0_14default_configELb0EPKfPfPKlPlN2at6native12_GLOBAL__N_18offset_tEEE10hipError_tPvRmT1_PNSt15iterator_traitsISY_E10value_typeET2_T3_PNSZ_IS14_E10value_typeET4_jRbjT5_S1A_jjP12ihipStream_tbEUljE_EEESV_SW_SX_S14_S18_S1A_T6_T7_T9_mT8_S1C_bDpT10_ENKUlT_T0_E_clISt17integral_constantIbLb0EES1O_IbLb1EEEEDaS1K_S1L_EUlS1K_E_NS1_11comp_targetILNS1_3genE10ELNS1_11target_archE1200ELNS1_3gpuE4ELNS1_3repE0EEENS1_30default_config_static_selectorELNS0_4arch9wavefront6targetE1EEEvSY_
		.amdhsa_group_segment_fixed_size 0
		.amdhsa_private_segment_fixed_size 0
		.amdhsa_kernarg_size 152
		.amdhsa_user_sgpr_count 6
		.amdhsa_user_sgpr_private_segment_buffer 1
		.amdhsa_user_sgpr_dispatch_ptr 0
		.amdhsa_user_sgpr_queue_ptr 0
		.amdhsa_user_sgpr_kernarg_segment_ptr 1
		.amdhsa_user_sgpr_dispatch_id 0
		.amdhsa_user_sgpr_flat_scratch_init 0
		.amdhsa_user_sgpr_kernarg_preload_length 0
		.amdhsa_user_sgpr_kernarg_preload_offset 0
		.amdhsa_user_sgpr_private_segment_size 0
		.amdhsa_uses_dynamic_stack 0
		.amdhsa_system_sgpr_private_segment_wavefront_offset 0
		.amdhsa_system_sgpr_workgroup_id_x 1
		.amdhsa_system_sgpr_workgroup_id_y 0
		.amdhsa_system_sgpr_workgroup_id_z 0
		.amdhsa_system_sgpr_workgroup_info 0
		.amdhsa_system_vgpr_workitem_id 0
		.amdhsa_next_free_vgpr 1
		.amdhsa_next_free_sgpr 0
		.amdhsa_accum_offset 4
		.amdhsa_reserve_vcc 0
		.amdhsa_reserve_flat_scratch 0
		.amdhsa_float_round_mode_32 0
		.amdhsa_float_round_mode_16_64 0
		.amdhsa_float_denorm_mode_32 3
		.amdhsa_float_denorm_mode_16_64 3
		.amdhsa_dx10_clamp 1
		.amdhsa_ieee_mode 1
		.amdhsa_fp16_overflow 0
		.amdhsa_tg_split 0
		.amdhsa_exception_fp_ieee_invalid_op 0
		.amdhsa_exception_fp_denorm_src 0
		.amdhsa_exception_fp_ieee_div_zero 0
		.amdhsa_exception_fp_ieee_overflow 0
		.amdhsa_exception_fp_ieee_underflow 0
		.amdhsa_exception_fp_ieee_inexact 0
		.amdhsa_exception_int_div_zero 0
	.end_amdhsa_kernel
	.section	.text._ZN7rocprim17ROCPRIM_400000_NS6detail17trampoline_kernelINS0_13select_configILj256ELj13ELNS0_17block_load_methodE3ELS4_3ELS4_3ELNS0_20block_scan_algorithmE0ELj4294967295EEENS1_25partition_config_selectorILNS1_17partition_subalgoE3EjNS0_10empty_typeEbEEZZNS1_14partition_implILS8_3ELb0ES6_jNS0_17counting_iteratorIjlEEPS9_SE_NS0_5tupleIJPjSE_EEENSF_IJSE_SE_EEES9_SG_JZNS1_25segmented_radix_sort_implINS0_14default_configELb0EPKfPfPKlPlN2at6native12_GLOBAL__N_18offset_tEEE10hipError_tPvRmT1_PNSt15iterator_traitsISY_E10value_typeET2_T3_PNSZ_IS14_E10value_typeET4_jRbjT5_S1A_jjP12ihipStream_tbEUljE_EEESV_SW_SX_S14_S18_S1A_T6_T7_T9_mT8_S1C_bDpT10_ENKUlT_T0_E_clISt17integral_constantIbLb0EES1O_IbLb1EEEEDaS1K_S1L_EUlS1K_E_NS1_11comp_targetILNS1_3genE10ELNS1_11target_archE1200ELNS1_3gpuE4ELNS1_3repE0EEENS1_30default_config_static_selectorELNS0_4arch9wavefront6targetE1EEEvSY_,"axG",@progbits,_ZN7rocprim17ROCPRIM_400000_NS6detail17trampoline_kernelINS0_13select_configILj256ELj13ELNS0_17block_load_methodE3ELS4_3ELS4_3ELNS0_20block_scan_algorithmE0ELj4294967295EEENS1_25partition_config_selectorILNS1_17partition_subalgoE3EjNS0_10empty_typeEbEEZZNS1_14partition_implILS8_3ELb0ES6_jNS0_17counting_iteratorIjlEEPS9_SE_NS0_5tupleIJPjSE_EEENSF_IJSE_SE_EEES9_SG_JZNS1_25segmented_radix_sort_implINS0_14default_configELb0EPKfPfPKlPlN2at6native12_GLOBAL__N_18offset_tEEE10hipError_tPvRmT1_PNSt15iterator_traitsISY_E10value_typeET2_T3_PNSZ_IS14_E10value_typeET4_jRbjT5_S1A_jjP12ihipStream_tbEUljE_EEESV_SW_SX_S14_S18_S1A_T6_T7_T9_mT8_S1C_bDpT10_ENKUlT_T0_E_clISt17integral_constantIbLb0EES1O_IbLb1EEEEDaS1K_S1L_EUlS1K_E_NS1_11comp_targetILNS1_3genE10ELNS1_11target_archE1200ELNS1_3gpuE4ELNS1_3repE0EEENS1_30default_config_static_selectorELNS0_4arch9wavefront6targetE1EEEvSY_,comdat
.Lfunc_end1423:
	.size	_ZN7rocprim17ROCPRIM_400000_NS6detail17trampoline_kernelINS0_13select_configILj256ELj13ELNS0_17block_load_methodE3ELS4_3ELS4_3ELNS0_20block_scan_algorithmE0ELj4294967295EEENS1_25partition_config_selectorILNS1_17partition_subalgoE3EjNS0_10empty_typeEbEEZZNS1_14partition_implILS8_3ELb0ES6_jNS0_17counting_iteratorIjlEEPS9_SE_NS0_5tupleIJPjSE_EEENSF_IJSE_SE_EEES9_SG_JZNS1_25segmented_radix_sort_implINS0_14default_configELb0EPKfPfPKlPlN2at6native12_GLOBAL__N_18offset_tEEE10hipError_tPvRmT1_PNSt15iterator_traitsISY_E10value_typeET2_T3_PNSZ_IS14_E10value_typeET4_jRbjT5_S1A_jjP12ihipStream_tbEUljE_EEESV_SW_SX_S14_S18_S1A_T6_T7_T9_mT8_S1C_bDpT10_ENKUlT_T0_E_clISt17integral_constantIbLb0EES1O_IbLb1EEEEDaS1K_S1L_EUlS1K_E_NS1_11comp_targetILNS1_3genE10ELNS1_11target_archE1200ELNS1_3gpuE4ELNS1_3repE0EEENS1_30default_config_static_selectorELNS0_4arch9wavefront6targetE1EEEvSY_, .Lfunc_end1423-_ZN7rocprim17ROCPRIM_400000_NS6detail17trampoline_kernelINS0_13select_configILj256ELj13ELNS0_17block_load_methodE3ELS4_3ELS4_3ELNS0_20block_scan_algorithmE0ELj4294967295EEENS1_25partition_config_selectorILNS1_17partition_subalgoE3EjNS0_10empty_typeEbEEZZNS1_14partition_implILS8_3ELb0ES6_jNS0_17counting_iteratorIjlEEPS9_SE_NS0_5tupleIJPjSE_EEENSF_IJSE_SE_EEES9_SG_JZNS1_25segmented_radix_sort_implINS0_14default_configELb0EPKfPfPKlPlN2at6native12_GLOBAL__N_18offset_tEEE10hipError_tPvRmT1_PNSt15iterator_traitsISY_E10value_typeET2_T3_PNSZ_IS14_E10value_typeET4_jRbjT5_S1A_jjP12ihipStream_tbEUljE_EEESV_SW_SX_S14_S18_S1A_T6_T7_T9_mT8_S1C_bDpT10_ENKUlT_T0_E_clISt17integral_constantIbLb0EES1O_IbLb1EEEEDaS1K_S1L_EUlS1K_E_NS1_11comp_targetILNS1_3genE10ELNS1_11target_archE1200ELNS1_3gpuE4ELNS1_3repE0EEENS1_30default_config_static_selectorELNS0_4arch9wavefront6targetE1EEEvSY_
                                        ; -- End function
	.section	.AMDGPU.csdata,"",@progbits
; Kernel info:
; codeLenInByte = 0
; NumSgprs: 4
; NumVgprs: 0
; NumAgprs: 0
; TotalNumVgprs: 0
; ScratchSize: 0
; MemoryBound: 0
; FloatMode: 240
; IeeeMode: 1
; LDSByteSize: 0 bytes/workgroup (compile time only)
; SGPRBlocks: 0
; VGPRBlocks: 0
; NumSGPRsForWavesPerEU: 4
; NumVGPRsForWavesPerEU: 1
; AccumOffset: 4
; Occupancy: 8
; WaveLimiterHint : 0
; COMPUTE_PGM_RSRC2:SCRATCH_EN: 0
; COMPUTE_PGM_RSRC2:USER_SGPR: 6
; COMPUTE_PGM_RSRC2:TRAP_HANDLER: 0
; COMPUTE_PGM_RSRC2:TGID_X_EN: 1
; COMPUTE_PGM_RSRC2:TGID_Y_EN: 0
; COMPUTE_PGM_RSRC2:TGID_Z_EN: 0
; COMPUTE_PGM_RSRC2:TIDIG_COMP_CNT: 0
; COMPUTE_PGM_RSRC3_GFX90A:ACCUM_OFFSET: 0
; COMPUTE_PGM_RSRC3_GFX90A:TG_SPLIT: 0
	.section	.text._ZN7rocprim17ROCPRIM_400000_NS6detail17trampoline_kernelINS0_13select_configILj256ELj13ELNS0_17block_load_methodE3ELS4_3ELS4_3ELNS0_20block_scan_algorithmE0ELj4294967295EEENS1_25partition_config_selectorILNS1_17partition_subalgoE3EjNS0_10empty_typeEbEEZZNS1_14partition_implILS8_3ELb0ES6_jNS0_17counting_iteratorIjlEEPS9_SE_NS0_5tupleIJPjSE_EEENSF_IJSE_SE_EEES9_SG_JZNS1_25segmented_radix_sort_implINS0_14default_configELb0EPKfPfPKlPlN2at6native12_GLOBAL__N_18offset_tEEE10hipError_tPvRmT1_PNSt15iterator_traitsISY_E10value_typeET2_T3_PNSZ_IS14_E10value_typeET4_jRbjT5_S1A_jjP12ihipStream_tbEUljE_EEESV_SW_SX_S14_S18_S1A_T6_T7_T9_mT8_S1C_bDpT10_ENKUlT_T0_E_clISt17integral_constantIbLb0EES1O_IbLb1EEEEDaS1K_S1L_EUlS1K_E_NS1_11comp_targetILNS1_3genE9ELNS1_11target_archE1100ELNS1_3gpuE3ELNS1_3repE0EEENS1_30default_config_static_selectorELNS0_4arch9wavefront6targetE1EEEvSY_,"axG",@progbits,_ZN7rocprim17ROCPRIM_400000_NS6detail17trampoline_kernelINS0_13select_configILj256ELj13ELNS0_17block_load_methodE3ELS4_3ELS4_3ELNS0_20block_scan_algorithmE0ELj4294967295EEENS1_25partition_config_selectorILNS1_17partition_subalgoE3EjNS0_10empty_typeEbEEZZNS1_14partition_implILS8_3ELb0ES6_jNS0_17counting_iteratorIjlEEPS9_SE_NS0_5tupleIJPjSE_EEENSF_IJSE_SE_EEES9_SG_JZNS1_25segmented_radix_sort_implINS0_14default_configELb0EPKfPfPKlPlN2at6native12_GLOBAL__N_18offset_tEEE10hipError_tPvRmT1_PNSt15iterator_traitsISY_E10value_typeET2_T3_PNSZ_IS14_E10value_typeET4_jRbjT5_S1A_jjP12ihipStream_tbEUljE_EEESV_SW_SX_S14_S18_S1A_T6_T7_T9_mT8_S1C_bDpT10_ENKUlT_T0_E_clISt17integral_constantIbLb0EES1O_IbLb1EEEEDaS1K_S1L_EUlS1K_E_NS1_11comp_targetILNS1_3genE9ELNS1_11target_archE1100ELNS1_3gpuE3ELNS1_3repE0EEENS1_30default_config_static_selectorELNS0_4arch9wavefront6targetE1EEEvSY_,comdat
	.globl	_ZN7rocprim17ROCPRIM_400000_NS6detail17trampoline_kernelINS0_13select_configILj256ELj13ELNS0_17block_load_methodE3ELS4_3ELS4_3ELNS0_20block_scan_algorithmE0ELj4294967295EEENS1_25partition_config_selectorILNS1_17partition_subalgoE3EjNS0_10empty_typeEbEEZZNS1_14partition_implILS8_3ELb0ES6_jNS0_17counting_iteratorIjlEEPS9_SE_NS0_5tupleIJPjSE_EEENSF_IJSE_SE_EEES9_SG_JZNS1_25segmented_radix_sort_implINS0_14default_configELb0EPKfPfPKlPlN2at6native12_GLOBAL__N_18offset_tEEE10hipError_tPvRmT1_PNSt15iterator_traitsISY_E10value_typeET2_T3_PNSZ_IS14_E10value_typeET4_jRbjT5_S1A_jjP12ihipStream_tbEUljE_EEESV_SW_SX_S14_S18_S1A_T6_T7_T9_mT8_S1C_bDpT10_ENKUlT_T0_E_clISt17integral_constantIbLb0EES1O_IbLb1EEEEDaS1K_S1L_EUlS1K_E_NS1_11comp_targetILNS1_3genE9ELNS1_11target_archE1100ELNS1_3gpuE3ELNS1_3repE0EEENS1_30default_config_static_selectorELNS0_4arch9wavefront6targetE1EEEvSY_ ; -- Begin function _ZN7rocprim17ROCPRIM_400000_NS6detail17trampoline_kernelINS0_13select_configILj256ELj13ELNS0_17block_load_methodE3ELS4_3ELS4_3ELNS0_20block_scan_algorithmE0ELj4294967295EEENS1_25partition_config_selectorILNS1_17partition_subalgoE3EjNS0_10empty_typeEbEEZZNS1_14partition_implILS8_3ELb0ES6_jNS0_17counting_iteratorIjlEEPS9_SE_NS0_5tupleIJPjSE_EEENSF_IJSE_SE_EEES9_SG_JZNS1_25segmented_radix_sort_implINS0_14default_configELb0EPKfPfPKlPlN2at6native12_GLOBAL__N_18offset_tEEE10hipError_tPvRmT1_PNSt15iterator_traitsISY_E10value_typeET2_T3_PNSZ_IS14_E10value_typeET4_jRbjT5_S1A_jjP12ihipStream_tbEUljE_EEESV_SW_SX_S14_S18_S1A_T6_T7_T9_mT8_S1C_bDpT10_ENKUlT_T0_E_clISt17integral_constantIbLb0EES1O_IbLb1EEEEDaS1K_S1L_EUlS1K_E_NS1_11comp_targetILNS1_3genE9ELNS1_11target_archE1100ELNS1_3gpuE3ELNS1_3repE0EEENS1_30default_config_static_selectorELNS0_4arch9wavefront6targetE1EEEvSY_
	.p2align	8
	.type	_ZN7rocprim17ROCPRIM_400000_NS6detail17trampoline_kernelINS0_13select_configILj256ELj13ELNS0_17block_load_methodE3ELS4_3ELS4_3ELNS0_20block_scan_algorithmE0ELj4294967295EEENS1_25partition_config_selectorILNS1_17partition_subalgoE3EjNS0_10empty_typeEbEEZZNS1_14partition_implILS8_3ELb0ES6_jNS0_17counting_iteratorIjlEEPS9_SE_NS0_5tupleIJPjSE_EEENSF_IJSE_SE_EEES9_SG_JZNS1_25segmented_radix_sort_implINS0_14default_configELb0EPKfPfPKlPlN2at6native12_GLOBAL__N_18offset_tEEE10hipError_tPvRmT1_PNSt15iterator_traitsISY_E10value_typeET2_T3_PNSZ_IS14_E10value_typeET4_jRbjT5_S1A_jjP12ihipStream_tbEUljE_EEESV_SW_SX_S14_S18_S1A_T6_T7_T9_mT8_S1C_bDpT10_ENKUlT_T0_E_clISt17integral_constantIbLb0EES1O_IbLb1EEEEDaS1K_S1L_EUlS1K_E_NS1_11comp_targetILNS1_3genE9ELNS1_11target_archE1100ELNS1_3gpuE3ELNS1_3repE0EEENS1_30default_config_static_selectorELNS0_4arch9wavefront6targetE1EEEvSY_,@function
_ZN7rocprim17ROCPRIM_400000_NS6detail17trampoline_kernelINS0_13select_configILj256ELj13ELNS0_17block_load_methodE3ELS4_3ELS4_3ELNS0_20block_scan_algorithmE0ELj4294967295EEENS1_25partition_config_selectorILNS1_17partition_subalgoE3EjNS0_10empty_typeEbEEZZNS1_14partition_implILS8_3ELb0ES6_jNS0_17counting_iteratorIjlEEPS9_SE_NS0_5tupleIJPjSE_EEENSF_IJSE_SE_EEES9_SG_JZNS1_25segmented_radix_sort_implINS0_14default_configELb0EPKfPfPKlPlN2at6native12_GLOBAL__N_18offset_tEEE10hipError_tPvRmT1_PNSt15iterator_traitsISY_E10value_typeET2_T3_PNSZ_IS14_E10value_typeET4_jRbjT5_S1A_jjP12ihipStream_tbEUljE_EEESV_SW_SX_S14_S18_S1A_T6_T7_T9_mT8_S1C_bDpT10_ENKUlT_T0_E_clISt17integral_constantIbLb0EES1O_IbLb1EEEEDaS1K_S1L_EUlS1K_E_NS1_11comp_targetILNS1_3genE9ELNS1_11target_archE1100ELNS1_3gpuE3ELNS1_3repE0EEENS1_30default_config_static_selectorELNS0_4arch9wavefront6targetE1EEEvSY_: ; @_ZN7rocprim17ROCPRIM_400000_NS6detail17trampoline_kernelINS0_13select_configILj256ELj13ELNS0_17block_load_methodE3ELS4_3ELS4_3ELNS0_20block_scan_algorithmE0ELj4294967295EEENS1_25partition_config_selectorILNS1_17partition_subalgoE3EjNS0_10empty_typeEbEEZZNS1_14partition_implILS8_3ELb0ES6_jNS0_17counting_iteratorIjlEEPS9_SE_NS0_5tupleIJPjSE_EEENSF_IJSE_SE_EEES9_SG_JZNS1_25segmented_radix_sort_implINS0_14default_configELb0EPKfPfPKlPlN2at6native12_GLOBAL__N_18offset_tEEE10hipError_tPvRmT1_PNSt15iterator_traitsISY_E10value_typeET2_T3_PNSZ_IS14_E10value_typeET4_jRbjT5_S1A_jjP12ihipStream_tbEUljE_EEESV_SW_SX_S14_S18_S1A_T6_T7_T9_mT8_S1C_bDpT10_ENKUlT_T0_E_clISt17integral_constantIbLb0EES1O_IbLb1EEEEDaS1K_S1L_EUlS1K_E_NS1_11comp_targetILNS1_3genE9ELNS1_11target_archE1100ELNS1_3gpuE3ELNS1_3repE0EEENS1_30default_config_static_selectorELNS0_4arch9wavefront6targetE1EEEvSY_
; %bb.0:
	.section	.rodata,"a",@progbits
	.p2align	6, 0x0
	.amdhsa_kernel _ZN7rocprim17ROCPRIM_400000_NS6detail17trampoline_kernelINS0_13select_configILj256ELj13ELNS0_17block_load_methodE3ELS4_3ELS4_3ELNS0_20block_scan_algorithmE0ELj4294967295EEENS1_25partition_config_selectorILNS1_17partition_subalgoE3EjNS0_10empty_typeEbEEZZNS1_14partition_implILS8_3ELb0ES6_jNS0_17counting_iteratorIjlEEPS9_SE_NS0_5tupleIJPjSE_EEENSF_IJSE_SE_EEES9_SG_JZNS1_25segmented_radix_sort_implINS0_14default_configELb0EPKfPfPKlPlN2at6native12_GLOBAL__N_18offset_tEEE10hipError_tPvRmT1_PNSt15iterator_traitsISY_E10value_typeET2_T3_PNSZ_IS14_E10value_typeET4_jRbjT5_S1A_jjP12ihipStream_tbEUljE_EEESV_SW_SX_S14_S18_S1A_T6_T7_T9_mT8_S1C_bDpT10_ENKUlT_T0_E_clISt17integral_constantIbLb0EES1O_IbLb1EEEEDaS1K_S1L_EUlS1K_E_NS1_11comp_targetILNS1_3genE9ELNS1_11target_archE1100ELNS1_3gpuE3ELNS1_3repE0EEENS1_30default_config_static_selectorELNS0_4arch9wavefront6targetE1EEEvSY_
		.amdhsa_group_segment_fixed_size 0
		.amdhsa_private_segment_fixed_size 0
		.amdhsa_kernarg_size 152
		.amdhsa_user_sgpr_count 6
		.amdhsa_user_sgpr_private_segment_buffer 1
		.amdhsa_user_sgpr_dispatch_ptr 0
		.amdhsa_user_sgpr_queue_ptr 0
		.amdhsa_user_sgpr_kernarg_segment_ptr 1
		.amdhsa_user_sgpr_dispatch_id 0
		.amdhsa_user_sgpr_flat_scratch_init 0
		.amdhsa_user_sgpr_kernarg_preload_length 0
		.amdhsa_user_sgpr_kernarg_preload_offset 0
		.amdhsa_user_sgpr_private_segment_size 0
		.amdhsa_uses_dynamic_stack 0
		.amdhsa_system_sgpr_private_segment_wavefront_offset 0
		.amdhsa_system_sgpr_workgroup_id_x 1
		.amdhsa_system_sgpr_workgroup_id_y 0
		.amdhsa_system_sgpr_workgroup_id_z 0
		.amdhsa_system_sgpr_workgroup_info 0
		.amdhsa_system_vgpr_workitem_id 0
		.amdhsa_next_free_vgpr 1
		.amdhsa_next_free_sgpr 0
		.amdhsa_accum_offset 4
		.amdhsa_reserve_vcc 0
		.amdhsa_reserve_flat_scratch 0
		.amdhsa_float_round_mode_32 0
		.amdhsa_float_round_mode_16_64 0
		.amdhsa_float_denorm_mode_32 3
		.amdhsa_float_denorm_mode_16_64 3
		.amdhsa_dx10_clamp 1
		.amdhsa_ieee_mode 1
		.amdhsa_fp16_overflow 0
		.amdhsa_tg_split 0
		.amdhsa_exception_fp_ieee_invalid_op 0
		.amdhsa_exception_fp_denorm_src 0
		.amdhsa_exception_fp_ieee_div_zero 0
		.amdhsa_exception_fp_ieee_overflow 0
		.amdhsa_exception_fp_ieee_underflow 0
		.amdhsa_exception_fp_ieee_inexact 0
		.amdhsa_exception_int_div_zero 0
	.end_amdhsa_kernel
	.section	.text._ZN7rocprim17ROCPRIM_400000_NS6detail17trampoline_kernelINS0_13select_configILj256ELj13ELNS0_17block_load_methodE3ELS4_3ELS4_3ELNS0_20block_scan_algorithmE0ELj4294967295EEENS1_25partition_config_selectorILNS1_17partition_subalgoE3EjNS0_10empty_typeEbEEZZNS1_14partition_implILS8_3ELb0ES6_jNS0_17counting_iteratorIjlEEPS9_SE_NS0_5tupleIJPjSE_EEENSF_IJSE_SE_EEES9_SG_JZNS1_25segmented_radix_sort_implINS0_14default_configELb0EPKfPfPKlPlN2at6native12_GLOBAL__N_18offset_tEEE10hipError_tPvRmT1_PNSt15iterator_traitsISY_E10value_typeET2_T3_PNSZ_IS14_E10value_typeET4_jRbjT5_S1A_jjP12ihipStream_tbEUljE_EEESV_SW_SX_S14_S18_S1A_T6_T7_T9_mT8_S1C_bDpT10_ENKUlT_T0_E_clISt17integral_constantIbLb0EES1O_IbLb1EEEEDaS1K_S1L_EUlS1K_E_NS1_11comp_targetILNS1_3genE9ELNS1_11target_archE1100ELNS1_3gpuE3ELNS1_3repE0EEENS1_30default_config_static_selectorELNS0_4arch9wavefront6targetE1EEEvSY_,"axG",@progbits,_ZN7rocprim17ROCPRIM_400000_NS6detail17trampoline_kernelINS0_13select_configILj256ELj13ELNS0_17block_load_methodE3ELS4_3ELS4_3ELNS0_20block_scan_algorithmE0ELj4294967295EEENS1_25partition_config_selectorILNS1_17partition_subalgoE3EjNS0_10empty_typeEbEEZZNS1_14partition_implILS8_3ELb0ES6_jNS0_17counting_iteratorIjlEEPS9_SE_NS0_5tupleIJPjSE_EEENSF_IJSE_SE_EEES9_SG_JZNS1_25segmented_radix_sort_implINS0_14default_configELb0EPKfPfPKlPlN2at6native12_GLOBAL__N_18offset_tEEE10hipError_tPvRmT1_PNSt15iterator_traitsISY_E10value_typeET2_T3_PNSZ_IS14_E10value_typeET4_jRbjT5_S1A_jjP12ihipStream_tbEUljE_EEESV_SW_SX_S14_S18_S1A_T6_T7_T9_mT8_S1C_bDpT10_ENKUlT_T0_E_clISt17integral_constantIbLb0EES1O_IbLb1EEEEDaS1K_S1L_EUlS1K_E_NS1_11comp_targetILNS1_3genE9ELNS1_11target_archE1100ELNS1_3gpuE3ELNS1_3repE0EEENS1_30default_config_static_selectorELNS0_4arch9wavefront6targetE1EEEvSY_,comdat
.Lfunc_end1424:
	.size	_ZN7rocprim17ROCPRIM_400000_NS6detail17trampoline_kernelINS0_13select_configILj256ELj13ELNS0_17block_load_methodE3ELS4_3ELS4_3ELNS0_20block_scan_algorithmE0ELj4294967295EEENS1_25partition_config_selectorILNS1_17partition_subalgoE3EjNS0_10empty_typeEbEEZZNS1_14partition_implILS8_3ELb0ES6_jNS0_17counting_iteratorIjlEEPS9_SE_NS0_5tupleIJPjSE_EEENSF_IJSE_SE_EEES9_SG_JZNS1_25segmented_radix_sort_implINS0_14default_configELb0EPKfPfPKlPlN2at6native12_GLOBAL__N_18offset_tEEE10hipError_tPvRmT1_PNSt15iterator_traitsISY_E10value_typeET2_T3_PNSZ_IS14_E10value_typeET4_jRbjT5_S1A_jjP12ihipStream_tbEUljE_EEESV_SW_SX_S14_S18_S1A_T6_T7_T9_mT8_S1C_bDpT10_ENKUlT_T0_E_clISt17integral_constantIbLb0EES1O_IbLb1EEEEDaS1K_S1L_EUlS1K_E_NS1_11comp_targetILNS1_3genE9ELNS1_11target_archE1100ELNS1_3gpuE3ELNS1_3repE0EEENS1_30default_config_static_selectorELNS0_4arch9wavefront6targetE1EEEvSY_, .Lfunc_end1424-_ZN7rocprim17ROCPRIM_400000_NS6detail17trampoline_kernelINS0_13select_configILj256ELj13ELNS0_17block_load_methodE3ELS4_3ELS4_3ELNS0_20block_scan_algorithmE0ELj4294967295EEENS1_25partition_config_selectorILNS1_17partition_subalgoE3EjNS0_10empty_typeEbEEZZNS1_14partition_implILS8_3ELb0ES6_jNS0_17counting_iteratorIjlEEPS9_SE_NS0_5tupleIJPjSE_EEENSF_IJSE_SE_EEES9_SG_JZNS1_25segmented_radix_sort_implINS0_14default_configELb0EPKfPfPKlPlN2at6native12_GLOBAL__N_18offset_tEEE10hipError_tPvRmT1_PNSt15iterator_traitsISY_E10value_typeET2_T3_PNSZ_IS14_E10value_typeET4_jRbjT5_S1A_jjP12ihipStream_tbEUljE_EEESV_SW_SX_S14_S18_S1A_T6_T7_T9_mT8_S1C_bDpT10_ENKUlT_T0_E_clISt17integral_constantIbLb0EES1O_IbLb1EEEEDaS1K_S1L_EUlS1K_E_NS1_11comp_targetILNS1_3genE9ELNS1_11target_archE1100ELNS1_3gpuE3ELNS1_3repE0EEENS1_30default_config_static_selectorELNS0_4arch9wavefront6targetE1EEEvSY_
                                        ; -- End function
	.section	.AMDGPU.csdata,"",@progbits
; Kernel info:
; codeLenInByte = 0
; NumSgprs: 4
; NumVgprs: 0
; NumAgprs: 0
; TotalNumVgprs: 0
; ScratchSize: 0
; MemoryBound: 0
; FloatMode: 240
; IeeeMode: 1
; LDSByteSize: 0 bytes/workgroup (compile time only)
; SGPRBlocks: 0
; VGPRBlocks: 0
; NumSGPRsForWavesPerEU: 4
; NumVGPRsForWavesPerEU: 1
; AccumOffset: 4
; Occupancy: 8
; WaveLimiterHint : 0
; COMPUTE_PGM_RSRC2:SCRATCH_EN: 0
; COMPUTE_PGM_RSRC2:USER_SGPR: 6
; COMPUTE_PGM_RSRC2:TRAP_HANDLER: 0
; COMPUTE_PGM_RSRC2:TGID_X_EN: 1
; COMPUTE_PGM_RSRC2:TGID_Y_EN: 0
; COMPUTE_PGM_RSRC2:TGID_Z_EN: 0
; COMPUTE_PGM_RSRC2:TIDIG_COMP_CNT: 0
; COMPUTE_PGM_RSRC3_GFX90A:ACCUM_OFFSET: 0
; COMPUTE_PGM_RSRC3_GFX90A:TG_SPLIT: 0
	.section	.text._ZN7rocprim17ROCPRIM_400000_NS6detail17trampoline_kernelINS0_13select_configILj256ELj13ELNS0_17block_load_methodE3ELS4_3ELS4_3ELNS0_20block_scan_algorithmE0ELj4294967295EEENS1_25partition_config_selectorILNS1_17partition_subalgoE3EjNS0_10empty_typeEbEEZZNS1_14partition_implILS8_3ELb0ES6_jNS0_17counting_iteratorIjlEEPS9_SE_NS0_5tupleIJPjSE_EEENSF_IJSE_SE_EEES9_SG_JZNS1_25segmented_radix_sort_implINS0_14default_configELb0EPKfPfPKlPlN2at6native12_GLOBAL__N_18offset_tEEE10hipError_tPvRmT1_PNSt15iterator_traitsISY_E10value_typeET2_T3_PNSZ_IS14_E10value_typeET4_jRbjT5_S1A_jjP12ihipStream_tbEUljE_EEESV_SW_SX_S14_S18_S1A_T6_T7_T9_mT8_S1C_bDpT10_ENKUlT_T0_E_clISt17integral_constantIbLb0EES1O_IbLb1EEEEDaS1K_S1L_EUlS1K_E_NS1_11comp_targetILNS1_3genE8ELNS1_11target_archE1030ELNS1_3gpuE2ELNS1_3repE0EEENS1_30default_config_static_selectorELNS0_4arch9wavefront6targetE1EEEvSY_,"axG",@progbits,_ZN7rocprim17ROCPRIM_400000_NS6detail17trampoline_kernelINS0_13select_configILj256ELj13ELNS0_17block_load_methodE3ELS4_3ELS4_3ELNS0_20block_scan_algorithmE0ELj4294967295EEENS1_25partition_config_selectorILNS1_17partition_subalgoE3EjNS0_10empty_typeEbEEZZNS1_14partition_implILS8_3ELb0ES6_jNS0_17counting_iteratorIjlEEPS9_SE_NS0_5tupleIJPjSE_EEENSF_IJSE_SE_EEES9_SG_JZNS1_25segmented_radix_sort_implINS0_14default_configELb0EPKfPfPKlPlN2at6native12_GLOBAL__N_18offset_tEEE10hipError_tPvRmT1_PNSt15iterator_traitsISY_E10value_typeET2_T3_PNSZ_IS14_E10value_typeET4_jRbjT5_S1A_jjP12ihipStream_tbEUljE_EEESV_SW_SX_S14_S18_S1A_T6_T7_T9_mT8_S1C_bDpT10_ENKUlT_T0_E_clISt17integral_constantIbLb0EES1O_IbLb1EEEEDaS1K_S1L_EUlS1K_E_NS1_11comp_targetILNS1_3genE8ELNS1_11target_archE1030ELNS1_3gpuE2ELNS1_3repE0EEENS1_30default_config_static_selectorELNS0_4arch9wavefront6targetE1EEEvSY_,comdat
	.globl	_ZN7rocprim17ROCPRIM_400000_NS6detail17trampoline_kernelINS0_13select_configILj256ELj13ELNS0_17block_load_methodE3ELS4_3ELS4_3ELNS0_20block_scan_algorithmE0ELj4294967295EEENS1_25partition_config_selectorILNS1_17partition_subalgoE3EjNS0_10empty_typeEbEEZZNS1_14partition_implILS8_3ELb0ES6_jNS0_17counting_iteratorIjlEEPS9_SE_NS0_5tupleIJPjSE_EEENSF_IJSE_SE_EEES9_SG_JZNS1_25segmented_radix_sort_implINS0_14default_configELb0EPKfPfPKlPlN2at6native12_GLOBAL__N_18offset_tEEE10hipError_tPvRmT1_PNSt15iterator_traitsISY_E10value_typeET2_T3_PNSZ_IS14_E10value_typeET4_jRbjT5_S1A_jjP12ihipStream_tbEUljE_EEESV_SW_SX_S14_S18_S1A_T6_T7_T9_mT8_S1C_bDpT10_ENKUlT_T0_E_clISt17integral_constantIbLb0EES1O_IbLb1EEEEDaS1K_S1L_EUlS1K_E_NS1_11comp_targetILNS1_3genE8ELNS1_11target_archE1030ELNS1_3gpuE2ELNS1_3repE0EEENS1_30default_config_static_selectorELNS0_4arch9wavefront6targetE1EEEvSY_ ; -- Begin function _ZN7rocprim17ROCPRIM_400000_NS6detail17trampoline_kernelINS0_13select_configILj256ELj13ELNS0_17block_load_methodE3ELS4_3ELS4_3ELNS0_20block_scan_algorithmE0ELj4294967295EEENS1_25partition_config_selectorILNS1_17partition_subalgoE3EjNS0_10empty_typeEbEEZZNS1_14partition_implILS8_3ELb0ES6_jNS0_17counting_iteratorIjlEEPS9_SE_NS0_5tupleIJPjSE_EEENSF_IJSE_SE_EEES9_SG_JZNS1_25segmented_radix_sort_implINS0_14default_configELb0EPKfPfPKlPlN2at6native12_GLOBAL__N_18offset_tEEE10hipError_tPvRmT1_PNSt15iterator_traitsISY_E10value_typeET2_T3_PNSZ_IS14_E10value_typeET4_jRbjT5_S1A_jjP12ihipStream_tbEUljE_EEESV_SW_SX_S14_S18_S1A_T6_T7_T9_mT8_S1C_bDpT10_ENKUlT_T0_E_clISt17integral_constantIbLb0EES1O_IbLb1EEEEDaS1K_S1L_EUlS1K_E_NS1_11comp_targetILNS1_3genE8ELNS1_11target_archE1030ELNS1_3gpuE2ELNS1_3repE0EEENS1_30default_config_static_selectorELNS0_4arch9wavefront6targetE1EEEvSY_
	.p2align	8
	.type	_ZN7rocprim17ROCPRIM_400000_NS6detail17trampoline_kernelINS0_13select_configILj256ELj13ELNS0_17block_load_methodE3ELS4_3ELS4_3ELNS0_20block_scan_algorithmE0ELj4294967295EEENS1_25partition_config_selectorILNS1_17partition_subalgoE3EjNS0_10empty_typeEbEEZZNS1_14partition_implILS8_3ELb0ES6_jNS0_17counting_iteratorIjlEEPS9_SE_NS0_5tupleIJPjSE_EEENSF_IJSE_SE_EEES9_SG_JZNS1_25segmented_radix_sort_implINS0_14default_configELb0EPKfPfPKlPlN2at6native12_GLOBAL__N_18offset_tEEE10hipError_tPvRmT1_PNSt15iterator_traitsISY_E10value_typeET2_T3_PNSZ_IS14_E10value_typeET4_jRbjT5_S1A_jjP12ihipStream_tbEUljE_EEESV_SW_SX_S14_S18_S1A_T6_T7_T9_mT8_S1C_bDpT10_ENKUlT_T0_E_clISt17integral_constantIbLb0EES1O_IbLb1EEEEDaS1K_S1L_EUlS1K_E_NS1_11comp_targetILNS1_3genE8ELNS1_11target_archE1030ELNS1_3gpuE2ELNS1_3repE0EEENS1_30default_config_static_selectorELNS0_4arch9wavefront6targetE1EEEvSY_,@function
_ZN7rocprim17ROCPRIM_400000_NS6detail17trampoline_kernelINS0_13select_configILj256ELj13ELNS0_17block_load_methodE3ELS4_3ELS4_3ELNS0_20block_scan_algorithmE0ELj4294967295EEENS1_25partition_config_selectorILNS1_17partition_subalgoE3EjNS0_10empty_typeEbEEZZNS1_14partition_implILS8_3ELb0ES6_jNS0_17counting_iteratorIjlEEPS9_SE_NS0_5tupleIJPjSE_EEENSF_IJSE_SE_EEES9_SG_JZNS1_25segmented_radix_sort_implINS0_14default_configELb0EPKfPfPKlPlN2at6native12_GLOBAL__N_18offset_tEEE10hipError_tPvRmT1_PNSt15iterator_traitsISY_E10value_typeET2_T3_PNSZ_IS14_E10value_typeET4_jRbjT5_S1A_jjP12ihipStream_tbEUljE_EEESV_SW_SX_S14_S18_S1A_T6_T7_T9_mT8_S1C_bDpT10_ENKUlT_T0_E_clISt17integral_constantIbLb0EES1O_IbLb1EEEEDaS1K_S1L_EUlS1K_E_NS1_11comp_targetILNS1_3genE8ELNS1_11target_archE1030ELNS1_3gpuE2ELNS1_3repE0EEENS1_30default_config_static_selectorELNS0_4arch9wavefront6targetE1EEEvSY_: ; @_ZN7rocprim17ROCPRIM_400000_NS6detail17trampoline_kernelINS0_13select_configILj256ELj13ELNS0_17block_load_methodE3ELS4_3ELS4_3ELNS0_20block_scan_algorithmE0ELj4294967295EEENS1_25partition_config_selectorILNS1_17partition_subalgoE3EjNS0_10empty_typeEbEEZZNS1_14partition_implILS8_3ELb0ES6_jNS0_17counting_iteratorIjlEEPS9_SE_NS0_5tupleIJPjSE_EEENSF_IJSE_SE_EEES9_SG_JZNS1_25segmented_radix_sort_implINS0_14default_configELb0EPKfPfPKlPlN2at6native12_GLOBAL__N_18offset_tEEE10hipError_tPvRmT1_PNSt15iterator_traitsISY_E10value_typeET2_T3_PNSZ_IS14_E10value_typeET4_jRbjT5_S1A_jjP12ihipStream_tbEUljE_EEESV_SW_SX_S14_S18_S1A_T6_T7_T9_mT8_S1C_bDpT10_ENKUlT_T0_E_clISt17integral_constantIbLb0EES1O_IbLb1EEEEDaS1K_S1L_EUlS1K_E_NS1_11comp_targetILNS1_3genE8ELNS1_11target_archE1030ELNS1_3gpuE2ELNS1_3repE0EEENS1_30default_config_static_selectorELNS0_4arch9wavefront6targetE1EEEvSY_
; %bb.0:
	.section	.rodata,"a",@progbits
	.p2align	6, 0x0
	.amdhsa_kernel _ZN7rocprim17ROCPRIM_400000_NS6detail17trampoline_kernelINS0_13select_configILj256ELj13ELNS0_17block_load_methodE3ELS4_3ELS4_3ELNS0_20block_scan_algorithmE0ELj4294967295EEENS1_25partition_config_selectorILNS1_17partition_subalgoE3EjNS0_10empty_typeEbEEZZNS1_14partition_implILS8_3ELb0ES6_jNS0_17counting_iteratorIjlEEPS9_SE_NS0_5tupleIJPjSE_EEENSF_IJSE_SE_EEES9_SG_JZNS1_25segmented_radix_sort_implINS0_14default_configELb0EPKfPfPKlPlN2at6native12_GLOBAL__N_18offset_tEEE10hipError_tPvRmT1_PNSt15iterator_traitsISY_E10value_typeET2_T3_PNSZ_IS14_E10value_typeET4_jRbjT5_S1A_jjP12ihipStream_tbEUljE_EEESV_SW_SX_S14_S18_S1A_T6_T7_T9_mT8_S1C_bDpT10_ENKUlT_T0_E_clISt17integral_constantIbLb0EES1O_IbLb1EEEEDaS1K_S1L_EUlS1K_E_NS1_11comp_targetILNS1_3genE8ELNS1_11target_archE1030ELNS1_3gpuE2ELNS1_3repE0EEENS1_30default_config_static_selectorELNS0_4arch9wavefront6targetE1EEEvSY_
		.amdhsa_group_segment_fixed_size 0
		.amdhsa_private_segment_fixed_size 0
		.amdhsa_kernarg_size 152
		.amdhsa_user_sgpr_count 6
		.amdhsa_user_sgpr_private_segment_buffer 1
		.amdhsa_user_sgpr_dispatch_ptr 0
		.amdhsa_user_sgpr_queue_ptr 0
		.amdhsa_user_sgpr_kernarg_segment_ptr 1
		.amdhsa_user_sgpr_dispatch_id 0
		.amdhsa_user_sgpr_flat_scratch_init 0
		.amdhsa_user_sgpr_kernarg_preload_length 0
		.amdhsa_user_sgpr_kernarg_preload_offset 0
		.amdhsa_user_sgpr_private_segment_size 0
		.amdhsa_uses_dynamic_stack 0
		.amdhsa_system_sgpr_private_segment_wavefront_offset 0
		.amdhsa_system_sgpr_workgroup_id_x 1
		.amdhsa_system_sgpr_workgroup_id_y 0
		.amdhsa_system_sgpr_workgroup_id_z 0
		.amdhsa_system_sgpr_workgroup_info 0
		.amdhsa_system_vgpr_workitem_id 0
		.amdhsa_next_free_vgpr 1
		.amdhsa_next_free_sgpr 0
		.amdhsa_accum_offset 4
		.amdhsa_reserve_vcc 0
		.amdhsa_reserve_flat_scratch 0
		.amdhsa_float_round_mode_32 0
		.amdhsa_float_round_mode_16_64 0
		.amdhsa_float_denorm_mode_32 3
		.amdhsa_float_denorm_mode_16_64 3
		.amdhsa_dx10_clamp 1
		.amdhsa_ieee_mode 1
		.amdhsa_fp16_overflow 0
		.amdhsa_tg_split 0
		.amdhsa_exception_fp_ieee_invalid_op 0
		.amdhsa_exception_fp_denorm_src 0
		.amdhsa_exception_fp_ieee_div_zero 0
		.amdhsa_exception_fp_ieee_overflow 0
		.amdhsa_exception_fp_ieee_underflow 0
		.amdhsa_exception_fp_ieee_inexact 0
		.amdhsa_exception_int_div_zero 0
	.end_amdhsa_kernel
	.section	.text._ZN7rocprim17ROCPRIM_400000_NS6detail17trampoline_kernelINS0_13select_configILj256ELj13ELNS0_17block_load_methodE3ELS4_3ELS4_3ELNS0_20block_scan_algorithmE0ELj4294967295EEENS1_25partition_config_selectorILNS1_17partition_subalgoE3EjNS0_10empty_typeEbEEZZNS1_14partition_implILS8_3ELb0ES6_jNS0_17counting_iteratorIjlEEPS9_SE_NS0_5tupleIJPjSE_EEENSF_IJSE_SE_EEES9_SG_JZNS1_25segmented_radix_sort_implINS0_14default_configELb0EPKfPfPKlPlN2at6native12_GLOBAL__N_18offset_tEEE10hipError_tPvRmT1_PNSt15iterator_traitsISY_E10value_typeET2_T3_PNSZ_IS14_E10value_typeET4_jRbjT5_S1A_jjP12ihipStream_tbEUljE_EEESV_SW_SX_S14_S18_S1A_T6_T7_T9_mT8_S1C_bDpT10_ENKUlT_T0_E_clISt17integral_constantIbLb0EES1O_IbLb1EEEEDaS1K_S1L_EUlS1K_E_NS1_11comp_targetILNS1_3genE8ELNS1_11target_archE1030ELNS1_3gpuE2ELNS1_3repE0EEENS1_30default_config_static_selectorELNS0_4arch9wavefront6targetE1EEEvSY_,"axG",@progbits,_ZN7rocprim17ROCPRIM_400000_NS6detail17trampoline_kernelINS0_13select_configILj256ELj13ELNS0_17block_load_methodE3ELS4_3ELS4_3ELNS0_20block_scan_algorithmE0ELj4294967295EEENS1_25partition_config_selectorILNS1_17partition_subalgoE3EjNS0_10empty_typeEbEEZZNS1_14partition_implILS8_3ELb0ES6_jNS0_17counting_iteratorIjlEEPS9_SE_NS0_5tupleIJPjSE_EEENSF_IJSE_SE_EEES9_SG_JZNS1_25segmented_radix_sort_implINS0_14default_configELb0EPKfPfPKlPlN2at6native12_GLOBAL__N_18offset_tEEE10hipError_tPvRmT1_PNSt15iterator_traitsISY_E10value_typeET2_T3_PNSZ_IS14_E10value_typeET4_jRbjT5_S1A_jjP12ihipStream_tbEUljE_EEESV_SW_SX_S14_S18_S1A_T6_T7_T9_mT8_S1C_bDpT10_ENKUlT_T0_E_clISt17integral_constantIbLb0EES1O_IbLb1EEEEDaS1K_S1L_EUlS1K_E_NS1_11comp_targetILNS1_3genE8ELNS1_11target_archE1030ELNS1_3gpuE2ELNS1_3repE0EEENS1_30default_config_static_selectorELNS0_4arch9wavefront6targetE1EEEvSY_,comdat
.Lfunc_end1425:
	.size	_ZN7rocprim17ROCPRIM_400000_NS6detail17trampoline_kernelINS0_13select_configILj256ELj13ELNS0_17block_load_methodE3ELS4_3ELS4_3ELNS0_20block_scan_algorithmE0ELj4294967295EEENS1_25partition_config_selectorILNS1_17partition_subalgoE3EjNS0_10empty_typeEbEEZZNS1_14partition_implILS8_3ELb0ES6_jNS0_17counting_iteratorIjlEEPS9_SE_NS0_5tupleIJPjSE_EEENSF_IJSE_SE_EEES9_SG_JZNS1_25segmented_radix_sort_implINS0_14default_configELb0EPKfPfPKlPlN2at6native12_GLOBAL__N_18offset_tEEE10hipError_tPvRmT1_PNSt15iterator_traitsISY_E10value_typeET2_T3_PNSZ_IS14_E10value_typeET4_jRbjT5_S1A_jjP12ihipStream_tbEUljE_EEESV_SW_SX_S14_S18_S1A_T6_T7_T9_mT8_S1C_bDpT10_ENKUlT_T0_E_clISt17integral_constantIbLb0EES1O_IbLb1EEEEDaS1K_S1L_EUlS1K_E_NS1_11comp_targetILNS1_3genE8ELNS1_11target_archE1030ELNS1_3gpuE2ELNS1_3repE0EEENS1_30default_config_static_selectorELNS0_4arch9wavefront6targetE1EEEvSY_, .Lfunc_end1425-_ZN7rocprim17ROCPRIM_400000_NS6detail17trampoline_kernelINS0_13select_configILj256ELj13ELNS0_17block_load_methodE3ELS4_3ELS4_3ELNS0_20block_scan_algorithmE0ELj4294967295EEENS1_25partition_config_selectorILNS1_17partition_subalgoE3EjNS0_10empty_typeEbEEZZNS1_14partition_implILS8_3ELb0ES6_jNS0_17counting_iteratorIjlEEPS9_SE_NS0_5tupleIJPjSE_EEENSF_IJSE_SE_EEES9_SG_JZNS1_25segmented_radix_sort_implINS0_14default_configELb0EPKfPfPKlPlN2at6native12_GLOBAL__N_18offset_tEEE10hipError_tPvRmT1_PNSt15iterator_traitsISY_E10value_typeET2_T3_PNSZ_IS14_E10value_typeET4_jRbjT5_S1A_jjP12ihipStream_tbEUljE_EEESV_SW_SX_S14_S18_S1A_T6_T7_T9_mT8_S1C_bDpT10_ENKUlT_T0_E_clISt17integral_constantIbLb0EES1O_IbLb1EEEEDaS1K_S1L_EUlS1K_E_NS1_11comp_targetILNS1_3genE8ELNS1_11target_archE1030ELNS1_3gpuE2ELNS1_3repE0EEENS1_30default_config_static_selectorELNS0_4arch9wavefront6targetE1EEEvSY_
                                        ; -- End function
	.section	.AMDGPU.csdata,"",@progbits
; Kernel info:
; codeLenInByte = 0
; NumSgprs: 4
; NumVgprs: 0
; NumAgprs: 0
; TotalNumVgprs: 0
; ScratchSize: 0
; MemoryBound: 0
; FloatMode: 240
; IeeeMode: 1
; LDSByteSize: 0 bytes/workgroup (compile time only)
; SGPRBlocks: 0
; VGPRBlocks: 0
; NumSGPRsForWavesPerEU: 4
; NumVGPRsForWavesPerEU: 1
; AccumOffset: 4
; Occupancy: 8
; WaveLimiterHint : 0
; COMPUTE_PGM_RSRC2:SCRATCH_EN: 0
; COMPUTE_PGM_RSRC2:USER_SGPR: 6
; COMPUTE_PGM_RSRC2:TRAP_HANDLER: 0
; COMPUTE_PGM_RSRC2:TGID_X_EN: 1
; COMPUTE_PGM_RSRC2:TGID_Y_EN: 0
; COMPUTE_PGM_RSRC2:TGID_Z_EN: 0
; COMPUTE_PGM_RSRC2:TIDIG_COMP_CNT: 0
; COMPUTE_PGM_RSRC3_GFX90A:ACCUM_OFFSET: 0
; COMPUTE_PGM_RSRC3_GFX90A:TG_SPLIT: 0
	.section	.text._ZN7rocprim17ROCPRIM_400000_NS6detail17trampoline_kernelINS0_14default_configENS1_36segmented_radix_sort_config_selectorIflEEZNS1_25segmented_radix_sort_implIS3_Lb0EPKfPfPKlPlN2at6native12_GLOBAL__N_18offset_tEEE10hipError_tPvRmT1_PNSt15iterator_traitsISK_E10value_typeET2_T3_PNSL_ISQ_E10value_typeET4_jRbjT5_SW_jjP12ihipStream_tbEUlT_E_NS1_11comp_targetILNS1_3genE0ELNS1_11target_archE4294967295ELNS1_3gpuE0ELNS1_3repE0EEENS1_30default_config_static_selectorELNS0_4arch9wavefront6targetE1EEEvSK_,"axG",@progbits,_ZN7rocprim17ROCPRIM_400000_NS6detail17trampoline_kernelINS0_14default_configENS1_36segmented_radix_sort_config_selectorIflEEZNS1_25segmented_radix_sort_implIS3_Lb0EPKfPfPKlPlN2at6native12_GLOBAL__N_18offset_tEEE10hipError_tPvRmT1_PNSt15iterator_traitsISK_E10value_typeET2_T3_PNSL_ISQ_E10value_typeET4_jRbjT5_SW_jjP12ihipStream_tbEUlT_E_NS1_11comp_targetILNS1_3genE0ELNS1_11target_archE4294967295ELNS1_3gpuE0ELNS1_3repE0EEENS1_30default_config_static_selectorELNS0_4arch9wavefront6targetE1EEEvSK_,comdat
	.globl	_ZN7rocprim17ROCPRIM_400000_NS6detail17trampoline_kernelINS0_14default_configENS1_36segmented_radix_sort_config_selectorIflEEZNS1_25segmented_radix_sort_implIS3_Lb0EPKfPfPKlPlN2at6native12_GLOBAL__N_18offset_tEEE10hipError_tPvRmT1_PNSt15iterator_traitsISK_E10value_typeET2_T3_PNSL_ISQ_E10value_typeET4_jRbjT5_SW_jjP12ihipStream_tbEUlT_E_NS1_11comp_targetILNS1_3genE0ELNS1_11target_archE4294967295ELNS1_3gpuE0ELNS1_3repE0EEENS1_30default_config_static_selectorELNS0_4arch9wavefront6targetE1EEEvSK_ ; -- Begin function _ZN7rocprim17ROCPRIM_400000_NS6detail17trampoline_kernelINS0_14default_configENS1_36segmented_radix_sort_config_selectorIflEEZNS1_25segmented_radix_sort_implIS3_Lb0EPKfPfPKlPlN2at6native12_GLOBAL__N_18offset_tEEE10hipError_tPvRmT1_PNSt15iterator_traitsISK_E10value_typeET2_T3_PNSL_ISQ_E10value_typeET4_jRbjT5_SW_jjP12ihipStream_tbEUlT_E_NS1_11comp_targetILNS1_3genE0ELNS1_11target_archE4294967295ELNS1_3gpuE0ELNS1_3repE0EEENS1_30default_config_static_selectorELNS0_4arch9wavefront6targetE1EEEvSK_
	.p2align	8
	.type	_ZN7rocprim17ROCPRIM_400000_NS6detail17trampoline_kernelINS0_14default_configENS1_36segmented_radix_sort_config_selectorIflEEZNS1_25segmented_radix_sort_implIS3_Lb0EPKfPfPKlPlN2at6native12_GLOBAL__N_18offset_tEEE10hipError_tPvRmT1_PNSt15iterator_traitsISK_E10value_typeET2_T3_PNSL_ISQ_E10value_typeET4_jRbjT5_SW_jjP12ihipStream_tbEUlT_E_NS1_11comp_targetILNS1_3genE0ELNS1_11target_archE4294967295ELNS1_3gpuE0ELNS1_3repE0EEENS1_30default_config_static_selectorELNS0_4arch9wavefront6targetE1EEEvSK_,@function
_ZN7rocprim17ROCPRIM_400000_NS6detail17trampoline_kernelINS0_14default_configENS1_36segmented_radix_sort_config_selectorIflEEZNS1_25segmented_radix_sort_implIS3_Lb0EPKfPfPKlPlN2at6native12_GLOBAL__N_18offset_tEEE10hipError_tPvRmT1_PNSt15iterator_traitsISK_E10value_typeET2_T3_PNSL_ISQ_E10value_typeET4_jRbjT5_SW_jjP12ihipStream_tbEUlT_E_NS1_11comp_targetILNS1_3genE0ELNS1_11target_archE4294967295ELNS1_3gpuE0ELNS1_3repE0EEENS1_30default_config_static_selectorELNS0_4arch9wavefront6targetE1EEEvSK_: ; @_ZN7rocprim17ROCPRIM_400000_NS6detail17trampoline_kernelINS0_14default_configENS1_36segmented_radix_sort_config_selectorIflEEZNS1_25segmented_radix_sort_implIS3_Lb0EPKfPfPKlPlN2at6native12_GLOBAL__N_18offset_tEEE10hipError_tPvRmT1_PNSt15iterator_traitsISK_E10value_typeET2_T3_PNSL_ISQ_E10value_typeET4_jRbjT5_SW_jjP12ihipStream_tbEUlT_E_NS1_11comp_targetILNS1_3genE0ELNS1_11target_archE4294967295ELNS1_3gpuE0ELNS1_3repE0EEENS1_30default_config_static_selectorELNS0_4arch9wavefront6targetE1EEEvSK_
; %bb.0:
	.section	.rodata,"a",@progbits
	.p2align	6, 0x0
	.amdhsa_kernel _ZN7rocprim17ROCPRIM_400000_NS6detail17trampoline_kernelINS0_14default_configENS1_36segmented_radix_sort_config_selectorIflEEZNS1_25segmented_radix_sort_implIS3_Lb0EPKfPfPKlPlN2at6native12_GLOBAL__N_18offset_tEEE10hipError_tPvRmT1_PNSt15iterator_traitsISK_E10value_typeET2_T3_PNSL_ISQ_E10value_typeET4_jRbjT5_SW_jjP12ihipStream_tbEUlT_E_NS1_11comp_targetILNS1_3genE0ELNS1_11target_archE4294967295ELNS1_3gpuE0ELNS1_3repE0EEENS1_30default_config_static_selectorELNS0_4arch9wavefront6targetE1EEEvSK_
		.amdhsa_group_segment_fixed_size 0
		.amdhsa_private_segment_fixed_size 0
		.amdhsa_kernarg_size 96
		.amdhsa_user_sgpr_count 6
		.amdhsa_user_sgpr_private_segment_buffer 1
		.amdhsa_user_sgpr_dispatch_ptr 0
		.amdhsa_user_sgpr_queue_ptr 0
		.amdhsa_user_sgpr_kernarg_segment_ptr 1
		.amdhsa_user_sgpr_dispatch_id 0
		.amdhsa_user_sgpr_flat_scratch_init 0
		.amdhsa_user_sgpr_kernarg_preload_length 0
		.amdhsa_user_sgpr_kernarg_preload_offset 0
		.amdhsa_user_sgpr_private_segment_size 0
		.amdhsa_uses_dynamic_stack 0
		.amdhsa_system_sgpr_private_segment_wavefront_offset 0
		.amdhsa_system_sgpr_workgroup_id_x 1
		.amdhsa_system_sgpr_workgroup_id_y 0
		.amdhsa_system_sgpr_workgroup_id_z 0
		.amdhsa_system_sgpr_workgroup_info 0
		.amdhsa_system_vgpr_workitem_id 0
		.amdhsa_next_free_vgpr 1
		.amdhsa_next_free_sgpr 0
		.amdhsa_accum_offset 4
		.amdhsa_reserve_vcc 0
		.amdhsa_reserve_flat_scratch 0
		.amdhsa_float_round_mode_32 0
		.amdhsa_float_round_mode_16_64 0
		.amdhsa_float_denorm_mode_32 3
		.amdhsa_float_denorm_mode_16_64 3
		.amdhsa_dx10_clamp 1
		.amdhsa_ieee_mode 1
		.amdhsa_fp16_overflow 0
		.amdhsa_tg_split 0
		.amdhsa_exception_fp_ieee_invalid_op 0
		.amdhsa_exception_fp_denorm_src 0
		.amdhsa_exception_fp_ieee_div_zero 0
		.amdhsa_exception_fp_ieee_overflow 0
		.amdhsa_exception_fp_ieee_underflow 0
		.amdhsa_exception_fp_ieee_inexact 0
		.amdhsa_exception_int_div_zero 0
	.end_amdhsa_kernel
	.section	.text._ZN7rocprim17ROCPRIM_400000_NS6detail17trampoline_kernelINS0_14default_configENS1_36segmented_radix_sort_config_selectorIflEEZNS1_25segmented_radix_sort_implIS3_Lb0EPKfPfPKlPlN2at6native12_GLOBAL__N_18offset_tEEE10hipError_tPvRmT1_PNSt15iterator_traitsISK_E10value_typeET2_T3_PNSL_ISQ_E10value_typeET4_jRbjT5_SW_jjP12ihipStream_tbEUlT_E_NS1_11comp_targetILNS1_3genE0ELNS1_11target_archE4294967295ELNS1_3gpuE0ELNS1_3repE0EEENS1_30default_config_static_selectorELNS0_4arch9wavefront6targetE1EEEvSK_,"axG",@progbits,_ZN7rocprim17ROCPRIM_400000_NS6detail17trampoline_kernelINS0_14default_configENS1_36segmented_radix_sort_config_selectorIflEEZNS1_25segmented_radix_sort_implIS3_Lb0EPKfPfPKlPlN2at6native12_GLOBAL__N_18offset_tEEE10hipError_tPvRmT1_PNSt15iterator_traitsISK_E10value_typeET2_T3_PNSL_ISQ_E10value_typeET4_jRbjT5_SW_jjP12ihipStream_tbEUlT_E_NS1_11comp_targetILNS1_3genE0ELNS1_11target_archE4294967295ELNS1_3gpuE0ELNS1_3repE0EEENS1_30default_config_static_selectorELNS0_4arch9wavefront6targetE1EEEvSK_,comdat
.Lfunc_end1426:
	.size	_ZN7rocprim17ROCPRIM_400000_NS6detail17trampoline_kernelINS0_14default_configENS1_36segmented_radix_sort_config_selectorIflEEZNS1_25segmented_radix_sort_implIS3_Lb0EPKfPfPKlPlN2at6native12_GLOBAL__N_18offset_tEEE10hipError_tPvRmT1_PNSt15iterator_traitsISK_E10value_typeET2_T3_PNSL_ISQ_E10value_typeET4_jRbjT5_SW_jjP12ihipStream_tbEUlT_E_NS1_11comp_targetILNS1_3genE0ELNS1_11target_archE4294967295ELNS1_3gpuE0ELNS1_3repE0EEENS1_30default_config_static_selectorELNS0_4arch9wavefront6targetE1EEEvSK_, .Lfunc_end1426-_ZN7rocprim17ROCPRIM_400000_NS6detail17trampoline_kernelINS0_14default_configENS1_36segmented_radix_sort_config_selectorIflEEZNS1_25segmented_radix_sort_implIS3_Lb0EPKfPfPKlPlN2at6native12_GLOBAL__N_18offset_tEEE10hipError_tPvRmT1_PNSt15iterator_traitsISK_E10value_typeET2_T3_PNSL_ISQ_E10value_typeET4_jRbjT5_SW_jjP12ihipStream_tbEUlT_E_NS1_11comp_targetILNS1_3genE0ELNS1_11target_archE4294967295ELNS1_3gpuE0ELNS1_3repE0EEENS1_30default_config_static_selectorELNS0_4arch9wavefront6targetE1EEEvSK_
                                        ; -- End function
	.section	.AMDGPU.csdata,"",@progbits
; Kernel info:
; codeLenInByte = 0
; NumSgprs: 4
; NumVgprs: 0
; NumAgprs: 0
; TotalNumVgprs: 0
; ScratchSize: 0
; MemoryBound: 0
; FloatMode: 240
; IeeeMode: 1
; LDSByteSize: 0 bytes/workgroup (compile time only)
; SGPRBlocks: 0
; VGPRBlocks: 0
; NumSGPRsForWavesPerEU: 4
; NumVGPRsForWavesPerEU: 1
; AccumOffset: 4
; Occupancy: 8
; WaveLimiterHint : 0
; COMPUTE_PGM_RSRC2:SCRATCH_EN: 0
; COMPUTE_PGM_RSRC2:USER_SGPR: 6
; COMPUTE_PGM_RSRC2:TRAP_HANDLER: 0
; COMPUTE_PGM_RSRC2:TGID_X_EN: 1
; COMPUTE_PGM_RSRC2:TGID_Y_EN: 0
; COMPUTE_PGM_RSRC2:TGID_Z_EN: 0
; COMPUTE_PGM_RSRC2:TIDIG_COMP_CNT: 0
; COMPUTE_PGM_RSRC3_GFX90A:ACCUM_OFFSET: 0
; COMPUTE_PGM_RSRC3_GFX90A:TG_SPLIT: 0
	.section	.text._ZN7rocprim17ROCPRIM_400000_NS6detail17trampoline_kernelINS0_14default_configENS1_36segmented_radix_sort_config_selectorIflEEZNS1_25segmented_radix_sort_implIS3_Lb0EPKfPfPKlPlN2at6native12_GLOBAL__N_18offset_tEEE10hipError_tPvRmT1_PNSt15iterator_traitsISK_E10value_typeET2_T3_PNSL_ISQ_E10value_typeET4_jRbjT5_SW_jjP12ihipStream_tbEUlT_E_NS1_11comp_targetILNS1_3genE5ELNS1_11target_archE942ELNS1_3gpuE9ELNS1_3repE0EEENS1_30default_config_static_selectorELNS0_4arch9wavefront6targetE1EEEvSK_,"axG",@progbits,_ZN7rocprim17ROCPRIM_400000_NS6detail17trampoline_kernelINS0_14default_configENS1_36segmented_radix_sort_config_selectorIflEEZNS1_25segmented_radix_sort_implIS3_Lb0EPKfPfPKlPlN2at6native12_GLOBAL__N_18offset_tEEE10hipError_tPvRmT1_PNSt15iterator_traitsISK_E10value_typeET2_T3_PNSL_ISQ_E10value_typeET4_jRbjT5_SW_jjP12ihipStream_tbEUlT_E_NS1_11comp_targetILNS1_3genE5ELNS1_11target_archE942ELNS1_3gpuE9ELNS1_3repE0EEENS1_30default_config_static_selectorELNS0_4arch9wavefront6targetE1EEEvSK_,comdat
	.globl	_ZN7rocprim17ROCPRIM_400000_NS6detail17trampoline_kernelINS0_14default_configENS1_36segmented_radix_sort_config_selectorIflEEZNS1_25segmented_radix_sort_implIS3_Lb0EPKfPfPKlPlN2at6native12_GLOBAL__N_18offset_tEEE10hipError_tPvRmT1_PNSt15iterator_traitsISK_E10value_typeET2_T3_PNSL_ISQ_E10value_typeET4_jRbjT5_SW_jjP12ihipStream_tbEUlT_E_NS1_11comp_targetILNS1_3genE5ELNS1_11target_archE942ELNS1_3gpuE9ELNS1_3repE0EEENS1_30default_config_static_selectorELNS0_4arch9wavefront6targetE1EEEvSK_ ; -- Begin function _ZN7rocprim17ROCPRIM_400000_NS6detail17trampoline_kernelINS0_14default_configENS1_36segmented_radix_sort_config_selectorIflEEZNS1_25segmented_radix_sort_implIS3_Lb0EPKfPfPKlPlN2at6native12_GLOBAL__N_18offset_tEEE10hipError_tPvRmT1_PNSt15iterator_traitsISK_E10value_typeET2_T3_PNSL_ISQ_E10value_typeET4_jRbjT5_SW_jjP12ihipStream_tbEUlT_E_NS1_11comp_targetILNS1_3genE5ELNS1_11target_archE942ELNS1_3gpuE9ELNS1_3repE0EEENS1_30default_config_static_selectorELNS0_4arch9wavefront6targetE1EEEvSK_
	.p2align	8
	.type	_ZN7rocprim17ROCPRIM_400000_NS6detail17trampoline_kernelINS0_14default_configENS1_36segmented_radix_sort_config_selectorIflEEZNS1_25segmented_radix_sort_implIS3_Lb0EPKfPfPKlPlN2at6native12_GLOBAL__N_18offset_tEEE10hipError_tPvRmT1_PNSt15iterator_traitsISK_E10value_typeET2_T3_PNSL_ISQ_E10value_typeET4_jRbjT5_SW_jjP12ihipStream_tbEUlT_E_NS1_11comp_targetILNS1_3genE5ELNS1_11target_archE942ELNS1_3gpuE9ELNS1_3repE0EEENS1_30default_config_static_selectorELNS0_4arch9wavefront6targetE1EEEvSK_,@function
_ZN7rocprim17ROCPRIM_400000_NS6detail17trampoline_kernelINS0_14default_configENS1_36segmented_radix_sort_config_selectorIflEEZNS1_25segmented_radix_sort_implIS3_Lb0EPKfPfPKlPlN2at6native12_GLOBAL__N_18offset_tEEE10hipError_tPvRmT1_PNSt15iterator_traitsISK_E10value_typeET2_T3_PNSL_ISQ_E10value_typeET4_jRbjT5_SW_jjP12ihipStream_tbEUlT_E_NS1_11comp_targetILNS1_3genE5ELNS1_11target_archE942ELNS1_3gpuE9ELNS1_3repE0EEENS1_30default_config_static_selectorELNS0_4arch9wavefront6targetE1EEEvSK_: ; @_ZN7rocprim17ROCPRIM_400000_NS6detail17trampoline_kernelINS0_14default_configENS1_36segmented_radix_sort_config_selectorIflEEZNS1_25segmented_radix_sort_implIS3_Lb0EPKfPfPKlPlN2at6native12_GLOBAL__N_18offset_tEEE10hipError_tPvRmT1_PNSt15iterator_traitsISK_E10value_typeET2_T3_PNSL_ISQ_E10value_typeET4_jRbjT5_SW_jjP12ihipStream_tbEUlT_E_NS1_11comp_targetILNS1_3genE5ELNS1_11target_archE942ELNS1_3gpuE9ELNS1_3repE0EEENS1_30default_config_static_selectorELNS0_4arch9wavefront6targetE1EEEvSK_
; %bb.0:
	.section	.rodata,"a",@progbits
	.p2align	6, 0x0
	.amdhsa_kernel _ZN7rocprim17ROCPRIM_400000_NS6detail17trampoline_kernelINS0_14default_configENS1_36segmented_radix_sort_config_selectorIflEEZNS1_25segmented_radix_sort_implIS3_Lb0EPKfPfPKlPlN2at6native12_GLOBAL__N_18offset_tEEE10hipError_tPvRmT1_PNSt15iterator_traitsISK_E10value_typeET2_T3_PNSL_ISQ_E10value_typeET4_jRbjT5_SW_jjP12ihipStream_tbEUlT_E_NS1_11comp_targetILNS1_3genE5ELNS1_11target_archE942ELNS1_3gpuE9ELNS1_3repE0EEENS1_30default_config_static_selectorELNS0_4arch9wavefront6targetE1EEEvSK_
		.amdhsa_group_segment_fixed_size 0
		.amdhsa_private_segment_fixed_size 0
		.amdhsa_kernarg_size 96
		.amdhsa_user_sgpr_count 6
		.amdhsa_user_sgpr_private_segment_buffer 1
		.amdhsa_user_sgpr_dispatch_ptr 0
		.amdhsa_user_sgpr_queue_ptr 0
		.amdhsa_user_sgpr_kernarg_segment_ptr 1
		.amdhsa_user_sgpr_dispatch_id 0
		.amdhsa_user_sgpr_flat_scratch_init 0
		.amdhsa_user_sgpr_kernarg_preload_length 0
		.amdhsa_user_sgpr_kernarg_preload_offset 0
		.amdhsa_user_sgpr_private_segment_size 0
		.amdhsa_uses_dynamic_stack 0
		.amdhsa_system_sgpr_private_segment_wavefront_offset 0
		.amdhsa_system_sgpr_workgroup_id_x 1
		.amdhsa_system_sgpr_workgroup_id_y 0
		.amdhsa_system_sgpr_workgroup_id_z 0
		.amdhsa_system_sgpr_workgroup_info 0
		.amdhsa_system_vgpr_workitem_id 0
		.amdhsa_next_free_vgpr 1
		.amdhsa_next_free_sgpr 0
		.amdhsa_accum_offset 4
		.amdhsa_reserve_vcc 0
		.amdhsa_reserve_flat_scratch 0
		.amdhsa_float_round_mode_32 0
		.amdhsa_float_round_mode_16_64 0
		.amdhsa_float_denorm_mode_32 3
		.amdhsa_float_denorm_mode_16_64 3
		.amdhsa_dx10_clamp 1
		.amdhsa_ieee_mode 1
		.amdhsa_fp16_overflow 0
		.amdhsa_tg_split 0
		.amdhsa_exception_fp_ieee_invalid_op 0
		.amdhsa_exception_fp_denorm_src 0
		.amdhsa_exception_fp_ieee_div_zero 0
		.amdhsa_exception_fp_ieee_overflow 0
		.amdhsa_exception_fp_ieee_underflow 0
		.amdhsa_exception_fp_ieee_inexact 0
		.amdhsa_exception_int_div_zero 0
	.end_amdhsa_kernel
	.section	.text._ZN7rocprim17ROCPRIM_400000_NS6detail17trampoline_kernelINS0_14default_configENS1_36segmented_radix_sort_config_selectorIflEEZNS1_25segmented_radix_sort_implIS3_Lb0EPKfPfPKlPlN2at6native12_GLOBAL__N_18offset_tEEE10hipError_tPvRmT1_PNSt15iterator_traitsISK_E10value_typeET2_T3_PNSL_ISQ_E10value_typeET4_jRbjT5_SW_jjP12ihipStream_tbEUlT_E_NS1_11comp_targetILNS1_3genE5ELNS1_11target_archE942ELNS1_3gpuE9ELNS1_3repE0EEENS1_30default_config_static_selectorELNS0_4arch9wavefront6targetE1EEEvSK_,"axG",@progbits,_ZN7rocprim17ROCPRIM_400000_NS6detail17trampoline_kernelINS0_14default_configENS1_36segmented_radix_sort_config_selectorIflEEZNS1_25segmented_radix_sort_implIS3_Lb0EPKfPfPKlPlN2at6native12_GLOBAL__N_18offset_tEEE10hipError_tPvRmT1_PNSt15iterator_traitsISK_E10value_typeET2_T3_PNSL_ISQ_E10value_typeET4_jRbjT5_SW_jjP12ihipStream_tbEUlT_E_NS1_11comp_targetILNS1_3genE5ELNS1_11target_archE942ELNS1_3gpuE9ELNS1_3repE0EEENS1_30default_config_static_selectorELNS0_4arch9wavefront6targetE1EEEvSK_,comdat
.Lfunc_end1427:
	.size	_ZN7rocprim17ROCPRIM_400000_NS6detail17trampoline_kernelINS0_14default_configENS1_36segmented_radix_sort_config_selectorIflEEZNS1_25segmented_radix_sort_implIS3_Lb0EPKfPfPKlPlN2at6native12_GLOBAL__N_18offset_tEEE10hipError_tPvRmT1_PNSt15iterator_traitsISK_E10value_typeET2_T3_PNSL_ISQ_E10value_typeET4_jRbjT5_SW_jjP12ihipStream_tbEUlT_E_NS1_11comp_targetILNS1_3genE5ELNS1_11target_archE942ELNS1_3gpuE9ELNS1_3repE0EEENS1_30default_config_static_selectorELNS0_4arch9wavefront6targetE1EEEvSK_, .Lfunc_end1427-_ZN7rocprim17ROCPRIM_400000_NS6detail17trampoline_kernelINS0_14default_configENS1_36segmented_radix_sort_config_selectorIflEEZNS1_25segmented_radix_sort_implIS3_Lb0EPKfPfPKlPlN2at6native12_GLOBAL__N_18offset_tEEE10hipError_tPvRmT1_PNSt15iterator_traitsISK_E10value_typeET2_T3_PNSL_ISQ_E10value_typeET4_jRbjT5_SW_jjP12ihipStream_tbEUlT_E_NS1_11comp_targetILNS1_3genE5ELNS1_11target_archE942ELNS1_3gpuE9ELNS1_3repE0EEENS1_30default_config_static_selectorELNS0_4arch9wavefront6targetE1EEEvSK_
                                        ; -- End function
	.section	.AMDGPU.csdata,"",@progbits
; Kernel info:
; codeLenInByte = 0
; NumSgprs: 4
; NumVgprs: 0
; NumAgprs: 0
; TotalNumVgprs: 0
; ScratchSize: 0
; MemoryBound: 0
; FloatMode: 240
; IeeeMode: 1
; LDSByteSize: 0 bytes/workgroup (compile time only)
; SGPRBlocks: 0
; VGPRBlocks: 0
; NumSGPRsForWavesPerEU: 4
; NumVGPRsForWavesPerEU: 1
; AccumOffset: 4
; Occupancy: 8
; WaveLimiterHint : 0
; COMPUTE_PGM_RSRC2:SCRATCH_EN: 0
; COMPUTE_PGM_RSRC2:USER_SGPR: 6
; COMPUTE_PGM_RSRC2:TRAP_HANDLER: 0
; COMPUTE_PGM_RSRC2:TGID_X_EN: 1
; COMPUTE_PGM_RSRC2:TGID_Y_EN: 0
; COMPUTE_PGM_RSRC2:TGID_Z_EN: 0
; COMPUTE_PGM_RSRC2:TIDIG_COMP_CNT: 0
; COMPUTE_PGM_RSRC3_GFX90A:ACCUM_OFFSET: 0
; COMPUTE_PGM_RSRC3_GFX90A:TG_SPLIT: 0
	.text
	.p2align	2                               ; -- Begin function _ZN7rocprim17ROCPRIM_400000_NS6detail40segmented_radix_sort_single_block_helperIflLj256ELj8ELb0EE4sortIPKfPfPKlPlEEbT_T0_T1_T2_jjjjRNS3_12storage_typeE
	.type	_ZN7rocprim17ROCPRIM_400000_NS6detail40segmented_radix_sort_single_block_helperIflLj256ELj8ELb0EE4sortIPKfPfPKlPlEEbT_T0_T1_T2_jjjjRNS3_12storage_typeE,@function
_ZN7rocprim17ROCPRIM_400000_NS6detail40segmented_radix_sort_single_block_helperIflLj256ELj8ELb0EE4sortIPKfPfPKlPlEEbT_T0_T1_T2_jjjjRNS3_12storage_typeE: ; @_ZN7rocprim17ROCPRIM_400000_NS6detail40segmented_radix_sort_single_block_helperIflLj256ELj8ELb0EE4sortIPKfPfPKlPlEEbT_T0_T1_T2_jjjjRNS3_12storage_typeE
; %bb.0:
	s_waitcnt vmcnt(0) expcnt(0) lgkmcnt(0)
	s_or_saveexec_b64 s[4:5], -1
	buffer_store_dword v40, off, s[0:3], s32 ; 4-byte Folded Spill
	s_mov_b64 exec, s[4:5]
	v_writelane_b32 v40, s34, 0
	v_writelane_b32 v40, s35, 1
	;; [unrolled: 1-line block ×16, first 2 shown]
	v_sub_u32_e32 v150, v9, v8
	s_movk_i32 s4, 0x801
	v_cmp_gt_u32_e32 vcc, s4, v150
	s_and_saveexec_b64 s[38:39], vcc
	s_cbranch_execz .LBB1428_199
; %bb.1:
	s_movk_i32 s4, 0x400
	v_cmp_lt_u32_e32 vcc, s4, v150
	v_bfe_u32 v14, v31, 10, 10
	v_bfe_u32 v15, v31, 20, 10
	v_mbcnt_lo_u32_b32 v16, -1, 0
	s_and_saveexec_b64 s[4:5], vcc
	s_xor_b64 s[40:41], exec, s[4:5]
	s_cbranch_execz .LBB1428_79
; %bb.2:
	s_load_dwordx2 s[4:5], s[8:9], 0x0
	v_mov_b32_e32 v9, 0
	v_mbcnt_hi_u32_b32 v30, -1, v16
	v_lshlrev_b64 v[22:23], 2, v[8:9]
	v_and_b32_e32 v24, 0x3ff, v31
	s_waitcnt lgkmcnt(0)
	s_cmp_lt_u32 s12, s4
	s_cselect_b32 s6, 12, 18
	s_cmp_lt_u32 s13, s5
	s_cselect_b32 s4, 14, 20
	s_add_u32 s4, s8, s4
	s_addc_u32 s5, s9, 0
	s_add_u32 s6, s8, s6
	global_load_ushort v17, v9, s[4:5]
	s_addc_u32 s7, s9, 0
	global_load_ushort v18, v9, s[6:7]
	v_and_b32_e32 v31, 63, v30
	v_add_co_u32_e32 v0, vcc, v0, v22
	v_addc_co_u32_e32 v1, vcc, v1, v23, vcc
	v_lshlrev_b32_e32 v16, 2, v31
	v_add_co_u32_e32 v16, vcc, v0, v16
	v_addc_co_u32_e32 v19, vcc, 0, v1, vcc
	v_mov_b32_e32 v27, v9
	s_brev_b32 s16, -2
	s_mov_b32 s17, s16
	s_mov_b32 s18, s16
	s_mov_b32 s19, s16
	s_mov_b32 s20, s16
	s_mov_b32 s21, s16
	s_mov_b32 s22, s16
	s_mov_b32 s23, s16
	s_waitcnt vmcnt(1)
	v_mad_u32_u24 v0, v15, v17, v14
	s_waitcnt vmcnt(0)
	v_mad_u64_u32 v[0:1], s[4:5], v0, v18, v[24:25]
	v_lshlrev_b32_e32 v1, 3, v0
	v_and_b32_e32 v26, 0xfffffe00, v1
	v_lshlrev_b64 v[14:15], 2, v[26:27]
	v_add_co_u32_e32 v28, vcc, v16, v14
	v_or_b32_e32 v1, v26, v31
	v_addc_co_u32_e32 v29, vcc, v19, v15, vcc
	v_pk_mov_b32 v[14:15], s[16:17], s[16:17] op_sel:[0,1]
	v_cmp_lt_u32_e32 vcc, v1, v150
	v_pk_mov_b32 v[16:17], s[18:19], s[18:19] op_sel:[0,1]
	v_pk_mov_b32 v[18:19], s[20:21], s[20:21] op_sel:[0,1]
	;; [unrolled: 1-line block ×3, first 2 shown]
	s_and_saveexec_b64 s[4:5], vcc
	s_cbranch_execz .LBB1428_4
; %bb.3:
	flat_load_dword v14, v[28:29]
	v_bfrev_b32_e32 v15, -2
	v_mov_b32_e32 v16, v15
	v_mov_b32_e32 v17, v15
	;; [unrolled: 1-line block ×6, first 2 shown]
.LBB1428_4:
	s_or_b64 exec, exec, s[4:5]
	v_or_b32_e32 v25, 64, v1
	v_cmp_lt_u32_e64 s[4:5], v25, v150
	s_and_saveexec_b64 s[6:7], s[4:5]
	s_cbranch_execz .LBB1428_6
; %bb.5:
	flat_load_dword v15, v[28:29] offset:256
.LBB1428_6:
	s_or_b64 exec, exec, s[6:7]
	v_or_b32_e32 v25, 0x80, v1
	v_cmp_lt_u32_e64 s[6:7], v25, v150
	s_and_saveexec_b64 s[10:11], s[6:7]
	s_cbranch_execz .LBB1428_8
; %bb.7:
	flat_load_dword v16, v[28:29] offset:512
.LBB1428_8:
	;; [unrolled: 8-line block ×7, first 2 shown]
	s_or_b64 exec, exec, s[22:23]
	v_lshlrev_b64 v[8:9], 3, v[8:9]
	v_add_co_u32_e64 v1, s[22:23], v4, v8
	v_addc_co_u32_e64 v4, s[22:23], v5, v9, s[22:23]
	v_lshlrev_b32_e32 v5, 3, v31
	v_add_co_u32_e64 v1, s[22:23], v1, v5
	v_addc_co_u32_e64 v25, s[22:23], 0, v4, s[22:23]
	v_lshlrev_b64 v[4:5], 3, v[26:27]
	v_add_co_u32_e64 v4, s[22:23], v1, v4
	v_addc_co_u32_e64 v5, s[22:23], v25, v5, s[22:23]
                                        ; implicit-def: $vgpr66_vgpr67
	s_and_saveexec_b64 s[22:23], vcc
	s_cbranch_execnz .LBB1428_112
; %bb.19:
	s_or_b64 exec, exec, s[22:23]
                                        ; implicit-def: $vgpr68_vgpr69
	s_and_saveexec_b64 s[22:23], s[4:5]
	s_cbranch_execnz .LBB1428_113
.LBB1428_20:
	s_or_b64 exec, exec, s[22:23]
                                        ; implicit-def: $vgpr70_vgpr71
	s_and_saveexec_b64 s[4:5], s[6:7]
	s_cbranch_execnz .LBB1428_114
.LBB1428_21:
	s_or_b64 exec, exec, s[4:5]
                                        ; implicit-def: $vgpr80_vgpr81
	s_and_saveexec_b64 s[4:5], s[10:11]
	s_cbranch_execnz .LBB1428_115
.LBB1428_22:
	s_or_b64 exec, exec, s[4:5]
                                        ; implicit-def: $vgpr100_vgpr101
	s_and_saveexec_b64 s[4:5], s[20:21]
	s_cbranch_execnz .LBB1428_116
.LBB1428_23:
	s_or_b64 exec, exec, s[4:5]
                                        ; implicit-def: $vgpr132_vgpr133
	s_and_saveexec_b64 s[4:5], s[14:15]
	s_cbranch_execnz .LBB1428_117
.LBB1428_24:
	s_or_b64 exec, exec, s[4:5]
                                        ; implicit-def: $vgpr146_vgpr147
	s_and_saveexec_b64 s[4:5], s[16:17]
	s_cbranch_execnz .LBB1428_118
.LBB1428_25:
	s_or_b64 exec, exec, s[4:5]
                                        ; implicit-def: $vgpr148_vgpr149
	s_and_saveexec_b64 s[4:5], s[18:19]
	s_cbranch_execz .LBB1428_27
.LBB1428_26:
	flat_load_dwordx2 v[148:149], v[4:5] offset:3584
.LBB1428_27:
	s_or_b64 exec, exec, s[4:5]
	v_bfrev_b32_e32 v25, 1
	s_waitcnt vmcnt(0) lgkmcnt(0)
	v_cmp_lt_i32_e32 vcc, -1, v14
	v_cndmask_b32_e32 v1, -1, v25, vcc
	v_cmp_lt_i32_e32 vcc, -1, v15
	v_xor_b32_e32 v180, v1, v14
	v_cndmask_b32_e32 v1, -1, v25, vcc
	v_cmp_lt_i32_e32 vcc, -1, v16
	v_xor_b32_e32 v15, v1, v15
	;; [unrolled: 3-line block ×7, first 2 shown]
	v_cndmask_b32_e32 v1, -1, v25, vcc
	v_add_co_u32_e32 v151, vcc, 16, v12
	v_addc_co_u32_e32 v160, vcc, 0, v13, vcc
	v_lshlrev_b32_e32 v4, 4, v24
	v_add_co_u32_e32 v20, vcc, v12, v4
	v_xor_b32_e32 v194, v1, v21
	s_getpc_b64 s[4:5]
	s_add_u32 s4, s4, _ZN7rocprim17ROCPRIM_400000_NS16block_radix_sortIfLj256ELj8ElLj1ELj1ELj8ELNS0_26block_radix_rank_algorithmE2ELNS0_18block_padding_hintE2ELNS0_4arch9wavefront6targetE1EE19radix_bits_per_passE@rel32@lo+4
	s_addc_u32 s5, s5, _ZN7rocprim17ROCPRIM_400000_NS16block_radix_sortIfLj256ELj8ElLj1ELj1ELj8ELNS0_26block_radix_rank_algorithmE2ELNS0_18block_padding_hintE2ELNS0_4arch9wavefront6targetE1EE19radix_bits_per_passE@rel32@hi+12
	v_addc_co_u32_e32 v21, vcc, 0, v13, vcc
	v_and_b32_e32 v4, 15, v30
	s_load_dword s46, s[4:5], 0x0
	v_cmp_eq_u32_e32 vcc, 0, v4
	v_cmp_lt_u32_e64 s[4:5], 1, v4
	v_cmp_lt_u32_e64 s[6:7], 3, v4
	;; [unrolled: 1-line block ×3, first 2 shown]
	v_and_b32_e32 v4, 16, v30
	v_cmp_eq_u32_e64 s[30:31], 0, v4
	v_and_b32_e32 v4, 0x3c0, v24
	v_min_u32_e32 v4, 0xc0, v4
	v_or_b32_e32 v4, 63, v4
	v_cmp_eq_u32_e64 s[16:17], v4, v24
	v_add_u32_e32 v4, -1, v30
	v_and_b32_e32 v5, 64, v30
	v_cmp_lt_i32_e64 s[22:23], v4, v5
	v_lshrrev_b32_e32 v16, 6, v24
	v_cndmask_b32_e64 v4, v4, v30, s[22:23]
	v_lshlrev_b32_e32 v162, 2, v4
	v_lshlrev_b32_e32 v4, 2, v16
	v_add_co_u32_e64 v38, s[26:27], v12, v4
	v_lshlrev_b32_e32 v1, 2, v24
	v_addc_co_u32_e64 v39, s[26:27], 0, v13, s[26:27]
	v_add_co_u32_e64 v4, s[26:27], v12, v1
	v_mov_b32_e32 v14, 0
	v_addc_co_u32_e64 v5, s[26:27], 0, v13, s[26:27]
	v_and_b32_e32 v17, 3, v30
	v_cmp_eq_u32_e64 s[26:27], 0, v17
	v_cmp_lt_u32_e64 s[28:29], 1, v17
	v_add_u32_e32 v16, -1, v16
	v_mov_b32_e32 v17, v14
	v_lshlrev_b64 v[16:17], 2, v[16:17]
	v_add_co_u32_e64 v52, s[34:35], v12, v16
	v_addc_co_u32_e64 v53, s[34:35], v13, v17, s[34:35]
	v_lshlrev_b32_e32 v16, 3, v24
	s_movk_i32 s34, 0x1e00
	v_and_or_b32 v16, v16, s34, v31
	v_lshlrev_b32_e32 v16, 2, v16
	v_add_co_u32_e64 v54, s[34:35], v12, v16
	v_addc_co_u32_e64 v55, s[34:35], 0, v13, s[34:35]
	v_add_co_u32_e64 v64, s[34:35], v54, v16
	v_lshrrev_b32_e32 v161, 6, v0
	v_cmp_lt_u32_e64 s[14:15], 31, v30
	v_cmp_gt_u32_e64 s[18:19], 4, v24
	v_cmp_lt_u32_e64 s[20:21], 63, v24
	v_cmp_eq_u32_e64 s[22:23], 0, v30
	v_cmp_eq_u32_e64 s[24:25], 0, v24
	v_addc_co_u32_e64 v65, s[34:35], 0, v55, s[34:35]
	v_sub_u32_e32 v163, v11, v10
	s_mov_b64 s[42:43], 0
	s_brev_b32 s47, -2
	s_waitcnt lgkmcnt(0)
	s_barrier
	s_branch .LBB1428_29
.LBB1428_28:                            ;   in Loop: Header=BB1428_29 Depth=1
	s_or_b64 exec, exec, s[36:37]
	s_and_b64 s[34:35], exec, s[44:45]
	s_or_b64 s[42:43], s[34:35], s[42:43]
	s_andn2_b64 exec, exec, s[42:43]
	s_cbranch_execz .LBB1428_53
.LBB1428_29:                            ; =>This Inner Loop Header: Depth=1
	s_waitcnt vmcnt(0)
	v_mov_b32_e32 v178, v15
	v_mov_b32_e32 v179, v180
	v_min_u32_e32 v18, s46, v163
	v_mov_b32_e32 v15, v14
	v_mov_b32_e32 v16, v14
	;; [unrolled: 1-line block ×3, first 2 shown]
	flat_store_dwordx4 v[20:21], v[14:17] offset:16
	v_cmp_ne_u32_e64 s[34:35], s47, v179
	v_lshlrev_b32_e64 v15, v18, -1
	v_not_b32_e32 v18, v15
	v_cndmask_b32_e64 v15, v25, v179, s[34:35]
	v_lshrrev_b32_e32 v15, v10, v15
	v_and_b32_e32 v19, v15, v18
	v_lshl_add_u32 v16, v19, 2, v161
	v_lshlrev_b64 v[16:17], 2, v[16:17]
	v_pk_mov_b32 v[50:51], v[66:67], v[66:67] op_sel:[0,1]
	v_add_co_u32_e64 v66, s[34:35], v151, v16
	v_addc_co_u32_e64 v67, s[34:35], v160, v17, s[34:35]
	v_and_b32_e32 v15, 1, v19
	v_add_co_u32_e64 v16, s[34:35], -1, v15
	v_addc_co_u32_e64 v17, s[34:35], 0, -1, s[34:35]
	v_cmp_ne_u32_e64 s[34:35], 0, v15
	v_xor_b32_e32 v15, s35, v17
	v_and_b32_e32 v17, exec_hi, v15
	v_lshlrev_b32_e32 v15, 30, v19
	v_xor_b32_e32 v16, s34, v16
	v_cmp_gt_i64_e64 s[34:35], 0, v[14:15]
	v_not_b32_e32 v15, v15
	v_ashrrev_i32_e32 v15, 31, v15
	v_pk_mov_b32 v[48:49], v[68:69], v[68:69] op_sel:[0,1]
	v_and_b32_e32 v16, exec_lo, v16
	v_xor_b32_e32 v68, s35, v15
	v_xor_b32_e32 v15, s34, v15
	v_and_b32_e32 v16, v16, v15
	v_lshlrev_b32_e32 v15, 29, v19
	v_cmp_gt_i64_e64 s[34:35], 0, v[14:15]
	v_not_b32_e32 v15, v15
	v_ashrrev_i32_e32 v15, 31, v15
	v_and_b32_e32 v17, v17, v68
	v_xor_b32_e32 v68, s35, v15
	v_xor_b32_e32 v15, s34, v15
	v_and_b32_e32 v16, v16, v15
	v_lshlrev_b32_e32 v15, 28, v19
	v_cmp_gt_i64_e64 s[34:35], 0, v[14:15]
	v_not_b32_e32 v15, v15
	v_ashrrev_i32_e32 v15, 31, v15
	v_and_b32_e32 v17, v17, v68
	;; [unrolled: 8-line block ×5, first 2 shown]
	v_xor_b32_e32 v68, s35, v15
	v_xor_b32_e32 v15, s34, v15
	v_and_b32_e32 v16, v16, v15
	v_lshlrev_b32_e32 v15, 24, v19
	v_cmp_gt_i64_e64 s[34:35], 0, v[14:15]
	v_not_b32_e32 v15, v15
	v_ashrrev_i32_e32 v15, 31, v15
	v_xor_b32_e32 v19, s35, v15
	v_xor_b32_e32 v15, s34, v15
	v_and_b32_e32 v17, v17, v68
	v_and_b32_e32 v16, v16, v15
	;; [unrolled: 1-line block ×3, first 2 shown]
	v_mbcnt_lo_u32_b32 v15, v16, 0
	v_mbcnt_hi_u32_b32 v98, v17, v15
	v_cmp_eq_u32_e64 s[34:35], 0, v98
	v_cmp_ne_u64_e64 s[36:37], 0, v[16:17]
	v_mov_b32_e32 v164, v194
	v_mov_b32_e32 v165, v193
	;; [unrolled: 1-line block ×6, first 2 shown]
	v_pk_mov_b32 v[36:37], v[70:71], v[70:71] op_sel:[0,1]
	v_pk_mov_b32 v[34:35], v[80:81], v[80:81] op_sel:[0,1]
	;; [unrolled: 1-line block ×6, first 2 shown]
	s_and_b64 s[36:37], s[36:37], s[34:35]
	s_waitcnt lgkmcnt(0)
	s_barrier
	s_waitcnt lgkmcnt(0)
	; wave barrier
	s_and_saveexec_b64 s[34:35], s[36:37]
	s_cbranch_execz .LBB1428_31
; %bb.30:                               ;   in Loop: Header=BB1428_29 Depth=1
	v_bcnt_u32_b32 v15, v16, 0
	v_bcnt_u32_b32 v15, v17, v15
	flat_store_dword v[66:67], v15
.LBB1428_31:                            ;   in Loop: Header=BB1428_29 Depth=1
	s_or_b64 exec, exec, s[34:35]
	v_cmp_ne_u32_e64 s[34:35], s47, v178
	v_cndmask_b32_e64 v15, v25, v178, s[34:35]
	v_lshrrev_b32_e32 v15, v10, v15
	v_and_b32_e32 v19, v15, v18
	v_lshl_add_u32 v16, v19, 2, v161
	v_mov_b32_e32 v17, v14
	v_lshlrev_b64 v[16:17], 2, v[16:17]
	v_add_co_u32_e64 v68, s[34:35], v151, v16
	v_addc_co_u32_e64 v69, s[34:35], v160, v17, s[34:35]
	; wave barrier
	flat_load_dword v99, v[68:69]
	v_and_b32_e32 v15, 1, v19
	v_add_co_u32_e64 v16, s[34:35], -1, v15
	v_addc_co_u32_e64 v17, s[34:35], 0, -1, s[34:35]
	v_cmp_ne_u32_e64 s[34:35], 0, v15
	v_xor_b32_e32 v15, s35, v17
	v_and_b32_e32 v17, exec_hi, v15
	v_lshlrev_b32_e32 v15, 30, v19
	v_xor_b32_e32 v16, s34, v16
	v_cmp_gt_i64_e64 s[34:35], 0, v[14:15]
	v_not_b32_e32 v15, v15
	v_ashrrev_i32_e32 v15, 31, v15
	v_and_b32_e32 v16, exec_lo, v16
	v_xor_b32_e32 v70, s35, v15
	v_xor_b32_e32 v15, s34, v15
	v_and_b32_e32 v16, v16, v15
	v_lshlrev_b32_e32 v15, 29, v19
	v_cmp_gt_i64_e64 s[34:35], 0, v[14:15]
	v_not_b32_e32 v15, v15
	v_ashrrev_i32_e32 v15, 31, v15
	v_and_b32_e32 v17, v17, v70
	v_xor_b32_e32 v70, s35, v15
	v_xor_b32_e32 v15, s34, v15
	v_and_b32_e32 v16, v16, v15
	v_lshlrev_b32_e32 v15, 28, v19
	v_cmp_gt_i64_e64 s[34:35], 0, v[14:15]
	v_not_b32_e32 v15, v15
	v_ashrrev_i32_e32 v15, 31, v15
	v_and_b32_e32 v17, v17, v70
	;; [unrolled: 8-line block ×5, first 2 shown]
	v_xor_b32_e32 v70, s35, v15
	v_xor_b32_e32 v15, s34, v15
	v_and_b32_e32 v16, v16, v15
	v_lshlrev_b32_e32 v15, 24, v19
	v_cmp_gt_i64_e64 s[34:35], 0, v[14:15]
	v_not_b32_e32 v15, v15
	v_ashrrev_i32_e32 v15, 31, v15
	v_xor_b32_e32 v19, s35, v15
	v_xor_b32_e32 v15, s34, v15
	v_and_b32_e32 v17, v17, v70
	v_and_b32_e32 v16, v16, v15
	;; [unrolled: 1-line block ×3, first 2 shown]
	v_mbcnt_lo_u32_b32 v15, v16, 0
	v_mbcnt_hi_u32_b32 v100, v17, v15
	v_cmp_eq_u32_e64 s[34:35], 0, v100
	v_cmp_ne_u64_e64 s[36:37], 0, v[16:17]
	s_and_b64 s[36:37], s[36:37], s[34:35]
	; wave barrier
	s_and_saveexec_b64 s[34:35], s[36:37]
	s_cbranch_execz .LBB1428_33
; %bb.32:                               ;   in Loop: Header=BB1428_29 Depth=1
	v_bcnt_u32_b32 v15, v16, 0
	v_bcnt_u32_b32 v15, v17, v15
	s_waitcnt vmcnt(0) lgkmcnt(0)
	v_add_u32_e32 v15, v99, v15
	flat_store_dword v[68:69], v15
.LBB1428_33:                            ;   in Loop: Header=BB1428_29 Depth=1
	s_or_b64 exec, exec, s[34:35]
	v_cmp_ne_u32_e64 s[34:35], s47, v177
	v_cndmask_b32_e64 v15, v25, v177, s[34:35]
	v_lshrrev_b32_e32 v15, v10, v15
	v_and_b32_e32 v19, v15, v18
	v_lshl_add_u32 v16, v19, 2, v161
	v_mov_b32_e32 v17, v14
	v_lshlrev_b64 v[16:17], 2, v[16:17]
	v_add_co_u32_e64 v70, s[34:35], v151, v16
	v_addc_co_u32_e64 v71, s[34:35], v160, v17, s[34:35]
	; wave barrier
	flat_load_dword v101, v[70:71]
	v_and_b32_e32 v15, 1, v19
	v_add_co_u32_e64 v16, s[34:35], -1, v15
	v_addc_co_u32_e64 v17, s[34:35], 0, -1, s[34:35]
	v_cmp_ne_u32_e64 s[34:35], 0, v15
	v_xor_b32_e32 v15, s35, v17
	v_and_b32_e32 v17, exec_hi, v15
	v_lshlrev_b32_e32 v15, 30, v19
	v_xor_b32_e32 v16, s34, v16
	v_cmp_gt_i64_e64 s[34:35], 0, v[14:15]
	v_not_b32_e32 v15, v15
	v_ashrrev_i32_e32 v15, 31, v15
	v_and_b32_e32 v16, exec_lo, v16
	v_xor_b32_e32 v80, s35, v15
	v_xor_b32_e32 v15, s34, v15
	v_and_b32_e32 v16, v16, v15
	v_lshlrev_b32_e32 v15, 29, v19
	v_cmp_gt_i64_e64 s[34:35], 0, v[14:15]
	v_not_b32_e32 v15, v15
	v_ashrrev_i32_e32 v15, 31, v15
	v_and_b32_e32 v17, v17, v80
	v_xor_b32_e32 v80, s35, v15
	v_xor_b32_e32 v15, s34, v15
	v_and_b32_e32 v16, v16, v15
	v_lshlrev_b32_e32 v15, 28, v19
	v_cmp_gt_i64_e64 s[34:35], 0, v[14:15]
	v_not_b32_e32 v15, v15
	v_ashrrev_i32_e32 v15, 31, v15
	v_and_b32_e32 v17, v17, v80
	;; [unrolled: 8-line block ×5, first 2 shown]
	v_xor_b32_e32 v80, s35, v15
	v_xor_b32_e32 v15, s34, v15
	v_and_b32_e32 v16, v16, v15
	v_lshlrev_b32_e32 v15, 24, v19
	v_cmp_gt_i64_e64 s[34:35], 0, v[14:15]
	v_not_b32_e32 v15, v15
	v_ashrrev_i32_e32 v15, 31, v15
	v_xor_b32_e32 v19, s35, v15
	v_xor_b32_e32 v15, s34, v15
	v_and_b32_e32 v17, v17, v80
	v_and_b32_e32 v16, v16, v15
	;; [unrolled: 1-line block ×3, first 2 shown]
	v_mbcnt_lo_u32_b32 v15, v16, 0
	v_mbcnt_hi_u32_b32 v102, v17, v15
	v_cmp_eq_u32_e64 s[34:35], 0, v102
	v_cmp_ne_u64_e64 s[36:37], 0, v[16:17]
	s_and_b64 s[36:37], s[36:37], s[34:35]
	; wave barrier
	s_and_saveexec_b64 s[34:35], s[36:37]
	s_cbranch_execz .LBB1428_35
; %bb.34:                               ;   in Loop: Header=BB1428_29 Depth=1
	v_bcnt_u32_b32 v15, v16, 0
	v_bcnt_u32_b32 v15, v17, v15
	s_waitcnt vmcnt(0) lgkmcnt(0)
	v_add_u32_e32 v15, v101, v15
	flat_store_dword v[70:71], v15
.LBB1428_35:                            ;   in Loop: Header=BB1428_29 Depth=1
	s_or_b64 exec, exec, s[34:35]
	v_cmp_ne_u32_e64 s[34:35], s47, v176
	v_cndmask_b32_e64 v15, v25, v176, s[34:35]
	v_lshrrev_b32_e32 v15, v10, v15
	v_and_b32_e32 v19, v15, v18
	v_lshl_add_u32 v16, v19, 2, v161
	v_mov_b32_e32 v17, v14
	v_lshlrev_b64 v[16:17], 2, v[16:17]
	v_add_co_u32_e64 v80, s[34:35], v151, v16
	v_addc_co_u32_e64 v81, s[34:35], v160, v17, s[34:35]
	; wave barrier
	flat_load_dword v103, v[80:81]
	v_and_b32_e32 v15, 1, v19
	v_add_co_u32_e64 v16, s[34:35], -1, v15
	v_addc_co_u32_e64 v17, s[34:35], 0, -1, s[34:35]
	v_cmp_ne_u32_e64 s[34:35], 0, v15
	v_xor_b32_e32 v15, s35, v17
	v_and_b32_e32 v17, exec_hi, v15
	v_lshlrev_b32_e32 v15, 30, v19
	v_xor_b32_e32 v16, s34, v16
	v_cmp_gt_i64_e64 s[34:35], 0, v[14:15]
	v_not_b32_e32 v15, v15
	v_ashrrev_i32_e32 v15, 31, v15
	v_and_b32_e32 v16, exec_lo, v16
	v_xor_b32_e32 v82, s35, v15
	v_xor_b32_e32 v15, s34, v15
	v_and_b32_e32 v16, v16, v15
	v_lshlrev_b32_e32 v15, 29, v19
	v_cmp_gt_i64_e64 s[34:35], 0, v[14:15]
	v_not_b32_e32 v15, v15
	v_ashrrev_i32_e32 v15, 31, v15
	v_and_b32_e32 v17, v17, v82
	v_xor_b32_e32 v82, s35, v15
	v_xor_b32_e32 v15, s34, v15
	v_and_b32_e32 v16, v16, v15
	v_lshlrev_b32_e32 v15, 28, v19
	v_cmp_gt_i64_e64 s[34:35], 0, v[14:15]
	v_not_b32_e32 v15, v15
	v_ashrrev_i32_e32 v15, 31, v15
	v_and_b32_e32 v17, v17, v82
	;; [unrolled: 8-line block ×5, first 2 shown]
	v_xor_b32_e32 v82, s35, v15
	v_xor_b32_e32 v15, s34, v15
	v_and_b32_e32 v16, v16, v15
	v_lshlrev_b32_e32 v15, 24, v19
	v_cmp_gt_i64_e64 s[34:35], 0, v[14:15]
	v_not_b32_e32 v15, v15
	v_ashrrev_i32_e32 v15, 31, v15
	v_xor_b32_e32 v19, s35, v15
	v_xor_b32_e32 v15, s34, v15
	v_and_b32_e32 v17, v17, v82
	v_and_b32_e32 v16, v16, v15
	;; [unrolled: 1-line block ×3, first 2 shown]
	v_mbcnt_lo_u32_b32 v15, v16, 0
	v_mbcnt_hi_u32_b32 v112, v17, v15
	v_cmp_eq_u32_e64 s[34:35], 0, v112
	v_cmp_ne_u64_e64 s[36:37], 0, v[16:17]
	s_and_b64 s[36:37], s[36:37], s[34:35]
	; wave barrier
	s_and_saveexec_b64 s[34:35], s[36:37]
	s_cbranch_execz .LBB1428_37
; %bb.36:                               ;   in Loop: Header=BB1428_29 Depth=1
	v_bcnt_u32_b32 v15, v16, 0
	v_bcnt_u32_b32 v15, v17, v15
	s_waitcnt vmcnt(0) lgkmcnt(0)
	v_add_u32_e32 v15, v103, v15
	flat_store_dword v[80:81], v15
.LBB1428_37:                            ;   in Loop: Header=BB1428_29 Depth=1
	s_or_b64 exec, exec, s[34:35]
	v_cmp_ne_u32_e64 s[34:35], s47, v167
	v_cndmask_b32_e64 v15, v25, v167, s[34:35]
	v_lshrrev_b32_e32 v15, v10, v15
	v_and_b32_e32 v19, v15, v18
	v_lshl_add_u32 v16, v19, 2, v161
	v_mov_b32_e32 v17, v14
	v_lshlrev_b64 v[16:17], 2, v[16:17]
	v_add_co_u32_e64 v82, s[34:35], v151, v16
	v_addc_co_u32_e64 v83, s[34:35], v160, v17, s[34:35]
	; wave barrier
	flat_load_dword v113, v[82:83]
	v_and_b32_e32 v15, 1, v19
	v_add_co_u32_e64 v16, s[34:35], -1, v15
	v_addc_co_u32_e64 v17, s[34:35], 0, -1, s[34:35]
	v_cmp_ne_u32_e64 s[34:35], 0, v15
	v_xor_b32_e32 v15, s35, v17
	v_and_b32_e32 v17, exec_hi, v15
	v_lshlrev_b32_e32 v15, 30, v19
	v_xor_b32_e32 v16, s34, v16
	v_cmp_gt_i64_e64 s[34:35], 0, v[14:15]
	v_not_b32_e32 v15, v15
	v_ashrrev_i32_e32 v15, 31, v15
	v_and_b32_e32 v16, exec_lo, v16
	v_xor_b32_e32 v84, s35, v15
	v_xor_b32_e32 v15, s34, v15
	v_and_b32_e32 v16, v16, v15
	v_lshlrev_b32_e32 v15, 29, v19
	v_cmp_gt_i64_e64 s[34:35], 0, v[14:15]
	v_not_b32_e32 v15, v15
	v_ashrrev_i32_e32 v15, 31, v15
	v_and_b32_e32 v17, v17, v84
	v_xor_b32_e32 v84, s35, v15
	v_xor_b32_e32 v15, s34, v15
	v_and_b32_e32 v16, v16, v15
	v_lshlrev_b32_e32 v15, 28, v19
	v_cmp_gt_i64_e64 s[34:35], 0, v[14:15]
	v_not_b32_e32 v15, v15
	v_ashrrev_i32_e32 v15, 31, v15
	v_and_b32_e32 v17, v17, v84
	;; [unrolled: 8-line block ×5, first 2 shown]
	v_xor_b32_e32 v84, s35, v15
	v_xor_b32_e32 v15, s34, v15
	v_and_b32_e32 v16, v16, v15
	v_lshlrev_b32_e32 v15, 24, v19
	v_cmp_gt_i64_e64 s[34:35], 0, v[14:15]
	v_not_b32_e32 v15, v15
	v_ashrrev_i32_e32 v15, 31, v15
	v_xor_b32_e32 v19, s35, v15
	v_xor_b32_e32 v15, s34, v15
	v_and_b32_e32 v17, v17, v84
	v_and_b32_e32 v16, v16, v15
	;; [unrolled: 1-line block ×3, first 2 shown]
	v_mbcnt_lo_u32_b32 v15, v16, 0
	v_mbcnt_hi_u32_b32 v114, v17, v15
	v_cmp_eq_u32_e64 s[34:35], 0, v114
	v_cmp_ne_u64_e64 s[36:37], 0, v[16:17]
	s_and_b64 s[36:37], s[36:37], s[34:35]
	; wave barrier
	s_and_saveexec_b64 s[34:35], s[36:37]
	s_cbranch_execz .LBB1428_39
; %bb.38:                               ;   in Loop: Header=BB1428_29 Depth=1
	v_bcnt_u32_b32 v15, v16, 0
	v_bcnt_u32_b32 v15, v17, v15
	s_waitcnt vmcnt(0) lgkmcnt(0)
	v_add_u32_e32 v15, v113, v15
	flat_store_dword v[82:83], v15
.LBB1428_39:                            ;   in Loop: Header=BB1428_29 Depth=1
	s_or_b64 exec, exec, s[34:35]
	v_cmp_ne_u32_e64 s[34:35], s47, v166
	v_cndmask_b32_e64 v15, v25, v166, s[34:35]
	v_lshrrev_b32_e32 v15, v10, v15
	v_and_b32_e32 v19, v15, v18
	v_lshl_add_u32 v16, v19, 2, v161
	v_mov_b32_e32 v17, v14
	v_lshlrev_b64 v[16:17], 2, v[16:17]
	v_add_co_u32_e64 v84, s[34:35], v151, v16
	v_addc_co_u32_e64 v85, s[34:35], v160, v17, s[34:35]
	; wave barrier
	flat_load_dword v115, v[84:85]
	v_and_b32_e32 v15, 1, v19
	v_add_co_u32_e64 v16, s[34:35], -1, v15
	v_addc_co_u32_e64 v17, s[34:35], 0, -1, s[34:35]
	v_cmp_ne_u32_e64 s[34:35], 0, v15
	v_xor_b32_e32 v15, s35, v17
	v_and_b32_e32 v17, exec_hi, v15
	v_lshlrev_b32_e32 v15, 30, v19
	v_xor_b32_e32 v16, s34, v16
	v_cmp_gt_i64_e64 s[34:35], 0, v[14:15]
	v_not_b32_e32 v15, v15
	v_ashrrev_i32_e32 v15, 31, v15
	v_and_b32_e32 v16, exec_lo, v16
	v_xor_b32_e32 v86, s35, v15
	v_xor_b32_e32 v15, s34, v15
	v_and_b32_e32 v16, v16, v15
	v_lshlrev_b32_e32 v15, 29, v19
	v_cmp_gt_i64_e64 s[34:35], 0, v[14:15]
	v_not_b32_e32 v15, v15
	v_ashrrev_i32_e32 v15, 31, v15
	v_and_b32_e32 v17, v17, v86
	v_xor_b32_e32 v86, s35, v15
	v_xor_b32_e32 v15, s34, v15
	v_and_b32_e32 v16, v16, v15
	v_lshlrev_b32_e32 v15, 28, v19
	v_cmp_gt_i64_e64 s[34:35], 0, v[14:15]
	v_not_b32_e32 v15, v15
	v_ashrrev_i32_e32 v15, 31, v15
	v_and_b32_e32 v17, v17, v86
	;; [unrolled: 8-line block ×5, first 2 shown]
	v_xor_b32_e32 v86, s35, v15
	v_xor_b32_e32 v15, s34, v15
	v_and_b32_e32 v16, v16, v15
	v_lshlrev_b32_e32 v15, 24, v19
	v_cmp_gt_i64_e64 s[34:35], 0, v[14:15]
	v_not_b32_e32 v15, v15
	v_ashrrev_i32_e32 v15, 31, v15
	v_xor_b32_e32 v19, s35, v15
	v_xor_b32_e32 v15, s34, v15
	v_and_b32_e32 v17, v17, v86
	v_and_b32_e32 v16, v16, v15
	;; [unrolled: 1-line block ×3, first 2 shown]
	v_mbcnt_lo_u32_b32 v15, v16, 0
	v_mbcnt_hi_u32_b32 v116, v17, v15
	v_cmp_eq_u32_e64 s[34:35], 0, v116
	v_cmp_ne_u64_e64 s[36:37], 0, v[16:17]
	s_and_b64 s[36:37], s[36:37], s[34:35]
	; wave barrier
	s_and_saveexec_b64 s[34:35], s[36:37]
	s_cbranch_execz .LBB1428_41
; %bb.40:                               ;   in Loop: Header=BB1428_29 Depth=1
	v_bcnt_u32_b32 v15, v16, 0
	v_bcnt_u32_b32 v15, v17, v15
	s_waitcnt vmcnt(0) lgkmcnt(0)
	v_add_u32_e32 v15, v115, v15
	flat_store_dword v[84:85], v15
.LBB1428_41:                            ;   in Loop: Header=BB1428_29 Depth=1
	s_or_b64 exec, exec, s[34:35]
	v_cmp_ne_u32_e64 s[34:35], s47, v165
	v_cndmask_b32_e64 v15, v25, v165, s[34:35]
	v_lshrrev_b32_e32 v15, v10, v15
	v_and_b32_e32 v19, v15, v18
	v_lshl_add_u32 v16, v19, 2, v161
	v_mov_b32_e32 v17, v14
	v_lshlrev_b64 v[16:17], 2, v[16:17]
	v_add_co_u32_e64 v86, s[34:35], v151, v16
	v_addc_co_u32_e64 v87, s[34:35], v160, v17, s[34:35]
	; wave barrier
	flat_load_dword v117, v[86:87]
	v_and_b32_e32 v15, 1, v19
	v_add_co_u32_e64 v16, s[34:35], -1, v15
	v_addc_co_u32_e64 v17, s[34:35], 0, -1, s[34:35]
	v_cmp_ne_u32_e64 s[34:35], 0, v15
	v_xor_b32_e32 v15, s35, v17
	v_and_b32_e32 v17, exec_hi, v15
	v_lshlrev_b32_e32 v15, 30, v19
	v_xor_b32_e32 v16, s34, v16
	v_cmp_gt_i64_e64 s[34:35], 0, v[14:15]
	v_not_b32_e32 v15, v15
	v_ashrrev_i32_e32 v15, 31, v15
	v_and_b32_e32 v16, exec_lo, v16
	v_xor_b32_e32 v96, s35, v15
	v_xor_b32_e32 v15, s34, v15
	v_and_b32_e32 v16, v16, v15
	v_lshlrev_b32_e32 v15, 29, v19
	v_cmp_gt_i64_e64 s[34:35], 0, v[14:15]
	v_not_b32_e32 v15, v15
	v_ashrrev_i32_e32 v15, 31, v15
	v_and_b32_e32 v17, v17, v96
	v_xor_b32_e32 v96, s35, v15
	v_xor_b32_e32 v15, s34, v15
	v_and_b32_e32 v16, v16, v15
	v_lshlrev_b32_e32 v15, 28, v19
	v_cmp_gt_i64_e64 s[34:35], 0, v[14:15]
	v_not_b32_e32 v15, v15
	v_ashrrev_i32_e32 v15, 31, v15
	v_and_b32_e32 v17, v17, v96
	;; [unrolled: 8-line block ×5, first 2 shown]
	v_xor_b32_e32 v96, s35, v15
	v_xor_b32_e32 v15, s34, v15
	v_and_b32_e32 v16, v16, v15
	v_lshlrev_b32_e32 v15, 24, v19
	v_cmp_gt_i64_e64 s[34:35], 0, v[14:15]
	v_not_b32_e32 v15, v15
	v_ashrrev_i32_e32 v15, 31, v15
	v_xor_b32_e32 v19, s35, v15
	v_xor_b32_e32 v15, s34, v15
	v_and_b32_e32 v17, v17, v96
	v_and_b32_e32 v16, v16, v15
	v_and_b32_e32 v17, v17, v19
	v_mbcnt_lo_u32_b32 v15, v16, 0
	v_mbcnt_hi_u32_b32 v118, v17, v15
	v_cmp_eq_u32_e64 s[34:35], 0, v118
	v_cmp_ne_u64_e64 s[36:37], 0, v[16:17]
	s_and_b64 s[36:37], s[36:37], s[34:35]
	; wave barrier
	s_and_saveexec_b64 s[34:35], s[36:37]
	s_cbranch_execz .LBB1428_43
; %bb.42:                               ;   in Loop: Header=BB1428_29 Depth=1
	v_bcnt_u32_b32 v15, v16, 0
	v_bcnt_u32_b32 v15, v17, v15
	s_waitcnt vmcnt(0) lgkmcnt(0)
	v_add_u32_e32 v15, v117, v15
	flat_store_dword v[86:87], v15
.LBB1428_43:                            ;   in Loop: Header=BB1428_29 Depth=1
	s_or_b64 exec, exec, s[34:35]
	v_cmp_ne_u32_e64 s[34:35], s47, v164
	v_cndmask_b32_e64 v15, v25, v164, s[34:35]
	v_lshrrev_b32_e32 v15, v10, v15
	v_and_b32_e32 v18, v15, v18
	v_lshl_add_u32 v16, v18, 2, v161
	v_mov_b32_e32 v17, v14
	v_lshlrev_b64 v[16:17], 2, v[16:17]
	v_add_co_u32_e64 v96, s[34:35], v151, v16
	v_addc_co_u32_e64 v97, s[34:35], v160, v17, s[34:35]
	; wave barrier
	flat_load_dword v119, v[96:97]
	v_and_b32_e32 v15, 1, v18
	v_add_co_u32_e64 v16, s[34:35], -1, v15
	v_addc_co_u32_e64 v17, s[34:35], 0, -1, s[34:35]
	v_cmp_ne_u32_e64 s[34:35], 0, v15
	v_xor_b32_e32 v15, s35, v17
	v_and_b32_e32 v17, exec_hi, v15
	v_lshlrev_b32_e32 v15, 30, v18
	v_xor_b32_e32 v16, s34, v16
	v_cmp_gt_i64_e64 s[34:35], 0, v[14:15]
	v_not_b32_e32 v15, v15
	v_ashrrev_i32_e32 v15, 31, v15
	v_and_b32_e32 v16, exec_lo, v16
	v_xor_b32_e32 v19, s35, v15
	v_xor_b32_e32 v15, s34, v15
	v_and_b32_e32 v16, v16, v15
	v_lshlrev_b32_e32 v15, 29, v18
	v_cmp_gt_i64_e64 s[34:35], 0, v[14:15]
	v_not_b32_e32 v15, v15
	v_ashrrev_i32_e32 v15, 31, v15
	v_and_b32_e32 v17, v17, v19
	v_xor_b32_e32 v19, s35, v15
	v_xor_b32_e32 v15, s34, v15
	v_and_b32_e32 v16, v16, v15
	v_lshlrev_b32_e32 v15, 28, v18
	v_cmp_gt_i64_e64 s[34:35], 0, v[14:15]
	v_not_b32_e32 v15, v15
	v_ashrrev_i32_e32 v15, 31, v15
	v_and_b32_e32 v17, v17, v19
	;; [unrolled: 8-line block ×5, first 2 shown]
	v_xor_b32_e32 v19, s35, v15
	v_xor_b32_e32 v15, s34, v15
	v_and_b32_e32 v16, v16, v15
	v_lshlrev_b32_e32 v15, 24, v18
	v_cmp_gt_i64_e64 s[34:35], 0, v[14:15]
	v_not_b32_e32 v15, v15
	v_ashrrev_i32_e32 v15, 31, v15
	v_xor_b32_e32 v18, s35, v15
	v_xor_b32_e32 v15, s34, v15
	v_and_b32_e32 v17, v17, v19
	v_and_b32_e32 v16, v16, v15
	;; [unrolled: 1-line block ×3, first 2 shown]
	v_mbcnt_lo_u32_b32 v15, v16, 0
	v_mbcnt_hi_u32_b32 v15, v17, v15
	v_cmp_eq_u32_e64 s[34:35], 0, v15
	v_cmp_ne_u64_e64 s[36:37], 0, v[16:17]
	s_and_b64 s[36:37], s[36:37], s[34:35]
	; wave barrier
	s_and_saveexec_b64 s[34:35], s[36:37]
	s_cbranch_execz .LBB1428_45
; %bb.44:                               ;   in Loop: Header=BB1428_29 Depth=1
	v_bcnt_u32_b32 v16, v16, 0
	v_bcnt_u32_b32 v16, v17, v16
	s_waitcnt vmcnt(0) lgkmcnt(0)
	v_add_u32_e32 v16, v119, v16
	flat_store_dword v[96:97], v16
.LBB1428_45:                            ;   in Loop: Header=BB1428_29 Depth=1
	s_or_b64 exec, exec, s[34:35]
	; wave barrier
	s_waitcnt lgkmcnt(0)
	s_barrier
	flat_load_dwordx4 v[16:19], v[20:21] offset:16
	s_waitcnt vmcnt(0) lgkmcnt(0)
	v_add_u32_e32 v128, v17, v16
	v_add3_u32 v19, v128, v18, v19
	s_nop 1
	v_mov_b32_dpp v128, v19 row_shr:1 row_mask:0xf bank_mask:0xf
	v_cndmask_b32_e64 v128, v128, 0, vcc
	v_add_u32_e32 v19, v128, v19
	s_nop 1
	v_mov_b32_dpp v128, v19 row_shr:2 row_mask:0xf bank_mask:0xf
	v_cndmask_b32_e64 v128, 0, v128, s[4:5]
	v_add_u32_e32 v19, v19, v128
	s_nop 1
	v_mov_b32_dpp v128, v19 row_shr:4 row_mask:0xf bank_mask:0xf
	v_cndmask_b32_e64 v128, 0, v128, s[6:7]
	;; [unrolled: 4-line block ×3, first 2 shown]
	v_add_u32_e32 v19, v19, v128
	s_nop 1
	v_mov_b32_dpp v128, v19 row_bcast:15 row_mask:0xf bank_mask:0xf
	v_cndmask_b32_e64 v128, v128, 0, s[30:31]
	v_add_u32_e32 v19, v19, v128
	s_nop 1
	v_mov_b32_dpp v128, v19 row_bcast:31 row_mask:0xf bank_mask:0xf
	v_cndmask_b32_e64 v128, 0, v128, s[14:15]
	v_add_u32_e32 v19, v19, v128
	s_and_saveexec_b64 s[34:35], s[16:17]
	s_cbranch_execz .LBB1428_47
; %bb.46:                               ;   in Loop: Header=BB1428_29 Depth=1
	flat_store_dword v[38:39], v19
.LBB1428_47:                            ;   in Loop: Header=BB1428_29 Depth=1
	s_or_b64 exec, exec, s[34:35]
	s_waitcnt lgkmcnt(0)
	s_barrier
	s_and_saveexec_b64 s[34:35], s[18:19]
	s_cbranch_execz .LBB1428_49
; %bb.48:                               ;   in Loop: Header=BB1428_29 Depth=1
	flat_load_dword v128, v[4:5]
	s_waitcnt vmcnt(0) lgkmcnt(0)
	s_nop 0
	v_mov_b32_dpp v129, v128 row_shr:1 row_mask:0xf bank_mask:0xf
	v_cndmask_b32_e64 v129, v129, 0, s[26:27]
	v_add_u32_e32 v128, v129, v128
	s_nop 1
	v_mov_b32_dpp v129, v128 row_shr:2 row_mask:0xf bank_mask:0xf
	v_cndmask_b32_e64 v129, 0, v129, s[28:29]
	v_add_u32_e32 v128, v128, v129
	flat_store_dword v[4:5], v128
.LBB1428_49:                            ;   in Loop: Header=BB1428_29 Depth=1
	s_or_b64 exec, exec, s[34:35]
	v_mov_b32_e32 v128, 0
	s_waitcnt lgkmcnt(0)
	s_barrier
	s_and_saveexec_b64 s[34:35], s[20:21]
	s_cbranch_execz .LBB1428_51
; %bb.50:                               ;   in Loop: Header=BB1428_29 Depth=1
	flat_load_dword v128, v[52:53]
.LBB1428_51:                            ;   in Loop: Header=BB1428_29 Depth=1
	s_or_b64 exec, exec, s[34:35]
	s_waitcnt vmcnt(0) lgkmcnt(0)
	v_add_u32_e32 v19, v128, v19
	ds_bpermute_b32 v19, v162, v19
	v_add_u32_e32 v10, 8, v10
	v_cmp_lt_u32_e64 s[34:35], v10, v11
	s_mov_b64 s[44:45], -1
                                        ; implicit-def: $vgpr194
                                        ; implicit-def: $vgpr193
                                        ; implicit-def: $vgpr192
                                        ; implicit-def: $vgpr183
                                        ; implicit-def: $vgpr182
                                        ; implicit-def: $vgpr181
                                        ; implicit-def: $vgpr180
                                        ; implicit-def: $vgpr146_vgpr147
                                        ; implicit-def: $vgpr148_vgpr149
	s_waitcnt lgkmcnt(0)
	v_cndmask_b32_e64 v19, v19, v128, s[22:23]
	v_cndmask_b32_e64 v128, v19, 0, s[24:25]
	v_add_u32_e32 v129, v128, v16
	v_add_u32_e32 v130, v129, v17
	;; [unrolled: 1-line block ×3, first 2 shown]
	flat_store_dwordx4 v[20:21], v[128:131] offset:16
	s_waitcnt lgkmcnt(0)
	s_barrier
	flat_load_dword v16, v[66:67]
	flat_load_dword v18, v[68:69]
	;; [unrolled: 1-line block ×8, first 2 shown]
	v_mov_b32_e32 v17, v14
	v_mov_b32_e32 v19, v14
	;; [unrolled: 1-line block ×8, first 2 shown]
	s_waitcnt vmcnt(0) lgkmcnt(0)
	v_add_u32_e32 v16, v16, v98
	v_add3_u32 v18, v100, v99, v18
	v_add3_u32 v66, v102, v101, v128
	;; [unrolled: 1-line block ×3, first 2 shown]
	v_lshlrev_b64 v[128:129], 2, v[16:17]
	v_add_co_u32_e64 v144, s[36:37], v12, v128
	v_add3_u32 v80, v116, v115, v132
	v_add3_u32 v86, v118, v117, v133
	v_lshlrev_b64 v[116:117], 2, v[18:19]
	v_addc_co_u32_e64 v145, s[36:37], v13, v129, s[36:37]
	v_add3_u32 v70, v114, v113, v130
	v_add3_u32 v130, v15, v119, v134
	v_add_co_u32_e64 v134, s[36:37], v12, v116
	v_lshlrev_b64 v[102:103], 2, v[66:67]
	v_addc_co_u32_e64 v135, s[36:37], v13, v117, s[36:37]
	v_lshlrev_b64 v[16:17], 2, v[130:131]
	v_add_co_u32_e64 v130, s[36:37], v12, v102
	v_lshlrev_b64 v[96:97], 2, v[68:69]
	v_addc_co_u32_e64 v131, s[36:37], v13, v103, s[36:37]
	v_add_co_u32_e64 v118, s[36:37], v12, v96
	v_lshlrev_b64 v[84:85], 2, v[70:71]
	v_addc_co_u32_e64 v119, s[36:37], v13, v97, s[36:37]
	;; [unrolled: 3-line block ×4, first 2 shown]
	v_add_co_u32_e64 v98, s[36:37], v12, v18
	v_addc_co_u32_e64 v99, s[36:37], v13, v19, s[36:37]
	v_add_co_u32_e64 v86, s[36:37], v12, v16
	v_addc_co_u32_e64 v87, s[36:37], v13, v17, s[36:37]
                                        ; implicit-def: $vgpr15
                                        ; implicit-def: $vgpr66_vgpr67
                                        ; implicit-def: $vgpr68_vgpr69
                                        ; implicit-def: $vgpr70_vgpr71
                                        ; implicit-def: $vgpr80_vgpr81
                                        ; implicit-def: $vgpr100_vgpr101
                                        ; implicit-def: $vgpr132_vgpr133
	s_and_saveexec_b64 s[36:37], s[34:35]
	s_cbranch_execz .LBB1428_28
; %bb.52:                               ;   in Loop: Header=BB1428_29 Depth=1
	v_add_co_u32_e64 v66, s[34:35], v144, v128
	v_addc_co_u32_e64 v67, s[34:35], v145, v129, s[34:35]
	s_barrier
	flat_store_dword v[144:145], v179
	flat_store_dword v[134:135], v178
	;; [unrolled: 1-line block ×8, first 2 shown]
	s_waitcnt lgkmcnt(0)
	s_barrier
	flat_load_dword v180, v[54:55]
	flat_load_dword v15, v[54:55] offset:256
	flat_load_dword v181, v[54:55] offset:512
	;; [unrolled: 1-line block ×7, first 2 shown]
	s_waitcnt lgkmcnt(0)
	s_barrier
	flat_store_dwordx2 v[66:67], v[50:51]
	v_add_co_u32_e64 v66, s[34:35], v134, v116
	v_addc_co_u32_e64 v67, s[34:35], v135, v117, s[34:35]
	flat_store_dwordx2 v[66:67], v[48:49]
	v_add_co_u32_e64 v66, s[34:35], v130, v102
	v_addc_co_u32_e64 v67, s[34:35], v131, v103, s[34:35]
	;; [unrolled: 3-line block ×7, first 2 shown]
	flat_store_dwordx2 v[66:67], v[26:27]
	s_waitcnt lgkmcnt(0)
	s_barrier
	flat_load_dwordx2 v[66:67], v[64:65]
	flat_load_dwordx2 v[68:69], v[64:65] offset:512
	flat_load_dwordx2 v[70:71], v[64:65] offset:1024
	;; [unrolled: 1-line block ×7, first 2 shown]
	v_add_u32_e32 v163, -8, v163
	s_xor_b64 s[44:45], exec, -1
	s_waitcnt lgkmcnt(0)
	s_barrier
	s_branch .LBB1428_28
.LBB1428_53:
	s_or_b64 exec, exec, s[42:43]
	s_waitcnt vmcnt(0)
	v_or_b32_e32 v66, 0x1000, v1
	v_add_co_u32_e32 v10, vcc, v12, v66
	v_addc_co_u32_e32 v11, vcc, 0, v13, vcc
	s_movk_i32 s5, 0x1400
	v_add_co_u32_e32 v67, vcc, s5, v4
	s_movk_i32 s4, 0x1000
	v_addc_co_u32_e32 v68, vcc, 0, v5, vcc
	v_add_co_u32_e32 v14, vcc, s4, v4
	v_addc_co_u32_e32 v15, vcc, 0, v5, vcc
	s_movk_i32 s5, 0x1800
	v_add_co_u32_e32 v69, vcc, s5, v4
	v_addc_co_u32_e32 v70, vcc, 0, v5, vcc
	s_movk_i32 s5, 0x1c00
	v_add_co_u32_e32 v71, vcc, s5, v4
	v_addc_co_u32_e32 v80, vcc, 0, v5, vcc
	s_barrier
	flat_store_dword v[144:145], v179
	flat_store_dword v[134:135], v178
	;; [unrolled: 1-line block ×8, first 2 shown]
	s_waitcnt lgkmcnt(0)
	s_barrier
	flat_load_dword v65, v[4:5]
	flat_load_dword v64, v[4:5] offset:1024
	flat_load_dword v55, v[4:5] offset:2048
	;; [unrolled: 1-line block ×3, first 2 shown]
	flat_load_dword v53, v[10:11]
	flat_load_dword v52, v[14:15] offset:1024
	flat_load_dword v39, v[14:15] offset:2048
	flat_load_dword v38, v[14:15] offset:3072
	v_add_co_u32_e32 v4, vcc, v144, v128
	v_addc_co_u32_e32 v5, vcc, v145, v129, vcc
	s_waitcnt lgkmcnt(0)
	s_barrier
	flat_store_dwordx2 v[4:5], v[50:51]
	v_add_co_u32_e32 v4, vcc, v134, v116
	v_addc_co_u32_e32 v5, vcc, v135, v117, vcc
	flat_store_dwordx2 v[4:5], v[48:49]
	v_add_co_u32_e32 v4, vcc, v130, v102
	v_addc_co_u32_e32 v5, vcc, v131, v103, vcc
	;; [unrolled: 3-line block ×7, first 2 shown]
	flat_store_dwordx2 v[4:5], v[26:27]
	v_lshlrev_b32_e32 v4, 3, v24
	v_add_co_u32_e32 v4, vcc, v12, v4
	v_addc_co_u32_e32 v5, vcc, 0, v13, vcc
	v_add_co_u32_e32 v12, vcc, s4, v4
	v_addc_co_u32_e32 v13, vcc, 0, v5, vcc
	v_add_co_u32_e32 v26, vcc, v10, v66
	s_waitcnt lgkmcnt(0)
	s_barrier
	flat_load_dwordx2 v[24:25], v[4:5]
	flat_load_dwordx2 v[20:21], v[4:5] offset:2048
	flat_load_dwordx2 v[18:19], v[12:13]
	flat_load_dwordx2 v[14:15], v[12:13] offset:2048
	v_addc_co_u32_e32 v27, vcc, 0, v11, vcc
	v_add_u32_e32 v4, 0x1400, v1
	v_add_co_u32_e32 v28, vcc, v67, v4
	v_addc_co_u32_e32 v29, vcc, 0, v68, vcc
	v_add_u32_e32 v4, 0x1800, v1
	v_add_co_u32_e32 v30, vcc, v69, v4
	;; [unrolled: 3-line block ×3, first 2 shown]
	v_addc_co_u32_e32 v33, vcc, 0, v80, vcc
	flat_load_dwordx2 v[16:17], v[26:27]
	flat_load_dwordx2 v[12:13], v[28:29]
	;; [unrolled: 1-line block ×4, first 2 shown]
	v_mov_b32_e32 v1, 0
	v_add_co_u32_e32 v22, vcc, v2, v22
	v_addc_co_u32_e32 v23, vcc, v3, v23, vcc
	v_lshlrev_b64 v[2:3], 2, v[0:1]
	v_add_co_u32_e32 v2, vcc, v22, v2
	v_addc_co_u32_e32 v3, vcc, v23, v3, vcc
	v_cmp_lt_u32_e64 s[4:5], v0, v150
	s_waitcnt lgkmcnt(0)
	s_barrier
	s_and_saveexec_b64 s[6:7], s[4:5]
	s_cbranch_execz .LBB1428_55
; %bb.54:
	v_bfrev_b32_e32 v22, 1
	s_waitcnt vmcnt(0)
	v_cmp_lt_i32_e32 vcc, -1, v65
	v_cndmask_b32_e64 v22, v22, -1, vcc
	v_xor_b32_e32 v22, v22, v65
	flat_store_dword v[2:3], v22
.LBB1428_55:
	s_or_b64 exec, exec, s[6:7]
	v_add_u32_e32 v22, 0x100, v0
	v_cmp_lt_u32_e64 s[6:7], v22, v150
	s_and_saveexec_b64 s[10:11], s[6:7]
	s_cbranch_execz .LBB1428_57
; %bb.56:
	v_bfrev_b32_e32 v22, 1
	s_waitcnt vmcnt(0)
	v_cmp_lt_i32_e32 vcc, -1, v64
	v_cndmask_b32_e64 v22, v22, -1, vcc
	v_xor_b32_e32 v22, v22, v64
	flat_store_dword v[2:3], v22 offset:1024
.LBB1428_57:
	s_or_b64 exec, exec, s[10:11]
	v_add_u32_e32 v22, 0x200, v0
	v_cmp_lt_u32_e64 s[10:11], v22, v150
	s_and_saveexec_b64 s[14:15], s[10:11]
	s_cbranch_execz .LBB1428_59
; %bb.58:
	v_bfrev_b32_e32 v22, 1
	s_waitcnt vmcnt(0)
	v_cmp_lt_i32_e32 vcc, -1, v55
	v_cndmask_b32_e64 v22, v22, -1, vcc
	v_xor_b32_e32 v22, v22, v55
	flat_store_dword v[2:3], v22 offset:2048
.LBB1428_59:
	;; [unrolled: 13-line block ×3, first 2 shown]
	s_or_b64 exec, exec, s[14:15]
	v_add_u32_e32 v22, 0x400, v0
	v_cmp_lt_u32_e64 s[14:15], v22, v150
	s_and_saveexec_b64 s[16:17], s[14:15]
	s_cbranch_execz .LBB1428_63
; %bb.62:
	v_bfrev_b32_e32 v22, 1
	s_waitcnt vmcnt(0)
	v_cmp_lt_i32_e32 vcc, -1, v53
	v_cndmask_b32_e64 v22, v22, -1, vcc
	v_xor_b32_e32 v26, v22, v53
	v_add_co_u32_e32 v22, vcc, 0x1000, v2
	v_addc_co_u32_e32 v23, vcc, 0, v3, vcc
	flat_store_dword v[22:23], v26
.LBB1428_63:
	s_or_b64 exec, exec, s[16:17]
	v_add_u32_e32 v22, 0x500, v0
	v_cmp_lt_u32_e64 s[16:17], v22, v150
	s_and_saveexec_b64 s[18:19], s[16:17]
	s_cbranch_execz .LBB1428_65
; %bb.64:
	v_bfrev_b32_e32 v22, 1
	s_waitcnt vmcnt(0)
	v_cmp_lt_i32_e32 vcc, -1, v52
	v_cndmask_b32_e64 v22, v22, -1, vcc
	v_xor_b32_e32 v26, v22, v52
	v_add_co_u32_e32 v22, vcc, 0x1000, v2
	v_addc_co_u32_e32 v23, vcc, 0, v3, vcc
	flat_store_dword v[22:23], v26 offset:1024
.LBB1428_65:
	s_or_b64 exec, exec, s[18:19]
	v_add_u32_e32 v22, 0x600, v0
	v_cmp_lt_u32_e64 s[18:19], v22, v150
	s_and_saveexec_b64 s[20:21], s[18:19]
	s_cbranch_execz .LBB1428_67
; %bb.66:
	v_bfrev_b32_e32 v22, 1
	s_waitcnt vmcnt(0)
	v_cmp_lt_i32_e32 vcc, -1, v39
	v_cndmask_b32_e64 v22, v22, -1, vcc
	v_xor_b32_e32 v26, v22, v39
	v_add_co_u32_e32 v22, vcc, 0x1000, v2
	v_addc_co_u32_e32 v23, vcc, 0, v3, vcc
	flat_store_dword v[22:23], v26 offset:2048
.LBB1428_67:
	s_or_b64 exec, exec, s[20:21]
	v_add_u32_e32 v22, 0x700, v0
	v_cmp_lt_u32_e64 s[20:21], v22, v150
	s_and_saveexec_b64 s[24:25], s[20:21]
	s_cbranch_execz .LBB1428_69
; %bb.68:
	v_bfrev_b32_e32 v22, 1
	s_waitcnt vmcnt(0)
	v_cmp_lt_i32_e32 vcc, -1, v38
	v_cndmask_b32_e64 v22, v22, -1, vcc
	v_add_co_u32_e32 v2, vcc, 0x1000, v2
	v_xor_b32_e32 v22, v22, v38
	v_addc_co_u32_e32 v3, vcc, 0, v3, vcc
	flat_store_dword v[2:3], v22 offset:3072
.LBB1428_69:
	s_or_b64 exec, exec, s[24:25]
	v_add_co_u32_e32 v2, vcc, v6, v8
	v_addc_co_u32_e32 v3, vcc, v7, v9, vcc
	v_lshlrev_b64 v[0:1], 3, v[0:1]
	v_add_co_u32_e32 v0, vcc, v2, v0
	v_addc_co_u32_e32 v1, vcc, v3, v1, vcc
	s_and_saveexec_b64 s[24:25], s[4:5]
	s_cbranch_execnz .LBB1428_119
; %bb.70:
	s_or_b64 exec, exec, s[24:25]
	s_and_saveexec_b64 s[4:5], s[6:7]
	s_cbranch_execnz .LBB1428_120
.LBB1428_71:
	s_or_b64 exec, exec, s[4:5]
	s_and_saveexec_b64 s[4:5], s[10:11]
	s_cbranch_execnz .LBB1428_121
.LBB1428_72:
	s_or_b64 exec, exec, s[4:5]
	s_and_saveexec_b64 s[4:5], s[22:23]
	s_cbranch_execnz .LBB1428_122
.LBB1428_73:
	s_or_b64 exec, exec, s[4:5]
	s_and_saveexec_b64 s[4:5], s[14:15]
	s_cbranch_execnz .LBB1428_123
.LBB1428_74:
	s_or_b64 exec, exec, s[4:5]
	s_and_saveexec_b64 s[4:5], s[16:17]
	s_cbranch_execnz .LBB1428_124
.LBB1428_75:
	s_or_b64 exec, exec, s[4:5]
	s_and_saveexec_b64 s[4:5], s[18:19]
	s_cbranch_execnz .LBB1428_125
.LBB1428_76:
	s_or_b64 exec, exec, s[4:5]
	s_and_saveexec_b64 s[4:5], s[20:21]
	s_cbranch_execz .LBB1428_78
.LBB1428_77:
	v_add_co_u32_e32 v0, vcc, 0x3000, v0
	v_addc_co_u32_e32 v1, vcc, 0, v1, vcc
	s_waitcnt vmcnt(0)
	flat_store_dwordx2 v[0:1], v[4:5] offset:2048
.LBB1428_78:
	s_or_b64 exec, exec, s[4:5]
                                        ; implicit-def: $vgpr150
                                        ; implicit-def: $vgpr0
                                        ; implicit-def: $vgpr1
                                        ; implicit-def: $vgpr2
                                        ; implicit-def: $vgpr3
                                        ; implicit-def: $vgpr4
                                        ; implicit-def: $vgpr5
                                        ; implicit-def: $vgpr6
                                        ; implicit-def: $vgpr7
                                        ; implicit-def: $vgpr8
                                        ; implicit-def: $vgpr10
                                        ; implicit-def: $vgpr11
                                        ; implicit-def: $vgpr12
                                        ; implicit-def: $vgpr13
                                        ; implicit-def: $vgpr31
                                        ; implicit-def: $vgpr14
                                        ; implicit-def: $vgpr15
                                        ; implicit-def: $vgpr16
.LBB1428_79:
	s_andn2_saveexec_b64 s[4:5], s[40:41]
	s_cbranch_execz .LBB1428_199
; %bb.80:
	s_movk_i32 s4, 0x200
	v_cmp_lt_u32_e32 vcc, s4, v150
	s_and_saveexec_b64 s[4:5], vcc
	s_xor_b64 s[40:41], exec, s[4:5]
	s_cbranch_execz .LBB1428_140
; %bb.81:
	s_load_dwordx2 s[4:5], s[8:9], 0x0
	v_mov_b32_e32 v9, 0
	s_waitcnt vmcnt(0)
	v_mbcnt_hi_u32_b32 v32, -1, v16
	v_lshlrev_b64 v[24:25], 2, v[8:9]
	v_and_b32_e32 v34, 63, v32
	s_waitcnt lgkmcnt(0)
	s_cmp_lt_u32 s12, s4
	s_cselect_b32 s6, 12, 18
	s_cmp_lt_u32 s13, s5
	s_cselect_b32 s4, 14, 20
	s_add_u32 s4, s8, s4
	s_addc_u32 s5, s9, 0
	s_add_u32 s6, s8, s6
	global_load_ushort v17, v9, s[4:5]
	s_addc_u32 s7, s9, 0
	global_load_ushort v18, v9, s[6:7]
	v_add_co_u32_e32 v0, vcc, v0, v24
	v_addc_co_u32_e32 v1, vcc, v1, v25, vcc
	v_lshlrev_b32_e32 v16, 2, v34
	v_and_b32_e32 v22, 0x3ff, v31
	v_add_co_u32_e32 v16, vcc, v0, v16
	v_addc_co_u32_e32 v21, vcc, 0, v1, vcc
	v_mov_b32_e32 v19, v9
	s_brev_b32 s4, -2
	s_mov_b32 s6, s4
	s_mov_b32 s7, s4
	;; [unrolled: 1-line block ×3, first 2 shown]
	s_waitcnt vmcnt(1)
	v_mad_u32_u24 v0, v15, v17, v14
	s_waitcnt vmcnt(0)
	v_mad_u64_u32 v[0:1], s[10:11], v0, v18, v[22:23]
	v_lshlrev_b32_e32 v1, 2, v0
	v_and_b32_e32 v18, 0xffffff00, v1
	v_lshlrev_b64 v[14:15], 2, v[18:19]
	v_add_co_u32_e32 v20, vcc, v16, v14
	v_or_b32_e32 v1, v18, v34
	v_addc_co_u32_e32 v21, vcc, v21, v15, vcc
	v_pk_mov_b32 v[16:17], s[6:7], s[6:7] op_sel:[0,1]
	v_cmp_lt_u32_e32 vcc, v1, v150
	v_pk_mov_b32 v[14:15], s[4:5], s[4:5] op_sel:[0,1]
	s_and_saveexec_b64 s[4:5], vcc
	s_cbranch_execz .LBB1428_83
; %bb.82:
	flat_load_dword v14, v[20:21]
	v_bfrev_b32_e32 v15, -2
	v_mov_b32_e32 v16, v15
	v_mov_b32_e32 v17, v15
.LBB1428_83:
	s_or_b64 exec, exec, s[4:5]
	v_or_b32_e32 v23, 64, v1
	v_cmp_lt_u32_e64 s[4:5], v23, v150
	s_and_saveexec_b64 s[6:7], s[4:5]
	s_cbranch_execz .LBB1428_85
; %bb.84:
	flat_load_dword v15, v[20:21] offset:256
.LBB1428_85:
	s_or_b64 exec, exec, s[6:7]
	v_or_b32_e32 v23, 0x80, v1
	v_cmp_lt_u32_e64 s[6:7], v23, v150
	s_and_saveexec_b64 s[10:11], s[6:7]
	s_cbranch_execz .LBB1428_87
; %bb.86:
	flat_load_dword v16, v[20:21] offset:512
.LBB1428_87:
	;; [unrolled: 8-line block ×3, first 2 shown]
	s_or_b64 exec, exec, s[14:15]
	v_lshlrev_b64 v[8:9], 3, v[8:9]
	v_add_co_u32_e64 v1, s[14:15], v4, v8
	v_addc_co_u32_e64 v4, s[14:15], v5, v9, s[14:15]
	v_lshlrev_b32_e32 v5, 3, v34
	v_add_co_u32_e64 v1, s[14:15], v1, v5
	v_addc_co_u32_e64 v20, s[14:15], 0, v4, s[14:15]
	v_lshlrev_b64 v[4:5], 3, v[18:19]
	v_add_co_u32_e64 v4, s[14:15], v1, v4
	v_addc_co_u32_e64 v5, s[14:15], v20, v5, s[14:15]
                                        ; implicit-def: $vgpr18_vgpr19
	s_and_saveexec_b64 s[14:15], vcc
	s_cbranch_execnz .LBB1428_164
; %bb.90:
	s_or_b64 exec, exec, s[14:15]
                                        ; implicit-def: $vgpr20_vgpr21
	s_and_saveexec_b64 s[14:15], s[4:5]
	s_cbranch_execnz .LBB1428_165
.LBB1428_91:
	s_or_b64 exec, exec, s[14:15]
                                        ; implicit-def: $vgpr54_vgpr55
	s_and_saveexec_b64 s[4:5], s[6:7]
	s_cbranch_execnz .LBB1428_166
.LBB1428_92:
	s_or_b64 exec, exec, s[4:5]
                                        ; implicit-def: $vgpr64_vgpr65
	s_and_saveexec_b64 s[4:5], s[10:11]
	s_cbranch_execz .LBB1428_94
.LBB1428_93:
	flat_load_dwordx2 v[64:65], v[4:5] offset:1536
.LBB1428_94:
	s_or_b64 exec, exec, s[4:5]
	v_bfrev_b32_e32 v1, 1
	s_waitcnt vmcnt(0) lgkmcnt(0)
	v_cmp_lt_i32_e32 vcc, -1, v14
	v_cndmask_b32_e32 v4, -1, v1, vcc
	v_cmp_lt_i32_e32 vcc, -1, v15
	v_xor_b32_e32 v114, v4, v14
	v_cndmask_b32_e32 v4, -1, v1, vcc
	v_cmp_lt_i32_e32 vcc, -1, v16
	v_xor_b32_e32 v115, v4, v15
	;; [unrolled: 3-line block ×3, first 2 shown]
	v_cndmask_b32_e32 v4, -1, v1, vcc
	v_add_co_u32_e32 v23, vcc, 16, v12
	v_and_b32_e32 v14, 0x3c0, v22
	v_xor_b32_e32 v117, v4, v17
	v_addc_co_u32_e32 v98, vcc, 0, v13, vcc
	v_lshlrev_b32_e32 v4, 4, v22
	v_min_u32_e32 v14, 0xc0, v14
	v_add_co_u32_e32 v26, vcc, v12, v4
	v_or_b32_e32 v14, 63, v14
	s_getpc_b64 s[4:5]
	s_add_u32 s4, s4, _ZN7rocprim17ROCPRIM_400000_NS16block_radix_sortIfLj256ELj4ElLj1ELj1ELj8ELNS0_26block_radix_rank_algorithmE2ELNS0_18block_padding_hintE2ELNS0_4arch9wavefront6targetE1EE19radix_bits_per_passE@rel32@lo+4
	s_addc_u32 s5, s5, _ZN7rocprim17ROCPRIM_400000_NS16block_radix_sortIfLj256ELj4ElLj1ELj1ELj8ELNS0_26block_radix_rank_algorithmE2ELNS0_18block_padding_hintE2ELNS0_4arch9wavefront6targetE1EE19radix_bits_per_passE@rel32@hi+12
	v_addc_co_u32_e32 v27, vcc, 0, v13, vcc
	v_and_b32_e32 v4, 15, v32
	v_cmp_eq_u32_e64 s[16:17], v14, v22
	v_add_u32_e32 v14, -1, v32
	v_and_b32_e32 v15, 64, v32
	s_load_dword s46, s[4:5], 0x0
	v_cmp_eq_u32_e32 vcc, 0, v4
	v_cmp_lt_u32_e64 s[4:5], 1, v4
	v_cmp_lt_u32_e64 s[6:7], 3, v4
	;; [unrolled: 1-line block ×3, first 2 shown]
	v_and_b32_e32 v4, 16, v32
	v_cmp_lt_i32_e64 s[22:23], v14, v15
	v_cmp_eq_u32_e64 s[30:31], 0, v4
	v_lshrrev_b32_e32 v4, 6, v22
	v_cndmask_b32_e64 v14, v14, v32, s[22:23]
	v_lshlrev_b32_e32 v100, 2, v14
	v_lshlrev_b32_e32 v14, 2, v4
	v_add_co_u32_e64 v30, s[26:27], v12, v14
	v_lshlrev_b32_e32 v16, 2, v22
	v_addc_co_u32_e64 v31, s[26:27], 0, v13, s[26:27]
	v_add_co_u32_e64 v28, s[26:27], v12, v16
	v_mov_b32_e32 v5, 0
	v_addc_co_u32_e64 v29, s[26:27], 0, v13, s[26:27]
	v_and_b32_e32 v14, 3, v32
	v_add_u32_e32 v4, -1, v4
	v_cmp_eq_u32_e64 s[26:27], 0, v14
	v_cmp_lt_u32_e64 s[28:29], 1, v14
	v_lshlrev_b64 v[14:15], 2, v[4:5]
	v_cmp_lt_u32_e64 s[14:15], 31, v32
	v_cmp_eq_u32_e64 s[22:23], 0, v32
	v_add_co_u32_e64 v32, s[34:35], v12, v14
	v_addc_co_u32_e64 v33, s[34:35], v13, v15, s[34:35]
	s_movk_i32 s34, 0xf00
	v_and_or_b32 v4, v16, s34, v34
	v_lshlrev_b32_e32 v4, 2, v4
	v_add_co_u32_e64 v36, s[34:35], v12, v4
	v_addc_co_u32_e64 v37, s[34:35], 0, v13, s[34:35]
	v_add_co_u32_e64 v48, s[34:35], v36, v4
	v_lshrrev_b32_e32 v99, 6, v0
	v_cmp_gt_u32_e64 s[18:19], 4, v22
	v_cmp_lt_u32_e64 s[20:21], 63, v22
	v_cmp_eq_u32_e64 s[24:25], 0, v22
	v_addc_co_u32_e64 v49, s[34:35], 0, v37, s[34:35]
	v_sub_u32_e32 v101, v11, v10
	s_mov_b64 s[42:43], 0
	s_brev_b32 s47, -2
	v_mov_b32_e32 v14, v5
	v_mov_b32_e32 v15, v5
	v_mov_b32_e32 v16, v5
	v_mov_b32_e32 v17, v5
	s_waitcnt lgkmcnt(0)
	s_barrier
	s_branch .LBB1428_96
.LBB1428_95:                            ;   in Loop: Header=BB1428_96 Depth=1
	s_or_b64 exec, exec, s[36:37]
	s_and_b64 s[34:35], exec, s[44:45]
	s_or_b64 s[42:43], s[34:35], s[42:43]
	s_andn2_b64 exec, exec, s[42:43]
	s_cbranch_execz .LBB1428_126
.LBB1428_96:                            ; =>This Inner Loop Header: Depth=1
	s_waitcnt vmcnt(0)
	v_mov_b32_e32 v113, v114
	v_min_u32_e32 v4, s46, v101
	v_lshlrev_b32_e64 v4, v4, -1
	v_cmp_ne_u32_e64 s[34:35], s47, v113
	v_pk_mov_b32 v[50:51], v[20:21], v[20:21] op_sel:[0,1]
	v_not_b32_e32 v20, v4
	v_cndmask_b32_e64 v4, v1, v113, s[34:35]
	v_lshrrev_b32_e32 v4, v10, v4
	v_and_b32_e32 v21, v4, v20
	v_lshl_add_u32 v4, v21, 2, v99
	v_pk_mov_b32 v[52:53], v[18:19], v[18:19] op_sel:[0,1]
	v_lshlrev_b64 v[18:19], 2, v[4:5]
	v_pk_mov_b32 v[38:39], v[54:55], v[54:55] op_sel:[0,1]
	v_add_co_u32_e64 v54, s[34:35], v23, v18
	v_addc_co_u32_e64 v55, s[34:35], v98, v19, s[34:35]
	v_and_b32_e32 v4, 1, v21
	v_add_co_u32_e64 v18, s[34:35], -1, v4
	v_addc_co_u32_e64 v19, s[34:35], 0, -1, s[34:35]
	v_cmp_ne_u32_e64 s[34:35], 0, v4
	v_xor_b32_e32 v18, s34, v18
	v_pk_mov_b32 v[34:35], v[64:65], v[64:65] op_sel:[0,1]
	v_xor_b32_e32 v4, s35, v19
	v_and_b32_e32 v64, exec_lo, v18
	v_lshlrev_b32_e32 v19, 30, v21
	v_mov_b32_e32 v18, v5
	v_cmp_gt_i64_e64 s[34:35], 0, v[18:19]
	v_not_b32_e32 v18, v19
	v_ashrrev_i32_e32 v18, 31, v18
	v_and_b32_e32 v4, exec_hi, v4
	v_xor_b32_e32 v19, s35, v18
	v_xor_b32_e32 v18, s34, v18
	v_and_b32_e32 v4, v4, v19
	v_and_b32_e32 v64, v64, v18
	v_lshlrev_b32_e32 v19, 29, v21
	v_mov_b32_e32 v18, v5
	v_cmp_gt_i64_e64 s[34:35], 0, v[18:19]
	v_not_b32_e32 v18, v19
	v_ashrrev_i32_e32 v18, 31, v18
	v_xor_b32_e32 v19, s35, v18
	v_xor_b32_e32 v18, s34, v18
	v_and_b32_e32 v4, v4, v19
	v_and_b32_e32 v64, v64, v18
	v_lshlrev_b32_e32 v19, 28, v21
	v_mov_b32_e32 v18, v5
	v_cmp_gt_i64_e64 s[34:35], 0, v[18:19]
	v_not_b32_e32 v18, v19
	v_ashrrev_i32_e32 v18, 31, v18
	;; [unrolled: 9-line block ×6, first 2 shown]
	v_xor_b32_e32 v19, s35, v18
	v_xor_b32_e32 v18, s34, v18
	v_and_b32_e32 v18, v64, v18
	v_and_b32_e32 v19, v4, v19
	v_mbcnt_lo_u32_b32 v4, v18, 0
	v_mbcnt_hi_u32_b32 v70, v19, v4
	v_cmp_eq_u32_e64 s[34:35], 0, v70
	v_cmp_ne_u64_e64 s[36:37], 0, v[18:19]
	v_mov_b32_e32 v102, v117
	v_mov_b32_e32 v103, v116
	;; [unrolled: 1-line block ×3, first 2 shown]
	s_and_b64 s[36:37], s[36:37], s[34:35]
	flat_store_dwordx4 v[26:27], v[14:17] offset:16
	s_waitcnt lgkmcnt(0)
	s_barrier
	s_waitcnt lgkmcnt(0)
	; wave barrier
	s_and_saveexec_b64 s[34:35], s[36:37]
	s_cbranch_execz .LBB1428_98
; %bb.97:                               ;   in Loop: Header=BB1428_96 Depth=1
	v_bcnt_u32_b32 v4, v18, 0
	v_bcnt_u32_b32 v4, v19, v4
	flat_store_dword v[54:55], v4
.LBB1428_98:                            ;   in Loop: Header=BB1428_96 Depth=1
	s_or_b64 exec, exec, s[34:35]
	v_cmp_ne_u32_e64 s[34:35], s47, v112
	v_cndmask_b32_e64 v4, v1, v112, s[34:35]
	v_lshrrev_b32_e32 v4, v10, v4
	v_and_b32_e32 v21, v4, v20
	v_lshl_add_u32 v4, v21, 2, v99
	v_lshlrev_b64 v[18:19], 2, v[4:5]
	v_add_co_u32_e64 v64, s[34:35], v23, v18
	v_addc_co_u32_e64 v65, s[34:35], v98, v19, s[34:35]
	; wave barrier
	flat_load_dword v71, v[64:65]
	v_and_b32_e32 v4, 1, v21
	v_add_co_u32_e64 v18, s[34:35], -1, v4
	v_addc_co_u32_e64 v19, s[34:35], 0, -1, s[34:35]
	v_cmp_ne_u32_e64 s[34:35], 0, v4
	v_xor_b32_e32 v18, s34, v18
	v_xor_b32_e32 v4, s35, v19
	v_and_b32_e32 v66, exec_lo, v18
	v_lshlrev_b32_e32 v19, 30, v21
	v_mov_b32_e32 v18, v5
	v_cmp_gt_i64_e64 s[34:35], 0, v[18:19]
	v_not_b32_e32 v18, v19
	v_ashrrev_i32_e32 v18, 31, v18
	v_and_b32_e32 v4, exec_hi, v4
	v_xor_b32_e32 v19, s35, v18
	v_xor_b32_e32 v18, s34, v18
	v_and_b32_e32 v4, v4, v19
	v_and_b32_e32 v66, v66, v18
	v_lshlrev_b32_e32 v19, 29, v21
	v_mov_b32_e32 v18, v5
	v_cmp_gt_i64_e64 s[34:35], 0, v[18:19]
	v_not_b32_e32 v18, v19
	v_ashrrev_i32_e32 v18, 31, v18
	v_xor_b32_e32 v19, s35, v18
	v_xor_b32_e32 v18, s34, v18
	v_and_b32_e32 v4, v4, v19
	v_and_b32_e32 v66, v66, v18
	v_lshlrev_b32_e32 v19, 28, v21
	v_mov_b32_e32 v18, v5
	v_cmp_gt_i64_e64 s[34:35], 0, v[18:19]
	v_not_b32_e32 v18, v19
	v_ashrrev_i32_e32 v18, 31, v18
	;; [unrolled: 9-line block ×6, first 2 shown]
	v_xor_b32_e32 v19, s35, v18
	v_xor_b32_e32 v18, s34, v18
	v_and_b32_e32 v18, v66, v18
	v_and_b32_e32 v19, v4, v19
	v_mbcnt_lo_u32_b32 v4, v18, 0
	v_mbcnt_hi_u32_b32 v80, v19, v4
	v_cmp_eq_u32_e64 s[34:35], 0, v80
	v_cmp_ne_u64_e64 s[36:37], 0, v[18:19]
	s_and_b64 s[36:37], s[36:37], s[34:35]
	; wave barrier
	s_and_saveexec_b64 s[34:35], s[36:37]
	s_cbranch_execz .LBB1428_100
; %bb.99:                               ;   in Loop: Header=BB1428_96 Depth=1
	v_bcnt_u32_b32 v4, v18, 0
	v_bcnt_u32_b32 v4, v19, v4
	s_waitcnt vmcnt(0) lgkmcnt(0)
	v_add_u32_e32 v4, v71, v4
	flat_store_dword v[64:65], v4
.LBB1428_100:                           ;   in Loop: Header=BB1428_96 Depth=1
	s_or_b64 exec, exec, s[34:35]
	v_cmp_ne_u32_e64 s[34:35], s47, v103
	v_cndmask_b32_e64 v4, v1, v103, s[34:35]
	v_lshrrev_b32_e32 v4, v10, v4
	v_and_b32_e32 v21, v4, v20
	v_lshl_add_u32 v4, v21, 2, v99
	v_lshlrev_b64 v[18:19], 2, v[4:5]
	v_add_co_u32_e64 v66, s[34:35], v23, v18
	v_addc_co_u32_e64 v67, s[34:35], v98, v19, s[34:35]
	; wave barrier
	flat_load_dword v81, v[66:67]
	v_and_b32_e32 v4, 1, v21
	v_add_co_u32_e64 v18, s[34:35], -1, v4
	v_addc_co_u32_e64 v19, s[34:35], 0, -1, s[34:35]
	v_cmp_ne_u32_e64 s[34:35], 0, v4
	v_xor_b32_e32 v18, s34, v18
	v_xor_b32_e32 v4, s35, v19
	v_and_b32_e32 v68, exec_lo, v18
	v_lshlrev_b32_e32 v19, 30, v21
	v_mov_b32_e32 v18, v5
	v_cmp_gt_i64_e64 s[34:35], 0, v[18:19]
	v_not_b32_e32 v18, v19
	v_ashrrev_i32_e32 v18, 31, v18
	v_and_b32_e32 v4, exec_hi, v4
	v_xor_b32_e32 v19, s35, v18
	v_xor_b32_e32 v18, s34, v18
	v_and_b32_e32 v4, v4, v19
	v_and_b32_e32 v68, v68, v18
	v_lshlrev_b32_e32 v19, 29, v21
	v_mov_b32_e32 v18, v5
	v_cmp_gt_i64_e64 s[34:35], 0, v[18:19]
	v_not_b32_e32 v18, v19
	v_ashrrev_i32_e32 v18, 31, v18
	v_xor_b32_e32 v19, s35, v18
	v_xor_b32_e32 v18, s34, v18
	v_and_b32_e32 v4, v4, v19
	v_and_b32_e32 v68, v68, v18
	v_lshlrev_b32_e32 v19, 28, v21
	v_mov_b32_e32 v18, v5
	v_cmp_gt_i64_e64 s[34:35], 0, v[18:19]
	v_not_b32_e32 v18, v19
	v_ashrrev_i32_e32 v18, 31, v18
	;; [unrolled: 9-line block ×6, first 2 shown]
	v_xor_b32_e32 v19, s35, v18
	v_xor_b32_e32 v18, s34, v18
	v_and_b32_e32 v18, v68, v18
	v_and_b32_e32 v19, v4, v19
	v_mbcnt_lo_u32_b32 v4, v18, 0
	v_mbcnt_hi_u32_b32 v82, v19, v4
	v_cmp_eq_u32_e64 s[34:35], 0, v82
	v_cmp_ne_u64_e64 s[36:37], 0, v[18:19]
	s_and_b64 s[36:37], s[36:37], s[34:35]
	; wave barrier
	s_and_saveexec_b64 s[34:35], s[36:37]
	s_cbranch_execz .LBB1428_102
; %bb.101:                              ;   in Loop: Header=BB1428_96 Depth=1
	v_bcnt_u32_b32 v4, v18, 0
	v_bcnt_u32_b32 v4, v19, v4
	s_waitcnt vmcnt(0) lgkmcnt(0)
	v_add_u32_e32 v4, v81, v4
	flat_store_dword v[66:67], v4
.LBB1428_102:                           ;   in Loop: Header=BB1428_96 Depth=1
	s_or_b64 exec, exec, s[34:35]
	v_cmp_ne_u32_e64 s[34:35], s47, v102
	v_cndmask_b32_e64 v4, v1, v102, s[34:35]
	v_lshrrev_b32_e32 v4, v10, v4
	v_and_b32_e32 v20, v4, v20
	v_lshl_add_u32 v4, v20, 2, v99
	v_lshlrev_b64 v[18:19], 2, v[4:5]
	v_add_co_u32_e64 v68, s[34:35], v23, v18
	v_addc_co_u32_e64 v69, s[34:35], v98, v19, s[34:35]
	; wave barrier
	flat_load_dword v83, v[68:69]
	v_and_b32_e32 v4, 1, v20
	v_add_co_u32_e64 v18, s[34:35], -1, v4
	v_addc_co_u32_e64 v19, s[34:35], 0, -1, s[34:35]
	v_cmp_ne_u32_e64 s[34:35], 0, v4
	v_xor_b32_e32 v18, s34, v18
	v_xor_b32_e32 v4, s35, v19
	v_and_b32_e32 v21, exec_lo, v18
	v_lshlrev_b32_e32 v19, 30, v20
	v_mov_b32_e32 v18, v5
	v_cmp_gt_i64_e64 s[34:35], 0, v[18:19]
	v_not_b32_e32 v18, v19
	v_ashrrev_i32_e32 v18, 31, v18
	v_and_b32_e32 v4, exec_hi, v4
	v_xor_b32_e32 v19, s35, v18
	v_xor_b32_e32 v18, s34, v18
	v_and_b32_e32 v4, v4, v19
	v_and_b32_e32 v21, v21, v18
	v_lshlrev_b32_e32 v19, 29, v20
	v_mov_b32_e32 v18, v5
	v_cmp_gt_i64_e64 s[34:35], 0, v[18:19]
	v_not_b32_e32 v18, v19
	v_ashrrev_i32_e32 v18, 31, v18
	v_xor_b32_e32 v19, s35, v18
	v_xor_b32_e32 v18, s34, v18
	v_and_b32_e32 v4, v4, v19
	v_and_b32_e32 v21, v21, v18
	v_lshlrev_b32_e32 v19, 28, v20
	v_mov_b32_e32 v18, v5
	v_cmp_gt_i64_e64 s[34:35], 0, v[18:19]
	v_not_b32_e32 v18, v19
	v_ashrrev_i32_e32 v18, 31, v18
	;; [unrolled: 9-line block ×6, first 2 shown]
	v_xor_b32_e32 v19, s35, v18
	v_xor_b32_e32 v18, s34, v18
	v_and_b32_e32 v18, v21, v18
	v_and_b32_e32 v19, v4, v19
	v_mbcnt_lo_u32_b32 v4, v18, 0
	v_mbcnt_hi_u32_b32 v84, v19, v4
	v_cmp_eq_u32_e64 s[34:35], 0, v84
	v_cmp_ne_u64_e64 s[36:37], 0, v[18:19]
	s_and_b64 s[36:37], s[36:37], s[34:35]
	; wave barrier
	s_and_saveexec_b64 s[34:35], s[36:37]
	s_cbranch_execz .LBB1428_104
; %bb.103:                              ;   in Loop: Header=BB1428_96 Depth=1
	v_bcnt_u32_b32 v4, v18, 0
	v_bcnt_u32_b32 v4, v19, v4
	s_waitcnt vmcnt(0) lgkmcnt(0)
	v_add_u32_e32 v4, v83, v4
	flat_store_dword v[68:69], v4
.LBB1428_104:                           ;   in Loop: Header=BB1428_96 Depth=1
	s_or_b64 exec, exec, s[34:35]
	; wave barrier
	s_waitcnt lgkmcnt(0)
	s_barrier
	flat_load_dwordx4 v[18:21], v[26:27] offset:16
	s_waitcnt vmcnt(0) lgkmcnt(0)
	v_add_u32_e32 v4, v19, v18
	v_add3_u32 v4, v4, v20, v21
	s_nop 1
	v_mov_b32_dpp v21, v4 row_shr:1 row_mask:0xf bank_mask:0xf
	v_cndmask_b32_e64 v21, v21, 0, vcc
	v_add_u32_e32 v4, v21, v4
	s_nop 1
	v_mov_b32_dpp v21, v4 row_shr:2 row_mask:0xf bank_mask:0xf
	v_cndmask_b32_e64 v21, 0, v21, s[4:5]
	v_add_u32_e32 v4, v4, v21
	s_nop 1
	v_mov_b32_dpp v21, v4 row_shr:4 row_mask:0xf bank_mask:0xf
	v_cndmask_b32_e64 v21, 0, v21, s[6:7]
	;; [unrolled: 4-line block ×3, first 2 shown]
	v_add_u32_e32 v4, v4, v21
	s_nop 1
	v_mov_b32_dpp v21, v4 row_bcast:15 row_mask:0xf bank_mask:0xf
	v_cndmask_b32_e64 v21, v21, 0, s[30:31]
	v_add_u32_e32 v4, v4, v21
	s_nop 1
	v_mov_b32_dpp v21, v4 row_bcast:31 row_mask:0xf bank_mask:0xf
	v_cndmask_b32_e64 v21, 0, v21, s[14:15]
	v_add_u32_e32 v4, v4, v21
	s_and_saveexec_b64 s[34:35], s[16:17]
	s_cbranch_execz .LBB1428_106
; %bb.105:                              ;   in Loop: Header=BB1428_96 Depth=1
	flat_store_dword v[30:31], v4
.LBB1428_106:                           ;   in Loop: Header=BB1428_96 Depth=1
	s_or_b64 exec, exec, s[34:35]
	s_waitcnt lgkmcnt(0)
	s_barrier
	s_and_saveexec_b64 s[34:35], s[18:19]
	s_cbranch_execz .LBB1428_108
; %bb.107:                              ;   in Loop: Header=BB1428_96 Depth=1
	flat_load_dword v21, v[28:29]
	s_waitcnt vmcnt(0) lgkmcnt(0)
	s_nop 0
	v_mov_b32_dpp v85, v21 row_shr:1 row_mask:0xf bank_mask:0xf
	v_cndmask_b32_e64 v85, v85, 0, s[26:27]
	v_add_u32_e32 v21, v85, v21
	s_nop 1
	v_mov_b32_dpp v85, v21 row_shr:2 row_mask:0xf bank_mask:0xf
	v_cndmask_b32_e64 v85, 0, v85, s[28:29]
	v_add_u32_e32 v21, v21, v85
	flat_store_dword v[28:29], v21
.LBB1428_108:                           ;   in Loop: Header=BB1428_96 Depth=1
	s_or_b64 exec, exec, s[34:35]
	v_mov_b32_e32 v21, 0
	s_waitcnt lgkmcnt(0)
	s_barrier
	s_and_saveexec_b64 s[34:35], s[20:21]
	s_cbranch_execz .LBB1428_110
; %bb.109:                              ;   in Loop: Header=BB1428_96 Depth=1
	flat_load_dword v21, v[32:33]
.LBB1428_110:                           ;   in Loop: Header=BB1428_96 Depth=1
	s_or_b64 exec, exec, s[34:35]
	s_waitcnt vmcnt(0) lgkmcnt(0)
	v_add_u32_e32 v4, v21, v4
	ds_bpermute_b32 v4, v100, v4
	v_add_u32_e32 v10, 8, v10
	v_cmp_lt_u32_e64 s[34:35], v10, v11
	s_mov_b64 s[44:45], -1
	s_waitcnt lgkmcnt(0)
	v_cndmask_b32_e64 v4, v4, v21, s[22:23]
	v_cndmask_b32_e64 v114, v4, 0, s[24:25]
	v_add_u32_e32 v115, v114, v18
	v_add_u32_e32 v116, v115, v19
	;; [unrolled: 1-line block ×3, first 2 shown]
	flat_store_dwordx4 v[26:27], v[114:117] offset:16
	s_waitcnt lgkmcnt(0)
	s_barrier
	flat_load_dword v4, v[54:55]
	flat_load_dword v18, v[64:65]
	;; [unrolled: 1-line block ×4, first 2 shown]
	v_mov_b32_e32 v19, v5
	v_mov_b32_e32 v21, v5
	;; [unrolled: 1-line block ×3, first 2 shown]
	s_waitcnt lgkmcnt(0)
                                        ; implicit-def: $vgpr117
                                        ; implicit-def: $vgpr116
                                        ; implicit-def: $vgpr115
                                        ; implicit-def: $vgpr114
                                        ; implicit-def: $vgpr64_vgpr65
	s_waitcnt vmcnt(0) lgkmcnt(0)
	v_add_u32_e32 v4, v4, v70
	v_add3_u32 v18, v80, v71, v18
	v_add3_u32 v20, v82, v81, v20
	;; [unrolled: 1-line block ×3, first 2 shown]
	v_lshlrev_b64 v[84:85], 2, v[4:5]
	v_add_co_u32_e64 v96, s[36:37], v12, v84
	v_lshlrev_b64 v[80:81], 2, v[18:19]
	v_addc_co_u32_e64 v97, s[36:37], v13, v85, s[36:37]
	v_add_co_u32_e64 v86, s[36:37], v12, v80
	v_lshlrev_b64 v[68:69], 2, v[20:21]
	v_addc_co_u32_e64 v87, s[36:37], v13, v81, s[36:37]
	;; [unrolled: 3-line block ×3, first 2 shown]
	v_add_co_u32_e64 v70, s[36:37], v12, v66
	v_addc_co_u32_e64 v71, s[36:37], v13, v67, s[36:37]
                                        ; implicit-def: $vgpr18_vgpr19
                                        ; implicit-def: $vgpr20_vgpr21
                                        ; implicit-def: $vgpr54_vgpr55
	s_and_saveexec_b64 s[36:37], s[34:35]
	s_cbranch_execz .LBB1428_95
; %bb.111:                              ;   in Loop: Header=BB1428_96 Depth=1
	v_add_co_u32_e64 v18, s[34:35], v96, v84
	v_addc_co_u32_e64 v19, s[34:35], v97, v85, s[34:35]
	s_barrier
	flat_store_dword v[96:97], v113
	flat_store_dword v[86:87], v112
	;; [unrolled: 1-line block ×4, first 2 shown]
	s_waitcnt lgkmcnt(0)
	s_barrier
	flat_load_dword v114, v[36:37]
	flat_load_dword v115, v[36:37] offset:256
	flat_load_dword v116, v[36:37] offset:512
	flat_load_dword v117, v[36:37] offset:768
	s_waitcnt lgkmcnt(0)
	s_barrier
	flat_store_dwordx2 v[18:19], v[52:53]
	v_add_co_u32_e64 v18, s[34:35], v86, v80
	v_addc_co_u32_e64 v19, s[34:35], v87, v81, s[34:35]
	flat_store_dwordx2 v[18:19], v[50:51]
	v_add_co_u32_e64 v18, s[34:35], v82, v68
	v_addc_co_u32_e64 v19, s[34:35], v83, v69, s[34:35]
	;; [unrolled: 3-line block ×3, first 2 shown]
	flat_store_dwordx2 v[18:19], v[34:35]
	s_waitcnt lgkmcnt(0)
	s_barrier
	flat_load_dwordx2 v[18:19], v[48:49]
	flat_load_dwordx2 v[20:21], v[48:49] offset:512
	flat_load_dwordx2 v[54:55], v[48:49] offset:1024
	;; [unrolled: 1-line block ×3, first 2 shown]
	v_add_u32_e32 v101, -8, v101
	s_xor_b64 s[44:45], exec, -1
	s_waitcnt lgkmcnt(0)
	s_barrier
	s_branch .LBB1428_95
.LBB1428_112:
	flat_load_dwordx2 v[66:67], v[4:5]
	s_or_b64 exec, exec, s[22:23]
                                        ; implicit-def: $vgpr68_vgpr69
	s_and_saveexec_b64 s[22:23], s[4:5]
	s_cbranch_execz .LBB1428_20
.LBB1428_113:
	flat_load_dwordx2 v[68:69], v[4:5] offset:512
	s_or_b64 exec, exec, s[22:23]
                                        ; implicit-def: $vgpr70_vgpr71
	s_and_saveexec_b64 s[4:5], s[6:7]
	s_cbranch_execz .LBB1428_21
.LBB1428_114:
	flat_load_dwordx2 v[70:71], v[4:5] offset:1024
	s_or_b64 exec, exec, s[4:5]
                                        ; implicit-def: $vgpr80_vgpr81
	s_and_saveexec_b64 s[4:5], s[10:11]
	s_cbranch_execz .LBB1428_22
.LBB1428_115:
	flat_load_dwordx2 v[80:81], v[4:5] offset:1536
	s_or_b64 exec, exec, s[4:5]
                                        ; implicit-def: $vgpr100_vgpr101
	s_and_saveexec_b64 s[4:5], s[20:21]
	s_cbranch_execz .LBB1428_23
.LBB1428_116:
	flat_load_dwordx2 v[100:101], v[4:5] offset:2048
	s_or_b64 exec, exec, s[4:5]
                                        ; implicit-def: $vgpr132_vgpr133
	s_and_saveexec_b64 s[4:5], s[14:15]
	s_cbranch_execz .LBB1428_24
.LBB1428_117:
	flat_load_dwordx2 v[132:133], v[4:5] offset:2560
	s_or_b64 exec, exec, s[4:5]
                                        ; implicit-def: $vgpr146_vgpr147
	s_and_saveexec_b64 s[4:5], s[16:17]
	s_cbranch_execz .LBB1428_25
.LBB1428_118:
	flat_load_dwordx2 v[146:147], v[4:5] offset:3072
	s_or_b64 exec, exec, s[4:5]
                                        ; implicit-def: $vgpr148_vgpr149
	s_and_saveexec_b64 s[4:5], s[18:19]
	s_cbranch_execnz .LBB1428_26
	s_branch .LBB1428_27
.LBB1428_119:
	s_waitcnt vmcnt(0)
	flat_store_dwordx2 v[0:1], v[24:25]
	s_or_b64 exec, exec, s[24:25]
	s_and_saveexec_b64 s[4:5], s[6:7]
	s_cbranch_execz .LBB1428_71
.LBB1428_120:
	s_waitcnt vmcnt(0)
	flat_store_dwordx2 v[0:1], v[20:21] offset:2048
	s_or_b64 exec, exec, s[4:5]
	s_and_saveexec_b64 s[4:5], s[10:11]
	s_cbranch_execz .LBB1428_72
.LBB1428_121:
	v_add_co_u32_e32 v2, vcc, 0x1000, v0
	v_addc_co_u32_e32 v3, vcc, 0, v1, vcc
	s_waitcnt vmcnt(0)
	flat_store_dwordx2 v[2:3], v[18:19]
	s_or_b64 exec, exec, s[4:5]
	s_and_saveexec_b64 s[4:5], s[22:23]
	s_cbranch_execz .LBB1428_73
.LBB1428_122:
	v_add_co_u32_e32 v2, vcc, 0x1000, v0
	v_addc_co_u32_e32 v3, vcc, 0, v1, vcc
	s_waitcnt vmcnt(0)
	flat_store_dwordx2 v[2:3], v[14:15] offset:2048
	s_or_b64 exec, exec, s[4:5]
	s_and_saveexec_b64 s[4:5], s[14:15]
	s_cbranch_execz .LBB1428_74
.LBB1428_123:
	v_add_co_u32_e32 v2, vcc, 0x2000, v0
	v_addc_co_u32_e32 v3, vcc, 0, v1, vcc
	s_waitcnt vmcnt(0)
	flat_store_dwordx2 v[2:3], v[16:17]
	s_or_b64 exec, exec, s[4:5]
	s_and_saveexec_b64 s[4:5], s[16:17]
	s_cbranch_execz .LBB1428_75
.LBB1428_124:
	v_add_co_u32_e32 v2, vcc, 0x2000, v0
	v_addc_co_u32_e32 v3, vcc, 0, v1, vcc
	s_waitcnt vmcnt(0)
	flat_store_dwordx2 v[2:3], v[12:13] offset:2048
	s_or_b64 exec, exec, s[4:5]
	s_and_saveexec_b64 s[4:5], s[18:19]
	s_cbranch_execz .LBB1428_76
.LBB1428_125:
	v_add_co_u32_e32 v2, vcc, 0x3000, v0
	v_addc_co_u32_e32 v3, vcc, 0, v1, vcc
	s_waitcnt vmcnt(0)
	flat_store_dwordx2 v[2:3], v[10:11]
	s_or_b64 exec, exec, s[4:5]
	s_and_saveexec_b64 s[4:5], s[20:21]
	s_cbranch_execnz .LBB1428_77
	s_branch .LBB1428_78
.LBB1428_126:
	s_or_b64 exec, exec, s[42:43]
	v_add_co_u32_e32 v4, vcc, v96, v84
	v_addc_co_u32_e32 v5, vcc, v97, v85, vcc
	s_barrier
	flat_store_dword v[96:97], v113
	flat_store_dword v[86:87], v112
	;; [unrolled: 1-line block ×4, first 2 shown]
	s_waitcnt lgkmcnt(0)
	s_barrier
	s_waitcnt vmcnt(0)
	flat_load_dword v19, v[28:29]
	flat_load_dword v18, v[28:29] offset:1024
	flat_load_dword v17, v[28:29] offset:2048
	;; [unrolled: 1-line block ×3, first 2 shown]
	s_waitcnt lgkmcnt(0)
	s_barrier
	flat_store_dwordx2 v[4:5], v[52:53]
	v_add_co_u32_e32 v4, vcc, v86, v80
	v_addc_co_u32_e32 v5, vcc, v87, v81, vcc
	flat_store_dwordx2 v[4:5], v[50:51]
	v_add_co_u32_e32 v4, vcc, v82, v68
	v_addc_co_u32_e32 v5, vcc, v83, v69, vcc
	;; [unrolled: 3-line block ×3, first 2 shown]
	v_lshlrev_b32_e32 v1, 3, v22
	v_add_co_u32_e32 v20, vcc, v12, v1
	v_addc_co_u32_e32 v21, vcc, 0, v13, vcc
	s_movk_i32 s4, 0x1000
	v_add_co_u32_e32 v22, vcc, s4, v20
	flat_store_dwordx2 v[4:5], v[34:35]
	s_waitcnt lgkmcnt(0)
	s_barrier
	v_addc_co_u32_e32 v23, vcc, 0, v21, vcc
	flat_load_dwordx2 v[14:15], v[20:21]
	flat_load_dwordx2 v[12:13], v[20:21] offset:2048
	flat_load_dwordx2 v[10:11], v[22:23]
	flat_load_dwordx2 v[4:5], v[22:23] offset:2048
	v_mov_b32_e32 v1, 0
	v_add_co_u32_e32 v20, vcc, v2, v24
	v_addc_co_u32_e32 v21, vcc, v3, v25, vcc
	v_lshlrev_b64 v[2:3], 2, v[0:1]
	v_add_co_u32_e32 v2, vcc, v20, v2
	v_addc_co_u32_e32 v3, vcc, v21, v3, vcc
	v_cmp_lt_u32_e32 vcc, v0, v150
	s_waitcnt lgkmcnt(0)
	s_barrier
	s_and_saveexec_b64 s[6:7], vcc
	s_cbranch_execz .LBB1428_128
; %bb.127:
	v_bfrev_b32_e32 v20, 1
	s_waitcnt vmcnt(0)
	v_cmp_lt_i32_e64 s[4:5], -1, v19
	v_cndmask_b32_e64 v20, v20, -1, s[4:5]
	v_xor_b32_e32 v19, v20, v19
	flat_store_dword v[2:3], v19
.LBB1428_128:
	s_or_b64 exec, exec, s[6:7]
	s_waitcnt vmcnt(0)
	v_add_u32_e32 v19, 0x100, v0
	v_cmp_lt_u32_e64 s[4:5], v19, v150
	s_and_saveexec_b64 s[10:11], s[4:5]
	s_cbranch_execz .LBB1428_130
; %bb.129:
	v_bfrev_b32_e32 v19, 1
	v_cmp_lt_i32_e64 s[6:7], -1, v18
	v_cndmask_b32_e64 v19, v19, -1, s[6:7]
	v_xor_b32_e32 v18, v19, v18
	flat_store_dword v[2:3], v18 offset:1024
.LBB1428_130:
	s_or_b64 exec, exec, s[10:11]
	v_add_u32_e32 v18, 0x200, v0
	v_cmp_lt_u32_e64 s[6:7], v18, v150
	s_and_saveexec_b64 s[14:15], s[6:7]
	s_cbranch_execz .LBB1428_132
; %bb.131:
	v_bfrev_b32_e32 v18, 1
	v_cmp_lt_i32_e64 s[10:11], -1, v17
	v_cndmask_b32_e64 v18, v18, -1, s[10:11]
	v_xor_b32_e32 v17, v18, v17
	flat_store_dword v[2:3], v17 offset:2048
.LBB1428_132:
	s_or_b64 exec, exec, s[14:15]
	;; [unrolled: 12-line block ×3, first 2 shown]
	v_add_co_u32_e64 v2, s[14:15], v6, v8
	v_addc_co_u32_e64 v3, s[14:15], v7, v9, s[14:15]
	v_lshlrev_b64 v[0:1], 3, v[0:1]
	v_add_co_u32_e64 v0, s[14:15], v2, v0
	v_addc_co_u32_e64 v1, s[14:15], v3, v1, s[14:15]
	s_and_saveexec_b64 s[14:15], vcc
	s_cbranch_execnz .LBB1428_167
; %bb.135:
	s_or_b64 exec, exec, s[14:15]
	s_and_saveexec_b64 s[14:15], s[4:5]
	s_cbranch_execnz .LBB1428_168
.LBB1428_136:
	s_or_b64 exec, exec, s[14:15]
	s_and_saveexec_b64 s[4:5], s[6:7]
	s_cbranch_execnz .LBB1428_169
.LBB1428_137:
	s_or_b64 exec, exec, s[4:5]
	s_and_saveexec_b64 s[4:5], s[10:11]
	s_cbranch_execz .LBB1428_139
.LBB1428_138:
	v_add_co_u32_e32 v0, vcc, 0x1000, v0
	v_addc_co_u32_e32 v1, vcc, 0, v1, vcc
	flat_store_dwordx2 v[0:1], v[4:5] offset:2048
.LBB1428_139:
	s_or_b64 exec, exec, s[4:5]
                                        ; implicit-def: $vgpr150
                                        ; implicit-def: $vgpr0
                                        ; implicit-def: $vgpr1
                                        ; implicit-def: $vgpr2
                                        ; implicit-def: $vgpr3
                                        ; implicit-def: $vgpr4
                                        ; implicit-def: $vgpr5
                                        ; implicit-def: $vgpr6
                                        ; implicit-def: $vgpr7
                                        ; implicit-def: $vgpr8
                                        ; implicit-def: $vgpr10
                                        ; implicit-def: $vgpr11
                                        ; implicit-def: $vgpr12
                                        ; implicit-def: $vgpr13
                                        ; implicit-def: $vgpr31
                                        ; implicit-def: $vgpr14
                                        ; implicit-def: $vgpr15
                                        ; implicit-def: $vgpr16
.LBB1428_140:
	s_andn2_saveexec_b64 s[4:5], s[40:41]
	s_cbranch_execz .LBB1428_199
; %bb.141:
	s_load_dwordx2 s[4:5], s[8:9], 0x0
	v_mov_b32_e32 v9, 0
	v_and_b32_e32 v26, 0x3ff, v31
	s_waitcnt vmcnt(0)
	v_lshlrev_b64 v[24:25], 2, v[8:9]
	s_waitcnt lgkmcnt(0)
	s_cmp_lt_u32 s12, s4
	s_cselect_b32 s6, 12, 18
	s_cmp_lt_u32 s13, s5
	s_cselect_b32 s4, 14, 20
	s_add_u32 s4, s8, s4
	s_addc_u32 s5, s9, 0
	s_add_u32 s6, s8, s6
	global_load_ushort v17, v9, s[4:5]
	s_addc_u32 s7, s9, 0
	global_load_ushort v18, v9, s[6:7]
	s_movk_i32 s4, 0x100
	v_cmp_lt_u32_e32 vcc, s4, v150
	s_waitcnt vmcnt(1)
	v_mad_u32_u24 v14, v15, v17, v14
	s_waitcnt vmcnt(0)
	v_mad_u64_u32 v[22:23], s[4:5], v14, v18, v[26:27]
	s_and_saveexec_b64 s[4:5], vcc
	s_xor_b64 s[34:35], exec, s[4:5]
	s_cbranch_execz .LBB1428_179
; %bb.142:
	v_mbcnt_hi_u32_b32 v32, -1, v16
	v_add_co_u32_e32 v0, vcc, v0, v24
	v_and_b32_e32 v34, 63, v32
	v_lshlrev_b32_e32 v14, 1, v22
	v_addc_co_u32_e32 v1, vcc, v1, v25, vcc
	v_and_b32_e32 v16, 0xffffff80, v14
	v_lshlrev_b32_e32 v14, 2, v34
	v_add_co_u32_e32 v14, vcc, v0, v14
	v_mov_b32_e32 v17, v9
	v_addc_co_u32_e32 v15, vcc, 0, v1, vcc
	v_lshlrev_b64 v[0:1], 2, v[16:17]
	v_add_co_u32_e32 v0, vcc, v14, v0
	s_brev_b32 s4, -2
	v_addc_co_u32_e32 v1, vcc, v15, v1, vcc
	v_or_b32_e32 v18, v34, v16
	s_mov_b32 s5, s4
	v_cmp_lt_u32_e32 vcc, v18, v150
	v_pk_mov_b32 v[14:15], s[4:5], s[4:5] op_sel:[0,1]
	s_and_saveexec_b64 s[4:5], vcc
	s_cbranch_execz .LBB1428_144
; %bb.143:
	flat_load_dword v14, v[0:1]
	v_bfrev_b32_e32 v15, -2
.LBB1428_144:
	s_or_b64 exec, exec, s[4:5]
	v_or_b32_e32 v18, 64, v18
	v_cmp_lt_u32_e64 s[4:5], v18, v150
	s_and_saveexec_b64 s[6:7], s[4:5]
	s_cbranch_execz .LBB1428_146
; %bb.145:
	flat_load_dword v15, v[0:1] offset:256
.LBB1428_146:
	s_or_b64 exec, exec, s[6:7]
	v_lshlrev_b64 v[0:1], 3, v[8:9]
	v_add_co_u32_e64 v4, s[6:7], v4, v0
	v_addc_co_u32_e64 v5, s[6:7], v5, v1, s[6:7]
	v_lshlrev_b32_e32 v8, 3, v34
	v_add_co_u32_e64 v8, s[6:7], v4, v8
	v_addc_co_u32_e64 v9, s[6:7], 0, v5, s[6:7]
	v_lshlrev_b64 v[4:5], 3, v[16:17]
	v_add_co_u32_e64 v4, s[6:7], v8, v4
	v_addc_co_u32_e64 v5, s[6:7], v9, v5, s[6:7]
                                        ; implicit-def: $vgpr18_vgpr19
	s_and_saveexec_b64 s[6:7], vcc
	s_cbranch_execz .LBB1428_148
; %bb.147:
	flat_load_dwordx2 v[18:19], v[4:5]
.LBB1428_148:
	s_or_b64 exec, exec, s[6:7]
                                        ; implicit-def: $vgpr20_vgpr21
	s_and_saveexec_b64 s[6:7], s[4:5]
	s_cbranch_execz .LBB1428_150
; %bb.149:
	flat_load_dwordx2 v[20:21], v[4:5] offset:512
.LBB1428_150:
	s_or_b64 exec, exec, s[6:7]
	v_bfrev_b32_e32 v23, 1
	s_waitcnt vmcnt(0) lgkmcnt(0)
	v_cmp_lt_i32_e32 vcc, -1, v14
	v_cndmask_b32_e32 v4, -1, v23, vcc
	v_cmp_lt_i32_e32 vcc, -1, v15
	v_xor_b32_e32 v80, v4, v14
	v_cndmask_b32_e32 v4, -1, v23, vcc
	v_xor_b32_e32 v81, v4, v15
	v_add_co_u32_e32 v27, vcc, 16, v12
	v_and_b32_e32 v15, 0x3c0, v26
	v_addc_co_u32_e32 v66, vcc, 0, v13, vcc
	v_lshlrev_b32_e32 v8, 4, v26
	v_min_u32_e32 v15, 0xc0, v15
	v_add_co_u32_e32 v8, vcc, v12, v8
	v_or_b32_e32 v15, 63, v15
	s_getpc_b64 s[4:5]
	s_add_u32 s4, s4, _ZN7rocprim17ROCPRIM_400000_NS16block_radix_sortIfLj256ELj2ElLj1ELj1ELj8ELNS0_26block_radix_rank_algorithmE2ELNS0_18block_padding_hintE2ELNS0_4arch9wavefront6targetE1EE19radix_bits_per_passE@rel32@lo+4
	s_addc_u32 s5, s5, _ZN7rocprim17ROCPRIM_400000_NS16block_radix_sortIfLj256ELj2ElLj1ELj1ELj8ELNS0_26block_radix_rank_algorithmE2ELNS0_18block_padding_hintE2ELNS0_4arch9wavefront6targetE1EE19radix_bits_per_passE@rel32@hi+12
	v_addc_co_u32_e32 v9, vcc, 0, v13, vcc
	v_and_b32_e32 v14, 15, v32
	v_cmp_eq_u32_e64 s[14:15], v15, v26
	v_add_u32_e32 v15, -1, v32
	v_and_b32_e32 v16, 64, v32
	s_load_dword s42, s[4:5], 0x0
	v_cmp_eq_u32_e32 vcc, 0, v14
	v_cmp_lt_u32_e64 s[4:5], 1, v14
	v_cmp_lt_u32_e64 s[6:7], 3, v14
	;; [unrolled: 1-line block ×3, first 2 shown]
	v_and_b32_e32 v14, 16, v32
	v_cmp_lt_i32_e64 s[20:21], v15, v16
	v_cmp_eq_u32_e64 s[10:11], 0, v14
	v_lshrrev_b32_e32 v14, 6, v26
	v_cndmask_b32_e64 v15, v15, v32, s[20:21]
	v_lshlrev_b32_e32 v68, 2, v15
	v_lshlrev_b32_e32 v15, 2, v14
	v_add_co_u32_e64 v30, s[24:25], v12, v15
	v_lshlrev_b32_e32 v4, 2, v26
	v_addc_co_u32_e64 v31, s[24:25], 0, v13, s[24:25]
	v_add_co_u32_e64 v28, s[24:25], v12, v4
	v_addc_co_u32_e64 v29, s[24:25], 0, v13, s[24:25]
	v_and_b32_e32 v4, 3, v32
	v_mov_b32_e32 v5, 0
	v_cmp_eq_u32_e64 s[24:25], 0, v4
	v_cmp_lt_u32_e64 s[26:27], 1, v4
	v_add_u32_e32 v4, -1, v14
	v_lshlrev_b64 v[14:15], 2, v[4:5]
	v_cmp_lt_u32_e64 s[12:13], 31, v32
	v_cmp_eq_u32_e64 s[20:21], 0, v32
	v_add_co_u32_e64 v32, s[28:29], v12, v14
	v_addc_co_u32_e64 v33, s[28:29], v13, v15, s[28:29]
	v_lshlrev_b32_e32 v4, 1, v26
	s_movk_i32 s28, 0x780
	v_and_or_b32 v4, v4, s28, v34
	v_lshlrev_b32_e32 v4, 2, v4
	v_add_co_u32_e64 v34, s[28:29], v12, v4
	v_addc_co_u32_e64 v35, s[28:29], 0, v13, s[28:29]
	v_add_co_u32_e64 v38, s[28:29], v34, v4
	v_lshrrev_b32_e32 v67, 6, v22
	v_cmp_gt_u32_e64 s[16:17], 4, v26
	v_cmp_lt_u32_e64 s[18:19], 63, v26
	v_cmp_eq_u32_e64 s[22:23], 0, v26
	v_addc_co_u32_e64 v39, s[28:29], 0, v35, s[28:29]
	v_sub_u32_e32 v69, v11, v10
	s_mov_b64 s[36:37], 0
	s_brev_b32 s43, -2
	v_mov_b32_e32 v14, v5
	v_mov_b32_e32 v15, v5
	;; [unrolled: 1-line block ×4, first 2 shown]
	s_waitcnt lgkmcnt(0)
	s_barrier
	s_branch .LBB1428_152
.LBB1428_151:                           ;   in Loop: Header=BB1428_152 Depth=1
	s_or_b64 exec, exec, s[30:31]
	s_and_b64 s[28:29], exec, s[40:41]
	s_or_b64 s[36:37], s[28:29], s[36:37]
	s_andn2_b64 exec, exec, s[36:37]
	s_cbranch_execz .LBB1428_170
.LBB1428_152:                           ; =>This Inner Loop Header: Depth=1
	s_waitcnt vmcnt(0)
	v_mov_b32_e32 v71, v80
	v_min_u32_e32 v4, s42, v69
	v_lshlrev_b32_e64 v4, v4, -1
	v_cmp_ne_u32_e64 s[28:29], s43, v71
	v_pk_mov_b32 v[36:37], v[20:21], v[20:21] op_sel:[0,1]
	v_not_b32_e32 v20, v4
	v_cndmask_b32_e64 v4, v23, v71, s[28:29]
	v_lshrrev_b32_e32 v4, v10, v4
	v_and_b32_e32 v21, v4, v20
	v_lshl_add_u32 v4, v21, 2, v67
	v_pk_mov_b32 v[48:49], v[18:19], v[18:19] op_sel:[0,1]
	v_lshlrev_b64 v[18:19], 2, v[4:5]
	v_add_co_u32_e64 v50, s[28:29], v27, v18
	v_addc_co_u32_e64 v51, s[28:29], v66, v19, s[28:29]
	v_and_b32_e32 v4, 1, v21
	v_add_co_u32_e64 v18, s[28:29], -1, v4
	v_addc_co_u32_e64 v19, s[28:29], 0, -1, s[28:29]
	v_cmp_ne_u32_e64 s[28:29], 0, v4
	v_xor_b32_e32 v18, s28, v18
	v_xor_b32_e32 v4, s29, v19
	v_and_b32_e32 v52, exec_lo, v18
	v_lshlrev_b32_e32 v19, 30, v21
	v_mov_b32_e32 v18, v5
	v_cmp_gt_i64_e64 s[28:29], 0, v[18:19]
	v_not_b32_e32 v18, v19
	v_ashrrev_i32_e32 v18, 31, v18
	v_and_b32_e32 v4, exec_hi, v4
	v_xor_b32_e32 v19, s29, v18
	v_xor_b32_e32 v18, s28, v18
	v_and_b32_e32 v4, v4, v19
	v_and_b32_e32 v52, v52, v18
	v_lshlrev_b32_e32 v19, 29, v21
	v_mov_b32_e32 v18, v5
	v_cmp_gt_i64_e64 s[28:29], 0, v[18:19]
	v_not_b32_e32 v18, v19
	v_ashrrev_i32_e32 v18, 31, v18
	v_xor_b32_e32 v19, s29, v18
	v_xor_b32_e32 v18, s28, v18
	v_and_b32_e32 v4, v4, v19
	v_and_b32_e32 v52, v52, v18
	v_lshlrev_b32_e32 v19, 28, v21
	v_mov_b32_e32 v18, v5
	v_cmp_gt_i64_e64 s[28:29], 0, v[18:19]
	v_not_b32_e32 v18, v19
	v_ashrrev_i32_e32 v18, 31, v18
	;; [unrolled: 9-line block ×6, first 2 shown]
	v_xor_b32_e32 v19, s29, v18
	v_xor_b32_e32 v18, s28, v18
	v_and_b32_e32 v18, v52, v18
	v_and_b32_e32 v19, v4, v19
	v_mbcnt_lo_u32_b32 v4, v18, 0
	v_mbcnt_hi_u32_b32 v54, v19, v4
	v_cmp_eq_u32_e64 s[28:29], 0, v54
	v_cmp_ne_u64_e64 s[30:31], 0, v[18:19]
	v_mov_b32_e32 v70, v81
	s_and_b64 s[30:31], s[30:31], s[28:29]
	flat_store_dwordx4 v[8:9], v[14:17] offset:16
	s_waitcnt lgkmcnt(0)
	s_barrier
	s_waitcnt lgkmcnt(0)
	; wave barrier
	s_and_saveexec_b64 s[28:29], s[30:31]
	s_cbranch_execz .LBB1428_154
; %bb.153:                              ;   in Loop: Header=BB1428_152 Depth=1
	v_bcnt_u32_b32 v4, v18, 0
	v_bcnt_u32_b32 v4, v19, v4
	flat_store_dword v[50:51], v4
.LBB1428_154:                           ;   in Loop: Header=BB1428_152 Depth=1
	s_or_b64 exec, exec, s[28:29]
	v_cmp_ne_u32_e64 s[28:29], s43, v70
	v_cndmask_b32_e64 v4, v23, v70, s[28:29]
	v_lshrrev_b32_e32 v4, v10, v4
	v_and_b32_e32 v20, v4, v20
	v_lshl_add_u32 v4, v20, 2, v67
	v_lshlrev_b64 v[18:19], 2, v[4:5]
	v_add_co_u32_e64 v52, s[28:29], v27, v18
	v_addc_co_u32_e64 v53, s[28:29], v66, v19, s[28:29]
	; wave barrier
	flat_load_dword v55, v[52:53]
	v_and_b32_e32 v4, 1, v20
	v_add_co_u32_e64 v18, s[28:29], -1, v4
	v_addc_co_u32_e64 v19, s[28:29], 0, -1, s[28:29]
	v_cmp_ne_u32_e64 s[28:29], 0, v4
	v_xor_b32_e32 v18, s28, v18
	v_xor_b32_e32 v4, s29, v19
	v_and_b32_e32 v21, exec_lo, v18
	v_lshlrev_b32_e32 v19, 30, v20
	v_mov_b32_e32 v18, v5
	v_cmp_gt_i64_e64 s[28:29], 0, v[18:19]
	v_not_b32_e32 v18, v19
	v_ashrrev_i32_e32 v18, 31, v18
	v_and_b32_e32 v4, exec_hi, v4
	v_xor_b32_e32 v19, s29, v18
	v_xor_b32_e32 v18, s28, v18
	v_and_b32_e32 v4, v4, v19
	v_and_b32_e32 v21, v21, v18
	v_lshlrev_b32_e32 v19, 29, v20
	v_mov_b32_e32 v18, v5
	v_cmp_gt_i64_e64 s[28:29], 0, v[18:19]
	v_not_b32_e32 v18, v19
	v_ashrrev_i32_e32 v18, 31, v18
	v_xor_b32_e32 v19, s29, v18
	v_xor_b32_e32 v18, s28, v18
	v_and_b32_e32 v4, v4, v19
	v_and_b32_e32 v21, v21, v18
	v_lshlrev_b32_e32 v19, 28, v20
	v_mov_b32_e32 v18, v5
	v_cmp_gt_i64_e64 s[28:29], 0, v[18:19]
	v_not_b32_e32 v18, v19
	v_ashrrev_i32_e32 v18, 31, v18
	;; [unrolled: 9-line block ×6, first 2 shown]
	v_xor_b32_e32 v19, s29, v18
	v_xor_b32_e32 v18, s28, v18
	v_and_b32_e32 v18, v21, v18
	v_and_b32_e32 v19, v4, v19
	v_mbcnt_lo_u32_b32 v4, v18, 0
	v_mbcnt_hi_u32_b32 v64, v19, v4
	v_cmp_eq_u32_e64 s[28:29], 0, v64
	v_cmp_ne_u64_e64 s[30:31], 0, v[18:19]
	s_and_b64 s[30:31], s[30:31], s[28:29]
	; wave barrier
	s_and_saveexec_b64 s[28:29], s[30:31]
	s_cbranch_execz .LBB1428_156
; %bb.155:                              ;   in Loop: Header=BB1428_152 Depth=1
	v_bcnt_u32_b32 v4, v18, 0
	v_bcnt_u32_b32 v4, v19, v4
	s_waitcnt vmcnt(0) lgkmcnt(0)
	v_add_u32_e32 v4, v55, v4
	flat_store_dword v[52:53], v4
.LBB1428_156:                           ;   in Loop: Header=BB1428_152 Depth=1
	s_or_b64 exec, exec, s[28:29]
	; wave barrier
	s_waitcnt lgkmcnt(0)
	s_barrier
	flat_load_dwordx4 v[18:21], v[8:9] offset:16
	s_waitcnt vmcnt(0) lgkmcnt(0)
	v_add_u32_e32 v4, v19, v18
	v_add3_u32 v4, v4, v20, v21
	s_nop 1
	v_mov_b32_dpp v21, v4 row_shr:1 row_mask:0xf bank_mask:0xf
	v_cndmask_b32_e64 v21, v21, 0, vcc
	v_add_u32_e32 v4, v21, v4
	s_nop 1
	v_mov_b32_dpp v21, v4 row_shr:2 row_mask:0xf bank_mask:0xf
	v_cndmask_b32_e64 v21, 0, v21, s[4:5]
	v_add_u32_e32 v4, v4, v21
	s_nop 1
	v_mov_b32_dpp v21, v4 row_shr:4 row_mask:0xf bank_mask:0xf
	v_cndmask_b32_e64 v21, 0, v21, s[6:7]
	;; [unrolled: 4-line block ×3, first 2 shown]
	v_add_u32_e32 v4, v4, v21
	s_nop 1
	v_mov_b32_dpp v21, v4 row_bcast:15 row_mask:0xf bank_mask:0xf
	v_cndmask_b32_e64 v21, v21, 0, s[10:11]
	v_add_u32_e32 v4, v4, v21
	s_nop 1
	v_mov_b32_dpp v21, v4 row_bcast:31 row_mask:0xf bank_mask:0xf
	v_cndmask_b32_e64 v21, 0, v21, s[12:13]
	v_add_u32_e32 v4, v4, v21
	s_and_saveexec_b64 s[28:29], s[14:15]
	s_cbranch_execz .LBB1428_158
; %bb.157:                              ;   in Loop: Header=BB1428_152 Depth=1
	flat_store_dword v[30:31], v4
.LBB1428_158:                           ;   in Loop: Header=BB1428_152 Depth=1
	s_or_b64 exec, exec, s[28:29]
	s_waitcnt lgkmcnt(0)
	s_barrier
	s_and_saveexec_b64 s[28:29], s[16:17]
	s_cbranch_execz .LBB1428_160
; %bb.159:                              ;   in Loop: Header=BB1428_152 Depth=1
	flat_load_dword v21, v[28:29]
	s_waitcnt vmcnt(0) lgkmcnt(0)
	s_nop 0
	v_mov_b32_dpp v65, v21 row_shr:1 row_mask:0xf bank_mask:0xf
	v_cndmask_b32_e64 v65, v65, 0, s[24:25]
	v_add_u32_e32 v21, v65, v21
	s_nop 1
	v_mov_b32_dpp v65, v21 row_shr:2 row_mask:0xf bank_mask:0xf
	v_cndmask_b32_e64 v65, 0, v65, s[26:27]
	v_add_u32_e32 v21, v21, v65
	flat_store_dword v[28:29], v21
.LBB1428_160:                           ;   in Loop: Header=BB1428_152 Depth=1
	s_or_b64 exec, exec, s[28:29]
	v_mov_b32_e32 v21, 0
	s_waitcnt lgkmcnt(0)
	s_barrier
	s_and_saveexec_b64 s[28:29], s[18:19]
	s_cbranch_execz .LBB1428_162
; %bb.161:                              ;   in Loop: Header=BB1428_152 Depth=1
	flat_load_dword v21, v[32:33]
.LBB1428_162:                           ;   in Loop: Header=BB1428_152 Depth=1
	s_or_b64 exec, exec, s[28:29]
	s_waitcnt vmcnt(0) lgkmcnt(0)
	v_add_u32_e32 v4, v21, v4
	ds_bpermute_b32 v4, v68, v4
	v_add_u32_e32 v10, 8, v10
	v_cmp_lt_u32_e64 s[28:29], v10, v11
	s_mov_b64 s[40:41], -1
	s_waitcnt lgkmcnt(0)
	v_cndmask_b32_e64 v4, v4, v21, s[20:21]
	v_cndmask_b32_e64 v80, v4, 0, s[22:23]
	v_add_u32_e32 v81, v80, v18
	v_add_u32_e32 v82, v81, v19
	;; [unrolled: 1-line block ×3, first 2 shown]
	flat_store_dwordx4 v[8:9], v[80:83] offset:16
	s_waitcnt lgkmcnt(0)
	s_barrier
	flat_load_dword v4, v[50:51]
	flat_load_dword v18, v[52:53]
	v_mov_b32_e32 v19, v5
	s_waitcnt lgkmcnt(0)
                                        ; implicit-def: $vgpr81
                                        ; implicit-def: $vgpr80
                                        ; implicit-def: $vgpr20_vgpr21
	s_waitcnt vmcnt(0) lgkmcnt(0)
	v_add_u32_e32 v4, v4, v54
	v_add3_u32 v18, v64, v55, v18
	v_lshlrev_b64 v[54:55], 2, v[4:5]
	v_add_co_u32_e64 v64, s[30:31], v12, v54
	v_lshlrev_b64 v[50:51], 2, v[18:19]
	v_addc_co_u32_e64 v65, s[30:31], v13, v55, s[30:31]
	v_add_co_u32_e64 v52, s[30:31], v12, v50
	v_addc_co_u32_e64 v53, s[30:31], v13, v51, s[30:31]
                                        ; implicit-def: $vgpr18_vgpr19
	s_and_saveexec_b64 s[30:31], s[28:29]
	s_cbranch_execz .LBB1428_151
; %bb.163:                              ;   in Loop: Header=BB1428_152 Depth=1
	v_add_co_u32_e64 v18, s[28:29], v64, v54
	v_addc_co_u32_e64 v19, s[28:29], v65, v55, s[28:29]
	s_barrier
	flat_store_dword v[64:65], v71
	flat_store_dword v[52:53], v70
	s_waitcnt lgkmcnt(0)
	s_barrier
	flat_load_dword v80, v[34:35]
	flat_load_dword v81, v[34:35] offset:256
	s_waitcnt lgkmcnt(0)
	s_barrier
	flat_store_dwordx2 v[18:19], v[48:49]
	v_add_co_u32_e64 v18, s[28:29], v52, v50
	v_addc_co_u32_e64 v19, s[28:29], v53, v51, s[28:29]
	flat_store_dwordx2 v[18:19], v[36:37]
	s_waitcnt lgkmcnt(0)
	s_barrier
	flat_load_dwordx2 v[18:19], v[38:39]
	flat_load_dwordx2 v[20:21], v[38:39] offset:512
	v_add_u32_e32 v69, -8, v69
	s_xor_b64 s[40:41], exec, -1
	s_waitcnt lgkmcnt(0)
	s_barrier
	s_branch .LBB1428_151
.LBB1428_164:
	flat_load_dwordx2 v[18:19], v[4:5]
	s_or_b64 exec, exec, s[14:15]
                                        ; implicit-def: $vgpr20_vgpr21
	s_and_saveexec_b64 s[14:15], s[4:5]
	s_cbranch_execz .LBB1428_91
.LBB1428_165:
	flat_load_dwordx2 v[20:21], v[4:5] offset:512
	s_or_b64 exec, exec, s[14:15]
                                        ; implicit-def: $vgpr54_vgpr55
	s_and_saveexec_b64 s[4:5], s[6:7]
	s_cbranch_execz .LBB1428_92
.LBB1428_166:
	flat_load_dwordx2 v[54:55], v[4:5] offset:1024
	s_or_b64 exec, exec, s[4:5]
                                        ; implicit-def: $vgpr64_vgpr65
	s_and_saveexec_b64 s[4:5], s[10:11]
	s_cbranch_execnz .LBB1428_93
	s_branch .LBB1428_94
.LBB1428_167:
	flat_store_dwordx2 v[0:1], v[14:15]
	s_or_b64 exec, exec, s[14:15]
	s_and_saveexec_b64 s[14:15], s[4:5]
	s_cbranch_execz .LBB1428_136
.LBB1428_168:
	flat_store_dwordx2 v[0:1], v[12:13] offset:2048
	s_or_b64 exec, exec, s[14:15]
	s_and_saveexec_b64 s[4:5], s[6:7]
	s_cbranch_execz .LBB1428_137
.LBB1428_169:
	v_add_co_u32_e32 v2, vcc, 0x1000, v0
	v_addc_co_u32_e32 v3, vcc, 0, v1, vcc
	flat_store_dwordx2 v[2:3], v[10:11]
	s_or_b64 exec, exec, s[4:5]
	s_and_saveexec_b64 s[4:5], s[10:11]
	s_cbranch_execnz .LBB1428_138
	s_branch .LBB1428_139
.LBB1428_170:
	s_or_b64 exec, exec, s[36:37]
	v_add_co_u32_e32 v4, vcc, v64, v54
	v_addc_co_u32_e32 v5, vcc, v65, v55, vcc
	s_barrier
	flat_store_dword v[64:65], v71
	flat_store_dword v[52:53], v70
	s_waitcnt lgkmcnt(0)
	s_barrier
	flat_load_dword v11, v[28:29]
	flat_load_dword v10, v[28:29] offset:1024
	s_waitcnt lgkmcnt(0)
	s_barrier
	flat_store_dwordx2 v[4:5], v[48:49]
	v_add_co_u32_e32 v4, vcc, v52, v50
	v_addc_co_u32_e32 v5, vcc, v53, v51, vcc
	flat_store_dwordx2 v[4:5], v[36:37]
	v_lshlrev_b32_e32 v4, 3, v26
	v_add_co_u32_e32 v12, vcc, v12, v4
	v_addc_co_u32_e32 v13, vcc, 0, v13, vcc
	s_waitcnt lgkmcnt(0)
	s_barrier
	flat_load_dwordx2 v[8:9], v[12:13]
	flat_load_dwordx2 v[4:5], v[12:13] offset:2048
	v_mov_b32_e32 v23, 0
	v_add_co_u32_e32 v12, vcc, v2, v24
	v_addc_co_u32_e32 v13, vcc, v3, v25, vcc
	v_lshlrev_b64 v[2:3], 2, v[22:23]
	v_add_co_u32_e32 v2, vcc, v12, v2
	v_addc_co_u32_e32 v3, vcc, v13, v3, vcc
	v_cmp_lt_u32_e32 vcc, v22, v150
	s_waitcnt lgkmcnt(0)
	s_barrier
	s_and_saveexec_b64 s[6:7], vcc
	s_cbranch_execz .LBB1428_172
; %bb.171:
	v_bfrev_b32_e32 v12, 1
	s_waitcnt vmcnt(0)
	v_cmp_lt_i32_e64 s[4:5], -1, v11
	v_cndmask_b32_e64 v12, v12, -1, s[4:5]
	v_xor_b32_e32 v11, v12, v11
	flat_store_dword v[2:3], v11
.LBB1428_172:
	s_or_b64 exec, exec, s[6:7]
	s_waitcnt vmcnt(0)
	v_add_u32_e32 v11, 0x100, v22
	v_cmp_lt_u32_e64 s[4:5], v11, v150
	s_and_saveexec_b64 s[8:9], s[4:5]
	s_cbranch_execz .LBB1428_174
; %bb.173:
	v_bfrev_b32_e32 v11, 1
	v_cmp_lt_i32_e64 s[6:7], -1, v10
	v_cndmask_b32_e64 v11, v11, -1, s[6:7]
	v_xor_b32_e32 v10, v11, v10
	flat_store_dword v[2:3], v10 offset:1024
.LBB1428_174:
	s_or_b64 exec, exec, s[8:9]
	v_add_co_u32_e64 v2, s[6:7], v6, v0
	v_addc_co_u32_e64 v3, s[6:7], v7, v1, s[6:7]
	v_lshlrev_b64 v[0:1], 3, v[22:23]
	v_add_co_u32_e64 v0, s[6:7], v2, v0
	v_addc_co_u32_e64 v1, s[6:7], v3, v1, s[6:7]
	s_and_saveexec_b64 s[6:7], vcc
	s_cbranch_execz .LBB1428_176
; %bb.175:
	flat_store_dwordx2 v[0:1], v[8:9]
.LBB1428_176:
	s_or_b64 exec, exec, s[6:7]
	s_and_saveexec_b64 s[6:7], s[4:5]
	s_cbranch_execz .LBB1428_178
; %bb.177:
	flat_store_dwordx2 v[0:1], v[4:5] offset:2048
.LBB1428_178:
	s_or_b64 exec, exec, s[6:7]
                                        ; implicit-def: $vgpr26
                                        ; implicit-def: $vgpr22_vgpr23
                                        ; implicit-def: $vgpr8_vgpr9
                                        ; implicit-def: $vgpr24_vgpr25
                                        ; implicit-def: $vgpr150
                                        ; implicit-def: $vgpr0
                                        ; implicit-def: $vgpr1
                                        ; implicit-def: $vgpr2
                                        ; implicit-def: $vgpr3
                                        ; implicit-def: $vgpr4
                                        ; implicit-def: $vgpr5
                                        ; implicit-def: $vgpr6
                                        ; implicit-def: $vgpr7
                                        ; implicit-def: $vgpr10
                                        ; implicit-def: $vgpr11
                                        ; implicit-def: $vgpr12
                                        ; implicit-def: $vgpr13
                                        ; implicit-def: $vgpr16
.LBB1428_179:
	s_andn2_saveexec_b64 s[4:5], s[34:35]
	s_cbranch_execz .LBB1428_199
; %bb.180:
	v_mbcnt_hi_u32_b32 v17, -1, v16
	v_bfi_b32 v15, 63, v17, v22
	v_and_b32_e32 v16, 63, v17
	v_and_b32_e32 v14, 0xffffffc0, v22
	v_cmp_lt_u32_e32 vcc, v15, v150
	v_bfrev_b32_e32 v20, -2
	s_and_saveexec_b64 s[6:7], vcc
	s_cbranch_execz .LBB1428_182
; %bb.181:
	v_add_co_u32_e64 v0, s[4:5], v0, v24
	v_addc_co_u32_e64 v1, s[4:5], v1, v25, s[4:5]
	v_lshlrev_b32_e32 v18, 2, v16
	v_mov_b32_e32 v15, 0
	v_add_co_u32_e64 v18, s[4:5], v0, v18
	v_addc_co_u32_e64 v19, s[4:5], 0, v1, s[4:5]
	v_lshlrev_b64 v[0:1], 2, v[14:15]
	v_add_co_u32_e64 v0, s[4:5], v18, v0
	v_addc_co_u32_e64 v1, s[4:5], v19, v1, s[4:5]
	flat_load_dword v20, v[0:1]
.LBB1428_182:
	s_or_b64 exec, exec, s[6:7]
	v_lshlrev_b64 v[0:1], 3, v[8:9]
                                        ; implicit-def: $vgpr18_vgpr19
	s_and_saveexec_b64 s[4:5], vcc
	s_cbranch_execz .LBB1428_184
; %bb.183:
	v_add_co_u32_e32 v4, vcc, v4, v0
	v_addc_co_u32_e32 v5, vcc, v5, v1, vcc
	v_lshlrev_b32_e32 v8, 3, v16
	v_mov_b32_e32 v15, 0
	v_add_co_u32_e32 v8, vcc, v4, v8
	v_addc_co_u32_e32 v9, vcc, 0, v5, vcc
	v_lshlrev_b64 v[4:5], 3, v[14:15]
	v_add_co_u32_e32 v4, vcc, v8, v4
	v_addc_co_u32_e32 v5, vcc, v9, v5, vcc
	flat_load_dwordx2 v[18:19], v[4:5]
.LBB1428_184:
	s_or_b64 exec, exec, s[4:5]
	v_bfrev_b32_e32 v23, 1
	s_waitcnt vmcnt(0) lgkmcnt(0)
	v_cmp_lt_i32_e32 vcc, -1, v20
	v_cndmask_b32_e32 v4, -1, v23, vcc
	v_xor_b32_e32 v55, v4, v20
	v_add_co_u32_e32 v27, vcc, 16, v12
	v_and_b32_e32 v20, 0x3c0, v26
	v_addc_co_u32_e32 v50, vcc, 0, v13, vcc
	v_lshlrev_b32_e32 v8, 4, v26
	v_min_u32_e32 v15, 0xc0, v20
	v_add_co_u32_e32 v8, vcc, v12, v8
	v_or_b32_e32 v15, 63, v15
	s_getpc_b64 s[4:5]
	s_add_u32 s4, s4, _ZN7rocprim17ROCPRIM_400000_NS16block_radix_sortIfLj256ELj1ElLj1ELj1ELj8ELNS0_26block_radix_rank_algorithmE2ELNS0_18block_padding_hintE2ELNS0_4arch9wavefront6targetE1EE19radix_bits_per_passE@rel32@lo+4
	s_addc_u32 s5, s5, _ZN7rocprim17ROCPRIM_400000_NS16block_radix_sortIfLj256ELj1ElLj1ELj1ELj8ELNS0_26block_radix_rank_algorithmE2ELNS0_18block_padding_hintE2ELNS0_4arch9wavefront6targetE1EE19radix_bits_per_passE@rel32@hi+12
	v_addc_co_u32_e32 v9, vcc, 0, v13, vcc
	v_and_b32_e32 v14, 15, v17
	v_cmp_eq_u32_e64 s[14:15], v15, v26
	v_add_u32_e32 v15, -1, v17
	v_and_b32_e32 v21, 64, v17
	s_load_dword s40, s[4:5], 0x0
	v_cmp_eq_u32_e32 vcc, 0, v14
	v_cmp_lt_u32_e64 s[4:5], 1, v14
	v_cmp_lt_u32_e64 s[6:7], 3, v14
	;; [unrolled: 1-line block ×3, first 2 shown]
	v_and_b32_e32 v14, 16, v17
	v_cmp_lt_i32_e64 s[20:21], v15, v21
	v_cmp_eq_u32_e64 s[10:11], 0, v14
	v_lshrrev_b32_e32 v14, 6, v26
	v_cndmask_b32_e64 v15, v15, v17, s[20:21]
	v_lshlrev_b32_e32 v52, 2, v15
	v_lshlrev_b32_e32 v15, 2, v14
	v_add_co_u32_e64 v30, s[24:25], v12, v15
	v_lshlrev_b32_e32 v4, 2, v26
	v_addc_co_u32_e64 v31, s[24:25], 0, v13, s[24:25]
	v_add_co_u32_e64 v28, s[24:25], v12, v4
	v_addc_co_u32_e64 v29, s[24:25], 0, v13, s[24:25]
	v_and_b32_e32 v4, 3, v17
	v_mov_b32_e32 v5, 0
	v_cmp_eq_u32_e64 s[24:25], 0, v4
	v_cmp_lt_u32_e64 s[26:27], 1, v4
	v_add_u32_e32 v4, -1, v14
	v_lshlrev_b64 v[14:15], 2, v[4:5]
	v_add_co_u32_e64 v32, s[28:29], v12, v14
	v_or_b32_e32 v4, v16, v20
	v_addc_co_u32_e64 v33, s[28:29], v13, v15, s[28:29]
	v_lshlrev_b32_e32 v4, 2, v4
	v_add_co_u32_e64 v34, s[28:29], v12, v4
	v_addc_co_u32_e64 v35, s[28:29], 0, v13, s[28:29]
	v_add_co_u32_e64 v36, s[28:29], v34, v4
	v_lshrrev_b32_e32 v51, 6, v22
	v_cmp_lt_u32_e64 s[12:13], 31, v17
	v_cmp_gt_u32_e64 s[16:17], 4, v26
	v_cmp_lt_u32_e64 s[18:19], 63, v26
	v_cmp_eq_u32_e64 s[20:21], 0, v17
	v_cmp_eq_u32_e64 s[22:23], 0, v26
	v_addc_co_u32_e64 v37, s[28:29], 0, v35, s[28:29]
	v_sub_u32_e32 v53, v11, v10
	s_mov_b64 s[34:35], 0
	s_brev_b32 s41, -2
	v_mov_b32_e32 v14, v5
	v_mov_b32_e32 v15, v5
	;; [unrolled: 1-line block ×4, first 2 shown]
	s_waitcnt lgkmcnt(0)
	s_barrier
	s_branch .LBB1428_186
.LBB1428_185:                           ;   in Loop: Header=BB1428_186 Depth=1
	s_or_b64 exec, exec, s[30:31]
	s_and_b64 s[28:29], exec, s[36:37]
	s_or_b64 s[34:35], s[28:29], s[34:35]
	s_andn2_b64 exec, exec, s[34:35]
	s_cbranch_execz .LBB1428_196
.LBB1428_186:                           ; =>This Inner Loop Header: Depth=1
	s_waitcnt vmcnt(0)
	v_mov_b32_e32 v54, v55
	v_cmp_ne_u32_e64 s[28:29], s41, v54
	v_pk_mov_b32 v[38:39], v[18:19], v[18:19] op_sel:[0,1]
	v_cndmask_b32_e64 v18, v23, v54, s[28:29]
	v_min_u32_e32 v4, s40, v53
	v_lshrrev_b32_e32 v18, v10, v18
	v_bfe_u32 v20, v18, 0, v4
	v_lshl_add_u32 v4, v20, 2, v51
	v_lshlrev_b64 v[18:19], 2, v[4:5]
	v_add_co_u32_e64 v48, s[28:29], v27, v18
	v_addc_co_u32_e64 v49, s[28:29], v50, v19, s[28:29]
	v_and_b32_e32 v4, 1, v20
	v_add_co_u32_e64 v18, s[28:29], -1, v4
	v_addc_co_u32_e64 v19, s[28:29], 0, -1, s[28:29]
	v_cmp_ne_u32_e64 s[28:29], 0, v4
	v_xor_b32_e32 v18, s28, v18
	v_xor_b32_e32 v4, s29, v19
	v_and_b32_e32 v21, exec_lo, v18
	v_lshlrev_b32_e32 v19, 30, v20
	v_mov_b32_e32 v18, v5
	v_cmp_gt_i64_e64 s[28:29], 0, v[18:19]
	v_not_b32_e32 v18, v19
	v_ashrrev_i32_e32 v18, 31, v18
	v_and_b32_e32 v4, exec_hi, v4
	v_xor_b32_e32 v19, s29, v18
	v_xor_b32_e32 v18, s28, v18
	v_and_b32_e32 v4, v4, v19
	v_and_b32_e32 v21, v21, v18
	v_lshlrev_b32_e32 v19, 29, v20
	v_mov_b32_e32 v18, v5
	v_cmp_gt_i64_e64 s[28:29], 0, v[18:19]
	v_not_b32_e32 v18, v19
	v_ashrrev_i32_e32 v18, 31, v18
	v_xor_b32_e32 v19, s29, v18
	v_xor_b32_e32 v18, s28, v18
	v_and_b32_e32 v4, v4, v19
	v_and_b32_e32 v21, v21, v18
	v_lshlrev_b32_e32 v19, 28, v20
	v_mov_b32_e32 v18, v5
	v_cmp_gt_i64_e64 s[28:29], 0, v[18:19]
	v_not_b32_e32 v18, v19
	v_ashrrev_i32_e32 v18, 31, v18
	;; [unrolled: 9-line block ×6, first 2 shown]
	v_xor_b32_e32 v19, s29, v18
	v_xor_b32_e32 v18, s28, v18
	v_and_b32_e32 v18, v21, v18
	v_and_b32_e32 v19, v4, v19
	v_mbcnt_lo_u32_b32 v4, v18, 0
	v_mbcnt_hi_u32_b32 v4, v19, v4
	v_cmp_eq_u32_e64 s[28:29], 0, v4
	v_cmp_ne_u64_e64 s[30:31], 0, v[18:19]
	s_and_b64 s[30:31], s[30:31], s[28:29]
	flat_store_dwordx4 v[8:9], v[14:17] offset:16
	s_waitcnt lgkmcnt(0)
	s_barrier
	s_waitcnt lgkmcnt(0)
	; wave barrier
	s_and_saveexec_b64 s[28:29], s[30:31]
	s_cbranch_execz .LBB1428_188
; %bb.187:                              ;   in Loop: Header=BB1428_186 Depth=1
	v_bcnt_u32_b32 v18, v18, 0
	v_bcnt_u32_b32 v18, v19, v18
	flat_store_dword v[48:49], v18
.LBB1428_188:                           ;   in Loop: Header=BB1428_186 Depth=1
	s_or_b64 exec, exec, s[28:29]
	; wave barrier
	s_waitcnt lgkmcnt(0)
	s_barrier
	flat_load_dwordx4 v[18:21], v[8:9] offset:16
	s_waitcnt vmcnt(0) lgkmcnt(0)
	v_add_u32_e32 v55, v19, v18
	v_add3_u32 v21, v55, v20, v21
	s_nop 1
	v_mov_b32_dpp v55, v21 row_shr:1 row_mask:0xf bank_mask:0xf
	v_cndmask_b32_e64 v55, v55, 0, vcc
	v_add_u32_e32 v21, v55, v21
	s_nop 1
	v_mov_b32_dpp v55, v21 row_shr:2 row_mask:0xf bank_mask:0xf
	v_cndmask_b32_e64 v55, 0, v55, s[4:5]
	v_add_u32_e32 v21, v21, v55
	s_nop 1
	v_mov_b32_dpp v55, v21 row_shr:4 row_mask:0xf bank_mask:0xf
	v_cndmask_b32_e64 v55, 0, v55, s[6:7]
	;; [unrolled: 4-line block ×3, first 2 shown]
	v_add_u32_e32 v21, v21, v55
	s_nop 1
	v_mov_b32_dpp v55, v21 row_bcast:15 row_mask:0xf bank_mask:0xf
	v_cndmask_b32_e64 v55, v55, 0, s[10:11]
	v_add_u32_e32 v21, v21, v55
	s_nop 1
	v_mov_b32_dpp v55, v21 row_bcast:31 row_mask:0xf bank_mask:0xf
	v_cndmask_b32_e64 v55, 0, v55, s[12:13]
	v_add_u32_e32 v21, v21, v55
	s_and_saveexec_b64 s[28:29], s[14:15]
	s_cbranch_execz .LBB1428_190
; %bb.189:                              ;   in Loop: Header=BB1428_186 Depth=1
	flat_store_dword v[30:31], v21
.LBB1428_190:                           ;   in Loop: Header=BB1428_186 Depth=1
	s_or_b64 exec, exec, s[28:29]
	s_waitcnt lgkmcnt(0)
	s_barrier
	s_and_saveexec_b64 s[28:29], s[16:17]
	s_cbranch_execz .LBB1428_192
; %bb.191:                              ;   in Loop: Header=BB1428_186 Depth=1
	flat_load_dword v55, v[28:29]
	s_waitcnt vmcnt(0) lgkmcnt(0)
	s_nop 0
	v_mov_b32_dpp v64, v55 row_shr:1 row_mask:0xf bank_mask:0xf
	v_cndmask_b32_e64 v64, v64, 0, s[24:25]
	v_add_u32_e32 v55, v64, v55
	s_nop 1
	v_mov_b32_dpp v64, v55 row_shr:2 row_mask:0xf bank_mask:0xf
	v_cndmask_b32_e64 v64, 0, v64, s[26:27]
	v_add_u32_e32 v55, v55, v64
	flat_store_dword v[28:29], v55
.LBB1428_192:                           ;   in Loop: Header=BB1428_186 Depth=1
	s_or_b64 exec, exec, s[28:29]
	v_mov_b32_e32 v55, 0
	s_waitcnt lgkmcnt(0)
	s_barrier
	s_and_saveexec_b64 s[28:29], s[18:19]
	s_cbranch_execz .LBB1428_194
; %bb.193:                              ;   in Loop: Header=BB1428_186 Depth=1
	flat_load_dword v55, v[32:33]
.LBB1428_194:                           ;   in Loop: Header=BB1428_186 Depth=1
	s_or_b64 exec, exec, s[28:29]
	s_waitcnt vmcnt(0) lgkmcnt(0)
	v_add_u32_e32 v21, v55, v21
	ds_bpermute_b32 v21, v52, v21
	v_add_u32_e32 v10, 8, v10
	v_cmp_lt_u32_e64 s[28:29], v10, v11
	s_mov_b64 s[36:37], -1
	s_waitcnt lgkmcnt(0)
	v_cndmask_b32_e64 v21, v21, v55, s[20:21]
	v_cndmask_b32_e64 v64, v21, 0, s[22:23]
	v_add_u32_e32 v65, v64, v18
	v_add_u32_e32 v66, v65, v19
	;; [unrolled: 1-line block ×3, first 2 shown]
	flat_store_dwordx4 v[8:9], v[64:67] offset:16
	s_waitcnt lgkmcnt(0)
	s_barrier
	flat_load_dword v18, v[48:49]
	s_waitcnt lgkmcnt(0)
                                        ; implicit-def: $vgpr55
	s_waitcnt vmcnt(0) lgkmcnt(0)
	v_add_u32_e32 v4, v18, v4
	v_lshlrev_b64 v[18:19], 2, v[4:5]
	v_add_co_u32_e64 v48, s[30:31], v12, v18
	v_addc_co_u32_e64 v49, s[30:31], v13, v19, s[30:31]
	v_add_co_u32_e64 v20, s[30:31], v48, v18
	v_addc_co_u32_e64 v21, s[30:31], v49, v19, s[30:31]
                                        ; implicit-def: $vgpr18_vgpr19
	s_and_saveexec_b64 s[30:31], s[28:29]
	s_cbranch_execz .LBB1428_185
; %bb.195:                              ;   in Loop: Header=BB1428_186 Depth=1
	s_barrier
	flat_store_dword v[48:49], v54
	s_waitcnt lgkmcnt(0)
	s_barrier
	flat_load_dword v55, v[34:35]
	s_waitcnt lgkmcnt(0)
	s_barrier
	flat_store_dwordx2 v[20:21], v[38:39]
	s_waitcnt lgkmcnt(0)
	s_barrier
	flat_load_dwordx2 v[18:19], v[36:37]
	v_add_u32_e32 v53, -8, v53
	s_xor_b64 s[36:37], exec, -1
	s_waitcnt lgkmcnt(0)
	s_barrier
	s_branch .LBB1428_185
.LBB1428_196:
	s_or_b64 exec, exec, s[34:35]
	v_lshlrev_b32_e32 v4, 3, v26
	v_add_co_u32_e32 v4, vcc, v12, v4
	v_addc_co_u32_e32 v5, vcc, 0, v13, vcc
	s_barrier
	flat_store_dword v[48:49], v54
	s_waitcnt lgkmcnt(0)
	s_barrier
	flat_load_dword v8, v[28:29]
	s_waitcnt lgkmcnt(0)
	s_barrier
	flat_store_dwordx2 v[20:21], v[38:39]
	s_waitcnt lgkmcnt(0)
	s_barrier
	flat_load_dwordx2 v[4:5], v[4:5]
	v_mov_b32_e32 v23, 0
	v_cmp_lt_u32_e32 vcc, v22, v150
	s_waitcnt lgkmcnt(0)
	s_barrier
	s_and_saveexec_b64 s[4:5], vcc
	s_cbranch_execz .LBB1428_198
; %bb.197:
	v_add_co_u32_e32 v6, vcc, v6, v0
	v_addc_co_u32_e32 v7, vcc, v7, v1, vcc
	v_lshlrev_b64 v[0:1], 3, v[22:23]
	v_add_co_u32_e32 v0, vcc, v6, v0
	v_addc_co_u32_e32 v1, vcc, v7, v1, vcc
	v_bfrev_b32_e32 v6, 1
	s_waitcnt vmcnt(0)
	v_cmp_lt_i32_e32 vcc, -1, v8
	v_cndmask_b32_e64 v6, v6, -1, vcc
	v_add_co_u32_e32 v7, vcc, v2, v24
	v_xor_b32_e32 v6, v6, v8
	v_addc_co_u32_e32 v8, vcc, v3, v25, vcc
	v_lshlrev_b64 v[2:3], 2, v[22:23]
	v_add_co_u32_e32 v2, vcc, v7, v2
	v_addc_co_u32_e32 v3, vcc, v8, v3, vcc
	flat_store_dword v[2:3], v6
	flat_store_dwordx2 v[0:1], v[4:5]
.LBB1428_198:
	s_or_b64 exec, exec, s[4:5]
.LBB1428_199:
	s_or_b64 exec, exec, s[38:39]
	v_readlane_b32 s30, v40, 14
	v_readlane_b32 s31, v40, 15
	;; [unrolled: 1-line block ×16, first 2 shown]
	s_or_saveexec_b64 s[4:5], -1
	buffer_load_dword v40, off, s[0:3], s32 ; 4-byte Folded Reload
	s_mov_b64 exec, s[4:5]
	s_waitcnt vmcnt(0) lgkmcnt(0)
	s_setpc_b64 s[30:31]
.Lfunc_end1428:
	.size	_ZN7rocprim17ROCPRIM_400000_NS6detail40segmented_radix_sort_single_block_helperIflLj256ELj8ELb0EE4sortIPKfPfPKlPlEEbT_T0_T1_T2_jjjjRNS3_12storage_typeE, .Lfunc_end1428-_ZN7rocprim17ROCPRIM_400000_NS6detail40segmented_radix_sort_single_block_helperIflLj256ELj8ELb0EE4sortIPKfPfPKlPlEEbT_T0_T1_T2_jjjjRNS3_12storage_typeE
                                        ; -- End function
	.section	.AMDGPU.csdata,"",@progbits
; Function info:
; codeLenInByte = 17096
; NumSgprs: 52
; NumVgprs: 195
; NumAgprs: 0
; TotalNumVgprs: 195
; ScratchSize: 8
; MemoryBound: 1
	.section	.text._ZN7rocprim17ROCPRIM_400000_NS6detail17trampoline_kernelINS0_14default_configENS1_36segmented_radix_sort_config_selectorIflEEZNS1_25segmented_radix_sort_implIS3_Lb0EPKfPfPKlPlN2at6native12_GLOBAL__N_18offset_tEEE10hipError_tPvRmT1_PNSt15iterator_traitsISK_E10value_typeET2_T3_PNSL_ISQ_E10value_typeET4_jRbjT5_SW_jjP12ihipStream_tbEUlT_E_NS1_11comp_targetILNS1_3genE4ELNS1_11target_archE910ELNS1_3gpuE8ELNS1_3repE0EEENS1_30default_config_static_selectorELNS0_4arch9wavefront6targetE1EEEvSK_,"axG",@progbits,_ZN7rocprim17ROCPRIM_400000_NS6detail17trampoline_kernelINS0_14default_configENS1_36segmented_radix_sort_config_selectorIflEEZNS1_25segmented_radix_sort_implIS3_Lb0EPKfPfPKlPlN2at6native12_GLOBAL__N_18offset_tEEE10hipError_tPvRmT1_PNSt15iterator_traitsISK_E10value_typeET2_T3_PNSL_ISQ_E10value_typeET4_jRbjT5_SW_jjP12ihipStream_tbEUlT_E_NS1_11comp_targetILNS1_3genE4ELNS1_11target_archE910ELNS1_3gpuE8ELNS1_3repE0EEENS1_30default_config_static_selectorELNS0_4arch9wavefront6targetE1EEEvSK_,comdat
	.globl	_ZN7rocprim17ROCPRIM_400000_NS6detail17trampoline_kernelINS0_14default_configENS1_36segmented_radix_sort_config_selectorIflEEZNS1_25segmented_radix_sort_implIS3_Lb0EPKfPfPKlPlN2at6native12_GLOBAL__N_18offset_tEEE10hipError_tPvRmT1_PNSt15iterator_traitsISK_E10value_typeET2_T3_PNSL_ISQ_E10value_typeET4_jRbjT5_SW_jjP12ihipStream_tbEUlT_E_NS1_11comp_targetILNS1_3genE4ELNS1_11target_archE910ELNS1_3gpuE8ELNS1_3repE0EEENS1_30default_config_static_selectorELNS0_4arch9wavefront6targetE1EEEvSK_ ; -- Begin function _ZN7rocprim17ROCPRIM_400000_NS6detail17trampoline_kernelINS0_14default_configENS1_36segmented_radix_sort_config_selectorIflEEZNS1_25segmented_radix_sort_implIS3_Lb0EPKfPfPKlPlN2at6native12_GLOBAL__N_18offset_tEEE10hipError_tPvRmT1_PNSt15iterator_traitsISK_E10value_typeET2_T3_PNSL_ISQ_E10value_typeET4_jRbjT5_SW_jjP12ihipStream_tbEUlT_E_NS1_11comp_targetILNS1_3genE4ELNS1_11target_archE910ELNS1_3gpuE8ELNS1_3repE0EEENS1_30default_config_static_selectorELNS0_4arch9wavefront6targetE1EEEvSK_
	.p2align	8
	.type	_ZN7rocprim17ROCPRIM_400000_NS6detail17trampoline_kernelINS0_14default_configENS1_36segmented_radix_sort_config_selectorIflEEZNS1_25segmented_radix_sort_implIS3_Lb0EPKfPfPKlPlN2at6native12_GLOBAL__N_18offset_tEEE10hipError_tPvRmT1_PNSt15iterator_traitsISK_E10value_typeET2_T3_PNSL_ISQ_E10value_typeET4_jRbjT5_SW_jjP12ihipStream_tbEUlT_E_NS1_11comp_targetILNS1_3genE4ELNS1_11target_archE910ELNS1_3gpuE8ELNS1_3repE0EEENS1_30default_config_static_selectorELNS0_4arch9wavefront6targetE1EEEvSK_,@function
_ZN7rocprim17ROCPRIM_400000_NS6detail17trampoline_kernelINS0_14default_configENS1_36segmented_radix_sort_config_selectorIflEEZNS1_25segmented_radix_sort_implIS3_Lb0EPKfPfPKlPlN2at6native12_GLOBAL__N_18offset_tEEE10hipError_tPvRmT1_PNSt15iterator_traitsISK_E10value_typeET2_T3_PNSL_ISQ_E10value_typeET4_jRbjT5_SW_jjP12ihipStream_tbEUlT_E_NS1_11comp_targetILNS1_3genE4ELNS1_11target_archE910ELNS1_3gpuE8ELNS1_3repE0EEENS1_30default_config_static_selectorELNS0_4arch9wavefront6targetE1EEEvSK_: ; @_ZN7rocprim17ROCPRIM_400000_NS6detail17trampoline_kernelINS0_14default_configENS1_36segmented_radix_sort_config_selectorIflEEZNS1_25segmented_radix_sort_implIS3_Lb0EPKfPfPKlPlN2at6native12_GLOBAL__N_18offset_tEEE10hipError_tPvRmT1_PNSt15iterator_traitsISK_E10value_typeET2_T3_PNSL_ISQ_E10value_typeET4_jRbjT5_SW_jjP12ihipStream_tbEUlT_E_NS1_11comp_targetILNS1_3genE4ELNS1_11target_archE910ELNS1_3gpuE8ELNS1_3repE0EEENS1_30default_config_static_selectorELNS0_4arch9wavefront6targetE1EEEvSK_
; %bb.0:
	s_add_u32 flat_scratch_lo, s6, s10
	s_addc_u32 flat_scratch_hi, s7, 0
	s_mov_b32 s33, s9
	s_mov_b64 s[48:49], s[4:5]
	s_mov_b32 s50, s8
	s_load_dwordx2 s[8:9], s[4:5], 0x38
	s_nop 0
	s_load_dwordx4 s[4:7], s[4:5], 0x40
	s_add_u32 s0, s0, s10
	s_mov_b32 s11, 0
	s_mov_b32 s10, s50
	s_addc_u32 s1, s1, 0
	s_lshl_b64 s[10:11], s[10:11], 2
	s_waitcnt lgkmcnt(0)
	s_add_u32 s8, s8, s10
	s_addc_u32 s9, s9, s11
	s_load_dword s8, s[8:9], 0x0
	s_mov_b32 s32, 0
	s_waitcnt lgkmcnt(0)
	s_add_i32 s51, s8, s5
	s_add_i32 s84, s8, s7
	s_mul_i32 s51, s51, s4
	s_mul_i32 s84, s84, s6
	s_cmp_le_u32 s84, s51
	s_cbranch_scc1 .LBB1429_678
; %bb.1:
	s_load_dword s4, s[48:49], 0x30
	s_load_dwordx4 s[72:75], s[48:49], 0x20
	s_load_dwordx4 s[76:79], s[48:49], 0x50
	s_load_dwordx8 s[56:63], s[48:49], 0x0
	s_waitcnt lgkmcnt(0)
	s_bitcmp1_b32 s4, 0
	s_cselect_b64 s[54:55], -1, 0
	s_sub_i32 s79, s84, s51
	s_cmpk_lt_u32 s79, 0x801
	s_mov_b64 s[4:5], -1
	s_cbranch_scc0 .LBB1429_7
; %bb.2:
	s_and_b32 s4, s76, 1
	v_cndmask_b32_e64 v1, 0, 1, s[54:55]
	v_cmp_ne_u32_e32 vcc, s4, v1
	s_mov_b64 s[4:5], -1
	s_cbranch_vccnz .LBB1429_4
; %bb.3:
	s_add_u32 s8, s48, 0x60
	s_mov_b64 s[4:5], src_shared_base
	s_addc_u32 s9, s49, 0
	s_mov_b32 s12, s50
	s_mov_b32 s13, s33
	v_mov_b32_e32 v31, v0
	v_mov_b32_e32 v41, v0
	v_mov_b32_e32 v0, s56
	v_mov_b32_e32 v1, s57
	v_mov_b32_e32 v2, s60
	v_mov_b32_e32 v3, s61
	v_mov_b32_e32 v4, s62
	v_mov_b32_e32 v5, s63
	v_mov_b32_e32 v6, s74
	v_mov_b32_e32 v7, s75
	v_mov_b32_e32 v8, s51
	v_mov_b32_e32 v9, s84
	v_mov_b32_e32 v10, s77
	v_mov_b32_e32 v11, s78
	v_mov_b32_e32 v12, 0
	v_mov_b32_e32 v13, s5
	s_getpc_b64 s[6:7]
	s_add_u32 s6, s6, _ZN7rocprim17ROCPRIM_400000_NS6detail40segmented_radix_sort_single_block_helperIflLj256ELj8ELb0EE4sortIPKfPfPKlPlEEbT_T0_T1_T2_jjjjRNS3_12storage_typeE@rel32@lo+4
	s_addc_u32 s7, s7, _ZN7rocprim17ROCPRIM_400000_NS6detail40segmented_radix_sort_single_block_helperIflLj256ELj8ELb0EE4sortIPKfPfPKlPlEEbT_T0_T1_T2_jjjjRNS3_12storage_typeE@rel32@hi+12
	s_swappc_b64 s[30:31], s[6:7]
	v_mov_b32_e32 v0, v41
	s_mov_b64 s[4:5], 0
.LBB1429_4:
	s_andn2_b64 vcc, exec, s[4:5]
	s_cbranch_vccnz .LBB1429_6
; %bb.5:
	s_add_u32 s8, s48, 0x60
	s_mov_b64 s[4:5], src_shared_base
	s_addc_u32 s9, s49, 0
	s_mov_b32 s12, s50
	s_mov_b32 s13, s33
	v_mov_b32_e32 v31, v0
	v_mov_b32_e32 v41, v0
	;; [unrolled: 1-line block ×16, first 2 shown]
	s_getpc_b64 s[6:7]
	s_add_u32 s6, s6, _ZN7rocprim17ROCPRIM_400000_NS6detail40segmented_radix_sort_single_block_helperIflLj256ELj8ELb0EE4sortIPKfPfPKlPlEEbT_T0_T1_T2_jjjjRNS3_12storage_typeE@rel32@lo+4
	s_addc_u32 s7, s7, _ZN7rocprim17ROCPRIM_400000_NS6detail40segmented_radix_sort_single_block_helperIflLj256ELj8ELb0EE4sortIPKfPfPKlPlEEbT_T0_T1_T2_jjjjRNS3_12storage_typeE@rel32@hi+12
	s_swappc_b64 s[30:31], s[6:7]
	v_mov_b32_e32 v0, v41
.LBB1429_6:
	s_mov_b64 s[4:5], 0
.LBB1429_7:
	s_andn2_b64 vcc, exec, s[4:5]
	s_cbranch_vccnz .LBB1429_678
; %bb.8:
	s_cmp_ge_u32 s77, s78
	s_cbranch_scc1 .LBB1429_678
; %bb.9:
	v_and_b32_e32 v18, 0x3ff, v0
	v_lshlrev_b32_e32 v19, 2, v18
	v_mov_b32_e32 v1, s61
	v_add_co_u32_e32 v40, vcc, s60, v19
	v_addc_co_u32_e32 v41, vcc, 0, v1, vcc
	v_or_b32_e32 v1, 63, v18
	v_cmp_eq_u32_e64 s[6:7], v1, v18
	v_lshrrev_b32_e32 v1, 4, v18
	v_mad_u32_u24 v42, v18, 12, v19
	v_and_b32_e32 v43, 12, v1
	v_lshlrev_b32_e32 v1, 3, v18
	v_bfe_u32 v48, v0, 20, 10
	v_bfe_u32 v49, v0, 10, 10
	v_mul_u32_u24_e32 v0, 5, v18
	v_mov_b32_e32 v51, 0x410
	v_and_b32_e32 v47, 0x600, v1
	v_add_u32_e32 v50, v42, v19
	v_lshl_add_u32 v52, v0, 2, v51
	v_lshlrev_b32_e32 v0, 4, v18
	v_sub_u32_e32 v53, v50, v0
	v_lshlrev_b32_e32 v0, 3, v47
	v_mov_b32_e32 v1, s75
	v_add_co_u32_e32 v54, vcc, s74, v0
	v_addc_co_u32_e32 v55, vcc, 0, v1, vcc
	v_lshlrev_b32_e32 v1, 2, v47
	v_mov_b32_e32 v2, s61
	v_add_co_u32_e32 v56, vcc, s60, v1
	v_addc_co_u32_e32 v57, vcc, 0, v2, vcc
	v_mov_b32_e32 v2, s59
	v_add_co_u32_e32 v59, vcc, s58, v19
	v_addc_co_u32_e32 v60, vcc, 0, v2, vcc
	;; [unrolled: 3-line block ×6, first 2 shown]
	v_mov_b32_e32 v0, s57
	v_add_co_u32_e32 v69, vcc, s56, v1
	s_movk_i32 s4, 0x100
	s_add_u32 s82, s48, 0x60
	s_movk_i32 s14, 0xff
	v_addc_co_u32_e32 v70, vcc, 0, v0, vcc
	v_mbcnt_lo_u32_b32 v0, -1, 0
	s_mov_b32 s81, 0
	v_mov_b32_e32 v20, 0
	v_or_b32_e32 v23, 0x100, v18
	v_or_b32_e32 v25, 0x200, v18
	;; [unrolled: 1-line block ×3, first 2 shown]
	v_and_b32_e32 v29, 3, v18
	v_or_b32_e32 v22, 0x400, v18
	v_or_b32_e32 v24, 0x500, v18
	;; [unrolled: 1-line block ×4, first 2 shown]
	v_cmp_gt_u32_e64 s[4:5], s4, v18
	v_or_b32_e32 v44, 0x4400, v43
	v_cmp_gt_u32_e64 s[8:9], 4, v18
	v_add_u32_e32 v45, 0x4400, v19
	v_cmp_lt_u32_e64 s[10:11], 63, v18
	v_add_u32_e32 v46, 0x43fc, v43
	s_addc_u32 s83, s49, 0
	v_cmp_eq_u32_e64 s[12:13], 0, v18
	v_cmp_ne_u32_e64 s[14:15], s14, v18
	v_add_u32_e32 v58, 0x400, v19
	s_brev_b32 s64, -2
	v_mov_b32_e32 v71, 1
	v_lshlrev_b32_e32 v72, 2, v18
	v_bfrev_b32_e32 v73, 1
	v_mbcnt_hi_u32_b32 v74, -1, v0
	v_bfrev_b32_e32 v1, -2
	s_mov_b32 s76, s77
	s_branch .LBB1429_12
.LBB1429_10:                            ;   in Loop: Header=BB1429_12 Depth=1
	s_waitcnt lgkmcnt(0)
	s_barrier
.LBB1429_11:                            ;   in Loop: Header=BB1429_12 Depth=1
	s_add_i32 s76, s76, 8
	s_cmp_ge_u32 s76, s78
	s_cbranch_scc1 .LBB1429_678
.LBB1429_12:                            ; =>This Loop Header: Depth=1
                                        ;     Child Loop BB1429_16 Depth 2
                                        ;     Child Loop BB1429_66 Depth 2
	;; [unrolled: 1-line block ×8, first 2 shown]
	s_sub_i32 s16, s78, s76
	s_min_u32 s16, s16, 8
	s_lshl_b32 s16, -1, s16
	s_xor_b64 s[54:55], s[54:55], -1
	s_not_b32 s85, s16
	s_cmp_lg_u32 s76, s77
	s_mov_b64 s[16:17], -1
	ds_write2st64_b32 v19, v20, v20 offset1:4
	ds_write2st64_b32 v19, v20, v20 offset0:8 offset1:12
	s_waitcnt lgkmcnt(0)
	s_cbranch_scc0 .LBB1429_346
; %bb.13:                               ;   in Loop: Header=BB1429_12 Depth=1
	s_and_b64 vcc, exec, s[54:55]
	s_cbranch_vccz .LBB1429_179
; %bb.14:                               ;   in Loop: Header=BB1429_12 Depth=1
	s_mov_b32 s22, s79
	s_mov_b32 s80, s51
	s_barrier
	s_waitcnt lgkmcnt(0)
                                        ; implicit-def: $vgpr2_vgpr3_vgpr4_vgpr5_vgpr6_vgpr7_vgpr8_vgpr9
	s_branch .LBB1429_16
.LBB1429_15:                            ;   in Loop: Header=BB1429_16 Depth=2
	s_or_b64 exec, exec, s[16:17]
	s_addk_i32 s22, 0xf800
	s_cmp_ge_u32 s23, s84
	s_mov_b32 s80, s23
	s_cbranch_scc1 .LBB1429_54
.LBB1429_16:                            ;   Parent Loop BB1429_12 Depth=1
                                        ; =>  This Inner Loop Header: Depth=2
	s_add_i32 s23, s80, 0x800
	s_cmp_gt_u32 s23, s84
	s_cbranch_scc1 .LBB1429_19
; %bb.17:                               ;   in Loop: Header=BB1429_16 Depth=2
	s_lshl_b64 s[16:17], s[80:81], 2
	v_mov_b32_e32 v0, s17
	v_add_co_u32_e32 v30, vcc, s16, v40
	v_addc_co_u32_e32 v31, vcc, v41, v0, vcc
	v_add_co_u32_e32 v32, vcc, 0x1000, v30
	v_addc_co_u32_e32 v33, vcc, 0, v31, vcc
	global_load_dword v10, v[30:31], off
	global_load_dword v11, v[30:31], off offset:1024
	global_load_dword v12, v[30:31], off offset:2048
	;; [unrolled: 1-line block ×3, first 2 shown]
	global_load_dword v14, v[32:33], off
	global_load_dword v15, v[32:33], off offset:1024
	global_load_dword v16, v[32:33], off offset:2048
	v_add_co_u32_e32 v30, vcc, 0x1c00, v30
	v_addc_co_u32_e32 v31, vcc, 0, v31, vcc
	s_mov_b64 s[16:17], -1
	s_movk_i32 s24, 0x800
	s_cbranch_execz .LBB1429_20
; %bb.18:                               ;   in Loop: Header=BB1429_16 Depth=2
                                        ; implicit-def: $vgpr2_vgpr3_vgpr4_vgpr5_vgpr6_vgpr7_vgpr8_vgpr9
	v_mov_b32_e32 v0, s22
	s_and_saveexec_b64 s[18:19], s[16:17]
	s_cbranch_execnz .LBB1429_31
	s_branch .LBB1429_32
.LBB1429_19:                            ;   in Loop: Header=BB1429_16 Depth=2
	s_mov_b64 s[16:17], 0
                                        ; implicit-def: $sgpr24
                                        ; implicit-def: $vgpr10_vgpr11_vgpr12_vgpr13_vgpr14_vgpr15_vgpr16_vgpr17
                                        ; implicit-def: $vgpr30_vgpr31
.LBB1429_20:                            ;   in Loop: Header=BB1429_16 Depth=2
	s_lshl_b64 s[18:19], s[80:81], 2
	s_add_u32 s18, s60, s18
	s_addc_u32 s19, s61, s19
	v_cmp_gt_u32_e32 vcc, s22, v18
	s_and_saveexec_b64 s[20:21], vcc
	s_cbranch_execz .LBB1429_48
; %bb.21:                               ;   in Loop: Header=BB1429_16 Depth=2
	global_load_dword v2, v72, s[18:19]
	s_or_b64 exec, exec, s[20:21]
	v_cmp_gt_u32_e32 vcc, s22, v23
	s_and_saveexec_b64 s[20:21], vcc
	s_cbranch_execnz .LBB1429_49
.LBB1429_22:                            ;   in Loop: Header=BB1429_16 Depth=2
	s_or_b64 exec, exec, s[20:21]
	v_cmp_gt_u32_e32 vcc, s22, v25
	s_and_saveexec_b64 s[20:21], vcc
	s_cbranch_execz .LBB1429_50
.LBB1429_23:                            ;   in Loop: Header=BB1429_16 Depth=2
	global_load_dword v4, v72, s[18:19] offset:2048
	s_or_b64 exec, exec, s[20:21]
	v_cmp_gt_u32_e32 vcc, s22, v27
	s_and_saveexec_b64 s[20:21], vcc
	s_cbranch_execnz .LBB1429_51
.LBB1429_24:                            ;   in Loop: Header=BB1429_16 Depth=2
	s_or_b64 exec, exec, s[20:21]
	v_cmp_gt_u32_e32 vcc, s22, v22
	s_and_saveexec_b64 s[20:21], vcc
	s_cbranch_execz .LBB1429_52
.LBB1429_25:                            ;   in Loop: Header=BB1429_16 Depth=2
	v_lshlrev_b32_e32 v0, 2, v22
	global_load_dword v6, v0, s[18:19]
	s_or_b64 exec, exec, s[20:21]
	v_cmp_gt_u32_e32 vcc, s22, v24
	s_and_saveexec_b64 s[20:21], vcc
	s_cbranch_execnz .LBB1429_53
.LBB1429_26:                            ;   in Loop: Header=BB1429_16 Depth=2
	s_or_b64 exec, exec, s[20:21]
	v_cmp_gt_u32_e32 vcc, s22, v26
	s_and_saveexec_b64 s[20:21], vcc
	s_cbranch_execz .LBB1429_28
.LBB1429_27:                            ;   in Loop: Header=BB1429_16 Depth=2
	v_lshlrev_b32_e32 v0, 2, v26
	global_load_dword v8, v0, s[18:19]
.LBB1429_28:                            ;   in Loop: Header=BB1429_16 Depth=2
	s_or_b64 exec, exec, s[20:21]
	v_cmp_gt_u32_e32 vcc, s22, v28
                                        ; implicit-def: $sgpr24
                                        ; implicit-def: $vgpr30_vgpr31
	s_and_saveexec_b64 s[20:21], vcc
	s_cbranch_execz .LBB1429_30
; %bb.29:                               ;   in Loop: Header=BB1429_16 Depth=2
	v_lshlrev_b32_e32 v0, 2, v28
	s_waitcnt vmcnt(6)
	v_mov_b32_e32 v10, s19
	v_add_co_u32_e32 v30, vcc, s18, v0
	s_sub_i32 s24, s84, s80
	v_addc_co_u32_e32 v31, vcc, 0, v10, vcc
	s_or_b64 s[16:17], s[16:17], exec
.LBB1429_30:                            ;   in Loop: Header=BB1429_16 Depth=2
	s_or_b64 exec, exec, s[20:21]
	s_waitcnt vmcnt(0)
	v_pk_mov_b32 v[16:17], v[8:9], v[8:9] op_sel:[0,1]
	v_pk_mov_b32 v[14:15], v[6:7], v[6:7] op_sel:[0,1]
	;; [unrolled: 1-line block ×4, first 2 shown]
	v_mov_b32_e32 v0, s22
	s_and_saveexec_b64 s[18:19], s[16:17]
	s_cbranch_execz .LBB1429_32
.LBB1429_31:                            ;   in Loop: Header=BB1429_16 Depth=2
	global_load_dword v17, v[30:31], off
	s_waitcnt vmcnt(0)
	v_pk_mov_b32 v[2:3], v[10:11], v[10:11] op_sel:[0,1]
	v_mov_b32_e32 v0, s24
	v_pk_mov_b32 v[4:5], v[12:13], v[12:13] op_sel:[0,1]
	v_pk_mov_b32 v[6:7], v[14:15], v[14:15] op_sel:[0,1]
	;; [unrolled: 1-line block ×3, first 2 shown]
.LBB1429_32:                            ;   in Loop: Header=BB1429_16 Depth=2
	s_or_b64 exec, exec, s[18:19]
	v_cmp_lt_u32_e32 vcc, v18, v0
	s_and_saveexec_b64 s[16:17], vcc
	s_cbranch_execz .LBB1429_40
; %bb.33:                               ;   in Loop: Header=BB1429_16 Depth=2
	v_cmp_lt_i32_e32 vcc, -1, v2
	s_waitcnt vmcnt(6)
	v_cndmask_b32_e32 v10, -1, v73, vcc
	v_xor_b32_e32 v10, v10, v2
	v_cmp_ne_u32_e32 vcc, s64, v10
	v_cndmask_b32_e32 v10, v73, v10, vcc
	v_lshrrev_b32_e32 v10, s76, v10
	v_and_b32_e32 v10, s85, v10
	s_waitcnt vmcnt(5)
	v_lshlrev_b32_e32 v11, 2, v29
	v_lshl_or_b32 v10, v10, 4, v11
	ds_add_u32 v10, v71
	s_or_b64 exec, exec, s[16:17]
	v_cmp_lt_u32_e32 vcc, v23, v0
	s_and_saveexec_b64 s[16:17], vcc
	s_cbranch_execnz .LBB1429_41
.LBB1429_34:                            ;   in Loop: Header=BB1429_16 Depth=2
	s_or_b64 exec, exec, s[16:17]
	v_cmp_lt_u32_e32 vcc, v25, v0
	s_and_saveexec_b64 s[16:17], vcc
	s_cbranch_execz .LBB1429_42
.LBB1429_35:                            ;   in Loop: Header=BB1429_16 Depth=2
	v_cmp_lt_i32_e32 vcc, -1, v4
	s_waitcnt vmcnt(6)
	v_cndmask_b32_e32 v10, -1, v73, vcc
	v_xor_b32_e32 v10, v10, v4
	v_cmp_ne_u32_e32 vcc, s64, v10
	v_cndmask_b32_e32 v10, v73, v10, vcc
	v_lshrrev_b32_e32 v10, s76, v10
	v_and_b32_e32 v10, s85, v10
	s_waitcnt vmcnt(5)
	v_lshlrev_b32_e32 v11, 2, v29
	v_lshl_or_b32 v10, v10, 4, v11
	ds_add_u32 v10, v71
	s_or_b64 exec, exec, s[16:17]
	v_cmp_lt_u32_e32 vcc, v27, v0
	s_and_saveexec_b64 s[16:17], vcc
	s_cbranch_execnz .LBB1429_43
.LBB1429_36:                            ;   in Loop: Header=BB1429_16 Depth=2
	s_or_b64 exec, exec, s[16:17]
	v_cmp_lt_u32_e32 vcc, v22, v0
	s_and_saveexec_b64 s[16:17], vcc
	s_cbranch_execz .LBB1429_44
.LBB1429_37:                            ;   in Loop: Header=BB1429_16 Depth=2
	v_cmp_lt_i32_e32 vcc, -1, v6
	s_waitcnt vmcnt(6)
	v_cndmask_b32_e32 v10, -1, v73, vcc
	v_xor_b32_e32 v10, v10, v6
	v_cmp_ne_u32_e32 vcc, s64, v10
	v_cndmask_b32_e32 v10, v73, v10, vcc
	v_lshrrev_b32_e32 v10, s76, v10
	v_and_b32_e32 v10, s85, v10
	s_waitcnt vmcnt(5)
	v_lshlrev_b32_e32 v11, 2, v29
	v_lshl_or_b32 v10, v10, 4, v11
	ds_add_u32 v10, v71
	s_or_b64 exec, exec, s[16:17]
	v_cmp_lt_u32_e32 vcc, v24, v0
	s_and_saveexec_b64 s[16:17], vcc
	s_cbranch_execnz .LBB1429_45
.LBB1429_38:                            ;   in Loop: Header=BB1429_16 Depth=2
	s_or_b64 exec, exec, s[16:17]
	v_cmp_lt_u32_e32 vcc, v26, v0
	s_and_saveexec_b64 s[16:17], vcc
	s_cbranch_execz .LBB1429_46
.LBB1429_39:                            ;   in Loop: Header=BB1429_16 Depth=2
	v_cmp_lt_i32_e32 vcc, -1, v8
	s_waitcnt vmcnt(6)
	v_cndmask_b32_e32 v10, -1, v73, vcc
	v_xor_b32_e32 v10, v10, v8
	v_cmp_ne_u32_e32 vcc, s64, v10
	v_cndmask_b32_e32 v10, v73, v10, vcc
	v_lshrrev_b32_e32 v10, s76, v10
	v_and_b32_e32 v10, s85, v10
	s_waitcnt vmcnt(5)
	v_lshlrev_b32_e32 v11, 2, v29
	v_lshl_or_b32 v10, v10, 4, v11
	ds_add_u32 v10, v71
	s_or_b64 exec, exec, s[16:17]
	v_cmp_lt_u32_e32 vcc, v28, v0
	s_and_saveexec_b64 s[16:17], vcc
	s_cbranch_execz .LBB1429_15
	s_branch .LBB1429_47
.LBB1429_40:                            ;   in Loop: Header=BB1429_16 Depth=2
	s_or_b64 exec, exec, s[16:17]
	v_cmp_lt_u32_e32 vcc, v23, v0
	s_and_saveexec_b64 s[16:17], vcc
	s_cbranch_execz .LBB1429_34
.LBB1429_41:                            ;   in Loop: Header=BB1429_16 Depth=2
	v_cmp_lt_i32_e32 vcc, -1, v3
	s_waitcnt vmcnt(6)
	v_cndmask_b32_e32 v10, -1, v73, vcc
	v_xor_b32_e32 v10, v10, v3
	v_cmp_ne_u32_e32 vcc, s64, v10
	v_cndmask_b32_e32 v10, v73, v10, vcc
	v_lshrrev_b32_e32 v10, s76, v10
	v_and_b32_e32 v10, s85, v10
	s_waitcnt vmcnt(5)
	v_lshlrev_b32_e32 v11, 2, v29
	v_lshl_or_b32 v10, v10, 4, v11
	ds_add_u32 v10, v71
	s_or_b64 exec, exec, s[16:17]
	v_cmp_lt_u32_e32 vcc, v25, v0
	s_and_saveexec_b64 s[16:17], vcc
	s_cbranch_execnz .LBB1429_35
.LBB1429_42:                            ;   in Loop: Header=BB1429_16 Depth=2
	s_or_b64 exec, exec, s[16:17]
	v_cmp_lt_u32_e32 vcc, v27, v0
	s_and_saveexec_b64 s[16:17], vcc
	s_cbranch_execz .LBB1429_36
.LBB1429_43:                            ;   in Loop: Header=BB1429_16 Depth=2
	v_cmp_lt_i32_e32 vcc, -1, v5
	s_waitcnt vmcnt(6)
	v_cndmask_b32_e32 v10, -1, v73, vcc
	v_xor_b32_e32 v10, v10, v5
	v_cmp_ne_u32_e32 vcc, s64, v10
	v_cndmask_b32_e32 v10, v73, v10, vcc
	v_lshrrev_b32_e32 v10, s76, v10
	v_and_b32_e32 v10, s85, v10
	s_waitcnt vmcnt(5)
	v_lshlrev_b32_e32 v11, 2, v29
	v_lshl_or_b32 v10, v10, 4, v11
	ds_add_u32 v10, v71
	s_or_b64 exec, exec, s[16:17]
	v_cmp_lt_u32_e32 vcc, v22, v0
	s_and_saveexec_b64 s[16:17], vcc
	s_cbranch_execnz .LBB1429_37
.LBB1429_44:                            ;   in Loop: Header=BB1429_16 Depth=2
	s_or_b64 exec, exec, s[16:17]
	v_cmp_lt_u32_e32 vcc, v24, v0
	s_and_saveexec_b64 s[16:17], vcc
	s_cbranch_execz .LBB1429_38
.LBB1429_45:                            ;   in Loop: Header=BB1429_16 Depth=2
	v_cmp_lt_i32_e32 vcc, -1, v7
	s_waitcnt vmcnt(6)
	v_cndmask_b32_e32 v10, -1, v73, vcc
	v_xor_b32_e32 v10, v10, v7
	v_cmp_ne_u32_e32 vcc, s64, v10
	v_cndmask_b32_e32 v10, v73, v10, vcc
	v_lshrrev_b32_e32 v10, s76, v10
	v_and_b32_e32 v10, s85, v10
	s_waitcnt vmcnt(5)
	v_lshlrev_b32_e32 v11, 2, v29
	v_lshl_or_b32 v10, v10, 4, v11
	ds_add_u32 v10, v71
	s_or_b64 exec, exec, s[16:17]
	v_cmp_lt_u32_e32 vcc, v26, v0
	s_and_saveexec_b64 s[16:17], vcc
	s_cbranch_execnz .LBB1429_39
.LBB1429_46:                            ;   in Loop: Header=BB1429_16 Depth=2
	s_or_b64 exec, exec, s[16:17]
	v_cmp_lt_u32_e32 vcc, v28, v0
	s_and_saveexec_b64 s[16:17], vcc
	s_cbranch_execz .LBB1429_15
.LBB1429_47:                            ;   in Loop: Header=BB1429_16 Depth=2
	v_cmp_lt_i32_e32 vcc, -1, v9
	v_cndmask_b32_e32 v0, -1, v73, vcc
	v_xor_b32_e32 v0, v0, v9
	v_cmp_ne_u32_e32 vcc, s64, v0
	v_cndmask_b32_e32 v0, v73, v0, vcc
	v_lshrrev_b32_e32 v0, s76, v0
	v_and_b32_e32 v0, s85, v0
	s_waitcnt vmcnt(6)
	v_lshlrev_b32_e32 v10, 2, v29
	v_lshl_or_b32 v0, v0, 4, v10
	ds_add_u32 v0, v71
	s_branch .LBB1429_15
.LBB1429_48:                            ;   in Loop: Header=BB1429_16 Depth=2
	s_or_b64 exec, exec, s[20:21]
	v_cmp_gt_u32_e32 vcc, s22, v23
	s_and_saveexec_b64 s[20:21], vcc
	s_cbranch_execz .LBB1429_22
.LBB1429_49:                            ;   in Loop: Header=BB1429_16 Depth=2
	global_load_dword v3, v72, s[18:19] offset:1024
	s_or_b64 exec, exec, s[20:21]
	v_cmp_gt_u32_e32 vcc, s22, v25
	s_and_saveexec_b64 s[20:21], vcc
	s_cbranch_execnz .LBB1429_23
.LBB1429_50:                            ;   in Loop: Header=BB1429_16 Depth=2
	s_or_b64 exec, exec, s[20:21]
	v_cmp_gt_u32_e32 vcc, s22, v27
	s_and_saveexec_b64 s[20:21], vcc
	s_cbranch_execz .LBB1429_24
.LBB1429_51:                            ;   in Loop: Header=BB1429_16 Depth=2
	global_load_dword v5, v72, s[18:19] offset:3072
	s_or_b64 exec, exec, s[20:21]
	v_cmp_gt_u32_e32 vcc, s22, v22
	s_and_saveexec_b64 s[20:21], vcc
	s_cbranch_execnz .LBB1429_25
.LBB1429_52:                            ;   in Loop: Header=BB1429_16 Depth=2
	s_or_b64 exec, exec, s[20:21]
	v_cmp_gt_u32_e32 vcc, s22, v24
	s_and_saveexec_b64 s[20:21], vcc
	s_cbranch_execz .LBB1429_26
.LBB1429_53:                            ;   in Loop: Header=BB1429_16 Depth=2
	v_lshlrev_b32_e32 v0, 2, v24
	global_load_dword v7, v0, s[18:19]
	s_or_b64 exec, exec, s[20:21]
	v_cmp_gt_u32_e32 vcc, s22, v26
	s_and_saveexec_b64 s[20:21], vcc
	s_cbranch_execz .LBB1429_28
	s_branch .LBB1429_27
.LBB1429_54:                            ;   in Loop: Header=BB1429_12 Depth=1
	v_mov_b32_e32 v0, 0
	s_waitcnt lgkmcnt(0)
	s_barrier
	s_and_saveexec_b64 s[16:17], s[4:5]
	s_cbranch_execz .LBB1429_56
; %bb.55:                               ;   in Loop: Header=BB1429_12 Depth=1
	ds_read2_b64 v[2:5], v42 offset1:1
	s_waitcnt lgkmcnt(0)
	v_add_u32_e32 v0, v3, v2
	v_add3_u32 v0, v0, v4, v5
.LBB1429_56:                            ;   in Loop: Header=BB1429_12 Depth=1
	s_or_b64 exec, exec, s[16:17]
	v_and_b32_e32 v2, 15, v74
	v_mov_b32_dpp v3, v0 row_shr:1 row_mask:0xf bank_mask:0xf
	v_cmp_eq_u32_e64 s[16:17], 0, v2
	v_cndmask_b32_e64 v3, v3, 0, s[16:17]
	v_add_u32_e32 v0, v3, v0
	v_cmp_lt_u32_e64 s[18:19], 1, v2
	v_cmp_lt_u32_e64 s[20:21], 3, v2
	v_mov_b32_dpp v3, v0 row_shr:2 row_mask:0xf bank_mask:0xf
	v_cndmask_b32_e64 v3, 0, v3, s[18:19]
	v_add_u32_e32 v0, v0, v3
	v_cmp_lt_u32_e64 s[22:23], 7, v2
	v_cmp_lt_u32_e64 s[26:27], 31, v74
	v_mov_b32_dpp v3, v0 row_shr:4 row_mask:0xf bank_mask:0xf
	v_cndmask_b32_e64 v3, 0, v3, s[20:21]
	v_add_u32_e32 v0, v0, v3
	v_and_b32_e32 v4, 16, v74
	v_cmp_eq_u32_e64 s[24:25], 0, v4
	v_mov_b32_dpp v3, v0 row_shr:8 row_mask:0xf bank_mask:0xf
	v_cndmask_b32_e64 v2, 0, v3, s[22:23]
	v_add_u32_e32 v0, v0, v2
	v_bfe_i32 v3, v74, 4, 1
	s_nop 0
	v_mov_b32_dpp v2, v0 row_bcast:15 row_mask:0xf bank_mask:0xf
	v_and_b32_e32 v2, v3, v2
	v_add_u32_e32 v0, v0, v2
	s_nop 1
	v_mov_b32_dpp v2, v0 row_bcast:31 row_mask:0xf bank_mask:0xf
	v_cndmask_b32_e64 v2, 0, v2, s[26:27]
	v_add_u32_e32 v2, v0, v2
	s_and_saveexec_b64 s[28:29], s[6:7]
	s_cbranch_execz .LBB1429_58
; %bb.57:                               ;   in Loop: Header=BB1429_12 Depth=1
	ds_write_b32 v44, v2
.LBB1429_58:                            ;   in Loop: Header=BB1429_12 Depth=1
	s_or_b64 exec, exec, s[28:29]
	v_and_b32_e32 v0, 3, v74
	s_waitcnt lgkmcnt(0)
	s_barrier
	s_and_saveexec_b64 s[28:29], s[8:9]
	s_cbranch_execz .LBB1429_60
; %bb.59:                               ;   in Loop: Header=BB1429_12 Depth=1
	ds_read_b32 v3, v45
	v_cmp_ne_u32_e32 vcc, 0, v0
	s_waitcnt lgkmcnt(0)
	v_mov_b32_dpp v4, v3 row_shr:1 row_mask:0xf bank_mask:0xf
	v_cndmask_b32_e32 v4, 0, v4, vcc
	v_add_u32_e32 v3, v4, v3
	v_cmp_lt_u32_e32 vcc, 1, v0
	s_nop 0
	v_mov_b32_dpp v4, v3 row_shr:2 row_mask:0xf bank_mask:0xf
	v_cndmask_b32_e32 v4, 0, v4, vcc
	v_add_u32_e32 v3, v3, v4
	ds_write_b32 v45, v3
.LBB1429_60:                            ;   in Loop: Header=BB1429_12 Depth=1
	s_or_b64 exec, exec, s[28:29]
	v_mov_b32_e32 v3, 0
	s_waitcnt lgkmcnt(0)
	s_barrier
	s_and_saveexec_b64 s[28:29], s[10:11]
	s_cbranch_execz .LBB1429_62
; %bb.61:                               ;   in Loop: Header=BB1429_12 Depth=1
	ds_read_b32 v3, v46
.LBB1429_62:                            ;   in Loop: Header=BB1429_12 Depth=1
	s_or_b64 exec, exec, s[28:29]
	v_add_u32_e32 v4, -1, v74
	v_and_b32_e32 v5, 64, v74
	v_cmp_lt_i32_e32 vcc, v4, v5
	v_cndmask_b32_e32 v4, v4, v74, vcc
	s_waitcnt lgkmcnt(0)
	v_add_u32_e32 v2, v3, v2
	v_lshlrev_b32_e32 v75, 2, v4
	ds_bpermute_b32 v2, v75, v2
	v_cmp_eq_u32_e64 s[28:29], 0, v74
	s_waitcnt lgkmcnt(0)
	s_barrier
	s_and_saveexec_b64 s[30:31], s[4:5]
	s_cbranch_execz .LBB1429_64
; %bb.63:                               ;   in Loop: Header=BB1429_12 Depth=1
	v_cndmask_b32_e64 v2, v2, v3, s[28:29]
	v_add_u32_e32 v2, s51, v2
	ds_write_b32 v19, v2
.LBB1429_64:                            ;   in Loop: Header=BB1429_12 Depth=1
	s_or_b64 exec, exec, s[30:31]
	s_load_dword s30, s[82:83], 0x4
	s_load_dword s36, s[82:83], 0xc
	v_cmp_lt_u32_e64 s[34:35], 1, v0
	s_mov_b32 s86, s79
	s_mov_b32 s80, s51
	s_waitcnt lgkmcnt(0)
	s_cmp_lt_u32 s33, s30
	s_cselect_b32 s30, 14, 20
	s_add_u32 s30, s82, s30
	s_addc_u32 s31, s83, 0
	global_load_ushort v2, v20, s[30:31]
	v_cmp_eq_u32_e64 s[30:31], 0, v0
	v_and_b32_e32 v0, 63, v74
	v_lshlrev_b32_e32 v3, 3, v0
	v_add_co_u32_e32 v83, vcc, v54, v3
	v_or_b32_e32 v80, v0, v47
	v_lshlrev_b32_e32 v0, 2, v0
	v_addc_co_u32_e32 v85, vcc, 0, v55, vcc
	v_add_co_u32_e32 v94, vcc, v56, v0
	v_addc_co_u32_e32 v95, vcc, 0, v57, vcc
	s_and_b32 s36, s36, 0xffff
	v_add_co_u32_e32 v96, vcc, 0x700, v94
	v_or_b32_e32 v87, 64, v80
	v_or_b32_e32 v88, 0x80, v80
	;; [unrolled: 1-line block ×7, first 2 shown]
	v_addc_co_u32_e32 v97, vcc, 0, v95, vcc
                                        ; implicit-def: $vgpr10_vgpr11
                                        ; implicit-def: $vgpr12_vgpr13
                                        ; implicit-def: $vgpr14_vgpr15
                                        ; implicit-def: $vgpr16_vgpr17
                                        ; implicit-def: $vgpr30_vgpr31
                                        ; implicit-def: $vgpr32_vgpr33
                                        ; implicit-def: $vgpr34_vgpr35
                                        ; implicit-def: $vgpr36_vgpr37
                                        ; implicit-def: $vgpr76
                                        ; implicit-def: $vgpr77
                                        ; implicit-def: $vgpr78
                                        ; implicit-def: $vgpr79
                                        ; implicit-def: $vgpr81
                                        ; implicit-def: $vgpr82
                                        ; implicit-def: $vgpr84
                                        ; implicit-def: $vgpr86
	s_waitcnt vmcnt(0)
	v_mad_u32_u24 v0, v48, v2, v49
	v_mad_u64_u32 v[2:3], s[36:37], v0, s36, v[18:19]
	v_lshrrev_b32_e32 v98, 6, v2
	s_branch .LBB1429_66
.LBB1429_65:                            ;   in Loop: Header=BB1429_66 Depth=2
	s_or_b64 exec, exec, s[36:37]
	s_addk_i32 s86, 0xf800
	s_cmp_lt_u32 s87, s84
	s_mov_b32 s80, s87
	s_cbranch_scc0 .LBB1429_178
.LBB1429_66:                            ;   Parent Loop BB1429_12 Depth=1
                                        ; =>  This Inner Loop Header: Depth=2
	s_add_i32 s87, s80, 0x800
	s_cmp_gt_u32 s87, s84
	s_cbranch_scc1 .LBB1429_68
; %bb.67:                               ;   in Loop: Header=BB1429_66 Depth=2
	s_lshl_b64 s[36:37], s[80:81], 2
	v_mov_b32_e32 v0, s37
	v_add_co_u32_e32 v8, vcc, s36, v94
	v_addc_co_u32_e32 v9, vcc, v95, v0, vcc
	global_load_dword v2, v[8:9], off
	global_load_dword v3, v[8:9], off offset:256
	global_load_dword v4, v[8:9], off offset:512
	;; [unrolled: 1-line block ×5, first 2 shown]
	s_nop 0
	global_load_dword v8, v[8:9], off offset:1536
	s_mov_b64 s[36:37], -1
	s_movk_i32 s40, 0x800
	s_cbranch_execz .LBB1429_69
	s_branch .LBB1429_78
.LBB1429_68:                            ;   in Loop: Header=BB1429_66 Depth=2
	s_mov_b64 s[36:37], 0
                                        ; implicit-def: $sgpr40
                                        ; implicit-def: $vgpr2_vgpr3_vgpr4_vgpr5_vgpr6_vgpr7_vgpr8_vgpr9
.LBB1429_69:                            ;   in Loop: Header=BB1429_66 Depth=2
	s_lshl_b64 s[36:37], s[80:81], 2
	v_mov_b32_e32 v0, s37
	v_add_co_u32_e32 v38, vcc, s36, v94
	s_mov_b32 s65, s64
	v_addc_co_u32_e32 v39, vcc, v95, v0, vcc
	s_mov_b32 s66, s64
	s_mov_b32 s67, s64
	;; [unrolled: 1-line block ×6, first 2 shown]
	s_waitcnt vmcnt(0)
	v_pk_mov_b32 v[2:3], s[64:65], s[64:65] op_sel:[0,1]
	v_cmp_gt_u32_e32 vcc, s86, v80
	v_pk_mov_b32 v[4:5], s[66:67], s[66:67] op_sel:[0,1]
	v_pk_mov_b32 v[6:7], s[68:69], s[68:69] op_sel:[0,1]
	;; [unrolled: 1-line block ×3, first 2 shown]
	s_and_saveexec_b64 s[36:37], vcc
	s_cbranch_execz .LBB1429_172
; %bb.70:                               ;   in Loop: Header=BB1429_66 Depth=2
	global_load_dword v0, v[38:39], off
	v_mov_b32_e32 v2, v1
	v_mov_b32_e32 v3, v1
	;; [unrolled: 1-line block ×6, first 2 shown]
	s_waitcnt vmcnt(0)
	v_pk_mov_b32 v[8:9], v[6:7], v[6:7] op_sel:[0,1]
	v_pk_mov_b32 v[6:7], v[4:5], v[4:5] op_sel:[0,1]
	;; [unrolled: 1-line block ×4, first 2 shown]
	s_or_b64 exec, exec, s[36:37]
	v_cmp_gt_u32_e32 vcc, s86, v87
	s_and_saveexec_b64 s[36:37], vcc
	s_cbranch_execnz .LBB1429_173
.LBB1429_71:                            ;   in Loop: Header=BB1429_66 Depth=2
	s_or_b64 exec, exec, s[36:37]
	v_cmp_gt_u32_e32 vcc, s86, v88
	s_and_saveexec_b64 s[36:37], vcc
	s_cbranch_execz .LBB1429_174
.LBB1429_72:                            ;   in Loop: Header=BB1429_66 Depth=2
	global_load_dword v4, v[38:39], off offset:512
	s_or_b64 exec, exec, s[36:37]
	v_cmp_gt_u32_e32 vcc, s86, v89
	s_and_saveexec_b64 s[36:37], vcc
	s_cbranch_execnz .LBB1429_175
.LBB1429_73:                            ;   in Loop: Header=BB1429_66 Depth=2
	s_or_b64 exec, exec, s[36:37]
	v_cmp_gt_u32_e32 vcc, s86, v90
	s_and_saveexec_b64 s[36:37], vcc
	s_cbranch_execz .LBB1429_176
.LBB1429_74:                            ;   in Loop: Header=BB1429_66 Depth=2
	global_load_dword v6, v[38:39], off offset:1024
	s_or_b64 exec, exec, s[36:37]
	v_cmp_gt_u32_e32 vcc, s86, v91
	s_and_saveexec_b64 s[36:37], vcc
	s_cbranch_execnz .LBB1429_177
.LBB1429_75:                            ;   in Loop: Header=BB1429_66 Depth=2
	s_or_b64 exec, exec, s[36:37]
	v_cmp_gt_u32_e32 vcc, s86, v92
	s_and_saveexec_b64 s[36:37], vcc
	s_cbranch_execz .LBB1429_77
.LBB1429_76:                            ;   in Loop: Header=BB1429_66 Depth=2
	global_load_dword v8, v[38:39], off offset:1536
.LBB1429_77:                            ;   in Loop: Header=BB1429_66 Depth=2
	s_or_b64 exec, exec, s[36:37]
	s_sub_i32 s40, s84, s80
	v_cmp_gt_u32_e64 s[36:37], s86, v93
.LBB1429_78:                            ;   in Loop: Header=BB1429_66 Depth=2
	v_mov_b32_e32 v0, s86
	s_and_saveexec_b64 s[38:39], s[36:37]
	s_cbranch_execz .LBB1429_80
; %bb.79:                               ;   in Loop: Header=BB1429_66 Depth=2
	s_lshl_b64 s[36:37], s[80:81], 2
	v_mov_b32_e32 v0, s37
	v_add_co_u32_e32 v38, vcc, s36, v96
	v_addc_co_u32_e32 v39, vcc, v97, v0, vcc
	global_load_dword v9, v[38:39], off
	v_mov_b32_e32 v0, s40
.LBB1429_80:                            ;   in Loop: Header=BB1429_66 Depth=2
	s_or_b64 exec, exec, s[38:39]
	s_waitcnt vmcnt(6)
	v_cmp_lt_i32_e32 vcc, -1, v2
	v_cndmask_b32_e32 v21, -1, v73, vcc
	v_xor_b32_e32 v99, v21, v2
	v_add_u32_e32 v2, 0x410, v50
	v_cmp_ne_u32_e32 vcc, s64, v99
	ds_write2_b32 v2, v20, v20 offset1:1
	ds_write2_b32 v52, v20, v20 offset0:2 offset1:3
	ds_write_b32 v52, v20 offset:16
	v_cndmask_b32_e32 v2, v73, v99, vcc
	v_lshrrev_b32_e32 v2, s76, v2
	v_and_b32_e32 v2, s85, v2
	v_mad_u32_u24 v21, v2, 5, v98
	v_lshl_add_u32 v100, v21, 2, v51
	v_and_b32_e32 v21, 1, v2
	v_add_co_u32_e32 v38, vcc, -1, v21
	v_addc_co_u32_e64 v39, s[36:37], 0, -1, vcc
	v_cmp_ne_u32_e32 vcc, 0, v21
	v_xor_b32_e32 v21, vcc_hi, v39
	v_and_b32_e32 v39, exec_hi, v21
	v_lshlrev_b32_e32 v21, 30, v2
	v_xor_b32_e32 v38, vcc_lo, v38
	v_cmp_gt_i64_e32 vcc, 0, v[20:21]
	v_not_b32_e32 v21, v21
	v_ashrrev_i32_e32 v21, 31, v21
	v_and_b32_e32 v38, exec_lo, v38
	v_xor_b32_e32 v101, vcc_hi, v21
	v_xor_b32_e32 v21, vcc_lo, v21
	v_and_b32_e32 v38, v38, v21
	v_lshlrev_b32_e32 v21, 29, v2
	v_cmp_gt_i64_e32 vcc, 0, v[20:21]
	v_not_b32_e32 v21, v21
	v_ashrrev_i32_e32 v21, 31, v21
	v_and_b32_e32 v39, v39, v101
	v_xor_b32_e32 v101, vcc_hi, v21
	v_xor_b32_e32 v21, vcc_lo, v21
	v_and_b32_e32 v38, v38, v21
	v_lshlrev_b32_e32 v21, 28, v2
	v_cmp_gt_i64_e32 vcc, 0, v[20:21]
	v_not_b32_e32 v21, v21
	v_ashrrev_i32_e32 v21, 31, v21
	v_and_b32_e32 v39, v39, v101
	;; [unrolled: 8-line block ×5, first 2 shown]
	v_xor_b32_e32 v101, vcc_hi, v21
	v_xor_b32_e32 v21, vcc_lo, v21
	v_and_b32_e32 v38, v38, v21
	v_lshlrev_b32_e32 v21, 24, v2
	v_not_b32_e32 v2, v21
	v_cmp_gt_i64_e32 vcc, 0, v[20:21]
	v_ashrrev_i32_e32 v2, 31, v2
	v_xor_b32_e32 v21, vcc_hi, v2
	v_xor_b32_e32 v2, vcc_lo, v2
	v_and_b32_e32 v39, v39, v101
	v_and_b32_e32 v38, v38, v2
	;; [unrolled: 1-line block ×3, first 2 shown]
	v_mbcnt_lo_u32_b32 v2, v38, 0
	v_mbcnt_hi_u32_b32 v101, v39, v2
	v_cmp_eq_u32_e32 vcc, 0, v101
	v_cmp_ne_u64_e64 s[36:37], 0, v[38:39]
	s_and_b64 s[38:39], s[36:37], vcc
	s_waitcnt lgkmcnt(0)
	s_barrier
	s_waitcnt lgkmcnt(0)
	; wave barrier
	s_and_saveexec_b64 s[36:37], s[38:39]
	s_cbranch_execz .LBB1429_82
; %bb.81:                               ;   in Loop: Header=BB1429_66 Depth=2
	v_bcnt_u32_b32 v2, v38, 0
	v_bcnt_u32_b32 v2, v39, v2
	ds_write_b32 v100, v2
.LBB1429_82:                            ;   in Loop: Header=BB1429_66 Depth=2
	s_or_b64 exec, exec, s[36:37]
	s_waitcnt vmcnt(0)
	v_cmp_lt_i32_e32 vcc, -1, v3
	v_cndmask_b32_e32 v2, -1, v73, vcc
	v_xor_b32_e32 v38, v2, v3
	v_cmp_ne_u32_e32 vcc, s64, v38
	v_cndmask_b32_e32 v2, v73, v38, vcc
	v_lshrrev_b32_e32 v2, s76, v2
	v_and_b32_e32 v2, s85, v2
	v_mul_u32_u24_e32 v3, 5, v2
	v_add_lshl_u32 v3, v3, v98, 2
	; wave barrier
	v_add_u32_e32 v102, 0x410, v3
	ds_read_b32 v39, v3 offset:1040
	v_and_b32_e32 v3, 1, v2
	v_add_co_u32_e32 v21, vcc, -1, v3
	v_addc_co_u32_e64 v103, s[36:37], 0, -1, vcc
	v_cmp_ne_u32_e32 vcc, 0, v3
	v_xor_b32_e32 v21, vcc_lo, v21
	v_xor_b32_e32 v3, vcc_hi, v103
	v_and_b32_e32 v103, exec_lo, v21
	v_lshlrev_b32_e32 v21, 30, v2
	v_cmp_gt_i64_e32 vcc, 0, v[20:21]
	v_not_b32_e32 v21, v21
	v_ashrrev_i32_e32 v21, 31, v21
	v_xor_b32_e32 v104, vcc_hi, v21
	v_xor_b32_e32 v21, vcc_lo, v21
	v_and_b32_e32 v103, v103, v21
	v_lshlrev_b32_e32 v21, 29, v2
	v_cmp_gt_i64_e32 vcc, 0, v[20:21]
	v_not_b32_e32 v21, v21
	v_and_b32_e32 v3, exec_hi, v3
	v_ashrrev_i32_e32 v21, 31, v21
	v_and_b32_e32 v3, v3, v104
	v_xor_b32_e32 v104, vcc_hi, v21
	v_xor_b32_e32 v21, vcc_lo, v21
	v_and_b32_e32 v103, v103, v21
	v_lshlrev_b32_e32 v21, 28, v2
	v_cmp_gt_i64_e32 vcc, 0, v[20:21]
	v_not_b32_e32 v21, v21
	v_ashrrev_i32_e32 v21, 31, v21
	v_and_b32_e32 v3, v3, v104
	v_xor_b32_e32 v104, vcc_hi, v21
	v_xor_b32_e32 v21, vcc_lo, v21
	v_and_b32_e32 v103, v103, v21
	v_lshlrev_b32_e32 v21, 27, v2
	v_cmp_gt_i64_e32 vcc, 0, v[20:21]
	v_not_b32_e32 v21, v21
	;; [unrolled: 8-line block ×4, first 2 shown]
	v_ashrrev_i32_e32 v21, 31, v21
	v_and_b32_e32 v3, v3, v104
	v_xor_b32_e32 v104, vcc_hi, v21
	v_xor_b32_e32 v21, vcc_lo, v21
	v_and_b32_e32 v103, v103, v21
	v_lshlrev_b32_e32 v21, 24, v2
	v_not_b32_e32 v2, v21
	v_cmp_gt_i64_e32 vcc, 0, v[20:21]
	v_ashrrev_i32_e32 v2, 31, v2
	v_xor_b32_e32 v21, vcc_hi, v2
	v_xor_b32_e32 v2, vcc_lo, v2
	v_and_b32_e32 v3, v3, v104
	v_and_b32_e32 v2, v103, v2
	v_and_b32_e32 v3, v3, v21
	v_mbcnt_lo_u32_b32 v21, v2, 0
	v_mbcnt_hi_u32_b32 v103, v3, v21
	v_cmp_eq_u32_e32 vcc, 0, v103
	v_cmp_ne_u64_e64 s[36:37], 0, v[2:3]
	s_and_b64 s[38:39], s[36:37], vcc
	; wave barrier
	s_and_saveexec_b64 s[36:37], s[38:39]
	s_cbranch_execz .LBB1429_84
; %bb.83:                               ;   in Loop: Header=BB1429_66 Depth=2
	v_bcnt_u32_b32 v2, v2, 0
	v_bcnt_u32_b32 v2, v3, v2
	s_waitcnt lgkmcnt(0)
	v_add_u32_e32 v2, v39, v2
	ds_write_b32 v102, v2
.LBB1429_84:                            ;   in Loop: Header=BB1429_66 Depth=2
	s_or_b64 exec, exec, s[36:37]
	v_cmp_lt_i32_e32 vcc, -1, v4
	v_cndmask_b32_e32 v2, -1, v73, vcc
	v_xor_b32_e32 v104, v2, v4
	v_cmp_ne_u32_e32 vcc, s64, v104
	v_cndmask_b32_e32 v2, v73, v104, vcc
	v_lshrrev_b32_e32 v2, s76, v2
	v_and_b32_e32 v2, s85, v2
	v_mul_u32_u24_e32 v3, 5, v2
	v_add_lshl_u32 v3, v3, v98, 2
	; wave barrier
	v_add_u32_e32 v106, 0x410, v3
	ds_read_b32 v105, v3 offset:1040
	v_and_b32_e32 v3, 1, v2
	v_add_co_u32_e32 v4, vcc, -1, v3
	v_addc_co_u32_e64 v21, s[36:37], 0, -1, vcc
	v_cmp_ne_u32_e32 vcc, 0, v3
	v_xor_b32_e32 v3, vcc_hi, v21
	v_lshlrev_b32_e32 v21, 30, v2
	v_xor_b32_e32 v4, vcc_lo, v4
	v_cmp_gt_i64_e32 vcc, 0, v[20:21]
	v_not_b32_e32 v21, v21
	v_ashrrev_i32_e32 v21, 31, v21
	v_and_b32_e32 v4, exec_lo, v4
	v_xor_b32_e32 v107, vcc_hi, v21
	v_xor_b32_e32 v21, vcc_lo, v21
	v_and_b32_e32 v4, v4, v21
	v_lshlrev_b32_e32 v21, 29, v2
	v_cmp_gt_i64_e32 vcc, 0, v[20:21]
	v_not_b32_e32 v21, v21
	v_and_b32_e32 v3, exec_hi, v3
	v_ashrrev_i32_e32 v21, 31, v21
	v_and_b32_e32 v3, v3, v107
	v_xor_b32_e32 v107, vcc_hi, v21
	v_xor_b32_e32 v21, vcc_lo, v21
	v_and_b32_e32 v4, v4, v21
	v_lshlrev_b32_e32 v21, 28, v2
	v_cmp_gt_i64_e32 vcc, 0, v[20:21]
	v_not_b32_e32 v21, v21
	v_ashrrev_i32_e32 v21, 31, v21
	v_and_b32_e32 v3, v3, v107
	v_xor_b32_e32 v107, vcc_hi, v21
	v_xor_b32_e32 v21, vcc_lo, v21
	v_and_b32_e32 v4, v4, v21
	v_lshlrev_b32_e32 v21, 27, v2
	v_cmp_gt_i64_e32 vcc, 0, v[20:21]
	v_not_b32_e32 v21, v21
	;; [unrolled: 8-line block ×4, first 2 shown]
	v_ashrrev_i32_e32 v21, 31, v21
	v_and_b32_e32 v3, v3, v107
	v_xor_b32_e32 v107, vcc_hi, v21
	v_xor_b32_e32 v21, vcc_lo, v21
	v_and_b32_e32 v4, v4, v21
	v_lshlrev_b32_e32 v21, 24, v2
	v_not_b32_e32 v2, v21
	v_cmp_gt_i64_e32 vcc, 0, v[20:21]
	v_ashrrev_i32_e32 v2, 31, v2
	v_xor_b32_e32 v21, vcc_hi, v2
	v_xor_b32_e32 v2, vcc_lo, v2
	v_and_b32_e32 v3, v3, v107
	v_and_b32_e32 v2, v4, v2
	;; [unrolled: 1-line block ×3, first 2 shown]
	v_mbcnt_lo_u32_b32 v4, v2, 0
	v_mbcnt_hi_u32_b32 v107, v3, v4
	v_cmp_eq_u32_e32 vcc, 0, v107
	v_cmp_ne_u64_e64 s[36:37], 0, v[2:3]
	s_and_b64 s[38:39], s[36:37], vcc
	; wave barrier
	s_and_saveexec_b64 s[36:37], s[38:39]
	s_cbranch_execz .LBB1429_86
; %bb.85:                               ;   in Loop: Header=BB1429_66 Depth=2
	v_bcnt_u32_b32 v2, v2, 0
	v_bcnt_u32_b32 v2, v3, v2
	s_waitcnt lgkmcnt(0)
	v_add_u32_e32 v2, v105, v2
	ds_write_b32 v106, v2
.LBB1429_86:                            ;   in Loop: Header=BB1429_66 Depth=2
	s_or_b64 exec, exec, s[36:37]
	v_cmp_lt_i32_e32 vcc, -1, v5
	v_cndmask_b32_e32 v2, -1, v73, vcc
	v_xor_b32_e32 v108, v2, v5
	v_cmp_ne_u32_e32 vcc, s64, v108
	v_cndmask_b32_e32 v2, v73, v108, vcc
	v_lshrrev_b32_e32 v2, s76, v2
	v_and_b32_e32 v2, s85, v2
	v_mul_u32_u24_e32 v3, 5, v2
	v_add_lshl_u32 v3, v3, v98, 2
	; wave barrier
	v_add_u32_e32 v110, 0x410, v3
	ds_read_b32 v109, v3 offset:1040
	v_and_b32_e32 v3, 1, v2
	v_add_co_u32_e32 v4, vcc, -1, v3
	v_addc_co_u32_e64 v5, s[36:37], 0, -1, vcc
	v_cmp_ne_u32_e32 vcc, 0, v3
	v_lshlrev_b32_e32 v21, 30, v2
	v_xor_b32_e32 v3, vcc_hi, v5
	v_not_b32_e32 v5, v21
	v_xor_b32_e32 v4, vcc_lo, v4
	v_cmp_gt_i64_e32 vcc, 0, v[20:21]
	v_ashrrev_i32_e32 v5, 31, v5
	v_and_b32_e32 v3, exec_hi, v3
	v_xor_b32_e32 v21, vcc_hi, v5
	v_and_b32_e32 v4, exec_lo, v4
	v_xor_b32_e32 v5, vcc_lo, v5
	v_and_b32_e32 v3, v3, v21
	v_lshlrev_b32_e32 v21, 29, v2
	v_and_b32_e32 v4, v4, v5
	v_not_b32_e32 v5, v21
	v_cmp_gt_i64_e32 vcc, 0, v[20:21]
	v_ashrrev_i32_e32 v5, 31, v5
	v_xor_b32_e32 v21, vcc_hi, v5
	v_xor_b32_e32 v5, vcc_lo, v5
	v_and_b32_e32 v3, v3, v21
	v_lshlrev_b32_e32 v21, 28, v2
	v_and_b32_e32 v4, v4, v5
	v_not_b32_e32 v5, v21
	v_cmp_gt_i64_e32 vcc, 0, v[20:21]
	v_ashrrev_i32_e32 v5, 31, v5
	v_xor_b32_e32 v21, vcc_hi, v5
	;; [unrolled: 8-line block ×5, first 2 shown]
	v_and_b32_e32 v3, v3, v21
	v_lshlrev_b32_e32 v21, 24, v2
	v_not_b32_e32 v2, v21
	v_xor_b32_e32 v5, vcc_lo, v5
	v_cmp_gt_i64_e32 vcc, 0, v[20:21]
	v_ashrrev_i32_e32 v2, 31, v2
	v_and_b32_e32 v4, v4, v5
	v_xor_b32_e32 v5, vcc_hi, v2
	v_xor_b32_e32 v2, vcc_lo, v2
	v_and_b32_e32 v2, v4, v2
	v_and_b32_e32 v3, v3, v5
	v_mbcnt_lo_u32_b32 v4, v2, 0
	v_mbcnt_hi_u32_b32 v111, v3, v4
	v_cmp_eq_u32_e32 vcc, 0, v111
	v_cmp_ne_u64_e64 s[36:37], 0, v[2:3]
	s_and_b64 s[38:39], s[36:37], vcc
	; wave barrier
	s_and_saveexec_b64 s[36:37], s[38:39]
	s_cbranch_execz .LBB1429_88
; %bb.87:                               ;   in Loop: Header=BB1429_66 Depth=2
	v_bcnt_u32_b32 v2, v2, 0
	v_bcnt_u32_b32 v2, v3, v2
	s_waitcnt lgkmcnt(0)
	v_add_u32_e32 v2, v109, v2
	ds_write_b32 v110, v2
.LBB1429_88:                            ;   in Loop: Header=BB1429_66 Depth=2
	s_or_b64 exec, exec, s[36:37]
	v_cmp_lt_i32_e32 vcc, -1, v6
	v_cndmask_b32_e32 v2, -1, v73, vcc
	v_xor_b32_e32 v112, v2, v6
	v_cmp_ne_u32_e32 vcc, s64, v112
	v_cndmask_b32_e32 v2, v73, v112, vcc
	v_lshrrev_b32_e32 v2, s76, v2
	v_and_b32_e32 v2, s85, v2
	v_mul_u32_u24_e32 v3, 5, v2
	v_add_lshl_u32 v3, v3, v98, 2
	; wave barrier
	v_add_u32_e32 v113, 0x410, v3
	ds_read_b32 v6, v3 offset:1040
	v_and_b32_e32 v3, 1, v2
	v_add_co_u32_e32 v4, vcc, -1, v3
	v_addc_co_u32_e64 v5, s[36:37], 0, -1, vcc
	v_cmp_ne_u32_e32 vcc, 0, v3
	v_lshlrev_b32_e32 v21, 30, v2
	v_xor_b32_e32 v3, vcc_hi, v5
	v_not_b32_e32 v5, v21
	v_xor_b32_e32 v4, vcc_lo, v4
	v_cmp_gt_i64_e32 vcc, 0, v[20:21]
	v_ashrrev_i32_e32 v5, 31, v5
	v_and_b32_e32 v3, exec_hi, v3
	v_xor_b32_e32 v21, vcc_hi, v5
	v_and_b32_e32 v4, exec_lo, v4
	v_xor_b32_e32 v5, vcc_lo, v5
	v_and_b32_e32 v3, v3, v21
	v_lshlrev_b32_e32 v21, 29, v2
	v_and_b32_e32 v4, v4, v5
	v_not_b32_e32 v5, v21
	v_cmp_gt_i64_e32 vcc, 0, v[20:21]
	v_ashrrev_i32_e32 v5, 31, v5
	v_xor_b32_e32 v21, vcc_hi, v5
	v_xor_b32_e32 v5, vcc_lo, v5
	v_and_b32_e32 v3, v3, v21
	v_lshlrev_b32_e32 v21, 28, v2
	v_and_b32_e32 v4, v4, v5
	v_not_b32_e32 v5, v21
	v_cmp_gt_i64_e32 vcc, 0, v[20:21]
	v_ashrrev_i32_e32 v5, 31, v5
	v_xor_b32_e32 v21, vcc_hi, v5
	;; [unrolled: 8-line block ×5, first 2 shown]
	v_and_b32_e32 v3, v3, v21
	v_lshlrev_b32_e32 v21, 24, v2
	v_not_b32_e32 v2, v21
	v_xor_b32_e32 v5, vcc_lo, v5
	v_cmp_gt_i64_e32 vcc, 0, v[20:21]
	v_ashrrev_i32_e32 v2, 31, v2
	v_and_b32_e32 v4, v4, v5
	v_xor_b32_e32 v5, vcc_hi, v2
	v_xor_b32_e32 v2, vcc_lo, v2
	v_and_b32_e32 v2, v4, v2
	v_and_b32_e32 v3, v3, v5
	v_mbcnt_lo_u32_b32 v4, v2, 0
	v_mbcnt_hi_u32_b32 v114, v3, v4
	v_cmp_eq_u32_e32 vcc, 0, v114
	v_cmp_ne_u64_e64 s[36:37], 0, v[2:3]
	s_and_b64 s[38:39], s[36:37], vcc
	; wave barrier
	s_and_saveexec_b64 s[36:37], s[38:39]
	s_cbranch_execz .LBB1429_90
; %bb.89:                               ;   in Loop: Header=BB1429_66 Depth=2
	v_bcnt_u32_b32 v2, v2, 0
	v_bcnt_u32_b32 v2, v3, v2
	s_waitcnt lgkmcnt(0)
	v_add_u32_e32 v2, v6, v2
	ds_write_b32 v113, v2
.LBB1429_90:                            ;   in Loop: Header=BB1429_66 Depth=2
	s_or_b64 exec, exec, s[36:37]
	v_cmp_lt_i32_e32 vcc, -1, v7
	v_cndmask_b32_e32 v2, -1, v73, vcc
	v_xor_b32_e32 v115, v2, v7
	v_cmp_ne_u32_e32 vcc, s64, v115
	v_cndmask_b32_e32 v2, v73, v115, vcc
	v_lshrrev_b32_e32 v2, s76, v2
	v_and_b32_e32 v2, s85, v2
	v_mul_u32_u24_e32 v3, 5, v2
	v_add_lshl_u32 v3, v3, v98, 2
	; wave barrier
	v_add_u32_e32 v116, 0x410, v3
	ds_read_b32 v7, v3 offset:1040
	v_and_b32_e32 v3, 1, v2
	v_add_co_u32_e32 v4, vcc, -1, v3
	v_addc_co_u32_e64 v5, s[36:37], 0, -1, vcc
	v_cmp_ne_u32_e32 vcc, 0, v3
	v_lshlrev_b32_e32 v21, 30, v2
	v_xor_b32_e32 v3, vcc_hi, v5
	v_not_b32_e32 v5, v21
	v_xor_b32_e32 v4, vcc_lo, v4
	v_cmp_gt_i64_e32 vcc, 0, v[20:21]
	v_ashrrev_i32_e32 v5, 31, v5
	v_and_b32_e32 v3, exec_hi, v3
	v_xor_b32_e32 v21, vcc_hi, v5
	v_and_b32_e32 v4, exec_lo, v4
	v_xor_b32_e32 v5, vcc_lo, v5
	v_and_b32_e32 v3, v3, v21
	v_lshlrev_b32_e32 v21, 29, v2
	v_and_b32_e32 v4, v4, v5
	v_not_b32_e32 v5, v21
	v_cmp_gt_i64_e32 vcc, 0, v[20:21]
	v_ashrrev_i32_e32 v5, 31, v5
	v_xor_b32_e32 v21, vcc_hi, v5
	v_xor_b32_e32 v5, vcc_lo, v5
	v_and_b32_e32 v3, v3, v21
	v_lshlrev_b32_e32 v21, 28, v2
	v_and_b32_e32 v4, v4, v5
	v_not_b32_e32 v5, v21
	v_cmp_gt_i64_e32 vcc, 0, v[20:21]
	v_ashrrev_i32_e32 v5, 31, v5
	v_xor_b32_e32 v21, vcc_hi, v5
	v_xor_b32_e32 v5, vcc_lo, v5
	v_and_b32_e32 v3, v3, v21
	v_lshlrev_b32_e32 v21, 27, v2
	v_and_b32_e32 v4, v4, v5
	v_not_b32_e32 v5, v21
	v_cmp_gt_i64_e32 vcc, 0, v[20:21]
	v_ashrrev_i32_e32 v5, 31, v5
	v_xor_b32_e32 v21, vcc_hi, v5
	v_xor_b32_e32 v5, vcc_lo, v5
	v_and_b32_e32 v3, v3, v21
	v_lshlrev_b32_e32 v21, 26, v2
	v_and_b32_e32 v4, v4, v5
	v_not_b32_e32 v5, v21
	v_cmp_gt_i64_e32 vcc, 0, v[20:21]
	v_ashrrev_i32_e32 v5, 31, v5
	v_xor_b32_e32 v21, vcc_hi, v5
	v_xor_b32_e32 v5, vcc_lo, v5
	v_and_b32_e32 v3, v3, v21
	v_lshlrev_b32_e32 v21, 25, v2
	v_and_b32_e32 v4, v4, v5
	v_not_b32_e32 v5, v21
	v_cmp_gt_i64_e32 vcc, 0, v[20:21]
	v_ashrrev_i32_e32 v5, 31, v5
	v_xor_b32_e32 v21, vcc_hi, v5
	v_and_b32_e32 v3, v3, v21
	v_lshlrev_b32_e32 v21, 24, v2
	v_not_b32_e32 v2, v21
	v_xor_b32_e32 v5, vcc_lo, v5
	v_cmp_gt_i64_e32 vcc, 0, v[20:21]
	v_ashrrev_i32_e32 v2, 31, v2
	v_and_b32_e32 v4, v4, v5
	v_xor_b32_e32 v5, vcc_hi, v2
	v_xor_b32_e32 v2, vcc_lo, v2
	v_and_b32_e32 v2, v4, v2
	v_and_b32_e32 v3, v3, v5
	v_mbcnt_lo_u32_b32 v4, v2, 0
	v_mbcnt_hi_u32_b32 v117, v3, v4
	v_cmp_eq_u32_e32 vcc, 0, v117
	v_cmp_ne_u64_e64 s[36:37], 0, v[2:3]
	s_and_b64 s[38:39], s[36:37], vcc
	; wave barrier
	s_and_saveexec_b64 s[36:37], s[38:39]
	s_cbranch_execz .LBB1429_92
; %bb.91:                               ;   in Loop: Header=BB1429_66 Depth=2
	v_bcnt_u32_b32 v2, v2, 0
	v_bcnt_u32_b32 v2, v3, v2
	s_waitcnt lgkmcnt(0)
	v_add_u32_e32 v2, v7, v2
	ds_write_b32 v116, v2
.LBB1429_92:                            ;   in Loop: Header=BB1429_66 Depth=2
	s_or_b64 exec, exec, s[36:37]
	v_cmp_lt_i32_e32 vcc, -1, v8
	v_cndmask_b32_e32 v2, -1, v73, vcc
	v_xor_b32_e32 v118, v2, v8
	v_cmp_ne_u32_e32 vcc, s64, v118
	v_cndmask_b32_e32 v2, v73, v118, vcc
	v_lshrrev_b32_e32 v2, s76, v2
	v_and_b32_e32 v2, s85, v2
	v_mul_u32_u24_e32 v3, 5, v2
	v_add_lshl_u32 v3, v3, v98, 2
	; wave barrier
	v_add_u32_e32 v8, 0x410, v3
	ds_read_b32 v119, v3 offset:1040
	v_and_b32_e32 v3, 1, v2
	v_add_co_u32_e32 v4, vcc, -1, v3
	v_addc_co_u32_e64 v5, s[36:37], 0, -1, vcc
	v_cmp_ne_u32_e32 vcc, 0, v3
	v_lshlrev_b32_e32 v21, 30, v2
	v_xor_b32_e32 v3, vcc_hi, v5
	v_not_b32_e32 v5, v21
	v_xor_b32_e32 v4, vcc_lo, v4
	v_cmp_gt_i64_e32 vcc, 0, v[20:21]
	v_ashrrev_i32_e32 v5, 31, v5
	v_and_b32_e32 v3, exec_hi, v3
	v_xor_b32_e32 v21, vcc_hi, v5
	v_and_b32_e32 v4, exec_lo, v4
	v_xor_b32_e32 v5, vcc_lo, v5
	v_and_b32_e32 v3, v3, v21
	v_lshlrev_b32_e32 v21, 29, v2
	v_and_b32_e32 v4, v4, v5
	v_not_b32_e32 v5, v21
	v_cmp_gt_i64_e32 vcc, 0, v[20:21]
	v_ashrrev_i32_e32 v5, 31, v5
	v_xor_b32_e32 v21, vcc_hi, v5
	v_xor_b32_e32 v5, vcc_lo, v5
	v_and_b32_e32 v3, v3, v21
	v_lshlrev_b32_e32 v21, 28, v2
	v_and_b32_e32 v4, v4, v5
	v_not_b32_e32 v5, v21
	v_cmp_gt_i64_e32 vcc, 0, v[20:21]
	v_ashrrev_i32_e32 v5, 31, v5
	v_xor_b32_e32 v21, vcc_hi, v5
	;; [unrolled: 8-line block ×5, first 2 shown]
	v_and_b32_e32 v3, v3, v21
	v_lshlrev_b32_e32 v21, 24, v2
	v_not_b32_e32 v2, v21
	v_xor_b32_e32 v5, vcc_lo, v5
	v_cmp_gt_i64_e32 vcc, 0, v[20:21]
	v_ashrrev_i32_e32 v2, 31, v2
	v_and_b32_e32 v4, v4, v5
	v_xor_b32_e32 v5, vcc_hi, v2
	v_xor_b32_e32 v2, vcc_lo, v2
	v_and_b32_e32 v2, v4, v2
	v_and_b32_e32 v3, v3, v5
	v_mbcnt_lo_u32_b32 v4, v2, 0
	v_mbcnt_hi_u32_b32 v120, v3, v4
	v_cmp_eq_u32_e32 vcc, 0, v120
	v_cmp_ne_u64_e64 s[36:37], 0, v[2:3]
	s_and_b64 s[38:39], s[36:37], vcc
	; wave barrier
	s_and_saveexec_b64 s[36:37], s[38:39]
	s_cbranch_execz .LBB1429_94
; %bb.93:                               ;   in Loop: Header=BB1429_66 Depth=2
	v_bcnt_u32_b32 v2, v2, 0
	v_bcnt_u32_b32 v2, v3, v2
	s_waitcnt lgkmcnt(0)
	v_add_u32_e32 v2, v119, v2
	ds_write_b32 v8, v2
.LBB1429_94:                            ;   in Loop: Header=BB1429_66 Depth=2
	s_or_b64 exec, exec, s[36:37]
	v_cmp_lt_i32_e32 vcc, -1, v9
	v_cndmask_b32_e32 v2, -1, v73, vcc
	v_xor_b32_e32 v121, v2, v9
	v_cmp_ne_u32_e32 vcc, s64, v121
	v_cndmask_b32_e32 v2, v73, v121, vcc
	v_lshrrev_b32_e32 v2, s76, v2
	v_and_b32_e32 v2, s85, v2
	v_mul_u32_u24_e32 v3, 5, v2
	v_add_lshl_u32 v3, v3, v98, 2
	; wave barrier
	v_add_u32_e32 v9, 0x410, v3
	ds_read_b32 v122, v3 offset:1040
	v_and_b32_e32 v3, 1, v2
	v_add_co_u32_e32 v4, vcc, -1, v3
	v_addc_co_u32_e64 v5, s[36:37], 0, -1, vcc
	v_cmp_ne_u32_e32 vcc, 0, v3
	v_lshlrev_b32_e32 v21, 30, v2
	v_xor_b32_e32 v3, vcc_hi, v5
	v_not_b32_e32 v5, v21
	v_xor_b32_e32 v4, vcc_lo, v4
	v_cmp_gt_i64_e32 vcc, 0, v[20:21]
	v_ashrrev_i32_e32 v5, 31, v5
	v_and_b32_e32 v3, exec_hi, v3
	v_xor_b32_e32 v21, vcc_hi, v5
	v_and_b32_e32 v4, exec_lo, v4
	v_xor_b32_e32 v5, vcc_lo, v5
	v_and_b32_e32 v3, v3, v21
	v_lshlrev_b32_e32 v21, 29, v2
	v_and_b32_e32 v4, v4, v5
	v_not_b32_e32 v5, v21
	v_cmp_gt_i64_e32 vcc, 0, v[20:21]
	v_ashrrev_i32_e32 v5, 31, v5
	v_xor_b32_e32 v21, vcc_hi, v5
	v_xor_b32_e32 v5, vcc_lo, v5
	v_and_b32_e32 v3, v3, v21
	v_lshlrev_b32_e32 v21, 28, v2
	v_and_b32_e32 v4, v4, v5
	v_not_b32_e32 v5, v21
	v_cmp_gt_i64_e32 vcc, 0, v[20:21]
	v_ashrrev_i32_e32 v5, 31, v5
	v_xor_b32_e32 v21, vcc_hi, v5
	;; [unrolled: 8-line block ×5, first 2 shown]
	v_and_b32_e32 v3, v3, v21
	v_lshlrev_b32_e32 v21, 24, v2
	v_not_b32_e32 v2, v21
	v_xor_b32_e32 v5, vcc_lo, v5
	v_cmp_gt_i64_e32 vcc, 0, v[20:21]
	v_ashrrev_i32_e32 v2, 31, v2
	v_and_b32_e32 v4, v4, v5
	v_xor_b32_e32 v5, vcc_hi, v2
	v_xor_b32_e32 v2, vcc_lo, v2
	v_and_b32_e32 v2, v4, v2
	v_and_b32_e32 v3, v3, v5
	v_mbcnt_lo_u32_b32 v4, v2, 0
	v_mbcnt_hi_u32_b32 v123, v3, v4
	v_cmp_eq_u32_e32 vcc, 0, v123
	v_cmp_ne_u64_e64 s[36:37], 0, v[2:3]
	s_and_b64 s[38:39], s[36:37], vcc
	; wave barrier
	s_and_saveexec_b64 s[36:37], s[38:39]
	s_cbranch_execz .LBB1429_96
; %bb.95:                               ;   in Loop: Header=BB1429_66 Depth=2
	v_bcnt_u32_b32 v2, v2, 0
	v_bcnt_u32_b32 v2, v3, v2
	s_waitcnt lgkmcnt(0)
	v_add_u32_e32 v2, v122, v2
	ds_write_b32 v9, v2
.LBB1429_96:                            ;   in Loop: Header=BB1429_66 Depth=2
	s_or_b64 exec, exec, s[36:37]
	; wave barrier
	s_waitcnt lgkmcnt(0)
	s_barrier
	ds_read_b32 v21, v50 offset:1040
	ds_read2_b32 v[4:5], v52 offset0:1 offset1:2
	ds_read2_b32 v[2:3], v52 offset0:3 offset1:4
	s_waitcnt lgkmcnt(1)
	v_add3_u32 v124, v4, v21, v5
	s_waitcnt lgkmcnt(0)
	v_add3_u32 v3, v124, v2, v3
	s_nop 1
	v_mov_b32_dpp v124, v3 row_shr:1 row_mask:0xf bank_mask:0xf
	v_cndmask_b32_e64 v124, v124, 0, s[16:17]
	v_add_u32_e32 v3, v124, v3
	s_nop 1
	v_mov_b32_dpp v124, v3 row_shr:2 row_mask:0xf bank_mask:0xf
	v_cndmask_b32_e64 v124, 0, v124, s[18:19]
	v_add_u32_e32 v3, v3, v124
	;; [unrolled: 4-line block ×4, first 2 shown]
	s_nop 1
	v_mov_b32_dpp v124, v3 row_bcast:15 row_mask:0xf bank_mask:0xf
	v_cndmask_b32_e64 v124, v124, 0, s[24:25]
	v_add_u32_e32 v3, v3, v124
	s_nop 1
	v_mov_b32_dpp v124, v3 row_bcast:31 row_mask:0xf bank_mask:0xf
	v_cndmask_b32_e64 v124, 0, v124, s[26:27]
	v_add_u32_e32 v3, v3, v124
	s_and_saveexec_b64 s[36:37], s[6:7]
	s_cbranch_execz .LBB1429_98
; %bb.97:                               ;   in Loop: Header=BB1429_66 Depth=2
	ds_write_b32 v43, v3 offset:1024
.LBB1429_98:                            ;   in Loop: Header=BB1429_66 Depth=2
	s_or_b64 exec, exec, s[36:37]
	s_waitcnt lgkmcnt(0)
	s_barrier
	s_and_saveexec_b64 s[36:37], s[8:9]
	s_cbranch_execz .LBB1429_100
; %bb.99:                               ;   in Loop: Header=BB1429_66 Depth=2
	ds_read_b32 v124, v53 offset:1024
	s_waitcnt lgkmcnt(0)
	s_nop 0
	v_mov_b32_dpp v125, v124 row_shr:1 row_mask:0xf bank_mask:0xf
	v_cndmask_b32_e64 v125, v125, 0, s[30:31]
	v_add_u32_e32 v124, v125, v124
	s_nop 1
	v_mov_b32_dpp v125, v124 row_shr:2 row_mask:0xf bank_mask:0xf
	v_cndmask_b32_e64 v125, 0, v125, s[34:35]
	v_add_u32_e32 v124, v124, v125
	ds_write_b32 v53, v124 offset:1024
.LBB1429_100:                           ;   in Loop: Header=BB1429_66 Depth=2
	s_or_b64 exec, exec, s[36:37]
	v_mov_b32_e32 v124, 0
	s_waitcnt lgkmcnt(0)
	s_barrier
	s_and_saveexec_b64 s[36:37], s[10:11]
	s_cbranch_execz .LBB1429_102
; %bb.101:                              ;   in Loop: Header=BB1429_66 Depth=2
	ds_read_b32 v124, v43 offset:1020
.LBB1429_102:                           ;   in Loop: Header=BB1429_66 Depth=2
	s_or_b64 exec, exec, s[36:37]
	s_waitcnt lgkmcnt(0)
	v_add_u32_e32 v3, v124, v3
	ds_bpermute_b32 v3, v75, v3
	s_waitcnt lgkmcnt(0)
	v_cndmask_b32_e64 v3, v3, v124, s[28:29]
	v_cndmask_b32_e64 v3, v3, 0, s[12:13]
	v_add_u32_e32 v21, v3, v21
	ds_write_b32 v50, v3 offset:1040
	v_add_u32_e32 v3, v21, v4
	v_add_u32_e32 v4, v3, v5
	;; [unrolled: 1-line block ×3, first 2 shown]
	ds_write2_b32 v52, v21, v3 offset0:1 offset1:2
	ds_write2_b32 v52, v4, v2 offset0:3 offset1:4
	s_waitcnt lgkmcnt(0)
	s_barrier
	ds_read_b32 v2, v102
	ds_read_b32 v3, v106
	;; [unrolled: 1-line block ×8, first 2 shown]
	ds_read_b32 v9, v50 offset:1040
	v_mov_b32_e32 v4, 0x800
	s_and_saveexec_b64 s[36:37], s[14:15]
	s_cbranch_execz .LBB1429_104
; %bb.103:                              ;   in Loop: Header=BB1429_66 Depth=2
	ds_read_b32 v4, v50 offset:1060
.LBB1429_104:                           ;   in Loop: Header=BB1429_66 Depth=2
	s_or_b64 exec, exec, s[36:37]
	s_waitcnt lgkmcnt(0)
	s_barrier
	s_and_saveexec_b64 s[36:37], s[4:5]
	s_cbranch_execz .LBB1429_106
; %bb.105:                              ;   in Loop: Header=BB1429_66 Depth=2
	ds_read_b32 v21, v19
	s_waitcnt lgkmcnt(0)
	v_sub_u32_e32 v9, v21, v9
	ds_write_b32 v19, v9
.LBB1429_106:                           ;   in Loop: Header=BB1429_66 Depth=2
	s_or_b64 exec, exec, s[36:37]
	v_add_u32_e32 v100, v8, v101
	v_add3_u32 v39, v103, v39, v2
	v_lshlrev_b32_e32 v2, 2, v100
	v_add3_u32 v21, v107, v105, v3
	ds_write_b32 v2, v99 offset:1024
	v_lshlrev_b32_e32 v2, 2, v39
	v_add3_u32 v9, v111, v109, v5
	ds_write_b32 v2, v38 offset:1024
	;; [unrolled: 3-line block ×6, first 2 shown]
	v_lshlrev_b32_e32 v2, 2, v6
	ds_write_b32 v2, v118 offset:1024
	v_lshlrev_b32_e32 v2, 2, v5
	v_cmp_lt_u32_e32 vcc, v18, v0
	ds_write_b32 v2, v121 offset:1024
	s_waitcnt lgkmcnt(0)
	s_barrier
	s_and_saveexec_b64 s[38:39], vcc
	s_cbranch_execz .LBB1429_114
; %bb.107:                              ;   in Loop: Header=BB1429_66 Depth=2
	ds_read_b32 v2, v53 offset:1024
	v_mov_b32_e32 v3, v20
	v_mov_b32_e32 v99, s59
	s_waitcnt lgkmcnt(0)
	v_cmp_ne_u32_e64 s[36:37], s64, v2
	v_cndmask_b32_e64 v38, v73, v2, s[36:37]
	v_lshrrev_b32_e32 v38, s76, v38
	v_and_b32_e32 v38, s85, v38
	v_lshlrev_b32_e32 v38, 2, v38
	ds_read_b32 v38, v38
	v_cmp_lt_i32_e64 s[36:37], -1, v2
	v_cndmask_b32_e64 v101, v73, -1, s[36:37]
	v_xor_b32_e32 v101, v101, v2
	s_waitcnt lgkmcnt(0)
	v_add_u32_e32 v2, v38, v18
	v_lshlrev_b64 v[2:3], 2, v[2:3]
	v_add_co_u32_e64 v2, s[36:37], s58, v2
	v_addc_co_u32_e64 v3, s[36:37], v99, v3, s[36:37]
	global_store_dword v[2:3], v101, off
	s_or_b64 exec, exec, s[38:39]
	v_cmp_lt_u32_e64 s[36:37], v23, v0
	s_and_saveexec_b64 s[40:41], s[36:37]
	s_cbranch_execnz .LBB1429_115
.LBB1429_108:                           ;   in Loop: Header=BB1429_66 Depth=2
	s_or_b64 exec, exec, s[40:41]
	v_cmp_lt_u32_e64 s[38:39], v25, v0
	s_and_saveexec_b64 s[42:43], s[38:39]
	s_cbranch_execz .LBB1429_116
.LBB1429_109:                           ;   in Loop: Header=BB1429_66 Depth=2
	ds_read_b32 v2, v58 offset:2048
	v_mov_b32_e32 v3, v20
	v_mov_b32_e32 v99, s59
	s_waitcnt lgkmcnt(0)
	v_cmp_ne_u32_e64 s[40:41], s64, v2
	v_cndmask_b32_e64 v38, v73, v2, s[40:41]
	v_lshrrev_b32_e32 v38, s76, v38
	v_and_b32_e32 v38, s85, v38
	v_lshlrev_b32_e32 v38, 2, v38
	ds_read_b32 v38, v38
	v_cmp_lt_i32_e64 s[40:41], -1, v2
	v_cndmask_b32_e64 v101, v73, -1, s[40:41]
	v_xor_b32_e32 v101, v101, v2
	s_waitcnt lgkmcnt(0)
	v_add_u32_e32 v2, v38, v25
	v_lshlrev_b64 v[2:3], 2, v[2:3]
	v_add_co_u32_e64 v2, s[40:41], s58, v2
	v_addc_co_u32_e64 v3, s[40:41], v99, v3, s[40:41]
	global_store_dword v[2:3], v101, off
	s_or_b64 exec, exec, s[42:43]
	v_cmp_lt_u32_e64 s[40:41], v27, v0
	s_and_saveexec_b64 s[44:45], s[40:41]
	s_cbranch_execnz .LBB1429_117
.LBB1429_110:                           ;   in Loop: Header=BB1429_66 Depth=2
	s_or_b64 exec, exec, s[44:45]
	v_cmp_lt_u32_e64 s[42:43], v22, v0
	s_and_saveexec_b64 s[46:47], s[42:43]
	s_cbranch_execz .LBB1429_118
.LBB1429_111:                           ;   in Loop: Header=BB1429_66 Depth=2
	ds_read_b32 v2, v58 offset:4096
	v_mov_b32_e32 v3, v20
	v_mov_b32_e32 v99, s59
	s_waitcnt lgkmcnt(0)
	v_cmp_ne_u32_e64 s[44:45], s64, v2
	v_cndmask_b32_e64 v38, v73, v2, s[44:45]
	v_lshrrev_b32_e32 v38, s76, v38
	v_and_b32_e32 v38, s85, v38
	v_lshlrev_b32_e32 v38, 2, v38
	ds_read_b32 v38, v38
	v_cmp_lt_i32_e64 s[44:45], -1, v2
	v_cndmask_b32_e64 v101, v73, -1, s[44:45]
	v_xor_b32_e32 v101, v101, v2
	s_waitcnt lgkmcnt(0)
	v_add_u32_e32 v2, v38, v22
	v_lshlrev_b64 v[2:3], 2, v[2:3]
	v_add_co_u32_e64 v2, s[44:45], s58, v2
	v_addc_co_u32_e64 v3, s[44:45], v99, v3, s[44:45]
	global_store_dword v[2:3], v101, off
	s_or_b64 exec, exec, s[46:47]
	v_cmp_lt_u32_e64 s[44:45], v24, v0
	s_and_saveexec_b64 s[48:49], s[44:45]
	s_cbranch_execnz .LBB1429_119
.LBB1429_112:                           ;   in Loop: Header=BB1429_66 Depth=2
	s_or_b64 exec, exec, s[48:49]
	v_cmp_lt_u32_e64 s[46:47], v26, v0
	s_and_saveexec_b64 s[52:53], s[46:47]
	s_cbranch_execz .LBB1429_120
.LBB1429_113:                           ;   in Loop: Header=BB1429_66 Depth=2
	ds_read_b32 v2, v58 offset:6144
	v_mov_b32_e32 v3, v20
	v_mov_b32_e32 v99, s59
	s_waitcnt lgkmcnt(0)
	v_cmp_ne_u32_e64 s[48:49], s64, v2
	v_cndmask_b32_e64 v38, v73, v2, s[48:49]
	v_lshrrev_b32_e32 v38, s76, v38
	v_and_b32_e32 v38, s85, v38
	v_lshlrev_b32_e32 v38, 2, v38
	ds_read_b32 v38, v38
	v_cmp_lt_i32_e64 s[48:49], -1, v2
	v_cndmask_b32_e64 v101, v73, -1, s[48:49]
	v_xor_b32_e32 v101, v101, v2
	s_waitcnt lgkmcnt(0)
	v_add_u32_e32 v2, v38, v26
	v_lshlrev_b64 v[2:3], 2, v[2:3]
	v_add_co_u32_e64 v2, s[48:49], s58, v2
	v_addc_co_u32_e64 v3, s[48:49], v99, v3, s[48:49]
	global_store_dword v[2:3], v101, off
	s_or_b64 exec, exec, s[52:53]
	v_cmp_lt_u32_e64 s[48:49], v28, v0
	s_and_saveexec_b64 s[62:63], s[48:49]
	s_cbranch_execnz .LBB1429_121
	s_branch .LBB1429_122
.LBB1429_114:                           ;   in Loop: Header=BB1429_66 Depth=2
	s_or_b64 exec, exec, s[38:39]
	v_cmp_lt_u32_e64 s[36:37], v23, v0
	s_and_saveexec_b64 s[40:41], s[36:37]
	s_cbranch_execz .LBB1429_108
.LBB1429_115:                           ;   in Loop: Header=BB1429_66 Depth=2
	ds_read_b32 v2, v58 offset:1024
	v_mov_b32_e32 v3, v20
	v_mov_b32_e32 v99, s59
	s_waitcnt lgkmcnt(0)
	v_cmp_ne_u32_e64 s[38:39], s64, v2
	v_cndmask_b32_e64 v38, v73, v2, s[38:39]
	v_lshrrev_b32_e32 v38, s76, v38
	v_and_b32_e32 v38, s85, v38
	v_lshlrev_b32_e32 v38, 2, v38
	ds_read_b32 v38, v38
	v_cmp_lt_i32_e64 s[38:39], -1, v2
	v_cndmask_b32_e64 v101, v73, -1, s[38:39]
	v_xor_b32_e32 v101, v101, v2
	s_waitcnt lgkmcnt(0)
	v_add_u32_e32 v2, v38, v23
	v_lshlrev_b64 v[2:3], 2, v[2:3]
	v_add_co_u32_e64 v2, s[38:39], s58, v2
	v_addc_co_u32_e64 v3, s[38:39], v99, v3, s[38:39]
	global_store_dword v[2:3], v101, off
	s_or_b64 exec, exec, s[40:41]
	v_cmp_lt_u32_e64 s[38:39], v25, v0
	s_and_saveexec_b64 s[42:43], s[38:39]
	s_cbranch_execnz .LBB1429_109
.LBB1429_116:                           ;   in Loop: Header=BB1429_66 Depth=2
	s_or_b64 exec, exec, s[42:43]
	v_cmp_lt_u32_e64 s[40:41], v27, v0
	s_and_saveexec_b64 s[44:45], s[40:41]
	s_cbranch_execz .LBB1429_110
.LBB1429_117:                           ;   in Loop: Header=BB1429_66 Depth=2
	ds_read_b32 v2, v58 offset:3072
	v_mov_b32_e32 v3, v20
	v_mov_b32_e32 v99, s59
	s_waitcnt lgkmcnt(0)
	v_cmp_ne_u32_e64 s[42:43], s64, v2
	v_cndmask_b32_e64 v38, v73, v2, s[42:43]
	v_lshrrev_b32_e32 v38, s76, v38
	v_and_b32_e32 v38, s85, v38
	v_lshlrev_b32_e32 v38, 2, v38
	ds_read_b32 v38, v38
	v_cmp_lt_i32_e64 s[42:43], -1, v2
	v_cndmask_b32_e64 v101, v73, -1, s[42:43]
	v_xor_b32_e32 v101, v101, v2
	s_waitcnt lgkmcnt(0)
	v_add_u32_e32 v2, v38, v27
	v_lshlrev_b64 v[2:3], 2, v[2:3]
	v_add_co_u32_e64 v2, s[42:43], s58, v2
	v_addc_co_u32_e64 v3, s[42:43], v99, v3, s[42:43]
	global_store_dword v[2:3], v101, off
	s_or_b64 exec, exec, s[44:45]
	v_cmp_lt_u32_e64 s[42:43], v22, v0
	s_and_saveexec_b64 s[46:47], s[42:43]
	s_cbranch_execnz .LBB1429_111
.LBB1429_118:                           ;   in Loop: Header=BB1429_66 Depth=2
	s_or_b64 exec, exec, s[46:47]
	v_cmp_lt_u32_e64 s[44:45], v24, v0
	s_and_saveexec_b64 s[48:49], s[44:45]
	s_cbranch_execz .LBB1429_112
.LBB1429_119:                           ;   in Loop: Header=BB1429_66 Depth=2
	ds_read_b32 v2, v58 offset:5120
	v_mov_b32_e32 v3, v20
	v_mov_b32_e32 v99, s59
	s_waitcnt lgkmcnt(0)
	v_cmp_ne_u32_e64 s[46:47], s64, v2
	v_cndmask_b32_e64 v38, v73, v2, s[46:47]
	v_lshrrev_b32_e32 v38, s76, v38
	v_and_b32_e32 v38, s85, v38
	v_lshlrev_b32_e32 v38, 2, v38
	ds_read_b32 v38, v38
	v_cmp_lt_i32_e64 s[46:47], -1, v2
	v_cndmask_b32_e64 v101, v73, -1, s[46:47]
	v_xor_b32_e32 v101, v101, v2
	s_waitcnt lgkmcnt(0)
	v_add_u32_e32 v2, v38, v24
	v_lshlrev_b64 v[2:3], 2, v[2:3]
	v_add_co_u32_e64 v2, s[46:47], s58, v2
	v_addc_co_u32_e64 v3, s[46:47], v99, v3, s[46:47]
	global_store_dword v[2:3], v101, off
	s_or_b64 exec, exec, s[48:49]
	v_cmp_lt_u32_e64 s[46:47], v26, v0
	s_and_saveexec_b64 s[52:53], s[46:47]
	s_cbranch_execnz .LBB1429_113
.LBB1429_120:                           ;   in Loop: Header=BB1429_66 Depth=2
	s_or_b64 exec, exec, s[52:53]
	v_cmp_lt_u32_e64 s[48:49], v28, v0
	s_and_saveexec_b64 s[62:63], s[48:49]
	s_cbranch_execz .LBB1429_122
.LBB1429_121:                           ;   in Loop: Header=BB1429_66 Depth=2
	ds_read_b32 v2, v58 offset:7168
	v_mov_b32_e32 v3, v20
	v_mov_b32_e32 v99, s59
	s_waitcnt lgkmcnt(0)
	v_cmp_ne_u32_e64 s[52:53], s64, v2
	v_cndmask_b32_e64 v38, v73, v2, s[52:53]
	v_lshrrev_b32_e32 v38, s76, v38
	v_and_b32_e32 v38, s85, v38
	v_lshlrev_b32_e32 v38, 2, v38
	ds_read_b32 v38, v38
	v_cmp_lt_i32_e64 s[52:53], -1, v2
	v_cndmask_b32_e64 v101, v73, -1, s[52:53]
	v_xor_b32_e32 v101, v101, v2
	s_waitcnt lgkmcnt(0)
	v_add_u32_e32 v2, v38, v28
	v_lshlrev_b64 v[2:3], 2, v[2:3]
	v_add_co_u32_e64 v2, s[52:53], s58, v2
	v_addc_co_u32_e64 v3, s[52:53], v99, v3, s[52:53]
	global_store_dword v[2:3], v101, off
.LBB1429_122:                           ;   in Loop: Header=BB1429_66 Depth=2
	s_or_b64 exec, exec, s[62:63]
	s_lshl_b64 s[52:53], s[80:81], 3
	v_mov_b32_e32 v3, s53
	v_add_co_u32_e64 v2, s[52:53], s52, v83
	v_addc_co_u32_e64 v3, s[52:53], v85, v3, s[52:53]
	v_cmp_lt_u32_e64 s[52:53], v80, v0
	s_and_saveexec_b64 s[62:63], s[52:53]
	s_xor_b64 s[52:53], exec, s[62:63]
	s_cbranch_execz .LBB1429_138
; %bb.123:                              ;   in Loop: Header=BB1429_66 Depth=2
	global_load_dwordx2 v[36:37], v[2:3], off
	s_or_b64 exec, exec, s[52:53]
	v_cmp_lt_u32_e64 s[52:53], v87, v0
	s_and_saveexec_b64 s[62:63], s[52:53]
	s_cbranch_execnz .LBB1429_139
.LBB1429_124:                           ;   in Loop: Header=BB1429_66 Depth=2
	s_or_b64 exec, exec, s[62:63]
	v_cmp_lt_u32_e64 s[52:53], v88, v0
	s_and_saveexec_b64 s[62:63], s[52:53]
	s_cbranch_execz .LBB1429_140
.LBB1429_125:                           ;   in Loop: Header=BB1429_66 Depth=2
	global_load_dwordx2 v[32:33], v[2:3], off offset:1024
	s_or_b64 exec, exec, s[62:63]
	v_cmp_lt_u32_e64 s[52:53], v89, v0
	s_and_saveexec_b64 s[62:63], s[52:53]
	s_cbranch_execnz .LBB1429_141
.LBB1429_126:                           ;   in Loop: Header=BB1429_66 Depth=2
	s_or_b64 exec, exec, s[62:63]
	v_cmp_lt_u32_e64 s[52:53], v90, v0
	s_and_saveexec_b64 s[62:63], s[52:53]
	s_cbranch_execz .LBB1429_142
.LBB1429_127:                           ;   in Loop: Header=BB1429_66 Depth=2
	global_load_dwordx2 v[16:17], v[2:3], off offset:2048
	s_or_b64 exec, exec, s[62:63]
	v_cmp_lt_u32_e64 s[52:53], v91, v0
	s_and_saveexec_b64 s[62:63], s[52:53]
	s_cbranch_execnz .LBB1429_143
.LBB1429_128:                           ;   in Loop: Header=BB1429_66 Depth=2
	s_or_b64 exec, exec, s[62:63]
	v_cmp_lt_u32_e64 s[52:53], v92, v0
	s_and_saveexec_b64 s[62:63], s[52:53]
	s_cbranch_execz .LBB1429_144
.LBB1429_129:                           ;   in Loop: Header=BB1429_66 Depth=2
	global_load_dwordx2 v[12:13], v[2:3], off offset:3072
	s_or_b64 exec, exec, s[62:63]
	v_cmp_lt_u32_e64 s[52:53], v93, v0
	s_and_saveexec_b64 s[62:63], s[52:53]
	s_cbranch_execnz .LBB1429_145
.LBB1429_130:                           ;   in Loop: Header=BB1429_66 Depth=2
	s_or_b64 exec, exec, s[62:63]
	s_and_saveexec_b64 s[62:63], vcc
	s_cbranch_execz .LBB1429_146
.LBB1429_131:                           ;   in Loop: Header=BB1429_66 Depth=2
	ds_read_b32 v0, v53 offset:1024
	s_waitcnt lgkmcnt(0)
	v_cmp_ne_u32_e64 s[52:53], s64, v0
	v_cndmask_b32_e64 v0, v73, v0, s[52:53]
	v_lshrrev_b32_e32 v0, s76, v0
	v_and_b32_e32 v86, s85, v0
	s_or_b64 exec, exec, s[62:63]
	s_and_saveexec_b64 s[62:63], s[36:37]
	s_cbranch_execnz .LBB1429_147
.LBB1429_132:                           ;   in Loop: Header=BB1429_66 Depth=2
	s_or_b64 exec, exec, s[62:63]
	s_and_saveexec_b64 s[62:63], s[38:39]
	s_cbranch_execz .LBB1429_148
.LBB1429_133:                           ;   in Loop: Header=BB1429_66 Depth=2
	ds_read_b32 v0, v58 offset:2048
	s_waitcnt lgkmcnt(0)
	v_cmp_ne_u32_e64 s[52:53], s64, v0
	v_cndmask_b32_e64 v0, v73, v0, s[52:53]
	v_lshrrev_b32_e32 v0, s76, v0
	v_and_b32_e32 v82, s85, v0
	s_or_b64 exec, exec, s[62:63]
	s_and_saveexec_b64 s[62:63], s[40:41]
	s_cbranch_execnz .LBB1429_149
.LBB1429_134:                           ;   in Loop: Header=BB1429_66 Depth=2
	s_or_b64 exec, exec, s[62:63]
	s_and_saveexec_b64 s[62:63], s[42:43]
	s_cbranch_execz .LBB1429_150
.LBB1429_135:                           ;   in Loop: Header=BB1429_66 Depth=2
	ds_read_b32 v0, v58 offset:4096
	s_waitcnt lgkmcnt(0)
	v_cmp_ne_u32_e64 s[52:53], s64, v0
	v_cndmask_b32_e64 v0, v73, v0, s[52:53]
	v_lshrrev_b32_e32 v0, s76, v0
	v_and_b32_e32 v79, s85, v0
	s_or_b64 exec, exec, s[62:63]
	s_and_saveexec_b64 s[62:63], s[44:45]
	s_cbranch_execnz .LBB1429_151
.LBB1429_136:                           ;   in Loop: Header=BB1429_66 Depth=2
	s_or_b64 exec, exec, s[62:63]
	s_and_saveexec_b64 s[62:63], s[46:47]
	s_cbranch_execz .LBB1429_152
.LBB1429_137:                           ;   in Loop: Header=BB1429_66 Depth=2
	ds_read_b32 v0, v58 offset:6144
	s_waitcnt lgkmcnt(0)
	v_cmp_ne_u32_e64 s[52:53], s64, v0
	v_cndmask_b32_e64 v0, v73, v0, s[52:53]
	v_lshrrev_b32_e32 v0, s76, v0
	v_and_b32_e32 v77, s85, v0
	s_or_b64 exec, exec, s[62:63]
	s_and_saveexec_b64 s[62:63], s[48:49]
	s_cbranch_execnz .LBB1429_153
	s_branch .LBB1429_154
.LBB1429_138:                           ;   in Loop: Header=BB1429_66 Depth=2
	s_or_b64 exec, exec, s[52:53]
	v_cmp_lt_u32_e64 s[52:53], v87, v0
	s_and_saveexec_b64 s[62:63], s[52:53]
	s_cbranch_execz .LBB1429_124
.LBB1429_139:                           ;   in Loop: Header=BB1429_66 Depth=2
	global_load_dwordx2 v[34:35], v[2:3], off offset:512
	s_or_b64 exec, exec, s[62:63]
	v_cmp_lt_u32_e64 s[52:53], v88, v0
	s_and_saveexec_b64 s[62:63], s[52:53]
	s_cbranch_execnz .LBB1429_125
.LBB1429_140:                           ;   in Loop: Header=BB1429_66 Depth=2
	s_or_b64 exec, exec, s[62:63]
	v_cmp_lt_u32_e64 s[52:53], v89, v0
	s_and_saveexec_b64 s[62:63], s[52:53]
	s_cbranch_execz .LBB1429_126
.LBB1429_141:                           ;   in Loop: Header=BB1429_66 Depth=2
	global_load_dwordx2 v[30:31], v[2:3], off offset:1536
	s_or_b64 exec, exec, s[62:63]
	v_cmp_lt_u32_e64 s[52:53], v90, v0
	s_and_saveexec_b64 s[62:63], s[52:53]
	s_cbranch_execnz .LBB1429_127
.LBB1429_142:                           ;   in Loop: Header=BB1429_66 Depth=2
	s_or_b64 exec, exec, s[62:63]
	v_cmp_lt_u32_e64 s[52:53], v91, v0
	s_and_saveexec_b64 s[62:63], s[52:53]
	s_cbranch_execz .LBB1429_128
.LBB1429_143:                           ;   in Loop: Header=BB1429_66 Depth=2
	global_load_dwordx2 v[14:15], v[2:3], off offset:2560
	s_or_b64 exec, exec, s[62:63]
	v_cmp_lt_u32_e64 s[52:53], v92, v0
	s_and_saveexec_b64 s[62:63], s[52:53]
	s_cbranch_execnz .LBB1429_129
.LBB1429_144:                           ;   in Loop: Header=BB1429_66 Depth=2
	s_or_b64 exec, exec, s[62:63]
	v_cmp_lt_u32_e64 s[52:53], v93, v0
	s_and_saveexec_b64 s[62:63], s[52:53]
	s_cbranch_execz .LBB1429_130
.LBB1429_145:                           ;   in Loop: Header=BB1429_66 Depth=2
	global_load_dwordx2 v[10:11], v[2:3], off offset:3584
	s_or_b64 exec, exec, s[62:63]
	s_and_saveexec_b64 s[62:63], vcc
	s_cbranch_execnz .LBB1429_131
.LBB1429_146:                           ;   in Loop: Header=BB1429_66 Depth=2
	s_or_b64 exec, exec, s[62:63]
	s_and_saveexec_b64 s[62:63], s[36:37]
	s_cbranch_execz .LBB1429_132
.LBB1429_147:                           ;   in Loop: Header=BB1429_66 Depth=2
	ds_read_b32 v0, v58 offset:1024
	s_waitcnt lgkmcnt(0)
	v_cmp_ne_u32_e64 s[52:53], s64, v0
	v_cndmask_b32_e64 v0, v73, v0, s[52:53]
	v_lshrrev_b32_e32 v0, s76, v0
	v_and_b32_e32 v84, s85, v0
	s_or_b64 exec, exec, s[62:63]
	s_and_saveexec_b64 s[62:63], s[38:39]
	s_cbranch_execnz .LBB1429_133
.LBB1429_148:                           ;   in Loop: Header=BB1429_66 Depth=2
	s_or_b64 exec, exec, s[62:63]
	s_and_saveexec_b64 s[62:63], s[40:41]
	s_cbranch_execz .LBB1429_134
.LBB1429_149:                           ;   in Loop: Header=BB1429_66 Depth=2
	ds_read_b32 v0, v58 offset:3072
	s_waitcnt lgkmcnt(0)
	v_cmp_ne_u32_e64 s[52:53], s64, v0
	v_cndmask_b32_e64 v0, v73, v0, s[52:53]
	v_lshrrev_b32_e32 v0, s76, v0
	v_and_b32_e32 v81, s85, v0
	s_or_b64 exec, exec, s[62:63]
	s_and_saveexec_b64 s[62:63], s[42:43]
	s_cbranch_execnz .LBB1429_135
.LBB1429_150:                           ;   in Loop: Header=BB1429_66 Depth=2
	s_or_b64 exec, exec, s[62:63]
	s_and_saveexec_b64 s[62:63], s[44:45]
	s_cbranch_execz .LBB1429_136
.LBB1429_151:                           ;   in Loop: Header=BB1429_66 Depth=2
	ds_read_b32 v0, v58 offset:5120
	s_waitcnt lgkmcnt(0)
	v_cmp_ne_u32_e64 s[52:53], s64, v0
	v_cndmask_b32_e64 v0, v73, v0, s[52:53]
	v_lshrrev_b32_e32 v0, s76, v0
	v_and_b32_e32 v78, s85, v0
	s_or_b64 exec, exec, s[62:63]
	s_and_saveexec_b64 s[62:63], s[46:47]
	s_cbranch_execnz .LBB1429_137
.LBB1429_152:                           ;   in Loop: Header=BB1429_66 Depth=2
	s_or_b64 exec, exec, s[62:63]
	s_and_saveexec_b64 s[62:63], s[48:49]
	s_cbranch_execz .LBB1429_154
.LBB1429_153:                           ;   in Loop: Header=BB1429_66 Depth=2
	ds_read_b32 v0, v58 offset:7168
	s_waitcnt lgkmcnt(0)
	v_cmp_ne_u32_e64 s[52:53], s64, v0
	v_cndmask_b32_e64 v0, v73, v0, s[52:53]
	v_lshrrev_b32_e32 v0, s76, v0
	v_and_b32_e32 v76, s85, v0
.LBB1429_154:                           ;   in Loop: Header=BB1429_66 Depth=2
	s_or_b64 exec, exec, s[62:63]
	v_lshlrev_b32_e32 v0, 3, v100
	s_barrier
	s_waitcnt vmcnt(0)
	ds_write_b64 v0, v[36:37] offset:1024
	v_lshlrev_b32_e32 v0, 3, v39
	ds_write_b64 v0, v[34:35] offset:1024
	v_lshlrev_b32_e32 v0, 3, v21
	;; [unrolled: 2-line block ×7, first 2 shown]
	ds_write_b64 v0, v[10:11] offset:1024
	s_waitcnt lgkmcnt(0)
	s_barrier
	s_and_saveexec_b64 s[52:53], vcc
	s_cbranch_execz .LBB1429_162
; %bb.155:                              ;   in Loop: Header=BB1429_66 Depth=2
	v_lshlrev_b32_e32 v0, 2, v86
	ds_read_b32 v0, v0
	v_add_u32_e32 v2, v53, v19
	ds_read_b64 v[2:3], v2 offset:1024
	v_mov_b32_e32 v7, v20
	v_mov_b32_e32 v5, s73
	s_waitcnt lgkmcnt(1)
	v_add_u32_e32 v6, v0, v18
	v_lshlrev_b64 v[6:7], 3, v[6:7]
	v_add_co_u32_e32 v6, vcc, s72, v6
	v_addc_co_u32_e32 v7, vcc, v5, v7, vcc
	s_waitcnt lgkmcnt(0)
	global_store_dwordx2 v[6:7], v[2:3], off
	s_or_b64 exec, exec, s[52:53]
	s_and_saveexec_b64 s[52:53], s[36:37]
	s_cbranch_execnz .LBB1429_163
.LBB1429_156:                           ;   in Loop: Header=BB1429_66 Depth=2
	s_or_b64 exec, exec, s[52:53]
	s_and_saveexec_b64 s[36:37], s[38:39]
	s_cbranch_execz .LBB1429_164
.LBB1429_157:                           ;   in Loop: Header=BB1429_66 Depth=2
	v_lshlrev_b32_e32 v0, 2, v82
	ds_read_b32 v0, v0
	v_add_u32_e32 v2, v58, v19
	ds_read_b64 v[2:3], v2 offset:4096
	v_mov_b32_e32 v7, v20
	v_mov_b32_e32 v5, s73
	s_waitcnt lgkmcnt(1)
	v_add_u32_e32 v6, v0, v25
	v_lshlrev_b64 v[6:7], 3, v[6:7]
	v_add_co_u32_e32 v6, vcc, s72, v6
	v_addc_co_u32_e32 v7, vcc, v5, v7, vcc
	s_waitcnt lgkmcnt(0)
	global_store_dwordx2 v[6:7], v[2:3], off
	s_or_b64 exec, exec, s[36:37]
	s_and_saveexec_b64 s[36:37], s[40:41]
	s_cbranch_execnz .LBB1429_165
.LBB1429_158:                           ;   in Loop: Header=BB1429_66 Depth=2
	s_or_b64 exec, exec, s[36:37]
	s_and_saveexec_b64 s[36:37], s[42:43]
	s_cbranch_execz .LBB1429_166
.LBB1429_159:                           ;   in Loop: Header=BB1429_66 Depth=2
	v_lshlrev_b32_e32 v0, 2, v79
	ds_read_b32 v0, v0
	v_add_u32_e32 v2, v58, v19
	ds_read_b64 v[2:3], v2 offset:8192
	v_mov_b32_e32 v7, v20
	v_mov_b32_e32 v5, s73
	s_waitcnt lgkmcnt(1)
	v_add_u32_e32 v6, v0, v22
	v_lshlrev_b64 v[6:7], 3, v[6:7]
	v_add_co_u32_e32 v6, vcc, s72, v6
	v_addc_co_u32_e32 v7, vcc, v5, v7, vcc
	s_waitcnt lgkmcnt(0)
	global_store_dwordx2 v[6:7], v[2:3], off
	s_or_b64 exec, exec, s[36:37]
	s_and_saveexec_b64 s[36:37], s[44:45]
	s_cbranch_execnz .LBB1429_167
.LBB1429_160:                           ;   in Loop: Header=BB1429_66 Depth=2
	s_or_b64 exec, exec, s[36:37]
	s_and_saveexec_b64 s[36:37], s[46:47]
	s_cbranch_execz .LBB1429_168
.LBB1429_161:                           ;   in Loop: Header=BB1429_66 Depth=2
	v_lshlrev_b32_e32 v0, 2, v77
	ds_read_b32 v0, v0
	v_add_u32_e32 v2, v58, v19
	ds_read_b64 v[2:3], v2 offset:12288
	v_mov_b32_e32 v7, v20
	v_mov_b32_e32 v5, s73
	s_waitcnt lgkmcnt(1)
	v_add_u32_e32 v6, v0, v26
	v_lshlrev_b64 v[6:7], 3, v[6:7]
	v_add_co_u32_e32 v6, vcc, s72, v6
	v_addc_co_u32_e32 v7, vcc, v5, v7, vcc
	s_waitcnt lgkmcnt(0)
	global_store_dwordx2 v[6:7], v[2:3], off
	s_or_b64 exec, exec, s[36:37]
	s_and_saveexec_b64 s[36:37], s[48:49]
	s_cbranch_execnz .LBB1429_169
	s_branch .LBB1429_170
.LBB1429_162:                           ;   in Loop: Header=BB1429_66 Depth=2
	s_or_b64 exec, exec, s[52:53]
	s_and_saveexec_b64 s[52:53], s[36:37]
	s_cbranch_execz .LBB1429_156
.LBB1429_163:                           ;   in Loop: Header=BB1429_66 Depth=2
	v_lshlrev_b32_e32 v0, 2, v84
	ds_read_b32 v0, v0
	v_add_u32_e32 v2, v58, v19
	ds_read_b64 v[2:3], v2 offset:2048
	v_mov_b32_e32 v7, v20
	v_mov_b32_e32 v5, s73
	s_waitcnt lgkmcnt(1)
	v_add_u32_e32 v6, v0, v23
	v_lshlrev_b64 v[6:7], 3, v[6:7]
	v_add_co_u32_e32 v6, vcc, s72, v6
	v_addc_co_u32_e32 v7, vcc, v5, v7, vcc
	s_waitcnt lgkmcnt(0)
	global_store_dwordx2 v[6:7], v[2:3], off
	s_or_b64 exec, exec, s[52:53]
	s_and_saveexec_b64 s[36:37], s[38:39]
	s_cbranch_execnz .LBB1429_157
.LBB1429_164:                           ;   in Loop: Header=BB1429_66 Depth=2
	s_or_b64 exec, exec, s[36:37]
	s_and_saveexec_b64 s[36:37], s[40:41]
	s_cbranch_execz .LBB1429_158
.LBB1429_165:                           ;   in Loop: Header=BB1429_66 Depth=2
	v_lshlrev_b32_e32 v0, 2, v81
	ds_read_b32 v0, v0
	v_add_u32_e32 v2, v58, v19
	ds_read_b64 v[2:3], v2 offset:6144
	v_mov_b32_e32 v7, v20
	v_mov_b32_e32 v5, s73
	s_waitcnt lgkmcnt(1)
	v_add_u32_e32 v6, v0, v27
	v_lshlrev_b64 v[6:7], 3, v[6:7]
	v_add_co_u32_e32 v6, vcc, s72, v6
	v_addc_co_u32_e32 v7, vcc, v5, v7, vcc
	s_waitcnt lgkmcnt(0)
	global_store_dwordx2 v[6:7], v[2:3], off
	s_or_b64 exec, exec, s[36:37]
	s_and_saveexec_b64 s[36:37], s[42:43]
	s_cbranch_execnz .LBB1429_159
.LBB1429_166:                           ;   in Loop: Header=BB1429_66 Depth=2
	s_or_b64 exec, exec, s[36:37]
	s_and_saveexec_b64 s[36:37], s[44:45]
	s_cbranch_execz .LBB1429_160
.LBB1429_167:                           ;   in Loop: Header=BB1429_66 Depth=2
	v_lshlrev_b32_e32 v0, 2, v78
	ds_read_b32 v0, v0
	v_add_u32_e32 v2, v58, v19
	ds_read_b64 v[2:3], v2 offset:10240
	v_mov_b32_e32 v7, v20
	v_mov_b32_e32 v5, s73
	s_waitcnt lgkmcnt(1)
	v_add_u32_e32 v6, v0, v24
	v_lshlrev_b64 v[6:7], 3, v[6:7]
	v_add_co_u32_e32 v6, vcc, s72, v6
	v_addc_co_u32_e32 v7, vcc, v5, v7, vcc
	s_waitcnt lgkmcnt(0)
	global_store_dwordx2 v[6:7], v[2:3], off
	s_or_b64 exec, exec, s[36:37]
	s_and_saveexec_b64 s[36:37], s[46:47]
	s_cbranch_execnz .LBB1429_161
.LBB1429_168:                           ;   in Loop: Header=BB1429_66 Depth=2
	s_or_b64 exec, exec, s[36:37]
	s_and_saveexec_b64 s[36:37], s[48:49]
	s_cbranch_execz .LBB1429_170
.LBB1429_169:                           ;   in Loop: Header=BB1429_66 Depth=2
	v_lshlrev_b32_e32 v0, 2, v76
	ds_read_b32 v0, v0
	v_add_u32_e32 v2, v58, v19
	ds_read_b64 v[2:3], v2 offset:14336
	v_mov_b32_e32 v7, v20
	v_mov_b32_e32 v5, s73
	s_waitcnt lgkmcnt(1)
	v_add_u32_e32 v6, v0, v28
	v_lshlrev_b64 v[6:7], 3, v[6:7]
	v_add_co_u32_e32 v6, vcc, s72, v6
	v_addc_co_u32_e32 v7, vcc, v5, v7, vcc
	s_waitcnt lgkmcnt(0)
	global_store_dwordx2 v[6:7], v[2:3], off
.LBB1429_170:                           ;   in Loop: Header=BB1429_66 Depth=2
	s_or_b64 exec, exec, s[36:37]
	s_barrier
	s_and_saveexec_b64 s[36:37], s[4:5]
	s_cbranch_execz .LBB1429_65
; %bb.171:                              ;   in Loop: Header=BB1429_66 Depth=2
	ds_read_b32 v0, v19
	s_waitcnt lgkmcnt(0)
	v_add_u32_e32 v0, v0, v4
	ds_write_b32 v19, v0
	s_branch .LBB1429_65
.LBB1429_172:                           ;   in Loop: Header=BB1429_66 Depth=2
	s_or_b64 exec, exec, s[36:37]
	v_cmp_gt_u32_e32 vcc, s86, v87
	s_and_saveexec_b64 s[36:37], vcc
	s_cbranch_execz .LBB1429_71
.LBB1429_173:                           ;   in Loop: Header=BB1429_66 Depth=2
	global_load_dword v3, v[38:39], off offset:256
	s_or_b64 exec, exec, s[36:37]
	v_cmp_gt_u32_e32 vcc, s86, v88
	s_and_saveexec_b64 s[36:37], vcc
	s_cbranch_execnz .LBB1429_72
.LBB1429_174:                           ;   in Loop: Header=BB1429_66 Depth=2
	s_or_b64 exec, exec, s[36:37]
	v_cmp_gt_u32_e32 vcc, s86, v89
	s_and_saveexec_b64 s[36:37], vcc
	s_cbranch_execz .LBB1429_73
.LBB1429_175:                           ;   in Loop: Header=BB1429_66 Depth=2
	global_load_dword v5, v[38:39], off offset:768
	s_or_b64 exec, exec, s[36:37]
	v_cmp_gt_u32_e32 vcc, s86, v90
	s_and_saveexec_b64 s[36:37], vcc
	s_cbranch_execnz .LBB1429_74
.LBB1429_176:                           ;   in Loop: Header=BB1429_66 Depth=2
	s_or_b64 exec, exec, s[36:37]
	v_cmp_gt_u32_e32 vcc, s86, v91
	s_and_saveexec_b64 s[36:37], vcc
	s_cbranch_execz .LBB1429_75
.LBB1429_177:                           ;   in Loop: Header=BB1429_66 Depth=2
	global_load_dword v7, v[38:39], off offset:1280
	s_or_b64 exec, exec, s[36:37]
	v_cmp_gt_u32_e32 vcc, s86, v92
	s_and_saveexec_b64 s[36:37], vcc
	s_cbranch_execnz .LBB1429_76
	s_branch .LBB1429_77
.LBB1429_178:                           ;   in Loop: Header=BB1429_12 Depth=1
	s_waitcnt lgkmcnt(0)
	s_barrier
	s_mov_b64 s[16:17], 0
.LBB1429_179:                           ;   in Loop: Header=BB1429_12 Depth=1
	s_and_b64 vcc, exec, s[16:17]
	s_cbranch_vccz .LBB1429_345
; %bb.180:                              ;   in Loop: Header=BB1429_12 Depth=1
	s_mov_b32 s22, s79
	s_mov_b32 s80, s51
	s_barrier
	s_waitcnt lgkmcnt(0)
                                        ; implicit-def: $vgpr2_vgpr3_vgpr4_vgpr5_vgpr6_vgpr7_vgpr8_vgpr9
	s_branch .LBB1429_182
.LBB1429_181:                           ;   in Loop: Header=BB1429_182 Depth=2
	s_or_b64 exec, exec, s[16:17]
	s_addk_i32 s22, 0xf800
	s_cmp_ge_u32 s23, s84
	s_mov_b32 s80, s23
	s_cbranch_scc1 .LBB1429_220
.LBB1429_182:                           ;   Parent Loop BB1429_12 Depth=1
                                        ; =>  This Inner Loop Header: Depth=2
	s_add_i32 s23, s80, 0x800
	s_cmp_gt_u32 s23, s84
	s_cbranch_scc1 .LBB1429_185
; %bb.183:                              ;   in Loop: Header=BB1429_182 Depth=2
	s_lshl_b64 s[16:17], s[80:81], 2
	v_mov_b32_e32 v0, s17
	v_add_co_u32_e32 v30, vcc, s16, v59
	v_addc_co_u32_e32 v31, vcc, v60, v0, vcc
	v_add_co_u32_e32 v32, vcc, 0x1000, v30
	v_addc_co_u32_e32 v33, vcc, 0, v31, vcc
	global_load_dword v10, v[30:31], off
	global_load_dword v11, v[30:31], off offset:1024
	global_load_dword v12, v[30:31], off offset:2048
	;; [unrolled: 1-line block ×3, first 2 shown]
	global_load_dword v14, v[32:33], off
	global_load_dword v15, v[32:33], off offset:1024
	global_load_dword v16, v[32:33], off offset:2048
	v_add_co_u32_e32 v30, vcc, 0x1c00, v30
	v_addc_co_u32_e32 v31, vcc, 0, v31, vcc
	s_mov_b64 s[16:17], -1
	s_movk_i32 s24, 0x800
	s_cbranch_execz .LBB1429_186
; %bb.184:                              ;   in Loop: Header=BB1429_182 Depth=2
                                        ; implicit-def: $vgpr2_vgpr3_vgpr4_vgpr5_vgpr6_vgpr7_vgpr8_vgpr9
	v_mov_b32_e32 v0, s22
	s_and_saveexec_b64 s[18:19], s[16:17]
	s_cbranch_execnz .LBB1429_197
	s_branch .LBB1429_198
.LBB1429_185:                           ;   in Loop: Header=BB1429_182 Depth=2
	s_mov_b64 s[16:17], 0
                                        ; implicit-def: $sgpr24
                                        ; implicit-def: $vgpr10_vgpr11_vgpr12_vgpr13_vgpr14_vgpr15_vgpr16_vgpr17
                                        ; implicit-def: $vgpr30_vgpr31
.LBB1429_186:                           ;   in Loop: Header=BB1429_182 Depth=2
	s_lshl_b64 s[18:19], s[80:81], 2
	s_add_u32 s18, s58, s18
	s_addc_u32 s19, s59, s19
	v_cmp_gt_u32_e32 vcc, s22, v18
	s_and_saveexec_b64 s[20:21], vcc
	s_cbranch_execz .LBB1429_214
; %bb.187:                              ;   in Loop: Header=BB1429_182 Depth=2
	global_load_dword v2, v72, s[18:19]
	s_or_b64 exec, exec, s[20:21]
	v_cmp_gt_u32_e32 vcc, s22, v23
	s_and_saveexec_b64 s[20:21], vcc
	s_cbranch_execnz .LBB1429_215
.LBB1429_188:                           ;   in Loop: Header=BB1429_182 Depth=2
	s_or_b64 exec, exec, s[20:21]
	v_cmp_gt_u32_e32 vcc, s22, v25
	s_and_saveexec_b64 s[20:21], vcc
	s_cbranch_execz .LBB1429_216
.LBB1429_189:                           ;   in Loop: Header=BB1429_182 Depth=2
	global_load_dword v4, v72, s[18:19] offset:2048
	s_or_b64 exec, exec, s[20:21]
	v_cmp_gt_u32_e32 vcc, s22, v27
	s_and_saveexec_b64 s[20:21], vcc
	s_cbranch_execnz .LBB1429_217
.LBB1429_190:                           ;   in Loop: Header=BB1429_182 Depth=2
	s_or_b64 exec, exec, s[20:21]
	v_cmp_gt_u32_e32 vcc, s22, v22
	s_and_saveexec_b64 s[20:21], vcc
	s_cbranch_execz .LBB1429_218
.LBB1429_191:                           ;   in Loop: Header=BB1429_182 Depth=2
	v_lshlrev_b32_e32 v0, 2, v22
	global_load_dword v6, v0, s[18:19]
	s_or_b64 exec, exec, s[20:21]
	v_cmp_gt_u32_e32 vcc, s22, v24
	s_and_saveexec_b64 s[20:21], vcc
	s_cbranch_execnz .LBB1429_219
.LBB1429_192:                           ;   in Loop: Header=BB1429_182 Depth=2
	s_or_b64 exec, exec, s[20:21]
	v_cmp_gt_u32_e32 vcc, s22, v26
	s_and_saveexec_b64 s[20:21], vcc
	s_cbranch_execz .LBB1429_194
.LBB1429_193:                           ;   in Loop: Header=BB1429_182 Depth=2
	v_lshlrev_b32_e32 v0, 2, v26
	global_load_dword v8, v0, s[18:19]
.LBB1429_194:                           ;   in Loop: Header=BB1429_182 Depth=2
	s_or_b64 exec, exec, s[20:21]
	v_cmp_gt_u32_e32 vcc, s22, v28
                                        ; implicit-def: $sgpr24
                                        ; implicit-def: $vgpr30_vgpr31
	s_and_saveexec_b64 s[20:21], vcc
	s_cbranch_execz .LBB1429_196
; %bb.195:                              ;   in Loop: Header=BB1429_182 Depth=2
	v_lshlrev_b32_e32 v0, 2, v28
	s_waitcnt vmcnt(6)
	v_mov_b32_e32 v10, s19
	v_add_co_u32_e32 v30, vcc, s18, v0
	s_sub_i32 s24, s84, s80
	v_addc_co_u32_e32 v31, vcc, 0, v10, vcc
	s_or_b64 s[16:17], s[16:17], exec
.LBB1429_196:                           ;   in Loop: Header=BB1429_182 Depth=2
	s_or_b64 exec, exec, s[20:21]
	s_waitcnt vmcnt(0)
	v_pk_mov_b32 v[16:17], v[8:9], v[8:9] op_sel:[0,1]
	v_pk_mov_b32 v[14:15], v[6:7], v[6:7] op_sel:[0,1]
	v_pk_mov_b32 v[12:13], v[4:5], v[4:5] op_sel:[0,1]
	v_pk_mov_b32 v[10:11], v[2:3], v[2:3] op_sel:[0,1]
	v_mov_b32_e32 v0, s22
	s_and_saveexec_b64 s[18:19], s[16:17]
	s_cbranch_execz .LBB1429_198
.LBB1429_197:                           ;   in Loop: Header=BB1429_182 Depth=2
	global_load_dword v17, v[30:31], off
	s_waitcnt vmcnt(0)
	v_pk_mov_b32 v[2:3], v[10:11], v[10:11] op_sel:[0,1]
	v_mov_b32_e32 v0, s24
	v_pk_mov_b32 v[4:5], v[12:13], v[12:13] op_sel:[0,1]
	v_pk_mov_b32 v[6:7], v[14:15], v[14:15] op_sel:[0,1]
	v_pk_mov_b32 v[8:9], v[16:17], v[16:17] op_sel:[0,1]
.LBB1429_198:                           ;   in Loop: Header=BB1429_182 Depth=2
	s_or_b64 exec, exec, s[18:19]
	v_cmp_lt_u32_e32 vcc, v18, v0
	s_and_saveexec_b64 s[16:17], vcc
	s_cbranch_execz .LBB1429_206
; %bb.199:                              ;   in Loop: Header=BB1429_182 Depth=2
	v_cmp_lt_i32_e32 vcc, -1, v2
	s_waitcnt vmcnt(6)
	v_cndmask_b32_e32 v10, -1, v73, vcc
	v_xor_b32_e32 v10, v10, v2
	v_cmp_ne_u32_e32 vcc, s64, v10
	v_cndmask_b32_e32 v10, v73, v10, vcc
	v_lshrrev_b32_e32 v10, s76, v10
	v_and_b32_e32 v10, s85, v10
	s_waitcnt vmcnt(5)
	v_lshlrev_b32_e32 v11, 2, v29
	v_lshl_or_b32 v10, v10, 4, v11
	ds_add_u32 v10, v71
	s_or_b64 exec, exec, s[16:17]
	v_cmp_lt_u32_e32 vcc, v23, v0
	s_and_saveexec_b64 s[16:17], vcc
	s_cbranch_execnz .LBB1429_207
.LBB1429_200:                           ;   in Loop: Header=BB1429_182 Depth=2
	s_or_b64 exec, exec, s[16:17]
	v_cmp_lt_u32_e32 vcc, v25, v0
	s_and_saveexec_b64 s[16:17], vcc
	s_cbranch_execz .LBB1429_208
.LBB1429_201:                           ;   in Loop: Header=BB1429_182 Depth=2
	v_cmp_lt_i32_e32 vcc, -1, v4
	s_waitcnt vmcnt(6)
	v_cndmask_b32_e32 v10, -1, v73, vcc
	v_xor_b32_e32 v10, v10, v4
	v_cmp_ne_u32_e32 vcc, s64, v10
	v_cndmask_b32_e32 v10, v73, v10, vcc
	v_lshrrev_b32_e32 v10, s76, v10
	v_and_b32_e32 v10, s85, v10
	s_waitcnt vmcnt(5)
	v_lshlrev_b32_e32 v11, 2, v29
	v_lshl_or_b32 v10, v10, 4, v11
	ds_add_u32 v10, v71
	s_or_b64 exec, exec, s[16:17]
	v_cmp_lt_u32_e32 vcc, v27, v0
	s_and_saveexec_b64 s[16:17], vcc
	s_cbranch_execnz .LBB1429_209
.LBB1429_202:                           ;   in Loop: Header=BB1429_182 Depth=2
	s_or_b64 exec, exec, s[16:17]
	v_cmp_lt_u32_e32 vcc, v22, v0
	s_and_saveexec_b64 s[16:17], vcc
	s_cbranch_execz .LBB1429_210
.LBB1429_203:                           ;   in Loop: Header=BB1429_182 Depth=2
	v_cmp_lt_i32_e32 vcc, -1, v6
	s_waitcnt vmcnt(6)
	v_cndmask_b32_e32 v10, -1, v73, vcc
	v_xor_b32_e32 v10, v10, v6
	v_cmp_ne_u32_e32 vcc, s64, v10
	v_cndmask_b32_e32 v10, v73, v10, vcc
	v_lshrrev_b32_e32 v10, s76, v10
	v_and_b32_e32 v10, s85, v10
	s_waitcnt vmcnt(5)
	v_lshlrev_b32_e32 v11, 2, v29
	v_lshl_or_b32 v10, v10, 4, v11
	ds_add_u32 v10, v71
	s_or_b64 exec, exec, s[16:17]
	v_cmp_lt_u32_e32 vcc, v24, v0
	s_and_saveexec_b64 s[16:17], vcc
	s_cbranch_execnz .LBB1429_211
.LBB1429_204:                           ;   in Loop: Header=BB1429_182 Depth=2
	s_or_b64 exec, exec, s[16:17]
	v_cmp_lt_u32_e32 vcc, v26, v0
	s_and_saveexec_b64 s[16:17], vcc
	s_cbranch_execz .LBB1429_212
.LBB1429_205:                           ;   in Loop: Header=BB1429_182 Depth=2
	v_cmp_lt_i32_e32 vcc, -1, v8
	s_waitcnt vmcnt(6)
	v_cndmask_b32_e32 v10, -1, v73, vcc
	v_xor_b32_e32 v10, v10, v8
	v_cmp_ne_u32_e32 vcc, s64, v10
	v_cndmask_b32_e32 v10, v73, v10, vcc
	v_lshrrev_b32_e32 v10, s76, v10
	v_and_b32_e32 v10, s85, v10
	s_waitcnt vmcnt(5)
	v_lshlrev_b32_e32 v11, 2, v29
	v_lshl_or_b32 v10, v10, 4, v11
	ds_add_u32 v10, v71
	s_or_b64 exec, exec, s[16:17]
	v_cmp_lt_u32_e32 vcc, v28, v0
	s_and_saveexec_b64 s[16:17], vcc
	s_cbranch_execz .LBB1429_181
	s_branch .LBB1429_213
.LBB1429_206:                           ;   in Loop: Header=BB1429_182 Depth=2
	s_or_b64 exec, exec, s[16:17]
	v_cmp_lt_u32_e32 vcc, v23, v0
	s_and_saveexec_b64 s[16:17], vcc
	s_cbranch_execz .LBB1429_200
.LBB1429_207:                           ;   in Loop: Header=BB1429_182 Depth=2
	v_cmp_lt_i32_e32 vcc, -1, v3
	s_waitcnt vmcnt(6)
	v_cndmask_b32_e32 v10, -1, v73, vcc
	v_xor_b32_e32 v10, v10, v3
	v_cmp_ne_u32_e32 vcc, s64, v10
	v_cndmask_b32_e32 v10, v73, v10, vcc
	v_lshrrev_b32_e32 v10, s76, v10
	v_and_b32_e32 v10, s85, v10
	s_waitcnt vmcnt(5)
	v_lshlrev_b32_e32 v11, 2, v29
	v_lshl_or_b32 v10, v10, 4, v11
	ds_add_u32 v10, v71
	s_or_b64 exec, exec, s[16:17]
	v_cmp_lt_u32_e32 vcc, v25, v0
	s_and_saveexec_b64 s[16:17], vcc
	s_cbranch_execnz .LBB1429_201
.LBB1429_208:                           ;   in Loop: Header=BB1429_182 Depth=2
	s_or_b64 exec, exec, s[16:17]
	v_cmp_lt_u32_e32 vcc, v27, v0
	s_and_saveexec_b64 s[16:17], vcc
	s_cbranch_execz .LBB1429_202
.LBB1429_209:                           ;   in Loop: Header=BB1429_182 Depth=2
	v_cmp_lt_i32_e32 vcc, -1, v5
	s_waitcnt vmcnt(6)
	v_cndmask_b32_e32 v10, -1, v73, vcc
	v_xor_b32_e32 v10, v10, v5
	v_cmp_ne_u32_e32 vcc, s64, v10
	v_cndmask_b32_e32 v10, v73, v10, vcc
	v_lshrrev_b32_e32 v10, s76, v10
	v_and_b32_e32 v10, s85, v10
	s_waitcnt vmcnt(5)
	v_lshlrev_b32_e32 v11, 2, v29
	v_lshl_or_b32 v10, v10, 4, v11
	ds_add_u32 v10, v71
	s_or_b64 exec, exec, s[16:17]
	v_cmp_lt_u32_e32 vcc, v22, v0
	s_and_saveexec_b64 s[16:17], vcc
	s_cbranch_execnz .LBB1429_203
.LBB1429_210:                           ;   in Loop: Header=BB1429_182 Depth=2
	s_or_b64 exec, exec, s[16:17]
	v_cmp_lt_u32_e32 vcc, v24, v0
	s_and_saveexec_b64 s[16:17], vcc
	s_cbranch_execz .LBB1429_204
.LBB1429_211:                           ;   in Loop: Header=BB1429_182 Depth=2
	v_cmp_lt_i32_e32 vcc, -1, v7
	s_waitcnt vmcnt(6)
	v_cndmask_b32_e32 v10, -1, v73, vcc
	v_xor_b32_e32 v10, v10, v7
	v_cmp_ne_u32_e32 vcc, s64, v10
	v_cndmask_b32_e32 v10, v73, v10, vcc
	v_lshrrev_b32_e32 v10, s76, v10
	v_and_b32_e32 v10, s85, v10
	s_waitcnt vmcnt(5)
	v_lshlrev_b32_e32 v11, 2, v29
	v_lshl_or_b32 v10, v10, 4, v11
	ds_add_u32 v10, v71
	s_or_b64 exec, exec, s[16:17]
	v_cmp_lt_u32_e32 vcc, v26, v0
	s_and_saveexec_b64 s[16:17], vcc
	s_cbranch_execnz .LBB1429_205
.LBB1429_212:                           ;   in Loop: Header=BB1429_182 Depth=2
	s_or_b64 exec, exec, s[16:17]
	v_cmp_lt_u32_e32 vcc, v28, v0
	s_and_saveexec_b64 s[16:17], vcc
	s_cbranch_execz .LBB1429_181
.LBB1429_213:                           ;   in Loop: Header=BB1429_182 Depth=2
	v_cmp_lt_i32_e32 vcc, -1, v9
	v_cndmask_b32_e32 v0, -1, v73, vcc
	v_xor_b32_e32 v0, v0, v9
	v_cmp_ne_u32_e32 vcc, s64, v0
	v_cndmask_b32_e32 v0, v73, v0, vcc
	v_lshrrev_b32_e32 v0, s76, v0
	v_and_b32_e32 v0, s85, v0
	s_waitcnt vmcnt(6)
	v_lshlrev_b32_e32 v10, 2, v29
	v_lshl_or_b32 v0, v0, 4, v10
	ds_add_u32 v0, v71
	s_branch .LBB1429_181
.LBB1429_214:                           ;   in Loop: Header=BB1429_182 Depth=2
	s_or_b64 exec, exec, s[20:21]
	v_cmp_gt_u32_e32 vcc, s22, v23
	s_and_saveexec_b64 s[20:21], vcc
	s_cbranch_execz .LBB1429_188
.LBB1429_215:                           ;   in Loop: Header=BB1429_182 Depth=2
	global_load_dword v3, v72, s[18:19] offset:1024
	s_or_b64 exec, exec, s[20:21]
	v_cmp_gt_u32_e32 vcc, s22, v25
	s_and_saveexec_b64 s[20:21], vcc
	s_cbranch_execnz .LBB1429_189
.LBB1429_216:                           ;   in Loop: Header=BB1429_182 Depth=2
	s_or_b64 exec, exec, s[20:21]
	v_cmp_gt_u32_e32 vcc, s22, v27
	s_and_saveexec_b64 s[20:21], vcc
	s_cbranch_execz .LBB1429_190
.LBB1429_217:                           ;   in Loop: Header=BB1429_182 Depth=2
	global_load_dword v5, v72, s[18:19] offset:3072
	s_or_b64 exec, exec, s[20:21]
	v_cmp_gt_u32_e32 vcc, s22, v22
	s_and_saveexec_b64 s[20:21], vcc
	s_cbranch_execnz .LBB1429_191
.LBB1429_218:                           ;   in Loop: Header=BB1429_182 Depth=2
	s_or_b64 exec, exec, s[20:21]
	v_cmp_gt_u32_e32 vcc, s22, v24
	s_and_saveexec_b64 s[20:21], vcc
	s_cbranch_execz .LBB1429_192
.LBB1429_219:                           ;   in Loop: Header=BB1429_182 Depth=2
	v_lshlrev_b32_e32 v0, 2, v24
	global_load_dword v7, v0, s[18:19]
	s_or_b64 exec, exec, s[20:21]
	v_cmp_gt_u32_e32 vcc, s22, v26
	s_and_saveexec_b64 s[20:21], vcc
	s_cbranch_execz .LBB1429_194
	s_branch .LBB1429_193
.LBB1429_220:                           ;   in Loop: Header=BB1429_12 Depth=1
	v_mov_b32_e32 v0, 0
	s_waitcnt lgkmcnt(0)
	s_barrier
	s_and_saveexec_b64 s[16:17], s[4:5]
	s_cbranch_execz .LBB1429_222
; %bb.221:                              ;   in Loop: Header=BB1429_12 Depth=1
	ds_read2_b64 v[2:5], v42 offset1:1
	s_waitcnt lgkmcnt(0)
	v_add_u32_e32 v0, v3, v2
	v_add3_u32 v0, v0, v4, v5
.LBB1429_222:                           ;   in Loop: Header=BB1429_12 Depth=1
	s_or_b64 exec, exec, s[16:17]
	v_and_b32_e32 v2, 15, v74
	v_mov_b32_dpp v3, v0 row_shr:1 row_mask:0xf bank_mask:0xf
	v_cmp_eq_u32_e64 s[16:17], 0, v2
	v_cndmask_b32_e64 v3, v3, 0, s[16:17]
	v_add_u32_e32 v0, v3, v0
	v_cmp_lt_u32_e64 s[18:19], 1, v2
	v_cmp_lt_u32_e64 s[20:21], 3, v2
	v_mov_b32_dpp v3, v0 row_shr:2 row_mask:0xf bank_mask:0xf
	v_cndmask_b32_e64 v3, 0, v3, s[18:19]
	v_add_u32_e32 v0, v0, v3
	v_cmp_lt_u32_e64 s[22:23], 7, v2
	v_cmp_lt_u32_e64 s[26:27], 31, v74
	v_mov_b32_dpp v3, v0 row_shr:4 row_mask:0xf bank_mask:0xf
	v_cndmask_b32_e64 v3, 0, v3, s[20:21]
	v_add_u32_e32 v0, v0, v3
	v_and_b32_e32 v4, 16, v74
	v_cmp_eq_u32_e64 s[24:25], 0, v4
	v_mov_b32_dpp v3, v0 row_shr:8 row_mask:0xf bank_mask:0xf
	v_cndmask_b32_e64 v2, 0, v3, s[22:23]
	v_add_u32_e32 v0, v0, v2
	v_bfe_i32 v3, v74, 4, 1
	s_nop 0
	v_mov_b32_dpp v2, v0 row_bcast:15 row_mask:0xf bank_mask:0xf
	v_and_b32_e32 v2, v3, v2
	v_add_u32_e32 v0, v0, v2
	s_nop 1
	v_mov_b32_dpp v2, v0 row_bcast:31 row_mask:0xf bank_mask:0xf
	v_cndmask_b32_e64 v2, 0, v2, s[26:27]
	v_add_u32_e32 v2, v0, v2
	s_and_saveexec_b64 s[28:29], s[6:7]
	s_cbranch_execz .LBB1429_224
; %bb.223:                              ;   in Loop: Header=BB1429_12 Depth=1
	ds_write_b32 v44, v2
.LBB1429_224:                           ;   in Loop: Header=BB1429_12 Depth=1
	s_or_b64 exec, exec, s[28:29]
	v_and_b32_e32 v0, 3, v74
	s_waitcnt lgkmcnt(0)
	s_barrier
	s_and_saveexec_b64 s[28:29], s[8:9]
	s_cbranch_execz .LBB1429_226
; %bb.225:                              ;   in Loop: Header=BB1429_12 Depth=1
	ds_read_b32 v3, v45
	v_cmp_ne_u32_e32 vcc, 0, v0
	s_waitcnt lgkmcnt(0)
	v_mov_b32_dpp v4, v3 row_shr:1 row_mask:0xf bank_mask:0xf
	v_cndmask_b32_e32 v4, 0, v4, vcc
	v_add_u32_e32 v3, v4, v3
	v_cmp_lt_u32_e32 vcc, 1, v0
	s_nop 0
	v_mov_b32_dpp v4, v3 row_shr:2 row_mask:0xf bank_mask:0xf
	v_cndmask_b32_e32 v4, 0, v4, vcc
	v_add_u32_e32 v3, v3, v4
	ds_write_b32 v45, v3
.LBB1429_226:                           ;   in Loop: Header=BB1429_12 Depth=1
	s_or_b64 exec, exec, s[28:29]
	v_mov_b32_e32 v3, 0
	s_waitcnt lgkmcnt(0)
	s_barrier
	s_and_saveexec_b64 s[28:29], s[10:11]
	s_cbranch_execz .LBB1429_228
; %bb.227:                              ;   in Loop: Header=BB1429_12 Depth=1
	ds_read_b32 v3, v46
.LBB1429_228:                           ;   in Loop: Header=BB1429_12 Depth=1
	s_or_b64 exec, exec, s[28:29]
	v_add_u32_e32 v4, -1, v74
	v_and_b32_e32 v5, 64, v74
	v_cmp_lt_i32_e32 vcc, v4, v5
	v_cndmask_b32_e32 v4, v4, v74, vcc
	s_waitcnt lgkmcnt(0)
	v_add_u32_e32 v2, v3, v2
	v_lshlrev_b32_e32 v75, 2, v4
	ds_bpermute_b32 v2, v75, v2
	v_cmp_eq_u32_e64 s[28:29], 0, v74
	s_waitcnt lgkmcnt(0)
	s_barrier
	s_and_saveexec_b64 s[30:31], s[4:5]
	s_cbranch_execz .LBB1429_230
; %bb.229:                              ;   in Loop: Header=BB1429_12 Depth=1
	v_cndmask_b32_e64 v2, v2, v3, s[28:29]
	v_add_u32_e32 v2, s51, v2
	ds_write_b32 v19, v2
.LBB1429_230:                           ;   in Loop: Header=BB1429_12 Depth=1
	s_or_b64 exec, exec, s[30:31]
	s_load_dwordx2 s[30:31], s[82:83], 0x0
	s_mov_b32 s86, s79
	s_mov_b32 s80, s51
                                        ; implicit-def: $vgpr10_vgpr11
                                        ; implicit-def: $vgpr12_vgpr13
                                        ; implicit-def: $vgpr14_vgpr15
                                        ; implicit-def: $vgpr16_vgpr17
                                        ; implicit-def: $vgpr30_vgpr31
                                        ; implicit-def: $vgpr32_vgpr33
                                        ; implicit-def: $vgpr34_vgpr35
                                        ; implicit-def: $vgpr36_vgpr37
                                        ; implicit-def: $vgpr76
                                        ; implicit-def: $vgpr77
                                        ; implicit-def: $vgpr78
                                        ; implicit-def: $vgpr79
                                        ; implicit-def: $vgpr81
                                        ; implicit-def: $vgpr82
                                        ; implicit-def: $vgpr84
                                        ; implicit-def: $vgpr86
	s_waitcnt lgkmcnt(0)
	s_cmp_lt_u32 s50, s30
	s_cselect_b32 s34, 12, 18
	s_cmp_lt_u32 s33, s31
	s_cselect_b32 s30, 14, 20
	s_add_u32 s30, s82, s30
	s_addc_u32 s31, s83, 0
	s_add_u32 s34, s82, s34
	global_load_ushort v2, v20, s[30:31]
	s_addc_u32 s35, s83, 0
	global_load_ushort v3, v20, s[34:35]
	v_cmp_eq_u32_e64 s[30:31], 0, v0
	v_cmp_lt_u32_e64 s[34:35], 1, v0
	v_and_b32_e32 v0, 63, v74
	v_lshlrev_b32_e32 v4, 3, v0
	v_add_co_u32_e32 v83, vcc, v61, v4
	v_or_b32_e32 v80, v0, v47
	v_lshlrev_b32_e32 v0, 2, v0
	v_addc_co_u32_e32 v85, vcc, 0, v62, vcc
	v_add_co_u32_e32 v94, vcc, v63, v0
	v_addc_co_u32_e32 v95, vcc, 0, v64, vcc
	v_add_co_u32_e32 v96, vcc, 0x700, v94
	v_or_b32_e32 v87, 64, v80
	v_or_b32_e32 v88, 0x80, v80
	;; [unrolled: 1-line block ×7, first 2 shown]
	v_addc_co_u32_e32 v97, vcc, 0, v95, vcc
	s_waitcnt vmcnt(1)
	v_mad_u32_u24 v0, v48, v2, v49
	s_waitcnt vmcnt(0)
	v_mad_u64_u32 v[2:3], s[36:37], v0, v3, v[18:19]
	v_lshrrev_b32_e32 v98, 6, v2
	s_branch .LBB1429_232
.LBB1429_231:                           ;   in Loop: Header=BB1429_232 Depth=2
	s_or_b64 exec, exec, s[36:37]
	s_addk_i32 s86, 0xf800
	s_cmp_lt_u32 s87, s84
	s_mov_b32 s80, s87
	s_cbranch_scc0 .LBB1429_344
.LBB1429_232:                           ;   Parent Loop BB1429_12 Depth=1
                                        ; =>  This Inner Loop Header: Depth=2
	s_add_i32 s87, s80, 0x800
	s_cmp_gt_u32 s87, s84
	s_cbranch_scc1 .LBB1429_234
; %bb.233:                              ;   in Loop: Header=BB1429_232 Depth=2
	s_lshl_b64 s[36:37], s[80:81], 2
	v_mov_b32_e32 v0, s37
	v_add_co_u32_e32 v8, vcc, s36, v94
	v_addc_co_u32_e32 v9, vcc, v95, v0, vcc
	global_load_dword v2, v[8:9], off
	global_load_dword v3, v[8:9], off offset:256
	global_load_dword v4, v[8:9], off offset:512
	;; [unrolled: 1-line block ×5, first 2 shown]
	s_nop 0
	global_load_dword v8, v[8:9], off offset:1536
	s_mov_b64 s[36:37], -1
	s_movk_i32 s40, 0x800
	s_cbranch_execz .LBB1429_235
	s_branch .LBB1429_244
.LBB1429_234:                           ;   in Loop: Header=BB1429_232 Depth=2
	s_mov_b64 s[36:37], 0
                                        ; implicit-def: $sgpr40
                                        ; implicit-def: $vgpr2_vgpr3_vgpr4_vgpr5_vgpr6_vgpr7_vgpr8_vgpr9
.LBB1429_235:                           ;   in Loop: Header=BB1429_232 Depth=2
	s_lshl_b64 s[36:37], s[80:81], 2
	v_mov_b32_e32 v0, s37
	v_add_co_u32_e32 v38, vcc, s36, v94
	s_mov_b32 s65, s64
	v_addc_co_u32_e32 v39, vcc, v95, v0, vcc
	s_mov_b32 s66, s64
	s_mov_b32 s67, s64
	;; [unrolled: 1-line block ×6, first 2 shown]
	s_waitcnt vmcnt(0)
	v_pk_mov_b32 v[2:3], s[64:65], s[64:65] op_sel:[0,1]
	v_cmp_gt_u32_e32 vcc, s86, v80
	v_pk_mov_b32 v[4:5], s[66:67], s[66:67] op_sel:[0,1]
	v_pk_mov_b32 v[6:7], s[68:69], s[68:69] op_sel:[0,1]
	;; [unrolled: 1-line block ×3, first 2 shown]
	s_and_saveexec_b64 s[36:37], vcc
	s_cbranch_execz .LBB1429_338
; %bb.236:                              ;   in Loop: Header=BB1429_232 Depth=2
	global_load_dword v0, v[38:39], off
	v_mov_b32_e32 v2, v1
	v_mov_b32_e32 v3, v1
	;; [unrolled: 1-line block ×6, first 2 shown]
	s_waitcnt vmcnt(0)
	v_pk_mov_b32 v[8:9], v[6:7], v[6:7] op_sel:[0,1]
	v_pk_mov_b32 v[6:7], v[4:5], v[4:5] op_sel:[0,1]
	;; [unrolled: 1-line block ×4, first 2 shown]
	s_or_b64 exec, exec, s[36:37]
	v_cmp_gt_u32_e32 vcc, s86, v87
	s_and_saveexec_b64 s[36:37], vcc
	s_cbranch_execnz .LBB1429_339
.LBB1429_237:                           ;   in Loop: Header=BB1429_232 Depth=2
	s_or_b64 exec, exec, s[36:37]
	v_cmp_gt_u32_e32 vcc, s86, v88
	s_and_saveexec_b64 s[36:37], vcc
	s_cbranch_execz .LBB1429_340
.LBB1429_238:                           ;   in Loop: Header=BB1429_232 Depth=2
	global_load_dword v4, v[38:39], off offset:512
	s_or_b64 exec, exec, s[36:37]
	v_cmp_gt_u32_e32 vcc, s86, v89
	s_and_saveexec_b64 s[36:37], vcc
	s_cbranch_execnz .LBB1429_341
.LBB1429_239:                           ;   in Loop: Header=BB1429_232 Depth=2
	s_or_b64 exec, exec, s[36:37]
	v_cmp_gt_u32_e32 vcc, s86, v90
	s_and_saveexec_b64 s[36:37], vcc
	s_cbranch_execz .LBB1429_342
.LBB1429_240:                           ;   in Loop: Header=BB1429_232 Depth=2
	global_load_dword v6, v[38:39], off offset:1024
	s_or_b64 exec, exec, s[36:37]
	v_cmp_gt_u32_e32 vcc, s86, v91
	s_and_saveexec_b64 s[36:37], vcc
	s_cbranch_execnz .LBB1429_343
.LBB1429_241:                           ;   in Loop: Header=BB1429_232 Depth=2
	s_or_b64 exec, exec, s[36:37]
	v_cmp_gt_u32_e32 vcc, s86, v92
	s_and_saveexec_b64 s[36:37], vcc
	s_cbranch_execz .LBB1429_243
.LBB1429_242:                           ;   in Loop: Header=BB1429_232 Depth=2
	global_load_dword v8, v[38:39], off offset:1536
.LBB1429_243:                           ;   in Loop: Header=BB1429_232 Depth=2
	s_or_b64 exec, exec, s[36:37]
	s_sub_i32 s40, s84, s80
	v_cmp_gt_u32_e64 s[36:37], s86, v93
.LBB1429_244:                           ;   in Loop: Header=BB1429_232 Depth=2
	v_mov_b32_e32 v0, s86
	s_and_saveexec_b64 s[38:39], s[36:37]
	s_cbranch_execz .LBB1429_246
; %bb.245:                              ;   in Loop: Header=BB1429_232 Depth=2
	s_lshl_b64 s[36:37], s[80:81], 2
	v_mov_b32_e32 v0, s37
	v_add_co_u32_e32 v38, vcc, s36, v96
	v_addc_co_u32_e32 v39, vcc, v97, v0, vcc
	global_load_dword v9, v[38:39], off
	v_mov_b32_e32 v0, s40
.LBB1429_246:                           ;   in Loop: Header=BB1429_232 Depth=2
	s_or_b64 exec, exec, s[38:39]
	s_waitcnt vmcnt(6)
	v_cmp_lt_i32_e32 vcc, -1, v2
	v_cndmask_b32_e32 v21, -1, v73, vcc
	v_xor_b32_e32 v99, v21, v2
	v_add_u32_e32 v2, 0x410, v50
	v_cmp_ne_u32_e32 vcc, s64, v99
	ds_write2_b32 v2, v20, v20 offset1:1
	ds_write2_b32 v52, v20, v20 offset0:2 offset1:3
	ds_write_b32 v52, v20 offset:16
	v_cndmask_b32_e32 v2, v73, v99, vcc
	v_lshrrev_b32_e32 v2, s76, v2
	v_and_b32_e32 v2, s85, v2
	v_mad_u32_u24 v21, v2, 5, v98
	v_lshl_add_u32 v100, v21, 2, v51
	v_and_b32_e32 v21, 1, v2
	v_add_co_u32_e32 v38, vcc, -1, v21
	v_addc_co_u32_e64 v39, s[36:37], 0, -1, vcc
	v_cmp_ne_u32_e32 vcc, 0, v21
	v_xor_b32_e32 v21, vcc_hi, v39
	v_and_b32_e32 v39, exec_hi, v21
	v_lshlrev_b32_e32 v21, 30, v2
	v_xor_b32_e32 v38, vcc_lo, v38
	v_cmp_gt_i64_e32 vcc, 0, v[20:21]
	v_not_b32_e32 v21, v21
	v_ashrrev_i32_e32 v21, 31, v21
	v_and_b32_e32 v38, exec_lo, v38
	v_xor_b32_e32 v101, vcc_hi, v21
	v_xor_b32_e32 v21, vcc_lo, v21
	v_and_b32_e32 v38, v38, v21
	v_lshlrev_b32_e32 v21, 29, v2
	v_cmp_gt_i64_e32 vcc, 0, v[20:21]
	v_not_b32_e32 v21, v21
	v_ashrrev_i32_e32 v21, 31, v21
	v_and_b32_e32 v39, v39, v101
	v_xor_b32_e32 v101, vcc_hi, v21
	v_xor_b32_e32 v21, vcc_lo, v21
	v_and_b32_e32 v38, v38, v21
	v_lshlrev_b32_e32 v21, 28, v2
	v_cmp_gt_i64_e32 vcc, 0, v[20:21]
	v_not_b32_e32 v21, v21
	v_ashrrev_i32_e32 v21, 31, v21
	v_and_b32_e32 v39, v39, v101
	;; [unrolled: 8-line block ×5, first 2 shown]
	v_xor_b32_e32 v101, vcc_hi, v21
	v_xor_b32_e32 v21, vcc_lo, v21
	v_and_b32_e32 v38, v38, v21
	v_lshlrev_b32_e32 v21, 24, v2
	v_not_b32_e32 v2, v21
	v_cmp_gt_i64_e32 vcc, 0, v[20:21]
	v_ashrrev_i32_e32 v2, 31, v2
	v_xor_b32_e32 v21, vcc_hi, v2
	v_xor_b32_e32 v2, vcc_lo, v2
	v_and_b32_e32 v39, v39, v101
	v_and_b32_e32 v38, v38, v2
	;; [unrolled: 1-line block ×3, first 2 shown]
	v_mbcnt_lo_u32_b32 v2, v38, 0
	v_mbcnt_hi_u32_b32 v101, v39, v2
	v_cmp_eq_u32_e32 vcc, 0, v101
	v_cmp_ne_u64_e64 s[36:37], 0, v[38:39]
	s_and_b64 s[38:39], s[36:37], vcc
	s_waitcnt lgkmcnt(0)
	s_barrier
	s_waitcnt lgkmcnt(0)
	; wave barrier
	s_and_saveexec_b64 s[36:37], s[38:39]
	s_cbranch_execz .LBB1429_248
; %bb.247:                              ;   in Loop: Header=BB1429_232 Depth=2
	v_bcnt_u32_b32 v2, v38, 0
	v_bcnt_u32_b32 v2, v39, v2
	ds_write_b32 v100, v2
.LBB1429_248:                           ;   in Loop: Header=BB1429_232 Depth=2
	s_or_b64 exec, exec, s[36:37]
	s_waitcnt vmcnt(0)
	v_cmp_lt_i32_e32 vcc, -1, v3
	v_cndmask_b32_e32 v2, -1, v73, vcc
	v_xor_b32_e32 v38, v2, v3
	v_cmp_ne_u32_e32 vcc, s64, v38
	v_cndmask_b32_e32 v2, v73, v38, vcc
	v_lshrrev_b32_e32 v2, s76, v2
	v_and_b32_e32 v2, s85, v2
	v_mul_u32_u24_e32 v3, 5, v2
	v_add_lshl_u32 v3, v3, v98, 2
	; wave barrier
	v_add_u32_e32 v102, 0x410, v3
	ds_read_b32 v39, v3 offset:1040
	v_and_b32_e32 v3, 1, v2
	v_add_co_u32_e32 v21, vcc, -1, v3
	v_addc_co_u32_e64 v103, s[36:37], 0, -1, vcc
	v_cmp_ne_u32_e32 vcc, 0, v3
	v_xor_b32_e32 v21, vcc_lo, v21
	v_xor_b32_e32 v3, vcc_hi, v103
	v_and_b32_e32 v103, exec_lo, v21
	v_lshlrev_b32_e32 v21, 30, v2
	v_cmp_gt_i64_e32 vcc, 0, v[20:21]
	v_not_b32_e32 v21, v21
	v_ashrrev_i32_e32 v21, 31, v21
	v_xor_b32_e32 v104, vcc_hi, v21
	v_xor_b32_e32 v21, vcc_lo, v21
	v_and_b32_e32 v103, v103, v21
	v_lshlrev_b32_e32 v21, 29, v2
	v_cmp_gt_i64_e32 vcc, 0, v[20:21]
	v_not_b32_e32 v21, v21
	v_and_b32_e32 v3, exec_hi, v3
	v_ashrrev_i32_e32 v21, 31, v21
	v_and_b32_e32 v3, v3, v104
	v_xor_b32_e32 v104, vcc_hi, v21
	v_xor_b32_e32 v21, vcc_lo, v21
	v_and_b32_e32 v103, v103, v21
	v_lshlrev_b32_e32 v21, 28, v2
	v_cmp_gt_i64_e32 vcc, 0, v[20:21]
	v_not_b32_e32 v21, v21
	v_ashrrev_i32_e32 v21, 31, v21
	v_and_b32_e32 v3, v3, v104
	v_xor_b32_e32 v104, vcc_hi, v21
	v_xor_b32_e32 v21, vcc_lo, v21
	v_and_b32_e32 v103, v103, v21
	v_lshlrev_b32_e32 v21, 27, v2
	v_cmp_gt_i64_e32 vcc, 0, v[20:21]
	v_not_b32_e32 v21, v21
	;; [unrolled: 8-line block ×4, first 2 shown]
	v_ashrrev_i32_e32 v21, 31, v21
	v_and_b32_e32 v3, v3, v104
	v_xor_b32_e32 v104, vcc_hi, v21
	v_xor_b32_e32 v21, vcc_lo, v21
	v_and_b32_e32 v103, v103, v21
	v_lshlrev_b32_e32 v21, 24, v2
	v_not_b32_e32 v2, v21
	v_cmp_gt_i64_e32 vcc, 0, v[20:21]
	v_ashrrev_i32_e32 v2, 31, v2
	v_xor_b32_e32 v21, vcc_hi, v2
	v_xor_b32_e32 v2, vcc_lo, v2
	v_and_b32_e32 v3, v3, v104
	v_and_b32_e32 v2, v103, v2
	v_and_b32_e32 v3, v3, v21
	v_mbcnt_lo_u32_b32 v21, v2, 0
	v_mbcnt_hi_u32_b32 v103, v3, v21
	v_cmp_eq_u32_e32 vcc, 0, v103
	v_cmp_ne_u64_e64 s[36:37], 0, v[2:3]
	s_and_b64 s[38:39], s[36:37], vcc
	; wave barrier
	s_and_saveexec_b64 s[36:37], s[38:39]
	s_cbranch_execz .LBB1429_250
; %bb.249:                              ;   in Loop: Header=BB1429_232 Depth=2
	v_bcnt_u32_b32 v2, v2, 0
	v_bcnt_u32_b32 v2, v3, v2
	s_waitcnt lgkmcnt(0)
	v_add_u32_e32 v2, v39, v2
	ds_write_b32 v102, v2
.LBB1429_250:                           ;   in Loop: Header=BB1429_232 Depth=2
	s_or_b64 exec, exec, s[36:37]
	v_cmp_lt_i32_e32 vcc, -1, v4
	v_cndmask_b32_e32 v2, -1, v73, vcc
	v_xor_b32_e32 v104, v2, v4
	v_cmp_ne_u32_e32 vcc, s64, v104
	v_cndmask_b32_e32 v2, v73, v104, vcc
	v_lshrrev_b32_e32 v2, s76, v2
	v_and_b32_e32 v2, s85, v2
	v_mul_u32_u24_e32 v3, 5, v2
	v_add_lshl_u32 v3, v3, v98, 2
	; wave barrier
	v_add_u32_e32 v106, 0x410, v3
	ds_read_b32 v105, v3 offset:1040
	v_and_b32_e32 v3, 1, v2
	v_add_co_u32_e32 v4, vcc, -1, v3
	v_addc_co_u32_e64 v21, s[36:37], 0, -1, vcc
	v_cmp_ne_u32_e32 vcc, 0, v3
	v_xor_b32_e32 v3, vcc_hi, v21
	v_lshlrev_b32_e32 v21, 30, v2
	v_xor_b32_e32 v4, vcc_lo, v4
	v_cmp_gt_i64_e32 vcc, 0, v[20:21]
	v_not_b32_e32 v21, v21
	v_ashrrev_i32_e32 v21, 31, v21
	v_and_b32_e32 v4, exec_lo, v4
	v_xor_b32_e32 v107, vcc_hi, v21
	v_xor_b32_e32 v21, vcc_lo, v21
	v_and_b32_e32 v4, v4, v21
	v_lshlrev_b32_e32 v21, 29, v2
	v_cmp_gt_i64_e32 vcc, 0, v[20:21]
	v_not_b32_e32 v21, v21
	v_and_b32_e32 v3, exec_hi, v3
	v_ashrrev_i32_e32 v21, 31, v21
	v_and_b32_e32 v3, v3, v107
	v_xor_b32_e32 v107, vcc_hi, v21
	v_xor_b32_e32 v21, vcc_lo, v21
	v_and_b32_e32 v4, v4, v21
	v_lshlrev_b32_e32 v21, 28, v2
	v_cmp_gt_i64_e32 vcc, 0, v[20:21]
	v_not_b32_e32 v21, v21
	v_ashrrev_i32_e32 v21, 31, v21
	v_and_b32_e32 v3, v3, v107
	v_xor_b32_e32 v107, vcc_hi, v21
	v_xor_b32_e32 v21, vcc_lo, v21
	v_and_b32_e32 v4, v4, v21
	v_lshlrev_b32_e32 v21, 27, v2
	v_cmp_gt_i64_e32 vcc, 0, v[20:21]
	v_not_b32_e32 v21, v21
	;; [unrolled: 8-line block ×4, first 2 shown]
	v_ashrrev_i32_e32 v21, 31, v21
	v_and_b32_e32 v3, v3, v107
	v_xor_b32_e32 v107, vcc_hi, v21
	v_xor_b32_e32 v21, vcc_lo, v21
	v_and_b32_e32 v4, v4, v21
	v_lshlrev_b32_e32 v21, 24, v2
	v_not_b32_e32 v2, v21
	v_cmp_gt_i64_e32 vcc, 0, v[20:21]
	v_ashrrev_i32_e32 v2, 31, v2
	v_xor_b32_e32 v21, vcc_hi, v2
	v_xor_b32_e32 v2, vcc_lo, v2
	v_and_b32_e32 v3, v3, v107
	v_and_b32_e32 v2, v4, v2
	;; [unrolled: 1-line block ×3, first 2 shown]
	v_mbcnt_lo_u32_b32 v4, v2, 0
	v_mbcnt_hi_u32_b32 v107, v3, v4
	v_cmp_eq_u32_e32 vcc, 0, v107
	v_cmp_ne_u64_e64 s[36:37], 0, v[2:3]
	s_and_b64 s[38:39], s[36:37], vcc
	; wave barrier
	s_and_saveexec_b64 s[36:37], s[38:39]
	s_cbranch_execz .LBB1429_252
; %bb.251:                              ;   in Loop: Header=BB1429_232 Depth=2
	v_bcnt_u32_b32 v2, v2, 0
	v_bcnt_u32_b32 v2, v3, v2
	s_waitcnt lgkmcnt(0)
	v_add_u32_e32 v2, v105, v2
	ds_write_b32 v106, v2
.LBB1429_252:                           ;   in Loop: Header=BB1429_232 Depth=2
	s_or_b64 exec, exec, s[36:37]
	v_cmp_lt_i32_e32 vcc, -1, v5
	v_cndmask_b32_e32 v2, -1, v73, vcc
	v_xor_b32_e32 v108, v2, v5
	v_cmp_ne_u32_e32 vcc, s64, v108
	v_cndmask_b32_e32 v2, v73, v108, vcc
	v_lshrrev_b32_e32 v2, s76, v2
	v_and_b32_e32 v2, s85, v2
	v_mul_u32_u24_e32 v3, 5, v2
	v_add_lshl_u32 v3, v3, v98, 2
	; wave barrier
	v_add_u32_e32 v110, 0x410, v3
	ds_read_b32 v109, v3 offset:1040
	v_and_b32_e32 v3, 1, v2
	v_add_co_u32_e32 v4, vcc, -1, v3
	v_addc_co_u32_e64 v5, s[36:37], 0, -1, vcc
	v_cmp_ne_u32_e32 vcc, 0, v3
	v_lshlrev_b32_e32 v21, 30, v2
	v_xor_b32_e32 v3, vcc_hi, v5
	v_not_b32_e32 v5, v21
	v_xor_b32_e32 v4, vcc_lo, v4
	v_cmp_gt_i64_e32 vcc, 0, v[20:21]
	v_ashrrev_i32_e32 v5, 31, v5
	v_and_b32_e32 v3, exec_hi, v3
	v_xor_b32_e32 v21, vcc_hi, v5
	v_and_b32_e32 v4, exec_lo, v4
	v_xor_b32_e32 v5, vcc_lo, v5
	v_and_b32_e32 v3, v3, v21
	v_lshlrev_b32_e32 v21, 29, v2
	v_and_b32_e32 v4, v4, v5
	v_not_b32_e32 v5, v21
	v_cmp_gt_i64_e32 vcc, 0, v[20:21]
	v_ashrrev_i32_e32 v5, 31, v5
	v_xor_b32_e32 v21, vcc_hi, v5
	v_xor_b32_e32 v5, vcc_lo, v5
	v_and_b32_e32 v3, v3, v21
	v_lshlrev_b32_e32 v21, 28, v2
	v_and_b32_e32 v4, v4, v5
	v_not_b32_e32 v5, v21
	v_cmp_gt_i64_e32 vcc, 0, v[20:21]
	v_ashrrev_i32_e32 v5, 31, v5
	v_xor_b32_e32 v21, vcc_hi, v5
	;; [unrolled: 8-line block ×5, first 2 shown]
	v_and_b32_e32 v3, v3, v21
	v_lshlrev_b32_e32 v21, 24, v2
	v_not_b32_e32 v2, v21
	v_xor_b32_e32 v5, vcc_lo, v5
	v_cmp_gt_i64_e32 vcc, 0, v[20:21]
	v_ashrrev_i32_e32 v2, 31, v2
	v_and_b32_e32 v4, v4, v5
	v_xor_b32_e32 v5, vcc_hi, v2
	v_xor_b32_e32 v2, vcc_lo, v2
	v_and_b32_e32 v2, v4, v2
	v_and_b32_e32 v3, v3, v5
	v_mbcnt_lo_u32_b32 v4, v2, 0
	v_mbcnt_hi_u32_b32 v111, v3, v4
	v_cmp_eq_u32_e32 vcc, 0, v111
	v_cmp_ne_u64_e64 s[36:37], 0, v[2:3]
	s_and_b64 s[38:39], s[36:37], vcc
	; wave barrier
	s_and_saveexec_b64 s[36:37], s[38:39]
	s_cbranch_execz .LBB1429_254
; %bb.253:                              ;   in Loop: Header=BB1429_232 Depth=2
	v_bcnt_u32_b32 v2, v2, 0
	v_bcnt_u32_b32 v2, v3, v2
	s_waitcnt lgkmcnt(0)
	v_add_u32_e32 v2, v109, v2
	ds_write_b32 v110, v2
.LBB1429_254:                           ;   in Loop: Header=BB1429_232 Depth=2
	s_or_b64 exec, exec, s[36:37]
	v_cmp_lt_i32_e32 vcc, -1, v6
	v_cndmask_b32_e32 v2, -1, v73, vcc
	v_xor_b32_e32 v112, v2, v6
	v_cmp_ne_u32_e32 vcc, s64, v112
	v_cndmask_b32_e32 v2, v73, v112, vcc
	v_lshrrev_b32_e32 v2, s76, v2
	v_and_b32_e32 v2, s85, v2
	v_mul_u32_u24_e32 v3, 5, v2
	v_add_lshl_u32 v3, v3, v98, 2
	; wave barrier
	v_add_u32_e32 v113, 0x410, v3
	ds_read_b32 v6, v3 offset:1040
	v_and_b32_e32 v3, 1, v2
	v_add_co_u32_e32 v4, vcc, -1, v3
	v_addc_co_u32_e64 v5, s[36:37], 0, -1, vcc
	v_cmp_ne_u32_e32 vcc, 0, v3
	v_lshlrev_b32_e32 v21, 30, v2
	v_xor_b32_e32 v3, vcc_hi, v5
	v_not_b32_e32 v5, v21
	v_xor_b32_e32 v4, vcc_lo, v4
	v_cmp_gt_i64_e32 vcc, 0, v[20:21]
	v_ashrrev_i32_e32 v5, 31, v5
	v_and_b32_e32 v3, exec_hi, v3
	v_xor_b32_e32 v21, vcc_hi, v5
	v_and_b32_e32 v4, exec_lo, v4
	v_xor_b32_e32 v5, vcc_lo, v5
	v_and_b32_e32 v3, v3, v21
	v_lshlrev_b32_e32 v21, 29, v2
	v_and_b32_e32 v4, v4, v5
	v_not_b32_e32 v5, v21
	v_cmp_gt_i64_e32 vcc, 0, v[20:21]
	v_ashrrev_i32_e32 v5, 31, v5
	v_xor_b32_e32 v21, vcc_hi, v5
	v_xor_b32_e32 v5, vcc_lo, v5
	v_and_b32_e32 v3, v3, v21
	v_lshlrev_b32_e32 v21, 28, v2
	v_and_b32_e32 v4, v4, v5
	v_not_b32_e32 v5, v21
	v_cmp_gt_i64_e32 vcc, 0, v[20:21]
	v_ashrrev_i32_e32 v5, 31, v5
	v_xor_b32_e32 v21, vcc_hi, v5
	;; [unrolled: 8-line block ×5, first 2 shown]
	v_and_b32_e32 v3, v3, v21
	v_lshlrev_b32_e32 v21, 24, v2
	v_not_b32_e32 v2, v21
	v_xor_b32_e32 v5, vcc_lo, v5
	v_cmp_gt_i64_e32 vcc, 0, v[20:21]
	v_ashrrev_i32_e32 v2, 31, v2
	v_and_b32_e32 v4, v4, v5
	v_xor_b32_e32 v5, vcc_hi, v2
	v_xor_b32_e32 v2, vcc_lo, v2
	v_and_b32_e32 v2, v4, v2
	v_and_b32_e32 v3, v3, v5
	v_mbcnt_lo_u32_b32 v4, v2, 0
	v_mbcnt_hi_u32_b32 v114, v3, v4
	v_cmp_eq_u32_e32 vcc, 0, v114
	v_cmp_ne_u64_e64 s[36:37], 0, v[2:3]
	s_and_b64 s[38:39], s[36:37], vcc
	; wave barrier
	s_and_saveexec_b64 s[36:37], s[38:39]
	s_cbranch_execz .LBB1429_256
; %bb.255:                              ;   in Loop: Header=BB1429_232 Depth=2
	v_bcnt_u32_b32 v2, v2, 0
	v_bcnt_u32_b32 v2, v3, v2
	s_waitcnt lgkmcnt(0)
	v_add_u32_e32 v2, v6, v2
	ds_write_b32 v113, v2
.LBB1429_256:                           ;   in Loop: Header=BB1429_232 Depth=2
	s_or_b64 exec, exec, s[36:37]
	v_cmp_lt_i32_e32 vcc, -1, v7
	v_cndmask_b32_e32 v2, -1, v73, vcc
	v_xor_b32_e32 v115, v2, v7
	v_cmp_ne_u32_e32 vcc, s64, v115
	v_cndmask_b32_e32 v2, v73, v115, vcc
	v_lshrrev_b32_e32 v2, s76, v2
	v_and_b32_e32 v2, s85, v2
	v_mul_u32_u24_e32 v3, 5, v2
	v_add_lshl_u32 v3, v3, v98, 2
	; wave barrier
	v_add_u32_e32 v116, 0x410, v3
	ds_read_b32 v7, v3 offset:1040
	v_and_b32_e32 v3, 1, v2
	v_add_co_u32_e32 v4, vcc, -1, v3
	v_addc_co_u32_e64 v5, s[36:37], 0, -1, vcc
	v_cmp_ne_u32_e32 vcc, 0, v3
	v_lshlrev_b32_e32 v21, 30, v2
	v_xor_b32_e32 v3, vcc_hi, v5
	v_not_b32_e32 v5, v21
	v_xor_b32_e32 v4, vcc_lo, v4
	v_cmp_gt_i64_e32 vcc, 0, v[20:21]
	v_ashrrev_i32_e32 v5, 31, v5
	v_and_b32_e32 v3, exec_hi, v3
	v_xor_b32_e32 v21, vcc_hi, v5
	v_and_b32_e32 v4, exec_lo, v4
	v_xor_b32_e32 v5, vcc_lo, v5
	v_and_b32_e32 v3, v3, v21
	v_lshlrev_b32_e32 v21, 29, v2
	v_and_b32_e32 v4, v4, v5
	v_not_b32_e32 v5, v21
	v_cmp_gt_i64_e32 vcc, 0, v[20:21]
	v_ashrrev_i32_e32 v5, 31, v5
	v_xor_b32_e32 v21, vcc_hi, v5
	v_xor_b32_e32 v5, vcc_lo, v5
	v_and_b32_e32 v3, v3, v21
	v_lshlrev_b32_e32 v21, 28, v2
	v_and_b32_e32 v4, v4, v5
	v_not_b32_e32 v5, v21
	v_cmp_gt_i64_e32 vcc, 0, v[20:21]
	v_ashrrev_i32_e32 v5, 31, v5
	v_xor_b32_e32 v21, vcc_hi, v5
	;; [unrolled: 8-line block ×5, first 2 shown]
	v_and_b32_e32 v3, v3, v21
	v_lshlrev_b32_e32 v21, 24, v2
	v_not_b32_e32 v2, v21
	v_xor_b32_e32 v5, vcc_lo, v5
	v_cmp_gt_i64_e32 vcc, 0, v[20:21]
	v_ashrrev_i32_e32 v2, 31, v2
	v_and_b32_e32 v4, v4, v5
	v_xor_b32_e32 v5, vcc_hi, v2
	v_xor_b32_e32 v2, vcc_lo, v2
	v_and_b32_e32 v2, v4, v2
	v_and_b32_e32 v3, v3, v5
	v_mbcnt_lo_u32_b32 v4, v2, 0
	v_mbcnt_hi_u32_b32 v117, v3, v4
	v_cmp_eq_u32_e32 vcc, 0, v117
	v_cmp_ne_u64_e64 s[36:37], 0, v[2:3]
	s_and_b64 s[38:39], s[36:37], vcc
	; wave barrier
	s_and_saveexec_b64 s[36:37], s[38:39]
	s_cbranch_execz .LBB1429_258
; %bb.257:                              ;   in Loop: Header=BB1429_232 Depth=2
	v_bcnt_u32_b32 v2, v2, 0
	v_bcnt_u32_b32 v2, v3, v2
	s_waitcnt lgkmcnt(0)
	v_add_u32_e32 v2, v7, v2
	ds_write_b32 v116, v2
.LBB1429_258:                           ;   in Loop: Header=BB1429_232 Depth=2
	s_or_b64 exec, exec, s[36:37]
	v_cmp_lt_i32_e32 vcc, -1, v8
	v_cndmask_b32_e32 v2, -1, v73, vcc
	v_xor_b32_e32 v118, v2, v8
	v_cmp_ne_u32_e32 vcc, s64, v118
	v_cndmask_b32_e32 v2, v73, v118, vcc
	v_lshrrev_b32_e32 v2, s76, v2
	v_and_b32_e32 v2, s85, v2
	v_mul_u32_u24_e32 v3, 5, v2
	v_add_lshl_u32 v3, v3, v98, 2
	; wave barrier
	v_add_u32_e32 v8, 0x410, v3
	ds_read_b32 v119, v3 offset:1040
	v_and_b32_e32 v3, 1, v2
	v_add_co_u32_e32 v4, vcc, -1, v3
	v_addc_co_u32_e64 v5, s[36:37], 0, -1, vcc
	v_cmp_ne_u32_e32 vcc, 0, v3
	v_lshlrev_b32_e32 v21, 30, v2
	v_xor_b32_e32 v3, vcc_hi, v5
	v_not_b32_e32 v5, v21
	v_xor_b32_e32 v4, vcc_lo, v4
	v_cmp_gt_i64_e32 vcc, 0, v[20:21]
	v_ashrrev_i32_e32 v5, 31, v5
	v_and_b32_e32 v3, exec_hi, v3
	v_xor_b32_e32 v21, vcc_hi, v5
	v_and_b32_e32 v4, exec_lo, v4
	v_xor_b32_e32 v5, vcc_lo, v5
	v_and_b32_e32 v3, v3, v21
	v_lshlrev_b32_e32 v21, 29, v2
	v_and_b32_e32 v4, v4, v5
	v_not_b32_e32 v5, v21
	v_cmp_gt_i64_e32 vcc, 0, v[20:21]
	v_ashrrev_i32_e32 v5, 31, v5
	v_xor_b32_e32 v21, vcc_hi, v5
	v_xor_b32_e32 v5, vcc_lo, v5
	v_and_b32_e32 v3, v3, v21
	v_lshlrev_b32_e32 v21, 28, v2
	v_and_b32_e32 v4, v4, v5
	v_not_b32_e32 v5, v21
	v_cmp_gt_i64_e32 vcc, 0, v[20:21]
	v_ashrrev_i32_e32 v5, 31, v5
	v_xor_b32_e32 v21, vcc_hi, v5
	;; [unrolled: 8-line block ×5, first 2 shown]
	v_and_b32_e32 v3, v3, v21
	v_lshlrev_b32_e32 v21, 24, v2
	v_not_b32_e32 v2, v21
	v_xor_b32_e32 v5, vcc_lo, v5
	v_cmp_gt_i64_e32 vcc, 0, v[20:21]
	v_ashrrev_i32_e32 v2, 31, v2
	v_and_b32_e32 v4, v4, v5
	v_xor_b32_e32 v5, vcc_hi, v2
	v_xor_b32_e32 v2, vcc_lo, v2
	v_and_b32_e32 v2, v4, v2
	v_and_b32_e32 v3, v3, v5
	v_mbcnt_lo_u32_b32 v4, v2, 0
	v_mbcnt_hi_u32_b32 v120, v3, v4
	v_cmp_eq_u32_e32 vcc, 0, v120
	v_cmp_ne_u64_e64 s[36:37], 0, v[2:3]
	s_and_b64 s[38:39], s[36:37], vcc
	; wave barrier
	s_and_saveexec_b64 s[36:37], s[38:39]
	s_cbranch_execz .LBB1429_260
; %bb.259:                              ;   in Loop: Header=BB1429_232 Depth=2
	v_bcnt_u32_b32 v2, v2, 0
	v_bcnt_u32_b32 v2, v3, v2
	s_waitcnt lgkmcnt(0)
	v_add_u32_e32 v2, v119, v2
	ds_write_b32 v8, v2
.LBB1429_260:                           ;   in Loop: Header=BB1429_232 Depth=2
	s_or_b64 exec, exec, s[36:37]
	v_cmp_lt_i32_e32 vcc, -1, v9
	v_cndmask_b32_e32 v2, -1, v73, vcc
	v_xor_b32_e32 v121, v2, v9
	v_cmp_ne_u32_e32 vcc, s64, v121
	v_cndmask_b32_e32 v2, v73, v121, vcc
	v_lshrrev_b32_e32 v2, s76, v2
	v_and_b32_e32 v2, s85, v2
	v_mul_u32_u24_e32 v3, 5, v2
	v_add_lshl_u32 v3, v3, v98, 2
	; wave barrier
	v_add_u32_e32 v9, 0x410, v3
	ds_read_b32 v122, v3 offset:1040
	v_and_b32_e32 v3, 1, v2
	v_add_co_u32_e32 v4, vcc, -1, v3
	v_addc_co_u32_e64 v5, s[36:37], 0, -1, vcc
	v_cmp_ne_u32_e32 vcc, 0, v3
	v_lshlrev_b32_e32 v21, 30, v2
	v_xor_b32_e32 v3, vcc_hi, v5
	v_not_b32_e32 v5, v21
	v_xor_b32_e32 v4, vcc_lo, v4
	v_cmp_gt_i64_e32 vcc, 0, v[20:21]
	v_ashrrev_i32_e32 v5, 31, v5
	v_and_b32_e32 v3, exec_hi, v3
	v_xor_b32_e32 v21, vcc_hi, v5
	v_and_b32_e32 v4, exec_lo, v4
	v_xor_b32_e32 v5, vcc_lo, v5
	v_and_b32_e32 v3, v3, v21
	v_lshlrev_b32_e32 v21, 29, v2
	v_and_b32_e32 v4, v4, v5
	v_not_b32_e32 v5, v21
	v_cmp_gt_i64_e32 vcc, 0, v[20:21]
	v_ashrrev_i32_e32 v5, 31, v5
	v_xor_b32_e32 v21, vcc_hi, v5
	v_xor_b32_e32 v5, vcc_lo, v5
	v_and_b32_e32 v3, v3, v21
	v_lshlrev_b32_e32 v21, 28, v2
	v_and_b32_e32 v4, v4, v5
	v_not_b32_e32 v5, v21
	v_cmp_gt_i64_e32 vcc, 0, v[20:21]
	v_ashrrev_i32_e32 v5, 31, v5
	v_xor_b32_e32 v21, vcc_hi, v5
	;; [unrolled: 8-line block ×5, first 2 shown]
	v_and_b32_e32 v3, v3, v21
	v_lshlrev_b32_e32 v21, 24, v2
	v_not_b32_e32 v2, v21
	v_xor_b32_e32 v5, vcc_lo, v5
	v_cmp_gt_i64_e32 vcc, 0, v[20:21]
	v_ashrrev_i32_e32 v2, 31, v2
	v_and_b32_e32 v4, v4, v5
	v_xor_b32_e32 v5, vcc_hi, v2
	v_xor_b32_e32 v2, vcc_lo, v2
	v_and_b32_e32 v2, v4, v2
	v_and_b32_e32 v3, v3, v5
	v_mbcnt_lo_u32_b32 v4, v2, 0
	v_mbcnt_hi_u32_b32 v123, v3, v4
	v_cmp_eq_u32_e32 vcc, 0, v123
	v_cmp_ne_u64_e64 s[36:37], 0, v[2:3]
	s_and_b64 s[38:39], s[36:37], vcc
	; wave barrier
	s_and_saveexec_b64 s[36:37], s[38:39]
	s_cbranch_execz .LBB1429_262
; %bb.261:                              ;   in Loop: Header=BB1429_232 Depth=2
	v_bcnt_u32_b32 v2, v2, 0
	v_bcnt_u32_b32 v2, v3, v2
	s_waitcnt lgkmcnt(0)
	v_add_u32_e32 v2, v122, v2
	ds_write_b32 v9, v2
.LBB1429_262:                           ;   in Loop: Header=BB1429_232 Depth=2
	s_or_b64 exec, exec, s[36:37]
	; wave barrier
	s_waitcnt lgkmcnt(0)
	s_barrier
	ds_read_b32 v21, v50 offset:1040
	ds_read2_b32 v[4:5], v52 offset0:1 offset1:2
	ds_read2_b32 v[2:3], v52 offset0:3 offset1:4
	s_waitcnt lgkmcnt(1)
	v_add3_u32 v124, v4, v21, v5
	s_waitcnt lgkmcnt(0)
	v_add3_u32 v3, v124, v2, v3
	s_nop 1
	v_mov_b32_dpp v124, v3 row_shr:1 row_mask:0xf bank_mask:0xf
	v_cndmask_b32_e64 v124, v124, 0, s[16:17]
	v_add_u32_e32 v3, v124, v3
	s_nop 1
	v_mov_b32_dpp v124, v3 row_shr:2 row_mask:0xf bank_mask:0xf
	v_cndmask_b32_e64 v124, 0, v124, s[18:19]
	v_add_u32_e32 v3, v3, v124
	;; [unrolled: 4-line block ×4, first 2 shown]
	s_nop 1
	v_mov_b32_dpp v124, v3 row_bcast:15 row_mask:0xf bank_mask:0xf
	v_cndmask_b32_e64 v124, v124, 0, s[24:25]
	v_add_u32_e32 v3, v3, v124
	s_nop 1
	v_mov_b32_dpp v124, v3 row_bcast:31 row_mask:0xf bank_mask:0xf
	v_cndmask_b32_e64 v124, 0, v124, s[26:27]
	v_add_u32_e32 v3, v3, v124
	s_and_saveexec_b64 s[36:37], s[6:7]
	s_cbranch_execz .LBB1429_264
; %bb.263:                              ;   in Loop: Header=BB1429_232 Depth=2
	ds_write_b32 v43, v3 offset:1024
.LBB1429_264:                           ;   in Loop: Header=BB1429_232 Depth=2
	s_or_b64 exec, exec, s[36:37]
	s_waitcnt lgkmcnt(0)
	s_barrier
	s_and_saveexec_b64 s[36:37], s[8:9]
	s_cbranch_execz .LBB1429_266
; %bb.265:                              ;   in Loop: Header=BB1429_232 Depth=2
	ds_read_b32 v124, v53 offset:1024
	s_waitcnt lgkmcnt(0)
	s_nop 0
	v_mov_b32_dpp v125, v124 row_shr:1 row_mask:0xf bank_mask:0xf
	v_cndmask_b32_e64 v125, v125, 0, s[30:31]
	v_add_u32_e32 v124, v125, v124
	s_nop 1
	v_mov_b32_dpp v125, v124 row_shr:2 row_mask:0xf bank_mask:0xf
	v_cndmask_b32_e64 v125, 0, v125, s[34:35]
	v_add_u32_e32 v124, v124, v125
	ds_write_b32 v53, v124 offset:1024
.LBB1429_266:                           ;   in Loop: Header=BB1429_232 Depth=2
	s_or_b64 exec, exec, s[36:37]
	v_mov_b32_e32 v124, 0
	s_waitcnt lgkmcnt(0)
	s_barrier
	s_and_saveexec_b64 s[36:37], s[10:11]
	s_cbranch_execz .LBB1429_268
; %bb.267:                              ;   in Loop: Header=BB1429_232 Depth=2
	ds_read_b32 v124, v43 offset:1020
.LBB1429_268:                           ;   in Loop: Header=BB1429_232 Depth=2
	s_or_b64 exec, exec, s[36:37]
	s_waitcnt lgkmcnt(0)
	v_add_u32_e32 v3, v124, v3
	ds_bpermute_b32 v3, v75, v3
	s_waitcnt lgkmcnt(0)
	v_cndmask_b32_e64 v3, v3, v124, s[28:29]
	v_cndmask_b32_e64 v3, v3, 0, s[12:13]
	v_add_u32_e32 v21, v3, v21
	ds_write_b32 v50, v3 offset:1040
	v_add_u32_e32 v3, v21, v4
	v_add_u32_e32 v4, v3, v5
	;; [unrolled: 1-line block ×3, first 2 shown]
	ds_write2_b32 v52, v21, v3 offset0:1 offset1:2
	ds_write2_b32 v52, v4, v2 offset0:3 offset1:4
	s_waitcnt lgkmcnt(0)
	s_barrier
	ds_read_b32 v2, v102
	ds_read_b32 v3, v106
	;; [unrolled: 1-line block ×8, first 2 shown]
	ds_read_b32 v9, v50 offset:1040
	v_mov_b32_e32 v4, 0x800
	s_and_saveexec_b64 s[36:37], s[14:15]
	s_cbranch_execz .LBB1429_270
; %bb.269:                              ;   in Loop: Header=BB1429_232 Depth=2
	ds_read_b32 v4, v50 offset:1060
.LBB1429_270:                           ;   in Loop: Header=BB1429_232 Depth=2
	s_or_b64 exec, exec, s[36:37]
	s_waitcnt lgkmcnt(0)
	s_barrier
	s_and_saveexec_b64 s[36:37], s[4:5]
	s_cbranch_execz .LBB1429_272
; %bb.271:                              ;   in Loop: Header=BB1429_232 Depth=2
	ds_read_b32 v21, v19
	s_waitcnt lgkmcnt(0)
	v_sub_u32_e32 v9, v21, v9
	ds_write_b32 v19, v9
.LBB1429_272:                           ;   in Loop: Header=BB1429_232 Depth=2
	s_or_b64 exec, exec, s[36:37]
	v_add_u32_e32 v100, v8, v101
	v_add3_u32 v39, v103, v39, v2
	v_lshlrev_b32_e32 v2, 2, v100
	v_add3_u32 v21, v107, v105, v3
	ds_write_b32 v2, v99 offset:1024
	v_lshlrev_b32_e32 v2, 2, v39
	v_add3_u32 v9, v111, v109, v5
	ds_write_b32 v2, v38 offset:1024
	;; [unrolled: 3-line block ×6, first 2 shown]
	v_lshlrev_b32_e32 v2, 2, v6
	ds_write_b32 v2, v118 offset:1024
	v_lshlrev_b32_e32 v2, 2, v5
	v_cmp_lt_u32_e32 vcc, v18, v0
	ds_write_b32 v2, v121 offset:1024
	s_waitcnt lgkmcnt(0)
	s_barrier
	s_and_saveexec_b64 s[38:39], vcc
	s_cbranch_execz .LBB1429_280
; %bb.273:                              ;   in Loop: Header=BB1429_232 Depth=2
	ds_read_b32 v2, v53 offset:1024
	v_mov_b32_e32 v3, v20
	v_mov_b32_e32 v99, s61
	s_waitcnt lgkmcnt(0)
	v_cmp_ne_u32_e64 s[36:37], s64, v2
	v_cndmask_b32_e64 v38, v73, v2, s[36:37]
	v_lshrrev_b32_e32 v38, s76, v38
	v_and_b32_e32 v38, s85, v38
	v_lshlrev_b32_e32 v38, 2, v38
	ds_read_b32 v38, v38
	v_cmp_lt_i32_e64 s[36:37], -1, v2
	v_cndmask_b32_e64 v101, v73, -1, s[36:37]
	v_xor_b32_e32 v101, v101, v2
	s_waitcnt lgkmcnt(0)
	v_add_u32_e32 v2, v38, v18
	v_lshlrev_b64 v[2:3], 2, v[2:3]
	v_add_co_u32_e64 v2, s[36:37], s60, v2
	v_addc_co_u32_e64 v3, s[36:37], v99, v3, s[36:37]
	global_store_dword v[2:3], v101, off
	s_or_b64 exec, exec, s[38:39]
	v_cmp_lt_u32_e64 s[36:37], v23, v0
	s_and_saveexec_b64 s[40:41], s[36:37]
	s_cbranch_execnz .LBB1429_281
.LBB1429_274:                           ;   in Loop: Header=BB1429_232 Depth=2
	s_or_b64 exec, exec, s[40:41]
	v_cmp_lt_u32_e64 s[38:39], v25, v0
	s_and_saveexec_b64 s[42:43], s[38:39]
	s_cbranch_execz .LBB1429_282
.LBB1429_275:                           ;   in Loop: Header=BB1429_232 Depth=2
	ds_read_b32 v2, v58 offset:2048
	v_mov_b32_e32 v3, v20
	v_mov_b32_e32 v99, s61
	s_waitcnt lgkmcnt(0)
	v_cmp_ne_u32_e64 s[40:41], s64, v2
	v_cndmask_b32_e64 v38, v73, v2, s[40:41]
	v_lshrrev_b32_e32 v38, s76, v38
	v_and_b32_e32 v38, s85, v38
	v_lshlrev_b32_e32 v38, 2, v38
	ds_read_b32 v38, v38
	v_cmp_lt_i32_e64 s[40:41], -1, v2
	v_cndmask_b32_e64 v101, v73, -1, s[40:41]
	v_xor_b32_e32 v101, v101, v2
	s_waitcnt lgkmcnt(0)
	v_add_u32_e32 v2, v38, v25
	v_lshlrev_b64 v[2:3], 2, v[2:3]
	v_add_co_u32_e64 v2, s[40:41], s60, v2
	v_addc_co_u32_e64 v3, s[40:41], v99, v3, s[40:41]
	global_store_dword v[2:3], v101, off
	s_or_b64 exec, exec, s[42:43]
	v_cmp_lt_u32_e64 s[40:41], v27, v0
	s_and_saveexec_b64 s[44:45], s[40:41]
	s_cbranch_execnz .LBB1429_283
.LBB1429_276:                           ;   in Loop: Header=BB1429_232 Depth=2
	s_or_b64 exec, exec, s[44:45]
	v_cmp_lt_u32_e64 s[42:43], v22, v0
	s_and_saveexec_b64 s[46:47], s[42:43]
	s_cbranch_execz .LBB1429_284
.LBB1429_277:                           ;   in Loop: Header=BB1429_232 Depth=2
	ds_read_b32 v2, v58 offset:4096
	v_mov_b32_e32 v3, v20
	v_mov_b32_e32 v99, s61
	s_waitcnt lgkmcnt(0)
	v_cmp_ne_u32_e64 s[44:45], s64, v2
	v_cndmask_b32_e64 v38, v73, v2, s[44:45]
	v_lshrrev_b32_e32 v38, s76, v38
	v_and_b32_e32 v38, s85, v38
	v_lshlrev_b32_e32 v38, 2, v38
	ds_read_b32 v38, v38
	v_cmp_lt_i32_e64 s[44:45], -1, v2
	v_cndmask_b32_e64 v101, v73, -1, s[44:45]
	v_xor_b32_e32 v101, v101, v2
	s_waitcnt lgkmcnt(0)
	v_add_u32_e32 v2, v38, v22
	v_lshlrev_b64 v[2:3], 2, v[2:3]
	v_add_co_u32_e64 v2, s[44:45], s60, v2
	v_addc_co_u32_e64 v3, s[44:45], v99, v3, s[44:45]
	global_store_dword v[2:3], v101, off
	s_or_b64 exec, exec, s[46:47]
	v_cmp_lt_u32_e64 s[44:45], v24, v0
	s_and_saveexec_b64 s[48:49], s[44:45]
	s_cbranch_execnz .LBB1429_285
.LBB1429_278:                           ;   in Loop: Header=BB1429_232 Depth=2
	s_or_b64 exec, exec, s[48:49]
	v_cmp_lt_u32_e64 s[46:47], v26, v0
	s_and_saveexec_b64 s[52:53], s[46:47]
	s_cbranch_execz .LBB1429_286
.LBB1429_279:                           ;   in Loop: Header=BB1429_232 Depth=2
	ds_read_b32 v2, v58 offset:6144
	v_mov_b32_e32 v3, v20
	v_mov_b32_e32 v99, s61
	s_waitcnt lgkmcnt(0)
	v_cmp_ne_u32_e64 s[48:49], s64, v2
	v_cndmask_b32_e64 v38, v73, v2, s[48:49]
	v_lshrrev_b32_e32 v38, s76, v38
	v_and_b32_e32 v38, s85, v38
	v_lshlrev_b32_e32 v38, 2, v38
	ds_read_b32 v38, v38
	v_cmp_lt_i32_e64 s[48:49], -1, v2
	v_cndmask_b32_e64 v101, v73, -1, s[48:49]
	v_xor_b32_e32 v101, v101, v2
	s_waitcnt lgkmcnt(0)
	v_add_u32_e32 v2, v38, v26
	v_lshlrev_b64 v[2:3], 2, v[2:3]
	v_add_co_u32_e64 v2, s[48:49], s60, v2
	v_addc_co_u32_e64 v3, s[48:49], v99, v3, s[48:49]
	global_store_dword v[2:3], v101, off
	s_or_b64 exec, exec, s[52:53]
	v_cmp_lt_u32_e64 s[48:49], v28, v0
	s_and_saveexec_b64 s[62:63], s[48:49]
	s_cbranch_execnz .LBB1429_287
	s_branch .LBB1429_288
.LBB1429_280:                           ;   in Loop: Header=BB1429_232 Depth=2
	s_or_b64 exec, exec, s[38:39]
	v_cmp_lt_u32_e64 s[36:37], v23, v0
	s_and_saveexec_b64 s[40:41], s[36:37]
	s_cbranch_execz .LBB1429_274
.LBB1429_281:                           ;   in Loop: Header=BB1429_232 Depth=2
	ds_read_b32 v2, v58 offset:1024
	v_mov_b32_e32 v3, v20
	v_mov_b32_e32 v99, s61
	s_waitcnt lgkmcnt(0)
	v_cmp_ne_u32_e64 s[38:39], s64, v2
	v_cndmask_b32_e64 v38, v73, v2, s[38:39]
	v_lshrrev_b32_e32 v38, s76, v38
	v_and_b32_e32 v38, s85, v38
	v_lshlrev_b32_e32 v38, 2, v38
	ds_read_b32 v38, v38
	v_cmp_lt_i32_e64 s[38:39], -1, v2
	v_cndmask_b32_e64 v101, v73, -1, s[38:39]
	v_xor_b32_e32 v101, v101, v2
	s_waitcnt lgkmcnt(0)
	v_add_u32_e32 v2, v38, v23
	v_lshlrev_b64 v[2:3], 2, v[2:3]
	v_add_co_u32_e64 v2, s[38:39], s60, v2
	v_addc_co_u32_e64 v3, s[38:39], v99, v3, s[38:39]
	global_store_dword v[2:3], v101, off
	s_or_b64 exec, exec, s[40:41]
	v_cmp_lt_u32_e64 s[38:39], v25, v0
	s_and_saveexec_b64 s[42:43], s[38:39]
	s_cbranch_execnz .LBB1429_275
.LBB1429_282:                           ;   in Loop: Header=BB1429_232 Depth=2
	s_or_b64 exec, exec, s[42:43]
	v_cmp_lt_u32_e64 s[40:41], v27, v0
	s_and_saveexec_b64 s[44:45], s[40:41]
	s_cbranch_execz .LBB1429_276
.LBB1429_283:                           ;   in Loop: Header=BB1429_232 Depth=2
	ds_read_b32 v2, v58 offset:3072
	v_mov_b32_e32 v3, v20
	v_mov_b32_e32 v99, s61
	s_waitcnt lgkmcnt(0)
	v_cmp_ne_u32_e64 s[42:43], s64, v2
	v_cndmask_b32_e64 v38, v73, v2, s[42:43]
	v_lshrrev_b32_e32 v38, s76, v38
	v_and_b32_e32 v38, s85, v38
	v_lshlrev_b32_e32 v38, 2, v38
	ds_read_b32 v38, v38
	v_cmp_lt_i32_e64 s[42:43], -1, v2
	v_cndmask_b32_e64 v101, v73, -1, s[42:43]
	v_xor_b32_e32 v101, v101, v2
	s_waitcnt lgkmcnt(0)
	v_add_u32_e32 v2, v38, v27
	v_lshlrev_b64 v[2:3], 2, v[2:3]
	v_add_co_u32_e64 v2, s[42:43], s60, v2
	v_addc_co_u32_e64 v3, s[42:43], v99, v3, s[42:43]
	global_store_dword v[2:3], v101, off
	s_or_b64 exec, exec, s[44:45]
	v_cmp_lt_u32_e64 s[42:43], v22, v0
	s_and_saveexec_b64 s[46:47], s[42:43]
	s_cbranch_execnz .LBB1429_277
.LBB1429_284:                           ;   in Loop: Header=BB1429_232 Depth=2
	s_or_b64 exec, exec, s[46:47]
	v_cmp_lt_u32_e64 s[44:45], v24, v0
	s_and_saveexec_b64 s[48:49], s[44:45]
	s_cbranch_execz .LBB1429_278
.LBB1429_285:                           ;   in Loop: Header=BB1429_232 Depth=2
	ds_read_b32 v2, v58 offset:5120
	v_mov_b32_e32 v3, v20
	v_mov_b32_e32 v99, s61
	s_waitcnt lgkmcnt(0)
	v_cmp_ne_u32_e64 s[46:47], s64, v2
	v_cndmask_b32_e64 v38, v73, v2, s[46:47]
	v_lshrrev_b32_e32 v38, s76, v38
	v_and_b32_e32 v38, s85, v38
	v_lshlrev_b32_e32 v38, 2, v38
	ds_read_b32 v38, v38
	v_cmp_lt_i32_e64 s[46:47], -1, v2
	v_cndmask_b32_e64 v101, v73, -1, s[46:47]
	v_xor_b32_e32 v101, v101, v2
	s_waitcnt lgkmcnt(0)
	v_add_u32_e32 v2, v38, v24
	v_lshlrev_b64 v[2:3], 2, v[2:3]
	v_add_co_u32_e64 v2, s[46:47], s60, v2
	v_addc_co_u32_e64 v3, s[46:47], v99, v3, s[46:47]
	global_store_dword v[2:3], v101, off
	s_or_b64 exec, exec, s[48:49]
	v_cmp_lt_u32_e64 s[46:47], v26, v0
	s_and_saveexec_b64 s[52:53], s[46:47]
	s_cbranch_execnz .LBB1429_279
.LBB1429_286:                           ;   in Loop: Header=BB1429_232 Depth=2
	s_or_b64 exec, exec, s[52:53]
	v_cmp_lt_u32_e64 s[48:49], v28, v0
	s_and_saveexec_b64 s[62:63], s[48:49]
	s_cbranch_execz .LBB1429_288
.LBB1429_287:                           ;   in Loop: Header=BB1429_232 Depth=2
	ds_read_b32 v2, v58 offset:7168
	v_mov_b32_e32 v3, v20
	v_mov_b32_e32 v99, s61
	s_waitcnt lgkmcnt(0)
	v_cmp_ne_u32_e64 s[52:53], s64, v2
	v_cndmask_b32_e64 v38, v73, v2, s[52:53]
	v_lshrrev_b32_e32 v38, s76, v38
	v_and_b32_e32 v38, s85, v38
	v_lshlrev_b32_e32 v38, 2, v38
	ds_read_b32 v38, v38
	v_cmp_lt_i32_e64 s[52:53], -1, v2
	v_cndmask_b32_e64 v101, v73, -1, s[52:53]
	v_xor_b32_e32 v101, v101, v2
	s_waitcnt lgkmcnt(0)
	v_add_u32_e32 v2, v38, v28
	v_lshlrev_b64 v[2:3], 2, v[2:3]
	v_add_co_u32_e64 v2, s[52:53], s60, v2
	v_addc_co_u32_e64 v3, s[52:53], v99, v3, s[52:53]
	global_store_dword v[2:3], v101, off
.LBB1429_288:                           ;   in Loop: Header=BB1429_232 Depth=2
	s_or_b64 exec, exec, s[62:63]
	s_lshl_b64 s[52:53], s[80:81], 3
	v_mov_b32_e32 v3, s53
	v_add_co_u32_e64 v2, s[52:53], s52, v83
	v_addc_co_u32_e64 v3, s[52:53], v85, v3, s[52:53]
	v_cmp_lt_u32_e64 s[52:53], v80, v0
	s_and_saveexec_b64 s[62:63], s[52:53]
	s_xor_b64 s[52:53], exec, s[62:63]
	s_cbranch_execz .LBB1429_304
; %bb.289:                              ;   in Loop: Header=BB1429_232 Depth=2
	global_load_dwordx2 v[36:37], v[2:3], off
	s_or_b64 exec, exec, s[52:53]
	v_cmp_lt_u32_e64 s[52:53], v87, v0
	s_and_saveexec_b64 s[62:63], s[52:53]
	s_cbranch_execnz .LBB1429_305
.LBB1429_290:                           ;   in Loop: Header=BB1429_232 Depth=2
	s_or_b64 exec, exec, s[62:63]
	v_cmp_lt_u32_e64 s[52:53], v88, v0
	s_and_saveexec_b64 s[62:63], s[52:53]
	s_cbranch_execz .LBB1429_306
.LBB1429_291:                           ;   in Loop: Header=BB1429_232 Depth=2
	global_load_dwordx2 v[32:33], v[2:3], off offset:1024
	s_or_b64 exec, exec, s[62:63]
	v_cmp_lt_u32_e64 s[52:53], v89, v0
	s_and_saveexec_b64 s[62:63], s[52:53]
	s_cbranch_execnz .LBB1429_307
.LBB1429_292:                           ;   in Loop: Header=BB1429_232 Depth=2
	s_or_b64 exec, exec, s[62:63]
	v_cmp_lt_u32_e64 s[52:53], v90, v0
	s_and_saveexec_b64 s[62:63], s[52:53]
	s_cbranch_execz .LBB1429_308
.LBB1429_293:                           ;   in Loop: Header=BB1429_232 Depth=2
	global_load_dwordx2 v[16:17], v[2:3], off offset:2048
	s_or_b64 exec, exec, s[62:63]
	v_cmp_lt_u32_e64 s[52:53], v91, v0
	s_and_saveexec_b64 s[62:63], s[52:53]
	s_cbranch_execnz .LBB1429_309
.LBB1429_294:                           ;   in Loop: Header=BB1429_232 Depth=2
	s_or_b64 exec, exec, s[62:63]
	v_cmp_lt_u32_e64 s[52:53], v92, v0
	s_and_saveexec_b64 s[62:63], s[52:53]
	s_cbranch_execz .LBB1429_310
.LBB1429_295:                           ;   in Loop: Header=BB1429_232 Depth=2
	global_load_dwordx2 v[12:13], v[2:3], off offset:3072
	s_or_b64 exec, exec, s[62:63]
	v_cmp_lt_u32_e64 s[52:53], v93, v0
	s_and_saveexec_b64 s[62:63], s[52:53]
	s_cbranch_execnz .LBB1429_311
.LBB1429_296:                           ;   in Loop: Header=BB1429_232 Depth=2
	s_or_b64 exec, exec, s[62:63]
	s_and_saveexec_b64 s[62:63], vcc
	s_cbranch_execz .LBB1429_312
.LBB1429_297:                           ;   in Loop: Header=BB1429_232 Depth=2
	ds_read_b32 v0, v53 offset:1024
	s_waitcnt lgkmcnt(0)
	v_cmp_ne_u32_e64 s[52:53], s64, v0
	v_cndmask_b32_e64 v0, v73, v0, s[52:53]
	v_lshrrev_b32_e32 v0, s76, v0
	v_and_b32_e32 v86, s85, v0
	s_or_b64 exec, exec, s[62:63]
	s_and_saveexec_b64 s[62:63], s[36:37]
	s_cbranch_execnz .LBB1429_313
.LBB1429_298:                           ;   in Loop: Header=BB1429_232 Depth=2
	s_or_b64 exec, exec, s[62:63]
	s_and_saveexec_b64 s[62:63], s[38:39]
	s_cbranch_execz .LBB1429_314
.LBB1429_299:                           ;   in Loop: Header=BB1429_232 Depth=2
	ds_read_b32 v0, v58 offset:2048
	s_waitcnt lgkmcnt(0)
	v_cmp_ne_u32_e64 s[52:53], s64, v0
	v_cndmask_b32_e64 v0, v73, v0, s[52:53]
	v_lshrrev_b32_e32 v0, s76, v0
	v_and_b32_e32 v82, s85, v0
	s_or_b64 exec, exec, s[62:63]
	s_and_saveexec_b64 s[62:63], s[40:41]
	s_cbranch_execnz .LBB1429_315
.LBB1429_300:                           ;   in Loop: Header=BB1429_232 Depth=2
	s_or_b64 exec, exec, s[62:63]
	s_and_saveexec_b64 s[62:63], s[42:43]
	s_cbranch_execz .LBB1429_316
.LBB1429_301:                           ;   in Loop: Header=BB1429_232 Depth=2
	ds_read_b32 v0, v58 offset:4096
	s_waitcnt lgkmcnt(0)
	v_cmp_ne_u32_e64 s[52:53], s64, v0
	v_cndmask_b32_e64 v0, v73, v0, s[52:53]
	v_lshrrev_b32_e32 v0, s76, v0
	v_and_b32_e32 v79, s85, v0
	s_or_b64 exec, exec, s[62:63]
	s_and_saveexec_b64 s[62:63], s[44:45]
	s_cbranch_execnz .LBB1429_317
.LBB1429_302:                           ;   in Loop: Header=BB1429_232 Depth=2
	s_or_b64 exec, exec, s[62:63]
	s_and_saveexec_b64 s[62:63], s[46:47]
	s_cbranch_execz .LBB1429_318
.LBB1429_303:                           ;   in Loop: Header=BB1429_232 Depth=2
	ds_read_b32 v0, v58 offset:6144
	s_waitcnt lgkmcnt(0)
	v_cmp_ne_u32_e64 s[52:53], s64, v0
	v_cndmask_b32_e64 v0, v73, v0, s[52:53]
	v_lshrrev_b32_e32 v0, s76, v0
	v_and_b32_e32 v77, s85, v0
	s_or_b64 exec, exec, s[62:63]
	s_and_saveexec_b64 s[62:63], s[48:49]
	s_cbranch_execnz .LBB1429_319
	s_branch .LBB1429_320
.LBB1429_304:                           ;   in Loop: Header=BB1429_232 Depth=2
	s_or_b64 exec, exec, s[52:53]
	v_cmp_lt_u32_e64 s[52:53], v87, v0
	s_and_saveexec_b64 s[62:63], s[52:53]
	s_cbranch_execz .LBB1429_290
.LBB1429_305:                           ;   in Loop: Header=BB1429_232 Depth=2
	global_load_dwordx2 v[34:35], v[2:3], off offset:512
	s_or_b64 exec, exec, s[62:63]
	v_cmp_lt_u32_e64 s[52:53], v88, v0
	s_and_saveexec_b64 s[62:63], s[52:53]
	s_cbranch_execnz .LBB1429_291
.LBB1429_306:                           ;   in Loop: Header=BB1429_232 Depth=2
	s_or_b64 exec, exec, s[62:63]
	v_cmp_lt_u32_e64 s[52:53], v89, v0
	s_and_saveexec_b64 s[62:63], s[52:53]
	s_cbranch_execz .LBB1429_292
.LBB1429_307:                           ;   in Loop: Header=BB1429_232 Depth=2
	global_load_dwordx2 v[30:31], v[2:3], off offset:1536
	s_or_b64 exec, exec, s[62:63]
	v_cmp_lt_u32_e64 s[52:53], v90, v0
	s_and_saveexec_b64 s[62:63], s[52:53]
	s_cbranch_execnz .LBB1429_293
.LBB1429_308:                           ;   in Loop: Header=BB1429_232 Depth=2
	s_or_b64 exec, exec, s[62:63]
	v_cmp_lt_u32_e64 s[52:53], v91, v0
	s_and_saveexec_b64 s[62:63], s[52:53]
	s_cbranch_execz .LBB1429_294
.LBB1429_309:                           ;   in Loop: Header=BB1429_232 Depth=2
	global_load_dwordx2 v[14:15], v[2:3], off offset:2560
	s_or_b64 exec, exec, s[62:63]
	v_cmp_lt_u32_e64 s[52:53], v92, v0
	s_and_saveexec_b64 s[62:63], s[52:53]
	s_cbranch_execnz .LBB1429_295
.LBB1429_310:                           ;   in Loop: Header=BB1429_232 Depth=2
	s_or_b64 exec, exec, s[62:63]
	v_cmp_lt_u32_e64 s[52:53], v93, v0
	s_and_saveexec_b64 s[62:63], s[52:53]
	s_cbranch_execz .LBB1429_296
.LBB1429_311:                           ;   in Loop: Header=BB1429_232 Depth=2
	global_load_dwordx2 v[10:11], v[2:3], off offset:3584
	s_or_b64 exec, exec, s[62:63]
	s_and_saveexec_b64 s[62:63], vcc
	s_cbranch_execnz .LBB1429_297
.LBB1429_312:                           ;   in Loop: Header=BB1429_232 Depth=2
	s_or_b64 exec, exec, s[62:63]
	s_and_saveexec_b64 s[62:63], s[36:37]
	s_cbranch_execz .LBB1429_298
.LBB1429_313:                           ;   in Loop: Header=BB1429_232 Depth=2
	ds_read_b32 v0, v58 offset:1024
	s_waitcnt lgkmcnt(0)
	v_cmp_ne_u32_e64 s[52:53], s64, v0
	v_cndmask_b32_e64 v0, v73, v0, s[52:53]
	v_lshrrev_b32_e32 v0, s76, v0
	v_and_b32_e32 v84, s85, v0
	s_or_b64 exec, exec, s[62:63]
	s_and_saveexec_b64 s[62:63], s[38:39]
	s_cbranch_execnz .LBB1429_299
.LBB1429_314:                           ;   in Loop: Header=BB1429_232 Depth=2
	s_or_b64 exec, exec, s[62:63]
	s_and_saveexec_b64 s[62:63], s[40:41]
	s_cbranch_execz .LBB1429_300
.LBB1429_315:                           ;   in Loop: Header=BB1429_232 Depth=2
	ds_read_b32 v0, v58 offset:3072
	s_waitcnt lgkmcnt(0)
	v_cmp_ne_u32_e64 s[52:53], s64, v0
	v_cndmask_b32_e64 v0, v73, v0, s[52:53]
	v_lshrrev_b32_e32 v0, s76, v0
	v_and_b32_e32 v81, s85, v0
	s_or_b64 exec, exec, s[62:63]
	s_and_saveexec_b64 s[62:63], s[42:43]
	s_cbranch_execnz .LBB1429_301
.LBB1429_316:                           ;   in Loop: Header=BB1429_232 Depth=2
	s_or_b64 exec, exec, s[62:63]
	s_and_saveexec_b64 s[62:63], s[44:45]
	s_cbranch_execz .LBB1429_302
.LBB1429_317:                           ;   in Loop: Header=BB1429_232 Depth=2
	ds_read_b32 v0, v58 offset:5120
	s_waitcnt lgkmcnt(0)
	v_cmp_ne_u32_e64 s[52:53], s64, v0
	v_cndmask_b32_e64 v0, v73, v0, s[52:53]
	v_lshrrev_b32_e32 v0, s76, v0
	v_and_b32_e32 v78, s85, v0
	s_or_b64 exec, exec, s[62:63]
	s_and_saveexec_b64 s[62:63], s[46:47]
	s_cbranch_execnz .LBB1429_303
.LBB1429_318:                           ;   in Loop: Header=BB1429_232 Depth=2
	s_or_b64 exec, exec, s[62:63]
	s_and_saveexec_b64 s[62:63], s[48:49]
	s_cbranch_execz .LBB1429_320
.LBB1429_319:                           ;   in Loop: Header=BB1429_232 Depth=2
	ds_read_b32 v0, v58 offset:7168
	s_waitcnt lgkmcnt(0)
	v_cmp_ne_u32_e64 s[52:53], s64, v0
	v_cndmask_b32_e64 v0, v73, v0, s[52:53]
	v_lshrrev_b32_e32 v0, s76, v0
	v_and_b32_e32 v76, s85, v0
.LBB1429_320:                           ;   in Loop: Header=BB1429_232 Depth=2
	s_or_b64 exec, exec, s[62:63]
	v_lshlrev_b32_e32 v0, 3, v100
	s_barrier
	s_waitcnt vmcnt(0)
	ds_write_b64 v0, v[36:37] offset:1024
	v_lshlrev_b32_e32 v0, 3, v39
	ds_write_b64 v0, v[34:35] offset:1024
	v_lshlrev_b32_e32 v0, 3, v21
	;; [unrolled: 2-line block ×7, first 2 shown]
	ds_write_b64 v0, v[10:11] offset:1024
	s_waitcnt lgkmcnt(0)
	s_barrier
	s_and_saveexec_b64 s[52:53], vcc
	s_cbranch_execz .LBB1429_328
; %bb.321:                              ;   in Loop: Header=BB1429_232 Depth=2
	v_lshlrev_b32_e32 v0, 2, v86
	ds_read_b32 v0, v0
	v_add_u32_e32 v2, v53, v19
	ds_read_b64 v[2:3], v2 offset:1024
	v_mov_b32_e32 v7, v20
	v_mov_b32_e32 v5, s75
	s_waitcnt lgkmcnt(1)
	v_add_u32_e32 v6, v0, v18
	v_lshlrev_b64 v[6:7], 3, v[6:7]
	v_add_co_u32_e32 v6, vcc, s74, v6
	v_addc_co_u32_e32 v7, vcc, v5, v7, vcc
	s_waitcnt lgkmcnt(0)
	global_store_dwordx2 v[6:7], v[2:3], off
	s_or_b64 exec, exec, s[52:53]
	s_and_saveexec_b64 s[52:53], s[36:37]
	s_cbranch_execnz .LBB1429_329
.LBB1429_322:                           ;   in Loop: Header=BB1429_232 Depth=2
	s_or_b64 exec, exec, s[52:53]
	s_and_saveexec_b64 s[36:37], s[38:39]
	s_cbranch_execz .LBB1429_330
.LBB1429_323:                           ;   in Loop: Header=BB1429_232 Depth=2
	v_lshlrev_b32_e32 v0, 2, v82
	ds_read_b32 v0, v0
	v_add_u32_e32 v2, v58, v19
	ds_read_b64 v[2:3], v2 offset:4096
	v_mov_b32_e32 v7, v20
	v_mov_b32_e32 v5, s75
	s_waitcnt lgkmcnt(1)
	v_add_u32_e32 v6, v0, v25
	v_lshlrev_b64 v[6:7], 3, v[6:7]
	v_add_co_u32_e32 v6, vcc, s74, v6
	v_addc_co_u32_e32 v7, vcc, v5, v7, vcc
	s_waitcnt lgkmcnt(0)
	global_store_dwordx2 v[6:7], v[2:3], off
	s_or_b64 exec, exec, s[36:37]
	s_and_saveexec_b64 s[36:37], s[40:41]
	s_cbranch_execnz .LBB1429_331
.LBB1429_324:                           ;   in Loop: Header=BB1429_232 Depth=2
	s_or_b64 exec, exec, s[36:37]
	s_and_saveexec_b64 s[36:37], s[42:43]
	s_cbranch_execz .LBB1429_332
.LBB1429_325:                           ;   in Loop: Header=BB1429_232 Depth=2
	v_lshlrev_b32_e32 v0, 2, v79
	ds_read_b32 v0, v0
	v_add_u32_e32 v2, v58, v19
	ds_read_b64 v[2:3], v2 offset:8192
	v_mov_b32_e32 v7, v20
	v_mov_b32_e32 v5, s75
	s_waitcnt lgkmcnt(1)
	v_add_u32_e32 v6, v0, v22
	v_lshlrev_b64 v[6:7], 3, v[6:7]
	v_add_co_u32_e32 v6, vcc, s74, v6
	v_addc_co_u32_e32 v7, vcc, v5, v7, vcc
	s_waitcnt lgkmcnt(0)
	global_store_dwordx2 v[6:7], v[2:3], off
	s_or_b64 exec, exec, s[36:37]
	s_and_saveexec_b64 s[36:37], s[44:45]
	s_cbranch_execnz .LBB1429_333
.LBB1429_326:                           ;   in Loop: Header=BB1429_232 Depth=2
	s_or_b64 exec, exec, s[36:37]
	s_and_saveexec_b64 s[36:37], s[46:47]
	s_cbranch_execz .LBB1429_334
.LBB1429_327:                           ;   in Loop: Header=BB1429_232 Depth=2
	v_lshlrev_b32_e32 v0, 2, v77
	ds_read_b32 v0, v0
	v_add_u32_e32 v2, v58, v19
	ds_read_b64 v[2:3], v2 offset:12288
	v_mov_b32_e32 v7, v20
	v_mov_b32_e32 v5, s75
	s_waitcnt lgkmcnt(1)
	v_add_u32_e32 v6, v0, v26
	v_lshlrev_b64 v[6:7], 3, v[6:7]
	v_add_co_u32_e32 v6, vcc, s74, v6
	v_addc_co_u32_e32 v7, vcc, v5, v7, vcc
	s_waitcnt lgkmcnt(0)
	global_store_dwordx2 v[6:7], v[2:3], off
	s_or_b64 exec, exec, s[36:37]
	s_and_saveexec_b64 s[36:37], s[48:49]
	s_cbranch_execnz .LBB1429_335
	s_branch .LBB1429_336
.LBB1429_328:                           ;   in Loop: Header=BB1429_232 Depth=2
	s_or_b64 exec, exec, s[52:53]
	s_and_saveexec_b64 s[52:53], s[36:37]
	s_cbranch_execz .LBB1429_322
.LBB1429_329:                           ;   in Loop: Header=BB1429_232 Depth=2
	v_lshlrev_b32_e32 v0, 2, v84
	ds_read_b32 v0, v0
	v_add_u32_e32 v2, v58, v19
	ds_read_b64 v[2:3], v2 offset:2048
	v_mov_b32_e32 v7, v20
	v_mov_b32_e32 v5, s75
	s_waitcnt lgkmcnt(1)
	v_add_u32_e32 v6, v0, v23
	v_lshlrev_b64 v[6:7], 3, v[6:7]
	v_add_co_u32_e32 v6, vcc, s74, v6
	v_addc_co_u32_e32 v7, vcc, v5, v7, vcc
	s_waitcnt lgkmcnt(0)
	global_store_dwordx2 v[6:7], v[2:3], off
	s_or_b64 exec, exec, s[52:53]
	s_and_saveexec_b64 s[36:37], s[38:39]
	s_cbranch_execnz .LBB1429_323
.LBB1429_330:                           ;   in Loop: Header=BB1429_232 Depth=2
	s_or_b64 exec, exec, s[36:37]
	s_and_saveexec_b64 s[36:37], s[40:41]
	s_cbranch_execz .LBB1429_324
.LBB1429_331:                           ;   in Loop: Header=BB1429_232 Depth=2
	v_lshlrev_b32_e32 v0, 2, v81
	ds_read_b32 v0, v0
	v_add_u32_e32 v2, v58, v19
	ds_read_b64 v[2:3], v2 offset:6144
	v_mov_b32_e32 v7, v20
	v_mov_b32_e32 v5, s75
	s_waitcnt lgkmcnt(1)
	v_add_u32_e32 v6, v0, v27
	v_lshlrev_b64 v[6:7], 3, v[6:7]
	v_add_co_u32_e32 v6, vcc, s74, v6
	v_addc_co_u32_e32 v7, vcc, v5, v7, vcc
	s_waitcnt lgkmcnt(0)
	global_store_dwordx2 v[6:7], v[2:3], off
	s_or_b64 exec, exec, s[36:37]
	s_and_saveexec_b64 s[36:37], s[42:43]
	s_cbranch_execnz .LBB1429_325
.LBB1429_332:                           ;   in Loop: Header=BB1429_232 Depth=2
	s_or_b64 exec, exec, s[36:37]
	s_and_saveexec_b64 s[36:37], s[44:45]
	s_cbranch_execz .LBB1429_326
.LBB1429_333:                           ;   in Loop: Header=BB1429_232 Depth=2
	v_lshlrev_b32_e32 v0, 2, v78
	ds_read_b32 v0, v0
	v_add_u32_e32 v2, v58, v19
	ds_read_b64 v[2:3], v2 offset:10240
	v_mov_b32_e32 v7, v20
	v_mov_b32_e32 v5, s75
	s_waitcnt lgkmcnt(1)
	v_add_u32_e32 v6, v0, v24
	v_lshlrev_b64 v[6:7], 3, v[6:7]
	v_add_co_u32_e32 v6, vcc, s74, v6
	v_addc_co_u32_e32 v7, vcc, v5, v7, vcc
	s_waitcnt lgkmcnt(0)
	global_store_dwordx2 v[6:7], v[2:3], off
	s_or_b64 exec, exec, s[36:37]
	s_and_saveexec_b64 s[36:37], s[46:47]
	s_cbranch_execnz .LBB1429_327
.LBB1429_334:                           ;   in Loop: Header=BB1429_232 Depth=2
	s_or_b64 exec, exec, s[36:37]
	s_and_saveexec_b64 s[36:37], s[48:49]
	s_cbranch_execz .LBB1429_336
.LBB1429_335:                           ;   in Loop: Header=BB1429_232 Depth=2
	v_lshlrev_b32_e32 v0, 2, v76
	ds_read_b32 v0, v0
	v_add_u32_e32 v2, v58, v19
	ds_read_b64 v[2:3], v2 offset:14336
	v_mov_b32_e32 v7, v20
	v_mov_b32_e32 v5, s75
	s_waitcnt lgkmcnt(1)
	v_add_u32_e32 v6, v0, v28
	v_lshlrev_b64 v[6:7], 3, v[6:7]
	v_add_co_u32_e32 v6, vcc, s74, v6
	v_addc_co_u32_e32 v7, vcc, v5, v7, vcc
	s_waitcnt lgkmcnt(0)
	global_store_dwordx2 v[6:7], v[2:3], off
.LBB1429_336:                           ;   in Loop: Header=BB1429_232 Depth=2
	s_or_b64 exec, exec, s[36:37]
	s_barrier
	s_and_saveexec_b64 s[36:37], s[4:5]
	s_cbranch_execz .LBB1429_231
; %bb.337:                              ;   in Loop: Header=BB1429_232 Depth=2
	ds_read_b32 v0, v19
	s_waitcnt lgkmcnt(0)
	v_add_u32_e32 v0, v0, v4
	ds_write_b32 v19, v0
	s_branch .LBB1429_231
.LBB1429_338:                           ;   in Loop: Header=BB1429_232 Depth=2
	s_or_b64 exec, exec, s[36:37]
	v_cmp_gt_u32_e32 vcc, s86, v87
	s_and_saveexec_b64 s[36:37], vcc
	s_cbranch_execz .LBB1429_237
.LBB1429_339:                           ;   in Loop: Header=BB1429_232 Depth=2
	global_load_dword v3, v[38:39], off offset:256
	s_or_b64 exec, exec, s[36:37]
	v_cmp_gt_u32_e32 vcc, s86, v88
	s_and_saveexec_b64 s[36:37], vcc
	s_cbranch_execnz .LBB1429_238
.LBB1429_340:                           ;   in Loop: Header=BB1429_232 Depth=2
	s_or_b64 exec, exec, s[36:37]
	v_cmp_gt_u32_e32 vcc, s86, v89
	s_and_saveexec_b64 s[36:37], vcc
	s_cbranch_execz .LBB1429_239
.LBB1429_341:                           ;   in Loop: Header=BB1429_232 Depth=2
	global_load_dword v5, v[38:39], off offset:768
	s_or_b64 exec, exec, s[36:37]
	v_cmp_gt_u32_e32 vcc, s86, v90
	s_and_saveexec_b64 s[36:37], vcc
	s_cbranch_execnz .LBB1429_240
.LBB1429_342:                           ;   in Loop: Header=BB1429_232 Depth=2
	s_or_b64 exec, exec, s[36:37]
	v_cmp_gt_u32_e32 vcc, s86, v91
	s_and_saveexec_b64 s[36:37], vcc
	s_cbranch_execz .LBB1429_241
.LBB1429_343:                           ;   in Loop: Header=BB1429_232 Depth=2
	global_load_dword v7, v[38:39], off offset:1280
	s_or_b64 exec, exec, s[36:37]
	v_cmp_gt_u32_e32 vcc, s86, v92
	s_and_saveexec_b64 s[36:37], vcc
	s_cbranch_execnz .LBB1429_242
	s_branch .LBB1429_243
.LBB1429_344:                           ;   in Loop: Header=BB1429_12 Depth=1
	s_waitcnt lgkmcnt(0)
	s_barrier
.LBB1429_345:                           ;   in Loop: Header=BB1429_12 Depth=1
	s_mov_b64 s[16:17], 0
.LBB1429_346:                           ;   in Loop: Header=BB1429_12 Depth=1
	s_andn2_b64 vcc, exec, s[16:17]
	s_cbranch_vccnz .LBB1429_11
; %bb.347:                              ;   in Loop: Header=BB1429_12 Depth=1
	s_mov_b64 s[16:17], -1
	s_and_b64 vcc, exec, s[54:55]
	s_cbranch_vccz .LBB1429_513
; %bb.348:                              ;   in Loop: Header=BB1429_12 Depth=1
	s_mov_b32 s22, s79
	s_mov_b32 s80, s51
	s_barrier
	s_waitcnt lgkmcnt(0)
                                        ; implicit-def: $vgpr2_vgpr3_vgpr4_vgpr5_vgpr6_vgpr7_vgpr8_vgpr9
	s_branch .LBB1429_350
.LBB1429_349:                           ;   in Loop: Header=BB1429_350 Depth=2
	s_or_b64 exec, exec, s[16:17]
	s_addk_i32 s22, 0xf800
	s_cmp_ge_u32 s23, s84
	s_mov_b32 s80, s23
	s_cbranch_scc1 .LBB1429_388
.LBB1429_350:                           ;   Parent Loop BB1429_12 Depth=1
                                        ; =>  This Inner Loop Header: Depth=2
	s_add_i32 s23, s80, 0x800
	s_cmp_gt_u32 s23, s84
	s_cbranch_scc1 .LBB1429_353
; %bb.351:                              ;   in Loop: Header=BB1429_350 Depth=2
	s_lshl_b64 s[16:17], s[80:81], 2
	v_mov_b32_e32 v0, s17
	v_add_co_u32_e32 v30, vcc, s16, v65
	v_addc_co_u32_e32 v31, vcc, v66, v0, vcc
	v_add_co_u32_e32 v32, vcc, 0x1000, v30
	v_addc_co_u32_e32 v33, vcc, 0, v31, vcc
	global_load_dword v10, v[30:31], off
	global_load_dword v11, v[30:31], off offset:1024
	global_load_dword v12, v[30:31], off offset:2048
	;; [unrolled: 1-line block ×3, first 2 shown]
	global_load_dword v14, v[32:33], off
	global_load_dword v15, v[32:33], off offset:1024
	global_load_dword v16, v[32:33], off offset:2048
	v_add_co_u32_e32 v30, vcc, 0x1c00, v30
	v_addc_co_u32_e32 v31, vcc, 0, v31, vcc
	s_mov_b64 s[16:17], -1
	s_movk_i32 s24, 0x800
	s_cbranch_execz .LBB1429_354
; %bb.352:                              ;   in Loop: Header=BB1429_350 Depth=2
                                        ; implicit-def: $vgpr2_vgpr3_vgpr4_vgpr5_vgpr6_vgpr7_vgpr8_vgpr9
	v_mov_b32_e32 v0, s22
	s_and_saveexec_b64 s[18:19], s[16:17]
	s_cbranch_execnz .LBB1429_365
	s_branch .LBB1429_366
.LBB1429_353:                           ;   in Loop: Header=BB1429_350 Depth=2
	s_mov_b64 s[16:17], 0
                                        ; implicit-def: $sgpr24
                                        ; implicit-def: $vgpr10_vgpr11_vgpr12_vgpr13_vgpr14_vgpr15_vgpr16_vgpr17
                                        ; implicit-def: $vgpr30_vgpr31
.LBB1429_354:                           ;   in Loop: Header=BB1429_350 Depth=2
	s_lshl_b64 s[18:19], s[80:81], 2
	s_add_u32 s18, s56, s18
	s_addc_u32 s19, s57, s19
	v_cmp_gt_u32_e32 vcc, s22, v18
	s_and_saveexec_b64 s[20:21], vcc
	s_cbranch_execz .LBB1429_382
; %bb.355:                              ;   in Loop: Header=BB1429_350 Depth=2
	global_load_dword v2, v72, s[18:19]
	s_or_b64 exec, exec, s[20:21]
	v_cmp_gt_u32_e32 vcc, s22, v23
	s_and_saveexec_b64 s[20:21], vcc
	s_cbranch_execnz .LBB1429_383
.LBB1429_356:                           ;   in Loop: Header=BB1429_350 Depth=2
	s_or_b64 exec, exec, s[20:21]
	v_cmp_gt_u32_e32 vcc, s22, v25
	s_and_saveexec_b64 s[20:21], vcc
	s_cbranch_execz .LBB1429_384
.LBB1429_357:                           ;   in Loop: Header=BB1429_350 Depth=2
	global_load_dword v4, v72, s[18:19] offset:2048
	s_or_b64 exec, exec, s[20:21]
	v_cmp_gt_u32_e32 vcc, s22, v27
	s_and_saveexec_b64 s[20:21], vcc
	s_cbranch_execnz .LBB1429_385
.LBB1429_358:                           ;   in Loop: Header=BB1429_350 Depth=2
	s_or_b64 exec, exec, s[20:21]
	v_cmp_gt_u32_e32 vcc, s22, v22
	s_and_saveexec_b64 s[20:21], vcc
	s_cbranch_execz .LBB1429_386
.LBB1429_359:                           ;   in Loop: Header=BB1429_350 Depth=2
	v_lshlrev_b32_e32 v0, 2, v22
	global_load_dword v6, v0, s[18:19]
	s_or_b64 exec, exec, s[20:21]
	v_cmp_gt_u32_e32 vcc, s22, v24
	s_and_saveexec_b64 s[20:21], vcc
	s_cbranch_execnz .LBB1429_387
.LBB1429_360:                           ;   in Loop: Header=BB1429_350 Depth=2
	s_or_b64 exec, exec, s[20:21]
	v_cmp_gt_u32_e32 vcc, s22, v26
	s_and_saveexec_b64 s[20:21], vcc
	s_cbranch_execz .LBB1429_362
.LBB1429_361:                           ;   in Loop: Header=BB1429_350 Depth=2
	v_lshlrev_b32_e32 v0, 2, v26
	global_load_dword v8, v0, s[18:19]
.LBB1429_362:                           ;   in Loop: Header=BB1429_350 Depth=2
	s_or_b64 exec, exec, s[20:21]
	v_cmp_gt_u32_e32 vcc, s22, v28
                                        ; implicit-def: $sgpr24
                                        ; implicit-def: $vgpr30_vgpr31
	s_and_saveexec_b64 s[20:21], vcc
	s_cbranch_execz .LBB1429_364
; %bb.363:                              ;   in Loop: Header=BB1429_350 Depth=2
	v_lshlrev_b32_e32 v0, 2, v28
	s_waitcnt vmcnt(6)
	v_mov_b32_e32 v10, s19
	v_add_co_u32_e32 v30, vcc, s18, v0
	s_sub_i32 s24, s84, s80
	v_addc_co_u32_e32 v31, vcc, 0, v10, vcc
	s_or_b64 s[16:17], s[16:17], exec
.LBB1429_364:                           ;   in Loop: Header=BB1429_350 Depth=2
	s_or_b64 exec, exec, s[20:21]
	s_waitcnt vmcnt(0)
	v_pk_mov_b32 v[16:17], v[8:9], v[8:9] op_sel:[0,1]
	v_pk_mov_b32 v[14:15], v[6:7], v[6:7] op_sel:[0,1]
	;; [unrolled: 1-line block ×4, first 2 shown]
	v_mov_b32_e32 v0, s22
	s_and_saveexec_b64 s[18:19], s[16:17]
	s_cbranch_execz .LBB1429_366
.LBB1429_365:                           ;   in Loop: Header=BB1429_350 Depth=2
	global_load_dword v17, v[30:31], off
	s_waitcnt vmcnt(0)
	v_pk_mov_b32 v[2:3], v[10:11], v[10:11] op_sel:[0,1]
	v_mov_b32_e32 v0, s24
	v_pk_mov_b32 v[4:5], v[12:13], v[12:13] op_sel:[0,1]
	v_pk_mov_b32 v[6:7], v[14:15], v[14:15] op_sel:[0,1]
	;; [unrolled: 1-line block ×3, first 2 shown]
.LBB1429_366:                           ;   in Loop: Header=BB1429_350 Depth=2
	s_or_b64 exec, exec, s[18:19]
	v_cmp_lt_u32_e32 vcc, v18, v0
	s_and_saveexec_b64 s[16:17], vcc
	s_cbranch_execz .LBB1429_374
; %bb.367:                              ;   in Loop: Header=BB1429_350 Depth=2
	v_cmp_lt_i32_e32 vcc, -1, v2
	s_waitcnt vmcnt(6)
	v_cndmask_b32_e32 v10, -1, v73, vcc
	v_xor_b32_e32 v10, v10, v2
	v_cmp_ne_u32_e32 vcc, s64, v10
	v_cndmask_b32_e32 v10, v73, v10, vcc
	v_lshrrev_b32_e32 v10, s77, v10
	v_and_b32_e32 v10, s85, v10
	s_waitcnt vmcnt(5)
	v_lshlrev_b32_e32 v11, 2, v29
	v_lshl_or_b32 v10, v10, 4, v11
	ds_add_u32 v10, v71
	s_or_b64 exec, exec, s[16:17]
	v_cmp_lt_u32_e32 vcc, v23, v0
	s_and_saveexec_b64 s[16:17], vcc
	s_cbranch_execnz .LBB1429_375
.LBB1429_368:                           ;   in Loop: Header=BB1429_350 Depth=2
	s_or_b64 exec, exec, s[16:17]
	v_cmp_lt_u32_e32 vcc, v25, v0
	s_and_saveexec_b64 s[16:17], vcc
	s_cbranch_execz .LBB1429_376
.LBB1429_369:                           ;   in Loop: Header=BB1429_350 Depth=2
	v_cmp_lt_i32_e32 vcc, -1, v4
	s_waitcnt vmcnt(6)
	v_cndmask_b32_e32 v10, -1, v73, vcc
	v_xor_b32_e32 v10, v10, v4
	v_cmp_ne_u32_e32 vcc, s64, v10
	v_cndmask_b32_e32 v10, v73, v10, vcc
	v_lshrrev_b32_e32 v10, s77, v10
	v_and_b32_e32 v10, s85, v10
	s_waitcnt vmcnt(5)
	v_lshlrev_b32_e32 v11, 2, v29
	v_lshl_or_b32 v10, v10, 4, v11
	ds_add_u32 v10, v71
	s_or_b64 exec, exec, s[16:17]
	v_cmp_lt_u32_e32 vcc, v27, v0
	s_and_saveexec_b64 s[16:17], vcc
	s_cbranch_execnz .LBB1429_377
.LBB1429_370:                           ;   in Loop: Header=BB1429_350 Depth=2
	s_or_b64 exec, exec, s[16:17]
	v_cmp_lt_u32_e32 vcc, v22, v0
	s_and_saveexec_b64 s[16:17], vcc
	s_cbranch_execz .LBB1429_378
.LBB1429_371:                           ;   in Loop: Header=BB1429_350 Depth=2
	v_cmp_lt_i32_e32 vcc, -1, v6
	s_waitcnt vmcnt(6)
	v_cndmask_b32_e32 v10, -1, v73, vcc
	v_xor_b32_e32 v10, v10, v6
	v_cmp_ne_u32_e32 vcc, s64, v10
	v_cndmask_b32_e32 v10, v73, v10, vcc
	v_lshrrev_b32_e32 v10, s77, v10
	v_and_b32_e32 v10, s85, v10
	s_waitcnt vmcnt(5)
	v_lshlrev_b32_e32 v11, 2, v29
	v_lshl_or_b32 v10, v10, 4, v11
	ds_add_u32 v10, v71
	s_or_b64 exec, exec, s[16:17]
	v_cmp_lt_u32_e32 vcc, v24, v0
	s_and_saveexec_b64 s[16:17], vcc
	s_cbranch_execnz .LBB1429_379
.LBB1429_372:                           ;   in Loop: Header=BB1429_350 Depth=2
	s_or_b64 exec, exec, s[16:17]
	v_cmp_lt_u32_e32 vcc, v26, v0
	s_and_saveexec_b64 s[16:17], vcc
	s_cbranch_execz .LBB1429_380
.LBB1429_373:                           ;   in Loop: Header=BB1429_350 Depth=2
	v_cmp_lt_i32_e32 vcc, -1, v8
	s_waitcnt vmcnt(6)
	v_cndmask_b32_e32 v10, -1, v73, vcc
	v_xor_b32_e32 v10, v10, v8
	v_cmp_ne_u32_e32 vcc, s64, v10
	v_cndmask_b32_e32 v10, v73, v10, vcc
	v_lshrrev_b32_e32 v10, s77, v10
	v_and_b32_e32 v10, s85, v10
	s_waitcnt vmcnt(5)
	v_lshlrev_b32_e32 v11, 2, v29
	v_lshl_or_b32 v10, v10, 4, v11
	ds_add_u32 v10, v71
	s_or_b64 exec, exec, s[16:17]
	v_cmp_lt_u32_e32 vcc, v28, v0
	s_and_saveexec_b64 s[16:17], vcc
	s_cbranch_execz .LBB1429_349
	s_branch .LBB1429_381
.LBB1429_374:                           ;   in Loop: Header=BB1429_350 Depth=2
	s_or_b64 exec, exec, s[16:17]
	v_cmp_lt_u32_e32 vcc, v23, v0
	s_and_saveexec_b64 s[16:17], vcc
	s_cbranch_execz .LBB1429_368
.LBB1429_375:                           ;   in Loop: Header=BB1429_350 Depth=2
	v_cmp_lt_i32_e32 vcc, -1, v3
	s_waitcnt vmcnt(6)
	v_cndmask_b32_e32 v10, -1, v73, vcc
	v_xor_b32_e32 v10, v10, v3
	v_cmp_ne_u32_e32 vcc, s64, v10
	v_cndmask_b32_e32 v10, v73, v10, vcc
	v_lshrrev_b32_e32 v10, s77, v10
	v_and_b32_e32 v10, s85, v10
	s_waitcnt vmcnt(5)
	v_lshlrev_b32_e32 v11, 2, v29
	v_lshl_or_b32 v10, v10, 4, v11
	ds_add_u32 v10, v71
	s_or_b64 exec, exec, s[16:17]
	v_cmp_lt_u32_e32 vcc, v25, v0
	s_and_saveexec_b64 s[16:17], vcc
	s_cbranch_execnz .LBB1429_369
.LBB1429_376:                           ;   in Loop: Header=BB1429_350 Depth=2
	s_or_b64 exec, exec, s[16:17]
	v_cmp_lt_u32_e32 vcc, v27, v0
	s_and_saveexec_b64 s[16:17], vcc
	s_cbranch_execz .LBB1429_370
.LBB1429_377:                           ;   in Loop: Header=BB1429_350 Depth=2
	v_cmp_lt_i32_e32 vcc, -1, v5
	s_waitcnt vmcnt(6)
	v_cndmask_b32_e32 v10, -1, v73, vcc
	v_xor_b32_e32 v10, v10, v5
	v_cmp_ne_u32_e32 vcc, s64, v10
	v_cndmask_b32_e32 v10, v73, v10, vcc
	v_lshrrev_b32_e32 v10, s77, v10
	v_and_b32_e32 v10, s85, v10
	s_waitcnt vmcnt(5)
	v_lshlrev_b32_e32 v11, 2, v29
	v_lshl_or_b32 v10, v10, 4, v11
	ds_add_u32 v10, v71
	s_or_b64 exec, exec, s[16:17]
	v_cmp_lt_u32_e32 vcc, v22, v0
	s_and_saveexec_b64 s[16:17], vcc
	s_cbranch_execnz .LBB1429_371
.LBB1429_378:                           ;   in Loop: Header=BB1429_350 Depth=2
	s_or_b64 exec, exec, s[16:17]
	v_cmp_lt_u32_e32 vcc, v24, v0
	s_and_saveexec_b64 s[16:17], vcc
	s_cbranch_execz .LBB1429_372
.LBB1429_379:                           ;   in Loop: Header=BB1429_350 Depth=2
	v_cmp_lt_i32_e32 vcc, -1, v7
	s_waitcnt vmcnt(6)
	v_cndmask_b32_e32 v10, -1, v73, vcc
	v_xor_b32_e32 v10, v10, v7
	v_cmp_ne_u32_e32 vcc, s64, v10
	v_cndmask_b32_e32 v10, v73, v10, vcc
	v_lshrrev_b32_e32 v10, s77, v10
	v_and_b32_e32 v10, s85, v10
	s_waitcnt vmcnt(5)
	v_lshlrev_b32_e32 v11, 2, v29
	v_lshl_or_b32 v10, v10, 4, v11
	ds_add_u32 v10, v71
	s_or_b64 exec, exec, s[16:17]
	v_cmp_lt_u32_e32 vcc, v26, v0
	s_and_saveexec_b64 s[16:17], vcc
	s_cbranch_execnz .LBB1429_373
.LBB1429_380:                           ;   in Loop: Header=BB1429_350 Depth=2
	s_or_b64 exec, exec, s[16:17]
	v_cmp_lt_u32_e32 vcc, v28, v0
	s_and_saveexec_b64 s[16:17], vcc
	s_cbranch_execz .LBB1429_349
.LBB1429_381:                           ;   in Loop: Header=BB1429_350 Depth=2
	v_cmp_lt_i32_e32 vcc, -1, v9
	v_cndmask_b32_e32 v0, -1, v73, vcc
	v_xor_b32_e32 v0, v0, v9
	v_cmp_ne_u32_e32 vcc, s64, v0
	v_cndmask_b32_e32 v0, v73, v0, vcc
	v_lshrrev_b32_e32 v0, s77, v0
	v_and_b32_e32 v0, s85, v0
	s_waitcnt vmcnt(6)
	v_lshlrev_b32_e32 v10, 2, v29
	v_lshl_or_b32 v0, v0, 4, v10
	ds_add_u32 v0, v71
	s_branch .LBB1429_349
.LBB1429_382:                           ;   in Loop: Header=BB1429_350 Depth=2
	s_or_b64 exec, exec, s[20:21]
	v_cmp_gt_u32_e32 vcc, s22, v23
	s_and_saveexec_b64 s[20:21], vcc
	s_cbranch_execz .LBB1429_356
.LBB1429_383:                           ;   in Loop: Header=BB1429_350 Depth=2
	global_load_dword v3, v72, s[18:19] offset:1024
	s_or_b64 exec, exec, s[20:21]
	v_cmp_gt_u32_e32 vcc, s22, v25
	s_and_saveexec_b64 s[20:21], vcc
	s_cbranch_execnz .LBB1429_357
.LBB1429_384:                           ;   in Loop: Header=BB1429_350 Depth=2
	s_or_b64 exec, exec, s[20:21]
	v_cmp_gt_u32_e32 vcc, s22, v27
	s_and_saveexec_b64 s[20:21], vcc
	s_cbranch_execz .LBB1429_358
.LBB1429_385:                           ;   in Loop: Header=BB1429_350 Depth=2
	global_load_dword v5, v72, s[18:19] offset:3072
	s_or_b64 exec, exec, s[20:21]
	v_cmp_gt_u32_e32 vcc, s22, v22
	s_and_saveexec_b64 s[20:21], vcc
	s_cbranch_execnz .LBB1429_359
.LBB1429_386:                           ;   in Loop: Header=BB1429_350 Depth=2
	s_or_b64 exec, exec, s[20:21]
	v_cmp_gt_u32_e32 vcc, s22, v24
	s_and_saveexec_b64 s[20:21], vcc
	s_cbranch_execz .LBB1429_360
.LBB1429_387:                           ;   in Loop: Header=BB1429_350 Depth=2
	v_lshlrev_b32_e32 v0, 2, v24
	global_load_dword v7, v0, s[18:19]
	s_or_b64 exec, exec, s[20:21]
	v_cmp_gt_u32_e32 vcc, s22, v26
	s_and_saveexec_b64 s[20:21], vcc
	s_cbranch_execz .LBB1429_362
	s_branch .LBB1429_361
.LBB1429_388:                           ;   in Loop: Header=BB1429_12 Depth=1
	v_mov_b32_e32 v0, 0
	s_waitcnt lgkmcnt(0)
	s_barrier
	s_and_saveexec_b64 s[16:17], s[4:5]
	s_cbranch_execz .LBB1429_390
; %bb.389:                              ;   in Loop: Header=BB1429_12 Depth=1
	ds_read2_b64 v[2:5], v42 offset1:1
	s_waitcnt lgkmcnt(0)
	v_add_u32_e32 v0, v3, v2
	v_add3_u32 v0, v0, v4, v5
.LBB1429_390:                           ;   in Loop: Header=BB1429_12 Depth=1
	s_or_b64 exec, exec, s[16:17]
	v_and_b32_e32 v2, 15, v74
	v_mov_b32_dpp v3, v0 row_shr:1 row_mask:0xf bank_mask:0xf
	v_cmp_eq_u32_e64 s[16:17], 0, v2
	v_cndmask_b32_e64 v3, v3, 0, s[16:17]
	v_add_u32_e32 v0, v3, v0
	v_cmp_lt_u32_e64 s[18:19], 1, v2
	v_cmp_lt_u32_e64 s[20:21], 3, v2
	v_mov_b32_dpp v3, v0 row_shr:2 row_mask:0xf bank_mask:0xf
	v_cndmask_b32_e64 v3, 0, v3, s[18:19]
	v_add_u32_e32 v0, v0, v3
	v_cmp_lt_u32_e64 s[22:23], 7, v2
	v_cmp_lt_u32_e64 s[26:27], 31, v74
	v_mov_b32_dpp v3, v0 row_shr:4 row_mask:0xf bank_mask:0xf
	v_cndmask_b32_e64 v3, 0, v3, s[20:21]
	v_add_u32_e32 v0, v0, v3
	v_and_b32_e32 v4, 16, v74
	v_cmp_eq_u32_e64 s[24:25], 0, v4
	v_mov_b32_dpp v3, v0 row_shr:8 row_mask:0xf bank_mask:0xf
	v_cndmask_b32_e64 v2, 0, v3, s[22:23]
	v_add_u32_e32 v0, v0, v2
	v_bfe_i32 v3, v74, 4, 1
	s_nop 0
	v_mov_b32_dpp v2, v0 row_bcast:15 row_mask:0xf bank_mask:0xf
	v_and_b32_e32 v2, v3, v2
	v_add_u32_e32 v0, v0, v2
	s_nop 1
	v_mov_b32_dpp v2, v0 row_bcast:31 row_mask:0xf bank_mask:0xf
	v_cndmask_b32_e64 v2, 0, v2, s[26:27]
	v_add_u32_e32 v2, v0, v2
	s_and_saveexec_b64 s[28:29], s[6:7]
	s_cbranch_execz .LBB1429_392
; %bb.391:                              ;   in Loop: Header=BB1429_12 Depth=1
	ds_write_b32 v44, v2
.LBB1429_392:                           ;   in Loop: Header=BB1429_12 Depth=1
	s_or_b64 exec, exec, s[28:29]
	v_and_b32_e32 v0, 3, v74
	s_waitcnt lgkmcnt(0)
	s_barrier
	s_and_saveexec_b64 s[28:29], s[8:9]
	s_cbranch_execz .LBB1429_394
; %bb.393:                              ;   in Loop: Header=BB1429_12 Depth=1
	ds_read_b32 v3, v45
	v_cmp_ne_u32_e32 vcc, 0, v0
	s_waitcnt lgkmcnt(0)
	v_mov_b32_dpp v4, v3 row_shr:1 row_mask:0xf bank_mask:0xf
	v_cndmask_b32_e32 v4, 0, v4, vcc
	v_add_u32_e32 v3, v4, v3
	v_cmp_lt_u32_e32 vcc, 1, v0
	s_nop 0
	v_mov_b32_dpp v4, v3 row_shr:2 row_mask:0xf bank_mask:0xf
	v_cndmask_b32_e32 v4, 0, v4, vcc
	v_add_u32_e32 v3, v3, v4
	ds_write_b32 v45, v3
.LBB1429_394:                           ;   in Loop: Header=BB1429_12 Depth=1
	s_or_b64 exec, exec, s[28:29]
	v_mov_b32_e32 v3, 0
	s_waitcnt lgkmcnt(0)
	s_barrier
	s_and_saveexec_b64 s[28:29], s[10:11]
	s_cbranch_execz .LBB1429_396
; %bb.395:                              ;   in Loop: Header=BB1429_12 Depth=1
	ds_read_b32 v3, v46
.LBB1429_396:                           ;   in Loop: Header=BB1429_12 Depth=1
	s_or_b64 exec, exec, s[28:29]
	v_add_u32_e32 v4, -1, v74
	v_and_b32_e32 v5, 64, v74
	v_cmp_lt_i32_e32 vcc, v4, v5
	v_cndmask_b32_e32 v4, v4, v74, vcc
	s_waitcnt lgkmcnt(0)
	v_add_u32_e32 v2, v3, v2
	v_lshlrev_b32_e32 v75, 2, v4
	ds_bpermute_b32 v2, v75, v2
	v_cmp_eq_u32_e64 s[28:29], 0, v74
	s_waitcnt lgkmcnt(0)
	s_barrier
	s_and_saveexec_b64 s[30:31], s[4:5]
	s_cbranch_execz .LBB1429_398
; %bb.397:                              ;   in Loop: Header=BB1429_12 Depth=1
	v_cndmask_b32_e64 v2, v2, v3, s[28:29]
	v_add_u32_e32 v2, s51, v2
	ds_write_b32 v19, v2
.LBB1429_398:                           ;   in Loop: Header=BB1429_12 Depth=1
	s_or_b64 exec, exec, s[30:31]
	s_load_dwordx2 s[30:31], s[82:83], 0x0
	s_mov_b32 s86, s79
	s_mov_b32 s80, s51
                                        ; implicit-def: $vgpr10_vgpr11
                                        ; implicit-def: $vgpr12_vgpr13
                                        ; implicit-def: $vgpr14_vgpr15
                                        ; implicit-def: $vgpr16_vgpr17
                                        ; implicit-def: $vgpr30_vgpr31
                                        ; implicit-def: $vgpr32_vgpr33
                                        ; implicit-def: $vgpr34_vgpr35
                                        ; implicit-def: $vgpr36_vgpr37
                                        ; implicit-def: $vgpr76
                                        ; implicit-def: $vgpr77
                                        ; implicit-def: $vgpr78
                                        ; implicit-def: $vgpr79
                                        ; implicit-def: $vgpr81
                                        ; implicit-def: $vgpr82
                                        ; implicit-def: $vgpr84
                                        ; implicit-def: $vgpr86
	s_waitcnt lgkmcnt(0)
	s_cmp_lt_u32 s50, s30
	s_cselect_b32 s34, 12, 18
	s_cmp_lt_u32 s33, s31
	s_cselect_b32 s30, 14, 20
	s_add_u32 s30, s82, s30
	s_addc_u32 s31, s83, 0
	s_add_u32 s34, s82, s34
	global_load_ushort v2, v20, s[30:31]
	s_addc_u32 s35, s83, 0
	global_load_ushort v3, v20, s[34:35]
	v_cmp_eq_u32_e64 s[30:31], 0, v0
	v_cmp_lt_u32_e64 s[34:35], 1, v0
	v_and_b32_e32 v0, 63, v74
	v_lshlrev_b32_e32 v4, 3, v0
	v_add_co_u32_e32 v83, vcc, v67, v4
	v_or_b32_e32 v80, v0, v47
	v_lshlrev_b32_e32 v0, 2, v0
	v_addc_co_u32_e32 v85, vcc, 0, v68, vcc
	v_add_co_u32_e32 v94, vcc, v69, v0
	v_addc_co_u32_e32 v95, vcc, 0, v70, vcc
	v_add_co_u32_e32 v96, vcc, 0x700, v94
	v_or_b32_e32 v87, 64, v80
	v_or_b32_e32 v88, 0x80, v80
	v_or_b32_e32 v89, 0xc0, v80
	v_or_b32_e32 v90, 0x100, v80
	v_or_b32_e32 v91, 0x140, v80
	v_or_b32_e32 v92, 0x180, v80
	v_or_b32_e32 v93, 0x1c0, v80
	v_addc_co_u32_e32 v97, vcc, 0, v95, vcc
	s_waitcnt vmcnt(1)
	v_mad_u32_u24 v0, v48, v2, v49
	s_waitcnt vmcnt(0)
	v_mad_u64_u32 v[2:3], s[36:37], v0, v3, v[18:19]
	v_lshrrev_b32_e32 v98, 6, v2
	s_branch .LBB1429_400
.LBB1429_399:                           ;   in Loop: Header=BB1429_400 Depth=2
	s_or_b64 exec, exec, s[36:37]
	s_addk_i32 s86, 0xf800
	s_cmp_lt_u32 s87, s84
	s_mov_b32 s80, s87
	s_cbranch_scc0 .LBB1429_512
.LBB1429_400:                           ;   Parent Loop BB1429_12 Depth=1
                                        ; =>  This Inner Loop Header: Depth=2
	s_add_i32 s87, s80, 0x800
	s_cmp_gt_u32 s87, s84
	s_cbranch_scc1 .LBB1429_402
; %bb.401:                              ;   in Loop: Header=BB1429_400 Depth=2
	s_lshl_b64 s[36:37], s[80:81], 2
	v_mov_b32_e32 v0, s37
	v_add_co_u32_e32 v8, vcc, s36, v94
	v_addc_co_u32_e32 v9, vcc, v95, v0, vcc
	global_load_dword v2, v[8:9], off
	global_load_dword v3, v[8:9], off offset:256
	global_load_dword v4, v[8:9], off offset:512
	;; [unrolled: 1-line block ×5, first 2 shown]
	s_nop 0
	global_load_dword v8, v[8:9], off offset:1536
	s_mov_b64 s[36:37], -1
	s_movk_i32 s40, 0x800
	s_cbranch_execz .LBB1429_403
	s_branch .LBB1429_412
.LBB1429_402:                           ;   in Loop: Header=BB1429_400 Depth=2
	s_mov_b64 s[36:37], 0
                                        ; implicit-def: $sgpr40
                                        ; implicit-def: $vgpr2_vgpr3_vgpr4_vgpr5_vgpr6_vgpr7_vgpr8_vgpr9
.LBB1429_403:                           ;   in Loop: Header=BB1429_400 Depth=2
	s_lshl_b64 s[36:37], s[80:81], 2
	v_mov_b32_e32 v0, s37
	v_add_co_u32_e32 v38, vcc, s36, v94
	s_mov_b32 s65, s64
	v_addc_co_u32_e32 v39, vcc, v95, v0, vcc
	s_mov_b32 s66, s64
	s_mov_b32 s67, s64
	;; [unrolled: 1-line block ×6, first 2 shown]
	s_waitcnt vmcnt(0)
	v_pk_mov_b32 v[2:3], s[64:65], s[64:65] op_sel:[0,1]
	v_cmp_gt_u32_e32 vcc, s86, v80
	v_pk_mov_b32 v[4:5], s[66:67], s[66:67] op_sel:[0,1]
	v_pk_mov_b32 v[6:7], s[68:69], s[68:69] op_sel:[0,1]
	;; [unrolled: 1-line block ×3, first 2 shown]
	s_and_saveexec_b64 s[36:37], vcc
	s_cbranch_execz .LBB1429_506
; %bb.404:                              ;   in Loop: Header=BB1429_400 Depth=2
	global_load_dword v0, v[38:39], off
	v_mov_b32_e32 v2, v1
	v_mov_b32_e32 v3, v1
	;; [unrolled: 1-line block ×6, first 2 shown]
	s_waitcnt vmcnt(0)
	v_pk_mov_b32 v[8:9], v[6:7], v[6:7] op_sel:[0,1]
	v_pk_mov_b32 v[6:7], v[4:5], v[4:5] op_sel:[0,1]
	v_pk_mov_b32 v[4:5], v[2:3], v[2:3] op_sel:[0,1]
	v_pk_mov_b32 v[2:3], v[0:1], v[0:1] op_sel:[0,1]
	s_or_b64 exec, exec, s[36:37]
	v_cmp_gt_u32_e32 vcc, s86, v87
	s_and_saveexec_b64 s[36:37], vcc
	s_cbranch_execnz .LBB1429_507
.LBB1429_405:                           ;   in Loop: Header=BB1429_400 Depth=2
	s_or_b64 exec, exec, s[36:37]
	v_cmp_gt_u32_e32 vcc, s86, v88
	s_and_saveexec_b64 s[36:37], vcc
	s_cbranch_execz .LBB1429_508
.LBB1429_406:                           ;   in Loop: Header=BB1429_400 Depth=2
	global_load_dword v4, v[38:39], off offset:512
	s_or_b64 exec, exec, s[36:37]
	v_cmp_gt_u32_e32 vcc, s86, v89
	s_and_saveexec_b64 s[36:37], vcc
	s_cbranch_execnz .LBB1429_509
.LBB1429_407:                           ;   in Loop: Header=BB1429_400 Depth=2
	s_or_b64 exec, exec, s[36:37]
	v_cmp_gt_u32_e32 vcc, s86, v90
	s_and_saveexec_b64 s[36:37], vcc
	s_cbranch_execz .LBB1429_510
.LBB1429_408:                           ;   in Loop: Header=BB1429_400 Depth=2
	global_load_dword v6, v[38:39], off offset:1024
	s_or_b64 exec, exec, s[36:37]
	v_cmp_gt_u32_e32 vcc, s86, v91
	s_and_saveexec_b64 s[36:37], vcc
	s_cbranch_execnz .LBB1429_511
.LBB1429_409:                           ;   in Loop: Header=BB1429_400 Depth=2
	s_or_b64 exec, exec, s[36:37]
	v_cmp_gt_u32_e32 vcc, s86, v92
	s_and_saveexec_b64 s[36:37], vcc
	s_cbranch_execz .LBB1429_411
.LBB1429_410:                           ;   in Loop: Header=BB1429_400 Depth=2
	global_load_dword v8, v[38:39], off offset:1536
.LBB1429_411:                           ;   in Loop: Header=BB1429_400 Depth=2
	s_or_b64 exec, exec, s[36:37]
	s_sub_i32 s40, s84, s80
	v_cmp_gt_u32_e64 s[36:37], s86, v93
.LBB1429_412:                           ;   in Loop: Header=BB1429_400 Depth=2
	v_mov_b32_e32 v0, s86
	s_and_saveexec_b64 s[38:39], s[36:37]
	s_cbranch_execz .LBB1429_414
; %bb.413:                              ;   in Loop: Header=BB1429_400 Depth=2
	s_lshl_b64 s[36:37], s[80:81], 2
	v_mov_b32_e32 v0, s37
	v_add_co_u32_e32 v38, vcc, s36, v96
	v_addc_co_u32_e32 v39, vcc, v97, v0, vcc
	global_load_dword v9, v[38:39], off
	v_mov_b32_e32 v0, s40
.LBB1429_414:                           ;   in Loop: Header=BB1429_400 Depth=2
	s_or_b64 exec, exec, s[38:39]
	s_waitcnt vmcnt(6)
	v_cmp_lt_i32_e32 vcc, -1, v2
	v_cndmask_b32_e32 v21, -1, v73, vcc
	v_xor_b32_e32 v99, v21, v2
	v_add_u32_e32 v2, 0x410, v50
	v_cmp_ne_u32_e32 vcc, s64, v99
	ds_write2_b32 v2, v20, v20 offset1:1
	ds_write2_b32 v52, v20, v20 offset0:2 offset1:3
	ds_write_b32 v52, v20 offset:16
	v_cndmask_b32_e32 v2, v73, v99, vcc
	v_lshrrev_b32_e32 v2, s77, v2
	v_and_b32_e32 v2, s85, v2
	v_mad_u32_u24 v21, v2, 5, v98
	v_lshl_add_u32 v100, v21, 2, v51
	v_and_b32_e32 v21, 1, v2
	v_add_co_u32_e32 v38, vcc, -1, v21
	v_addc_co_u32_e64 v39, s[36:37], 0, -1, vcc
	v_cmp_ne_u32_e32 vcc, 0, v21
	v_xor_b32_e32 v21, vcc_hi, v39
	v_and_b32_e32 v39, exec_hi, v21
	v_lshlrev_b32_e32 v21, 30, v2
	v_xor_b32_e32 v38, vcc_lo, v38
	v_cmp_gt_i64_e32 vcc, 0, v[20:21]
	v_not_b32_e32 v21, v21
	v_ashrrev_i32_e32 v21, 31, v21
	v_and_b32_e32 v38, exec_lo, v38
	v_xor_b32_e32 v101, vcc_hi, v21
	v_xor_b32_e32 v21, vcc_lo, v21
	v_and_b32_e32 v38, v38, v21
	v_lshlrev_b32_e32 v21, 29, v2
	v_cmp_gt_i64_e32 vcc, 0, v[20:21]
	v_not_b32_e32 v21, v21
	v_ashrrev_i32_e32 v21, 31, v21
	v_and_b32_e32 v39, v39, v101
	v_xor_b32_e32 v101, vcc_hi, v21
	v_xor_b32_e32 v21, vcc_lo, v21
	v_and_b32_e32 v38, v38, v21
	v_lshlrev_b32_e32 v21, 28, v2
	v_cmp_gt_i64_e32 vcc, 0, v[20:21]
	v_not_b32_e32 v21, v21
	v_ashrrev_i32_e32 v21, 31, v21
	v_and_b32_e32 v39, v39, v101
	v_xor_b32_e32 v101, vcc_hi, v21
	v_xor_b32_e32 v21, vcc_lo, v21
	v_and_b32_e32 v38, v38, v21
	v_lshlrev_b32_e32 v21, 27, v2
	v_cmp_gt_i64_e32 vcc, 0, v[20:21]
	v_not_b32_e32 v21, v21
	v_ashrrev_i32_e32 v21, 31, v21
	v_and_b32_e32 v39, v39, v101
	v_xor_b32_e32 v101, vcc_hi, v21
	v_xor_b32_e32 v21, vcc_lo, v21
	v_and_b32_e32 v38, v38, v21
	v_lshlrev_b32_e32 v21, 26, v2
	v_cmp_gt_i64_e32 vcc, 0, v[20:21]
	v_not_b32_e32 v21, v21
	v_ashrrev_i32_e32 v21, 31, v21
	v_and_b32_e32 v39, v39, v101
	v_xor_b32_e32 v101, vcc_hi, v21
	v_xor_b32_e32 v21, vcc_lo, v21
	v_and_b32_e32 v38, v38, v21
	v_lshlrev_b32_e32 v21, 25, v2
	v_cmp_gt_i64_e32 vcc, 0, v[20:21]
	v_not_b32_e32 v21, v21
	v_ashrrev_i32_e32 v21, 31, v21
	v_and_b32_e32 v39, v39, v101
	v_xor_b32_e32 v101, vcc_hi, v21
	v_xor_b32_e32 v21, vcc_lo, v21
	v_and_b32_e32 v38, v38, v21
	v_lshlrev_b32_e32 v21, 24, v2
	v_not_b32_e32 v2, v21
	v_cmp_gt_i64_e32 vcc, 0, v[20:21]
	v_ashrrev_i32_e32 v2, 31, v2
	v_xor_b32_e32 v21, vcc_hi, v2
	v_xor_b32_e32 v2, vcc_lo, v2
	v_and_b32_e32 v39, v39, v101
	v_and_b32_e32 v38, v38, v2
	;; [unrolled: 1-line block ×3, first 2 shown]
	v_mbcnt_lo_u32_b32 v2, v38, 0
	v_mbcnt_hi_u32_b32 v101, v39, v2
	v_cmp_eq_u32_e32 vcc, 0, v101
	v_cmp_ne_u64_e64 s[36:37], 0, v[38:39]
	s_and_b64 s[38:39], s[36:37], vcc
	s_waitcnt lgkmcnt(0)
	s_barrier
	s_waitcnt lgkmcnt(0)
	; wave barrier
	s_and_saveexec_b64 s[36:37], s[38:39]
	s_cbranch_execz .LBB1429_416
; %bb.415:                              ;   in Loop: Header=BB1429_400 Depth=2
	v_bcnt_u32_b32 v2, v38, 0
	v_bcnt_u32_b32 v2, v39, v2
	ds_write_b32 v100, v2
.LBB1429_416:                           ;   in Loop: Header=BB1429_400 Depth=2
	s_or_b64 exec, exec, s[36:37]
	s_waitcnt vmcnt(0)
	v_cmp_lt_i32_e32 vcc, -1, v3
	v_cndmask_b32_e32 v2, -1, v73, vcc
	v_xor_b32_e32 v38, v2, v3
	v_cmp_ne_u32_e32 vcc, s64, v38
	v_cndmask_b32_e32 v2, v73, v38, vcc
	v_lshrrev_b32_e32 v2, s77, v2
	v_and_b32_e32 v2, s85, v2
	v_mul_u32_u24_e32 v3, 5, v2
	v_add_lshl_u32 v3, v3, v98, 2
	; wave barrier
	v_add_u32_e32 v102, 0x410, v3
	ds_read_b32 v39, v3 offset:1040
	v_and_b32_e32 v3, 1, v2
	v_add_co_u32_e32 v21, vcc, -1, v3
	v_addc_co_u32_e64 v103, s[36:37], 0, -1, vcc
	v_cmp_ne_u32_e32 vcc, 0, v3
	v_xor_b32_e32 v21, vcc_lo, v21
	v_xor_b32_e32 v3, vcc_hi, v103
	v_and_b32_e32 v103, exec_lo, v21
	v_lshlrev_b32_e32 v21, 30, v2
	v_cmp_gt_i64_e32 vcc, 0, v[20:21]
	v_not_b32_e32 v21, v21
	v_ashrrev_i32_e32 v21, 31, v21
	v_xor_b32_e32 v104, vcc_hi, v21
	v_xor_b32_e32 v21, vcc_lo, v21
	v_and_b32_e32 v103, v103, v21
	v_lshlrev_b32_e32 v21, 29, v2
	v_cmp_gt_i64_e32 vcc, 0, v[20:21]
	v_not_b32_e32 v21, v21
	v_and_b32_e32 v3, exec_hi, v3
	v_ashrrev_i32_e32 v21, 31, v21
	v_and_b32_e32 v3, v3, v104
	v_xor_b32_e32 v104, vcc_hi, v21
	v_xor_b32_e32 v21, vcc_lo, v21
	v_and_b32_e32 v103, v103, v21
	v_lshlrev_b32_e32 v21, 28, v2
	v_cmp_gt_i64_e32 vcc, 0, v[20:21]
	v_not_b32_e32 v21, v21
	v_ashrrev_i32_e32 v21, 31, v21
	v_and_b32_e32 v3, v3, v104
	v_xor_b32_e32 v104, vcc_hi, v21
	v_xor_b32_e32 v21, vcc_lo, v21
	v_and_b32_e32 v103, v103, v21
	v_lshlrev_b32_e32 v21, 27, v2
	v_cmp_gt_i64_e32 vcc, 0, v[20:21]
	v_not_b32_e32 v21, v21
	;; [unrolled: 8-line block ×4, first 2 shown]
	v_ashrrev_i32_e32 v21, 31, v21
	v_and_b32_e32 v3, v3, v104
	v_xor_b32_e32 v104, vcc_hi, v21
	v_xor_b32_e32 v21, vcc_lo, v21
	v_and_b32_e32 v103, v103, v21
	v_lshlrev_b32_e32 v21, 24, v2
	v_not_b32_e32 v2, v21
	v_cmp_gt_i64_e32 vcc, 0, v[20:21]
	v_ashrrev_i32_e32 v2, 31, v2
	v_xor_b32_e32 v21, vcc_hi, v2
	v_xor_b32_e32 v2, vcc_lo, v2
	v_and_b32_e32 v3, v3, v104
	v_and_b32_e32 v2, v103, v2
	;; [unrolled: 1-line block ×3, first 2 shown]
	v_mbcnt_lo_u32_b32 v21, v2, 0
	v_mbcnt_hi_u32_b32 v103, v3, v21
	v_cmp_eq_u32_e32 vcc, 0, v103
	v_cmp_ne_u64_e64 s[36:37], 0, v[2:3]
	s_and_b64 s[38:39], s[36:37], vcc
	; wave barrier
	s_and_saveexec_b64 s[36:37], s[38:39]
	s_cbranch_execz .LBB1429_418
; %bb.417:                              ;   in Loop: Header=BB1429_400 Depth=2
	v_bcnt_u32_b32 v2, v2, 0
	v_bcnt_u32_b32 v2, v3, v2
	s_waitcnt lgkmcnt(0)
	v_add_u32_e32 v2, v39, v2
	ds_write_b32 v102, v2
.LBB1429_418:                           ;   in Loop: Header=BB1429_400 Depth=2
	s_or_b64 exec, exec, s[36:37]
	v_cmp_lt_i32_e32 vcc, -1, v4
	v_cndmask_b32_e32 v2, -1, v73, vcc
	v_xor_b32_e32 v104, v2, v4
	v_cmp_ne_u32_e32 vcc, s64, v104
	v_cndmask_b32_e32 v2, v73, v104, vcc
	v_lshrrev_b32_e32 v2, s77, v2
	v_and_b32_e32 v2, s85, v2
	v_mul_u32_u24_e32 v3, 5, v2
	v_add_lshl_u32 v3, v3, v98, 2
	; wave barrier
	v_add_u32_e32 v106, 0x410, v3
	ds_read_b32 v105, v3 offset:1040
	v_and_b32_e32 v3, 1, v2
	v_add_co_u32_e32 v4, vcc, -1, v3
	v_addc_co_u32_e64 v21, s[36:37], 0, -1, vcc
	v_cmp_ne_u32_e32 vcc, 0, v3
	v_xor_b32_e32 v3, vcc_hi, v21
	v_lshlrev_b32_e32 v21, 30, v2
	v_xor_b32_e32 v4, vcc_lo, v4
	v_cmp_gt_i64_e32 vcc, 0, v[20:21]
	v_not_b32_e32 v21, v21
	v_ashrrev_i32_e32 v21, 31, v21
	v_and_b32_e32 v4, exec_lo, v4
	v_xor_b32_e32 v107, vcc_hi, v21
	v_xor_b32_e32 v21, vcc_lo, v21
	v_and_b32_e32 v4, v4, v21
	v_lshlrev_b32_e32 v21, 29, v2
	v_cmp_gt_i64_e32 vcc, 0, v[20:21]
	v_not_b32_e32 v21, v21
	v_and_b32_e32 v3, exec_hi, v3
	v_ashrrev_i32_e32 v21, 31, v21
	v_and_b32_e32 v3, v3, v107
	v_xor_b32_e32 v107, vcc_hi, v21
	v_xor_b32_e32 v21, vcc_lo, v21
	v_and_b32_e32 v4, v4, v21
	v_lshlrev_b32_e32 v21, 28, v2
	v_cmp_gt_i64_e32 vcc, 0, v[20:21]
	v_not_b32_e32 v21, v21
	v_ashrrev_i32_e32 v21, 31, v21
	v_and_b32_e32 v3, v3, v107
	v_xor_b32_e32 v107, vcc_hi, v21
	v_xor_b32_e32 v21, vcc_lo, v21
	v_and_b32_e32 v4, v4, v21
	v_lshlrev_b32_e32 v21, 27, v2
	v_cmp_gt_i64_e32 vcc, 0, v[20:21]
	v_not_b32_e32 v21, v21
	;; [unrolled: 8-line block ×4, first 2 shown]
	v_ashrrev_i32_e32 v21, 31, v21
	v_and_b32_e32 v3, v3, v107
	v_xor_b32_e32 v107, vcc_hi, v21
	v_xor_b32_e32 v21, vcc_lo, v21
	v_and_b32_e32 v4, v4, v21
	v_lshlrev_b32_e32 v21, 24, v2
	v_not_b32_e32 v2, v21
	v_cmp_gt_i64_e32 vcc, 0, v[20:21]
	v_ashrrev_i32_e32 v2, 31, v2
	v_xor_b32_e32 v21, vcc_hi, v2
	v_xor_b32_e32 v2, vcc_lo, v2
	v_and_b32_e32 v3, v3, v107
	v_and_b32_e32 v2, v4, v2
	;; [unrolled: 1-line block ×3, first 2 shown]
	v_mbcnt_lo_u32_b32 v4, v2, 0
	v_mbcnt_hi_u32_b32 v107, v3, v4
	v_cmp_eq_u32_e32 vcc, 0, v107
	v_cmp_ne_u64_e64 s[36:37], 0, v[2:3]
	s_and_b64 s[38:39], s[36:37], vcc
	; wave barrier
	s_and_saveexec_b64 s[36:37], s[38:39]
	s_cbranch_execz .LBB1429_420
; %bb.419:                              ;   in Loop: Header=BB1429_400 Depth=2
	v_bcnt_u32_b32 v2, v2, 0
	v_bcnt_u32_b32 v2, v3, v2
	s_waitcnt lgkmcnt(0)
	v_add_u32_e32 v2, v105, v2
	ds_write_b32 v106, v2
.LBB1429_420:                           ;   in Loop: Header=BB1429_400 Depth=2
	s_or_b64 exec, exec, s[36:37]
	v_cmp_lt_i32_e32 vcc, -1, v5
	v_cndmask_b32_e32 v2, -1, v73, vcc
	v_xor_b32_e32 v108, v2, v5
	v_cmp_ne_u32_e32 vcc, s64, v108
	v_cndmask_b32_e32 v2, v73, v108, vcc
	v_lshrrev_b32_e32 v2, s77, v2
	v_and_b32_e32 v2, s85, v2
	v_mul_u32_u24_e32 v3, 5, v2
	v_add_lshl_u32 v3, v3, v98, 2
	; wave barrier
	v_add_u32_e32 v110, 0x410, v3
	ds_read_b32 v109, v3 offset:1040
	v_and_b32_e32 v3, 1, v2
	v_add_co_u32_e32 v4, vcc, -1, v3
	v_addc_co_u32_e64 v5, s[36:37], 0, -1, vcc
	v_cmp_ne_u32_e32 vcc, 0, v3
	v_lshlrev_b32_e32 v21, 30, v2
	v_xor_b32_e32 v3, vcc_hi, v5
	v_not_b32_e32 v5, v21
	v_xor_b32_e32 v4, vcc_lo, v4
	v_cmp_gt_i64_e32 vcc, 0, v[20:21]
	v_ashrrev_i32_e32 v5, 31, v5
	v_and_b32_e32 v3, exec_hi, v3
	v_xor_b32_e32 v21, vcc_hi, v5
	v_and_b32_e32 v4, exec_lo, v4
	v_xor_b32_e32 v5, vcc_lo, v5
	v_and_b32_e32 v3, v3, v21
	v_lshlrev_b32_e32 v21, 29, v2
	v_and_b32_e32 v4, v4, v5
	v_not_b32_e32 v5, v21
	v_cmp_gt_i64_e32 vcc, 0, v[20:21]
	v_ashrrev_i32_e32 v5, 31, v5
	v_xor_b32_e32 v21, vcc_hi, v5
	v_xor_b32_e32 v5, vcc_lo, v5
	v_and_b32_e32 v3, v3, v21
	v_lshlrev_b32_e32 v21, 28, v2
	v_and_b32_e32 v4, v4, v5
	v_not_b32_e32 v5, v21
	v_cmp_gt_i64_e32 vcc, 0, v[20:21]
	v_ashrrev_i32_e32 v5, 31, v5
	v_xor_b32_e32 v21, vcc_hi, v5
	;; [unrolled: 8-line block ×5, first 2 shown]
	v_and_b32_e32 v3, v3, v21
	v_lshlrev_b32_e32 v21, 24, v2
	v_not_b32_e32 v2, v21
	v_xor_b32_e32 v5, vcc_lo, v5
	v_cmp_gt_i64_e32 vcc, 0, v[20:21]
	v_ashrrev_i32_e32 v2, 31, v2
	v_and_b32_e32 v4, v4, v5
	v_xor_b32_e32 v5, vcc_hi, v2
	v_xor_b32_e32 v2, vcc_lo, v2
	v_and_b32_e32 v2, v4, v2
	v_and_b32_e32 v3, v3, v5
	v_mbcnt_lo_u32_b32 v4, v2, 0
	v_mbcnt_hi_u32_b32 v111, v3, v4
	v_cmp_eq_u32_e32 vcc, 0, v111
	v_cmp_ne_u64_e64 s[36:37], 0, v[2:3]
	s_and_b64 s[38:39], s[36:37], vcc
	; wave barrier
	s_and_saveexec_b64 s[36:37], s[38:39]
	s_cbranch_execz .LBB1429_422
; %bb.421:                              ;   in Loop: Header=BB1429_400 Depth=2
	v_bcnt_u32_b32 v2, v2, 0
	v_bcnt_u32_b32 v2, v3, v2
	s_waitcnt lgkmcnt(0)
	v_add_u32_e32 v2, v109, v2
	ds_write_b32 v110, v2
.LBB1429_422:                           ;   in Loop: Header=BB1429_400 Depth=2
	s_or_b64 exec, exec, s[36:37]
	v_cmp_lt_i32_e32 vcc, -1, v6
	v_cndmask_b32_e32 v2, -1, v73, vcc
	v_xor_b32_e32 v112, v2, v6
	v_cmp_ne_u32_e32 vcc, s64, v112
	v_cndmask_b32_e32 v2, v73, v112, vcc
	v_lshrrev_b32_e32 v2, s77, v2
	v_and_b32_e32 v2, s85, v2
	v_mul_u32_u24_e32 v3, 5, v2
	v_add_lshl_u32 v3, v3, v98, 2
	; wave barrier
	v_add_u32_e32 v113, 0x410, v3
	ds_read_b32 v6, v3 offset:1040
	v_and_b32_e32 v3, 1, v2
	v_add_co_u32_e32 v4, vcc, -1, v3
	v_addc_co_u32_e64 v5, s[36:37], 0, -1, vcc
	v_cmp_ne_u32_e32 vcc, 0, v3
	v_lshlrev_b32_e32 v21, 30, v2
	v_xor_b32_e32 v3, vcc_hi, v5
	v_not_b32_e32 v5, v21
	v_xor_b32_e32 v4, vcc_lo, v4
	v_cmp_gt_i64_e32 vcc, 0, v[20:21]
	v_ashrrev_i32_e32 v5, 31, v5
	v_and_b32_e32 v3, exec_hi, v3
	v_xor_b32_e32 v21, vcc_hi, v5
	v_and_b32_e32 v4, exec_lo, v4
	v_xor_b32_e32 v5, vcc_lo, v5
	v_and_b32_e32 v3, v3, v21
	v_lshlrev_b32_e32 v21, 29, v2
	v_and_b32_e32 v4, v4, v5
	v_not_b32_e32 v5, v21
	v_cmp_gt_i64_e32 vcc, 0, v[20:21]
	v_ashrrev_i32_e32 v5, 31, v5
	v_xor_b32_e32 v21, vcc_hi, v5
	v_xor_b32_e32 v5, vcc_lo, v5
	v_and_b32_e32 v3, v3, v21
	v_lshlrev_b32_e32 v21, 28, v2
	v_and_b32_e32 v4, v4, v5
	v_not_b32_e32 v5, v21
	v_cmp_gt_i64_e32 vcc, 0, v[20:21]
	v_ashrrev_i32_e32 v5, 31, v5
	v_xor_b32_e32 v21, vcc_hi, v5
	v_xor_b32_e32 v5, vcc_lo, v5
	v_and_b32_e32 v3, v3, v21
	v_lshlrev_b32_e32 v21, 27, v2
	v_and_b32_e32 v4, v4, v5
	v_not_b32_e32 v5, v21
	v_cmp_gt_i64_e32 vcc, 0, v[20:21]
	v_ashrrev_i32_e32 v5, 31, v5
	v_xor_b32_e32 v21, vcc_hi, v5
	v_xor_b32_e32 v5, vcc_lo, v5
	v_and_b32_e32 v3, v3, v21
	v_lshlrev_b32_e32 v21, 26, v2
	v_and_b32_e32 v4, v4, v5
	v_not_b32_e32 v5, v21
	v_cmp_gt_i64_e32 vcc, 0, v[20:21]
	v_ashrrev_i32_e32 v5, 31, v5
	v_xor_b32_e32 v21, vcc_hi, v5
	v_xor_b32_e32 v5, vcc_lo, v5
	v_and_b32_e32 v3, v3, v21
	v_lshlrev_b32_e32 v21, 25, v2
	v_and_b32_e32 v4, v4, v5
	v_not_b32_e32 v5, v21
	v_cmp_gt_i64_e32 vcc, 0, v[20:21]
	v_ashrrev_i32_e32 v5, 31, v5
	v_xor_b32_e32 v21, vcc_hi, v5
	v_and_b32_e32 v3, v3, v21
	v_lshlrev_b32_e32 v21, 24, v2
	v_not_b32_e32 v2, v21
	v_xor_b32_e32 v5, vcc_lo, v5
	v_cmp_gt_i64_e32 vcc, 0, v[20:21]
	v_ashrrev_i32_e32 v2, 31, v2
	v_and_b32_e32 v4, v4, v5
	v_xor_b32_e32 v5, vcc_hi, v2
	v_xor_b32_e32 v2, vcc_lo, v2
	v_and_b32_e32 v2, v4, v2
	v_and_b32_e32 v3, v3, v5
	v_mbcnt_lo_u32_b32 v4, v2, 0
	v_mbcnt_hi_u32_b32 v114, v3, v4
	v_cmp_eq_u32_e32 vcc, 0, v114
	v_cmp_ne_u64_e64 s[36:37], 0, v[2:3]
	s_and_b64 s[38:39], s[36:37], vcc
	; wave barrier
	s_and_saveexec_b64 s[36:37], s[38:39]
	s_cbranch_execz .LBB1429_424
; %bb.423:                              ;   in Loop: Header=BB1429_400 Depth=2
	v_bcnt_u32_b32 v2, v2, 0
	v_bcnt_u32_b32 v2, v3, v2
	s_waitcnt lgkmcnt(0)
	v_add_u32_e32 v2, v6, v2
	ds_write_b32 v113, v2
.LBB1429_424:                           ;   in Loop: Header=BB1429_400 Depth=2
	s_or_b64 exec, exec, s[36:37]
	v_cmp_lt_i32_e32 vcc, -1, v7
	v_cndmask_b32_e32 v2, -1, v73, vcc
	v_xor_b32_e32 v115, v2, v7
	v_cmp_ne_u32_e32 vcc, s64, v115
	v_cndmask_b32_e32 v2, v73, v115, vcc
	v_lshrrev_b32_e32 v2, s77, v2
	v_and_b32_e32 v2, s85, v2
	v_mul_u32_u24_e32 v3, 5, v2
	v_add_lshl_u32 v3, v3, v98, 2
	; wave barrier
	v_add_u32_e32 v116, 0x410, v3
	ds_read_b32 v7, v3 offset:1040
	v_and_b32_e32 v3, 1, v2
	v_add_co_u32_e32 v4, vcc, -1, v3
	v_addc_co_u32_e64 v5, s[36:37], 0, -1, vcc
	v_cmp_ne_u32_e32 vcc, 0, v3
	v_lshlrev_b32_e32 v21, 30, v2
	v_xor_b32_e32 v3, vcc_hi, v5
	v_not_b32_e32 v5, v21
	v_xor_b32_e32 v4, vcc_lo, v4
	v_cmp_gt_i64_e32 vcc, 0, v[20:21]
	v_ashrrev_i32_e32 v5, 31, v5
	v_and_b32_e32 v3, exec_hi, v3
	v_xor_b32_e32 v21, vcc_hi, v5
	v_and_b32_e32 v4, exec_lo, v4
	v_xor_b32_e32 v5, vcc_lo, v5
	v_and_b32_e32 v3, v3, v21
	v_lshlrev_b32_e32 v21, 29, v2
	v_and_b32_e32 v4, v4, v5
	v_not_b32_e32 v5, v21
	v_cmp_gt_i64_e32 vcc, 0, v[20:21]
	v_ashrrev_i32_e32 v5, 31, v5
	v_xor_b32_e32 v21, vcc_hi, v5
	v_xor_b32_e32 v5, vcc_lo, v5
	v_and_b32_e32 v3, v3, v21
	v_lshlrev_b32_e32 v21, 28, v2
	v_and_b32_e32 v4, v4, v5
	v_not_b32_e32 v5, v21
	v_cmp_gt_i64_e32 vcc, 0, v[20:21]
	v_ashrrev_i32_e32 v5, 31, v5
	v_xor_b32_e32 v21, vcc_hi, v5
	;; [unrolled: 8-line block ×5, first 2 shown]
	v_and_b32_e32 v3, v3, v21
	v_lshlrev_b32_e32 v21, 24, v2
	v_not_b32_e32 v2, v21
	v_xor_b32_e32 v5, vcc_lo, v5
	v_cmp_gt_i64_e32 vcc, 0, v[20:21]
	v_ashrrev_i32_e32 v2, 31, v2
	v_and_b32_e32 v4, v4, v5
	v_xor_b32_e32 v5, vcc_hi, v2
	v_xor_b32_e32 v2, vcc_lo, v2
	v_and_b32_e32 v2, v4, v2
	v_and_b32_e32 v3, v3, v5
	v_mbcnt_lo_u32_b32 v4, v2, 0
	v_mbcnt_hi_u32_b32 v117, v3, v4
	v_cmp_eq_u32_e32 vcc, 0, v117
	v_cmp_ne_u64_e64 s[36:37], 0, v[2:3]
	s_and_b64 s[38:39], s[36:37], vcc
	; wave barrier
	s_and_saveexec_b64 s[36:37], s[38:39]
	s_cbranch_execz .LBB1429_426
; %bb.425:                              ;   in Loop: Header=BB1429_400 Depth=2
	v_bcnt_u32_b32 v2, v2, 0
	v_bcnt_u32_b32 v2, v3, v2
	s_waitcnt lgkmcnt(0)
	v_add_u32_e32 v2, v7, v2
	ds_write_b32 v116, v2
.LBB1429_426:                           ;   in Loop: Header=BB1429_400 Depth=2
	s_or_b64 exec, exec, s[36:37]
	v_cmp_lt_i32_e32 vcc, -1, v8
	v_cndmask_b32_e32 v2, -1, v73, vcc
	v_xor_b32_e32 v118, v2, v8
	v_cmp_ne_u32_e32 vcc, s64, v118
	v_cndmask_b32_e32 v2, v73, v118, vcc
	v_lshrrev_b32_e32 v2, s77, v2
	v_and_b32_e32 v2, s85, v2
	v_mul_u32_u24_e32 v3, 5, v2
	v_add_lshl_u32 v3, v3, v98, 2
	; wave barrier
	v_add_u32_e32 v8, 0x410, v3
	ds_read_b32 v119, v3 offset:1040
	v_and_b32_e32 v3, 1, v2
	v_add_co_u32_e32 v4, vcc, -1, v3
	v_addc_co_u32_e64 v5, s[36:37], 0, -1, vcc
	v_cmp_ne_u32_e32 vcc, 0, v3
	v_lshlrev_b32_e32 v21, 30, v2
	v_xor_b32_e32 v3, vcc_hi, v5
	v_not_b32_e32 v5, v21
	v_xor_b32_e32 v4, vcc_lo, v4
	v_cmp_gt_i64_e32 vcc, 0, v[20:21]
	v_ashrrev_i32_e32 v5, 31, v5
	v_and_b32_e32 v3, exec_hi, v3
	v_xor_b32_e32 v21, vcc_hi, v5
	v_and_b32_e32 v4, exec_lo, v4
	v_xor_b32_e32 v5, vcc_lo, v5
	v_and_b32_e32 v3, v3, v21
	v_lshlrev_b32_e32 v21, 29, v2
	v_and_b32_e32 v4, v4, v5
	v_not_b32_e32 v5, v21
	v_cmp_gt_i64_e32 vcc, 0, v[20:21]
	v_ashrrev_i32_e32 v5, 31, v5
	v_xor_b32_e32 v21, vcc_hi, v5
	v_xor_b32_e32 v5, vcc_lo, v5
	v_and_b32_e32 v3, v3, v21
	v_lshlrev_b32_e32 v21, 28, v2
	v_and_b32_e32 v4, v4, v5
	v_not_b32_e32 v5, v21
	v_cmp_gt_i64_e32 vcc, 0, v[20:21]
	v_ashrrev_i32_e32 v5, 31, v5
	v_xor_b32_e32 v21, vcc_hi, v5
	;; [unrolled: 8-line block ×5, first 2 shown]
	v_and_b32_e32 v3, v3, v21
	v_lshlrev_b32_e32 v21, 24, v2
	v_not_b32_e32 v2, v21
	v_xor_b32_e32 v5, vcc_lo, v5
	v_cmp_gt_i64_e32 vcc, 0, v[20:21]
	v_ashrrev_i32_e32 v2, 31, v2
	v_and_b32_e32 v4, v4, v5
	v_xor_b32_e32 v5, vcc_hi, v2
	v_xor_b32_e32 v2, vcc_lo, v2
	v_and_b32_e32 v2, v4, v2
	v_and_b32_e32 v3, v3, v5
	v_mbcnt_lo_u32_b32 v4, v2, 0
	v_mbcnt_hi_u32_b32 v120, v3, v4
	v_cmp_eq_u32_e32 vcc, 0, v120
	v_cmp_ne_u64_e64 s[36:37], 0, v[2:3]
	s_and_b64 s[38:39], s[36:37], vcc
	; wave barrier
	s_and_saveexec_b64 s[36:37], s[38:39]
	s_cbranch_execz .LBB1429_428
; %bb.427:                              ;   in Loop: Header=BB1429_400 Depth=2
	v_bcnt_u32_b32 v2, v2, 0
	v_bcnt_u32_b32 v2, v3, v2
	s_waitcnt lgkmcnt(0)
	v_add_u32_e32 v2, v119, v2
	ds_write_b32 v8, v2
.LBB1429_428:                           ;   in Loop: Header=BB1429_400 Depth=2
	s_or_b64 exec, exec, s[36:37]
	v_cmp_lt_i32_e32 vcc, -1, v9
	v_cndmask_b32_e32 v2, -1, v73, vcc
	v_xor_b32_e32 v121, v2, v9
	v_cmp_ne_u32_e32 vcc, s64, v121
	v_cndmask_b32_e32 v2, v73, v121, vcc
	v_lshrrev_b32_e32 v2, s77, v2
	v_and_b32_e32 v2, s85, v2
	v_mul_u32_u24_e32 v3, 5, v2
	v_add_lshl_u32 v3, v3, v98, 2
	; wave barrier
	v_add_u32_e32 v9, 0x410, v3
	ds_read_b32 v122, v3 offset:1040
	v_and_b32_e32 v3, 1, v2
	v_add_co_u32_e32 v4, vcc, -1, v3
	v_addc_co_u32_e64 v5, s[36:37], 0, -1, vcc
	v_cmp_ne_u32_e32 vcc, 0, v3
	v_lshlrev_b32_e32 v21, 30, v2
	v_xor_b32_e32 v3, vcc_hi, v5
	v_not_b32_e32 v5, v21
	v_xor_b32_e32 v4, vcc_lo, v4
	v_cmp_gt_i64_e32 vcc, 0, v[20:21]
	v_ashrrev_i32_e32 v5, 31, v5
	v_and_b32_e32 v3, exec_hi, v3
	v_xor_b32_e32 v21, vcc_hi, v5
	v_and_b32_e32 v4, exec_lo, v4
	v_xor_b32_e32 v5, vcc_lo, v5
	v_and_b32_e32 v3, v3, v21
	v_lshlrev_b32_e32 v21, 29, v2
	v_and_b32_e32 v4, v4, v5
	v_not_b32_e32 v5, v21
	v_cmp_gt_i64_e32 vcc, 0, v[20:21]
	v_ashrrev_i32_e32 v5, 31, v5
	v_xor_b32_e32 v21, vcc_hi, v5
	v_xor_b32_e32 v5, vcc_lo, v5
	v_and_b32_e32 v3, v3, v21
	v_lshlrev_b32_e32 v21, 28, v2
	v_and_b32_e32 v4, v4, v5
	v_not_b32_e32 v5, v21
	v_cmp_gt_i64_e32 vcc, 0, v[20:21]
	v_ashrrev_i32_e32 v5, 31, v5
	v_xor_b32_e32 v21, vcc_hi, v5
	;; [unrolled: 8-line block ×5, first 2 shown]
	v_and_b32_e32 v3, v3, v21
	v_lshlrev_b32_e32 v21, 24, v2
	v_not_b32_e32 v2, v21
	v_xor_b32_e32 v5, vcc_lo, v5
	v_cmp_gt_i64_e32 vcc, 0, v[20:21]
	v_ashrrev_i32_e32 v2, 31, v2
	v_and_b32_e32 v4, v4, v5
	v_xor_b32_e32 v5, vcc_hi, v2
	v_xor_b32_e32 v2, vcc_lo, v2
	v_and_b32_e32 v2, v4, v2
	v_and_b32_e32 v3, v3, v5
	v_mbcnt_lo_u32_b32 v4, v2, 0
	v_mbcnt_hi_u32_b32 v123, v3, v4
	v_cmp_eq_u32_e32 vcc, 0, v123
	v_cmp_ne_u64_e64 s[36:37], 0, v[2:3]
	s_and_b64 s[38:39], s[36:37], vcc
	; wave barrier
	s_and_saveexec_b64 s[36:37], s[38:39]
	s_cbranch_execz .LBB1429_430
; %bb.429:                              ;   in Loop: Header=BB1429_400 Depth=2
	v_bcnt_u32_b32 v2, v2, 0
	v_bcnt_u32_b32 v2, v3, v2
	s_waitcnt lgkmcnt(0)
	v_add_u32_e32 v2, v122, v2
	ds_write_b32 v9, v2
.LBB1429_430:                           ;   in Loop: Header=BB1429_400 Depth=2
	s_or_b64 exec, exec, s[36:37]
	; wave barrier
	s_waitcnt lgkmcnt(0)
	s_barrier
	ds_read_b32 v21, v50 offset:1040
	ds_read2_b32 v[4:5], v52 offset0:1 offset1:2
	ds_read2_b32 v[2:3], v52 offset0:3 offset1:4
	s_waitcnt lgkmcnt(1)
	v_add3_u32 v124, v4, v21, v5
	s_waitcnt lgkmcnt(0)
	v_add3_u32 v3, v124, v2, v3
	s_nop 1
	v_mov_b32_dpp v124, v3 row_shr:1 row_mask:0xf bank_mask:0xf
	v_cndmask_b32_e64 v124, v124, 0, s[16:17]
	v_add_u32_e32 v3, v124, v3
	s_nop 1
	v_mov_b32_dpp v124, v3 row_shr:2 row_mask:0xf bank_mask:0xf
	v_cndmask_b32_e64 v124, 0, v124, s[18:19]
	v_add_u32_e32 v3, v3, v124
	;; [unrolled: 4-line block ×4, first 2 shown]
	s_nop 1
	v_mov_b32_dpp v124, v3 row_bcast:15 row_mask:0xf bank_mask:0xf
	v_cndmask_b32_e64 v124, v124, 0, s[24:25]
	v_add_u32_e32 v3, v3, v124
	s_nop 1
	v_mov_b32_dpp v124, v3 row_bcast:31 row_mask:0xf bank_mask:0xf
	v_cndmask_b32_e64 v124, 0, v124, s[26:27]
	v_add_u32_e32 v3, v3, v124
	s_and_saveexec_b64 s[36:37], s[6:7]
	s_cbranch_execz .LBB1429_432
; %bb.431:                              ;   in Loop: Header=BB1429_400 Depth=2
	ds_write_b32 v43, v3 offset:1024
.LBB1429_432:                           ;   in Loop: Header=BB1429_400 Depth=2
	s_or_b64 exec, exec, s[36:37]
	s_waitcnt lgkmcnt(0)
	s_barrier
	s_and_saveexec_b64 s[36:37], s[8:9]
	s_cbranch_execz .LBB1429_434
; %bb.433:                              ;   in Loop: Header=BB1429_400 Depth=2
	ds_read_b32 v124, v53 offset:1024
	s_waitcnt lgkmcnt(0)
	s_nop 0
	v_mov_b32_dpp v125, v124 row_shr:1 row_mask:0xf bank_mask:0xf
	v_cndmask_b32_e64 v125, v125, 0, s[30:31]
	v_add_u32_e32 v124, v125, v124
	s_nop 1
	v_mov_b32_dpp v125, v124 row_shr:2 row_mask:0xf bank_mask:0xf
	v_cndmask_b32_e64 v125, 0, v125, s[34:35]
	v_add_u32_e32 v124, v124, v125
	ds_write_b32 v53, v124 offset:1024
.LBB1429_434:                           ;   in Loop: Header=BB1429_400 Depth=2
	s_or_b64 exec, exec, s[36:37]
	v_mov_b32_e32 v124, 0
	s_waitcnt lgkmcnt(0)
	s_barrier
	s_and_saveexec_b64 s[36:37], s[10:11]
	s_cbranch_execz .LBB1429_436
; %bb.435:                              ;   in Loop: Header=BB1429_400 Depth=2
	ds_read_b32 v124, v43 offset:1020
.LBB1429_436:                           ;   in Loop: Header=BB1429_400 Depth=2
	s_or_b64 exec, exec, s[36:37]
	s_waitcnt lgkmcnt(0)
	v_add_u32_e32 v3, v124, v3
	ds_bpermute_b32 v3, v75, v3
	s_waitcnt lgkmcnt(0)
	v_cndmask_b32_e64 v3, v3, v124, s[28:29]
	v_cndmask_b32_e64 v3, v3, 0, s[12:13]
	v_add_u32_e32 v21, v3, v21
	ds_write_b32 v50, v3 offset:1040
	v_add_u32_e32 v3, v21, v4
	v_add_u32_e32 v4, v3, v5
	;; [unrolled: 1-line block ×3, first 2 shown]
	ds_write2_b32 v52, v21, v3 offset0:1 offset1:2
	ds_write2_b32 v52, v4, v2 offset0:3 offset1:4
	s_waitcnt lgkmcnt(0)
	s_barrier
	ds_read_b32 v2, v102
	ds_read_b32 v3, v106
	;; [unrolled: 1-line block ×8, first 2 shown]
	ds_read_b32 v9, v50 offset:1040
	v_mov_b32_e32 v4, 0x800
	s_and_saveexec_b64 s[36:37], s[14:15]
	s_cbranch_execz .LBB1429_438
; %bb.437:                              ;   in Loop: Header=BB1429_400 Depth=2
	ds_read_b32 v4, v50 offset:1060
.LBB1429_438:                           ;   in Loop: Header=BB1429_400 Depth=2
	s_or_b64 exec, exec, s[36:37]
	s_waitcnt lgkmcnt(0)
	s_barrier
	s_and_saveexec_b64 s[36:37], s[4:5]
	s_cbranch_execz .LBB1429_440
; %bb.439:                              ;   in Loop: Header=BB1429_400 Depth=2
	ds_read_b32 v21, v19
	s_waitcnt lgkmcnt(0)
	v_sub_u32_e32 v9, v21, v9
	ds_write_b32 v19, v9
.LBB1429_440:                           ;   in Loop: Header=BB1429_400 Depth=2
	s_or_b64 exec, exec, s[36:37]
	v_add_u32_e32 v100, v8, v101
	v_add3_u32 v39, v103, v39, v2
	v_lshlrev_b32_e32 v2, 2, v100
	v_add3_u32 v21, v107, v105, v3
	ds_write_b32 v2, v99 offset:1024
	v_lshlrev_b32_e32 v2, 2, v39
	v_add3_u32 v9, v111, v109, v5
	ds_write_b32 v2, v38 offset:1024
	;; [unrolled: 3-line block ×6, first 2 shown]
	v_lshlrev_b32_e32 v2, 2, v6
	ds_write_b32 v2, v118 offset:1024
	v_lshlrev_b32_e32 v2, 2, v5
	v_cmp_lt_u32_e32 vcc, v18, v0
	ds_write_b32 v2, v121 offset:1024
	s_waitcnt lgkmcnt(0)
	s_barrier
	s_and_saveexec_b64 s[38:39], vcc
	s_cbranch_execz .LBB1429_448
; %bb.441:                              ;   in Loop: Header=BB1429_400 Depth=2
	ds_read_b32 v2, v53 offset:1024
	v_mov_b32_e32 v3, v20
	v_mov_b32_e32 v99, s59
	s_waitcnt lgkmcnt(0)
	v_cmp_ne_u32_e64 s[36:37], s64, v2
	v_cndmask_b32_e64 v38, v73, v2, s[36:37]
	v_lshrrev_b32_e32 v38, s77, v38
	v_and_b32_e32 v38, s85, v38
	v_lshlrev_b32_e32 v38, 2, v38
	ds_read_b32 v38, v38
	v_cmp_lt_i32_e64 s[36:37], -1, v2
	v_cndmask_b32_e64 v101, v73, -1, s[36:37]
	v_xor_b32_e32 v101, v101, v2
	s_waitcnt lgkmcnt(0)
	v_add_u32_e32 v2, v38, v18
	v_lshlrev_b64 v[2:3], 2, v[2:3]
	v_add_co_u32_e64 v2, s[36:37], s58, v2
	v_addc_co_u32_e64 v3, s[36:37], v99, v3, s[36:37]
	global_store_dword v[2:3], v101, off
	s_or_b64 exec, exec, s[38:39]
	v_cmp_lt_u32_e64 s[36:37], v23, v0
	s_and_saveexec_b64 s[40:41], s[36:37]
	s_cbranch_execnz .LBB1429_449
.LBB1429_442:                           ;   in Loop: Header=BB1429_400 Depth=2
	s_or_b64 exec, exec, s[40:41]
	v_cmp_lt_u32_e64 s[38:39], v25, v0
	s_and_saveexec_b64 s[42:43], s[38:39]
	s_cbranch_execz .LBB1429_450
.LBB1429_443:                           ;   in Loop: Header=BB1429_400 Depth=2
	ds_read_b32 v2, v58 offset:2048
	v_mov_b32_e32 v3, v20
	v_mov_b32_e32 v99, s59
	s_waitcnt lgkmcnt(0)
	v_cmp_ne_u32_e64 s[40:41], s64, v2
	v_cndmask_b32_e64 v38, v73, v2, s[40:41]
	v_lshrrev_b32_e32 v38, s77, v38
	v_and_b32_e32 v38, s85, v38
	v_lshlrev_b32_e32 v38, 2, v38
	ds_read_b32 v38, v38
	v_cmp_lt_i32_e64 s[40:41], -1, v2
	v_cndmask_b32_e64 v101, v73, -1, s[40:41]
	v_xor_b32_e32 v101, v101, v2
	s_waitcnt lgkmcnt(0)
	v_add_u32_e32 v2, v38, v25
	v_lshlrev_b64 v[2:3], 2, v[2:3]
	v_add_co_u32_e64 v2, s[40:41], s58, v2
	v_addc_co_u32_e64 v3, s[40:41], v99, v3, s[40:41]
	global_store_dword v[2:3], v101, off
	s_or_b64 exec, exec, s[42:43]
	v_cmp_lt_u32_e64 s[40:41], v27, v0
	s_and_saveexec_b64 s[44:45], s[40:41]
	s_cbranch_execnz .LBB1429_451
.LBB1429_444:                           ;   in Loop: Header=BB1429_400 Depth=2
	s_or_b64 exec, exec, s[44:45]
	v_cmp_lt_u32_e64 s[42:43], v22, v0
	s_and_saveexec_b64 s[46:47], s[42:43]
	s_cbranch_execz .LBB1429_452
.LBB1429_445:                           ;   in Loop: Header=BB1429_400 Depth=2
	ds_read_b32 v2, v58 offset:4096
	v_mov_b32_e32 v3, v20
	v_mov_b32_e32 v99, s59
	s_waitcnt lgkmcnt(0)
	v_cmp_ne_u32_e64 s[44:45], s64, v2
	v_cndmask_b32_e64 v38, v73, v2, s[44:45]
	v_lshrrev_b32_e32 v38, s77, v38
	v_and_b32_e32 v38, s85, v38
	v_lshlrev_b32_e32 v38, 2, v38
	ds_read_b32 v38, v38
	v_cmp_lt_i32_e64 s[44:45], -1, v2
	v_cndmask_b32_e64 v101, v73, -1, s[44:45]
	v_xor_b32_e32 v101, v101, v2
	s_waitcnt lgkmcnt(0)
	v_add_u32_e32 v2, v38, v22
	v_lshlrev_b64 v[2:3], 2, v[2:3]
	v_add_co_u32_e64 v2, s[44:45], s58, v2
	v_addc_co_u32_e64 v3, s[44:45], v99, v3, s[44:45]
	global_store_dword v[2:3], v101, off
	s_or_b64 exec, exec, s[46:47]
	v_cmp_lt_u32_e64 s[44:45], v24, v0
	s_and_saveexec_b64 s[48:49], s[44:45]
	s_cbranch_execnz .LBB1429_453
.LBB1429_446:                           ;   in Loop: Header=BB1429_400 Depth=2
	s_or_b64 exec, exec, s[48:49]
	v_cmp_lt_u32_e64 s[46:47], v26, v0
	s_and_saveexec_b64 s[52:53], s[46:47]
	s_cbranch_execz .LBB1429_454
.LBB1429_447:                           ;   in Loop: Header=BB1429_400 Depth=2
	ds_read_b32 v2, v58 offset:6144
	v_mov_b32_e32 v3, v20
	v_mov_b32_e32 v99, s59
	s_waitcnt lgkmcnt(0)
	v_cmp_ne_u32_e64 s[48:49], s64, v2
	v_cndmask_b32_e64 v38, v73, v2, s[48:49]
	v_lshrrev_b32_e32 v38, s77, v38
	v_and_b32_e32 v38, s85, v38
	v_lshlrev_b32_e32 v38, 2, v38
	ds_read_b32 v38, v38
	v_cmp_lt_i32_e64 s[48:49], -1, v2
	v_cndmask_b32_e64 v101, v73, -1, s[48:49]
	v_xor_b32_e32 v101, v101, v2
	s_waitcnt lgkmcnt(0)
	v_add_u32_e32 v2, v38, v26
	v_lshlrev_b64 v[2:3], 2, v[2:3]
	v_add_co_u32_e64 v2, s[48:49], s58, v2
	v_addc_co_u32_e64 v3, s[48:49], v99, v3, s[48:49]
	global_store_dword v[2:3], v101, off
	s_or_b64 exec, exec, s[52:53]
	v_cmp_lt_u32_e64 s[48:49], v28, v0
	s_and_saveexec_b64 s[62:63], s[48:49]
	s_cbranch_execnz .LBB1429_455
	s_branch .LBB1429_456
.LBB1429_448:                           ;   in Loop: Header=BB1429_400 Depth=2
	s_or_b64 exec, exec, s[38:39]
	v_cmp_lt_u32_e64 s[36:37], v23, v0
	s_and_saveexec_b64 s[40:41], s[36:37]
	s_cbranch_execz .LBB1429_442
.LBB1429_449:                           ;   in Loop: Header=BB1429_400 Depth=2
	ds_read_b32 v2, v58 offset:1024
	v_mov_b32_e32 v3, v20
	v_mov_b32_e32 v99, s59
	s_waitcnt lgkmcnt(0)
	v_cmp_ne_u32_e64 s[38:39], s64, v2
	v_cndmask_b32_e64 v38, v73, v2, s[38:39]
	v_lshrrev_b32_e32 v38, s77, v38
	v_and_b32_e32 v38, s85, v38
	v_lshlrev_b32_e32 v38, 2, v38
	ds_read_b32 v38, v38
	v_cmp_lt_i32_e64 s[38:39], -1, v2
	v_cndmask_b32_e64 v101, v73, -1, s[38:39]
	v_xor_b32_e32 v101, v101, v2
	s_waitcnt lgkmcnt(0)
	v_add_u32_e32 v2, v38, v23
	v_lshlrev_b64 v[2:3], 2, v[2:3]
	v_add_co_u32_e64 v2, s[38:39], s58, v2
	v_addc_co_u32_e64 v3, s[38:39], v99, v3, s[38:39]
	global_store_dword v[2:3], v101, off
	s_or_b64 exec, exec, s[40:41]
	v_cmp_lt_u32_e64 s[38:39], v25, v0
	s_and_saveexec_b64 s[42:43], s[38:39]
	s_cbranch_execnz .LBB1429_443
.LBB1429_450:                           ;   in Loop: Header=BB1429_400 Depth=2
	s_or_b64 exec, exec, s[42:43]
	v_cmp_lt_u32_e64 s[40:41], v27, v0
	s_and_saveexec_b64 s[44:45], s[40:41]
	s_cbranch_execz .LBB1429_444
.LBB1429_451:                           ;   in Loop: Header=BB1429_400 Depth=2
	ds_read_b32 v2, v58 offset:3072
	v_mov_b32_e32 v3, v20
	v_mov_b32_e32 v99, s59
	s_waitcnt lgkmcnt(0)
	v_cmp_ne_u32_e64 s[42:43], s64, v2
	v_cndmask_b32_e64 v38, v73, v2, s[42:43]
	v_lshrrev_b32_e32 v38, s77, v38
	v_and_b32_e32 v38, s85, v38
	v_lshlrev_b32_e32 v38, 2, v38
	ds_read_b32 v38, v38
	v_cmp_lt_i32_e64 s[42:43], -1, v2
	v_cndmask_b32_e64 v101, v73, -1, s[42:43]
	v_xor_b32_e32 v101, v101, v2
	s_waitcnt lgkmcnt(0)
	v_add_u32_e32 v2, v38, v27
	v_lshlrev_b64 v[2:3], 2, v[2:3]
	v_add_co_u32_e64 v2, s[42:43], s58, v2
	v_addc_co_u32_e64 v3, s[42:43], v99, v3, s[42:43]
	global_store_dword v[2:3], v101, off
	s_or_b64 exec, exec, s[44:45]
	v_cmp_lt_u32_e64 s[42:43], v22, v0
	s_and_saveexec_b64 s[46:47], s[42:43]
	s_cbranch_execnz .LBB1429_445
.LBB1429_452:                           ;   in Loop: Header=BB1429_400 Depth=2
	s_or_b64 exec, exec, s[46:47]
	v_cmp_lt_u32_e64 s[44:45], v24, v0
	s_and_saveexec_b64 s[48:49], s[44:45]
	s_cbranch_execz .LBB1429_446
.LBB1429_453:                           ;   in Loop: Header=BB1429_400 Depth=2
	ds_read_b32 v2, v58 offset:5120
	v_mov_b32_e32 v3, v20
	v_mov_b32_e32 v99, s59
	s_waitcnt lgkmcnt(0)
	v_cmp_ne_u32_e64 s[46:47], s64, v2
	v_cndmask_b32_e64 v38, v73, v2, s[46:47]
	v_lshrrev_b32_e32 v38, s77, v38
	v_and_b32_e32 v38, s85, v38
	v_lshlrev_b32_e32 v38, 2, v38
	ds_read_b32 v38, v38
	v_cmp_lt_i32_e64 s[46:47], -1, v2
	v_cndmask_b32_e64 v101, v73, -1, s[46:47]
	v_xor_b32_e32 v101, v101, v2
	s_waitcnt lgkmcnt(0)
	v_add_u32_e32 v2, v38, v24
	v_lshlrev_b64 v[2:3], 2, v[2:3]
	v_add_co_u32_e64 v2, s[46:47], s58, v2
	v_addc_co_u32_e64 v3, s[46:47], v99, v3, s[46:47]
	global_store_dword v[2:3], v101, off
	s_or_b64 exec, exec, s[48:49]
	v_cmp_lt_u32_e64 s[46:47], v26, v0
	s_and_saveexec_b64 s[52:53], s[46:47]
	s_cbranch_execnz .LBB1429_447
.LBB1429_454:                           ;   in Loop: Header=BB1429_400 Depth=2
	s_or_b64 exec, exec, s[52:53]
	v_cmp_lt_u32_e64 s[48:49], v28, v0
	s_and_saveexec_b64 s[62:63], s[48:49]
	s_cbranch_execz .LBB1429_456
.LBB1429_455:                           ;   in Loop: Header=BB1429_400 Depth=2
	ds_read_b32 v2, v58 offset:7168
	v_mov_b32_e32 v3, v20
	v_mov_b32_e32 v99, s59
	s_waitcnt lgkmcnt(0)
	v_cmp_ne_u32_e64 s[52:53], s64, v2
	v_cndmask_b32_e64 v38, v73, v2, s[52:53]
	v_lshrrev_b32_e32 v38, s77, v38
	v_and_b32_e32 v38, s85, v38
	v_lshlrev_b32_e32 v38, 2, v38
	ds_read_b32 v38, v38
	v_cmp_lt_i32_e64 s[52:53], -1, v2
	v_cndmask_b32_e64 v101, v73, -1, s[52:53]
	v_xor_b32_e32 v101, v101, v2
	s_waitcnt lgkmcnt(0)
	v_add_u32_e32 v2, v38, v28
	v_lshlrev_b64 v[2:3], 2, v[2:3]
	v_add_co_u32_e64 v2, s[52:53], s58, v2
	v_addc_co_u32_e64 v3, s[52:53], v99, v3, s[52:53]
	global_store_dword v[2:3], v101, off
.LBB1429_456:                           ;   in Loop: Header=BB1429_400 Depth=2
	s_or_b64 exec, exec, s[62:63]
	s_lshl_b64 s[52:53], s[80:81], 3
	v_mov_b32_e32 v3, s53
	v_add_co_u32_e64 v2, s[52:53], s52, v83
	v_addc_co_u32_e64 v3, s[52:53], v85, v3, s[52:53]
	v_cmp_lt_u32_e64 s[52:53], v80, v0
	s_and_saveexec_b64 s[62:63], s[52:53]
	s_xor_b64 s[52:53], exec, s[62:63]
	s_cbranch_execz .LBB1429_472
; %bb.457:                              ;   in Loop: Header=BB1429_400 Depth=2
	global_load_dwordx2 v[36:37], v[2:3], off
	s_or_b64 exec, exec, s[52:53]
	v_cmp_lt_u32_e64 s[52:53], v87, v0
	s_and_saveexec_b64 s[62:63], s[52:53]
	s_cbranch_execnz .LBB1429_473
.LBB1429_458:                           ;   in Loop: Header=BB1429_400 Depth=2
	s_or_b64 exec, exec, s[62:63]
	v_cmp_lt_u32_e64 s[52:53], v88, v0
	s_and_saveexec_b64 s[62:63], s[52:53]
	s_cbranch_execz .LBB1429_474
.LBB1429_459:                           ;   in Loop: Header=BB1429_400 Depth=2
	global_load_dwordx2 v[32:33], v[2:3], off offset:1024
	s_or_b64 exec, exec, s[62:63]
	v_cmp_lt_u32_e64 s[52:53], v89, v0
	s_and_saveexec_b64 s[62:63], s[52:53]
	s_cbranch_execnz .LBB1429_475
.LBB1429_460:                           ;   in Loop: Header=BB1429_400 Depth=2
	s_or_b64 exec, exec, s[62:63]
	v_cmp_lt_u32_e64 s[52:53], v90, v0
	s_and_saveexec_b64 s[62:63], s[52:53]
	s_cbranch_execz .LBB1429_476
.LBB1429_461:                           ;   in Loop: Header=BB1429_400 Depth=2
	global_load_dwordx2 v[16:17], v[2:3], off offset:2048
	s_or_b64 exec, exec, s[62:63]
	v_cmp_lt_u32_e64 s[52:53], v91, v0
	s_and_saveexec_b64 s[62:63], s[52:53]
	s_cbranch_execnz .LBB1429_477
.LBB1429_462:                           ;   in Loop: Header=BB1429_400 Depth=2
	s_or_b64 exec, exec, s[62:63]
	v_cmp_lt_u32_e64 s[52:53], v92, v0
	s_and_saveexec_b64 s[62:63], s[52:53]
	s_cbranch_execz .LBB1429_478
.LBB1429_463:                           ;   in Loop: Header=BB1429_400 Depth=2
	global_load_dwordx2 v[12:13], v[2:3], off offset:3072
	s_or_b64 exec, exec, s[62:63]
	v_cmp_lt_u32_e64 s[52:53], v93, v0
	s_and_saveexec_b64 s[62:63], s[52:53]
	s_cbranch_execnz .LBB1429_479
.LBB1429_464:                           ;   in Loop: Header=BB1429_400 Depth=2
	s_or_b64 exec, exec, s[62:63]
	s_and_saveexec_b64 s[62:63], vcc
	s_cbranch_execz .LBB1429_480
.LBB1429_465:                           ;   in Loop: Header=BB1429_400 Depth=2
	ds_read_b32 v0, v53 offset:1024
	s_waitcnt lgkmcnt(0)
	v_cmp_ne_u32_e64 s[52:53], s64, v0
	v_cndmask_b32_e64 v0, v73, v0, s[52:53]
	v_lshrrev_b32_e32 v0, s77, v0
	v_and_b32_e32 v86, s85, v0
	s_or_b64 exec, exec, s[62:63]
	s_and_saveexec_b64 s[62:63], s[36:37]
	s_cbranch_execnz .LBB1429_481
.LBB1429_466:                           ;   in Loop: Header=BB1429_400 Depth=2
	s_or_b64 exec, exec, s[62:63]
	s_and_saveexec_b64 s[62:63], s[38:39]
	s_cbranch_execz .LBB1429_482
.LBB1429_467:                           ;   in Loop: Header=BB1429_400 Depth=2
	ds_read_b32 v0, v58 offset:2048
	s_waitcnt lgkmcnt(0)
	v_cmp_ne_u32_e64 s[52:53], s64, v0
	v_cndmask_b32_e64 v0, v73, v0, s[52:53]
	v_lshrrev_b32_e32 v0, s77, v0
	v_and_b32_e32 v82, s85, v0
	s_or_b64 exec, exec, s[62:63]
	s_and_saveexec_b64 s[62:63], s[40:41]
	s_cbranch_execnz .LBB1429_483
.LBB1429_468:                           ;   in Loop: Header=BB1429_400 Depth=2
	s_or_b64 exec, exec, s[62:63]
	s_and_saveexec_b64 s[62:63], s[42:43]
	s_cbranch_execz .LBB1429_484
.LBB1429_469:                           ;   in Loop: Header=BB1429_400 Depth=2
	ds_read_b32 v0, v58 offset:4096
	s_waitcnt lgkmcnt(0)
	v_cmp_ne_u32_e64 s[52:53], s64, v0
	v_cndmask_b32_e64 v0, v73, v0, s[52:53]
	v_lshrrev_b32_e32 v0, s77, v0
	v_and_b32_e32 v79, s85, v0
	s_or_b64 exec, exec, s[62:63]
	s_and_saveexec_b64 s[62:63], s[44:45]
	s_cbranch_execnz .LBB1429_485
.LBB1429_470:                           ;   in Loop: Header=BB1429_400 Depth=2
	s_or_b64 exec, exec, s[62:63]
	s_and_saveexec_b64 s[62:63], s[46:47]
	s_cbranch_execz .LBB1429_486
.LBB1429_471:                           ;   in Loop: Header=BB1429_400 Depth=2
	ds_read_b32 v0, v58 offset:6144
	s_waitcnt lgkmcnt(0)
	v_cmp_ne_u32_e64 s[52:53], s64, v0
	v_cndmask_b32_e64 v0, v73, v0, s[52:53]
	v_lshrrev_b32_e32 v0, s77, v0
	v_and_b32_e32 v77, s85, v0
	s_or_b64 exec, exec, s[62:63]
	s_and_saveexec_b64 s[62:63], s[48:49]
	s_cbranch_execnz .LBB1429_487
	s_branch .LBB1429_488
.LBB1429_472:                           ;   in Loop: Header=BB1429_400 Depth=2
	s_or_b64 exec, exec, s[52:53]
	v_cmp_lt_u32_e64 s[52:53], v87, v0
	s_and_saveexec_b64 s[62:63], s[52:53]
	s_cbranch_execz .LBB1429_458
.LBB1429_473:                           ;   in Loop: Header=BB1429_400 Depth=2
	global_load_dwordx2 v[34:35], v[2:3], off offset:512
	s_or_b64 exec, exec, s[62:63]
	v_cmp_lt_u32_e64 s[52:53], v88, v0
	s_and_saveexec_b64 s[62:63], s[52:53]
	s_cbranch_execnz .LBB1429_459
.LBB1429_474:                           ;   in Loop: Header=BB1429_400 Depth=2
	s_or_b64 exec, exec, s[62:63]
	v_cmp_lt_u32_e64 s[52:53], v89, v0
	s_and_saveexec_b64 s[62:63], s[52:53]
	s_cbranch_execz .LBB1429_460
.LBB1429_475:                           ;   in Loop: Header=BB1429_400 Depth=2
	global_load_dwordx2 v[30:31], v[2:3], off offset:1536
	s_or_b64 exec, exec, s[62:63]
	v_cmp_lt_u32_e64 s[52:53], v90, v0
	s_and_saveexec_b64 s[62:63], s[52:53]
	s_cbranch_execnz .LBB1429_461
.LBB1429_476:                           ;   in Loop: Header=BB1429_400 Depth=2
	s_or_b64 exec, exec, s[62:63]
	v_cmp_lt_u32_e64 s[52:53], v91, v0
	s_and_saveexec_b64 s[62:63], s[52:53]
	s_cbranch_execz .LBB1429_462
.LBB1429_477:                           ;   in Loop: Header=BB1429_400 Depth=2
	global_load_dwordx2 v[14:15], v[2:3], off offset:2560
	s_or_b64 exec, exec, s[62:63]
	v_cmp_lt_u32_e64 s[52:53], v92, v0
	s_and_saveexec_b64 s[62:63], s[52:53]
	s_cbranch_execnz .LBB1429_463
.LBB1429_478:                           ;   in Loop: Header=BB1429_400 Depth=2
	s_or_b64 exec, exec, s[62:63]
	v_cmp_lt_u32_e64 s[52:53], v93, v0
	s_and_saveexec_b64 s[62:63], s[52:53]
	s_cbranch_execz .LBB1429_464
.LBB1429_479:                           ;   in Loop: Header=BB1429_400 Depth=2
	global_load_dwordx2 v[10:11], v[2:3], off offset:3584
	s_or_b64 exec, exec, s[62:63]
	s_and_saveexec_b64 s[62:63], vcc
	s_cbranch_execnz .LBB1429_465
.LBB1429_480:                           ;   in Loop: Header=BB1429_400 Depth=2
	s_or_b64 exec, exec, s[62:63]
	s_and_saveexec_b64 s[62:63], s[36:37]
	s_cbranch_execz .LBB1429_466
.LBB1429_481:                           ;   in Loop: Header=BB1429_400 Depth=2
	ds_read_b32 v0, v58 offset:1024
	s_waitcnt lgkmcnt(0)
	v_cmp_ne_u32_e64 s[52:53], s64, v0
	v_cndmask_b32_e64 v0, v73, v0, s[52:53]
	v_lshrrev_b32_e32 v0, s77, v0
	v_and_b32_e32 v84, s85, v0
	s_or_b64 exec, exec, s[62:63]
	s_and_saveexec_b64 s[62:63], s[38:39]
	s_cbranch_execnz .LBB1429_467
.LBB1429_482:                           ;   in Loop: Header=BB1429_400 Depth=2
	s_or_b64 exec, exec, s[62:63]
	s_and_saveexec_b64 s[62:63], s[40:41]
	s_cbranch_execz .LBB1429_468
.LBB1429_483:                           ;   in Loop: Header=BB1429_400 Depth=2
	ds_read_b32 v0, v58 offset:3072
	s_waitcnt lgkmcnt(0)
	v_cmp_ne_u32_e64 s[52:53], s64, v0
	v_cndmask_b32_e64 v0, v73, v0, s[52:53]
	v_lshrrev_b32_e32 v0, s77, v0
	v_and_b32_e32 v81, s85, v0
	s_or_b64 exec, exec, s[62:63]
	s_and_saveexec_b64 s[62:63], s[42:43]
	s_cbranch_execnz .LBB1429_469
.LBB1429_484:                           ;   in Loop: Header=BB1429_400 Depth=2
	s_or_b64 exec, exec, s[62:63]
	s_and_saveexec_b64 s[62:63], s[44:45]
	s_cbranch_execz .LBB1429_470
.LBB1429_485:                           ;   in Loop: Header=BB1429_400 Depth=2
	ds_read_b32 v0, v58 offset:5120
	s_waitcnt lgkmcnt(0)
	v_cmp_ne_u32_e64 s[52:53], s64, v0
	v_cndmask_b32_e64 v0, v73, v0, s[52:53]
	v_lshrrev_b32_e32 v0, s77, v0
	v_and_b32_e32 v78, s85, v0
	s_or_b64 exec, exec, s[62:63]
	s_and_saveexec_b64 s[62:63], s[46:47]
	s_cbranch_execnz .LBB1429_471
.LBB1429_486:                           ;   in Loop: Header=BB1429_400 Depth=2
	s_or_b64 exec, exec, s[62:63]
	s_and_saveexec_b64 s[62:63], s[48:49]
	s_cbranch_execz .LBB1429_488
.LBB1429_487:                           ;   in Loop: Header=BB1429_400 Depth=2
	ds_read_b32 v0, v58 offset:7168
	s_waitcnt lgkmcnt(0)
	v_cmp_ne_u32_e64 s[52:53], s64, v0
	v_cndmask_b32_e64 v0, v73, v0, s[52:53]
	v_lshrrev_b32_e32 v0, s77, v0
	v_and_b32_e32 v76, s85, v0
.LBB1429_488:                           ;   in Loop: Header=BB1429_400 Depth=2
	s_or_b64 exec, exec, s[62:63]
	v_lshlrev_b32_e32 v0, 3, v100
	s_barrier
	s_waitcnt vmcnt(0)
	ds_write_b64 v0, v[36:37] offset:1024
	v_lshlrev_b32_e32 v0, 3, v39
	ds_write_b64 v0, v[34:35] offset:1024
	v_lshlrev_b32_e32 v0, 3, v21
	ds_write_b64 v0, v[32:33] offset:1024
	v_lshlrev_b32_e32 v0, 3, v9
	ds_write_b64 v0, v[30:31] offset:1024
	v_lshlrev_b32_e32 v0, 3, v8
	ds_write_b64 v0, v[16:17] offset:1024
	v_lshlrev_b32_e32 v0, 3, v7
	ds_write_b64 v0, v[14:15] offset:1024
	v_lshlrev_b32_e32 v0, 3, v6
	ds_write_b64 v0, v[12:13] offset:1024
	v_lshlrev_b32_e32 v0, 3, v5
	ds_write_b64 v0, v[10:11] offset:1024
	s_waitcnt lgkmcnt(0)
	s_barrier
	s_and_saveexec_b64 s[52:53], vcc
	s_cbranch_execz .LBB1429_496
; %bb.489:                              ;   in Loop: Header=BB1429_400 Depth=2
	v_lshlrev_b32_e32 v0, 2, v86
	ds_read_b32 v0, v0
	v_add_u32_e32 v2, v53, v19
	ds_read_b64 v[2:3], v2 offset:1024
	v_mov_b32_e32 v7, v20
	v_mov_b32_e32 v5, s73
	s_waitcnt lgkmcnt(1)
	v_add_u32_e32 v6, v0, v18
	v_lshlrev_b64 v[6:7], 3, v[6:7]
	v_add_co_u32_e32 v6, vcc, s72, v6
	v_addc_co_u32_e32 v7, vcc, v5, v7, vcc
	s_waitcnt lgkmcnt(0)
	global_store_dwordx2 v[6:7], v[2:3], off
	s_or_b64 exec, exec, s[52:53]
	s_and_saveexec_b64 s[52:53], s[36:37]
	s_cbranch_execnz .LBB1429_497
.LBB1429_490:                           ;   in Loop: Header=BB1429_400 Depth=2
	s_or_b64 exec, exec, s[52:53]
	s_and_saveexec_b64 s[36:37], s[38:39]
	s_cbranch_execz .LBB1429_498
.LBB1429_491:                           ;   in Loop: Header=BB1429_400 Depth=2
	v_lshlrev_b32_e32 v0, 2, v82
	ds_read_b32 v0, v0
	v_add_u32_e32 v2, v58, v19
	ds_read_b64 v[2:3], v2 offset:4096
	v_mov_b32_e32 v7, v20
	v_mov_b32_e32 v5, s73
	s_waitcnt lgkmcnt(1)
	v_add_u32_e32 v6, v0, v25
	v_lshlrev_b64 v[6:7], 3, v[6:7]
	v_add_co_u32_e32 v6, vcc, s72, v6
	v_addc_co_u32_e32 v7, vcc, v5, v7, vcc
	s_waitcnt lgkmcnt(0)
	global_store_dwordx2 v[6:7], v[2:3], off
	s_or_b64 exec, exec, s[36:37]
	s_and_saveexec_b64 s[36:37], s[40:41]
	s_cbranch_execnz .LBB1429_499
.LBB1429_492:                           ;   in Loop: Header=BB1429_400 Depth=2
	s_or_b64 exec, exec, s[36:37]
	s_and_saveexec_b64 s[36:37], s[42:43]
	s_cbranch_execz .LBB1429_500
.LBB1429_493:                           ;   in Loop: Header=BB1429_400 Depth=2
	v_lshlrev_b32_e32 v0, 2, v79
	ds_read_b32 v0, v0
	v_add_u32_e32 v2, v58, v19
	ds_read_b64 v[2:3], v2 offset:8192
	v_mov_b32_e32 v7, v20
	v_mov_b32_e32 v5, s73
	s_waitcnt lgkmcnt(1)
	v_add_u32_e32 v6, v0, v22
	v_lshlrev_b64 v[6:7], 3, v[6:7]
	v_add_co_u32_e32 v6, vcc, s72, v6
	v_addc_co_u32_e32 v7, vcc, v5, v7, vcc
	s_waitcnt lgkmcnt(0)
	global_store_dwordx2 v[6:7], v[2:3], off
	s_or_b64 exec, exec, s[36:37]
	s_and_saveexec_b64 s[36:37], s[44:45]
	s_cbranch_execnz .LBB1429_501
.LBB1429_494:                           ;   in Loop: Header=BB1429_400 Depth=2
	s_or_b64 exec, exec, s[36:37]
	s_and_saveexec_b64 s[36:37], s[46:47]
	s_cbranch_execz .LBB1429_502
.LBB1429_495:                           ;   in Loop: Header=BB1429_400 Depth=2
	v_lshlrev_b32_e32 v0, 2, v77
	ds_read_b32 v0, v0
	v_add_u32_e32 v2, v58, v19
	ds_read_b64 v[2:3], v2 offset:12288
	v_mov_b32_e32 v7, v20
	v_mov_b32_e32 v5, s73
	s_waitcnt lgkmcnt(1)
	v_add_u32_e32 v6, v0, v26
	v_lshlrev_b64 v[6:7], 3, v[6:7]
	v_add_co_u32_e32 v6, vcc, s72, v6
	v_addc_co_u32_e32 v7, vcc, v5, v7, vcc
	s_waitcnt lgkmcnt(0)
	global_store_dwordx2 v[6:7], v[2:3], off
	s_or_b64 exec, exec, s[36:37]
	s_and_saveexec_b64 s[36:37], s[48:49]
	s_cbranch_execnz .LBB1429_503
	s_branch .LBB1429_504
.LBB1429_496:                           ;   in Loop: Header=BB1429_400 Depth=2
	s_or_b64 exec, exec, s[52:53]
	s_and_saveexec_b64 s[52:53], s[36:37]
	s_cbranch_execz .LBB1429_490
.LBB1429_497:                           ;   in Loop: Header=BB1429_400 Depth=2
	v_lshlrev_b32_e32 v0, 2, v84
	ds_read_b32 v0, v0
	v_add_u32_e32 v2, v58, v19
	ds_read_b64 v[2:3], v2 offset:2048
	v_mov_b32_e32 v7, v20
	v_mov_b32_e32 v5, s73
	s_waitcnt lgkmcnt(1)
	v_add_u32_e32 v6, v0, v23
	v_lshlrev_b64 v[6:7], 3, v[6:7]
	v_add_co_u32_e32 v6, vcc, s72, v6
	v_addc_co_u32_e32 v7, vcc, v5, v7, vcc
	s_waitcnt lgkmcnt(0)
	global_store_dwordx2 v[6:7], v[2:3], off
	s_or_b64 exec, exec, s[52:53]
	s_and_saveexec_b64 s[36:37], s[38:39]
	s_cbranch_execnz .LBB1429_491
.LBB1429_498:                           ;   in Loop: Header=BB1429_400 Depth=2
	s_or_b64 exec, exec, s[36:37]
	s_and_saveexec_b64 s[36:37], s[40:41]
	s_cbranch_execz .LBB1429_492
.LBB1429_499:                           ;   in Loop: Header=BB1429_400 Depth=2
	v_lshlrev_b32_e32 v0, 2, v81
	ds_read_b32 v0, v0
	v_add_u32_e32 v2, v58, v19
	ds_read_b64 v[2:3], v2 offset:6144
	v_mov_b32_e32 v7, v20
	v_mov_b32_e32 v5, s73
	s_waitcnt lgkmcnt(1)
	v_add_u32_e32 v6, v0, v27
	v_lshlrev_b64 v[6:7], 3, v[6:7]
	v_add_co_u32_e32 v6, vcc, s72, v6
	v_addc_co_u32_e32 v7, vcc, v5, v7, vcc
	s_waitcnt lgkmcnt(0)
	global_store_dwordx2 v[6:7], v[2:3], off
	s_or_b64 exec, exec, s[36:37]
	s_and_saveexec_b64 s[36:37], s[42:43]
	s_cbranch_execnz .LBB1429_493
.LBB1429_500:                           ;   in Loop: Header=BB1429_400 Depth=2
	s_or_b64 exec, exec, s[36:37]
	s_and_saveexec_b64 s[36:37], s[44:45]
	s_cbranch_execz .LBB1429_494
.LBB1429_501:                           ;   in Loop: Header=BB1429_400 Depth=2
	v_lshlrev_b32_e32 v0, 2, v78
	ds_read_b32 v0, v0
	v_add_u32_e32 v2, v58, v19
	ds_read_b64 v[2:3], v2 offset:10240
	v_mov_b32_e32 v7, v20
	v_mov_b32_e32 v5, s73
	s_waitcnt lgkmcnt(1)
	v_add_u32_e32 v6, v0, v24
	v_lshlrev_b64 v[6:7], 3, v[6:7]
	v_add_co_u32_e32 v6, vcc, s72, v6
	v_addc_co_u32_e32 v7, vcc, v5, v7, vcc
	s_waitcnt lgkmcnt(0)
	global_store_dwordx2 v[6:7], v[2:3], off
	s_or_b64 exec, exec, s[36:37]
	s_and_saveexec_b64 s[36:37], s[46:47]
	s_cbranch_execnz .LBB1429_495
.LBB1429_502:                           ;   in Loop: Header=BB1429_400 Depth=2
	s_or_b64 exec, exec, s[36:37]
	s_and_saveexec_b64 s[36:37], s[48:49]
	s_cbranch_execz .LBB1429_504
.LBB1429_503:                           ;   in Loop: Header=BB1429_400 Depth=2
	v_lshlrev_b32_e32 v0, 2, v76
	ds_read_b32 v0, v0
	v_add_u32_e32 v2, v58, v19
	ds_read_b64 v[2:3], v2 offset:14336
	v_mov_b32_e32 v7, v20
	v_mov_b32_e32 v5, s73
	s_waitcnt lgkmcnt(1)
	v_add_u32_e32 v6, v0, v28
	v_lshlrev_b64 v[6:7], 3, v[6:7]
	v_add_co_u32_e32 v6, vcc, s72, v6
	v_addc_co_u32_e32 v7, vcc, v5, v7, vcc
	s_waitcnt lgkmcnt(0)
	global_store_dwordx2 v[6:7], v[2:3], off
.LBB1429_504:                           ;   in Loop: Header=BB1429_400 Depth=2
	s_or_b64 exec, exec, s[36:37]
	s_barrier
	s_and_saveexec_b64 s[36:37], s[4:5]
	s_cbranch_execz .LBB1429_399
; %bb.505:                              ;   in Loop: Header=BB1429_400 Depth=2
	ds_read_b32 v0, v19
	s_waitcnt lgkmcnt(0)
	v_add_u32_e32 v0, v0, v4
	ds_write_b32 v19, v0
	s_branch .LBB1429_399
.LBB1429_506:                           ;   in Loop: Header=BB1429_400 Depth=2
	s_or_b64 exec, exec, s[36:37]
	v_cmp_gt_u32_e32 vcc, s86, v87
	s_and_saveexec_b64 s[36:37], vcc
	s_cbranch_execz .LBB1429_405
.LBB1429_507:                           ;   in Loop: Header=BB1429_400 Depth=2
	global_load_dword v3, v[38:39], off offset:256
	s_or_b64 exec, exec, s[36:37]
	v_cmp_gt_u32_e32 vcc, s86, v88
	s_and_saveexec_b64 s[36:37], vcc
	s_cbranch_execnz .LBB1429_406
.LBB1429_508:                           ;   in Loop: Header=BB1429_400 Depth=2
	s_or_b64 exec, exec, s[36:37]
	v_cmp_gt_u32_e32 vcc, s86, v89
	s_and_saveexec_b64 s[36:37], vcc
	s_cbranch_execz .LBB1429_407
.LBB1429_509:                           ;   in Loop: Header=BB1429_400 Depth=2
	global_load_dword v5, v[38:39], off offset:768
	s_or_b64 exec, exec, s[36:37]
	v_cmp_gt_u32_e32 vcc, s86, v90
	s_and_saveexec_b64 s[36:37], vcc
	s_cbranch_execnz .LBB1429_408
.LBB1429_510:                           ;   in Loop: Header=BB1429_400 Depth=2
	s_or_b64 exec, exec, s[36:37]
	v_cmp_gt_u32_e32 vcc, s86, v91
	s_and_saveexec_b64 s[36:37], vcc
	s_cbranch_execz .LBB1429_409
.LBB1429_511:                           ;   in Loop: Header=BB1429_400 Depth=2
	global_load_dword v7, v[38:39], off offset:1280
	s_or_b64 exec, exec, s[36:37]
	v_cmp_gt_u32_e32 vcc, s86, v92
	s_and_saveexec_b64 s[36:37], vcc
	s_cbranch_execnz .LBB1429_410
	s_branch .LBB1429_411
.LBB1429_512:                           ;   in Loop: Header=BB1429_12 Depth=1
	s_waitcnt lgkmcnt(0)
	s_barrier
	s_mov_b64 s[16:17], 0
.LBB1429_513:                           ;   in Loop: Header=BB1429_12 Depth=1
	s_and_b64 vcc, exec, s[16:17]
	s_cbranch_vccz .LBB1429_11
; %bb.514:                              ;   in Loop: Header=BB1429_12 Depth=1
	s_mov_b32 s22, s79
	s_mov_b32 s80, s51
	s_barrier
	s_waitcnt lgkmcnt(0)
                                        ; implicit-def: $vgpr2_vgpr3_vgpr4_vgpr5_vgpr6_vgpr7_vgpr8_vgpr9
	s_branch .LBB1429_516
.LBB1429_515:                           ;   in Loop: Header=BB1429_516 Depth=2
	s_or_b64 exec, exec, s[16:17]
	s_addk_i32 s22, 0xf800
	s_cmp_ge_u32 s23, s84
	s_mov_b32 s80, s23
	s_cbranch_scc1 .LBB1429_554
.LBB1429_516:                           ;   Parent Loop BB1429_12 Depth=1
                                        ; =>  This Inner Loop Header: Depth=2
	s_add_i32 s23, s80, 0x800
	s_cmp_gt_u32 s23, s84
	s_cbranch_scc1 .LBB1429_519
; %bb.517:                              ;   in Loop: Header=BB1429_516 Depth=2
	s_lshl_b64 s[16:17], s[80:81], 2
	v_mov_b32_e32 v0, s17
	v_add_co_u32_e32 v30, vcc, s16, v65
	v_addc_co_u32_e32 v31, vcc, v66, v0, vcc
	v_add_co_u32_e32 v32, vcc, 0x1000, v30
	v_addc_co_u32_e32 v33, vcc, 0, v31, vcc
	global_load_dword v10, v[30:31], off
	global_load_dword v11, v[30:31], off offset:1024
	global_load_dword v12, v[30:31], off offset:2048
	;; [unrolled: 1-line block ×3, first 2 shown]
	global_load_dword v14, v[32:33], off
	global_load_dword v15, v[32:33], off offset:1024
	global_load_dword v16, v[32:33], off offset:2048
	v_add_co_u32_e32 v30, vcc, 0x1c00, v30
	v_addc_co_u32_e32 v31, vcc, 0, v31, vcc
	s_mov_b64 s[16:17], -1
	s_movk_i32 s24, 0x800
	s_cbranch_execz .LBB1429_520
; %bb.518:                              ;   in Loop: Header=BB1429_516 Depth=2
                                        ; implicit-def: $vgpr2_vgpr3_vgpr4_vgpr5_vgpr6_vgpr7_vgpr8_vgpr9
	v_mov_b32_e32 v0, s22
	s_and_saveexec_b64 s[18:19], s[16:17]
	s_cbranch_execnz .LBB1429_531
	s_branch .LBB1429_532
.LBB1429_519:                           ;   in Loop: Header=BB1429_516 Depth=2
	s_mov_b64 s[16:17], 0
                                        ; implicit-def: $sgpr24
                                        ; implicit-def: $vgpr10_vgpr11_vgpr12_vgpr13_vgpr14_vgpr15_vgpr16_vgpr17
                                        ; implicit-def: $vgpr30_vgpr31
.LBB1429_520:                           ;   in Loop: Header=BB1429_516 Depth=2
	s_lshl_b64 s[18:19], s[80:81], 2
	s_add_u32 s18, s56, s18
	s_addc_u32 s19, s57, s19
	v_cmp_gt_u32_e32 vcc, s22, v18
	s_and_saveexec_b64 s[20:21], vcc
	s_cbranch_execz .LBB1429_548
; %bb.521:                              ;   in Loop: Header=BB1429_516 Depth=2
	global_load_dword v2, v72, s[18:19]
	s_or_b64 exec, exec, s[20:21]
	v_cmp_gt_u32_e32 vcc, s22, v23
	s_and_saveexec_b64 s[20:21], vcc
	s_cbranch_execnz .LBB1429_549
.LBB1429_522:                           ;   in Loop: Header=BB1429_516 Depth=2
	s_or_b64 exec, exec, s[20:21]
	v_cmp_gt_u32_e32 vcc, s22, v25
	s_and_saveexec_b64 s[20:21], vcc
	s_cbranch_execz .LBB1429_550
.LBB1429_523:                           ;   in Loop: Header=BB1429_516 Depth=2
	global_load_dword v4, v72, s[18:19] offset:2048
	s_or_b64 exec, exec, s[20:21]
	v_cmp_gt_u32_e32 vcc, s22, v27
	s_and_saveexec_b64 s[20:21], vcc
	s_cbranch_execnz .LBB1429_551
.LBB1429_524:                           ;   in Loop: Header=BB1429_516 Depth=2
	s_or_b64 exec, exec, s[20:21]
	v_cmp_gt_u32_e32 vcc, s22, v22
	s_and_saveexec_b64 s[20:21], vcc
	s_cbranch_execz .LBB1429_552
.LBB1429_525:                           ;   in Loop: Header=BB1429_516 Depth=2
	v_lshlrev_b32_e32 v0, 2, v22
	global_load_dword v6, v0, s[18:19]
	s_or_b64 exec, exec, s[20:21]
	v_cmp_gt_u32_e32 vcc, s22, v24
	s_and_saveexec_b64 s[20:21], vcc
	s_cbranch_execnz .LBB1429_553
.LBB1429_526:                           ;   in Loop: Header=BB1429_516 Depth=2
	s_or_b64 exec, exec, s[20:21]
	v_cmp_gt_u32_e32 vcc, s22, v26
	s_and_saveexec_b64 s[20:21], vcc
	s_cbranch_execz .LBB1429_528
.LBB1429_527:                           ;   in Loop: Header=BB1429_516 Depth=2
	v_lshlrev_b32_e32 v0, 2, v26
	global_load_dword v8, v0, s[18:19]
.LBB1429_528:                           ;   in Loop: Header=BB1429_516 Depth=2
	s_or_b64 exec, exec, s[20:21]
	v_cmp_gt_u32_e32 vcc, s22, v28
                                        ; implicit-def: $sgpr24
                                        ; implicit-def: $vgpr30_vgpr31
	s_and_saveexec_b64 s[20:21], vcc
	s_cbranch_execz .LBB1429_530
; %bb.529:                              ;   in Loop: Header=BB1429_516 Depth=2
	v_lshlrev_b32_e32 v0, 2, v28
	s_waitcnt vmcnt(6)
	v_mov_b32_e32 v10, s19
	v_add_co_u32_e32 v30, vcc, s18, v0
	s_sub_i32 s24, s84, s80
	v_addc_co_u32_e32 v31, vcc, 0, v10, vcc
	s_or_b64 s[16:17], s[16:17], exec
.LBB1429_530:                           ;   in Loop: Header=BB1429_516 Depth=2
	s_or_b64 exec, exec, s[20:21]
	s_waitcnt vmcnt(0)
	v_pk_mov_b32 v[16:17], v[8:9], v[8:9] op_sel:[0,1]
	v_pk_mov_b32 v[14:15], v[6:7], v[6:7] op_sel:[0,1]
	;; [unrolled: 1-line block ×4, first 2 shown]
	v_mov_b32_e32 v0, s22
	s_and_saveexec_b64 s[18:19], s[16:17]
	s_cbranch_execz .LBB1429_532
.LBB1429_531:                           ;   in Loop: Header=BB1429_516 Depth=2
	global_load_dword v17, v[30:31], off
	s_waitcnt vmcnt(0)
	v_pk_mov_b32 v[2:3], v[10:11], v[10:11] op_sel:[0,1]
	v_mov_b32_e32 v0, s24
	v_pk_mov_b32 v[4:5], v[12:13], v[12:13] op_sel:[0,1]
	v_pk_mov_b32 v[6:7], v[14:15], v[14:15] op_sel:[0,1]
	;; [unrolled: 1-line block ×3, first 2 shown]
.LBB1429_532:                           ;   in Loop: Header=BB1429_516 Depth=2
	s_or_b64 exec, exec, s[18:19]
	v_cmp_lt_u32_e32 vcc, v18, v0
	s_waitcnt vmcnt(6)
	v_lshlrev_b32_e32 v10, 2, v29
	s_and_saveexec_b64 s[16:17], vcc
	s_cbranch_execz .LBB1429_540
; %bb.533:                              ;   in Loop: Header=BB1429_516 Depth=2
	v_cmp_lt_i32_e32 vcc, -1, v2
	s_waitcnt vmcnt(5)
	v_cndmask_b32_e32 v11, -1, v73, vcc
	v_xor_b32_e32 v11, v11, v2
	v_cmp_ne_u32_e32 vcc, s64, v11
	v_cndmask_b32_e32 v11, v73, v11, vcc
	v_lshrrev_b32_e32 v11, s77, v11
	v_and_b32_e32 v11, s85, v11
	v_lshl_or_b32 v11, v11, 4, v10
	ds_add_u32 v11, v71
	s_or_b64 exec, exec, s[16:17]
	v_cmp_lt_u32_e32 vcc, v23, v0
	s_and_saveexec_b64 s[16:17], vcc
	s_cbranch_execnz .LBB1429_541
.LBB1429_534:                           ;   in Loop: Header=BB1429_516 Depth=2
	s_or_b64 exec, exec, s[16:17]
	v_cmp_lt_u32_e32 vcc, v25, v0
	s_and_saveexec_b64 s[16:17], vcc
	s_cbranch_execz .LBB1429_542
.LBB1429_535:                           ;   in Loop: Header=BB1429_516 Depth=2
	v_cmp_lt_i32_e32 vcc, -1, v4
	s_waitcnt vmcnt(5)
	v_cndmask_b32_e32 v11, -1, v73, vcc
	v_xor_b32_e32 v11, v11, v4
	v_cmp_ne_u32_e32 vcc, s64, v11
	v_cndmask_b32_e32 v11, v73, v11, vcc
	v_lshrrev_b32_e32 v11, s77, v11
	v_and_b32_e32 v11, s85, v11
	v_lshl_or_b32 v11, v11, 4, v10
	ds_add_u32 v11, v71
	s_or_b64 exec, exec, s[16:17]
	v_cmp_lt_u32_e32 vcc, v27, v0
	s_and_saveexec_b64 s[16:17], vcc
	s_cbranch_execnz .LBB1429_543
.LBB1429_536:                           ;   in Loop: Header=BB1429_516 Depth=2
	s_or_b64 exec, exec, s[16:17]
	v_cmp_lt_u32_e32 vcc, v22, v0
	s_and_saveexec_b64 s[16:17], vcc
	s_cbranch_execz .LBB1429_544
.LBB1429_537:                           ;   in Loop: Header=BB1429_516 Depth=2
	v_cmp_lt_i32_e32 vcc, -1, v6
	s_waitcnt vmcnt(5)
	v_cndmask_b32_e32 v11, -1, v73, vcc
	v_xor_b32_e32 v11, v11, v6
	v_cmp_ne_u32_e32 vcc, s64, v11
	v_cndmask_b32_e32 v11, v73, v11, vcc
	v_lshrrev_b32_e32 v11, s77, v11
	v_and_b32_e32 v11, s85, v11
	v_lshl_or_b32 v11, v11, 4, v10
	ds_add_u32 v11, v71
	s_or_b64 exec, exec, s[16:17]
	v_cmp_lt_u32_e32 vcc, v24, v0
	s_and_saveexec_b64 s[16:17], vcc
	s_cbranch_execnz .LBB1429_545
.LBB1429_538:                           ;   in Loop: Header=BB1429_516 Depth=2
	s_or_b64 exec, exec, s[16:17]
	v_cmp_lt_u32_e32 vcc, v26, v0
	s_and_saveexec_b64 s[16:17], vcc
	s_cbranch_execz .LBB1429_546
.LBB1429_539:                           ;   in Loop: Header=BB1429_516 Depth=2
	v_cmp_lt_i32_e32 vcc, -1, v8
	s_waitcnt vmcnt(5)
	v_cndmask_b32_e32 v11, -1, v73, vcc
	v_xor_b32_e32 v11, v11, v8
	v_cmp_ne_u32_e32 vcc, s64, v11
	v_cndmask_b32_e32 v11, v73, v11, vcc
	v_lshrrev_b32_e32 v11, s77, v11
	v_and_b32_e32 v11, s85, v11
	v_lshl_or_b32 v11, v11, 4, v10
	ds_add_u32 v11, v71
	s_or_b64 exec, exec, s[16:17]
	v_cmp_lt_u32_e32 vcc, v28, v0
	s_and_saveexec_b64 s[16:17], vcc
	s_cbranch_execz .LBB1429_515
	s_branch .LBB1429_547
.LBB1429_540:                           ;   in Loop: Header=BB1429_516 Depth=2
	s_or_b64 exec, exec, s[16:17]
	v_cmp_lt_u32_e32 vcc, v23, v0
	s_and_saveexec_b64 s[16:17], vcc
	s_cbranch_execz .LBB1429_534
.LBB1429_541:                           ;   in Loop: Header=BB1429_516 Depth=2
	v_cmp_lt_i32_e32 vcc, -1, v3
	s_waitcnt vmcnt(5)
	v_cndmask_b32_e32 v11, -1, v73, vcc
	v_xor_b32_e32 v11, v11, v3
	v_cmp_ne_u32_e32 vcc, s64, v11
	v_cndmask_b32_e32 v11, v73, v11, vcc
	v_lshrrev_b32_e32 v11, s77, v11
	v_and_b32_e32 v11, s85, v11
	v_lshl_or_b32 v11, v11, 4, v10
	ds_add_u32 v11, v71
	s_or_b64 exec, exec, s[16:17]
	v_cmp_lt_u32_e32 vcc, v25, v0
	s_and_saveexec_b64 s[16:17], vcc
	s_cbranch_execnz .LBB1429_535
.LBB1429_542:                           ;   in Loop: Header=BB1429_516 Depth=2
	s_or_b64 exec, exec, s[16:17]
	v_cmp_lt_u32_e32 vcc, v27, v0
	s_and_saveexec_b64 s[16:17], vcc
	s_cbranch_execz .LBB1429_536
.LBB1429_543:                           ;   in Loop: Header=BB1429_516 Depth=2
	v_cmp_lt_i32_e32 vcc, -1, v5
	s_waitcnt vmcnt(5)
	v_cndmask_b32_e32 v11, -1, v73, vcc
	v_xor_b32_e32 v11, v11, v5
	v_cmp_ne_u32_e32 vcc, s64, v11
	v_cndmask_b32_e32 v11, v73, v11, vcc
	v_lshrrev_b32_e32 v11, s77, v11
	v_and_b32_e32 v11, s85, v11
	v_lshl_or_b32 v11, v11, 4, v10
	ds_add_u32 v11, v71
	s_or_b64 exec, exec, s[16:17]
	v_cmp_lt_u32_e32 vcc, v22, v0
	s_and_saveexec_b64 s[16:17], vcc
	s_cbranch_execnz .LBB1429_537
.LBB1429_544:                           ;   in Loop: Header=BB1429_516 Depth=2
	s_or_b64 exec, exec, s[16:17]
	v_cmp_lt_u32_e32 vcc, v24, v0
	s_and_saveexec_b64 s[16:17], vcc
	s_cbranch_execz .LBB1429_538
.LBB1429_545:                           ;   in Loop: Header=BB1429_516 Depth=2
	v_cmp_lt_i32_e32 vcc, -1, v7
	s_waitcnt vmcnt(5)
	v_cndmask_b32_e32 v11, -1, v73, vcc
	v_xor_b32_e32 v11, v11, v7
	v_cmp_ne_u32_e32 vcc, s64, v11
	v_cndmask_b32_e32 v11, v73, v11, vcc
	v_lshrrev_b32_e32 v11, s77, v11
	v_and_b32_e32 v11, s85, v11
	v_lshl_or_b32 v11, v11, 4, v10
	ds_add_u32 v11, v71
	s_or_b64 exec, exec, s[16:17]
	v_cmp_lt_u32_e32 vcc, v26, v0
	s_and_saveexec_b64 s[16:17], vcc
	s_cbranch_execnz .LBB1429_539
.LBB1429_546:                           ;   in Loop: Header=BB1429_516 Depth=2
	s_or_b64 exec, exec, s[16:17]
	v_cmp_lt_u32_e32 vcc, v28, v0
	s_and_saveexec_b64 s[16:17], vcc
	s_cbranch_execz .LBB1429_515
.LBB1429_547:                           ;   in Loop: Header=BB1429_516 Depth=2
	v_cmp_lt_i32_e32 vcc, -1, v9
	v_cndmask_b32_e32 v0, -1, v73, vcc
	v_xor_b32_e32 v0, v0, v9
	v_cmp_ne_u32_e32 vcc, s64, v0
	v_cndmask_b32_e32 v0, v73, v0, vcc
	v_lshrrev_b32_e32 v0, s77, v0
	v_and_b32_e32 v0, s85, v0
	v_lshl_or_b32 v0, v0, 4, v10
	ds_add_u32 v0, v71
	s_branch .LBB1429_515
.LBB1429_548:                           ;   in Loop: Header=BB1429_516 Depth=2
	s_or_b64 exec, exec, s[20:21]
	v_cmp_gt_u32_e32 vcc, s22, v23
	s_and_saveexec_b64 s[20:21], vcc
	s_cbranch_execz .LBB1429_522
.LBB1429_549:                           ;   in Loop: Header=BB1429_516 Depth=2
	global_load_dword v3, v72, s[18:19] offset:1024
	s_or_b64 exec, exec, s[20:21]
	v_cmp_gt_u32_e32 vcc, s22, v25
	s_and_saveexec_b64 s[20:21], vcc
	s_cbranch_execnz .LBB1429_523
.LBB1429_550:                           ;   in Loop: Header=BB1429_516 Depth=2
	s_or_b64 exec, exec, s[20:21]
	v_cmp_gt_u32_e32 vcc, s22, v27
	s_and_saveexec_b64 s[20:21], vcc
	s_cbranch_execz .LBB1429_524
.LBB1429_551:                           ;   in Loop: Header=BB1429_516 Depth=2
	global_load_dword v5, v72, s[18:19] offset:3072
	s_or_b64 exec, exec, s[20:21]
	v_cmp_gt_u32_e32 vcc, s22, v22
	s_and_saveexec_b64 s[20:21], vcc
	s_cbranch_execnz .LBB1429_525
.LBB1429_552:                           ;   in Loop: Header=BB1429_516 Depth=2
	s_or_b64 exec, exec, s[20:21]
	v_cmp_gt_u32_e32 vcc, s22, v24
	s_and_saveexec_b64 s[20:21], vcc
	s_cbranch_execz .LBB1429_526
.LBB1429_553:                           ;   in Loop: Header=BB1429_516 Depth=2
	v_lshlrev_b32_e32 v0, 2, v24
	global_load_dword v7, v0, s[18:19]
	s_or_b64 exec, exec, s[20:21]
	v_cmp_gt_u32_e32 vcc, s22, v26
	s_and_saveexec_b64 s[20:21], vcc
	s_cbranch_execz .LBB1429_528
	s_branch .LBB1429_527
.LBB1429_554:                           ;   in Loop: Header=BB1429_12 Depth=1
	v_mov_b32_e32 v0, 0
	s_waitcnt lgkmcnt(0)
	s_barrier
	s_and_saveexec_b64 s[16:17], s[4:5]
	s_cbranch_execz .LBB1429_556
; %bb.555:                              ;   in Loop: Header=BB1429_12 Depth=1
	ds_read2_b64 v[2:5], v42 offset1:1
	s_waitcnt lgkmcnt(0)
	v_add_u32_e32 v0, v3, v2
	v_add3_u32 v0, v0, v4, v5
.LBB1429_556:                           ;   in Loop: Header=BB1429_12 Depth=1
	s_or_b64 exec, exec, s[16:17]
	v_and_b32_e32 v2, 15, v74
	v_mov_b32_dpp v3, v0 row_shr:1 row_mask:0xf bank_mask:0xf
	v_cmp_eq_u32_e64 s[16:17], 0, v2
	v_cndmask_b32_e64 v3, v3, 0, s[16:17]
	v_add_u32_e32 v0, v3, v0
	v_cmp_lt_u32_e64 s[18:19], 1, v2
	v_cmp_lt_u32_e64 s[20:21], 3, v2
	v_mov_b32_dpp v3, v0 row_shr:2 row_mask:0xf bank_mask:0xf
	v_cndmask_b32_e64 v3, 0, v3, s[18:19]
	v_add_u32_e32 v0, v0, v3
	v_cmp_lt_u32_e64 s[22:23], 7, v2
	v_cmp_lt_u32_e64 s[26:27], 31, v74
	v_mov_b32_dpp v3, v0 row_shr:4 row_mask:0xf bank_mask:0xf
	v_cndmask_b32_e64 v3, 0, v3, s[20:21]
	v_add_u32_e32 v0, v0, v3
	v_and_b32_e32 v4, 16, v74
	v_cmp_eq_u32_e64 s[24:25], 0, v4
	v_mov_b32_dpp v3, v0 row_shr:8 row_mask:0xf bank_mask:0xf
	v_cndmask_b32_e64 v2, 0, v3, s[22:23]
	v_add_u32_e32 v0, v0, v2
	v_bfe_i32 v3, v74, 4, 1
	s_nop 0
	v_mov_b32_dpp v2, v0 row_bcast:15 row_mask:0xf bank_mask:0xf
	v_and_b32_e32 v2, v3, v2
	v_add_u32_e32 v0, v0, v2
	s_nop 1
	v_mov_b32_dpp v2, v0 row_bcast:31 row_mask:0xf bank_mask:0xf
	v_cndmask_b32_e64 v2, 0, v2, s[26:27]
	v_add_u32_e32 v2, v0, v2
	s_and_saveexec_b64 s[28:29], s[6:7]
	s_cbranch_execz .LBB1429_558
; %bb.557:                              ;   in Loop: Header=BB1429_12 Depth=1
	ds_write_b32 v44, v2
.LBB1429_558:                           ;   in Loop: Header=BB1429_12 Depth=1
	s_or_b64 exec, exec, s[28:29]
	v_and_b32_e32 v0, 3, v74
	s_waitcnt lgkmcnt(0)
	s_barrier
	s_and_saveexec_b64 s[28:29], s[8:9]
	s_cbranch_execz .LBB1429_560
; %bb.559:                              ;   in Loop: Header=BB1429_12 Depth=1
	ds_read_b32 v3, v45
	v_cmp_ne_u32_e32 vcc, 0, v0
	s_waitcnt lgkmcnt(0)
	v_mov_b32_dpp v4, v3 row_shr:1 row_mask:0xf bank_mask:0xf
	v_cndmask_b32_e32 v4, 0, v4, vcc
	v_add_u32_e32 v3, v4, v3
	v_cmp_lt_u32_e32 vcc, 1, v0
	s_nop 0
	v_mov_b32_dpp v4, v3 row_shr:2 row_mask:0xf bank_mask:0xf
	v_cndmask_b32_e32 v4, 0, v4, vcc
	v_add_u32_e32 v3, v3, v4
	ds_write_b32 v45, v3
.LBB1429_560:                           ;   in Loop: Header=BB1429_12 Depth=1
	s_or_b64 exec, exec, s[28:29]
	v_mov_b32_e32 v3, 0
	s_waitcnt lgkmcnt(0)
	s_barrier
	s_and_saveexec_b64 s[28:29], s[10:11]
	s_cbranch_execz .LBB1429_562
; %bb.561:                              ;   in Loop: Header=BB1429_12 Depth=1
	ds_read_b32 v3, v46
.LBB1429_562:                           ;   in Loop: Header=BB1429_12 Depth=1
	s_or_b64 exec, exec, s[28:29]
	v_add_u32_e32 v4, -1, v74
	v_and_b32_e32 v5, 64, v74
	v_cmp_lt_i32_e32 vcc, v4, v5
	v_cndmask_b32_e32 v4, v4, v74, vcc
	s_waitcnt lgkmcnt(0)
	v_add_u32_e32 v2, v3, v2
	v_lshlrev_b32_e32 v75, 2, v4
	ds_bpermute_b32 v2, v75, v2
	v_cmp_eq_u32_e64 s[28:29], 0, v74
	s_waitcnt lgkmcnt(0)
	s_barrier
	s_and_saveexec_b64 s[30:31], s[4:5]
	s_cbranch_execz .LBB1429_564
; %bb.563:                              ;   in Loop: Header=BB1429_12 Depth=1
	v_cndmask_b32_e64 v2, v2, v3, s[28:29]
	v_add_u32_e32 v2, s51, v2
	ds_write_b32 v19, v2
.LBB1429_564:                           ;   in Loop: Header=BB1429_12 Depth=1
	s_or_b64 exec, exec, s[30:31]
	s_load_dwordx2 s[30:31], s[82:83], 0x0
	s_mov_b32 s86, s79
	s_mov_b32 s80, s51
                                        ; implicit-def: $vgpr10_vgpr11
                                        ; implicit-def: $vgpr12_vgpr13
                                        ; implicit-def: $vgpr14_vgpr15
                                        ; implicit-def: $vgpr16_vgpr17
                                        ; implicit-def: $vgpr30_vgpr31
                                        ; implicit-def: $vgpr32_vgpr33
                                        ; implicit-def: $vgpr34_vgpr35
                                        ; implicit-def: $vgpr36_vgpr37
                                        ; implicit-def: $vgpr76
                                        ; implicit-def: $vgpr77
                                        ; implicit-def: $vgpr78
                                        ; implicit-def: $vgpr79
                                        ; implicit-def: $vgpr81
                                        ; implicit-def: $vgpr82
                                        ; implicit-def: $vgpr84
                                        ; implicit-def: $vgpr86
	s_waitcnt lgkmcnt(0)
	s_cmp_lt_u32 s50, s30
	s_cselect_b32 s34, 12, 18
	s_cmp_lt_u32 s33, s31
	s_cselect_b32 s30, 14, 20
	s_add_u32 s30, s82, s30
	s_addc_u32 s31, s83, 0
	s_add_u32 s34, s82, s34
	global_load_ushort v2, v20, s[30:31]
	s_addc_u32 s35, s83, 0
	global_load_ushort v3, v20, s[34:35]
	v_cmp_eq_u32_e64 s[30:31], 0, v0
	v_cmp_lt_u32_e64 s[34:35], 1, v0
	v_and_b32_e32 v0, 63, v74
	v_lshlrev_b32_e32 v4, 3, v0
	v_add_co_u32_e32 v83, vcc, v67, v4
	v_or_b32_e32 v80, v0, v47
	v_lshlrev_b32_e32 v0, 2, v0
	v_addc_co_u32_e32 v85, vcc, 0, v68, vcc
	v_add_co_u32_e32 v94, vcc, v69, v0
	v_addc_co_u32_e32 v95, vcc, 0, v70, vcc
	v_add_co_u32_e32 v96, vcc, 0x700, v94
	v_or_b32_e32 v87, 64, v80
	v_or_b32_e32 v88, 0x80, v80
	;; [unrolled: 1-line block ×7, first 2 shown]
	v_addc_co_u32_e32 v97, vcc, 0, v95, vcc
	s_waitcnt vmcnt(1)
	v_mad_u32_u24 v0, v48, v2, v49
	s_waitcnt vmcnt(0)
	v_mad_u64_u32 v[2:3], s[36:37], v0, v3, v[18:19]
	v_lshrrev_b32_e32 v98, 6, v2
	s_branch .LBB1429_566
.LBB1429_565:                           ;   in Loop: Header=BB1429_566 Depth=2
	s_or_b64 exec, exec, s[36:37]
	s_addk_i32 s86, 0xf800
	s_cmp_lt_u32 s87, s84
	s_mov_b32 s80, s87
	s_cbranch_scc0 .LBB1429_10
.LBB1429_566:                           ;   Parent Loop BB1429_12 Depth=1
                                        ; =>  This Inner Loop Header: Depth=2
	s_add_i32 s87, s80, 0x800
	s_cmp_gt_u32 s87, s84
	s_cbranch_scc1 .LBB1429_568
; %bb.567:                              ;   in Loop: Header=BB1429_566 Depth=2
	s_lshl_b64 s[36:37], s[80:81], 2
	v_mov_b32_e32 v0, s37
	v_add_co_u32_e32 v8, vcc, s36, v94
	v_addc_co_u32_e32 v9, vcc, v95, v0, vcc
	global_load_dword v2, v[8:9], off
	global_load_dword v3, v[8:9], off offset:256
	global_load_dword v4, v[8:9], off offset:512
	;; [unrolled: 1-line block ×5, first 2 shown]
	s_nop 0
	global_load_dword v8, v[8:9], off offset:1536
	s_mov_b64 s[36:37], -1
	s_movk_i32 s40, 0x800
	s_cbranch_execz .LBB1429_569
	s_branch .LBB1429_578
.LBB1429_568:                           ;   in Loop: Header=BB1429_566 Depth=2
	s_mov_b64 s[36:37], 0
                                        ; implicit-def: $sgpr40
                                        ; implicit-def: $vgpr2_vgpr3_vgpr4_vgpr5_vgpr6_vgpr7_vgpr8_vgpr9
.LBB1429_569:                           ;   in Loop: Header=BB1429_566 Depth=2
	s_lshl_b64 s[36:37], s[80:81], 2
	v_mov_b32_e32 v0, s37
	v_add_co_u32_e32 v38, vcc, s36, v94
	s_mov_b32 s65, s64
	v_addc_co_u32_e32 v39, vcc, v95, v0, vcc
	s_mov_b32 s66, s64
	s_mov_b32 s67, s64
	;; [unrolled: 1-line block ×6, first 2 shown]
	s_waitcnt vmcnt(0)
	v_pk_mov_b32 v[2:3], s[64:65], s[64:65] op_sel:[0,1]
	v_cmp_gt_u32_e32 vcc, s86, v80
	v_pk_mov_b32 v[4:5], s[66:67], s[66:67] op_sel:[0,1]
	v_pk_mov_b32 v[6:7], s[68:69], s[68:69] op_sel:[0,1]
	;; [unrolled: 1-line block ×3, first 2 shown]
	s_and_saveexec_b64 s[36:37], vcc
	s_cbranch_execz .LBB1429_672
; %bb.570:                              ;   in Loop: Header=BB1429_566 Depth=2
	global_load_dword v0, v[38:39], off
	v_mov_b32_e32 v2, v1
	v_mov_b32_e32 v3, v1
	;; [unrolled: 1-line block ×6, first 2 shown]
	s_waitcnt vmcnt(0)
	v_pk_mov_b32 v[8:9], v[6:7], v[6:7] op_sel:[0,1]
	v_pk_mov_b32 v[6:7], v[4:5], v[4:5] op_sel:[0,1]
	;; [unrolled: 1-line block ×4, first 2 shown]
	s_or_b64 exec, exec, s[36:37]
	v_cmp_gt_u32_e32 vcc, s86, v87
	s_and_saveexec_b64 s[36:37], vcc
	s_cbranch_execnz .LBB1429_673
.LBB1429_571:                           ;   in Loop: Header=BB1429_566 Depth=2
	s_or_b64 exec, exec, s[36:37]
	v_cmp_gt_u32_e32 vcc, s86, v88
	s_and_saveexec_b64 s[36:37], vcc
	s_cbranch_execz .LBB1429_674
.LBB1429_572:                           ;   in Loop: Header=BB1429_566 Depth=2
	global_load_dword v4, v[38:39], off offset:512
	s_or_b64 exec, exec, s[36:37]
	v_cmp_gt_u32_e32 vcc, s86, v89
	s_and_saveexec_b64 s[36:37], vcc
	s_cbranch_execnz .LBB1429_675
.LBB1429_573:                           ;   in Loop: Header=BB1429_566 Depth=2
	s_or_b64 exec, exec, s[36:37]
	v_cmp_gt_u32_e32 vcc, s86, v90
	s_and_saveexec_b64 s[36:37], vcc
	s_cbranch_execz .LBB1429_676
.LBB1429_574:                           ;   in Loop: Header=BB1429_566 Depth=2
	global_load_dword v6, v[38:39], off offset:1024
	s_or_b64 exec, exec, s[36:37]
	v_cmp_gt_u32_e32 vcc, s86, v91
	s_and_saveexec_b64 s[36:37], vcc
	s_cbranch_execnz .LBB1429_677
.LBB1429_575:                           ;   in Loop: Header=BB1429_566 Depth=2
	s_or_b64 exec, exec, s[36:37]
	v_cmp_gt_u32_e32 vcc, s86, v92
	s_and_saveexec_b64 s[36:37], vcc
	s_cbranch_execz .LBB1429_577
.LBB1429_576:                           ;   in Loop: Header=BB1429_566 Depth=2
	global_load_dword v8, v[38:39], off offset:1536
.LBB1429_577:                           ;   in Loop: Header=BB1429_566 Depth=2
	s_or_b64 exec, exec, s[36:37]
	s_sub_i32 s40, s84, s80
	v_cmp_gt_u32_e64 s[36:37], s86, v93
.LBB1429_578:                           ;   in Loop: Header=BB1429_566 Depth=2
	v_mov_b32_e32 v0, s86
	s_and_saveexec_b64 s[38:39], s[36:37]
	s_cbranch_execz .LBB1429_580
; %bb.579:                              ;   in Loop: Header=BB1429_566 Depth=2
	s_lshl_b64 s[36:37], s[80:81], 2
	v_mov_b32_e32 v0, s37
	v_add_co_u32_e32 v38, vcc, s36, v96
	v_addc_co_u32_e32 v39, vcc, v97, v0, vcc
	global_load_dword v9, v[38:39], off
	v_mov_b32_e32 v0, s40
.LBB1429_580:                           ;   in Loop: Header=BB1429_566 Depth=2
	s_or_b64 exec, exec, s[38:39]
	s_waitcnt vmcnt(6)
	v_cmp_lt_i32_e32 vcc, -1, v2
	v_cndmask_b32_e32 v21, -1, v73, vcc
	v_xor_b32_e32 v99, v21, v2
	v_add_u32_e32 v2, 0x410, v50
	v_cmp_ne_u32_e32 vcc, s64, v99
	ds_write2_b32 v2, v20, v20 offset1:1
	ds_write2_b32 v52, v20, v20 offset0:2 offset1:3
	ds_write_b32 v52, v20 offset:16
	v_cndmask_b32_e32 v2, v73, v99, vcc
	v_lshrrev_b32_e32 v2, s77, v2
	v_and_b32_e32 v2, s85, v2
	v_mad_u32_u24 v21, v2, 5, v98
	v_lshl_add_u32 v100, v21, 2, v51
	v_and_b32_e32 v21, 1, v2
	v_add_co_u32_e32 v38, vcc, -1, v21
	v_addc_co_u32_e64 v39, s[36:37], 0, -1, vcc
	v_cmp_ne_u32_e32 vcc, 0, v21
	v_xor_b32_e32 v21, vcc_hi, v39
	v_and_b32_e32 v39, exec_hi, v21
	v_lshlrev_b32_e32 v21, 30, v2
	v_xor_b32_e32 v38, vcc_lo, v38
	v_cmp_gt_i64_e32 vcc, 0, v[20:21]
	v_not_b32_e32 v21, v21
	v_ashrrev_i32_e32 v21, 31, v21
	v_and_b32_e32 v38, exec_lo, v38
	v_xor_b32_e32 v101, vcc_hi, v21
	v_xor_b32_e32 v21, vcc_lo, v21
	v_and_b32_e32 v38, v38, v21
	v_lshlrev_b32_e32 v21, 29, v2
	v_cmp_gt_i64_e32 vcc, 0, v[20:21]
	v_not_b32_e32 v21, v21
	v_ashrrev_i32_e32 v21, 31, v21
	v_and_b32_e32 v39, v39, v101
	v_xor_b32_e32 v101, vcc_hi, v21
	v_xor_b32_e32 v21, vcc_lo, v21
	v_and_b32_e32 v38, v38, v21
	v_lshlrev_b32_e32 v21, 28, v2
	v_cmp_gt_i64_e32 vcc, 0, v[20:21]
	v_not_b32_e32 v21, v21
	v_ashrrev_i32_e32 v21, 31, v21
	v_and_b32_e32 v39, v39, v101
	;; [unrolled: 8-line block ×5, first 2 shown]
	v_xor_b32_e32 v101, vcc_hi, v21
	v_xor_b32_e32 v21, vcc_lo, v21
	v_and_b32_e32 v38, v38, v21
	v_lshlrev_b32_e32 v21, 24, v2
	v_not_b32_e32 v2, v21
	v_cmp_gt_i64_e32 vcc, 0, v[20:21]
	v_ashrrev_i32_e32 v2, 31, v2
	v_xor_b32_e32 v21, vcc_hi, v2
	v_xor_b32_e32 v2, vcc_lo, v2
	v_and_b32_e32 v39, v39, v101
	v_and_b32_e32 v38, v38, v2
	;; [unrolled: 1-line block ×3, first 2 shown]
	v_mbcnt_lo_u32_b32 v2, v38, 0
	v_mbcnt_hi_u32_b32 v101, v39, v2
	v_cmp_eq_u32_e32 vcc, 0, v101
	v_cmp_ne_u64_e64 s[36:37], 0, v[38:39]
	s_and_b64 s[38:39], s[36:37], vcc
	s_waitcnt lgkmcnt(0)
	s_barrier
	s_waitcnt lgkmcnt(0)
	; wave barrier
	s_and_saveexec_b64 s[36:37], s[38:39]
	s_cbranch_execz .LBB1429_582
; %bb.581:                              ;   in Loop: Header=BB1429_566 Depth=2
	v_bcnt_u32_b32 v2, v38, 0
	v_bcnt_u32_b32 v2, v39, v2
	ds_write_b32 v100, v2
.LBB1429_582:                           ;   in Loop: Header=BB1429_566 Depth=2
	s_or_b64 exec, exec, s[36:37]
	s_waitcnt vmcnt(0)
	v_cmp_lt_i32_e32 vcc, -1, v3
	v_cndmask_b32_e32 v2, -1, v73, vcc
	v_xor_b32_e32 v38, v2, v3
	v_cmp_ne_u32_e32 vcc, s64, v38
	v_cndmask_b32_e32 v2, v73, v38, vcc
	v_lshrrev_b32_e32 v2, s77, v2
	v_and_b32_e32 v2, s85, v2
	v_mul_u32_u24_e32 v3, 5, v2
	v_add_lshl_u32 v3, v3, v98, 2
	; wave barrier
	v_add_u32_e32 v102, 0x410, v3
	ds_read_b32 v39, v3 offset:1040
	v_and_b32_e32 v3, 1, v2
	v_add_co_u32_e32 v21, vcc, -1, v3
	v_addc_co_u32_e64 v103, s[36:37], 0, -1, vcc
	v_cmp_ne_u32_e32 vcc, 0, v3
	v_xor_b32_e32 v21, vcc_lo, v21
	v_xor_b32_e32 v3, vcc_hi, v103
	v_and_b32_e32 v103, exec_lo, v21
	v_lshlrev_b32_e32 v21, 30, v2
	v_cmp_gt_i64_e32 vcc, 0, v[20:21]
	v_not_b32_e32 v21, v21
	v_ashrrev_i32_e32 v21, 31, v21
	v_xor_b32_e32 v104, vcc_hi, v21
	v_xor_b32_e32 v21, vcc_lo, v21
	v_and_b32_e32 v103, v103, v21
	v_lshlrev_b32_e32 v21, 29, v2
	v_cmp_gt_i64_e32 vcc, 0, v[20:21]
	v_not_b32_e32 v21, v21
	v_and_b32_e32 v3, exec_hi, v3
	v_ashrrev_i32_e32 v21, 31, v21
	v_and_b32_e32 v3, v3, v104
	v_xor_b32_e32 v104, vcc_hi, v21
	v_xor_b32_e32 v21, vcc_lo, v21
	v_and_b32_e32 v103, v103, v21
	v_lshlrev_b32_e32 v21, 28, v2
	v_cmp_gt_i64_e32 vcc, 0, v[20:21]
	v_not_b32_e32 v21, v21
	v_ashrrev_i32_e32 v21, 31, v21
	v_and_b32_e32 v3, v3, v104
	v_xor_b32_e32 v104, vcc_hi, v21
	v_xor_b32_e32 v21, vcc_lo, v21
	v_and_b32_e32 v103, v103, v21
	v_lshlrev_b32_e32 v21, 27, v2
	v_cmp_gt_i64_e32 vcc, 0, v[20:21]
	v_not_b32_e32 v21, v21
	;; [unrolled: 8-line block ×4, first 2 shown]
	v_ashrrev_i32_e32 v21, 31, v21
	v_and_b32_e32 v3, v3, v104
	v_xor_b32_e32 v104, vcc_hi, v21
	v_xor_b32_e32 v21, vcc_lo, v21
	v_and_b32_e32 v103, v103, v21
	v_lshlrev_b32_e32 v21, 24, v2
	v_not_b32_e32 v2, v21
	v_cmp_gt_i64_e32 vcc, 0, v[20:21]
	v_ashrrev_i32_e32 v2, 31, v2
	v_xor_b32_e32 v21, vcc_hi, v2
	v_xor_b32_e32 v2, vcc_lo, v2
	v_and_b32_e32 v3, v3, v104
	v_and_b32_e32 v2, v103, v2
	v_and_b32_e32 v3, v3, v21
	v_mbcnt_lo_u32_b32 v21, v2, 0
	v_mbcnt_hi_u32_b32 v103, v3, v21
	v_cmp_eq_u32_e32 vcc, 0, v103
	v_cmp_ne_u64_e64 s[36:37], 0, v[2:3]
	s_and_b64 s[38:39], s[36:37], vcc
	; wave barrier
	s_and_saveexec_b64 s[36:37], s[38:39]
	s_cbranch_execz .LBB1429_584
; %bb.583:                              ;   in Loop: Header=BB1429_566 Depth=2
	v_bcnt_u32_b32 v2, v2, 0
	v_bcnt_u32_b32 v2, v3, v2
	s_waitcnt lgkmcnt(0)
	v_add_u32_e32 v2, v39, v2
	ds_write_b32 v102, v2
.LBB1429_584:                           ;   in Loop: Header=BB1429_566 Depth=2
	s_or_b64 exec, exec, s[36:37]
	v_cmp_lt_i32_e32 vcc, -1, v4
	v_cndmask_b32_e32 v2, -1, v73, vcc
	v_xor_b32_e32 v104, v2, v4
	v_cmp_ne_u32_e32 vcc, s64, v104
	v_cndmask_b32_e32 v2, v73, v104, vcc
	v_lshrrev_b32_e32 v2, s77, v2
	v_and_b32_e32 v2, s85, v2
	v_mul_u32_u24_e32 v3, 5, v2
	v_add_lshl_u32 v3, v3, v98, 2
	; wave barrier
	v_add_u32_e32 v106, 0x410, v3
	ds_read_b32 v105, v3 offset:1040
	v_and_b32_e32 v3, 1, v2
	v_add_co_u32_e32 v4, vcc, -1, v3
	v_addc_co_u32_e64 v21, s[36:37], 0, -1, vcc
	v_cmp_ne_u32_e32 vcc, 0, v3
	v_xor_b32_e32 v3, vcc_hi, v21
	v_lshlrev_b32_e32 v21, 30, v2
	v_xor_b32_e32 v4, vcc_lo, v4
	v_cmp_gt_i64_e32 vcc, 0, v[20:21]
	v_not_b32_e32 v21, v21
	v_ashrrev_i32_e32 v21, 31, v21
	v_and_b32_e32 v4, exec_lo, v4
	v_xor_b32_e32 v107, vcc_hi, v21
	v_xor_b32_e32 v21, vcc_lo, v21
	v_and_b32_e32 v4, v4, v21
	v_lshlrev_b32_e32 v21, 29, v2
	v_cmp_gt_i64_e32 vcc, 0, v[20:21]
	v_not_b32_e32 v21, v21
	v_and_b32_e32 v3, exec_hi, v3
	v_ashrrev_i32_e32 v21, 31, v21
	v_and_b32_e32 v3, v3, v107
	v_xor_b32_e32 v107, vcc_hi, v21
	v_xor_b32_e32 v21, vcc_lo, v21
	v_and_b32_e32 v4, v4, v21
	v_lshlrev_b32_e32 v21, 28, v2
	v_cmp_gt_i64_e32 vcc, 0, v[20:21]
	v_not_b32_e32 v21, v21
	v_ashrrev_i32_e32 v21, 31, v21
	v_and_b32_e32 v3, v3, v107
	v_xor_b32_e32 v107, vcc_hi, v21
	v_xor_b32_e32 v21, vcc_lo, v21
	v_and_b32_e32 v4, v4, v21
	v_lshlrev_b32_e32 v21, 27, v2
	v_cmp_gt_i64_e32 vcc, 0, v[20:21]
	v_not_b32_e32 v21, v21
	;; [unrolled: 8-line block ×4, first 2 shown]
	v_ashrrev_i32_e32 v21, 31, v21
	v_and_b32_e32 v3, v3, v107
	v_xor_b32_e32 v107, vcc_hi, v21
	v_xor_b32_e32 v21, vcc_lo, v21
	v_and_b32_e32 v4, v4, v21
	v_lshlrev_b32_e32 v21, 24, v2
	v_not_b32_e32 v2, v21
	v_cmp_gt_i64_e32 vcc, 0, v[20:21]
	v_ashrrev_i32_e32 v2, 31, v2
	v_xor_b32_e32 v21, vcc_hi, v2
	v_xor_b32_e32 v2, vcc_lo, v2
	v_and_b32_e32 v3, v3, v107
	v_and_b32_e32 v2, v4, v2
	;; [unrolled: 1-line block ×3, first 2 shown]
	v_mbcnt_lo_u32_b32 v4, v2, 0
	v_mbcnt_hi_u32_b32 v107, v3, v4
	v_cmp_eq_u32_e32 vcc, 0, v107
	v_cmp_ne_u64_e64 s[36:37], 0, v[2:3]
	s_and_b64 s[38:39], s[36:37], vcc
	; wave barrier
	s_and_saveexec_b64 s[36:37], s[38:39]
	s_cbranch_execz .LBB1429_586
; %bb.585:                              ;   in Loop: Header=BB1429_566 Depth=2
	v_bcnt_u32_b32 v2, v2, 0
	v_bcnt_u32_b32 v2, v3, v2
	s_waitcnt lgkmcnt(0)
	v_add_u32_e32 v2, v105, v2
	ds_write_b32 v106, v2
.LBB1429_586:                           ;   in Loop: Header=BB1429_566 Depth=2
	s_or_b64 exec, exec, s[36:37]
	v_cmp_lt_i32_e32 vcc, -1, v5
	v_cndmask_b32_e32 v2, -1, v73, vcc
	v_xor_b32_e32 v108, v2, v5
	v_cmp_ne_u32_e32 vcc, s64, v108
	v_cndmask_b32_e32 v2, v73, v108, vcc
	v_lshrrev_b32_e32 v2, s77, v2
	v_and_b32_e32 v2, s85, v2
	v_mul_u32_u24_e32 v3, 5, v2
	v_add_lshl_u32 v3, v3, v98, 2
	; wave barrier
	v_add_u32_e32 v110, 0x410, v3
	ds_read_b32 v109, v3 offset:1040
	v_and_b32_e32 v3, 1, v2
	v_add_co_u32_e32 v4, vcc, -1, v3
	v_addc_co_u32_e64 v5, s[36:37], 0, -1, vcc
	v_cmp_ne_u32_e32 vcc, 0, v3
	v_lshlrev_b32_e32 v21, 30, v2
	v_xor_b32_e32 v3, vcc_hi, v5
	v_not_b32_e32 v5, v21
	v_xor_b32_e32 v4, vcc_lo, v4
	v_cmp_gt_i64_e32 vcc, 0, v[20:21]
	v_ashrrev_i32_e32 v5, 31, v5
	v_and_b32_e32 v3, exec_hi, v3
	v_xor_b32_e32 v21, vcc_hi, v5
	v_and_b32_e32 v4, exec_lo, v4
	v_xor_b32_e32 v5, vcc_lo, v5
	v_and_b32_e32 v3, v3, v21
	v_lshlrev_b32_e32 v21, 29, v2
	v_and_b32_e32 v4, v4, v5
	v_not_b32_e32 v5, v21
	v_cmp_gt_i64_e32 vcc, 0, v[20:21]
	v_ashrrev_i32_e32 v5, 31, v5
	v_xor_b32_e32 v21, vcc_hi, v5
	v_xor_b32_e32 v5, vcc_lo, v5
	v_and_b32_e32 v3, v3, v21
	v_lshlrev_b32_e32 v21, 28, v2
	v_and_b32_e32 v4, v4, v5
	v_not_b32_e32 v5, v21
	v_cmp_gt_i64_e32 vcc, 0, v[20:21]
	v_ashrrev_i32_e32 v5, 31, v5
	v_xor_b32_e32 v21, vcc_hi, v5
	;; [unrolled: 8-line block ×5, first 2 shown]
	v_and_b32_e32 v3, v3, v21
	v_lshlrev_b32_e32 v21, 24, v2
	v_not_b32_e32 v2, v21
	v_xor_b32_e32 v5, vcc_lo, v5
	v_cmp_gt_i64_e32 vcc, 0, v[20:21]
	v_ashrrev_i32_e32 v2, 31, v2
	v_and_b32_e32 v4, v4, v5
	v_xor_b32_e32 v5, vcc_hi, v2
	v_xor_b32_e32 v2, vcc_lo, v2
	v_and_b32_e32 v2, v4, v2
	v_and_b32_e32 v3, v3, v5
	v_mbcnt_lo_u32_b32 v4, v2, 0
	v_mbcnt_hi_u32_b32 v111, v3, v4
	v_cmp_eq_u32_e32 vcc, 0, v111
	v_cmp_ne_u64_e64 s[36:37], 0, v[2:3]
	s_and_b64 s[38:39], s[36:37], vcc
	; wave barrier
	s_and_saveexec_b64 s[36:37], s[38:39]
	s_cbranch_execz .LBB1429_588
; %bb.587:                              ;   in Loop: Header=BB1429_566 Depth=2
	v_bcnt_u32_b32 v2, v2, 0
	v_bcnt_u32_b32 v2, v3, v2
	s_waitcnt lgkmcnt(0)
	v_add_u32_e32 v2, v109, v2
	ds_write_b32 v110, v2
.LBB1429_588:                           ;   in Loop: Header=BB1429_566 Depth=2
	s_or_b64 exec, exec, s[36:37]
	v_cmp_lt_i32_e32 vcc, -1, v6
	v_cndmask_b32_e32 v2, -1, v73, vcc
	v_xor_b32_e32 v112, v2, v6
	v_cmp_ne_u32_e32 vcc, s64, v112
	v_cndmask_b32_e32 v2, v73, v112, vcc
	v_lshrrev_b32_e32 v2, s77, v2
	v_and_b32_e32 v2, s85, v2
	v_mul_u32_u24_e32 v3, 5, v2
	v_add_lshl_u32 v3, v3, v98, 2
	; wave barrier
	v_add_u32_e32 v113, 0x410, v3
	ds_read_b32 v6, v3 offset:1040
	v_and_b32_e32 v3, 1, v2
	v_add_co_u32_e32 v4, vcc, -1, v3
	v_addc_co_u32_e64 v5, s[36:37], 0, -1, vcc
	v_cmp_ne_u32_e32 vcc, 0, v3
	v_lshlrev_b32_e32 v21, 30, v2
	v_xor_b32_e32 v3, vcc_hi, v5
	v_not_b32_e32 v5, v21
	v_xor_b32_e32 v4, vcc_lo, v4
	v_cmp_gt_i64_e32 vcc, 0, v[20:21]
	v_ashrrev_i32_e32 v5, 31, v5
	v_and_b32_e32 v3, exec_hi, v3
	v_xor_b32_e32 v21, vcc_hi, v5
	v_and_b32_e32 v4, exec_lo, v4
	v_xor_b32_e32 v5, vcc_lo, v5
	v_and_b32_e32 v3, v3, v21
	v_lshlrev_b32_e32 v21, 29, v2
	v_and_b32_e32 v4, v4, v5
	v_not_b32_e32 v5, v21
	v_cmp_gt_i64_e32 vcc, 0, v[20:21]
	v_ashrrev_i32_e32 v5, 31, v5
	v_xor_b32_e32 v21, vcc_hi, v5
	v_xor_b32_e32 v5, vcc_lo, v5
	v_and_b32_e32 v3, v3, v21
	v_lshlrev_b32_e32 v21, 28, v2
	v_and_b32_e32 v4, v4, v5
	v_not_b32_e32 v5, v21
	v_cmp_gt_i64_e32 vcc, 0, v[20:21]
	v_ashrrev_i32_e32 v5, 31, v5
	v_xor_b32_e32 v21, vcc_hi, v5
	;; [unrolled: 8-line block ×5, first 2 shown]
	v_and_b32_e32 v3, v3, v21
	v_lshlrev_b32_e32 v21, 24, v2
	v_not_b32_e32 v2, v21
	v_xor_b32_e32 v5, vcc_lo, v5
	v_cmp_gt_i64_e32 vcc, 0, v[20:21]
	v_ashrrev_i32_e32 v2, 31, v2
	v_and_b32_e32 v4, v4, v5
	v_xor_b32_e32 v5, vcc_hi, v2
	v_xor_b32_e32 v2, vcc_lo, v2
	v_and_b32_e32 v2, v4, v2
	v_and_b32_e32 v3, v3, v5
	v_mbcnt_lo_u32_b32 v4, v2, 0
	v_mbcnt_hi_u32_b32 v114, v3, v4
	v_cmp_eq_u32_e32 vcc, 0, v114
	v_cmp_ne_u64_e64 s[36:37], 0, v[2:3]
	s_and_b64 s[38:39], s[36:37], vcc
	; wave barrier
	s_and_saveexec_b64 s[36:37], s[38:39]
	s_cbranch_execz .LBB1429_590
; %bb.589:                              ;   in Loop: Header=BB1429_566 Depth=2
	v_bcnt_u32_b32 v2, v2, 0
	v_bcnt_u32_b32 v2, v3, v2
	s_waitcnt lgkmcnt(0)
	v_add_u32_e32 v2, v6, v2
	ds_write_b32 v113, v2
.LBB1429_590:                           ;   in Loop: Header=BB1429_566 Depth=2
	s_or_b64 exec, exec, s[36:37]
	v_cmp_lt_i32_e32 vcc, -1, v7
	v_cndmask_b32_e32 v2, -1, v73, vcc
	v_xor_b32_e32 v115, v2, v7
	v_cmp_ne_u32_e32 vcc, s64, v115
	v_cndmask_b32_e32 v2, v73, v115, vcc
	v_lshrrev_b32_e32 v2, s77, v2
	v_and_b32_e32 v2, s85, v2
	v_mul_u32_u24_e32 v3, 5, v2
	v_add_lshl_u32 v3, v3, v98, 2
	; wave barrier
	v_add_u32_e32 v116, 0x410, v3
	ds_read_b32 v7, v3 offset:1040
	v_and_b32_e32 v3, 1, v2
	v_add_co_u32_e32 v4, vcc, -1, v3
	v_addc_co_u32_e64 v5, s[36:37], 0, -1, vcc
	v_cmp_ne_u32_e32 vcc, 0, v3
	v_lshlrev_b32_e32 v21, 30, v2
	v_xor_b32_e32 v3, vcc_hi, v5
	v_not_b32_e32 v5, v21
	v_xor_b32_e32 v4, vcc_lo, v4
	v_cmp_gt_i64_e32 vcc, 0, v[20:21]
	v_ashrrev_i32_e32 v5, 31, v5
	v_and_b32_e32 v3, exec_hi, v3
	v_xor_b32_e32 v21, vcc_hi, v5
	v_and_b32_e32 v4, exec_lo, v4
	v_xor_b32_e32 v5, vcc_lo, v5
	v_and_b32_e32 v3, v3, v21
	v_lshlrev_b32_e32 v21, 29, v2
	v_and_b32_e32 v4, v4, v5
	v_not_b32_e32 v5, v21
	v_cmp_gt_i64_e32 vcc, 0, v[20:21]
	v_ashrrev_i32_e32 v5, 31, v5
	v_xor_b32_e32 v21, vcc_hi, v5
	v_xor_b32_e32 v5, vcc_lo, v5
	v_and_b32_e32 v3, v3, v21
	v_lshlrev_b32_e32 v21, 28, v2
	v_and_b32_e32 v4, v4, v5
	v_not_b32_e32 v5, v21
	v_cmp_gt_i64_e32 vcc, 0, v[20:21]
	v_ashrrev_i32_e32 v5, 31, v5
	v_xor_b32_e32 v21, vcc_hi, v5
	v_xor_b32_e32 v5, vcc_lo, v5
	v_and_b32_e32 v3, v3, v21
	v_lshlrev_b32_e32 v21, 27, v2
	v_and_b32_e32 v4, v4, v5
	v_not_b32_e32 v5, v21
	v_cmp_gt_i64_e32 vcc, 0, v[20:21]
	v_ashrrev_i32_e32 v5, 31, v5
	v_xor_b32_e32 v21, vcc_hi, v5
	v_xor_b32_e32 v5, vcc_lo, v5
	v_and_b32_e32 v3, v3, v21
	v_lshlrev_b32_e32 v21, 26, v2
	v_and_b32_e32 v4, v4, v5
	v_not_b32_e32 v5, v21
	v_cmp_gt_i64_e32 vcc, 0, v[20:21]
	v_ashrrev_i32_e32 v5, 31, v5
	v_xor_b32_e32 v21, vcc_hi, v5
	v_xor_b32_e32 v5, vcc_lo, v5
	v_and_b32_e32 v3, v3, v21
	v_lshlrev_b32_e32 v21, 25, v2
	v_and_b32_e32 v4, v4, v5
	v_not_b32_e32 v5, v21
	v_cmp_gt_i64_e32 vcc, 0, v[20:21]
	v_ashrrev_i32_e32 v5, 31, v5
	v_xor_b32_e32 v21, vcc_hi, v5
	v_and_b32_e32 v3, v3, v21
	v_lshlrev_b32_e32 v21, 24, v2
	v_not_b32_e32 v2, v21
	v_xor_b32_e32 v5, vcc_lo, v5
	v_cmp_gt_i64_e32 vcc, 0, v[20:21]
	v_ashrrev_i32_e32 v2, 31, v2
	v_and_b32_e32 v4, v4, v5
	v_xor_b32_e32 v5, vcc_hi, v2
	v_xor_b32_e32 v2, vcc_lo, v2
	v_and_b32_e32 v2, v4, v2
	v_and_b32_e32 v3, v3, v5
	v_mbcnt_lo_u32_b32 v4, v2, 0
	v_mbcnt_hi_u32_b32 v117, v3, v4
	v_cmp_eq_u32_e32 vcc, 0, v117
	v_cmp_ne_u64_e64 s[36:37], 0, v[2:3]
	s_and_b64 s[38:39], s[36:37], vcc
	; wave barrier
	s_and_saveexec_b64 s[36:37], s[38:39]
	s_cbranch_execz .LBB1429_592
; %bb.591:                              ;   in Loop: Header=BB1429_566 Depth=2
	v_bcnt_u32_b32 v2, v2, 0
	v_bcnt_u32_b32 v2, v3, v2
	s_waitcnt lgkmcnt(0)
	v_add_u32_e32 v2, v7, v2
	ds_write_b32 v116, v2
.LBB1429_592:                           ;   in Loop: Header=BB1429_566 Depth=2
	s_or_b64 exec, exec, s[36:37]
	v_cmp_lt_i32_e32 vcc, -1, v8
	v_cndmask_b32_e32 v2, -1, v73, vcc
	v_xor_b32_e32 v118, v2, v8
	v_cmp_ne_u32_e32 vcc, s64, v118
	v_cndmask_b32_e32 v2, v73, v118, vcc
	v_lshrrev_b32_e32 v2, s77, v2
	v_and_b32_e32 v2, s85, v2
	v_mul_u32_u24_e32 v3, 5, v2
	v_add_lshl_u32 v3, v3, v98, 2
	; wave barrier
	v_add_u32_e32 v8, 0x410, v3
	ds_read_b32 v119, v3 offset:1040
	v_and_b32_e32 v3, 1, v2
	v_add_co_u32_e32 v4, vcc, -1, v3
	v_addc_co_u32_e64 v5, s[36:37], 0, -1, vcc
	v_cmp_ne_u32_e32 vcc, 0, v3
	v_lshlrev_b32_e32 v21, 30, v2
	v_xor_b32_e32 v3, vcc_hi, v5
	v_not_b32_e32 v5, v21
	v_xor_b32_e32 v4, vcc_lo, v4
	v_cmp_gt_i64_e32 vcc, 0, v[20:21]
	v_ashrrev_i32_e32 v5, 31, v5
	v_and_b32_e32 v3, exec_hi, v3
	v_xor_b32_e32 v21, vcc_hi, v5
	v_and_b32_e32 v4, exec_lo, v4
	v_xor_b32_e32 v5, vcc_lo, v5
	v_and_b32_e32 v3, v3, v21
	v_lshlrev_b32_e32 v21, 29, v2
	v_and_b32_e32 v4, v4, v5
	v_not_b32_e32 v5, v21
	v_cmp_gt_i64_e32 vcc, 0, v[20:21]
	v_ashrrev_i32_e32 v5, 31, v5
	v_xor_b32_e32 v21, vcc_hi, v5
	v_xor_b32_e32 v5, vcc_lo, v5
	v_and_b32_e32 v3, v3, v21
	v_lshlrev_b32_e32 v21, 28, v2
	v_and_b32_e32 v4, v4, v5
	v_not_b32_e32 v5, v21
	v_cmp_gt_i64_e32 vcc, 0, v[20:21]
	v_ashrrev_i32_e32 v5, 31, v5
	v_xor_b32_e32 v21, vcc_hi, v5
	;; [unrolled: 8-line block ×5, first 2 shown]
	v_and_b32_e32 v3, v3, v21
	v_lshlrev_b32_e32 v21, 24, v2
	v_not_b32_e32 v2, v21
	v_xor_b32_e32 v5, vcc_lo, v5
	v_cmp_gt_i64_e32 vcc, 0, v[20:21]
	v_ashrrev_i32_e32 v2, 31, v2
	v_and_b32_e32 v4, v4, v5
	v_xor_b32_e32 v5, vcc_hi, v2
	v_xor_b32_e32 v2, vcc_lo, v2
	v_and_b32_e32 v2, v4, v2
	v_and_b32_e32 v3, v3, v5
	v_mbcnt_lo_u32_b32 v4, v2, 0
	v_mbcnt_hi_u32_b32 v120, v3, v4
	v_cmp_eq_u32_e32 vcc, 0, v120
	v_cmp_ne_u64_e64 s[36:37], 0, v[2:3]
	s_and_b64 s[38:39], s[36:37], vcc
	; wave barrier
	s_and_saveexec_b64 s[36:37], s[38:39]
	s_cbranch_execz .LBB1429_594
; %bb.593:                              ;   in Loop: Header=BB1429_566 Depth=2
	v_bcnt_u32_b32 v2, v2, 0
	v_bcnt_u32_b32 v2, v3, v2
	s_waitcnt lgkmcnt(0)
	v_add_u32_e32 v2, v119, v2
	ds_write_b32 v8, v2
.LBB1429_594:                           ;   in Loop: Header=BB1429_566 Depth=2
	s_or_b64 exec, exec, s[36:37]
	v_cmp_lt_i32_e32 vcc, -1, v9
	v_cndmask_b32_e32 v2, -1, v73, vcc
	v_xor_b32_e32 v121, v2, v9
	v_cmp_ne_u32_e32 vcc, s64, v121
	v_cndmask_b32_e32 v2, v73, v121, vcc
	v_lshrrev_b32_e32 v2, s77, v2
	v_and_b32_e32 v2, s85, v2
	v_mul_u32_u24_e32 v3, 5, v2
	v_add_lshl_u32 v3, v3, v98, 2
	; wave barrier
	v_add_u32_e32 v9, 0x410, v3
	ds_read_b32 v122, v3 offset:1040
	v_and_b32_e32 v3, 1, v2
	v_add_co_u32_e32 v4, vcc, -1, v3
	v_addc_co_u32_e64 v5, s[36:37], 0, -1, vcc
	v_cmp_ne_u32_e32 vcc, 0, v3
	v_lshlrev_b32_e32 v21, 30, v2
	v_xor_b32_e32 v3, vcc_hi, v5
	v_not_b32_e32 v5, v21
	v_xor_b32_e32 v4, vcc_lo, v4
	v_cmp_gt_i64_e32 vcc, 0, v[20:21]
	v_ashrrev_i32_e32 v5, 31, v5
	v_and_b32_e32 v3, exec_hi, v3
	v_xor_b32_e32 v21, vcc_hi, v5
	v_and_b32_e32 v4, exec_lo, v4
	v_xor_b32_e32 v5, vcc_lo, v5
	v_and_b32_e32 v3, v3, v21
	v_lshlrev_b32_e32 v21, 29, v2
	v_and_b32_e32 v4, v4, v5
	v_not_b32_e32 v5, v21
	v_cmp_gt_i64_e32 vcc, 0, v[20:21]
	v_ashrrev_i32_e32 v5, 31, v5
	v_xor_b32_e32 v21, vcc_hi, v5
	v_xor_b32_e32 v5, vcc_lo, v5
	v_and_b32_e32 v3, v3, v21
	v_lshlrev_b32_e32 v21, 28, v2
	v_and_b32_e32 v4, v4, v5
	v_not_b32_e32 v5, v21
	v_cmp_gt_i64_e32 vcc, 0, v[20:21]
	v_ashrrev_i32_e32 v5, 31, v5
	v_xor_b32_e32 v21, vcc_hi, v5
	;; [unrolled: 8-line block ×5, first 2 shown]
	v_and_b32_e32 v3, v3, v21
	v_lshlrev_b32_e32 v21, 24, v2
	v_not_b32_e32 v2, v21
	v_xor_b32_e32 v5, vcc_lo, v5
	v_cmp_gt_i64_e32 vcc, 0, v[20:21]
	v_ashrrev_i32_e32 v2, 31, v2
	v_and_b32_e32 v4, v4, v5
	v_xor_b32_e32 v5, vcc_hi, v2
	v_xor_b32_e32 v2, vcc_lo, v2
	v_and_b32_e32 v2, v4, v2
	v_and_b32_e32 v3, v3, v5
	v_mbcnt_lo_u32_b32 v4, v2, 0
	v_mbcnt_hi_u32_b32 v123, v3, v4
	v_cmp_eq_u32_e32 vcc, 0, v123
	v_cmp_ne_u64_e64 s[36:37], 0, v[2:3]
	s_and_b64 s[38:39], s[36:37], vcc
	; wave barrier
	s_and_saveexec_b64 s[36:37], s[38:39]
	s_cbranch_execz .LBB1429_596
; %bb.595:                              ;   in Loop: Header=BB1429_566 Depth=2
	v_bcnt_u32_b32 v2, v2, 0
	v_bcnt_u32_b32 v2, v3, v2
	s_waitcnt lgkmcnt(0)
	v_add_u32_e32 v2, v122, v2
	ds_write_b32 v9, v2
.LBB1429_596:                           ;   in Loop: Header=BB1429_566 Depth=2
	s_or_b64 exec, exec, s[36:37]
	; wave barrier
	s_waitcnt lgkmcnt(0)
	s_barrier
	ds_read_b32 v21, v50 offset:1040
	ds_read2_b32 v[4:5], v52 offset0:1 offset1:2
	ds_read2_b32 v[2:3], v52 offset0:3 offset1:4
	s_waitcnt lgkmcnt(1)
	v_add3_u32 v124, v4, v21, v5
	s_waitcnt lgkmcnt(0)
	v_add3_u32 v3, v124, v2, v3
	s_nop 1
	v_mov_b32_dpp v124, v3 row_shr:1 row_mask:0xf bank_mask:0xf
	v_cndmask_b32_e64 v124, v124, 0, s[16:17]
	v_add_u32_e32 v3, v124, v3
	s_nop 1
	v_mov_b32_dpp v124, v3 row_shr:2 row_mask:0xf bank_mask:0xf
	v_cndmask_b32_e64 v124, 0, v124, s[18:19]
	v_add_u32_e32 v3, v3, v124
	;; [unrolled: 4-line block ×4, first 2 shown]
	s_nop 1
	v_mov_b32_dpp v124, v3 row_bcast:15 row_mask:0xf bank_mask:0xf
	v_cndmask_b32_e64 v124, v124, 0, s[24:25]
	v_add_u32_e32 v3, v3, v124
	s_nop 1
	v_mov_b32_dpp v124, v3 row_bcast:31 row_mask:0xf bank_mask:0xf
	v_cndmask_b32_e64 v124, 0, v124, s[26:27]
	v_add_u32_e32 v3, v3, v124
	s_and_saveexec_b64 s[36:37], s[6:7]
	s_cbranch_execz .LBB1429_598
; %bb.597:                              ;   in Loop: Header=BB1429_566 Depth=2
	ds_write_b32 v43, v3 offset:1024
.LBB1429_598:                           ;   in Loop: Header=BB1429_566 Depth=2
	s_or_b64 exec, exec, s[36:37]
	s_waitcnt lgkmcnt(0)
	s_barrier
	s_and_saveexec_b64 s[36:37], s[8:9]
	s_cbranch_execz .LBB1429_600
; %bb.599:                              ;   in Loop: Header=BB1429_566 Depth=2
	ds_read_b32 v124, v53 offset:1024
	s_waitcnt lgkmcnt(0)
	s_nop 0
	v_mov_b32_dpp v125, v124 row_shr:1 row_mask:0xf bank_mask:0xf
	v_cndmask_b32_e64 v125, v125, 0, s[30:31]
	v_add_u32_e32 v124, v125, v124
	s_nop 1
	v_mov_b32_dpp v125, v124 row_shr:2 row_mask:0xf bank_mask:0xf
	v_cndmask_b32_e64 v125, 0, v125, s[34:35]
	v_add_u32_e32 v124, v124, v125
	ds_write_b32 v53, v124 offset:1024
.LBB1429_600:                           ;   in Loop: Header=BB1429_566 Depth=2
	s_or_b64 exec, exec, s[36:37]
	v_mov_b32_e32 v124, 0
	s_waitcnt lgkmcnt(0)
	s_barrier
	s_and_saveexec_b64 s[36:37], s[10:11]
	s_cbranch_execz .LBB1429_602
; %bb.601:                              ;   in Loop: Header=BB1429_566 Depth=2
	ds_read_b32 v124, v43 offset:1020
.LBB1429_602:                           ;   in Loop: Header=BB1429_566 Depth=2
	s_or_b64 exec, exec, s[36:37]
	s_waitcnt lgkmcnt(0)
	v_add_u32_e32 v3, v124, v3
	ds_bpermute_b32 v3, v75, v3
	s_waitcnt lgkmcnt(0)
	v_cndmask_b32_e64 v3, v3, v124, s[28:29]
	v_cndmask_b32_e64 v3, v3, 0, s[12:13]
	v_add_u32_e32 v21, v3, v21
	ds_write_b32 v50, v3 offset:1040
	v_add_u32_e32 v3, v21, v4
	v_add_u32_e32 v4, v3, v5
	;; [unrolled: 1-line block ×3, first 2 shown]
	ds_write2_b32 v52, v21, v3 offset0:1 offset1:2
	ds_write2_b32 v52, v4, v2 offset0:3 offset1:4
	s_waitcnt lgkmcnt(0)
	s_barrier
	ds_read_b32 v2, v102
	ds_read_b32 v3, v106
	;; [unrolled: 1-line block ×8, first 2 shown]
	ds_read_b32 v9, v50 offset:1040
	v_mov_b32_e32 v4, 0x800
	s_and_saveexec_b64 s[36:37], s[14:15]
	s_cbranch_execz .LBB1429_604
; %bb.603:                              ;   in Loop: Header=BB1429_566 Depth=2
	ds_read_b32 v4, v50 offset:1060
.LBB1429_604:                           ;   in Loop: Header=BB1429_566 Depth=2
	s_or_b64 exec, exec, s[36:37]
	s_waitcnt lgkmcnt(0)
	s_barrier
	s_and_saveexec_b64 s[36:37], s[4:5]
	s_cbranch_execz .LBB1429_606
; %bb.605:                              ;   in Loop: Header=BB1429_566 Depth=2
	ds_read_b32 v21, v19
	s_waitcnt lgkmcnt(0)
	v_sub_u32_e32 v9, v21, v9
	ds_write_b32 v19, v9
.LBB1429_606:                           ;   in Loop: Header=BB1429_566 Depth=2
	s_or_b64 exec, exec, s[36:37]
	v_add_u32_e32 v100, v8, v101
	v_add3_u32 v39, v103, v39, v2
	v_lshlrev_b32_e32 v2, 2, v100
	v_add3_u32 v21, v107, v105, v3
	ds_write_b32 v2, v99 offset:1024
	v_lshlrev_b32_e32 v2, 2, v39
	v_add3_u32 v9, v111, v109, v5
	ds_write_b32 v2, v38 offset:1024
	;; [unrolled: 3-line block ×6, first 2 shown]
	v_lshlrev_b32_e32 v2, 2, v6
	ds_write_b32 v2, v118 offset:1024
	v_lshlrev_b32_e32 v2, 2, v5
	v_cmp_lt_u32_e32 vcc, v18, v0
	ds_write_b32 v2, v121 offset:1024
	s_waitcnt lgkmcnt(0)
	s_barrier
	s_and_saveexec_b64 s[38:39], vcc
	s_cbranch_execz .LBB1429_614
; %bb.607:                              ;   in Loop: Header=BB1429_566 Depth=2
	ds_read_b32 v2, v53 offset:1024
	v_mov_b32_e32 v3, v20
	v_mov_b32_e32 v99, s61
	s_waitcnt lgkmcnt(0)
	v_cmp_ne_u32_e64 s[36:37], s64, v2
	v_cndmask_b32_e64 v38, v73, v2, s[36:37]
	v_lshrrev_b32_e32 v38, s77, v38
	v_and_b32_e32 v38, s85, v38
	v_lshlrev_b32_e32 v38, 2, v38
	ds_read_b32 v38, v38
	v_cmp_lt_i32_e64 s[36:37], -1, v2
	v_cndmask_b32_e64 v101, v73, -1, s[36:37]
	v_xor_b32_e32 v101, v101, v2
	s_waitcnt lgkmcnt(0)
	v_add_u32_e32 v2, v38, v18
	v_lshlrev_b64 v[2:3], 2, v[2:3]
	v_add_co_u32_e64 v2, s[36:37], s60, v2
	v_addc_co_u32_e64 v3, s[36:37], v99, v3, s[36:37]
	global_store_dword v[2:3], v101, off
	s_or_b64 exec, exec, s[38:39]
	v_cmp_lt_u32_e64 s[36:37], v23, v0
	s_and_saveexec_b64 s[40:41], s[36:37]
	s_cbranch_execnz .LBB1429_615
.LBB1429_608:                           ;   in Loop: Header=BB1429_566 Depth=2
	s_or_b64 exec, exec, s[40:41]
	v_cmp_lt_u32_e64 s[38:39], v25, v0
	s_and_saveexec_b64 s[42:43], s[38:39]
	s_cbranch_execz .LBB1429_616
.LBB1429_609:                           ;   in Loop: Header=BB1429_566 Depth=2
	ds_read_b32 v2, v58 offset:2048
	v_mov_b32_e32 v3, v20
	v_mov_b32_e32 v99, s61
	s_waitcnt lgkmcnt(0)
	v_cmp_ne_u32_e64 s[40:41], s64, v2
	v_cndmask_b32_e64 v38, v73, v2, s[40:41]
	v_lshrrev_b32_e32 v38, s77, v38
	v_and_b32_e32 v38, s85, v38
	v_lshlrev_b32_e32 v38, 2, v38
	ds_read_b32 v38, v38
	v_cmp_lt_i32_e64 s[40:41], -1, v2
	v_cndmask_b32_e64 v101, v73, -1, s[40:41]
	v_xor_b32_e32 v101, v101, v2
	s_waitcnt lgkmcnt(0)
	v_add_u32_e32 v2, v38, v25
	v_lshlrev_b64 v[2:3], 2, v[2:3]
	v_add_co_u32_e64 v2, s[40:41], s60, v2
	v_addc_co_u32_e64 v3, s[40:41], v99, v3, s[40:41]
	global_store_dword v[2:3], v101, off
	s_or_b64 exec, exec, s[42:43]
	v_cmp_lt_u32_e64 s[40:41], v27, v0
	s_and_saveexec_b64 s[44:45], s[40:41]
	s_cbranch_execnz .LBB1429_617
.LBB1429_610:                           ;   in Loop: Header=BB1429_566 Depth=2
	s_or_b64 exec, exec, s[44:45]
	v_cmp_lt_u32_e64 s[42:43], v22, v0
	s_and_saveexec_b64 s[46:47], s[42:43]
	s_cbranch_execz .LBB1429_618
.LBB1429_611:                           ;   in Loop: Header=BB1429_566 Depth=2
	ds_read_b32 v2, v58 offset:4096
	v_mov_b32_e32 v3, v20
	v_mov_b32_e32 v99, s61
	s_waitcnt lgkmcnt(0)
	v_cmp_ne_u32_e64 s[44:45], s64, v2
	v_cndmask_b32_e64 v38, v73, v2, s[44:45]
	v_lshrrev_b32_e32 v38, s77, v38
	v_and_b32_e32 v38, s85, v38
	v_lshlrev_b32_e32 v38, 2, v38
	ds_read_b32 v38, v38
	v_cmp_lt_i32_e64 s[44:45], -1, v2
	v_cndmask_b32_e64 v101, v73, -1, s[44:45]
	v_xor_b32_e32 v101, v101, v2
	s_waitcnt lgkmcnt(0)
	v_add_u32_e32 v2, v38, v22
	v_lshlrev_b64 v[2:3], 2, v[2:3]
	v_add_co_u32_e64 v2, s[44:45], s60, v2
	v_addc_co_u32_e64 v3, s[44:45], v99, v3, s[44:45]
	global_store_dword v[2:3], v101, off
	s_or_b64 exec, exec, s[46:47]
	v_cmp_lt_u32_e64 s[44:45], v24, v0
	s_and_saveexec_b64 s[48:49], s[44:45]
	s_cbranch_execnz .LBB1429_619
.LBB1429_612:                           ;   in Loop: Header=BB1429_566 Depth=2
	s_or_b64 exec, exec, s[48:49]
	v_cmp_lt_u32_e64 s[46:47], v26, v0
	s_and_saveexec_b64 s[52:53], s[46:47]
	s_cbranch_execz .LBB1429_620
.LBB1429_613:                           ;   in Loop: Header=BB1429_566 Depth=2
	ds_read_b32 v2, v58 offset:6144
	v_mov_b32_e32 v3, v20
	v_mov_b32_e32 v99, s61
	s_waitcnt lgkmcnt(0)
	v_cmp_ne_u32_e64 s[48:49], s64, v2
	v_cndmask_b32_e64 v38, v73, v2, s[48:49]
	v_lshrrev_b32_e32 v38, s77, v38
	v_and_b32_e32 v38, s85, v38
	v_lshlrev_b32_e32 v38, 2, v38
	ds_read_b32 v38, v38
	v_cmp_lt_i32_e64 s[48:49], -1, v2
	v_cndmask_b32_e64 v101, v73, -1, s[48:49]
	v_xor_b32_e32 v101, v101, v2
	s_waitcnt lgkmcnt(0)
	v_add_u32_e32 v2, v38, v26
	v_lshlrev_b64 v[2:3], 2, v[2:3]
	v_add_co_u32_e64 v2, s[48:49], s60, v2
	v_addc_co_u32_e64 v3, s[48:49], v99, v3, s[48:49]
	global_store_dword v[2:3], v101, off
	s_or_b64 exec, exec, s[52:53]
	v_cmp_lt_u32_e64 s[48:49], v28, v0
	s_and_saveexec_b64 s[62:63], s[48:49]
	s_cbranch_execnz .LBB1429_621
	s_branch .LBB1429_622
.LBB1429_614:                           ;   in Loop: Header=BB1429_566 Depth=2
	s_or_b64 exec, exec, s[38:39]
	v_cmp_lt_u32_e64 s[36:37], v23, v0
	s_and_saveexec_b64 s[40:41], s[36:37]
	s_cbranch_execz .LBB1429_608
.LBB1429_615:                           ;   in Loop: Header=BB1429_566 Depth=2
	ds_read_b32 v2, v58 offset:1024
	v_mov_b32_e32 v3, v20
	v_mov_b32_e32 v99, s61
	s_waitcnt lgkmcnt(0)
	v_cmp_ne_u32_e64 s[38:39], s64, v2
	v_cndmask_b32_e64 v38, v73, v2, s[38:39]
	v_lshrrev_b32_e32 v38, s77, v38
	v_and_b32_e32 v38, s85, v38
	v_lshlrev_b32_e32 v38, 2, v38
	ds_read_b32 v38, v38
	v_cmp_lt_i32_e64 s[38:39], -1, v2
	v_cndmask_b32_e64 v101, v73, -1, s[38:39]
	v_xor_b32_e32 v101, v101, v2
	s_waitcnt lgkmcnt(0)
	v_add_u32_e32 v2, v38, v23
	v_lshlrev_b64 v[2:3], 2, v[2:3]
	v_add_co_u32_e64 v2, s[38:39], s60, v2
	v_addc_co_u32_e64 v3, s[38:39], v99, v3, s[38:39]
	global_store_dword v[2:3], v101, off
	s_or_b64 exec, exec, s[40:41]
	v_cmp_lt_u32_e64 s[38:39], v25, v0
	s_and_saveexec_b64 s[42:43], s[38:39]
	s_cbranch_execnz .LBB1429_609
.LBB1429_616:                           ;   in Loop: Header=BB1429_566 Depth=2
	s_or_b64 exec, exec, s[42:43]
	v_cmp_lt_u32_e64 s[40:41], v27, v0
	s_and_saveexec_b64 s[44:45], s[40:41]
	s_cbranch_execz .LBB1429_610
.LBB1429_617:                           ;   in Loop: Header=BB1429_566 Depth=2
	ds_read_b32 v2, v58 offset:3072
	v_mov_b32_e32 v3, v20
	v_mov_b32_e32 v99, s61
	s_waitcnt lgkmcnt(0)
	v_cmp_ne_u32_e64 s[42:43], s64, v2
	v_cndmask_b32_e64 v38, v73, v2, s[42:43]
	v_lshrrev_b32_e32 v38, s77, v38
	v_and_b32_e32 v38, s85, v38
	v_lshlrev_b32_e32 v38, 2, v38
	ds_read_b32 v38, v38
	v_cmp_lt_i32_e64 s[42:43], -1, v2
	v_cndmask_b32_e64 v101, v73, -1, s[42:43]
	v_xor_b32_e32 v101, v101, v2
	s_waitcnt lgkmcnt(0)
	v_add_u32_e32 v2, v38, v27
	v_lshlrev_b64 v[2:3], 2, v[2:3]
	v_add_co_u32_e64 v2, s[42:43], s60, v2
	v_addc_co_u32_e64 v3, s[42:43], v99, v3, s[42:43]
	global_store_dword v[2:3], v101, off
	s_or_b64 exec, exec, s[44:45]
	v_cmp_lt_u32_e64 s[42:43], v22, v0
	s_and_saveexec_b64 s[46:47], s[42:43]
	s_cbranch_execnz .LBB1429_611
.LBB1429_618:                           ;   in Loop: Header=BB1429_566 Depth=2
	s_or_b64 exec, exec, s[46:47]
	v_cmp_lt_u32_e64 s[44:45], v24, v0
	s_and_saveexec_b64 s[48:49], s[44:45]
	s_cbranch_execz .LBB1429_612
.LBB1429_619:                           ;   in Loop: Header=BB1429_566 Depth=2
	ds_read_b32 v2, v58 offset:5120
	v_mov_b32_e32 v3, v20
	v_mov_b32_e32 v99, s61
	s_waitcnt lgkmcnt(0)
	v_cmp_ne_u32_e64 s[46:47], s64, v2
	v_cndmask_b32_e64 v38, v73, v2, s[46:47]
	v_lshrrev_b32_e32 v38, s77, v38
	v_and_b32_e32 v38, s85, v38
	v_lshlrev_b32_e32 v38, 2, v38
	ds_read_b32 v38, v38
	v_cmp_lt_i32_e64 s[46:47], -1, v2
	v_cndmask_b32_e64 v101, v73, -1, s[46:47]
	v_xor_b32_e32 v101, v101, v2
	s_waitcnt lgkmcnt(0)
	v_add_u32_e32 v2, v38, v24
	v_lshlrev_b64 v[2:3], 2, v[2:3]
	v_add_co_u32_e64 v2, s[46:47], s60, v2
	v_addc_co_u32_e64 v3, s[46:47], v99, v3, s[46:47]
	global_store_dword v[2:3], v101, off
	s_or_b64 exec, exec, s[48:49]
	v_cmp_lt_u32_e64 s[46:47], v26, v0
	s_and_saveexec_b64 s[52:53], s[46:47]
	s_cbranch_execnz .LBB1429_613
.LBB1429_620:                           ;   in Loop: Header=BB1429_566 Depth=2
	s_or_b64 exec, exec, s[52:53]
	v_cmp_lt_u32_e64 s[48:49], v28, v0
	s_and_saveexec_b64 s[62:63], s[48:49]
	s_cbranch_execz .LBB1429_622
.LBB1429_621:                           ;   in Loop: Header=BB1429_566 Depth=2
	ds_read_b32 v2, v58 offset:7168
	v_mov_b32_e32 v3, v20
	v_mov_b32_e32 v99, s61
	s_waitcnt lgkmcnt(0)
	v_cmp_ne_u32_e64 s[52:53], s64, v2
	v_cndmask_b32_e64 v38, v73, v2, s[52:53]
	v_lshrrev_b32_e32 v38, s77, v38
	v_and_b32_e32 v38, s85, v38
	v_lshlrev_b32_e32 v38, 2, v38
	ds_read_b32 v38, v38
	v_cmp_lt_i32_e64 s[52:53], -1, v2
	v_cndmask_b32_e64 v101, v73, -1, s[52:53]
	v_xor_b32_e32 v101, v101, v2
	s_waitcnt lgkmcnt(0)
	v_add_u32_e32 v2, v38, v28
	v_lshlrev_b64 v[2:3], 2, v[2:3]
	v_add_co_u32_e64 v2, s[52:53], s60, v2
	v_addc_co_u32_e64 v3, s[52:53], v99, v3, s[52:53]
	global_store_dword v[2:3], v101, off
.LBB1429_622:                           ;   in Loop: Header=BB1429_566 Depth=2
	s_or_b64 exec, exec, s[62:63]
	s_lshl_b64 s[52:53], s[80:81], 3
	v_mov_b32_e32 v3, s53
	v_add_co_u32_e64 v2, s[52:53], s52, v83
	v_addc_co_u32_e64 v3, s[52:53], v85, v3, s[52:53]
	v_cmp_lt_u32_e64 s[52:53], v80, v0
	s_and_saveexec_b64 s[62:63], s[52:53]
	s_xor_b64 s[52:53], exec, s[62:63]
	s_cbranch_execz .LBB1429_638
; %bb.623:                              ;   in Loop: Header=BB1429_566 Depth=2
	global_load_dwordx2 v[36:37], v[2:3], off
	s_or_b64 exec, exec, s[52:53]
	v_cmp_lt_u32_e64 s[52:53], v87, v0
	s_and_saveexec_b64 s[62:63], s[52:53]
	s_cbranch_execnz .LBB1429_639
.LBB1429_624:                           ;   in Loop: Header=BB1429_566 Depth=2
	s_or_b64 exec, exec, s[62:63]
	v_cmp_lt_u32_e64 s[52:53], v88, v0
	s_and_saveexec_b64 s[62:63], s[52:53]
	s_cbranch_execz .LBB1429_640
.LBB1429_625:                           ;   in Loop: Header=BB1429_566 Depth=2
	global_load_dwordx2 v[32:33], v[2:3], off offset:1024
	s_or_b64 exec, exec, s[62:63]
	v_cmp_lt_u32_e64 s[52:53], v89, v0
	s_and_saveexec_b64 s[62:63], s[52:53]
	s_cbranch_execnz .LBB1429_641
.LBB1429_626:                           ;   in Loop: Header=BB1429_566 Depth=2
	s_or_b64 exec, exec, s[62:63]
	v_cmp_lt_u32_e64 s[52:53], v90, v0
	s_and_saveexec_b64 s[62:63], s[52:53]
	s_cbranch_execz .LBB1429_642
.LBB1429_627:                           ;   in Loop: Header=BB1429_566 Depth=2
	global_load_dwordx2 v[16:17], v[2:3], off offset:2048
	s_or_b64 exec, exec, s[62:63]
	v_cmp_lt_u32_e64 s[52:53], v91, v0
	s_and_saveexec_b64 s[62:63], s[52:53]
	s_cbranch_execnz .LBB1429_643
.LBB1429_628:                           ;   in Loop: Header=BB1429_566 Depth=2
	s_or_b64 exec, exec, s[62:63]
	v_cmp_lt_u32_e64 s[52:53], v92, v0
	s_and_saveexec_b64 s[62:63], s[52:53]
	s_cbranch_execz .LBB1429_644
.LBB1429_629:                           ;   in Loop: Header=BB1429_566 Depth=2
	global_load_dwordx2 v[12:13], v[2:3], off offset:3072
	s_or_b64 exec, exec, s[62:63]
	v_cmp_lt_u32_e64 s[52:53], v93, v0
	s_and_saveexec_b64 s[62:63], s[52:53]
	s_cbranch_execnz .LBB1429_645
.LBB1429_630:                           ;   in Loop: Header=BB1429_566 Depth=2
	s_or_b64 exec, exec, s[62:63]
	s_and_saveexec_b64 s[62:63], vcc
	s_cbranch_execz .LBB1429_646
.LBB1429_631:                           ;   in Loop: Header=BB1429_566 Depth=2
	ds_read_b32 v0, v53 offset:1024
	s_waitcnt lgkmcnt(0)
	v_cmp_ne_u32_e64 s[52:53], s64, v0
	v_cndmask_b32_e64 v0, v73, v0, s[52:53]
	v_lshrrev_b32_e32 v0, s77, v0
	v_and_b32_e32 v86, s85, v0
	s_or_b64 exec, exec, s[62:63]
	s_and_saveexec_b64 s[62:63], s[36:37]
	s_cbranch_execnz .LBB1429_647
.LBB1429_632:                           ;   in Loop: Header=BB1429_566 Depth=2
	s_or_b64 exec, exec, s[62:63]
	s_and_saveexec_b64 s[62:63], s[38:39]
	s_cbranch_execz .LBB1429_648
.LBB1429_633:                           ;   in Loop: Header=BB1429_566 Depth=2
	ds_read_b32 v0, v58 offset:2048
	s_waitcnt lgkmcnt(0)
	v_cmp_ne_u32_e64 s[52:53], s64, v0
	v_cndmask_b32_e64 v0, v73, v0, s[52:53]
	v_lshrrev_b32_e32 v0, s77, v0
	v_and_b32_e32 v82, s85, v0
	s_or_b64 exec, exec, s[62:63]
	s_and_saveexec_b64 s[62:63], s[40:41]
	s_cbranch_execnz .LBB1429_649
.LBB1429_634:                           ;   in Loop: Header=BB1429_566 Depth=2
	s_or_b64 exec, exec, s[62:63]
	s_and_saveexec_b64 s[62:63], s[42:43]
	s_cbranch_execz .LBB1429_650
.LBB1429_635:                           ;   in Loop: Header=BB1429_566 Depth=2
	ds_read_b32 v0, v58 offset:4096
	s_waitcnt lgkmcnt(0)
	v_cmp_ne_u32_e64 s[52:53], s64, v0
	v_cndmask_b32_e64 v0, v73, v0, s[52:53]
	v_lshrrev_b32_e32 v0, s77, v0
	v_and_b32_e32 v79, s85, v0
	s_or_b64 exec, exec, s[62:63]
	s_and_saveexec_b64 s[62:63], s[44:45]
	s_cbranch_execnz .LBB1429_651
.LBB1429_636:                           ;   in Loop: Header=BB1429_566 Depth=2
	s_or_b64 exec, exec, s[62:63]
	s_and_saveexec_b64 s[62:63], s[46:47]
	s_cbranch_execz .LBB1429_652
.LBB1429_637:                           ;   in Loop: Header=BB1429_566 Depth=2
	ds_read_b32 v0, v58 offset:6144
	s_waitcnt lgkmcnt(0)
	v_cmp_ne_u32_e64 s[52:53], s64, v0
	v_cndmask_b32_e64 v0, v73, v0, s[52:53]
	v_lshrrev_b32_e32 v0, s77, v0
	v_and_b32_e32 v77, s85, v0
	s_or_b64 exec, exec, s[62:63]
	s_and_saveexec_b64 s[62:63], s[48:49]
	s_cbranch_execnz .LBB1429_653
	s_branch .LBB1429_654
.LBB1429_638:                           ;   in Loop: Header=BB1429_566 Depth=2
	s_or_b64 exec, exec, s[52:53]
	v_cmp_lt_u32_e64 s[52:53], v87, v0
	s_and_saveexec_b64 s[62:63], s[52:53]
	s_cbranch_execz .LBB1429_624
.LBB1429_639:                           ;   in Loop: Header=BB1429_566 Depth=2
	global_load_dwordx2 v[34:35], v[2:3], off offset:512
	s_or_b64 exec, exec, s[62:63]
	v_cmp_lt_u32_e64 s[52:53], v88, v0
	s_and_saveexec_b64 s[62:63], s[52:53]
	s_cbranch_execnz .LBB1429_625
.LBB1429_640:                           ;   in Loop: Header=BB1429_566 Depth=2
	s_or_b64 exec, exec, s[62:63]
	v_cmp_lt_u32_e64 s[52:53], v89, v0
	s_and_saveexec_b64 s[62:63], s[52:53]
	s_cbranch_execz .LBB1429_626
.LBB1429_641:                           ;   in Loop: Header=BB1429_566 Depth=2
	global_load_dwordx2 v[30:31], v[2:3], off offset:1536
	s_or_b64 exec, exec, s[62:63]
	v_cmp_lt_u32_e64 s[52:53], v90, v0
	s_and_saveexec_b64 s[62:63], s[52:53]
	s_cbranch_execnz .LBB1429_627
.LBB1429_642:                           ;   in Loop: Header=BB1429_566 Depth=2
	s_or_b64 exec, exec, s[62:63]
	v_cmp_lt_u32_e64 s[52:53], v91, v0
	s_and_saveexec_b64 s[62:63], s[52:53]
	s_cbranch_execz .LBB1429_628
.LBB1429_643:                           ;   in Loop: Header=BB1429_566 Depth=2
	global_load_dwordx2 v[14:15], v[2:3], off offset:2560
	s_or_b64 exec, exec, s[62:63]
	v_cmp_lt_u32_e64 s[52:53], v92, v0
	s_and_saveexec_b64 s[62:63], s[52:53]
	s_cbranch_execnz .LBB1429_629
.LBB1429_644:                           ;   in Loop: Header=BB1429_566 Depth=2
	s_or_b64 exec, exec, s[62:63]
	v_cmp_lt_u32_e64 s[52:53], v93, v0
	s_and_saveexec_b64 s[62:63], s[52:53]
	s_cbranch_execz .LBB1429_630
.LBB1429_645:                           ;   in Loop: Header=BB1429_566 Depth=2
	global_load_dwordx2 v[10:11], v[2:3], off offset:3584
	s_or_b64 exec, exec, s[62:63]
	s_and_saveexec_b64 s[62:63], vcc
	s_cbranch_execnz .LBB1429_631
.LBB1429_646:                           ;   in Loop: Header=BB1429_566 Depth=2
	s_or_b64 exec, exec, s[62:63]
	s_and_saveexec_b64 s[62:63], s[36:37]
	s_cbranch_execz .LBB1429_632
.LBB1429_647:                           ;   in Loop: Header=BB1429_566 Depth=2
	ds_read_b32 v0, v58 offset:1024
	s_waitcnt lgkmcnt(0)
	v_cmp_ne_u32_e64 s[52:53], s64, v0
	v_cndmask_b32_e64 v0, v73, v0, s[52:53]
	v_lshrrev_b32_e32 v0, s77, v0
	v_and_b32_e32 v84, s85, v0
	s_or_b64 exec, exec, s[62:63]
	s_and_saveexec_b64 s[62:63], s[38:39]
	s_cbranch_execnz .LBB1429_633
.LBB1429_648:                           ;   in Loop: Header=BB1429_566 Depth=2
	s_or_b64 exec, exec, s[62:63]
	s_and_saveexec_b64 s[62:63], s[40:41]
	s_cbranch_execz .LBB1429_634
.LBB1429_649:                           ;   in Loop: Header=BB1429_566 Depth=2
	ds_read_b32 v0, v58 offset:3072
	s_waitcnt lgkmcnt(0)
	v_cmp_ne_u32_e64 s[52:53], s64, v0
	v_cndmask_b32_e64 v0, v73, v0, s[52:53]
	v_lshrrev_b32_e32 v0, s77, v0
	v_and_b32_e32 v81, s85, v0
	s_or_b64 exec, exec, s[62:63]
	s_and_saveexec_b64 s[62:63], s[42:43]
	s_cbranch_execnz .LBB1429_635
.LBB1429_650:                           ;   in Loop: Header=BB1429_566 Depth=2
	s_or_b64 exec, exec, s[62:63]
	s_and_saveexec_b64 s[62:63], s[44:45]
	s_cbranch_execz .LBB1429_636
.LBB1429_651:                           ;   in Loop: Header=BB1429_566 Depth=2
	ds_read_b32 v0, v58 offset:5120
	s_waitcnt lgkmcnt(0)
	v_cmp_ne_u32_e64 s[52:53], s64, v0
	v_cndmask_b32_e64 v0, v73, v0, s[52:53]
	v_lshrrev_b32_e32 v0, s77, v0
	v_and_b32_e32 v78, s85, v0
	s_or_b64 exec, exec, s[62:63]
	s_and_saveexec_b64 s[62:63], s[46:47]
	s_cbranch_execnz .LBB1429_637
.LBB1429_652:                           ;   in Loop: Header=BB1429_566 Depth=2
	s_or_b64 exec, exec, s[62:63]
	s_and_saveexec_b64 s[62:63], s[48:49]
	s_cbranch_execz .LBB1429_654
.LBB1429_653:                           ;   in Loop: Header=BB1429_566 Depth=2
	ds_read_b32 v0, v58 offset:7168
	s_waitcnt lgkmcnt(0)
	v_cmp_ne_u32_e64 s[52:53], s64, v0
	v_cndmask_b32_e64 v0, v73, v0, s[52:53]
	v_lshrrev_b32_e32 v0, s77, v0
	v_and_b32_e32 v76, s85, v0
.LBB1429_654:                           ;   in Loop: Header=BB1429_566 Depth=2
	s_or_b64 exec, exec, s[62:63]
	v_lshlrev_b32_e32 v0, 3, v100
	s_barrier
	s_waitcnt vmcnt(0)
	ds_write_b64 v0, v[36:37] offset:1024
	v_lshlrev_b32_e32 v0, 3, v39
	ds_write_b64 v0, v[34:35] offset:1024
	v_lshlrev_b32_e32 v0, 3, v21
	;; [unrolled: 2-line block ×7, first 2 shown]
	ds_write_b64 v0, v[10:11] offset:1024
	s_waitcnt lgkmcnt(0)
	s_barrier
	s_and_saveexec_b64 s[52:53], vcc
	s_cbranch_execz .LBB1429_662
; %bb.655:                              ;   in Loop: Header=BB1429_566 Depth=2
	v_lshlrev_b32_e32 v0, 2, v86
	ds_read_b32 v0, v0
	v_add_u32_e32 v2, v53, v19
	ds_read_b64 v[2:3], v2 offset:1024
	v_mov_b32_e32 v7, v20
	v_mov_b32_e32 v5, s75
	s_waitcnt lgkmcnt(1)
	v_add_u32_e32 v6, v0, v18
	v_lshlrev_b64 v[6:7], 3, v[6:7]
	v_add_co_u32_e32 v6, vcc, s74, v6
	v_addc_co_u32_e32 v7, vcc, v5, v7, vcc
	s_waitcnt lgkmcnt(0)
	global_store_dwordx2 v[6:7], v[2:3], off
	s_or_b64 exec, exec, s[52:53]
	v_add_u32_e32 v0, v58, v19
	s_and_saveexec_b64 s[52:53], s[36:37]
	s_cbranch_execnz .LBB1429_663
.LBB1429_656:                           ;   in Loop: Header=BB1429_566 Depth=2
	s_or_b64 exec, exec, s[52:53]
	s_and_saveexec_b64 s[36:37], s[38:39]
	s_cbranch_execz .LBB1429_664
.LBB1429_657:                           ;   in Loop: Header=BB1429_566 Depth=2
	v_lshlrev_b32_e32 v2, 2, v82
	ds_read_b32 v5, v2
	ds_read_b64 v[2:3], v0 offset:4096
	v_mov_b32_e32 v7, v20
	v_mov_b32_e32 v8, s75
	s_waitcnt lgkmcnt(1)
	v_add_u32_e32 v6, v5, v25
	v_lshlrev_b64 v[6:7], 3, v[6:7]
	v_add_co_u32_e32 v6, vcc, s74, v6
	v_addc_co_u32_e32 v7, vcc, v8, v7, vcc
	s_waitcnt lgkmcnt(0)
	global_store_dwordx2 v[6:7], v[2:3], off
	s_or_b64 exec, exec, s[36:37]
	s_and_saveexec_b64 s[36:37], s[40:41]
	s_cbranch_execnz .LBB1429_665
.LBB1429_658:                           ;   in Loop: Header=BB1429_566 Depth=2
	s_or_b64 exec, exec, s[36:37]
	s_and_saveexec_b64 s[36:37], s[42:43]
	s_cbranch_execz .LBB1429_666
.LBB1429_659:                           ;   in Loop: Header=BB1429_566 Depth=2
	v_lshlrev_b32_e32 v2, 2, v79
	ds_read_b32 v5, v2
	ds_read_b64 v[2:3], v0 offset:8192
	v_mov_b32_e32 v7, v20
	v_mov_b32_e32 v8, s75
	s_waitcnt lgkmcnt(1)
	v_add_u32_e32 v6, v5, v22
	v_lshlrev_b64 v[6:7], 3, v[6:7]
	v_add_co_u32_e32 v6, vcc, s74, v6
	v_addc_co_u32_e32 v7, vcc, v8, v7, vcc
	s_waitcnt lgkmcnt(0)
	global_store_dwordx2 v[6:7], v[2:3], off
	s_or_b64 exec, exec, s[36:37]
	s_and_saveexec_b64 s[36:37], s[44:45]
	s_cbranch_execnz .LBB1429_667
.LBB1429_660:                           ;   in Loop: Header=BB1429_566 Depth=2
	s_or_b64 exec, exec, s[36:37]
	s_and_saveexec_b64 s[36:37], s[46:47]
	s_cbranch_execz .LBB1429_668
.LBB1429_661:                           ;   in Loop: Header=BB1429_566 Depth=2
	v_lshlrev_b32_e32 v2, 2, v77
	ds_read_b32 v5, v2
	ds_read_b64 v[2:3], v0 offset:12288
	v_mov_b32_e32 v7, v20
	v_mov_b32_e32 v8, s75
	s_waitcnt lgkmcnt(1)
	v_add_u32_e32 v6, v5, v26
	v_lshlrev_b64 v[6:7], 3, v[6:7]
	v_add_co_u32_e32 v6, vcc, s74, v6
	v_addc_co_u32_e32 v7, vcc, v8, v7, vcc
	s_waitcnt lgkmcnt(0)
	global_store_dwordx2 v[6:7], v[2:3], off
	s_or_b64 exec, exec, s[36:37]
	s_and_saveexec_b64 s[36:37], s[48:49]
	s_cbranch_execnz .LBB1429_669
	s_branch .LBB1429_670
.LBB1429_662:                           ;   in Loop: Header=BB1429_566 Depth=2
	s_or_b64 exec, exec, s[52:53]
	v_add_u32_e32 v0, v58, v19
	s_and_saveexec_b64 s[52:53], s[36:37]
	s_cbranch_execz .LBB1429_656
.LBB1429_663:                           ;   in Loop: Header=BB1429_566 Depth=2
	v_lshlrev_b32_e32 v2, 2, v84
	ds_read_b32 v5, v2
	ds_read_b64 v[2:3], v0 offset:2048
	v_mov_b32_e32 v7, v20
	v_mov_b32_e32 v8, s75
	s_waitcnt lgkmcnt(1)
	v_add_u32_e32 v6, v5, v23
	v_lshlrev_b64 v[6:7], 3, v[6:7]
	v_add_co_u32_e32 v6, vcc, s74, v6
	v_addc_co_u32_e32 v7, vcc, v8, v7, vcc
	s_waitcnt lgkmcnt(0)
	global_store_dwordx2 v[6:7], v[2:3], off
	s_or_b64 exec, exec, s[52:53]
	s_and_saveexec_b64 s[36:37], s[38:39]
	s_cbranch_execnz .LBB1429_657
.LBB1429_664:                           ;   in Loop: Header=BB1429_566 Depth=2
	s_or_b64 exec, exec, s[36:37]
	s_and_saveexec_b64 s[36:37], s[40:41]
	s_cbranch_execz .LBB1429_658
.LBB1429_665:                           ;   in Loop: Header=BB1429_566 Depth=2
	v_lshlrev_b32_e32 v2, 2, v81
	ds_read_b32 v5, v2
	ds_read_b64 v[2:3], v0 offset:6144
	v_mov_b32_e32 v7, v20
	v_mov_b32_e32 v8, s75
	s_waitcnt lgkmcnt(1)
	v_add_u32_e32 v6, v5, v27
	v_lshlrev_b64 v[6:7], 3, v[6:7]
	v_add_co_u32_e32 v6, vcc, s74, v6
	v_addc_co_u32_e32 v7, vcc, v8, v7, vcc
	s_waitcnt lgkmcnt(0)
	global_store_dwordx2 v[6:7], v[2:3], off
	s_or_b64 exec, exec, s[36:37]
	s_and_saveexec_b64 s[36:37], s[42:43]
	s_cbranch_execnz .LBB1429_659
.LBB1429_666:                           ;   in Loop: Header=BB1429_566 Depth=2
	s_or_b64 exec, exec, s[36:37]
	s_and_saveexec_b64 s[36:37], s[44:45]
	s_cbranch_execz .LBB1429_660
.LBB1429_667:                           ;   in Loop: Header=BB1429_566 Depth=2
	v_lshlrev_b32_e32 v2, 2, v78
	ds_read_b32 v5, v2
	ds_read_b64 v[2:3], v0 offset:10240
	v_mov_b32_e32 v7, v20
	v_mov_b32_e32 v8, s75
	s_waitcnt lgkmcnt(1)
	v_add_u32_e32 v6, v5, v24
	v_lshlrev_b64 v[6:7], 3, v[6:7]
	v_add_co_u32_e32 v6, vcc, s74, v6
	v_addc_co_u32_e32 v7, vcc, v8, v7, vcc
	s_waitcnt lgkmcnt(0)
	global_store_dwordx2 v[6:7], v[2:3], off
	s_or_b64 exec, exec, s[36:37]
	s_and_saveexec_b64 s[36:37], s[46:47]
	s_cbranch_execnz .LBB1429_661
.LBB1429_668:                           ;   in Loop: Header=BB1429_566 Depth=2
	s_or_b64 exec, exec, s[36:37]
	s_and_saveexec_b64 s[36:37], s[48:49]
	s_cbranch_execz .LBB1429_670
.LBB1429_669:                           ;   in Loop: Header=BB1429_566 Depth=2
	v_lshlrev_b32_e32 v2, 2, v76
	ds_read_b32 v5, v2
	ds_read_b64 v[2:3], v0 offset:14336
	v_mov_b32_e32 v7, v20
	v_mov_b32_e32 v0, s75
	s_waitcnt lgkmcnt(1)
	v_add_u32_e32 v6, v5, v28
	v_lshlrev_b64 v[6:7], 3, v[6:7]
	v_add_co_u32_e32 v6, vcc, s74, v6
	v_addc_co_u32_e32 v7, vcc, v0, v7, vcc
	s_waitcnt lgkmcnt(0)
	global_store_dwordx2 v[6:7], v[2:3], off
.LBB1429_670:                           ;   in Loop: Header=BB1429_566 Depth=2
	s_or_b64 exec, exec, s[36:37]
	s_barrier
	s_and_saveexec_b64 s[36:37], s[4:5]
	s_cbranch_execz .LBB1429_565
; %bb.671:                              ;   in Loop: Header=BB1429_566 Depth=2
	ds_read_b32 v0, v19
	s_waitcnt lgkmcnt(0)
	v_add_u32_e32 v0, v0, v4
	ds_write_b32 v19, v0
	s_branch .LBB1429_565
.LBB1429_672:                           ;   in Loop: Header=BB1429_566 Depth=2
	s_or_b64 exec, exec, s[36:37]
	v_cmp_gt_u32_e32 vcc, s86, v87
	s_and_saveexec_b64 s[36:37], vcc
	s_cbranch_execz .LBB1429_571
.LBB1429_673:                           ;   in Loop: Header=BB1429_566 Depth=2
	global_load_dword v3, v[38:39], off offset:256
	s_or_b64 exec, exec, s[36:37]
	v_cmp_gt_u32_e32 vcc, s86, v88
	s_and_saveexec_b64 s[36:37], vcc
	s_cbranch_execnz .LBB1429_572
.LBB1429_674:                           ;   in Loop: Header=BB1429_566 Depth=2
	s_or_b64 exec, exec, s[36:37]
	v_cmp_gt_u32_e32 vcc, s86, v89
	s_and_saveexec_b64 s[36:37], vcc
	s_cbranch_execz .LBB1429_573
.LBB1429_675:                           ;   in Loop: Header=BB1429_566 Depth=2
	global_load_dword v5, v[38:39], off offset:768
	s_or_b64 exec, exec, s[36:37]
	v_cmp_gt_u32_e32 vcc, s86, v90
	s_and_saveexec_b64 s[36:37], vcc
	s_cbranch_execnz .LBB1429_574
.LBB1429_676:                           ;   in Loop: Header=BB1429_566 Depth=2
	s_or_b64 exec, exec, s[36:37]
	v_cmp_gt_u32_e32 vcc, s86, v91
	s_and_saveexec_b64 s[36:37], vcc
	s_cbranch_execz .LBB1429_575
.LBB1429_677:                           ;   in Loop: Header=BB1429_566 Depth=2
	global_load_dword v7, v[38:39], off offset:1280
	s_or_b64 exec, exec, s[36:37]
	v_cmp_gt_u32_e32 vcc, s86, v92
	s_and_saveexec_b64 s[36:37], vcc
	s_cbranch_execnz .LBB1429_576
	s_branch .LBB1429_577
.LBB1429_678:
	s_endpgm
	.section	.rodata,"a",@progbits
	.p2align	6, 0x0
	.amdhsa_kernel _ZN7rocprim17ROCPRIM_400000_NS6detail17trampoline_kernelINS0_14default_configENS1_36segmented_radix_sort_config_selectorIflEEZNS1_25segmented_radix_sort_implIS3_Lb0EPKfPfPKlPlN2at6native12_GLOBAL__N_18offset_tEEE10hipError_tPvRmT1_PNSt15iterator_traitsISK_E10value_typeET2_T3_PNSL_ISQ_E10value_typeET4_jRbjT5_SW_jjP12ihipStream_tbEUlT_E_NS1_11comp_targetILNS1_3genE4ELNS1_11target_archE910ELNS1_3gpuE8ELNS1_3repE0EEENS1_30default_config_static_selectorELNS0_4arch9wavefront6targetE1EEEvSK_
		.amdhsa_group_segment_fixed_size 17424
		.amdhsa_private_segment_fixed_size 8
		.amdhsa_kernarg_size 352
		.amdhsa_user_sgpr_count 8
		.amdhsa_user_sgpr_private_segment_buffer 1
		.amdhsa_user_sgpr_dispatch_ptr 0
		.amdhsa_user_sgpr_queue_ptr 0
		.amdhsa_user_sgpr_kernarg_segment_ptr 1
		.amdhsa_user_sgpr_dispatch_id 0
		.amdhsa_user_sgpr_flat_scratch_init 1
		.amdhsa_user_sgpr_kernarg_preload_length 0
		.amdhsa_user_sgpr_kernarg_preload_offset 0
		.amdhsa_user_sgpr_private_segment_size 0
		.amdhsa_uses_dynamic_stack 0
		.amdhsa_system_sgpr_private_segment_wavefront_offset 1
		.amdhsa_system_sgpr_workgroup_id_x 1
		.amdhsa_system_sgpr_workgroup_id_y 1
		.amdhsa_system_sgpr_workgroup_id_z 0
		.amdhsa_system_sgpr_workgroup_info 0
		.amdhsa_system_vgpr_workitem_id 2
		.amdhsa_next_free_vgpr 195
		.amdhsa_next_free_sgpr 88
		.amdhsa_accum_offset 196
		.amdhsa_reserve_vcc 1
		.amdhsa_reserve_flat_scratch 1
		.amdhsa_float_round_mode_32 0
		.amdhsa_float_round_mode_16_64 0
		.amdhsa_float_denorm_mode_32 3
		.amdhsa_float_denorm_mode_16_64 3
		.amdhsa_dx10_clamp 1
		.amdhsa_ieee_mode 1
		.amdhsa_fp16_overflow 0
		.amdhsa_tg_split 0
		.amdhsa_exception_fp_ieee_invalid_op 0
		.amdhsa_exception_fp_denorm_src 0
		.amdhsa_exception_fp_ieee_div_zero 0
		.amdhsa_exception_fp_ieee_overflow 0
		.amdhsa_exception_fp_ieee_underflow 0
		.amdhsa_exception_fp_ieee_inexact 0
		.amdhsa_exception_int_div_zero 0
	.end_amdhsa_kernel
	.section	.text._ZN7rocprim17ROCPRIM_400000_NS6detail17trampoline_kernelINS0_14default_configENS1_36segmented_radix_sort_config_selectorIflEEZNS1_25segmented_radix_sort_implIS3_Lb0EPKfPfPKlPlN2at6native12_GLOBAL__N_18offset_tEEE10hipError_tPvRmT1_PNSt15iterator_traitsISK_E10value_typeET2_T3_PNSL_ISQ_E10value_typeET4_jRbjT5_SW_jjP12ihipStream_tbEUlT_E_NS1_11comp_targetILNS1_3genE4ELNS1_11target_archE910ELNS1_3gpuE8ELNS1_3repE0EEENS1_30default_config_static_selectorELNS0_4arch9wavefront6targetE1EEEvSK_,"axG",@progbits,_ZN7rocprim17ROCPRIM_400000_NS6detail17trampoline_kernelINS0_14default_configENS1_36segmented_radix_sort_config_selectorIflEEZNS1_25segmented_radix_sort_implIS3_Lb0EPKfPfPKlPlN2at6native12_GLOBAL__N_18offset_tEEE10hipError_tPvRmT1_PNSt15iterator_traitsISK_E10value_typeET2_T3_PNSL_ISQ_E10value_typeET4_jRbjT5_SW_jjP12ihipStream_tbEUlT_E_NS1_11comp_targetILNS1_3genE4ELNS1_11target_archE910ELNS1_3gpuE8ELNS1_3repE0EEENS1_30default_config_static_selectorELNS0_4arch9wavefront6targetE1EEEvSK_,comdat
.Lfunc_end1429:
	.size	_ZN7rocprim17ROCPRIM_400000_NS6detail17trampoline_kernelINS0_14default_configENS1_36segmented_radix_sort_config_selectorIflEEZNS1_25segmented_radix_sort_implIS3_Lb0EPKfPfPKlPlN2at6native12_GLOBAL__N_18offset_tEEE10hipError_tPvRmT1_PNSt15iterator_traitsISK_E10value_typeET2_T3_PNSL_ISQ_E10value_typeET4_jRbjT5_SW_jjP12ihipStream_tbEUlT_E_NS1_11comp_targetILNS1_3genE4ELNS1_11target_archE910ELNS1_3gpuE8ELNS1_3repE0EEENS1_30default_config_static_selectorELNS0_4arch9wavefront6targetE1EEEvSK_, .Lfunc_end1429-_ZN7rocprim17ROCPRIM_400000_NS6detail17trampoline_kernelINS0_14default_configENS1_36segmented_radix_sort_config_selectorIflEEZNS1_25segmented_radix_sort_implIS3_Lb0EPKfPfPKlPlN2at6native12_GLOBAL__N_18offset_tEEE10hipError_tPvRmT1_PNSt15iterator_traitsISK_E10value_typeET2_T3_PNSL_ISQ_E10value_typeET4_jRbjT5_SW_jjP12ihipStream_tbEUlT_E_NS1_11comp_targetILNS1_3genE4ELNS1_11target_archE910ELNS1_3gpuE8ELNS1_3repE0EEENS1_30default_config_static_selectorELNS0_4arch9wavefront6targetE1EEEvSK_
                                        ; -- End function
	.section	.AMDGPU.csdata,"",@progbits
; Kernel info:
; codeLenInByte = 38788
; NumSgprs: 94
; NumVgprs: 195
; NumAgprs: 0
; TotalNumVgprs: 195
; ScratchSize: 8
; MemoryBound: 0
; FloatMode: 240
; IeeeMode: 1
; LDSByteSize: 17424 bytes/workgroup (compile time only)
; SGPRBlocks: 11
; VGPRBlocks: 24
; NumSGPRsForWavesPerEU: 94
; NumVGPRsForWavesPerEU: 195
; AccumOffset: 196
; Occupancy: 2
; WaveLimiterHint : 1
; COMPUTE_PGM_RSRC2:SCRATCH_EN: 1
; COMPUTE_PGM_RSRC2:USER_SGPR: 8
; COMPUTE_PGM_RSRC2:TRAP_HANDLER: 0
; COMPUTE_PGM_RSRC2:TGID_X_EN: 1
; COMPUTE_PGM_RSRC2:TGID_Y_EN: 1
; COMPUTE_PGM_RSRC2:TGID_Z_EN: 0
; COMPUTE_PGM_RSRC2:TIDIG_COMP_CNT: 2
; COMPUTE_PGM_RSRC3_GFX90A:ACCUM_OFFSET: 48
; COMPUTE_PGM_RSRC3_GFX90A:TG_SPLIT: 0
	.section	.text._ZN7rocprim17ROCPRIM_400000_NS6detail17trampoline_kernelINS0_14default_configENS1_36segmented_radix_sort_config_selectorIflEEZNS1_25segmented_radix_sort_implIS3_Lb0EPKfPfPKlPlN2at6native12_GLOBAL__N_18offset_tEEE10hipError_tPvRmT1_PNSt15iterator_traitsISK_E10value_typeET2_T3_PNSL_ISQ_E10value_typeET4_jRbjT5_SW_jjP12ihipStream_tbEUlT_E_NS1_11comp_targetILNS1_3genE3ELNS1_11target_archE908ELNS1_3gpuE7ELNS1_3repE0EEENS1_30default_config_static_selectorELNS0_4arch9wavefront6targetE1EEEvSK_,"axG",@progbits,_ZN7rocprim17ROCPRIM_400000_NS6detail17trampoline_kernelINS0_14default_configENS1_36segmented_radix_sort_config_selectorIflEEZNS1_25segmented_radix_sort_implIS3_Lb0EPKfPfPKlPlN2at6native12_GLOBAL__N_18offset_tEEE10hipError_tPvRmT1_PNSt15iterator_traitsISK_E10value_typeET2_T3_PNSL_ISQ_E10value_typeET4_jRbjT5_SW_jjP12ihipStream_tbEUlT_E_NS1_11comp_targetILNS1_3genE3ELNS1_11target_archE908ELNS1_3gpuE7ELNS1_3repE0EEENS1_30default_config_static_selectorELNS0_4arch9wavefront6targetE1EEEvSK_,comdat
	.globl	_ZN7rocprim17ROCPRIM_400000_NS6detail17trampoline_kernelINS0_14default_configENS1_36segmented_radix_sort_config_selectorIflEEZNS1_25segmented_radix_sort_implIS3_Lb0EPKfPfPKlPlN2at6native12_GLOBAL__N_18offset_tEEE10hipError_tPvRmT1_PNSt15iterator_traitsISK_E10value_typeET2_T3_PNSL_ISQ_E10value_typeET4_jRbjT5_SW_jjP12ihipStream_tbEUlT_E_NS1_11comp_targetILNS1_3genE3ELNS1_11target_archE908ELNS1_3gpuE7ELNS1_3repE0EEENS1_30default_config_static_selectorELNS0_4arch9wavefront6targetE1EEEvSK_ ; -- Begin function _ZN7rocprim17ROCPRIM_400000_NS6detail17trampoline_kernelINS0_14default_configENS1_36segmented_radix_sort_config_selectorIflEEZNS1_25segmented_radix_sort_implIS3_Lb0EPKfPfPKlPlN2at6native12_GLOBAL__N_18offset_tEEE10hipError_tPvRmT1_PNSt15iterator_traitsISK_E10value_typeET2_T3_PNSL_ISQ_E10value_typeET4_jRbjT5_SW_jjP12ihipStream_tbEUlT_E_NS1_11comp_targetILNS1_3genE3ELNS1_11target_archE908ELNS1_3gpuE7ELNS1_3repE0EEENS1_30default_config_static_selectorELNS0_4arch9wavefront6targetE1EEEvSK_
	.p2align	8
	.type	_ZN7rocprim17ROCPRIM_400000_NS6detail17trampoline_kernelINS0_14default_configENS1_36segmented_radix_sort_config_selectorIflEEZNS1_25segmented_radix_sort_implIS3_Lb0EPKfPfPKlPlN2at6native12_GLOBAL__N_18offset_tEEE10hipError_tPvRmT1_PNSt15iterator_traitsISK_E10value_typeET2_T3_PNSL_ISQ_E10value_typeET4_jRbjT5_SW_jjP12ihipStream_tbEUlT_E_NS1_11comp_targetILNS1_3genE3ELNS1_11target_archE908ELNS1_3gpuE7ELNS1_3repE0EEENS1_30default_config_static_selectorELNS0_4arch9wavefront6targetE1EEEvSK_,@function
_ZN7rocprim17ROCPRIM_400000_NS6detail17trampoline_kernelINS0_14default_configENS1_36segmented_radix_sort_config_selectorIflEEZNS1_25segmented_radix_sort_implIS3_Lb0EPKfPfPKlPlN2at6native12_GLOBAL__N_18offset_tEEE10hipError_tPvRmT1_PNSt15iterator_traitsISK_E10value_typeET2_T3_PNSL_ISQ_E10value_typeET4_jRbjT5_SW_jjP12ihipStream_tbEUlT_E_NS1_11comp_targetILNS1_3genE3ELNS1_11target_archE908ELNS1_3gpuE7ELNS1_3repE0EEENS1_30default_config_static_selectorELNS0_4arch9wavefront6targetE1EEEvSK_: ; @_ZN7rocprim17ROCPRIM_400000_NS6detail17trampoline_kernelINS0_14default_configENS1_36segmented_radix_sort_config_selectorIflEEZNS1_25segmented_radix_sort_implIS3_Lb0EPKfPfPKlPlN2at6native12_GLOBAL__N_18offset_tEEE10hipError_tPvRmT1_PNSt15iterator_traitsISK_E10value_typeET2_T3_PNSL_ISQ_E10value_typeET4_jRbjT5_SW_jjP12ihipStream_tbEUlT_E_NS1_11comp_targetILNS1_3genE3ELNS1_11target_archE908ELNS1_3gpuE7ELNS1_3repE0EEENS1_30default_config_static_selectorELNS0_4arch9wavefront6targetE1EEEvSK_
; %bb.0:
	.section	.rodata,"a",@progbits
	.p2align	6, 0x0
	.amdhsa_kernel _ZN7rocprim17ROCPRIM_400000_NS6detail17trampoline_kernelINS0_14default_configENS1_36segmented_radix_sort_config_selectorIflEEZNS1_25segmented_radix_sort_implIS3_Lb0EPKfPfPKlPlN2at6native12_GLOBAL__N_18offset_tEEE10hipError_tPvRmT1_PNSt15iterator_traitsISK_E10value_typeET2_T3_PNSL_ISQ_E10value_typeET4_jRbjT5_SW_jjP12ihipStream_tbEUlT_E_NS1_11comp_targetILNS1_3genE3ELNS1_11target_archE908ELNS1_3gpuE7ELNS1_3repE0EEENS1_30default_config_static_selectorELNS0_4arch9wavefront6targetE1EEEvSK_
		.amdhsa_group_segment_fixed_size 0
		.amdhsa_private_segment_fixed_size 0
		.amdhsa_kernarg_size 96
		.amdhsa_user_sgpr_count 6
		.amdhsa_user_sgpr_private_segment_buffer 1
		.amdhsa_user_sgpr_dispatch_ptr 0
		.amdhsa_user_sgpr_queue_ptr 0
		.amdhsa_user_sgpr_kernarg_segment_ptr 1
		.amdhsa_user_sgpr_dispatch_id 0
		.amdhsa_user_sgpr_flat_scratch_init 0
		.amdhsa_user_sgpr_kernarg_preload_length 0
		.amdhsa_user_sgpr_kernarg_preload_offset 0
		.amdhsa_user_sgpr_private_segment_size 0
		.amdhsa_uses_dynamic_stack 0
		.amdhsa_system_sgpr_private_segment_wavefront_offset 0
		.amdhsa_system_sgpr_workgroup_id_x 1
		.amdhsa_system_sgpr_workgroup_id_y 0
		.amdhsa_system_sgpr_workgroup_id_z 0
		.amdhsa_system_sgpr_workgroup_info 0
		.amdhsa_system_vgpr_workitem_id 0
		.amdhsa_next_free_vgpr 1
		.amdhsa_next_free_sgpr 0
		.amdhsa_accum_offset 4
		.amdhsa_reserve_vcc 0
		.amdhsa_reserve_flat_scratch 0
		.amdhsa_float_round_mode_32 0
		.amdhsa_float_round_mode_16_64 0
		.amdhsa_float_denorm_mode_32 3
		.amdhsa_float_denorm_mode_16_64 3
		.amdhsa_dx10_clamp 1
		.amdhsa_ieee_mode 1
		.amdhsa_fp16_overflow 0
		.amdhsa_tg_split 0
		.amdhsa_exception_fp_ieee_invalid_op 0
		.amdhsa_exception_fp_denorm_src 0
		.amdhsa_exception_fp_ieee_div_zero 0
		.amdhsa_exception_fp_ieee_overflow 0
		.amdhsa_exception_fp_ieee_underflow 0
		.amdhsa_exception_fp_ieee_inexact 0
		.amdhsa_exception_int_div_zero 0
	.end_amdhsa_kernel
	.section	.text._ZN7rocprim17ROCPRIM_400000_NS6detail17trampoline_kernelINS0_14default_configENS1_36segmented_radix_sort_config_selectorIflEEZNS1_25segmented_radix_sort_implIS3_Lb0EPKfPfPKlPlN2at6native12_GLOBAL__N_18offset_tEEE10hipError_tPvRmT1_PNSt15iterator_traitsISK_E10value_typeET2_T3_PNSL_ISQ_E10value_typeET4_jRbjT5_SW_jjP12ihipStream_tbEUlT_E_NS1_11comp_targetILNS1_3genE3ELNS1_11target_archE908ELNS1_3gpuE7ELNS1_3repE0EEENS1_30default_config_static_selectorELNS0_4arch9wavefront6targetE1EEEvSK_,"axG",@progbits,_ZN7rocprim17ROCPRIM_400000_NS6detail17trampoline_kernelINS0_14default_configENS1_36segmented_radix_sort_config_selectorIflEEZNS1_25segmented_radix_sort_implIS3_Lb0EPKfPfPKlPlN2at6native12_GLOBAL__N_18offset_tEEE10hipError_tPvRmT1_PNSt15iterator_traitsISK_E10value_typeET2_T3_PNSL_ISQ_E10value_typeET4_jRbjT5_SW_jjP12ihipStream_tbEUlT_E_NS1_11comp_targetILNS1_3genE3ELNS1_11target_archE908ELNS1_3gpuE7ELNS1_3repE0EEENS1_30default_config_static_selectorELNS0_4arch9wavefront6targetE1EEEvSK_,comdat
.Lfunc_end1430:
	.size	_ZN7rocprim17ROCPRIM_400000_NS6detail17trampoline_kernelINS0_14default_configENS1_36segmented_radix_sort_config_selectorIflEEZNS1_25segmented_radix_sort_implIS3_Lb0EPKfPfPKlPlN2at6native12_GLOBAL__N_18offset_tEEE10hipError_tPvRmT1_PNSt15iterator_traitsISK_E10value_typeET2_T3_PNSL_ISQ_E10value_typeET4_jRbjT5_SW_jjP12ihipStream_tbEUlT_E_NS1_11comp_targetILNS1_3genE3ELNS1_11target_archE908ELNS1_3gpuE7ELNS1_3repE0EEENS1_30default_config_static_selectorELNS0_4arch9wavefront6targetE1EEEvSK_, .Lfunc_end1430-_ZN7rocprim17ROCPRIM_400000_NS6detail17trampoline_kernelINS0_14default_configENS1_36segmented_radix_sort_config_selectorIflEEZNS1_25segmented_radix_sort_implIS3_Lb0EPKfPfPKlPlN2at6native12_GLOBAL__N_18offset_tEEE10hipError_tPvRmT1_PNSt15iterator_traitsISK_E10value_typeET2_T3_PNSL_ISQ_E10value_typeET4_jRbjT5_SW_jjP12ihipStream_tbEUlT_E_NS1_11comp_targetILNS1_3genE3ELNS1_11target_archE908ELNS1_3gpuE7ELNS1_3repE0EEENS1_30default_config_static_selectorELNS0_4arch9wavefront6targetE1EEEvSK_
                                        ; -- End function
	.section	.AMDGPU.csdata,"",@progbits
; Kernel info:
; codeLenInByte = 0
; NumSgprs: 4
; NumVgprs: 0
; NumAgprs: 0
; TotalNumVgprs: 0
; ScratchSize: 0
; MemoryBound: 0
; FloatMode: 240
; IeeeMode: 1
; LDSByteSize: 0 bytes/workgroup (compile time only)
; SGPRBlocks: 0
; VGPRBlocks: 0
; NumSGPRsForWavesPerEU: 4
; NumVGPRsForWavesPerEU: 1
; AccumOffset: 4
; Occupancy: 8
; WaveLimiterHint : 0
; COMPUTE_PGM_RSRC2:SCRATCH_EN: 0
; COMPUTE_PGM_RSRC2:USER_SGPR: 6
; COMPUTE_PGM_RSRC2:TRAP_HANDLER: 0
; COMPUTE_PGM_RSRC2:TGID_X_EN: 1
; COMPUTE_PGM_RSRC2:TGID_Y_EN: 0
; COMPUTE_PGM_RSRC2:TGID_Z_EN: 0
; COMPUTE_PGM_RSRC2:TIDIG_COMP_CNT: 0
; COMPUTE_PGM_RSRC3_GFX90A:ACCUM_OFFSET: 0
; COMPUTE_PGM_RSRC3_GFX90A:TG_SPLIT: 0
	.section	.text._ZN7rocprim17ROCPRIM_400000_NS6detail17trampoline_kernelINS0_14default_configENS1_36segmented_radix_sort_config_selectorIflEEZNS1_25segmented_radix_sort_implIS3_Lb0EPKfPfPKlPlN2at6native12_GLOBAL__N_18offset_tEEE10hipError_tPvRmT1_PNSt15iterator_traitsISK_E10value_typeET2_T3_PNSL_ISQ_E10value_typeET4_jRbjT5_SW_jjP12ihipStream_tbEUlT_E_NS1_11comp_targetILNS1_3genE2ELNS1_11target_archE906ELNS1_3gpuE6ELNS1_3repE0EEENS1_30default_config_static_selectorELNS0_4arch9wavefront6targetE1EEEvSK_,"axG",@progbits,_ZN7rocprim17ROCPRIM_400000_NS6detail17trampoline_kernelINS0_14default_configENS1_36segmented_radix_sort_config_selectorIflEEZNS1_25segmented_radix_sort_implIS3_Lb0EPKfPfPKlPlN2at6native12_GLOBAL__N_18offset_tEEE10hipError_tPvRmT1_PNSt15iterator_traitsISK_E10value_typeET2_T3_PNSL_ISQ_E10value_typeET4_jRbjT5_SW_jjP12ihipStream_tbEUlT_E_NS1_11comp_targetILNS1_3genE2ELNS1_11target_archE906ELNS1_3gpuE6ELNS1_3repE0EEENS1_30default_config_static_selectorELNS0_4arch9wavefront6targetE1EEEvSK_,comdat
	.globl	_ZN7rocprim17ROCPRIM_400000_NS6detail17trampoline_kernelINS0_14default_configENS1_36segmented_radix_sort_config_selectorIflEEZNS1_25segmented_radix_sort_implIS3_Lb0EPKfPfPKlPlN2at6native12_GLOBAL__N_18offset_tEEE10hipError_tPvRmT1_PNSt15iterator_traitsISK_E10value_typeET2_T3_PNSL_ISQ_E10value_typeET4_jRbjT5_SW_jjP12ihipStream_tbEUlT_E_NS1_11comp_targetILNS1_3genE2ELNS1_11target_archE906ELNS1_3gpuE6ELNS1_3repE0EEENS1_30default_config_static_selectorELNS0_4arch9wavefront6targetE1EEEvSK_ ; -- Begin function _ZN7rocprim17ROCPRIM_400000_NS6detail17trampoline_kernelINS0_14default_configENS1_36segmented_radix_sort_config_selectorIflEEZNS1_25segmented_radix_sort_implIS3_Lb0EPKfPfPKlPlN2at6native12_GLOBAL__N_18offset_tEEE10hipError_tPvRmT1_PNSt15iterator_traitsISK_E10value_typeET2_T3_PNSL_ISQ_E10value_typeET4_jRbjT5_SW_jjP12ihipStream_tbEUlT_E_NS1_11comp_targetILNS1_3genE2ELNS1_11target_archE906ELNS1_3gpuE6ELNS1_3repE0EEENS1_30default_config_static_selectorELNS0_4arch9wavefront6targetE1EEEvSK_
	.p2align	8
	.type	_ZN7rocprim17ROCPRIM_400000_NS6detail17trampoline_kernelINS0_14default_configENS1_36segmented_radix_sort_config_selectorIflEEZNS1_25segmented_radix_sort_implIS3_Lb0EPKfPfPKlPlN2at6native12_GLOBAL__N_18offset_tEEE10hipError_tPvRmT1_PNSt15iterator_traitsISK_E10value_typeET2_T3_PNSL_ISQ_E10value_typeET4_jRbjT5_SW_jjP12ihipStream_tbEUlT_E_NS1_11comp_targetILNS1_3genE2ELNS1_11target_archE906ELNS1_3gpuE6ELNS1_3repE0EEENS1_30default_config_static_selectorELNS0_4arch9wavefront6targetE1EEEvSK_,@function
_ZN7rocprim17ROCPRIM_400000_NS6detail17trampoline_kernelINS0_14default_configENS1_36segmented_radix_sort_config_selectorIflEEZNS1_25segmented_radix_sort_implIS3_Lb0EPKfPfPKlPlN2at6native12_GLOBAL__N_18offset_tEEE10hipError_tPvRmT1_PNSt15iterator_traitsISK_E10value_typeET2_T3_PNSL_ISQ_E10value_typeET4_jRbjT5_SW_jjP12ihipStream_tbEUlT_E_NS1_11comp_targetILNS1_3genE2ELNS1_11target_archE906ELNS1_3gpuE6ELNS1_3repE0EEENS1_30default_config_static_selectorELNS0_4arch9wavefront6targetE1EEEvSK_: ; @_ZN7rocprim17ROCPRIM_400000_NS6detail17trampoline_kernelINS0_14default_configENS1_36segmented_radix_sort_config_selectorIflEEZNS1_25segmented_radix_sort_implIS3_Lb0EPKfPfPKlPlN2at6native12_GLOBAL__N_18offset_tEEE10hipError_tPvRmT1_PNSt15iterator_traitsISK_E10value_typeET2_T3_PNSL_ISQ_E10value_typeET4_jRbjT5_SW_jjP12ihipStream_tbEUlT_E_NS1_11comp_targetILNS1_3genE2ELNS1_11target_archE906ELNS1_3gpuE6ELNS1_3repE0EEENS1_30default_config_static_selectorELNS0_4arch9wavefront6targetE1EEEvSK_
; %bb.0:
	.section	.rodata,"a",@progbits
	.p2align	6, 0x0
	.amdhsa_kernel _ZN7rocprim17ROCPRIM_400000_NS6detail17trampoline_kernelINS0_14default_configENS1_36segmented_radix_sort_config_selectorIflEEZNS1_25segmented_radix_sort_implIS3_Lb0EPKfPfPKlPlN2at6native12_GLOBAL__N_18offset_tEEE10hipError_tPvRmT1_PNSt15iterator_traitsISK_E10value_typeET2_T3_PNSL_ISQ_E10value_typeET4_jRbjT5_SW_jjP12ihipStream_tbEUlT_E_NS1_11comp_targetILNS1_3genE2ELNS1_11target_archE906ELNS1_3gpuE6ELNS1_3repE0EEENS1_30default_config_static_selectorELNS0_4arch9wavefront6targetE1EEEvSK_
		.amdhsa_group_segment_fixed_size 0
		.amdhsa_private_segment_fixed_size 0
		.amdhsa_kernarg_size 96
		.amdhsa_user_sgpr_count 6
		.amdhsa_user_sgpr_private_segment_buffer 1
		.amdhsa_user_sgpr_dispatch_ptr 0
		.amdhsa_user_sgpr_queue_ptr 0
		.amdhsa_user_sgpr_kernarg_segment_ptr 1
		.amdhsa_user_sgpr_dispatch_id 0
		.amdhsa_user_sgpr_flat_scratch_init 0
		.amdhsa_user_sgpr_kernarg_preload_length 0
		.amdhsa_user_sgpr_kernarg_preload_offset 0
		.amdhsa_user_sgpr_private_segment_size 0
		.amdhsa_uses_dynamic_stack 0
		.amdhsa_system_sgpr_private_segment_wavefront_offset 0
		.amdhsa_system_sgpr_workgroup_id_x 1
		.amdhsa_system_sgpr_workgroup_id_y 0
		.amdhsa_system_sgpr_workgroup_id_z 0
		.amdhsa_system_sgpr_workgroup_info 0
		.amdhsa_system_vgpr_workitem_id 0
		.amdhsa_next_free_vgpr 1
		.amdhsa_next_free_sgpr 0
		.amdhsa_accum_offset 4
		.amdhsa_reserve_vcc 0
		.amdhsa_reserve_flat_scratch 0
		.amdhsa_float_round_mode_32 0
		.amdhsa_float_round_mode_16_64 0
		.amdhsa_float_denorm_mode_32 3
		.amdhsa_float_denorm_mode_16_64 3
		.amdhsa_dx10_clamp 1
		.amdhsa_ieee_mode 1
		.amdhsa_fp16_overflow 0
		.amdhsa_tg_split 0
		.amdhsa_exception_fp_ieee_invalid_op 0
		.amdhsa_exception_fp_denorm_src 0
		.amdhsa_exception_fp_ieee_div_zero 0
		.amdhsa_exception_fp_ieee_overflow 0
		.amdhsa_exception_fp_ieee_underflow 0
		.amdhsa_exception_fp_ieee_inexact 0
		.amdhsa_exception_int_div_zero 0
	.end_amdhsa_kernel
	.section	.text._ZN7rocprim17ROCPRIM_400000_NS6detail17trampoline_kernelINS0_14default_configENS1_36segmented_radix_sort_config_selectorIflEEZNS1_25segmented_radix_sort_implIS3_Lb0EPKfPfPKlPlN2at6native12_GLOBAL__N_18offset_tEEE10hipError_tPvRmT1_PNSt15iterator_traitsISK_E10value_typeET2_T3_PNSL_ISQ_E10value_typeET4_jRbjT5_SW_jjP12ihipStream_tbEUlT_E_NS1_11comp_targetILNS1_3genE2ELNS1_11target_archE906ELNS1_3gpuE6ELNS1_3repE0EEENS1_30default_config_static_selectorELNS0_4arch9wavefront6targetE1EEEvSK_,"axG",@progbits,_ZN7rocprim17ROCPRIM_400000_NS6detail17trampoline_kernelINS0_14default_configENS1_36segmented_radix_sort_config_selectorIflEEZNS1_25segmented_radix_sort_implIS3_Lb0EPKfPfPKlPlN2at6native12_GLOBAL__N_18offset_tEEE10hipError_tPvRmT1_PNSt15iterator_traitsISK_E10value_typeET2_T3_PNSL_ISQ_E10value_typeET4_jRbjT5_SW_jjP12ihipStream_tbEUlT_E_NS1_11comp_targetILNS1_3genE2ELNS1_11target_archE906ELNS1_3gpuE6ELNS1_3repE0EEENS1_30default_config_static_selectorELNS0_4arch9wavefront6targetE1EEEvSK_,comdat
.Lfunc_end1431:
	.size	_ZN7rocprim17ROCPRIM_400000_NS6detail17trampoline_kernelINS0_14default_configENS1_36segmented_radix_sort_config_selectorIflEEZNS1_25segmented_radix_sort_implIS3_Lb0EPKfPfPKlPlN2at6native12_GLOBAL__N_18offset_tEEE10hipError_tPvRmT1_PNSt15iterator_traitsISK_E10value_typeET2_T3_PNSL_ISQ_E10value_typeET4_jRbjT5_SW_jjP12ihipStream_tbEUlT_E_NS1_11comp_targetILNS1_3genE2ELNS1_11target_archE906ELNS1_3gpuE6ELNS1_3repE0EEENS1_30default_config_static_selectorELNS0_4arch9wavefront6targetE1EEEvSK_, .Lfunc_end1431-_ZN7rocprim17ROCPRIM_400000_NS6detail17trampoline_kernelINS0_14default_configENS1_36segmented_radix_sort_config_selectorIflEEZNS1_25segmented_radix_sort_implIS3_Lb0EPKfPfPKlPlN2at6native12_GLOBAL__N_18offset_tEEE10hipError_tPvRmT1_PNSt15iterator_traitsISK_E10value_typeET2_T3_PNSL_ISQ_E10value_typeET4_jRbjT5_SW_jjP12ihipStream_tbEUlT_E_NS1_11comp_targetILNS1_3genE2ELNS1_11target_archE906ELNS1_3gpuE6ELNS1_3repE0EEENS1_30default_config_static_selectorELNS0_4arch9wavefront6targetE1EEEvSK_
                                        ; -- End function
	.section	.AMDGPU.csdata,"",@progbits
; Kernel info:
; codeLenInByte = 0
; NumSgprs: 4
; NumVgprs: 0
; NumAgprs: 0
; TotalNumVgprs: 0
; ScratchSize: 0
; MemoryBound: 0
; FloatMode: 240
; IeeeMode: 1
; LDSByteSize: 0 bytes/workgroup (compile time only)
; SGPRBlocks: 0
; VGPRBlocks: 0
; NumSGPRsForWavesPerEU: 4
; NumVGPRsForWavesPerEU: 1
; AccumOffset: 4
; Occupancy: 8
; WaveLimiterHint : 0
; COMPUTE_PGM_RSRC2:SCRATCH_EN: 0
; COMPUTE_PGM_RSRC2:USER_SGPR: 6
; COMPUTE_PGM_RSRC2:TRAP_HANDLER: 0
; COMPUTE_PGM_RSRC2:TGID_X_EN: 1
; COMPUTE_PGM_RSRC2:TGID_Y_EN: 0
; COMPUTE_PGM_RSRC2:TGID_Z_EN: 0
; COMPUTE_PGM_RSRC2:TIDIG_COMP_CNT: 0
; COMPUTE_PGM_RSRC3_GFX90A:ACCUM_OFFSET: 0
; COMPUTE_PGM_RSRC3_GFX90A:TG_SPLIT: 0
	.section	.text._ZN7rocprim17ROCPRIM_400000_NS6detail17trampoline_kernelINS0_14default_configENS1_36segmented_radix_sort_config_selectorIflEEZNS1_25segmented_radix_sort_implIS3_Lb0EPKfPfPKlPlN2at6native12_GLOBAL__N_18offset_tEEE10hipError_tPvRmT1_PNSt15iterator_traitsISK_E10value_typeET2_T3_PNSL_ISQ_E10value_typeET4_jRbjT5_SW_jjP12ihipStream_tbEUlT_E_NS1_11comp_targetILNS1_3genE10ELNS1_11target_archE1201ELNS1_3gpuE5ELNS1_3repE0EEENS1_30default_config_static_selectorELNS0_4arch9wavefront6targetE1EEEvSK_,"axG",@progbits,_ZN7rocprim17ROCPRIM_400000_NS6detail17trampoline_kernelINS0_14default_configENS1_36segmented_radix_sort_config_selectorIflEEZNS1_25segmented_radix_sort_implIS3_Lb0EPKfPfPKlPlN2at6native12_GLOBAL__N_18offset_tEEE10hipError_tPvRmT1_PNSt15iterator_traitsISK_E10value_typeET2_T3_PNSL_ISQ_E10value_typeET4_jRbjT5_SW_jjP12ihipStream_tbEUlT_E_NS1_11comp_targetILNS1_3genE10ELNS1_11target_archE1201ELNS1_3gpuE5ELNS1_3repE0EEENS1_30default_config_static_selectorELNS0_4arch9wavefront6targetE1EEEvSK_,comdat
	.globl	_ZN7rocprim17ROCPRIM_400000_NS6detail17trampoline_kernelINS0_14default_configENS1_36segmented_radix_sort_config_selectorIflEEZNS1_25segmented_radix_sort_implIS3_Lb0EPKfPfPKlPlN2at6native12_GLOBAL__N_18offset_tEEE10hipError_tPvRmT1_PNSt15iterator_traitsISK_E10value_typeET2_T3_PNSL_ISQ_E10value_typeET4_jRbjT5_SW_jjP12ihipStream_tbEUlT_E_NS1_11comp_targetILNS1_3genE10ELNS1_11target_archE1201ELNS1_3gpuE5ELNS1_3repE0EEENS1_30default_config_static_selectorELNS0_4arch9wavefront6targetE1EEEvSK_ ; -- Begin function _ZN7rocprim17ROCPRIM_400000_NS6detail17trampoline_kernelINS0_14default_configENS1_36segmented_radix_sort_config_selectorIflEEZNS1_25segmented_radix_sort_implIS3_Lb0EPKfPfPKlPlN2at6native12_GLOBAL__N_18offset_tEEE10hipError_tPvRmT1_PNSt15iterator_traitsISK_E10value_typeET2_T3_PNSL_ISQ_E10value_typeET4_jRbjT5_SW_jjP12ihipStream_tbEUlT_E_NS1_11comp_targetILNS1_3genE10ELNS1_11target_archE1201ELNS1_3gpuE5ELNS1_3repE0EEENS1_30default_config_static_selectorELNS0_4arch9wavefront6targetE1EEEvSK_
	.p2align	8
	.type	_ZN7rocprim17ROCPRIM_400000_NS6detail17trampoline_kernelINS0_14default_configENS1_36segmented_radix_sort_config_selectorIflEEZNS1_25segmented_radix_sort_implIS3_Lb0EPKfPfPKlPlN2at6native12_GLOBAL__N_18offset_tEEE10hipError_tPvRmT1_PNSt15iterator_traitsISK_E10value_typeET2_T3_PNSL_ISQ_E10value_typeET4_jRbjT5_SW_jjP12ihipStream_tbEUlT_E_NS1_11comp_targetILNS1_3genE10ELNS1_11target_archE1201ELNS1_3gpuE5ELNS1_3repE0EEENS1_30default_config_static_selectorELNS0_4arch9wavefront6targetE1EEEvSK_,@function
_ZN7rocprim17ROCPRIM_400000_NS6detail17trampoline_kernelINS0_14default_configENS1_36segmented_radix_sort_config_selectorIflEEZNS1_25segmented_radix_sort_implIS3_Lb0EPKfPfPKlPlN2at6native12_GLOBAL__N_18offset_tEEE10hipError_tPvRmT1_PNSt15iterator_traitsISK_E10value_typeET2_T3_PNSL_ISQ_E10value_typeET4_jRbjT5_SW_jjP12ihipStream_tbEUlT_E_NS1_11comp_targetILNS1_3genE10ELNS1_11target_archE1201ELNS1_3gpuE5ELNS1_3repE0EEENS1_30default_config_static_selectorELNS0_4arch9wavefront6targetE1EEEvSK_: ; @_ZN7rocprim17ROCPRIM_400000_NS6detail17trampoline_kernelINS0_14default_configENS1_36segmented_radix_sort_config_selectorIflEEZNS1_25segmented_radix_sort_implIS3_Lb0EPKfPfPKlPlN2at6native12_GLOBAL__N_18offset_tEEE10hipError_tPvRmT1_PNSt15iterator_traitsISK_E10value_typeET2_T3_PNSL_ISQ_E10value_typeET4_jRbjT5_SW_jjP12ihipStream_tbEUlT_E_NS1_11comp_targetILNS1_3genE10ELNS1_11target_archE1201ELNS1_3gpuE5ELNS1_3repE0EEENS1_30default_config_static_selectorELNS0_4arch9wavefront6targetE1EEEvSK_
; %bb.0:
	.section	.rodata,"a",@progbits
	.p2align	6, 0x0
	.amdhsa_kernel _ZN7rocprim17ROCPRIM_400000_NS6detail17trampoline_kernelINS0_14default_configENS1_36segmented_radix_sort_config_selectorIflEEZNS1_25segmented_radix_sort_implIS3_Lb0EPKfPfPKlPlN2at6native12_GLOBAL__N_18offset_tEEE10hipError_tPvRmT1_PNSt15iterator_traitsISK_E10value_typeET2_T3_PNSL_ISQ_E10value_typeET4_jRbjT5_SW_jjP12ihipStream_tbEUlT_E_NS1_11comp_targetILNS1_3genE10ELNS1_11target_archE1201ELNS1_3gpuE5ELNS1_3repE0EEENS1_30default_config_static_selectorELNS0_4arch9wavefront6targetE1EEEvSK_
		.amdhsa_group_segment_fixed_size 0
		.amdhsa_private_segment_fixed_size 0
		.amdhsa_kernarg_size 96
		.amdhsa_user_sgpr_count 6
		.amdhsa_user_sgpr_private_segment_buffer 1
		.amdhsa_user_sgpr_dispatch_ptr 0
		.amdhsa_user_sgpr_queue_ptr 0
		.amdhsa_user_sgpr_kernarg_segment_ptr 1
		.amdhsa_user_sgpr_dispatch_id 0
		.amdhsa_user_sgpr_flat_scratch_init 0
		.amdhsa_user_sgpr_kernarg_preload_length 0
		.amdhsa_user_sgpr_kernarg_preload_offset 0
		.amdhsa_user_sgpr_private_segment_size 0
		.amdhsa_uses_dynamic_stack 0
		.amdhsa_system_sgpr_private_segment_wavefront_offset 0
		.amdhsa_system_sgpr_workgroup_id_x 1
		.amdhsa_system_sgpr_workgroup_id_y 0
		.amdhsa_system_sgpr_workgroup_id_z 0
		.amdhsa_system_sgpr_workgroup_info 0
		.amdhsa_system_vgpr_workitem_id 0
		.amdhsa_next_free_vgpr 1
		.amdhsa_next_free_sgpr 0
		.amdhsa_accum_offset 4
		.amdhsa_reserve_vcc 0
		.amdhsa_reserve_flat_scratch 0
		.amdhsa_float_round_mode_32 0
		.amdhsa_float_round_mode_16_64 0
		.amdhsa_float_denorm_mode_32 3
		.amdhsa_float_denorm_mode_16_64 3
		.amdhsa_dx10_clamp 1
		.amdhsa_ieee_mode 1
		.amdhsa_fp16_overflow 0
		.amdhsa_tg_split 0
		.amdhsa_exception_fp_ieee_invalid_op 0
		.amdhsa_exception_fp_denorm_src 0
		.amdhsa_exception_fp_ieee_div_zero 0
		.amdhsa_exception_fp_ieee_overflow 0
		.amdhsa_exception_fp_ieee_underflow 0
		.amdhsa_exception_fp_ieee_inexact 0
		.amdhsa_exception_int_div_zero 0
	.end_amdhsa_kernel
	.section	.text._ZN7rocprim17ROCPRIM_400000_NS6detail17trampoline_kernelINS0_14default_configENS1_36segmented_radix_sort_config_selectorIflEEZNS1_25segmented_radix_sort_implIS3_Lb0EPKfPfPKlPlN2at6native12_GLOBAL__N_18offset_tEEE10hipError_tPvRmT1_PNSt15iterator_traitsISK_E10value_typeET2_T3_PNSL_ISQ_E10value_typeET4_jRbjT5_SW_jjP12ihipStream_tbEUlT_E_NS1_11comp_targetILNS1_3genE10ELNS1_11target_archE1201ELNS1_3gpuE5ELNS1_3repE0EEENS1_30default_config_static_selectorELNS0_4arch9wavefront6targetE1EEEvSK_,"axG",@progbits,_ZN7rocprim17ROCPRIM_400000_NS6detail17trampoline_kernelINS0_14default_configENS1_36segmented_radix_sort_config_selectorIflEEZNS1_25segmented_radix_sort_implIS3_Lb0EPKfPfPKlPlN2at6native12_GLOBAL__N_18offset_tEEE10hipError_tPvRmT1_PNSt15iterator_traitsISK_E10value_typeET2_T3_PNSL_ISQ_E10value_typeET4_jRbjT5_SW_jjP12ihipStream_tbEUlT_E_NS1_11comp_targetILNS1_3genE10ELNS1_11target_archE1201ELNS1_3gpuE5ELNS1_3repE0EEENS1_30default_config_static_selectorELNS0_4arch9wavefront6targetE1EEEvSK_,comdat
.Lfunc_end1432:
	.size	_ZN7rocprim17ROCPRIM_400000_NS6detail17trampoline_kernelINS0_14default_configENS1_36segmented_radix_sort_config_selectorIflEEZNS1_25segmented_radix_sort_implIS3_Lb0EPKfPfPKlPlN2at6native12_GLOBAL__N_18offset_tEEE10hipError_tPvRmT1_PNSt15iterator_traitsISK_E10value_typeET2_T3_PNSL_ISQ_E10value_typeET4_jRbjT5_SW_jjP12ihipStream_tbEUlT_E_NS1_11comp_targetILNS1_3genE10ELNS1_11target_archE1201ELNS1_3gpuE5ELNS1_3repE0EEENS1_30default_config_static_selectorELNS0_4arch9wavefront6targetE1EEEvSK_, .Lfunc_end1432-_ZN7rocprim17ROCPRIM_400000_NS6detail17trampoline_kernelINS0_14default_configENS1_36segmented_radix_sort_config_selectorIflEEZNS1_25segmented_radix_sort_implIS3_Lb0EPKfPfPKlPlN2at6native12_GLOBAL__N_18offset_tEEE10hipError_tPvRmT1_PNSt15iterator_traitsISK_E10value_typeET2_T3_PNSL_ISQ_E10value_typeET4_jRbjT5_SW_jjP12ihipStream_tbEUlT_E_NS1_11comp_targetILNS1_3genE10ELNS1_11target_archE1201ELNS1_3gpuE5ELNS1_3repE0EEENS1_30default_config_static_selectorELNS0_4arch9wavefront6targetE1EEEvSK_
                                        ; -- End function
	.section	.AMDGPU.csdata,"",@progbits
; Kernel info:
; codeLenInByte = 0
; NumSgprs: 4
; NumVgprs: 0
; NumAgprs: 0
; TotalNumVgprs: 0
; ScratchSize: 0
; MemoryBound: 0
; FloatMode: 240
; IeeeMode: 1
; LDSByteSize: 0 bytes/workgroup (compile time only)
; SGPRBlocks: 0
; VGPRBlocks: 0
; NumSGPRsForWavesPerEU: 4
; NumVGPRsForWavesPerEU: 1
; AccumOffset: 4
; Occupancy: 8
; WaveLimiterHint : 0
; COMPUTE_PGM_RSRC2:SCRATCH_EN: 0
; COMPUTE_PGM_RSRC2:USER_SGPR: 6
; COMPUTE_PGM_RSRC2:TRAP_HANDLER: 0
; COMPUTE_PGM_RSRC2:TGID_X_EN: 1
; COMPUTE_PGM_RSRC2:TGID_Y_EN: 0
; COMPUTE_PGM_RSRC2:TGID_Z_EN: 0
; COMPUTE_PGM_RSRC2:TIDIG_COMP_CNT: 0
; COMPUTE_PGM_RSRC3_GFX90A:ACCUM_OFFSET: 0
; COMPUTE_PGM_RSRC3_GFX90A:TG_SPLIT: 0
	.section	.text._ZN7rocprim17ROCPRIM_400000_NS6detail17trampoline_kernelINS0_14default_configENS1_36segmented_radix_sort_config_selectorIflEEZNS1_25segmented_radix_sort_implIS3_Lb0EPKfPfPKlPlN2at6native12_GLOBAL__N_18offset_tEEE10hipError_tPvRmT1_PNSt15iterator_traitsISK_E10value_typeET2_T3_PNSL_ISQ_E10value_typeET4_jRbjT5_SW_jjP12ihipStream_tbEUlT_E_NS1_11comp_targetILNS1_3genE10ELNS1_11target_archE1200ELNS1_3gpuE4ELNS1_3repE0EEENS1_30default_config_static_selectorELNS0_4arch9wavefront6targetE1EEEvSK_,"axG",@progbits,_ZN7rocprim17ROCPRIM_400000_NS6detail17trampoline_kernelINS0_14default_configENS1_36segmented_radix_sort_config_selectorIflEEZNS1_25segmented_radix_sort_implIS3_Lb0EPKfPfPKlPlN2at6native12_GLOBAL__N_18offset_tEEE10hipError_tPvRmT1_PNSt15iterator_traitsISK_E10value_typeET2_T3_PNSL_ISQ_E10value_typeET4_jRbjT5_SW_jjP12ihipStream_tbEUlT_E_NS1_11comp_targetILNS1_3genE10ELNS1_11target_archE1200ELNS1_3gpuE4ELNS1_3repE0EEENS1_30default_config_static_selectorELNS0_4arch9wavefront6targetE1EEEvSK_,comdat
	.globl	_ZN7rocprim17ROCPRIM_400000_NS6detail17trampoline_kernelINS0_14default_configENS1_36segmented_radix_sort_config_selectorIflEEZNS1_25segmented_radix_sort_implIS3_Lb0EPKfPfPKlPlN2at6native12_GLOBAL__N_18offset_tEEE10hipError_tPvRmT1_PNSt15iterator_traitsISK_E10value_typeET2_T3_PNSL_ISQ_E10value_typeET4_jRbjT5_SW_jjP12ihipStream_tbEUlT_E_NS1_11comp_targetILNS1_3genE10ELNS1_11target_archE1200ELNS1_3gpuE4ELNS1_3repE0EEENS1_30default_config_static_selectorELNS0_4arch9wavefront6targetE1EEEvSK_ ; -- Begin function _ZN7rocprim17ROCPRIM_400000_NS6detail17trampoline_kernelINS0_14default_configENS1_36segmented_radix_sort_config_selectorIflEEZNS1_25segmented_radix_sort_implIS3_Lb0EPKfPfPKlPlN2at6native12_GLOBAL__N_18offset_tEEE10hipError_tPvRmT1_PNSt15iterator_traitsISK_E10value_typeET2_T3_PNSL_ISQ_E10value_typeET4_jRbjT5_SW_jjP12ihipStream_tbEUlT_E_NS1_11comp_targetILNS1_3genE10ELNS1_11target_archE1200ELNS1_3gpuE4ELNS1_3repE0EEENS1_30default_config_static_selectorELNS0_4arch9wavefront6targetE1EEEvSK_
	.p2align	8
	.type	_ZN7rocprim17ROCPRIM_400000_NS6detail17trampoline_kernelINS0_14default_configENS1_36segmented_radix_sort_config_selectorIflEEZNS1_25segmented_radix_sort_implIS3_Lb0EPKfPfPKlPlN2at6native12_GLOBAL__N_18offset_tEEE10hipError_tPvRmT1_PNSt15iterator_traitsISK_E10value_typeET2_T3_PNSL_ISQ_E10value_typeET4_jRbjT5_SW_jjP12ihipStream_tbEUlT_E_NS1_11comp_targetILNS1_3genE10ELNS1_11target_archE1200ELNS1_3gpuE4ELNS1_3repE0EEENS1_30default_config_static_selectorELNS0_4arch9wavefront6targetE1EEEvSK_,@function
_ZN7rocprim17ROCPRIM_400000_NS6detail17trampoline_kernelINS0_14default_configENS1_36segmented_radix_sort_config_selectorIflEEZNS1_25segmented_radix_sort_implIS3_Lb0EPKfPfPKlPlN2at6native12_GLOBAL__N_18offset_tEEE10hipError_tPvRmT1_PNSt15iterator_traitsISK_E10value_typeET2_T3_PNSL_ISQ_E10value_typeET4_jRbjT5_SW_jjP12ihipStream_tbEUlT_E_NS1_11comp_targetILNS1_3genE10ELNS1_11target_archE1200ELNS1_3gpuE4ELNS1_3repE0EEENS1_30default_config_static_selectorELNS0_4arch9wavefront6targetE1EEEvSK_: ; @_ZN7rocprim17ROCPRIM_400000_NS6detail17trampoline_kernelINS0_14default_configENS1_36segmented_radix_sort_config_selectorIflEEZNS1_25segmented_radix_sort_implIS3_Lb0EPKfPfPKlPlN2at6native12_GLOBAL__N_18offset_tEEE10hipError_tPvRmT1_PNSt15iterator_traitsISK_E10value_typeET2_T3_PNSL_ISQ_E10value_typeET4_jRbjT5_SW_jjP12ihipStream_tbEUlT_E_NS1_11comp_targetILNS1_3genE10ELNS1_11target_archE1200ELNS1_3gpuE4ELNS1_3repE0EEENS1_30default_config_static_selectorELNS0_4arch9wavefront6targetE1EEEvSK_
; %bb.0:
	.section	.rodata,"a",@progbits
	.p2align	6, 0x0
	.amdhsa_kernel _ZN7rocprim17ROCPRIM_400000_NS6detail17trampoline_kernelINS0_14default_configENS1_36segmented_radix_sort_config_selectorIflEEZNS1_25segmented_radix_sort_implIS3_Lb0EPKfPfPKlPlN2at6native12_GLOBAL__N_18offset_tEEE10hipError_tPvRmT1_PNSt15iterator_traitsISK_E10value_typeET2_T3_PNSL_ISQ_E10value_typeET4_jRbjT5_SW_jjP12ihipStream_tbEUlT_E_NS1_11comp_targetILNS1_3genE10ELNS1_11target_archE1200ELNS1_3gpuE4ELNS1_3repE0EEENS1_30default_config_static_selectorELNS0_4arch9wavefront6targetE1EEEvSK_
		.amdhsa_group_segment_fixed_size 0
		.amdhsa_private_segment_fixed_size 0
		.amdhsa_kernarg_size 96
		.amdhsa_user_sgpr_count 6
		.amdhsa_user_sgpr_private_segment_buffer 1
		.amdhsa_user_sgpr_dispatch_ptr 0
		.amdhsa_user_sgpr_queue_ptr 0
		.amdhsa_user_sgpr_kernarg_segment_ptr 1
		.amdhsa_user_sgpr_dispatch_id 0
		.amdhsa_user_sgpr_flat_scratch_init 0
		.amdhsa_user_sgpr_kernarg_preload_length 0
		.amdhsa_user_sgpr_kernarg_preload_offset 0
		.amdhsa_user_sgpr_private_segment_size 0
		.amdhsa_uses_dynamic_stack 0
		.amdhsa_system_sgpr_private_segment_wavefront_offset 0
		.amdhsa_system_sgpr_workgroup_id_x 1
		.amdhsa_system_sgpr_workgroup_id_y 0
		.amdhsa_system_sgpr_workgroup_id_z 0
		.amdhsa_system_sgpr_workgroup_info 0
		.amdhsa_system_vgpr_workitem_id 0
		.amdhsa_next_free_vgpr 1
		.amdhsa_next_free_sgpr 0
		.amdhsa_accum_offset 4
		.amdhsa_reserve_vcc 0
		.amdhsa_reserve_flat_scratch 0
		.amdhsa_float_round_mode_32 0
		.amdhsa_float_round_mode_16_64 0
		.amdhsa_float_denorm_mode_32 3
		.amdhsa_float_denorm_mode_16_64 3
		.amdhsa_dx10_clamp 1
		.amdhsa_ieee_mode 1
		.amdhsa_fp16_overflow 0
		.amdhsa_tg_split 0
		.amdhsa_exception_fp_ieee_invalid_op 0
		.amdhsa_exception_fp_denorm_src 0
		.amdhsa_exception_fp_ieee_div_zero 0
		.amdhsa_exception_fp_ieee_overflow 0
		.amdhsa_exception_fp_ieee_underflow 0
		.amdhsa_exception_fp_ieee_inexact 0
		.amdhsa_exception_int_div_zero 0
	.end_amdhsa_kernel
	.section	.text._ZN7rocprim17ROCPRIM_400000_NS6detail17trampoline_kernelINS0_14default_configENS1_36segmented_radix_sort_config_selectorIflEEZNS1_25segmented_radix_sort_implIS3_Lb0EPKfPfPKlPlN2at6native12_GLOBAL__N_18offset_tEEE10hipError_tPvRmT1_PNSt15iterator_traitsISK_E10value_typeET2_T3_PNSL_ISQ_E10value_typeET4_jRbjT5_SW_jjP12ihipStream_tbEUlT_E_NS1_11comp_targetILNS1_3genE10ELNS1_11target_archE1200ELNS1_3gpuE4ELNS1_3repE0EEENS1_30default_config_static_selectorELNS0_4arch9wavefront6targetE1EEEvSK_,"axG",@progbits,_ZN7rocprim17ROCPRIM_400000_NS6detail17trampoline_kernelINS0_14default_configENS1_36segmented_radix_sort_config_selectorIflEEZNS1_25segmented_radix_sort_implIS3_Lb0EPKfPfPKlPlN2at6native12_GLOBAL__N_18offset_tEEE10hipError_tPvRmT1_PNSt15iterator_traitsISK_E10value_typeET2_T3_PNSL_ISQ_E10value_typeET4_jRbjT5_SW_jjP12ihipStream_tbEUlT_E_NS1_11comp_targetILNS1_3genE10ELNS1_11target_archE1200ELNS1_3gpuE4ELNS1_3repE0EEENS1_30default_config_static_selectorELNS0_4arch9wavefront6targetE1EEEvSK_,comdat
.Lfunc_end1433:
	.size	_ZN7rocprim17ROCPRIM_400000_NS6detail17trampoline_kernelINS0_14default_configENS1_36segmented_radix_sort_config_selectorIflEEZNS1_25segmented_radix_sort_implIS3_Lb0EPKfPfPKlPlN2at6native12_GLOBAL__N_18offset_tEEE10hipError_tPvRmT1_PNSt15iterator_traitsISK_E10value_typeET2_T3_PNSL_ISQ_E10value_typeET4_jRbjT5_SW_jjP12ihipStream_tbEUlT_E_NS1_11comp_targetILNS1_3genE10ELNS1_11target_archE1200ELNS1_3gpuE4ELNS1_3repE0EEENS1_30default_config_static_selectorELNS0_4arch9wavefront6targetE1EEEvSK_, .Lfunc_end1433-_ZN7rocprim17ROCPRIM_400000_NS6detail17trampoline_kernelINS0_14default_configENS1_36segmented_radix_sort_config_selectorIflEEZNS1_25segmented_radix_sort_implIS3_Lb0EPKfPfPKlPlN2at6native12_GLOBAL__N_18offset_tEEE10hipError_tPvRmT1_PNSt15iterator_traitsISK_E10value_typeET2_T3_PNSL_ISQ_E10value_typeET4_jRbjT5_SW_jjP12ihipStream_tbEUlT_E_NS1_11comp_targetILNS1_3genE10ELNS1_11target_archE1200ELNS1_3gpuE4ELNS1_3repE0EEENS1_30default_config_static_selectorELNS0_4arch9wavefront6targetE1EEEvSK_
                                        ; -- End function
	.section	.AMDGPU.csdata,"",@progbits
; Kernel info:
; codeLenInByte = 0
; NumSgprs: 4
; NumVgprs: 0
; NumAgprs: 0
; TotalNumVgprs: 0
; ScratchSize: 0
; MemoryBound: 0
; FloatMode: 240
; IeeeMode: 1
; LDSByteSize: 0 bytes/workgroup (compile time only)
; SGPRBlocks: 0
; VGPRBlocks: 0
; NumSGPRsForWavesPerEU: 4
; NumVGPRsForWavesPerEU: 1
; AccumOffset: 4
; Occupancy: 8
; WaveLimiterHint : 0
; COMPUTE_PGM_RSRC2:SCRATCH_EN: 0
; COMPUTE_PGM_RSRC2:USER_SGPR: 6
; COMPUTE_PGM_RSRC2:TRAP_HANDLER: 0
; COMPUTE_PGM_RSRC2:TGID_X_EN: 1
; COMPUTE_PGM_RSRC2:TGID_Y_EN: 0
; COMPUTE_PGM_RSRC2:TGID_Z_EN: 0
; COMPUTE_PGM_RSRC2:TIDIG_COMP_CNT: 0
; COMPUTE_PGM_RSRC3_GFX90A:ACCUM_OFFSET: 0
; COMPUTE_PGM_RSRC3_GFX90A:TG_SPLIT: 0
	.section	.text._ZN7rocprim17ROCPRIM_400000_NS6detail17trampoline_kernelINS0_14default_configENS1_36segmented_radix_sort_config_selectorIflEEZNS1_25segmented_radix_sort_implIS3_Lb0EPKfPfPKlPlN2at6native12_GLOBAL__N_18offset_tEEE10hipError_tPvRmT1_PNSt15iterator_traitsISK_E10value_typeET2_T3_PNSL_ISQ_E10value_typeET4_jRbjT5_SW_jjP12ihipStream_tbEUlT_E_NS1_11comp_targetILNS1_3genE9ELNS1_11target_archE1100ELNS1_3gpuE3ELNS1_3repE0EEENS1_30default_config_static_selectorELNS0_4arch9wavefront6targetE1EEEvSK_,"axG",@progbits,_ZN7rocprim17ROCPRIM_400000_NS6detail17trampoline_kernelINS0_14default_configENS1_36segmented_radix_sort_config_selectorIflEEZNS1_25segmented_radix_sort_implIS3_Lb0EPKfPfPKlPlN2at6native12_GLOBAL__N_18offset_tEEE10hipError_tPvRmT1_PNSt15iterator_traitsISK_E10value_typeET2_T3_PNSL_ISQ_E10value_typeET4_jRbjT5_SW_jjP12ihipStream_tbEUlT_E_NS1_11comp_targetILNS1_3genE9ELNS1_11target_archE1100ELNS1_3gpuE3ELNS1_3repE0EEENS1_30default_config_static_selectorELNS0_4arch9wavefront6targetE1EEEvSK_,comdat
	.globl	_ZN7rocprim17ROCPRIM_400000_NS6detail17trampoline_kernelINS0_14default_configENS1_36segmented_radix_sort_config_selectorIflEEZNS1_25segmented_radix_sort_implIS3_Lb0EPKfPfPKlPlN2at6native12_GLOBAL__N_18offset_tEEE10hipError_tPvRmT1_PNSt15iterator_traitsISK_E10value_typeET2_T3_PNSL_ISQ_E10value_typeET4_jRbjT5_SW_jjP12ihipStream_tbEUlT_E_NS1_11comp_targetILNS1_3genE9ELNS1_11target_archE1100ELNS1_3gpuE3ELNS1_3repE0EEENS1_30default_config_static_selectorELNS0_4arch9wavefront6targetE1EEEvSK_ ; -- Begin function _ZN7rocprim17ROCPRIM_400000_NS6detail17trampoline_kernelINS0_14default_configENS1_36segmented_radix_sort_config_selectorIflEEZNS1_25segmented_radix_sort_implIS3_Lb0EPKfPfPKlPlN2at6native12_GLOBAL__N_18offset_tEEE10hipError_tPvRmT1_PNSt15iterator_traitsISK_E10value_typeET2_T3_PNSL_ISQ_E10value_typeET4_jRbjT5_SW_jjP12ihipStream_tbEUlT_E_NS1_11comp_targetILNS1_3genE9ELNS1_11target_archE1100ELNS1_3gpuE3ELNS1_3repE0EEENS1_30default_config_static_selectorELNS0_4arch9wavefront6targetE1EEEvSK_
	.p2align	8
	.type	_ZN7rocprim17ROCPRIM_400000_NS6detail17trampoline_kernelINS0_14default_configENS1_36segmented_radix_sort_config_selectorIflEEZNS1_25segmented_radix_sort_implIS3_Lb0EPKfPfPKlPlN2at6native12_GLOBAL__N_18offset_tEEE10hipError_tPvRmT1_PNSt15iterator_traitsISK_E10value_typeET2_T3_PNSL_ISQ_E10value_typeET4_jRbjT5_SW_jjP12ihipStream_tbEUlT_E_NS1_11comp_targetILNS1_3genE9ELNS1_11target_archE1100ELNS1_3gpuE3ELNS1_3repE0EEENS1_30default_config_static_selectorELNS0_4arch9wavefront6targetE1EEEvSK_,@function
_ZN7rocprim17ROCPRIM_400000_NS6detail17trampoline_kernelINS0_14default_configENS1_36segmented_radix_sort_config_selectorIflEEZNS1_25segmented_radix_sort_implIS3_Lb0EPKfPfPKlPlN2at6native12_GLOBAL__N_18offset_tEEE10hipError_tPvRmT1_PNSt15iterator_traitsISK_E10value_typeET2_T3_PNSL_ISQ_E10value_typeET4_jRbjT5_SW_jjP12ihipStream_tbEUlT_E_NS1_11comp_targetILNS1_3genE9ELNS1_11target_archE1100ELNS1_3gpuE3ELNS1_3repE0EEENS1_30default_config_static_selectorELNS0_4arch9wavefront6targetE1EEEvSK_: ; @_ZN7rocprim17ROCPRIM_400000_NS6detail17trampoline_kernelINS0_14default_configENS1_36segmented_radix_sort_config_selectorIflEEZNS1_25segmented_radix_sort_implIS3_Lb0EPKfPfPKlPlN2at6native12_GLOBAL__N_18offset_tEEE10hipError_tPvRmT1_PNSt15iterator_traitsISK_E10value_typeET2_T3_PNSL_ISQ_E10value_typeET4_jRbjT5_SW_jjP12ihipStream_tbEUlT_E_NS1_11comp_targetILNS1_3genE9ELNS1_11target_archE1100ELNS1_3gpuE3ELNS1_3repE0EEENS1_30default_config_static_selectorELNS0_4arch9wavefront6targetE1EEEvSK_
; %bb.0:
	.section	.rodata,"a",@progbits
	.p2align	6, 0x0
	.amdhsa_kernel _ZN7rocprim17ROCPRIM_400000_NS6detail17trampoline_kernelINS0_14default_configENS1_36segmented_radix_sort_config_selectorIflEEZNS1_25segmented_radix_sort_implIS3_Lb0EPKfPfPKlPlN2at6native12_GLOBAL__N_18offset_tEEE10hipError_tPvRmT1_PNSt15iterator_traitsISK_E10value_typeET2_T3_PNSL_ISQ_E10value_typeET4_jRbjT5_SW_jjP12ihipStream_tbEUlT_E_NS1_11comp_targetILNS1_3genE9ELNS1_11target_archE1100ELNS1_3gpuE3ELNS1_3repE0EEENS1_30default_config_static_selectorELNS0_4arch9wavefront6targetE1EEEvSK_
		.amdhsa_group_segment_fixed_size 0
		.amdhsa_private_segment_fixed_size 0
		.amdhsa_kernarg_size 96
		.amdhsa_user_sgpr_count 6
		.amdhsa_user_sgpr_private_segment_buffer 1
		.amdhsa_user_sgpr_dispatch_ptr 0
		.amdhsa_user_sgpr_queue_ptr 0
		.amdhsa_user_sgpr_kernarg_segment_ptr 1
		.amdhsa_user_sgpr_dispatch_id 0
		.amdhsa_user_sgpr_flat_scratch_init 0
		.amdhsa_user_sgpr_kernarg_preload_length 0
		.amdhsa_user_sgpr_kernarg_preload_offset 0
		.amdhsa_user_sgpr_private_segment_size 0
		.amdhsa_uses_dynamic_stack 0
		.amdhsa_system_sgpr_private_segment_wavefront_offset 0
		.amdhsa_system_sgpr_workgroup_id_x 1
		.amdhsa_system_sgpr_workgroup_id_y 0
		.amdhsa_system_sgpr_workgroup_id_z 0
		.amdhsa_system_sgpr_workgroup_info 0
		.amdhsa_system_vgpr_workitem_id 0
		.amdhsa_next_free_vgpr 1
		.amdhsa_next_free_sgpr 0
		.amdhsa_accum_offset 4
		.amdhsa_reserve_vcc 0
		.amdhsa_reserve_flat_scratch 0
		.amdhsa_float_round_mode_32 0
		.amdhsa_float_round_mode_16_64 0
		.amdhsa_float_denorm_mode_32 3
		.amdhsa_float_denorm_mode_16_64 3
		.amdhsa_dx10_clamp 1
		.amdhsa_ieee_mode 1
		.amdhsa_fp16_overflow 0
		.amdhsa_tg_split 0
		.amdhsa_exception_fp_ieee_invalid_op 0
		.amdhsa_exception_fp_denorm_src 0
		.amdhsa_exception_fp_ieee_div_zero 0
		.amdhsa_exception_fp_ieee_overflow 0
		.amdhsa_exception_fp_ieee_underflow 0
		.amdhsa_exception_fp_ieee_inexact 0
		.amdhsa_exception_int_div_zero 0
	.end_amdhsa_kernel
	.section	.text._ZN7rocprim17ROCPRIM_400000_NS6detail17trampoline_kernelINS0_14default_configENS1_36segmented_radix_sort_config_selectorIflEEZNS1_25segmented_radix_sort_implIS3_Lb0EPKfPfPKlPlN2at6native12_GLOBAL__N_18offset_tEEE10hipError_tPvRmT1_PNSt15iterator_traitsISK_E10value_typeET2_T3_PNSL_ISQ_E10value_typeET4_jRbjT5_SW_jjP12ihipStream_tbEUlT_E_NS1_11comp_targetILNS1_3genE9ELNS1_11target_archE1100ELNS1_3gpuE3ELNS1_3repE0EEENS1_30default_config_static_selectorELNS0_4arch9wavefront6targetE1EEEvSK_,"axG",@progbits,_ZN7rocprim17ROCPRIM_400000_NS6detail17trampoline_kernelINS0_14default_configENS1_36segmented_radix_sort_config_selectorIflEEZNS1_25segmented_radix_sort_implIS3_Lb0EPKfPfPKlPlN2at6native12_GLOBAL__N_18offset_tEEE10hipError_tPvRmT1_PNSt15iterator_traitsISK_E10value_typeET2_T3_PNSL_ISQ_E10value_typeET4_jRbjT5_SW_jjP12ihipStream_tbEUlT_E_NS1_11comp_targetILNS1_3genE9ELNS1_11target_archE1100ELNS1_3gpuE3ELNS1_3repE0EEENS1_30default_config_static_selectorELNS0_4arch9wavefront6targetE1EEEvSK_,comdat
.Lfunc_end1434:
	.size	_ZN7rocprim17ROCPRIM_400000_NS6detail17trampoline_kernelINS0_14default_configENS1_36segmented_radix_sort_config_selectorIflEEZNS1_25segmented_radix_sort_implIS3_Lb0EPKfPfPKlPlN2at6native12_GLOBAL__N_18offset_tEEE10hipError_tPvRmT1_PNSt15iterator_traitsISK_E10value_typeET2_T3_PNSL_ISQ_E10value_typeET4_jRbjT5_SW_jjP12ihipStream_tbEUlT_E_NS1_11comp_targetILNS1_3genE9ELNS1_11target_archE1100ELNS1_3gpuE3ELNS1_3repE0EEENS1_30default_config_static_selectorELNS0_4arch9wavefront6targetE1EEEvSK_, .Lfunc_end1434-_ZN7rocprim17ROCPRIM_400000_NS6detail17trampoline_kernelINS0_14default_configENS1_36segmented_radix_sort_config_selectorIflEEZNS1_25segmented_radix_sort_implIS3_Lb0EPKfPfPKlPlN2at6native12_GLOBAL__N_18offset_tEEE10hipError_tPvRmT1_PNSt15iterator_traitsISK_E10value_typeET2_T3_PNSL_ISQ_E10value_typeET4_jRbjT5_SW_jjP12ihipStream_tbEUlT_E_NS1_11comp_targetILNS1_3genE9ELNS1_11target_archE1100ELNS1_3gpuE3ELNS1_3repE0EEENS1_30default_config_static_selectorELNS0_4arch9wavefront6targetE1EEEvSK_
                                        ; -- End function
	.section	.AMDGPU.csdata,"",@progbits
; Kernel info:
; codeLenInByte = 0
; NumSgprs: 4
; NumVgprs: 0
; NumAgprs: 0
; TotalNumVgprs: 0
; ScratchSize: 0
; MemoryBound: 0
; FloatMode: 240
; IeeeMode: 1
; LDSByteSize: 0 bytes/workgroup (compile time only)
; SGPRBlocks: 0
; VGPRBlocks: 0
; NumSGPRsForWavesPerEU: 4
; NumVGPRsForWavesPerEU: 1
; AccumOffset: 4
; Occupancy: 8
; WaveLimiterHint : 0
; COMPUTE_PGM_RSRC2:SCRATCH_EN: 0
; COMPUTE_PGM_RSRC2:USER_SGPR: 6
; COMPUTE_PGM_RSRC2:TRAP_HANDLER: 0
; COMPUTE_PGM_RSRC2:TGID_X_EN: 1
; COMPUTE_PGM_RSRC2:TGID_Y_EN: 0
; COMPUTE_PGM_RSRC2:TGID_Z_EN: 0
; COMPUTE_PGM_RSRC2:TIDIG_COMP_CNT: 0
; COMPUTE_PGM_RSRC3_GFX90A:ACCUM_OFFSET: 0
; COMPUTE_PGM_RSRC3_GFX90A:TG_SPLIT: 0
	.section	.text._ZN7rocprim17ROCPRIM_400000_NS6detail17trampoline_kernelINS0_14default_configENS1_36segmented_radix_sort_config_selectorIflEEZNS1_25segmented_radix_sort_implIS3_Lb0EPKfPfPKlPlN2at6native12_GLOBAL__N_18offset_tEEE10hipError_tPvRmT1_PNSt15iterator_traitsISK_E10value_typeET2_T3_PNSL_ISQ_E10value_typeET4_jRbjT5_SW_jjP12ihipStream_tbEUlT_E_NS1_11comp_targetILNS1_3genE8ELNS1_11target_archE1030ELNS1_3gpuE2ELNS1_3repE0EEENS1_30default_config_static_selectorELNS0_4arch9wavefront6targetE1EEEvSK_,"axG",@progbits,_ZN7rocprim17ROCPRIM_400000_NS6detail17trampoline_kernelINS0_14default_configENS1_36segmented_radix_sort_config_selectorIflEEZNS1_25segmented_radix_sort_implIS3_Lb0EPKfPfPKlPlN2at6native12_GLOBAL__N_18offset_tEEE10hipError_tPvRmT1_PNSt15iterator_traitsISK_E10value_typeET2_T3_PNSL_ISQ_E10value_typeET4_jRbjT5_SW_jjP12ihipStream_tbEUlT_E_NS1_11comp_targetILNS1_3genE8ELNS1_11target_archE1030ELNS1_3gpuE2ELNS1_3repE0EEENS1_30default_config_static_selectorELNS0_4arch9wavefront6targetE1EEEvSK_,comdat
	.globl	_ZN7rocprim17ROCPRIM_400000_NS6detail17trampoline_kernelINS0_14default_configENS1_36segmented_radix_sort_config_selectorIflEEZNS1_25segmented_radix_sort_implIS3_Lb0EPKfPfPKlPlN2at6native12_GLOBAL__N_18offset_tEEE10hipError_tPvRmT1_PNSt15iterator_traitsISK_E10value_typeET2_T3_PNSL_ISQ_E10value_typeET4_jRbjT5_SW_jjP12ihipStream_tbEUlT_E_NS1_11comp_targetILNS1_3genE8ELNS1_11target_archE1030ELNS1_3gpuE2ELNS1_3repE0EEENS1_30default_config_static_selectorELNS0_4arch9wavefront6targetE1EEEvSK_ ; -- Begin function _ZN7rocprim17ROCPRIM_400000_NS6detail17trampoline_kernelINS0_14default_configENS1_36segmented_radix_sort_config_selectorIflEEZNS1_25segmented_radix_sort_implIS3_Lb0EPKfPfPKlPlN2at6native12_GLOBAL__N_18offset_tEEE10hipError_tPvRmT1_PNSt15iterator_traitsISK_E10value_typeET2_T3_PNSL_ISQ_E10value_typeET4_jRbjT5_SW_jjP12ihipStream_tbEUlT_E_NS1_11comp_targetILNS1_3genE8ELNS1_11target_archE1030ELNS1_3gpuE2ELNS1_3repE0EEENS1_30default_config_static_selectorELNS0_4arch9wavefront6targetE1EEEvSK_
	.p2align	8
	.type	_ZN7rocprim17ROCPRIM_400000_NS6detail17trampoline_kernelINS0_14default_configENS1_36segmented_radix_sort_config_selectorIflEEZNS1_25segmented_radix_sort_implIS3_Lb0EPKfPfPKlPlN2at6native12_GLOBAL__N_18offset_tEEE10hipError_tPvRmT1_PNSt15iterator_traitsISK_E10value_typeET2_T3_PNSL_ISQ_E10value_typeET4_jRbjT5_SW_jjP12ihipStream_tbEUlT_E_NS1_11comp_targetILNS1_3genE8ELNS1_11target_archE1030ELNS1_3gpuE2ELNS1_3repE0EEENS1_30default_config_static_selectorELNS0_4arch9wavefront6targetE1EEEvSK_,@function
_ZN7rocprim17ROCPRIM_400000_NS6detail17trampoline_kernelINS0_14default_configENS1_36segmented_radix_sort_config_selectorIflEEZNS1_25segmented_radix_sort_implIS3_Lb0EPKfPfPKlPlN2at6native12_GLOBAL__N_18offset_tEEE10hipError_tPvRmT1_PNSt15iterator_traitsISK_E10value_typeET2_T3_PNSL_ISQ_E10value_typeET4_jRbjT5_SW_jjP12ihipStream_tbEUlT_E_NS1_11comp_targetILNS1_3genE8ELNS1_11target_archE1030ELNS1_3gpuE2ELNS1_3repE0EEENS1_30default_config_static_selectorELNS0_4arch9wavefront6targetE1EEEvSK_: ; @_ZN7rocprim17ROCPRIM_400000_NS6detail17trampoline_kernelINS0_14default_configENS1_36segmented_radix_sort_config_selectorIflEEZNS1_25segmented_radix_sort_implIS3_Lb0EPKfPfPKlPlN2at6native12_GLOBAL__N_18offset_tEEE10hipError_tPvRmT1_PNSt15iterator_traitsISK_E10value_typeET2_T3_PNSL_ISQ_E10value_typeET4_jRbjT5_SW_jjP12ihipStream_tbEUlT_E_NS1_11comp_targetILNS1_3genE8ELNS1_11target_archE1030ELNS1_3gpuE2ELNS1_3repE0EEENS1_30default_config_static_selectorELNS0_4arch9wavefront6targetE1EEEvSK_
; %bb.0:
	.section	.rodata,"a",@progbits
	.p2align	6, 0x0
	.amdhsa_kernel _ZN7rocprim17ROCPRIM_400000_NS6detail17trampoline_kernelINS0_14default_configENS1_36segmented_radix_sort_config_selectorIflEEZNS1_25segmented_radix_sort_implIS3_Lb0EPKfPfPKlPlN2at6native12_GLOBAL__N_18offset_tEEE10hipError_tPvRmT1_PNSt15iterator_traitsISK_E10value_typeET2_T3_PNSL_ISQ_E10value_typeET4_jRbjT5_SW_jjP12ihipStream_tbEUlT_E_NS1_11comp_targetILNS1_3genE8ELNS1_11target_archE1030ELNS1_3gpuE2ELNS1_3repE0EEENS1_30default_config_static_selectorELNS0_4arch9wavefront6targetE1EEEvSK_
		.amdhsa_group_segment_fixed_size 0
		.amdhsa_private_segment_fixed_size 0
		.amdhsa_kernarg_size 96
		.amdhsa_user_sgpr_count 6
		.amdhsa_user_sgpr_private_segment_buffer 1
		.amdhsa_user_sgpr_dispatch_ptr 0
		.amdhsa_user_sgpr_queue_ptr 0
		.amdhsa_user_sgpr_kernarg_segment_ptr 1
		.amdhsa_user_sgpr_dispatch_id 0
		.amdhsa_user_sgpr_flat_scratch_init 0
		.amdhsa_user_sgpr_kernarg_preload_length 0
		.amdhsa_user_sgpr_kernarg_preload_offset 0
		.amdhsa_user_sgpr_private_segment_size 0
		.amdhsa_uses_dynamic_stack 0
		.amdhsa_system_sgpr_private_segment_wavefront_offset 0
		.amdhsa_system_sgpr_workgroup_id_x 1
		.amdhsa_system_sgpr_workgroup_id_y 0
		.amdhsa_system_sgpr_workgroup_id_z 0
		.amdhsa_system_sgpr_workgroup_info 0
		.amdhsa_system_vgpr_workitem_id 0
		.amdhsa_next_free_vgpr 1
		.amdhsa_next_free_sgpr 0
		.amdhsa_accum_offset 4
		.amdhsa_reserve_vcc 0
		.amdhsa_reserve_flat_scratch 0
		.amdhsa_float_round_mode_32 0
		.amdhsa_float_round_mode_16_64 0
		.amdhsa_float_denorm_mode_32 3
		.amdhsa_float_denorm_mode_16_64 3
		.amdhsa_dx10_clamp 1
		.amdhsa_ieee_mode 1
		.amdhsa_fp16_overflow 0
		.amdhsa_tg_split 0
		.amdhsa_exception_fp_ieee_invalid_op 0
		.amdhsa_exception_fp_denorm_src 0
		.amdhsa_exception_fp_ieee_div_zero 0
		.amdhsa_exception_fp_ieee_overflow 0
		.amdhsa_exception_fp_ieee_underflow 0
		.amdhsa_exception_fp_ieee_inexact 0
		.amdhsa_exception_int_div_zero 0
	.end_amdhsa_kernel
	.section	.text._ZN7rocprim17ROCPRIM_400000_NS6detail17trampoline_kernelINS0_14default_configENS1_36segmented_radix_sort_config_selectorIflEEZNS1_25segmented_radix_sort_implIS3_Lb0EPKfPfPKlPlN2at6native12_GLOBAL__N_18offset_tEEE10hipError_tPvRmT1_PNSt15iterator_traitsISK_E10value_typeET2_T3_PNSL_ISQ_E10value_typeET4_jRbjT5_SW_jjP12ihipStream_tbEUlT_E_NS1_11comp_targetILNS1_3genE8ELNS1_11target_archE1030ELNS1_3gpuE2ELNS1_3repE0EEENS1_30default_config_static_selectorELNS0_4arch9wavefront6targetE1EEEvSK_,"axG",@progbits,_ZN7rocprim17ROCPRIM_400000_NS6detail17trampoline_kernelINS0_14default_configENS1_36segmented_radix_sort_config_selectorIflEEZNS1_25segmented_radix_sort_implIS3_Lb0EPKfPfPKlPlN2at6native12_GLOBAL__N_18offset_tEEE10hipError_tPvRmT1_PNSt15iterator_traitsISK_E10value_typeET2_T3_PNSL_ISQ_E10value_typeET4_jRbjT5_SW_jjP12ihipStream_tbEUlT_E_NS1_11comp_targetILNS1_3genE8ELNS1_11target_archE1030ELNS1_3gpuE2ELNS1_3repE0EEENS1_30default_config_static_selectorELNS0_4arch9wavefront6targetE1EEEvSK_,comdat
.Lfunc_end1435:
	.size	_ZN7rocprim17ROCPRIM_400000_NS6detail17trampoline_kernelINS0_14default_configENS1_36segmented_radix_sort_config_selectorIflEEZNS1_25segmented_radix_sort_implIS3_Lb0EPKfPfPKlPlN2at6native12_GLOBAL__N_18offset_tEEE10hipError_tPvRmT1_PNSt15iterator_traitsISK_E10value_typeET2_T3_PNSL_ISQ_E10value_typeET4_jRbjT5_SW_jjP12ihipStream_tbEUlT_E_NS1_11comp_targetILNS1_3genE8ELNS1_11target_archE1030ELNS1_3gpuE2ELNS1_3repE0EEENS1_30default_config_static_selectorELNS0_4arch9wavefront6targetE1EEEvSK_, .Lfunc_end1435-_ZN7rocprim17ROCPRIM_400000_NS6detail17trampoline_kernelINS0_14default_configENS1_36segmented_radix_sort_config_selectorIflEEZNS1_25segmented_radix_sort_implIS3_Lb0EPKfPfPKlPlN2at6native12_GLOBAL__N_18offset_tEEE10hipError_tPvRmT1_PNSt15iterator_traitsISK_E10value_typeET2_T3_PNSL_ISQ_E10value_typeET4_jRbjT5_SW_jjP12ihipStream_tbEUlT_E_NS1_11comp_targetILNS1_3genE8ELNS1_11target_archE1030ELNS1_3gpuE2ELNS1_3repE0EEENS1_30default_config_static_selectorELNS0_4arch9wavefront6targetE1EEEvSK_
                                        ; -- End function
	.section	.AMDGPU.csdata,"",@progbits
; Kernel info:
; codeLenInByte = 0
; NumSgprs: 4
; NumVgprs: 0
; NumAgprs: 0
; TotalNumVgprs: 0
; ScratchSize: 0
; MemoryBound: 0
; FloatMode: 240
; IeeeMode: 1
; LDSByteSize: 0 bytes/workgroup (compile time only)
; SGPRBlocks: 0
; VGPRBlocks: 0
; NumSGPRsForWavesPerEU: 4
; NumVGPRsForWavesPerEU: 1
; AccumOffset: 4
; Occupancy: 8
; WaveLimiterHint : 0
; COMPUTE_PGM_RSRC2:SCRATCH_EN: 0
; COMPUTE_PGM_RSRC2:USER_SGPR: 6
; COMPUTE_PGM_RSRC2:TRAP_HANDLER: 0
; COMPUTE_PGM_RSRC2:TGID_X_EN: 1
; COMPUTE_PGM_RSRC2:TGID_Y_EN: 0
; COMPUTE_PGM_RSRC2:TGID_Z_EN: 0
; COMPUTE_PGM_RSRC2:TIDIG_COMP_CNT: 0
; COMPUTE_PGM_RSRC3_GFX90A:ACCUM_OFFSET: 0
; COMPUTE_PGM_RSRC3_GFX90A:TG_SPLIT: 0
	.section	.text._ZN7rocprim17ROCPRIM_400000_NS6detail17trampoline_kernelINS0_14default_configENS1_36segmented_radix_sort_config_selectorIflEEZNS1_25segmented_radix_sort_implIS3_Lb0EPKfPfPKlPlN2at6native12_GLOBAL__N_18offset_tEEE10hipError_tPvRmT1_PNSt15iterator_traitsISK_E10value_typeET2_T3_PNSL_ISQ_E10value_typeET4_jRbjT5_SW_jjP12ihipStream_tbEUlT_E0_NS1_11comp_targetILNS1_3genE0ELNS1_11target_archE4294967295ELNS1_3gpuE0ELNS1_3repE0EEENS1_60segmented_radix_sort_warp_sort_medium_config_static_selectorELNS0_4arch9wavefront6targetE1EEEvSK_,"axG",@progbits,_ZN7rocprim17ROCPRIM_400000_NS6detail17trampoline_kernelINS0_14default_configENS1_36segmented_radix_sort_config_selectorIflEEZNS1_25segmented_radix_sort_implIS3_Lb0EPKfPfPKlPlN2at6native12_GLOBAL__N_18offset_tEEE10hipError_tPvRmT1_PNSt15iterator_traitsISK_E10value_typeET2_T3_PNSL_ISQ_E10value_typeET4_jRbjT5_SW_jjP12ihipStream_tbEUlT_E0_NS1_11comp_targetILNS1_3genE0ELNS1_11target_archE4294967295ELNS1_3gpuE0ELNS1_3repE0EEENS1_60segmented_radix_sort_warp_sort_medium_config_static_selectorELNS0_4arch9wavefront6targetE1EEEvSK_,comdat
	.globl	_ZN7rocprim17ROCPRIM_400000_NS6detail17trampoline_kernelINS0_14default_configENS1_36segmented_radix_sort_config_selectorIflEEZNS1_25segmented_radix_sort_implIS3_Lb0EPKfPfPKlPlN2at6native12_GLOBAL__N_18offset_tEEE10hipError_tPvRmT1_PNSt15iterator_traitsISK_E10value_typeET2_T3_PNSL_ISQ_E10value_typeET4_jRbjT5_SW_jjP12ihipStream_tbEUlT_E0_NS1_11comp_targetILNS1_3genE0ELNS1_11target_archE4294967295ELNS1_3gpuE0ELNS1_3repE0EEENS1_60segmented_radix_sort_warp_sort_medium_config_static_selectorELNS0_4arch9wavefront6targetE1EEEvSK_ ; -- Begin function _ZN7rocprim17ROCPRIM_400000_NS6detail17trampoline_kernelINS0_14default_configENS1_36segmented_radix_sort_config_selectorIflEEZNS1_25segmented_radix_sort_implIS3_Lb0EPKfPfPKlPlN2at6native12_GLOBAL__N_18offset_tEEE10hipError_tPvRmT1_PNSt15iterator_traitsISK_E10value_typeET2_T3_PNSL_ISQ_E10value_typeET4_jRbjT5_SW_jjP12ihipStream_tbEUlT_E0_NS1_11comp_targetILNS1_3genE0ELNS1_11target_archE4294967295ELNS1_3gpuE0ELNS1_3repE0EEENS1_60segmented_radix_sort_warp_sort_medium_config_static_selectorELNS0_4arch9wavefront6targetE1EEEvSK_
	.p2align	8
	.type	_ZN7rocprim17ROCPRIM_400000_NS6detail17trampoline_kernelINS0_14default_configENS1_36segmented_radix_sort_config_selectorIflEEZNS1_25segmented_radix_sort_implIS3_Lb0EPKfPfPKlPlN2at6native12_GLOBAL__N_18offset_tEEE10hipError_tPvRmT1_PNSt15iterator_traitsISK_E10value_typeET2_T3_PNSL_ISQ_E10value_typeET4_jRbjT5_SW_jjP12ihipStream_tbEUlT_E0_NS1_11comp_targetILNS1_3genE0ELNS1_11target_archE4294967295ELNS1_3gpuE0ELNS1_3repE0EEENS1_60segmented_radix_sort_warp_sort_medium_config_static_selectorELNS0_4arch9wavefront6targetE1EEEvSK_,@function
_ZN7rocprim17ROCPRIM_400000_NS6detail17trampoline_kernelINS0_14default_configENS1_36segmented_radix_sort_config_selectorIflEEZNS1_25segmented_radix_sort_implIS3_Lb0EPKfPfPKlPlN2at6native12_GLOBAL__N_18offset_tEEE10hipError_tPvRmT1_PNSt15iterator_traitsISK_E10value_typeET2_T3_PNSL_ISQ_E10value_typeET4_jRbjT5_SW_jjP12ihipStream_tbEUlT_E0_NS1_11comp_targetILNS1_3genE0ELNS1_11target_archE4294967295ELNS1_3gpuE0ELNS1_3repE0EEENS1_60segmented_radix_sort_warp_sort_medium_config_static_selectorELNS0_4arch9wavefront6targetE1EEEvSK_: ; @_ZN7rocprim17ROCPRIM_400000_NS6detail17trampoline_kernelINS0_14default_configENS1_36segmented_radix_sort_config_selectorIflEEZNS1_25segmented_radix_sort_implIS3_Lb0EPKfPfPKlPlN2at6native12_GLOBAL__N_18offset_tEEE10hipError_tPvRmT1_PNSt15iterator_traitsISK_E10value_typeET2_T3_PNSL_ISQ_E10value_typeET4_jRbjT5_SW_jjP12ihipStream_tbEUlT_E0_NS1_11comp_targetILNS1_3genE0ELNS1_11target_archE4294967295ELNS1_3gpuE0ELNS1_3repE0EEENS1_60segmented_radix_sort_warp_sort_medium_config_static_selectorELNS0_4arch9wavefront6targetE1EEEvSK_
; %bb.0:
	.section	.rodata,"a",@progbits
	.p2align	6, 0x0
	.amdhsa_kernel _ZN7rocprim17ROCPRIM_400000_NS6detail17trampoline_kernelINS0_14default_configENS1_36segmented_radix_sort_config_selectorIflEEZNS1_25segmented_radix_sort_implIS3_Lb0EPKfPfPKlPlN2at6native12_GLOBAL__N_18offset_tEEE10hipError_tPvRmT1_PNSt15iterator_traitsISK_E10value_typeET2_T3_PNSL_ISQ_E10value_typeET4_jRbjT5_SW_jjP12ihipStream_tbEUlT_E0_NS1_11comp_targetILNS1_3genE0ELNS1_11target_archE4294967295ELNS1_3gpuE0ELNS1_3repE0EEENS1_60segmented_radix_sort_warp_sort_medium_config_static_selectorELNS0_4arch9wavefront6targetE1EEEvSK_
		.amdhsa_group_segment_fixed_size 0
		.amdhsa_private_segment_fixed_size 0
		.amdhsa_kernarg_size 88
		.amdhsa_user_sgpr_count 6
		.amdhsa_user_sgpr_private_segment_buffer 1
		.amdhsa_user_sgpr_dispatch_ptr 0
		.amdhsa_user_sgpr_queue_ptr 0
		.amdhsa_user_sgpr_kernarg_segment_ptr 1
		.amdhsa_user_sgpr_dispatch_id 0
		.amdhsa_user_sgpr_flat_scratch_init 0
		.amdhsa_user_sgpr_kernarg_preload_length 0
		.amdhsa_user_sgpr_kernarg_preload_offset 0
		.amdhsa_user_sgpr_private_segment_size 0
		.amdhsa_uses_dynamic_stack 0
		.amdhsa_system_sgpr_private_segment_wavefront_offset 0
		.amdhsa_system_sgpr_workgroup_id_x 1
		.amdhsa_system_sgpr_workgroup_id_y 0
		.amdhsa_system_sgpr_workgroup_id_z 0
		.amdhsa_system_sgpr_workgroup_info 0
		.amdhsa_system_vgpr_workitem_id 0
		.amdhsa_next_free_vgpr 1
		.amdhsa_next_free_sgpr 0
		.amdhsa_accum_offset 4
		.amdhsa_reserve_vcc 0
		.amdhsa_reserve_flat_scratch 0
		.amdhsa_float_round_mode_32 0
		.amdhsa_float_round_mode_16_64 0
		.amdhsa_float_denorm_mode_32 3
		.amdhsa_float_denorm_mode_16_64 3
		.amdhsa_dx10_clamp 1
		.amdhsa_ieee_mode 1
		.amdhsa_fp16_overflow 0
		.amdhsa_tg_split 0
		.amdhsa_exception_fp_ieee_invalid_op 0
		.amdhsa_exception_fp_denorm_src 0
		.amdhsa_exception_fp_ieee_div_zero 0
		.amdhsa_exception_fp_ieee_overflow 0
		.amdhsa_exception_fp_ieee_underflow 0
		.amdhsa_exception_fp_ieee_inexact 0
		.amdhsa_exception_int_div_zero 0
	.end_amdhsa_kernel
	.section	.text._ZN7rocprim17ROCPRIM_400000_NS6detail17trampoline_kernelINS0_14default_configENS1_36segmented_radix_sort_config_selectorIflEEZNS1_25segmented_radix_sort_implIS3_Lb0EPKfPfPKlPlN2at6native12_GLOBAL__N_18offset_tEEE10hipError_tPvRmT1_PNSt15iterator_traitsISK_E10value_typeET2_T3_PNSL_ISQ_E10value_typeET4_jRbjT5_SW_jjP12ihipStream_tbEUlT_E0_NS1_11comp_targetILNS1_3genE0ELNS1_11target_archE4294967295ELNS1_3gpuE0ELNS1_3repE0EEENS1_60segmented_radix_sort_warp_sort_medium_config_static_selectorELNS0_4arch9wavefront6targetE1EEEvSK_,"axG",@progbits,_ZN7rocprim17ROCPRIM_400000_NS6detail17trampoline_kernelINS0_14default_configENS1_36segmented_radix_sort_config_selectorIflEEZNS1_25segmented_radix_sort_implIS3_Lb0EPKfPfPKlPlN2at6native12_GLOBAL__N_18offset_tEEE10hipError_tPvRmT1_PNSt15iterator_traitsISK_E10value_typeET2_T3_PNSL_ISQ_E10value_typeET4_jRbjT5_SW_jjP12ihipStream_tbEUlT_E0_NS1_11comp_targetILNS1_3genE0ELNS1_11target_archE4294967295ELNS1_3gpuE0ELNS1_3repE0EEENS1_60segmented_radix_sort_warp_sort_medium_config_static_selectorELNS0_4arch9wavefront6targetE1EEEvSK_,comdat
.Lfunc_end1436:
	.size	_ZN7rocprim17ROCPRIM_400000_NS6detail17trampoline_kernelINS0_14default_configENS1_36segmented_radix_sort_config_selectorIflEEZNS1_25segmented_radix_sort_implIS3_Lb0EPKfPfPKlPlN2at6native12_GLOBAL__N_18offset_tEEE10hipError_tPvRmT1_PNSt15iterator_traitsISK_E10value_typeET2_T3_PNSL_ISQ_E10value_typeET4_jRbjT5_SW_jjP12ihipStream_tbEUlT_E0_NS1_11comp_targetILNS1_3genE0ELNS1_11target_archE4294967295ELNS1_3gpuE0ELNS1_3repE0EEENS1_60segmented_radix_sort_warp_sort_medium_config_static_selectorELNS0_4arch9wavefront6targetE1EEEvSK_, .Lfunc_end1436-_ZN7rocprim17ROCPRIM_400000_NS6detail17trampoline_kernelINS0_14default_configENS1_36segmented_radix_sort_config_selectorIflEEZNS1_25segmented_radix_sort_implIS3_Lb0EPKfPfPKlPlN2at6native12_GLOBAL__N_18offset_tEEE10hipError_tPvRmT1_PNSt15iterator_traitsISK_E10value_typeET2_T3_PNSL_ISQ_E10value_typeET4_jRbjT5_SW_jjP12ihipStream_tbEUlT_E0_NS1_11comp_targetILNS1_3genE0ELNS1_11target_archE4294967295ELNS1_3gpuE0ELNS1_3repE0EEENS1_60segmented_radix_sort_warp_sort_medium_config_static_selectorELNS0_4arch9wavefront6targetE1EEEvSK_
                                        ; -- End function
	.section	.AMDGPU.csdata,"",@progbits
; Kernel info:
; codeLenInByte = 0
; NumSgprs: 4
; NumVgprs: 0
; NumAgprs: 0
; TotalNumVgprs: 0
; ScratchSize: 0
; MemoryBound: 0
; FloatMode: 240
; IeeeMode: 1
; LDSByteSize: 0 bytes/workgroup (compile time only)
; SGPRBlocks: 0
; VGPRBlocks: 0
; NumSGPRsForWavesPerEU: 4
; NumVGPRsForWavesPerEU: 1
; AccumOffset: 4
; Occupancy: 8
; WaveLimiterHint : 0
; COMPUTE_PGM_RSRC2:SCRATCH_EN: 0
; COMPUTE_PGM_RSRC2:USER_SGPR: 6
; COMPUTE_PGM_RSRC2:TRAP_HANDLER: 0
; COMPUTE_PGM_RSRC2:TGID_X_EN: 1
; COMPUTE_PGM_RSRC2:TGID_Y_EN: 0
; COMPUTE_PGM_RSRC2:TGID_Z_EN: 0
; COMPUTE_PGM_RSRC2:TIDIG_COMP_CNT: 0
; COMPUTE_PGM_RSRC3_GFX90A:ACCUM_OFFSET: 0
; COMPUTE_PGM_RSRC3_GFX90A:TG_SPLIT: 0
	.section	.text._ZN7rocprim17ROCPRIM_400000_NS6detail17trampoline_kernelINS0_14default_configENS1_36segmented_radix_sort_config_selectorIflEEZNS1_25segmented_radix_sort_implIS3_Lb0EPKfPfPKlPlN2at6native12_GLOBAL__N_18offset_tEEE10hipError_tPvRmT1_PNSt15iterator_traitsISK_E10value_typeET2_T3_PNSL_ISQ_E10value_typeET4_jRbjT5_SW_jjP12ihipStream_tbEUlT_E0_NS1_11comp_targetILNS1_3genE5ELNS1_11target_archE942ELNS1_3gpuE9ELNS1_3repE0EEENS1_60segmented_radix_sort_warp_sort_medium_config_static_selectorELNS0_4arch9wavefront6targetE1EEEvSK_,"axG",@progbits,_ZN7rocprim17ROCPRIM_400000_NS6detail17trampoline_kernelINS0_14default_configENS1_36segmented_radix_sort_config_selectorIflEEZNS1_25segmented_radix_sort_implIS3_Lb0EPKfPfPKlPlN2at6native12_GLOBAL__N_18offset_tEEE10hipError_tPvRmT1_PNSt15iterator_traitsISK_E10value_typeET2_T3_PNSL_ISQ_E10value_typeET4_jRbjT5_SW_jjP12ihipStream_tbEUlT_E0_NS1_11comp_targetILNS1_3genE5ELNS1_11target_archE942ELNS1_3gpuE9ELNS1_3repE0EEENS1_60segmented_radix_sort_warp_sort_medium_config_static_selectorELNS0_4arch9wavefront6targetE1EEEvSK_,comdat
	.globl	_ZN7rocprim17ROCPRIM_400000_NS6detail17trampoline_kernelINS0_14default_configENS1_36segmented_radix_sort_config_selectorIflEEZNS1_25segmented_radix_sort_implIS3_Lb0EPKfPfPKlPlN2at6native12_GLOBAL__N_18offset_tEEE10hipError_tPvRmT1_PNSt15iterator_traitsISK_E10value_typeET2_T3_PNSL_ISQ_E10value_typeET4_jRbjT5_SW_jjP12ihipStream_tbEUlT_E0_NS1_11comp_targetILNS1_3genE5ELNS1_11target_archE942ELNS1_3gpuE9ELNS1_3repE0EEENS1_60segmented_radix_sort_warp_sort_medium_config_static_selectorELNS0_4arch9wavefront6targetE1EEEvSK_ ; -- Begin function _ZN7rocprim17ROCPRIM_400000_NS6detail17trampoline_kernelINS0_14default_configENS1_36segmented_radix_sort_config_selectorIflEEZNS1_25segmented_radix_sort_implIS3_Lb0EPKfPfPKlPlN2at6native12_GLOBAL__N_18offset_tEEE10hipError_tPvRmT1_PNSt15iterator_traitsISK_E10value_typeET2_T3_PNSL_ISQ_E10value_typeET4_jRbjT5_SW_jjP12ihipStream_tbEUlT_E0_NS1_11comp_targetILNS1_3genE5ELNS1_11target_archE942ELNS1_3gpuE9ELNS1_3repE0EEENS1_60segmented_radix_sort_warp_sort_medium_config_static_selectorELNS0_4arch9wavefront6targetE1EEEvSK_
	.p2align	8
	.type	_ZN7rocprim17ROCPRIM_400000_NS6detail17trampoline_kernelINS0_14default_configENS1_36segmented_radix_sort_config_selectorIflEEZNS1_25segmented_radix_sort_implIS3_Lb0EPKfPfPKlPlN2at6native12_GLOBAL__N_18offset_tEEE10hipError_tPvRmT1_PNSt15iterator_traitsISK_E10value_typeET2_T3_PNSL_ISQ_E10value_typeET4_jRbjT5_SW_jjP12ihipStream_tbEUlT_E0_NS1_11comp_targetILNS1_3genE5ELNS1_11target_archE942ELNS1_3gpuE9ELNS1_3repE0EEENS1_60segmented_radix_sort_warp_sort_medium_config_static_selectorELNS0_4arch9wavefront6targetE1EEEvSK_,@function
_ZN7rocprim17ROCPRIM_400000_NS6detail17trampoline_kernelINS0_14default_configENS1_36segmented_radix_sort_config_selectorIflEEZNS1_25segmented_radix_sort_implIS3_Lb0EPKfPfPKlPlN2at6native12_GLOBAL__N_18offset_tEEE10hipError_tPvRmT1_PNSt15iterator_traitsISK_E10value_typeET2_T3_PNSL_ISQ_E10value_typeET4_jRbjT5_SW_jjP12ihipStream_tbEUlT_E0_NS1_11comp_targetILNS1_3genE5ELNS1_11target_archE942ELNS1_3gpuE9ELNS1_3repE0EEENS1_60segmented_radix_sort_warp_sort_medium_config_static_selectorELNS0_4arch9wavefront6targetE1EEEvSK_: ; @_ZN7rocprim17ROCPRIM_400000_NS6detail17trampoline_kernelINS0_14default_configENS1_36segmented_radix_sort_config_selectorIflEEZNS1_25segmented_radix_sort_implIS3_Lb0EPKfPfPKlPlN2at6native12_GLOBAL__N_18offset_tEEE10hipError_tPvRmT1_PNSt15iterator_traitsISK_E10value_typeET2_T3_PNSL_ISQ_E10value_typeET4_jRbjT5_SW_jjP12ihipStream_tbEUlT_E0_NS1_11comp_targetILNS1_3genE5ELNS1_11target_archE942ELNS1_3gpuE9ELNS1_3repE0EEENS1_60segmented_radix_sort_warp_sort_medium_config_static_selectorELNS0_4arch9wavefront6targetE1EEEvSK_
; %bb.0:
	.section	.rodata,"a",@progbits
	.p2align	6, 0x0
	.amdhsa_kernel _ZN7rocprim17ROCPRIM_400000_NS6detail17trampoline_kernelINS0_14default_configENS1_36segmented_radix_sort_config_selectorIflEEZNS1_25segmented_radix_sort_implIS3_Lb0EPKfPfPKlPlN2at6native12_GLOBAL__N_18offset_tEEE10hipError_tPvRmT1_PNSt15iterator_traitsISK_E10value_typeET2_T3_PNSL_ISQ_E10value_typeET4_jRbjT5_SW_jjP12ihipStream_tbEUlT_E0_NS1_11comp_targetILNS1_3genE5ELNS1_11target_archE942ELNS1_3gpuE9ELNS1_3repE0EEENS1_60segmented_radix_sort_warp_sort_medium_config_static_selectorELNS0_4arch9wavefront6targetE1EEEvSK_
		.amdhsa_group_segment_fixed_size 0
		.amdhsa_private_segment_fixed_size 0
		.amdhsa_kernarg_size 88
		.amdhsa_user_sgpr_count 6
		.amdhsa_user_sgpr_private_segment_buffer 1
		.amdhsa_user_sgpr_dispatch_ptr 0
		.amdhsa_user_sgpr_queue_ptr 0
		.amdhsa_user_sgpr_kernarg_segment_ptr 1
		.amdhsa_user_sgpr_dispatch_id 0
		.amdhsa_user_sgpr_flat_scratch_init 0
		.amdhsa_user_sgpr_kernarg_preload_length 0
		.amdhsa_user_sgpr_kernarg_preload_offset 0
		.amdhsa_user_sgpr_private_segment_size 0
		.amdhsa_uses_dynamic_stack 0
		.amdhsa_system_sgpr_private_segment_wavefront_offset 0
		.amdhsa_system_sgpr_workgroup_id_x 1
		.amdhsa_system_sgpr_workgroup_id_y 0
		.amdhsa_system_sgpr_workgroup_id_z 0
		.amdhsa_system_sgpr_workgroup_info 0
		.amdhsa_system_vgpr_workitem_id 0
		.amdhsa_next_free_vgpr 1
		.amdhsa_next_free_sgpr 0
		.amdhsa_accum_offset 4
		.amdhsa_reserve_vcc 0
		.amdhsa_reserve_flat_scratch 0
		.amdhsa_float_round_mode_32 0
		.amdhsa_float_round_mode_16_64 0
		.amdhsa_float_denorm_mode_32 3
		.amdhsa_float_denorm_mode_16_64 3
		.amdhsa_dx10_clamp 1
		.amdhsa_ieee_mode 1
		.amdhsa_fp16_overflow 0
		.amdhsa_tg_split 0
		.amdhsa_exception_fp_ieee_invalid_op 0
		.amdhsa_exception_fp_denorm_src 0
		.amdhsa_exception_fp_ieee_div_zero 0
		.amdhsa_exception_fp_ieee_overflow 0
		.amdhsa_exception_fp_ieee_underflow 0
		.amdhsa_exception_fp_ieee_inexact 0
		.amdhsa_exception_int_div_zero 0
	.end_amdhsa_kernel
	.section	.text._ZN7rocprim17ROCPRIM_400000_NS6detail17trampoline_kernelINS0_14default_configENS1_36segmented_radix_sort_config_selectorIflEEZNS1_25segmented_radix_sort_implIS3_Lb0EPKfPfPKlPlN2at6native12_GLOBAL__N_18offset_tEEE10hipError_tPvRmT1_PNSt15iterator_traitsISK_E10value_typeET2_T3_PNSL_ISQ_E10value_typeET4_jRbjT5_SW_jjP12ihipStream_tbEUlT_E0_NS1_11comp_targetILNS1_3genE5ELNS1_11target_archE942ELNS1_3gpuE9ELNS1_3repE0EEENS1_60segmented_radix_sort_warp_sort_medium_config_static_selectorELNS0_4arch9wavefront6targetE1EEEvSK_,"axG",@progbits,_ZN7rocprim17ROCPRIM_400000_NS6detail17trampoline_kernelINS0_14default_configENS1_36segmented_radix_sort_config_selectorIflEEZNS1_25segmented_radix_sort_implIS3_Lb0EPKfPfPKlPlN2at6native12_GLOBAL__N_18offset_tEEE10hipError_tPvRmT1_PNSt15iterator_traitsISK_E10value_typeET2_T3_PNSL_ISQ_E10value_typeET4_jRbjT5_SW_jjP12ihipStream_tbEUlT_E0_NS1_11comp_targetILNS1_3genE5ELNS1_11target_archE942ELNS1_3gpuE9ELNS1_3repE0EEENS1_60segmented_radix_sort_warp_sort_medium_config_static_selectorELNS0_4arch9wavefront6targetE1EEEvSK_,comdat
.Lfunc_end1437:
	.size	_ZN7rocprim17ROCPRIM_400000_NS6detail17trampoline_kernelINS0_14default_configENS1_36segmented_radix_sort_config_selectorIflEEZNS1_25segmented_radix_sort_implIS3_Lb0EPKfPfPKlPlN2at6native12_GLOBAL__N_18offset_tEEE10hipError_tPvRmT1_PNSt15iterator_traitsISK_E10value_typeET2_T3_PNSL_ISQ_E10value_typeET4_jRbjT5_SW_jjP12ihipStream_tbEUlT_E0_NS1_11comp_targetILNS1_3genE5ELNS1_11target_archE942ELNS1_3gpuE9ELNS1_3repE0EEENS1_60segmented_radix_sort_warp_sort_medium_config_static_selectorELNS0_4arch9wavefront6targetE1EEEvSK_, .Lfunc_end1437-_ZN7rocprim17ROCPRIM_400000_NS6detail17trampoline_kernelINS0_14default_configENS1_36segmented_radix_sort_config_selectorIflEEZNS1_25segmented_radix_sort_implIS3_Lb0EPKfPfPKlPlN2at6native12_GLOBAL__N_18offset_tEEE10hipError_tPvRmT1_PNSt15iterator_traitsISK_E10value_typeET2_T3_PNSL_ISQ_E10value_typeET4_jRbjT5_SW_jjP12ihipStream_tbEUlT_E0_NS1_11comp_targetILNS1_3genE5ELNS1_11target_archE942ELNS1_3gpuE9ELNS1_3repE0EEENS1_60segmented_radix_sort_warp_sort_medium_config_static_selectorELNS0_4arch9wavefront6targetE1EEEvSK_
                                        ; -- End function
	.section	.AMDGPU.csdata,"",@progbits
; Kernel info:
; codeLenInByte = 0
; NumSgprs: 4
; NumVgprs: 0
; NumAgprs: 0
; TotalNumVgprs: 0
; ScratchSize: 0
; MemoryBound: 0
; FloatMode: 240
; IeeeMode: 1
; LDSByteSize: 0 bytes/workgroup (compile time only)
; SGPRBlocks: 0
; VGPRBlocks: 0
; NumSGPRsForWavesPerEU: 4
; NumVGPRsForWavesPerEU: 1
; AccumOffset: 4
; Occupancy: 8
; WaveLimiterHint : 0
; COMPUTE_PGM_RSRC2:SCRATCH_EN: 0
; COMPUTE_PGM_RSRC2:USER_SGPR: 6
; COMPUTE_PGM_RSRC2:TRAP_HANDLER: 0
; COMPUTE_PGM_RSRC2:TGID_X_EN: 1
; COMPUTE_PGM_RSRC2:TGID_Y_EN: 0
; COMPUTE_PGM_RSRC2:TGID_Z_EN: 0
; COMPUTE_PGM_RSRC2:TIDIG_COMP_CNT: 0
; COMPUTE_PGM_RSRC3_GFX90A:ACCUM_OFFSET: 0
; COMPUTE_PGM_RSRC3_GFX90A:TG_SPLIT: 0
	.text
	.p2align	2                               ; -- Begin function _ZN7rocprim17ROCPRIM_400000_NS6detail26segmented_warp_sort_helperINS1_20WarpSortHelperConfigILj16ELj8ELj256EEEflLi256ELb0EvE4sortIPKfPfPKlPlEEvT_T0_T1_T2_jjjjRNS5_12storage_typeE
	.type	_ZN7rocprim17ROCPRIM_400000_NS6detail26segmented_warp_sort_helperINS1_20WarpSortHelperConfigILj16ELj8ELj256EEEflLi256ELb0EvE4sortIPKfPfPKlPlEEvT_T0_T1_T2_jjjjRNS5_12storage_typeE,@function
_ZN7rocprim17ROCPRIM_400000_NS6detail26segmented_warp_sort_helperINS1_20WarpSortHelperConfigILj16ELj8ELj256EEEflLi256ELb0EvE4sortIPKfPfPKlPlEEvT_T0_T1_T2_jjjjRNS5_12storage_typeE: ; @_ZN7rocprim17ROCPRIM_400000_NS6detail26segmented_warp_sort_helperINS1_20WarpSortHelperConfigILj16ELj8ELj256EEEflLi256ELb0EvE4sortIPKfPfPKlPlEEvT_T0_T1_T2_jjjjRNS5_12storage_typeE
; %bb.0:
	s_waitcnt vmcnt(0) expcnt(0) lgkmcnt(0)
	s_or_saveexec_b64 s[4:5], -1
	buffer_store_dword v40, off, s[0:3], s32 ; 4-byte Folded Spill
	s_mov_b64 exec, s[4:5]
	v_writelane_b32 v40, s34, 0
	v_writelane_b32 v40, s35, 1
	;; [unrolled: 1-line block ×12, first 2 shown]
	v_mbcnt_lo_u32_b32 v11, -1, 0
	v_sub_u32_e32 v10, v9, v8
	v_mov_b32_e32 v9, 0
	v_mbcnt_hi_u32_b32 v11, -1, v11
	v_lshlrev_b64 v[54:55], 2, v[8:9]
	v_lshlrev_b32_e32 v97, 3, v11
	v_add_co_u32_e32 v0, vcc, v0, v54
	v_and_b32_e32 v96, 0x78, v97
	v_addc_co_u32_e32 v1, vcc, v1, v55, vcc
	v_lshlrev_b32_e32 v86, 2, v96
	s_brev_b32 s16, -2
	v_add_co_u32_e32 v0, vcc, v0, v86
	s_mov_b32 s17, s16
	v_addc_co_u32_e32 v1, vcc, 0, v1, vcc
	s_mov_b32 s18, s16
	s_mov_b32 s19, s16
	;; [unrolled: 1-line block ×6, first 2 shown]
	v_pk_mov_b32 v[16:17], s[16:17], s[16:17] op_sel:[0,1]
	v_cmp_lt_u32_e32 vcc, v96, v10
	v_pk_mov_b32 v[18:19], s[18:19], s[18:19] op_sel:[0,1]
	v_pk_mov_b32 v[20:21], s[20:21], s[20:21] op_sel:[0,1]
	;; [unrolled: 1-line block ×3, first 2 shown]
	s_and_saveexec_b64 s[4:5], vcc
	s_cbranch_execz .LBB1438_2
; %bb.1:
	flat_load_dword v16, v[0:1]
	v_bfrev_b32_e32 v17, -2
	v_mov_b32_e32 v18, v17
	v_mov_b32_e32 v19, v17
	;; [unrolled: 1-line block ×6, first 2 shown]
.LBB1438_2:
	s_or_b64 exec, exec, s[4:5]
	v_or_b32_e32 v11, 1, v96
	v_cmp_lt_u32_e64 s[4:5], v11, v10
	s_and_saveexec_b64 s[6:7], s[4:5]
	s_cbranch_execz .LBB1438_4
; %bb.3:
	flat_load_dword v17, v[0:1] offset:4
.LBB1438_4:
	s_or_b64 exec, exec, s[6:7]
	v_or_b32_e32 v11, 2, v96
	v_cmp_lt_u32_e64 s[6:7], v11, v10
	s_and_saveexec_b64 s[10:11], s[6:7]
	s_cbranch_execz .LBB1438_6
; %bb.5:
	flat_load_dword v18, v[0:1] offset:8
.LBB1438_6:
	s_or_b64 exec, exec, s[10:11]
	v_or_b32_e32 v11, 3, v96
	v_cmp_lt_u32_e64 s[18:19], v11, v10
	s_and_saveexec_b64 s[10:11], s[18:19]
	s_cbranch_execz .LBB1438_8
; %bb.7:
	flat_load_dword v19, v[0:1] offset:12
.LBB1438_8:
	s_or_b64 exec, exec, s[10:11]
	v_or_b32_e32 v11, 4, v96
	v_cmp_lt_u32_e64 s[10:11], v11, v10
	s_and_saveexec_b64 s[14:15], s[10:11]
	s_cbranch_execz .LBB1438_10
; %bb.9:
	flat_load_dword v20, v[0:1] offset:16
.LBB1438_10:
	s_or_b64 exec, exec, s[14:15]
	v_or_b32_e32 v11, 5, v96
	v_cmp_lt_u32_e64 s[20:21], v11, v10
	s_and_saveexec_b64 s[14:15], s[20:21]
	s_cbranch_execz .LBB1438_12
; %bb.11:
	flat_load_dword v21, v[0:1] offset:20
.LBB1438_12:
	s_or_b64 exec, exec, s[14:15]
	v_or_b32_e32 v11, 6, v96
	v_cmp_lt_u32_e64 s[14:15], v11, v10
	s_and_saveexec_b64 s[16:17], s[14:15]
	s_cbranch_execz .LBB1438_14
; %bb.13:
	flat_load_dword v22, v[0:1] offset:24
.LBB1438_14:
	s_or_b64 exec, exec, s[16:17]
	v_or_b32_e32 v11, 7, v96
	v_cmp_lt_u32_e64 s[16:17], v11, v10
	s_and_saveexec_b64 s[22:23], s[16:17]
	s_cbranch_execz .LBB1438_16
; %bb.15:
	flat_load_dword v23, v[0:1] offset:28
.LBB1438_16:
	s_or_b64 exec, exec, s[22:23]
	v_lshlrev_b64 v[0:1], 3, v[8:9]
	v_add_co_u32_e64 v4, s[22:23], v4, v0
	v_addc_co_u32_e64 v5, s[22:23], v5, v1, s[22:23]
	v_lshlrev_b32_e32 v87, 3, v96
	v_add_co_u32_e64 v8, s[22:23], v4, v87
	v_addc_co_u32_e64 v9, s[22:23], 0, v5, s[22:23]
	; wave barrier
                                        ; implicit-def: $vgpr4_vgpr5
	s_and_saveexec_b64 s[22:23], vcc
	s_cbranch_execnz .LBB1438_258
; %bb.17:
	s_or_b64 exec, exec, s[22:23]
	s_and_saveexec_b64 s[22:23], s[4:5]
                                        ; implicit-def: $vgpr32_vgpr33_vgpr34_vgpr35
	s_cbranch_execnz .LBB1438_259
.LBB1438_18:
	s_or_b64 exec, exec, s[22:23]
                                        ; implicit-def: $vgpr68_vgpr69
	s_and_saveexec_b64 s[22:23], s[6:7]
	s_cbranch_execnz .LBB1438_260
.LBB1438_19:
	s_or_b64 exec, exec, s[22:23]
	s_and_saveexec_b64 s[22:23], s[18:19]
                                        ; implicit-def: $vgpr50_vgpr51_vgpr52_vgpr53
	s_cbranch_execnz .LBB1438_261
.LBB1438_20:
	s_or_b64 exec, exec, s[22:23]
                                        ; implicit-def: $vgpr70_vgpr71
	s_and_saveexec_b64 s[22:23], s[10:11]
	s_cbranch_execnz .LBB1438_262
.LBB1438_21:
	s_or_b64 exec, exec, s[22:23]
	s_and_saveexec_b64 s[22:23], s[20:21]
                                        ; implicit-def: $vgpr64_vgpr65_vgpr66_vgpr67
	s_cbranch_execnz .LBB1438_263
.LBB1438_22:
	s_or_b64 exec, exec, s[22:23]
                                        ; implicit-def: $vgpr64_vgpr65
	s_and_saveexec_b64 s[22:23], s[14:15]
	s_cbranch_execnz .LBB1438_264
.LBB1438_23:
	s_or_b64 exec, exec, s[22:23]
	s_and_saveexec_b64 s[22:23], s[16:17]
                                        ; implicit-def: $vgpr48_vgpr49_vgpr50_vgpr51
	s_cbranch_execz .LBB1438_25
.LBB1438_24:
	flat_load_dwordx2 v[50:51], v[8:9] offset:56
.LBB1438_25:
	s_or_b64 exec, exec, s[22:23]
	; wave barrier
	s_load_dwordx2 s[22:23], s[8:9], 0x0
	v_mov_b32_e32 v8, 0
	v_bfe_u32 v11, v31, 20, 10
	v_and_b32_e32 v12, 0x3ff, v31
	s_waitcnt lgkmcnt(0)
	s_cmp_lt_u32 s12, s22
	s_cselect_b32 s22, 12, 18
	s_cmp_lt_u32 s13, s23
	s_cselect_b32 s12, 14, 20
	s_add_u32 s12, s8, s12
	s_addc_u32 s13, s9, 0
	s_add_u32 s8, s8, s22
	s_addc_u32 s9, s9, 0
	global_load_ushort v9, v8, s[12:13]
	global_load_ushort v10, v8, s[8:9]
	v_bfe_u32 v8, v31, 10, 10
	s_movk_i32 s8, 0x800
	s_waitcnt vmcnt(0)
	v_mad_u32_u24 v8, v11, v9, v8
	v_mul_lo_u32 v8, v8, v10
	v_add_lshl_u32 v98, v8, v12, 3
	v_pk_mov_b32 v[8:9], v[16:17], v[16:17] op_sel:[0,1]
	v_cmp_gt_u32_e64 s[8:9], s8, v98
	v_pk_mov_b32 v[10:11], v[18:19], v[18:19] op_sel:[0,1]
	v_pk_mov_b32 v[12:13], v[20:21], v[20:21] op_sel:[0,1]
	;; [unrolled: 1-line block ×3, first 2 shown]
	s_and_saveexec_b64 s[12:13], s[8:9]
	s_cbranch_execz .LBB1438_79
; %bb.26:
	v_pk_add_f32 v[8:9], v[16:17], 0 op_sel_hi:[1,0]
	v_ashrrev_i32_e32 v10, 31, v9
	v_ashrrev_i32_e32 v11, 31, v8
	v_or_b32_e32 v11, 0x80000000, v11
	v_or_b32_e32 v10, 0x80000000, v10
	v_xor_b32_e32 v9, v10, v9
	v_xor_b32_e32 v8, v11, v8
	v_pk_mov_b32 v[30:31], v[22:23], v[22:23] op_sel:[0,1]
	v_cmp_gt_u32_e64 s[8:9], v8, v9
	v_pk_mov_b32 v[48:49], v[34:35], v[34:35] op_sel:[0,1]
	v_pk_mov_b32 v[28:29], v[20:21], v[20:21] op_sel:[0,1]
	v_pk_mov_b32 v[26:27], v[18:19], v[18:19] op_sel:[0,1]
	v_pk_mov_b32 v[24:25], v[16:17], v[16:17] op_sel:[0,1]
	v_mov_b32_e32 v80, v16
	s_and_saveexec_b64 s[22:23], s[8:9]
	s_cbranch_execz .LBB1438_28
; %bb.27:
	v_mov_b32_e32 v24, v17
	v_mov_b32_e32 v25, v16
	v_mov_b32_e32 v26, v18
	v_mov_b32_e32 v27, v19
	v_mov_b32_e32 v28, v20
	v_mov_b32_e32 v29, v21
	v_mov_b32_e32 v30, v22
	v_mov_b32_e32 v31, v23
	v_pk_mov_b32 v[48:49], v[4:5], v[4:5] op_sel:[0,1]
	v_pk_mov_b32 v[4:5], v[34:35], v[34:35] op_sel:[0,1]
	v_mov_b32_e32 v80, v17
	v_mov_b32_e32 v17, v16
.LBB1438_28:
	s_or_b64 exec, exec, s[22:23]
	v_pk_add_f32 v[8:9], v[26:27], 0 op_sel_hi:[1,0]
	v_ashrrev_i32_e32 v10, 31, v9
	v_ashrrev_i32_e32 v11, 31, v8
	v_or_b32_e32 v11, 0x80000000, v11
	v_or_b32_e32 v10, 0x80000000, v10
	v_xor_b32_e32 v9, v10, v9
	v_xor_b32_e32 v8, v11, v8
	v_pk_mov_b32 v[38:39], v[30:31], v[30:31] op_sel:[0,1]
	v_cmp_gt_u32_e64 s[8:9], v8, v9
	v_pk_mov_b32 v[84:85], v[52:53], v[52:53] op_sel:[0,1]
	v_pk_mov_b32 v[36:37], v[28:29], v[28:29] op_sel:[0,1]
	v_pk_mov_b32 v[34:35], v[26:27], v[26:27] op_sel:[0,1]
	v_pk_mov_b32 v[32:33], v[24:25], v[24:25] op_sel:[0,1]
	v_mov_b32_e32 v82, v27
	s_and_saveexec_b64 s[22:23], s[8:9]
	s_cbranch_execz .LBB1438_30
; %bb.29:
	v_mov_b32_e32 v32, v24
	v_mov_b32_e32 v33, v25
	v_mov_b32_e32 v34, v27
	v_mov_b32_e32 v35, v26
	v_mov_b32_e32 v36, v28
	v_mov_b32_e32 v37, v29
	v_mov_b32_e32 v38, v30
	v_mov_b32_e32 v39, v31
	v_pk_mov_b32 v[84:85], v[68:69], v[68:69] op_sel:[0,1]
	v_pk_mov_b32 v[68:69], v[52:53], v[52:53] op_sel:[0,1]
	v_mov_b32_e32 v82, v26
	v_mov_b32_e32 v26, v27
.LBB1438_30:
	s_or_b64 exec, exec, s[22:23]
	;; [unrolled: 31-line block ×3, first 2 shown]
	v_pk_add_f32 v[8:9], v[24:25], 0 op_sel_hi:[1,0]
	v_ashrrev_i32_e32 v10, 31, v9
	v_ashrrev_i32_e32 v11, 31, v8
	v_or_b32_e32 v11, 0x80000000, v11
	v_or_b32_e32 v10, 0x80000000, v10
	v_xor_b32_e32 v9, v10, v9
	v_xor_b32_e32 v8, v11, v8
	v_cmp_gt_u32_e64 s[8:9], v8, v9
	v_pk_mov_b32 v[8:9], v[18:19], v[18:19] op_sel:[0,1]
	v_pk_mov_b32 v[32:33], v[64:65], v[64:65] op_sel:[0,1]
	;; [unrolled: 1-line block ×5, first 2 shown]
	v_mov_b32_e32 v27, v25
	s_and_saveexec_b64 s[22:23], s[8:9]
	s_cbranch_execz .LBB1438_34
; %bb.33:
	v_mov_b32_e32 v8, v18
	v_mov_b32_e32 v9, v19
	;; [unrolled: 1-line block ×8, first 2 shown]
	v_pk_mov_b32 v[32:33], v[50:51], v[50:51] op_sel:[0,1]
	v_pk_mov_b32 v[50:51], v[64:65], v[64:65] op_sel:[0,1]
	v_mov_b32_e32 v27, v24
	v_mov_b32_e32 v24, v25
.LBB1438_34:
	s_or_b64 exec, exec, s[22:23]
	v_mov_b32_e32 v18, v17
	v_mov_b32_e32 v19, v26
	v_pk_add_f32 v[18:19], v[18:19], 0 op_sel_hi:[1,0]
	v_ashrrev_i32_e32 v16, 31, v19
	v_ashrrev_i32_e32 v20, 31, v18
	v_or_b32_e32 v20, 0x80000000, v20
	v_or_b32_e32 v16, 0x80000000, v16
	v_xor_b32_e32 v16, v16, v19
	v_xor_b32_e32 v18, v20, v18
	v_cmp_gt_u32_e64 s[8:9], v18, v16
	v_pk_mov_b32 v[20:21], v[68:69], v[68:69] op_sel:[0,1]
	v_mov_b32_e32 v18, v26
	s_and_saveexec_b64 s[22:23], s[8:9]
	s_xor_b64 s[8:9], exec, s[22:23]
; %bb.35:
	v_mov_b32_e32 v9, v26
	v_mov_b32_e32 v10, v17
	v_pk_mov_b32 v[20:21], v[48:49], v[48:49] op_sel:[0,1]
	v_pk_mov_b32 v[48:49], v[68:69], v[68:69] op_sel:[0,1]
	v_mov_b32_e32 v18, v17
	v_mov_b32_e32 v17, v26
; %bb.36:
	s_or_b64 exec, exec, s[8:9]
	v_mov_b32_e32 v83, v36
	v_pk_add_f32 v[22:23], v[82:83], 0 op_sel_hi:[1,0]
	v_ashrrev_i32_e32 v16, 31, v23
	v_ashrrev_i32_e32 v19, 31, v22
	v_or_b32_e32 v19, 0x80000000, v19
	v_or_b32_e32 v16, 0x80000000, v16
	v_xor_b32_e32 v16, v16, v23
	v_xor_b32_e32 v19, v19, v22
	v_cmp_gt_u32_e64 s[8:9], v19, v16
	v_pk_mov_b32 v[34:35], v[84:85], v[84:85] op_sel:[0,1]
	v_mov_b32_e32 v68, v36
	s_and_saveexec_b64 s[22:23], s[8:9]
; %bb.37:
	v_mov_b32_e32 v11, v36
	v_mov_b32_e32 v12, v82
	v_pk_mov_b32 v[34:35], v[28:29], v[28:29] op_sel:[0,1]
	v_pk_mov_b32 v[28:29], v[84:85], v[84:85] op_sel:[0,1]
	v_mov_b32_e32 v68, v82
	v_mov_b32_e32 v82, v36
; %bb.38:
	s_or_b64 exec, exec, s[22:23]
	v_mov_b32_e32 v31, v24
	v_pk_add_f32 v[22:23], v[30:31], 0 op_sel_hi:[1,0]
	v_ashrrev_i32_e32 v16, 31, v23
	v_ashrrev_i32_e32 v19, 31, v22
	v_or_b32_e32 v19, 0x80000000, v19
	v_or_b32_e32 v16, 0x80000000, v16
	v_xor_b32_e32 v16, v16, v23
	v_xor_b32_e32 v19, v19, v22
	v_cmp_gt_u32_e64 s[8:9], v19, v16
	v_pk_mov_b32 v[22:23], v[66:67], v[66:67] op_sel:[0,1]
	v_mov_b32_e32 v26, v24
	s_and_saveexec_b64 s[22:23], s[8:9]
	;; [unrolled: 21-line block ×5, first 2 shown]
; %bb.45:
	v_mov_b32_e32 v12, v30
	v_mov_b32_e32 v13, v68
	v_pk_mov_b32 v[34:35], v[22:23], v[22:23] op_sel:[0,1]
	v_pk_mov_b32 v[22:23], v[28:29], v[28:29] op_sel:[0,1]
	v_mov_b32_e32 v64, v68
	v_mov_b32_e32 v68, v30
; %bb.46:
	s_or_b64 exec, exec, s[22:23]
	v_pk_add_f32 v[28:29], v[26:27], 0 op_sel_hi:[1,0]
	v_ashrrev_i32_e32 v19, 31, v29
	v_ashrrev_i32_e32 v30, 31, v28
	v_or_b32_e32 v30, 0x80000000, v30
	v_or_b32_e32 v19, 0x80000000, v19
	v_xor_b32_e32 v19, v19, v29
	v_xor_b32_e32 v28, v30, v28
	v_cmp_gt_u32_e64 s[8:9], v28, v19
	v_pk_mov_b32 v[28:29], v[32:33], v[32:33] op_sel:[0,1]
	v_mov_b32_e32 v19, v27
	s_and_saveexec_b64 s[22:23], s[8:9]
; %bb.47:
	v_mov_b32_e32 v14, v27
	v_mov_b32_e32 v15, v26
	v_pk_mov_b32 v[28:29], v[50:51], v[50:51] op_sel:[0,1]
	v_pk_mov_b32 v[50:51], v[32:33], v[32:33] op_sel:[0,1]
	v_mov_b32_e32 v19, v26
	v_mov_b32_e32 v26, v27
; %bb.48:
	s_or_b64 exec, exec, s[22:23]
	v_mov_b32_e32 v30, v17
	v_mov_b32_e32 v31, v18
	v_pk_add_f32 v[30:31], v[30:31], 0 op_sel_hi:[1,0]
	v_ashrrev_i32_e32 v27, 31, v31
	v_ashrrev_i32_e32 v32, 31, v30
	v_or_b32_e32 v32, 0x80000000, v32
	v_or_b32_e32 v27, 0x80000000, v27
	v_xor_b32_e32 v27, v27, v31
	v_xor_b32_e32 v30, v32, v30
	v_cmp_gt_u32_e64 s[8:9], v30, v27
	v_pk_mov_b32 v[30:31], v[20:21], v[20:21] op_sel:[0,1]
	v_mov_b32_e32 v52, v18
	s_and_saveexec_b64 s[22:23], s[8:9]
; %bb.49:
	v_mov_b32_e32 v9, v18
	v_mov_b32_e32 v10, v17
	v_pk_mov_b32 v[30:31], v[24:25], v[24:25] op_sel:[0,1]
	v_pk_mov_b32 v[24:25], v[20:21], v[20:21] op_sel:[0,1]
	v_mov_b32_e32 v52, v17
	v_mov_b32_e32 v17, v18
; %bb.50:
	s_or_b64 exec, exec, s[22:23]
	v_mov_b32_e32 v39, v68
	v_pk_add_f32 v[20:21], v[38:39], 0 op_sel_hi:[1,0]
	v_ashrrev_i32_e32 v18, 31, v21
	v_ashrrev_i32_e32 v27, 31, v20
	v_or_b32_e32 v27, 0x80000000, v27
	v_or_b32_e32 v18, 0x80000000, v18
	v_xor_b32_e32 v18, v18, v21
	v_xor_b32_e32 v20, v27, v20
	v_cmp_gt_u32_e64 s[8:9], v20, v18
	v_pk_mov_b32 v[70:71], v[36:37], v[36:37] op_sel:[0,1]
	v_mov_b32_e32 v20, v68
	s_and_saveexec_b64 s[22:23], s[8:9]
; %bb.51:
	v_mov_b32_e32 v11, v68
	v_mov_b32_e32 v12, v38
	v_pk_mov_b32 v[70:71], v[34:35], v[34:35] op_sel:[0,1]
	v_pk_mov_b32 v[34:35], v[36:37], v[36:37] op_sel:[0,1]
	v_mov_b32_e32 v20, v38
	v_mov_b32_e32 v38, v68
; %bb.52:
	s_or_b64 exec, exec, s[22:23]
	;; [unrolled: 21-line block ×3, first 2 shown]
	v_pk_add_f32 v[22:23], v[16:17], 0 op_sel_hi:[1,0]
	v_ashrrev_i32_e32 v21, 31, v23
	v_ashrrev_i32_e32 v26, 31, v22
	v_or_b32_e32 v26, 0x80000000, v26
	v_or_b32_e32 v21, 0x80000000, v21
	v_xor_b32_e32 v21, v21, v23
	v_xor_b32_e32 v22, v26, v22
	v_cmp_gt_u32_e64 s[8:9], v22, v21
	v_pk_mov_b32 v[26:27], v[24:25], v[24:25] op_sel:[0,1]
	v_mov_b32_e32 v36, v16
	s_and_saveexec_b64 s[22:23], s[8:9]
; %bb.55:
	v_mov_b32_e32 v8, v17
	v_mov_b32_e32 v9, v16
	v_pk_mov_b32 v[26:27], v[4:5], v[4:5] op_sel:[0,1]
	v_pk_mov_b32 v[4:5], v[24:25], v[24:25] op_sel:[0,1]
	v_mov_b32_e32 v36, v17
	v_mov_b32_e32 v17, v16
; %bb.56:
	s_or_b64 exec, exec, s[22:23]
	v_mov_b32_e32 v53, v38
	v_pk_add_f32 v[22:23], v[52:53], 0 op_sel_hi:[1,0]
	v_ashrrev_i32_e32 v16, 31, v23
	v_ashrrev_i32_e32 v21, 31, v22
	v_or_b32_e32 v21, 0x80000000, v21
	v_or_b32_e32 v16, 0x80000000, v16
	v_xor_b32_e32 v16, v16, v23
	v_xor_b32_e32 v21, v21, v22
	v_cmp_gt_u32_e64 s[8:9], v21, v16
	v_pk_mov_b32 v[66:67], v[70:71], v[70:71] op_sel:[0,1]
	v_mov_b32_e32 v48, v38
	s_and_saveexec_b64 s[22:23], s[8:9]
; %bb.57:
	v_mov_b32_e32 v10, v38
	v_mov_b32_e32 v11, v52
	v_pk_mov_b32 v[66:67], v[30:31], v[30:31] op_sel:[0,1]
	v_pk_mov_b32 v[30:31], v[70:71], v[70:71] op_sel:[0,1]
	v_mov_b32_e32 v48, v52
	v_mov_b32_e32 v52, v38
; %bb.58:
	s_or_b64 exec, exec, s[22:23]
	v_mov_b32_e32 v21, v64
	v_pk_add_f32 v[22:23], v[20:21], 0 op_sel_hi:[1,0]
	v_ashrrev_i32_e32 v16, 31, v23
	v_ashrrev_i32_e32 v21, 31, v22
	v_or_b32_e32 v21, 0x80000000, v21
	v_or_b32_e32 v16, 0x80000000, v16
	v_xor_b32_e32 v16, v16, v23
	v_xor_b32_e32 v21, v21, v22
	v_cmp_gt_u32_e64 s[8:9], v21, v16
	v_pk_mov_b32 v[24:25], v[34:35], v[34:35] op_sel:[0,1]
	v_mov_b32_e32 v38, v64
	s_and_saveexec_b64 s[22:23], s[8:9]
; %bb.59:
	v_mov_b32_e32 v12, v64
	v_mov_b32_e32 v13, v20
	v_pk_mov_b32 v[24:25], v[32:33], v[32:33] op_sel:[0,1]
	v_pk_mov_b32 v[32:33], v[34:35], v[34:35] op_sel:[0,1]
	v_mov_b32_e32 v38, v20
	v_mov_b32_e32 v20, v64
; %bb.60:
	s_or_b64 exec, exec, s[22:23]
	v_pk_add_f32 v[22:23], v[18:19], 0 op_sel_hi:[1,0]
	v_ashrrev_i32_e32 v16, 31, v23
	v_ashrrev_i32_e32 v21, 31, v22
	v_or_b32_e32 v21, 0x80000000, v21
	v_or_b32_e32 v16, 0x80000000, v16
	v_xor_b32_e32 v16, v16, v23
	v_xor_b32_e32 v21, v21, v22
	v_cmp_gt_u32_e64 s[8:9], v21, v16
	v_pk_mov_b32 v[22:23], v[28:29], v[28:29] op_sel:[0,1]
	v_mov_b32_e32 v21, v19
	s_and_saveexec_b64 s[22:23], s[8:9]
; %bb.61:
	v_mov_b32_e32 v14, v19
	v_mov_b32_e32 v15, v18
	v_pk_mov_b32 v[22:23], v[50:51], v[50:51] op_sel:[0,1]
	v_pk_mov_b32 v[50:51], v[28:29], v[28:29] op_sel:[0,1]
	v_mov_b32_e32 v21, v18
	v_mov_b32_e32 v18, v19
; %bb.62:
	s_or_b64 exec, exec, s[22:23]
	v_mov_b32_e32 v28, v17
	v_mov_b32_e32 v29, v52
	v_pk_add_f32 v[28:29], v[28:29], 0 op_sel_hi:[1,0]
	v_ashrrev_i32_e32 v16, 31, v29
	v_ashrrev_i32_e32 v19, 31, v28
	v_or_b32_e32 v19, 0x80000000, v19
	v_or_b32_e32 v16, 0x80000000, v16
	v_xor_b32_e32 v16, v16, v29
	v_xor_b32_e32 v19, v19, v28
	v_cmp_gt_u32_e64 s[8:9], v19, v16
	v_pk_mov_b32 v[28:29], v[30:31], v[30:31] op_sel:[0,1]
	v_mov_b32_e32 v64, v52
	s_and_saveexec_b64 s[22:23], s[8:9]
; %bb.63:
	v_mov_b32_e32 v9, v52
	v_mov_b32_e32 v10, v17
	v_pk_mov_b32 v[28:29], v[26:27], v[26:27] op_sel:[0,1]
	v_pk_mov_b32 v[26:27], v[30:31], v[30:31] op_sel:[0,1]
	v_mov_b32_e32 v64, v17
	v_mov_b32_e32 v17, v52
; %bb.64:
	s_or_b64 exec, exec, s[22:23]
	v_mov_b32_e32 v49, v20
	v_pk_add_f32 v[30:31], v[48:49], 0 op_sel_hi:[1,0]
	v_ashrrev_i32_e32 v16, 31, v31
	v_ashrrev_i32_e32 v19, 31, v30
	v_or_b32_e32 v19, 0x80000000, v19
	v_or_b32_e32 v16, 0x80000000, v16
	v_xor_b32_e32 v16, v16, v31
	v_xor_b32_e32 v19, v19, v30
	v_cmp_gt_u32_e64 s[8:9], v19, v16
	v_pk_mov_b32 v[34:35], v[66:67], v[66:67] op_sel:[0,1]
	v_mov_b32_e32 v30, v20
	s_and_saveexec_b64 s[22:23], s[8:9]
; %bb.65:
	v_mov_b32_e32 v11, v20
	v_mov_b32_e32 v12, v48
	v_pk_mov_b32 v[34:35], v[24:25], v[24:25] op_sel:[0,1]
	v_pk_mov_b32 v[24:25], v[66:67], v[66:67] op_sel:[0,1]
	v_mov_b32_e32 v30, v48
	v_mov_b32_e32 v48, v20
; %bb.66:
	s_or_b64 exec, exec, s[22:23]
	;; [unrolled: 21-line block ×6, first 2 shown]
	v_pk_add_f32 v[24:25], v[20:21], 0 op_sel_hi:[1,0]
	v_ashrrev_i32_e32 v33, 31, v24
	v_ashrrev_i32_e32 v34, 31, v25
	v_or_b32_e32 v34, 0x80000000, v34
	v_or_b32_e32 v33, 0x80000000, v33
	v_xor_b32_e32 v38, v33, v24
	v_xor_b32_e32 v33, v34, v25
	v_cmp_gt_u32_e64 s[8:9], v38, v33
	v_pk_mov_b32 v[24:25], v[22:23], v[22:23] op_sel:[0,1]
	s_and_saveexec_b64 s[22:23], s[8:9]
; %bb.75:
	v_mov_b32_e32 v14, v21
	v_mov_b32_e32 v15, v20
	;; [unrolled: 1-line block ×3, first 2 shown]
	v_pk_mov_b32 v[24:25], v[50:51], v[50:51] op_sel:[0,1]
	v_pk_mov_b32 v[50:51], v[22:23], v[22:23] op_sel:[0,1]
	v_mov_b32_e32 v20, v21
; %bb.76:
	s_or_b64 exec, exec, s[22:23]
	v_mov_b32_e32 v22, v17
	v_mov_b32_e32 v23, v64
	v_pk_add_f32 v[22:23], v[22:23], 0 op_sel_hi:[1,0]
	v_ashrrev_i32_e32 v21, 31, v23
	v_ashrrev_i32_e32 v33, 31, v22
	v_or_b32_e32 v33, 0x80000000, v33
	v_or_b32_e32 v21, 0x80000000, v21
	v_xor_b32_e32 v21, v21, v23
	v_xor_b32_e32 v22, v33, v22
	v_cmp_gt_u32_e64 s[8:9], v22, v21
	v_mov_b32_e32 v33, v30
	v_cndmask_b32_e64 v69, v29, v19, s[8:9]
	v_cndmask_b32_e64 v68, v28, v18, s[8:9]
	;; [unrolled: 1-line block ×4, first 2 shown]
	v_pk_add_f32 v[18:19], v[32:33], 0 op_sel_hi:[1,0]
	v_cndmask_b32_e64 v10, v10, v17, s[8:9]
	v_ashrrev_i32_e32 v17, 31, v19
	v_ashrrev_i32_e32 v21, 31, v18
	v_or_b32_e32 v21, 0x80000000, v21
	v_or_b32_e32 v17, 0x80000000, v17
	v_xor_b32_e32 v17, v17, v19
	v_xor_b32_e32 v18, v21, v18
	v_cndmask_b32_e64 v9, v9, v64, s[8:9]
	v_cmp_gt_u32_e64 s[8:9], v18, v17
	v_add_f32_e32 v17, 0, v31
	v_ashrrev_i32_e32 v18, 31, v17
	v_or_b32_e32 v18, 0x80000000, v18
	v_xor_b32_e32 v17, v18, v17
	v_cndmask_b32_e64 v53, v27, v37, s[8:9]
	v_cndmask_b32_e64 v52, v26, v36, s[8:9]
	v_cndmask_b32_e64 v71, v37, v27, s[8:9]
	v_cndmask_b32_e64 v70, v36, v26, s[8:9]
	v_cndmask_b32_e64 v12, v12, v32, s[8:9]
	v_cndmask_b32_e64 v11, v11, v30, s[8:9]
	v_cmp_gt_u32_e64 s[8:9], v17, v38
	v_pk_mov_b32 v[64:65], v[24:25], v[24:25] op_sel:[0,1]
	s_and_saveexec_b64 s[22:23], s[8:9]
; %bb.77:
	v_mov_b32_e32 v13, v20
	v_mov_b32_e32 v14, v31
	v_pk_mov_b32 v[64:65], v[66:67], v[66:67] op_sel:[0,1]
	v_pk_mov_b32 v[66:67], v[24:25], v[24:25] op_sel:[0,1]
; %bb.78:
	s_or_b64 exec, exec, s[22:23]
.LBB1438_79:
	s_or_b64 exec, exec, s[12:13]
	v_and_b32_e32 v17, 0xfffffe00, v98
	s_movk_i32 s8, 0x800
	v_lshlrev_b32_e32 v18, 2, v17
	v_sub_u32_e64 v19, s8, v17 clamp
	v_add_u32_e32 v17, v18, v18
	v_lshl_add_u32 v22, v97, 3, v17
	v_add_u32_e32 v20, 0x2000, v22
	v_add_u32_e32 v23, 0x2010, v22
	v_lshl_add_u32 v21, v97, 2, v18
	ds_write2_b64 v20, v[4:5], v[34:35] offset1:1
	ds_write2_b32 v21, v9, v10 offset0:1 offset1:2
	ds_write2_b64 v23, v[68:69], v[52:53] offset1:1
	ds_write2_b32 v21, v11, v12 offset0:3 offset1:4
	v_add_u32_e32 v23, 0x2020, v22
	ds_write2_b64 v23, v[70:71], v[66:67] offset1:1
	ds_write2_b32 v21, v13, v14 offset0:5 offset1:6
	v_add_u32_e32 v23, 0x2030, v22
	ds_write2_b32 v21, v16, v15 offset1:7
	ds_write2_b64 v23, v[64:65], v[50:51] offset1:1
	v_or_b32_e32 v16, 8, v97
	v_min_u32_e32 v16, v19, v16
	v_add_u32_e32 v23, 8, v16
	v_and_b32_e32 v26, 0x3f0, v97
	v_min_u32_e32 v23, v19, v23
	v_and_b32_e32 v24, 8, v97
	v_min_u32_e32 v27, v19, v24
	v_sub_u32_e32 v28, v16, v26
	v_sub_u32_e32 v25, v23, v16
	v_sub_u32_e64 v25, v27, v25 clamp
	v_min_u32_e32 v28, v27, v28
	v_lshl_add_u32 v24, v26, 2, v18
	v_cmp_lt_u32_e64 s[8:9], v25, v28
	; wave barrier
	s_and_saveexec_b64 s[12:13], s[8:9]
	s_cbranch_execz .LBB1438_83
; %bb.80:
	v_lshlrev_b32_e32 v29, 2, v16
	v_lshlrev_b32_e32 v30, 2, v27
	v_add3_u32 v29, v18, v29, v30
	s_mov_b64 s[22:23], 0
.LBB1438_81:                            ; =>This Inner Loop Header: Depth=1
	v_add_u32_e32 v30, v28, v25
	v_lshrrev_b32_e32 v32, 1, v30
	v_not_b32_e32 v30, v32
	v_lshl_add_u32 v31, v32, 2, v24
	v_lshl_add_u32 v36, v30, 2, v29
	ds_read_b32 v30, v31
	ds_read_b32 v31, v36
	v_add_u32_e32 v33, 1, v32
	s_waitcnt lgkmcnt(0)
	v_pk_add_f32 v[30:31], v[30:31], 0 op_sel_hi:[1,0]
	v_ashrrev_i32_e32 v36, 31, v31
	v_ashrrev_i32_e32 v37, 31, v30
	v_or_b32_e32 v37, 0x80000000, v37
	v_or_b32_e32 v36, 0x80000000, v36
	v_xor_b32_e32 v31, v36, v31
	v_xor_b32_e32 v30, v37, v30
	v_cmp_gt_u32_e64 s[8:9], v30, v31
	v_cndmask_b32_e64 v28, v28, v32, s[8:9]
	v_cndmask_b32_e64 v25, v33, v25, s[8:9]
	v_cmp_ge_u32_e64 s[8:9], v25, v28
	s_or_b64 s[22:23], s[8:9], s[22:23]
	s_andn2_b64 exec, exec, s[22:23]
	s_cbranch_execnz .LBB1438_81
; %bb.82:
	s_or_b64 exec, exec, s[22:23]
.LBB1438_83:
	s_or_b64 exec, exec, s[12:13]
	v_add_u32_e32 v27, v16, v27
	v_add_u32_e32 v26, v25, v26
	v_sub_u32_e32 v27, v27, v25
	v_cmp_le_u32_e64 s[8:9], v26, v16
	v_cmp_le_u32_e64 s[12:13], v27, v23
	s_or_b64 s[8:9], s[8:9], s[12:13]
	s_and_saveexec_b64 s[12:13], s[8:9]
	s_xor_b64 s[22:23], exec, s[12:13]
	s_cbranch_execz .LBB1438_119
; %bb.84:
	v_cmp_ge_u32_e64 s[8:9], v26, v16
	v_cmp_lt_u32_e64 s[12:13], v26, v16
                                        ; implicit-def: $vgpr8
	s_and_saveexec_b64 s[24:25], s[12:13]
	s_cbranch_execz .LBB1438_86
; %bb.85:
	v_lshl_add_u32 v4, v25, 2, v24
	ds_read_b32 v8, v4
.LBB1438_86:
	s_or_b64 exec, exec, s[24:25]
	v_cmp_ge_u32_e64 s[24:25], v27, v23
	v_cmp_lt_u32_e64 s[12:13], v27, v23
	s_and_saveexec_b64 s[26:27], s[12:13]
	s_cbranch_execz .LBB1438_88
; %bb.87:
	v_lshl_add_u32 v4, v27, 2, v18
	ds_read_b32 v9, v4
.LBB1438_88:
	s_or_b64 exec, exec, s[26:27]
	s_or_b64 s[8:9], s[8:9], s[24:25]
	s_mov_b64 s[12:13], -1
	s_xor_b64 s[8:9], s[8:9], -1
	s_and_saveexec_b64 s[26:27], s[8:9]
	s_cbranch_execz .LBB1438_90
; %bb.89:
	s_waitcnt lgkmcnt(0)
	v_pk_add_f32 v[4:5], v[8:9], 0 op_sel_hi:[1,0]
	v_ashrrev_i32_e32 v10, 31, v5
	v_ashrrev_i32_e32 v11, 31, v4
	v_or_b32_e32 v11, 0x80000000, v11
	v_or_b32_e32 v10, 0x80000000, v10
	v_xor_b32_e32 v5, v10, v5
	v_xor_b32_e32 v4, v11, v4
	v_cmp_le_u32_e64 s[8:9], v4, v5
	s_andn2_b64 s[24:25], s[24:25], exec
	s_and_b64 s[8:9], s[8:9], exec
	s_or_b64 s[24:25], s[24:25], s[8:9]
.LBB1438_90:
	s_or_b64 exec, exec, s[26:27]
	v_cndmask_b32_e64 v4, v27, v26, s[24:25]
	v_cndmask_b32_e64 v5, v23, v16, s[24:25]
	v_add_u32_e32 v12, 1, v4
	v_add_u32_e32 v5, -1, v5
	v_min_u32_e32 v5, v12, v5
	v_lshl_add_u32 v5, v5, 2, v18
	ds_read_b32 v11, v5
	v_lshl_add_u32 v4, v4, 3, v17
	ds_read_b64 v[4:5], v4 offset:8192
	v_cndmask_b32_e64 v14, v12, v27, s[24:25]
	v_cndmask_b32_e64 v15, v26, v12, s[24:25]
	s_waitcnt lgkmcnt(1)
	v_cndmask_b32_e64 v10, v11, v9, s[24:25]
	v_cndmask_b32_e64 v11, v8, v11, s[24:25]
	v_cmp_lt_u32_e64 s[8:9], v14, v23
	s_and_saveexec_b64 s[26:27], s[8:9]
	s_cbranch_execz .LBB1438_94
; %bb.91:
	v_cmp_lt_u32_e64 s[8:9], v15, v16
	s_mov_b64 s[28:29], 0
	s_and_saveexec_b64 s[12:13], s[8:9]
; %bb.92:
	v_add_f32_e32 v12, 0, v11
	v_ashrrev_i32_e32 v24, 31, v12
	v_add_f32_e32 v13, 0, v10
	v_or_b32_e32 v24, 0x80000000, v24
	v_xor_b32_e32 v12, v24, v12
	v_ashrrev_i32_e32 v24, 31, v13
	v_or_b32_e32 v24, 0x80000000, v24
	v_xor_b32_e32 v13, v24, v13
	v_cmp_le_u32_e64 s[8:9], v12, v13
	s_and_b64 s[28:29], s[8:9], exec
; %bb.93:
	s_or_b64 exec, exec, s[12:13]
	s_orn2_b64 s[12:13], s[28:29], exec
.LBB1438_94:
	s_or_b64 exec, exec, s[26:27]
	v_cndmask_b32_e64 v12, v14, v15, s[12:13]
	v_cndmask_b32_e64 v13, v23, v16, s[12:13]
	v_add_u32_e32 v25, 1, v12
	v_add_u32_e32 v13, -1, v13
	v_min_u32_e32 v13, v25, v13
	v_lshl_add_u32 v13, v13, 2, v18
	ds_read_b32 v13, v13
	v_lshl_add_u32 v12, v12, 3, v17
	ds_read_b64 v[34:35], v12 offset:8192
	v_cndmask_b32_e64 v24, v25, v14, s[12:13]
	v_cndmask_b32_e64 v25, v15, v25, s[12:13]
	s_waitcnt lgkmcnt(1)
	v_cndmask_b32_e64 v12, v13, v10, s[12:13]
	v_cndmask_b32_e64 v13, v11, v13, s[12:13]
	v_cmp_lt_u32_e64 s[8:9], v24, v23
	s_mov_b64 s[26:27], -1
	s_mov_b64 s[28:29], -1
	s_and_saveexec_b64 s[30:31], s[8:9]
	s_cbranch_execz .LBB1438_98
; %bb.95:
	v_cmp_lt_u32_e64 s[8:9], v25, v16
	s_mov_b64 s[34:35], 0
	s_and_saveexec_b64 s[28:29], s[8:9]
; %bb.96:
	v_add_f32_e32 v14, 0, v13
	v_ashrrev_i32_e32 v26, 31, v14
	v_add_f32_e32 v15, 0, v12
	v_or_b32_e32 v26, 0x80000000, v26
	v_xor_b32_e32 v14, v26, v14
	v_ashrrev_i32_e32 v26, 31, v15
	v_or_b32_e32 v26, 0x80000000, v26
	v_xor_b32_e32 v15, v26, v15
	v_cmp_le_u32_e64 s[8:9], v14, v15
	s_and_b64 s[34:35], s[8:9], exec
; %bb.97:
	s_or_b64 exec, exec, s[28:29]
	s_orn2_b64 s[28:29], s[34:35], exec
.LBB1438_98:
	s_or_b64 exec, exec, s[30:31]
	v_cndmask_b32_e64 v14, v24, v25, s[28:29]
	v_cndmask_b32_e64 v15, v23, v16, s[28:29]
	v_add_u32_e32 v27, 1, v14
	v_add_u32_e32 v15, -1, v15
	v_min_u32_e32 v15, v27, v15
	v_lshl_add_u32 v15, v15, 2, v18
	ds_read_b32 v15, v15
	v_lshl_add_u32 v14, v14, 3, v17
	ds_read_b64 v[68:69], v14 offset:8192
	v_cndmask_b32_e64 v26, v27, v24, s[28:29]
	v_cndmask_b32_e64 v27, v25, v27, s[28:29]
	s_waitcnt lgkmcnt(1)
	v_cndmask_b32_e64 v14, v15, v12, s[28:29]
	v_cndmask_b32_e64 v15, v13, v15, s[28:29]
	v_cmp_lt_u32_e64 s[8:9], v26, v23
	s_and_saveexec_b64 s[30:31], s[8:9]
	s_cbranch_execz .LBB1438_102
; %bb.99:
	v_cmp_lt_u32_e64 s[8:9], v27, v16
	s_mov_b64 s[34:35], 0
	s_and_saveexec_b64 s[26:27], s[8:9]
; %bb.100:
	v_add_f32_e32 v24, 0, v15
	v_ashrrev_i32_e32 v28, 31, v24
	v_add_f32_e32 v25, 0, v14
	v_or_b32_e32 v28, 0x80000000, v28
	v_xor_b32_e32 v24, v28, v24
	v_ashrrev_i32_e32 v28, 31, v25
	v_or_b32_e32 v28, 0x80000000, v28
	v_xor_b32_e32 v25, v28, v25
	v_cmp_le_u32_e64 s[8:9], v24, v25
	s_and_b64 s[34:35], s[8:9], exec
; %bb.101:
	s_or_b64 exec, exec, s[26:27]
	s_orn2_b64 s[26:27], s[34:35], exec
.LBB1438_102:
	s_or_b64 exec, exec, s[30:31]
	v_cndmask_b32_e64 v24, v26, v27, s[26:27]
	v_cndmask_b32_e64 v25, v23, v16, s[26:27]
	v_add_u32_e32 v29, 1, v24
	v_add_u32_e32 v25, -1, v25
	v_min_u32_e32 v25, v29, v25
	v_lshl_add_u32 v25, v25, 2, v18
	ds_read_b32 v25, v25
	v_lshl_add_u32 v24, v24, 3, v17
	ds_read_b64 v[52:53], v24 offset:8192
	v_cndmask_b32_e64 v28, v29, v26, s[26:27]
	v_cndmask_b32_e64 v29, v27, v29, s[26:27]
	s_waitcnt lgkmcnt(1)
	v_cndmask_b32_e64 v24, v25, v14, s[26:27]
	v_cndmask_b32_e64 v25, v15, v25, s[26:27]
	v_cmp_lt_u32_e64 s[8:9], v28, v23
	s_mov_b64 s[30:31], -1
	s_mov_b64 s[34:35], -1
	s_and_saveexec_b64 s[36:37], s[8:9]
	s_cbranch_execz .LBB1438_106
; %bb.103:
	v_cmp_lt_u32_e64 s[8:9], v29, v16
	s_mov_b64 s[38:39], 0
	s_and_saveexec_b64 s[34:35], s[8:9]
; %bb.104:
	v_add_f32_e32 v26, 0, v25
	v_ashrrev_i32_e32 v30, 31, v26
	v_add_f32_e32 v27, 0, v24
	v_or_b32_e32 v30, 0x80000000, v30
	v_xor_b32_e32 v26, v30, v26
	v_ashrrev_i32_e32 v30, 31, v27
	v_or_b32_e32 v30, 0x80000000, v30
	v_xor_b32_e32 v27, v30, v27
	v_cmp_le_u32_e64 s[8:9], v26, v27
	s_and_b64 s[38:39], s[8:9], exec
; %bb.105:
	s_or_b64 exec, exec, s[34:35]
	s_orn2_b64 s[34:35], s[38:39], exec
.LBB1438_106:
	s_or_b64 exec, exec, s[36:37]
	v_cndmask_b32_e64 v26, v28, v29, s[34:35]
	v_cndmask_b32_e64 v27, v23, v16, s[34:35]
	v_add_u32_e32 v31, 1, v26
	v_add_u32_e32 v27, -1, v27
	v_min_u32_e32 v27, v31, v27
	v_lshl_add_u32 v27, v27, 2, v18
	ds_read_b32 v27, v27
	v_lshl_add_u32 v26, v26, 3, v17
	ds_read_b64 v[70:71], v26 offset:8192
	v_cndmask_b32_e64 v30, v31, v28, s[34:35]
	v_cndmask_b32_e64 v31, v29, v31, s[34:35]
	s_waitcnt lgkmcnt(1)
	v_cndmask_b32_e64 v26, v27, v24, s[34:35]
	v_cndmask_b32_e64 v27, v25, v27, s[34:35]
	v_cmp_lt_u32_e64 s[8:9], v30, v23
	s_and_saveexec_b64 s[36:37], s[8:9]
	s_cbranch_execz .LBB1438_110
; %bb.107:
	v_cmp_lt_u32_e64 s[8:9], v31, v16
	s_mov_b64 s[38:39], 0
	s_and_saveexec_b64 s[30:31], s[8:9]
; %bb.108:
	v_add_f32_e32 v28, 0, v27
	v_ashrrev_i32_e32 v32, 31, v28
	v_add_f32_e32 v29, 0, v26
	v_or_b32_e32 v32, 0x80000000, v32
	v_xor_b32_e32 v28, v32, v28
	v_ashrrev_i32_e32 v32, 31, v29
	v_or_b32_e32 v32, 0x80000000, v32
	v_xor_b32_e32 v29, v32, v29
	v_cmp_le_u32_e64 s[8:9], v28, v29
	s_and_b64 s[38:39], s[8:9], exec
; %bb.109:
	s_or_b64 exec, exec, s[30:31]
	s_orn2_b64 s[30:31], s[38:39], exec
.LBB1438_110:
	s_or_b64 exec, exec, s[36:37]
	v_cndmask_b32_e64 v28, v30, v31, s[30:31]
	v_cndmask_b32_e64 v29, v23, v16, s[30:31]
	v_add_u32_e32 v33, 1, v28
	v_add_u32_e32 v29, -1, v29
	v_min_u32_e32 v29, v33, v29
	v_lshl_add_u32 v29, v29, 2, v18
	ds_read_b32 v29, v29
	v_lshl_add_u32 v28, v28, 3, v17
	ds_read_b64 v[66:67], v28 offset:8192
	v_cndmask_b32_e64 v32, v33, v30, s[30:31]
	v_cndmask_b32_e64 v33, v31, v33, s[30:31]
	s_waitcnt lgkmcnt(1)
	v_cndmask_b32_e64 v28, v29, v26, s[30:31]
	v_cndmask_b32_e64 v29, v27, v29, s[30:31]
	v_cmp_lt_u32_e64 s[8:9], v32, v23
	s_mov_b64 s[36:37], -1
	s_mov_b64 s[38:39], -1
	s_and_saveexec_b64 s[40:41], s[8:9]
	s_cbranch_execz .LBB1438_114
; %bb.111:
	v_cmp_lt_u32_e64 s[8:9], v33, v16
	s_mov_b64 s[42:43], 0
	s_and_saveexec_b64 s[38:39], s[8:9]
; %bb.112:
	v_add_f32_e32 v30, 0, v29
	v_ashrrev_i32_e32 v36, 31, v30
	v_add_f32_e32 v31, 0, v28
	v_or_b32_e32 v36, 0x80000000, v36
	v_xor_b32_e32 v30, v36, v30
	v_ashrrev_i32_e32 v36, 31, v31
	v_or_b32_e32 v36, 0x80000000, v36
	v_xor_b32_e32 v31, v36, v31
	v_cmp_le_u32_e64 s[8:9], v30, v31
	s_and_b64 s[42:43], s[8:9], exec
; %bb.113:
	s_or_b64 exec, exec, s[38:39]
	s_orn2_b64 s[38:39], s[42:43], exec
.LBB1438_114:
	s_or_b64 exec, exec, s[40:41]
	v_cndmask_b32_e64 v30, v32, v33, s[38:39]
	v_cndmask_b32_e64 v31, v23, v16, s[38:39]
	v_add_u32_e32 v36, 1, v30
	v_add_u32_e32 v31, -1, v31
	v_min_u32_e32 v31, v36, v31
	v_lshl_add_u32 v31, v31, 2, v18
	ds_read_b32 v31, v31
	v_lshl_add_u32 v30, v30, 3, v17
	ds_read_b64 v[64:65], v30 offset:8192
	v_cndmask_b32_e64 v32, v36, v32, s[38:39]
	v_cndmask_b32_e64 v33, v33, v36, s[38:39]
	s_waitcnt lgkmcnt(1)
	v_cndmask_b32_e64 v30, v31, v28, s[38:39]
	v_cndmask_b32_e64 v31, v29, v31, s[38:39]
	v_cmp_lt_u32_e64 s[8:9], v32, v23
	s_and_saveexec_b64 s[40:41], s[8:9]
	s_cbranch_execz .LBB1438_118
; %bb.115:
	v_cmp_lt_u32_e64 s[8:9], v33, v16
	s_mov_b64 s[42:43], 0
	s_and_saveexec_b64 s[36:37], s[8:9]
; %bb.116:
	v_add_f32_e32 v16, 0, v31
	v_ashrrev_i32_e32 v36, 31, v16
	v_add_f32_e32 v23, 0, v30
	v_or_b32_e32 v36, 0x80000000, v36
	v_xor_b32_e32 v16, v36, v16
	v_ashrrev_i32_e32 v36, 31, v23
	v_or_b32_e32 v36, 0x80000000, v36
	v_xor_b32_e32 v23, v36, v23
	v_cmp_le_u32_e64 s[8:9], v16, v23
	s_and_b64 s[42:43], s[8:9], exec
; %bb.117:
	s_or_b64 exec, exec, s[36:37]
	s_orn2_b64 s[36:37], s[42:43], exec
.LBB1438_118:
	s_or_b64 exec, exec, s[40:41]
	v_cndmask_b32_e64 v8, v9, v8, s[24:25]
	v_cndmask_b32_e64 v9, v10, v11, s[12:13]
	;; [unrolled: 1-line block ×4, first 2 shown]
	v_lshl_add_u32 v12, v12, 3, v17
	ds_read_b64 v[50:51], v12 offset:8192
	v_cndmask_b32_e64 v11, v14, v15, s[26:27]
	v_cndmask_b32_e64 v12, v24, v25, s[34:35]
	;; [unrolled: 1-line block ×5, first 2 shown]
.LBB1438_119:
	s_andn2_saveexec_b64 s[8:9], s[22:23]
	s_or_b64 exec, exec, s[8:9]
	v_add_u32_e32 v16, 0x2000, v22
	v_and_b32_e32 v26, 0x3e0, v97
	; wave barrier
	ds_write2_b64 v16, v[4:5], v[34:35] offset1:1
	ds_write2_b64 v21, v[8:9], v[10:11] offset1:1
	ds_write2_b64 v20, v[68:69], v[52:53] offset0:2 offset1:3
	ds_write2_b64 v20, v[70:71], v[66:67] offset0:4 offset1:5
	;; [unrolled: 1-line block ×3, first 2 shown]
	s_waitcnt lgkmcnt(5)
	ds_write2_b64 v20, v[64:65], v[50:51] offset0:6 offset1:7
	v_or_b32_e32 v16, 16, v26
	v_min_u32_e32 v16, v19, v16
	v_add_u32_e32 v23, 16, v16
	v_min_u32_e32 v23, v19, v23
	v_and_b32_e32 v24, 24, v97
	v_min_u32_e32 v27, v19, v24
	v_sub_u32_e32 v28, v16, v26
	v_sub_u32_e32 v25, v23, v16
	v_sub_u32_e64 v25, v27, v25 clamp
	v_min_u32_e32 v28, v27, v28
	v_lshl_add_u32 v24, v26, 2, v18
	v_cmp_lt_u32_e64 s[8:9], v25, v28
	; wave barrier
	s_and_saveexec_b64 s[12:13], s[8:9]
	s_cbranch_execz .LBB1438_123
; %bb.120:
	v_lshlrev_b32_e32 v29, 2, v16
	v_lshlrev_b32_e32 v30, 2, v27
	v_add3_u32 v29, v18, v29, v30
	s_mov_b64 s[22:23], 0
.LBB1438_121:                           ; =>This Inner Loop Header: Depth=1
	v_add_u32_e32 v30, v28, v25
	v_lshrrev_b32_e32 v32, 1, v30
	v_not_b32_e32 v30, v32
	v_lshl_add_u32 v31, v32, 2, v24
	v_lshl_add_u32 v36, v30, 2, v29
	ds_read_b32 v30, v31
	ds_read_b32 v31, v36
	v_add_u32_e32 v33, 1, v32
	s_waitcnt lgkmcnt(0)
	v_pk_add_f32 v[30:31], v[30:31], 0 op_sel_hi:[1,0]
	v_ashrrev_i32_e32 v36, 31, v31
	v_ashrrev_i32_e32 v37, 31, v30
	v_or_b32_e32 v37, 0x80000000, v37
	v_or_b32_e32 v36, 0x80000000, v36
	v_xor_b32_e32 v31, v36, v31
	v_xor_b32_e32 v30, v37, v30
	v_cmp_gt_u32_e64 s[8:9], v30, v31
	v_cndmask_b32_e64 v28, v28, v32, s[8:9]
	v_cndmask_b32_e64 v25, v33, v25, s[8:9]
	v_cmp_ge_u32_e64 s[8:9], v25, v28
	s_or_b64 s[22:23], s[8:9], s[22:23]
	s_andn2_b64 exec, exec, s[22:23]
	s_cbranch_execnz .LBB1438_121
; %bb.122:
	s_or_b64 exec, exec, s[22:23]
.LBB1438_123:
	s_or_b64 exec, exec, s[12:13]
	v_add_u32_e32 v27, v16, v27
	v_add_u32_e32 v26, v25, v26
	v_sub_u32_e32 v27, v27, v25
	v_cmp_le_u32_e64 s[8:9], v26, v16
	v_cmp_le_u32_e64 s[12:13], v27, v23
	s_or_b64 s[8:9], s[8:9], s[12:13]
	s_and_saveexec_b64 s[12:13], s[8:9]
	s_xor_b64 s[22:23], exec, s[12:13]
	s_cbranch_execz .LBB1438_159
; %bb.124:
	v_cmp_ge_u32_e64 s[8:9], v26, v16
	v_cmp_lt_u32_e64 s[12:13], v26, v16
                                        ; implicit-def: $vgpr8
	s_and_saveexec_b64 s[24:25], s[12:13]
	s_cbranch_execz .LBB1438_126
; %bb.125:
	v_lshl_add_u32 v4, v25, 2, v24
	ds_read_b32 v8, v4
.LBB1438_126:
	s_or_b64 exec, exec, s[24:25]
	v_cmp_ge_u32_e64 s[24:25], v27, v23
	v_cmp_lt_u32_e64 s[12:13], v27, v23
	s_and_saveexec_b64 s[26:27], s[12:13]
	s_cbranch_execz .LBB1438_128
; %bb.127:
	v_lshl_add_u32 v4, v27, 2, v18
	ds_read_b32 v9, v4
.LBB1438_128:
	s_or_b64 exec, exec, s[26:27]
	s_or_b64 s[8:9], s[8:9], s[24:25]
	s_mov_b64 s[12:13], -1
	s_xor_b64 s[8:9], s[8:9], -1
	s_and_saveexec_b64 s[26:27], s[8:9]
	s_cbranch_execz .LBB1438_130
; %bb.129:
	s_waitcnt lgkmcnt(0)
	v_pk_add_f32 v[4:5], v[8:9], 0 op_sel_hi:[1,0]
	v_ashrrev_i32_e32 v10, 31, v5
	v_ashrrev_i32_e32 v11, 31, v4
	v_or_b32_e32 v11, 0x80000000, v11
	v_or_b32_e32 v10, 0x80000000, v10
	v_xor_b32_e32 v5, v10, v5
	v_xor_b32_e32 v4, v11, v4
	v_cmp_le_u32_e64 s[8:9], v4, v5
	s_andn2_b64 s[24:25], s[24:25], exec
	s_and_b64 s[8:9], s[8:9], exec
	s_or_b64 s[24:25], s[24:25], s[8:9]
.LBB1438_130:
	s_or_b64 exec, exec, s[26:27]
	v_cndmask_b32_e64 v4, v27, v26, s[24:25]
	v_cndmask_b32_e64 v5, v23, v16, s[24:25]
	v_add_u32_e32 v12, 1, v4
	v_add_u32_e32 v5, -1, v5
	v_min_u32_e32 v5, v12, v5
	v_lshl_add_u32 v5, v5, 2, v18
	ds_read_b32 v11, v5
	v_lshl_add_u32 v4, v4, 3, v17
	ds_read_b64 v[4:5], v4 offset:8192
	v_cndmask_b32_e64 v14, v12, v27, s[24:25]
	v_cndmask_b32_e64 v15, v26, v12, s[24:25]
	s_waitcnt lgkmcnt(1)
	v_cndmask_b32_e64 v10, v11, v9, s[24:25]
	v_cndmask_b32_e64 v11, v8, v11, s[24:25]
	v_cmp_lt_u32_e64 s[8:9], v14, v23
	s_and_saveexec_b64 s[26:27], s[8:9]
	s_cbranch_execz .LBB1438_134
; %bb.131:
	v_cmp_lt_u32_e64 s[8:9], v15, v16
	s_mov_b64 s[28:29], 0
	s_and_saveexec_b64 s[12:13], s[8:9]
; %bb.132:
	v_add_f32_e32 v12, 0, v11
	v_ashrrev_i32_e32 v24, 31, v12
	v_add_f32_e32 v13, 0, v10
	v_or_b32_e32 v24, 0x80000000, v24
	v_xor_b32_e32 v12, v24, v12
	v_ashrrev_i32_e32 v24, 31, v13
	v_or_b32_e32 v24, 0x80000000, v24
	v_xor_b32_e32 v13, v24, v13
	v_cmp_le_u32_e64 s[8:9], v12, v13
	s_and_b64 s[28:29], s[8:9], exec
; %bb.133:
	s_or_b64 exec, exec, s[12:13]
	s_orn2_b64 s[12:13], s[28:29], exec
.LBB1438_134:
	s_or_b64 exec, exec, s[26:27]
	v_cndmask_b32_e64 v12, v14, v15, s[12:13]
	v_cndmask_b32_e64 v13, v23, v16, s[12:13]
	v_add_u32_e32 v25, 1, v12
	v_add_u32_e32 v13, -1, v13
	v_min_u32_e32 v13, v25, v13
	v_lshl_add_u32 v13, v13, 2, v18
	ds_read_b32 v13, v13
	v_lshl_add_u32 v12, v12, 3, v17
	ds_read_b64 v[34:35], v12 offset:8192
	v_cndmask_b32_e64 v24, v25, v14, s[12:13]
	v_cndmask_b32_e64 v25, v15, v25, s[12:13]
	s_waitcnt lgkmcnt(1)
	v_cndmask_b32_e64 v12, v13, v10, s[12:13]
	v_cndmask_b32_e64 v13, v11, v13, s[12:13]
	v_cmp_lt_u32_e64 s[8:9], v24, v23
	s_mov_b64 s[26:27], -1
	s_mov_b64 s[28:29], -1
	s_and_saveexec_b64 s[30:31], s[8:9]
	s_cbranch_execz .LBB1438_138
; %bb.135:
	v_cmp_lt_u32_e64 s[8:9], v25, v16
	s_mov_b64 s[34:35], 0
	s_and_saveexec_b64 s[28:29], s[8:9]
; %bb.136:
	v_add_f32_e32 v14, 0, v13
	v_ashrrev_i32_e32 v26, 31, v14
	v_add_f32_e32 v15, 0, v12
	v_or_b32_e32 v26, 0x80000000, v26
	v_xor_b32_e32 v14, v26, v14
	v_ashrrev_i32_e32 v26, 31, v15
	v_or_b32_e32 v26, 0x80000000, v26
	v_xor_b32_e32 v15, v26, v15
	v_cmp_le_u32_e64 s[8:9], v14, v15
	s_and_b64 s[34:35], s[8:9], exec
; %bb.137:
	s_or_b64 exec, exec, s[28:29]
	s_orn2_b64 s[28:29], s[34:35], exec
.LBB1438_138:
	s_or_b64 exec, exec, s[30:31]
	v_cndmask_b32_e64 v14, v24, v25, s[28:29]
	v_cndmask_b32_e64 v15, v23, v16, s[28:29]
	v_add_u32_e32 v27, 1, v14
	v_add_u32_e32 v15, -1, v15
	v_min_u32_e32 v15, v27, v15
	v_lshl_add_u32 v15, v15, 2, v18
	ds_read_b32 v15, v15
	v_lshl_add_u32 v14, v14, 3, v17
	ds_read_b64 v[68:69], v14 offset:8192
	v_cndmask_b32_e64 v26, v27, v24, s[28:29]
	v_cndmask_b32_e64 v27, v25, v27, s[28:29]
	s_waitcnt lgkmcnt(1)
	v_cndmask_b32_e64 v14, v15, v12, s[28:29]
	v_cndmask_b32_e64 v15, v13, v15, s[28:29]
	v_cmp_lt_u32_e64 s[8:9], v26, v23
	s_and_saveexec_b64 s[30:31], s[8:9]
	s_cbranch_execz .LBB1438_142
; %bb.139:
	v_cmp_lt_u32_e64 s[8:9], v27, v16
	s_mov_b64 s[34:35], 0
	s_and_saveexec_b64 s[26:27], s[8:9]
; %bb.140:
	v_add_f32_e32 v24, 0, v15
	v_ashrrev_i32_e32 v28, 31, v24
	v_add_f32_e32 v25, 0, v14
	v_or_b32_e32 v28, 0x80000000, v28
	v_xor_b32_e32 v24, v28, v24
	v_ashrrev_i32_e32 v28, 31, v25
	v_or_b32_e32 v28, 0x80000000, v28
	v_xor_b32_e32 v25, v28, v25
	v_cmp_le_u32_e64 s[8:9], v24, v25
	s_and_b64 s[34:35], s[8:9], exec
; %bb.141:
	s_or_b64 exec, exec, s[26:27]
	s_orn2_b64 s[26:27], s[34:35], exec
.LBB1438_142:
	s_or_b64 exec, exec, s[30:31]
	v_cndmask_b32_e64 v24, v26, v27, s[26:27]
	v_cndmask_b32_e64 v25, v23, v16, s[26:27]
	v_add_u32_e32 v29, 1, v24
	v_add_u32_e32 v25, -1, v25
	v_min_u32_e32 v25, v29, v25
	v_lshl_add_u32 v25, v25, 2, v18
	ds_read_b32 v25, v25
	v_lshl_add_u32 v24, v24, 3, v17
	ds_read_b64 v[52:53], v24 offset:8192
	v_cndmask_b32_e64 v28, v29, v26, s[26:27]
	v_cndmask_b32_e64 v29, v27, v29, s[26:27]
	s_waitcnt lgkmcnt(1)
	v_cndmask_b32_e64 v24, v25, v14, s[26:27]
	v_cndmask_b32_e64 v25, v15, v25, s[26:27]
	v_cmp_lt_u32_e64 s[8:9], v28, v23
	s_mov_b64 s[30:31], -1
	s_mov_b64 s[34:35], -1
	s_and_saveexec_b64 s[36:37], s[8:9]
	s_cbranch_execz .LBB1438_146
; %bb.143:
	v_cmp_lt_u32_e64 s[8:9], v29, v16
	s_mov_b64 s[38:39], 0
	s_and_saveexec_b64 s[34:35], s[8:9]
; %bb.144:
	v_add_f32_e32 v26, 0, v25
	v_ashrrev_i32_e32 v30, 31, v26
	v_add_f32_e32 v27, 0, v24
	v_or_b32_e32 v30, 0x80000000, v30
	v_xor_b32_e32 v26, v30, v26
	v_ashrrev_i32_e32 v30, 31, v27
	v_or_b32_e32 v30, 0x80000000, v30
	v_xor_b32_e32 v27, v30, v27
	v_cmp_le_u32_e64 s[8:9], v26, v27
	s_and_b64 s[38:39], s[8:9], exec
; %bb.145:
	s_or_b64 exec, exec, s[34:35]
	s_orn2_b64 s[34:35], s[38:39], exec
.LBB1438_146:
	s_or_b64 exec, exec, s[36:37]
	v_cndmask_b32_e64 v26, v28, v29, s[34:35]
	v_cndmask_b32_e64 v27, v23, v16, s[34:35]
	v_add_u32_e32 v31, 1, v26
	v_add_u32_e32 v27, -1, v27
	v_min_u32_e32 v27, v31, v27
	v_lshl_add_u32 v27, v27, 2, v18
	ds_read_b32 v27, v27
	v_lshl_add_u32 v26, v26, 3, v17
	ds_read_b64 v[70:71], v26 offset:8192
	v_cndmask_b32_e64 v30, v31, v28, s[34:35]
	v_cndmask_b32_e64 v31, v29, v31, s[34:35]
	s_waitcnt lgkmcnt(1)
	v_cndmask_b32_e64 v26, v27, v24, s[34:35]
	v_cndmask_b32_e64 v27, v25, v27, s[34:35]
	v_cmp_lt_u32_e64 s[8:9], v30, v23
	s_and_saveexec_b64 s[36:37], s[8:9]
	s_cbranch_execz .LBB1438_150
; %bb.147:
	v_cmp_lt_u32_e64 s[8:9], v31, v16
	s_mov_b64 s[38:39], 0
	s_and_saveexec_b64 s[30:31], s[8:9]
; %bb.148:
	v_add_f32_e32 v28, 0, v27
	v_ashrrev_i32_e32 v32, 31, v28
	v_add_f32_e32 v29, 0, v26
	v_or_b32_e32 v32, 0x80000000, v32
	v_xor_b32_e32 v28, v32, v28
	v_ashrrev_i32_e32 v32, 31, v29
	v_or_b32_e32 v32, 0x80000000, v32
	v_xor_b32_e32 v29, v32, v29
	v_cmp_le_u32_e64 s[8:9], v28, v29
	s_and_b64 s[38:39], s[8:9], exec
; %bb.149:
	s_or_b64 exec, exec, s[30:31]
	s_orn2_b64 s[30:31], s[38:39], exec
.LBB1438_150:
	s_or_b64 exec, exec, s[36:37]
	v_cndmask_b32_e64 v28, v30, v31, s[30:31]
	v_cndmask_b32_e64 v29, v23, v16, s[30:31]
	v_add_u32_e32 v33, 1, v28
	v_add_u32_e32 v29, -1, v29
	v_min_u32_e32 v29, v33, v29
	v_lshl_add_u32 v29, v29, 2, v18
	ds_read_b32 v29, v29
	v_lshl_add_u32 v28, v28, 3, v17
	ds_read_b64 v[66:67], v28 offset:8192
	v_cndmask_b32_e64 v32, v33, v30, s[30:31]
	v_cndmask_b32_e64 v33, v31, v33, s[30:31]
	s_waitcnt lgkmcnt(1)
	v_cndmask_b32_e64 v28, v29, v26, s[30:31]
	v_cndmask_b32_e64 v29, v27, v29, s[30:31]
	v_cmp_lt_u32_e64 s[8:9], v32, v23
	s_mov_b64 s[36:37], -1
	s_mov_b64 s[38:39], -1
	s_and_saveexec_b64 s[40:41], s[8:9]
	s_cbranch_execz .LBB1438_154
; %bb.151:
	v_cmp_lt_u32_e64 s[8:9], v33, v16
	s_mov_b64 s[42:43], 0
	s_and_saveexec_b64 s[38:39], s[8:9]
; %bb.152:
	v_add_f32_e32 v30, 0, v29
	v_ashrrev_i32_e32 v36, 31, v30
	v_add_f32_e32 v31, 0, v28
	v_or_b32_e32 v36, 0x80000000, v36
	v_xor_b32_e32 v30, v36, v30
	v_ashrrev_i32_e32 v36, 31, v31
	v_or_b32_e32 v36, 0x80000000, v36
	v_xor_b32_e32 v31, v36, v31
	v_cmp_le_u32_e64 s[8:9], v30, v31
	s_and_b64 s[42:43], s[8:9], exec
; %bb.153:
	s_or_b64 exec, exec, s[38:39]
	s_orn2_b64 s[38:39], s[42:43], exec
.LBB1438_154:
	s_or_b64 exec, exec, s[40:41]
	v_cndmask_b32_e64 v30, v32, v33, s[38:39]
	v_cndmask_b32_e64 v31, v23, v16, s[38:39]
	v_add_u32_e32 v36, 1, v30
	v_add_u32_e32 v31, -1, v31
	v_min_u32_e32 v31, v36, v31
	v_lshl_add_u32 v31, v31, 2, v18
	ds_read_b32 v31, v31
	v_lshl_add_u32 v30, v30, 3, v17
	ds_read_b64 v[64:65], v30 offset:8192
	v_cndmask_b32_e64 v32, v36, v32, s[38:39]
	v_cndmask_b32_e64 v33, v33, v36, s[38:39]
	s_waitcnt lgkmcnt(1)
	v_cndmask_b32_e64 v30, v31, v28, s[38:39]
	v_cndmask_b32_e64 v31, v29, v31, s[38:39]
	v_cmp_lt_u32_e64 s[8:9], v32, v23
	s_and_saveexec_b64 s[40:41], s[8:9]
	s_cbranch_execz .LBB1438_158
; %bb.155:
	v_cmp_lt_u32_e64 s[8:9], v33, v16
	s_mov_b64 s[42:43], 0
	s_and_saveexec_b64 s[36:37], s[8:9]
; %bb.156:
	v_add_f32_e32 v16, 0, v31
	v_ashrrev_i32_e32 v36, 31, v16
	v_add_f32_e32 v23, 0, v30
	v_or_b32_e32 v36, 0x80000000, v36
	v_xor_b32_e32 v16, v36, v16
	v_ashrrev_i32_e32 v36, 31, v23
	v_or_b32_e32 v36, 0x80000000, v36
	v_xor_b32_e32 v23, v36, v23
	v_cmp_le_u32_e64 s[8:9], v16, v23
	s_and_b64 s[42:43], s[8:9], exec
; %bb.157:
	s_or_b64 exec, exec, s[36:37]
	s_orn2_b64 s[36:37], s[42:43], exec
.LBB1438_158:
	s_or_b64 exec, exec, s[40:41]
	v_cndmask_b32_e64 v8, v9, v8, s[24:25]
	v_cndmask_b32_e64 v9, v10, v11, s[12:13]
	;; [unrolled: 1-line block ×4, first 2 shown]
	v_lshl_add_u32 v12, v12, 3, v17
	ds_read_b64 v[50:51], v12 offset:8192
	v_cndmask_b32_e64 v11, v14, v15, s[26:27]
	v_cndmask_b32_e64 v12, v24, v25, s[34:35]
	;; [unrolled: 1-line block ×5, first 2 shown]
.LBB1438_159:
	s_andn2_saveexec_b64 s[8:9], s[22:23]
	s_or_b64 exec, exec, s[8:9]
	v_add_u32_e32 v16, 0x2000, v22
	v_and_b32_e32 v26, 0x3c0, v97
	; wave barrier
	ds_write2_b64 v16, v[4:5], v[34:35] offset1:1
	ds_write2_b64 v21, v[8:9], v[10:11] offset1:1
	ds_write2_b64 v20, v[68:69], v[52:53] offset0:2 offset1:3
	ds_write2_b64 v20, v[70:71], v[66:67] offset0:4 offset1:5
	;; [unrolled: 1-line block ×3, first 2 shown]
	s_waitcnt lgkmcnt(5)
	ds_write2_b64 v20, v[64:65], v[50:51] offset0:6 offset1:7
	v_or_b32_e32 v16, 32, v26
	v_min_u32_e32 v16, v19, v16
	v_add_u32_e32 v23, 32, v16
	v_min_u32_e32 v23, v19, v23
	v_and_b32_e32 v24, 56, v97
	v_min_u32_e32 v27, v19, v24
	v_sub_u32_e32 v28, v16, v26
	v_sub_u32_e32 v25, v23, v16
	v_sub_u32_e64 v25, v27, v25 clamp
	v_min_u32_e32 v28, v27, v28
	v_lshl_add_u32 v24, v26, 2, v18
	v_cmp_lt_u32_e64 s[8:9], v25, v28
	; wave barrier
	s_and_saveexec_b64 s[12:13], s[8:9]
	s_cbranch_execz .LBB1438_163
; %bb.160:
	v_lshlrev_b32_e32 v29, 2, v16
	v_lshlrev_b32_e32 v30, 2, v27
	v_add3_u32 v29, v18, v29, v30
	s_mov_b64 s[22:23], 0
.LBB1438_161:                           ; =>This Inner Loop Header: Depth=1
	v_add_u32_e32 v30, v28, v25
	v_lshrrev_b32_e32 v32, 1, v30
	v_not_b32_e32 v30, v32
	v_lshl_add_u32 v31, v32, 2, v24
	v_lshl_add_u32 v36, v30, 2, v29
	ds_read_b32 v30, v31
	ds_read_b32 v31, v36
	v_add_u32_e32 v33, 1, v32
	s_waitcnt lgkmcnt(0)
	v_pk_add_f32 v[30:31], v[30:31], 0 op_sel_hi:[1,0]
	v_ashrrev_i32_e32 v36, 31, v31
	v_ashrrev_i32_e32 v37, 31, v30
	v_or_b32_e32 v37, 0x80000000, v37
	v_or_b32_e32 v36, 0x80000000, v36
	v_xor_b32_e32 v31, v36, v31
	v_xor_b32_e32 v30, v37, v30
	v_cmp_gt_u32_e64 s[8:9], v30, v31
	v_cndmask_b32_e64 v28, v28, v32, s[8:9]
	v_cndmask_b32_e64 v25, v33, v25, s[8:9]
	v_cmp_ge_u32_e64 s[8:9], v25, v28
	s_or_b64 s[22:23], s[8:9], s[22:23]
	s_andn2_b64 exec, exec, s[22:23]
	s_cbranch_execnz .LBB1438_161
; %bb.162:
	s_or_b64 exec, exec, s[22:23]
.LBB1438_163:
	s_or_b64 exec, exec, s[12:13]
	v_add_u32_e32 v27, v16, v27
	v_add_u32_e32 v26, v25, v26
	v_sub_u32_e32 v27, v27, v25
	v_cmp_le_u32_e64 s[8:9], v26, v16
	v_cmp_le_u32_e64 s[12:13], v27, v23
	s_or_b64 s[8:9], s[8:9], s[12:13]
	s_and_saveexec_b64 s[22:23], s[8:9]
	s_cbranch_execz .LBB1438_199
; %bb.164:
	v_cmp_ge_u32_e64 s[8:9], v26, v16
	v_cmp_lt_u32_e64 s[12:13], v26, v16
                                        ; implicit-def: $vgpr8
	s_and_saveexec_b64 s[24:25], s[12:13]
	s_cbranch_execz .LBB1438_166
; %bb.165:
	v_lshl_add_u32 v4, v25, 2, v24
	ds_read_b32 v8, v4
.LBB1438_166:
	s_or_b64 exec, exec, s[24:25]
	v_cmp_ge_u32_e64 s[24:25], v27, v23
	v_cmp_lt_u32_e64 s[12:13], v27, v23
	s_and_saveexec_b64 s[26:27], s[12:13]
	s_cbranch_execz .LBB1438_168
; %bb.167:
	v_lshl_add_u32 v4, v27, 2, v18
	ds_read_b32 v9, v4
.LBB1438_168:
	s_or_b64 exec, exec, s[26:27]
	s_or_b64 s[8:9], s[8:9], s[24:25]
	s_mov_b64 s[12:13], -1
	s_xor_b64 s[8:9], s[8:9], -1
	s_and_saveexec_b64 s[26:27], s[8:9]
	s_cbranch_execz .LBB1438_170
; %bb.169:
	s_waitcnt lgkmcnt(0)
	v_pk_add_f32 v[4:5], v[8:9], 0 op_sel_hi:[1,0]
	v_ashrrev_i32_e32 v10, 31, v5
	v_ashrrev_i32_e32 v11, 31, v4
	v_or_b32_e32 v11, 0x80000000, v11
	v_or_b32_e32 v10, 0x80000000, v10
	v_xor_b32_e32 v5, v10, v5
	v_xor_b32_e32 v4, v11, v4
	v_cmp_le_u32_e64 s[8:9], v4, v5
	s_andn2_b64 s[24:25], s[24:25], exec
	s_and_b64 s[8:9], s[8:9], exec
	s_or_b64 s[24:25], s[24:25], s[8:9]
.LBB1438_170:
	s_or_b64 exec, exec, s[26:27]
	v_cndmask_b32_e64 v4, v27, v26, s[24:25]
	v_cndmask_b32_e64 v5, v23, v16, s[24:25]
	v_add_u32_e32 v12, 1, v4
	v_add_u32_e32 v5, -1, v5
	v_min_u32_e32 v5, v12, v5
	v_lshl_add_u32 v5, v5, 2, v18
	ds_read_b32 v11, v5
	v_lshl_add_u32 v4, v4, 3, v17
	ds_read_b64 v[4:5], v4 offset:8192
	v_cndmask_b32_e64 v14, v12, v27, s[24:25]
	v_cndmask_b32_e64 v15, v26, v12, s[24:25]
	s_waitcnt lgkmcnt(1)
	v_cndmask_b32_e64 v10, v11, v9, s[24:25]
	v_cndmask_b32_e64 v11, v8, v11, s[24:25]
	v_cmp_lt_u32_e64 s[8:9], v14, v23
	s_and_saveexec_b64 s[26:27], s[8:9]
	s_cbranch_execz .LBB1438_174
; %bb.171:
	v_cmp_lt_u32_e64 s[8:9], v15, v16
	s_mov_b64 s[28:29], 0
	s_and_saveexec_b64 s[12:13], s[8:9]
; %bb.172:
	v_add_f32_e32 v12, 0, v11
	v_ashrrev_i32_e32 v24, 31, v12
	v_add_f32_e32 v13, 0, v10
	v_or_b32_e32 v24, 0x80000000, v24
	v_xor_b32_e32 v12, v24, v12
	v_ashrrev_i32_e32 v24, 31, v13
	v_or_b32_e32 v24, 0x80000000, v24
	v_xor_b32_e32 v13, v24, v13
	v_cmp_le_u32_e64 s[8:9], v12, v13
	s_and_b64 s[28:29], s[8:9], exec
; %bb.173:
	s_or_b64 exec, exec, s[12:13]
	s_orn2_b64 s[12:13], s[28:29], exec
.LBB1438_174:
	s_or_b64 exec, exec, s[26:27]
	v_cndmask_b32_e64 v12, v14, v15, s[12:13]
	v_cndmask_b32_e64 v13, v23, v16, s[12:13]
	v_add_u32_e32 v25, 1, v12
	v_add_u32_e32 v13, -1, v13
	v_min_u32_e32 v13, v25, v13
	v_lshl_add_u32 v13, v13, 2, v18
	ds_read_b32 v13, v13
	v_lshl_add_u32 v12, v12, 3, v17
	ds_read_b64 v[34:35], v12 offset:8192
	v_cndmask_b32_e64 v24, v25, v14, s[12:13]
	v_cndmask_b32_e64 v25, v15, v25, s[12:13]
	s_waitcnt lgkmcnt(1)
	v_cndmask_b32_e64 v12, v13, v10, s[12:13]
	v_cndmask_b32_e64 v13, v11, v13, s[12:13]
	v_cmp_lt_u32_e64 s[8:9], v24, v23
	s_mov_b64 s[26:27], -1
	s_mov_b64 s[28:29], -1
	s_and_saveexec_b64 s[30:31], s[8:9]
	s_cbranch_execz .LBB1438_178
; %bb.175:
	v_cmp_lt_u32_e64 s[8:9], v25, v16
	s_mov_b64 s[34:35], 0
	s_and_saveexec_b64 s[28:29], s[8:9]
; %bb.176:
	v_add_f32_e32 v14, 0, v13
	v_ashrrev_i32_e32 v26, 31, v14
	v_add_f32_e32 v15, 0, v12
	v_or_b32_e32 v26, 0x80000000, v26
	v_xor_b32_e32 v14, v26, v14
	v_ashrrev_i32_e32 v26, 31, v15
	v_or_b32_e32 v26, 0x80000000, v26
	v_xor_b32_e32 v15, v26, v15
	v_cmp_le_u32_e64 s[8:9], v14, v15
	s_and_b64 s[34:35], s[8:9], exec
; %bb.177:
	s_or_b64 exec, exec, s[28:29]
	s_orn2_b64 s[28:29], s[34:35], exec
.LBB1438_178:
	s_or_b64 exec, exec, s[30:31]
	v_cndmask_b32_e64 v14, v24, v25, s[28:29]
	v_cndmask_b32_e64 v15, v23, v16, s[28:29]
	v_add_u32_e32 v27, 1, v14
	v_add_u32_e32 v15, -1, v15
	v_min_u32_e32 v15, v27, v15
	v_lshl_add_u32 v15, v15, 2, v18
	ds_read_b32 v15, v15
	v_lshl_add_u32 v14, v14, 3, v17
	ds_read_b64 v[68:69], v14 offset:8192
	v_cndmask_b32_e64 v26, v27, v24, s[28:29]
	v_cndmask_b32_e64 v27, v25, v27, s[28:29]
	s_waitcnt lgkmcnt(1)
	v_cndmask_b32_e64 v14, v15, v12, s[28:29]
	v_cndmask_b32_e64 v15, v13, v15, s[28:29]
	v_cmp_lt_u32_e64 s[8:9], v26, v23
	s_and_saveexec_b64 s[30:31], s[8:9]
	s_cbranch_execz .LBB1438_182
; %bb.179:
	v_cmp_lt_u32_e64 s[8:9], v27, v16
	s_mov_b64 s[34:35], 0
	s_and_saveexec_b64 s[26:27], s[8:9]
; %bb.180:
	v_add_f32_e32 v24, 0, v15
	v_ashrrev_i32_e32 v28, 31, v24
	v_add_f32_e32 v25, 0, v14
	v_or_b32_e32 v28, 0x80000000, v28
	v_xor_b32_e32 v24, v28, v24
	v_ashrrev_i32_e32 v28, 31, v25
	v_or_b32_e32 v28, 0x80000000, v28
	v_xor_b32_e32 v25, v28, v25
	v_cmp_le_u32_e64 s[8:9], v24, v25
	s_and_b64 s[34:35], s[8:9], exec
; %bb.181:
	s_or_b64 exec, exec, s[26:27]
	s_orn2_b64 s[26:27], s[34:35], exec
.LBB1438_182:
	s_or_b64 exec, exec, s[30:31]
	v_cndmask_b32_e64 v24, v26, v27, s[26:27]
	v_cndmask_b32_e64 v25, v23, v16, s[26:27]
	v_add_u32_e32 v29, 1, v24
	v_add_u32_e32 v25, -1, v25
	v_min_u32_e32 v25, v29, v25
	v_lshl_add_u32 v25, v25, 2, v18
	ds_read_b32 v25, v25
	v_lshl_add_u32 v24, v24, 3, v17
	ds_read_b64 v[52:53], v24 offset:8192
	v_cndmask_b32_e64 v28, v29, v26, s[26:27]
	v_cndmask_b32_e64 v29, v27, v29, s[26:27]
	s_waitcnt lgkmcnt(1)
	v_cndmask_b32_e64 v24, v25, v14, s[26:27]
	v_cndmask_b32_e64 v25, v15, v25, s[26:27]
	v_cmp_lt_u32_e64 s[8:9], v28, v23
	s_mov_b64 s[30:31], -1
	s_mov_b64 s[34:35], -1
	s_and_saveexec_b64 s[36:37], s[8:9]
	s_cbranch_execz .LBB1438_186
; %bb.183:
	v_cmp_lt_u32_e64 s[8:9], v29, v16
	s_mov_b64 s[38:39], 0
	s_and_saveexec_b64 s[34:35], s[8:9]
; %bb.184:
	v_add_f32_e32 v26, 0, v25
	v_ashrrev_i32_e32 v30, 31, v26
	v_add_f32_e32 v27, 0, v24
	v_or_b32_e32 v30, 0x80000000, v30
	v_xor_b32_e32 v26, v30, v26
	v_ashrrev_i32_e32 v30, 31, v27
	v_or_b32_e32 v30, 0x80000000, v30
	v_xor_b32_e32 v27, v30, v27
	v_cmp_le_u32_e64 s[8:9], v26, v27
	s_and_b64 s[38:39], s[8:9], exec
; %bb.185:
	s_or_b64 exec, exec, s[34:35]
	s_orn2_b64 s[34:35], s[38:39], exec
.LBB1438_186:
	s_or_b64 exec, exec, s[36:37]
	v_cndmask_b32_e64 v26, v28, v29, s[34:35]
	v_cndmask_b32_e64 v27, v23, v16, s[34:35]
	v_add_u32_e32 v31, 1, v26
	v_add_u32_e32 v27, -1, v27
	v_min_u32_e32 v27, v31, v27
	v_lshl_add_u32 v27, v27, 2, v18
	ds_read_b32 v27, v27
	v_lshl_add_u32 v26, v26, 3, v17
	ds_read_b64 v[70:71], v26 offset:8192
	v_cndmask_b32_e64 v30, v31, v28, s[34:35]
	v_cndmask_b32_e64 v31, v29, v31, s[34:35]
	s_waitcnt lgkmcnt(1)
	v_cndmask_b32_e64 v26, v27, v24, s[34:35]
	v_cndmask_b32_e64 v27, v25, v27, s[34:35]
	v_cmp_lt_u32_e64 s[8:9], v30, v23
	s_and_saveexec_b64 s[36:37], s[8:9]
	s_cbranch_execz .LBB1438_190
; %bb.187:
	v_cmp_lt_u32_e64 s[8:9], v31, v16
	s_mov_b64 s[38:39], 0
	s_and_saveexec_b64 s[30:31], s[8:9]
; %bb.188:
	v_add_f32_e32 v28, 0, v27
	v_ashrrev_i32_e32 v32, 31, v28
	v_add_f32_e32 v29, 0, v26
	v_or_b32_e32 v32, 0x80000000, v32
	v_xor_b32_e32 v28, v32, v28
	v_ashrrev_i32_e32 v32, 31, v29
	v_or_b32_e32 v32, 0x80000000, v32
	v_xor_b32_e32 v29, v32, v29
	v_cmp_le_u32_e64 s[8:9], v28, v29
	s_and_b64 s[38:39], s[8:9], exec
; %bb.189:
	s_or_b64 exec, exec, s[30:31]
	s_orn2_b64 s[30:31], s[38:39], exec
.LBB1438_190:
	s_or_b64 exec, exec, s[36:37]
	v_cndmask_b32_e64 v28, v30, v31, s[30:31]
	v_cndmask_b32_e64 v29, v23, v16, s[30:31]
	v_add_u32_e32 v33, 1, v28
	v_add_u32_e32 v29, -1, v29
	v_min_u32_e32 v29, v33, v29
	v_lshl_add_u32 v29, v29, 2, v18
	ds_read_b32 v29, v29
	v_lshl_add_u32 v28, v28, 3, v17
	ds_read_b64 v[66:67], v28 offset:8192
	v_cndmask_b32_e64 v32, v33, v30, s[30:31]
	v_cndmask_b32_e64 v33, v31, v33, s[30:31]
	s_waitcnt lgkmcnt(1)
	v_cndmask_b32_e64 v28, v29, v26, s[30:31]
	v_cndmask_b32_e64 v29, v27, v29, s[30:31]
	v_cmp_lt_u32_e64 s[8:9], v32, v23
	s_mov_b64 s[36:37], -1
	s_mov_b64 s[38:39], -1
	s_and_saveexec_b64 s[40:41], s[8:9]
	s_cbranch_execz .LBB1438_194
; %bb.191:
	v_cmp_lt_u32_e64 s[8:9], v33, v16
	s_mov_b64 s[42:43], 0
	s_and_saveexec_b64 s[38:39], s[8:9]
; %bb.192:
	v_add_f32_e32 v30, 0, v29
	v_ashrrev_i32_e32 v36, 31, v30
	v_add_f32_e32 v31, 0, v28
	v_or_b32_e32 v36, 0x80000000, v36
	v_xor_b32_e32 v30, v36, v30
	v_ashrrev_i32_e32 v36, 31, v31
	v_or_b32_e32 v36, 0x80000000, v36
	v_xor_b32_e32 v31, v36, v31
	v_cmp_le_u32_e64 s[8:9], v30, v31
	s_and_b64 s[42:43], s[8:9], exec
; %bb.193:
	s_or_b64 exec, exec, s[38:39]
	s_orn2_b64 s[38:39], s[42:43], exec
.LBB1438_194:
	s_or_b64 exec, exec, s[40:41]
	v_cndmask_b32_e64 v30, v32, v33, s[38:39]
	v_cndmask_b32_e64 v31, v23, v16, s[38:39]
	v_add_u32_e32 v36, 1, v30
	v_add_u32_e32 v31, -1, v31
	v_min_u32_e32 v31, v36, v31
	v_lshl_add_u32 v31, v31, 2, v18
	ds_read_b32 v31, v31
	v_lshl_add_u32 v30, v30, 3, v17
	ds_read_b64 v[64:65], v30 offset:8192
	v_cndmask_b32_e64 v32, v36, v32, s[38:39]
	v_cndmask_b32_e64 v33, v33, v36, s[38:39]
	s_waitcnt lgkmcnt(1)
	v_cndmask_b32_e64 v30, v31, v28, s[38:39]
	v_cndmask_b32_e64 v31, v29, v31, s[38:39]
	v_cmp_lt_u32_e64 s[8:9], v32, v23
	s_and_saveexec_b64 s[40:41], s[8:9]
	s_cbranch_execz .LBB1438_198
; %bb.195:
	v_cmp_lt_u32_e64 s[8:9], v33, v16
	s_mov_b64 s[42:43], 0
	s_and_saveexec_b64 s[36:37], s[8:9]
; %bb.196:
	v_add_f32_e32 v16, 0, v31
	v_ashrrev_i32_e32 v36, 31, v16
	v_add_f32_e32 v23, 0, v30
	v_or_b32_e32 v36, 0x80000000, v36
	v_xor_b32_e32 v16, v36, v16
	v_ashrrev_i32_e32 v36, 31, v23
	v_or_b32_e32 v36, 0x80000000, v36
	v_xor_b32_e32 v23, v36, v23
	v_cmp_le_u32_e64 s[8:9], v16, v23
	s_and_b64 s[42:43], s[8:9], exec
; %bb.197:
	s_or_b64 exec, exec, s[36:37]
	s_orn2_b64 s[36:37], s[42:43], exec
.LBB1438_198:
	s_or_b64 exec, exec, s[40:41]
	v_cndmask_b32_e64 v8, v9, v8, s[24:25]
	v_cndmask_b32_e64 v9, v10, v11, s[12:13]
	;; [unrolled: 1-line block ×4, first 2 shown]
	v_lshl_add_u32 v12, v12, 3, v17
	ds_read_b64 v[50:51], v12 offset:8192
	v_cndmask_b32_e64 v11, v14, v15, s[26:27]
	v_cndmask_b32_e64 v12, v24, v25, s[34:35]
	;; [unrolled: 1-line block ×5, first 2 shown]
.LBB1438_199:
	s_or_b64 exec, exec, s[22:23]
	v_add_u32_e32 v16, 0x2000, v22
	v_and_b32_e32 v22, 0x380, v97
	; wave barrier
	ds_write2_b64 v16, v[4:5], v[34:35] offset1:1
	ds_write2_b64 v21, v[8:9], v[10:11] offset1:1
	ds_write2_b64 v20, v[68:69], v[52:53] offset0:2 offset1:3
	ds_write2_b64 v20, v[70:71], v[66:67] offset0:4 offset1:5
	;; [unrolled: 1-line block ×3, first 2 shown]
	s_waitcnt lgkmcnt(5)
	ds_write2_b64 v20, v[64:65], v[50:51] offset0:6 offset1:7
	v_or_b32_e32 v16, 64, v22
	v_min_u32_e32 v16, v19, v16
	v_add_u32_e32 v20, 64, v16
	v_min_u32_e32 v20, v19, v20
	v_min_u32_e32 v23, v19, v96
	v_sub_u32_e32 v24, v16, v22
	v_sub_u32_e32 v21, v20, v16
	v_sub_u32_e64 v21, v23, v21 clamp
	v_min_u32_e32 v24, v23, v24
	v_lshl_add_u32 v19, v22, 2, v18
	v_cmp_lt_u32_e64 s[8:9], v21, v24
	; wave barrier
	s_and_saveexec_b64 s[12:13], s[8:9]
	s_cbranch_execz .LBB1438_203
; %bb.200:
	v_lshlrev_b32_e32 v25, 2, v16
	v_lshlrev_b32_e32 v26, 2, v23
	v_add3_u32 v25, v18, v25, v26
	s_mov_b64 s[22:23], 0
.LBB1438_201:                           ; =>This Inner Loop Header: Depth=1
	v_add_u32_e32 v26, v24, v21
	v_lshrrev_b32_e32 v28, 1, v26
	v_not_b32_e32 v26, v28
	v_lshl_add_u32 v27, v28, 2, v19
	v_lshl_add_u32 v30, v26, 2, v25
	ds_read_b32 v26, v27
	ds_read_b32 v27, v30
	v_add_u32_e32 v29, 1, v28
	s_waitcnt lgkmcnt(0)
	v_pk_add_f32 v[26:27], v[26:27], 0 op_sel_hi:[1,0]
	v_ashrrev_i32_e32 v30, 31, v27
	v_ashrrev_i32_e32 v31, 31, v26
	v_or_b32_e32 v31, 0x80000000, v31
	v_or_b32_e32 v30, 0x80000000, v30
	v_xor_b32_e32 v27, v30, v27
	v_xor_b32_e32 v26, v31, v26
	v_cmp_gt_u32_e64 s[8:9], v26, v27
	v_cndmask_b32_e64 v24, v24, v28, s[8:9]
	v_cndmask_b32_e64 v21, v29, v21, s[8:9]
	v_cmp_ge_u32_e64 s[8:9], v21, v24
	s_or_b64 s[22:23], s[8:9], s[22:23]
	s_andn2_b64 exec, exec, s[22:23]
	s_cbranch_execnz .LBB1438_201
; %bb.202:
	s_or_b64 exec, exec, s[22:23]
.LBB1438_203:
	s_or_b64 exec, exec, s[12:13]
	v_add_u32_e32 v23, v16, v23
	v_add_u32_e32 v22, v21, v22
	v_sub_u32_e32 v23, v23, v21
	v_cmp_le_u32_e64 s[8:9], v22, v16
	v_cmp_le_u32_e64 s[12:13], v23, v20
	s_or_b64 s[8:9], s[8:9], s[12:13]
	s_and_saveexec_b64 s[22:23], s[8:9]
	s_cbranch_execz .LBB1438_239
; %bb.204:
	v_cmp_ge_u32_e64 s[8:9], v22, v16
	v_cmp_lt_u32_e64 s[12:13], v22, v16
                                        ; implicit-def: $vgpr8
	s_and_saveexec_b64 s[24:25], s[12:13]
	s_cbranch_execz .LBB1438_206
; %bb.205:
	v_lshl_add_u32 v4, v21, 2, v19
	ds_read_b32 v8, v4
.LBB1438_206:
	s_or_b64 exec, exec, s[24:25]
	v_cmp_ge_u32_e64 s[24:25], v23, v20
	v_cmp_lt_u32_e64 s[12:13], v23, v20
	s_and_saveexec_b64 s[26:27], s[12:13]
	s_cbranch_execz .LBB1438_208
; %bb.207:
	v_lshl_add_u32 v4, v23, 2, v18
	ds_read_b32 v9, v4
.LBB1438_208:
	s_or_b64 exec, exec, s[26:27]
	s_or_b64 s[8:9], s[8:9], s[24:25]
	s_mov_b64 s[12:13], -1
	s_xor_b64 s[8:9], s[8:9], -1
	s_and_saveexec_b64 s[26:27], s[8:9]
	s_cbranch_execz .LBB1438_210
; %bb.209:
	s_waitcnt lgkmcnt(0)
	v_pk_add_f32 v[4:5], v[8:9], 0 op_sel_hi:[1,0]
	v_ashrrev_i32_e32 v10, 31, v5
	v_ashrrev_i32_e32 v11, 31, v4
	v_or_b32_e32 v11, 0x80000000, v11
	v_or_b32_e32 v10, 0x80000000, v10
	v_xor_b32_e32 v5, v10, v5
	v_xor_b32_e32 v4, v11, v4
	v_cmp_le_u32_e64 s[8:9], v4, v5
	s_andn2_b64 s[24:25], s[24:25], exec
	s_and_b64 s[8:9], s[8:9], exec
	s_or_b64 s[24:25], s[24:25], s[8:9]
.LBB1438_210:
	s_or_b64 exec, exec, s[26:27]
	v_cndmask_b32_e64 v4, v23, v22, s[24:25]
	v_cndmask_b32_e64 v5, v20, v16, s[24:25]
	v_add_u32_e32 v12, 1, v4
	v_add_u32_e32 v5, -1, v5
	v_min_u32_e32 v5, v12, v5
	v_lshl_add_u32 v5, v5, 2, v18
	ds_read_b32 v11, v5
	v_lshl_add_u32 v4, v4, 3, v17
	ds_read_b64 v[4:5], v4 offset:8192
	v_cndmask_b32_e64 v14, v12, v23, s[24:25]
	v_cndmask_b32_e64 v15, v22, v12, s[24:25]
	s_waitcnt lgkmcnt(1)
	v_cndmask_b32_e64 v10, v11, v9, s[24:25]
	v_cndmask_b32_e64 v11, v8, v11, s[24:25]
	v_cmp_lt_u32_e64 s[8:9], v14, v20
	s_and_saveexec_b64 s[26:27], s[8:9]
	s_cbranch_execz .LBB1438_214
; %bb.211:
	v_cmp_lt_u32_e64 s[8:9], v15, v16
	s_mov_b64 s[28:29], 0
	s_and_saveexec_b64 s[12:13], s[8:9]
; %bb.212:
	v_add_f32_e32 v12, 0, v11
	v_ashrrev_i32_e32 v19, 31, v12
	v_add_f32_e32 v13, 0, v10
	v_or_b32_e32 v19, 0x80000000, v19
	v_xor_b32_e32 v12, v19, v12
	v_ashrrev_i32_e32 v19, 31, v13
	v_or_b32_e32 v19, 0x80000000, v19
	v_xor_b32_e32 v13, v19, v13
	v_cmp_le_u32_e64 s[8:9], v12, v13
	s_and_b64 s[28:29], s[8:9], exec
; %bb.213:
	s_or_b64 exec, exec, s[12:13]
	s_orn2_b64 s[12:13], s[28:29], exec
.LBB1438_214:
	s_or_b64 exec, exec, s[26:27]
	v_cndmask_b32_e64 v12, v14, v15, s[12:13]
	v_cndmask_b32_e64 v13, v20, v16, s[12:13]
	v_add_u32_e32 v21, 1, v12
	v_add_u32_e32 v13, -1, v13
	v_min_u32_e32 v13, v21, v13
	v_lshl_add_u32 v13, v13, 2, v18
	ds_read_b32 v13, v13
	v_lshl_add_u32 v12, v12, 3, v17
	ds_read_b64 v[34:35], v12 offset:8192
	v_cndmask_b32_e64 v19, v21, v14, s[12:13]
	v_cndmask_b32_e64 v21, v15, v21, s[12:13]
	s_waitcnt lgkmcnt(1)
	v_cndmask_b32_e64 v12, v13, v10, s[12:13]
	v_cndmask_b32_e64 v13, v11, v13, s[12:13]
	v_cmp_lt_u32_e64 s[8:9], v19, v20
	s_mov_b64 s[26:27], -1
	s_mov_b64 s[28:29], -1
	s_and_saveexec_b64 s[30:31], s[8:9]
	s_cbranch_execz .LBB1438_218
; %bb.215:
	v_cmp_lt_u32_e64 s[8:9], v21, v16
	s_mov_b64 s[34:35], 0
	s_and_saveexec_b64 s[28:29], s[8:9]
; %bb.216:
	v_add_f32_e32 v14, 0, v13
	v_ashrrev_i32_e32 v22, 31, v14
	v_add_f32_e32 v15, 0, v12
	v_or_b32_e32 v22, 0x80000000, v22
	v_xor_b32_e32 v14, v22, v14
	v_ashrrev_i32_e32 v22, 31, v15
	v_or_b32_e32 v22, 0x80000000, v22
	v_xor_b32_e32 v15, v22, v15
	v_cmp_le_u32_e64 s[8:9], v14, v15
	s_and_b64 s[34:35], s[8:9], exec
; %bb.217:
	s_or_b64 exec, exec, s[28:29]
	s_orn2_b64 s[28:29], s[34:35], exec
.LBB1438_218:
	s_or_b64 exec, exec, s[30:31]
	v_cndmask_b32_e64 v14, v19, v21, s[28:29]
	v_cndmask_b32_e64 v15, v20, v16, s[28:29]
	v_add_u32_e32 v23, 1, v14
	v_add_u32_e32 v15, -1, v15
	v_min_u32_e32 v15, v23, v15
	v_lshl_add_u32 v15, v15, 2, v18
	ds_read_b32 v15, v15
	v_lshl_add_u32 v14, v14, 3, v17
	ds_read_b64 v[68:69], v14 offset:8192
	v_cndmask_b32_e64 v22, v23, v19, s[28:29]
	v_cndmask_b32_e64 v23, v21, v23, s[28:29]
	s_waitcnt lgkmcnt(1)
	v_cndmask_b32_e64 v14, v15, v12, s[28:29]
	v_cndmask_b32_e64 v15, v13, v15, s[28:29]
	v_cmp_lt_u32_e64 s[8:9], v22, v20
	s_and_saveexec_b64 s[30:31], s[8:9]
	s_cbranch_execz .LBB1438_222
; %bb.219:
	v_cmp_lt_u32_e64 s[8:9], v23, v16
	s_mov_b64 s[34:35], 0
	s_and_saveexec_b64 s[26:27], s[8:9]
; %bb.220:
	v_add_f32_e32 v19, 0, v15
	v_ashrrev_i32_e32 v24, 31, v19
	v_add_f32_e32 v21, 0, v14
	v_or_b32_e32 v24, 0x80000000, v24
	v_xor_b32_e32 v19, v24, v19
	v_ashrrev_i32_e32 v24, 31, v21
	v_or_b32_e32 v24, 0x80000000, v24
	v_xor_b32_e32 v21, v24, v21
	v_cmp_le_u32_e64 s[8:9], v19, v21
	s_and_b64 s[34:35], s[8:9], exec
; %bb.221:
	s_or_b64 exec, exec, s[26:27]
	s_orn2_b64 s[26:27], s[34:35], exec
.LBB1438_222:
	s_or_b64 exec, exec, s[30:31]
	v_cndmask_b32_e64 v19, v22, v23, s[26:27]
	v_cndmask_b32_e64 v21, v20, v16, s[26:27]
	v_add_u32_e32 v25, 1, v19
	v_add_u32_e32 v21, -1, v21
	v_min_u32_e32 v21, v25, v21
	v_lshl_add_u32 v21, v21, 2, v18
	ds_read_b32 v21, v21
	v_lshl_add_u32 v19, v19, 3, v17
	ds_read_b64 v[52:53], v19 offset:8192
	v_cndmask_b32_e64 v24, v25, v22, s[26:27]
	v_cndmask_b32_e64 v25, v23, v25, s[26:27]
	s_waitcnt lgkmcnt(1)
	v_cndmask_b32_e64 v19, v21, v14, s[26:27]
	v_cndmask_b32_e64 v21, v15, v21, s[26:27]
	v_cmp_lt_u32_e64 s[8:9], v24, v20
	s_mov_b64 s[30:31], -1
	s_mov_b64 s[34:35], -1
	s_and_saveexec_b64 s[36:37], s[8:9]
	s_cbranch_execz .LBB1438_226
; %bb.223:
	v_cmp_lt_u32_e64 s[8:9], v25, v16
	s_mov_b64 s[38:39], 0
	s_and_saveexec_b64 s[34:35], s[8:9]
; %bb.224:
	v_add_f32_e32 v22, 0, v21
	v_ashrrev_i32_e32 v26, 31, v22
	v_add_f32_e32 v23, 0, v19
	v_or_b32_e32 v26, 0x80000000, v26
	v_xor_b32_e32 v22, v26, v22
	v_ashrrev_i32_e32 v26, 31, v23
	v_or_b32_e32 v26, 0x80000000, v26
	v_xor_b32_e32 v23, v26, v23
	v_cmp_le_u32_e64 s[8:9], v22, v23
	s_and_b64 s[38:39], s[8:9], exec
; %bb.225:
	s_or_b64 exec, exec, s[34:35]
	s_orn2_b64 s[34:35], s[38:39], exec
.LBB1438_226:
	s_or_b64 exec, exec, s[36:37]
	v_cndmask_b32_e64 v22, v24, v25, s[34:35]
	v_cndmask_b32_e64 v23, v20, v16, s[34:35]
	v_add_u32_e32 v27, 1, v22
	v_add_u32_e32 v23, -1, v23
	v_min_u32_e32 v23, v27, v23
	v_lshl_add_u32 v23, v23, 2, v18
	ds_read_b32 v23, v23
	v_lshl_add_u32 v22, v22, 3, v17
	ds_read_b64 v[70:71], v22 offset:8192
	v_cndmask_b32_e64 v26, v27, v24, s[34:35]
	v_cndmask_b32_e64 v28, v25, v27, s[34:35]
	s_waitcnt lgkmcnt(1)
	v_cndmask_b32_e64 v22, v23, v19, s[34:35]
	v_cndmask_b32_e64 v23, v21, v23, s[34:35]
	v_cmp_lt_u32_e64 s[8:9], v26, v20
	s_and_saveexec_b64 s[36:37], s[8:9]
	s_cbranch_execz .LBB1438_230
; %bb.227:
	v_cmp_lt_u32_e64 s[8:9], v28, v16
	s_mov_b64 s[38:39], 0
	s_and_saveexec_b64 s[30:31], s[8:9]
; %bb.228:
	v_add_f32_e32 v24, 0, v23
	v_ashrrev_i32_e32 v27, 31, v24
	v_add_f32_e32 v25, 0, v22
	v_or_b32_e32 v27, 0x80000000, v27
	v_xor_b32_e32 v24, v27, v24
	v_ashrrev_i32_e32 v27, 31, v25
	v_or_b32_e32 v27, 0x80000000, v27
	v_xor_b32_e32 v25, v27, v25
	v_cmp_le_u32_e64 s[8:9], v24, v25
	s_and_b64 s[38:39], s[8:9], exec
; %bb.229:
	s_or_b64 exec, exec, s[30:31]
	s_orn2_b64 s[30:31], s[38:39], exec
.LBB1438_230:
	s_or_b64 exec, exec, s[36:37]
	v_cndmask_b32_e64 v24, v26, v28, s[30:31]
	v_cndmask_b32_e64 v25, v20, v16, s[30:31]
	v_add_u32_e32 v29, 1, v24
	v_add_u32_e32 v25, -1, v25
	v_min_u32_e32 v25, v29, v25
	v_lshl_add_u32 v25, v25, 2, v18
	ds_read_b32 v25, v25
	v_lshl_add_u32 v24, v24, 3, v17
	ds_read_b64 v[66:67], v24 offset:8192
	v_cndmask_b32_e64 v27, v29, v26, s[30:31]
	v_cndmask_b32_e64 v28, v28, v29, s[30:31]
	s_waitcnt lgkmcnt(1)
	v_cndmask_b32_e64 v24, v25, v22, s[30:31]
	v_cndmask_b32_e64 v25, v23, v25, s[30:31]
	v_cmp_lt_u32_e64 s[8:9], v27, v20
	s_mov_b64 s[36:37], -1
	s_mov_b64 s[38:39], -1
	s_and_saveexec_b64 s[40:41], s[8:9]
	s_cbranch_execz .LBB1438_234
; %bb.231:
	v_cmp_lt_u32_e64 s[8:9], v28, v16
	s_mov_b64 s[42:43], 0
	s_and_saveexec_b64 s[38:39], s[8:9]
; %bb.232:
	v_add_f32_e32 v26, 0, v25
	v_ashrrev_i32_e32 v30, 31, v26
	v_add_f32_e32 v29, 0, v24
	v_or_b32_e32 v30, 0x80000000, v30
	v_xor_b32_e32 v26, v30, v26
	v_ashrrev_i32_e32 v30, 31, v29
	v_or_b32_e32 v30, 0x80000000, v30
	v_xor_b32_e32 v29, v30, v29
	v_cmp_le_u32_e64 s[8:9], v26, v29
	s_and_b64 s[42:43], s[8:9], exec
; %bb.233:
	s_or_b64 exec, exec, s[38:39]
	s_orn2_b64 s[38:39], s[42:43], exec
.LBB1438_234:
	s_or_b64 exec, exec, s[40:41]
	v_cndmask_b32_e64 v26, v27, v28, s[38:39]
	v_cndmask_b32_e64 v29, v20, v16, s[38:39]
	v_add_u32_e32 v30, 1, v26
	v_add_u32_e32 v29, -1, v29
	v_min_u32_e32 v29, v30, v29
	v_lshl_add_u32 v18, v29, 2, v18
	ds_read_b32 v29, v18
	v_lshl_add_u32 v18, v26, 3, v17
	ds_read_b64 v[64:65], v18 offset:8192
	v_cndmask_b32_e64 v27, v30, v27, s[38:39]
	v_cndmask_b32_e64 v28, v28, v30, s[38:39]
	s_waitcnt lgkmcnt(1)
	v_cndmask_b32_e64 v18, v29, v24, s[38:39]
	v_cndmask_b32_e64 v26, v25, v29, s[38:39]
	v_cmp_lt_u32_e64 s[8:9], v27, v20
	s_and_saveexec_b64 s[40:41], s[8:9]
	s_cbranch_execz .LBB1438_238
; %bb.235:
	v_cmp_lt_u32_e64 s[8:9], v28, v16
	s_mov_b64 s[42:43], 0
	s_and_saveexec_b64 s[36:37], s[8:9]
; %bb.236:
	v_add_f32_e32 v16, 0, v26
	v_ashrrev_i32_e32 v29, 31, v16
	v_add_f32_e32 v20, 0, v18
	v_or_b32_e32 v29, 0x80000000, v29
	v_xor_b32_e32 v16, v29, v16
	v_ashrrev_i32_e32 v29, 31, v20
	v_or_b32_e32 v29, 0x80000000, v29
	v_xor_b32_e32 v20, v29, v20
	v_cmp_le_u32_e64 s[8:9], v16, v20
	s_and_b64 s[42:43], s[8:9], exec
; %bb.237:
	s_or_b64 exec, exec, s[36:37]
	s_orn2_b64 s[36:37], s[42:43], exec
.LBB1438_238:
	s_or_b64 exec, exec, s[40:41]
	v_cndmask_b32_e64 v8, v9, v8, s[24:25]
	v_cndmask_b32_e64 v9, v10, v11, s[12:13]
	;; [unrolled: 1-line block ×4, first 2 shown]
	v_lshl_add_u32 v12, v12, 3, v17
	ds_read_b64 v[50:51], v12 offset:8192
	v_cndmask_b32_e64 v11, v14, v15, s[26:27]
	v_cndmask_b32_e64 v12, v19, v21, s[34:35]
	;; [unrolled: 1-line block ×5, first 2 shown]
.LBB1438_239:
	s_or_b64 exec, exec, s[22:23]
	v_add_co_u32_e64 v2, s[8:9], v2, v54
	v_addc_co_u32_e64 v3, s[8:9], v3, v55, s[8:9]
	v_add_co_u32_e64 v2, s[8:9], v2, v86
	v_addc_co_u32_e64 v3, s[8:9], 0, v3, s[8:9]
	; wave barrier
	s_waitcnt lgkmcnt(0)
	s_barrier
	s_waitcnt lgkmcnt(0)
	; wave barrier
	s_and_saveexec_b64 s[8:9], vcc
	s_cbranch_execnz .LBB1438_265
; %bb.240:
	s_or_b64 exec, exec, s[8:9]
	s_and_saveexec_b64 s[8:9], s[4:5]
	s_cbranch_execnz .LBB1438_266
.LBB1438_241:
	s_or_b64 exec, exec, s[8:9]
	s_and_saveexec_b64 s[8:9], s[6:7]
	s_cbranch_execnz .LBB1438_267
.LBB1438_242:
	s_or_b64 exec, exec, s[8:9]
	s_and_saveexec_b64 s[8:9], s[18:19]
	s_cbranch_execnz .LBB1438_268
.LBB1438_243:
	s_or_b64 exec, exec, s[8:9]
	s_and_saveexec_b64 s[8:9], s[10:11]
	s_cbranch_execnz .LBB1438_269
.LBB1438_244:
	s_or_b64 exec, exec, s[8:9]
	s_and_saveexec_b64 s[8:9], s[20:21]
	s_cbranch_execnz .LBB1438_270
.LBB1438_245:
	s_or_b64 exec, exec, s[8:9]
	s_and_saveexec_b64 s[8:9], s[14:15]
	s_cbranch_execnz .LBB1438_271
.LBB1438_246:
	s_or_b64 exec, exec, s[8:9]
	s_and_saveexec_b64 s[8:9], s[16:17]
	s_cbranch_execz .LBB1438_248
.LBB1438_247:
	flat_store_dword v[2:3], v15 offset:28
.LBB1438_248:
	s_or_b64 exec, exec, s[8:9]
	v_add_co_u32_e64 v0, s[8:9], v6, v0
	v_addc_co_u32_e64 v1, s[8:9], v7, v1, s[8:9]
	v_add_co_u32_e64 v0, s[8:9], v0, v87
	v_addc_co_u32_e64 v1, s[8:9], 0, v1, s[8:9]
	; wave barrier
	s_and_saveexec_b64 s[8:9], vcc
	s_cbranch_execnz .LBB1438_272
; %bb.249:
	s_or_b64 exec, exec, s[8:9]
	s_and_saveexec_b64 s[8:9], s[4:5]
	s_cbranch_execnz .LBB1438_273
.LBB1438_250:
	s_or_b64 exec, exec, s[8:9]
	s_and_saveexec_b64 s[4:5], s[6:7]
	s_cbranch_execnz .LBB1438_274
.LBB1438_251:
	s_or_b64 exec, exec, s[4:5]
	s_and_saveexec_b64 s[4:5], s[18:19]
	s_cbranch_execnz .LBB1438_275
.LBB1438_252:
	s_or_b64 exec, exec, s[4:5]
	s_and_saveexec_b64 s[4:5], s[10:11]
	s_cbranch_execnz .LBB1438_276
.LBB1438_253:
	s_or_b64 exec, exec, s[4:5]
	s_and_saveexec_b64 s[4:5], s[20:21]
	s_cbranch_execnz .LBB1438_277
.LBB1438_254:
	s_or_b64 exec, exec, s[4:5]
	s_and_saveexec_b64 s[4:5], s[14:15]
	s_cbranch_execnz .LBB1438_278
.LBB1438_255:
	s_or_b64 exec, exec, s[4:5]
	s_and_saveexec_b64 s[4:5], s[16:17]
	s_cbranch_execz .LBB1438_257
.LBB1438_256:
	flat_store_dwordx2 v[0:1], v[50:51] offset:56
.LBB1438_257:
	s_or_b64 exec, exec, s[4:5]
	v_readlane_b32 s30, v40, 10
	v_readlane_b32 s31, v40, 11
	;; [unrolled: 1-line block ×12, first 2 shown]
	s_or_saveexec_b64 s[4:5], -1
	buffer_load_dword v40, off, s[0:3], s32 ; 4-byte Folded Reload
	s_mov_b64 exec, s[4:5]
	s_waitcnt vmcnt(0) lgkmcnt(0)
	s_setpc_b64 s[30:31]
.LBB1438_258:
	flat_load_dwordx2 v[4:5], v[8:9]
	s_or_b64 exec, exec, s[22:23]
	s_and_saveexec_b64 s[22:23], s[4:5]
                                        ; implicit-def: $vgpr32_vgpr33_vgpr34_vgpr35
	s_cbranch_execz .LBB1438_18
.LBB1438_259:
	flat_load_dwordx2 v[34:35], v[8:9] offset:8
	s_or_b64 exec, exec, s[22:23]
                                        ; implicit-def: $vgpr68_vgpr69
	s_and_saveexec_b64 s[22:23], s[6:7]
	s_cbranch_execz .LBB1438_19
.LBB1438_260:
	flat_load_dwordx2 v[68:69], v[8:9] offset:16
	s_or_b64 exec, exec, s[22:23]
	s_and_saveexec_b64 s[22:23], s[18:19]
                                        ; implicit-def: $vgpr50_vgpr51_vgpr52_vgpr53
	s_cbranch_execz .LBB1438_20
.LBB1438_261:
	flat_load_dwordx2 v[52:53], v[8:9] offset:24
	s_or_b64 exec, exec, s[22:23]
                                        ; implicit-def: $vgpr70_vgpr71
	s_and_saveexec_b64 s[22:23], s[10:11]
	s_cbranch_execz .LBB1438_21
.LBB1438_262:
	flat_load_dwordx2 v[70:71], v[8:9] offset:32
	s_or_b64 exec, exec, s[22:23]
	s_and_saveexec_b64 s[22:23], s[20:21]
                                        ; implicit-def: $vgpr64_vgpr65_vgpr66_vgpr67
	s_cbranch_execz .LBB1438_22
.LBB1438_263:
	flat_load_dwordx2 v[66:67], v[8:9] offset:40
	s_or_b64 exec, exec, s[22:23]
                                        ; implicit-def: $vgpr64_vgpr65
	s_and_saveexec_b64 s[22:23], s[14:15]
	s_cbranch_execz .LBB1438_23
.LBB1438_264:
	flat_load_dwordx2 v[64:65], v[8:9] offset:48
	s_or_b64 exec, exec, s[22:23]
	s_and_saveexec_b64 s[22:23], s[16:17]
                                        ; implicit-def: $vgpr48_vgpr49_vgpr50_vgpr51
	s_cbranch_execnz .LBB1438_24
	s_branch .LBB1438_25
.LBB1438_265:
	flat_store_dword v[2:3], v8
	s_or_b64 exec, exec, s[8:9]
	s_and_saveexec_b64 s[8:9], s[4:5]
	s_cbranch_execz .LBB1438_241
.LBB1438_266:
	flat_store_dword v[2:3], v9 offset:4
	s_or_b64 exec, exec, s[8:9]
	s_and_saveexec_b64 s[8:9], s[6:7]
	s_cbranch_execz .LBB1438_242
.LBB1438_267:
	flat_store_dword v[2:3], v10 offset:8
	s_or_b64 exec, exec, s[8:9]
	s_and_saveexec_b64 s[8:9], s[18:19]
	s_cbranch_execz .LBB1438_243
.LBB1438_268:
	flat_store_dword v[2:3], v11 offset:12
	s_or_b64 exec, exec, s[8:9]
	s_and_saveexec_b64 s[8:9], s[10:11]
	s_cbranch_execz .LBB1438_244
.LBB1438_269:
	flat_store_dword v[2:3], v12 offset:16
	s_or_b64 exec, exec, s[8:9]
	s_and_saveexec_b64 s[8:9], s[20:21]
	s_cbranch_execz .LBB1438_245
.LBB1438_270:
	flat_store_dword v[2:3], v13 offset:20
	s_or_b64 exec, exec, s[8:9]
	s_and_saveexec_b64 s[8:9], s[14:15]
	s_cbranch_execz .LBB1438_246
.LBB1438_271:
	flat_store_dword v[2:3], v14 offset:24
	s_or_b64 exec, exec, s[8:9]
	s_and_saveexec_b64 s[8:9], s[16:17]
	s_cbranch_execnz .LBB1438_247
	s_branch .LBB1438_248
.LBB1438_272:
	flat_store_dwordx2 v[0:1], v[4:5]
	s_or_b64 exec, exec, s[8:9]
	s_and_saveexec_b64 s[8:9], s[4:5]
	s_cbranch_execz .LBB1438_250
.LBB1438_273:
	flat_store_dwordx2 v[0:1], v[34:35] offset:8
	s_or_b64 exec, exec, s[8:9]
	s_and_saveexec_b64 s[4:5], s[6:7]
	s_cbranch_execz .LBB1438_251
.LBB1438_274:
	flat_store_dwordx2 v[0:1], v[68:69] offset:16
	s_or_b64 exec, exec, s[4:5]
	s_and_saveexec_b64 s[4:5], s[18:19]
	s_cbranch_execz .LBB1438_252
.LBB1438_275:
	flat_store_dwordx2 v[0:1], v[52:53] offset:24
	s_or_b64 exec, exec, s[4:5]
	s_and_saveexec_b64 s[4:5], s[10:11]
	s_cbranch_execz .LBB1438_253
.LBB1438_276:
	flat_store_dwordx2 v[0:1], v[70:71] offset:32
	s_or_b64 exec, exec, s[4:5]
	s_and_saveexec_b64 s[4:5], s[20:21]
	s_cbranch_execz .LBB1438_254
.LBB1438_277:
	flat_store_dwordx2 v[0:1], v[66:67] offset:40
	s_or_b64 exec, exec, s[4:5]
	s_and_saveexec_b64 s[4:5], s[14:15]
	s_cbranch_execz .LBB1438_255
.LBB1438_278:
	flat_store_dwordx2 v[0:1], v[64:65] offset:48
	s_or_b64 exec, exec, s[4:5]
	s_and_saveexec_b64 s[4:5], s[16:17]
	s_cbranch_execnz .LBB1438_256
	s_branch .LBB1438_257
.Lfunc_end1438:
	.size	_ZN7rocprim17ROCPRIM_400000_NS6detail26segmented_warp_sort_helperINS1_20WarpSortHelperConfigILj16ELj8ELj256EEEflLi256ELb0EvE4sortIPKfPfPKlPlEEvT_T0_T1_T2_jjjjRNS5_12storage_typeE, .Lfunc_end1438-_ZN7rocprim17ROCPRIM_400000_NS6detail26segmented_warp_sort_helperINS1_20WarpSortHelperConfigILj16ELj8ELj256EEEflLi256ELb0EvE4sortIPKfPfPKlPlEEvT_T0_T1_T2_jjjjRNS5_12storage_typeE
                                        ; -- End function
	.section	.AMDGPU.csdata,"",@progbits
; Function info:
; codeLenInByte = 12764
; NumSgprs: 48
; NumVgprs: 99
; NumAgprs: 0
; TotalNumVgprs: 99
; ScratchSize: 8
; MemoryBound: 0
	.section	.text._ZN7rocprim17ROCPRIM_400000_NS6detail17trampoline_kernelINS0_14default_configENS1_36segmented_radix_sort_config_selectorIflEEZNS1_25segmented_radix_sort_implIS3_Lb0EPKfPfPKlPlN2at6native12_GLOBAL__N_18offset_tEEE10hipError_tPvRmT1_PNSt15iterator_traitsISK_E10value_typeET2_T3_PNSL_ISQ_E10value_typeET4_jRbjT5_SW_jjP12ihipStream_tbEUlT_E0_NS1_11comp_targetILNS1_3genE4ELNS1_11target_archE910ELNS1_3gpuE8ELNS1_3repE0EEENS1_60segmented_radix_sort_warp_sort_medium_config_static_selectorELNS0_4arch9wavefront6targetE1EEEvSK_,"axG",@progbits,_ZN7rocprim17ROCPRIM_400000_NS6detail17trampoline_kernelINS0_14default_configENS1_36segmented_radix_sort_config_selectorIflEEZNS1_25segmented_radix_sort_implIS3_Lb0EPKfPfPKlPlN2at6native12_GLOBAL__N_18offset_tEEE10hipError_tPvRmT1_PNSt15iterator_traitsISK_E10value_typeET2_T3_PNSL_ISQ_E10value_typeET4_jRbjT5_SW_jjP12ihipStream_tbEUlT_E0_NS1_11comp_targetILNS1_3genE4ELNS1_11target_archE910ELNS1_3gpuE8ELNS1_3repE0EEENS1_60segmented_radix_sort_warp_sort_medium_config_static_selectorELNS0_4arch9wavefront6targetE1EEEvSK_,comdat
	.globl	_ZN7rocprim17ROCPRIM_400000_NS6detail17trampoline_kernelINS0_14default_configENS1_36segmented_radix_sort_config_selectorIflEEZNS1_25segmented_radix_sort_implIS3_Lb0EPKfPfPKlPlN2at6native12_GLOBAL__N_18offset_tEEE10hipError_tPvRmT1_PNSt15iterator_traitsISK_E10value_typeET2_T3_PNSL_ISQ_E10value_typeET4_jRbjT5_SW_jjP12ihipStream_tbEUlT_E0_NS1_11comp_targetILNS1_3genE4ELNS1_11target_archE910ELNS1_3gpuE8ELNS1_3repE0EEENS1_60segmented_radix_sort_warp_sort_medium_config_static_selectorELNS0_4arch9wavefront6targetE1EEEvSK_ ; -- Begin function _ZN7rocprim17ROCPRIM_400000_NS6detail17trampoline_kernelINS0_14default_configENS1_36segmented_radix_sort_config_selectorIflEEZNS1_25segmented_radix_sort_implIS3_Lb0EPKfPfPKlPlN2at6native12_GLOBAL__N_18offset_tEEE10hipError_tPvRmT1_PNSt15iterator_traitsISK_E10value_typeET2_T3_PNSL_ISQ_E10value_typeET4_jRbjT5_SW_jjP12ihipStream_tbEUlT_E0_NS1_11comp_targetILNS1_3genE4ELNS1_11target_archE910ELNS1_3gpuE8ELNS1_3repE0EEENS1_60segmented_radix_sort_warp_sort_medium_config_static_selectorELNS0_4arch9wavefront6targetE1EEEvSK_
	.p2align	8
	.type	_ZN7rocprim17ROCPRIM_400000_NS6detail17trampoline_kernelINS0_14default_configENS1_36segmented_radix_sort_config_selectorIflEEZNS1_25segmented_radix_sort_implIS3_Lb0EPKfPfPKlPlN2at6native12_GLOBAL__N_18offset_tEEE10hipError_tPvRmT1_PNSt15iterator_traitsISK_E10value_typeET2_T3_PNSL_ISQ_E10value_typeET4_jRbjT5_SW_jjP12ihipStream_tbEUlT_E0_NS1_11comp_targetILNS1_3genE4ELNS1_11target_archE910ELNS1_3gpuE8ELNS1_3repE0EEENS1_60segmented_radix_sort_warp_sort_medium_config_static_selectorELNS0_4arch9wavefront6targetE1EEEvSK_,@function
_ZN7rocprim17ROCPRIM_400000_NS6detail17trampoline_kernelINS0_14default_configENS1_36segmented_radix_sort_config_selectorIflEEZNS1_25segmented_radix_sort_implIS3_Lb0EPKfPfPKlPlN2at6native12_GLOBAL__N_18offset_tEEE10hipError_tPvRmT1_PNSt15iterator_traitsISK_E10value_typeET2_T3_PNSL_ISQ_E10value_typeET4_jRbjT5_SW_jjP12ihipStream_tbEUlT_E0_NS1_11comp_targetILNS1_3genE4ELNS1_11target_archE910ELNS1_3gpuE8ELNS1_3repE0EEENS1_60segmented_radix_sort_warp_sort_medium_config_static_selectorELNS0_4arch9wavefront6targetE1EEEvSK_: ; @_ZN7rocprim17ROCPRIM_400000_NS6detail17trampoline_kernelINS0_14default_configENS1_36segmented_radix_sort_config_selectorIflEEZNS1_25segmented_radix_sort_implIS3_Lb0EPKfPfPKlPlN2at6native12_GLOBAL__N_18offset_tEEE10hipError_tPvRmT1_PNSt15iterator_traitsISK_E10value_typeET2_T3_PNSL_ISQ_E10value_typeET4_jRbjT5_SW_jjP12ihipStream_tbEUlT_E0_NS1_11comp_targetILNS1_3genE4ELNS1_11target_archE910ELNS1_3gpuE8ELNS1_3repE0EEENS1_60segmented_radix_sort_warp_sort_medium_config_static_selectorELNS0_4arch9wavefront6targetE1EEEvSK_
; %bb.0:
	s_add_u32 flat_scratch_lo, s6, s10
	s_addc_u32 flat_scratch_hi, s7, 0
	s_add_u32 s0, s0, s10
	s_load_dword s6, s[4:5], 0x64
	s_load_dword s10, s[4:5], 0x34
	s_addc_u32 s1, s1, 0
	v_bfe_u32 v1, v0, 10, 10
	v_bfe_u32 v2, v0, 20, 10
	s_waitcnt lgkmcnt(0)
	s_lshr_b32 s7, s6, 16
	s_and_b32 s6, s6, 0xffff
	v_mad_u32_u24 v1, v2, s7, v1
	v_and_b32_e32 v2, 0x3ff, v0
	v_mad_u64_u32 v[2:3], s[6:7], v1, s6, v[2:3]
	v_lshrrev_b32_e32 v1, 4, v2
	v_lshl_add_u32 v2, s8, 4, v1
	v_cmp_gt_u32_e32 vcc, s10, v2
	s_mov_b32 s32, 0
	s_and_saveexec_b64 s[6:7], vcc
	s_cbranch_execz .LBB1439_6
; %bb.1:
	s_load_dwordx2 s[6:7], s[4:5], 0x38
	s_load_dwordx4 s[12:15], s[4:5], 0x40
	v_mov_b32_e32 v3, 0
	v_lshlrev_b64 v[2:3], 2, v[2:3]
	s_waitcnt lgkmcnt(0)
	v_mov_b32_e32 v1, s7
	v_add_co_u32_e32 v2, vcc, s6, v2
	v_addc_co_u32_e32 v3, vcc, v1, v3, vcc
	global_load_dword v1, v[2:3], off
	s_waitcnt vmcnt(0)
	v_add_u32_e32 v2, s13, v1
	v_add_u32_e32 v1, s15, v1
	v_mul_lo_u32 v41, v2, s12
	v_mul_lo_u32 v42, v1, s14
	v_cmp_gt_u32_e32 vcc, v42, v41
	s_and_b64 exec, exec, vcc
	s_cbranch_execz .LBB1439_6
; %bb.2:
	s_load_dword s6, s[4:5], 0x30
	s_load_dwordx4 s[56:59], s[4:5], 0x20
	s_load_dwordx8 s[48:55], s[4:5], 0x0
	s_mov_b32 s44, s8
	s_mov_b32 s33, s9
	s_waitcnt lgkmcnt(0)
	s_bitcmp0_b32 s6, 0
	s_mov_b64 s[6:7], -1
	s_cbranch_scc0 .LBB1439_4
; %bb.3:
	s_add_u32 s8, s4, 0x58
	s_addc_u32 s9, s5, 0
	s_mov_b32 s12, s44
	s_mov_b32 s13, s33
	v_mov_b32_e32 v31, v0
	v_mov_b32_e32 v43, v0
	v_mov_b32_e32 v0, s48
	v_mov_b32_e32 v1, s49
	v_mov_b32_e32 v2, s50
	v_mov_b32_e32 v3, s51
	v_mov_b32_e32 v4, s54
	v_mov_b32_e32 v5, s55
	v_mov_b32_e32 v6, s56
	v_mov_b32_e32 v7, s57
	v_mov_b32_e32 v8, v41
	v_mov_b32_e32 v9, v42
	s_getpc_b64 s[6:7]
	s_add_u32 s6, s6, _ZN7rocprim17ROCPRIM_400000_NS6detail26segmented_warp_sort_helperINS1_20WarpSortHelperConfigILj16ELj8ELj256EEEflLi256ELb0EvE4sortIPKfPfPKlPlEEvT_T0_T1_T2_jjjjRNS5_12storage_typeE@rel32@lo+4
	s_addc_u32 s7, s7, _ZN7rocprim17ROCPRIM_400000_NS6detail26segmented_warp_sort_helperINS1_20WarpSortHelperConfigILj16ELj8ELj256EEEflLi256ELb0EvE4sortIPKfPfPKlPlEEvT_T0_T1_T2_jjjjRNS5_12storage_typeE@rel32@hi+12
	s_mov_b64 s[46:47], s[4:5]
	s_swappc_b64 s[30:31], s[6:7]
	v_mov_b32_e32 v0, v43
	s_mov_b64 s[4:5], s[46:47]
	s_mov_b64 s[6:7], 0
.LBB1439_4:
	s_andn2_b64 vcc, exec, s[6:7]
	s_cbranch_vccnz .LBB1439_6
; %bb.5:
	s_add_u32 s8, s4, 0x58
	s_addc_u32 s9, s5, 0
	s_mov_b32 s12, s44
	s_mov_b32 s13, s33
	v_mov_b32_e32 v31, v0
	v_mov_b32_e32 v0, s48
	;; [unrolled: 1-line block ×11, first 2 shown]
	s_getpc_b64 s[4:5]
	s_add_u32 s4, s4, _ZN7rocprim17ROCPRIM_400000_NS6detail26segmented_warp_sort_helperINS1_20WarpSortHelperConfigILj16ELj8ELj256EEEflLi256ELb0EvE4sortIPKfPfPKlPlEEvT_T0_T1_T2_jjjjRNS5_12storage_typeE@rel32@lo+4
	s_addc_u32 s5, s5, _ZN7rocprim17ROCPRIM_400000_NS6detail26segmented_warp_sort_helperINS1_20WarpSortHelperConfigILj16ELj8ELj256EEEflLi256ELb0EvE4sortIPKfPfPKlPlEEvT_T0_T1_T2_jjjjRNS5_12storage_typeE@rel32@hi+12
	s_swappc_b64 s[30:31], s[4:5]
.LBB1439_6:
	s_endpgm
	.section	.rodata,"a",@progbits
	.p2align	6, 0x0
	.amdhsa_kernel _ZN7rocprim17ROCPRIM_400000_NS6detail17trampoline_kernelINS0_14default_configENS1_36segmented_radix_sort_config_selectorIflEEZNS1_25segmented_radix_sort_implIS3_Lb0EPKfPfPKlPlN2at6native12_GLOBAL__N_18offset_tEEE10hipError_tPvRmT1_PNSt15iterator_traitsISK_E10value_typeET2_T3_PNSL_ISQ_E10value_typeET4_jRbjT5_SW_jjP12ihipStream_tbEUlT_E0_NS1_11comp_targetILNS1_3genE4ELNS1_11target_archE910ELNS1_3gpuE8ELNS1_3repE0EEENS1_60segmented_radix_sort_warp_sort_medium_config_static_selectorELNS0_4arch9wavefront6targetE1EEEvSK_
		.amdhsa_group_segment_fixed_size 24576
		.amdhsa_private_segment_fixed_size 8
		.amdhsa_kernarg_size 344
		.amdhsa_user_sgpr_count 8
		.amdhsa_user_sgpr_private_segment_buffer 1
		.amdhsa_user_sgpr_dispatch_ptr 0
		.amdhsa_user_sgpr_queue_ptr 0
		.amdhsa_user_sgpr_kernarg_segment_ptr 1
		.amdhsa_user_sgpr_dispatch_id 0
		.amdhsa_user_sgpr_flat_scratch_init 1
		.amdhsa_user_sgpr_kernarg_preload_length 0
		.amdhsa_user_sgpr_kernarg_preload_offset 0
		.amdhsa_user_sgpr_private_segment_size 0
		.amdhsa_uses_dynamic_stack 0
		.amdhsa_system_sgpr_private_segment_wavefront_offset 1
		.amdhsa_system_sgpr_workgroup_id_x 1
		.amdhsa_system_sgpr_workgroup_id_y 1
		.amdhsa_system_sgpr_workgroup_id_z 0
		.amdhsa_system_sgpr_workgroup_info 0
		.amdhsa_system_vgpr_workitem_id 2
		.amdhsa_next_free_vgpr 99
		.amdhsa_next_free_sgpr 60
		.amdhsa_accum_offset 100
		.amdhsa_reserve_vcc 1
		.amdhsa_reserve_flat_scratch 1
		.amdhsa_float_round_mode_32 0
		.amdhsa_float_round_mode_16_64 0
		.amdhsa_float_denorm_mode_32 3
		.amdhsa_float_denorm_mode_16_64 3
		.amdhsa_dx10_clamp 1
		.amdhsa_ieee_mode 1
		.amdhsa_fp16_overflow 0
		.amdhsa_tg_split 0
		.amdhsa_exception_fp_ieee_invalid_op 0
		.amdhsa_exception_fp_denorm_src 0
		.amdhsa_exception_fp_ieee_div_zero 0
		.amdhsa_exception_fp_ieee_overflow 0
		.amdhsa_exception_fp_ieee_underflow 0
		.amdhsa_exception_fp_ieee_inexact 0
		.amdhsa_exception_int_div_zero 0
	.end_amdhsa_kernel
	.section	.text._ZN7rocprim17ROCPRIM_400000_NS6detail17trampoline_kernelINS0_14default_configENS1_36segmented_radix_sort_config_selectorIflEEZNS1_25segmented_radix_sort_implIS3_Lb0EPKfPfPKlPlN2at6native12_GLOBAL__N_18offset_tEEE10hipError_tPvRmT1_PNSt15iterator_traitsISK_E10value_typeET2_T3_PNSL_ISQ_E10value_typeET4_jRbjT5_SW_jjP12ihipStream_tbEUlT_E0_NS1_11comp_targetILNS1_3genE4ELNS1_11target_archE910ELNS1_3gpuE8ELNS1_3repE0EEENS1_60segmented_radix_sort_warp_sort_medium_config_static_selectorELNS0_4arch9wavefront6targetE1EEEvSK_,"axG",@progbits,_ZN7rocprim17ROCPRIM_400000_NS6detail17trampoline_kernelINS0_14default_configENS1_36segmented_radix_sort_config_selectorIflEEZNS1_25segmented_radix_sort_implIS3_Lb0EPKfPfPKlPlN2at6native12_GLOBAL__N_18offset_tEEE10hipError_tPvRmT1_PNSt15iterator_traitsISK_E10value_typeET2_T3_PNSL_ISQ_E10value_typeET4_jRbjT5_SW_jjP12ihipStream_tbEUlT_E0_NS1_11comp_targetILNS1_3genE4ELNS1_11target_archE910ELNS1_3gpuE8ELNS1_3repE0EEENS1_60segmented_radix_sort_warp_sort_medium_config_static_selectorELNS0_4arch9wavefront6targetE1EEEvSK_,comdat
.Lfunc_end1439:
	.size	_ZN7rocprim17ROCPRIM_400000_NS6detail17trampoline_kernelINS0_14default_configENS1_36segmented_radix_sort_config_selectorIflEEZNS1_25segmented_radix_sort_implIS3_Lb0EPKfPfPKlPlN2at6native12_GLOBAL__N_18offset_tEEE10hipError_tPvRmT1_PNSt15iterator_traitsISK_E10value_typeET2_T3_PNSL_ISQ_E10value_typeET4_jRbjT5_SW_jjP12ihipStream_tbEUlT_E0_NS1_11comp_targetILNS1_3genE4ELNS1_11target_archE910ELNS1_3gpuE8ELNS1_3repE0EEENS1_60segmented_radix_sort_warp_sort_medium_config_static_selectorELNS0_4arch9wavefront6targetE1EEEvSK_, .Lfunc_end1439-_ZN7rocprim17ROCPRIM_400000_NS6detail17trampoline_kernelINS0_14default_configENS1_36segmented_radix_sort_config_selectorIflEEZNS1_25segmented_radix_sort_implIS3_Lb0EPKfPfPKlPlN2at6native12_GLOBAL__N_18offset_tEEE10hipError_tPvRmT1_PNSt15iterator_traitsISK_E10value_typeET2_T3_PNSL_ISQ_E10value_typeET4_jRbjT5_SW_jjP12ihipStream_tbEUlT_E0_NS1_11comp_targetILNS1_3genE4ELNS1_11target_archE910ELNS1_3gpuE8ELNS1_3repE0EEENS1_60segmented_radix_sort_warp_sort_medium_config_static_selectorELNS0_4arch9wavefront6targetE1EEEvSK_
                                        ; -- End function
	.section	.AMDGPU.csdata,"",@progbits
; Kernel info:
; codeLenInByte = 464
; NumSgprs: 66
; NumVgprs: 99
; NumAgprs: 0
; TotalNumVgprs: 99
; ScratchSize: 8
; MemoryBound: 0
; FloatMode: 240
; IeeeMode: 1
; LDSByteSize: 24576 bytes/workgroup (compile time only)
; SGPRBlocks: 8
; VGPRBlocks: 12
; NumSGPRsForWavesPerEU: 66
; NumVGPRsForWavesPerEU: 99
; AccumOffset: 100
; Occupancy: 2
; WaveLimiterHint : 0
; COMPUTE_PGM_RSRC2:SCRATCH_EN: 1
; COMPUTE_PGM_RSRC2:USER_SGPR: 8
; COMPUTE_PGM_RSRC2:TRAP_HANDLER: 0
; COMPUTE_PGM_RSRC2:TGID_X_EN: 1
; COMPUTE_PGM_RSRC2:TGID_Y_EN: 1
; COMPUTE_PGM_RSRC2:TGID_Z_EN: 0
; COMPUTE_PGM_RSRC2:TIDIG_COMP_CNT: 2
; COMPUTE_PGM_RSRC3_GFX90A:ACCUM_OFFSET: 24
; COMPUTE_PGM_RSRC3_GFX90A:TG_SPLIT: 0
	.section	.text._ZN7rocprim17ROCPRIM_400000_NS6detail17trampoline_kernelINS0_14default_configENS1_36segmented_radix_sort_config_selectorIflEEZNS1_25segmented_radix_sort_implIS3_Lb0EPKfPfPKlPlN2at6native12_GLOBAL__N_18offset_tEEE10hipError_tPvRmT1_PNSt15iterator_traitsISK_E10value_typeET2_T3_PNSL_ISQ_E10value_typeET4_jRbjT5_SW_jjP12ihipStream_tbEUlT_E0_NS1_11comp_targetILNS1_3genE3ELNS1_11target_archE908ELNS1_3gpuE7ELNS1_3repE0EEENS1_60segmented_radix_sort_warp_sort_medium_config_static_selectorELNS0_4arch9wavefront6targetE1EEEvSK_,"axG",@progbits,_ZN7rocprim17ROCPRIM_400000_NS6detail17trampoline_kernelINS0_14default_configENS1_36segmented_radix_sort_config_selectorIflEEZNS1_25segmented_radix_sort_implIS3_Lb0EPKfPfPKlPlN2at6native12_GLOBAL__N_18offset_tEEE10hipError_tPvRmT1_PNSt15iterator_traitsISK_E10value_typeET2_T3_PNSL_ISQ_E10value_typeET4_jRbjT5_SW_jjP12ihipStream_tbEUlT_E0_NS1_11comp_targetILNS1_3genE3ELNS1_11target_archE908ELNS1_3gpuE7ELNS1_3repE0EEENS1_60segmented_radix_sort_warp_sort_medium_config_static_selectorELNS0_4arch9wavefront6targetE1EEEvSK_,comdat
	.globl	_ZN7rocprim17ROCPRIM_400000_NS6detail17trampoline_kernelINS0_14default_configENS1_36segmented_radix_sort_config_selectorIflEEZNS1_25segmented_radix_sort_implIS3_Lb0EPKfPfPKlPlN2at6native12_GLOBAL__N_18offset_tEEE10hipError_tPvRmT1_PNSt15iterator_traitsISK_E10value_typeET2_T3_PNSL_ISQ_E10value_typeET4_jRbjT5_SW_jjP12ihipStream_tbEUlT_E0_NS1_11comp_targetILNS1_3genE3ELNS1_11target_archE908ELNS1_3gpuE7ELNS1_3repE0EEENS1_60segmented_radix_sort_warp_sort_medium_config_static_selectorELNS0_4arch9wavefront6targetE1EEEvSK_ ; -- Begin function _ZN7rocprim17ROCPRIM_400000_NS6detail17trampoline_kernelINS0_14default_configENS1_36segmented_radix_sort_config_selectorIflEEZNS1_25segmented_radix_sort_implIS3_Lb0EPKfPfPKlPlN2at6native12_GLOBAL__N_18offset_tEEE10hipError_tPvRmT1_PNSt15iterator_traitsISK_E10value_typeET2_T3_PNSL_ISQ_E10value_typeET4_jRbjT5_SW_jjP12ihipStream_tbEUlT_E0_NS1_11comp_targetILNS1_3genE3ELNS1_11target_archE908ELNS1_3gpuE7ELNS1_3repE0EEENS1_60segmented_radix_sort_warp_sort_medium_config_static_selectorELNS0_4arch9wavefront6targetE1EEEvSK_
	.p2align	8
	.type	_ZN7rocprim17ROCPRIM_400000_NS6detail17trampoline_kernelINS0_14default_configENS1_36segmented_radix_sort_config_selectorIflEEZNS1_25segmented_radix_sort_implIS3_Lb0EPKfPfPKlPlN2at6native12_GLOBAL__N_18offset_tEEE10hipError_tPvRmT1_PNSt15iterator_traitsISK_E10value_typeET2_T3_PNSL_ISQ_E10value_typeET4_jRbjT5_SW_jjP12ihipStream_tbEUlT_E0_NS1_11comp_targetILNS1_3genE3ELNS1_11target_archE908ELNS1_3gpuE7ELNS1_3repE0EEENS1_60segmented_radix_sort_warp_sort_medium_config_static_selectorELNS0_4arch9wavefront6targetE1EEEvSK_,@function
_ZN7rocprim17ROCPRIM_400000_NS6detail17trampoline_kernelINS0_14default_configENS1_36segmented_radix_sort_config_selectorIflEEZNS1_25segmented_radix_sort_implIS3_Lb0EPKfPfPKlPlN2at6native12_GLOBAL__N_18offset_tEEE10hipError_tPvRmT1_PNSt15iterator_traitsISK_E10value_typeET2_T3_PNSL_ISQ_E10value_typeET4_jRbjT5_SW_jjP12ihipStream_tbEUlT_E0_NS1_11comp_targetILNS1_3genE3ELNS1_11target_archE908ELNS1_3gpuE7ELNS1_3repE0EEENS1_60segmented_radix_sort_warp_sort_medium_config_static_selectorELNS0_4arch9wavefront6targetE1EEEvSK_: ; @_ZN7rocprim17ROCPRIM_400000_NS6detail17trampoline_kernelINS0_14default_configENS1_36segmented_radix_sort_config_selectorIflEEZNS1_25segmented_radix_sort_implIS3_Lb0EPKfPfPKlPlN2at6native12_GLOBAL__N_18offset_tEEE10hipError_tPvRmT1_PNSt15iterator_traitsISK_E10value_typeET2_T3_PNSL_ISQ_E10value_typeET4_jRbjT5_SW_jjP12ihipStream_tbEUlT_E0_NS1_11comp_targetILNS1_3genE3ELNS1_11target_archE908ELNS1_3gpuE7ELNS1_3repE0EEENS1_60segmented_radix_sort_warp_sort_medium_config_static_selectorELNS0_4arch9wavefront6targetE1EEEvSK_
; %bb.0:
	.section	.rodata,"a",@progbits
	.p2align	6, 0x0
	.amdhsa_kernel _ZN7rocprim17ROCPRIM_400000_NS6detail17trampoline_kernelINS0_14default_configENS1_36segmented_radix_sort_config_selectorIflEEZNS1_25segmented_radix_sort_implIS3_Lb0EPKfPfPKlPlN2at6native12_GLOBAL__N_18offset_tEEE10hipError_tPvRmT1_PNSt15iterator_traitsISK_E10value_typeET2_T3_PNSL_ISQ_E10value_typeET4_jRbjT5_SW_jjP12ihipStream_tbEUlT_E0_NS1_11comp_targetILNS1_3genE3ELNS1_11target_archE908ELNS1_3gpuE7ELNS1_3repE0EEENS1_60segmented_radix_sort_warp_sort_medium_config_static_selectorELNS0_4arch9wavefront6targetE1EEEvSK_
		.amdhsa_group_segment_fixed_size 0
		.amdhsa_private_segment_fixed_size 0
		.amdhsa_kernarg_size 88
		.amdhsa_user_sgpr_count 6
		.amdhsa_user_sgpr_private_segment_buffer 1
		.amdhsa_user_sgpr_dispatch_ptr 0
		.amdhsa_user_sgpr_queue_ptr 0
		.amdhsa_user_sgpr_kernarg_segment_ptr 1
		.amdhsa_user_sgpr_dispatch_id 0
		.amdhsa_user_sgpr_flat_scratch_init 0
		.amdhsa_user_sgpr_kernarg_preload_length 0
		.amdhsa_user_sgpr_kernarg_preload_offset 0
		.amdhsa_user_sgpr_private_segment_size 0
		.amdhsa_uses_dynamic_stack 0
		.amdhsa_system_sgpr_private_segment_wavefront_offset 0
		.amdhsa_system_sgpr_workgroup_id_x 1
		.amdhsa_system_sgpr_workgroup_id_y 0
		.amdhsa_system_sgpr_workgroup_id_z 0
		.amdhsa_system_sgpr_workgroup_info 0
		.amdhsa_system_vgpr_workitem_id 0
		.amdhsa_next_free_vgpr 1
		.amdhsa_next_free_sgpr 0
		.amdhsa_accum_offset 4
		.amdhsa_reserve_vcc 0
		.amdhsa_reserve_flat_scratch 0
		.amdhsa_float_round_mode_32 0
		.amdhsa_float_round_mode_16_64 0
		.amdhsa_float_denorm_mode_32 3
		.amdhsa_float_denorm_mode_16_64 3
		.amdhsa_dx10_clamp 1
		.amdhsa_ieee_mode 1
		.amdhsa_fp16_overflow 0
		.amdhsa_tg_split 0
		.amdhsa_exception_fp_ieee_invalid_op 0
		.amdhsa_exception_fp_denorm_src 0
		.amdhsa_exception_fp_ieee_div_zero 0
		.amdhsa_exception_fp_ieee_overflow 0
		.amdhsa_exception_fp_ieee_underflow 0
		.amdhsa_exception_fp_ieee_inexact 0
		.amdhsa_exception_int_div_zero 0
	.end_amdhsa_kernel
	.section	.text._ZN7rocprim17ROCPRIM_400000_NS6detail17trampoline_kernelINS0_14default_configENS1_36segmented_radix_sort_config_selectorIflEEZNS1_25segmented_radix_sort_implIS3_Lb0EPKfPfPKlPlN2at6native12_GLOBAL__N_18offset_tEEE10hipError_tPvRmT1_PNSt15iterator_traitsISK_E10value_typeET2_T3_PNSL_ISQ_E10value_typeET4_jRbjT5_SW_jjP12ihipStream_tbEUlT_E0_NS1_11comp_targetILNS1_3genE3ELNS1_11target_archE908ELNS1_3gpuE7ELNS1_3repE0EEENS1_60segmented_radix_sort_warp_sort_medium_config_static_selectorELNS0_4arch9wavefront6targetE1EEEvSK_,"axG",@progbits,_ZN7rocprim17ROCPRIM_400000_NS6detail17trampoline_kernelINS0_14default_configENS1_36segmented_radix_sort_config_selectorIflEEZNS1_25segmented_radix_sort_implIS3_Lb0EPKfPfPKlPlN2at6native12_GLOBAL__N_18offset_tEEE10hipError_tPvRmT1_PNSt15iterator_traitsISK_E10value_typeET2_T3_PNSL_ISQ_E10value_typeET4_jRbjT5_SW_jjP12ihipStream_tbEUlT_E0_NS1_11comp_targetILNS1_3genE3ELNS1_11target_archE908ELNS1_3gpuE7ELNS1_3repE0EEENS1_60segmented_radix_sort_warp_sort_medium_config_static_selectorELNS0_4arch9wavefront6targetE1EEEvSK_,comdat
.Lfunc_end1440:
	.size	_ZN7rocprim17ROCPRIM_400000_NS6detail17trampoline_kernelINS0_14default_configENS1_36segmented_radix_sort_config_selectorIflEEZNS1_25segmented_radix_sort_implIS3_Lb0EPKfPfPKlPlN2at6native12_GLOBAL__N_18offset_tEEE10hipError_tPvRmT1_PNSt15iterator_traitsISK_E10value_typeET2_T3_PNSL_ISQ_E10value_typeET4_jRbjT5_SW_jjP12ihipStream_tbEUlT_E0_NS1_11comp_targetILNS1_3genE3ELNS1_11target_archE908ELNS1_3gpuE7ELNS1_3repE0EEENS1_60segmented_radix_sort_warp_sort_medium_config_static_selectorELNS0_4arch9wavefront6targetE1EEEvSK_, .Lfunc_end1440-_ZN7rocprim17ROCPRIM_400000_NS6detail17trampoline_kernelINS0_14default_configENS1_36segmented_radix_sort_config_selectorIflEEZNS1_25segmented_radix_sort_implIS3_Lb0EPKfPfPKlPlN2at6native12_GLOBAL__N_18offset_tEEE10hipError_tPvRmT1_PNSt15iterator_traitsISK_E10value_typeET2_T3_PNSL_ISQ_E10value_typeET4_jRbjT5_SW_jjP12ihipStream_tbEUlT_E0_NS1_11comp_targetILNS1_3genE3ELNS1_11target_archE908ELNS1_3gpuE7ELNS1_3repE0EEENS1_60segmented_radix_sort_warp_sort_medium_config_static_selectorELNS0_4arch9wavefront6targetE1EEEvSK_
                                        ; -- End function
	.section	.AMDGPU.csdata,"",@progbits
; Kernel info:
; codeLenInByte = 0
; NumSgprs: 4
; NumVgprs: 0
; NumAgprs: 0
; TotalNumVgprs: 0
; ScratchSize: 0
; MemoryBound: 0
; FloatMode: 240
; IeeeMode: 1
; LDSByteSize: 0 bytes/workgroup (compile time only)
; SGPRBlocks: 0
; VGPRBlocks: 0
; NumSGPRsForWavesPerEU: 4
; NumVGPRsForWavesPerEU: 1
; AccumOffset: 4
; Occupancy: 8
; WaveLimiterHint : 0
; COMPUTE_PGM_RSRC2:SCRATCH_EN: 0
; COMPUTE_PGM_RSRC2:USER_SGPR: 6
; COMPUTE_PGM_RSRC2:TRAP_HANDLER: 0
; COMPUTE_PGM_RSRC2:TGID_X_EN: 1
; COMPUTE_PGM_RSRC2:TGID_Y_EN: 0
; COMPUTE_PGM_RSRC2:TGID_Z_EN: 0
; COMPUTE_PGM_RSRC2:TIDIG_COMP_CNT: 0
; COMPUTE_PGM_RSRC3_GFX90A:ACCUM_OFFSET: 0
; COMPUTE_PGM_RSRC3_GFX90A:TG_SPLIT: 0
	.section	.text._ZN7rocprim17ROCPRIM_400000_NS6detail17trampoline_kernelINS0_14default_configENS1_36segmented_radix_sort_config_selectorIflEEZNS1_25segmented_radix_sort_implIS3_Lb0EPKfPfPKlPlN2at6native12_GLOBAL__N_18offset_tEEE10hipError_tPvRmT1_PNSt15iterator_traitsISK_E10value_typeET2_T3_PNSL_ISQ_E10value_typeET4_jRbjT5_SW_jjP12ihipStream_tbEUlT_E0_NS1_11comp_targetILNS1_3genE2ELNS1_11target_archE906ELNS1_3gpuE6ELNS1_3repE0EEENS1_60segmented_radix_sort_warp_sort_medium_config_static_selectorELNS0_4arch9wavefront6targetE1EEEvSK_,"axG",@progbits,_ZN7rocprim17ROCPRIM_400000_NS6detail17trampoline_kernelINS0_14default_configENS1_36segmented_radix_sort_config_selectorIflEEZNS1_25segmented_radix_sort_implIS3_Lb0EPKfPfPKlPlN2at6native12_GLOBAL__N_18offset_tEEE10hipError_tPvRmT1_PNSt15iterator_traitsISK_E10value_typeET2_T3_PNSL_ISQ_E10value_typeET4_jRbjT5_SW_jjP12ihipStream_tbEUlT_E0_NS1_11comp_targetILNS1_3genE2ELNS1_11target_archE906ELNS1_3gpuE6ELNS1_3repE0EEENS1_60segmented_radix_sort_warp_sort_medium_config_static_selectorELNS0_4arch9wavefront6targetE1EEEvSK_,comdat
	.globl	_ZN7rocprim17ROCPRIM_400000_NS6detail17trampoline_kernelINS0_14default_configENS1_36segmented_radix_sort_config_selectorIflEEZNS1_25segmented_radix_sort_implIS3_Lb0EPKfPfPKlPlN2at6native12_GLOBAL__N_18offset_tEEE10hipError_tPvRmT1_PNSt15iterator_traitsISK_E10value_typeET2_T3_PNSL_ISQ_E10value_typeET4_jRbjT5_SW_jjP12ihipStream_tbEUlT_E0_NS1_11comp_targetILNS1_3genE2ELNS1_11target_archE906ELNS1_3gpuE6ELNS1_3repE0EEENS1_60segmented_radix_sort_warp_sort_medium_config_static_selectorELNS0_4arch9wavefront6targetE1EEEvSK_ ; -- Begin function _ZN7rocprim17ROCPRIM_400000_NS6detail17trampoline_kernelINS0_14default_configENS1_36segmented_radix_sort_config_selectorIflEEZNS1_25segmented_radix_sort_implIS3_Lb0EPKfPfPKlPlN2at6native12_GLOBAL__N_18offset_tEEE10hipError_tPvRmT1_PNSt15iterator_traitsISK_E10value_typeET2_T3_PNSL_ISQ_E10value_typeET4_jRbjT5_SW_jjP12ihipStream_tbEUlT_E0_NS1_11comp_targetILNS1_3genE2ELNS1_11target_archE906ELNS1_3gpuE6ELNS1_3repE0EEENS1_60segmented_radix_sort_warp_sort_medium_config_static_selectorELNS0_4arch9wavefront6targetE1EEEvSK_
	.p2align	8
	.type	_ZN7rocprim17ROCPRIM_400000_NS6detail17trampoline_kernelINS0_14default_configENS1_36segmented_radix_sort_config_selectorIflEEZNS1_25segmented_radix_sort_implIS3_Lb0EPKfPfPKlPlN2at6native12_GLOBAL__N_18offset_tEEE10hipError_tPvRmT1_PNSt15iterator_traitsISK_E10value_typeET2_T3_PNSL_ISQ_E10value_typeET4_jRbjT5_SW_jjP12ihipStream_tbEUlT_E0_NS1_11comp_targetILNS1_3genE2ELNS1_11target_archE906ELNS1_3gpuE6ELNS1_3repE0EEENS1_60segmented_radix_sort_warp_sort_medium_config_static_selectorELNS0_4arch9wavefront6targetE1EEEvSK_,@function
_ZN7rocprim17ROCPRIM_400000_NS6detail17trampoline_kernelINS0_14default_configENS1_36segmented_radix_sort_config_selectorIflEEZNS1_25segmented_radix_sort_implIS3_Lb0EPKfPfPKlPlN2at6native12_GLOBAL__N_18offset_tEEE10hipError_tPvRmT1_PNSt15iterator_traitsISK_E10value_typeET2_T3_PNSL_ISQ_E10value_typeET4_jRbjT5_SW_jjP12ihipStream_tbEUlT_E0_NS1_11comp_targetILNS1_3genE2ELNS1_11target_archE906ELNS1_3gpuE6ELNS1_3repE0EEENS1_60segmented_radix_sort_warp_sort_medium_config_static_selectorELNS0_4arch9wavefront6targetE1EEEvSK_: ; @_ZN7rocprim17ROCPRIM_400000_NS6detail17trampoline_kernelINS0_14default_configENS1_36segmented_radix_sort_config_selectorIflEEZNS1_25segmented_radix_sort_implIS3_Lb0EPKfPfPKlPlN2at6native12_GLOBAL__N_18offset_tEEE10hipError_tPvRmT1_PNSt15iterator_traitsISK_E10value_typeET2_T3_PNSL_ISQ_E10value_typeET4_jRbjT5_SW_jjP12ihipStream_tbEUlT_E0_NS1_11comp_targetILNS1_3genE2ELNS1_11target_archE906ELNS1_3gpuE6ELNS1_3repE0EEENS1_60segmented_radix_sort_warp_sort_medium_config_static_selectorELNS0_4arch9wavefront6targetE1EEEvSK_
; %bb.0:
	.section	.rodata,"a",@progbits
	.p2align	6, 0x0
	.amdhsa_kernel _ZN7rocprim17ROCPRIM_400000_NS6detail17trampoline_kernelINS0_14default_configENS1_36segmented_radix_sort_config_selectorIflEEZNS1_25segmented_radix_sort_implIS3_Lb0EPKfPfPKlPlN2at6native12_GLOBAL__N_18offset_tEEE10hipError_tPvRmT1_PNSt15iterator_traitsISK_E10value_typeET2_T3_PNSL_ISQ_E10value_typeET4_jRbjT5_SW_jjP12ihipStream_tbEUlT_E0_NS1_11comp_targetILNS1_3genE2ELNS1_11target_archE906ELNS1_3gpuE6ELNS1_3repE0EEENS1_60segmented_radix_sort_warp_sort_medium_config_static_selectorELNS0_4arch9wavefront6targetE1EEEvSK_
		.amdhsa_group_segment_fixed_size 0
		.amdhsa_private_segment_fixed_size 0
		.amdhsa_kernarg_size 88
		.amdhsa_user_sgpr_count 6
		.amdhsa_user_sgpr_private_segment_buffer 1
		.amdhsa_user_sgpr_dispatch_ptr 0
		.amdhsa_user_sgpr_queue_ptr 0
		.amdhsa_user_sgpr_kernarg_segment_ptr 1
		.amdhsa_user_sgpr_dispatch_id 0
		.amdhsa_user_sgpr_flat_scratch_init 0
		.amdhsa_user_sgpr_kernarg_preload_length 0
		.amdhsa_user_sgpr_kernarg_preload_offset 0
		.amdhsa_user_sgpr_private_segment_size 0
		.amdhsa_uses_dynamic_stack 0
		.amdhsa_system_sgpr_private_segment_wavefront_offset 0
		.amdhsa_system_sgpr_workgroup_id_x 1
		.amdhsa_system_sgpr_workgroup_id_y 0
		.amdhsa_system_sgpr_workgroup_id_z 0
		.amdhsa_system_sgpr_workgroup_info 0
		.amdhsa_system_vgpr_workitem_id 0
		.amdhsa_next_free_vgpr 1
		.amdhsa_next_free_sgpr 0
		.amdhsa_accum_offset 4
		.amdhsa_reserve_vcc 0
		.amdhsa_reserve_flat_scratch 0
		.amdhsa_float_round_mode_32 0
		.amdhsa_float_round_mode_16_64 0
		.amdhsa_float_denorm_mode_32 3
		.amdhsa_float_denorm_mode_16_64 3
		.amdhsa_dx10_clamp 1
		.amdhsa_ieee_mode 1
		.amdhsa_fp16_overflow 0
		.amdhsa_tg_split 0
		.amdhsa_exception_fp_ieee_invalid_op 0
		.amdhsa_exception_fp_denorm_src 0
		.amdhsa_exception_fp_ieee_div_zero 0
		.amdhsa_exception_fp_ieee_overflow 0
		.amdhsa_exception_fp_ieee_underflow 0
		.amdhsa_exception_fp_ieee_inexact 0
		.amdhsa_exception_int_div_zero 0
	.end_amdhsa_kernel
	.section	.text._ZN7rocprim17ROCPRIM_400000_NS6detail17trampoline_kernelINS0_14default_configENS1_36segmented_radix_sort_config_selectorIflEEZNS1_25segmented_radix_sort_implIS3_Lb0EPKfPfPKlPlN2at6native12_GLOBAL__N_18offset_tEEE10hipError_tPvRmT1_PNSt15iterator_traitsISK_E10value_typeET2_T3_PNSL_ISQ_E10value_typeET4_jRbjT5_SW_jjP12ihipStream_tbEUlT_E0_NS1_11comp_targetILNS1_3genE2ELNS1_11target_archE906ELNS1_3gpuE6ELNS1_3repE0EEENS1_60segmented_radix_sort_warp_sort_medium_config_static_selectorELNS0_4arch9wavefront6targetE1EEEvSK_,"axG",@progbits,_ZN7rocprim17ROCPRIM_400000_NS6detail17trampoline_kernelINS0_14default_configENS1_36segmented_radix_sort_config_selectorIflEEZNS1_25segmented_radix_sort_implIS3_Lb0EPKfPfPKlPlN2at6native12_GLOBAL__N_18offset_tEEE10hipError_tPvRmT1_PNSt15iterator_traitsISK_E10value_typeET2_T3_PNSL_ISQ_E10value_typeET4_jRbjT5_SW_jjP12ihipStream_tbEUlT_E0_NS1_11comp_targetILNS1_3genE2ELNS1_11target_archE906ELNS1_3gpuE6ELNS1_3repE0EEENS1_60segmented_radix_sort_warp_sort_medium_config_static_selectorELNS0_4arch9wavefront6targetE1EEEvSK_,comdat
.Lfunc_end1441:
	.size	_ZN7rocprim17ROCPRIM_400000_NS6detail17trampoline_kernelINS0_14default_configENS1_36segmented_radix_sort_config_selectorIflEEZNS1_25segmented_radix_sort_implIS3_Lb0EPKfPfPKlPlN2at6native12_GLOBAL__N_18offset_tEEE10hipError_tPvRmT1_PNSt15iterator_traitsISK_E10value_typeET2_T3_PNSL_ISQ_E10value_typeET4_jRbjT5_SW_jjP12ihipStream_tbEUlT_E0_NS1_11comp_targetILNS1_3genE2ELNS1_11target_archE906ELNS1_3gpuE6ELNS1_3repE0EEENS1_60segmented_radix_sort_warp_sort_medium_config_static_selectorELNS0_4arch9wavefront6targetE1EEEvSK_, .Lfunc_end1441-_ZN7rocprim17ROCPRIM_400000_NS6detail17trampoline_kernelINS0_14default_configENS1_36segmented_radix_sort_config_selectorIflEEZNS1_25segmented_radix_sort_implIS3_Lb0EPKfPfPKlPlN2at6native12_GLOBAL__N_18offset_tEEE10hipError_tPvRmT1_PNSt15iterator_traitsISK_E10value_typeET2_T3_PNSL_ISQ_E10value_typeET4_jRbjT5_SW_jjP12ihipStream_tbEUlT_E0_NS1_11comp_targetILNS1_3genE2ELNS1_11target_archE906ELNS1_3gpuE6ELNS1_3repE0EEENS1_60segmented_radix_sort_warp_sort_medium_config_static_selectorELNS0_4arch9wavefront6targetE1EEEvSK_
                                        ; -- End function
	.section	.AMDGPU.csdata,"",@progbits
; Kernel info:
; codeLenInByte = 0
; NumSgprs: 4
; NumVgprs: 0
; NumAgprs: 0
; TotalNumVgprs: 0
; ScratchSize: 0
; MemoryBound: 0
; FloatMode: 240
; IeeeMode: 1
; LDSByteSize: 0 bytes/workgroup (compile time only)
; SGPRBlocks: 0
; VGPRBlocks: 0
; NumSGPRsForWavesPerEU: 4
; NumVGPRsForWavesPerEU: 1
; AccumOffset: 4
; Occupancy: 8
; WaveLimiterHint : 0
; COMPUTE_PGM_RSRC2:SCRATCH_EN: 0
; COMPUTE_PGM_RSRC2:USER_SGPR: 6
; COMPUTE_PGM_RSRC2:TRAP_HANDLER: 0
; COMPUTE_PGM_RSRC2:TGID_X_EN: 1
; COMPUTE_PGM_RSRC2:TGID_Y_EN: 0
; COMPUTE_PGM_RSRC2:TGID_Z_EN: 0
; COMPUTE_PGM_RSRC2:TIDIG_COMP_CNT: 0
; COMPUTE_PGM_RSRC3_GFX90A:ACCUM_OFFSET: 0
; COMPUTE_PGM_RSRC3_GFX90A:TG_SPLIT: 0
	.section	.text._ZN7rocprim17ROCPRIM_400000_NS6detail17trampoline_kernelINS0_14default_configENS1_36segmented_radix_sort_config_selectorIflEEZNS1_25segmented_radix_sort_implIS3_Lb0EPKfPfPKlPlN2at6native12_GLOBAL__N_18offset_tEEE10hipError_tPvRmT1_PNSt15iterator_traitsISK_E10value_typeET2_T3_PNSL_ISQ_E10value_typeET4_jRbjT5_SW_jjP12ihipStream_tbEUlT_E0_NS1_11comp_targetILNS1_3genE10ELNS1_11target_archE1201ELNS1_3gpuE5ELNS1_3repE0EEENS1_60segmented_radix_sort_warp_sort_medium_config_static_selectorELNS0_4arch9wavefront6targetE1EEEvSK_,"axG",@progbits,_ZN7rocprim17ROCPRIM_400000_NS6detail17trampoline_kernelINS0_14default_configENS1_36segmented_radix_sort_config_selectorIflEEZNS1_25segmented_radix_sort_implIS3_Lb0EPKfPfPKlPlN2at6native12_GLOBAL__N_18offset_tEEE10hipError_tPvRmT1_PNSt15iterator_traitsISK_E10value_typeET2_T3_PNSL_ISQ_E10value_typeET4_jRbjT5_SW_jjP12ihipStream_tbEUlT_E0_NS1_11comp_targetILNS1_3genE10ELNS1_11target_archE1201ELNS1_3gpuE5ELNS1_3repE0EEENS1_60segmented_radix_sort_warp_sort_medium_config_static_selectorELNS0_4arch9wavefront6targetE1EEEvSK_,comdat
	.globl	_ZN7rocprim17ROCPRIM_400000_NS6detail17trampoline_kernelINS0_14default_configENS1_36segmented_radix_sort_config_selectorIflEEZNS1_25segmented_radix_sort_implIS3_Lb0EPKfPfPKlPlN2at6native12_GLOBAL__N_18offset_tEEE10hipError_tPvRmT1_PNSt15iterator_traitsISK_E10value_typeET2_T3_PNSL_ISQ_E10value_typeET4_jRbjT5_SW_jjP12ihipStream_tbEUlT_E0_NS1_11comp_targetILNS1_3genE10ELNS1_11target_archE1201ELNS1_3gpuE5ELNS1_3repE0EEENS1_60segmented_radix_sort_warp_sort_medium_config_static_selectorELNS0_4arch9wavefront6targetE1EEEvSK_ ; -- Begin function _ZN7rocprim17ROCPRIM_400000_NS6detail17trampoline_kernelINS0_14default_configENS1_36segmented_radix_sort_config_selectorIflEEZNS1_25segmented_radix_sort_implIS3_Lb0EPKfPfPKlPlN2at6native12_GLOBAL__N_18offset_tEEE10hipError_tPvRmT1_PNSt15iterator_traitsISK_E10value_typeET2_T3_PNSL_ISQ_E10value_typeET4_jRbjT5_SW_jjP12ihipStream_tbEUlT_E0_NS1_11comp_targetILNS1_3genE10ELNS1_11target_archE1201ELNS1_3gpuE5ELNS1_3repE0EEENS1_60segmented_radix_sort_warp_sort_medium_config_static_selectorELNS0_4arch9wavefront6targetE1EEEvSK_
	.p2align	8
	.type	_ZN7rocprim17ROCPRIM_400000_NS6detail17trampoline_kernelINS0_14default_configENS1_36segmented_radix_sort_config_selectorIflEEZNS1_25segmented_radix_sort_implIS3_Lb0EPKfPfPKlPlN2at6native12_GLOBAL__N_18offset_tEEE10hipError_tPvRmT1_PNSt15iterator_traitsISK_E10value_typeET2_T3_PNSL_ISQ_E10value_typeET4_jRbjT5_SW_jjP12ihipStream_tbEUlT_E0_NS1_11comp_targetILNS1_3genE10ELNS1_11target_archE1201ELNS1_3gpuE5ELNS1_3repE0EEENS1_60segmented_radix_sort_warp_sort_medium_config_static_selectorELNS0_4arch9wavefront6targetE1EEEvSK_,@function
_ZN7rocprim17ROCPRIM_400000_NS6detail17trampoline_kernelINS0_14default_configENS1_36segmented_radix_sort_config_selectorIflEEZNS1_25segmented_radix_sort_implIS3_Lb0EPKfPfPKlPlN2at6native12_GLOBAL__N_18offset_tEEE10hipError_tPvRmT1_PNSt15iterator_traitsISK_E10value_typeET2_T3_PNSL_ISQ_E10value_typeET4_jRbjT5_SW_jjP12ihipStream_tbEUlT_E0_NS1_11comp_targetILNS1_3genE10ELNS1_11target_archE1201ELNS1_3gpuE5ELNS1_3repE0EEENS1_60segmented_radix_sort_warp_sort_medium_config_static_selectorELNS0_4arch9wavefront6targetE1EEEvSK_: ; @_ZN7rocprim17ROCPRIM_400000_NS6detail17trampoline_kernelINS0_14default_configENS1_36segmented_radix_sort_config_selectorIflEEZNS1_25segmented_radix_sort_implIS3_Lb0EPKfPfPKlPlN2at6native12_GLOBAL__N_18offset_tEEE10hipError_tPvRmT1_PNSt15iterator_traitsISK_E10value_typeET2_T3_PNSL_ISQ_E10value_typeET4_jRbjT5_SW_jjP12ihipStream_tbEUlT_E0_NS1_11comp_targetILNS1_3genE10ELNS1_11target_archE1201ELNS1_3gpuE5ELNS1_3repE0EEENS1_60segmented_radix_sort_warp_sort_medium_config_static_selectorELNS0_4arch9wavefront6targetE1EEEvSK_
; %bb.0:
	.section	.rodata,"a",@progbits
	.p2align	6, 0x0
	.amdhsa_kernel _ZN7rocprim17ROCPRIM_400000_NS6detail17trampoline_kernelINS0_14default_configENS1_36segmented_radix_sort_config_selectorIflEEZNS1_25segmented_radix_sort_implIS3_Lb0EPKfPfPKlPlN2at6native12_GLOBAL__N_18offset_tEEE10hipError_tPvRmT1_PNSt15iterator_traitsISK_E10value_typeET2_T3_PNSL_ISQ_E10value_typeET4_jRbjT5_SW_jjP12ihipStream_tbEUlT_E0_NS1_11comp_targetILNS1_3genE10ELNS1_11target_archE1201ELNS1_3gpuE5ELNS1_3repE0EEENS1_60segmented_radix_sort_warp_sort_medium_config_static_selectorELNS0_4arch9wavefront6targetE1EEEvSK_
		.amdhsa_group_segment_fixed_size 0
		.amdhsa_private_segment_fixed_size 0
		.amdhsa_kernarg_size 88
		.amdhsa_user_sgpr_count 6
		.amdhsa_user_sgpr_private_segment_buffer 1
		.amdhsa_user_sgpr_dispatch_ptr 0
		.amdhsa_user_sgpr_queue_ptr 0
		.amdhsa_user_sgpr_kernarg_segment_ptr 1
		.amdhsa_user_sgpr_dispatch_id 0
		.amdhsa_user_sgpr_flat_scratch_init 0
		.amdhsa_user_sgpr_kernarg_preload_length 0
		.amdhsa_user_sgpr_kernarg_preload_offset 0
		.amdhsa_user_sgpr_private_segment_size 0
		.amdhsa_uses_dynamic_stack 0
		.amdhsa_system_sgpr_private_segment_wavefront_offset 0
		.amdhsa_system_sgpr_workgroup_id_x 1
		.amdhsa_system_sgpr_workgroup_id_y 0
		.amdhsa_system_sgpr_workgroup_id_z 0
		.amdhsa_system_sgpr_workgroup_info 0
		.amdhsa_system_vgpr_workitem_id 0
		.amdhsa_next_free_vgpr 1
		.amdhsa_next_free_sgpr 0
		.amdhsa_accum_offset 4
		.amdhsa_reserve_vcc 0
		.amdhsa_reserve_flat_scratch 0
		.amdhsa_float_round_mode_32 0
		.amdhsa_float_round_mode_16_64 0
		.amdhsa_float_denorm_mode_32 3
		.amdhsa_float_denorm_mode_16_64 3
		.amdhsa_dx10_clamp 1
		.amdhsa_ieee_mode 1
		.amdhsa_fp16_overflow 0
		.amdhsa_tg_split 0
		.amdhsa_exception_fp_ieee_invalid_op 0
		.amdhsa_exception_fp_denorm_src 0
		.amdhsa_exception_fp_ieee_div_zero 0
		.amdhsa_exception_fp_ieee_overflow 0
		.amdhsa_exception_fp_ieee_underflow 0
		.amdhsa_exception_fp_ieee_inexact 0
		.amdhsa_exception_int_div_zero 0
	.end_amdhsa_kernel
	.section	.text._ZN7rocprim17ROCPRIM_400000_NS6detail17trampoline_kernelINS0_14default_configENS1_36segmented_radix_sort_config_selectorIflEEZNS1_25segmented_radix_sort_implIS3_Lb0EPKfPfPKlPlN2at6native12_GLOBAL__N_18offset_tEEE10hipError_tPvRmT1_PNSt15iterator_traitsISK_E10value_typeET2_T3_PNSL_ISQ_E10value_typeET4_jRbjT5_SW_jjP12ihipStream_tbEUlT_E0_NS1_11comp_targetILNS1_3genE10ELNS1_11target_archE1201ELNS1_3gpuE5ELNS1_3repE0EEENS1_60segmented_radix_sort_warp_sort_medium_config_static_selectorELNS0_4arch9wavefront6targetE1EEEvSK_,"axG",@progbits,_ZN7rocprim17ROCPRIM_400000_NS6detail17trampoline_kernelINS0_14default_configENS1_36segmented_radix_sort_config_selectorIflEEZNS1_25segmented_radix_sort_implIS3_Lb0EPKfPfPKlPlN2at6native12_GLOBAL__N_18offset_tEEE10hipError_tPvRmT1_PNSt15iterator_traitsISK_E10value_typeET2_T3_PNSL_ISQ_E10value_typeET4_jRbjT5_SW_jjP12ihipStream_tbEUlT_E0_NS1_11comp_targetILNS1_3genE10ELNS1_11target_archE1201ELNS1_3gpuE5ELNS1_3repE0EEENS1_60segmented_radix_sort_warp_sort_medium_config_static_selectorELNS0_4arch9wavefront6targetE1EEEvSK_,comdat
.Lfunc_end1442:
	.size	_ZN7rocprim17ROCPRIM_400000_NS6detail17trampoline_kernelINS0_14default_configENS1_36segmented_radix_sort_config_selectorIflEEZNS1_25segmented_radix_sort_implIS3_Lb0EPKfPfPKlPlN2at6native12_GLOBAL__N_18offset_tEEE10hipError_tPvRmT1_PNSt15iterator_traitsISK_E10value_typeET2_T3_PNSL_ISQ_E10value_typeET4_jRbjT5_SW_jjP12ihipStream_tbEUlT_E0_NS1_11comp_targetILNS1_3genE10ELNS1_11target_archE1201ELNS1_3gpuE5ELNS1_3repE0EEENS1_60segmented_radix_sort_warp_sort_medium_config_static_selectorELNS0_4arch9wavefront6targetE1EEEvSK_, .Lfunc_end1442-_ZN7rocprim17ROCPRIM_400000_NS6detail17trampoline_kernelINS0_14default_configENS1_36segmented_radix_sort_config_selectorIflEEZNS1_25segmented_radix_sort_implIS3_Lb0EPKfPfPKlPlN2at6native12_GLOBAL__N_18offset_tEEE10hipError_tPvRmT1_PNSt15iterator_traitsISK_E10value_typeET2_T3_PNSL_ISQ_E10value_typeET4_jRbjT5_SW_jjP12ihipStream_tbEUlT_E0_NS1_11comp_targetILNS1_3genE10ELNS1_11target_archE1201ELNS1_3gpuE5ELNS1_3repE0EEENS1_60segmented_radix_sort_warp_sort_medium_config_static_selectorELNS0_4arch9wavefront6targetE1EEEvSK_
                                        ; -- End function
	.section	.AMDGPU.csdata,"",@progbits
; Kernel info:
; codeLenInByte = 0
; NumSgprs: 4
; NumVgprs: 0
; NumAgprs: 0
; TotalNumVgprs: 0
; ScratchSize: 0
; MemoryBound: 0
; FloatMode: 240
; IeeeMode: 1
; LDSByteSize: 0 bytes/workgroup (compile time only)
; SGPRBlocks: 0
; VGPRBlocks: 0
; NumSGPRsForWavesPerEU: 4
; NumVGPRsForWavesPerEU: 1
; AccumOffset: 4
; Occupancy: 8
; WaveLimiterHint : 0
; COMPUTE_PGM_RSRC2:SCRATCH_EN: 0
; COMPUTE_PGM_RSRC2:USER_SGPR: 6
; COMPUTE_PGM_RSRC2:TRAP_HANDLER: 0
; COMPUTE_PGM_RSRC2:TGID_X_EN: 1
; COMPUTE_PGM_RSRC2:TGID_Y_EN: 0
; COMPUTE_PGM_RSRC2:TGID_Z_EN: 0
; COMPUTE_PGM_RSRC2:TIDIG_COMP_CNT: 0
; COMPUTE_PGM_RSRC3_GFX90A:ACCUM_OFFSET: 0
; COMPUTE_PGM_RSRC3_GFX90A:TG_SPLIT: 0
	.section	.text._ZN7rocprim17ROCPRIM_400000_NS6detail17trampoline_kernelINS0_14default_configENS1_36segmented_radix_sort_config_selectorIflEEZNS1_25segmented_radix_sort_implIS3_Lb0EPKfPfPKlPlN2at6native12_GLOBAL__N_18offset_tEEE10hipError_tPvRmT1_PNSt15iterator_traitsISK_E10value_typeET2_T3_PNSL_ISQ_E10value_typeET4_jRbjT5_SW_jjP12ihipStream_tbEUlT_E0_NS1_11comp_targetILNS1_3genE10ELNS1_11target_archE1200ELNS1_3gpuE4ELNS1_3repE0EEENS1_60segmented_radix_sort_warp_sort_medium_config_static_selectorELNS0_4arch9wavefront6targetE1EEEvSK_,"axG",@progbits,_ZN7rocprim17ROCPRIM_400000_NS6detail17trampoline_kernelINS0_14default_configENS1_36segmented_radix_sort_config_selectorIflEEZNS1_25segmented_radix_sort_implIS3_Lb0EPKfPfPKlPlN2at6native12_GLOBAL__N_18offset_tEEE10hipError_tPvRmT1_PNSt15iterator_traitsISK_E10value_typeET2_T3_PNSL_ISQ_E10value_typeET4_jRbjT5_SW_jjP12ihipStream_tbEUlT_E0_NS1_11comp_targetILNS1_3genE10ELNS1_11target_archE1200ELNS1_3gpuE4ELNS1_3repE0EEENS1_60segmented_radix_sort_warp_sort_medium_config_static_selectorELNS0_4arch9wavefront6targetE1EEEvSK_,comdat
	.globl	_ZN7rocprim17ROCPRIM_400000_NS6detail17trampoline_kernelINS0_14default_configENS1_36segmented_radix_sort_config_selectorIflEEZNS1_25segmented_radix_sort_implIS3_Lb0EPKfPfPKlPlN2at6native12_GLOBAL__N_18offset_tEEE10hipError_tPvRmT1_PNSt15iterator_traitsISK_E10value_typeET2_T3_PNSL_ISQ_E10value_typeET4_jRbjT5_SW_jjP12ihipStream_tbEUlT_E0_NS1_11comp_targetILNS1_3genE10ELNS1_11target_archE1200ELNS1_3gpuE4ELNS1_3repE0EEENS1_60segmented_radix_sort_warp_sort_medium_config_static_selectorELNS0_4arch9wavefront6targetE1EEEvSK_ ; -- Begin function _ZN7rocprim17ROCPRIM_400000_NS6detail17trampoline_kernelINS0_14default_configENS1_36segmented_radix_sort_config_selectorIflEEZNS1_25segmented_radix_sort_implIS3_Lb0EPKfPfPKlPlN2at6native12_GLOBAL__N_18offset_tEEE10hipError_tPvRmT1_PNSt15iterator_traitsISK_E10value_typeET2_T3_PNSL_ISQ_E10value_typeET4_jRbjT5_SW_jjP12ihipStream_tbEUlT_E0_NS1_11comp_targetILNS1_3genE10ELNS1_11target_archE1200ELNS1_3gpuE4ELNS1_3repE0EEENS1_60segmented_radix_sort_warp_sort_medium_config_static_selectorELNS0_4arch9wavefront6targetE1EEEvSK_
	.p2align	8
	.type	_ZN7rocprim17ROCPRIM_400000_NS6detail17trampoline_kernelINS0_14default_configENS1_36segmented_radix_sort_config_selectorIflEEZNS1_25segmented_radix_sort_implIS3_Lb0EPKfPfPKlPlN2at6native12_GLOBAL__N_18offset_tEEE10hipError_tPvRmT1_PNSt15iterator_traitsISK_E10value_typeET2_T3_PNSL_ISQ_E10value_typeET4_jRbjT5_SW_jjP12ihipStream_tbEUlT_E0_NS1_11comp_targetILNS1_3genE10ELNS1_11target_archE1200ELNS1_3gpuE4ELNS1_3repE0EEENS1_60segmented_radix_sort_warp_sort_medium_config_static_selectorELNS0_4arch9wavefront6targetE1EEEvSK_,@function
_ZN7rocprim17ROCPRIM_400000_NS6detail17trampoline_kernelINS0_14default_configENS1_36segmented_radix_sort_config_selectorIflEEZNS1_25segmented_radix_sort_implIS3_Lb0EPKfPfPKlPlN2at6native12_GLOBAL__N_18offset_tEEE10hipError_tPvRmT1_PNSt15iterator_traitsISK_E10value_typeET2_T3_PNSL_ISQ_E10value_typeET4_jRbjT5_SW_jjP12ihipStream_tbEUlT_E0_NS1_11comp_targetILNS1_3genE10ELNS1_11target_archE1200ELNS1_3gpuE4ELNS1_3repE0EEENS1_60segmented_radix_sort_warp_sort_medium_config_static_selectorELNS0_4arch9wavefront6targetE1EEEvSK_: ; @_ZN7rocprim17ROCPRIM_400000_NS6detail17trampoline_kernelINS0_14default_configENS1_36segmented_radix_sort_config_selectorIflEEZNS1_25segmented_radix_sort_implIS3_Lb0EPKfPfPKlPlN2at6native12_GLOBAL__N_18offset_tEEE10hipError_tPvRmT1_PNSt15iterator_traitsISK_E10value_typeET2_T3_PNSL_ISQ_E10value_typeET4_jRbjT5_SW_jjP12ihipStream_tbEUlT_E0_NS1_11comp_targetILNS1_3genE10ELNS1_11target_archE1200ELNS1_3gpuE4ELNS1_3repE0EEENS1_60segmented_radix_sort_warp_sort_medium_config_static_selectorELNS0_4arch9wavefront6targetE1EEEvSK_
; %bb.0:
	.section	.rodata,"a",@progbits
	.p2align	6, 0x0
	.amdhsa_kernel _ZN7rocprim17ROCPRIM_400000_NS6detail17trampoline_kernelINS0_14default_configENS1_36segmented_radix_sort_config_selectorIflEEZNS1_25segmented_radix_sort_implIS3_Lb0EPKfPfPKlPlN2at6native12_GLOBAL__N_18offset_tEEE10hipError_tPvRmT1_PNSt15iterator_traitsISK_E10value_typeET2_T3_PNSL_ISQ_E10value_typeET4_jRbjT5_SW_jjP12ihipStream_tbEUlT_E0_NS1_11comp_targetILNS1_3genE10ELNS1_11target_archE1200ELNS1_3gpuE4ELNS1_3repE0EEENS1_60segmented_radix_sort_warp_sort_medium_config_static_selectorELNS0_4arch9wavefront6targetE1EEEvSK_
		.amdhsa_group_segment_fixed_size 0
		.amdhsa_private_segment_fixed_size 0
		.amdhsa_kernarg_size 88
		.amdhsa_user_sgpr_count 6
		.amdhsa_user_sgpr_private_segment_buffer 1
		.amdhsa_user_sgpr_dispatch_ptr 0
		.amdhsa_user_sgpr_queue_ptr 0
		.amdhsa_user_sgpr_kernarg_segment_ptr 1
		.amdhsa_user_sgpr_dispatch_id 0
		.amdhsa_user_sgpr_flat_scratch_init 0
		.amdhsa_user_sgpr_kernarg_preload_length 0
		.amdhsa_user_sgpr_kernarg_preload_offset 0
		.amdhsa_user_sgpr_private_segment_size 0
		.amdhsa_uses_dynamic_stack 0
		.amdhsa_system_sgpr_private_segment_wavefront_offset 0
		.amdhsa_system_sgpr_workgroup_id_x 1
		.amdhsa_system_sgpr_workgroup_id_y 0
		.amdhsa_system_sgpr_workgroup_id_z 0
		.amdhsa_system_sgpr_workgroup_info 0
		.amdhsa_system_vgpr_workitem_id 0
		.amdhsa_next_free_vgpr 1
		.amdhsa_next_free_sgpr 0
		.amdhsa_accum_offset 4
		.amdhsa_reserve_vcc 0
		.amdhsa_reserve_flat_scratch 0
		.amdhsa_float_round_mode_32 0
		.amdhsa_float_round_mode_16_64 0
		.amdhsa_float_denorm_mode_32 3
		.amdhsa_float_denorm_mode_16_64 3
		.amdhsa_dx10_clamp 1
		.amdhsa_ieee_mode 1
		.amdhsa_fp16_overflow 0
		.amdhsa_tg_split 0
		.amdhsa_exception_fp_ieee_invalid_op 0
		.amdhsa_exception_fp_denorm_src 0
		.amdhsa_exception_fp_ieee_div_zero 0
		.amdhsa_exception_fp_ieee_overflow 0
		.amdhsa_exception_fp_ieee_underflow 0
		.amdhsa_exception_fp_ieee_inexact 0
		.amdhsa_exception_int_div_zero 0
	.end_amdhsa_kernel
	.section	.text._ZN7rocprim17ROCPRIM_400000_NS6detail17trampoline_kernelINS0_14default_configENS1_36segmented_radix_sort_config_selectorIflEEZNS1_25segmented_radix_sort_implIS3_Lb0EPKfPfPKlPlN2at6native12_GLOBAL__N_18offset_tEEE10hipError_tPvRmT1_PNSt15iterator_traitsISK_E10value_typeET2_T3_PNSL_ISQ_E10value_typeET4_jRbjT5_SW_jjP12ihipStream_tbEUlT_E0_NS1_11comp_targetILNS1_3genE10ELNS1_11target_archE1200ELNS1_3gpuE4ELNS1_3repE0EEENS1_60segmented_radix_sort_warp_sort_medium_config_static_selectorELNS0_4arch9wavefront6targetE1EEEvSK_,"axG",@progbits,_ZN7rocprim17ROCPRIM_400000_NS6detail17trampoline_kernelINS0_14default_configENS1_36segmented_radix_sort_config_selectorIflEEZNS1_25segmented_radix_sort_implIS3_Lb0EPKfPfPKlPlN2at6native12_GLOBAL__N_18offset_tEEE10hipError_tPvRmT1_PNSt15iterator_traitsISK_E10value_typeET2_T3_PNSL_ISQ_E10value_typeET4_jRbjT5_SW_jjP12ihipStream_tbEUlT_E0_NS1_11comp_targetILNS1_3genE10ELNS1_11target_archE1200ELNS1_3gpuE4ELNS1_3repE0EEENS1_60segmented_radix_sort_warp_sort_medium_config_static_selectorELNS0_4arch9wavefront6targetE1EEEvSK_,comdat
.Lfunc_end1443:
	.size	_ZN7rocprim17ROCPRIM_400000_NS6detail17trampoline_kernelINS0_14default_configENS1_36segmented_radix_sort_config_selectorIflEEZNS1_25segmented_radix_sort_implIS3_Lb0EPKfPfPKlPlN2at6native12_GLOBAL__N_18offset_tEEE10hipError_tPvRmT1_PNSt15iterator_traitsISK_E10value_typeET2_T3_PNSL_ISQ_E10value_typeET4_jRbjT5_SW_jjP12ihipStream_tbEUlT_E0_NS1_11comp_targetILNS1_3genE10ELNS1_11target_archE1200ELNS1_3gpuE4ELNS1_3repE0EEENS1_60segmented_radix_sort_warp_sort_medium_config_static_selectorELNS0_4arch9wavefront6targetE1EEEvSK_, .Lfunc_end1443-_ZN7rocprim17ROCPRIM_400000_NS6detail17trampoline_kernelINS0_14default_configENS1_36segmented_radix_sort_config_selectorIflEEZNS1_25segmented_radix_sort_implIS3_Lb0EPKfPfPKlPlN2at6native12_GLOBAL__N_18offset_tEEE10hipError_tPvRmT1_PNSt15iterator_traitsISK_E10value_typeET2_T3_PNSL_ISQ_E10value_typeET4_jRbjT5_SW_jjP12ihipStream_tbEUlT_E0_NS1_11comp_targetILNS1_3genE10ELNS1_11target_archE1200ELNS1_3gpuE4ELNS1_3repE0EEENS1_60segmented_radix_sort_warp_sort_medium_config_static_selectorELNS0_4arch9wavefront6targetE1EEEvSK_
                                        ; -- End function
	.section	.AMDGPU.csdata,"",@progbits
; Kernel info:
; codeLenInByte = 0
; NumSgprs: 4
; NumVgprs: 0
; NumAgprs: 0
; TotalNumVgprs: 0
; ScratchSize: 0
; MemoryBound: 0
; FloatMode: 240
; IeeeMode: 1
; LDSByteSize: 0 bytes/workgroup (compile time only)
; SGPRBlocks: 0
; VGPRBlocks: 0
; NumSGPRsForWavesPerEU: 4
; NumVGPRsForWavesPerEU: 1
; AccumOffset: 4
; Occupancy: 8
; WaveLimiterHint : 0
; COMPUTE_PGM_RSRC2:SCRATCH_EN: 0
; COMPUTE_PGM_RSRC2:USER_SGPR: 6
; COMPUTE_PGM_RSRC2:TRAP_HANDLER: 0
; COMPUTE_PGM_RSRC2:TGID_X_EN: 1
; COMPUTE_PGM_RSRC2:TGID_Y_EN: 0
; COMPUTE_PGM_RSRC2:TGID_Z_EN: 0
; COMPUTE_PGM_RSRC2:TIDIG_COMP_CNT: 0
; COMPUTE_PGM_RSRC3_GFX90A:ACCUM_OFFSET: 0
; COMPUTE_PGM_RSRC3_GFX90A:TG_SPLIT: 0
	.section	.text._ZN7rocprim17ROCPRIM_400000_NS6detail17trampoline_kernelINS0_14default_configENS1_36segmented_radix_sort_config_selectorIflEEZNS1_25segmented_radix_sort_implIS3_Lb0EPKfPfPKlPlN2at6native12_GLOBAL__N_18offset_tEEE10hipError_tPvRmT1_PNSt15iterator_traitsISK_E10value_typeET2_T3_PNSL_ISQ_E10value_typeET4_jRbjT5_SW_jjP12ihipStream_tbEUlT_E0_NS1_11comp_targetILNS1_3genE9ELNS1_11target_archE1100ELNS1_3gpuE3ELNS1_3repE0EEENS1_60segmented_radix_sort_warp_sort_medium_config_static_selectorELNS0_4arch9wavefront6targetE1EEEvSK_,"axG",@progbits,_ZN7rocprim17ROCPRIM_400000_NS6detail17trampoline_kernelINS0_14default_configENS1_36segmented_radix_sort_config_selectorIflEEZNS1_25segmented_radix_sort_implIS3_Lb0EPKfPfPKlPlN2at6native12_GLOBAL__N_18offset_tEEE10hipError_tPvRmT1_PNSt15iterator_traitsISK_E10value_typeET2_T3_PNSL_ISQ_E10value_typeET4_jRbjT5_SW_jjP12ihipStream_tbEUlT_E0_NS1_11comp_targetILNS1_3genE9ELNS1_11target_archE1100ELNS1_3gpuE3ELNS1_3repE0EEENS1_60segmented_radix_sort_warp_sort_medium_config_static_selectorELNS0_4arch9wavefront6targetE1EEEvSK_,comdat
	.globl	_ZN7rocprim17ROCPRIM_400000_NS6detail17trampoline_kernelINS0_14default_configENS1_36segmented_radix_sort_config_selectorIflEEZNS1_25segmented_radix_sort_implIS3_Lb0EPKfPfPKlPlN2at6native12_GLOBAL__N_18offset_tEEE10hipError_tPvRmT1_PNSt15iterator_traitsISK_E10value_typeET2_T3_PNSL_ISQ_E10value_typeET4_jRbjT5_SW_jjP12ihipStream_tbEUlT_E0_NS1_11comp_targetILNS1_3genE9ELNS1_11target_archE1100ELNS1_3gpuE3ELNS1_3repE0EEENS1_60segmented_radix_sort_warp_sort_medium_config_static_selectorELNS0_4arch9wavefront6targetE1EEEvSK_ ; -- Begin function _ZN7rocprim17ROCPRIM_400000_NS6detail17trampoline_kernelINS0_14default_configENS1_36segmented_radix_sort_config_selectorIflEEZNS1_25segmented_radix_sort_implIS3_Lb0EPKfPfPKlPlN2at6native12_GLOBAL__N_18offset_tEEE10hipError_tPvRmT1_PNSt15iterator_traitsISK_E10value_typeET2_T3_PNSL_ISQ_E10value_typeET4_jRbjT5_SW_jjP12ihipStream_tbEUlT_E0_NS1_11comp_targetILNS1_3genE9ELNS1_11target_archE1100ELNS1_3gpuE3ELNS1_3repE0EEENS1_60segmented_radix_sort_warp_sort_medium_config_static_selectorELNS0_4arch9wavefront6targetE1EEEvSK_
	.p2align	8
	.type	_ZN7rocprim17ROCPRIM_400000_NS6detail17trampoline_kernelINS0_14default_configENS1_36segmented_radix_sort_config_selectorIflEEZNS1_25segmented_radix_sort_implIS3_Lb0EPKfPfPKlPlN2at6native12_GLOBAL__N_18offset_tEEE10hipError_tPvRmT1_PNSt15iterator_traitsISK_E10value_typeET2_T3_PNSL_ISQ_E10value_typeET4_jRbjT5_SW_jjP12ihipStream_tbEUlT_E0_NS1_11comp_targetILNS1_3genE9ELNS1_11target_archE1100ELNS1_3gpuE3ELNS1_3repE0EEENS1_60segmented_radix_sort_warp_sort_medium_config_static_selectorELNS0_4arch9wavefront6targetE1EEEvSK_,@function
_ZN7rocprim17ROCPRIM_400000_NS6detail17trampoline_kernelINS0_14default_configENS1_36segmented_radix_sort_config_selectorIflEEZNS1_25segmented_radix_sort_implIS3_Lb0EPKfPfPKlPlN2at6native12_GLOBAL__N_18offset_tEEE10hipError_tPvRmT1_PNSt15iterator_traitsISK_E10value_typeET2_T3_PNSL_ISQ_E10value_typeET4_jRbjT5_SW_jjP12ihipStream_tbEUlT_E0_NS1_11comp_targetILNS1_3genE9ELNS1_11target_archE1100ELNS1_3gpuE3ELNS1_3repE0EEENS1_60segmented_radix_sort_warp_sort_medium_config_static_selectorELNS0_4arch9wavefront6targetE1EEEvSK_: ; @_ZN7rocprim17ROCPRIM_400000_NS6detail17trampoline_kernelINS0_14default_configENS1_36segmented_radix_sort_config_selectorIflEEZNS1_25segmented_radix_sort_implIS3_Lb0EPKfPfPKlPlN2at6native12_GLOBAL__N_18offset_tEEE10hipError_tPvRmT1_PNSt15iterator_traitsISK_E10value_typeET2_T3_PNSL_ISQ_E10value_typeET4_jRbjT5_SW_jjP12ihipStream_tbEUlT_E0_NS1_11comp_targetILNS1_3genE9ELNS1_11target_archE1100ELNS1_3gpuE3ELNS1_3repE0EEENS1_60segmented_radix_sort_warp_sort_medium_config_static_selectorELNS0_4arch9wavefront6targetE1EEEvSK_
; %bb.0:
	.section	.rodata,"a",@progbits
	.p2align	6, 0x0
	.amdhsa_kernel _ZN7rocprim17ROCPRIM_400000_NS6detail17trampoline_kernelINS0_14default_configENS1_36segmented_radix_sort_config_selectorIflEEZNS1_25segmented_radix_sort_implIS3_Lb0EPKfPfPKlPlN2at6native12_GLOBAL__N_18offset_tEEE10hipError_tPvRmT1_PNSt15iterator_traitsISK_E10value_typeET2_T3_PNSL_ISQ_E10value_typeET4_jRbjT5_SW_jjP12ihipStream_tbEUlT_E0_NS1_11comp_targetILNS1_3genE9ELNS1_11target_archE1100ELNS1_3gpuE3ELNS1_3repE0EEENS1_60segmented_radix_sort_warp_sort_medium_config_static_selectorELNS0_4arch9wavefront6targetE1EEEvSK_
		.amdhsa_group_segment_fixed_size 0
		.amdhsa_private_segment_fixed_size 0
		.amdhsa_kernarg_size 88
		.amdhsa_user_sgpr_count 6
		.amdhsa_user_sgpr_private_segment_buffer 1
		.amdhsa_user_sgpr_dispatch_ptr 0
		.amdhsa_user_sgpr_queue_ptr 0
		.amdhsa_user_sgpr_kernarg_segment_ptr 1
		.amdhsa_user_sgpr_dispatch_id 0
		.amdhsa_user_sgpr_flat_scratch_init 0
		.amdhsa_user_sgpr_kernarg_preload_length 0
		.amdhsa_user_sgpr_kernarg_preload_offset 0
		.amdhsa_user_sgpr_private_segment_size 0
		.amdhsa_uses_dynamic_stack 0
		.amdhsa_system_sgpr_private_segment_wavefront_offset 0
		.amdhsa_system_sgpr_workgroup_id_x 1
		.amdhsa_system_sgpr_workgroup_id_y 0
		.amdhsa_system_sgpr_workgroup_id_z 0
		.amdhsa_system_sgpr_workgroup_info 0
		.amdhsa_system_vgpr_workitem_id 0
		.amdhsa_next_free_vgpr 1
		.amdhsa_next_free_sgpr 0
		.amdhsa_accum_offset 4
		.amdhsa_reserve_vcc 0
		.amdhsa_reserve_flat_scratch 0
		.amdhsa_float_round_mode_32 0
		.amdhsa_float_round_mode_16_64 0
		.amdhsa_float_denorm_mode_32 3
		.amdhsa_float_denorm_mode_16_64 3
		.amdhsa_dx10_clamp 1
		.amdhsa_ieee_mode 1
		.amdhsa_fp16_overflow 0
		.amdhsa_tg_split 0
		.amdhsa_exception_fp_ieee_invalid_op 0
		.amdhsa_exception_fp_denorm_src 0
		.amdhsa_exception_fp_ieee_div_zero 0
		.amdhsa_exception_fp_ieee_overflow 0
		.amdhsa_exception_fp_ieee_underflow 0
		.amdhsa_exception_fp_ieee_inexact 0
		.amdhsa_exception_int_div_zero 0
	.end_amdhsa_kernel
	.section	.text._ZN7rocprim17ROCPRIM_400000_NS6detail17trampoline_kernelINS0_14default_configENS1_36segmented_radix_sort_config_selectorIflEEZNS1_25segmented_radix_sort_implIS3_Lb0EPKfPfPKlPlN2at6native12_GLOBAL__N_18offset_tEEE10hipError_tPvRmT1_PNSt15iterator_traitsISK_E10value_typeET2_T3_PNSL_ISQ_E10value_typeET4_jRbjT5_SW_jjP12ihipStream_tbEUlT_E0_NS1_11comp_targetILNS1_3genE9ELNS1_11target_archE1100ELNS1_3gpuE3ELNS1_3repE0EEENS1_60segmented_radix_sort_warp_sort_medium_config_static_selectorELNS0_4arch9wavefront6targetE1EEEvSK_,"axG",@progbits,_ZN7rocprim17ROCPRIM_400000_NS6detail17trampoline_kernelINS0_14default_configENS1_36segmented_radix_sort_config_selectorIflEEZNS1_25segmented_radix_sort_implIS3_Lb0EPKfPfPKlPlN2at6native12_GLOBAL__N_18offset_tEEE10hipError_tPvRmT1_PNSt15iterator_traitsISK_E10value_typeET2_T3_PNSL_ISQ_E10value_typeET4_jRbjT5_SW_jjP12ihipStream_tbEUlT_E0_NS1_11comp_targetILNS1_3genE9ELNS1_11target_archE1100ELNS1_3gpuE3ELNS1_3repE0EEENS1_60segmented_radix_sort_warp_sort_medium_config_static_selectorELNS0_4arch9wavefront6targetE1EEEvSK_,comdat
.Lfunc_end1444:
	.size	_ZN7rocprim17ROCPRIM_400000_NS6detail17trampoline_kernelINS0_14default_configENS1_36segmented_radix_sort_config_selectorIflEEZNS1_25segmented_radix_sort_implIS3_Lb0EPKfPfPKlPlN2at6native12_GLOBAL__N_18offset_tEEE10hipError_tPvRmT1_PNSt15iterator_traitsISK_E10value_typeET2_T3_PNSL_ISQ_E10value_typeET4_jRbjT5_SW_jjP12ihipStream_tbEUlT_E0_NS1_11comp_targetILNS1_3genE9ELNS1_11target_archE1100ELNS1_3gpuE3ELNS1_3repE0EEENS1_60segmented_radix_sort_warp_sort_medium_config_static_selectorELNS0_4arch9wavefront6targetE1EEEvSK_, .Lfunc_end1444-_ZN7rocprim17ROCPRIM_400000_NS6detail17trampoline_kernelINS0_14default_configENS1_36segmented_radix_sort_config_selectorIflEEZNS1_25segmented_radix_sort_implIS3_Lb0EPKfPfPKlPlN2at6native12_GLOBAL__N_18offset_tEEE10hipError_tPvRmT1_PNSt15iterator_traitsISK_E10value_typeET2_T3_PNSL_ISQ_E10value_typeET4_jRbjT5_SW_jjP12ihipStream_tbEUlT_E0_NS1_11comp_targetILNS1_3genE9ELNS1_11target_archE1100ELNS1_3gpuE3ELNS1_3repE0EEENS1_60segmented_radix_sort_warp_sort_medium_config_static_selectorELNS0_4arch9wavefront6targetE1EEEvSK_
                                        ; -- End function
	.section	.AMDGPU.csdata,"",@progbits
; Kernel info:
; codeLenInByte = 0
; NumSgprs: 4
; NumVgprs: 0
; NumAgprs: 0
; TotalNumVgprs: 0
; ScratchSize: 0
; MemoryBound: 0
; FloatMode: 240
; IeeeMode: 1
; LDSByteSize: 0 bytes/workgroup (compile time only)
; SGPRBlocks: 0
; VGPRBlocks: 0
; NumSGPRsForWavesPerEU: 4
; NumVGPRsForWavesPerEU: 1
; AccumOffset: 4
; Occupancy: 8
; WaveLimiterHint : 0
; COMPUTE_PGM_RSRC2:SCRATCH_EN: 0
; COMPUTE_PGM_RSRC2:USER_SGPR: 6
; COMPUTE_PGM_RSRC2:TRAP_HANDLER: 0
; COMPUTE_PGM_RSRC2:TGID_X_EN: 1
; COMPUTE_PGM_RSRC2:TGID_Y_EN: 0
; COMPUTE_PGM_RSRC2:TGID_Z_EN: 0
; COMPUTE_PGM_RSRC2:TIDIG_COMP_CNT: 0
; COMPUTE_PGM_RSRC3_GFX90A:ACCUM_OFFSET: 0
; COMPUTE_PGM_RSRC3_GFX90A:TG_SPLIT: 0
	.section	.text._ZN7rocprim17ROCPRIM_400000_NS6detail17trampoline_kernelINS0_14default_configENS1_36segmented_radix_sort_config_selectorIflEEZNS1_25segmented_radix_sort_implIS3_Lb0EPKfPfPKlPlN2at6native12_GLOBAL__N_18offset_tEEE10hipError_tPvRmT1_PNSt15iterator_traitsISK_E10value_typeET2_T3_PNSL_ISQ_E10value_typeET4_jRbjT5_SW_jjP12ihipStream_tbEUlT_E0_NS1_11comp_targetILNS1_3genE8ELNS1_11target_archE1030ELNS1_3gpuE2ELNS1_3repE0EEENS1_60segmented_radix_sort_warp_sort_medium_config_static_selectorELNS0_4arch9wavefront6targetE1EEEvSK_,"axG",@progbits,_ZN7rocprim17ROCPRIM_400000_NS6detail17trampoline_kernelINS0_14default_configENS1_36segmented_radix_sort_config_selectorIflEEZNS1_25segmented_radix_sort_implIS3_Lb0EPKfPfPKlPlN2at6native12_GLOBAL__N_18offset_tEEE10hipError_tPvRmT1_PNSt15iterator_traitsISK_E10value_typeET2_T3_PNSL_ISQ_E10value_typeET4_jRbjT5_SW_jjP12ihipStream_tbEUlT_E0_NS1_11comp_targetILNS1_3genE8ELNS1_11target_archE1030ELNS1_3gpuE2ELNS1_3repE0EEENS1_60segmented_radix_sort_warp_sort_medium_config_static_selectorELNS0_4arch9wavefront6targetE1EEEvSK_,comdat
	.globl	_ZN7rocprim17ROCPRIM_400000_NS6detail17trampoline_kernelINS0_14default_configENS1_36segmented_radix_sort_config_selectorIflEEZNS1_25segmented_radix_sort_implIS3_Lb0EPKfPfPKlPlN2at6native12_GLOBAL__N_18offset_tEEE10hipError_tPvRmT1_PNSt15iterator_traitsISK_E10value_typeET2_T3_PNSL_ISQ_E10value_typeET4_jRbjT5_SW_jjP12ihipStream_tbEUlT_E0_NS1_11comp_targetILNS1_3genE8ELNS1_11target_archE1030ELNS1_3gpuE2ELNS1_3repE0EEENS1_60segmented_radix_sort_warp_sort_medium_config_static_selectorELNS0_4arch9wavefront6targetE1EEEvSK_ ; -- Begin function _ZN7rocprim17ROCPRIM_400000_NS6detail17trampoline_kernelINS0_14default_configENS1_36segmented_radix_sort_config_selectorIflEEZNS1_25segmented_radix_sort_implIS3_Lb0EPKfPfPKlPlN2at6native12_GLOBAL__N_18offset_tEEE10hipError_tPvRmT1_PNSt15iterator_traitsISK_E10value_typeET2_T3_PNSL_ISQ_E10value_typeET4_jRbjT5_SW_jjP12ihipStream_tbEUlT_E0_NS1_11comp_targetILNS1_3genE8ELNS1_11target_archE1030ELNS1_3gpuE2ELNS1_3repE0EEENS1_60segmented_radix_sort_warp_sort_medium_config_static_selectorELNS0_4arch9wavefront6targetE1EEEvSK_
	.p2align	8
	.type	_ZN7rocprim17ROCPRIM_400000_NS6detail17trampoline_kernelINS0_14default_configENS1_36segmented_radix_sort_config_selectorIflEEZNS1_25segmented_radix_sort_implIS3_Lb0EPKfPfPKlPlN2at6native12_GLOBAL__N_18offset_tEEE10hipError_tPvRmT1_PNSt15iterator_traitsISK_E10value_typeET2_T3_PNSL_ISQ_E10value_typeET4_jRbjT5_SW_jjP12ihipStream_tbEUlT_E0_NS1_11comp_targetILNS1_3genE8ELNS1_11target_archE1030ELNS1_3gpuE2ELNS1_3repE0EEENS1_60segmented_radix_sort_warp_sort_medium_config_static_selectorELNS0_4arch9wavefront6targetE1EEEvSK_,@function
_ZN7rocprim17ROCPRIM_400000_NS6detail17trampoline_kernelINS0_14default_configENS1_36segmented_radix_sort_config_selectorIflEEZNS1_25segmented_radix_sort_implIS3_Lb0EPKfPfPKlPlN2at6native12_GLOBAL__N_18offset_tEEE10hipError_tPvRmT1_PNSt15iterator_traitsISK_E10value_typeET2_T3_PNSL_ISQ_E10value_typeET4_jRbjT5_SW_jjP12ihipStream_tbEUlT_E0_NS1_11comp_targetILNS1_3genE8ELNS1_11target_archE1030ELNS1_3gpuE2ELNS1_3repE0EEENS1_60segmented_radix_sort_warp_sort_medium_config_static_selectorELNS0_4arch9wavefront6targetE1EEEvSK_: ; @_ZN7rocprim17ROCPRIM_400000_NS6detail17trampoline_kernelINS0_14default_configENS1_36segmented_radix_sort_config_selectorIflEEZNS1_25segmented_radix_sort_implIS3_Lb0EPKfPfPKlPlN2at6native12_GLOBAL__N_18offset_tEEE10hipError_tPvRmT1_PNSt15iterator_traitsISK_E10value_typeET2_T3_PNSL_ISQ_E10value_typeET4_jRbjT5_SW_jjP12ihipStream_tbEUlT_E0_NS1_11comp_targetILNS1_3genE8ELNS1_11target_archE1030ELNS1_3gpuE2ELNS1_3repE0EEENS1_60segmented_radix_sort_warp_sort_medium_config_static_selectorELNS0_4arch9wavefront6targetE1EEEvSK_
; %bb.0:
	.section	.rodata,"a",@progbits
	.p2align	6, 0x0
	.amdhsa_kernel _ZN7rocprim17ROCPRIM_400000_NS6detail17trampoline_kernelINS0_14default_configENS1_36segmented_radix_sort_config_selectorIflEEZNS1_25segmented_radix_sort_implIS3_Lb0EPKfPfPKlPlN2at6native12_GLOBAL__N_18offset_tEEE10hipError_tPvRmT1_PNSt15iterator_traitsISK_E10value_typeET2_T3_PNSL_ISQ_E10value_typeET4_jRbjT5_SW_jjP12ihipStream_tbEUlT_E0_NS1_11comp_targetILNS1_3genE8ELNS1_11target_archE1030ELNS1_3gpuE2ELNS1_3repE0EEENS1_60segmented_radix_sort_warp_sort_medium_config_static_selectorELNS0_4arch9wavefront6targetE1EEEvSK_
		.amdhsa_group_segment_fixed_size 0
		.amdhsa_private_segment_fixed_size 0
		.amdhsa_kernarg_size 88
		.amdhsa_user_sgpr_count 6
		.amdhsa_user_sgpr_private_segment_buffer 1
		.amdhsa_user_sgpr_dispatch_ptr 0
		.amdhsa_user_sgpr_queue_ptr 0
		.amdhsa_user_sgpr_kernarg_segment_ptr 1
		.amdhsa_user_sgpr_dispatch_id 0
		.amdhsa_user_sgpr_flat_scratch_init 0
		.amdhsa_user_sgpr_kernarg_preload_length 0
		.amdhsa_user_sgpr_kernarg_preload_offset 0
		.amdhsa_user_sgpr_private_segment_size 0
		.amdhsa_uses_dynamic_stack 0
		.amdhsa_system_sgpr_private_segment_wavefront_offset 0
		.amdhsa_system_sgpr_workgroup_id_x 1
		.amdhsa_system_sgpr_workgroup_id_y 0
		.amdhsa_system_sgpr_workgroup_id_z 0
		.amdhsa_system_sgpr_workgroup_info 0
		.amdhsa_system_vgpr_workitem_id 0
		.amdhsa_next_free_vgpr 1
		.amdhsa_next_free_sgpr 0
		.amdhsa_accum_offset 4
		.amdhsa_reserve_vcc 0
		.amdhsa_reserve_flat_scratch 0
		.amdhsa_float_round_mode_32 0
		.amdhsa_float_round_mode_16_64 0
		.amdhsa_float_denorm_mode_32 3
		.amdhsa_float_denorm_mode_16_64 3
		.amdhsa_dx10_clamp 1
		.amdhsa_ieee_mode 1
		.amdhsa_fp16_overflow 0
		.amdhsa_tg_split 0
		.amdhsa_exception_fp_ieee_invalid_op 0
		.amdhsa_exception_fp_denorm_src 0
		.amdhsa_exception_fp_ieee_div_zero 0
		.amdhsa_exception_fp_ieee_overflow 0
		.amdhsa_exception_fp_ieee_underflow 0
		.amdhsa_exception_fp_ieee_inexact 0
		.amdhsa_exception_int_div_zero 0
	.end_amdhsa_kernel
	.section	.text._ZN7rocprim17ROCPRIM_400000_NS6detail17trampoline_kernelINS0_14default_configENS1_36segmented_radix_sort_config_selectorIflEEZNS1_25segmented_radix_sort_implIS3_Lb0EPKfPfPKlPlN2at6native12_GLOBAL__N_18offset_tEEE10hipError_tPvRmT1_PNSt15iterator_traitsISK_E10value_typeET2_T3_PNSL_ISQ_E10value_typeET4_jRbjT5_SW_jjP12ihipStream_tbEUlT_E0_NS1_11comp_targetILNS1_3genE8ELNS1_11target_archE1030ELNS1_3gpuE2ELNS1_3repE0EEENS1_60segmented_radix_sort_warp_sort_medium_config_static_selectorELNS0_4arch9wavefront6targetE1EEEvSK_,"axG",@progbits,_ZN7rocprim17ROCPRIM_400000_NS6detail17trampoline_kernelINS0_14default_configENS1_36segmented_radix_sort_config_selectorIflEEZNS1_25segmented_radix_sort_implIS3_Lb0EPKfPfPKlPlN2at6native12_GLOBAL__N_18offset_tEEE10hipError_tPvRmT1_PNSt15iterator_traitsISK_E10value_typeET2_T3_PNSL_ISQ_E10value_typeET4_jRbjT5_SW_jjP12ihipStream_tbEUlT_E0_NS1_11comp_targetILNS1_3genE8ELNS1_11target_archE1030ELNS1_3gpuE2ELNS1_3repE0EEENS1_60segmented_radix_sort_warp_sort_medium_config_static_selectorELNS0_4arch9wavefront6targetE1EEEvSK_,comdat
.Lfunc_end1445:
	.size	_ZN7rocprim17ROCPRIM_400000_NS6detail17trampoline_kernelINS0_14default_configENS1_36segmented_radix_sort_config_selectorIflEEZNS1_25segmented_radix_sort_implIS3_Lb0EPKfPfPKlPlN2at6native12_GLOBAL__N_18offset_tEEE10hipError_tPvRmT1_PNSt15iterator_traitsISK_E10value_typeET2_T3_PNSL_ISQ_E10value_typeET4_jRbjT5_SW_jjP12ihipStream_tbEUlT_E0_NS1_11comp_targetILNS1_3genE8ELNS1_11target_archE1030ELNS1_3gpuE2ELNS1_3repE0EEENS1_60segmented_radix_sort_warp_sort_medium_config_static_selectorELNS0_4arch9wavefront6targetE1EEEvSK_, .Lfunc_end1445-_ZN7rocprim17ROCPRIM_400000_NS6detail17trampoline_kernelINS0_14default_configENS1_36segmented_radix_sort_config_selectorIflEEZNS1_25segmented_radix_sort_implIS3_Lb0EPKfPfPKlPlN2at6native12_GLOBAL__N_18offset_tEEE10hipError_tPvRmT1_PNSt15iterator_traitsISK_E10value_typeET2_T3_PNSL_ISQ_E10value_typeET4_jRbjT5_SW_jjP12ihipStream_tbEUlT_E0_NS1_11comp_targetILNS1_3genE8ELNS1_11target_archE1030ELNS1_3gpuE2ELNS1_3repE0EEENS1_60segmented_radix_sort_warp_sort_medium_config_static_selectorELNS0_4arch9wavefront6targetE1EEEvSK_
                                        ; -- End function
	.section	.AMDGPU.csdata,"",@progbits
; Kernel info:
; codeLenInByte = 0
; NumSgprs: 4
; NumVgprs: 0
; NumAgprs: 0
; TotalNumVgprs: 0
; ScratchSize: 0
; MemoryBound: 0
; FloatMode: 240
; IeeeMode: 1
; LDSByteSize: 0 bytes/workgroup (compile time only)
; SGPRBlocks: 0
; VGPRBlocks: 0
; NumSGPRsForWavesPerEU: 4
; NumVGPRsForWavesPerEU: 1
; AccumOffset: 4
; Occupancy: 8
; WaveLimiterHint : 0
; COMPUTE_PGM_RSRC2:SCRATCH_EN: 0
; COMPUTE_PGM_RSRC2:USER_SGPR: 6
; COMPUTE_PGM_RSRC2:TRAP_HANDLER: 0
; COMPUTE_PGM_RSRC2:TGID_X_EN: 1
; COMPUTE_PGM_RSRC2:TGID_Y_EN: 0
; COMPUTE_PGM_RSRC2:TGID_Z_EN: 0
; COMPUTE_PGM_RSRC2:TIDIG_COMP_CNT: 0
; COMPUTE_PGM_RSRC3_GFX90A:ACCUM_OFFSET: 0
; COMPUTE_PGM_RSRC3_GFX90A:TG_SPLIT: 0
	.section	.text._ZN7rocprim17ROCPRIM_400000_NS6detail17trampoline_kernelINS0_14default_configENS1_36segmented_radix_sort_config_selectorIflEEZNS1_25segmented_radix_sort_implIS3_Lb0EPKfPfPKlPlN2at6native12_GLOBAL__N_18offset_tEEE10hipError_tPvRmT1_PNSt15iterator_traitsISK_E10value_typeET2_T3_PNSL_ISQ_E10value_typeET4_jRbjT5_SW_jjP12ihipStream_tbEUlT_E1_NS1_11comp_targetILNS1_3genE0ELNS1_11target_archE4294967295ELNS1_3gpuE0ELNS1_3repE0EEENS1_59segmented_radix_sort_warp_sort_small_config_static_selectorELNS0_4arch9wavefront6targetE1EEEvSK_,"axG",@progbits,_ZN7rocprim17ROCPRIM_400000_NS6detail17trampoline_kernelINS0_14default_configENS1_36segmented_radix_sort_config_selectorIflEEZNS1_25segmented_radix_sort_implIS3_Lb0EPKfPfPKlPlN2at6native12_GLOBAL__N_18offset_tEEE10hipError_tPvRmT1_PNSt15iterator_traitsISK_E10value_typeET2_T3_PNSL_ISQ_E10value_typeET4_jRbjT5_SW_jjP12ihipStream_tbEUlT_E1_NS1_11comp_targetILNS1_3genE0ELNS1_11target_archE4294967295ELNS1_3gpuE0ELNS1_3repE0EEENS1_59segmented_radix_sort_warp_sort_small_config_static_selectorELNS0_4arch9wavefront6targetE1EEEvSK_,comdat
	.globl	_ZN7rocprim17ROCPRIM_400000_NS6detail17trampoline_kernelINS0_14default_configENS1_36segmented_radix_sort_config_selectorIflEEZNS1_25segmented_radix_sort_implIS3_Lb0EPKfPfPKlPlN2at6native12_GLOBAL__N_18offset_tEEE10hipError_tPvRmT1_PNSt15iterator_traitsISK_E10value_typeET2_T3_PNSL_ISQ_E10value_typeET4_jRbjT5_SW_jjP12ihipStream_tbEUlT_E1_NS1_11comp_targetILNS1_3genE0ELNS1_11target_archE4294967295ELNS1_3gpuE0ELNS1_3repE0EEENS1_59segmented_radix_sort_warp_sort_small_config_static_selectorELNS0_4arch9wavefront6targetE1EEEvSK_ ; -- Begin function _ZN7rocprim17ROCPRIM_400000_NS6detail17trampoline_kernelINS0_14default_configENS1_36segmented_radix_sort_config_selectorIflEEZNS1_25segmented_radix_sort_implIS3_Lb0EPKfPfPKlPlN2at6native12_GLOBAL__N_18offset_tEEE10hipError_tPvRmT1_PNSt15iterator_traitsISK_E10value_typeET2_T3_PNSL_ISQ_E10value_typeET4_jRbjT5_SW_jjP12ihipStream_tbEUlT_E1_NS1_11comp_targetILNS1_3genE0ELNS1_11target_archE4294967295ELNS1_3gpuE0ELNS1_3repE0EEENS1_59segmented_radix_sort_warp_sort_small_config_static_selectorELNS0_4arch9wavefront6targetE1EEEvSK_
	.p2align	8
	.type	_ZN7rocprim17ROCPRIM_400000_NS6detail17trampoline_kernelINS0_14default_configENS1_36segmented_radix_sort_config_selectorIflEEZNS1_25segmented_radix_sort_implIS3_Lb0EPKfPfPKlPlN2at6native12_GLOBAL__N_18offset_tEEE10hipError_tPvRmT1_PNSt15iterator_traitsISK_E10value_typeET2_T3_PNSL_ISQ_E10value_typeET4_jRbjT5_SW_jjP12ihipStream_tbEUlT_E1_NS1_11comp_targetILNS1_3genE0ELNS1_11target_archE4294967295ELNS1_3gpuE0ELNS1_3repE0EEENS1_59segmented_radix_sort_warp_sort_small_config_static_selectorELNS0_4arch9wavefront6targetE1EEEvSK_,@function
_ZN7rocprim17ROCPRIM_400000_NS6detail17trampoline_kernelINS0_14default_configENS1_36segmented_radix_sort_config_selectorIflEEZNS1_25segmented_radix_sort_implIS3_Lb0EPKfPfPKlPlN2at6native12_GLOBAL__N_18offset_tEEE10hipError_tPvRmT1_PNSt15iterator_traitsISK_E10value_typeET2_T3_PNSL_ISQ_E10value_typeET4_jRbjT5_SW_jjP12ihipStream_tbEUlT_E1_NS1_11comp_targetILNS1_3genE0ELNS1_11target_archE4294967295ELNS1_3gpuE0ELNS1_3repE0EEENS1_59segmented_radix_sort_warp_sort_small_config_static_selectorELNS0_4arch9wavefront6targetE1EEEvSK_: ; @_ZN7rocprim17ROCPRIM_400000_NS6detail17trampoline_kernelINS0_14default_configENS1_36segmented_radix_sort_config_selectorIflEEZNS1_25segmented_radix_sort_implIS3_Lb0EPKfPfPKlPlN2at6native12_GLOBAL__N_18offset_tEEE10hipError_tPvRmT1_PNSt15iterator_traitsISK_E10value_typeET2_T3_PNSL_ISQ_E10value_typeET4_jRbjT5_SW_jjP12ihipStream_tbEUlT_E1_NS1_11comp_targetILNS1_3genE0ELNS1_11target_archE4294967295ELNS1_3gpuE0ELNS1_3repE0EEENS1_59segmented_radix_sort_warp_sort_small_config_static_selectorELNS0_4arch9wavefront6targetE1EEEvSK_
; %bb.0:
	.section	.rodata,"a",@progbits
	.p2align	6, 0x0
	.amdhsa_kernel _ZN7rocprim17ROCPRIM_400000_NS6detail17trampoline_kernelINS0_14default_configENS1_36segmented_radix_sort_config_selectorIflEEZNS1_25segmented_radix_sort_implIS3_Lb0EPKfPfPKlPlN2at6native12_GLOBAL__N_18offset_tEEE10hipError_tPvRmT1_PNSt15iterator_traitsISK_E10value_typeET2_T3_PNSL_ISQ_E10value_typeET4_jRbjT5_SW_jjP12ihipStream_tbEUlT_E1_NS1_11comp_targetILNS1_3genE0ELNS1_11target_archE4294967295ELNS1_3gpuE0ELNS1_3repE0EEENS1_59segmented_radix_sort_warp_sort_small_config_static_selectorELNS0_4arch9wavefront6targetE1EEEvSK_
		.amdhsa_group_segment_fixed_size 0
		.amdhsa_private_segment_fixed_size 0
		.amdhsa_kernarg_size 88
		.amdhsa_user_sgpr_count 6
		.amdhsa_user_sgpr_private_segment_buffer 1
		.amdhsa_user_sgpr_dispatch_ptr 0
		.amdhsa_user_sgpr_queue_ptr 0
		.amdhsa_user_sgpr_kernarg_segment_ptr 1
		.amdhsa_user_sgpr_dispatch_id 0
		.amdhsa_user_sgpr_flat_scratch_init 0
		.amdhsa_user_sgpr_kernarg_preload_length 0
		.amdhsa_user_sgpr_kernarg_preload_offset 0
		.amdhsa_user_sgpr_private_segment_size 0
		.amdhsa_uses_dynamic_stack 0
		.amdhsa_system_sgpr_private_segment_wavefront_offset 0
		.amdhsa_system_sgpr_workgroup_id_x 1
		.amdhsa_system_sgpr_workgroup_id_y 0
		.amdhsa_system_sgpr_workgroup_id_z 0
		.amdhsa_system_sgpr_workgroup_info 0
		.amdhsa_system_vgpr_workitem_id 0
		.amdhsa_next_free_vgpr 1
		.amdhsa_next_free_sgpr 0
		.amdhsa_accum_offset 4
		.amdhsa_reserve_vcc 0
		.amdhsa_reserve_flat_scratch 0
		.amdhsa_float_round_mode_32 0
		.amdhsa_float_round_mode_16_64 0
		.amdhsa_float_denorm_mode_32 3
		.amdhsa_float_denorm_mode_16_64 3
		.amdhsa_dx10_clamp 1
		.amdhsa_ieee_mode 1
		.amdhsa_fp16_overflow 0
		.amdhsa_tg_split 0
		.amdhsa_exception_fp_ieee_invalid_op 0
		.amdhsa_exception_fp_denorm_src 0
		.amdhsa_exception_fp_ieee_div_zero 0
		.amdhsa_exception_fp_ieee_overflow 0
		.amdhsa_exception_fp_ieee_underflow 0
		.amdhsa_exception_fp_ieee_inexact 0
		.amdhsa_exception_int_div_zero 0
	.end_amdhsa_kernel
	.section	.text._ZN7rocprim17ROCPRIM_400000_NS6detail17trampoline_kernelINS0_14default_configENS1_36segmented_radix_sort_config_selectorIflEEZNS1_25segmented_radix_sort_implIS3_Lb0EPKfPfPKlPlN2at6native12_GLOBAL__N_18offset_tEEE10hipError_tPvRmT1_PNSt15iterator_traitsISK_E10value_typeET2_T3_PNSL_ISQ_E10value_typeET4_jRbjT5_SW_jjP12ihipStream_tbEUlT_E1_NS1_11comp_targetILNS1_3genE0ELNS1_11target_archE4294967295ELNS1_3gpuE0ELNS1_3repE0EEENS1_59segmented_radix_sort_warp_sort_small_config_static_selectorELNS0_4arch9wavefront6targetE1EEEvSK_,"axG",@progbits,_ZN7rocprim17ROCPRIM_400000_NS6detail17trampoline_kernelINS0_14default_configENS1_36segmented_radix_sort_config_selectorIflEEZNS1_25segmented_radix_sort_implIS3_Lb0EPKfPfPKlPlN2at6native12_GLOBAL__N_18offset_tEEE10hipError_tPvRmT1_PNSt15iterator_traitsISK_E10value_typeET2_T3_PNSL_ISQ_E10value_typeET4_jRbjT5_SW_jjP12ihipStream_tbEUlT_E1_NS1_11comp_targetILNS1_3genE0ELNS1_11target_archE4294967295ELNS1_3gpuE0ELNS1_3repE0EEENS1_59segmented_radix_sort_warp_sort_small_config_static_selectorELNS0_4arch9wavefront6targetE1EEEvSK_,comdat
.Lfunc_end1446:
	.size	_ZN7rocprim17ROCPRIM_400000_NS6detail17trampoline_kernelINS0_14default_configENS1_36segmented_radix_sort_config_selectorIflEEZNS1_25segmented_radix_sort_implIS3_Lb0EPKfPfPKlPlN2at6native12_GLOBAL__N_18offset_tEEE10hipError_tPvRmT1_PNSt15iterator_traitsISK_E10value_typeET2_T3_PNSL_ISQ_E10value_typeET4_jRbjT5_SW_jjP12ihipStream_tbEUlT_E1_NS1_11comp_targetILNS1_3genE0ELNS1_11target_archE4294967295ELNS1_3gpuE0ELNS1_3repE0EEENS1_59segmented_radix_sort_warp_sort_small_config_static_selectorELNS0_4arch9wavefront6targetE1EEEvSK_, .Lfunc_end1446-_ZN7rocprim17ROCPRIM_400000_NS6detail17trampoline_kernelINS0_14default_configENS1_36segmented_radix_sort_config_selectorIflEEZNS1_25segmented_radix_sort_implIS3_Lb0EPKfPfPKlPlN2at6native12_GLOBAL__N_18offset_tEEE10hipError_tPvRmT1_PNSt15iterator_traitsISK_E10value_typeET2_T3_PNSL_ISQ_E10value_typeET4_jRbjT5_SW_jjP12ihipStream_tbEUlT_E1_NS1_11comp_targetILNS1_3genE0ELNS1_11target_archE4294967295ELNS1_3gpuE0ELNS1_3repE0EEENS1_59segmented_radix_sort_warp_sort_small_config_static_selectorELNS0_4arch9wavefront6targetE1EEEvSK_
                                        ; -- End function
	.section	.AMDGPU.csdata,"",@progbits
; Kernel info:
; codeLenInByte = 0
; NumSgprs: 4
; NumVgprs: 0
; NumAgprs: 0
; TotalNumVgprs: 0
; ScratchSize: 0
; MemoryBound: 0
; FloatMode: 240
; IeeeMode: 1
; LDSByteSize: 0 bytes/workgroup (compile time only)
; SGPRBlocks: 0
; VGPRBlocks: 0
; NumSGPRsForWavesPerEU: 4
; NumVGPRsForWavesPerEU: 1
; AccumOffset: 4
; Occupancy: 8
; WaveLimiterHint : 0
; COMPUTE_PGM_RSRC2:SCRATCH_EN: 0
; COMPUTE_PGM_RSRC2:USER_SGPR: 6
; COMPUTE_PGM_RSRC2:TRAP_HANDLER: 0
; COMPUTE_PGM_RSRC2:TGID_X_EN: 1
; COMPUTE_PGM_RSRC2:TGID_Y_EN: 0
; COMPUTE_PGM_RSRC2:TGID_Z_EN: 0
; COMPUTE_PGM_RSRC2:TIDIG_COMP_CNT: 0
; COMPUTE_PGM_RSRC3_GFX90A:ACCUM_OFFSET: 0
; COMPUTE_PGM_RSRC3_GFX90A:TG_SPLIT: 0
	.section	.text._ZN7rocprim17ROCPRIM_400000_NS6detail17trampoline_kernelINS0_14default_configENS1_36segmented_radix_sort_config_selectorIflEEZNS1_25segmented_radix_sort_implIS3_Lb0EPKfPfPKlPlN2at6native12_GLOBAL__N_18offset_tEEE10hipError_tPvRmT1_PNSt15iterator_traitsISK_E10value_typeET2_T3_PNSL_ISQ_E10value_typeET4_jRbjT5_SW_jjP12ihipStream_tbEUlT_E1_NS1_11comp_targetILNS1_3genE5ELNS1_11target_archE942ELNS1_3gpuE9ELNS1_3repE0EEENS1_59segmented_radix_sort_warp_sort_small_config_static_selectorELNS0_4arch9wavefront6targetE1EEEvSK_,"axG",@progbits,_ZN7rocprim17ROCPRIM_400000_NS6detail17trampoline_kernelINS0_14default_configENS1_36segmented_radix_sort_config_selectorIflEEZNS1_25segmented_radix_sort_implIS3_Lb0EPKfPfPKlPlN2at6native12_GLOBAL__N_18offset_tEEE10hipError_tPvRmT1_PNSt15iterator_traitsISK_E10value_typeET2_T3_PNSL_ISQ_E10value_typeET4_jRbjT5_SW_jjP12ihipStream_tbEUlT_E1_NS1_11comp_targetILNS1_3genE5ELNS1_11target_archE942ELNS1_3gpuE9ELNS1_3repE0EEENS1_59segmented_radix_sort_warp_sort_small_config_static_selectorELNS0_4arch9wavefront6targetE1EEEvSK_,comdat
	.globl	_ZN7rocprim17ROCPRIM_400000_NS6detail17trampoline_kernelINS0_14default_configENS1_36segmented_radix_sort_config_selectorIflEEZNS1_25segmented_radix_sort_implIS3_Lb0EPKfPfPKlPlN2at6native12_GLOBAL__N_18offset_tEEE10hipError_tPvRmT1_PNSt15iterator_traitsISK_E10value_typeET2_T3_PNSL_ISQ_E10value_typeET4_jRbjT5_SW_jjP12ihipStream_tbEUlT_E1_NS1_11comp_targetILNS1_3genE5ELNS1_11target_archE942ELNS1_3gpuE9ELNS1_3repE0EEENS1_59segmented_radix_sort_warp_sort_small_config_static_selectorELNS0_4arch9wavefront6targetE1EEEvSK_ ; -- Begin function _ZN7rocprim17ROCPRIM_400000_NS6detail17trampoline_kernelINS0_14default_configENS1_36segmented_radix_sort_config_selectorIflEEZNS1_25segmented_radix_sort_implIS3_Lb0EPKfPfPKlPlN2at6native12_GLOBAL__N_18offset_tEEE10hipError_tPvRmT1_PNSt15iterator_traitsISK_E10value_typeET2_T3_PNSL_ISQ_E10value_typeET4_jRbjT5_SW_jjP12ihipStream_tbEUlT_E1_NS1_11comp_targetILNS1_3genE5ELNS1_11target_archE942ELNS1_3gpuE9ELNS1_3repE0EEENS1_59segmented_radix_sort_warp_sort_small_config_static_selectorELNS0_4arch9wavefront6targetE1EEEvSK_
	.p2align	8
	.type	_ZN7rocprim17ROCPRIM_400000_NS6detail17trampoline_kernelINS0_14default_configENS1_36segmented_radix_sort_config_selectorIflEEZNS1_25segmented_radix_sort_implIS3_Lb0EPKfPfPKlPlN2at6native12_GLOBAL__N_18offset_tEEE10hipError_tPvRmT1_PNSt15iterator_traitsISK_E10value_typeET2_T3_PNSL_ISQ_E10value_typeET4_jRbjT5_SW_jjP12ihipStream_tbEUlT_E1_NS1_11comp_targetILNS1_3genE5ELNS1_11target_archE942ELNS1_3gpuE9ELNS1_3repE0EEENS1_59segmented_radix_sort_warp_sort_small_config_static_selectorELNS0_4arch9wavefront6targetE1EEEvSK_,@function
_ZN7rocprim17ROCPRIM_400000_NS6detail17trampoline_kernelINS0_14default_configENS1_36segmented_radix_sort_config_selectorIflEEZNS1_25segmented_radix_sort_implIS3_Lb0EPKfPfPKlPlN2at6native12_GLOBAL__N_18offset_tEEE10hipError_tPvRmT1_PNSt15iterator_traitsISK_E10value_typeET2_T3_PNSL_ISQ_E10value_typeET4_jRbjT5_SW_jjP12ihipStream_tbEUlT_E1_NS1_11comp_targetILNS1_3genE5ELNS1_11target_archE942ELNS1_3gpuE9ELNS1_3repE0EEENS1_59segmented_radix_sort_warp_sort_small_config_static_selectorELNS0_4arch9wavefront6targetE1EEEvSK_: ; @_ZN7rocprim17ROCPRIM_400000_NS6detail17trampoline_kernelINS0_14default_configENS1_36segmented_radix_sort_config_selectorIflEEZNS1_25segmented_radix_sort_implIS3_Lb0EPKfPfPKlPlN2at6native12_GLOBAL__N_18offset_tEEE10hipError_tPvRmT1_PNSt15iterator_traitsISK_E10value_typeET2_T3_PNSL_ISQ_E10value_typeET4_jRbjT5_SW_jjP12ihipStream_tbEUlT_E1_NS1_11comp_targetILNS1_3genE5ELNS1_11target_archE942ELNS1_3gpuE9ELNS1_3repE0EEENS1_59segmented_radix_sort_warp_sort_small_config_static_selectorELNS0_4arch9wavefront6targetE1EEEvSK_
; %bb.0:
	.section	.rodata,"a",@progbits
	.p2align	6, 0x0
	.amdhsa_kernel _ZN7rocprim17ROCPRIM_400000_NS6detail17trampoline_kernelINS0_14default_configENS1_36segmented_radix_sort_config_selectorIflEEZNS1_25segmented_radix_sort_implIS3_Lb0EPKfPfPKlPlN2at6native12_GLOBAL__N_18offset_tEEE10hipError_tPvRmT1_PNSt15iterator_traitsISK_E10value_typeET2_T3_PNSL_ISQ_E10value_typeET4_jRbjT5_SW_jjP12ihipStream_tbEUlT_E1_NS1_11comp_targetILNS1_3genE5ELNS1_11target_archE942ELNS1_3gpuE9ELNS1_3repE0EEENS1_59segmented_radix_sort_warp_sort_small_config_static_selectorELNS0_4arch9wavefront6targetE1EEEvSK_
		.amdhsa_group_segment_fixed_size 0
		.amdhsa_private_segment_fixed_size 0
		.amdhsa_kernarg_size 88
		.amdhsa_user_sgpr_count 6
		.amdhsa_user_sgpr_private_segment_buffer 1
		.amdhsa_user_sgpr_dispatch_ptr 0
		.amdhsa_user_sgpr_queue_ptr 0
		.amdhsa_user_sgpr_kernarg_segment_ptr 1
		.amdhsa_user_sgpr_dispatch_id 0
		.amdhsa_user_sgpr_flat_scratch_init 0
		.amdhsa_user_sgpr_kernarg_preload_length 0
		.amdhsa_user_sgpr_kernarg_preload_offset 0
		.amdhsa_user_sgpr_private_segment_size 0
		.amdhsa_uses_dynamic_stack 0
		.amdhsa_system_sgpr_private_segment_wavefront_offset 0
		.amdhsa_system_sgpr_workgroup_id_x 1
		.amdhsa_system_sgpr_workgroup_id_y 0
		.amdhsa_system_sgpr_workgroup_id_z 0
		.amdhsa_system_sgpr_workgroup_info 0
		.amdhsa_system_vgpr_workitem_id 0
		.amdhsa_next_free_vgpr 1
		.amdhsa_next_free_sgpr 0
		.amdhsa_accum_offset 4
		.amdhsa_reserve_vcc 0
		.amdhsa_reserve_flat_scratch 0
		.amdhsa_float_round_mode_32 0
		.amdhsa_float_round_mode_16_64 0
		.amdhsa_float_denorm_mode_32 3
		.amdhsa_float_denorm_mode_16_64 3
		.amdhsa_dx10_clamp 1
		.amdhsa_ieee_mode 1
		.amdhsa_fp16_overflow 0
		.amdhsa_tg_split 0
		.amdhsa_exception_fp_ieee_invalid_op 0
		.amdhsa_exception_fp_denorm_src 0
		.amdhsa_exception_fp_ieee_div_zero 0
		.amdhsa_exception_fp_ieee_overflow 0
		.amdhsa_exception_fp_ieee_underflow 0
		.amdhsa_exception_fp_ieee_inexact 0
		.amdhsa_exception_int_div_zero 0
	.end_amdhsa_kernel
	.section	.text._ZN7rocprim17ROCPRIM_400000_NS6detail17trampoline_kernelINS0_14default_configENS1_36segmented_radix_sort_config_selectorIflEEZNS1_25segmented_radix_sort_implIS3_Lb0EPKfPfPKlPlN2at6native12_GLOBAL__N_18offset_tEEE10hipError_tPvRmT1_PNSt15iterator_traitsISK_E10value_typeET2_T3_PNSL_ISQ_E10value_typeET4_jRbjT5_SW_jjP12ihipStream_tbEUlT_E1_NS1_11comp_targetILNS1_3genE5ELNS1_11target_archE942ELNS1_3gpuE9ELNS1_3repE0EEENS1_59segmented_radix_sort_warp_sort_small_config_static_selectorELNS0_4arch9wavefront6targetE1EEEvSK_,"axG",@progbits,_ZN7rocprim17ROCPRIM_400000_NS6detail17trampoline_kernelINS0_14default_configENS1_36segmented_radix_sort_config_selectorIflEEZNS1_25segmented_radix_sort_implIS3_Lb0EPKfPfPKlPlN2at6native12_GLOBAL__N_18offset_tEEE10hipError_tPvRmT1_PNSt15iterator_traitsISK_E10value_typeET2_T3_PNSL_ISQ_E10value_typeET4_jRbjT5_SW_jjP12ihipStream_tbEUlT_E1_NS1_11comp_targetILNS1_3genE5ELNS1_11target_archE942ELNS1_3gpuE9ELNS1_3repE0EEENS1_59segmented_radix_sort_warp_sort_small_config_static_selectorELNS0_4arch9wavefront6targetE1EEEvSK_,comdat
.Lfunc_end1447:
	.size	_ZN7rocprim17ROCPRIM_400000_NS6detail17trampoline_kernelINS0_14default_configENS1_36segmented_radix_sort_config_selectorIflEEZNS1_25segmented_radix_sort_implIS3_Lb0EPKfPfPKlPlN2at6native12_GLOBAL__N_18offset_tEEE10hipError_tPvRmT1_PNSt15iterator_traitsISK_E10value_typeET2_T3_PNSL_ISQ_E10value_typeET4_jRbjT5_SW_jjP12ihipStream_tbEUlT_E1_NS1_11comp_targetILNS1_3genE5ELNS1_11target_archE942ELNS1_3gpuE9ELNS1_3repE0EEENS1_59segmented_radix_sort_warp_sort_small_config_static_selectorELNS0_4arch9wavefront6targetE1EEEvSK_, .Lfunc_end1447-_ZN7rocprim17ROCPRIM_400000_NS6detail17trampoline_kernelINS0_14default_configENS1_36segmented_radix_sort_config_selectorIflEEZNS1_25segmented_radix_sort_implIS3_Lb0EPKfPfPKlPlN2at6native12_GLOBAL__N_18offset_tEEE10hipError_tPvRmT1_PNSt15iterator_traitsISK_E10value_typeET2_T3_PNSL_ISQ_E10value_typeET4_jRbjT5_SW_jjP12ihipStream_tbEUlT_E1_NS1_11comp_targetILNS1_3genE5ELNS1_11target_archE942ELNS1_3gpuE9ELNS1_3repE0EEENS1_59segmented_radix_sort_warp_sort_small_config_static_selectorELNS0_4arch9wavefront6targetE1EEEvSK_
                                        ; -- End function
	.section	.AMDGPU.csdata,"",@progbits
; Kernel info:
; codeLenInByte = 0
; NumSgprs: 4
; NumVgprs: 0
; NumAgprs: 0
; TotalNumVgprs: 0
; ScratchSize: 0
; MemoryBound: 0
; FloatMode: 240
; IeeeMode: 1
; LDSByteSize: 0 bytes/workgroup (compile time only)
; SGPRBlocks: 0
; VGPRBlocks: 0
; NumSGPRsForWavesPerEU: 4
; NumVGPRsForWavesPerEU: 1
; AccumOffset: 4
; Occupancy: 8
; WaveLimiterHint : 0
; COMPUTE_PGM_RSRC2:SCRATCH_EN: 0
; COMPUTE_PGM_RSRC2:USER_SGPR: 6
; COMPUTE_PGM_RSRC2:TRAP_HANDLER: 0
; COMPUTE_PGM_RSRC2:TGID_X_EN: 1
; COMPUTE_PGM_RSRC2:TGID_Y_EN: 0
; COMPUTE_PGM_RSRC2:TGID_Z_EN: 0
; COMPUTE_PGM_RSRC2:TIDIG_COMP_CNT: 0
; COMPUTE_PGM_RSRC3_GFX90A:ACCUM_OFFSET: 0
; COMPUTE_PGM_RSRC3_GFX90A:TG_SPLIT: 0
	.text
	.p2align	2                               ; -- Begin function _ZN7rocprim17ROCPRIM_400000_NS6detail26segmented_warp_sort_helperINS1_20WarpSortHelperConfigILj8ELj4ELj256EEEflLi256ELb0EvE4sortIPKfPfPKlPlEEvT_S9_T0_T1_SC_T2_bjjjjRNS5_12storage_typeE
	.type	_ZN7rocprim17ROCPRIM_400000_NS6detail26segmented_warp_sort_helperINS1_20WarpSortHelperConfigILj8ELj4ELj256EEEflLi256ELb0EvE4sortIPKfPfPKlPlEEvT_S9_T0_T1_SC_T2_bjjjjRNS5_12storage_typeE,@function
_ZN7rocprim17ROCPRIM_400000_NS6detail26segmented_warp_sort_helperINS1_20WarpSortHelperConfigILj8ELj4ELj256EEEflLi256ELb0EvE4sortIPKfPfPKlPlEEvT_S9_T0_T1_SC_T2_bjjjjRNS5_12storage_typeE: ; @_ZN7rocprim17ROCPRIM_400000_NS6detail26segmented_warp_sort_helperINS1_20WarpSortHelperConfigILj8ELj4ELj256EEEflLi256ELb0EvE4sortIPKfPfPKlPlEEvT_S9_T0_T1_SC_T2_bjjjjRNS5_12storage_typeE
; %bb.0:
	s_waitcnt vmcnt(0) expcnt(0) lgkmcnt(0)
	s_or_saveexec_b64 s[4:5], -1
	buffer_store_dword v40, off, s[0:3], s32 ; 4-byte Folded Spill
	s_mov_b64 exec, s[4:5]
	v_writelane_b32 v40, s30, 0
	v_writelane_b32 v40, s31, 1
	v_and_b32_e32 v12, 1, v12
	v_cmp_eq_u32_e32 vcc, 1, v12
	v_mbcnt_lo_u32_b32 v12, -1, 0
	v_mov_b32_e32 v84, v13
	v_mov_b32_e32 v85, 0
	v_mbcnt_hi_u32_b32 v12, -1, v12
	v_lshlrev_b64 v[86:87], 2, v[84:85]
	v_lshlrev_b32_e32 v98, 2, v12
	s_xor_b64 s[6:7], vcc, -1
	v_add_co_u32_e32 v0, vcc, v0, v86
	v_and_b32_e32 v96, 28, v98
	v_addc_co_u32_e32 v1, vcc, v1, v87, vcc
	v_lshlrev_b32_e32 v97, 2, v96
	v_sub_u32_e32 v13, v14, v84
	v_add_co_u32_e32 v0, vcc, v0, v97
	v_addc_co_u32_e32 v1, vcc, 0, v1, vcc
	v_cmp_lt_u32_e64 s[4:5], v96, v13
	s_mov_b64 s[16:17], 0
                                        ; implicit-def: $vgpr18_vgpr19_vgpr20_vgpr21_vgpr22_vgpr23_vgpr24_vgpr25
	s_and_saveexec_b64 s[10:11], s[6:7]
	s_xor_b64 s[18:19], exec, s[10:11]
	s_cbranch_execnz .LBB1448_5
; %bb.1:
	s_andn2_saveexec_b64 s[18:19], s[18:19]
	s_cbranch_execnz .LBB1448_112
.LBB1448_2:
	s_or_b64 exec, exec, s[18:19]
	s_and_saveexec_b64 s[4:5], s[16:17]
	s_cbranch_execz .LBB1448_4
.LBB1448_3:
	v_lshlrev_b64 v[0:1], 3, v[84:85]
	v_add_co_u32_e32 v0, vcc, v8, v0
	v_addc_co_u32_e32 v1, vcc, v9, v1, vcc
	v_lshlrev_b32_e32 v2, 3, v96
	v_add_co_u32_e32 v0, vcc, v0, v2
	v_addc_co_u32_e32 v1, vcc, 0, v1, vcc
	s_waitcnt vmcnt(0)
	flat_store_dwordx2 v[0:1], v[24:25] offset:24
.LBB1448_4:
	s_or_b64 exec, exec, s[4:5]
	v_readlane_b32 s30, v40, 0
	v_readlane_b32 s31, v40, 1
	s_or_saveexec_b64 s[4:5], -1
	buffer_load_dword v40, off, s[0:3], s32 ; 4-byte Folded Reload
	s_mov_b64 exec, s[4:5]
	s_waitcnt vmcnt(0) lgkmcnt(0)
	s_setpc_b64 s[30:31]
.LBB1448_5:
	v_bfrev_b32_e32 v14, -2
	v_bfrev_b32_e32 v10, -2
	s_and_saveexec_b64 s[6:7], s[4:5]
	s_cbranch_execz .LBB1448_7
; %bb.6:
	flat_load_dword v10, v[0:1]
.LBB1448_7:
	s_or_b64 exec, exec, s[6:7]
	v_or_b32_e32 v4, 1, v96
	v_cmp_lt_u32_e64 s[6:7], v4, v13
	s_and_saveexec_b64 s[10:11], s[6:7]
	s_cbranch_execz .LBB1448_9
; %bb.8:
	flat_load_dword v14, v[0:1] offset:4
.LBB1448_9:
	s_or_b64 exec, exec, s[10:11]
	v_or_b32_e32 v4, 2, v96
	v_cmp_lt_u32_e64 s[10:11], v4, v13
	v_bfrev_b32_e32 v17, -2
	v_bfrev_b32_e32 v26, -2
	s_and_saveexec_b64 s[14:15], s[10:11]
	s_cbranch_execz .LBB1448_11
; %bb.10:
	flat_load_dword v26, v[0:1] offset:8
.LBB1448_11:
	s_or_b64 exec, exec, s[14:15]
	v_or_b32_e32 v4, 3, v96
	v_cmp_lt_u32_e64 s[14:15], v4, v13
	s_and_saveexec_b64 s[16:17], s[14:15]
	s_cbranch_execz .LBB1448_13
; %bb.12:
	flat_load_dword v17, v[0:1] offset:12
.LBB1448_13:
	s_or_b64 exec, exec, s[16:17]
	v_lshlrev_b64 v[80:81], 3, v[84:85]
	v_add_co_u32_e32 v0, vcc, v6, v80
	v_addc_co_u32_e32 v1, vcc, v7, v81, vcc
	v_lshlrev_b32_e32 v82, 3, v96
	v_add_co_u32_e32 v0, vcc, v0, v82
	v_addc_co_u32_e32 v1, vcc, 0, v1, vcc
	; wave barrier
                                        ; implicit-def: $vgpr18_vgpr19_vgpr20_vgpr21_vgpr22_vgpr23_vgpr24_vgpr25
	s_and_saveexec_b64 s[16:17], s[4:5]
	s_cbranch_execnz .LBB1448_219
; %bb.14:
	s_or_b64 exec, exec, s[16:17]
	s_and_saveexec_b64 s[16:17], s[6:7]
	s_cbranch_execnz .LBB1448_220
.LBB1448_15:
	s_or_b64 exec, exec, s[16:17]
	s_and_saveexec_b64 s[16:17], s[10:11]
	s_cbranch_execnz .LBB1448_221
.LBB1448_16:
	s_or_b64 exec, exec, s[16:17]
	s_and_saveexec_b64 s[16:17], s[14:15]
	s_cbranch_execz .LBB1448_18
.LBB1448_17:
	flat_load_dwordx2 v[24:25], v[0:1] offset:24
.LBB1448_18:
	s_or_b64 exec, exec, s[16:17]
	; wave barrier
	s_load_dwordx2 s[16:17], s[8:9], 0x0
	v_mov_b32_e32 v0, 0
	v_bfe_u32 v5, v31, 20, 10
	v_and_b32_e32 v6, 0x3ff, v31
	s_waitcnt vmcnt(0) lgkmcnt(0)
	v_mov_b32_e32 v27, v14
	s_cmp_lt_u32 s12, s16
	s_cselect_b32 s20, 12, 18
	s_cmp_lt_u32 s13, s17
	s_cselect_b32 s16, 14, 20
	s_add_u32 s16, s8, s16
	s_addc_u32 s17, s9, 0
	s_add_u32 s20, s8, s20
	s_addc_u32 s21, s9, 0
	global_load_ushort v1, v0, s[16:17]
	global_load_ushort v4, v0, s[20:21]
	v_bfe_u32 v0, v31, 10, 10
	s_movk_i32 s16, 0x400
	v_pk_mov_b32 v[12:13], v[26:27], v[26:27] op_sel:[0,1]
	s_waitcnt vmcnt(1)
	v_mad_u32_u24 v0, v5, v1, v0
	s_waitcnt vmcnt(0)
	v_mul_lo_u32 v0, v0, v4
	v_add_lshl_u32 v6, v0, v6, 2
	v_cmp_gt_u32_e32 vcc, s16, v6
	s_and_saveexec_b64 s[20:21], vcc
	s_cbranch_execz .LBB1448_30
; %bb.19:
	v_mov_b32_e32 v11, v14
	v_pk_add_f32 v[0:1], v[10:11], 0 op_sel_hi:[1,0]
	v_ashrrev_i32_e32 v4, 31, v1
	v_ashrrev_i32_e32 v5, 31, v0
	v_or_b32_e32 v5, 0x80000000, v5
	v_or_b32_e32 v4, 0x80000000, v4
	v_xor_b32_e32 v1, v4, v1
	v_xor_b32_e32 v0, v5, v0
	v_cmp_gt_u32_e32 vcc, v0, v1
	v_mov_b32_e32 v27, v17
	v_cndmask_b32_e32 v5, v21, v19, vcc
	v_cndmask_b32_e32 v4, v20, v18, vcc
	;; [unrolled: 1-line block ×4, first 2 shown]
	v_pk_add_f32 v[18:19], v[26:27], 0 op_sel_hi:[1,0]
	v_ashrrev_i32_e32 v7, 31, v18
	v_ashrrev_i32_e32 v11, 31, v19
	v_or_b32_e32 v11, 0x80000000, v11
	v_or_b32_e32 v7, 0x80000000, v7
	v_xor_b32_e32 v13, v7, v18
	v_xor_b32_e32 v11, v11, v19
	v_cmp_gt_u32_e64 s[16:17], v13, v11
	v_mov_b32_e32 v7, v26
	s_and_saveexec_b64 s[22:23], s[16:17]
; %bb.20:
	v_pk_mov_b32 v[18:19], v[22:23], v[22:23] op_sel:[0,1]
	v_mov_b32_e32 v7, v17
	v_mov_b32_e32 v17, v26
	;; [unrolled: 1-line block ×3, first 2 shown]
	v_pk_mov_b32 v[22:23], v[24:25], v[24:25] op_sel:[0,1]
	v_pk_mov_b32 v[24:25], v[18:19], v[18:19] op_sel:[0,1]
; %bb.21:
	s_or_b64 exec, exec, s[22:23]
	v_cndmask_b32_e32 v12, v14, v10, vcc
	v_add_f32_e32 v11, 0, v12
	v_ashrrev_i32_e32 v18, 31, v11
	v_or_b32_e32 v18, 0x80000000, v18
	v_xor_b32_e32 v11, v18, v11
	v_cmp_le_u32_e64 s[16:17], v11, v13
                                        ; implicit-def: $vgpr83
	s_and_saveexec_b64 s[22:23], s[16:17]
	s_xor_b64 s[16:17], exec, s[22:23]
                                        ; implicit-def: $vgpr32_vgpr33_vgpr34_vgpr35_vgpr36_vgpr37_vgpr38_vgpr39
                                        ; implicit-def: $vgpr48_vgpr49_vgpr50_vgpr51_vgpr52_vgpr53_vgpr54_vgpr55
                                        ; implicit-def: $vgpr26_vgpr27_vgpr28_vgpr29_vgpr30_vgpr31_vgpr32_vgpr33
                                        ; implicit-def: $vgpr64_vgpr65_vgpr66_vgpr67_vgpr68_vgpr69_vgpr70_vgpr71
; %bb.22:
	v_add_f32_e32 v13, 0, v7
	v_ashrrev_i32_e32 v18, 31, v13
	v_or_b32_e32 v18, 0x80000000, v18
	v_mov_b32_e32 v28, v4
	v_mov_b32_e32 v35, v5
	;; [unrolled: 1-line block ×6, first 2 shown]
	v_xor_b32_e32 v83, v18, v13
                                        ; implicit-def: $vgpr22_vgpr23
                                        ; implicit-def: $vgpr13
; %bb.23:
	s_or_saveexec_b64 s[16:17], s[16:17]
	v_mov_b32_e32 v29, v12
	s_xor_b64 exec, exec, s[16:17]
; %bb.24:
	v_mov_b32_e32 v28, v22
	v_mov_b32_e32 v35, v23
	v_mov_b32_e32 v54, v24
	v_mov_b32_e32 v71, v25
	v_mov_b32_e32 v83, v11
	v_mov_b32_e32 v29, v7
	v_mov_b32_e32 v7, v12
	v_mov_b32_e32 v11, v13
; %bb.25:
	s_or_b64 exec, exec, s[16:17]
	v_cndmask_b32_e32 v10, v10, v14, vcc
	v_add_f32_e32 v12, 0, v10
	v_ashrrev_i32_e32 v13, 31, v12
	v_or_b32_e32 v13, 0x80000000, v13
	v_xor_b32_e32 v12, v13, v12
	v_cmp_gt_u32_e32 vcc, v12, v11
	v_cndmask_b32_e32 v20, v28, v0, vcc
	v_cndmask_b32_e32 v18, v0, v28, vcc
	v_add_f32_e32 v0, 0, v17
	v_cndmask_b32_e32 v21, v35, v1, vcc
	v_cndmask_b32_e32 v19, v1, v35, vcc
	v_ashrrev_i32_e32 v1, 31, v0
	v_or_b32_e32 v1, 0x80000000, v1
	v_xor_b32_e32 v0, v1, v0
	v_mov_b32_e32 v22, v4
	v_mov_b32_e32 v23, v5
	;; [unrolled: 1-line block ×4, first 2 shown]
	v_cmp_gt_u32_e64 s[16:17], v83, v0
	v_mov_b32_e32 v26, v7
	s_and_saveexec_b64 s[22:23], s[16:17]
	s_cbranch_execz .LBB1448_27
; %bb.26:
	v_mov_b32_e32 v30, v18
	v_mov_b32_e32 v31, v19
	;; [unrolled: 1-line block ×8, first 2 shown]
	v_pk_mov_b32 v[18:19], v[30:31], v[30:31] op_sel:[0,1]
	v_mov_b32_e32 v26, v17
	v_mov_b32_e32 v17, v7
	v_pk_mov_b32 v[20:21], v[32:33], v[32:33] op_sel:[0,1]
	v_pk_mov_b32 v[22:23], v[34:35], v[34:35] op_sel:[0,1]
	;; [unrolled: 1-line block ×3, first 2 shown]
	v_mov_b32_e32 v83, v0
.LBB1448_27:
	s_or_b64 exec, exec, s[22:23]
	v_cndmask_b32_e32 v27, v29, v10, vcc
	v_add_f32_e32 v0, 0, v27
	v_ashrrev_i32_e32 v1, 31, v0
	v_or_b32_e32 v1, 0x80000000, v1
	v_xor_b32_e32 v0, v1, v0
	v_cmp_gt_u32_e64 s[16:17], v0, v83
	v_mov_b32_e32 v14, v27
	v_pk_mov_b32 v[12:13], v[26:27], v[26:27] op_sel:[0,1]
	s_and_saveexec_b64 s[22:23], s[16:17]
	s_cbranch_execz .LBB1448_29
; %bb.28:
	v_mov_b32_e32 v30, v18
	v_mov_b32_e32 v31, v19
	;; [unrolled: 1-line block ×8, first 2 shown]
	v_pk_mov_b32 v[18:19], v[30:31], v[30:31] op_sel:[0,1]
	v_mov_b32_e32 v12, v27
	v_mov_b32_e32 v13, v26
	;; [unrolled: 1-line block ×4, first 2 shown]
	v_pk_mov_b32 v[20:21], v[32:33], v[32:33] op_sel:[0,1]
	v_pk_mov_b32 v[22:23], v[34:35], v[34:35] op_sel:[0,1]
	;; [unrolled: 1-line block ×3, first 2 shown]
.LBB1448_29:
	s_or_b64 exec, exec, s[22:23]
	v_cndmask_b32_e32 v10, v10, v29, vcc
.LBB1448_30:
	s_or_b64 exec, exec, s[20:21]
	v_and_b32_e32 v6, 0xffffff00, v6
	v_mov_b32_e32 v7, 0
	v_lshlrev_b64 v[0:1], 2, v[6:7]
	v_add_co_u32_e32 v28, vcc, v15, v0
	v_addc_co_u32_e32 v29, vcc, v16, v1, vcc
	v_lshlrev_b64 v[0:1], 3, v[6:7]
	v_add_co_u32_e32 v0, vcc, v15, v0
	v_addc_co_u32_e32 v1, vcc, v16, v1, vcc
	v_add_co_u32_e32 v15, vcc, 0x1000, v0
	v_addc_co_u32_e32 v27, vcc, 0, v1, vcc
	v_lshlrev_b32_e32 v0, 2, v98
	s_movk_i32 s16, 0x400
	v_add_co_u32_e32 v4, vcc, v28, v0
	v_sub_u32_e64 v30, s16, v6 clamp
	v_addc_co_u32_e32 v5, vcc, 0, v29, vcc
	v_lshlrev_b32_e32 v0, 3, v98
	v_or_b32_e32 v6, 4, v98
	v_add_co_u32_e32 v0, vcc, v15, v0
	v_min_u32_e32 v31, v30, v6
	v_addc_co_u32_e32 v1, vcc, 0, v27, vcc
	v_mov_b32_e32 v11, v13
	v_mov_b32_e32 v13, v17
	v_add_u32_e32 v6, 4, v31
	flat_store_dwordx4 v[0:1], v[18:21]
	flat_store_dwordx4 v[4:5], v[10:13]
	flat_store_dwordx4 v[0:1], v[22:25] offset:16
	v_and_b32_e32 v11, 0x1f8, v98
	v_min_u32_e32 v32, v30, v6
	v_and_b32_e32 v6, 4, v98
	v_min_u32_e32 v13, v30, v6
	v_sub_u32_e32 v6, v31, v11
	v_sub_u32_e32 v12, v32, v31
	v_sub_u32_e64 v16, v13, v12 clamp
	v_min_u32_e32 v12, v13, v6
	v_cmp_lt_u32_e32 vcc, v16, v12
	; wave barrier
	s_and_saveexec_b64 s[16:17], vcc
	s_cbranch_execz .LBB1448_34
; %bb.31:
	v_lshlrev_b32_e32 v6, 2, v11
	v_add_co_u32_e32 v33, vcc, v28, v6
	v_addc_co_u32_e32 v34, vcc, 0, v29, vcc
	v_lshlrev_b32_e32 v6, 2, v31
	v_add_co_u32_e32 v35, vcc, v28, v6
	v_addc_co_u32_e32 v36, vcc, 0, v29, vcc
	s_mov_b64 s[20:21], 0
.LBB1448_32:                            ; =>This Inner Loop Header: Depth=1
	v_add_u32_e32 v6, v12, v16
	v_lshrrev_b32_e32 v6, 1, v6
	v_lshlrev_b64 v[48:49], 2, v[6:7]
	v_mov_b32_e32 v39, v7
	v_xad_u32 v38, v6, -1, v13
	v_add_co_u32_e32 v48, vcc, v33, v48
	v_addc_co_u32_e32 v49, vcc, v34, v49, vcc
	v_lshlrev_b64 v[38:39], 2, v[38:39]
	v_add_co_u32_e32 v38, vcc, v35, v38
	v_addc_co_u32_e32 v39, vcc, v36, v39, vcc
	flat_load_dword v50, v[48:49]
	flat_load_dword v51, v[38:39]
	v_add_u32_e32 v37, 1, v6
	s_waitcnt vmcnt(0) lgkmcnt(0)
	v_pk_add_f32 v[38:39], v[50:51], 0 op_sel_hi:[1,0]
	v_ashrrev_i32_e32 v48, 31, v39
	v_ashrrev_i32_e32 v49, 31, v38
	v_or_b32_e32 v49, 0x80000000, v49
	v_or_b32_e32 v48, 0x80000000, v48
	v_xor_b32_e32 v39, v48, v39
	v_xor_b32_e32 v38, v49, v38
	v_cmp_gt_u32_e32 vcc, v38, v39
	v_cndmask_b32_e32 v12, v12, v6, vcc
	v_cndmask_b32_e32 v16, v37, v16, vcc
	v_cmp_ge_u32_e32 vcc, v16, v12
	s_or_b64 s[20:21], vcc, s[20:21]
	s_andn2_b64 exec, exec, s[20:21]
	s_cbranch_execnz .LBB1448_32
; %bb.33:
	s_or_b64 exec, exec, s[20:21]
.LBB1448_34:
	s_or_b64 exec, exec, s[16:17]
	v_add_u32_e32 v6, v31, v13
	v_add_u32_e32 v12, v16, v11
	v_sub_u32_e32 v16, v6, v16
	v_cmp_le_u32_e32 vcc, v12, v31
	v_cmp_le_u32_e64 s[16:17], v16, v32
	s_or_b64 s[16:17], vcc, s[16:17]
	s_and_saveexec_b64 s[20:21], s[16:17]
	s_cbranch_execz .LBB1448_54
; %bb.35:
	v_cmp_ge_u32_e32 vcc, v12, v31
	v_cmp_lt_u32_e64 s[16:17], v12, v31
                                        ; implicit-def: $vgpr6
	s_and_saveexec_b64 s[22:23], s[16:17]
	s_cbranch_execz .LBB1448_37
; %bb.36:
	v_mov_b32_e32 v13, 0
	v_lshlrev_b64 v[6:7], 2, v[12:13]
	v_add_co_u32_e64 v6, s[16:17], v28, v6
	v_addc_co_u32_e64 v7, s[16:17], v29, v7, s[16:17]
	flat_load_dword v6, v[6:7]
.LBB1448_37:
	s_or_b64 exec, exec, s[22:23]
	v_cmp_ge_u32_e64 s[22:23], v16, v32
	v_cmp_lt_u32_e64 s[16:17], v16, v32
	s_and_saveexec_b64 s[24:25], s[16:17]
	s_cbranch_execz .LBB1448_39
; %bb.38:
	v_mov_b32_e32 v17, 0
	v_lshlrev_b64 v[10:11], 2, v[16:17]
	v_add_co_u32_e64 v10, s[16:17], v28, v10
	v_addc_co_u32_e64 v11, s[16:17], v29, v11, s[16:17]
	flat_load_dword v7, v[10:11]
.LBB1448_39:
	s_or_b64 exec, exec, s[24:25]
	s_or_b64 s[24:25], vcc, s[22:23]
	s_mov_b64 s[16:17], -1
	s_xor_b64 s[26:27], s[24:25], -1
	s_and_saveexec_b64 s[24:25], s[26:27]
	s_cbranch_execz .LBB1448_41
; %bb.40:
	s_waitcnt vmcnt(0) lgkmcnt(0)
	v_pk_add_f32 v[10:11], v[6:7], 0 op_sel_hi:[1,0]
	v_ashrrev_i32_e32 v13, 31, v11
	v_ashrrev_i32_e32 v14, 31, v10
	v_or_b32_e32 v14, 0x80000000, v14
	v_or_b32_e32 v13, 0x80000000, v13
	v_xor_b32_e32 v11, v13, v11
	v_xor_b32_e32 v10, v14, v10
	v_cmp_le_u32_e32 vcc, v10, v11
	s_andn2_b64 s[22:23], s[22:23], exec
	s_and_b64 s[26:27], vcc, exec
	s_or_b64 s[22:23], s[22:23], s[26:27]
.LBB1448_41:
	s_or_b64 exec, exec, s[24:25]
	v_cndmask_b32_e64 v10, v16, v12, s[22:23]
	v_cndmask_b32_e64 v13, v32, v31, s[22:23]
	v_mov_b32_e32 v11, 0
	v_lshlrev_b64 v[18:19], 3, v[10:11]
	v_add_u32_e32 v17, 1, v10
	v_add_u32_e32 v10, -1, v13
	v_min_u32_e32 v10, v17, v10
	v_lshlrev_b64 v[20:21], 2, v[10:11]
	v_add_co_u32_e32 v20, vcc, v28, v20
	v_addc_co_u32_e32 v21, vcc, v29, v21, vcc
	v_add_co_u32_e32 v18, vcc, v15, v18
	flat_load_dword v10, v[20:21]
	v_addc_co_u32_e32 v19, vcc, v27, v19, vcc
	flat_load_dwordx2 v[18:19], v[18:19]
	v_cndmask_b32_e64 v14, v17, v16, s[22:23]
	v_cndmask_b32_e64 v16, v12, v17, s[22:23]
	v_cmp_lt_u32_e32 vcc, v14, v32
	s_waitcnt vmcnt(0) lgkmcnt(0)
	v_cndmask_b32_e64 v12, v10, v7, s[22:23]
	v_cndmask_b32_e64 v13, v6, v10, s[22:23]
	s_and_saveexec_b64 s[24:25], vcc
	s_cbranch_execz .LBB1448_45
; %bb.42:
	v_cmp_lt_u32_e32 vcc, v16, v31
	s_mov_b64 s[26:27], 0
	s_and_saveexec_b64 s[16:17], vcc
; %bb.43:
	v_add_f32_e32 v10, 0, v13
	v_ashrrev_i32_e32 v20, 31, v10
	v_add_f32_e32 v17, 0, v12
	v_or_b32_e32 v20, 0x80000000, v20
	v_xor_b32_e32 v10, v20, v10
	v_ashrrev_i32_e32 v20, 31, v17
	v_or_b32_e32 v20, 0x80000000, v20
	v_xor_b32_e32 v17, v20, v17
	v_cmp_le_u32_e32 vcc, v10, v17
	s_and_b64 s[26:27], vcc, exec
; %bb.44:
	s_or_b64 exec, exec, s[16:17]
	s_orn2_b64 s[16:17], s[26:27], exec
.LBB1448_45:
	s_or_b64 exec, exec, s[24:25]
	v_cndmask_b32_e64 v10, v14, v16, s[16:17]
	v_cndmask_b32_e64 v17, v32, v31, s[16:17]
	v_lshlrev_b64 v[20:21], 3, v[10:11]
	v_add_u32_e32 v22, 1, v10
	v_add_u32_e32 v10, -1, v17
	v_min_u32_e32 v10, v22, v10
	v_lshlrev_b64 v[10:11], 2, v[10:11]
	v_add_co_u32_e32 v10, vcc, v28, v10
	v_addc_co_u32_e32 v11, vcc, v29, v11, vcc
	flat_load_dword v23, v[10:11]
	v_add_co_u32_e32 v10, vcc, v15, v20
	v_addc_co_u32_e32 v11, vcc, v27, v21, vcc
	flat_load_dwordx2 v[20:21], v[10:11]
	v_cndmask_b32_e64 v17, v22, v14, s[16:17]
	s_mov_b64 s[24:25], -1
	v_cndmask_b32_e64 v24, v16, v22, s[16:17]
	v_cmp_lt_u32_e32 vcc, v17, v32
	s_mov_b64 s[26:27], -1
	s_waitcnt vmcnt(0) lgkmcnt(0)
	v_cndmask_b32_e64 v14, v23, v12, s[16:17]
	v_cndmask_b32_e64 v16, v13, v23, s[16:17]
	s_and_saveexec_b64 s[28:29], vcc
	s_cbranch_execz .LBB1448_49
; %bb.46:
	v_cmp_lt_u32_e32 vcc, v24, v31
	s_mov_b64 s[30:31], 0
	s_and_saveexec_b64 s[26:27], vcc
; %bb.47:
	v_add_f32_e32 v10, 0, v16
	v_ashrrev_i32_e32 v22, 31, v10
	v_add_f32_e32 v11, 0, v14
	v_or_b32_e32 v22, 0x80000000, v22
	v_xor_b32_e32 v10, v22, v10
	v_ashrrev_i32_e32 v22, 31, v11
	v_or_b32_e32 v22, 0x80000000, v22
	v_xor_b32_e32 v11, v22, v11
	v_cmp_le_u32_e32 vcc, v10, v11
	s_and_b64 s[30:31], vcc, exec
; %bb.48:
	s_or_b64 exec, exec, s[26:27]
	s_orn2_b64 s[26:27], s[30:31], exec
.LBB1448_49:
	s_or_b64 exec, exec, s[28:29]
	v_cndmask_b32_e64 v10, v17, v24, s[26:27]
	v_cndmask_b32_e64 v25, v32, v31, s[26:27]
	v_mov_b32_e32 v11, 0
	v_lshlrev_b64 v[22:23], 3, v[10:11]
	v_add_u32_e32 v26, 1, v10
	v_add_u32_e32 v10, -1, v25
	v_min_u32_e32 v10, v26, v10
	v_lshlrev_b64 v[34:35], 2, v[10:11]
	v_add_co_u32_e32 v34, vcc, v28, v34
	v_addc_co_u32_e32 v35, vcc, v29, v35, vcc
	v_add_co_u32_e32 v22, vcc, v15, v22
	flat_load_dword v25, v[34:35]
	v_addc_co_u32_e32 v23, vcc, v27, v23, vcc
	flat_load_dwordx2 v[22:23], v[22:23]
	v_cndmask_b32_e64 v10, v26, v17, s[26:27]
	v_cndmask_b32_e64 v24, v24, v26, s[26:27]
	v_cmp_lt_u32_e32 vcc, v10, v32
	s_waitcnt vmcnt(0) lgkmcnt(0)
	v_cndmask_b32_e64 v17, v25, v14, s[26:27]
	v_cndmask_b32_e64 v33, v16, v25, s[26:27]
	s_and_saveexec_b64 s[28:29], vcc
	s_cbranch_execz .LBB1448_53
; %bb.50:
	v_cmp_lt_u32_e32 vcc, v24, v31
	s_mov_b64 s[30:31], 0
	s_and_saveexec_b64 s[24:25], vcc
; %bb.51:
	v_add_f32_e32 v25, 0, v33
	v_ashrrev_i32_e32 v31, 31, v25
	v_add_f32_e32 v26, 0, v17
	v_or_b32_e32 v31, 0x80000000, v31
	v_xor_b32_e32 v25, v31, v25
	v_ashrrev_i32_e32 v31, 31, v26
	v_or_b32_e32 v31, 0x80000000, v31
	v_xor_b32_e32 v26, v31, v26
	v_cmp_le_u32_e32 vcc, v25, v26
	s_and_b64 s[30:31], vcc, exec
; %bb.52:
	s_or_b64 exec, exec, s[24:25]
	s_orn2_b64 s[24:25], s[30:31], exec
.LBB1448_53:
	s_or_b64 exec, exec, s[28:29]
	v_cndmask_b32_e64 v10, v10, v24, s[24:25]
	v_lshlrev_b64 v[10:11], 3, v[10:11]
	v_add_co_u32_e32 v10, vcc, v15, v10
	v_addc_co_u32_e32 v11, vcc, v27, v11, vcc
	flat_load_dwordx2 v[24:25], v[10:11]
	v_cndmask_b32_e64 v26, v14, v16, s[26:27]
	v_cndmask_b32_e64 v14, v12, v13, s[16:17]
	;; [unrolled: 1-line block ×4, first 2 shown]
.LBB1448_54:
	s_or_b64 exec, exec, s[20:21]
	v_mov_b32_e32 v11, v14
	v_mov_b32_e32 v12, v26
	;; [unrolled: 1-line block ×3, first 2 shown]
	; wave barrier
	flat_store_dwordx4 v[0:1], v[18:21]
	flat_store_dwordx4 v[4:5], v[10:13]
	s_waitcnt vmcnt(0) lgkmcnt(0)
	flat_store_dwordx4 v[0:1], v[22:25] offset:16
	v_and_b32_e32 v11, 0x1f0, v98
	v_or_b32_e32 v6, 8, v11
	v_min_u32_e32 v31, v30, v6
	v_add_u32_e32 v6, 8, v31
	v_min_u32_e32 v32, v30, v6
	v_and_b32_e32 v6, 12, v98
	v_min_u32_e32 v16, v30, v6
	v_sub_u32_e32 v6, v31, v11
	v_sub_u32_e32 v7, v32, v31
	v_sub_u32_e64 v33, v16, v7 clamp
	v_min_u32_e32 v12, v16, v6
	v_cmp_lt_u32_e32 vcc, v33, v12
	; wave barrier
	s_and_saveexec_b64 s[16:17], vcc
	s_cbranch_execz .LBB1448_58
; %bb.55:
	v_lshlrev_b32_e32 v6, 2, v11
	v_add_co_u32_e32 v13, vcc, v28, v6
	v_addc_co_u32_e32 v34, vcc, 0, v29, vcc
	v_lshlrev_b32_e32 v6, 2, v31
	v_add_co_u32_e32 v35, vcc, v28, v6
	v_addc_co_u32_e32 v36, vcc, 0, v29, vcc
	s_mov_b64 s[20:21], 0
	v_mov_b32_e32 v7, 0
.LBB1448_56:                            ; =>This Inner Loop Header: Depth=1
	v_add_u32_e32 v6, v12, v33
	v_lshrrev_b32_e32 v6, 1, v6
	v_lshlrev_b64 v[48:49], 2, v[6:7]
	v_mov_b32_e32 v39, v7
	v_xad_u32 v38, v6, -1, v16
	v_add_co_u32_e32 v48, vcc, v13, v48
	v_addc_co_u32_e32 v49, vcc, v34, v49, vcc
	v_lshlrev_b64 v[38:39], 2, v[38:39]
	v_add_co_u32_e32 v38, vcc, v35, v38
	v_addc_co_u32_e32 v39, vcc, v36, v39, vcc
	flat_load_dword v50, v[48:49]
	flat_load_dword v51, v[38:39]
	v_add_u32_e32 v37, 1, v6
	s_waitcnt vmcnt(0) lgkmcnt(0)
	v_pk_add_f32 v[38:39], v[50:51], 0 op_sel_hi:[1,0]
	v_ashrrev_i32_e32 v48, 31, v39
	v_ashrrev_i32_e32 v49, 31, v38
	v_or_b32_e32 v49, 0x80000000, v49
	v_or_b32_e32 v48, 0x80000000, v48
	v_xor_b32_e32 v39, v48, v39
	v_xor_b32_e32 v38, v49, v38
	v_cmp_gt_u32_e32 vcc, v38, v39
	v_cndmask_b32_e32 v12, v12, v6, vcc
	v_cndmask_b32_e32 v33, v37, v33, vcc
	v_cmp_ge_u32_e32 vcc, v33, v12
	s_or_b64 s[20:21], vcc, s[20:21]
	s_andn2_b64 exec, exec, s[20:21]
	s_cbranch_execnz .LBB1448_56
; %bb.57:
	s_or_b64 exec, exec, s[20:21]
.LBB1448_58:
	s_or_b64 exec, exec, s[16:17]
	v_add_u32_e32 v6, v31, v16
	v_add_u32_e32 v12, v33, v11
	v_sub_u32_e32 v16, v6, v33
	v_cmp_le_u32_e32 vcc, v12, v31
	v_cmp_le_u32_e64 s[16:17], v16, v32
	v_mov_b32_e32 v13, v26
	s_or_b64 s[16:17], vcc, s[16:17]
	s_and_saveexec_b64 s[20:21], s[16:17]
	s_cbranch_execz .LBB1448_78
; %bb.59:
	v_cmp_ge_u32_e32 vcc, v12, v31
	v_cmp_lt_u32_e64 s[16:17], v12, v31
                                        ; implicit-def: $vgpr6
	s_and_saveexec_b64 s[22:23], s[16:17]
	s_cbranch_execz .LBB1448_61
; %bb.60:
	v_mov_b32_e32 v13, 0
	v_lshlrev_b64 v[6:7], 2, v[12:13]
	v_add_co_u32_e64 v6, s[16:17], v28, v6
	v_addc_co_u32_e64 v7, s[16:17], v29, v7, s[16:17]
	flat_load_dword v6, v[6:7]
.LBB1448_61:
	s_or_b64 exec, exec, s[22:23]
	v_cmp_ge_u32_e64 s[22:23], v16, v32
	v_cmp_lt_u32_e64 s[16:17], v16, v32
	s_and_saveexec_b64 s[24:25], s[16:17]
	s_cbranch_execz .LBB1448_63
; %bb.62:
	v_mov_b32_e32 v17, 0
	v_lshlrev_b64 v[10:11], 2, v[16:17]
	v_add_co_u32_e64 v10, s[16:17], v28, v10
	v_addc_co_u32_e64 v11, s[16:17], v29, v11, s[16:17]
	flat_load_dword v7, v[10:11]
.LBB1448_63:
	s_or_b64 exec, exec, s[24:25]
	s_or_b64 s[24:25], vcc, s[22:23]
	s_mov_b64 s[16:17], -1
	s_xor_b64 s[26:27], s[24:25], -1
	s_and_saveexec_b64 s[24:25], s[26:27]
	s_cbranch_execz .LBB1448_65
; %bb.64:
	s_waitcnt vmcnt(0) lgkmcnt(0)
	v_pk_add_f32 v[10:11], v[6:7], 0 op_sel_hi:[1,0]
	v_ashrrev_i32_e32 v13, 31, v11
	v_ashrrev_i32_e32 v14, 31, v10
	v_or_b32_e32 v14, 0x80000000, v14
	v_or_b32_e32 v13, 0x80000000, v13
	v_xor_b32_e32 v11, v13, v11
	v_xor_b32_e32 v10, v14, v10
	v_cmp_le_u32_e32 vcc, v10, v11
	s_andn2_b64 s[22:23], s[22:23], exec
	s_and_b64 s[26:27], vcc, exec
	s_or_b64 s[22:23], s[22:23], s[26:27]
.LBB1448_65:
	s_or_b64 exec, exec, s[24:25]
	v_cndmask_b32_e64 v10, v16, v12, s[22:23]
	v_cndmask_b32_e64 v13, v32, v31, s[22:23]
	v_mov_b32_e32 v11, 0
	v_lshlrev_b64 v[18:19], 3, v[10:11]
	v_add_u32_e32 v14, 1, v10
	v_add_u32_e32 v10, -1, v13
	v_min_u32_e32 v10, v14, v10
	v_lshlrev_b64 v[20:21], 2, v[10:11]
	v_add_co_u32_e32 v20, vcc, v28, v20
	v_addc_co_u32_e32 v21, vcc, v29, v21, vcc
	v_add_co_u32_e32 v18, vcc, v15, v18
	flat_load_dword v10, v[20:21]
	v_addc_co_u32_e32 v19, vcc, v27, v19, vcc
	flat_load_dwordx2 v[18:19], v[18:19]
	v_cndmask_b32_e64 v13, v14, v16, s[22:23]
	v_cndmask_b32_e64 v16, v12, v14, s[22:23]
	v_cmp_lt_u32_e32 vcc, v13, v32
	s_waitcnt vmcnt(0) lgkmcnt(0)
	v_cndmask_b32_e64 v12, v10, v7, s[22:23]
	v_cndmask_b32_e64 v14, v6, v10, s[22:23]
	s_and_saveexec_b64 s[24:25], vcc
	s_cbranch_execz .LBB1448_69
; %bb.66:
	v_cmp_lt_u32_e32 vcc, v16, v31
	s_mov_b64 s[26:27], 0
	s_and_saveexec_b64 s[16:17], vcc
; %bb.67:
	v_add_f32_e32 v10, 0, v14
	v_ashrrev_i32_e32 v20, 31, v10
	v_add_f32_e32 v17, 0, v12
	v_or_b32_e32 v20, 0x80000000, v20
	v_xor_b32_e32 v10, v20, v10
	v_ashrrev_i32_e32 v20, 31, v17
	v_or_b32_e32 v20, 0x80000000, v20
	v_xor_b32_e32 v17, v20, v17
	v_cmp_le_u32_e32 vcc, v10, v17
	s_and_b64 s[26:27], vcc, exec
; %bb.68:
	s_or_b64 exec, exec, s[16:17]
	s_orn2_b64 s[16:17], s[26:27], exec
.LBB1448_69:
	s_or_b64 exec, exec, s[24:25]
	v_cndmask_b32_e64 v10, v13, v16, s[16:17]
	v_cndmask_b32_e64 v17, v32, v31, s[16:17]
	v_lshlrev_b64 v[20:21], 3, v[10:11]
	v_add_u32_e32 v22, 1, v10
	v_add_u32_e32 v10, -1, v17
	v_min_u32_e32 v10, v22, v10
	v_lshlrev_b64 v[10:11], 2, v[10:11]
	v_add_co_u32_e32 v10, vcc, v28, v10
	v_addc_co_u32_e32 v11, vcc, v29, v11, vcc
	flat_load_dword v23, v[10:11]
	v_add_co_u32_e32 v10, vcc, v15, v20
	v_addc_co_u32_e32 v11, vcc, v27, v21, vcc
	flat_load_dwordx2 v[20:21], v[10:11]
	v_cndmask_b32_e64 v17, v22, v13, s[16:17]
	s_mov_b64 s[24:25], -1
	v_cndmask_b32_e64 v24, v16, v22, s[16:17]
	v_cmp_lt_u32_e32 vcc, v17, v32
	s_mov_b64 s[26:27], -1
	s_waitcnt vmcnt(0) lgkmcnt(0)
	v_cndmask_b32_e64 v13, v23, v12, s[16:17]
	v_cndmask_b32_e64 v16, v14, v23, s[16:17]
	s_and_saveexec_b64 s[28:29], vcc
	s_cbranch_execz .LBB1448_73
; %bb.70:
	v_cmp_lt_u32_e32 vcc, v24, v31
	s_mov_b64 s[30:31], 0
	s_and_saveexec_b64 s[26:27], vcc
; %bb.71:
	v_add_f32_e32 v10, 0, v16
	v_ashrrev_i32_e32 v22, 31, v10
	v_add_f32_e32 v11, 0, v13
	v_or_b32_e32 v22, 0x80000000, v22
	v_xor_b32_e32 v10, v22, v10
	v_ashrrev_i32_e32 v22, 31, v11
	v_or_b32_e32 v22, 0x80000000, v22
	v_xor_b32_e32 v11, v22, v11
	v_cmp_le_u32_e32 vcc, v10, v11
	s_and_b64 s[30:31], vcc, exec
; %bb.72:
	s_or_b64 exec, exec, s[26:27]
	s_orn2_b64 s[26:27], s[30:31], exec
.LBB1448_73:
	s_or_b64 exec, exec, s[28:29]
	v_cndmask_b32_e64 v10, v17, v24, s[26:27]
	v_cndmask_b32_e64 v25, v32, v31, s[26:27]
	v_mov_b32_e32 v11, 0
	v_lshlrev_b64 v[22:23], 3, v[10:11]
	v_add_u32_e32 v26, 1, v10
	v_add_u32_e32 v10, -1, v25
	v_min_u32_e32 v10, v26, v10
	v_lshlrev_b64 v[34:35], 2, v[10:11]
	v_add_co_u32_e32 v34, vcc, v28, v34
	v_addc_co_u32_e32 v35, vcc, v29, v35, vcc
	v_add_co_u32_e32 v22, vcc, v15, v22
	flat_load_dword v25, v[34:35]
	v_addc_co_u32_e32 v23, vcc, v27, v23, vcc
	flat_load_dwordx2 v[22:23], v[22:23]
	v_cndmask_b32_e64 v10, v26, v17, s[26:27]
	v_cndmask_b32_e64 v24, v24, v26, s[26:27]
	v_cmp_lt_u32_e32 vcc, v10, v32
	s_waitcnt vmcnt(0) lgkmcnt(0)
	v_cndmask_b32_e64 v17, v25, v13, s[26:27]
	v_cndmask_b32_e64 v26, v16, v25, s[26:27]
	s_and_saveexec_b64 s[28:29], vcc
	s_cbranch_execz .LBB1448_77
; %bb.74:
	v_cmp_lt_u32_e32 vcc, v24, v31
	s_mov_b64 s[30:31], 0
	s_and_saveexec_b64 s[24:25], vcc
; %bb.75:
	v_add_f32_e32 v25, 0, v26
	v_ashrrev_i32_e32 v32, 31, v25
	v_add_f32_e32 v31, 0, v17
	v_or_b32_e32 v32, 0x80000000, v32
	v_xor_b32_e32 v25, v32, v25
	v_ashrrev_i32_e32 v32, 31, v31
	v_or_b32_e32 v32, 0x80000000, v32
	v_xor_b32_e32 v31, v32, v31
	v_cmp_le_u32_e32 vcc, v25, v31
	s_and_b64 s[30:31], vcc, exec
; %bb.76:
	s_or_b64 exec, exec, s[24:25]
	s_orn2_b64 s[24:25], s[30:31], exec
.LBB1448_77:
	s_or_b64 exec, exec, s[28:29]
	v_cndmask_b32_e64 v10, v10, v24, s[24:25]
	v_lshlrev_b64 v[10:11], 3, v[10:11]
	v_add_co_u32_e32 v10, vcc, v15, v10
	v_addc_co_u32_e32 v11, vcc, v27, v11, vcc
	flat_load_dwordx2 v[24:25], v[10:11]
	v_cndmask_b32_e64 v13, v13, v16, s[26:27]
	v_cndmask_b32_e64 v14, v12, v14, s[16:17]
	;; [unrolled: 1-line block ×4, first 2 shown]
	v_mov_b32_e32 v26, v13
.LBB1448_78:
	s_or_b64 exec, exec, s[20:21]
	v_mov_b32_e32 v11, v14
	v_mov_b32_e32 v12, v13
	;; [unrolled: 1-line block ×3, first 2 shown]
	; wave barrier
	flat_store_dwordx4 v[0:1], v[18:21]
	flat_store_dwordx4 v[4:5], v[10:13]
	s_waitcnt vmcnt(0) lgkmcnt(0)
	flat_store_dwordx4 v[0:1], v[22:25] offset:16
	v_and_b32_e32 v4, 0x1e0, v98
	v_or_b32_e32 v0, 16, v4
	v_min_u32_e32 v12, v30, v0
	v_add_u32_e32 v0, 16, v12
	v_min_u32_e32 v13, v30, v0
	v_min_u32_e32 v5, v30, v96
	v_sub_u32_e32 v0, v12, v4
	v_sub_u32_e32 v1, v13, v12
	v_sub_u32_e64 v6, v5, v1 clamp
	v_min_u32_e32 v7, v5, v0
	v_cmp_lt_u32_e32 vcc, v6, v7
	; wave barrier
	s_and_saveexec_b64 s[16:17], vcc
	s_cbranch_execz .LBB1448_82
; %bb.79:
	v_lshlrev_b32_e32 v0, 2, v4
	v_add_co_u32_e32 v11, vcc, v28, v0
	v_addc_co_u32_e32 v16, vcc, 0, v29, vcc
	v_lshlrev_b32_e32 v0, 2, v12
	v_add_co_u32_e32 v30, vcc, v28, v0
	v_addc_co_u32_e32 v31, vcc, 0, v29, vcc
	s_mov_b64 s[20:21], 0
	v_mov_b32_e32 v1, 0
.LBB1448_80:                            ; =>This Inner Loop Header: Depth=1
	v_add_u32_e32 v0, v7, v6
	v_lshrrev_b32_e32 v0, 1, v0
	v_lshlrev_b64 v[34:35], 2, v[0:1]
	v_mov_b32_e32 v33, v1
	v_xad_u32 v32, v0, -1, v5
	v_add_co_u32_e32 v34, vcc, v11, v34
	v_addc_co_u32_e32 v35, vcc, v16, v35, vcc
	v_lshlrev_b64 v[32:33], 2, v[32:33]
	v_add_co_u32_e32 v32, vcc, v30, v32
	v_addc_co_u32_e32 v33, vcc, v31, v33, vcc
	flat_load_dword v36, v[34:35]
	flat_load_dword v37, v[32:33]
	v_add_u32_e32 v34, 1, v0
	s_waitcnt vmcnt(0) lgkmcnt(0)
	v_pk_add_f32 v[32:33], v[36:37], 0 op_sel_hi:[1,0]
	v_ashrrev_i32_e32 v35, 31, v33
	v_ashrrev_i32_e32 v36, 31, v32
	v_or_b32_e32 v36, 0x80000000, v36
	v_or_b32_e32 v35, 0x80000000, v35
	v_xor_b32_e32 v33, v35, v33
	v_xor_b32_e32 v32, v36, v32
	v_cmp_gt_u32_e32 vcc, v32, v33
	v_cndmask_b32_e32 v7, v7, v0, vcc
	v_cndmask_b32_e32 v6, v34, v6, vcc
	v_cmp_ge_u32_e32 vcc, v6, v7
	s_or_b64 s[20:21], vcc, s[20:21]
	s_andn2_b64 exec, exec, s[20:21]
	s_cbranch_execnz .LBB1448_80
; %bb.81:
	s_or_b64 exec, exec, s[20:21]
.LBB1448_82:
	s_or_b64 exec, exec, s[16:17]
	v_add_u32_e32 v0, v12, v5
	v_add_u32_e32 v4, v6, v4
	v_sub_u32_e32 v6, v0, v6
	v_cmp_le_u32_e32 vcc, v4, v12
	v_cmp_le_u32_e64 s[16:17], v6, v13
	s_or_b64 s[16:17], vcc, s[16:17]
	s_and_saveexec_b64 s[20:21], s[16:17]
	s_cbranch_execz .LBB1448_102
; %bb.83:
	v_cmp_ge_u32_e32 vcc, v4, v12
	v_cmp_lt_u32_e64 s[16:17], v4, v12
                                        ; implicit-def: $vgpr0
	s_and_saveexec_b64 s[22:23], s[16:17]
	s_cbranch_execz .LBB1448_85
; %bb.84:
	v_mov_b32_e32 v5, 0
	v_lshlrev_b64 v[0:1], 2, v[4:5]
	v_add_co_u32_e64 v0, s[16:17], v28, v0
	v_addc_co_u32_e64 v1, s[16:17], v29, v1, s[16:17]
	flat_load_dword v0, v[0:1]
.LBB1448_85:
	s_or_b64 exec, exec, s[22:23]
	v_cmp_ge_u32_e64 s[22:23], v6, v13
	v_cmp_lt_u32_e64 s[16:17], v6, v13
	s_and_saveexec_b64 s[24:25], s[16:17]
	s_cbranch_execz .LBB1448_87
; %bb.86:
	v_mov_b32_e32 v7, 0
	v_lshlrev_b64 v[10:11], 2, v[6:7]
	v_add_co_u32_e64 v10, s[16:17], v28, v10
	v_addc_co_u32_e64 v11, s[16:17], v29, v11, s[16:17]
	flat_load_dword v1, v[10:11]
.LBB1448_87:
	s_or_b64 exec, exec, s[24:25]
	s_or_b64 s[24:25], vcc, s[22:23]
	s_mov_b64 s[16:17], -1
	s_xor_b64 s[26:27], s[24:25], -1
	s_and_saveexec_b64 s[24:25], s[26:27]
	s_cbranch_execz .LBB1448_89
; %bb.88:
	s_waitcnt vmcnt(0) lgkmcnt(0)
	v_pk_add_f32 v[10:11], v[0:1], 0 op_sel_hi:[1,0]
	v_ashrrev_i32_e32 v5, 31, v11
	v_ashrrev_i32_e32 v7, 31, v10
	v_or_b32_e32 v7, 0x80000000, v7
	v_or_b32_e32 v5, 0x80000000, v5
	v_xor_b32_e32 v5, v5, v11
	v_xor_b32_e32 v7, v7, v10
	v_cmp_le_u32_e32 vcc, v7, v5
	s_andn2_b64 s[22:23], s[22:23], exec
	s_and_b64 s[26:27], vcc, exec
	s_or_b64 s[22:23], s[22:23], s[26:27]
.LBB1448_89:
	s_or_b64 exec, exec, s[24:25]
	v_cndmask_b32_e64 v10, v6, v4, s[22:23]
	v_cndmask_b32_e64 v5, v13, v12, s[22:23]
	v_mov_b32_e32 v11, 0
	v_add_u32_e32 v7, 1, v10
	v_add_u32_e32 v5, -1, v5
	v_lshlrev_b64 v[16:17], 3, v[10:11]
	v_min_u32_e32 v10, v7, v5
	v_lshlrev_b64 v[18:19], 2, v[10:11]
	v_add_co_u32_e32 v18, vcc, v28, v18
	v_addc_co_u32_e32 v19, vcc, v29, v19, vcc
	v_add_co_u32_e32 v16, vcc, v15, v16
	flat_load_dword v10, v[18:19]
	v_addc_co_u32_e32 v17, vcc, v27, v17, vcc
	flat_load_dwordx2 v[18:19], v[16:17]
	v_cndmask_b32_e64 v5, v7, v6, s[22:23]
	v_cndmask_b32_e64 v4, v4, v7, s[22:23]
	v_cmp_lt_u32_e32 vcc, v5, v13
	s_waitcnt vmcnt(0) lgkmcnt(0)
	v_cndmask_b32_e64 v6, v10, v1, s[22:23]
	v_cndmask_b32_e64 v7, v0, v10, s[22:23]
	s_and_saveexec_b64 s[24:25], vcc
	s_cbranch_execz .LBB1448_93
; %bb.90:
	v_cmp_lt_u32_e32 vcc, v4, v12
	s_mov_b64 s[26:27], 0
	s_and_saveexec_b64 s[16:17], vcc
; %bb.91:
	v_add_f32_e32 v10, 0, v7
	v_ashrrev_i32_e32 v16, 31, v10
	v_add_f32_e32 v14, 0, v6
	v_or_b32_e32 v16, 0x80000000, v16
	v_xor_b32_e32 v10, v16, v10
	v_ashrrev_i32_e32 v16, 31, v14
	v_or_b32_e32 v16, 0x80000000, v16
	v_xor_b32_e32 v14, v16, v14
	v_cmp_le_u32_e32 vcc, v10, v14
	s_and_b64 s[26:27], vcc, exec
; %bb.92:
	s_or_b64 exec, exec, s[16:17]
	s_orn2_b64 s[16:17], s[26:27], exec
.LBB1448_93:
	s_or_b64 exec, exec, s[24:25]
	v_cndmask_b32_e64 v10, v5, v4, s[16:17]
	v_cndmask_b32_e64 v14, v13, v12, s[16:17]
	v_lshlrev_b64 v[16:17], 3, v[10:11]
	v_add_u32_e32 v22, 1, v10
	v_add_u32_e32 v10, -1, v14
	v_min_u32_e32 v10, v22, v10
	v_lshlrev_b64 v[10:11], 2, v[10:11]
	v_add_co_u32_e32 v10, vcc, v28, v10
	v_addc_co_u32_e32 v11, vcc, v29, v11, vcc
	flat_load_dword v23, v[10:11]
	v_add_co_u32_e32 v10, vcc, v15, v16
	v_addc_co_u32_e32 v11, vcc, v27, v17, vcc
	flat_load_dwordx2 v[20:21], v[10:11]
	v_cndmask_b32_e64 v14, v22, v5, s[16:17]
	s_mov_b64 s[24:25], -1
	v_cndmask_b32_e64 v16, v4, v22, s[16:17]
	v_cmp_lt_u32_e32 vcc, v14, v13
	s_mov_b64 s[26:27], -1
	s_waitcnt vmcnt(0) lgkmcnt(0)
	v_cndmask_b32_e64 v10, v23, v6, s[16:17]
	v_cndmask_b32_e64 v11, v7, v23, s[16:17]
	s_and_saveexec_b64 s[28:29], vcc
	s_cbranch_execz .LBB1448_97
; %bb.94:
	v_cmp_lt_u32_e32 vcc, v16, v12
	s_mov_b64 s[30:31], 0
	s_and_saveexec_b64 s[26:27], vcc
; %bb.95:
	v_add_f32_e32 v4, 0, v11
	v_ashrrev_i32_e32 v17, 31, v4
	v_add_f32_e32 v5, 0, v10
	v_or_b32_e32 v17, 0x80000000, v17
	v_xor_b32_e32 v4, v17, v4
	v_ashrrev_i32_e32 v17, 31, v5
	v_or_b32_e32 v17, 0x80000000, v17
	v_xor_b32_e32 v5, v17, v5
	v_cmp_le_u32_e32 vcc, v4, v5
	s_and_b64 s[30:31], vcc, exec
; %bb.96:
	s_or_b64 exec, exec, s[26:27]
	s_orn2_b64 s[26:27], s[30:31], exec
.LBB1448_97:
	s_or_b64 exec, exec, s[28:29]
	v_cndmask_b32_e64 v4, v14, v16, s[26:27]
	v_cndmask_b32_e64 v17, v13, v12, s[26:27]
	v_mov_b32_e32 v5, 0
	v_lshlrev_b64 v[22:23], 3, v[4:5]
	v_add_u32_e32 v26, 1, v4
	v_add_u32_e32 v4, -1, v17
	v_min_u32_e32 v4, v26, v4
	v_lshlrev_b64 v[24:25], 2, v[4:5]
	v_add_co_u32_e32 v24, vcc, v28, v24
	v_addc_co_u32_e32 v25, vcc, v29, v25, vcc
	v_add_co_u32_e32 v22, vcc, v15, v22
	flat_load_dword v17, v[24:25]
	v_addc_co_u32_e32 v23, vcc, v27, v23, vcc
	flat_load_dwordx2 v[22:23], v[22:23]
	v_cndmask_b32_e64 v4, v26, v14, s[26:27]
	v_cndmask_b32_e64 v14, v16, v26, s[26:27]
	v_cmp_lt_u32_e32 vcc, v4, v13
	s_waitcnt vmcnt(0) lgkmcnt(0)
	v_cndmask_b32_e64 v16, v17, v10, s[26:27]
	v_cndmask_b32_e64 v17, v11, v17, s[26:27]
	s_and_saveexec_b64 s[28:29], vcc
	s_cbranch_execz .LBB1448_101
; %bb.98:
	v_cmp_lt_u32_e32 vcc, v14, v12
	s_mov_b64 s[30:31], 0
	s_and_saveexec_b64 s[24:25], vcc
; %bb.99:
	v_add_f32_e32 v12, 0, v17
	v_ashrrev_i32_e32 v24, 31, v12
	v_add_f32_e32 v13, 0, v16
	v_or_b32_e32 v24, 0x80000000, v24
	v_xor_b32_e32 v12, v24, v12
	v_ashrrev_i32_e32 v24, 31, v13
	v_or_b32_e32 v24, 0x80000000, v24
	v_xor_b32_e32 v13, v24, v13
	v_cmp_le_u32_e32 vcc, v12, v13
	s_and_b64 s[30:31], vcc, exec
; %bb.100:
	s_or_b64 exec, exec, s[24:25]
	s_orn2_b64 s[24:25], s[30:31], exec
.LBB1448_101:
	s_or_b64 exec, exec, s[28:29]
	v_cndmask_b32_e64 v4, v4, v14, s[24:25]
	v_lshlrev_b64 v[4:5], 3, v[4:5]
	v_add_co_u32_e32 v4, vcc, v15, v4
	v_addc_co_u32_e32 v5, vcc, v27, v5, vcc
	flat_load_dwordx2 v[24:25], v[4:5]
	v_cndmask_b32_e64 v26, v10, v11, s[26:27]
	v_cndmask_b32_e64 v14, v6, v7, s[16:17]
	;; [unrolled: 1-line block ×4, first 2 shown]
.LBB1448_102:
	s_or_b64 exec, exec, s[20:21]
	v_add_co_u32_e32 v0, vcc, v2, v86
	v_addc_co_u32_e32 v1, vcc, v3, v87, vcc
	v_add_co_u32_e32 v0, vcc, v0, v97
	v_addc_co_u32_e32 v1, vcc, 0, v1, vcc
	; wave barrier
	s_waitcnt lgkmcnt(0)
	s_barrier
	s_waitcnt lgkmcnt(0)
	; wave barrier
	s_and_saveexec_b64 s[16:17], s[4:5]
	s_cbranch_execnz .LBB1448_222
; %bb.103:
	s_or_b64 exec, exec, s[16:17]
	s_and_saveexec_b64 s[16:17], s[6:7]
	s_cbranch_execnz .LBB1448_223
.LBB1448_104:
	s_or_b64 exec, exec, s[16:17]
	s_and_saveexec_b64 s[16:17], s[10:11]
	s_cbranch_execnz .LBB1448_224
.LBB1448_105:
	s_or_b64 exec, exec, s[16:17]
	s_and_saveexec_b64 s[16:17], s[14:15]
	s_cbranch_execz .LBB1448_107
.LBB1448_106:
	flat_store_dword v[0:1], v17 offset:12
.LBB1448_107:
	s_or_b64 exec, exec, s[16:17]
	v_add_co_u32_e32 v0, vcc, v8, v80
	v_addc_co_u32_e32 v1, vcc, v9, v81, vcc
	v_add_co_u32_e32 v0, vcc, v0, v82
	v_addc_co_u32_e32 v1, vcc, 0, v1, vcc
	; wave barrier
	s_and_saveexec_b64 s[16:17], s[4:5]
	s_cbranch_execnz .LBB1448_225
; %bb.108:
	s_or_b64 exec, exec, s[16:17]
	s_and_saveexec_b64 s[16:17], s[6:7]
	s_cbranch_execnz .LBB1448_226
.LBB1448_109:
	s_or_b64 exec, exec, s[16:17]
	s_and_saveexec_b64 s[6:7], s[10:11]
	s_cbranch_execz .LBB1448_111
.LBB1448_110:
	flat_store_dwordx2 v[0:1], v[22:23] offset:16
.LBB1448_111:
	s_or_b64 exec, exec, s[6:7]
	s_and_b64 s[16:17], s[14:15], exec
                                        ; implicit-def: $vgpr13
                                        ; implicit-def: $vgpr98
                                        ; implicit-def: $vgpr0_vgpr1
                                        ; implicit-def: $vgpr4
                                        ; implicit-def: $vgpr5
                                        ; implicit-def: $vgpr6
                                        ; implicit-def: $vgpr7
                                        ; implicit-def: $vgpr10
                                        ; implicit-def: $vgpr15
                                        ; implicit-def: $vgpr16
                                        ; implicit-def: $vgpr86_vgpr87
                                        ; implicit-def: $vgpr97
                                        ; implicit-def: $vgpr31
	s_andn2_saveexec_b64 s[18:19], s[18:19]
	s_cbranch_execz .LBB1448_2
.LBB1448_112:
	v_bfrev_b32_e32 v8, -2
	v_bfrev_b32_e32 v80, -2
	s_and_saveexec_b64 s[6:7], s[4:5]
	s_cbranch_execz .LBB1448_114
; %bb.113:
	flat_load_dword v80, v[0:1]
.LBB1448_114:
	s_or_b64 exec, exec, s[6:7]
	v_or_b32_e32 v2, 1, v96
	v_cmp_lt_u32_e64 s[6:7], v2, v13
	s_and_saveexec_b64 s[10:11], s[6:7]
	s_cbranch_execz .LBB1448_116
; %bb.115:
	flat_load_dword v8, v[0:1] offset:4
.LBB1448_116:
	s_or_b64 exec, exec, s[10:11]
	v_or_b32_e32 v2, 2, v96
	v_cmp_lt_u32_e64 s[10:11], v2, v13
	v_bfrev_b32_e32 v17, -2
	v_bfrev_b32_e32 v12, -2
	s_and_saveexec_b64 s[14:15], s[10:11]
	s_cbranch_execz .LBB1448_118
; %bb.117:
	flat_load_dword v12, v[0:1] offset:8
.LBB1448_118:
	s_or_b64 exec, exec, s[14:15]
	v_or_b32_e32 v2, 3, v96
	v_cmp_lt_u32_e64 s[14:15], v2, v13
	s_and_saveexec_b64 s[20:21], s[14:15]
	s_cbranch_execz .LBB1448_120
; %bb.119:
	flat_load_dword v17, v[0:1] offset:12
.LBB1448_120:
	s_or_b64 exec, exec, s[20:21]
	v_lshlrev_b64 v[2:3], 3, v[84:85]
	v_add_co_u32_e32 v0, vcc, v6, v2
	v_addc_co_u32_e32 v1, vcc, v7, v3, vcc
	v_lshlrev_b32_e32 v99, 3, v96
	v_add_co_u32_e32 v0, vcc, v0, v99
	v_addc_co_u32_e32 v1, vcc, 0, v1, vcc
	; wave barrier
                                        ; implicit-def: $vgpr18_vgpr19_vgpr20_vgpr21_vgpr22_vgpr23_vgpr24_vgpr25
	s_and_saveexec_b64 s[20:21], s[4:5]
	s_cbranch_execnz .LBB1448_227
; %bb.121:
	s_or_b64 exec, exec, s[20:21]
	s_and_saveexec_b64 s[20:21], s[6:7]
	s_cbranch_execnz .LBB1448_228
.LBB1448_122:
	s_or_b64 exec, exec, s[20:21]
	s_and_saveexec_b64 s[20:21], s[10:11]
	s_cbranch_execnz .LBB1448_229
.LBB1448_123:
	s_or_b64 exec, exec, s[20:21]
	s_and_saveexec_b64 s[20:21], s[14:15]
	s_cbranch_execz .LBB1448_125
.LBB1448_124:
	s_waitcnt vmcnt(0)
	flat_load_dwordx2 v[24:25], v[0:1] offset:24
.LBB1448_125:
	s_or_b64 exec, exec, s[20:21]
	; wave barrier
	s_load_dwordx2 s[20:21], s[8:9], 0x0
	v_mov_b32_e32 v0, 0
	v_bfe_u32 v7, v31, 20, 10
	v_and_b32_e32 v9, 0x3ff, v31
	s_waitcnt vmcnt(0) lgkmcnt(0)
	v_mov_b32_e32 v13, v8
	s_cmp_lt_u32 s12, s20
	s_cselect_b32 s20, 12, 18
	s_cmp_lt_u32 s13, s21
	s_cselect_b32 s12, 14, 20
	s_add_u32 s12, s8, s12
	s_addc_u32 s13, s9, 0
	s_add_u32 s8, s8, s20
	s_addc_u32 s9, s9, 0
	global_load_ushort v1, v0, s[12:13]
	global_load_ushort v6, v0, s[8:9]
	v_bfe_u32 v0, v31, 10, 10
	s_movk_i32 s8, 0x400
	v_pk_mov_b32 v[82:83], v[12:13], v[12:13] op_sel:[0,1]
	s_waitcnt vmcnt(1)
	v_mad_u32_u24 v0, v7, v1, v0
	s_waitcnt vmcnt(0)
	v_mul_lo_u32 v0, v0, v6
	v_add_lshl_u32 v9, v0, v9, 2
	v_cmp_gt_u32_e32 vcc, s8, v9
	s_and_saveexec_b64 s[12:13], vcc
	s_cbranch_execz .LBB1448_137
; %bb.126:
	v_mov_b32_e32 v81, v8
	v_pk_add_f32 v[0:1], v[80:81], 0 op_sel_hi:[1,0]
	v_ashrrev_i32_e32 v6, 31, v1
	v_ashrrev_i32_e32 v7, 31, v0
	v_or_b32_e32 v7, 0x80000000, v7
	v_or_b32_e32 v6, 0x80000000, v6
	v_xor_b32_e32 v1, v6, v1
	v_xor_b32_e32 v0, v7, v0
	v_cmp_gt_u32_e32 vcc, v0, v1
	v_mov_b32_e32 v13, v17
	v_cndmask_b32_e32 v7, v21, v19, vcc
	v_cndmask_b32_e32 v6, v20, v18, vcc
	;; [unrolled: 1-line block ×4, first 2 shown]
	v_pk_add_f32 v[18:19], v[12:13], 0 op_sel_hi:[1,0]
	v_ashrrev_i32_e32 v13, 31, v18
	v_ashrrev_i32_e32 v14, 31, v19
	v_or_b32_e32 v14, 0x80000000, v14
	v_or_b32_e32 v13, 0x80000000, v13
	v_xor_b32_e32 v18, v13, v18
	v_xor_b32_e32 v14, v14, v19
	v_cmp_gt_u32_e64 s[8:9], v18, v14
	v_mov_b32_e32 v13, v12
	s_and_saveexec_b64 s[20:21], s[8:9]
; %bb.127:
	v_pk_mov_b32 v[20:21], v[22:23], v[22:23] op_sel:[0,1]
	v_mov_b32_e32 v13, v17
	v_mov_b32_e32 v17, v12
	;; [unrolled: 1-line block ×3, first 2 shown]
	v_pk_mov_b32 v[22:23], v[24:25], v[24:25] op_sel:[0,1]
	v_pk_mov_b32 v[24:25], v[20:21], v[20:21] op_sel:[0,1]
; %bb.128:
	s_or_b64 exec, exec, s[20:21]
	v_cndmask_b32_e32 v14, v8, v80, vcc
	v_add_f32_e32 v12, 0, v14
	v_ashrrev_i32_e32 v19, 31, v12
	v_or_b32_e32 v19, 0x80000000, v19
	v_xor_b32_e32 v12, v19, v12
	v_cmp_le_u32_e64 s[8:9], v12, v18
                                        ; implicit-def: $vgpr81
	s_and_saveexec_b64 s[20:21], s[8:9]
	s_xor_b64 s[8:9], exec, s[20:21]
                                        ; implicit-def: $vgpr32_vgpr33_vgpr34_vgpr35_vgpr36_vgpr37_vgpr38_vgpr39
                                        ; implicit-def: $vgpr48_vgpr49_vgpr50_vgpr51_vgpr52_vgpr53_vgpr54_vgpr55
                                        ; implicit-def: $vgpr26_vgpr27_vgpr28_vgpr29_vgpr30_vgpr31_vgpr32_vgpr33
                                        ; implicit-def: $vgpr64_vgpr65_vgpr66_vgpr67_vgpr68_vgpr69_vgpr70_vgpr71
; %bb.129:
	v_add_f32_e32 v18, 0, v13
	v_ashrrev_i32_e32 v19, 31, v18
	v_or_b32_e32 v19, 0x80000000, v19
	v_mov_b32_e32 v28, v6
	v_mov_b32_e32 v35, v7
	;; [unrolled: 1-line block ×6, first 2 shown]
	v_xor_b32_e32 v81, v19, v18
                                        ; implicit-def: $vgpr22_vgpr23
                                        ; implicit-def: $vgpr18
; %bb.130:
	s_or_saveexec_b64 s[8:9], s[8:9]
	v_mov_b32_e32 v26, v14
	s_xor_b64 exec, exec, s[8:9]
; %bb.131:
	v_mov_b32_e32 v28, v22
	v_mov_b32_e32 v35, v23
	;; [unrolled: 1-line block ×8, first 2 shown]
; %bb.132:
	s_or_b64 exec, exec, s[8:9]
	v_cndmask_b32_e32 v14, v80, v8, vcc
	v_add_f32_e32 v8, 0, v14
	v_ashrrev_i32_e32 v18, 31, v8
	v_or_b32_e32 v18, 0x80000000, v18
	v_xor_b32_e32 v8, v18, v8
	v_cmp_gt_u32_e32 vcc, v8, v12
	v_cndmask_b32_e32 v20, v28, v0, vcc
	v_cndmask_b32_e32 v18, v0, v28, vcc
	v_add_f32_e32 v0, 0, v17
	v_cndmask_b32_e32 v21, v35, v1, vcc
	v_cndmask_b32_e32 v19, v1, v35, vcc
	v_ashrrev_i32_e32 v1, 31, v0
	v_or_b32_e32 v1, 0x80000000, v1
	v_xor_b32_e32 v0, v1, v0
	v_mov_b32_e32 v22, v6
	v_mov_b32_e32 v23, v7
	;; [unrolled: 1-line block ×4, first 2 shown]
	v_cmp_gt_u32_e64 s[8:9], v81, v0
	v_mov_b32_e32 v12, v13
	s_and_saveexec_b64 s[20:21], s[8:9]
	s_cbranch_execz .LBB1448_134
; %bb.133:
	v_mov_b32_e32 v28, v18
	v_mov_b32_e32 v29, v19
	;; [unrolled: 1-line block ×8, first 2 shown]
	v_pk_mov_b32 v[18:19], v[28:29], v[28:29] op_sel:[0,1]
	v_mov_b32_e32 v12, v17
	v_mov_b32_e32 v17, v13
	v_pk_mov_b32 v[20:21], v[30:31], v[30:31] op_sel:[0,1]
	v_pk_mov_b32 v[22:23], v[32:33], v[32:33] op_sel:[0,1]
	;; [unrolled: 1-line block ×3, first 2 shown]
	v_mov_b32_e32 v81, v0
.LBB1448_134:
	s_or_b64 exec, exec, s[20:21]
	v_cndmask_b32_e32 v13, v26, v14, vcc
	v_add_f32_e32 v0, 0, v13
	v_ashrrev_i32_e32 v1, 31, v0
	v_or_b32_e32 v1, 0x80000000, v1
	v_xor_b32_e32 v0, v1, v0
	v_cmp_gt_u32_e64 s[8:9], v0, v81
	v_mov_b32_e32 v8, v13
	v_pk_mov_b32 v[82:83], v[12:13], v[12:13] op_sel:[0,1]
	s_and_saveexec_b64 s[20:21], s[8:9]
	s_cbranch_execz .LBB1448_136
; %bb.135:
	v_mov_b32_e32 v28, v18
	v_mov_b32_e32 v29, v19
	;; [unrolled: 1-line block ×8, first 2 shown]
	v_pk_mov_b32 v[18:19], v[28:29], v[28:29] op_sel:[0,1]
	v_mov_b32_e32 v82, v13
	v_mov_b32_e32 v83, v12
	;; [unrolled: 1-line block ×4, first 2 shown]
	v_pk_mov_b32 v[20:21], v[30:31], v[30:31] op_sel:[0,1]
	v_pk_mov_b32 v[22:23], v[32:33], v[32:33] op_sel:[0,1]
	;; [unrolled: 1-line block ×3, first 2 shown]
.LBB1448_136:
	s_or_b64 exec, exec, s[20:21]
	v_cndmask_b32_e32 v80, v14, v26, vcc
.LBB1448_137:
	s_or_b64 exec, exec, s[12:13]
	v_and_b32_e32 v26, 0xffffff00, v9
	v_mov_b32_e32 v27, 0
	v_lshlrev_b64 v[0:1], 2, v[26:27]
	v_add_co_u32_e32 v30, vcc, v15, v0
	v_addc_co_u32_e32 v31, vcc, v16, v1, vcc
	v_lshlrev_b64 v[0:1], 3, v[26:27]
	v_add_co_u32_e32 v0, vcc, v15, v0
	s_movk_i32 s8, 0x400
	v_addc_co_u32_e32 v1, vcc, v16, v1, vcc
	v_sub_u32_e64 v32, s8, v26 clamp
	v_add_co_u32_e32 v28, vcc, 0x1000, v0
	v_or_b32_e32 v13, 4, v98
	v_addc_co_u32_e32 v29, vcc, 0, v1, vcc
	v_lshlrev_b32_e32 v0, 2, v98
	v_min_u32_e32 v13, v32, v13
	v_add_co_u32_e32 v6, vcc, v30, v0
	v_add_u32_e32 v14, 4, v13
	v_addc_co_u32_e32 v7, vcc, 0, v31, vcc
	v_lshlrev_b32_e32 v0, 3, v98
	v_and_b32_e32 v9, 0x1f8, v98
	v_min_u32_e32 v33, v32, v14
	v_and_b32_e32 v14, 4, v98
	v_add_co_u32_e32 v0, vcc, v28, v0
	v_min_u32_e32 v14, v32, v14
	v_sub_u32_e32 v16, v13, v9
	v_sub_u32_e32 v15, v33, v13
	v_addc_co_u32_e32 v1, vcc, 0, v29, vcc
	v_sub_u32_e64 v15, v14, v15 clamp
	v_min_u32_e32 v16, v14, v16
	v_mov_b32_e32 v81, v83
	v_mov_b32_e32 v83, v17
	v_cmp_lt_u32_e32 vcc, v15, v16
	flat_store_dwordx4 v[0:1], v[18:21]
	flat_store_dwordx4 v[6:7], v[80:83]
	flat_store_dwordx4 v[0:1], v[22:25] offset:16
	; wave barrier
	s_and_saveexec_b64 s[8:9], vcc
	s_cbranch_execz .LBB1448_141
; %bb.138:
	v_lshlrev_b32_e32 v26, 2, v9
	v_add_co_u32_e32 v34, vcc, v30, v26
	v_addc_co_u32_e32 v35, vcc, 0, v31, vcc
	v_lshlrev_b32_e32 v26, 2, v13
	v_add_co_u32_e32 v36, vcc, v30, v26
	v_addc_co_u32_e32 v37, vcc, 0, v31, vcc
	s_mov_b64 s[12:13], 0
.LBB1448_139:                           ; =>This Inner Loop Header: Depth=1
	v_add_u32_e32 v26, v16, v15
	v_lshrrev_b32_e32 v26, 1, v26
	v_lshlrev_b64 v[48:49], 2, v[26:27]
	v_mov_b32_e32 v39, v27
	v_xad_u32 v38, v26, -1, v14
	v_add_co_u32_e32 v48, vcc, v34, v48
	v_addc_co_u32_e32 v49, vcc, v35, v49, vcc
	v_lshlrev_b64 v[38:39], 2, v[38:39]
	v_add_co_u32_e32 v38, vcc, v36, v38
	v_addc_co_u32_e32 v39, vcc, v37, v39, vcc
	flat_load_dword v50, v[48:49]
	flat_load_dword v51, v[38:39]
	v_add_u32_e32 v48, 1, v26
	s_waitcnt vmcnt(0) lgkmcnt(0)
	v_pk_add_f32 v[38:39], v[50:51], 0 op_sel_hi:[1,0]
	v_ashrrev_i32_e32 v49, 31, v39
	v_ashrrev_i32_e32 v50, 31, v38
	v_or_b32_e32 v50, 0x80000000, v50
	v_or_b32_e32 v49, 0x80000000, v49
	v_xor_b32_e32 v39, v49, v39
	v_xor_b32_e32 v38, v50, v38
	v_cmp_gt_u32_e32 vcc, v38, v39
	v_cndmask_b32_e32 v16, v16, v26, vcc
	v_cndmask_b32_e32 v15, v48, v15, vcc
	v_cmp_ge_u32_e32 vcc, v15, v16
	s_or_b64 s[12:13], vcc, s[12:13]
	s_andn2_b64 exec, exec, s[12:13]
	s_cbranch_execnz .LBB1448_139
; %bb.140:
	s_or_b64 exec, exec, s[12:13]
.LBB1448_141:
	s_or_b64 exec, exec, s[8:9]
	v_add_u32_e32 v16, v15, v9
	v_add_u32_e32 v9, v13, v14
	v_sub_u32_e32 v26, v9, v15
	v_cmp_le_u32_e32 vcc, v16, v13
	v_cmp_le_u32_e64 s[8:9], v26, v33
	s_or_b64 s[8:9], vcc, s[8:9]
	s_and_saveexec_b64 s[12:13], s[8:9]
	s_cbranch_execz .LBB1448_161
; %bb.142:
	v_cmp_ge_u32_e32 vcc, v16, v13
	v_cmp_lt_u32_e64 s[8:9], v16, v13
                                        ; implicit-def: $vgpr14
	s_and_saveexec_b64 s[20:21], s[8:9]
	s_cbranch_execz .LBB1448_144
; %bb.143:
	v_mov_b32_e32 v17, 0
	v_lshlrev_b64 v[8:9], 2, v[16:17]
	v_add_co_u32_e64 v8, s[8:9], v30, v8
	v_addc_co_u32_e64 v9, s[8:9], v31, v9, s[8:9]
	flat_load_dword v14, v[8:9]
.LBB1448_144:
	s_or_b64 exec, exec, s[20:21]
	v_cmp_ge_u32_e64 s[20:21], v26, v33
	v_cmp_lt_u32_e64 s[8:9], v26, v33
	s_and_saveexec_b64 s[22:23], s[8:9]
	s_cbranch_execz .LBB1448_146
; %bb.145:
	v_mov_b32_e32 v27, 0
	v_lshlrev_b64 v[8:9], 2, v[26:27]
	v_add_co_u32_e64 v8, s[8:9], v30, v8
	v_addc_co_u32_e64 v9, s[8:9], v31, v9, s[8:9]
	flat_load_dword v15, v[8:9]
.LBB1448_146:
	s_or_b64 exec, exec, s[22:23]
	s_or_b64 s[22:23], vcc, s[20:21]
	s_mov_b64 s[8:9], -1
	s_xor_b64 s[24:25], s[22:23], -1
	s_and_saveexec_b64 s[22:23], s[24:25]
	s_cbranch_execz .LBB1448_148
; %bb.147:
	s_waitcnt vmcnt(0) lgkmcnt(0)
	v_pk_add_f32 v[8:9], v[14:15], 0 op_sel_hi:[1,0]
	v_ashrrev_i32_e32 v12, 31, v9
	v_ashrrev_i32_e32 v17, 31, v8
	v_or_b32_e32 v17, 0x80000000, v17
	v_or_b32_e32 v12, 0x80000000, v12
	v_xor_b32_e32 v9, v12, v9
	v_xor_b32_e32 v8, v17, v8
	v_cmp_le_u32_e32 vcc, v8, v9
	s_andn2_b64 s[20:21], s[20:21], exec
	s_and_b64 s[24:25], vcc, exec
	s_or_b64 s[20:21], s[20:21], s[24:25]
.LBB1448_148:
	s_or_b64 exec, exec, s[22:23]
	v_cndmask_b32_e64 v8, v26, v16, s[20:21]
	v_cndmask_b32_e64 v12, v33, v13, s[20:21]
	v_mov_b32_e32 v9, 0
	v_lshlrev_b64 v[18:19], 3, v[8:9]
	v_add_u32_e32 v17, 1, v8
	v_add_u32_e32 v8, -1, v12
	v_min_u32_e32 v8, v17, v8
	v_lshlrev_b64 v[20:21], 2, v[8:9]
	v_add_co_u32_e32 v20, vcc, v30, v20
	v_addc_co_u32_e32 v21, vcc, v31, v21, vcc
	v_add_co_u32_e32 v18, vcc, v28, v18
	flat_load_dword v8, v[20:21]
	v_addc_co_u32_e32 v19, vcc, v29, v19, vcc
	flat_load_dwordx2 v[18:19], v[18:19]
	v_cndmask_b32_e64 v12, v17, v26, s[20:21]
	v_cndmask_b32_e64 v22, v16, v17, s[20:21]
	v_cmp_lt_u32_e32 vcc, v12, v33
	s_waitcnt vmcnt(0) lgkmcnt(0)
	v_cndmask_b32_e64 v16, v8, v15, s[20:21]
	v_cndmask_b32_e64 v17, v14, v8, s[20:21]
	s_and_saveexec_b64 s[22:23], vcc
	s_cbranch_execz .LBB1448_152
; %bb.149:
	v_cmp_lt_u32_e32 vcc, v22, v13
	s_mov_b64 s[24:25], 0
	s_and_saveexec_b64 s[8:9], vcc
; %bb.150:
	v_add_f32_e32 v8, 0, v17
	v_ashrrev_i32_e32 v21, 31, v8
	v_add_f32_e32 v20, 0, v16
	v_or_b32_e32 v21, 0x80000000, v21
	v_xor_b32_e32 v8, v21, v8
	v_ashrrev_i32_e32 v21, 31, v20
	v_or_b32_e32 v21, 0x80000000, v21
	v_xor_b32_e32 v20, v21, v20
	v_cmp_le_u32_e32 vcc, v8, v20
	s_and_b64 s[24:25], vcc, exec
; %bb.151:
	s_or_b64 exec, exec, s[8:9]
	s_orn2_b64 s[8:9], s[24:25], exec
.LBB1448_152:
	s_or_b64 exec, exec, s[22:23]
	v_cndmask_b32_e64 v8, v12, v22, s[8:9]
	v_cndmask_b32_e64 v23, v33, v13, s[8:9]
	v_lshlrev_b64 v[20:21], 3, v[8:9]
	v_add_u32_e32 v25, 1, v8
	v_add_u32_e32 v8, -1, v23
	v_min_u32_e32 v8, v25, v8
	v_lshlrev_b64 v[8:9], 2, v[8:9]
	v_add_co_u32_e32 v8, vcc, v30, v8
	v_addc_co_u32_e32 v9, vcc, v31, v9, vcc
	flat_load_dword v23, v[8:9]
	v_add_co_u32_e32 v8, vcc, v28, v20
	v_addc_co_u32_e32 v9, vcc, v29, v21, vcc
	flat_load_dwordx2 v[20:21], v[8:9]
	v_cndmask_b32_e64 v24, v25, v12, s[8:9]
	s_mov_b64 s[22:23], -1
	v_cndmask_b32_e64 v25, v22, v25, s[8:9]
	v_cmp_lt_u32_e32 vcc, v24, v33
	s_mov_b64 s[24:25], -1
	s_waitcnt vmcnt(0) lgkmcnt(0)
	v_cndmask_b32_e64 v12, v23, v16, s[8:9]
	v_cndmask_b32_e64 v26, v17, v23, s[8:9]
	s_and_saveexec_b64 s[26:27], vcc
	s_cbranch_execz .LBB1448_156
; %bb.153:
	v_cmp_lt_u32_e32 vcc, v25, v13
	s_mov_b64 s[28:29], 0
	s_and_saveexec_b64 s[24:25], vcc
; %bb.154:
	v_add_f32_e32 v8, 0, v26
	v_ashrrev_i32_e32 v22, 31, v8
	v_add_f32_e32 v9, 0, v12
	v_or_b32_e32 v22, 0x80000000, v22
	v_xor_b32_e32 v8, v22, v8
	v_ashrrev_i32_e32 v22, 31, v9
	v_or_b32_e32 v22, 0x80000000, v22
	v_xor_b32_e32 v9, v22, v9
	v_cmp_le_u32_e32 vcc, v8, v9
	s_and_b64 s[28:29], vcc, exec
; %bb.155:
	s_or_b64 exec, exec, s[24:25]
	s_orn2_b64 s[24:25], s[28:29], exec
.LBB1448_156:
	s_or_b64 exec, exec, s[26:27]
	v_cndmask_b32_e64 v8, v24, v25, s[24:25]
	v_cndmask_b32_e64 v27, v33, v13, s[24:25]
	v_mov_b32_e32 v9, 0
	v_lshlrev_b64 v[22:23], 3, v[8:9]
	v_add_u32_e32 v36, 1, v8
	v_add_u32_e32 v8, -1, v27
	v_min_u32_e32 v8, v36, v8
	v_lshlrev_b64 v[34:35], 2, v[8:9]
	v_add_co_u32_e32 v34, vcc, v30, v34
	v_addc_co_u32_e32 v35, vcc, v31, v35, vcc
	v_add_co_u32_e32 v22, vcc, v28, v22
	flat_load_dword v34, v[34:35]
	v_addc_co_u32_e32 v23, vcc, v29, v23, vcc
	flat_load_dwordx2 v[22:23], v[22:23]
	v_cndmask_b32_e64 v8, v36, v24, s[24:25]
	v_cndmask_b32_e64 v24, v25, v36, s[24:25]
	v_cmp_lt_u32_e32 vcc, v8, v33
	s_waitcnt vmcnt(0) lgkmcnt(0)
	v_cndmask_b32_e64 v27, v34, v12, s[24:25]
	v_cndmask_b32_e64 v34, v26, v34, s[24:25]
	s_and_saveexec_b64 s[26:27], vcc
	s_cbranch_execz .LBB1448_160
; %bb.157:
	v_cmp_lt_u32_e32 vcc, v24, v13
	s_mov_b64 s[28:29], 0
	s_and_saveexec_b64 s[22:23], vcc
; %bb.158:
	v_add_f32_e32 v13, 0, v34
	v_ashrrev_i32_e32 v33, 31, v13
	v_add_f32_e32 v25, 0, v27
	v_or_b32_e32 v33, 0x80000000, v33
	v_xor_b32_e32 v13, v33, v13
	v_ashrrev_i32_e32 v33, 31, v25
	v_or_b32_e32 v33, 0x80000000, v33
	v_xor_b32_e32 v25, v33, v25
	v_cmp_le_u32_e32 vcc, v13, v25
	s_and_b64 s[28:29], vcc, exec
; %bb.159:
	s_or_b64 exec, exec, s[22:23]
	s_orn2_b64 s[22:23], s[28:29], exec
.LBB1448_160:
	s_or_b64 exec, exec, s[26:27]
	v_cndmask_b32_e64 v8, v8, v24, s[22:23]
	v_lshlrev_b64 v[8:9], 3, v[8:9]
	v_add_co_u32_e32 v8, vcc, v28, v8
	v_addc_co_u32_e32 v9, vcc, v29, v9, vcc
	flat_load_dwordx2 v[24:25], v[8:9]
	v_cndmask_b32_e64 v12, v12, v26, s[24:25]
	v_cndmask_b32_e64 v8, v16, v17, s[8:9]
	;; [unrolled: 1-line block ×4, first 2 shown]
.LBB1448_161:
	s_or_b64 exec, exec, s[12:13]
	v_and_b32_e32 v13, 0x1f0, v98
	v_or_b32_e32 v9, 8, v13
	v_min_u32_e32 v26, v32, v9
	v_add_u32_e32 v9, 8, v26
	v_min_u32_e32 v27, v32, v9
	v_and_b32_e32 v9, 12, v98
	v_min_u32_e32 v16, v32, v9
	v_sub_u32_e32 v9, v26, v13
	v_sub_u32_e32 v14, v27, v26
	v_sub_u32_e64 v33, v16, v14 clamp
	v_min_u32_e32 v9, v16, v9
	v_mov_b32_e32 v81, v8
	v_mov_b32_e32 v82, v12
	;; [unrolled: 1-line block ×3, first 2 shown]
	v_cmp_lt_u32_e32 vcc, v33, v9
	; wave barrier
	flat_store_dwordx4 v[0:1], v[18:21]
	flat_store_dwordx4 v[6:7], v[80:83]
	s_waitcnt vmcnt(0) lgkmcnt(0)
	flat_store_dwordx4 v[0:1], v[22:25] offset:16
	; wave barrier
	s_and_saveexec_b64 s[8:9], vcc
	s_cbranch_execz .LBB1448_165
; %bb.162:
	v_lshlrev_b32_e32 v14, 2, v13
	v_add_co_u32_e32 v34, vcc, v30, v14
	v_addc_co_u32_e32 v35, vcc, 0, v31, vcc
	v_lshlrev_b32_e32 v14, 2, v26
	v_add_co_u32_e32 v36, vcc, v30, v14
	v_addc_co_u32_e32 v37, vcc, 0, v31, vcc
	s_mov_b64 s[12:13], 0
	v_mov_b32_e32 v15, 0
.LBB1448_163:                           ; =>This Inner Loop Header: Depth=1
	v_add_u32_e32 v14, v9, v33
	v_lshrrev_b32_e32 v14, 1, v14
	v_lshlrev_b64 v[48:49], 2, v[14:15]
	v_mov_b32_e32 v39, v15
	v_xad_u32 v38, v14, -1, v16
	v_add_co_u32_e32 v48, vcc, v34, v48
	v_addc_co_u32_e32 v49, vcc, v35, v49, vcc
	v_lshlrev_b64 v[38:39], 2, v[38:39]
	v_add_co_u32_e32 v38, vcc, v36, v38
	v_addc_co_u32_e32 v39, vcc, v37, v39, vcc
	flat_load_dword v50, v[48:49]
	flat_load_dword v51, v[38:39]
	v_add_u32_e32 v48, 1, v14
	s_waitcnt vmcnt(0) lgkmcnt(0)
	v_pk_add_f32 v[38:39], v[50:51], 0 op_sel_hi:[1,0]
	v_ashrrev_i32_e32 v49, 31, v39
	v_ashrrev_i32_e32 v50, 31, v38
	v_or_b32_e32 v50, 0x80000000, v50
	v_or_b32_e32 v49, 0x80000000, v49
	v_xor_b32_e32 v39, v49, v39
	v_xor_b32_e32 v38, v50, v38
	v_cmp_gt_u32_e32 vcc, v38, v39
	v_cndmask_b32_e32 v9, v9, v14, vcc
	v_cndmask_b32_e32 v33, v48, v33, vcc
	v_cmp_ge_u32_e32 vcc, v33, v9
	s_or_b64 s[12:13], vcc, s[12:13]
	s_andn2_b64 exec, exec, s[12:13]
	s_cbranch_execnz .LBB1448_163
; %bb.164:
	s_or_b64 exec, exec, s[12:13]
.LBB1448_165:
	s_or_b64 exec, exec, s[8:9]
	v_add_u32_e32 v14, v33, v13
	v_add_u32_e32 v13, v26, v16
	v_sub_u32_e32 v16, v13, v33
	v_cmp_le_u32_e32 vcc, v14, v26
	v_cmp_le_u32_e64 s[8:9], v16, v27
	v_mov_b32_e32 v9, v12
	s_or_b64 s[8:9], vcc, s[8:9]
	s_and_saveexec_b64 s[12:13], s[8:9]
	s_cbranch_execz .LBB1448_185
; %bb.166:
	v_cmp_ge_u32_e32 vcc, v14, v26
	v_cmp_lt_u32_e64 s[8:9], v14, v26
                                        ; implicit-def: $vgpr12
	s_and_saveexec_b64 s[20:21], s[8:9]
	s_cbranch_execz .LBB1448_168
; %bb.167:
	v_mov_b32_e32 v15, 0
	v_lshlrev_b64 v[8:9], 2, v[14:15]
	v_add_co_u32_e64 v8, s[8:9], v30, v8
	v_addc_co_u32_e64 v9, s[8:9], v31, v9, s[8:9]
	flat_load_dword v12, v[8:9]
.LBB1448_168:
	s_or_b64 exec, exec, s[20:21]
	v_cmp_ge_u32_e64 s[20:21], v16, v27
	v_cmp_lt_u32_e64 s[8:9], v16, v27
	s_and_saveexec_b64 s[22:23], s[8:9]
	s_cbranch_execz .LBB1448_170
; %bb.169:
	v_mov_b32_e32 v17, 0
	v_lshlrev_b64 v[8:9], 2, v[16:17]
	v_add_co_u32_e64 v8, s[8:9], v30, v8
	v_addc_co_u32_e64 v9, s[8:9], v31, v9, s[8:9]
	flat_load_dword v13, v[8:9]
.LBB1448_170:
	s_or_b64 exec, exec, s[22:23]
	s_or_b64 s[22:23], vcc, s[20:21]
	s_mov_b64 s[8:9], -1
	s_xor_b64 s[24:25], s[22:23], -1
	s_and_saveexec_b64 s[22:23], s[24:25]
	s_cbranch_execz .LBB1448_172
; %bb.171:
	s_waitcnt vmcnt(0) lgkmcnt(0)
	v_pk_add_f32 v[8:9], v[12:13], 0 op_sel_hi:[1,0]
	v_ashrrev_i32_e32 v15, 31, v9
	v_ashrrev_i32_e32 v17, 31, v8
	v_or_b32_e32 v17, 0x80000000, v17
	v_or_b32_e32 v15, 0x80000000, v15
	v_xor_b32_e32 v9, v15, v9
	v_xor_b32_e32 v8, v17, v8
	v_cmp_le_u32_e32 vcc, v8, v9
	s_andn2_b64 s[20:21], s[20:21], exec
	s_and_b64 s[24:25], vcc, exec
	s_or_b64 s[20:21], s[20:21], s[24:25]
.LBB1448_172:
	s_or_b64 exec, exec, s[22:23]
	v_cndmask_b32_e64 v8, v16, v14, s[20:21]
	v_cndmask_b32_e64 v15, v27, v26, s[20:21]
	v_mov_b32_e32 v9, 0
	v_lshlrev_b64 v[18:19], 3, v[8:9]
	v_add_u32_e32 v17, 1, v8
	v_add_u32_e32 v8, -1, v15
	v_min_u32_e32 v8, v17, v8
	v_lshlrev_b64 v[20:21], 2, v[8:9]
	v_add_co_u32_e32 v20, vcc, v30, v20
	v_addc_co_u32_e32 v21, vcc, v31, v21, vcc
	v_add_co_u32_e32 v18, vcc, v28, v18
	flat_load_dword v8, v[20:21]
	v_addc_co_u32_e32 v19, vcc, v29, v19, vcc
	flat_load_dwordx2 v[18:19], v[18:19]
	v_cndmask_b32_e64 v16, v17, v16, s[20:21]
	v_cndmask_b32_e64 v17, v14, v17, s[20:21]
	v_cmp_lt_u32_e32 vcc, v16, v27
	s_waitcnt vmcnt(0) lgkmcnt(0)
	v_cndmask_b32_e64 v14, v8, v13, s[20:21]
	v_cndmask_b32_e64 v15, v12, v8, s[20:21]
	s_and_saveexec_b64 s[22:23], vcc
	s_cbranch_execz .LBB1448_176
; %bb.173:
	v_cmp_lt_u32_e32 vcc, v17, v26
	s_mov_b64 s[24:25], 0
	s_and_saveexec_b64 s[8:9], vcc
; %bb.174:
	v_add_f32_e32 v8, 0, v15
	v_ashrrev_i32_e32 v21, 31, v8
	v_add_f32_e32 v20, 0, v14
	v_or_b32_e32 v21, 0x80000000, v21
	v_xor_b32_e32 v8, v21, v8
	v_ashrrev_i32_e32 v21, 31, v20
	v_or_b32_e32 v21, 0x80000000, v21
	v_xor_b32_e32 v20, v21, v20
	v_cmp_le_u32_e32 vcc, v8, v20
	s_and_b64 s[24:25], vcc, exec
; %bb.175:
	s_or_b64 exec, exec, s[8:9]
	s_orn2_b64 s[8:9], s[24:25], exec
.LBB1448_176:
	s_or_b64 exec, exec, s[22:23]
	v_cndmask_b32_e64 v8, v16, v17, s[8:9]
	v_cndmask_b32_e64 v22, v27, v26, s[8:9]
	v_lshlrev_b64 v[20:21], 3, v[8:9]
	v_add_u32_e32 v23, 1, v8
	v_add_u32_e32 v8, -1, v22
	v_min_u32_e32 v8, v23, v8
	v_lshlrev_b64 v[8:9], 2, v[8:9]
	v_add_co_u32_e32 v8, vcc, v30, v8
	v_addc_co_u32_e32 v9, vcc, v31, v9, vcc
	flat_load_dword v22, v[8:9]
	v_add_co_u32_e32 v8, vcc, v28, v20
	v_addc_co_u32_e32 v9, vcc, v29, v21, vcc
	flat_load_dwordx2 v[20:21], v[8:9]
	v_cndmask_b32_e64 v24, v23, v16, s[8:9]
	s_mov_b64 s[22:23], -1
	v_cndmask_b32_e64 v25, v17, v23, s[8:9]
	v_cmp_lt_u32_e32 vcc, v24, v27
	s_mov_b64 s[24:25], -1
	s_waitcnt vmcnt(0) lgkmcnt(0)
	v_cndmask_b32_e64 v16, v22, v14, s[8:9]
	v_cndmask_b32_e64 v17, v15, v22, s[8:9]
	s_and_saveexec_b64 s[26:27], vcc
	s_cbranch_execz .LBB1448_180
; %bb.177:
	v_cmp_lt_u32_e32 vcc, v25, v26
	s_mov_b64 s[28:29], 0
	s_and_saveexec_b64 s[24:25], vcc
; %bb.178:
	v_add_f32_e32 v8, 0, v17
	v_ashrrev_i32_e32 v22, 31, v8
	v_add_f32_e32 v9, 0, v16
	v_or_b32_e32 v22, 0x80000000, v22
	v_xor_b32_e32 v8, v22, v8
	v_ashrrev_i32_e32 v22, 31, v9
	v_or_b32_e32 v22, 0x80000000, v22
	v_xor_b32_e32 v9, v22, v9
	v_cmp_le_u32_e32 vcc, v8, v9
	s_and_b64 s[28:29], vcc, exec
; %bb.179:
	s_or_b64 exec, exec, s[24:25]
	s_orn2_b64 s[24:25], s[28:29], exec
.LBB1448_180:
	s_or_b64 exec, exec, s[26:27]
	v_cndmask_b32_e64 v8, v24, v25, s[24:25]
	v_cndmask_b32_e64 v33, v27, v26, s[24:25]
	v_mov_b32_e32 v9, 0
	v_lshlrev_b64 v[22:23], 3, v[8:9]
	v_add_u32_e32 v36, 1, v8
	v_add_u32_e32 v8, -1, v33
	v_min_u32_e32 v8, v36, v8
	v_lshlrev_b64 v[34:35], 2, v[8:9]
	v_add_co_u32_e32 v34, vcc, v30, v34
	v_addc_co_u32_e32 v35, vcc, v31, v35, vcc
	v_add_co_u32_e32 v22, vcc, v28, v22
	flat_load_dword v34, v[34:35]
	v_addc_co_u32_e32 v23, vcc, v29, v23, vcc
	flat_load_dwordx2 v[22:23], v[22:23]
	v_cndmask_b32_e64 v8, v36, v24, s[24:25]
	v_cndmask_b32_e64 v24, v25, v36, s[24:25]
	v_cmp_lt_u32_e32 vcc, v8, v27
	s_waitcnt vmcnt(0) lgkmcnt(0)
	v_cndmask_b32_e64 v33, v34, v16, s[24:25]
	v_cndmask_b32_e64 v34, v17, v34, s[24:25]
	s_and_saveexec_b64 s[26:27], vcc
	s_cbranch_execz .LBB1448_184
; %bb.181:
	v_cmp_lt_u32_e32 vcc, v24, v26
	s_mov_b64 s[28:29], 0
	s_and_saveexec_b64 s[22:23], vcc
; %bb.182:
	v_add_f32_e32 v25, 0, v34
	v_ashrrev_i32_e32 v27, 31, v25
	v_add_f32_e32 v26, 0, v33
	v_or_b32_e32 v27, 0x80000000, v27
	v_xor_b32_e32 v25, v27, v25
	v_ashrrev_i32_e32 v27, 31, v26
	v_or_b32_e32 v27, 0x80000000, v27
	v_xor_b32_e32 v26, v27, v26
	v_cmp_le_u32_e32 vcc, v25, v26
	s_and_b64 s[28:29], vcc, exec
; %bb.183:
	s_or_b64 exec, exec, s[22:23]
	s_orn2_b64 s[22:23], s[28:29], exec
.LBB1448_184:
	s_or_b64 exec, exec, s[26:27]
	v_cndmask_b32_e64 v8, v8, v24, s[22:23]
	v_lshlrev_b64 v[8:9], 3, v[8:9]
	v_add_co_u32_e32 v8, vcc, v28, v8
	v_addc_co_u32_e32 v9, vcc, v29, v9, vcc
	flat_load_dwordx2 v[24:25], v[8:9]
	v_cndmask_b32_e64 v9, v16, v17, s[24:25]
	v_cndmask_b32_e64 v8, v14, v15, s[8:9]
	;; [unrolled: 1-line block ×4, first 2 shown]
	v_mov_b32_e32 v12, v9
.LBB1448_185:
	s_or_b64 exec, exec, s[12:13]
	v_mov_b32_e32 v81, v8
	v_mov_b32_e32 v82, v9
	;; [unrolled: 1-line block ×3, first 2 shown]
	; wave barrier
	flat_store_dwordx4 v[0:1], v[18:21]
	flat_store_dwordx4 v[6:7], v[80:83]
	s_waitcnt vmcnt(0) lgkmcnt(0)
	flat_store_dwordx4 v[0:1], v[22:25] offset:16
	v_and_b32_e32 v6, 0x1e0, v98
	v_or_b32_e32 v0, 16, v6
	v_min_u32_e32 v13, v32, v0
	v_add_u32_e32 v0, 16, v13
	v_min_u32_e32 v16, v32, v0
	v_min_u32_e32 v7, v32, v96
	v_sub_u32_e32 v0, v13, v6
	v_sub_u32_e32 v1, v16, v13
	v_sub_u32_e64 v9, v7, v1 clamp
	v_min_u32_e32 v14, v7, v0
	v_cmp_lt_u32_e32 vcc, v9, v14
	; wave barrier
	s_and_saveexec_b64 s[8:9], vcc
	s_cbranch_execz .LBB1448_189
; %bb.186:
	v_lshlrev_b32_e32 v0, 2, v6
	v_add_co_u32_e32 v15, vcc, v30, v0
	v_addc_co_u32_e32 v26, vcc, 0, v31, vcc
	v_lshlrev_b32_e32 v0, 2, v13
	v_add_co_u32_e32 v27, vcc, v30, v0
	v_addc_co_u32_e32 v32, vcc, 0, v31, vcc
	s_mov_b64 s[12:13], 0
	v_mov_b32_e32 v1, 0
.LBB1448_187:                           ; =>This Inner Loop Header: Depth=1
	v_add_u32_e32 v0, v14, v9
	v_lshrrev_b32_e32 v0, 1, v0
	v_lshlrev_b64 v[36:37], 2, v[0:1]
	v_mov_b32_e32 v35, v1
	v_xad_u32 v34, v0, -1, v7
	v_add_co_u32_e32 v36, vcc, v15, v36
	v_addc_co_u32_e32 v37, vcc, v26, v37, vcc
	v_lshlrev_b64 v[34:35], 2, v[34:35]
	v_add_co_u32_e32 v34, vcc, v27, v34
	v_addc_co_u32_e32 v35, vcc, v32, v35, vcc
	flat_load_dword v38, v[36:37]
	flat_load_dword v39, v[34:35]
	v_add_u32_e32 v33, 1, v0
	s_waitcnt vmcnt(0) lgkmcnt(0)
	v_pk_add_f32 v[34:35], v[38:39], 0 op_sel_hi:[1,0]
	v_ashrrev_i32_e32 v36, 31, v35
	v_ashrrev_i32_e32 v37, 31, v34
	v_or_b32_e32 v37, 0x80000000, v37
	v_or_b32_e32 v36, 0x80000000, v36
	v_xor_b32_e32 v35, v36, v35
	v_xor_b32_e32 v34, v37, v34
	v_cmp_gt_u32_e32 vcc, v34, v35
	v_cndmask_b32_e32 v14, v14, v0, vcc
	v_cndmask_b32_e32 v9, v33, v9, vcc
	v_cmp_ge_u32_e32 vcc, v9, v14
	s_or_b64 s[12:13], vcc, s[12:13]
	s_andn2_b64 exec, exec, s[12:13]
	s_cbranch_execnz .LBB1448_187
; %bb.188:
	s_or_b64 exec, exec, s[12:13]
.LBB1448_189:
	s_or_b64 exec, exec, s[8:9]
	v_add_u32_e32 v0, v13, v7
	v_add_u32_e32 v6, v9, v6
	v_sub_u32_e32 v14, v0, v9
	v_cmp_le_u32_e32 vcc, v6, v13
	v_cmp_le_u32_e64 s[8:9], v14, v16
	s_or_b64 s[8:9], vcc, s[8:9]
	s_and_saveexec_b64 s[12:13], s[8:9]
	s_cbranch_execz .LBB1448_209
; %bb.190:
	v_cmp_ge_u32_e32 vcc, v6, v13
	v_cmp_lt_u32_e64 s[8:9], v6, v13
                                        ; implicit-def: $vgpr0
	s_and_saveexec_b64 s[20:21], s[8:9]
	s_cbranch_execz .LBB1448_192
; %bb.191:
	v_mov_b32_e32 v7, 0
	v_lshlrev_b64 v[0:1], 2, v[6:7]
	v_add_co_u32_e64 v0, s[8:9], v30, v0
	v_addc_co_u32_e64 v1, s[8:9], v31, v1, s[8:9]
	flat_load_dword v0, v[0:1]
.LBB1448_192:
	s_or_b64 exec, exec, s[20:21]
	v_cmp_ge_u32_e64 s[20:21], v14, v16
	v_cmp_lt_u32_e64 s[8:9], v14, v16
	s_and_saveexec_b64 s[22:23], s[8:9]
	s_cbranch_execz .LBB1448_194
; %bb.193:
	v_mov_b32_e32 v15, 0
	v_lshlrev_b64 v[8:9], 2, v[14:15]
	v_add_co_u32_e64 v8, s[8:9], v30, v8
	v_addc_co_u32_e64 v9, s[8:9], v31, v9, s[8:9]
	flat_load_dword v1, v[8:9]
.LBB1448_194:
	s_or_b64 exec, exec, s[22:23]
	s_or_b64 s[22:23], vcc, s[20:21]
	s_mov_b64 s[8:9], -1
	s_xor_b64 s[24:25], s[22:23], -1
	s_and_saveexec_b64 s[22:23], s[24:25]
	s_cbranch_execz .LBB1448_196
; %bb.195:
	s_waitcnt vmcnt(0) lgkmcnt(0)
	v_pk_add_f32 v[8:9], v[0:1], 0 op_sel_hi:[1,0]
	v_ashrrev_i32_e32 v7, 31, v9
	v_ashrrev_i32_e32 v12, 31, v8
	v_or_b32_e32 v12, 0x80000000, v12
	v_or_b32_e32 v7, 0x80000000, v7
	v_xor_b32_e32 v7, v7, v9
	v_xor_b32_e32 v8, v12, v8
	v_cmp_le_u32_e32 vcc, v8, v7
	s_andn2_b64 s[20:21], s[20:21], exec
	s_and_b64 s[24:25], vcc, exec
	s_or_b64 s[20:21], s[20:21], s[24:25]
.LBB1448_196:
	s_or_b64 exec, exec, s[22:23]
	v_cndmask_b32_e64 v8, v14, v6, s[20:21]
	v_cndmask_b32_e64 v7, v16, v13, s[20:21]
	v_mov_b32_e32 v9, 0
	v_add_u32_e32 v12, 1, v8
	v_add_u32_e32 v7, -1, v7
	v_lshlrev_b64 v[18:19], 3, v[8:9]
	v_min_u32_e32 v8, v12, v7
	v_lshlrev_b64 v[20:21], 2, v[8:9]
	v_add_co_u32_e32 v20, vcc, v30, v20
	v_addc_co_u32_e32 v21, vcc, v31, v21, vcc
	v_add_co_u32_e32 v18, vcc, v28, v18
	flat_load_dword v8, v[20:21]
	v_addc_co_u32_e32 v19, vcc, v29, v19, vcc
	flat_load_dwordx2 v[18:19], v[18:19]
	v_cndmask_b32_e64 v7, v12, v14, s[20:21]
	v_cndmask_b32_e64 v6, v6, v12, s[20:21]
	v_cmp_lt_u32_e32 vcc, v7, v16
	s_waitcnt vmcnt(0) lgkmcnt(0)
	v_cndmask_b32_e64 v14, v8, v1, s[20:21]
	v_cndmask_b32_e64 v15, v0, v8, s[20:21]
	s_and_saveexec_b64 s[22:23], vcc
	s_cbranch_execz .LBB1448_200
; %bb.197:
	v_cmp_lt_u32_e32 vcc, v6, v13
	s_mov_b64 s[24:25], 0
	s_and_saveexec_b64 s[8:9], vcc
; %bb.198:
	v_add_f32_e32 v8, 0, v15
	v_ashrrev_i32_e32 v17, 31, v8
	v_add_f32_e32 v12, 0, v14
	v_or_b32_e32 v17, 0x80000000, v17
	v_xor_b32_e32 v8, v17, v8
	v_ashrrev_i32_e32 v17, 31, v12
	v_or_b32_e32 v17, 0x80000000, v17
	v_xor_b32_e32 v12, v17, v12
	v_cmp_le_u32_e32 vcc, v8, v12
	s_and_b64 s[24:25], vcc, exec
; %bb.199:
	s_or_b64 exec, exec, s[8:9]
	s_orn2_b64 s[8:9], s[24:25], exec
.LBB1448_200:
	s_or_b64 exec, exec, s[22:23]
	v_cndmask_b32_e64 v8, v7, v6, s[8:9]
	v_cndmask_b32_e64 v12, v16, v13, s[8:9]
	v_lshlrev_b64 v[20:21], 3, v[8:9]
	v_add_u32_e32 v17, 1, v8
	v_add_u32_e32 v8, -1, v12
	v_min_u32_e32 v8, v17, v8
	v_lshlrev_b64 v[8:9], 2, v[8:9]
	v_add_co_u32_e32 v8, vcc, v30, v8
	v_addc_co_u32_e32 v9, vcc, v31, v9, vcc
	flat_load_dword v22, v[8:9]
	v_add_co_u32_e32 v8, vcc, v28, v20
	v_addc_co_u32_e32 v9, vcc, v29, v21, vcc
	flat_load_dwordx2 v[20:21], v[8:9]
	v_cndmask_b32_e64 v12, v17, v7, s[8:9]
	s_mov_b64 s[22:23], -1
	v_cndmask_b32_e64 v17, v6, v17, s[8:9]
	v_cmp_lt_u32_e32 vcc, v12, v16
	s_mov_b64 s[24:25], -1
	s_waitcnt vmcnt(0) lgkmcnt(0)
	v_cndmask_b32_e64 v8, v22, v14, s[8:9]
	v_cndmask_b32_e64 v9, v15, v22, s[8:9]
	s_and_saveexec_b64 s[26:27], vcc
	s_cbranch_execz .LBB1448_204
; %bb.201:
	v_cmp_lt_u32_e32 vcc, v17, v13
	s_mov_b64 s[28:29], 0
	s_and_saveexec_b64 s[24:25], vcc
; %bb.202:
	v_add_f32_e32 v6, 0, v9
	v_ashrrev_i32_e32 v22, 31, v6
	v_add_f32_e32 v7, 0, v8
	v_or_b32_e32 v22, 0x80000000, v22
	v_xor_b32_e32 v6, v22, v6
	v_ashrrev_i32_e32 v22, 31, v7
	v_or_b32_e32 v22, 0x80000000, v22
	v_xor_b32_e32 v7, v22, v7
	v_cmp_le_u32_e32 vcc, v6, v7
	s_and_b64 s[28:29], vcc, exec
; %bb.203:
	s_or_b64 exec, exec, s[24:25]
	s_orn2_b64 s[24:25], s[28:29], exec
.LBB1448_204:
	s_or_b64 exec, exec, s[26:27]
	v_cndmask_b32_e64 v6, v12, v17, s[24:25]
	v_cndmask_b32_e64 v24, v16, v13, s[24:25]
	v_mov_b32_e32 v7, 0
	v_lshlrev_b64 v[22:23], 3, v[6:7]
	v_add_u32_e32 v26, 1, v6
	v_add_u32_e32 v6, -1, v24
	v_min_u32_e32 v6, v26, v6
	v_lshlrev_b64 v[24:25], 2, v[6:7]
	v_add_co_u32_e32 v24, vcc, v30, v24
	v_addc_co_u32_e32 v25, vcc, v31, v25, vcc
	v_add_co_u32_e32 v22, vcc, v28, v22
	flat_load_dword v24, v[24:25]
	v_addc_co_u32_e32 v23, vcc, v29, v23, vcc
	flat_load_dwordx2 v[22:23], v[22:23]
	v_cndmask_b32_e64 v6, v26, v12, s[24:25]
	v_cndmask_b32_e64 v12, v17, v26, s[24:25]
	v_cmp_lt_u32_e32 vcc, v6, v16
	s_waitcnt vmcnt(0) lgkmcnt(0)
	v_cndmask_b32_e64 v17, v24, v8, s[24:25]
	v_cndmask_b32_e64 v26, v9, v24, s[24:25]
	s_and_saveexec_b64 s[26:27], vcc
	s_cbranch_execz .LBB1448_208
; %bb.205:
	v_cmp_lt_u32_e32 vcc, v12, v13
	s_mov_b64 s[28:29], 0
	s_and_saveexec_b64 s[22:23], vcc
; %bb.206:
	v_add_f32_e32 v13, 0, v26
	v_ashrrev_i32_e32 v24, 31, v13
	v_add_f32_e32 v16, 0, v17
	v_or_b32_e32 v24, 0x80000000, v24
	v_xor_b32_e32 v13, v24, v13
	v_ashrrev_i32_e32 v24, 31, v16
	v_or_b32_e32 v24, 0x80000000, v24
	v_xor_b32_e32 v16, v24, v16
	v_cmp_le_u32_e32 vcc, v13, v16
	s_and_b64 s[28:29], vcc, exec
; %bb.207:
	s_or_b64 exec, exec, s[22:23]
	s_orn2_b64 s[22:23], s[28:29], exec
.LBB1448_208:
	s_or_b64 exec, exec, s[26:27]
	v_cndmask_b32_e64 v6, v6, v12, s[22:23]
	v_lshlrev_b64 v[6:7], 3, v[6:7]
	v_add_co_u32_e32 v6, vcc, v28, v6
	v_addc_co_u32_e32 v7, vcc, v29, v7, vcc
	flat_load_dwordx2 v[24:25], v[6:7]
	v_cndmask_b32_e64 v12, v8, v9, s[24:25]
	v_cndmask_b32_e64 v8, v14, v15, s[8:9]
	;; [unrolled: 1-line block ×4, first 2 shown]
.LBB1448_209:
	s_or_b64 exec, exec, s[12:13]
	v_add_co_u32_e32 v0, vcc, v4, v86
	v_addc_co_u32_e32 v1, vcc, v5, v87, vcc
	v_add_co_u32_e32 v0, vcc, v0, v97
	v_addc_co_u32_e32 v1, vcc, 0, v1, vcc
	; wave barrier
	s_waitcnt lgkmcnt(0)
	s_barrier
	s_waitcnt lgkmcnt(0)
	; wave barrier
	s_and_saveexec_b64 s[8:9], s[4:5]
	s_cbranch_execnz .LBB1448_230
; %bb.210:
	s_or_b64 exec, exec, s[8:9]
	s_and_saveexec_b64 s[8:9], s[6:7]
	s_cbranch_execnz .LBB1448_231
.LBB1448_211:
	s_or_b64 exec, exec, s[8:9]
	s_and_saveexec_b64 s[8:9], s[10:11]
	s_cbranch_execnz .LBB1448_232
.LBB1448_212:
	s_or_b64 exec, exec, s[8:9]
	s_and_saveexec_b64 s[8:9], s[14:15]
	s_cbranch_execz .LBB1448_214
.LBB1448_213:
	flat_store_dword v[0:1], v17 offset:12
.LBB1448_214:
	s_or_b64 exec, exec, s[8:9]
	v_add_co_u32_e32 v0, vcc, v10, v2
	v_addc_co_u32_e32 v1, vcc, v11, v3, vcc
	v_add_co_u32_e32 v0, vcc, v0, v99
	v_addc_co_u32_e32 v1, vcc, 0, v1, vcc
	; wave barrier
	s_and_saveexec_b64 s[8:9], s[4:5]
	s_cbranch_execnz .LBB1448_233
; %bb.215:
	s_or_b64 exec, exec, s[8:9]
	s_and_saveexec_b64 s[4:5], s[6:7]
	s_cbranch_execnz .LBB1448_234
.LBB1448_216:
	s_or_b64 exec, exec, s[4:5]
	s_and_saveexec_b64 s[4:5], s[10:11]
	s_cbranch_execz .LBB1448_218
.LBB1448_217:
	flat_store_dwordx2 v[0:1], v[22:23] offset:16
.LBB1448_218:
	s_or_b64 exec, exec, s[4:5]
	s_andn2_b64 s[4:5], s[16:17], exec
	s_and_b64 s[6:7], s[14:15], exec
	s_or_b64 s[16:17], s[4:5], s[6:7]
	v_pk_mov_b32 v[8:9], v[10:11], v[10:11] op_sel:[0,1]
	s_or_b64 exec, exec, s[18:19]
	s_and_saveexec_b64 s[4:5], s[16:17]
	s_cbranch_execnz .LBB1448_3
	s_branch .LBB1448_4
.LBB1448_219:
	flat_load_dwordx2 v[18:19], v[0:1]
	s_or_b64 exec, exec, s[16:17]
	s_and_saveexec_b64 s[16:17], s[6:7]
	s_cbranch_execz .LBB1448_15
.LBB1448_220:
	flat_load_dwordx2 v[20:21], v[0:1] offset:8
	s_or_b64 exec, exec, s[16:17]
	s_and_saveexec_b64 s[16:17], s[10:11]
	s_cbranch_execz .LBB1448_16
.LBB1448_221:
	flat_load_dwordx2 v[22:23], v[0:1] offset:16
	s_or_b64 exec, exec, s[16:17]
	s_and_saveexec_b64 s[16:17], s[14:15]
	s_cbranch_execnz .LBB1448_17
	s_branch .LBB1448_18
.LBB1448_222:
	flat_store_dword v[0:1], v10
	s_or_b64 exec, exec, s[16:17]
	s_and_saveexec_b64 s[16:17], s[6:7]
	s_cbranch_execz .LBB1448_104
.LBB1448_223:
	flat_store_dword v[0:1], v14 offset:4
	s_or_b64 exec, exec, s[16:17]
	s_and_saveexec_b64 s[16:17], s[10:11]
	s_cbranch_execz .LBB1448_105
.LBB1448_224:
	flat_store_dword v[0:1], v26 offset:8
	s_or_b64 exec, exec, s[16:17]
	s_and_saveexec_b64 s[16:17], s[14:15]
	s_cbranch_execnz .LBB1448_106
	s_branch .LBB1448_107
.LBB1448_225:
	flat_store_dwordx2 v[0:1], v[18:19]
	s_or_b64 exec, exec, s[16:17]
	s_and_saveexec_b64 s[16:17], s[6:7]
	s_cbranch_execz .LBB1448_109
.LBB1448_226:
	flat_store_dwordx2 v[0:1], v[20:21] offset:8
	s_or_b64 exec, exec, s[16:17]
	s_and_saveexec_b64 s[6:7], s[10:11]
	s_cbranch_execnz .LBB1448_110
	s_branch .LBB1448_111
.LBB1448_227:
	flat_load_dwordx2 v[18:19], v[0:1]
	s_or_b64 exec, exec, s[20:21]
	s_and_saveexec_b64 s[20:21], s[6:7]
	s_cbranch_execz .LBB1448_122
.LBB1448_228:
	flat_load_dwordx2 v[20:21], v[0:1] offset:8
	s_or_b64 exec, exec, s[20:21]
	s_and_saveexec_b64 s[20:21], s[10:11]
	s_cbranch_execz .LBB1448_123
.LBB1448_229:
	flat_load_dwordx2 v[22:23], v[0:1] offset:16
	s_or_b64 exec, exec, s[20:21]
	s_and_saveexec_b64 s[20:21], s[14:15]
	s_cbranch_execnz .LBB1448_124
	s_branch .LBB1448_125
.LBB1448_230:
	flat_store_dword v[0:1], v80
	s_or_b64 exec, exec, s[8:9]
	s_and_saveexec_b64 s[8:9], s[6:7]
	s_cbranch_execz .LBB1448_211
.LBB1448_231:
	flat_store_dword v[0:1], v8 offset:4
	s_or_b64 exec, exec, s[8:9]
	s_and_saveexec_b64 s[8:9], s[10:11]
	s_cbranch_execz .LBB1448_212
.LBB1448_232:
	flat_store_dword v[0:1], v12 offset:8
	s_or_b64 exec, exec, s[8:9]
	s_and_saveexec_b64 s[8:9], s[14:15]
	s_cbranch_execnz .LBB1448_213
	s_branch .LBB1448_214
.LBB1448_233:
	flat_store_dwordx2 v[0:1], v[18:19]
	s_or_b64 exec, exec, s[8:9]
	s_and_saveexec_b64 s[4:5], s[6:7]
	s_cbranch_execz .LBB1448_216
.LBB1448_234:
	flat_store_dwordx2 v[0:1], v[20:21] offset:8
	s_or_b64 exec, exec, s[4:5]
	s_and_saveexec_b64 s[4:5], s[10:11]
	s_cbranch_execnz .LBB1448_217
	s_branch .LBB1448_218
.Lfunc_end1448:
	.size	_ZN7rocprim17ROCPRIM_400000_NS6detail26segmented_warp_sort_helperINS1_20WarpSortHelperConfigILj8ELj4ELj256EEEflLi256ELb0EvE4sortIPKfPfPKlPlEEvT_S9_T0_T1_SC_T2_bjjjjRNS5_12storage_typeE, .Lfunc_end1448-_ZN7rocprim17ROCPRIM_400000_NS6detail26segmented_warp_sort_helperINS1_20WarpSortHelperConfigILj8ELj4ELj256EEEflLi256ELb0EvE4sortIPKfPfPKlPlEEvT_S9_T0_T1_SC_T2_bjjjjRNS5_12storage_typeE
                                        ; -- End function
	.section	.AMDGPU.csdata,"",@progbits
; Function info:
; codeLenInByte = 10284
; NumSgprs: 37
; NumVgprs: 100
; NumAgprs: 0
; TotalNumVgprs: 100
; ScratchSize: 8
; MemoryBound: 1
	.section	.text._ZN7rocprim17ROCPRIM_400000_NS6detail17trampoline_kernelINS0_14default_configENS1_36segmented_radix_sort_config_selectorIflEEZNS1_25segmented_radix_sort_implIS3_Lb0EPKfPfPKlPlN2at6native12_GLOBAL__N_18offset_tEEE10hipError_tPvRmT1_PNSt15iterator_traitsISK_E10value_typeET2_T3_PNSL_ISQ_E10value_typeET4_jRbjT5_SW_jjP12ihipStream_tbEUlT_E1_NS1_11comp_targetILNS1_3genE4ELNS1_11target_archE910ELNS1_3gpuE8ELNS1_3repE0EEENS1_59segmented_radix_sort_warp_sort_small_config_static_selectorELNS0_4arch9wavefront6targetE1EEEvSK_,"axG",@progbits,_ZN7rocprim17ROCPRIM_400000_NS6detail17trampoline_kernelINS0_14default_configENS1_36segmented_radix_sort_config_selectorIflEEZNS1_25segmented_radix_sort_implIS3_Lb0EPKfPfPKlPlN2at6native12_GLOBAL__N_18offset_tEEE10hipError_tPvRmT1_PNSt15iterator_traitsISK_E10value_typeET2_T3_PNSL_ISQ_E10value_typeET4_jRbjT5_SW_jjP12ihipStream_tbEUlT_E1_NS1_11comp_targetILNS1_3genE4ELNS1_11target_archE910ELNS1_3gpuE8ELNS1_3repE0EEENS1_59segmented_radix_sort_warp_sort_small_config_static_selectorELNS0_4arch9wavefront6targetE1EEEvSK_,comdat
	.globl	_ZN7rocprim17ROCPRIM_400000_NS6detail17trampoline_kernelINS0_14default_configENS1_36segmented_radix_sort_config_selectorIflEEZNS1_25segmented_radix_sort_implIS3_Lb0EPKfPfPKlPlN2at6native12_GLOBAL__N_18offset_tEEE10hipError_tPvRmT1_PNSt15iterator_traitsISK_E10value_typeET2_T3_PNSL_ISQ_E10value_typeET4_jRbjT5_SW_jjP12ihipStream_tbEUlT_E1_NS1_11comp_targetILNS1_3genE4ELNS1_11target_archE910ELNS1_3gpuE8ELNS1_3repE0EEENS1_59segmented_radix_sort_warp_sort_small_config_static_selectorELNS0_4arch9wavefront6targetE1EEEvSK_ ; -- Begin function _ZN7rocprim17ROCPRIM_400000_NS6detail17trampoline_kernelINS0_14default_configENS1_36segmented_radix_sort_config_selectorIflEEZNS1_25segmented_radix_sort_implIS3_Lb0EPKfPfPKlPlN2at6native12_GLOBAL__N_18offset_tEEE10hipError_tPvRmT1_PNSt15iterator_traitsISK_E10value_typeET2_T3_PNSL_ISQ_E10value_typeET4_jRbjT5_SW_jjP12ihipStream_tbEUlT_E1_NS1_11comp_targetILNS1_3genE4ELNS1_11target_archE910ELNS1_3gpuE8ELNS1_3repE0EEENS1_59segmented_radix_sort_warp_sort_small_config_static_selectorELNS0_4arch9wavefront6targetE1EEEvSK_
	.p2align	8
	.type	_ZN7rocprim17ROCPRIM_400000_NS6detail17trampoline_kernelINS0_14default_configENS1_36segmented_radix_sort_config_selectorIflEEZNS1_25segmented_radix_sort_implIS3_Lb0EPKfPfPKlPlN2at6native12_GLOBAL__N_18offset_tEEE10hipError_tPvRmT1_PNSt15iterator_traitsISK_E10value_typeET2_T3_PNSL_ISQ_E10value_typeET4_jRbjT5_SW_jjP12ihipStream_tbEUlT_E1_NS1_11comp_targetILNS1_3genE4ELNS1_11target_archE910ELNS1_3gpuE8ELNS1_3repE0EEENS1_59segmented_radix_sort_warp_sort_small_config_static_selectorELNS0_4arch9wavefront6targetE1EEEvSK_,@function
_ZN7rocprim17ROCPRIM_400000_NS6detail17trampoline_kernelINS0_14default_configENS1_36segmented_radix_sort_config_selectorIflEEZNS1_25segmented_radix_sort_implIS3_Lb0EPKfPfPKlPlN2at6native12_GLOBAL__N_18offset_tEEE10hipError_tPvRmT1_PNSt15iterator_traitsISK_E10value_typeET2_T3_PNSL_ISQ_E10value_typeET4_jRbjT5_SW_jjP12ihipStream_tbEUlT_E1_NS1_11comp_targetILNS1_3genE4ELNS1_11target_archE910ELNS1_3gpuE8ELNS1_3repE0EEENS1_59segmented_radix_sort_warp_sort_small_config_static_selectorELNS0_4arch9wavefront6targetE1EEEvSK_: ; @_ZN7rocprim17ROCPRIM_400000_NS6detail17trampoline_kernelINS0_14default_configENS1_36segmented_radix_sort_config_selectorIflEEZNS1_25segmented_radix_sort_implIS3_Lb0EPKfPfPKlPlN2at6native12_GLOBAL__N_18offset_tEEE10hipError_tPvRmT1_PNSt15iterator_traitsISK_E10value_typeET2_T3_PNSL_ISQ_E10value_typeET4_jRbjT5_SW_jjP12ihipStream_tbEUlT_E1_NS1_11comp_targetILNS1_3genE4ELNS1_11target_archE910ELNS1_3gpuE8ELNS1_3repE0EEENS1_59segmented_radix_sort_warp_sort_small_config_static_selectorELNS0_4arch9wavefront6targetE1EEEvSK_
; %bb.0:
	s_add_u32 flat_scratch_lo, s6, s10
	s_mov_b32 s12, s8
	s_load_dword s6, s[4:5], 0x64
	s_load_dword s8, s[4:5], 0x34
	s_addc_u32 flat_scratch_hi, s7, 0
	s_add_u32 s0, s0, s10
	s_addc_u32 s1, s1, 0
	s_waitcnt lgkmcnt(0)
	s_lshr_b32 s7, s6, 16
	v_bfe_u32 v1, v0, 10, 10
	v_bfe_u32 v2, v0, 20, 10
	s_and_b32 s6, s6, 0xffff
	v_mad_u32_u24 v1, v2, s7, v1
	v_and_b32_e32 v2, 0x3ff, v0
	v_mad_u64_u32 v[2:3], s[6:7], v1, s6, v[2:3]
	v_lshrrev_b32_e32 v1, 3, v2
	v_lshl_add_u32 v2, s12, 5, v1
	v_cmp_gt_u32_e32 vcc, s8, v2
	s_mov_b32 s32, 0
	s_and_saveexec_b64 s[6:7], vcc
	s_cbranch_execz .LBB1449_3
; %bb.1:
	s_mov_b32 s13, s9
	s_load_dwordx2 s[6:7], s[4:5], 0x38
	s_load_dwordx4 s[8:11], s[4:5], 0x40
	v_mov_b32_e32 v3, 0
	v_lshlrev_b64 v[2:3], 2, v[2:3]
	s_waitcnt lgkmcnt(0)
	v_mov_b32_e32 v1, s7
	v_sub_co_u32_e32 v2, vcc, s6, v2
	v_subb_co_u32_e32 v3, vcc, v1, v3, vcc
	global_load_dword v1, v[2:3], off offset:-4
	s_waitcnt vmcnt(0)
	v_add_u32_e32 v2, s9, v1
	v_add_u32_e32 v1, s11, v1
	v_mul_lo_u32 v13, v2, s8
	v_mul_lo_u32 v14, v1, s10
	v_cmp_gt_u32_e32 vcc, v14, v13
	s_and_b64 exec, exec, vcc
	s_cbranch_execz .LBB1449_3
; %bb.2:
	s_load_dword s6, s[4:5], 0x30
	s_load_dwordx4 s[24:27], s[4:5], 0x20
	s_load_dwordx8 s[16:23], s[4:5], 0x0
	s_add_u32 s8, s4, 0x58
	s_addc_u32 s9, s5, 0
	s_waitcnt lgkmcnt(0)
	s_and_b32 s10, s6, 1
	s_mov_b64 s[4:5], src_shared_base
	v_mov_b32_e32 v31, v0
	v_mov_b32_e32 v0, s16
	;; [unrolled: 1-line block ×16, first 2 shown]
	s_getpc_b64 s[6:7]
	s_add_u32 s6, s6, _ZN7rocprim17ROCPRIM_400000_NS6detail26segmented_warp_sort_helperINS1_20WarpSortHelperConfigILj8ELj4ELj256EEEflLi256ELb0EvE4sortIPKfPfPKlPlEEvT_S9_T0_T1_SC_T2_bjjjjRNS5_12storage_typeE@rel32@lo+4
	s_addc_u32 s7, s7, _ZN7rocprim17ROCPRIM_400000_NS6detail26segmented_warp_sort_helperINS1_20WarpSortHelperConfigILj8ELj4ELj256EEEflLi256ELb0EvE4sortIPKfPfPKlPlEEvT_S9_T0_T1_SC_T2_bjjjjRNS5_12storage_typeE@rel32@hi+12
	s_swappc_b64 s[30:31], s[6:7]
.LBB1449_3:
	s_endpgm
	.section	.rodata,"a",@progbits
	.p2align	6, 0x0
	.amdhsa_kernel _ZN7rocprim17ROCPRIM_400000_NS6detail17trampoline_kernelINS0_14default_configENS1_36segmented_radix_sort_config_selectorIflEEZNS1_25segmented_radix_sort_implIS3_Lb0EPKfPfPKlPlN2at6native12_GLOBAL__N_18offset_tEEE10hipError_tPvRmT1_PNSt15iterator_traitsISK_E10value_typeET2_T3_PNSL_ISQ_E10value_typeET4_jRbjT5_SW_jjP12ihipStream_tbEUlT_E1_NS1_11comp_targetILNS1_3genE4ELNS1_11target_archE910ELNS1_3gpuE8ELNS1_3repE0EEENS1_59segmented_radix_sort_warp_sort_small_config_static_selectorELNS0_4arch9wavefront6targetE1EEEvSK_
		.amdhsa_group_segment_fixed_size 12288
		.amdhsa_private_segment_fixed_size 8
		.amdhsa_kernarg_size 344
		.amdhsa_user_sgpr_count 8
		.amdhsa_user_sgpr_private_segment_buffer 1
		.amdhsa_user_sgpr_dispatch_ptr 0
		.amdhsa_user_sgpr_queue_ptr 0
		.amdhsa_user_sgpr_kernarg_segment_ptr 1
		.amdhsa_user_sgpr_dispatch_id 0
		.amdhsa_user_sgpr_flat_scratch_init 1
		.amdhsa_user_sgpr_kernarg_preload_length 0
		.amdhsa_user_sgpr_kernarg_preload_offset 0
		.amdhsa_user_sgpr_private_segment_size 0
		.amdhsa_uses_dynamic_stack 0
		.amdhsa_system_sgpr_private_segment_wavefront_offset 1
		.amdhsa_system_sgpr_workgroup_id_x 1
		.amdhsa_system_sgpr_workgroup_id_y 1
		.amdhsa_system_sgpr_workgroup_id_z 0
		.amdhsa_system_sgpr_workgroup_info 0
		.amdhsa_system_vgpr_workitem_id 2
		.amdhsa_next_free_vgpr 100
		.amdhsa_next_free_sgpr 33
		.amdhsa_accum_offset 100
		.amdhsa_reserve_vcc 1
		.amdhsa_reserve_flat_scratch 1
		.amdhsa_float_round_mode_32 0
		.amdhsa_float_round_mode_16_64 0
		.amdhsa_float_denorm_mode_32 3
		.amdhsa_float_denorm_mode_16_64 3
		.amdhsa_dx10_clamp 1
		.amdhsa_ieee_mode 1
		.amdhsa_fp16_overflow 0
		.amdhsa_tg_split 0
		.amdhsa_exception_fp_ieee_invalid_op 0
		.amdhsa_exception_fp_denorm_src 0
		.amdhsa_exception_fp_ieee_div_zero 0
		.amdhsa_exception_fp_ieee_overflow 0
		.amdhsa_exception_fp_ieee_underflow 0
		.amdhsa_exception_fp_ieee_inexact 0
		.amdhsa_exception_int_div_zero 0
	.end_amdhsa_kernel
	.section	.text._ZN7rocprim17ROCPRIM_400000_NS6detail17trampoline_kernelINS0_14default_configENS1_36segmented_radix_sort_config_selectorIflEEZNS1_25segmented_radix_sort_implIS3_Lb0EPKfPfPKlPlN2at6native12_GLOBAL__N_18offset_tEEE10hipError_tPvRmT1_PNSt15iterator_traitsISK_E10value_typeET2_T3_PNSL_ISQ_E10value_typeET4_jRbjT5_SW_jjP12ihipStream_tbEUlT_E1_NS1_11comp_targetILNS1_3genE4ELNS1_11target_archE910ELNS1_3gpuE8ELNS1_3repE0EEENS1_59segmented_radix_sort_warp_sort_small_config_static_selectorELNS0_4arch9wavefront6targetE1EEEvSK_,"axG",@progbits,_ZN7rocprim17ROCPRIM_400000_NS6detail17trampoline_kernelINS0_14default_configENS1_36segmented_radix_sort_config_selectorIflEEZNS1_25segmented_radix_sort_implIS3_Lb0EPKfPfPKlPlN2at6native12_GLOBAL__N_18offset_tEEE10hipError_tPvRmT1_PNSt15iterator_traitsISK_E10value_typeET2_T3_PNSL_ISQ_E10value_typeET4_jRbjT5_SW_jjP12ihipStream_tbEUlT_E1_NS1_11comp_targetILNS1_3genE4ELNS1_11target_archE910ELNS1_3gpuE8ELNS1_3repE0EEENS1_59segmented_radix_sort_warp_sort_small_config_static_selectorELNS0_4arch9wavefront6targetE1EEEvSK_,comdat
.Lfunc_end1449:
	.size	_ZN7rocprim17ROCPRIM_400000_NS6detail17trampoline_kernelINS0_14default_configENS1_36segmented_radix_sort_config_selectorIflEEZNS1_25segmented_radix_sort_implIS3_Lb0EPKfPfPKlPlN2at6native12_GLOBAL__N_18offset_tEEE10hipError_tPvRmT1_PNSt15iterator_traitsISK_E10value_typeET2_T3_PNSL_ISQ_E10value_typeET4_jRbjT5_SW_jjP12ihipStream_tbEUlT_E1_NS1_11comp_targetILNS1_3genE4ELNS1_11target_archE910ELNS1_3gpuE8ELNS1_3repE0EEENS1_59segmented_radix_sort_warp_sort_small_config_static_selectorELNS0_4arch9wavefront6targetE1EEEvSK_, .Lfunc_end1449-_ZN7rocprim17ROCPRIM_400000_NS6detail17trampoline_kernelINS0_14default_configENS1_36segmented_radix_sort_config_selectorIflEEZNS1_25segmented_radix_sort_implIS3_Lb0EPKfPfPKlPlN2at6native12_GLOBAL__N_18offset_tEEE10hipError_tPvRmT1_PNSt15iterator_traitsISK_E10value_typeET2_T3_PNSL_ISQ_E10value_typeET4_jRbjT5_SW_jjP12ihipStream_tbEUlT_E1_NS1_11comp_targetILNS1_3genE4ELNS1_11target_archE910ELNS1_3gpuE8ELNS1_3repE0EEENS1_59segmented_radix_sort_warp_sort_small_config_static_selectorELNS0_4arch9wavefront6targetE1EEEvSK_
                                        ; -- End function
	.section	.AMDGPU.csdata,"",@progbits
; Kernel info:
; codeLenInByte = 356
; NumSgprs: 39
; NumVgprs: 100
; NumAgprs: 0
; TotalNumVgprs: 100
; ScratchSize: 8
; MemoryBound: 0
; FloatMode: 240
; IeeeMode: 1
; LDSByteSize: 12288 bytes/workgroup (compile time only)
; SGPRBlocks: 4
; VGPRBlocks: 12
; NumSGPRsForWavesPerEU: 39
; NumVGPRsForWavesPerEU: 100
; AccumOffset: 100
; Occupancy: 4
; WaveLimiterHint : 0
; COMPUTE_PGM_RSRC2:SCRATCH_EN: 1
; COMPUTE_PGM_RSRC2:USER_SGPR: 8
; COMPUTE_PGM_RSRC2:TRAP_HANDLER: 0
; COMPUTE_PGM_RSRC2:TGID_X_EN: 1
; COMPUTE_PGM_RSRC2:TGID_Y_EN: 1
; COMPUTE_PGM_RSRC2:TGID_Z_EN: 0
; COMPUTE_PGM_RSRC2:TIDIG_COMP_CNT: 2
; COMPUTE_PGM_RSRC3_GFX90A:ACCUM_OFFSET: 24
; COMPUTE_PGM_RSRC3_GFX90A:TG_SPLIT: 0
	.section	.text._ZN7rocprim17ROCPRIM_400000_NS6detail17trampoline_kernelINS0_14default_configENS1_36segmented_radix_sort_config_selectorIflEEZNS1_25segmented_radix_sort_implIS3_Lb0EPKfPfPKlPlN2at6native12_GLOBAL__N_18offset_tEEE10hipError_tPvRmT1_PNSt15iterator_traitsISK_E10value_typeET2_T3_PNSL_ISQ_E10value_typeET4_jRbjT5_SW_jjP12ihipStream_tbEUlT_E1_NS1_11comp_targetILNS1_3genE3ELNS1_11target_archE908ELNS1_3gpuE7ELNS1_3repE0EEENS1_59segmented_radix_sort_warp_sort_small_config_static_selectorELNS0_4arch9wavefront6targetE1EEEvSK_,"axG",@progbits,_ZN7rocprim17ROCPRIM_400000_NS6detail17trampoline_kernelINS0_14default_configENS1_36segmented_radix_sort_config_selectorIflEEZNS1_25segmented_radix_sort_implIS3_Lb0EPKfPfPKlPlN2at6native12_GLOBAL__N_18offset_tEEE10hipError_tPvRmT1_PNSt15iterator_traitsISK_E10value_typeET2_T3_PNSL_ISQ_E10value_typeET4_jRbjT5_SW_jjP12ihipStream_tbEUlT_E1_NS1_11comp_targetILNS1_3genE3ELNS1_11target_archE908ELNS1_3gpuE7ELNS1_3repE0EEENS1_59segmented_radix_sort_warp_sort_small_config_static_selectorELNS0_4arch9wavefront6targetE1EEEvSK_,comdat
	.globl	_ZN7rocprim17ROCPRIM_400000_NS6detail17trampoline_kernelINS0_14default_configENS1_36segmented_radix_sort_config_selectorIflEEZNS1_25segmented_radix_sort_implIS3_Lb0EPKfPfPKlPlN2at6native12_GLOBAL__N_18offset_tEEE10hipError_tPvRmT1_PNSt15iterator_traitsISK_E10value_typeET2_T3_PNSL_ISQ_E10value_typeET4_jRbjT5_SW_jjP12ihipStream_tbEUlT_E1_NS1_11comp_targetILNS1_3genE3ELNS1_11target_archE908ELNS1_3gpuE7ELNS1_3repE0EEENS1_59segmented_radix_sort_warp_sort_small_config_static_selectorELNS0_4arch9wavefront6targetE1EEEvSK_ ; -- Begin function _ZN7rocprim17ROCPRIM_400000_NS6detail17trampoline_kernelINS0_14default_configENS1_36segmented_radix_sort_config_selectorIflEEZNS1_25segmented_radix_sort_implIS3_Lb0EPKfPfPKlPlN2at6native12_GLOBAL__N_18offset_tEEE10hipError_tPvRmT1_PNSt15iterator_traitsISK_E10value_typeET2_T3_PNSL_ISQ_E10value_typeET4_jRbjT5_SW_jjP12ihipStream_tbEUlT_E1_NS1_11comp_targetILNS1_3genE3ELNS1_11target_archE908ELNS1_3gpuE7ELNS1_3repE0EEENS1_59segmented_radix_sort_warp_sort_small_config_static_selectorELNS0_4arch9wavefront6targetE1EEEvSK_
	.p2align	8
	.type	_ZN7rocprim17ROCPRIM_400000_NS6detail17trampoline_kernelINS0_14default_configENS1_36segmented_radix_sort_config_selectorIflEEZNS1_25segmented_radix_sort_implIS3_Lb0EPKfPfPKlPlN2at6native12_GLOBAL__N_18offset_tEEE10hipError_tPvRmT1_PNSt15iterator_traitsISK_E10value_typeET2_T3_PNSL_ISQ_E10value_typeET4_jRbjT5_SW_jjP12ihipStream_tbEUlT_E1_NS1_11comp_targetILNS1_3genE3ELNS1_11target_archE908ELNS1_3gpuE7ELNS1_3repE0EEENS1_59segmented_radix_sort_warp_sort_small_config_static_selectorELNS0_4arch9wavefront6targetE1EEEvSK_,@function
_ZN7rocprim17ROCPRIM_400000_NS6detail17trampoline_kernelINS0_14default_configENS1_36segmented_radix_sort_config_selectorIflEEZNS1_25segmented_radix_sort_implIS3_Lb0EPKfPfPKlPlN2at6native12_GLOBAL__N_18offset_tEEE10hipError_tPvRmT1_PNSt15iterator_traitsISK_E10value_typeET2_T3_PNSL_ISQ_E10value_typeET4_jRbjT5_SW_jjP12ihipStream_tbEUlT_E1_NS1_11comp_targetILNS1_3genE3ELNS1_11target_archE908ELNS1_3gpuE7ELNS1_3repE0EEENS1_59segmented_radix_sort_warp_sort_small_config_static_selectorELNS0_4arch9wavefront6targetE1EEEvSK_: ; @_ZN7rocprim17ROCPRIM_400000_NS6detail17trampoline_kernelINS0_14default_configENS1_36segmented_radix_sort_config_selectorIflEEZNS1_25segmented_radix_sort_implIS3_Lb0EPKfPfPKlPlN2at6native12_GLOBAL__N_18offset_tEEE10hipError_tPvRmT1_PNSt15iterator_traitsISK_E10value_typeET2_T3_PNSL_ISQ_E10value_typeET4_jRbjT5_SW_jjP12ihipStream_tbEUlT_E1_NS1_11comp_targetILNS1_3genE3ELNS1_11target_archE908ELNS1_3gpuE7ELNS1_3repE0EEENS1_59segmented_radix_sort_warp_sort_small_config_static_selectorELNS0_4arch9wavefront6targetE1EEEvSK_
; %bb.0:
	.section	.rodata,"a",@progbits
	.p2align	6, 0x0
	.amdhsa_kernel _ZN7rocprim17ROCPRIM_400000_NS6detail17trampoline_kernelINS0_14default_configENS1_36segmented_radix_sort_config_selectorIflEEZNS1_25segmented_radix_sort_implIS3_Lb0EPKfPfPKlPlN2at6native12_GLOBAL__N_18offset_tEEE10hipError_tPvRmT1_PNSt15iterator_traitsISK_E10value_typeET2_T3_PNSL_ISQ_E10value_typeET4_jRbjT5_SW_jjP12ihipStream_tbEUlT_E1_NS1_11comp_targetILNS1_3genE3ELNS1_11target_archE908ELNS1_3gpuE7ELNS1_3repE0EEENS1_59segmented_radix_sort_warp_sort_small_config_static_selectorELNS0_4arch9wavefront6targetE1EEEvSK_
		.amdhsa_group_segment_fixed_size 0
		.amdhsa_private_segment_fixed_size 0
		.amdhsa_kernarg_size 88
		.amdhsa_user_sgpr_count 6
		.amdhsa_user_sgpr_private_segment_buffer 1
		.amdhsa_user_sgpr_dispatch_ptr 0
		.amdhsa_user_sgpr_queue_ptr 0
		.amdhsa_user_sgpr_kernarg_segment_ptr 1
		.amdhsa_user_sgpr_dispatch_id 0
		.amdhsa_user_sgpr_flat_scratch_init 0
		.amdhsa_user_sgpr_kernarg_preload_length 0
		.amdhsa_user_sgpr_kernarg_preload_offset 0
		.amdhsa_user_sgpr_private_segment_size 0
		.amdhsa_uses_dynamic_stack 0
		.amdhsa_system_sgpr_private_segment_wavefront_offset 0
		.amdhsa_system_sgpr_workgroup_id_x 1
		.amdhsa_system_sgpr_workgroup_id_y 0
		.amdhsa_system_sgpr_workgroup_id_z 0
		.amdhsa_system_sgpr_workgroup_info 0
		.amdhsa_system_vgpr_workitem_id 0
		.amdhsa_next_free_vgpr 1
		.amdhsa_next_free_sgpr 0
		.amdhsa_accum_offset 4
		.amdhsa_reserve_vcc 0
		.amdhsa_reserve_flat_scratch 0
		.amdhsa_float_round_mode_32 0
		.amdhsa_float_round_mode_16_64 0
		.amdhsa_float_denorm_mode_32 3
		.amdhsa_float_denorm_mode_16_64 3
		.amdhsa_dx10_clamp 1
		.amdhsa_ieee_mode 1
		.amdhsa_fp16_overflow 0
		.amdhsa_tg_split 0
		.amdhsa_exception_fp_ieee_invalid_op 0
		.amdhsa_exception_fp_denorm_src 0
		.amdhsa_exception_fp_ieee_div_zero 0
		.amdhsa_exception_fp_ieee_overflow 0
		.amdhsa_exception_fp_ieee_underflow 0
		.amdhsa_exception_fp_ieee_inexact 0
		.amdhsa_exception_int_div_zero 0
	.end_amdhsa_kernel
	.section	.text._ZN7rocprim17ROCPRIM_400000_NS6detail17trampoline_kernelINS0_14default_configENS1_36segmented_radix_sort_config_selectorIflEEZNS1_25segmented_radix_sort_implIS3_Lb0EPKfPfPKlPlN2at6native12_GLOBAL__N_18offset_tEEE10hipError_tPvRmT1_PNSt15iterator_traitsISK_E10value_typeET2_T3_PNSL_ISQ_E10value_typeET4_jRbjT5_SW_jjP12ihipStream_tbEUlT_E1_NS1_11comp_targetILNS1_3genE3ELNS1_11target_archE908ELNS1_3gpuE7ELNS1_3repE0EEENS1_59segmented_radix_sort_warp_sort_small_config_static_selectorELNS0_4arch9wavefront6targetE1EEEvSK_,"axG",@progbits,_ZN7rocprim17ROCPRIM_400000_NS6detail17trampoline_kernelINS0_14default_configENS1_36segmented_radix_sort_config_selectorIflEEZNS1_25segmented_radix_sort_implIS3_Lb0EPKfPfPKlPlN2at6native12_GLOBAL__N_18offset_tEEE10hipError_tPvRmT1_PNSt15iterator_traitsISK_E10value_typeET2_T3_PNSL_ISQ_E10value_typeET4_jRbjT5_SW_jjP12ihipStream_tbEUlT_E1_NS1_11comp_targetILNS1_3genE3ELNS1_11target_archE908ELNS1_3gpuE7ELNS1_3repE0EEENS1_59segmented_radix_sort_warp_sort_small_config_static_selectorELNS0_4arch9wavefront6targetE1EEEvSK_,comdat
.Lfunc_end1450:
	.size	_ZN7rocprim17ROCPRIM_400000_NS6detail17trampoline_kernelINS0_14default_configENS1_36segmented_radix_sort_config_selectorIflEEZNS1_25segmented_radix_sort_implIS3_Lb0EPKfPfPKlPlN2at6native12_GLOBAL__N_18offset_tEEE10hipError_tPvRmT1_PNSt15iterator_traitsISK_E10value_typeET2_T3_PNSL_ISQ_E10value_typeET4_jRbjT5_SW_jjP12ihipStream_tbEUlT_E1_NS1_11comp_targetILNS1_3genE3ELNS1_11target_archE908ELNS1_3gpuE7ELNS1_3repE0EEENS1_59segmented_radix_sort_warp_sort_small_config_static_selectorELNS0_4arch9wavefront6targetE1EEEvSK_, .Lfunc_end1450-_ZN7rocprim17ROCPRIM_400000_NS6detail17trampoline_kernelINS0_14default_configENS1_36segmented_radix_sort_config_selectorIflEEZNS1_25segmented_radix_sort_implIS3_Lb0EPKfPfPKlPlN2at6native12_GLOBAL__N_18offset_tEEE10hipError_tPvRmT1_PNSt15iterator_traitsISK_E10value_typeET2_T3_PNSL_ISQ_E10value_typeET4_jRbjT5_SW_jjP12ihipStream_tbEUlT_E1_NS1_11comp_targetILNS1_3genE3ELNS1_11target_archE908ELNS1_3gpuE7ELNS1_3repE0EEENS1_59segmented_radix_sort_warp_sort_small_config_static_selectorELNS0_4arch9wavefront6targetE1EEEvSK_
                                        ; -- End function
	.section	.AMDGPU.csdata,"",@progbits
; Kernel info:
; codeLenInByte = 0
; NumSgprs: 4
; NumVgprs: 0
; NumAgprs: 0
; TotalNumVgprs: 0
; ScratchSize: 0
; MemoryBound: 0
; FloatMode: 240
; IeeeMode: 1
; LDSByteSize: 0 bytes/workgroup (compile time only)
; SGPRBlocks: 0
; VGPRBlocks: 0
; NumSGPRsForWavesPerEU: 4
; NumVGPRsForWavesPerEU: 1
; AccumOffset: 4
; Occupancy: 8
; WaveLimiterHint : 0
; COMPUTE_PGM_RSRC2:SCRATCH_EN: 0
; COMPUTE_PGM_RSRC2:USER_SGPR: 6
; COMPUTE_PGM_RSRC2:TRAP_HANDLER: 0
; COMPUTE_PGM_RSRC2:TGID_X_EN: 1
; COMPUTE_PGM_RSRC2:TGID_Y_EN: 0
; COMPUTE_PGM_RSRC2:TGID_Z_EN: 0
; COMPUTE_PGM_RSRC2:TIDIG_COMP_CNT: 0
; COMPUTE_PGM_RSRC3_GFX90A:ACCUM_OFFSET: 0
; COMPUTE_PGM_RSRC3_GFX90A:TG_SPLIT: 0
	.section	.text._ZN7rocprim17ROCPRIM_400000_NS6detail17trampoline_kernelINS0_14default_configENS1_36segmented_radix_sort_config_selectorIflEEZNS1_25segmented_radix_sort_implIS3_Lb0EPKfPfPKlPlN2at6native12_GLOBAL__N_18offset_tEEE10hipError_tPvRmT1_PNSt15iterator_traitsISK_E10value_typeET2_T3_PNSL_ISQ_E10value_typeET4_jRbjT5_SW_jjP12ihipStream_tbEUlT_E1_NS1_11comp_targetILNS1_3genE2ELNS1_11target_archE906ELNS1_3gpuE6ELNS1_3repE0EEENS1_59segmented_radix_sort_warp_sort_small_config_static_selectorELNS0_4arch9wavefront6targetE1EEEvSK_,"axG",@progbits,_ZN7rocprim17ROCPRIM_400000_NS6detail17trampoline_kernelINS0_14default_configENS1_36segmented_radix_sort_config_selectorIflEEZNS1_25segmented_radix_sort_implIS3_Lb0EPKfPfPKlPlN2at6native12_GLOBAL__N_18offset_tEEE10hipError_tPvRmT1_PNSt15iterator_traitsISK_E10value_typeET2_T3_PNSL_ISQ_E10value_typeET4_jRbjT5_SW_jjP12ihipStream_tbEUlT_E1_NS1_11comp_targetILNS1_3genE2ELNS1_11target_archE906ELNS1_3gpuE6ELNS1_3repE0EEENS1_59segmented_radix_sort_warp_sort_small_config_static_selectorELNS0_4arch9wavefront6targetE1EEEvSK_,comdat
	.globl	_ZN7rocprim17ROCPRIM_400000_NS6detail17trampoline_kernelINS0_14default_configENS1_36segmented_radix_sort_config_selectorIflEEZNS1_25segmented_radix_sort_implIS3_Lb0EPKfPfPKlPlN2at6native12_GLOBAL__N_18offset_tEEE10hipError_tPvRmT1_PNSt15iterator_traitsISK_E10value_typeET2_T3_PNSL_ISQ_E10value_typeET4_jRbjT5_SW_jjP12ihipStream_tbEUlT_E1_NS1_11comp_targetILNS1_3genE2ELNS1_11target_archE906ELNS1_3gpuE6ELNS1_3repE0EEENS1_59segmented_radix_sort_warp_sort_small_config_static_selectorELNS0_4arch9wavefront6targetE1EEEvSK_ ; -- Begin function _ZN7rocprim17ROCPRIM_400000_NS6detail17trampoline_kernelINS0_14default_configENS1_36segmented_radix_sort_config_selectorIflEEZNS1_25segmented_radix_sort_implIS3_Lb0EPKfPfPKlPlN2at6native12_GLOBAL__N_18offset_tEEE10hipError_tPvRmT1_PNSt15iterator_traitsISK_E10value_typeET2_T3_PNSL_ISQ_E10value_typeET4_jRbjT5_SW_jjP12ihipStream_tbEUlT_E1_NS1_11comp_targetILNS1_3genE2ELNS1_11target_archE906ELNS1_3gpuE6ELNS1_3repE0EEENS1_59segmented_radix_sort_warp_sort_small_config_static_selectorELNS0_4arch9wavefront6targetE1EEEvSK_
	.p2align	8
	.type	_ZN7rocprim17ROCPRIM_400000_NS6detail17trampoline_kernelINS0_14default_configENS1_36segmented_radix_sort_config_selectorIflEEZNS1_25segmented_radix_sort_implIS3_Lb0EPKfPfPKlPlN2at6native12_GLOBAL__N_18offset_tEEE10hipError_tPvRmT1_PNSt15iterator_traitsISK_E10value_typeET2_T3_PNSL_ISQ_E10value_typeET4_jRbjT5_SW_jjP12ihipStream_tbEUlT_E1_NS1_11comp_targetILNS1_3genE2ELNS1_11target_archE906ELNS1_3gpuE6ELNS1_3repE0EEENS1_59segmented_radix_sort_warp_sort_small_config_static_selectorELNS0_4arch9wavefront6targetE1EEEvSK_,@function
_ZN7rocprim17ROCPRIM_400000_NS6detail17trampoline_kernelINS0_14default_configENS1_36segmented_radix_sort_config_selectorIflEEZNS1_25segmented_radix_sort_implIS3_Lb0EPKfPfPKlPlN2at6native12_GLOBAL__N_18offset_tEEE10hipError_tPvRmT1_PNSt15iterator_traitsISK_E10value_typeET2_T3_PNSL_ISQ_E10value_typeET4_jRbjT5_SW_jjP12ihipStream_tbEUlT_E1_NS1_11comp_targetILNS1_3genE2ELNS1_11target_archE906ELNS1_3gpuE6ELNS1_3repE0EEENS1_59segmented_radix_sort_warp_sort_small_config_static_selectorELNS0_4arch9wavefront6targetE1EEEvSK_: ; @_ZN7rocprim17ROCPRIM_400000_NS6detail17trampoline_kernelINS0_14default_configENS1_36segmented_radix_sort_config_selectorIflEEZNS1_25segmented_radix_sort_implIS3_Lb0EPKfPfPKlPlN2at6native12_GLOBAL__N_18offset_tEEE10hipError_tPvRmT1_PNSt15iterator_traitsISK_E10value_typeET2_T3_PNSL_ISQ_E10value_typeET4_jRbjT5_SW_jjP12ihipStream_tbEUlT_E1_NS1_11comp_targetILNS1_3genE2ELNS1_11target_archE906ELNS1_3gpuE6ELNS1_3repE0EEENS1_59segmented_radix_sort_warp_sort_small_config_static_selectorELNS0_4arch9wavefront6targetE1EEEvSK_
; %bb.0:
	.section	.rodata,"a",@progbits
	.p2align	6, 0x0
	.amdhsa_kernel _ZN7rocprim17ROCPRIM_400000_NS6detail17trampoline_kernelINS0_14default_configENS1_36segmented_radix_sort_config_selectorIflEEZNS1_25segmented_radix_sort_implIS3_Lb0EPKfPfPKlPlN2at6native12_GLOBAL__N_18offset_tEEE10hipError_tPvRmT1_PNSt15iterator_traitsISK_E10value_typeET2_T3_PNSL_ISQ_E10value_typeET4_jRbjT5_SW_jjP12ihipStream_tbEUlT_E1_NS1_11comp_targetILNS1_3genE2ELNS1_11target_archE906ELNS1_3gpuE6ELNS1_3repE0EEENS1_59segmented_radix_sort_warp_sort_small_config_static_selectorELNS0_4arch9wavefront6targetE1EEEvSK_
		.amdhsa_group_segment_fixed_size 0
		.amdhsa_private_segment_fixed_size 0
		.amdhsa_kernarg_size 88
		.amdhsa_user_sgpr_count 6
		.amdhsa_user_sgpr_private_segment_buffer 1
		.amdhsa_user_sgpr_dispatch_ptr 0
		.amdhsa_user_sgpr_queue_ptr 0
		.amdhsa_user_sgpr_kernarg_segment_ptr 1
		.amdhsa_user_sgpr_dispatch_id 0
		.amdhsa_user_sgpr_flat_scratch_init 0
		.amdhsa_user_sgpr_kernarg_preload_length 0
		.amdhsa_user_sgpr_kernarg_preload_offset 0
		.amdhsa_user_sgpr_private_segment_size 0
		.amdhsa_uses_dynamic_stack 0
		.amdhsa_system_sgpr_private_segment_wavefront_offset 0
		.amdhsa_system_sgpr_workgroup_id_x 1
		.amdhsa_system_sgpr_workgroup_id_y 0
		.amdhsa_system_sgpr_workgroup_id_z 0
		.amdhsa_system_sgpr_workgroup_info 0
		.amdhsa_system_vgpr_workitem_id 0
		.amdhsa_next_free_vgpr 1
		.amdhsa_next_free_sgpr 0
		.amdhsa_accum_offset 4
		.amdhsa_reserve_vcc 0
		.amdhsa_reserve_flat_scratch 0
		.amdhsa_float_round_mode_32 0
		.amdhsa_float_round_mode_16_64 0
		.amdhsa_float_denorm_mode_32 3
		.amdhsa_float_denorm_mode_16_64 3
		.amdhsa_dx10_clamp 1
		.amdhsa_ieee_mode 1
		.amdhsa_fp16_overflow 0
		.amdhsa_tg_split 0
		.amdhsa_exception_fp_ieee_invalid_op 0
		.amdhsa_exception_fp_denorm_src 0
		.amdhsa_exception_fp_ieee_div_zero 0
		.amdhsa_exception_fp_ieee_overflow 0
		.amdhsa_exception_fp_ieee_underflow 0
		.amdhsa_exception_fp_ieee_inexact 0
		.amdhsa_exception_int_div_zero 0
	.end_amdhsa_kernel
	.section	.text._ZN7rocprim17ROCPRIM_400000_NS6detail17trampoline_kernelINS0_14default_configENS1_36segmented_radix_sort_config_selectorIflEEZNS1_25segmented_radix_sort_implIS3_Lb0EPKfPfPKlPlN2at6native12_GLOBAL__N_18offset_tEEE10hipError_tPvRmT1_PNSt15iterator_traitsISK_E10value_typeET2_T3_PNSL_ISQ_E10value_typeET4_jRbjT5_SW_jjP12ihipStream_tbEUlT_E1_NS1_11comp_targetILNS1_3genE2ELNS1_11target_archE906ELNS1_3gpuE6ELNS1_3repE0EEENS1_59segmented_radix_sort_warp_sort_small_config_static_selectorELNS0_4arch9wavefront6targetE1EEEvSK_,"axG",@progbits,_ZN7rocprim17ROCPRIM_400000_NS6detail17trampoline_kernelINS0_14default_configENS1_36segmented_radix_sort_config_selectorIflEEZNS1_25segmented_radix_sort_implIS3_Lb0EPKfPfPKlPlN2at6native12_GLOBAL__N_18offset_tEEE10hipError_tPvRmT1_PNSt15iterator_traitsISK_E10value_typeET2_T3_PNSL_ISQ_E10value_typeET4_jRbjT5_SW_jjP12ihipStream_tbEUlT_E1_NS1_11comp_targetILNS1_3genE2ELNS1_11target_archE906ELNS1_3gpuE6ELNS1_3repE0EEENS1_59segmented_radix_sort_warp_sort_small_config_static_selectorELNS0_4arch9wavefront6targetE1EEEvSK_,comdat
.Lfunc_end1451:
	.size	_ZN7rocprim17ROCPRIM_400000_NS6detail17trampoline_kernelINS0_14default_configENS1_36segmented_radix_sort_config_selectorIflEEZNS1_25segmented_radix_sort_implIS3_Lb0EPKfPfPKlPlN2at6native12_GLOBAL__N_18offset_tEEE10hipError_tPvRmT1_PNSt15iterator_traitsISK_E10value_typeET2_T3_PNSL_ISQ_E10value_typeET4_jRbjT5_SW_jjP12ihipStream_tbEUlT_E1_NS1_11comp_targetILNS1_3genE2ELNS1_11target_archE906ELNS1_3gpuE6ELNS1_3repE0EEENS1_59segmented_radix_sort_warp_sort_small_config_static_selectorELNS0_4arch9wavefront6targetE1EEEvSK_, .Lfunc_end1451-_ZN7rocprim17ROCPRIM_400000_NS6detail17trampoline_kernelINS0_14default_configENS1_36segmented_radix_sort_config_selectorIflEEZNS1_25segmented_radix_sort_implIS3_Lb0EPKfPfPKlPlN2at6native12_GLOBAL__N_18offset_tEEE10hipError_tPvRmT1_PNSt15iterator_traitsISK_E10value_typeET2_T3_PNSL_ISQ_E10value_typeET4_jRbjT5_SW_jjP12ihipStream_tbEUlT_E1_NS1_11comp_targetILNS1_3genE2ELNS1_11target_archE906ELNS1_3gpuE6ELNS1_3repE0EEENS1_59segmented_radix_sort_warp_sort_small_config_static_selectorELNS0_4arch9wavefront6targetE1EEEvSK_
                                        ; -- End function
	.section	.AMDGPU.csdata,"",@progbits
; Kernel info:
; codeLenInByte = 0
; NumSgprs: 4
; NumVgprs: 0
; NumAgprs: 0
; TotalNumVgprs: 0
; ScratchSize: 0
; MemoryBound: 0
; FloatMode: 240
; IeeeMode: 1
; LDSByteSize: 0 bytes/workgroup (compile time only)
; SGPRBlocks: 0
; VGPRBlocks: 0
; NumSGPRsForWavesPerEU: 4
; NumVGPRsForWavesPerEU: 1
; AccumOffset: 4
; Occupancy: 8
; WaveLimiterHint : 0
; COMPUTE_PGM_RSRC2:SCRATCH_EN: 0
; COMPUTE_PGM_RSRC2:USER_SGPR: 6
; COMPUTE_PGM_RSRC2:TRAP_HANDLER: 0
; COMPUTE_PGM_RSRC2:TGID_X_EN: 1
; COMPUTE_PGM_RSRC2:TGID_Y_EN: 0
; COMPUTE_PGM_RSRC2:TGID_Z_EN: 0
; COMPUTE_PGM_RSRC2:TIDIG_COMP_CNT: 0
; COMPUTE_PGM_RSRC3_GFX90A:ACCUM_OFFSET: 0
; COMPUTE_PGM_RSRC3_GFX90A:TG_SPLIT: 0
	.section	.text._ZN7rocprim17ROCPRIM_400000_NS6detail17trampoline_kernelINS0_14default_configENS1_36segmented_radix_sort_config_selectorIflEEZNS1_25segmented_radix_sort_implIS3_Lb0EPKfPfPKlPlN2at6native12_GLOBAL__N_18offset_tEEE10hipError_tPvRmT1_PNSt15iterator_traitsISK_E10value_typeET2_T3_PNSL_ISQ_E10value_typeET4_jRbjT5_SW_jjP12ihipStream_tbEUlT_E1_NS1_11comp_targetILNS1_3genE10ELNS1_11target_archE1201ELNS1_3gpuE5ELNS1_3repE0EEENS1_59segmented_radix_sort_warp_sort_small_config_static_selectorELNS0_4arch9wavefront6targetE1EEEvSK_,"axG",@progbits,_ZN7rocprim17ROCPRIM_400000_NS6detail17trampoline_kernelINS0_14default_configENS1_36segmented_radix_sort_config_selectorIflEEZNS1_25segmented_radix_sort_implIS3_Lb0EPKfPfPKlPlN2at6native12_GLOBAL__N_18offset_tEEE10hipError_tPvRmT1_PNSt15iterator_traitsISK_E10value_typeET2_T3_PNSL_ISQ_E10value_typeET4_jRbjT5_SW_jjP12ihipStream_tbEUlT_E1_NS1_11comp_targetILNS1_3genE10ELNS1_11target_archE1201ELNS1_3gpuE5ELNS1_3repE0EEENS1_59segmented_radix_sort_warp_sort_small_config_static_selectorELNS0_4arch9wavefront6targetE1EEEvSK_,comdat
	.globl	_ZN7rocprim17ROCPRIM_400000_NS6detail17trampoline_kernelINS0_14default_configENS1_36segmented_radix_sort_config_selectorIflEEZNS1_25segmented_radix_sort_implIS3_Lb0EPKfPfPKlPlN2at6native12_GLOBAL__N_18offset_tEEE10hipError_tPvRmT1_PNSt15iterator_traitsISK_E10value_typeET2_T3_PNSL_ISQ_E10value_typeET4_jRbjT5_SW_jjP12ihipStream_tbEUlT_E1_NS1_11comp_targetILNS1_3genE10ELNS1_11target_archE1201ELNS1_3gpuE5ELNS1_3repE0EEENS1_59segmented_radix_sort_warp_sort_small_config_static_selectorELNS0_4arch9wavefront6targetE1EEEvSK_ ; -- Begin function _ZN7rocprim17ROCPRIM_400000_NS6detail17trampoline_kernelINS0_14default_configENS1_36segmented_radix_sort_config_selectorIflEEZNS1_25segmented_radix_sort_implIS3_Lb0EPKfPfPKlPlN2at6native12_GLOBAL__N_18offset_tEEE10hipError_tPvRmT1_PNSt15iterator_traitsISK_E10value_typeET2_T3_PNSL_ISQ_E10value_typeET4_jRbjT5_SW_jjP12ihipStream_tbEUlT_E1_NS1_11comp_targetILNS1_3genE10ELNS1_11target_archE1201ELNS1_3gpuE5ELNS1_3repE0EEENS1_59segmented_radix_sort_warp_sort_small_config_static_selectorELNS0_4arch9wavefront6targetE1EEEvSK_
	.p2align	8
	.type	_ZN7rocprim17ROCPRIM_400000_NS6detail17trampoline_kernelINS0_14default_configENS1_36segmented_radix_sort_config_selectorIflEEZNS1_25segmented_radix_sort_implIS3_Lb0EPKfPfPKlPlN2at6native12_GLOBAL__N_18offset_tEEE10hipError_tPvRmT1_PNSt15iterator_traitsISK_E10value_typeET2_T3_PNSL_ISQ_E10value_typeET4_jRbjT5_SW_jjP12ihipStream_tbEUlT_E1_NS1_11comp_targetILNS1_3genE10ELNS1_11target_archE1201ELNS1_3gpuE5ELNS1_3repE0EEENS1_59segmented_radix_sort_warp_sort_small_config_static_selectorELNS0_4arch9wavefront6targetE1EEEvSK_,@function
_ZN7rocprim17ROCPRIM_400000_NS6detail17trampoline_kernelINS0_14default_configENS1_36segmented_radix_sort_config_selectorIflEEZNS1_25segmented_radix_sort_implIS3_Lb0EPKfPfPKlPlN2at6native12_GLOBAL__N_18offset_tEEE10hipError_tPvRmT1_PNSt15iterator_traitsISK_E10value_typeET2_T3_PNSL_ISQ_E10value_typeET4_jRbjT5_SW_jjP12ihipStream_tbEUlT_E1_NS1_11comp_targetILNS1_3genE10ELNS1_11target_archE1201ELNS1_3gpuE5ELNS1_3repE0EEENS1_59segmented_radix_sort_warp_sort_small_config_static_selectorELNS0_4arch9wavefront6targetE1EEEvSK_: ; @_ZN7rocprim17ROCPRIM_400000_NS6detail17trampoline_kernelINS0_14default_configENS1_36segmented_radix_sort_config_selectorIflEEZNS1_25segmented_radix_sort_implIS3_Lb0EPKfPfPKlPlN2at6native12_GLOBAL__N_18offset_tEEE10hipError_tPvRmT1_PNSt15iterator_traitsISK_E10value_typeET2_T3_PNSL_ISQ_E10value_typeET4_jRbjT5_SW_jjP12ihipStream_tbEUlT_E1_NS1_11comp_targetILNS1_3genE10ELNS1_11target_archE1201ELNS1_3gpuE5ELNS1_3repE0EEENS1_59segmented_radix_sort_warp_sort_small_config_static_selectorELNS0_4arch9wavefront6targetE1EEEvSK_
; %bb.0:
	.section	.rodata,"a",@progbits
	.p2align	6, 0x0
	.amdhsa_kernel _ZN7rocprim17ROCPRIM_400000_NS6detail17trampoline_kernelINS0_14default_configENS1_36segmented_radix_sort_config_selectorIflEEZNS1_25segmented_radix_sort_implIS3_Lb0EPKfPfPKlPlN2at6native12_GLOBAL__N_18offset_tEEE10hipError_tPvRmT1_PNSt15iterator_traitsISK_E10value_typeET2_T3_PNSL_ISQ_E10value_typeET4_jRbjT5_SW_jjP12ihipStream_tbEUlT_E1_NS1_11comp_targetILNS1_3genE10ELNS1_11target_archE1201ELNS1_3gpuE5ELNS1_3repE0EEENS1_59segmented_radix_sort_warp_sort_small_config_static_selectorELNS0_4arch9wavefront6targetE1EEEvSK_
		.amdhsa_group_segment_fixed_size 0
		.amdhsa_private_segment_fixed_size 0
		.amdhsa_kernarg_size 88
		.amdhsa_user_sgpr_count 6
		.amdhsa_user_sgpr_private_segment_buffer 1
		.amdhsa_user_sgpr_dispatch_ptr 0
		.amdhsa_user_sgpr_queue_ptr 0
		.amdhsa_user_sgpr_kernarg_segment_ptr 1
		.amdhsa_user_sgpr_dispatch_id 0
		.amdhsa_user_sgpr_flat_scratch_init 0
		.amdhsa_user_sgpr_kernarg_preload_length 0
		.amdhsa_user_sgpr_kernarg_preload_offset 0
		.amdhsa_user_sgpr_private_segment_size 0
		.amdhsa_uses_dynamic_stack 0
		.amdhsa_system_sgpr_private_segment_wavefront_offset 0
		.amdhsa_system_sgpr_workgroup_id_x 1
		.amdhsa_system_sgpr_workgroup_id_y 0
		.amdhsa_system_sgpr_workgroup_id_z 0
		.amdhsa_system_sgpr_workgroup_info 0
		.amdhsa_system_vgpr_workitem_id 0
		.amdhsa_next_free_vgpr 1
		.amdhsa_next_free_sgpr 0
		.amdhsa_accum_offset 4
		.amdhsa_reserve_vcc 0
		.amdhsa_reserve_flat_scratch 0
		.amdhsa_float_round_mode_32 0
		.amdhsa_float_round_mode_16_64 0
		.amdhsa_float_denorm_mode_32 3
		.amdhsa_float_denorm_mode_16_64 3
		.amdhsa_dx10_clamp 1
		.amdhsa_ieee_mode 1
		.amdhsa_fp16_overflow 0
		.amdhsa_tg_split 0
		.amdhsa_exception_fp_ieee_invalid_op 0
		.amdhsa_exception_fp_denorm_src 0
		.amdhsa_exception_fp_ieee_div_zero 0
		.amdhsa_exception_fp_ieee_overflow 0
		.amdhsa_exception_fp_ieee_underflow 0
		.amdhsa_exception_fp_ieee_inexact 0
		.amdhsa_exception_int_div_zero 0
	.end_amdhsa_kernel
	.section	.text._ZN7rocprim17ROCPRIM_400000_NS6detail17trampoline_kernelINS0_14default_configENS1_36segmented_radix_sort_config_selectorIflEEZNS1_25segmented_radix_sort_implIS3_Lb0EPKfPfPKlPlN2at6native12_GLOBAL__N_18offset_tEEE10hipError_tPvRmT1_PNSt15iterator_traitsISK_E10value_typeET2_T3_PNSL_ISQ_E10value_typeET4_jRbjT5_SW_jjP12ihipStream_tbEUlT_E1_NS1_11comp_targetILNS1_3genE10ELNS1_11target_archE1201ELNS1_3gpuE5ELNS1_3repE0EEENS1_59segmented_radix_sort_warp_sort_small_config_static_selectorELNS0_4arch9wavefront6targetE1EEEvSK_,"axG",@progbits,_ZN7rocprim17ROCPRIM_400000_NS6detail17trampoline_kernelINS0_14default_configENS1_36segmented_radix_sort_config_selectorIflEEZNS1_25segmented_radix_sort_implIS3_Lb0EPKfPfPKlPlN2at6native12_GLOBAL__N_18offset_tEEE10hipError_tPvRmT1_PNSt15iterator_traitsISK_E10value_typeET2_T3_PNSL_ISQ_E10value_typeET4_jRbjT5_SW_jjP12ihipStream_tbEUlT_E1_NS1_11comp_targetILNS1_3genE10ELNS1_11target_archE1201ELNS1_3gpuE5ELNS1_3repE0EEENS1_59segmented_radix_sort_warp_sort_small_config_static_selectorELNS0_4arch9wavefront6targetE1EEEvSK_,comdat
.Lfunc_end1452:
	.size	_ZN7rocprim17ROCPRIM_400000_NS6detail17trampoline_kernelINS0_14default_configENS1_36segmented_radix_sort_config_selectorIflEEZNS1_25segmented_radix_sort_implIS3_Lb0EPKfPfPKlPlN2at6native12_GLOBAL__N_18offset_tEEE10hipError_tPvRmT1_PNSt15iterator_traitsISK_E10value_typeET2_T3_PNSL_ISQ_E10value_typeET4_jRbjT5_SW_jjP12ihipStream_tbEUlT_E1_NS1_11comp_targetILNS1_3genE10ELNS1_11target_archE1201ELNS1_3gpuE5ELNS1_3repE0EEENS1_59segmented_radix_sort_warp_sort_small_config_static_selectorELNS0_4arch9wavefront6targetE1EEEvSK_, .Lfunc_end1452-_ZN7rocprim17ROCPRIM_400000_NS6detail17trampoline_kernelINS0_14default_configENS1_36segmented_radix_sort_config_selectorIflEEZNS1_25segmented_radix_sort_implIS3_Lb0EPKfPfPKlPlN2at6native12_GLOBAL__N_18offset_tEEE10hipError_tPvRmT1_PNSt15iterator_traitsISK_E10value_typeET2_T3_PNSL_ISQ_E10value_typeET4_jRbjT5_SW_jjP12ihipStream_tbEUlT_E1_NS1_11comp_targetILNS1_3genE10ELNS1_11target_archE1201ELNS1_3gpuE5ELNS1_3repE0EEENS1_59segmented_radix_sort_warp_sort_small_config_static_selectorELNS0_4arch9wavefront6targetE1EEEvSK_
                                        ; -- End function
	.section	.AMDGPU.csdata,"",@progbits
; Kernel info:
; codeLenInByte = 0
; NumSgprs: 4
; NumVgprs: 0
; NumAgprs: 0
; TotalNumVgprs: 0
; ScratchSize: 0
; MemoryBound: 0
; FloatMode: 240
; IeeeMode: 1
; LDSByteSize: 0 bytes/workgroup (compile time only)
; SGPRBlocks: 0
; VGPRBlocks: 0
; NumSGPRsForWavesPerEU: 4
; NumVGPRsForWavesPerEU: 1
; AccumOffset: 4
; Occupancy: 8
; WaveLimiterHint : 0
; COMPUTE_PGM_RSRC2:SCRATCH_EN: 0
; COMPUTE_PGM_RSRC2:USER_SGPR: 6
; COMPUTE_PGM_RSRC2:TRAP_HANDLER: 0
; COMPUTE_PGM_RSRC2:TGID_X_EN: 1
; COMPUTE_PGM_RSRC2:TGID_Y_EN: 0
; COMPUTE_PGM_RSRC2:TGID_Z_EN: 0
; COMPUTE_PGM_RSRC2:TIDIG_COMP_CNT: 0
; COMPUTE_PGM_RSRC3_GFX90A:ACCUM_OFFSET: 0
; COMPUTE_PGM_RSRC3_GFX90A:TG_SPLIT: 0
	.section	.text._ZN7rocprim17ROCPRIM_400000_NS6detail17trampoline_kernelINS0_14default_configENS1_36segmented_radix_sort_config_selectorIflEEZNS1_25segmented_radix_sort_implIS3_Lb0EPKfPfPKlPlN2at6native12_GLOBAL__N_18offset_tEEE10hipError_tPvRmT1_PNSt15iterator_traitsISK_E10value_typeET2_T3_PNSL_ISQ_E10value_typeET4_jRbjT5_SW_jjP12ihipStream_tbEUlT_E1_NS1_11comp_targetILNS1_3genE10ELNS1_11target_archE1200ELNS1_3gpuE4ELNS1_3repE0EEENS1_59segmented_radix_sort_warp_sort_small_config_static_selectorELNS0_4arch9wavefront6targetE1EEEvSK_,"axG",@progbits,_ZN7rocprim17ROCPRIM_400000_NS6detail17trampoline_kernelINS0_14default_configENS1_36segmented_radix_sort_config_selectorIflEEZNS1_25segmented_radix_sort_implIS3_Lb0EPKfPfPKlPlN2at6native12_GLOBAL__N_18offset_tEEE10hipError_tPvRmT1_PNSt15iterator_traitsISK_E10value_typeET2_T3_PNSL_ISQ_E10value_typeET4_jRbjT5_SW_jjP12ihipStream_tbEUlT_E1_NS1_11comp_targetILNS1_3genE10ELNS1_11target_archE1200ELNS1_3gpuE4ELNS1_3repE0EEENS1_59segmented_radix_sort_warp_sort_small_config_static_selectorELNS0_4arch9wavefront6targetE1EEEvSK_,comdat
	.globl	_ZN7rocprim17ROCPRIM_400000_NS6detail17trampoline_kernelINS0_14default_configENS1_36segmented_radix_sort_config_selectorIflEEZNS1_25segmented_radix_sort_implIS3_Lb0EPKfPfPKlPlN2at6native12_GLOBAL__N_18offset_tEEE10hipError_tPvRmT1_PNSt15iterator_traitsISK_E10value_typeET2_T3_PNSL_ISQ_E10value_typeET4_jRbjT5_SW_jjP12ihipStream_tbEUlT_E1_NS1_11comp_targetILNS1_3genE10ELNS1_11target_archE1200ELNS1_3gpuE4ELNS1_3repE0EEENS1_59segmented_radix_sort_warp_sort_small_config_static_selectorELNS0_4arch9wavefront6targetE1EEEvSK_ ; -- Begin function _ZN7rocprim17ROCPRIM_400000_NS6detail17trampoline_kernelINS0_14default_configENS1_36segmented_radix_sort_config_selectorIflEEZNS1_25segmented_radix_sort_implIS3_Lb0EPKfPfPKlPlN2at6native12_GLOBAL__N_18offset_tEEE10hipError_tPvRmT1_PNSt15iterator_traitsISK_E10value_typeET2_T3_PNSL_ISQ_E10value_typeET4_jRbjT5_SW_jjP12ihipStream_tbEUlT_E1_NS1_11comp_targetILNS1_3genE10ELNS1_11target_archE1200ELNS1_3gpuE4ELNS1_3repE0EEENS1_59segmented_radix_sort_warp_sort_small_config_static_selectorELNS0_4arch9wavefront6targetE1EEEvSK_
	.p2align	8
	.type	_ZN7rocprim17ROCPRIM_400000_NS6detail17trampoline_kernelINS0_14default_configENS1_36segmented_radix_sort_config_selectorIflEEZNS1_25segmented_radix_sort_implIS3_Lb0EPKfPfPKlPlN2at6native12_GLOBAL__N_18offset_tEEE10hipError_tPvRmT1_PNSt15iterator_traitsISK_E10value_typeET2_T3_PNSL_ISQ_E10value_typeET4_jRbjT5_SW_jjP12ihipStream_tbEUlT_E1_NS1_11comp_targetILNS1_3genE10ELNS1_11target_archE1200ELNS1_3gpuE4ELNS1_3repE0EEENS1_59segmented_radix_sort_warp_sort_small_config_static_selectorELNS0_4arch9wavefront6targetE1EEEvSK_,@function
_ZN7rocprim17ROCPRIM_400000_NS6detail17trampoline_kernelINS0_14default_configENS1_36segmented_radix_sort_config_selectorIflEEZNS1_25segmented_radix_sort_implIS3_Lb0EPKfPfPKlPlN2at6native12_GLOBAL__N_18offset_tEEE10hipError_tPvRmT1_PNSt15iterator_traitsISK_E10value_typeET2_T3_PNSL_ISQ_E10value_typeET4_jRbjT5_SW_jjP12ihipStream_tbEUlT_E1_NS1_11comp_targetILNS1_3genE10ELNS1_11target_archE1200ELNS1_3gpuE4ELNS1_3repE0EEENS1_59segmented_radix_sort_warp_sort_small_config_static_selectorELNS0_4arch9wavefront6targetE1EEEvSK_: ; @_ZN7rocprim17ROCPRIM_400000_NS6detail17trampoline_kernelINS0_14default_configENS1_36segmented_radix_sort_config_selectorIflEEZNS1_25segmented_radix_sort_implIS3_Lb0EPKfPfPKlPlN2at6native12_GLOBAL__N_18offset_tEEE10hipError_tPvRmT1_PNSt15iterator_traitsISK_E10value_typeET2_T3_PNSL_ISQ_E10value_typeET4_jRbjT5_SW_jjP12ihipStream_tbEUlT_E1_NS1_11comp_targetILNS1_3genE10ELNS1_11target_archE1200ELNS1_3gpuE4ELNS1_3repE0EEENS1_59segmented_radix_sort_warp_sort_small_config_static_selectorELNS0_4arch9wavefront6targetE1EEEvSK_
; %bb.0:
	.section	.rodata,"a",@progbits
	.p2align	6, 0x0
	.amdhsa_kernel _ZN7rocprim17ROCPRIM_400000_NS6detail17trampoline_kernelINS0_14default_configENS1_36segmented_radix_sort_config_selectorIflEEZNS1_25segmented_radix_sort_implIS3_Lb0EPKfPfPKlPlN2at6native12_GLOBAL__N_18offset_tEEE10hipError_tPvRmT1_PNSt15iterator_traitsISK_E10value_typeET2_T3_PNSL_ISQ_E10value_typeET4_jRbjT5_SW_jjP12ihipStream_tbEUlT_E1_NS1_11comp_targetILNS1_3genE10ELNS1_11target_archE1200ELNS1_3gpuE4ELNS1_3repE0EEENS1_59segmented_radix_sort_warp_sort_small_config_static_selectorELNS0_4arch9wavefront6targetE1EEEvSK_
		.amdhsa_group_segment_fixed_size 0
		.amdhsa_private_segment_fixed_size 0
		.amdhsa_kernarg_size 88
		.amdhsa_user_sgpr_count 6
		.amdhsa_user_sgpr_private_segment_buffer 1
		.amdhsa_user_sgpr_dispatch_ptr 0
		.amdhsa_user_sgpr_queue_ptr 0
		.amdhsa_user_sgpr_kernarg_segment_ptr 1
		.amdhsa_user_sgpr_dispatch_id 0
		.amdhsa_user_sgpr_flat_scratch_init 0
		.amdhsa_user_sgpr_kernarg_preload_length 0
		.amdhsa_user_sgpr_kernarg_preload_offset 0
		.amdhsa_user_sgpr_private_segment_size 0
		.amdhsa_uses_dynamic_stack 0
		.amdhsa_system_sgpr_private_segment_wavefront_offset 0
		.amdhsa_system_sgpr_workgroup_id_x 1
		.amdhsa_system_sgpr_workgroup_id_y 0
		.amdhsa_system_sgpr_workgroup_id_z 0
		.amdhsa_system_sgpr_workgroup_info 0
		.amdhsa_system_vgpr_workitem_id 0
		.amdhsa_next_free_vgpr 1
		.amdhsa_next_free_sgpr 0
		.amdhsa_accum_offset 4
		.amdhsa_reserve_vcc 0
		.amdhsa_reserve_flat_scratch 0
		.amdhsa_float_round_mode_32 0
		.amdhsa_float_round_mode_16_64 0
		.amdhsa_float_denorm_mode_32 3
		.amdhsa_float_denorm_mode_16_64 3
		.amdhsa_dx10_clamp 1
		.amdhsa_ieee_mode 1
		.amdhsa_fp16_overflow 0
		.amdhsa_tg_split 0
		.amdhsa_exception_fp_ieee_invalid_op 0
		.amdhsa_exception_fp_denorm_src 0
		.amdhsa_exception_fp_ieee_div_zero 0
		.amdhsa_exception_fp_ieee_overflow 0
		.amdhsa_exception_fp_ieee_underflow 0
		.amdhsa_exception_fp_ieee_inexact 0
		.amdhsa_exception_int_div_zero 0
	.end_amdhsa_kernel
	.section	.text._ZN7rocprim17ROCPRIM_400000_NS6detail17trampoline_kernelINS0_14default_configENS1_36segmented_radix_sort_config_selectorIflEEZNS1_25segmented_radix_sort_implIS3_Lb0EPKfPfPKlPlN2at6native12_GLOBAL__N_18offset_tEEE10hipError_tPvRmT1_PNSt15iterator_traitsISK_E10value_typeET2_T3_PNSL_ISQ_E10value_typeET4_jRbjT5_SW_jjP12ihipStream_tbEUlT_E1_NS1_11comp_targetILNS1_3genE10ELNS1_11target_archE1200ELNS1_3gpuE4ELNS1_3repE0EEENS1_59segmented_radix_sort_warp_sort_small_config_static_selectorELNS0_4arch9wavefront6targetE1EEEvSK_,"axG",@progbits,_ZN7rocprim17ROCPRIM_400000_NS6detail17trampoline_kernelINS0_14default_configENS1_36segmented_radix_sort_config_selectorIflEEZNS1_25segmented_radix_sort_implIS3_Lb0EPKfPfPKlPlN2at6native12_GLOBAL__N_18offset_tEEE10hipError_tPvRmT1_PNSt15iterator_traitsISK_E10value_typeET2_T3_PNSL_ISQ_E10value_typeET4_jRbjT5_SW_jjP12ihipStream_tbEUlT_E1_NS1_11comp_targetILNS1_3genE10ELNS1_11target_archE1200ELNS1_3gpuE4ELNS1_3repE0EEENS1_59segmented_radix_sort_warp_sort_small_config_static_selectorELNS0_4arch9wavefront6targetE1EEEvSK_,comdat
.Lfunc_end1453:
	.size	_ZN7rocprim17ROCPRIM_400000_NS6detail17trampoline_kernelINS0_14default_configENS1_36segmented_radix_sort_config_selectorIflEEZNS1_25segmented_radix_sort_implIS3_Lb0EPKfPfPKlPlN2at6native12_GLOBAL__N_18offset_tEEE10hipError_tPvRmT1_PNSt15iterator_traitsISK_E10value_typeET2_T3_PNSL_ISQ_E10value_typeET4_jRbjT5_SW_jjP12ihipStream_tbEUlT_E1_NS1_11comp_targetILNS1_3genE10ELNS1_11target_archE1200ELNS1_3gpuE4ELNS1_3repE0EEENS1_59segmented_radix_sort_warp_sort_small_config_static_selectorELNS0_4arch9wavefront6targetE1EEEvSK_, .Lfunc_end1453-_ZN7rocprim17ROCPRIM_400000_NS6detail17trampoline_kernelINS0_14default_configENS1_36segmented_radix_sort_config_selectorIflEEZNS1_25segmented_radix_sort_implIS3_Lb0EPKfPfPKlPlN2at6native12_GLOBAL__N_18offset_tEEE10hipError_tPvRmT1_PNSt15iterator_traitsISK_E10value_typeET2_T3_PNSL_ISQ_E10value_typeET4_jRbjT5_SW_jjP12ihipStream_tbEUlT_E1_NS1_11comp_targetILNS1_3genE10ELNS1_11target_archE1200ELNS1_3gpuE4ELNS1_3repE0EEENS1_59segmented_radix_sort_warp_sort_small_config_static_selectorELNS0_4arch9wavefront6targetE1EEEvSK_
                                        ; -- End function
	.section	.AMDGPU.csdata,"",@progbits
; Kernel info:
; codeLenInByte = 0
; NumSgprs: 4
; NumVgprs: 0
; NumAgprs: 0
; TotalNumVgprs: 0
; ScratchSize: 0
; MemoryBound: 0
; FloatMode: 240
; IeeeMode: 1
; LDSByteSize: 0 bytes/workgroup (compile time only)
; SGPRBlocks: 0
; VGPRBlocks: 0
; NumSGPRsForWavesPerEU: 4
; NumVGPRsForWavesPerEU: 1
; AccumOffset: 4
; Occupancy: 8
; WaveLimiterHint : 0
; COMPUTE_PGM_RSRC2:SCRATCH_EN: 0
; COMPUTE_PGM_RSRC2:USER_SGPR: 6
; COMPUTE_PGM_RSRC2:TRAP_HANDLER: 0
; COMPUTE_PGM_RSRC2:TGID_X_EN: 1
; COMPUTE_PGM_RSRC2:TGID_Y_EN: 0
; COMPUTE_PGM_RSRC2:TGID_Z_EN: 0
; COMPUTE_PGM_RSRC2:TIDIG_COMP_CNT: 0
; COMPUTE_PGM_RSRC3_GFX90A:ACCUM_OFFSET: 0
; COMPUTE_PGM_RSRC3_GFX90A:TG_SPLIT: 0
	.section	.text._ZN7rocprim17ROCPRIM_400000_NS6detail17trampoline_kernelINS0_14default_configENS1_36segmented_radix_sort_config_selectorIflEEZNS1_25segmented_radix_sort_implIS3_Lb0EPKfPfPKlPlN2at6native12_GLOBAL__N_18offset_tEEE10hipError_tPvRmT1_PNSt15iterator_traitsISK_E10value_typeET2_T3_PNSL_ISQ_E10value_typeET4_jRbjT5_SW_jjP12ihipStream_tbEUlT_E1_NS1_11comp_targetILNS1_3genE9ELNS1_11target_archE1100ELNS1_3gpuE3ELNS1_3repE0EEENS1_59segmented_radix_sort_warp_sort_small_config_static_selectorELNS0_4arch9wavefront6targetE1EEEvSK_,"axG",@progbits,_ZN7rocprim17ROCPRIM_400000_NS6detail17trampoline_kernelINS0_14default_configENS1_36segmented_radix_sort_config_selectorIflEEZNS1_25segmented_radix_sort_implIS3_Lb0EPKfPfPKlPlN2at6native12_GLOBAL__N_18offset_tEEE10hipError_tPvRmT1_PNSt15iterator_traitsISK_E10value_typeET2_T3_PNSL_ISQ_E10value_typeET4_jRbjT5_SW_jjP12ihipStream_tbEUlT_E1_NS1_11comp_targetILNS1_3genE9ELNS1_11target_archE1100ELNS1_3gpuE3ELNS1_3repE0EEENS1_59segmented_radix_sort_warp_sort_small_config_static_selectorELNS0_4arch9wavefront6targetE1EEEvSK_,comdat
	.globl	_ZN7rocprim17ROCPRIM_400000_NS6detail17trampoline_kernelINS0_14default_configENS1_36segmented_radix_sort_config_selectorIflEEZNS1_25segmented_radix_sort_implIS3_Lb0EPKfPfPKlPlN2at6native12_GLOBAL__N_18offset_tEEE10hipError_tPvRmT1_PNSt15iterator_traitsISK_E10value_typeET2_T3_PNSL_ISQ_E10value_typeET4_jRbjT5_SW_jjP12ihipStream_tbEUlT_E1_NS1_11comp_targetILNS1_3genE9ELNS1_11target_archE1100ELNS1_3gpuE3ELNS1_3repE0EEENS1_59segmented_radix_sort_warp_sort_small_config_static_selectorELNS0_4arch9wavefront6targetE1EEEvSK_ ; -- Begin function _ZN7rocprim17ROCPRIM_400000_NS6detail17trampoline_kernelINS0_14default_configENS1_36segmented_radix_sort_config_selectorIflEEZNS1_25segmented_radix_sort_implIS3_Lb0EPKfPfPKlPlN2at6native12_GLOBAL__N_18offset_tEEE10hipError_tPvRmT1_PNSt15iterator_traitsISK_E10value_typeET2_T3_PNSL_ISQ_E10value_typeET4_jRbjT5_SW_jjP12ihipStream_tbEUlT_E1_NS1_11comp_targetILNS1_3genE9ELNS1_11target_archE1100ELNS1_3gpuE3ELNS1_3repE0EEENS1_59segmented_radix_sort_warp_sort_small_config_static_selectorELNS0_4arch9wavefront6targetE1EEEvSK_
	.p2align	8
	.type	_ZN7rocprim17ROCPRIM_400000_NS6detail17trampoline_kernelINS0_14default_configENS1_36segmented_radix_sort_config_selectorIflEEZNS1_25segmented_radix_sort_implIS3_Lb0EPKfPfPKlPlN2at6native12_GLOBAL__N_18offset_tEEE10hipError_tPvRmT1_PNSt15iterator_traitsISK_E10value_typeET2_T3_PNSL_ISQ_E10value_typeET4_jRbjT5_SW_jjP12ihipStream_tbEUlT_E1_NS1_11comp_targetILNS1_3genE9ELNS1_11target_archE1100ELNS1_3gpuE3ELNS1_3repE0EEENS1_59segmented_radix_sort_warp_sort_small_config_static_selectorELNS0_4arch9wavefront6targetE1EEEvSK_,@function
_ZN7rocprim17ROCPRIM_400000_NS6detail17trampoline_kernelINS0_14default_configENS1_36segmented_radix_sort_config_selectorIflEEZNS1_25segmented_radix_sort_implIS3_Lb0EPKfPfPKlPlN2at6native12_GLOBAL__N_18offset_tEEE10hipError_tPvRmT1_PNSt15iterator_traitsISK_E10value_typeET2_T3_PNSL_ISQ_E10value_typeET4_jRbjT5_SW_jjP12ihipStream_tbEUlT_E1_NS1_11comp_targetILNS1_3genE9ELNS1_11target_archE1100ELNS1_3gpuE3ELNS1_3repE0EEENS1_59segmented_radix_sort_warp_sort_small_config_static_selectorELNS0_4arch9wavefront6targetE1EEEvSK_: ; @_ZN7rocprim17ROCPRIM_400000_NS6detail17trampoline_kernelINS0_14default_configENS1_36segmented_radix_sort_config_selectorIflEEZNS1_25segmented_radix_sort_implIS3_Lb0EPKfPfPKlPlN2at6native12_GLOBAL__N_18offset_tEEE10hipError_tPvRmT1_PNSt15iterator_traitsISK_E10value_typeET2_T3_PNSL_ISQ_E10value_typeET4_jRbjT5_SW_jjP12ihipStream_tbEUlT_E1_NS1_11comp_targetILNS1_3genE9ELNS1_11target_archE1100ELNS1_3gpuE3ELNS1_3repE0EEENS1_59segmented_radix_sort_warp_sort_small_config_static_selectorELNS0_4arch9wavefront6targetE1EEEvSK_
; %bb.0:
	.section	.rodata,"a",@progbits
	.p2align	6, 0x0
	.amdhsa_kernel _ZN7rocprim17ROCPRIM_400000_NS6detail17trampoline_kernelINS0_14default_configENS1_36segmented_radix_sort_config_selectorIflEEZNS1_25segmented_radix_sort_implIS3_Lb0EPKfPfPKlPlN2at6native12_GLOBAL__N_18offset_tEEE10hipError_tPvRmT1_PNSt15iterator_traitsISK_E10value_typeET2_T3_PNSL_ISQ_E10value_typeET4_jRbjT5_SW_jjP12ihipStream_tbEUlT_E1_NS1_11comp_targetILNS1_3genE9ELNS1_11target_archE1100ELNS1_3gpuE3ELNS1_3repE0EEENS1_59segmented_radix_sort_warp_sort_small_config_static_selectorELNS0_4arch9wavefront6targetE1EEEvSK_
		.amdhsa_group_segment_fixed_size 0
		.amdhsa_private_segment_fixed_size 0
		.amdhsa_kernarg_size 88
		.amdhsa_user_sgpr_count 6
		.amdhsa_user_sgpr_private_segment_buffer 1
		.amdhsa_user_sgpr_dispatch_ptr 0
		.amdhsa_user_sgpr_queue_ptr 0
		.amdhsa_user_sgpr_kernarg_segment_ptr 1
		.amdhsa_user_sgpr_dispatch_id 0
		.amdhsa_user_sgpr_flat_scratch_init 0
		.amdhsa_user_sgpr_kernarg_preload_length 0
		.amdhsa_user_sgpr_kernarg_preload_offset 0
		.amdhsa_user_sgpr_private_segment_size 0
		.amdhsa_uses_dynamic_stack 0
		.amdhsa_system_sgpr_private_segment_wavefront_offset 0
		.amdhsa_system_sgpr_workgroup_id_x 1
		.amdhsa_system_sgpr_workgroup_id_y 0
		.amdhsa_system_sgpr_workgroup_id_z 0
		.amdhsa_system_sgpr_workgroup_info 0
		.amdhsa_system_vgpr_workitem_id 0
		.amdhsa_next_free_vgpr 1
		.amdhsa_next_free_sgpr 0
		.amdhsa_accum_offset 4
		.amdhsa_reserve_vcc 0
		.amdhsa_reserve_flat_scratch 0
		.amdhsa_float_round_mode_32 0
		.amdhsa_float_round_mode_16_64 0
		.amdhsa_float_denorm_mode_32 3
		.amdhsa_float_denorm_mode_16_64 3
		.amdhsa_dx10_clamp 1
		.amdhsa_ieee_mode 1
		.amdhsa_fp16_overflow 0
		.amdhsa_tg_split 0
		.amdhsa_exception_fp_ieee_invalid_op 0
		.amdhsa_exception_fp_denorm_src 0
		.amdhsa_exception_fp_ieee_div_zero 0
		.amdhsa_exception_fp_ieee_overflow 0
		.amdhsa_exception_fp_ieee_underflow 0
		.amdhsa_exception_fp_ieee_inexact 0
		.amdhsa_exception_int_div_zero 0
	.end_amdhsa_kernel
	.section	.text._ZN7rocprim17ROCPRIM_400000_NS6detail17trampoline_kernelINS0_14default_configENS1_36segmented_radix_sort_config_selectorIflEEZNS1_25segmented_radix_sort_implIS3_Lb0EPKfPfPKlPlN2at6native12_GLOBAL__N_18offset_tEEE10hipError_tPvRmT1_PNSt15iterator_traitsISK_E10value_typeET2_T3_PNSL_ISQ_E10value_typeET4_jRbjT5_SW_jjP12ihipStream_tbEUlT_E1_NS1_11comp_targetILNS1_3genE9ELNS1_11target_archE1100ELNS1_3gpuE3ELNS1_3repE0EEENS1_59segmented_radix_sort_warp_sort_small_config_static_selectorELNS0_4arch9wavefront6targetE1EEEvSK_,"axG",@progbits,_ZN7rocprim17ROCPRIM_400000_NS6detail17trampoline_kernelINS0_14default_configENS1_36segmented_radix_sort_config_selectorIflEEZNS1_25segmented_radix_sort_implIS3_Lb0EPKfPfPKlPlN2at6native12_GLOBAL__N_18offset_tEEE10hipError_tPvRmT1_PNSt15iterator_traitsISK_E10value_typeET2_T3_PNSL_ISQ_E10value_typeET4_jRbjT5_SW_jjP12ihipStream_tbEUlT_E1_NS1_11comp_targetILNS1_3genE9ELNS1_11target_archE1100ELNS1_3gpuE3ELNS1_3repE0EEENS1_59segmented_radix_sort_warp_sort_small_config_static_selectorELNS0_4arch9wavefront6targetE1EEEvSK_,comdat
.Lfunc_end1454:
	.size	_ZN7rocprim17ROCPRIM_400000_NS6detail17trampoline_kernelINS0_14default_configENS1_36segmented_radix_sort_config_selectorIflEEZNS1_25segmented_radix_sort_implIS3_Lb0EPKfPfPKlPlN2at6native12_GLOBAL__N_18offset_tEEE10hipError_tPvRmT1_PNSt15iterator_traitsISK_E10value_typeET2_T3_PNSL_ISQ_E10value_typeET4_jRbjT5_SW_jjP12ihipStream_tbEUlT_E1_NS1_11comp_targetILNS1_3genE9ELNS1_11target_archE1100ELNS1_3gpuE3ELNS1_3repE0EEENS1_59segmented_radix_sort_warp_sort_small_config_static_selectorELNS0_4arch9wavefront6targetE1EEEvSK_, .Lfunc_end1454-_ZN7rocprim17ROCPRIM_400000_NS6detail17trampoline_kernelINS0_14default_configENS1_36segmented_radix_sort_config_selectorIflEEZNS1_25segmented_radix_sort_implIS3_Lb0EPKfPfPKlPlN2at6native12_GLOBAL__N_18offset_tEEE10hipError_tPvRmT1_PNSt15iterator_traitsISK_E10value_typeET2_T3_PNSL_ISQ_E10value_typeET4_jRbjT5_SW_jjP12ihipStream_tbEUlT_E1_NS1_11comp_targetILNS1_3genE9ELNS1_11target_archE1100ELNS1_3gpuE3ELNS1_3repE0EEENS1_59segmented_radix_sort_warp_sort_small_config_static_selectorELNS0_4arch9wavefront6targetE1EEEvSK_
                                        ; -- End function
	.section	.AMDGPU.csdata,"",@progbits
; Kernel info:
; codeLenInByte = 0
; NumSgprs: 4
; NumVgprs: 0
; NumAgprs: 0
; TotalNumVgprs: 0
; ScratchSize: 0
; MemoryBound: 0
; FloatMode: 240
; IeeeMode: 1
; LDSByteSize: 0 bytes/workgroup (compile time only)
; SGPRBlocks: 0
; VGPRBlocks: 0
; NumSGPRsForWavesPerEU: 4
; NumVGPRsForWavesPerEU: 1
; AccumOffset: 4
; Occupancy: 8
; WaveLimiterHint : 0
; COMPUTE_PGM_RSRC2:SCRATCH_EN: 0
; COMPUTE_PGM_RSRC2:USER_SGPR: 6
; COMPUTE_PGM_RSRC2:TRAP_HANDLER: 0
; COMPUTE_PGM_RSRC2:TGID_X_EN: 1
; COMPUTE_PGM_RSRC2:TGID_Y_EN: 0
; COMPUTE_PGM_RSRC2:TGID_Z_EN: 0
; COMPUTE_PGM_RSRC2:TIDIG_COMP_CNT: 0
; COMPUTE_PGM_RSRC3_GFX90A:ACCUM_OFFSET: 0
; COMPUTE_PGM_RSRC3_GFX90A:TG_SPLIT: 0
	.section	.text._ZN7rocprim17ROCPRIM_400000_NS6detail17trampoline_kernelINS0_14default_configENS1_36segmented_radix_sort_config_selectorIflEEZNS1_25segmented_radix_sort_implIS3_Lb0EPKfPfPKlPlN2at6native12_GLOBAL__N_18offset_tEEE10hipError_tPvRmT1_PNSt15iterator_traitsISK_E10value_typeET2_T3_PNSL_ISQ_E10value_typeET4_jRbjT5_SW_jjP12ihipStream_tbEUlT_E1_NS1_11comp_targetILNS1_3genE8ELNS1_11target_archE1030ELNS1_3gpuE2ELNS1_3repE0EEENS1_59segmented_radix_sort_warp_sort_small_config_static_selectorELNS0_4arch9wavefront6targetE1EEEvSK_,"axG",@progbits,_ZN7rocprim17ROCPRIM_400000_NS6detail17trampoline_kernelINS0_14default_configENS1_36segmented_radix_sort_config_selectorIflEEZNS1_25segmented_radix_sort_implIS3_Lb0EPKfPfPKlPlN2at6native12_GLOBAL__N_18offset_tEEE10hipError_tPvRmT1_PNSt15iterator_traitsISK_E10value_typeET2_T3_PNSL_ISQ_E10value_typeET4_jRbjT5_SW_jjP12ihipStream_tbEUlT_E1_NS1_11comp_targetILNS1_3genE8ELNS1_11target_archE1030ELNS1_3gpuE2ELNS1_3repE0EEENS1_59segmented_radix_sort_warp_sort_small_config_static_selectorELNS0_4arch9wavefront6targetE1EEEvSK_,comdat
	.globl	_ZN7rocprim17ROCPRIM_400000_NS6detail17trampoline_kernelINS0_14default_configENS1_36segmented_radix_sort_config_selectorIflEEZNS1_25segmented_radix_sort_implIS3_Lb0EPKfPfPKlPlN2at6native12_GLOBAL__N_18offset_tEEE10hipError_tPvRmT1_PNSt15iterator_traitsISK_E10value_typeET2_T3_PNSL_ISQ_E10value_typeET4_jRbjT5_SW_jjP12ihipStream_tbEUlT_E1_NS1_11comp_targetILNS1_3genE8ELNS1_11target_archE1030ELNS1_3gpuE2ELNS1_3repE0EEENS1_59segmented_radix_sort_warp_sort_small_config_static_selectorELNS0_4arch9wavefront6targetE1EEEvSK_ ; -- Begin function _ZN7rocprim17ROCPRIM_400000_NS6detail17trampoline_kernelINS0_14default_configENS1_36segmented_radix_sort_config_selectorIflEEZNS1_25segmented_radix_sort_implIS3_Lb0EPKfPfPKlPlN2at6native12_GLOBAL__N_18offset_tEEE10hipError_tPvRmT1_PNSt15iterator_traitsISK_E10value_typeET2_T3_PNSL_ISQ_E10value_typeET4_jRbjT5_SW_jjP12ihipStream_tbEUlT_E1_NS1_11comp_targetILNS1_3genE8ELNS1_11target_archE1030ELNS1_3gpuE2ELNS1_3repE0EEENS1_59segmented_radix_sort_warp_sort_small_config_static_selectorELNS0_4arch9wavefront6targetE1EEEvSK_
	.p2align	8
	.type	_ZN7rocprim17ROCPRIM_400000_NS6detail17trampoline_kernelINS0_14default_configENS1_36segmented_radix_sort_config_selectorIflEEZNS1_25segmented_radix_sort_implIS3_Lb0EPKfPfPKlPlN2at6native12_GLOBAL__N_18offset_tEEE10hipError_tPvRmT1_PNSt15iterator_traitsISK_E10value_typeET2_T3_PNSL_ISQ_E10value_typeET4_jRbjT5_SW_jjP12ihipStream_tbEUlT_E1_NS1_11comp_targetILNS1_3genE8ELNS1_11target_archE1030ELNS1_3gpuE2ELNS1_3repE0EEENS1_59segmented_radix_sort_warp_sort_small_config_static_selectorELNS0_4arch9wavefront6targetE1EEEvSK_,@function
_ZN7rocprim17ROCPRIM_400000_NS6detail17trampoline_kernelINS0_14default_configENS1_36segmented_radix_sort_config_selectorIflEEZNS1_25segmented_radix_sort_implIS3_Lb0EPKfPfPKlPlN2at6native12_GLOBAL__N_18offset_tEEE10hipError_tPvRmT1_PNSt15iterator_traitsISK_E10value_typeET2_T3_PNSL_ISQ_E10value_typeET4_jRbjT5_SW_jjP12ihipStream_tbEUlT_E1_NS1_11comp_targetILNS1_3genE8ELNS1_11target_archE1030ELNS1_3gpuE2ELNS1_3repE0EEENS1_59segmented_radix_sort_warp_sort_small_config_static_selectorELNS0_4arch9wavefront6targetE1EEEvSK_: ; @_ZN7rocprim17ROCPRIM_400000_NS6detail17trampoline_kernelINS0_14default_configENS1_36segmented_radix_sort_config_selectorIflEEZNS1_25segmented_radix_sort_implIS3_Lb0EPKfPfPKlPlN2at6native12_GLOBAL__N_18offset_tEEE10hipError_tPvRmT1_PNSt15iterator_traitsISK_E10value_typeET2_T3_PNSL_ISQ_E10value_typeET4_jRbjT5_SW_jjP12ihipStream_tbEUlT_E1_NS1_11comp_targetILNS1_3genE8ELNS1_11target_archE1030ELNS1_3gpuE2ELNS1_3repE0EEENS1_59segmented_radix_sort_warp_sort_small_config_static_selectorELNS0_4arch9wavefront6targetE1EEEvSK_
; %bb.0:
	.section	.rodata,"a",@progbits
	.p2align	6, 0x0
	.amdhsa_kernel _ZN7rocprim17ROCPRIM_400000_NS6detail17trampoline_kernelINS0_14default_configENS1_36segmented_radix_sort_config_selectorIflEEZNS1_25segmented_radix_sort_implIS3_Lb0EPKfPfPKlPlN2at6native12_GLOBAL__N_18offset_tEEE10hipError_tPvRmT1_PNSt15iterator_traitsISK_E10value_typeET2_T3_PNSL_ISQ_E10value_typeET4_jRbjT5_SW_jjP12ihipStream_tbEUlT_E1_NS1_11comp_targetILNS1_3genE8ELNS1_11target_archE1030ELNS1_3gpuE2ELNS1_3repE0EEENS1_59segmented_radix_sort_warp_sort_small_config_static_selectorELNS0_4arch9wavefront6targetE1EEEvSK_
		.amdhsa_group_segment_fixed_size 0
		.amdhsa_private_segment_fixed_size 0
		.amdhsa_kernarg_size 88
		.amdhsa_user_sgpr_count 6
		.amdhsa_user_sgpr_private_segment_buffer 1
		.amdhsa_user_sgpr_dispatch_ptr 0
		.amdhsa_user_sgpr_queue_ptr 0
		.amdhsa_user_sgpr_kernarg_segment_ptr 1
		.amdhsa_user_sgpr_dispatch_id 0
		.amdhsa_user_sgpr_flat_scratch_init 0
		.amdhsa_user_sgpr_kernarg_preload_length 0
		.amdhsa_user_sgpr_kernarg_preload_offset 0
		.amdhsa_user_sgpr_private_segment_size 0
		.amdhsa_uses_dynamic_stack 0
		.amdhsa_system_sgpr_private_segment_wavefront_offset 0
		.amdhsa_system_sgpr_workgroup_id_x 1
		.amdhsa_system_sgpr_workgroup_id_y 0
		.amdhsa_system_sgpr_workgroup_id_z 0
		.amdhsa_system_sgpr_workgroup_info 0
		.amdhsa_system_vgpr_workitem_id 0
		.amdhsa_next_free_vgpr 1
		.amdhsa_next_free_sgpr 0
		.amdhsa_accum_offset 4
		.amdhsa_reserve_vcc 0
		.amdhsa_reserve_flat_scratch 0
		.amdhsa_float_round_mode_32 0
		.amdhsa_float_round_mode_16_64 0
		.amdhsa_float_denorm_mode_32 3
		.amdhsa_float_denorm_mode_16_64 3
		.amdhsa_dx10_clamp 1
		.amdhsa_ieee_mode 1
		.amdhsa_fp16_overflow 0
		.amdhsa_tg_split 0
		.amdhsa_exception_fp_ieee_invalid_op 0
		.amdhsa_exception_fp_denorm_src 0
		.amdhsa_exception_fp_ieee_div_zero 0
		.amdhsa_exception_fp_ieee_overflow 0
		.amdhsa_exception_fp_ieee_underflow 0
		.amdhsa_exception_fp_ieee_inexact 0
		.amdhsa_exception_int_div_zero 0
	.end_amdhsa_kernel
	.section	.text._ZN7rocprim17ROCPRIM_400000_NS6detail17trampoline_kernelINS0_14default_configENS1_36segmented_radix_sort_config_selectorIflEEZNS1_25segmented_radix_sort_implIS3_Lb0EPKfPfPKlPlN2at6native12_GLOBAL__N_18offset_tEEE10hipError_tPvRmT1_PNSt15iterator_traitsISK_E10value_typeET2_T3_PNSL_ISQ_E10value_typeET4_jRbjT5_SW_jjP12ihipStream_tbEUlT_E1_NS1_11comp_targetILNS1_3genE8ELNS1_11target_archE1030ELNS1_3gpuE2ELNS1_3repE0EEENS1_59segmented_radix_sort_warp_sort_small_config_static_selectorELNS0_4arch9wavefront6targetE1EEEvSK_,"axG",@progbits,_ZN7rocprim17ROCPRIM_400000_NS6detail17trampoline_kernelINS0_14default_configENS1_36segmented_radix_sort_config_selectorIflEEZNS1_25segmented_radix_sort_implIS3_Lb0EPKfPfPKlPlN2at6native12_GLOBAL__N_18offset_tEEE10hipError_tPvRmT1_PNSt15iterator_traitsISK_E10value_typeET2_T3_PNSL_ISQ_E10value_typeET4_jRbjT5_SW_jjP12ihipStream_tbEUlT_E1_NS1_11comp_targetILNS1_3genE8ELNS1_11target_archE1030ELNS1_3gpuE2ELNS1_3repE0EEENS1_59segmented_radix_sort_warp_sort_small_config_static_selectorELNS0_4arch9wavefront6targetE1EEEvSK_,comdat
.Lfunc_end1455:
	.size	_ZN7rocprim17ROCPRIM_400000_NS6detail17trampoline_kernelINS0_14default_configENS1_36segmented_radix_sort_config_selectorIflEEZNS1_25segmented_radix_sort_implIS3_Lb0EPKfPfPKlPlN2at6native12_GLOBAL__N_18offset_tEEE10hipError_tPvRmT1_PNSt15iterator_traitsISK_E10value_typeET2_T3_PNSL_ISQ_E10value_typeET4_jRbjT5_SW_jjP12ihipStream_tbEUlT_E1_NS1_11comp_targetILNS1_3genE8ELNS1_11target_archE1030ELNS1_3gpuE2ELNS1_3repE0EEENS1_59segmented_radix_sort_warp_sort_small_config_static_selectorELNS0_4arch9wavefront6targetE1EEEvSK_, .Lfunc_end1455-_ZN7rocprim17ROCPRIM_400000_NS6detail17trampoline_kernelINS0_14default_configENS1_36segmented_radix_sort_config_selectorIflEEZNS1_25segmented_radix_sort_implIS3_Lb0EPKfPfPKlPlN2at6native12_GLOBAL__N_18offset_tEEE10hipError_tPvRmT1_PNSt15iterator_traitsISK_E10value_typeET2_T3_PNSL_ISQ_E10value_typeET4_jRbjT5_SW_jjP12ihipStream_tbEUlT_E1_NS1_11comp_targetILNS1_3genE8ELNS1_11target_archE1030ELNS1_3gpuE2ELNS1_3repE0EEENS1_59segmented_radix_sort_warp_sort_small_config_static_selectorELNS0_4arch9wavefront6targetE1EEEvSK_
                                        ; -- End function
	.section	.AMDGPU.csdata,"",@progbits
; Kernel info:
; codeLenInByte = 0
; NumSgprs: 4
; NumVgprs: 0
; NumAgprs: 0
; TotalNumVgprs: 0
; ScratchSize: 0
; MemoryBound: 0
; FloatMode: 240
; IeeeMode: 1
; LDSByteSize: 0 bytes/workgroup (compile time only)
; SGPRBlocks: 0
; VGPRBlocks: 0
; NumSGPRsForWavesPerEU: 4
; NumVGPRsForWavesPerEU: 1
; AccumOffset: 4
; Occupancy: 8
; WaveLimiterHint : 0
; COMPUTE_PGM_RSRC2:SCRATCH_EN: 0
; COMPUTE_PGM_RSRC2:USER_SGPR: 6
; COMPUTE_PGM_RSRC2:TRAP_HANDLER: 0
; COMPUTE_PGM_RSRC2:TGID_X_EN: 1
; COMPUTE_PGM_RSRC2:TGID_Y_EN: 0
; COMPUTE_PGM_RSRC2:TGID_Z_EN: 0
; COMPUTE_PGM_RSRC2:TIDIG_COMP_CNT: 0
; COMPUTE_PGM_RSRC3_GFX90A:ACCUM_OFFSET: 0
; COMPUTE_PGM_RSRC3_GFX90A:TG_SPLIT: 0
	.section	.text._ZN7rocprim17ROCPRIM_400000_NS6detail17trampoline_kernelINS0_14default_configENS1_36segmented_radix_sort_config_selectorIflEEZNS1_25segmented_radix_sort_implIS3_Lb0EPKfPfPKlPlN2at6native12_GLOBAL__N_18offset_tEEE10hipError_tPvRmT1_PNSt15iterator_traitsISK_E10value_typeET2_T3_PNSL_ISQ_E10value_typeET4_jRbjT5_SW_jjP12ihipStream_tbEUlT_E2_NS1_11comp_targetILNS1_3genE0ELNS1_11target_archE4294967295ELNS1_3gpuE0ELNS1_3repE0EEENS1_30default_config_static_selectorELNS0_4arch9wavefront6targetE1EEEvSK_,"axG",@progbits,_ZN7rocprim17ROCPRIM_400000_NS6detail17trampoline_kernelINS0_14default_configENS1_36segmented_radix_sort_config_selectorIflEEZNS1_25segmented_radix_sort_implIS3_Lb0EPKfPfPKlPlN2at6native12_GLOBAL__N_18offset_tEEE10hipError_tPvRmT1_PNSt15iterator_traitsISK_E10value_typeET2_T3_PNSL_ISQ_E10value_typeET4_jRbjT5_SW_jjP12ihipStream_tbEUlT_E2_NS1_11comp_targetILNS1_3genE0ELNS1_11target_archE4294967295ELNS1_3gpuE0ELNS1_3repE0EEENS1_30default_config_static_selectorELNS0_4arch9wavefront6targetE1EEEvSK_,comdat
	.globl	_ZN7rocprim17ROCPRIM_400000_NS6detail17trampoline_kernelINS0_14default_configENS1_36segmented_radix_sort_config_selectorIflEEZNS1_25segmented_radix_sort_implIS3_Lb0EPKfPfPKlPlN2at6native12_GLOBAL__N_18offset_tEEE10hipError_tPvRmT1_PNSt15iterator_traitsISK_E10value_typeET2_T3_PNSL_ISQ_E10value_typeET4_jRbjT5_SW_jjP12ihipStream_tbEUlT_E2_NS1_11comp_targetILNS1_3genE0ELNS1_11target_archE4294967295ELNS1_3gpuE0ELNS1_3repE0EEENS1_30default_config_static_selectorELNS0_4arch9wavefront6targetE1EEEvSK_ ; -- Begin function _ZN7rocprim17ROCPRIM_400000_NS6detail17trampoline_kernelINS0_14default_configENS1_36segmented_radix_sort_config_selectorIflEEZNS1_25segmented_radix_sort_implIS3_Lb0EPKfPfPKlPlN2at6native12_GLOBAL__N_18offset_tEEE10hipError_tPvRmT1_PNSt15iterator_traitsISK_E10value_typeET2_T3_PNSL_ISQ_E10value_typeET4_jRbjT5_SW_jjP12ihipStream_tbEUlT_E2_NS1_11comp_targetILNS1_3genE0ELNS1_11target_archE4294967295ELNS1_3gpuE0ELNS1_3repE0EEENS1_30default_config_static_selectorELNS0_4arch9wavefront6targetE1EEEvSK_
	.p2align	8
	.type	_ZN7rocprim17ROCPRIM_400000_NS6detail17trampoline_kernelINS0_14default_configENS1_36segmented_radix_sort_config_selectorIflEEZNS1_25segmented_radix_sort_implIS3_Lb0EPKfPfPKlPlN2at6native12_GLOBAL__N_18offset_tEEE10hipError_tPvRmT1_PNSt15iterator_traitsISK_E10value_typeET2_T3_PNSL_ISQ_E10value_typeET4_jRbjT5_SW_jjP12ihipStream_tbEUlT_E2_NS1_11comp_targetILNS1_3genE0ELNS1_11target_archE4294967295ELNS1_3gpuE0ELNS1_3repE0EEENS1_30default_config_static_selectorELNS0_4arch9wavefront6targetE1EEEvSK_,@function
_ZN7rocprim17ROCPRIM_400000_NS6detail17trampoline_kernelINS0_14default_configENS1_36segmented_radix_sort_config_selectorIflEEZNS1_25segmented_radix_sort_implIS3_Lb0EPKfPfPKlPlN2at6native12_GLOBAL__N_18offset_tEEE10hipError_tPvRmT1_PNSt15iterator_traitsISK_E10value_typeET2_T3_PNSL_ISQ_E10value_typeET4_jRbjT5_SW_jjP12ihipStream_tbEUlT_E2_NS1_11comp_targetILNS1_3genE0ELNS1_11target_archE4294967295ELNS1_3gpuE0ELNS1_3repE0EEENS1_30default_config_static_selectorELNS0_4arch9wavefront6targetE1EEEvSK_: ; @_ZN7rocprim17ROCPRIM_400000_NS6detail17trampoline_kernelINS0_14default_configENS1_36segmented_radix_sort_config_selectorIflEEZNS1_25segmented_radix_sort_implIS3_Lb0EPKfPfPKlPlN2at6native12_GLOBAL__N_18offset_tEEE10hipError_tPvRmT1_PNSt15iterator_traitsISK_E10value_typeET2_T3_PNSL_ISQ_E10value_typeET4_jRbjT5_SW_jjP12ihipStream_tbEUlT_E2_NS1_11comp_targetILNS1_3genE0ELNS1_11target_archE4294967295ELNS1_3gpuE0ELNS1_3repE0EEENS1_30default_config_static_selectorELNS0_4arch9wavefront6targetE1EEEvSK_
; %bb.0:
	.section	.rodata,"a",@progbits
	.p2align	6, 0x0
	.amdhsa_kernel _ZN7rocprim17ROCPRIM_400000_NS6detail17trampoline_kernelINS0_14default_configENS1_36segmented_radix_sort_config_selectorIflEEZNS1_25segmented_radix_sort_implIS3_Lb0EPKfPfPKlPlN2at6native12_GLOBAL__N_18offset_tEEE10hipError_tPvRmT1_PNSt15iterator_traitsISK_E10value_typeET2_T3_PNSL_ISQ_E10value_typeET4_jRbjT5_SW_jjP12ihipStream_tbEUlT_E2_NS1_11comp_targetILNS1_3genE0ELNS1_11target_archE4294967295ELNS1_3gpuE0ELNS1_3repE0EEENS1_30default_config_static_selectorELNS0_4arch9wavefront6targetE1EEEvSK_
		.amdhsa_group_segment_fixed_size 0
		.amdhsa_private_segment_fixed_size 0
		.amdhsa_kernarg_size 80
		.amdhsa_user_sgpr_count 6
		.amdhsa_user_sgpr_private_segment_buffer 1
		.amdhsa_user_sgpr_dispatch_ptr 0
		.amdhsa_user_sgpr_queue_ptr 0
		.amdhsa_user_sgpr_kernarg_segment_ptr 1
		.amdhsa_user_sgpr_dispatch_id 0
		.amdhsa_user_sgpr_flat_scratch_init 0
		.amdhsa_user_sgpr_kernarg_preload_length 0
		.amdhsa_user_sgpr_kernarg_preload_offset 0
		.amdhsa_user_sgpr_private_segment_size 0
		.amdhsa_uses_dynamic_stack 0
		.amdhsa_system_sgpr_private_segment_wavefront_offset 0
		.amdhsa_system_sgpr_workgroup_id_x 1
		.amdhsa_system_sgpr_workgroup_id_y 0
		.amdhsa_system_sgpr_workgroup_id_z 0
		.amdhsa_system_sgpr_workgroup_info 0
		.amdhsa_system_vgpr_workitem_id 0
		.amdhsa_next_free_vgpr 1
		.amdhsa_next_free_sgpr 0
		.amdhsa_accum_offset 4
		.amdhsa_reserve_vcc 0
		.amdhsa_reserve_flat_scratch 0
		.amdhsa_float_round_mode_32 0
		.amdhsa_float_round_mode_16_64 0
		.amdhsa_float_denorm_mode_32 3
		.amdhsa_float_denorm_mode_16_64 3
		.amdhsa_dx10_clamp 1
		.amdhsa_ieee_mode 1
		.amdhsa_fp16_overflow 0
		.amdhsa_tg_split 0
		.amdhsa_exception_fp_ieee_invalid_op 0
		.amdhsa_exception_fp_denorm_src 0
		.amdhsa_exception_fp_ieee_div_zero 0
		.amdhsa_exception_fp_ieee_overflow 0
		.amdhsa_exception_fp_ieee_underflow 0
		.amdhsa_exception_fp_ieee_inexact 0
		.amdhsa_exception_int_div_zero 0
	.end_amdhsa_kernel
	.section	.text._ZN7rocprim17ROCPRIM_400000_NS6detail17trampoline_kernelINS0_14default_configENS1_36segmented_radix_sort_config_selectorIflEEZNS1_25segmented_radix_sort_implIS3_Lb0EPKfPfPKlPlN2at6native12_GLOBAL__N_18offset_tEEE10hipError_tPvRmT1_PNSt15iterator_traitsISK_E10value_typeET2_T3_PNSL_ISQ_E10value_typeET4_jRbjT5_SW_jjP12ihipStream_tbEUlT_E2_NS1_11comp_targetILNS1_3genE0ELNS1_11target_archE4294967295ELNS1_3gpuE0ELNS1_3repE0EEENS1_30default_config_static_selectorELNS0_4arch9wavefront6targetE1EEEvSK_,"axG",@progbits,_ZN7rocprim17ROCPRIM_400000_NS6detail17trampoline_kernelINS0_14default_configENS1_36segmented_radix_sort_config_selectorIflEEZNS1_25segmented_radix_sort_implIS3_Lb0EPKfPfPKlPlN2at6native12_GLOBAL__N_18offset_tEEE10hipError_tPvRmT1_PNSt15iterator_traitsISK_E10value_typeET2_T3_PNSL_ISQ_E10value_typeET4_jRbjT5_SW_jjP12ihipStream_tbEUlT_E2_NS1_11comp_targetILNS1_3genE0ELNS1_11target_archE4294967295ELNS1_3gpuE0ELNS1_3repE0EEENS1_30default_config_static_selectorELNS0_4arch9wavefront6targetE1EEEvSK_,comdat
.Lfunc_end1456:
	.size	_ZN7rocprim17ROCPRIM_400000_NS6detail17trampoline_kernelINS0_14default_configENS1_36segmented_radix_sort_config_selectorIflEEZNS1_25segmented_radix_sort_implIS3_Lb0EPKfPfPKlPlN2at6native12_GLOBAL__N_18offset_tEEE10hipError_tPvRmT1_PNSt15iterator_traitsISK_E10value_typeET2_T3_PNSL_ISQ_E10value_typeET4_jRbjT5_SW_jjP12ihipStream_tbEUlT_E2_NS1_11comp_targetILNS1_3genE0ELNS1_11target_archE4294967295ELNS1_3gpuE0ELNS1_3repE0EEENS1_30default_config_static_selectorELNS0_4arch9wavefront6targetE1EEEvSK_, .Lfunc_end1456-_ZN7rocprim17ROCPRIM_400000_NS6detail17trampoline_kernelINS0_14default_configENS1_36segmented_radix_sort_config_selectorIflEEZNS1_25segmented_radix_sort_implIS3_Lb0EPKfPfPKlPlN2at6native12_GLOBAL__N_18offset_tEEE10hipError_tPvRmT1_PNSt15iterator_traitsISK_E10value_typeET2_T3_PNSL_ISQ_E10value_typeET4_jRbjT5_SW_jjP12ihipStream_tbEUlT_E2_NS1_11comp_targetILNS1_3genE0ELNS1_11target_archE4294967295ELNS1_3gpuE0ELNS1_3repE0EEENS1_30default_config_static_selectorELNS0_4arch9wavefront6targetE1EEEvSK_
                                        ; -- End function
	.section	.AMDGPU.csdata,"",@progbits
; Kernel info:
; codeLenInByte = 0
; NumSgprs: 4
; NumVgprs: 0
; NumAgprs: 0
; TotalNumVgprs: 0
; ScratchSize: 0
; MemoryBound: 0
; FloatMode: 240
; IeeeMode: 1
; LDSByteSize: 0 bytes/workgroup (compile time only)
; SGPRBlocks: 0
; VGPRBlocks: 0
; NumSGPRsForWavesPerEU: 4
; NumVGPRsForWavesPerEU: 1
; AccumOffset: 4
; Occupancy: 8
; WaveLimiterHint : 0
; COMPUTE_PGM_RSRC2:SCRATCH_EN: 0
; COMPUTE_PGM_RSRC2:USER_SGPR: 6
; COMPUTE_PGM_RSRC2:TRAP_HANDLER: 0
; COMPUTE_PGM_RSRC2:TGID_X_EN: 1
; COMPUTE_PGM_RSRC2:TGID_Y_EN: 0
; COMPUTE_PGM_RSRC2:TGID_Z_EN: 0
; COMPUTE_PGM_RSRC2:TIDIG_COMP_CNT: 0
; COMPUTE_PGM_RSRC3_GFX90A:ACCUM_OFFSET: 0
; COMPUTE_PGM_RSRC3_GFX90A:TG_SPLIT: 0
	.section	.text._ZN7rocprim17ROCPRIM_400000_NS6detail17trampoline_kernelINS0_14default_configENS1_36segmented_radix_sort_config_selectorIflEEZNS1_25segmented_radix_sort_implIS3_Lb0EPKfPfPKlPlN2at6native12_GLOBAL__N_18offset_tEEE10hipError_tPvRmT1_PNSt15iterator_traitsISK_E10value_typeET2_T3_PNSL_ISQ_E10value_typeET4_jRbjT5_SW_jjP12ihipStream_tbEUlT_E2_NS1_11comp_targetILNS1_3genE5ELNS1_11target_archE942ELNS1_3gpuE9ELNS1_3repE0EEENS1_30default_config_static_selectorELNS0_4arch9wavefront6targetE1EEEvSK_,"axG",@progbits,_ZN7rocprim17ROCPRIM_400000_NS6detail17trampoline_kernelINS0_14default_configENS1_36segmented_radix_sort_config_selectorIflEEZNS1_25segmented_radix_sort_implIS3_Lb0EPKfPfPKlPlN2at6native12_GLOBAL__N_18offset_tEEE10hipError_tPvRmT1_PNSt15iterator_traitsISK_E10value_typeET2_T3_PNSL_ISQ_E10value_typeET4_jRbjT5_SW_jjP12ihipStream_tbEUlT_E2_NS1_11comp_targetILNS1_3genE5ELNS1_11target_archE942ELNS1_3gpuE9ELNS1_3repE0EEENS1_30default_config_static_selectorELNS0_4arch9wavefront6targetE1EEEvSK_,comdat
	.globl	_ZN7rocprim17ROCPRIM_400000_NS6detail17trampoline_kernelINS0_14default_configENS1_36segmented_radix_sort_config_selectorIflEEZNS1_25segmented_radix_sort_implIS3_Lb0EPKfPfPKlPlN2at6native12_GLOBAL__N_18offset_tEEE10hipError_tPvRmT1_PNSt15iterator_traitsISK_E10value_typeET2_T3_PNSL_ISQ_E10value_typeET4_jRbjT5_SW_jjP12ihipStream_tbEUlT_E2_NS1_11comp_targetILNS1_3genE5ELNS1_11target_archE942ELNS1_3gpuE9ELNS1_3repE0EEENS1_30default_config_static_selectorELNS0_4arch9wavefront6targetE1EEEvSK_ ; -- Begin function _ZN7rocprim17ROCPRIM_400000_NS6detail17trampoline_kernelINS0_14default_configENS1_36segmented_radix_sort_config_selectorIflEEZNS1_25segmented_radix_sort_implIS3_Lb0EPKfPfPKlPlN2at6native12_GLOBAL__N_18offset_tEEE10hipError_tPvRmT1_PNSt15iterator_traitsISK_E10value_typeET2_T3_PNSL_ISQ_E10value_typeET4_jRbjT5_SW_jjP12ihipStream_tbEUlT_E2_NS1_11comp_targetILNS1_3genE5ELNS1_11target_archE942ELNS1_3gpuE9ELNS1_3repE0EEENS1_30default_config_static_selectorELNS0_4arch9wavefront6targetE1EEEvSK_
	.p2align	8
	.type	_ZN7rocprim17ROCPRIM_400000_NS6detail17trampoline_kernelINS0_14default_configENS1_36segmented_radix_sort_config_selectorIflEEZNS1_25segmented_radix_sort_implIS3_Lb0EPKfPfPKlPlN2at6native12_GLOBAL__N_18offset_tEEE10hipError_tPvRmT1_PNSt15iterator_traitsISK_E10value_typeET2_T3_PNSL_ISQ_E10value_typeET4_jRbjT5_SW_jjP12ihipStream_tbEUlT_E2_NS1_11comp_targetILNS1_3genE5ELNS1_11target_archE942ELNS1_3gpuE9ELNS1_3repE0EEENS1_30default_config_static_selectorELNS0_4arch9wavefront6targetE1EEEvSK_,@function
_ZN7rocprim17ROCPRIM_400000_NS6detail17trampoline_kernelINS0_14default_configENS1_36segmented_radix_sort_config_selectorIflEEZNS1_25segmented_radix_sort_implIS3_Lb0EPKfPfPKlPlN2at6native12_GLOBAL__N_18offset_tEEE10hipError_tPvRmT1_PNSt15iterator_traitsISK_E10value_typeET2_T3_PNSL_ISQ_E10value_typeET4_jRbjT5_SW_jjP12ihipStream_tbEUlT_E2_NS1_11comp_targetILNS1_3genE5ELNS1_11target_archE942ELNS1_3gpuE9ELNS1_3repE0EEENS1_30default_config_static_selectorELNS0_4arch9wavefront6targetE1EEEvSK_: ; @_ZN7rocprim17ROCPRIM_400000_NS6detail17trampoline_kernelINS0_14default_configENS1_36segmented_radix_sort_config_selectorIflEEZNS1_25segmented_radix_sort_implIS3_Lb0EPKfPfPKlPlN2at6native12_GLOBAL__N_18offset_tEEE10hipError_tPvRmT1_PNSt15iterator_traitsISK_E10value_typeET2_T3_PNSL_ISQ_E10value_typeET4_jRbjT5_SW_jjP12ihipStream_tbEUlT_E2_NS1_11comp_targetILNS1_3genE5ELNS1_11target_archE942ELNS1_3gpuE9ELNS1_3repE0EEENS1_30default_config_static_selectorELNS0_4arch9wavefront6targetE1EEEvSK_
; %bb.0:
	.section	.rodata,"a",@progbits
	.p2align	6, 0x0
	.amdhsa_kernel _ZN7rocprim17ROCPRIM_400000_NS6detail17trampoline_kernelINS0_14default_configENS1_36segmented_radix_sort_config_selectorIflEEZNS1_25segmented_radix_sort_implIS3_Lb0EPKfPfPKlPlN2at6native12_GLOBAL__N_18offset_tEEE10hipError_tPvRmT1_PNSt15iterator_traitsISK_E10value_typeET2_T3_PNSL_ISQ_E10value_typeET4_jRbjT5_SW_jjP12ihipStream_tbEUlT_E2_NS1_11comp_targetILNS1_3genE5ELNS1_11target_archE942ELNS1_3gpuE9ELNS1_3repE0EEENS1_30default_config_static_selectorELNS0_4arch9wavefront6targetE1EEEvSK_
		.amdhsa_group_segment_fixed_size 0
		.amdhsa_private_segment_fixed_size 0
		.amdhsa_kernarg_size 80
		.amdhsa_user_sgpr_count 6
		.amdhsa_user_sgpr_private_segment_buffer 1
		.amdhsa_user_sgpr_dispatch_ptr 0
		.amdhsa_user_sgpr_queue_ptr 0
		.amdhsa_user_sgpr_kernarg_segment_ptr 1
		.amdhsa_user_sgpr_dispatch_id 0
		.amdhsa_user_sgpr_flat_scratch_init 0
		.amdhsa_user_sgpr_kernarg_preload_length 0
		.amdhsa_user_sgpr_kernarg_preload_offset 0
		.amdhsa_user_sgpr_private_segment_size 0
		.amdhsa_uses_dynamic_stack 0
		.amdhsa_system_sgpr_private_segment_wavefront_offset 0
		.amdhsa_system_sgpr_workgroup_id_x 1
		.amdhsa_system_sgpr_workgroup_id_y 0
		.amdhsa_system_sgpr_workgroup_id_z 0
		.amdhsa_system_sgpr_workgroup_info 0
		.amdhsa_system_vgpr_workitem_id 0
		.amdhsa_next_free_vgpr 1
		.amdhsa_next_free_sgpr 0
		.amdhsa_accum_offset 4
		.amdhsa_reserve_vcc 0
		.amdhsa_reserve_flat_scratch 0
		.amdhsa_float_round_mode_32 0
		.amdhsa_float_round_mode_16_64 0
		.amdhsa_float_denorm_mode_32 3
		.amdhsa_float_denorm_mode_16_64 3
		.amdhsa_dx10_clamp 1
		.amdhsa_ieee_mode 1
		.amdhsa_fp16_overflow 0
		.amdhsa_tg_split 0
		.amdhsa_exception_fp_ieee_invalid_op 0
		.amdhsa_exception_fp_denorm_src 0
		.amdhsa_exception_fp_ieee_div_zero 0
		.amdhsa_exception_fp_ieee_overflow 0
		.amdhsa_exception_fp_ieee_underflow 0
		.amdhsa_exception_fp_ieee_inexact 0
		.amdhsa_exception_int_div_zero 0
	.end_amdhsa_kernel
	.section	.text._ZN7rocprim17ROCPRIM_400000_NS6detail17trampoline_kernelINS0_14default_configENS1_36segmented_radix_sort_config_selectorIflEEZNS1_25segmented_radix_sort_implIS3_Lb0EPKfPfPKlPlN2at6native12_GLOBAL__N_18offset_tEEE10hipError_tPvRmT1_PNSt15iterator_traitsISK_E10value_typeET2_T3_PNSL_ISQ_E10value_typeET4_jRbjT5_SW_jjP12ihipStream_tbEUlT_E2_NS1_11comp_targetILNS1_3genE5ELNS1_11target_archE942ELNS1_3gpuE9ELNS1_3repE0EEENS1_30default_config_static_selectorELNS0_4arch9wavefront6targetE1EEEvSK_,"axG",@progbits,_ZN7rocprim17ROCPRIM_400000_NS6detail17trampoline_kernelINS0_14default_configENS1_36segmented_radix_sort_config_selectorIflEEZNS1_25segmented_radix_sort_implIS3_Lb0EPKfPfPKlPlN2at6native12_GLOBAL__N_18offset_tEEE10hipError_tPvRmT1_PNSt15iterator_traitsISK_E10value_typeET2_T3_PNSL_ISQ_E10value_typeET4_jRbjT5_SW_jjP12ihipStream_tbEUlT_E2_NS1_11comp_targetILNS1_3genE5ELNS1_11target_archE942ELNS1_3gpuE9ELNS1_3repE0EEENS1_30default_config_static_selectorELNS0_4arch9wavefront6targetE1EEEvSK_,comdat
.Lfunc_end1457:
	.size	_ZN7rocprim17ROCPRIM_400000_NS6detail17trampoline_kernelINS0_14default_configENS1_36segmented_radix_sort_config_selectorIflEEZNS1_25segmented_radix_sort_implIS3_Lb0EPKfPfPKlPlN2at6native12_GLOBAL__N_18offset_tEEE10hipError_tPvRmT1_PNSt15iterator_traitsISK_E10value_typeET2_T3_PNSL_ISQ_E10value_typeET4_jRbjT5_SW_jjP12ihipStream_tbEUlT_E2_NS1_11comp_targetILNS1_3genE5ELNS1_11target_archE942ELNS1_3gpuE9ELNS1_3repE0EEENS1_30default_config_static_selectorELNS0_4arch9wavefront6targetE1EEEvSK_, .Lfunc_end1457-_ZN7rocprim17ROCPRIM_400000_NS6detail17trampoline_kernelINS0_14default_configENS1_36segmented_radix_sort_config_selectorIflEEZNS1_25segmented_radix_sort_implIS3_Lb0EPKfPfPKlPlN2at6native12_GLOBAL__N_18offset_tEEE10hipError_tPvRmT1_PNSt15iterator_traitsISK_E10value_typeET2_T3_PNSL_ISQ_E10value_typeET4_jRbjT5_SW_jjP12ihipStream_tbEUlT_E2_NS1_11comp_targetILNS1_3genE5ELNS1_11target_archE942ELNS1_3gpuE9ELNS1_3repE0EEENS1_30default_config_static_selectorELNS0_4arch9wavefront6targetE1EEEvSK_
                                        ; -- End function
	.section	.AMDGPU.csdata,"",@progbits
; Kernel info:
; codeLenInByte = 0
; NumSgprs: 4
; NumVgprs: 0
; NumAgprs: 0
; TotalNumVgprs: 0
; ScratchSize: 0
; MemoryBound: 0
; FloatMode: 240
; IeeeMode: 1
; LDSByteSize: 0 bytes/workgroup (compile time only)
; SGPRBlocks: 0
; VGPRBlocks: 0
; NumSGPRsForWavesPerEU: 4
; NumVGPRsForWavesPerEU: 1
; AccumOffset: 4
; Occupancy: 8
; WaveLimiterHint : 0
; COMPUTE_PGM_RSRC2:SCRATCH_EN: 0
; COMPUTE_PGM_RSRC2:USER_SGPR: 6
; COMPUTE_PGM_RSRC2:TRAP_HANDLER: 0
; COMPUTE_PGM_RSRC2:TGID_X_EN: 1
; COMPUTE_PGM_RSRC2:TGID_Y_EN: 0
; COMPUTE_PGM_RSRC2:TGID_Z_EN: 0
; COMPUTE_PGM_RSRC2:TIDIG_COMP_CNT: 0
; COMPUTE_PGM_RSRC3_GFX90A:ACCUM_OFFSET: 0
; COMPUTE_PGM_RSRC3_GFX90A:TG_SPLIT: 0
	.section	.text._ZN7rocprim17ROCPRIM_400000_NS6detail17trampoline_kernelINS0_14default_configENS1_36segmented_radix_sort_config_selectorIflEEZNS1_25segmented_radix_sort_implIS3_Lb0EPKfPfPKlPlN2at6native12_GLOBAL__N_18offset_tEEE10hipError_tPvRmT1_PNSt15iterator_traitsISK_E10value_typeET2_T3_PNSL_ISQ_E10value_typeET4_jRbjT5_SW_jjP12ihipStream_tbEUlT_E2_NS1_11comp_targetILNS1_3genE4ELNS1_11target_archE910ELNS1_3gpuE8ELNS1_3repE0EEENS1_30default_config_static_selectorELNS0_4arch9wavefront6targetE1EEEvSK_,"axG",@progbits,_ZN7rocprim17ROCPRIM_400000_NS6detail17trampoline_kernelINS0_14default_configENS1_36segmented_radix_sort_config_selectorIflEEZNS1_25segmented_radix_sort_implIS3_Lb0EPKfPfPKlPlN2at6native12_GLOBAL__N_18offset_tEEE10hipError_tPvRmT1_PNSt15iterator_traitsISK_E10value_typeET2_T3_PNSL_ISQ_E10value_typeET4_jRbjT5_SW_jjP12ihipStream_tbEUlT_E2_NS1_11comp_targetILNS1_3genE4ELNS1_11target_archE910ELNS1_3gpuE8ELNS1_3repE0EEENS1_30default_config_static_selectorELNS0_4arch9wavefront6targetE1EEEvSK_,comdat
	.globl	_ZN7rocprim17ROCPRIM_400000_NS6detail17trampoline_kernelINS0_14default_configENS1_36segmented_radix_sort_config_selectorIflEEZNS1_25segmented_radix_sort_implIS3_Lb0EPKfPfPKlPlN2at6native12_GLOBAL__N_18offset_tEEE10hipError_tPvRmT1_PNSt15iterator_traitsISK_E10value_typeET2_T3_PNSL_ISQ_E10value_typeET4_jRbjT5_SW_jjP12ihipStream_tbEUlT_E2_NS1_11comp_targetILNS1_3genE4ELNS1_11target_archE910ELNS1_3gpuE8ELNS1_3repE0EEENS1_30default_config_static_selectorELNS0_4arch9wavefront6targetE1EEEvSK_ ; -- Begin function _ZN7rocprim17ROCPRIM_400000_NS6detail17trampoline_kernelINS0_14default_configENS1_36segmented_radix_sort_config_selectorIflEEZNS1_25segmented_radix_sort_implIS3_Lb0EPKfPfPKlPlN2at6native12_GLOBAL__N_18offset_tEEE10hipError_tPvRmT1_PNSt15iterator_traitsISK_E10value_typeET2_T3_PNSL_ISQ_E10value_typeET4_jRbjT5_SW_jjP12ihipStream_tbEUlT_E2_NS1_11comp_targetILNS1_3genE4ELNS1_11target_archE910ELNS1_3gpuE8ELNS1_3repE0EEENS1_30default_config_static_selectorELNS0_4arch9wavefront6targetE1EEEvSK_
	.p2align	8
	.type	_ZN7rocprim17ROCPRIM_400000_NS6detail17trampoline_kernelINS0_14default_configENS1_36segmented_radix_sort_config_selectorIflEEZNS1_25segmented_radix_sort_implIS3_Lb0EPKfPfPKlPlN2at6native12_GLOBAL__N_18offset_tEEE10hipError_tPvRmT1_PNSt15iterator_traitsISK_E10value_typeET2_T3_PNSL_ISQ_E10value_typeET4_jRbjT5_SW_jjP12ihipStream_tbEUlT_E2_NS1_11comp_targetILNS1_3genE4ELNS1_11target_archE910ELNS1_3gpuE8ELNS1_3repE0EEENS1_30default_config_static_selectorELNS0_4arch9wavefront6targetE1EEEvSK_,@function
_ZN7rocprim17ROCPRIM_400000_NS6detail17trampoline_kernelINS0_14default_configENS1_36segmented_radix_sort_config_selectorIflEEZNS1_25segmented_radix_sort_implIS3_Lb0EPKfPfPKlPlN2at6native12_GLOBAL__N_18offset_tEEE10hipError_tPvRmT1_PNSt15iterator_traitsISK_E10value_typeET2_T3_PNSL_ISQ_E10value_typeET4_jRbjT5_SW_jjP12ihipStream_tbEUlT_E2_NS1_11comp_targetILNS1_3genE4ELNS1_11target_archE910ELNS1_3gpuE8ELNS1_3repE0EEENS1_30default_config_static_selectorELNS0_4arch9wavefront6targetE1EEEvSK_: ; @_ZN7rocprim17ROCPRIM_400000_NS6detail17trampoline_kernelINS0_14default_configENS1_36segmented_radix_sort_config_selectorIflEEZNS1_25segmented_radix_sort_implIS3_Lb0EPKfPfPKlPlN2at6native12_GLOBAL__N_18offset_tEEE10hipError_tPvRmT1_PNSt15iterator_traitsISK_E10value_typeET2_T3_PNSL_ISQ_E10value_typeET4_jRbjT5_SW_jjP12ihipStream_tbEUlT_E2_NS1_11comp_targetILNS1_3genE4ELNS1_11target_archE910ELNS1_3gpuE8ELNS1_3repE0EEENS1_30default_config_static_selectorELNS0_4arch9wavefront6targetE1EEEvSK_
; %bb.0:
	s_add_u32 flat_scratch_lo, s6, s10
	s_addc_u32 flat_scratch_hi, s7, 0
	s_add_u32 s0, s0, s10
	s_mov_b32 s33, s9
	s_mov_b32 s50, s8
	s_load_dwordx4 s[8:11], s[4:5], 0x34
	s_addc_u32 s1, s1, 0
	s_mov_b32 s32, 0
	s_waitcnt lgkmcnt(0)
	s_add_i32 s51, s9, s50
	s_add_i32 s84, s11, s50
	s_mul_i32 s51, s51, s8
	s_mul_i32 s84, s84, s10
	s_cmp_le_u32 s84, s51
	s_cbranch_scc1 .LBB1458_683
; %bb.1:
	s_load_dword s6, s[4:5], 0x30
	s_load_dwordx4 s[72:75], s[4:5], 0x20
	s_load_dwordx4 s[76:79], s[4:5], 0x44
	s_load_dwordx8 s[56:63], s[4:5], 0x0
	s_waitcnt lgkmcnt(0)
	s_bitcmp1_b32 s6, 0
	s_cselect_b64 s[54:55], -1, 0
	s_sub_i32 s79, s84, s51
	s_cmpk_lt_u32 s79, 0x801
	s_mov_b64 s[6:7], -1
	s_cbranch_scc0 .LBB1458_12
; %bb.2:
	s_cmp_lt_u32 s79, 33
	s_cbranch_scc0 .LBB1458_6
; %bb.3:
	s_load_dword s6, s[4:5], 0x5c
	v_bfe_u32 v1, v0, 10, 10
	v_bfe_u32 v3, v0, 20, 10
	v_and_b32_e32 v2, 0x3ff, v0
	s_waitcnt lgkmcnt(0)
	s_lshr_b32 s7, s6, 16
	s_and_b32 s6, s6, 0xffff
	v_mad_u32_u24 v1, v3, s7, v1
	v_mad_u64_u32 v[2:3], s[6:7], v1, s6, v[2:3]
	v_cmp_gt_u32_e32 vcc, 8, v2
	s_and_saveexec_b64 s[34:35], vcc
	s_cbranch_execz .LBB1458_5
; %bb.4:
	s_bitcmp1_b32 s76, 0
	s_cselect_b64 s[6:7], -1, 0
	s_xor_b64 s[6:7], s[54:55], s[6:7]
	s_xor_b64 s[6:7], s[6:7], -1
	v_cndmask_b32_e64 v12, 0, 1, s[6:7]
	s_add_u32 s8, s4, 0x50
	s_mov_b64 s[6:7], src_shared_base
	s_addc_u32 s9, s5, 0
	s_mov_b32 s12, s50
	s_mov_b32 s13, s33
	v_mov_b32_e32 v31, v0
	v_mov_b32_e32 v41, v0
	;; [unrolled: 1-line block ×18, first 2 shown]
	s_getpc_b64 s[10:11]
	s_add_u32 s10, s10, _ZN7rocprim17ROCPRIM_400000_NS6detail26segmented_warp_sort_helperINS1_20WarpSortHelperConfigILj8ELj4ELj256EEEflLi256ELb0EvE4sortIPKfPfPKlPlEEvT_S9_T0_T1_SC_T2_bjjjjRNS5_12storage_typeE@rel32@lo+4
	s_addc_u32 s11, s11, _ZN7rocprim17ROCPRIM_400000_NS6detail26segmented_warp_sort_helperINS1_20WarpSortHelperConfigILj8ELj4ELj256EEEflLi256ELb0EvE4sortIPKfPfPKlPlEEvT_S9_T0_T1_SC_T2_bjjjjRNS5_12storage_typeE@rel32@hi+12
	s_mov_b64 s[36:37], s[4:5]
	s_swappc_b64 s[30:31], s[10:11]
	v_mov_b32_e32 v0, v41
	s_mov_b64 s[4:5], s[36:37]
.LBB1458_5:
	s_or_b64 exec, exec, s[34:35]
	s_mov_b64 s[6:7], 0
.LBB1458_6:
	s_andn2_b64 vcc, exec, s[6:7]
	s_cbranch_vccnz .LBB1458_11
; %bb.7:
	s_and_b32 s6, s76, 1
	v_cndmask_b32_e64 v1, 0, 1, s[54:55]
	v_cmp_ne_u32_e32 vcc, s6, v1
	s_mov_b64 s[6:7], -1
	s_cbranch_vccnz .LBB1458_9
; %bb.8:
	s_add_u32 s8, s4, 0x50
	s_mov_b64 s[6:7], src_shared_base
	s_addc_u32 s9, s5, 0
	s_mov_b32 s12, s50
	s_mov_b32 s13, s33
	v_mov_b32_e32 v31, v0
	v_mov_b32_e32 v41, v0
	;; [unrolled: 1-line block ×16, first 2 shown]
	s_getpc_b64 s[10:11]
	s_add_u32 s10, s10, _ZN7rocprim17ROCPRIM_400000_NS6detail40segmented_radix_sort_single_block_helperIflLj256ELj8ELb0EE4sortIPKfPfPKlPlEEbT_T0_T1_T2_jjjjRNS3_12storage_typeE@rel32@lo+4
	s_addc_u32 s11, s11, _ZN7rocprim17ROCPRIM_400000_NS6detail40segmented_radix_sort_single_block_helperIflLj256ELj8ELb0EE4sortIPKfPfPKlPlEEbT_T0_T1_T2_jjjjRNS3_12storage_typeE@rel32@hi+12
	s_mov_b64 s[48:49], s[4:5]
	s_swappc_b64 s[30:31], s[10:11]
	v_mov_b32_e32 v0, v41
	s_mov_b64 s[4:5], s[48:49]
	s_mov_b64 s[6:7], 0
.LBB1458_9:
	s_andn2_b64 vcc, exec, s[6:7]
	s_cbranch_vccnz .LBB1458_11
; %bb.10:
	s_add_u32 s8, s4, 0x50
	s_mov_b64 s[6:7], src_shared_base
	s_addc_u32 s9, s5, 0
	s_mov_b32 s12, s50
	s_mov_b32 s13, s33
	v_mov_b32_e32 v31, v0
	v_mov_b32_e32 v41, v0
	;; [unrolled: 1-line block ×16, first 2 shown]
	s_getpc_b64 s[10:11]
	s_add_u32 s10, s10, _ZN7rocprim17ROCPRIM_400000_NS6detail40segmented_radix_sort_single_block_helperIflLj256ELj8ELb0EE4sortIPKfPfPKlPlEEbT_T0_T1_T2_jjjjRNS3_12storage_typeE@rel32@lo+4
	s_addc_u32 s11, s11, _ZN7rocprim17ROCPRIM_400000_NS6detail40segmented_radix_sort_single_block_helperIflLj256ELj8ELb0EE4sortIPKfPfPKlPlEEbT_T0_T1_T2_jjjjRNS3_12storage_typeE@rel32@hi+12
	s_mov_b64 s[48:49], s[4:5]
	s_swappc_b64 s[30:31], s[10:11]
	v_mov_b32_e32 v0, v41
	s_mov_b64 s[4:5], s[48:49]
.LBB1458_11:
	s_mov_b64 s[6:7], 0
.LBB1458_12:
	s_andn2_b64 vcc, exec, s[6:7]
	s_cbranch_vccnz .LBB1458_683
; %bb.13:
	s_cmp_ge_u32 s77, s78
	s_cbranch_scc1 .LBB1458_683
; %bb.14:
	v_and_b32_e32 v18, 0x3ff, v0
	v_lshlrev_b32_e32 v19, 2, v18
	v_mov_b32_e32 v1, s61
	v_add_co_u32_e32 v40, vcc, s60, v19
	s_movk_i32 s6, 0x100
	v_addc_co_u32_e32 v41, vcc, 0, v1, vcc
	v_or_b32_e32 v1, 63, v18
	s_mov_b64 s[12:13], s[4:5]
	v_cmp_gt_u32_e64 s[4:5], s6, v18
	v_cmp_eq_u32_e64 s[6:7], v1, v18
	v_lshrrev_b32_e32 v1, 4, v18
	v_mad_u32_u24 v42, v18, 12, v19
	v_and_b32_e32 v43, 12, v1
	v_lshlrev_b32_e32 v1, 3, v18
	v_bfe_u32 v48, v0, 20, 10
	v_bfe_u32 v49, v0, 10, 10
	v_mul_u32_u24_e32 v0, 5, v18
	v_mov_b32_e32 v51, 0x410
	v_and_b32_e32 v47, 0x600, v1
	v_add_u32_e32 v50, v42, v19
	v_lshl_add_u32 v52, v0, 2, v51
	v_lshlrev_b32_e32 v0, 4, v18
	v_sub_u32_e32 v53, v50, v0
	v_lshlrev_b32_e32 v0, 3, v47
	v_mov_b32_e32 v1, s75
	v_add_co_u32_e32 v54, vcc, s74, v0
	v_addc_co_u32_e32 v55, vcc, 0, v1, vcc
	v_lshlrev_b32_e32 v1, 2, v47
	v_mov_b32_e32 v2, s61
	v_add_co_u32_e32 v56, vcc, s60, v1
	v_addc_co_u32_e32 v57, vcc, 0, v2, vcc
	v_mov_b32_e32 v2, s59
	v_add_co_u32_e32 v59, vcc, s58, v19
	v_addc_co_u32_e32 v60, vcc, 0, v2, vcc
	;; [unrolled: 3-line block ×6, first 2 shown]
	v_mov_b32_e32 v0, s57
	v_add_co_u32_e32 v69, vcc, s56, v1
	s_add_u32 s82, s12, 0x50
	s_movk_i32 s14, 0xff
	v_addc_co_u32_e32 v70, vcc, 0, v0, vcc
	v_mbcnt_lo_u32_b32 v0, -1, 0
	s_mov_b32 s81, 0
	v_mov_b32_e32 v20, 0
	v_or_b32_e32 v23, 0x100, v18
	v_or_b32_e32 v25, 0x200, v18
	;; [unrolled: 1-line block ×3, first 2 shown]
	v_and_b32_e32 v29, 3, v18
	v_or_b32_e32 v22, 0x400, v18
	v_or_b32_e32 v24, 0x500, v18
	;; [unrolled: 1-line block ×5, first 2 shown]
	v_cmp_gt_u32_e64 s[8:9], 4, v18
	v_add_u32_e32 v45, 0x4400, v19
	v_cmp_lt_u32_e64 s[10:11], 63, v18
	v_add_u32_e32 v46, 0x43fc, v43
	s_addc_u32 s83, s13, 0
	v_cmp_eq_u32_e64 s[12:13], 0, v18
	v_cmp_ne_u32_e64 s[14:15], s14, v18
	v_add_u32_e32 v58, 0x400, v19
	s_brev_b32 s64, -2
	v_mov_b32_e32 v71, 1
	v_lshlrev_b32_e32 v72, 2, v18
	v_bfrev_b32_e32 v73, 1
	v_mbcnt_hi_u32_b32 v74, -1, v0
	v_bfrev_b32_e32 v1, -2
	s_mov_b32 s76, s77
	s_branch .LBB1458_17
.LBB1458_15:                            ;   in Loop: Header=BB1458_17 Depth=1
	s_waitcnt lgkmcnt(0)
	s_barrier
.LBB1458_16:                            ;   in Loop: Header=BB1458_17 Depth=1
	s_add_i32 s76, s76, 8
	s_cmp_ge_u32 s76, s78
	s_cbranch_scc1 .LBB1458_683
.LBB1458_17:                            ; =>This Loop Header: Depth=1
                                        ;     Child Loop BB1458_21 Depth 2
                                        ;     Child Loop BB1458_71 Depth 2
                                        ;     Child Loop BB1458_187 Depth 2
                                        ;     Child Loop BB1458_237 Depth 2
                                        ;     Child Loop BB1458_355 Depth 2
                                        ;     Child Loop BB1458_405 Depth 2
                                        ;     Child Loop BB1458_521 Depth 2
                                        ;     Child Loop BB1458_571 Depth 2
	s_sub_i32 s16, s78, s76
	s_min_u32 s16, s16, 8
	s_lshl_b32 s16, -1, s16
	s_xor_b64 s[54:55], s[54:55], -1
	s_not_b32 s85, s16
	s_cmp_lg_u32 s76, s77
	s_mov_b64 s[16:17], -1
	ds_write2st64_b32 v19, v20, v20 offset1:4
	ds_write2st64_b32 v19, v20, v20 offset0:8 offset1:12
	s_waitcnt lgkmcnt(0)
	s_cbranch_scc0 .LBB1458_351
; %bb.18:                               ;   in Loop: Header=BB1458_17 Depth=1
	s_and_b64 vcc, exec, s[54:55]
	s_cbranch_vccz .LBB1458_184
; %bb.19:                               ;   in Loop: Header=BB1458_17 Depth=1
	s_mov_b32 s22, s79
	s_mov_b32 s80, s51
	s_barrier
	s_waitcnt lgkmcnt(0)
                                        ; implicit-def: $vgpr2_vgpr3_vgpr4_vgpr5_vgpr6_vgpr7_vgpr8_vgpr9
	s_branch .LBB1458_21
.LBB1458_20:                            ;   in Loop: Header=BB1458_21 Depth=2
	s_or_b64 exec, exec, s[16:17]
	s_addk_i32 s22, 0xf800
	s_cmp_ge_u32 s23, s84
	s_mov_b32 s80, s23
	s_cbranch_scc1 .LBB1458_59
.LBB1458_21:                            ;   Parent Loop BB1458_17 Depth=1
                                        ; =>  This Inner Loop Header: Depth=2
	s_add_i32 s23, s80, 0x800
	s_cmp_gt_u32 s23, s84
	s_cbranch_scc1 .LBB1458_24
; %bb.22:                               ;   in Loop: Header=BB1458_21 Depth=2
	s_lshl_b64 s[16:17], s[80:81], 2
	v_mov_b32_e32 v0, s17
	v_add_co_u32_e32 v30, vcc, s16, v40
	v_addc_co_u32_e32 v31, vcc, v41, v0, vcc
	v_add_co_u32_e32 v32, vcc, 0x1000, v30
	v_addc_co_u32_e32 v33, vcc, 0, v31, vcc
	global_load_dword v10, v[30:31], off
	global_load_dword v11, v[30:31], off offset:1024
	global_load_dword v12, v[30:31], off offset:2048
	;; [unrolled: 1-line block ×3, first 2 shown]
	global_load_dword v14, v[32:33], off
	global_load_dword v15, v[32:33], off offset:1024
	global_load_dword v16, v[32:33], off offset:2048
	v_add_co_u32_e32 v30, vcc, 0x1c00, v30
	v_addc_co_u32_e32 v31, vcc, 0, v31, vcc
	s_mov_b64 s[16:17], -1
	s_movk_i32 s24, 0x800
	s_cbranch_execz .LBB1458_25
; %bb.23:                               ;   in Loop: Header=BB1458_21 Depth=2
                                        ; implicit-def: $vgpr2_vgpr3_vgpr4_vgpr5_vgpr6_vgpr7_vgpr8_vgpr9
	v_mov_b32_e32 v0, s22
	s_and_saveexec_b64 s[18:19], s[16:17]
	s_cbranch_execnz .LBB1458_36
	s_branch .LBB1458_37
.LBB1458_24:                            ;   in Loop: Header=BB1458_21 Depth=2
	s_mov_b64 s[16:17], 0
                                        ; implicit-def: $sgpr24
                                        ; implicit-def: $vgpr10_vgpr11_vgpr12_vgpr13_vgpr14_vgpr15_vgpr16_vgpr17
                                        ; implicit-def: $vgpr30_vgpr31
.LBB1458_25:                            ;   in Loop: Header=BB1458_21 Depth=2
	s_lshl_b64 s[18:19], s[80:81], 2
	s_add_u32 s18, s60, s18
	s_addc_u32 s19, s61, s19
	v_cmp_gt_u32_e32 vcc, s22, v18
	s_and_saveexec_b64 s[20:21], vcc
	s_cbranch_execz .LBB1458_53
; %bb.26:                               ;   in Loop: Header=BB1458_21 Depth=2
	global_load_dword v2, v72, s[18:19]
	s_or_b64 exec, exec, s[20:21]
	v_cmp_gt_u32_e32 vcc, s22, v23
	s_and_saveexec_b64 s[20:21], vcc
	s_cbranch_execnz .LBB1458_54
.LBB1458_27:                            ;   in Loop: Header=BB1458_21 Depth=2
	s_or_b64 exec, exec, s[20:21]
	v_cmp_gt_u32_e32 vcc, s22, v25
	s_and_saveexec_b64 s[20:21], vcc
	s_cbranch_execz .LBB1458_55
.LBB1458_28:                            ;   in Loop: Header=BB1458_21 Depth=2
	global_load_dword v4, v72, s[18:19] offset:2048
	s_or_b64 exec, exec, s[20:21]
	v_cmp_gt_u32_e32 vcc, s22, v27
	s_and_saveexec_b64 s[20:21], vcc
	s_cbranch_execnz .LBB1458_56
.LBB1458_29:                            ;   in Loop: Header=BB1458_21 Depth=2
	s_or_b64 exec, exec, s[20:21]
	v_cmp_gt_u32_e32 vcc, s22, v22
	s_and_saveexec_b64 s[20:21], vcc
	s_cbranch_execz .LBB1458_57
.LBB1458_30:                            ;   in Loop: Header=BB1458_21 Depth=2
	v_lshlrev_b32_e32 v0, 2, v22
	global_load_dword v6, v0, s[18:19]
	s_or_b64 exec, exec, s[20:21]
	v_cmp_gt_u32_e32 vcc, s22, v24
	s_and_saveexec_b64 s[20:21], vcc
	s_cbranch_execnz .LBB1458_58
.LBB1458_31:                            ;   in Loop: Header=BB1458_21 Depth=2
	s_or_b64 exec, exec, s[20:21]
	v_cmp_gt_u32_e32 vcc, s22, v26
	s_and_saveexec_b64 s[20:21], vcc
	s_cbranch_execz .LBB1458_33
.LBB1458_32:                            ;   in Loop: Header=BB1458_21 Depth=2
	v_lshlrev_b32_e32 v0, 2, v26
	global_load_dword v8, v0, s[18:19]
.LBB1458_33:                            ;   in Loop: Header=BB1458_21 Depth=2
	s_or_b64 exec, exec, s[20:21]
	v_cmp_gt_u32_e32 vcc, s22, v28
                                        ; implicit-def: $sgpr24
                                        ; implicit-def: $vgpr30_vgpr31
	s_and_saveexec_b64 s[20:21], vcc
	s_cbranch_execz .LBB1458_35
; %bb.34:                               ;   in Loop: Header=BB1458_21 Depth=2
	v_lshlrev_b32_e32 v0, 2, v28
	s_waitcnt vmcnt(6)
	v_mov_b32_e32 v10, s19
	v_add_co_u32_e32 v30, vcc, s18, v0
	s_sub_i32 s24, s84, s80
	v_addc_co_u32_e32 v31, vcc, 0, v10, vcc
	s_or_b64 s[16:17], s[16:17], exec
.LBB1458_35:                            ;   in Loop: Header=BB1458_21 Depth=2
	s_or_b64 exec, exec, s[20:21]
	s_waitcnt vmcnt(0)
	v_pk_mov_b32 v[16:17], v[8:9], v[8:9] op_sel:[0,1]
	v_pk_mov_b32 v[14:15], v[6:7], v[6:7] op_sel:[0,1]
	;; [unrolled: 1-line block ×4, first 2 shown]
	v_mov_b32_e32 v0, s22
	s_and_saveexec_b64 s[18:19], s[16:17]
	s_cbranch_execz .LBB1458_37
.LBB1458_36:                            ;   in Loop: Header=BB1458_21 Depth=2
	global_load_dword v17, v[30:31], off
	s_waitcnt vmcnt(0)
	v_pk_mov_b32 v[2:3], v[10:11], v[10:11] op_sel:[0,1]
	v_mov_b32_e32 v0, s24
	v_pk_mov_b32 v[4:5], v[12:13], v[12:13] op_sel:[0,1]
	v_pk_mov_b32 v[6:7], v[14:15], v[14:15] op_sel:[0,1]
	v_pk_mov_b32 v[8:9], v[16:17], v[16:17] op_sel:[0,1]
.LBB1458_37:                            ;   in Loop: Header=BB1458_21 Depth=2
	s_or_b64 exec, exec, s[18:19]
	v_cmp_lt_u32_e32 vcc, v18, v0
	s_and_saveexec_b64 s[16:17], vcc
	s_cbranch_execz .LBB1458_45
; %bb.38:                               ;   in Loop: Header=BB1458_21 Depth=2
	v_cmp_lt_i32_e32 vcc, -1, v2
	s_waitcnt vmcnt(6)
	v_cndmask_b32_e32 v10, -1, v73, vcc
	v_xor_b32_e32 v10, v10, v2
	v_cmp_ne_u32_e32 vcc, s64, v10
	v_cndmask_b32_e32 v10, v73, v10, vcc
	v_lshrrev_b32_e32 v10, s76, v10
	v_and_b32_e32 v10, s85, v10
	s_waitcnt vmcnt(5)
	v_lshlrev_b32_e32 v11, 2, v29
	v_lshl_or_b32 v10, v10, 4, v11
	ds_add_u32 v10, v71
	s_or_b64 exec, exec, s[16:17]
	v_cmp_lt_u32_e32 vcc, v23, v0
	s_and_saveexec_b64 s[16:17], vcc
	s_cbranch_execnz .LBB1458_46
.LBB1458_39:                            ;   in Loop: Header=BB1458_21 Depth=2
	s_or_b64 exec, exec, s[16:17]
	v_cmp_lt_u32_e32 vcc, v25, v0
	s_and_saveexec_b64 s[16:17], vcc
	s_cbranch_execz .LBB1458_47
.LBB1458_40:                            ;   in Loop: Header=BB1458_21 Depth=2
	v_cmp_lt_i32_e32 vcc, -1, v4
	s_waitcnt vmcnt(6)
	v_cndmask_b32_e32 v10, -1, v73, vcc
	v_xor_b32_e32 v10, v10, v4
	v_cmp_ne_u32_e32 vcc, s64, v10
	v_cndmask_b32_e32 v10, v73, v10, vcc
	v_lshrrev_b32_e32 v10, s76, v10
	v_and_b32_e32 v10, s85, v10
	s_waitcnt vmcnt(5)
	v_lshlrev_b32_e32 v11, 2, v29
	v_lshl_or_b32 v10, v10, 4, v11
	ds_add_u32 v10, v71
	s_or_b64 exec, exec, s[16:17]
	v_cmp_lt_u32_e32 vcc, v27, v0
	s_and_saveexec_b64 s[16:17], vcc
	s_cbranch_execnz .LBB1458_48
.LBB1458_41:                            ;   in Loop: Header=BB1458_21 Depth=2
	s_or_b64 exec, exec, s[16:17]
	v_cmp_lt_u32_e32 vcc, v22, v0
	s_and_saveexec_b64 s[16:17], vcc
	s_cbranch_execz .LBB1458_49
.LBB1458_42:                            ;   in Loop: Header=BB1458_21 Depth=2
	v_cmp_lt_i32_e32 vcc, -1, v6
	s_waitcnt vmcnt(6)
	v_cndmask_b32_e32 v10, -1, v73, vcc
	v_xor_b32_e32 v10, v10, v6
	v_cmp_ne_u32_e32 vcc, s64, v10
	v_cndmask_b32_e32 v10, v73, v10, vcc
	v_lshrrev_b32_e32 v10, s76, v10
	v_and_b32_e32 v10, s85, v10
	s_waitcnt vmcnt(5)
	v_lshlrev_b32_e32 v11, 2, v29
	v_lshl_or_b32 v10, v10, 4, v11
	ds_add_u32 v10, v71
	s_or_b64 exec, exec, s[16:17]
	v_cmp_lt_u32_e32 vcc, v24, v0
	s_and_saveexec_b64 s[16:17], vcc
	s_cbranch_execnz .LBB1458_50
.LBB1458_43:                            ;   in Loop: Header=BB1458_21 Depth=2
	s_or_b64 exec, exec, s[16:17]
	v_cmp_lt_u32_e32 vcc, v26, v0
	s_and_saveexec_b64 s[16:17], vcc
	s_cbranch_execz .LBB1458_51
.LBB1458_44:                            ;   in Loop: Header=BB1458_21 Depth=2
	v_cmp_lt_i32_e32 vcc, -1, v8
	s_waitcnt vmcnt(6)
	v_cndmask_b32_e32 v10, -1, v73, vcc
	v_xor_b32_e32 v10, v10, v8
	v_cmp_ne_u32_e32 vcc, s64, v10
	v_cndmask_b32_e32 v10, v73, v10, vcc
	v_lshrrev_b32_e32 v10, s76, v10
	v_and_b32_e32 v10, s85, v10
	s_waitcnt vmcnt(5)
	v_lshlrev_b32_e32 v11, 2, v29
	v_lshl_or_b32 v10, v10, 4, v11
	ds_add_u32 v10, v71
	s_or_b64 exec, exec, s[16:17]
	v_cmp_lt_u32_e32 vcc, v28, v0
	s_and_saveexec_b64 s[16:17], vcc
	s_cbranch_execz .LBB1458_20
	s_branch .LBB1458_52
.LBB1458_45:                            ;   in Loop: Header=BB1458_21 Depth=2
	s_or_b64 exec, exec, s[16:17]
	v_cmp_lt_u32_e32 vcc, v23, v0
	s_and_saveexec_b64 s[16:17], vcc
	s_cbranch_execz .LBB1458_39
.LBB1458_46:                            ;   in Loop: Header=BB1458_21 Depth=2
	v_cmp_lt_i32_e32 vcc, -1, v3
	s_waitcnt vmcnt(6)
	v_cndmask_b32_e32 v10, -1, v73, vcc
	v_xor_b32_e32 v10, v10, v3
	v_cmp_ne_u32_e32 vcc, s64, v10
	v_cndmask_b32_e32 v10, v73, v10, vcc
	v_lshrrev_b32_e32 v10, s76, v10
	v_and_b32_e32 v10, s85, v10
	s_waitcnt vmcnt(5)
	v_lshlrev_b32_e32 v11, 2, v29
	v_lshl_or_b32 v10, v10, 4, v11
	ds_add_u32 v10, v71
	s_or_b64 exec, exec, s[16:17]
	v_cmp_lt_u32_e32 vcc, v25, v0
	s_and_saveexec_b64 s[16:17], vcc
	s_cbranch_execnz .LBB1458_40
.LBB1458_47:                            ;   in Loop: Header=BB1458_21 Depth=2
	s_or_b64 exec, exec, s[16:17]
	v_cmp_lt_u32_e32 vcc, v27, v0
	s_and_saveexec_b64 s[16:17], vcc
	s_cbranch_execz .LBB1458_41
.LBB1458_48:                            ;   in Loop: Header=BB1458_21 Depth=2
	v_cmp_lt_i32_e32 vcc, -1, v5
	s_waitcnt vmcnt(6)
	v_cndmask_b32_e32 v10, -1, v73, vcc
	v_xor_b32_e32 v10, v10, v5
	v_cmp_ne_u32_e32 vcc, s64, v10
	v_cndmask_b32_e32 v10, v73, v10, vcc
	v_lshrrev_b32_e32 v10, s76, v10
	v_and_b32_e32 v10, s85, v10
	s_waitcnt vmcnt(5)
	v_lshlrev_b32_e32 v11, 2, v29
	v_lshl_or_b32 v10, v10, 4, v11
	ds_add_u32 v10, v71
	s_or_b64 exec, exec, s[16:17]
	v_cmp_lt_u32_e32 vcc, v22, v0
	s_and_saveexec_b64 s[16:17], vcc
	s_cbranch_execnz .LBB1458_42
.LBB1458_49:                            ;   in Loop: Header=BB1458_21 Depth=2
	s_or_b64 exec, exec, s[16:17]
	v_cmp_lt_u32_e32 vcc, v24, v0
	s_and_saveexec_b64 s[16:17], vcc
	s_cbranch_execz .LBB1458_43
.LBB1458_50:                            ;   in Loop: Header=BB1458_21 Depth=2
	v_cmp_lt_i32_e32 vcc, -1, v7
	s_waitcnt vmcnt(6)
	v_cndmask_b32_e32 v10, -1, v73, vcc
	v_xor_b32_e32 v10, v10, v7
	v_cmp_ne_u32_e32 vcc, s64, v10
	v_cndmask_b32_e32 v10, v73, v10, vcc
	v_lshrrev_b32_e32 v10, s76, v10
	v_and_b32_e32 v10, s85, v10
	s_waitcnt vmcnt(5)
	v_lshlrev_b32_e32 v11, 2, v29
	v_lshl_or_b32 v10, v10, 4, v11
	ds_add_u32 v10, v71
	s_or_b64 exec, exec, s[16:17]
	v_cmp_lt_u32_e32 vcc, v26, v0
	s_and_saveexec_b64 s[16:17], vcc
	s_cbranch_execnz .LBB1458_44
.LBB1458_51:                            ;   in Loop: Header=BB1458_21 Depth=2
	s_or_b64 exec, exec, s[16:17]
	v_cmp_lt_u32_e32 vcc, v28, v0
	s_and_saveexec_b64 s[16:17], vcc
	s_cbranch_execz .LBB1458_20
.LBB1458_52:                            ;   in Loop: Header=BB1458_21 Depth=2
	v_cmp_lt_i32_e32 vcc, -1, v9
	v_cndmask_b32_e32 v0, -1, v73, vcc
	v_xor_b32_e32 v0, v0, v9
	v_cmp_ne_u32_e32 vcc, s64, v0
	v_cndmask_b32_e32 v0, v73, v0, vcc
	v_lshrrev_b32_e32 v0, s76, v0
	v_and_b32_e32 v0, s85, v0
	s_waitcnt vmcnt(6)
	v_lshlrev_b32_e32 v10, 2, v29
	v_lshl_or_b32 v0, v0, 4, v10
	ds_add_u32 v0, v71
	s_branch .LBB1458_20
.LBB1458_53:                            ;   in Loop: Header=BB1458_21 Depth=2
	s_or_b64 exec, exec, s[20:21]
	v_cmp_gt_u32_e32 vcc, s22, v23
	s_and_saveexec_b64 s[20:21], vcc
	s_cbranch_execz .LBB1458_27
.LBB1458_54:                            ;   in Loop: Header=BB1458_21 Depth=2
	global_load_dword v3, v72, s[18:19] offset:1024
	s_or_b64 exec, exec, s[20:21]
	v_cmp_gt_u32_e32 vcc, s22, v25
	s_and_saveexec_b64 s[20:21], vcc
	s_cbranch_execnz .LBB1458_28
.LBB1458_55:                            ;   in Loop: Header=BB1458_21 Depth=2
	s_or_b64 exec, exec, s[20:21]
	v_cmp_gt_u32_e32 vcc, s22, v27
	s_and_saveexec_b64 s[20:21], vcc
	s_cbranch_execz .LBB1458_29
.LBB1458_56:                            ;   in Loop: Header=BB1458_21 Depth=2
	global_load_dword v5, v72, s[18:19] offset:3072
	s_or_b64 exec, exec, s[20:21]
	v_cmp_gt_u32_e32 vcc, s22, v22
	s_and_saveexec_b64 s[20:21], vcc
	s_cbranch_execnz .LBB1458_30
.LBB1458_57:                            ;   in Loop: Header=BB1458_21 Depth=2
	s_or_b64 exec, exec, s[20:21]
	v_cmp_gt_u32_e32 vcc, s22, v24
	s_and_saveexec_b64 s[20:21], vcc
	s_cbranch_execz .LBB1458_31
.LBB1458_58:                            ;   in Loop: Header=BB1458_21 Depth=2
	v_lshlrev_b32_e32 v0, 2, v24
	global_load_dword v7, v0, s[18:19]
	s_or_b64 exec, exec, s[20:21]
	v_cmp_gt_u32_e32 vcc, s22, v26
	s_and_saveexec_b64 s[20:21], vcc
	s_cbranch_execz .LBB1458_33
	s_branch .LBB1458_32
.LBB1458_59:                            ;   in Loop: Header=BB1458_17 Depth=1
	v_mov_b32_e32 v0, 0
	s_waitcnt lgkmcnt(0)
	s_barrier
	s_and_saveexec_b64 s[16:17], s[4:5]
	s_cbranch_execz .LBB1458_61
; %bb.60:                               ;   in Loop: Header=BB1458_17 Depth=1
	ds_read2_b64 v[2:5], v42 offset1:1
	s_waitcnt lgkmcnt(0)
	v_add_u32_e32 v0, v3, v2
	v_add3_u32 v0, v0, v4, v5
.LBB1458_61:                            ;   in Loop: Header=BB1458_17 Depth=1
	s_or_b64 exec, exec, s[16:17]
	v_and_b32_e32 v2, 15, v74
	v_mov_b32_dpp v3, v0 row_shr:1 row_mask:0xf bank_mask:0xf
	v_cmp_eq_u32_e64 s[16:17], 0, v2
	v_cndmask_b32_e64 v3, v3, 0, s[16:17]
	v_add_u32_e32 v0, v3, v0
	v_cmp_lt_u32_e64 s[18:19], 1, v2
	v_cmp_lt_u32_e64 s[20:21], 3, v2
	v_mov_b32_dpp v3, v0 row_shr:2 row_mask:0xf bank_mask:0xf
	v_cndmask_b32_e64 v3, 0, v3, s[18:19]
	v_add_u32_e32 v0, v0, v3
	v_cmp_lt_u32_e64 s[22:23], 7, v2
	v_cmp_lt_u32_e64 s[26:27], 31, v74
	v_mov_b32_dpp v3, v0 row_shr:4 row_mask:0xf bank_mask:0xf
	v_cndmask_b32_e64 v3, 0, v3, s[20:21]
	v_add_u32_e32 v0, v0, v3
	v_and_b32_e32 v4, 16, v74
	v_cmp_eq_u32_e64 s[24:25], 0, v4
	v_mov_b32_dpp v3, v0 row_shr:8 row_mask:0xf bank_mask:0xf
	v_cndmask_b32_e64 v2, 0, v3, s[22:23]
	v_add_u32_e32 v0, v0, v2
	v_bfe_i32 v3, v74, 4, 1
	s_nop 0
	v_mov_b32_dpp v2, v0 row_bcast:15 row_mask:0xf bank_mask:0xf
	v_and_b32_e32 v2, v3, v2
	v_add_u32_e32 v0, v0, v2
	s_nop 1
	v_mov_b32_dpp v2, v0 row_bcast:31 row_mask:0xf bank_mask:0xf
	v_cndmask_b32_e64 v2, 0, v2, s[26:27]
	v_add_u32_e32 v2, v0, v2
	s_and_saveexec_b64 s[28:29], s[6:7]
	s_cbranch_execz .LBB1458_63
; %bb.62:                               ;   in Loop: Header=BB1458_17 Depth=1
	ds_write_b32 v44, v2
.LBB1458_63:                            ;   in Loop: Header=BB1458_17 Depth=1
	s_or_b64 exec, exec, s[28:29]
	v_and_b32_e32 v0, 3, v74
	s_waitcnt lgkmcnt(0)
	s_barrier
	s_and_saveexec_b64 s[28:29], s[8:9]
	s_cbranch_execz .LBB1458_65
; %bb.64:                               ;   in Loop: Header=BB1458_17 Depth=1
	ds_read_b32 v3, v45
	v_cmp_ne_u32_e32 vcc, 0, v0
	s_waitcnt lgkmcnt(0)
	v_mov_b32_dpp v4, v3 row_shr:1 row_mask:0xf bank_mask:0xf
	v_cndmask_b32_e32 v4, 0, v4, vcc
	v_add_u32_e32 v3, v4, v3
	v_cmp_lt_u32_e32 vcc, 1, v0
	s_nop 0
	v_mov_b32_dpp v4, v3 row_shr:2 row_mask:0xf bank_mask:0xf
	v_cndmask_b32_e32 v4, 0, v4, vcc
	v_add_u32_e32 v3, v3, v4
	ds_write_b32 v45, v3
.LBB1458_65:                            ;   in Loop: Header=BB1458_17 Depth=1
	s_or_b64 exec, exec, s[28:29]
	v_mov_b32_e32 v3, 0
	s_waitcnt lgkmcnt(0)
	s_barrier
	s_and_saveexec_b64 s[28:29], s[10:11]
	s_cbranch_execz .LBB1458_67
; %bb.66:                               ;   in Loop: Header=BB1458_17 Depth=1
	ds_read_b32 v3, v46
.LBB1458_67:                            ;   in Loop: Header=BB1458_17 Depth=1
	s_or_b64 exec, exec, s[28:29]
	v_add_u32_e32 v4, -1, v74
	v_and_b32_e32 v5, 64, v74
	v_cmp_lt_i32_e32 vcc, v4, v5
	v_cndmask_b32_e32 v4, v4, v74, vcc
	s_waitcnt lgkmcnt(0)
	v_add_u32_e32 v2, v3, v2
	v_lshlrev_b32_e32 v75, 2, v4
	ds_bpermute_b32 v2, v75, v2
	v_cmp_eq_u32_e64 s[28:29], 0, v74
	s_waitcnt lgkmcnt(0)
	s_barrier
	s_and_saveexec_b64 s[30:31], s[4:5]
	s_cbranch_execz .LBB1458_69
; %bb.68:                               ;   in Loop: Header=BB1458_17 Depth=1
	v_cndmask_b32_e64 v2, v2, v3, s[28:29]
	v_add_u32_e32 v2, s51, v2
	ds_write_b32 v19, v2
.LBB1458_69:                            ;   in Loop: Header=BB1458_17 Depth=1
	s_or_b64 exec, exec, s[30:31]
	s_load_dword s30, s[82:83], 0x4
	s_load_dword s36, s[82:83], 0xc
	v_cmp_lt_u32_e64 s[34:35], 1, v0
	s_mov_b32 s86, s79
	s_mov_b32 s80, s51
	s_waitcnt lgkmcnt(0)
	s_cmp_lt_u32 s33, s30
	s_cselect_b32 s30, 14, 20
	s_add_u32 s30, s82, s30
	s_addc_u32 s31, s83, 0
	global_load_ushort v2, v20, s[30:31]
	v_cmp_eq_u32_e64 s[30:31], 0, v0
	v_and_b32_e32 v0, 63, v74
	v_lshlrev_b32_e32 v3, 3, v0
	v_add_co_u32_e32 v83, vcc, v54, v3
	v_or_b32_e32 v80, v0, v47
	v_lshlrev_b32_e32 v0, 2, v0
	v_addc_co_u32_e32 v85, vcc, 0, v55, vcc
	v_add_co_u32_e32 v94, vcc, v56, v0
	v_addc_co_u32_e32 v95, vcc, 0, v57, vcc
	s_and_b32 s36, s36, 0xffff
	v_add_co_u32_e32 v96, vcc, 0x700, v94
	v_or_b32_e32 v87, 64, v80
	v_or_b32_e32 v88, 0x80, v80
	;; [unrolled: 1-line block ×7, first 2 shown]
	v_addc_co_u32_e32 v97, vcc, 0, v95, vcc
                                        ; implicit-def: $vgpr10_vgpr11
                                        ; implicit-def: $vgpr12_vgpr13
                                        ; implicit-def: $vgpr14_vgpr15
                                        ; implicit-def: $vgpr16_vgpr17
                                        ; implicit-def: $vgpr30_vgpr31
                                        ; implicit-def: $vgpr32_vgpr33
                                        ; implicit-def: $vgpr34_vgpr35
                                        ; implicit-def: $vgpr36_vgpr37
                                        ; implicit-def: $vgpr76
                                        ; implicit-def: $vgpr77
                                        ; implicit-def: $vgpr78
                                        ; implicit-def: $vgpr79
                                        ; implicit-def: $vgpr81
                                        ; implicit-def: $vgpr82
                                        ; implicit-def: $vgpr84
                                        ; implicit-def: $vgpr86
	s_waitcnt vmcnt(0)
	v_mad_u32_u24 v0, v48, v2, v49
	v_mad_u64_u32 v[2:3], s[36:37], v0, s36, v[18:19]
	v_lshrrev_b32_e32 v98, 6, v2
	s_branch .LBB1458_71
.LBB1458_70:                            ;   in Loop: Header=BB1458_71 Depth=2
	s_or_b64 exec, exec, s[36:37]
	s_addk_i32 s86, 0xf800
	s_cmp_lt_u32 s87, s84
	s_mov_b32 s80, s87
	s_cbranch_scc0 .LBB1458_183
.LBB1458_71:                            ;   Parent Loop BB1458_17 Depth=1
                                        ; =>  This Inner Loop Header: Depth=2
	s_add_i32 s87, s80, 0x800
	s_cmp_gt_u32 s87, s84
	s_cbranch_scc1 .LBB1458_73
; %bb.72:                               ;   in Loop: Header=BB1458_71 Depth=2
	s_lshl_b64 s[36:37], s[80:81], 2
	v_mov_b32_e32 v0, s37
	v_add_co_u32_e32 v8, vcc, s36, v94
	v_addc_co_u32_e32 v9, vcc, v95, v0, vcc
	global_load_dword v2, v[8:9], off
	global_load_dword v3, v[8:9], off offset:256
	global_load_dword v4, v[8:9], off offset:512
	;; [unrolled: 1-line block ×5, first 2 shown]
	s_nop 0
	global_load_dword v8, v[8:9], off offset:1536
	s_mov_b64 s[36:37], -1
	s_movk_i32 s40, 0x800
	s_cbranch_execz .LBB1458_74
	s_branch .LBB1458_83
.LBB1458_73:                            ;   in Loop: Header=BB1458_71 Depth=2
	s_mov_b64 s[36:37], 0
                                        ; implicit-def: $sgpr40
                                        ; implicit-def: $vgpr2_vgpr3_vgpr4_vgpr5_vgpr6_vgpr7_vgpr8_vgpr9
.LBB1458_74:                            ;   in Loop: Header=BB1458_71 Depth=2
	s_lshl_b64 s[36:37], s[80:81], 2
	v_mov_b32_e32 v0, s37
	v_add_co_u32_e32 v38, vcc, s36, v94
	s_mov_b32 s65, s64
	v_addc_co_u32_e32 v39, vcc, v95, v0, vcc
	s_mov_b32 s66, s64
	s_mov_b32 s67, s64
	;; [unrolled: 1-line block ×6, first 2 shown]
	s_waitcnt vmcnt(0)
	v_pk_mov_b32 v[2:3], s[64:65], s[64:65] op_sel:[0,1]
	v_cmp_gt_u32_e32 vcc, s86, v80
	v_pk_mov_b32 v[4:5], s[66:67], s[66:67] op_sel:[0,1]
	v_pk_mov_b32 v[6:7], s[68:69], s[68:69] op_sel:[0,1]
	;; [unrolled: 1-line block ×3, first 2 shown]
	s_and_saveexec_b64 s[36:37], vcc
	s_cbranch_execz .LBB1458_177
; %bb.75:                               ;   in Loop: Header=BB1458_71 Depth=2
	global_load_dword v0, v[38:39], off
	v_mov_b32_e32 v2, v1
	v_mov_b32_e32 v3, v1
	;; [unrolled: 1-line block ×6, first 2 shown]
	s_waitcnt vmcnt(0)
	v_pk_mov_b32 v[8:9], v[6:7], v[6:7] op_sel:[0,1]
	v_pk_mov_b32 v[6:7], v[4:5], v[4:5] op_sel:[0,1]
	;; [unrolled: 1-line block ×4, first 2 shown]
	s_or_b64 exec, exec, s[36:37]
	v_cmp_gt_u32_e32 vcc, s86, v87
	s_and_saveexec_b64 s[36:37], vcc
	s_cbranch_execnz .LBB1458_178
.LBB1458_76:                            ;   in Loop: Header=BB1458_71 Depth=2
	s_or_b64 exec, exec, s[36:37]
	v_cmp_gt_u32_e32 vcc, s86, v88
	s_and_saveexec_b64 s[36:37], vcc
	s_cbranch_execz .LBB1458_179
.LBB1458_77:                            ;   in Loop: Header=BB1458_71 Depth=2
	global_load_dword v4, v[38:39], off offset:512
	s_or_b64 exec, exec, s[36:37]
	v_cmp_gt_u32_e32 vcc, s86, v89
	s_and_saveexec_b64 s[36:37], vcc
	s_cbranch_execnz .LBB1458_180
.LBB1458_78:                            ;   in Loop: Header=BB1458_71 Depth=2
	s_or_b64 exec, exec, s[36:37]
	v_cmp_gt_u32_e32 vcc, s86, v90
	s_and_saveexec_b64 s[36:37], vcc
	s_cbranch_execz .LBB1458_181
.LBB1458_79:                            ;   in Loop: Header=BB1458_71 Depth=2
	global_load_dword v6, v[38:39], off offset:1024
	s_or_b64 exec, exec, s[36:37]
	v_cmp_gt_u32_e32 vcc, s86, v91
	s_and_saveexec_b64 s[36:37], vcc
	s_cbranch_execnz .LBB1458_182
.LBB1458_80:                            ;   in Loop: Header=BB1458_71 Depth=2
	s_or_b64 exec, exec, s[36:37]
	v_cmp_gt_u32_e32 vcc, s86, v92
	s_and_saveexec_b64 s[36:37], vcc
	s_cbranch_execz .LBB1458_82
.LBB1458_81:                            ;   in Loop: Header=BB1458_71 Depth=2
	global_load_dword v8, v[38:39], off offset:1536
.LBB1458_82:                            ;   in Loop: Header=BB1458_71 Depth=2
	s_or_b64 exec, exec, s[36:37]
	s_sub_i32 s40, s84, s80
	v_cmp_gt_u32_e64 s[36:37], s86, v93
.LBB1458_83:                            ;   in Loop: Header=BB1458_71 Depth=2
	v_mov_b32_e32 v0, s86
	s_and_saveexec_b64 s[38:39], s[36:37]
	s_cbranch_execz .LBB1458_85
; %bb.84:                               ;   in Loop: Header=BB1458_71 Depth=2
	s_lshl_b64 s[36:37], s[80:81], 2
	v_mov_b32_e32 v0, s37
	v_add_co_u32_e32 v38, vcc, s36, v96
	v_addc_co_u32_e32 v39, vcc, v97, v0, vcc
	global_load_dword v9, v[38:39], off
	v_mov_b32_e32 v0, s40
.LBB1458_85:                            ;   in Loop: Header=BB1458_71 Depth=2
	s_or_b64 exec, exec, s[38:39]
	s_waitcnt vmcnt(6)
	v_cmp_lt_i32_e32 vcc, -1, v2
	v_cndmask_b32_e32 v21, -1, v73, vcc
	v_xor_b32_e32 v99, v21, v2
	v_add_u32_e32 v2, 0x410, v50
	v_cmp_ne_u32_e32 vcc, s64, v99
	ds_write2_b32 v2, v20, v20 offset1:1
	ds_write2_b32 v52, v20, v20 offset0:2 offset1:3
	ds_write_b32 v52, v20 offset:16
	v_cndmask_b32_e32 v2, v73, v99, vcc
	v_lshrrev_b32_e32 v2, s76, v2
	v_and_b32_e32 v2, s85, v2
	v_mad_u32_u24 v21, v2, 5, v98
	v_lshl_add_u32 v100, v21, 2, v51
	v_and_b32_e32 v21, 1, v2
	v_add_co_u32_e32 v38, vcc, -1, v21
	v_addc_co_u32_e64 v39, s[36:37], 0, -1, vcc
	v_cmp_ne_u32_e32 vcc, 0, v21
	v_xor_b32_e32 v21, vcc_hi, v39
	v_and_b32_e32 v39, exec_hi, v21
	v_lshlrev_b32_e32 v21, 30, v2
	v_xor_b32_e32 v38, vcc_lo, v38
	v_cmp_gt_i64_e32 vcc, 0, v[20:21]
	v_not_b32_e32 v21, v21
	v_ashrrev_i32_e32 v21, 31, v21
	v_and_b32_e32 v38, exec_lo, v38
	v_xor_b32_e32 v101, vcc_hi, v21
	v_xor_b32_e32 v21, vcc_lo, v21
	v_and_b32_e32 v38, v38, v21
	v_lshlrev_b32_e32 v21, 29, v2
	v_cmp_gt_i64_e32 vcc, 0, v[20:21]
	v_not_b32_e32 v21, v21
	v_ashrrev_i32_e32 v21, 31, v21
	v_and_b32_e32 v39, v39, v101
	v_xor_b32_e32 v101, vcc_hi, v21
	v_xor_b32_e32 v21, vcc_lo, v21
	v_and_b32_e32 v38, v38, v21
	v_lshlrev_b32_e32 v21, 28, v2
	v_cmp_gt_i64_e32 vcc, 0, v[20:21]
	v_not_b32_e32 v21, v21
	v_ashrrev_i32_e32 v21, 31, v21
	v_and_b32_e32 v39, v39, v101
	;; [unrolled: 8-line block ×5, first 2 shown]
	v_xor_b32_e32 v101, vcc_hi, v21
	v_xor_b32_e32 v21, vcc_lo, v21
	v_and_b32_e32 v38, v38, v21
	v_lshlrev_b32_e32 v21, 24, v2
	v_not_b32_e32 v2, v21
	v_cmp_gt_i64_e32 vcc, 0, v[20:21]
	v_ashrrev_i32_e32 v2, 31, v2
	v_xor_b32_e32 v21, vcc_hi, v2
	v_xor_b32_e32 v2, vcc_lo, v2
	v_and_b32_e32 v39, v39, v101
	v_and_b32_e32 v38, v38, v2
	v_and_b32_e32 v39, v39, v21
	v_mbcnt_lo_u32_b32 v2, v38, 0
	v_mbcnt_hi_u32_b32 v101, v39, v2
	v_cmp_eq_u32_e32 vcc, 0, v101
	v_cmp_ne_u64_e64 s[36:37], 0, v[38:39]
	s_and_b64 s[38:39], s[36:37], vcc
	s_waitcnt lgkmcnt(0)
	s_barrier
	s_waitcnt lgkmcnt(0)
	; wave barrier
	s_and_saveexec_b64 s[36:37], s[38:39]
	s_cbranch_execz .LBB1458_87
; %bb.86:                               ;   in Loop: Header=BB1458_71 Depth=2
	v_bcnt_u32_b32 v2, v38, 0
	v_bcnt_u32_b32 v2, v39, v2
	ds_write_b32 v100, v2
.LBB1458_87:                            ;   in Loop: Header=BB1458_71 Depth=2
	s_or_b64 exec, exec, s[36:37]
	s_waitcnt vmcnt(0)
	v_cmp_lt_i32_e32 vcc, -1, v3
	v_cndmask_b32_e32 v2, -1, v73, vcc
	v_xor_b32_e32 v38, v2, v3
	v_cmp_ne_u32_e32 vcc, s64, v38
	v_cndmask_b32_e32 v2, v73, v38, vcc
	v_lshrrev_b32_e32 v2, s76, v2
	v_and_b32_e32 v2, s85, v2
	v_mul_u32_u24_e32 v3, 5, v2
	v_add_lshl_u32 v3, v3, v98, 2
	; wave barrier
	v_add_u32_e32 v102, 0x410, v3
	ds_read_b32 v39, v3 offset:1040
	v_and_b32_e32 v3, 1, v2
	v_add_co_u32_e32 v21, vcc, -1, v3
	v_addc_co_u32_e64 v103, s[36:37], 0, -1, vcc
	v_cmp_ne_u32_e32 vcc, 0, v3
	v_xor_b32_e32 v21, vcc_lo, v21
	v_xor_b32_e32 v3, vcc_hi, v103
	v_and_b32_e32 v103, exec_lo, v21
	v_lshlrev_b32_e32 v21, 30, v2
	v_cmp_gt_i64_e32 vcc, 0, v[20:21]
	v_not_b32_e32 v21, v21
	v_ashrrev_i32_e32 v21, 31, v21
	v_xor_b32_e32 v104, vcc_hi, v21
	v_xor_b32_e32 v21, vcc_lo, v21
	v_and_b32_e32 v103, v103, v21
	v_lshlrev_b32_e32 v21, 29, v2
	v_cmp_gt_i64_e32 vcc, 0, v[20:21]
	v_not_b32_e32 v21, v21
	v_and_b32_e32 v3, exec_hi, v3
	v_ashrrev_i32_e32 v21, 31, v21
	v_and_b32_e32 v3, v3, v104
	v_xor_b32_e32 v104, vcc_hi, v21
	v_xor_b32_e32 v21, vcc_lo, v21
	v_and_b32_e32 v103, v103, v21
	v_lshlrev_b32_e32 v21, 28, v2
	v_cmp_gt_i64_e32 vcc, 0, v[20:21]
	v_not_b32_e32 v21, v21
	v_ashrrev_i32_e32 v21, 31, v21
	v_and_b32_e32 v3, v3, v104
	v_xor_b32_e32 v104, vcc_hi, v21
	v_xor_b32_e32 v21, vcc_lo, v21
	v_and_b32_e32 v103, v103, v21
	v_lshlrev_b32_e32 v21, 27, v2
	v_cmp_gt_i64_e32 vcc, 0, v[20:21]
	v_not_b32_e32 v21, v21
	;; [unrolled: 8-line block ×4, first 2 shown]
	v_ashrrev_i32_e32 v21, 31, v21
	v_and_b32_e32 v3, v3, v104
	v_xor_b32_e32 v104, vcc_hi, v21
	v_xor_b32_e32 v21, vcc_lo, v21
	v_and_b32_e32 v103, v103, v21
	v_lshlrev_b32_e32 v21, 24, v2
	v_not_b32_e32 v2, v21
	v_cmp_gt_i64_e32 vcc, 0, v[20:21]
	v_ashrrev_i32_e32 v2, 31, v2
	v_xor_b32_e32 v21, vcc_hi, v2
	v_xor_b32_e32 v2, vcc_lo, v2
	v_and_b32_e32 v3, v3, v104
	v_and_b32_e32 v2, v103, v2
	;; [unrolled: 1-line block ×3, first 2 shown]
	v_mbcnt_lo_u32_b32 v21, v2, 0
	v_mbcnt_hi_u32_b32 v103, v3, v21
	v_cmp_eq_u32_e32 vcc, 0, v103
	v_cmp_ne_u64_e64 s[36:37], 0, v[2:3]
	s_and_b64 s[38:39], s[36:37], vcc
	; wave barrier
	s_and_saveexec_b64 s[36:37], s[38:39]
	s_cbranch_execz .LBB1458_89
; %bb.88:                               ;   in Loop: Header=BB1458_71 Depth=2
	v_bcnt_u32_b32 v2, v2, 0
	v_bcnt_u32_b32 v2, v3, v2
	s_waitcnt lgkmcnt(0)
	v_add_u32_e32 v2, v39, v2
	ds_write_b32 v102, v2
.LBB1458_89:                            ;   in Loop: Header=BB1458_71 Depth=2
	s_or_b64 exec, exec, s[36:37]
	v_cmp_lt_i32_e32 vcc, -1, v4
	v_cndmask_b32_e32 v2, -1, v73, vcc
	v_xor_b32_e32 v104, v2, v4
	v_cmp_ne_u32_e32 vcc, s64, v104
	v_cndmask_b32_e32 v2, v73, v104, vcc
	v_lshrrev_b32_e32 v2, s76, v2
	v_and_b32_e32 v2, s85, v2
	v_mul_u32_u24_e32 v3, 5, v2
	v_add_lshl_u32 v3, v3, v98, 2
	; wave barrier
	v_add_u32_e32 v106, 0x410, v3
	ds_read_b32 v105, v3 offset:1040
	v_and_b32_e32 v3, 1, v2
	v_add_co_u32_e32 v4, vcc, -1, v3
	v_addc_co_u32_e64 v21, s[36:37], 0, -1, vcc
	v_cmp_ne_u32_e32 vcc, 0, v3
	v_xor_b32_e32 v3, vcc_hi, v21
	v_lshlrev_b32_e32 v21, 30, v2
	v_xor_b32_e32 v4, vcc_lo, v4
	v_cmp_gt_i64_e32 vcc, 0, v[20:21]
	v_not_b32_e32 v21, v21
	v_ashrrev_i32_e32 v21, 31, v21
	v_and_b32_e32 v4, exec_lo, v4
	v_xor_b32_e32 v107, vcc_hi, v21
	v_xor_b32_e32 v21, vcc_lo, v21
	v_and_b32_e32 v4, v4, v21
	v_lshlrev_b32_e32 v21, 29, v2
	v_cmp_gt_i64_e32 vcc, 0, v[20:21]
	v_not_b32_e32 v21, v21
	v_and_b32_e32 v3, exec_hi, v3
	v_ashrrev_i32_e32 v21, 31, v21
	v_and_b32_e32 v3, v3, v107
	v_xor_b32_e32 v107, vcc_hi, v21
	v_xor_b32_e32 v21, vcc_lo, v21
	v_and_b32_e32 v4, v4, v21
	v_lshlrev_b32_e32 v21, 28, v2
	v_cmp_gt_i64_e32 vcc, 0, v[20:21]
	v_not_b32_e32 v21, v21
	v_ashrrev_i32_e32 v21, 31, v21
	v_and_b32_e32 v3, v3, v107
	v_xor_b32_e32 v107, vcc_hi, v21
	v_xor_b32_e32 v21, vcc_lo, v21
	v_and_b32_e32 v4, v4, v21
	v_lshlrev_b32_e32 v21, 27, v2
	v_cmp_gt_i64_e32 vcc, 0, v[20:21]
	v_not_b32_e32 v21, v21
	;; [unrolled: 8-line block ×4, first 2 shown]
	v_ashrrev_i32_e32 v21, 31, v21
	v_and_b32_e32 v3, v3, v107
	v_xor_b32_e32 v107, vcc_hi, v21
	v_xor_b32_e32 v21, vcc_lo, v21
	v_and_b32_e32 v4, v4, v21
	v_lshlrev_b32_e32 v21, 24, v2
	v_not_b32_e32 v2, v21
	v_cmp_gt_i64_e32 vcc, 0, v[20:21]
	v_ashrrev_i32_e32 v2, 31, v2
	v_xor_b32_e32 v21, vcc_hi, v2
	v_xor_b32_e32 v2, vcc_lo, v2
	v_and_b32_e32 v3, v3, v107
	v_and_b32_e32 v2, v4, v2
	v_and_b32_e32 v3, v3, v21
	v_mbcnt_lo_u32_b32 v4, v2, 0
	v_mbcnt_hi_u32_b32 v107, v3, v4
	v_cmp_eq_u32_e32 vcc, 0, v107
	v_cmp_ne_u64_e64 s[36:37], 0, v[2:3]
	s_and_b64 s[38:39], s[36:37], vcc
	; wave barrier
	s_and_saveexec_b64 s[36:37], s[38:39]
	s_cbranch_execz .LBB1458_91
; %bb.90:                               ;   in Loop: Header=BB1458_71 Depth=2
	v_bcnt_u32_b32 v2, v2, 0
	v_bcnt_u32_b32 v2, v3, v2
	s_waitcnt lgkmcnt(0)
	v_add_u32_e32 v2, v105, v2
	ds_write_b32 v106, v2
.LBB1458_91:                            ;   in Loop: Header=BB1458_71 Depth=2
	s_or_b64 exec, exec, s[36:37]
	v_cmp_lt_i32_e32 vcc, -1, v5
	v_cndmask_b32_e32 v2, -1, v73, vcc
	v_xor_b32_e32 v108, v2, v5
	v_cmp_ne_u32_e32 vcc, s64, v108
	v_cndmask_b32_e32 v2, v73, v108, vcc
	v_lshrrev_b32_e32 v2, s76, v2
	v_and_b32_e32 v2, s85, v2
	v_mul_u32_u24_e32 v3, 5, v2
	v_add_lshl_u32 v3, v3, v98, 2
	; wave barrier
	v_add_u32_e32 v110, 0x410, v3
	ds_read_b32 v109, v3 offset:1040
	v_and_b32_e32 v3, 1, v2
	v_add_co_u32_e32 v4, vcc, -1, v3
	v_addc_co_u32_e64 v5, s[36:37], 0, -1, vcc
	v_cmp_ne_u32_e32 vcc, 0, v3
	v_lshlrev_b32_e32 v21, 30, v2
	v_xor_b32_e32 v3, vcc_hi, v5
	v_not_b32_e32 v5, v21
	v_xor_b32_e32 v4, vcc_lo, v4
	v_cmp_gt_i64_e32 vcc, 0, v[20:21]
	v_ashrrev_i32_e32 v5, 31, v5
	v_and_b32_e32 v3, exec_hi, v3
	v_xor_b32_e32 v21, vcc_hi, v5
	v_and_b32_e32 v4, exec_lo, v4
	v_xor_b32_e32 v5, vcc_lo, v5
	v_and_b32_e32 v3, v3, v21
	v_lshlrev_b32_e32 v21, 29, v2
	v_and_b32_e32 v4, v4, v5
	v_not_b32_e32 v5, v21
	v_cmp_gt_i64_e32 vcc, 0, v[20:21]
	v_ashrrev_i32_e32 v5, 31, v5
	v_xor_b32_e32 v21, vcc_hi, v5
	v_xor_b32_e32 v5, vcc_lo, v5
	v_and_b32_e32 v3, v3, v21
	v_lshlrev_b32_e32 v21, 28, v2
	v_and_b32_e32 v4, v4, v5
	v_not_b32_e32 v5, v21
	v_cmp_gt_i64_e32 vcc, 0, v[20:21]
	v_ashrrev_i32_e32 v5, 31, v5
	v_xor_b32_e32 v21, vcc_hi, v5
	v_xor_b32_e32 v5, vcc_lo, v5
	v_and_b32_e32 v3, v3, v21
	v_lshlrev_b32_e32 v21, 27, v2
	v_and_b32_e32 v4, v4, v5
	v_not_b32_e32 v5, v21
	v_cmp_gt_i64_e32 vcc, 0, v[20:21]
	v_ashrrev_i32_e32 v5, 31, v5
	v_xor_b32_e32 v21, vcc_hi, v5
	v_xor_b32_e32 v5, vcc_lo, v5
	v_and_b32_e32 v3, v3, v21
	v_lshlrev_b32_e32 v21, 26, v2
	v_and_b32_e32 v4, v4, v5
	v_not_b32_e32 v5, v21
	v_cmp_gt_i64_e32 vcc, 0, v[20:21]
	v_ashrrev_i32_e32 v5, 31, v5
	v_xor_b32_e32 v21, vcc_hi, v5
	v_xor_b32_e32 v5, vcc_lo, v5
	v_and_b32_e32 v3, v3, v21
	v_lshlrev_b32_e32 v21, 25, v2
	v_and_b32_e32 v4, v4, v5
	v_not_b32_e32 v5, v21
	v_cmp_gt_i64_e32 vcc, 0, v[20:21]
	v_ashrrev_i32_e32 v5, 31, v5
	v_xor_b32_e32 v21, vcc_hi, v5
	v_and_b32_e32 v3, v3, v21
	v_lshlrev_b32_e32 v21, 24, v2
	v_not_b32_e32 v2, v21
	v_xor_b32_e32 v5, vcc_lo, v5
	v_cmp_gt_i64_e32 vcc, 0, v[20:21]
	v_ashrrev_i32_e32 v2, 31, v2
	v_and_b32_e32 v4, v4, v5
	v_xor_b32_e32 v5, vcc_hi, v2
	v_xor_b32_e32 v2, vcc_lo, v2
	v_and_b32_e32 v2, v4, v2
	v_and_b32_e32 v3, v3, v5
	v_mbcnt_lo_u32_b32 v4, v2, 0
	v_mbcnt_hi_u32_b32 v111, v3, v4
	v_cmp_eq_u32_e32 vcc, 0, v111
	v_cmp_ne_u64_e64 s[36:37], 0, v[2:3]
	s_and_b64 s[38:39], s[36:37], vcc
	; wave barrier
	s_and_saveexec_b64 s[36:37], s[38:39]
	s_cbranch_execz .LBB1458_93
; %bb.92:                               ;   in Loop: Header=BB1458_71 Depth=2
	v_bcnt_u32_b32 v2, v2, 0
	v_bcnt_u32_b32 v2, v3, v2
	s_waitcnt lgkmcnt(0)
	v_add_u32_e32 v2, v109, v2
	ds_write_b32 v110, v2
.LBB1458_93:                            ;   in Loop: Header=BB1458_71 Depth=2
	s_or_b64 exec, exec, s[36:37]
	v_cmp_lt_i32_e32 vcc, -1, v6
	v_cndmask_b32_e32 v2, -1, v73, vcc
	v_xor_b32_e32 v112, v2, v6
	v_cmp_ne_u32_e32 vcc, s64, v112
	v_cndmask_b32_e32 v2, v73, v112, vcc
	v_lshrrev_b32_e32 v2, s76, v2
	v_and_b32_e32 v2, s85, v2
	v_mul_u32_u24_e32 v3, 5, v2
	v_add_lshl_u32 v3, v3, v98, 2
	; wave barrier
	v_add_u32_e32 v113, 0x410, v3
	ds_read_b32 v6, v3 offset:1040
	v_and_b32_e32 v3, 1, v2
	v_add_co_u32_e32 v4, vcc, -1, v3
	v_addc_co_u32_e64 v5, s[36:37], 0, -1, vcc
	v_cmp_ne_u32_e32 vcc, 0, v3
	v_lshlrev_b32_e32 v21, 30, v2
	v_xor_b32_e32 v3, vcc_hi, v5
	v_not_b32_e32 v5, v21
	v_xor_b32_e32 v4, vcc_lo, v4
	v_cmp_gt_i64_e32 vcc, 0, v[20:21]
	v_ashrrev_i32_e32 v5, 31, v5
	v_and_b32_e32 v3, exec_hi, v3
	v_xor_b32_e32 v21, vcc_hi, v5
	v_and_b32_e32 v4, exec_lo, v4
	v_xor_b32_e32 v5, vcc_lo, v5
	v_and_b32_e32 v3, v3, v21
	v_lshlrev_b32_e32 v21, 29, v2
	v_and_b32_e32 v4, v4, v5
	v_not_b32_e32 v5, v21
	v_cmp_gt_i64_e32 vcc, 0, v[20:21]
	v_ashrrev_i32_e32 v5, 31, v5
	v_xor_b32_e32 v21, vcc_hi, v5
	v_xor_b32_e32 v5, vcc_lo, v5
	v_and_b32_e32 v3, v3, v21
	v_lshlrev_b32_e32 v21, 28, v2
	v_and_b32_e32 v4, v4, v5
	v_not_b32_e32 v5, v21
	v_cmp_gt_i64_e32 vcc, 0, v[20:21]
	v_ashrrev_i32_e32 v5, 31, v5
	v_xor_b32_e32 v21, vcc_hi, v5
	;; [unrolled: 8-line block ×5, first 2 shown]
	v_and_b32_e32 v3, v3, v21
	v_lshlrev_b32_e32 v21, 24, v2
	v_not_b32_e32 v2, v21
	v_xor_b32_e32 v5, vcc_lo, v5
	v_cmp_gt_i64_e32 vcc, 0, v[20:21]
	v_ashrrev_i32_e32 v2, 31, v2
	v_and_b32_e32 v4, v4, v5
	v_xor_b32_e32 v5, vcc_hi, v2
	v_xor_b32_e32 v2, vcc_lo, v2
	v_and_b32_e32 v2, v4, v2
	v_and_b32_e32 v3, v3, v5
	v_mbcnt_lo_u32_b32 v4, v2, 0
	v_mbcnt_hi_u32_b32 v114, v3, v4
	v_cmp_eq_u32_e32 vcc, 0, v114
	v_cmp_ne_u64_e64 s[36:37], 0, v[2:3]
	s_and_b64 s[38:39], s[36:37], vcc
	; wave barrier
	s_and_saveexec_b64 s[36:37], s[38:39]
	s_cbranch_execz .LBB1458_95
; %bb.94:                               ;   in Loop: Header=BB1458_71 Depth=2
	v_bcnt_u32_b32 v2, v2, 0
	v_bcnt_u32_b32 v2, v3, v2
	s_waitcnt lgkmcnt(0)
	v_add_u32_e32 v2, v6, v2
	ds_write_b32 v113, v2
.LBB1458_95:                            ;   in Loop: Header=BB1458_71 Depth=2
	s_or_b64 exec, exec, s[36:37]
	v_cmp_lt_i32_e32 vcc, -1, v7
	v_cndmask_b32_e32 v2, -1, v73, vcc
	v_xor_b32_e32 v115, v2, v7
	v_cmp_ne_u32_e32 vcc, s64, v115
	v_cndmask_b32_e32 v2, v73, v115, vcc
	v_lshrrev_b32_e32 v2, s76, v2
	v_and_b32_e32 v2, s85, v2
	v_mul_u32_u24_e32 v3, 5, v2
	v_add_lshl_u32 v3, v3, v98, 2
	; wave barrier
	v_add_u32_e32 v116, 0x410, v3
	ds_read_b32 v7, v3 offset:1040
	v_and_b32_e32 v3, 1, v2
	v_add_co_u32_e32 v4, vcc, -1, v3
	v_addc_co_u32_e64 v5, s[36:37], 0, -1, vcc
	v_cmp_ne_u32_e32 vcc, 0, v3
	v_lshlrev_b32_e32 v21, 30, v2
	v_xor_b32_e32 v3, vcc_hi, v5
	v_not_b32_e32 v5, v21
	v_xor_b32_e32 v4, vcc_lo, v4
	v_cmp_gt_i64_e32 vcc, 0, v[20:21]
	v_ashrrev_i32_e32 v5, 31, v5
	v_and_b32_e32 v3, exec_hi, v3
	v_xor_b32_e32 v21, vcc_hi, v5
	v_and_b32_e32 v4, exec_lo, v4
	v_xor_b32_e32 v5, vcc_lo, v5
	v_and_b32_e32 v3, v3, v21
	v_lshlrev_b32_e32 v21, 29, v2
	v_and_b32_e32 v4, v4, v5
	v_not_b32_e32 v5, v21
	v_cmp_gt_i64_e32 vcc, 0, v[20:21]
	v_ashrrev_i32_e32 v5, 31, v5
	v_xor_b32_e32 v21, vcc_hi, v5
	v_xor_b32_e32 v5, vcc_lo, v5
	v_and_b32_e32 v3, v3, v21
	v_lshlrev_b32_e32 v21, 28, v2
	v_and_b32_e32 v4, v4, v5
	v_not_b32_e32 v5, v21
	v_cmp_gt_i64_e32 vcc, 0, v[20:21]
	v_ashrrev_i32_e32 v5, 31, v5
	v_xor_b32_e32 v21, vcc_hi, v5
	;; [unrolled: 8-line block ×5, first 2 shown]
	v_and_b32_e32 v3, v3, v21
	v_lshlrev_b32_e32 v21, 24, v2
	v_not_b32_e32 v2, v21
	v_xor_b32_e32 v5, vcc_lo, v5
	v_cmp_gt_i64_e32 vcc, 0, v[20:21]
	v_ashrrev_i32_e32 v2, 31, v2
	v_and_b32_e32 v4, v4, v5
	v_xor_b32_e32 v5, vcc_hi, v2
	v_xor_b32_e32 v2, vcc_lo, v2
	v_and_b32_e32 v2, v4, v2
	v_and_b32_e32 v3, v3, v5
	v_mbcnt_lo_u32_b32 v4, v2, 0
	v_mbcnt_hi_u32_b32 v117, v3, v4
	v_cmp_eq_u32_e32 vcc, 0, v117
	v_cmp_ne_u64_e64 s[36:37], 0, v[2:3]
	s_and_b64 s[38:39], s[36:37], vcc
	; wave barrier
	s_and_saveexec_b64 s[36:37], s[38:39]
	s_cbranch_execz .LBB1458_97
; %bb.96:                               ;   in Loop: Header=BB1458_71 Depth=2
	v_bcnt_u32_b32 v2, v2, 0
	v_bcnt_u32_b32 v2, v3, v2
	s_waitcnt lgkmcnt(0)
	v_add_u32_e32 v2, v7, v2
	ds_write_b32 v116, v2
.LBB1458_97:                            ;   in Loop: Header=BB1458_71 Depth=2
	s_or_b64 exec, exec, s[36:37]
	v_cmp_lt_i32_e32 vcc, -1, v8
	v_cndmask_b32_e32 v2, -1, v73, vcc
	v_xor_b32_e32 v118, v2, v8
	v_cmp_ne_u32_e32 vcc, s64, v118
	v_cndmask_b32_e32 v2, v73, v118, vcc
	v_lshrrev_b32_e32 v2, s76, v2
	v_and_b32_e32 v2, s85, v2
	v_mul_u32_u24_e32 v3, 5, v2
	v_add_lshl_u32 v3, v3, v98, 2
	; wave barrier
	v_add_u32_e32 v8, 0x410, v3
	ds_read_b32 v119, v3 offset:1040
	v_and_b32_e32 v3, 1, v2
	v_add_co_u32_e32 v4, vcc, -1, v3
	v_addc_co_u32_e64 v5, s[36:37], 0, -1, vcc
	v_cmp_ne_u32_e32 vcc, 0, v3
	v_lshlrev_b32_e32 v21, 30, v2
	v_xor_b32_e32 v3, vcc_hi, v5
	v_not_b32_e32 v5, v21
	v_xor_b32_e32 v4, vcc_lo, v4
	v_cmp_gt_i64_e32 vcc, 0, v[20:21]
	v_ashrrev_i32_e32 v5, 31, v5
	v_and_b32_e32 v3, exec_hi, v3
	v_xor_b32_e32 v21, vcc_hi, v5
	v_and_b32_e32 v4, exec_lo, v4
	v_xor_b32_e32 v5, vcc_lo, v5
	v_and_b32_e32 v3, v3, v21
	v_lshlrev_b32_e32 v21, 29, v2
	v_and_b32_e32 v4, v4, v5
	v_not_b32_e32 v5, v21
	v_cmp_gt_i64_e32 vcc, 0, v[20:21]
	v_ashrrev_i32_e32 v5, 31, v5
	v_xor_b32_e32 v21, vcc_hi, v5
	v_xor_b32_e32 v5, vcc_lo, v5
	v_and_b32_e32 v3, v3, v21
	v_lshlrev_b32_e32 v21, 28, v2
	v_and_b32_e32 v4, v4, v5
	v_not_b32_e32 v5, v21
	v_cmp_gt_i64_e32 vcc, 0, v[20:21]
	v_ashrrev_i32_e32 v5, 31, v5
	v_xor_b32_e32 v21, vcc_hi, v5
	;; [unrolled: 8-line block ×5, first 2 shown]
	v_and_b32_e32 v3, v3, v21
	v_lshlrev_b32_e32 v21, 24, v2
	v_not_b32_e32 v2, v21
	v_xor_b32_e32 v5, vcc_lo, v5
	v_cmp_gt_i64_e32 vcc, 0, v[20:21]
	v_ashrrev_i32_e32 v2, 31, v2
	v_and_b32_e32 v4, v4, v5
	v_xor_b32_e32 v5, vcc_hi, v2
	v_xor_b32_e32 v2, vcc_lo, v2
	v_and_b32_e32 v2, v4, v2
	v_and_b32_e32 v3, v3, v5
	v_mbcnt_lo_u32_b32 v4, v2, 0
	v_mbcnt_hi_u32_b32 v120, v3, v4
	v_cmp_eq_u32_e32 vcc, 0, v120
	v_cmp_ne_u64_e64 s[36:37], 0, v[2:3]
	s_and_b64 s[38:39], s[36:37], vcc
	; wave barrier
	s_and_saveexec_b64 s[36:37], s[38:39]
	s_cbranch_execz .LBB1458_99
; %bb.98:                               ;   in Loop: Header=BB1458_71 Depth=2
	v_bcnt_u32_b32 v2, v2, 0
	v_bcnt_u32_b32 v2, v3, v2
	s_waitcnt lgkmcnt(0)
	v_add_u32_e32 v2, v119, v2
	ds_write_b32 v8, v2
.LBB1458_99:                            ;   in Loop: Header=BB1458_71 Depth=2
	s_or_b64 exec, exec, s[36:37]
	v_cmp_lt_i32_e32 vcc, -1, v9
	v_cndmask_b32_e32 v2, -1, v73, vcc
	v_xor_b32_e32 v121, v2, v9
	v_cmp_ne_u32_e32 vcc, s64, v121
	v_cndmask_b32_e32 v2, v73, v121, vcc
	v_lshrrev_b32_e32 v2, s76, v2
	v_and_b32_e32 v2, s85, v2
	v_mul_u32_u24_e32 v3, 5, v2
	v_add_lshl_u32 v3, v3, v98, 2
	; wave barrier
	v_add_u32_e32 v9, 0x410, v3
	ds_read_b32 v122, v3 offset:1040
	v_and_b32_e32 v3, 1, v2
	v_add_co_u32_e32 v4, vcc, -1, v3
	v_addc_co_u32_e64 v5, s[36:37], 0, -1, vcc
	v_cmp_ne_u32_e32 vcc, 0, v3
	v_lshlrev_b32_e32 v21, 30, v2
	v_xor_b32_e32 v3, vcc_hi, v5
	v_not_b32_e32 v5, v21
	v_xor_b32_e32 v4, vcc_lo, v4
	v_cmp_gt_i64_e32 vcc, 0, v[20:21]
	v_ashrrev_i32_e32 v5, 31, v5
	v_and_b32_e32 v3, exec_hi, v3
	v_xor_b32_e32 v21, vcc_hi, v5
	v_and_b32_e32 v4, exec_lo, v4
	v_xor_b32_e32 v5, vcc_lo, v5
	v_and_b32_e32 v3, v3, v21
	v_lshlrev_b32_e32 v21, 29, v2
	v_and_b32_e32 v4, v4, v5
	v_not_b32_e32 v5, v21
	v_cmp_gt_i64_e32 vcc, 0, v[20:21]
	v_ashrrev_i32_e32 v5, 31, v5
	v_xor_b32_e32 v21, vcc_hi, v5
	v_xor_b32_e32 v5, vcc_lo, v5
	v_and_b32_e32 v3, v3, v21
	v_lshlrev_b32_e32 v21, 28, v2
	v_and_b32_e32 v4, v4, v5
	v_not_b32_e32 v5, v21
	v_cmp_gt_i64_e32 vcc, 0, v[20:21]
	v_ashrrev_i32_e32 v5, 31, v5
	v_xor_b32_e32 v21, vcc_hi, v5
	;; [unrolled: 8-line block ×5, first 2 shown]
	v_and_b32_e32 v3, v3, v21
	v_lshlrev_b32_e32 v21, 24, v2
	v_not_b32_e32 v2, v21
	v_xor_b32_e32 v5, vcc_lo, v5
	v_cmp_gt_i64_e32 vcc, 0, v[20:21]
	v_ashrrev_i32_e32 v2, 31, v2
	v_and_b32_e32 v4, v4, v5
	v_xor_b32_e32 v5, vcc_hi, v2
	v_xor_b32_e32 v2, vcc_lo, v2
	v_and_b32_e32 v2, v4, v2
	v_and_b32_e32 v3, v3, v5
	v_mbcnt_lo_u32_b32 v4, v2, 0
	v_mbcnt_hi_u32_b32 v123, v3, v4
	v_cmp_eq_u32_e32 vcc, 0, v123
	v_cmp_ne_u64_e64 s[36:37], 0, v[2:3]
	s_and_b64 s[38:39], s[36:37], vcc
	; wave barrier
	s_and_saveexec_b64 s[36:37], s[38:39]
	s_cbranch_execz .LBB1458_101
; %bb.100:                              ;   in Loop: Header=BB1458_71 Depth=2
	v_bcnt_u32_b32 v2, v2, 0
	v_bcnt_u32_b32 v2, v3, v2
	s_waitcnt lgkmcnt(0)
	v_add_u32_e32 v2, v122, v2
	ds_write_b32 v9, v2
.LBB1458_101:                           ;   in Loop: Header=BB1458_71 Depth=2
	s_or_b64 exec, exec, s[36:37]
	; wave barrier
	s_waitcnt lgkmcnt(0)
	s_barrier
	ds_read_b32 v21, v50 offset:1040
	ds_read2_b32 v[4:5], v52 offset0:1 offset1:2
	ds_read2_b32 v[2:3], v52 offset0:3 offset1:4
	s_waitcnt lgkmcnt(1)
	v_add3_u32 v124, v4, v21, v5
	s_waitcnt lgkmcnt(0)
	v_add3_u32 v3, v124, v2, v3
	s_nop 1
	v_mov_b32_dpp v124, v3 row_shr:1 row_mask:0xf bank_mask:0xf
	v_cndmask_b32_e64 v124, v124, 0, s[16:17]
	v_add_u32_e32 v3, v124, v3
	s_nop 1
	v_mov_b32_dpp v124, v3 row_shr:2 row_mask:0xf bank_mask:0xf
	v_cndmask_b32_e64 v124, 0, v124, s[18:19]
	v_add_u32_e32 v3, v3, v124
	;; [unrolled: 4-line block ×4, first 2 shown]
	s_nop 1
	v_mov_b32_dpp v124, v3 row_bcast:15 row_mask:0xf bank_mask:0xf
	v_cndmask_b32_e64 v124, v124, 0, s[24:25]
	v_add_u32_e32 v3, v3, v124
	s_nop 1
	v_mov_b32_dpp v124, v3 row_bcast:31 row_mask:0xf bank_mask:0xf
	v_cndmask_b32_e64 v124, 0, v124, s[26:27]
	v_add_u32_e32 v3, v3, v124
	s_and_saveexec_b64 s[36:37], s[6:7]
	s_cbranch_execz .LBB1458_103
; %bb.102:                              ;   in Loop: Header=BB1458_71 Depth=2
	ds_write_b32 v43, v3 offset:1024
.LBB1458_103:                           ;   in Loop: Header=BB1458_71 Depth=2
	s_or_b64 exec, exec, s[36:37]
	s_waitcnt lgkmcnt(0)
	s_barrier
	s_and_saveexec_b64 s[36:37], s[8:9]
	s_cbranch_execz .LBB1458_105
; %bb.104:                              ;   in Loop: Header=BB1458_71 Depth=2
	ds_read_b32 v124, v53 offset:1024
	s_waitcnt lgkmcnt(0)
	s_nop 0
	v_mov_b32_dpp v125, v124 row_shr:1 row_mask:0xf bank_mask:0xf
	v_cndmask_b32_e64 v125, v125, 0, s[30:31]
	v_add_u32_e32 v124, v125, v124
	s_nop 1
	v_mov_b32_dpp v125, v124 row_shr:2 row_mask:0xf bank_mask:0xf
	v_cndmask_b32_e64 v125, 0, v125, s[34:35]
	v_add_u32_e32 v124, v124, v125
	ds_write_b32 v53, v124 offset:1024
.LBB1458_105:                           ;   in Loop: Header=BB1458_71 Depth=2
	s_or_b64 exec, exec, s[36:37]
	v_mov_b32_e32 v124, 0
	s_waitcnt lgkmcnt(0)
	s_barrier
	s_and_saveexec_b64 s[36:37], s[10:11]
	s_cbranch_execz .LBB1458_107
; %bb.106:                              ;   in Loop: Header=BB1458_71 Depth=2
	ds_read_b32 v124, v43 offset:1020
.LBB1458_107:                           ;   in Loop: Header=BB1458_71 Depth=2
	s_or_b64 exec, exec, s[36:37]
	s_waitcnt lgkmcnt(0)
	v_add_u32_e32 v3, v124, v3
	ds_bpermute_b32 v3, v75, v3
	s_waitcnt lgkmcnt(0)
	v_cndmask_b32_e64 v3, v3, v124, s[28:29]
	v_cndmask_b32_e64 v3, v3, 0, s[12:13]
	v_add_u32_e32 v21, v3, v21
	ds_write_b32 v50, v3 offset:1040
	v_add_u32_e32 v3, v21, v4
	v_add_u32_e32 v4, v3, v5
	v_add_u32_e32 v2, v4, v2
	ds_write2_b32 v52, v21, v3 offset0:1 offset1:2
	ds_write2_b32 v52, v4, v2 offset0:3 offset1:4
	s_waitcnt lgkmcnt(0)
	s_barrier
	ds_read_b32 v2, v102
	ds_read_b32 v3, v106
	;; [unrolled: 1-line block ×8, first 2 shown]
	ds_read_b32 v9, v50 offset:1040
	v_mov_b32_e32 v4, 0x800
	s_and_saveexec_b64 s[36:37], s[14:15]
	s_cbranch_execz .LBB1458_109
; %bb.108:                              ;   in Loop: Header=BB1458_71 Depth=2
	ds_read_b32 v4, v50 offset:1060
.LBB1458_109:                           ;   in Loop: Header=BB1458_71 Depth=2
	s_or_b64 exec, exec, s[36:37]
	s_waitcnt lgkmcnt(0)
	s_barrier
	s_and_saveexec_b64 s[36:37], s[4:5]
	s_cbranch_execz .LBB1458_111
; %bb.110:                              ;   in Loop: Header=BB1458_71 Depth=2
	ds_read_b32 v21, v19
	s_waitcnt lgkmcnt(0)
	v_sub_u32_e32 v9, v21, v9
	ds_write_b32 v19, v9
.LBB1458_111:                           ;   in Loop: Header=BB1458_71 Depth=2
	s_or_b64 exec, exec, s[36:37]
	v_add_u32_e32 v100, v8, v101
	v_add3_u32 v39, v103, v39, v2
	v_lshlrev_b32_e32 v2, 2, v100
	v_add3_u32 v21, v107, v105, v3
	ds_write_b32 v2, v99 offset:1024
	v_lshlrev_b32_e32 v2, 2, v39
	v_add3_u32 v9, v111, v109, v5
	ds_write_b32 v2, v38 offset:1024
	;; [unrolled: 3-line block ×6, first 2 shown]
	v_lshlrev_b32_e32 v2, 2, v6
	ds_write_b32 v2, v118 offset:1024
	v_lshlrev_b32_e32 v2, 2, v5
	v_cmp_lt_u32_e32 vcc, v18, v0
	ds_write_b32 v2, v121 offset:1024
	s_waitcnt lgkmcnt(0)
	s_barrier
	s_and_saveexec_b64 s[38:39], vcc
	s_cbranch_execz .LBB1458_119
; %bb.112:                              ;   in Loop: Header=BB1458_71 Depth=2
	ds_read_b32 v2, v53 offset:1024
	v_mov_b32_e32 v3, v20
	v_mov_b32_e32 v99, s59
	s_waitcnt lgkmcnt(0)
	v_cmp_ne_u32_e64 s[36:37], s64, v2
	v_cndmask_b32_e64 v38, v73, v2, s[36:37]
	v_lshrrev_b32_e32 v38, s76, v38
	v_and_b32_e32 v38, s85, v38
	v_lshlrev_b32_e32 v38, 2, v38
	ds_read_b32 v38, v38
	v_cmp_lt_i32_e64 s[36:37], -1, v2
	v_cndmask_b32_e64 v101, v73, -1, s[36:37]
	v_xor_b32_e32 v101, v101, v2
	s_waitcnt lgkmcnt(0)
	v_add_u32_e32 v2, v38, v18
	v_lshlrev_b64 v[2:3], 2, v[2:3]
	v_add_co_u32_e64 v2, s[36:37], s58, v2
	v_addc_co_u32_e64 v3, s[36:37], v99, v3, s[36:37]
	global_store_dword v[2:3], v101, off
	s_or_b64 exec, exec, s[38:39]
	v_cmp_lt_u32_e64 s[36:37], v23, v0
	s_and_saveexec_b64 s[40:41], s[36:37]
	s_cbranch_execnz .LBB1458_120
.LBB1458_113:                           ;   in Loop: Header=BB1458_71 Depth=2
	s_or_b64 exec, exec, s[40:41]
	v_cmp_lt_u32_e64 s[38:39], v25, v0
	s_and_saveexec_b64 s[42:43], s[38:39]
	s_cbranch_execz .LBB1458_121
.LBB1458_114:                           ;   in Loop: Header=BB1458_71 Depth=2
	ds_read_b32 v2, v58 offset:2048
	v_mov_b32_e32 v3, v20
	v_mov_b32_e32 v99, s59
	s_waitcnt lgkmcnt(0)
	v_cmp_ne_u32_e64 s[40:41], s64, v2
	v_cndmask_b32_e64 v38, v73, v2, s[40:41]
	v_lshrrev_b32_e32 v38, s76, v38
	v_and_b32_e32 v38, s85, v38
	v_lshlrev_b32_e32 v38, 2, v38
	ds_read_b32 v38, v38
	v_cmp_lt_i32_e64 s[40:41], -1, v2
	v_cndmask_b32_e64 v101, v73, -1, s[40:41]
	v_xor_b32_e32 v101, v101, v2
	s_waitcnt lgkmcnt(0)
	v_add_u32_e32 v2, v38, v25
	v_lshlrev_b64 v[2:3], 2, v[2:3]
	v_add_co_u32_e64 v2, s[40:41], s58, v2
	v_addc_co_u32_e64 v3, s[40:41], v99, v3, s[40:41]
	global_store_dword v[2:3], v101, off
	s_or_b64 exec, exec, s[42:43]
	v_cmp_lt_u32_e64 s[40:41], v27, v0
	s_and_saveexec_b64 s[44:45], s[40:41]
	s_cbranch_execnz .LBB1458_122
.LBB1458_115:                           ;   in Loop: Header=BB1458_71 Depth=2
	s_or_b64 exec, exec, s[44:45]
	v_cmp_lt_u32_e64 s[42:43], v22, v0
	s_and_saveexec_b64 s[46:47], s[42:43]
	s_cbranch_execz .LBB1458_123
.LBB1458_116:                           ;   in Loop: Header=BB1458_71 Depth=2
	ds_read_b32 v2, v58 offset:4096
	v_mov_b32_e32 v3, v20
	v_mov_b32_e32 v99, s59
	s_waitcnt lgkmcnt(0)
	v_cmp_ne_u32_e64 s[44:45], s64, v2
	v_cndmask_b32_e64 v38, v73, v2, s[44:45]
	v_lshrrev_b32_e32 v38, s76, v38
	v_and_b32_e32 v38, s85, v38
	v_lshlrev_b32_e32 v38, 2, v38
	ds_read_b32 v38, v38
	v_cmp_lt_i32_e64 s[44:45], -1, v2
	v_cndmask_b32_e64 v101, v73, -1, s[44:45]
	v_xor_b32_e32 v101, v101, v2
	s_waitcnt lgkmcnt(0)
	v_add_u32_e32 v2, v38, v22
	v_lshlrev_b64 v[2:3], 2, v[2:3]
	v_add_co_u32_e64 v2, s[44:45], s58, v2
	v_addc_co_u32_e64 v3, s[44:45], v99, v3, s[44:45]
	global_store_dword v[2:3], v101, off
	s_or_b64 exec, exec, s[46:47]
	v_cmp_lt_u32_e64 s[44:45], v24, v0
	s_and_saveexec_b64 s[48:49], s[44:45]
	s_cbranch_execnz .LBB1458_124
.LBB1458_117:                           ;   in Loop: Header=BB1458_71 Depth=2
	s_or_b64 exec, exec, s[48:49]
	v_cmp_lt_u32_e64 s[46:47], v26, v0
	s_and_saveexec_b64 s[52:53], s[46:47]
	s_cbranch_execz .LBB1458_125
.LBB1458_118:                           ;   in Loop: Header=BB1458_71 Depth=2
	ds_read_b32 v2, v58 offset:6144
	v_mov_b32_e32 v3, v20
	v_mov_b32_e32 v99, s59
	s_waitcnt lgkmcnt(0)
	v_cmp_ne_u32_e64 s[48:49], s64, v2
	v_cndmask_b32_e64 v38, v73, v2, s[48:49]
	v_lshrrev_b32_e32 v38, s76, v38
	v_and_b32_e32 v38, s85, v38
	v_lshlrev_b32_e32 v38, 2, v38
	ds_read_b32 v38, v38
	v_cmp_lt_i32_e64 s[48:49], -1, v2
	v_cndmask_b32_e64 v101, v73, -1, s[48:49]
	v_xor_b32_e32 v101, v101, v2
	s_waitcnt lgkmcnt(0)
	v_add_u32_e32 v2, v38, v26
	v_lshlrev_b64 v[2:3], 2, v[2:3]
	v_add_co_u32_e64 v2, s[48:49], s58, v2
	v_addc_co_u32_e64 v3, s[48:49], v99, v3, s[48:49]
	global_store_dword v[2:3], v101, off
	s_or_b64 exec, exec, s[52:53]
	v_cmp_lt_u32_e64 s[48:49], v28, v0
	s_and_saveexec_b64 s[62:63], s[48:49]
	s_cbranch_execnz .LBB1458_126
	s_branch .LBB1458_127
.LBB1458_119:                           ;   in Loop: Header=BB1458_71 Depth=2
	s_or_b64 exec, exec, s[38:39]
	v_cmp_lt_u32_e64 s[36:37], v23, v0
	s_and_saveexec_b64 s[40:41], s[36:37]
	s_cbranch_execz .LBB1458_113
.LBB1458_120:                           ;   in Loop: Header=BB1458_71 Depth=2
	ds_read_b32 v2, v58 offset:1024
	v_mov_b32_e32 v3, v20
	v_mov_b32_e32 v99, s59
	s_waitcnt lgkmcnt(0)
	v_cmp_ne_u32_e64 s[38:39], s64, v2
	v_cndmask_b32_e64 v38, v73, v2, s[38:39]
	v_lshrrev_b32_e32 v38, s76, v38
	v_and_b32_e32 v38, s85, v38
	v_lshlrev_b32_e32 v38, 2, v38
	ds_read_b32 v38, v38
	v_cmp_lt_i32_e64 s[38:39], -1, v2
	v_cndmask_b32_e64 v101, v73, -1, s[38:39]
	v_xor_b32_e32 v101, v101, v2
	s_waitcnt lgkmcnt(0)
	v_add_u32_e32 v2, v38, v23
	v_lshlrev_b64 v[2:3], 2, v[2:3]
	v_add_co_u32_e64 v2, s[38:39], s58, v2
	v_addc_co_u32_e64 v3, s[38:39], v99, v3, s[38:39]
	global_store_dword v[2:3], v101, off
	s_or_b64 exec, exec, s[40:41]
	v_cmp_lt_u32_e64 s[38:39], v25, v0
	s_and_saveexec_b64 s[42:43], s[38:39]
	s_cbranch_execnz .LBB1458_114
.LBB1458_121:                           ;   in Loop: Header=BB1458_71 Depth=2
	s_or_b64 exec, exec, s[42:43]
	v_cmp_lt_u32_e64 s[40:41], v27, v0
	s_and_saveexec_b64 s[44:45], s[40:41]
	s_cbranch_execz .LBB1458_115
.LBB1458_122:                           ;   in Loop: Header=BB1458_71 Depth=2
	ds_read_b32 v2, v58 offset:3072
	v_mov_b32_e32 v3, v20
	v_mov_b32_e32 v99, s59
	s_waitcnt lgkmcnt(0)
	v_cmp_ne_u32_e64 s[42:43], s64, v2
	v_cndmask_b32_e64 v38, v73, v2, s[42:43]
	v_lshrrev_b32_e32 v38, s76, v38
	v_and_b32_e32 v38, s85, v38
	v_lshlrev_b32_e32 v38, 2, v38
	ds_read_b32 v38, v38
	v_cmp_lt_i32_e64 s[42:43], -1, v2
	v_cndmask_b32_e64 v101, v73, -1, s[42:43]
	v_xor_b32_e32 v101, v101, v2
	s_waitcnt lgkmcnt(0)
	v_add_u32_e32 v2, v38, v27
	v_lshlrev_b64 v[2:3], 2, v[2:3]
	v_add_co_u32_e64 v2, s[42:43], s58, v2
	v_addc_co_u32_e64 v3, s[42:43], v99, v3, s[42:43]
	global_store_dword v[2:3], v101, off
	s_or_b64 exec, exec, s[44:45]
	v_cmp_lt_u32_e64 s[42:43], v22, v0
	s_and_saveexec_b64 s[46:47], s[42:43]
	s_cbranch_execnz .LBB1458_116
.LBB1458_123:                           ;   in Loop: Header=BB1458_71 Depth=2
	s_or_b64 exec, exec, s[46:47]
	v_cmp_lt_u32_e64 s[44:45], v24, v0
	s_and_saveexec_b64 s[48:49], s[44:45]
	s_cbranch_execz .LBB1458_117
.LBB1458_124:                           ;   in Loop: Header=BB1458_71 Depth=2
	ds_read_b32 v2, v58 offset:5120
	v_mov_b32_e32 v3, v20
	v_mov_b32_e32 v99, s59
	s_waitcnt lgkmcnt(0)
	v_cmp_ne_u32_e64 s[46:47], s64, v2
	v_cndmask_b32_e64 v38, v73, v2, s[46:47]
	v_lshrrev_b32_e32 v38, s76, v38
	v_and_b32_e32 v38, s85, v38
	v_lshlrev_b32_e32 v38, 2, v38
	ds_read_b32 v38, v38
	v_cmp_lt_i32_e64 s[46:47], -1, v2
	v_cndmask_b32_e64 v101, v73, -1, s[46:47]
	v_xor_b32_e32 v101, v101, v2
	s_waitcnt lgkmcnt(0)
	v_add_u32_e32 v2, v38, v24
	v_lshlrev_b64 v[2:3], 2, v[2:3]
	v_add_co_u32_e64 v2, s[46:47], s58, v2
	v_addc_co_u32_e64 v3, s[46:47], v99, v3, s[46:47]
	global_store_dword v[2:3], v101, off
	s_or_b64 exec, exec, s[48:49]
	v_cmp_lt_u32_e64 s[46:47], v26, v0
	s_and_saveexec_b64 s[52:53], s[46:47]
	s_cbranch_execnz .LBB1458_118
.LBB1458_125:                           ;   in Loop: Header=BB1458_71 Depth=2
	s_or_b64 exec, exec, s[52:53]
	v_cmp_lt_u32_e64 s[48:49], v28, v0
	s_and_saveexec_b64 s[62:63], s[48:49]
	s_cbranch_execz .LBB1458_127
.LBB1458_126:                           ;   in Loop: Header=BB1458_71 Depth=2
	ds_read_b32 v2, v58 offset:7168
	v_mov_b32_e32 v3, v20
	v_mov_b32_e32 v99, s59
	s_waitcnt lgkmcnt(0)
	v_cmp_ne_u32_e64 s[52:53], s64, v2
	v_cndmask_b32_e64 v38, v73, v2, s[52:53]
	v_lshrrev_b32_e32 v38, s76, v38
	v_and_b32_e32 v38, s85, v38
	v_lshlrev_b32_e32 v38, 2, v38
	ds_read_b32 v38, v38
	v_cmp_lt_i32_e64 s[52:53], -1, v2
	v_cndmask_b32_e64 v101, v73, -1, s[52:53]
	v_xor_b32_e32 v101, v101, v2
	s_waitcnt lgkmcnt(0)
	v_add_u32_e32 v2, v38, v28
	v_lshlrev_b64 v[2:3], 2, v[2:3]
	v_add_co_u32_e64 v2, s[52:53], s58, v2
	v_addc_co_u32_e64 v3, s[52:53], v99, v3, s[52:53]
	global_store_dword v[2:3], v101, off
.LBB1458_127:                           ;   in Loop: Header=BB1458_71 Depth=2
	s_or_b64 exec, exec, s[62:63]
	s_lshl_b64 s[52:53], s[80:81], 3
	v_mov_b32_e32 v3, s53
	v_add_co_u32_e64 v2, s[52:53], s52, v83
	v_addc_co_u32_e64 v3, s[52:53], v85, v3, s[52:53]
	v_cmp_lt_u32_e64 s[52:53], v80, v0
	s_and_saveexec_b64 s[62:63], s[52:53]
	s_xor_b64 s[52:53], exec, s[62:63]
	s_cbranch_execz .LBB1458_143
; %bb.128:                              ;   in Loop: Header=BB1458_71 Depth=2
	global_load_dwordx2 v[36:37], v[2:3], off
	s_or_b64 exec, exec, s[52:53]
	v_cmp_lt_u32_e64 s[52:53], v87, v0
	s_and_saveexec_b64 s[62:63], s[52:53]
	s_cbranch_execnz .LBB1458_144
.LBB1458_129:                           ;   in Loop: Header=BB1458_71 Depth=2
	s_or_b64 exec, exec, s[62:63]
	v_cmp_lt_u32_e64 s[52:53], v88, v0
	s_and_saveexec_b64 s[62:63], s[52:53]
	s_cbranch_execz .LBB1458_145
.LBB1458_130:                           ;   in Loop: Header=BB1458_71 Depth=2
	global_load_dwordx2 v[32:33], v[2:3], off offset:1024
	s_or_b64 exec, exec, s[62:63]
	v_cmp_lt_u32_e64 s[52:53], v89, v0
	s_and_saveexec_b64 s[62:63], s[52:53]
	s_cbranch_execnz .LBB1458_146
.LBB1458_131:                           ;   in Loop: Header=BB1458_71 Depth=2
	s_or_b64 exec, exec, s[62:63]
	v_cmp_lt_u32_e64 s[52:53], v90, v0
	s_and_saveexec_b64 s[62:63], s[52:53]
	s_cbranch_execz .LBB1458_147
.LBB1458_132:                           ;   in Loop: Header=BB1458_71 Depth=2
	global_load_dwordx2 v[16:17], v[2:3], off offset:2048
	s_or_b64 exec, exec, s[62:63]
	v_cmp_lt_u32_e64 s[52:53], v91, v0
	s_and_saveexec_b64 s[62:63], s[52:53]
	s_cbranch_execnz .LBB1458_148
.LBB1458_133:                           ;   in Loop: Header=BB1458_71 Depth=2
	s_or_b64 exec, exec, s[62:63]
	v_cmp_lt_u32_e64 s[52:53], v92, v0
	s_and_saveexec_b64 s[62:63], s[52:53]
	s_cbranch_execz .LBB1458_149
.LBB1458_134:                           ;   in Loop: Header=BB1458_71 Depth=2
	global_load_dwordx2 v[12:13], v[2:3], off offset:3072
	s_or_b64 exec, exec, s[62:63]
	v_cmp_lt_u32_e64 s[52:53], v93, v0
	s_and_saveexec_b64 s[62:63], s[52:53]
	s_cbranch_execnz .LBB1458_150
.LBB1458_135:                           ;   in Loop: Header=BB1458_71 Depth=2
	s_or_b64 exec, exec, s[62:63]
	s_and_saveexec_b64 s[62:63], vcc
	s_cbranch_execz .LBB1458_151
.LBB1458_136:                           ;   in Loop: Header=BB1458_71 Depth=2
	ds_read_b32 v0, v53 offset:1024
	s_waitcnt lgkmcnt(0)
	v_cmp_ne_u32_e64 s[52:53], s64, v0
	v_cndmask_b32_e64 v0, v73, v0, s[52:53]
	v_lshrrev_b32_e32 v0, s76, v0
	v_and_b32_e32 v86, s85, v0
	s_or_b64 exec, exec, s[62:63]
	s_and_saveexec_b64 s[62:63], s[36:37]
	s_cbranch_execnz .LBB1458_152
.LBB1458_137:                           ;   in Loop: Header=BB1458_71 Depth=2
	s_or_b64 exec, exec, s[62:63]
	s_and_saveexec_b64 s[62:63], s[38:39]
	s_cbranch_execz .LBB1458_153
.LBB1458_138:                           ;   in Loop: Header=BB1458_71 Depth=2
	ds_read_b32 v0, v58 offset:2048
	s_waitcnt lgkmcnt(0)
	v_cmp_ne_u32_e64 s[52:53], s64, v0
	v_cndmask_b32_e64 v0, v73, v0, s[52:53]
	v_lshrrev_b32_e32 v0, s76, v0
	v_and_b32_e32 v82, s85, v0
	s_or_b64 exec, exec, s[62:63]
	s_and_saveexec_b64 s[62:63], s[40:41]
	s_cbranch_execnz .LBB1458_154
.LBB1458_139:                           ;   in Loop: Header=BB1458_71 Depth=2
	s_or_b64 exec, exec, s[62:63]
	s_and_saveexec_b64 s[62:63], s[42:43]
	s_cbranch_execz .LBB1458_155
.LBB1458_140:                           ;   in Loop: Header=BB1458_71 Depth=2
	ds_read_b32 v0, v58 offset:4096
	s_waitcnt lgkmcnt(0)
	v_cmp_ne_u32_e64 s[52:53], s64, v0
	v_cndmask_b32_e64 v0, v73, v0, s[52:53]
	v_lshrrev_b32_e32 v0, s76, v0
	v_and_b32_e32 v79, s85, v0
	s_or_b64 exec, exec, s[62:63]
	s_and_saveexec_b64 s[62:63], s[44:45]
	s_cbranch_execnz .LBB1458_156
.LBB1458_141:                           ;   in Loop: Header=BB1458_71 Depth=2
	s_or_b64 exec, exec, s[62:63]
	s_and_saveexec_b64 s[62:63], s[46:47]
	s_cbranch_execz .LBB1458_157
.LBB1458_142:                           ;   in Loop: Header=BB1458_71 Depth=2
	ds_read_b32 v0, v58 offset:6144
	s_waitcnt lgkmcnt(0)
	v_cmp_ne_u32_e64 s[52:53], s64, v0
	v_cndmask_b32_e64 v0, v73, v0, s[52:53]
	v_lshrrev_b32_e32 v0, s76, v0
	v_and_b32_e32 v77, s85, v0
	s_or_b64 exec, exec, s[62:63]
	s_and_saveexec_b64 s[62:63], s[48:49]
	s_cbranch_execnz .LBB1458_158
	s_branch .LBB1458_159
.LBB1458_143:                           ;   in Loop: Header=BB1458_71 Depth=2
	s_or_b64 exec, exec, s[52:53]
	v_cmp_lt_u32_e64 s[52:53], v87, v0
	s_and_saveexec_b64 s[62:63], s[52:53]
	s_cbranch_execz .LBB1458_129
.LBB1458_144:                           ;   in Loop: Header=BB1458_71 Depth=2
	global_load_dwordx2 v[34:35], v[2:3], off offset:512
	s_or_b64 exec, exec, s[62:63]
	v_cmp_lt_u32_e64 s[52:53], v88, v0
	s_and_saveexec_b64 s[62:63], s[52:53]
	s_cbranch_execnz .LBB1458_130
.LBB1458_145:                           ;   in Loop: Header=BB1458_71 Depth=2
	s_or_b64 exec, exec, s[62:63]
	v_cmp_lt_u32_e64 s[52:53], v89, v0
	s_and_saveexec_b64 s[62:63], s[52:53]
	s_cbranch_execz .LBB1458_131
.LBB1458_146:                           ;   in Loop: Header=BB1458_71 Depth=2
	global_load_dwordx2 v[30:31], v[2:3], off offset:1536
	s_or_b64 exec, exec, s[62:63]
	v_cmp_lt_u32_e64 s[52:53], v90, v0
	s_and_saveexec_b64 s[62:63], s[52:53]
	s_cbranch_execnz .LBB1458_132
.LBB1458_147:                           ;   in Loop: Header=BB1458_71 Depth=2
	s_or_b64 exec, exec, s[62:63]
	v_cmp_lt_u32_e64 s[52:53], v91, v0
	s_and_saveexec_b64 s[62:63], s[52:53]
	s_cbranch_execz .LBB1458_133
.LBB1458_148:                           ;   in Loop: Header=BB1458_71 Depth=2
	global_load_dwordx2 v[14:15], v[2:3], off offset:2560
	s_or_b64 exec, exec, s[62:63]
	v_cmp_lt_u32_e64 s[52:53], v92, v0
	s_and_saveexec_b64 s[62:63], s[52:53]
	s_cbranch_execnz .LBB1458_134
.LBB1458_149:                           ;   in Loop: Header=BB1458_71 Depth=2
	s_or_b64 exec, exec, s[62:63]
	v_cmp_lt_u32_e64 s[52:53], v93, v0
	s_and_saveexec_b64 s[62:63], s[52:53]
	s_cbranch_execz .LBB1458_135
.LBB1458_150:                           ;   in Loop: Header=BB1458_71 Depth=2
	global_load_dwordx2 v[10:11], v[2:3], off offset:3584
	s_or_b64 exec, exec, s[62:63]
	s_and_saveexec_b64 s[62:63], vcc
	s_cbranch_execnz .LBB1458_136
.LBB1458_151:                           ;   in Loop: Header=BB1458_71 Depth=2
	s_or_b64 exec, exec, s[62:63]
	s_and_saveexec_b64 s[62:63], s[36:37]
	s_cbranch_execz .LBB1458_137
.LBB1458_152:                           ;   in Loop: Header=BB1458_71 Depth=2
	ds_read_b32 v0, v58 offset:1024
	s_waitcnt lgkmcnt(0)
	v_cmp_ne_u32_e64 s[52:53], s64, v0
	v_cndmask_b32_e64 v0, v73, v0, s[52:53]
	v_lshrrev_b32_e32 v0, s76, v0
	v_and_b32_e32 v84, s85, v0
	s_or_b64 exec, exec, s[62:63]
	s_and_saveexec_b64 s[62:63], s[38:39]
	s_cbranch_execnz .LBB1458_138
.LBB1458_153:                           ;   in Loop: Header=BB1458_71 Depth=2
	s_or_b64 exec, exec, s[62:63]
	s_and_saveexec_b64 s[62:63], s[40:41]
	s_cbranch_execz .LBB1458_139
.LBB1458_154:                           ;   in Loop: Header=BB1458_71 Depth=2
	ds_read_b32 v0, v58 offset:3072
	s_waitcnt lgkmcnt(0)
	v_cmp_ne_u32_e64 s[52:53], s64, v0
	v_cndmask_b32_e64 v0, v73, v0, s[52:53]
	v_lshrrev_b32_e32 v0, s76, v0
	v_and_b32_e32 v81, s85, v0
	s_or_b64 exec, exec, s[62:63]
	s_and_saveexec_b64 s[62:63], s[42:43]
	s_cbranch_execnz .LBB1458_140
.LBB1458_155:                           ;   in Loop: Header=BB1458_71 Depth=2
	s_or_b64 exec, exec, s[62:63]
	s_and_saveexec_b64 s[62:63], s[44:45]
	s_cbranch_execz .LBB1458_141
.LBB1458_156:                           ;   in Loop: Header=BB1458_71 Depth=2
	ds_read_b32 v0, v58 offset:5120
	s_waitcnt lgkmcnt(0)
	v_cmp_ne_u32_e64 s[52:53], s64, v0
	v_cndmask_b32_e64 v0, v73, v0, s[52:53]
	v_lshrrev_b32_e32 v0, s76, v0
	v_and_b32_e32 v78, s85, v0
	s_or_b64 exec, exec, s[62:63]
	s_and_saveexec_b64 s[62:63], s[46:47]
	s_cbranch_execnz .LBB1458_142
.LBB1458_157:                           ;   in Loop: Header=BB1458_71 Depth=2
	s_or_b64 exec, exec, s[62:63]
	s_and_saveexec_b64 s[62:63], s[48:49]
	s_cbranch_execz .LBB1458_159
.LBB1458_158:                           ;   in Loop: Header=BB1458_71 Depth=2
	ds_read_b32 v0, v58 offset:7168
	s_waitcnt lgkmcnt(0)
	v_cmp_ne_u32_e64 s[52:53], s64, v0
	v_cndmask_b32_e64 v0, v73, v0, s[52:53]
	v_lshrrev_b32_e32 v0, s76, v0
	v_and_b32_e32 v76, s85, v0
.LBB1458_159:                           ;   in Loop: Header=BB1458_71 Depth=2
	s_or_b64 exec, exec, s[62:63]
	v_lshlrev_b32_e32 v0, 3, v100
	s_barrier
	s_waitcnt vmcnt(0)
	ds_write_b64 v0, v[36:37] offset:1024
	v_lshlrev_b32_e32 v0, 3, v39
	ds_write_b64 v0, v[34:35] offset:1024
	v_lshlrev_b32_e32 v0, 3, v21
	ds_write_b64 v0, v[32:33] offset:1024
	v_lshlrev_b32_e32 v0, 3, v9
	ds_write_b64 v0, v[30:31] offset:1024
	v_lshlrev_b32_e32 v0, 3, v8
	ds_write_b64 v0, v[16:17] offset:1024
	v_lshlrev_b32_e32 v0, 3, v7
	ds_write_b64 v0, v[14:15] offset:1024
	v_lshlrev_b32_e32 v0, 3, v6
	ds_write_b64 v0, v[12:13] offset:1024
	v_lshlrev_b32_e32 v0, 3, v5
	ds_write_b64 v0, v[10:11] offset:1024
	s_waitcnt lgkmcnt(0)
	s_barrier
	s_and_saveexec_b64 s[52:53], vcc
	s_cbranch_execz .LBB1458_167
; %bb.160:                              ;   in Loop: Header=BB1458_71 Depth=2
	v_lshlrev_b32_e32 v0, 2, v86
	ds_read_b32 v0, v0
	v_add_u32_e32 v2, v53, v19
	ds_read_b64 v[2:3], v2 offset:1024
	v_mov_b32_e32 v7, v20
	v_mov_b32_e32 v5, s73
	s_waitcnt lgkmcnt(1)
	v_add_u32_e32 v6, v0, v18
	v_lshlrev_b64 v[6:7], 3, v[6:7]
	v_add_co_u32_e32 v6, vcc, s72, v6
	v_addc_co_u32_e32 v7, vcc, v5, v7, vcc
	s_waitcnt lgkmcnt(0)
	global_store_dwordx2 v[6:7], v[2:3], off
	s_or_b64 exec, exec, s[52:53]
	s_and_saveexec_b64 s[52:53], s[36:37]
	s_cbranch_execnz .LBB1458_168
.LBB1458_161:                           ;   in Loop: Header=BB1458_71 Depth=2
	s_or_b64 exec, exec, s[52:53]
	s_and_saveexec_b64 s[36:37], s[38:39]
	s_cbranch_execz .LBB1458_169
.LBB1458_162:                           ;   in Loop: Header=BB1458_71 Depth=2
	v_lshlrev_b32_e32 v0, 2, v82
	ds_read_b32 v0, v0
	v_add_u32_e32 v2, v58, v19
	ds_read_b64 v[2:3], v2 offset:4096
	v_mov_b32_e32 v7, v20
	v_mov_b32_e32 v5, s73
	s_waitcnt lgkmcnt(1)
	v_add_u32_e32 v6, v0, v25
	v_lshlrev_b64 v[6:7], 3, v[6:7]
	v_add_co_u32_e32 v6, vcc, s72, v6
	v_addc_co_u32_e32 v7, vcc, v5, v7, vcc
	s_waitcnt lgkmcnt(0)
	global_store_dwordx2 v[6:7], v[2:3], off
	s_or_b64 exec, exec, s[36:37]
	s_and_saveexec_b64 s[36:37], s[40:41]
	s_cbranch_execnz .LBB1458_170
.LBB1458_163:                           ;   in Loop: Header=BB1458_71 Depth=2
	s_or_b64 exec, exec, s[36:37]
	s_and_saveexec_b64 s[36:37], s[42:43]
	s_cbranch_execz .LBB1458_171
.LBB1458_164:                           ;   in Loop: Header=BB1458_71 Depth=2
	v_lshlrev_b32_e32 v0, 2, v79
	ds_read_b32 v0, v0
	v_add_u32_e32 v2, v58, v19
	ds_read_b64 v[2:3], v2 offset:8192
	v_mov_b32_e32 v7, v20
	v_mov_b32_e32 v5, s73
	s_waitcnt lgkmcnt(1)
	v_add_u32_e32 v6, v0, v22
	v_lshlrev_b64 v[6:7], 3, v[6:7]
	v_add_co_u32_e32 v6, vcc, s72, v6
	v_addc_co_u32_e32 v7, vcc, v5, v7, vcc
	s_waitcnt lgkmcnt(0)
	global_store_dwordx2 v[6:7], v[2:3], off
	s_or_b64 exec, exec, s[36:37]
	s_and_saveexec_b64 s[36:37], s[44:45]
	s_cbranch_execnz .LBB1458_172
.LBB1458_165:                           ;   in Loop: Header=BB1458_71 Depth=2
	s_or_b64 exec, exec, s[36:37]
	s_and_saveexec_b64 s[36:37], s[46:47]
	s_cbranch_execz .LBB1458_173
.LBB1458_166:                           ;   in Loop: Header=BB1458_71 Depth=2
	v_lshlrev_b32_e32 v0, 2, v77
	ds_read_b32 v0, v0
	v_add_u32_e32 v2, v58, v19
	ds_read_b64 v[2:3], v2 offset:12288
	v_mov_b32_e32 v7, v20
	v_mov_b32_e32 v5, s73
	s_waitcnt lgkmcnt(1)
	v_add_u32_e32 v6, v0, v26
	v_lshlrev_b64 v[6:7], 3, v[6:7]
	v_add_co_u32_e32 v6, vcc, s72, v6
	v_addc_co_u32_e32 v7, vcc, v5, v7, vcc
	s_waitcnt lgkmcnt(0)
	global_store_dwordx2 v[6:7], v[2:3], off
	s_or_b64 exec, exec, s[36:37]
	s_and_saveexec_b64 s[36:37], s[48:49]
	s_cbranch_execnz .LBB1458_174
	s_branch .LBB1458_175
.LBB1458_167:                           ;   in Loop: Header=BB1458_71 Depth=2
	s_or_b64 exec, exec, s[52:53]
	s_and_saveexec_b64 s[52:53], s[36:37]
	s_cbranch_execz .LBB1458_161
.LBB1458_168:                           ;   in Loop: Header=BB1458_71 Depth=2
	v_lshlrev_b32_e32 v0, 2, v84
	ds_read_b32 v0, v0
	v_add_u32_e32 v2, v58, v19
	ds_read_b64 v[2:3], v2 offset:2048
	v_mov_b32_e32 v7, v20
	v_mov_b32_e32 v5, s73
	s_waitcnt lgkmcnt(1)
	v_add_u32_e32 v6, v0, v23
	v_lshlrev_b64 v[6:7], 3, v[6:7]
	v_add_co_u32_e32 v6, vcc, s72, v6
	v_addc_co_u32_e32 v7, vcc, v5, v7, vcc
	s_waitcnt lgkmcnt(0)
	global_store_dwordx2 v[6:7], v[2:3], off
	s_or_b64 exec, exec, s[52:53]
	s_and_saveexec_b64 s[36:37], s[38:39]
	s_cbranch_execnz .LBB1458_162
.LBB1458_169:                           ;   in Loop: Header=BB1458_71 Depth=2
	s_or_b64 exec, exec, s[36:37]
	s_and_saveexec_b64 s[36:37], s[40:41]
	s_cbranch_execz .LBB1458_163
.LBB1458_170:                           ;   in Loop: Header=BB1458_71 Depth=2
	v_lshlrev_b32_e32 v0, 2, v81
	ds_read_b32 v0, v0
	v_add_u32_e32 v2, v58, v19
	ds_read_b64 v[2:3], v2 offset:6144
	v_mov_b32_e32 v7, v20
	v_mov_b32_e32 v5, s73
	s_waitcnt lgkmcnt(1)
	v_add_u32_e32 v6, v0, v27
	v_lshlrev_b64 v[6:7], 3, v[6:7]
	v_add_co_u32_e32 v6, vcc, s72, v6
	v_addc_co_u32_e32 v7, vcc, v5, v7, vcc
	s_waitcnt lgkmcnt(0)
	global_store_dwordx2 v[6:7], v[2:3], off
	s_or_b64 exec, exec, s[36:37]
	s_and_saveexec_b64 s[36:37], s[42:43]
	s_cbranch_execnz .LBB1458_164
.LBB1458_171:                           ;   in Loop: Header=BB1458_71 Depth=2
	s_or_b64 exec, exec, s[36:37]
	s_and_saveexec_b64 s[36:37], s[44:45]
	s_cbranch_execz .LBB1458_165
.LBB1458_172:                           ;   in Loop: Header=BB1458_71 Depth=2
	v_lshlrev_b32_e32 v0, 2, v78
	ds_read_b32 v0, v0
	v_add_u32_e32 v2, v58, v19
	ds_read_b64 v[2:3], v2 offset:10240
	v_mov_b32_e32 v7, v20
	v_mov_b32_e32 v5, s73
	s_waitcnt lgkmcnt(1)
	v_add_u32_e32 v6, v0, v24
	v_lshlrev_b64 v[6:7], 3, v[6:7]
	v_add_co_u32_e32 v6, vcc, s72, v6
	v_addc_co_u32_e32 v7, vcc, v5, v7, vcc
	s_waitcnt lgkmcnt(0)
	global_store_dwordx2 v[6:7], v[2:3], off
	s_or_b64 exec, exec, s[36:37]
	s_and_saveexec_b64 s[36:37], s[46:47]
	s_cbranch_execnz .LBB1458_166
.LBB1458_173:                           ;   in Loop: Header=BB1458_71 Depth=2
	s_or_b64 exec, exec, s[36:37]
	s_and_saveexec_b64 s[36:37], s[48:49]
	s_cbranch_execz .LBB1458_175
.LBB1458_174:                           ;   in Loop: Header=BB1458_71 Depth=2
	v_lshlrev_b32_e32 v0, 2, v76
	ds_read_b32 v0, v0
	v_add_u32_e32 v2, v58, v19
	ds_read_b64 v[2:3], v2 offset:14336
	v_mov_b32_e32 v7, v20
	v_mov_b32_e32 v5, s73
	s_waitcnt lgkmcnt(1)
	v_add_u32_e32 v6, v0, v28
	v_lshlrev_b64 v[6:7], 3, v[6:7]
	v_add_co_u32_e32 v6, vcc, s72, v6
	v_addc_co_u32_e32 v7, vcc, v5, v7, vcc
	s_waitcnt lgkmcnt(0)
	global_store_dwordx2 v[6:7], v[2:3], off
.LBB1458_175:                           ;   in Loop: Header=BB1458_71 Depth=2
	s_or_b64 exec, exec, s[36:37]
	s_barrier
	s_and_saveexec_b64 s[36:37], s[4:5]
	s_cbranch_execz .LBB1458_70
; %bb.176:                              ;   in Loop: Header=BB1458_71 Depth=2
	ds_read_b32 v0, v19
	s_waitcnt lgkmcnt(0)
	v_add_u32_e32 v0, v0, v4
	ds_write_b32 v19, v0
	s_branch .LBB1458_70
.LBB1458_177:                           ;   in Loop: Header=BB1458_71 Depth=2
	s_or_b64 exec, exec, s[36:37]
	v_cmp_gt_u32_e32 vcc, s86, v87
	s_and_saveexec_b64 s[36:37], vcc
	s_cbranch_execz .LBB1458_76
.LBB1458_178:                           ;   in Loop: Header=BB1458_71 Depth=2
	global_load_dword v3, v[38:39], off offset:256
	s_or_b64 exec, exec, s[36:37]
	v_cmp_gt_u32_e32 vcc, s86, v88
	s_and_saveexec_b64 s[36:37], vcc
	s_cbranch_execnz .LBB1458_77
.LBB1458_179:                           ;   in Loop: Header=BB1458_71 Depth=2
	s_or_b64 exec, exec, s[36:37]
	v_cmp_gt_u32_e32 vcc, s86, v89
	s_and_saveexec_b64 s[36:37], vcc
	s_cbranch_execz .LBB1458_78
.LBB1458_180:                           ;   in Loop: Header=BB1458_71 Depth=2
	global_load_dword v5, v[38:39], off offset:768
	s_or_b64 exec, exec, s[36:37]
	v_cmp_gt_u32_e32 vcc, s86, v90
	s_and_saveexec_b64 s[36:37], vcc
	s_cbranch_execnz .LBB1458_79
.LBB1458_181:                           ;   in Loop: Header=BB1458_71 Depth=2
	s_or_b64 exec, exec, s[36:37]
	v_cmp_gt_u32_e32 vcc, s86, v91
	s_and_saveexec_b64 s[36:37], vcc
	s_cbranch_execz .LBB1458_80
.LBB1458_182:                           ;   in Loop: Header=BB1458_71 Depth=2
	global_load_dword v7, v[38:39], off offset:1280
	s_or_b64 exec, exec, s[36:37]
	v_cmp_gt_u32_e32 vcc, s86, v92
	s_and_saveexec_b64 s[36:37], vcc
	s_cbranch_execnz .LBB1458_81
	s_branch .LBB1458_82
.LBB1458_183:                           ;   in Loop: Header=BB1458_17 Depth=1
	s_waitcnt lgkmcnt(0)
	s_barrier
	s_mov_b64 s[16:17], 0
.LBB1458_184:                           ;   in Loop: Header=BB1458_17 Depth=1
	s_and_b64 vcc, exec, s[16:17]
	s_cbranch_vccz .LBB1458_350
; %bb.185:                              ;   in Loop: Header=BB1458_17 Depth=1
	s_mov_b32 s22, s79
	s_mov_b32 s80, s51
	s_barrier
	s_waitcnt lgkmcnt(0)
                                        ; implicit-def: $vgpr2_vgpr3_vgpr4_vgpr5_vgpr6_vgpr7_vgpr8_vgpr9
	s_branch .LBB1458_187
.LBB1458_186:                           ;   in Loop: Header=BB1458_187 Depth=2
	s_or_b64 exec, exec, s[16:17]
	s_addk_i32 s22, 0xf800
	s_cmp_ge_u32 s23, s84
	s_mov_b32 s80, s23
	s_cbranch_scc1 .LBB1458_225
.LBB1458_187:                           ;   Parent Loop BB1458_17 Depth=1
                                        ; =>  This Inner Loop Header: Depth=2
	s_add_i32 s23, s80, 0x800
	s_cmp_gt_u32 s23, s84
	s_cbranch_scc1 .LBB1458_190
; %bb.188:                              ;   in Loop: Header=BB1458_187 Depth=2
	s_lshl_b64 s[16:17], s[80:81], 2
	v_mov_b32_e32 v0, s17
	v_add_co_u32_e32 v30, vcc, s16, v59
	v_addc_co_u32_e32 v31, vcc, v60, v0, vcc
	v_add_co_u32_e32 v32, vcc, 0x1000, v30
	v_addc_co_u32_e32 v33, vcc, 0, v31, vcc
	global_load_dword v10, v[30:31], off
	global_load_dword v11, v[30:31], off offset:1024
	global_load_dword v12, v[30:31], off offset:2048
	;; [unrolled: 1-line block ×3, first 2 shown]
	global_load_dword v14, v[32:33], off
	global_load_dword v15, v[32:33], off offset:1024
	global_load_dword v16, v[32:33], off offset:2048
	v_add_co_u32_e32 v30, vcc, 0x1c00, v30
	v_addc_co_u32_e32 v31, vcc, 0, v31, vcc
	s_mov_b64 s[16:17], -1
	s_movk_i32 s24, 0x800
	s_cbranch_execz .LBB1458_191
; %bb.189:                              ;   in Loop: Header=BB1458_187 Depth=2
                                        ; implicit-def: $vgpr2_vgpr3_vgpr4_vgpr5_vgpr6_vgpr7_vgpr8_vgpr9
	v_mov_b32_e32 v0, s22
	s_and_saveexec_b64 s[18:19], s[16:17]
	s_cbranch_execnz .LBB1458_202
	s_branch .LBB1458_203
.LBB1458_190:                           ;   in Loop: Header=BB1458_187 Depth=2
	s_mov_b64 s[16:17], 0
                                        ; implicit-def: $sgpr24
                                        ; implicit-def: $vgpr10_vgpr11_vgpr12_vgpr13_vgpr14_vgpr15_vgpr16_vgpr17
                                        ; implicit-def: $vgpr30_vgpr31
.LBB1458_191:                           ;   in Loop: Header=BB1458_187 Depth=2
	s_lshl_b64 s[18:19], s[80:81], 2
	s_add_u32 s18, s58, s18
	s_addc_u32 s19, s59, s19
	v_cmp_gt_u32_e32 vcc, s22, v18
	s_and_saveexec_b64 s[20:21], vcc
	s_cbranch_execz .LBB1458_219
; %bb.192:                              ;   in Loop: Header=BB1458_187 Depth=2
	global_load_dword v2, v72, s[18:19]
	s_or_b64 exec, exec, s[20:21]
	v_cmp_gt_u32_e32 vcc, s22, v23
	s_and_saveexec_b64 s[20:21], vcc
	s_cbranch_execnz .LBB1458_220
.LBB1458_193:                           ;   in Loop: Header=BB1458_187 Depth=2
	s_or_b64 exec, exec, s[20:21]
	v_cmp_gt_u32_e32 vcc, s22, v25
	s_and_saveexec_b64 s[20:21], vcc
	s_cbranch_execz .LBB1458_221
.LBB1458_194:                           ;   in Loop: Header=BB1458_187 Depth=2
	global_load_dword v4, v72, s[18:19] offset:2048
	s_or_b64 exec, exec, s[20:21]
	v_cmp_gt_u32_e32 vcc, s22, v27
	s_and_saveexec_b64 s[20:21], vcc
	s_cbranch_execnz .LBB1458_222
.LBB1458_195:                           ;   in Loop: Header=BB1458_187 Depth=2
	s_or_b64 exec, exec, s[20:21]
	v_cmp_gt_u32_e32 vcc, s22, v22
	s_and_saveexec_b64 s[20:21], vcc
	s_cbranch_execz .LBB1458_223
.LBB1458_196:                           ;   in Loop: Header=BB1458_187 Depth=2
	v_lshlrev_b32_e32 v0, 2, v22
	global_load_dword v6, v0, s[18:19]
	s_or_b64 exec, exec, s[20:21]
	v_cmp_gt_u32_e32 vcc, s22, v24
	s_and_saveexec_b64 s[20:21], vcc
	s_cbranch_execnz .LBB1458_224
.LBB1458_197:                           ;   in Loop: Header=BB1458_187 Depth=2
	s_or_b64 exec, exec, s[20:21]
	v_cmp_gt_u32_e32 vcc, s22, v26
	s_and_saveexec_b64 s[20:21], vcc
	s_cbranch_execz .LBB1458_199
.LBB1458_198:                           ;   in Loop: Header=BB1458_187 Depth=2
	v_lshlrev_b32_e32 v0, 2, v26
	global_load_dword v8, v0, s[18:19]
.LBB1458_199:                           ;   in Loop: Header=BB1458_187 Depth=2
	s_or_b64 exec, exec, s[20:21]
	v_cmp_gt_u32_e32 vcc, s22, v28
                                        ; implicit-def: $sgpr24
                                        ; implicit-def: $vgpr30_vgpr31
	s_and_saveexec_b64 s[20:21], vcc
	s_cbranch_execz .LBB1458_201
; %bb.200:                              ;   in Loop: Header=BB1458_187 Depth=2
	v_lshlrev_b32_e32 v0, 2, v28
	s_waitcnt vmcnt(6)
	v_mov_b32_e32 v10, s19
	v_add_co_u32_e32 v30, vcc, s18, v0
	s_sub_i32 s24, s84, s80
	v_addc_co_u32_e32 v31, vcc, 0, v10, vcc
	s_or_b64 s[16:17], s[16:17], exec
.LBB1458_201:                           ;   in Loop: Header=BB1458_187 Depth=2
	s_or_b64 exec, exec, s[20:21]
	s_waitcnt vmcnt(0)
	v_pk_mov_b32 v[16:17], v[8:9], v[8:9] op_sel:[0,1]
	v_pk_mov_b32 v[14:15], v[6:7], v[6:7] op_sel:[0,1]
	;; [unrolled: 1-line block ×4, first 2 shown]
	v_mov_b32_e32 v0, s22
	s_and_saveexec_b64 s[18:19], s[16:17]
	s_cbranch_execz .LBB1458_203
.LBB1458_202:                           ;   in Loop: Header=BB1458_187 Depth=2
	global_load_dword v17, v[30:31], off
	s_waitcnt vmcnt(0)
	v_pk_mov_b32 v[2:3], v[10:11], v[10:11] op_sel:[0,1]
	v_mov_b32_e32 v0, s24
	v_pk_mov_b32 v[4:5], v[12:13], v[12:13] op_sel:[0,1]
	v_pk_mov_b32 v[6:7], v[14:15], v[14:15] op_sel:[0,1]
	;; [unrolled: 1-line block ×3, first 2 shown]
.LBB1458_203:                           ;   in Loop: Header=BB1458_187 Depth=2
	s_or_b64 exec, exec, s[18:19]
	v_cmp_lt_u32_e32 vcc, v18, v0
	s_and_saveexec_b64 s[16:17], vcc
	s_cbranch_execz .LBB1458_211
; %bb.204:                              ;   in Loop: Header=BB1458_187 Depth=2
	v_cmp_lt_i32_e32 vcc, -1, v2
	s_waitcnt vmcnt(6)
	v_cndmask_b32_e32 v10, -1, v73, vcc
	v_xor_b32_e32 v10, v10, v2
	v_cmp_ne_u32_e32 vcc, s64, v10
	v_cndmask_b32_e32 v10, v73, v10, vcc
	v_lshrrev_b32_e32 v10, s76, v10
	v_and_b32_e32 v10, s85, v10
	s_waitcnt vmcnt(5)
	v_lshlrev_b32_e32 v11, 2, v29
	v_lshl_or_b32 v10, v10, 4, v11
	ds_add_u32 v10, v71
	s_or_b64 exec, exec, s[16:17]
	v_cmp_lt_u32_e32 vcc, v23, v0
	s_and_saveexec_b64 s[16:17], vcc
	s_cbranch_execnz .LBB1458_212
.LBB1458_205:                           ;   in Loop: Header=BB1458_187 Depth=2
	s_or_b64 exec, exec, s[16:17]
	v_cmp_lt_u32_e32 vcc, v25, v0
	s_and_saveexec_b64 s[16:17], vcc
	s_cbranch_execz .LBB1458_213
.LBB1458_206:                           ;   in Loop: Header=BB1458_187 Depth=2
	v_cmp_lt_i32_e32 vcc, -1, v4
	s_waitcnt vmcnt(6)
	v_cndmask_b32_e32 v10, -1, v73, vcc
	v_xor_b32_e32 v10, v10, v4
	v_cmp_ne_u32_e32 vcc, s64, v10
	v_cndmask_b32_e32 v10, v73, v10, vcc
	v_lshrrev_b32_e32 v10, s76, v10
	v_and_b32_e32 v10, s85, v10
	s_waitcnt vmcnt(5)
	v_lshlrev_b32_e32 v11, 2, v29
	v_lshl_or_b32 v10, v10, 4, v11
	ds_add_u32 v10, v71
	s_or_b64 exec, exec, s[16:17]
	v_cmp_lt_u32_e32 vcc, v27, v0
	s_and_saveexec_b64 s[16:17], vcc
	s_cbranch_execnz .LBB1458_214
.LBB1458_207:                           ;   in Loop: Header=BB1458_187 Depth=2
	s_or_b64 exec, exec, s[16:17]
	v_cmp_lt_u32_e32 vcc, v22, v0
	s_and_saveexec_b64 s[16:17], vcc
	s_cbranch_execz .LBB1458_215
.LBB1458_208:                           ;   in Loop: Header=BB1458_187 Depth=2
	v_cmp_lt_i32_e32 vcc, -1, v6
	s_waitcnt vmcnt(6)
	v_cndmask_b32_e32 v10, -1, v73, vcc
	v_xor_b32_e32 v10, v10, v6
	v_cmp_ne_u32_e32 vcc, s64, v10
	v_cndmask_b32_e32 v10, v73, v10, vcc
	v_lshrrev_b32_e32 v10, s76, v10
	v_and_b32_e32 v10, s85, v10
	s_waitcnt vmcnt(5)
	v_lshlrev_b32_e32 v11, 2, v29
	v_lshl_or_b32 v10, v10, 4, v11
	ds_add_u32 v10, v71
	s_or_b64 exec, exec, s[16:17]
	v_cmp_lt_u32_e32 vcc, v24, v0
	s_and_saveexec_b64 s[16:17], vcc
	s_cbranch_execnz .LBB1458_216
.LBB1458_209:                           ;   in Loop: Header=BB1458_187 Depth=2
	s_or_b64 exec, exec, s[16:17]
	v_cmp_lt_u32_e32 vcc, v26, v0
	s_and_saveexec_b64 s[16:17], vcc
	s_cbranch_execz .LBB1458_217
.LBB1458_210:                           ;   in Loop: Header=BB1458_187 Depth=2
	v_cmp_lt_i32_e32 vcc, -1, v8
	s_waitcnt vmcnt(6)
	v_cndmask_b32_e32 v10, -1, v73, vcc
	v_xor_b32_e32 v10, v10, v8
	v_cmp_ne_u32_e32 vcc, s64, v10
	v_cndmask_b32_e32 v10, v73, v10, vcc
	v_lshrrev_b32_e32 v10, s76, v10
	v_and_b32_e32 v10, s85, v10
	s_waitcnt vmcnt(5)
	v_lshlrev_b32_e32 v11, 2, v29
	v_lshl_or_b32 v10, v10, 4, v11
	ds_add_u32 v10, v71
	s_or_b64 exec, exec, s[16:17]
	v_cmp_lt_u32_e32 vcc, v28, v0
	s_and_saveexec_b64 s[16:17], vcc
	s_cbranch_execz .LBB1458_186
	s_branch .LBB1458_218
.LBB1458_211:                           ;   in Loop: Header=BB1458_187 Depth=2
	s_or_b64 exec, exec, s[16:17]
	v_cmp_lt_u32_e32 vcc, v23, v0
	s_and_saveexec_b64 s[16:17], vcc
	s_cbranch_execz .LBB1458_205
.LBB1458_212:                           ;   in Loop: Header=BB1458_187 Depth=2
	v_cmp_lt_i32_e32 vcc, -1, v3
	s_waitcnt vmcnt(6)
	v_cndmask_b32_e32 v10, -1, v73, vcc
	v_xor_b32_e32 v10, v10, v3
	v_cmp_ne_u32_e32 vcc, s64, v10
	v_cndmask_b32_e32 v10, v73, v10, vcc
	v_lshrrev_b32_e32 v10, s76, v10
	v_and_b32_e32 v10, s85, v10
	s_waitcnt vmcnt(5)
	v_lshlrev_b32_e32 v11, 2, v29
	v_lshl_or_b32 v10, v10, 4, v11
	ds_add_u32 v10, v71
	s_or_b64 exec, exec, s[16:17]
	v_cmp_lt_u32_e32 vcc, v25, v0
	s_and_saveexec_b64 s[16:17], vcc
	s_cbranch_execnz .LBB1458_206
.LBB1458_213:                           ;   in Loop: Header=BB1458_187 Depth=2
	s_or_b64 exec, exec, s[16:17]
	v_cmp_lt_u32_e32 vcc, v27, v0
	s_and_saveexec_b64 s[16:17], vcc
	s_cbranch_execz .LBB1458_207
.LBB1458_214:                           ;   in Loop: Header=BB1458_187 Depth=2
	v_cmp_lt_i32_e32 vcc, -1, v5
	s_waitcnt vmcnt(6)
	v_cndmask_b32_e32 v10, -1, v73, vcc
	v_xor_b32_e32 v10, v10, v5
	v_cmp_ne_u32_e32 vcc, s64, v10
	v_cndmask_b32_e32 v10, v73, v10, vcc
	v_lshrrev_b32_e32 v10, s76, v10
	v_and_b32_e32 v10, s85, v10
	s_waitcnt vmcnt(5)
	v_lshlrev_b32_e32 v11, 2, v29
	v_lshl_or_b32 v10, v10, 4, v11
	ds_add_u32 v10, v71
	s_or_b64 exec, exec, s[16:17]
	v_cmp_lt_u32_e32 vcc, v22, v0
	s_and_saveexec_b64 s[16:17], vcc
	s_cbranch_execnz .LBB1458_208
.LBB1458_215:                           ;   in Loop: Header=BB1458_187 Depth=2
	s_or_b64 exec, exec, s[16:17]
	v_cmp_lt_u32_e32 vcc, v24, v0
	s_and_saveexec_b64 s[16:17], vcc
	s_cbranch_execz .LBB1458_209
.LBB1458_216:                           ;   in Loop: Header=BB1458_187 Depth=2
	v_cmp_lt_i32_e32 vcc, -1, v7
	s_waitcnt vmcnt(6)
	v_cndmask_b32_e32 v10, -1, v73, vcc
	v_xor_b32_e32 v10, v10, v7
	v_cmp_ne_u32_e32 vcc, s64, v10
	v_cndmask_b32_e32 v10, v73, v10, vcc
	v_lshrrev_b32_e32 v10, s76, v10
	v_and_b32_e32 v10, s85, v10
	s_waitcnt vmcnt(5)
	v_lshlrev_b32_e32 v11, 2, v29
	v_lshl_or_b32 v10, v10, 4, v11
	ds_add_u32 v10, v71
	s_or_b64 exec, exec, s[16:17]
	v_cmp_lt_u32_e32 vcc, v26, v0
	s_and_saveexec_b64 s[16:17], vcc
	s_cbranch_execnz .LBB1458_210
.LBB1458_217:                           ;   in Loop: Header=BB1458_187 Depth=2
	s_or_b64 exec, exec, s[16:17]
	v_cmp_lt_u32_e32 vcc, v28, v0
	s_and_saveexec_b64 s[16:17], vcc
	s_cbranch_execz .LBB1458_186
.LBB1458_218:                           ;   in Loop: Header=BB1458_187 Depth=2
	v_cmp_lt_i32_e32 vcc, -1, v9
	v_cndmask_b32_e32 v0, -1, v73, vcc
	v_xor_b32_e32 v0, v0, v9
	v_cmp_ne_u32_e32 vcc, s64, v0
	v_cndmask_b32_e32 v0, v73, v0, vcc
	v_lshrrev_b32_e32 v0, s76, v0
	v_and_b32_e32 v0, s85, v0
	s_waitcnt vmcnt(6)
	v_lshlrev_b32_e32 v10, 2, v29
	v_lshl_or_b32 v0, v0, 4, v10
	ds_add_u32 v0, v71
	s_branch .LBB1458_186
.LBB1458_219:                           ;   in Loop: Header=BB1458_187 Depth=2
	s_or_b64 exec, exec, s[20:21]
	v_cmp_gt_u32_e32 vcc, s22, v23
	s_and_saveexec_b64 s[20:21], vcc
	s_cbranch_execz .LBB1458_193
.LBB1458_220:                           ;   in Loop: Header=BB1458_187 Depth=2
	global_load_dword v3, v72, s[18:19] offset:1024
	s_or_b64 exec, exec, s[20:21]
	v_cmp_gt_u32_e32 vcc, s22, v25
	s_and_saveexec_b64 s[20:21], vcc
	s_cbranch_execnz .LBB1458_194
.LBB1458_221:                           ;   in Loop: Header=BB1458_187 Depth=2
	s_or_b64 exec, exec, s[20:21]
	v_cmp_gt_u32_e32 vcc, s22, v27
	s_and_saveexec_b64 s[20:21], vcc
	s_cbranch_execz .LBB1458_195
.LBB1458_222:                           ;   in Loop: Header=BB1458_187 Depth=2
	global_load_dword v5, v72, s[18:19] offset:3072
	s_or_b64 exec, exec, s[20:21]
	v_cmp_gt_u32_e32 vcc, s22, v22
	s_and_saveexec_b64 s[20:21], vcc
	s_cbranch_execnz .LBB1458_196
.LBB1458_223:                           ;   in Loop: Header=BB1458_187 Depth=2
	s_or_b64 exec, exec, s[20:21]
	v_cmp_gt_u32_e32 vcc, s22, v24
	s_and_saveexec_b64 s[20:21], vcc
	s_cbranch_execz .LBB1458_197
.LBB1458_224:                           ;   in Loop: Header=BB1458_187 Depth=2
	v_lshlrev_b32_e32 v0, 2, v24
	global_load_dword v7, v0, s[18:19]
	s_or_b64 exec, exec, s[20:21]
	v_cmp_gt_u32_e32 vcc, s22, v26
	s_and_saveexec_b64 s[20:21], vcc
	s_cbranch_execz .LBB1458_199
	s_branch .LBB1458_198
.LBB1458_225:                           ;   in Loop: Header=BB1458_17 Depth=1
	v_mov_b32_e32 v0, 0
	s_waitcnt lgkmcnt(0)
	s_barrier
	s_and_saveexec_b64 s[16:17], s[4:5]
	s_cbranch_execz .LBB1458_227
; %bb.226:                              ;   in Loop: Header=BB1458_17 Depth=1
	ds_read2_b64 v[2:5], v42 offset1:1
	s_waitcnt lgkmcnt(0)
	v_add_u32_e32 v0, v3, v2
	v_add3_u32 v0, v0, v4, v5
.LBB1458_227:                           ;   in Loop: Header=BB1458_17 Depth=1
	s_or_b64 exec, exec, s[16:17]
	v_and_b32_e32 v2, 15, v74
	v_mov_b32_dpp v3, v0 row_shr:1 row_mask:0xf bank_mask:0xf
	v_cmp_eq_u32_e64 s[16:17], 0, v2
	v_cndmask_b32_e64 v3, v3, 0, s[16:17]
	v_add_u32_e32 v0, v3, v0
	v_cmp_lt_u32_e64 s[18:19], 1, v2
	v_cmp_lt_u32_e64 s[20:21], 3, v2
	v_mov_b32_dpp v3, v0 row_shr:2 row_mask:0xf bank_mask:0xf
	v_cndmask_b32_e64 v3, 0, v3, s[18:19]
	v_add_u32_e32 v0, v0, v3
	v_cmp_lt_u32_e64 s[22:23], 7, v2
	v_cmp_lt_u32_e64 s[26:27], 31, v74
	v_mov_b32_dpp v3, v0 row_shr:4 row_mask:0xf bank_mask:0xf
	v_cndmask_b32_e64 v3, 0, v3, s[20:21]
	v_add_u32_e32 v0, v0, v3
	v_and_b32_e32 v4, 16, v74
	v_cmp_eq_u32_e64 s[24:25], 0, v4
	v_mov_b32_dpp v3, v0 row_shr:8 row_mask:0xf bank_mask:0xf
	v_cndmask_b32_e64 v2, 0, v3, s[22:23]
	v_add_u32_e32 v0, v0, v2
	v_bfe_i32 v3, v74, 4, 1
	s_nop 0
	v_mov_b32_dpp v2, v0 row_bcast:15 row_mask:0xf bank_mask:0xf
	v_and_b32_e32 v2, v3, v2
	v_add_u32_e32 v0, v0, v2
	s_nop 1
	v_mov_b32_dpp v2, v0 row_bcast:31 row_mask:0xf bank_mask:0xf
	v_cndmask_b32_e64 v2, 0, v2, s[26:27]
	v_add_u32_e32 v2, v0, v2
	s_and_saveexec_b64 s[28:29], s[6:7]
	s_cbranch_execz .LBB1458_229
; %bb.228:                              ;   in Loop: Header=BB1458_17 Depth=1
	ds_write_b32 v44, v2
.LBB1458_229:                           ;   in Loop: Header=BB1458_17 Depth=1
	s_or_b64 exec, exec, s[28:29]
	v_and_b32_e32 v0, 3, v74
	s_waitcnt lgkmcnt(0)
	s_barrier
	s_and_saveexec_b64 s[28:29], s[8:9]
	s_cbranch_execz .LBB1458_231
; %bb.230:                              ;   in Loop: Header=BB1458_17 Depth=1
	ds_read_b32 v3, v45
	v_cmp_ne_u32_e32 vcc, 0, v0
	s_waitcnt lgkmcnt(0)
	v_mov_b32_dpp v4, v3 row_shr:1 row_mask:0xf bank_mask:0xf
	v_cndmask_b32_e32 v4, 0, v4, vcc
	v_add_u32_e32 v3, v4, v3
	v_cmp_lt_u32_e32 vcc, 1, v0
	s_nop 0
	v_mov_b32_dpp v4, v3 row_shr:2 row_mask:0xf bank_mask:0xf
	v_cndmask_b32_e32 v4, 0, v4, vcc
	v_add_u32_e32 v3, v3, v4
	ds_write_b32 v45, v3
.LBB1458_231:                           ;   in Loop: Header=BB1458_17 Depth=1
	s_or_b64 exec, exec, s[28:29]
	v_mov_b32_e32 v3, 0
	s_waitcnt lgkmcnt(0)
	s_barrier
	s_and_saveexec_b64 s[28:29], s[10:11]
	s_cbranch_execz .LBB1458_233
; %bb.232:                              ;   in Loop: Header=BB1458_17 Depth=1
	ds_read_b32 v3, v46
.LBB1458_233:                           ;   in Loop: Header=BB1458_17 Depth=1
	s_or_b64 exec, exec, s[28:29]
	v_add_u32_e32 v4, -1, v74
	v_and_b32_e32 v5, 64, v74
	v_cmp_lt_i32_e32 vcc, v4, v5
	v_cndmask_b32_e32 v4, v4, v74, vcc
	s_waitcnt lgkmcnt(0)
	v_add_u32_e32 v2, v3, v2
	v_lshlrev_b32_e32 v75, 2, v4
	ds_bpermute_b32 v2, v75, v2
	v_cmp_eq_u32_e64 s[28:29], 0, v74
	s_waitcnt lgkmcnt(0)
	s_barrier
	s_and_saveexec_b64 s[30:31], s[4:5]
	s_cbranch_execz .LBB1458_235
; %bb.234:                              ;   in Loop: Header=BB1458_17 Depth=1
	v_cndmask_b32_e64 v2, v2, v3, s[28:29]
	v_add_u32_e32 v2, s51, v2
	ds_write_b32 v19, v2
.LBB1458_235:                           ;   in Loop: Header=BB1458_17 Depth=1
	s_or_b64 exec, exec, s[30:31]
	s_load_dwordx2 s[30:31], s[82:83], 0x0
	s_mov_b32 s86, s79
	s_mov_b32 s80, s51
                                        ; implicit-def: $vgpr10_vgpr11
                                        ; implicit-def: $vgpr12_vgpr13
                                        ; implicit-def: $vgpr14_vgpr15
                                        ; implicit-def: $vgpr16_vgpr17
                                        ; implicit-def: $vgpr30_vgpr31
                                        ; implicit-def: $vgpr32_vgpr33
                                        ; implicit-def: $vgpr34_vgpr35
                                        ; implicit-def: $vgpr36_vgpr37
                                        ; implicit-def: $vgpr76
                                        ; implicit-def: $vgpr77
                                        ; implicit-def: $vgpr78
                                        ; implicit-def: $vgpr79
                                        ; implicit-def: $vgpr81
                                        ; implicit-def: $vgpr82
                                        ; implicit-def: $vgpr84
                                        ; implicit-def: $vgpr86
	s_waitcnt lgkmcnt(0)
	s_cmp_lt_u32 s50, s30
	s_cselect_b32 s34, 12, 18
	s_cmp_lt_u32 s33, s31
	s_cselect_b32 s30, 14, 20
	s_add_u32 s30, s82, s30
	s_addc_u32 s31, s83, 0
	s_add_u32 s34, s82, s34
	global_load_ushort v2, v20, s[30:31]
	s_addc_u32 s35, s83, 0
	global_load_ushort v3, v20, s[34:35]
	v_cmp_eq_u32_e64 s[30:31], 0, v0
	v_cmp_lt_u32_e64 s[34:35], 1, v0
	v_and_b32_e32 v0, 63, v74
	v_lshlrev_b32_e32 v4, 3, v0
	v_add_co_u32_e32 v83, vcc, v61, v4
	v_or_b32_e32 v80, v0, v47
	v_lshlrev_b32_e32 v0, 2, v0
	v_addc_co_u32_e32 v85, vcc, 0, v62, vcc
	v_add_co_u32_e32 v94, vcc, v63, v0
	v_addc_co_u32_e32 v95, vcc, 0, v64, vcc
	v_add_co_u32_e32 v96, vcc, 0x700, v94
	v_or_b32_e32 v87, 64, v80
	v_or_b32_e32 v88, 0x80, v80
	;; [unrolled: 1-line block ×7, first 2 shown]
	v_addc_co_u32_e32 v97, vcc, 0, v95, vcc
	s_waitcnt vmcnt(1)
	v_mad_u32_u24 v0, v48, v2, v49
	s_waitcnt vmcnt(0)
	v_mad_u64_u32 v[2:3], s[36:37], v0, v3, v[18:19]
	v_lshrrev_b32_e32 v98, 6, v2
	s_branch .LBB1458_237
.LBB1458_236:                           ;   in Loop: Header=BB1458_237 Depth=2
	s_or_b64 exec, exec, s[36:37]
	s_addk_i32 s86, 0xf800
	s_cmp_lt_u32 s87, s84
	s_mov_b32 s80, s87
	s_cbranch_scc0 .LBB1458_349
.LBB1458_237:                           ;   Parent Loop BB1458_17 Depth=1
                                        ; =>  This Inner Loop Header: Depth=2
	s_add_i32 s87, s80, 0x800
	s_cmp_gt_u32 s87, s84
	s_cbranch_scc1 .LBB1458_239
; %bb.238:                              ;   in Loop: Header=BB1458_237 Depth=2
	s_lshl_b64 s[36:37], s[80:81], 2
	v_mov_b32_e32 v0, s37
	v_add_co_u32_e32 v8, vcc, s36, v94
	v_addc_co_u32_e32 v9, vcc, v95, v0, vcc
	global_load_dword v2, v[8:9], off
	global_load_dword v3, v[8:9], off offset:256
	global_load_dword v4, v[8:9], off offset:512
	;; [unrolled: 1-line block ×5, first 2 shown]
	s_nop 0
	global_load_dword v8, v[8:9], off offset:1536
	s_mov_b64 s[36:37], -1
	s_movk_i32 s40, 0x800
	s_cbranch_execz .LBB1458_240
	s_branch .LBB1458_249
.LBB1458_239:                           ;   in Loop: Header=BB1458_237 Depth=2
	s_mov_b64 s[36:37], 0
                                        ; implicit-def: $sgpr40
                                        ; implicit-def: $vgpr2_vgpr3_vgpr4_vgpr5_vgpr6_vgpr7_vgpr8_vgpr9
.LBB1458_240:                           ;   in Loop: Header=BB1458_237 Depth=2
	s_lshl_b64 s[36:37], s[80:81], 2
	v_mov_b32_e32 v0, s37
	v_add_co_u32_e32 v38, vcc, s36, v94
	s_mov_b32 s65, s64
	v_addc_co_u32_e32 v39, vcc, v95, v0, vcc
	s_mov_b32 s66, s64
	s_mov_b32 s67, s64
	;; [unrolled: 1-line block ×6, first 2 shown]
	s_waitcnt vmcnt(0)
	v_pk_mov_b32 v[2:3], s[64:65], s[64:65] op_sel:[0,1]
	v_cmp_gt_u32_e32 vcc, s86, v80
	v_pk_mov_b32 v[4:5], s[66:67], s[66:67] op_sel:[0,1]
	v_pk_mov_b32 v[6:7], s[68:69], s[68:69] op_sel:[0,1]
	;; [unrolled: 1-line block ×3, first 2 shown]
	s_and_saveexec_b64 s[36:37], vcc
	s_cbranch_execz .LBB1458_343
; %bb.241:                              ;   in Loop: Header=BB1458_237 Depth=2
	global_load_dword v0, v[38:39], off
	v_mov_b32_e32 v2, v1
	v_mov_b32_e32 v3, v1
	;; [unrolled: 1-line block ×6, first 2 shown]
	s_waitcnt vmcnt(0)
	v_pk_mov_b32 v[8:9], v[6:7], v[6:7] op_sel:[0,1]
	v_pk_mov_b32 v[6:7], v[4:5], v[4:5] op_sel:[0,1]
	;; [unrolled: 1-line block ×4, first 2 shown]
	s_or_b64 exec, exec, s[36:37]
	v_cmp_gt_u32_e32 vcc, s86, v87
	s_and_saveexec_b64 s[36:37], vcc
	s_cbranch_execnz .LBB1458_344
.LBB1458_242:                           ;   in Loop: Header=BB1458_237 Depth=2
	s_or_b64 exec, exec, s[36:37]
	v_cmp_gt_u32_e32 vcc, s86, v88
	s_and_saveexec_b64 s[36:37], vcc
	s_cbranch_execz .LBB1458_345
.LBB1458_243:                           ;   in Loop: Header=BB1458_237 Depth=2
	global_load_dword v4, v[38:39], off offset:512
	s_or_b64 exec, exec, s[36:37]
	v_cmp_gt_u32_e32 vcc, s86, v89
	s_and_saveexec_b64 s[36:37], vcc
	s_cbranch_execnz .LBB1458_346
.LBB1458_244:                           ;   in Loop: Header=BB1458_237 Depth=2
	s_or_b64 exec, exec, s[36:37]
	v_cmp_gt_u32_e32 vcc, s86, v90
	s_and_saveexec_b64 s[36:37], vcc
	s_cbranch_execz .LBB1458_347
.LBB1458_245:                           ;   in Loop: Header=BB1458_237 Depth=2
	global_load_dword v6, v[38:39], off offset:1024
	s_or_b64 exec, exec, s[36:37]
	v_cmp_gt_u32_e32 vcc, s86, v91
	s_and_saveexec_b64 s[36:37], vcc
	s_cbranch_execnz .LBB1458_348
.LBB1458_246:                           ;   in Loop: Header=BB1458_237 Depth=2
	s_or_b64 exec, exec, s[36:37]
	v_cmp_gt_u32_e32 vcc, s86, v92
	s_and_saveexec_b64 s[36:37], vcc
	s_cbranch_execz .LBB1458_248
.LBB1458_247:                           ;   in Loop: Header=BB1458_237 Depth=2
	global_load_dword v8, v[38:39], off offset:1536
.LBB1458_248:                           ;   in Loop: Header=BB1458_237 Depth=2
	s_or_b64 exec, exec, s[36:37]
	s_sub_i32 s40, s84, s80
	v_cmp_gt_u32_e64 s[36:37], s86, v93
.LBB1458_249:                           ;   in Loop: Header=BB1458_237 Depth=2
	v_mov_b32_e32 v0, s86
	s_and_saveexec_b64 s[38:39], s[36:37]
	s_cbranch_execz .LBB1458_251
; %bb.250:                              ;   in Loop: Header=BB1458_237 Depth=2
	s_lshl_b64 s[36:37], s[80:81], 2
	v_mov_b32_e32 v0, s37
	v_add_co_u32_e32 v38, vcc, s36, v96
	v_addc_co_u32_e32 v39, vcc, v97, v0, vcc
	global_load_dword v9, v[38:39], off
	v_mov_b32_e32 v0, s40
.LBB1458_251:                           ;   in Loop: Header=BB1458_237 Depth=2
	s_or_b64 exec, exec, s[38:39]
	s_waitcnt vmcnt(6)
	v_cmp_lt_i32_e32 vcc, -1, v2
	v_cndmask_b32_e32 v21, -1, v73, vcc
	v_xor_b32_e32 v99, v21, v2
	v_add_u32_e32 v2, 0x410, v50
	v_cmp_ne_u32_e32 vcc, s64, v99
	ds_write2_b32 v2, v20, v20 offset1:1
	ds_write2_b32 v52, v20, v20 offset0:2 offset1:3
	ds_write_b32 v52, v20 offset:16
	v_cndmask_b32_e32 v2, v73, v99, vcc
	v_lshrrev_b32_e32 v2, s76, v2
	v_and_b32_e32 v2, s85, v2
	v_mad_u32_u24 v21, v2, 5, v98
	v_lshl_add_u32 v100, v21, 2, v51
	v_and_b32_e32 v21, 1, v2
	v_add_co_u32_e32 v38, vcc, -1, v21
	v_addc_co_u32_e64 v39, s[36:37], 0, -1, vcc
	v_cmp_ne_u32_e32 vcc, 0, v21
	v_xor_b32_e32 v21, vcc_hi, v39
	v_and_b32_e32 v39, exec_hi, v21
	v_lshlrev_b32_e32 v21, 30, v2
	v_xor_b32_e32 v38, vcc_lo, v38
	v_cmp_gt_i64_e32 vcc, 0, v[20:21]
	v_not_b32_e32 v21, v21
	v_ashrrev_i32_e32 v21, 31, v21
	v_and_b32_e32 v38, exec_lo, v38
	v_xor_b32_e32 v101, vcc_hi, v21
	v_xor_b32_e32 v21, vcc_lo, v21
	v_and_b32_e32 v38, v38, v21
	v_lshlrev_b32_e32 v21, 29, v2
	v_cmp_gt_i64_e32 vcc, 0, v[20:21]
	v_not_b32_e32 v21, v21
	v_ashrrev_i32_e32 v21, 31, v21
	v_and_b32_e32 v39, v39, v101
	v_xor_b32_e32 v101, vcc_hi, v21
	v_xor_b32_e32 v21, vcc_lo, v21
	v_and_b32_e32 v38, v38, v21
	v_lshlrev_b32_e32 v21, 28, v2
	v_cmp_gt_i64_e32 vcc, 0, v[20:21]
	v_not_b32_e32 v21, v21
	v_ashrrev_i32_e32 v21, 31, v21
	v_and_b32_e32 v39, v39, v101
	;; [unrolled: 8-line block ×5, first 2 shown]
	v_xor_b32_e32 v101, vcc_hi, v21
	v_xor_b32_e32 v21, vcc_lo, v21
	v_and_b32_e32 v38, v38, v21
	v_lshlrev_b32_e32 v21, 24, v2
	v_not_b32_e32 v2, v21
	v_cmp_gt_i64_e32 vcc, 0, v[20:21]
	v_ashrrev_i32_e32 v2, 31, v2
	v_xor_b32_e32 v21, vcc_hi, v2
	v_xor_b32_e32 v2, vcc_lo, v2
	v_and_b32_e32 v39, v39, v101
	v_and_b32_e32 v38, v38, v2
	v_and_b32_e32 v39, v39, v21
	v_mbcnt_lo_u32_b32 v2, v38, 0
	v_mbcnt_hi_u32_b32 v101, v39, v2
	v_cmp_eq_u32_e32 vcc, 0, v101
	v_cmp_ne_u64_e64 s[36:37], 0, v[38:39]
	s_and_b64 s[38:39], s[36:37], vcc
	s_waitcnt lgkmcnt(0)
	s_barrier
	s_waitcnt lgkmcnt(0)
	; wave barrier
	s_and_saveexec_b64 s[36:37], s[38:39]
	s_cbranch_execz .LBB1458_253
; %bb.252:                              ;   in Loop: Header=BB1458_237 Depth=2
	v_bcnt_u32_b32 v2, v38, 0
	v_bcnt_u32_b32 v2, v39, v2
	ds_write_b32 v100, v2
.LBB1458_253:                           ;   in Loop: Header=BB1458_237 Depth=2
	s_or_b64 exec, exec, s[36:37]
	s_waitcnt vmcnt(0)
	v_cmp_lt_i32_e32 vcc, -1, v3
	v_cndmask_b32_e32 v2, -1, v73, vcc
	v_xor_b32_e32 v38, v2, v3
	v_cmp_ne_u32_e32 vcc, s64, v38
	v_cndmask_b32_e32 v2, v73, v38, vcc
	v_lshrrev_b32_e32 v2, s76, v2
	v_and_b32_e32 v2, s85, v2
	v_mul_u32_u24_e32 v3, 5, v2
	v_add_lshl_u32 v3, v3, v98, 2
	; wave barrier
	v_add_u32_e32 v102, 0x410, v3
	ds_read_b32 v39, v3 offset:1040
	v_and_b32_e32 v3, 1, v2
	v_add_co_u32_e32 v21, vcc, -1, v3
	v_addc_co_u32_e64 v103, s[36:37], 0, -1, vcc
	v_cmp_ne_u32_e32 vcc, 0, v3
	v_xor_b32_e32 v21, vcc_lo, v21
	v_xor_b32_e32 v3, vcc_hi, v103
	v_and_b32_e32 v103, exec_lo, v21
	v_lshlrev_b32_e32 v21, 30, v2
	v_cmp_gt_i64_e32 vcc, 0, v[20:21]
	v_not_b32_e32 v21, v21
	v_ashrrev_i32_e32 v21, 31, v21
	v_xor_b32_e32 v104, vcc_hi, v21
	v_xor_b32_e32 v21, vcc_lo, v21
	v_and_b32_e32 v103, v103, v21
	v_lshlrev_b32_e32 v21, 29, v2
	v_cmp_gt_i64_e32 vcc, 0, v[20:21]
	v_not_b32_e32 v21, v21
	v_and_b32_e32 v3, exec_hi, v3
	v_ashrrev_i32_e32 v21, 31, v21
	v_and_b32_e32 v3, v3, v104
	v_xor_b32_e32 v104, vcc_hi, v21
	v_xor_b32_e32 v21, vcc_lo, v21
	v_and_b32_e32 v103, v103, v21
	v_lshlrev_b32_e32 v21, 28, v2
	v_cmp_gt_i64_e32 vcc, 0, v[20:21]
	v_not_b32_e32 v21, v21
	v_ashrrev_i32_e32 v21, 31, v21
	v_and_b32_e32 v3, v3, v104
	v_xor_b32_e32 v104, vcc_hi, v21
	v_xor_b32_e32 v21, vcc_lo, v21
	v_and_b32_e32 v103, v103, v21
	v_lshlrev_b32_e32 v21, 27, v2
	v_cmp_gt_i64_e32 vcc, 0, v[20:21]
	v_not_b32_e32 v21, v21
	;; [unrolled: 8-line block ×4, first 2 shown]
	v_ashrrev_i32_e32 v21, 31, v21
	v_and_b32_e32 v3, v3, v104
	v_xor_b32_e32 v104, vcc_hi, v21
	v_xor_b32_e32 v21, vcc_lo, v21
	v_and_b32_e32 v103, v103, v21
	v_lshlrev_b32_e32 v21, 24, v2
	v_not_b32_e32 v2, v21
	v_cmp_gt_i64_e32 vcc, 0, v[20:21]
	v_ashrrev_i32_e32 v2, 31, v2
	v_xor_b32_e32 v21, vcc_hi, v2
	v_xor_b32_e32 v2, vcc_lo, v2
	v_and_b32_e32 v3, v3, v104
	v_and_b32_e32 v2, v103, v2
	;; [unrolled: 1-line block ×3, first 2 shown]
	v_mbcnt_lo_u32_b32 v21, v2, 0
	v_mbcnt_hi_u32_b32 v103, v3, v21
	v_cmp_eq_u32_e32 vcc, 0, v103
	v_cmp_ne_u64_e64 s[36:37], 0, v[2:3]
	s_and_b64 s[38:39], s[36:37], vcc
	; wave barrier
	s_and_saveexec_b64 s[36:37], s[38:39]
	s_cbranch_execz .LBB1458_255
; %bb.254:                              ;   in Loop: Header=BB1458_237 Depth=2
	v_bcnt_u32_b32 v2, v2, 0
	v_bcnt_u32_b32 v2, v3, v2
	s_waitcnt lgkmcnt(0)
	v_add_u32_e32 v2, v39, v2
	ds_write_b32 v102, v2
.LBB1458_255:                           ;   in Loop: Header=BB1458_237 Depth=2
	s_or_b64 exec, exec, s[36:37]
	v_cmp_lt_i32_e32 vcc, -1, v4
	v_cndmask_b32_e32 v2, -1, v73, vcc
	v_xor_b32_e32 v104, v2, v4
	v_cmp_ne_u32_e32 vcc, s64, v104
	v_cndmask_b32_e32 v2, v73, v104, vcc
	v_lshrrev_b32_e32 v2, s76, v2
	v_and_b32_e32 v2, s85, v2
	v_mul_u32_u24_e32 v3, 5, v2
	v_add_lshl_u32 v3, v3, v98, 2
	; wave barrier
	v_add_u32_e32 v106, 0x410, v3
	ds_read_b32 v105, v3 offset:1040
	v_and_b32_e32 v3, 1, v2
	v_add_co_u32_e32 v4, vcc, -1, v3
	v_addc_co_u32_e64 v21, s[36:37], 0, -1, vcc
	v_cmp_ne_u32_e32 vcc, 0, v3
	v_xor_b32_e32 v3, vcc_hi, v21
	v_lshlrev_b32_e32 v21, 30, v2
	v_xor_b32_e32 v4, vcc_lo, v4
	v_cmp_gt_i64_e32 vcc, 0, v[20:21]
	v_not_b32_e32 v21, v21
	v_ashrrev_i32_e32 v21, 31, v21
	v_and_b32_e32 v4, exec_lo, v4
	v_xor_b32_e32 v107, vcc_hi, v21
	v_xor_b32_e32 v21, vcc_lo, v21
	v_and_b32_e32 v4, v4, v21
	v_lshlrev_b32_e32 v21, 29, v2
	v_cmp_gt_i64_e32 vcc, 0, v[20:21]
	v_not_b32_e32 v21, v21
	v_and_b32_e32 v3, exec_hi, v3
	v_ashrrev_i32_e32 v21, 31, v21
	v_and_b32_e32 v3, v3, v107
	v_xor_b32_e32 v107, vcc_hi, v21
	v_xor_b32_e32 v21, vcc_lo, v21
	v_and_b32_e32 v4, v4, v21
	v_lshlrev_b32_e32 v21, 28, v2
	v_cmp_gt_i64_e32 vcc, 0, v[20:21]
	v_not_b32_e32 v21, v21
	v_ashrrev_i32_e32 v21, 31, v21
	v_and_b32_e32 v3, v3, v107
	v_xor_b32_e32 v107, vcc_hi, v21
	v_xor_b32_e32 v21, vcc_lo, v21
	v_and_b32_e32 v4, v4, v21
	v_lshlrev_b32_e32 v21, 27, v2
	v_cmp_gt_i64_e32 vcc, 0, v[20:21]
	v_not_b32_e32 v21, v21
	;; [unrolled: 8-line block ×4, first 2 shown]
	v_ashrrev_i32_e32 v21, 31, v21
	v_and_b32_e32 v3, v3, v107
	v_xor_b32_e32 v107, vcc_hi, v21
	v_xor_b32_e32 v21, vcc_lo, v21
	v_and_b32_e32 v4, v4, v21
	v_lshlrev_b32_e32 v21, 24, v2
	v_not_b32_e32 v2, v21
	v_cmp_gt_i64_e32 vcc, 0, v[20:21]
	v_ashrrev_i32_e32 v2, 31, v2
	v_xor_b32_e32 v21, vcc_hi, v2
	v_xor_b32_e32 v2, vcc_lo, v2
	v_and_b32_e32 v3, v3, v107
	v_and_b32_e32 v2, v4, v2
	v_and_b32_e32 v3, v3, v21
	v_mbcnt_lo_u32_b32 v4, v2, 0
	v_mbcnt_hi_u32_b32 v107, v3, v4
	v_cmp_eq_u32_e32 vcc, 0, v107
	v_cmp_ne_u64_e64 s[36:37], 0, v[2:3]
	s_and_b64 s[38:39], s[36:37], vcc
	; wave barrier
	s_and_saveexec_b64 s[36:37], s[38:39]
	s_cbranch_execz .LBB1458_257
; %bb.256:                              ;   in Loop: Header=BB1458_237 Depth=2
	v_bcnt_u32_b32 v2, v2, 0
	v_bcnt_u32_b32 v2, v3, v2
	s_waitcnt lgkmcnt(0)
	v_add_u32_e32 v2, v105, v2
	ds_write_b32 v106, v2
.LBB1458_257:                           ;   in Loop: Header=BB1458_237 Depth=2
	s_or_b64 exec, exec, s[36:37]
	v_cmp_lt_i32_e32 vcc, -1, v5
	v_cndmask_b32_e32 v2, -1, v73, vcc
	v_xor_b32_e32 v108, v2, v5
	v_cmp_ne_u32_e32 vcc, s64, v108
	v_cndmask_b32_e32 v2, v73, v108, vcc
	v_lshrrev_b32_e32 v2, s76, v2
	v_and_b32_e32 v2, s85, v2
	v_mul_u32_u24_e32 v3, 5, v2
	v_add_lshl_u32 v3, v3, v98, 2
	; wave barrier
	v_add_u32_e32 v110, 0x410, v3
	ds_read_b32 v109, v3 offset:1040
	v_and_b32_e32 v3, 1, v2
	v_add_co_u32_e32 v4, vcc, -1, v3
	v_addc_co_u32_e64 v5, s[36:37], 0, -1, vcc
	v_cmp_ne_u32_e32 vcc, 0, v3
	v_lshlrev_b32_e32 v21, 30, v2
	v_xor_b32_e32 v3, vcc_hi, v5
	v_not_b32_e32 v5, v21
	v_xor_b32_e32 v4, vcc_lo, v4
	v_cmp_gt_i64_e32 vcc, 0, v[20:21]
	v_ashrrev_i32_e32 v5, 31, v5
	v_and_b32_e32 v3, exec_hi, v3
	v_xor_b32_e32 v21, vcc_hi, v5
	v_and_b32_e32 v4, exec_lo, v4
	v_xor_b32_e32 v5, vcc_lo, v5
	v_and_b32_e32 v3, v3, v21
	v_lshlrev_b32_e32 v21, 29, v2
	v_and_b32_e32 v4, v4, v5
	v_not_b32_e32 v5, v21
	v_cmp_gt_i64_e32 vcc, 0, v[20:21]
	v_ashrrev_i32_e32 v5, 31, v5
	v_xor_b32_e32 v21, vcc_hi, v5
	v_xor_b32_e32 v5, vcc_lo, v5
	v_and_b32_e32 v3, v3, v21
	v_lshlrev_b32_e32 v21, 28, v2
	v_and_b32_e32 v4, v4, v5
	v_not_b32_e32 v5, v21
	v_cmp_gt_i64_e32 vcc, 0, v[20:21]
	v_ashrrev_i32_e32 v5, 31, v5
	v_xor_b32_e32 v21, vcc_hi, v5
	;; [unrolled: 8-line block ×5, first 2 shown]
	v_and_b32_e32 v3, v3, v21
	v_lshlrev_b32_e32 v21, 24, v2
	v_not_b32_e32 v2, v21
	v_xor_b32_e32 v5, vcc_lo, v5
	v_cmp_gt_i64_e32 vcc, 0, v[20:21]
	v_ashrrev_i32_e32 v2, 31, v2
	v_and_b32_e32 v4, v4, v5
	v_xor_b32_e32 v5, vcc_hi, v2
	v_xor_b32_e32 v2, vcc_lo, v2
	v_and_b32_e32 v2, v4, v2
	v_and_b32_e32 v3, v3, v5
	v_mbcnt_lo_u32_b32 v4, v2, 0
	v_mbcnt_hi_u32_b32 v111, v3, v4
	v_cmp_eq_u32_e32 vcc, 0, v111
	v_cmp_ne_u64_e64 s[36:37], 0, v[2:3]
	s_and_b64 s[38:39], s[36:37], vcc
	; wave barrier
	s_and_saveexec_b64 s[36:37], s[38:39]
	s_cbranch_execz .LBB1458_259
; %bb.258:                              ;   in Loop: Header=BB1458_237 Depth=2
	v_bcnt_u32_b32 v2, v2, 0
	v_bcnt_u32_b32 v2, v3, v2
	s_waitcnt lgkmcnt(0)
	v_add_u32_e32 v2, v109, v2
	ds_write_b32 v110, v2
.LBB1458_259:                           ;   in Loop: Header=BB1458_237 Depth=2
	s_or_b64 exec, exec, s[36:37]
	v_cmp_lt_i32_e32 vcc, -1, v6
	v_cndmask_b32_e32 v2, -1, v73, vcc
	v_xor_b32_e32 v112, v2, v6
	v_cmp_ne_u32_e32 vcc, s64, v112
	v_cndmask_b32_e32 v2, v73, v112, vcc
	v_lshrrev_b32_e32 v2, s76, v2
	v_and_b32_e32 v2, s85, v2
	v_mul_u32_u24_e32 v3, 5, v2
	v_add_lshl_u32 v3, v3, v98, 2
	; wave barrier
	v_add_u32_e32 v113, 0x410, v3
	ds_read_b32 v6, v3 offset:1040
	v_and_b32_e32 v3, 1, v2
	v_add_co_u32_e32 v4, vcc, -1, v3
	v_addc_co_u32_e64 v5, s[36:37], 0, -1, vcc
	v_cmp_ne_u32_e32 vcc, 0, v3
	v_lshlrev_b32_e32 v21, 30, v2
	v_xor_b32_e32 v3, vcc_hi, v5
	v_not_b32_e32 v5, v21
	v_xor_b32_e32 v4, vcc_lo, v4
	v_cmp_gt_i64_e32 vcc, 0, v[20:21]
	v_ashrrev_i32_e32 v5, 31, v5
	v_and_b32_e32 v3, exec_hi, v3
	v_xor_b32_e32 v21, vcc_hi, v5
	v_and_b32_e32 v4, exec_lo, v4
	v_xor_b32_e32 v5, vcc_lo, v5
	v_and_b32_e32 v3, v3, v21
	v_lshlrev_b32_e32 v21, 29, v2
	v_and_b32_e32 v4, v4, v5
	v_not_b32_e32 v5, v21
	v_cmp_gt_i64_e32 vcc, 0, v[20:21]
	v_ashrrev_i32_e32 v5, 31, v5
	v_xor_b32_e32 v21, vcc_hi, v5
	v_xor_b32_e32 v5, vcc_lo, v5
	v_and_b32_e32 v3, v3, v21
	v_lshlrev_b32_e32 v21, 28, v2
	v_and_b32_e32 v4, v4, v5
	v_not_b32_e32 v5, v21
	v_cmp_gt_i64_e32 vcc, 0, v[20:21]
	v_ashrrev_i32_e32 v5, 31, v5
	v_xor_b32_e32 v21, vcc_hi, v5
	;; [unrolled: 8-line block ×5, first 2 shown]
	v_and_b32_e32 v3, v3, v21
	v_lshlrev_b32_e32 v21, 24, v2
	v_not_b32_e32 v2, v21
	v_xor_b32_e32 v5, vcc_lo, v5
	v_cmp_gt_i64_e32 vcc, 0, v[20:21]
	v_ashrrev_i32_e32 v2, 31, v2
	v_and_b32_e32 v4, v4, v5
	v_xor_b32_e32 v5, vcc_hi, v2
	v_xor_b32_e32 v2, vcc_lo, v2
	v_and_b32_e32 v2, v4, v2
	v_and_b32_e32 v3, v3, v5
	v_mbcnt_lo_u32_b32 v4, v2, 0
	v_mbcnt_hi_u32_b32 v114, v3, v4
	v_cmp_eq_u32_e32 vcc, 0, v114
	v_cmp_ne_u64_e64 s[36:37], 0, v[2:3]
	s_and_b64 s[38:39], s[36:37], vcc
	; wave barrier
	s_and_saveexec_b64 s[36:37], s[38:39]
	s_cbranch_execz .LBB1458_261
; %bb.260:                              ;   in Loop: Header=BB1458_237 Depth=2
	v_bcnt_u32_b32 v2, v2, 0
	v_bcnt_u32_b32 v2, v3, v2
	s_waitcnt lgkmcnt(0)
	v_add_u32_e32 v2, v6, v2
	ds_write_b32 v113, v2
.LBB1458_261:                           ;   in Loop: Header=BB1458_237 Depth=2
	s_or_b64 exec, exec, s[36:37]
	v_cmp_lt_i32_e32 vcc, -1, v7
	v_cndmask_b32_e32 v2, -1, v73, vcc
	v_xor_b32_e32 v115, v2, v7
	v_cmp_ne_u32_e32 vcc, s64, v115
	v_cndmask_b32_e32 v2, v73, v115, vcc
	v_lshrrev_b32_e32 v2, s76, v2
	v_and_b32_e32 v2, s85, v2
	v_mul_u32_u24_e32 v3, 5, v2
	v_add_lshl_u32 v3, v3, v98, 2
	; wave barrier
	v_add_u32_e32 v116, 0x410, v3
	ds_read_b32 v7, v3 offset:1040
	v_and_b32_e32 v3, 1, v2
	v_add_co_u32_e32 v4, vcc, -1, v3
	v_addc_co_u32_e64 v5, s[36:37], 0, -1, vcc
	v_cmp_ne_u32_e32 vcc, 0, v3
	v_lshlrev_b32_e32 v21, 30, v2
	v_xor_b32_e32 v3, vcc_hi, v5
	v_not_b32_e32 v5, v21
	v_xor_b32_e32 v4, vcc_lo, v4
	v_cmp_gt_i64_e32 vcc, 0, v[20:21]
	v_ashrrev_i32_e32 v5, 31, v5
	v_and_b32_e32 v3, exec_hi, v3
	v_xor_b32_e32 v21, vcc_hi, v5
	v_and_b32_e32 v4, exec_lo, v4
	v_xor_b32_e32 v5, vcc_lo, v5
	v_and_b32_e32 v3, v3, v21
	v_lshlrev_b32_e32 v21, 29, v2
	v_and_b32_e32 v4, v4, v5
	v_not_b32_e32 v5, v21
	v_cmp_gt_i64_e32 vcc, 0, v[20:21]
	v_ashrrev_i32_e32 v5, 31, v5
	v_xor_b32_e32 v21, vcc_hi, v5
	v_xor_b32_e32 v5, vcc_lo, v5
	v_and_b32_e32 v3, v3, v21
	v_lshlrev_b32_e32 v21, 28, v2
	v_and_b32_e32 v4, v4, v5
	v_not_b32_e32 v5, v21
	v_cmp_gt_i64_e32 vcc, 0, v[20:21]
	v_ashrrev_i32_e32 v5, 31, v5
	v_xor_b32_e32 v21, vcc_hi, v5
	;; [unrolled: 8-line block ×5, first 2 shown]
	v_and_b32_e32 v3, v3, v21
	v_lshlrev_b32_e32 v21, 24, v2
	v_not_b32_e32 v2, v21
	v_xor_b32_e32 v5, vcc_lo, v5
	v_cmp_gt_i64_e32 vcc, 0, v[20:21]
	v_ashrrev_i32_e32 v2, 31, v2
	v_and_b32_e32 v4, v4, v5
	v_xor_b32_e32 v5, vcc_hi, v2
	v_xor_b32_e32 v2, vcc_lo, v2
	v_and_b32_e32 v2, v4, v2
	v_and_b32_e32 v3, v3, v5
	v_mbcnt_lo_u32_b32 v4, v2, 0
	v_mbcnt_hi_u32_b32 v117, v3, v4
	v_cmp_eq_u32_e32 vcc, 0, v117
	v_cmp_ne_u64_e64 s[36:37], 0, v[2:3]
	s_and_b64 s[38:39], s[36:37], vcc
	; wave barrier
	s_and_saveexec_b64 s[36:37], s[38:39]
	s_cbranch_execz .LBB1458_263
; %bb.262:                              ;   in Loop: Header=BB1458_237 Depth=2
	v_bcnt_u32_b32 v2, v2, 0
	v_bcnt_u32_b32 v2, v3, v2
	s_waitcnt lgkmcnt(0)
	v_add_u32_e32 v2, v7, v2
	ds_write_b32 v116, v2
.LBB1458_263:                           ;   in Loop: Header=BB1458_237 Depth=2
	s_or_b64 exec, exec, s[36:37]
	v_cmp_lt_i32_e32 vcc, -1, v8
	v_cndmask_b32_e32 v2, -1, v73, vcc
	v_xor_b32_e32 v118, v2, v8
	v_cmp_ne_u32_e32 vcc, s64, v118
	v_cndmask_b32_e32 v2, v73, v118, vcc
	v_lshrrev_b32_e32 v2, s76, v2
	v_and_b32_e32 v2, s85, v2
	v_mul_u32_u24_e32 v3, 5, v2
	v_add_lshl_u32 v3, v3, v98, 2
	; wave barrier
	v_add_u32_e32 v8, 0x410, v3
	ds_read_b32 v119, v3 offset:1040
	v_and_b32_e32 v3, 1, v2
	v_add_co_u32_e32 v4, vcc, -1, v3
	v_addc_co_u32_e64 v5, s[36:37], 0, -1, vcc
	v_cmp_ne_u32_e32 vcc, 0, v3
	v_lshlrev_b32_e32 v21, 30, v2
	v_xor_b32_e32 v3, vcc_hi, v5
	v_not_b32_e32 v5, v21
	v_xor_b32_e32 v4, vcc_lo, v4
	v_cmp_gt_i64_e32 vcc, 0, v[20:21]
	v_ashrrev_i32_e32 v5, 31, v5
	v_and_b32_e32 v3, exec_hi, v3
	v_xor_b32_e32 v21, vcc_hi, v5
	v_and_b32_e32 v4, exec_lo, v4
	v_xor_b32_e32 v5, vcc_lo, v5
	v_and_b32_e32 v3, v3, v21
	v_lshlrev_b32_e32 v21, 29, v2
	v_and_b32_e32 v4, v4, v5
	v_not_b32_e32 v5, v21
	v_cmp_gt_i64_e32 vcc, 0, v[20:21]
	v_ashrrev_i32_e32 v5, 31, v5
	v_xor_b32_e32 v21, vcc_hi, v5
	v_xor_b32_e32 v5, vcc_lo, v5
	v_and_b32_e32 v3, v3, v21
	v_lshlrev_b32_e32 v21, 28, v2
	v_and_b32_e32 v4, v4, v5
	v_not_b32_e32 v5, v21
	v_cmp_gt_i64_e32 vcc, 0, v[20:21]
	v_ashrrev_i32_e32 v5, 31, v5
	v_xor_b32_e32 v21, vcc_hi, v5
	;; [unrolled: 8-line block ×5, first 2 shown]
	v_and_b32_e32 v3, v3, v21
	v_lshlrev_b32_e32 v21, 24, v2
	v_not_b32_e32 v2, v21
	v_xor_b32_e32 v5, vcc_lo, v5
	v_cmp_gt_i64_e32 vcc, 0, v[20:21]
	v_ashrrev_i32_e32 v2, 31, v2
	v_and_b32_e32 v4, v4, v5
	v_xor_b32_e32 v5, vcc_hi, v2
	v_xor_b32_e32 v2, vcc_lo, v2
	v_and_b32_e32 v2, v4, v2
	v_and_b32_e32 v3, v3, v5
	v_mbcnt_lo_u32_b32 v4, v2, 0
	v_mbcnt_hi_u32_b32 v120, v3, v4
	v_cmp_eq_u32_e32 vcc, 0, v120
	v_cmp_ne_u64_e64 s[36:37], 0, v[2:3]
	s_and_b64 s[38:39], s[36:37], vcc
	; wave barrier
	s_and_saveexec_b64 s[36:37], s[38:39]
	s_cbranch_execz .LBB1458_265
; %bb.264:                              ;   in Loop: Header=BB1458_237 Depth=2
	v_bcnt_u32_b32 v2, v2, 0
	v_bcnt_u32_b32 v2, v3, v2
	s_waitcnt lgkmcnt(0)
	v_add_u32_e32 v2, v119, v2
	ds_write_b32 v8, v2
.LBB1458_265:                           ;   in Loop: Header=BB1458_237 Depth=2
	s_or_b64 exec, exec, s[36:37]
	v_cmp_lt_i32_e32 vcc, -1, v9
	v_cndmask_b32_e32 v2, -1, v73, vcc
	v_xor_b32_e32 v121, v2, v9
	v_cmp_ne_u32_e32 vcc, s64, v121
	v_cndmask_b32_e32 v2, v73, v121, vcc
	v_lshrrev_b32_e32 v2, s76, v2
	v_and_b32_e32 v2, s85, v2
	v_mul_u32_u24_e32 v3, 5, v2
	v_add_lshl_u32 v3, v3, v98, 2
	; wave barrier
	v_add_u32_e32 v9, 0x410, v3
	ds_read_b32 v122, v3 offset:1040
	v_and_b32_e32 v3, 1, v2
	v_add_co_u32_e32 v4, vcc, -1, v3
	v_addc_co_u32_e64 v5, s[36:37], 0, -1, vcc
	v_cmp_ne_u32_e32 vcc, 0, v3
	v_lshlrev_b32_e32 v21, 30, v2
	v_xor_b32_e32 v3, vcc_hi, v5
	v_not_b32_e32 v5, v21
	v_xor_b32_e32 v4, vcc_lo, v4
	v_cmp_gt_i64_e32 vcc, 0, v[20:21]
	v_ashrrev_i32_e32 v5, 31, v5
	v_and_b32_e32 v3, exec_hi, v3
	v_xor_b32_e32 v21, vcc_hi, v5
	v_and_b32_e32 v4, exec_lo, v4
	v_xor_b32_e32 v5, vcc_lo, v5
	v_and_b32_e32 v3, v3, v21
	v_lshlrev_b32_e32 v21, 29, v2
	v_and_b32_e32 v4, v4, v5
	v_not_b32_e32 v5, v21
	v_cmp_gt_i64_e32 vcc, 0, v[20:21]
	v_ashrrev_i32_e32 v5, 31, v5
	v_xor_b32_e32 v21, vcc_hi, v5
	v_xor_b32_e32 v5, vcc_lo, v5
	v_and_b32_e32 v3, v3, v21
	v_lshlrev_b32_e32 v21, 28, v2
	v_and_b32_e32 v4, v4, v5
	v_not_b32_e32 v5, v21
	v_cmp_gt_i64_e32 vcc, 0, v[20:21]
	v_ashrrev_i32_e32 v5, 31, v5
	v_xor_b32_e32 v21, vcc_hi, v5
	;; [unrolled: 8-line block ×5, first 2 shown]
	v_and_b32_e32 v3, v3, v21
	v_lshlrev_b32_e32 v21, 24, v2
	v_not_b32_e32 v2, v21
	v_xor_b32_e32 v5, vcc_lo, v5
	v_cmp_gt_i64_e32 vcc, 0, v[20:21]
	v_ashrrev_i32_e32 v2, 31, v2
	v_and_b32_e32 v4, v4, v5
	v_xor_b32_e32 v5, vcc_hi, v2
	v_xor_b32_e32 v2, vcc_lo, v2
	v_and_b32_e32 v2, v4, v2
	v_and_b32_e32 v3, v3, v5
	v_mbcnt_lo_u32_b32 v4, v2, 0
	v_mbcnt_hi_u32_b32 v123, v3, v4
	v_cmp_eq_u32_e32 vcc, 0, v123
	v_cmp_ne_u64_e64 s[36:37], 0, v[2:3]
	s_and_b64 s[38:39], s[36:37], vcc
	; wave barrier
	s_and_saveexec_b64 s[36:37], s[38:39]
	s_cbranch_execz .LBB1458_267
; %bb.266:                              ;   in Loop: Header=BB1458_237 Depth=2
	v_bcnt_u32_b32 v2, v2, 0
	v_bcnt_u32_b32 v2, v3, v2
	s_waitcnt lgkmcnt(0)
	v_add_u32_e32 v2, v122, v2
	ds_write_b32 v9, v2
.LBB1458_267:                           ;   in Loop: Header=BB1458_237 Depth=2
	s_or_b64 exec, exec, s[36:37]
	; wave barrier
	s_waitcnt lgkmcnt(0)
	s_barrier
	ds_read_b32 v21, v50 offset:1040
	ds_read2_b32 v[4:5], v52 offset0:1 offset1:2
	ds_read2_b32 v[2:3], v52 offset0:3 offset1:4
	s_waitcnt lgkmcnt(1)
	v_add3_u32 v124, v4, v21, v5
	s_waitcnt lgkmcnt(0)
	v_add3_u32 v3, v124, v2, v3
	s_nop 1
	v_mov_b32_dpp v124, v3 row_shr:1 row_mask:0xf bank_mask:0xf
	v_cndmask_b32_e64 v124, v124, 0, s[16:17]
	v_add_u32_e32 v3, v124, v3
	s_nop 1
	v_mov_b32_dpp v124, v3 row_shr:2 row_mask:0xf bank_mask:0xf
	v_cndmask_b32_e64 v124, 0, v124, s[18:19]
	v_add_u32_e32 v3, v3, v124
	;; [unrolled: 4-line block ×4, first 2 shown]
	s_nop 1
	v_mov_b32_dpp v124, v3 row_bcast:15 row_mask:0xf bank_mask:0xf
	v_cndmask_b32_e64 v124, v124, 0, s[24:25]
	v_add_u32_e32 v3, v3, v124
	s_nop 1
	v_mov_b32_dpp v124, v3 row_bcast:31 row_mask:0xf bank_mask:0xf
	v_cndmask_b32_e64 v124, 0, v124, s[26:27]
	v_add_u32_e32 v3, v3, v124
	s_and_saveexec_b64 s[36:37], s[6:7]
	s_cbranch_execz .LBB1458_269
; %bb.268:                              ;   in Loop: Header=BB1458_237 Depth=2
	ds_write_b32 v43, v3 offset:1024
.LBB1458_269:                           ;   in Loop: Header=BB1458_237 Depth=2
	s_or_b64 exec, exec, s[36:37]
	s_waitcnt lgkmcnt(0)
	s_barrier
	s_and_saveexec_b64 s[36:37], s[8:9]
	s_cbranch_execz .LBB1458_271
; %bb.270:                              ;   in Loop: Header=BB1458_237 Depth=2
	ds_read_b32 v124, v53 offset:1024
	s_waitcnt lgkmcnt(0)
	s_nop 0
	v_mov_b32_dpp v125, v124 row_shr:1 row_mask:0xf bank_mask:0xf
	v_cndmask_b32_e64 v125, v125, 0, s[30:31]
	v_add_u32_e32 v124, v125, v124
	s_nop 1
	v_mov_b32_dpp v125, v124 row_shr:2 row_mask:0xf bank_mask:0xf
	v_cndmask_b32_e64 v125, 0, v125, s[34:35]
	v_add_u32_e32 v124, v124, v125
	ds_write_b32 v53, v124 offset:1024
.LBB1458_271:                           ;   in Loop: Header=BB1458_237 Depth=2
	s_or_b64 exec, exec, s[36:37]
	v_mov_b32_e32 v124, 0
	s_waitcnt lgkmcnt(0)
	s_barrier
	s_and_saveexec_b64 s[36:37], s[10:11]
	s_cbranch_execz .LBB1458_273
; %bb.272:                              ;   in Loop: Header=BB1458_237 Depth=2
	ds_read_b32 v124, v43 offset:1020
.LBB1458_273:                           ;   in Loop: Header=BB1458_237 Depth=2
	s_or_b64 exec, exec, s[36:37]
	s_waitcnt lgkmcnt(0)
	v_add_u32_e32 v3, v124, v3
	ds_bpermute_b32 v3, v75, v3
	s_waitcnt lgkmcnt(0)
	v_cndmask_b32_e64 v3, v3, v124, s[28:29]
	v_cndmask_b32_e64 v3, v3, 0, s[12:13]
	v_add_u32_e32 v21, v3, v21
	ds_write_b32 v50, v3 offset:1040
	v_add_u32_e32 v3, v21, v4
	v_add_u32_e32 v4, v3, v5
	;; [unrolled: 1-line block ×3, first 2 shown]
	ds_write2_b32 v52, v21, v3 offset0:1 offset1:2
	ds_write2_b32 v52, v4, v2 offset0:3 offset1:4
	s_waitcnt lgkmcnt(0)
	s_barrier
	ds_read_b32 v2, v102
	ds_read_b32 v3, v106
	;; [unrolled: 1-line block ×8, first 2 shown]
	ds_read_b32 v9, v50 offset:1040
	v_mov_b32_e32 v4, 0x800
	s_and_saveexec_b64 s[36:37], s[14:15]
	s_cbranch_execz .LBB1458_275
; %bb.274:                              ;   in Loop: Header=BB1458_237 Depth=2
	ds_read_b32 v4, v50 offset:1060
.LBB1458_275:                           ;   in Loop: Header=BB1458_237 Depth=2
	s_or_b64 exec, exec, s[36:37]
	s_waitcnt lgkmcnt(0)
	s_barrier
	s_and_saveexec_b64 s[36:37], s[4:5]
	s_cbranch_execz .LBB1458_277
; %bb.276:                              ;   in Loop: Header=BB1458_237 Depth=2
	ds_read_b32 v21, v19
	s_waitcnt lgkmcnt(0)
	v_sub_u32_e32 v9, v21, v9
	ds_write_b32 v19, v9
.LBB1458_277:                           ;   in Loop: Header=BB1458_237 Depth=2
	s_or_b64 exec, exec, s[36:37]
	v_add_u32_e32 v100, v8, v101
	v_add3_u32 v39, v103, v39, v2
	v_lshlrev_b32_e32 v2, 2, v100
	v_add3_u32 v21, v107, v105, v3
	ds_write_b32 v2, v99 offset:1024
	v_lshlrev_b32_e32 v2, 2, v39
	v_add3_u32 v9, v111, v109, v5
	ds_write_b32 v2, v38 offset:1024
	v_lshlrev_b32_e32 v2, 2, v21
	v_add3_u32 v8, v114, v6, v102
	ds_write_b32 v2, v104 offset:1024
	v_lshlrev_b32_e32 v2, 2, v9
	v_add3_u32 v7, v117, v7, v106
	ds_write_b32 v2, v108 offset:1024
	v_lshlrev_b32_e32 v2, 2, v8
	v_add3_u32 v6, v120, v119, v110
	ds_write_b32 v2, v112 offset:1024
	v_lshlrev_b32_e32 v2, 2, v7
	v_add3_u32 v5, v123, v122, v113
	ds_write_b32 v2, v115 offset:1024
	v_lshlrev_b32_e32 v2, 2, v6
	ds_write_b32 v2, v118 offset:1024
	v_lshlrev_b32_e32 v2, 2, v5
	v_cmp_lt_u32_e32 vcc, v18, v0
	ds_write_b32 v2, v121 offset:1024
	s_waitcnt lgkmcnt(0)
	s_barrier
	s_and_saveexec_b64 s[38:39], vcc
	s_cbranch_execz .LBB1458_285
; %bb.278:                              ;   in Loop: Header=BB1458_237 Depth=2
	ds_read_b32 v2, v53 offset:1024
	v_mov_b32_e32 v3, v20
	v_mov_b32_e32 v99, s61
	s_waitcnt lgkmcnt(0)
	v_cmp_ne_u32_e64 s[36:37], s64, v2
	v_cndmask_b32_e64 v38, v73, v2, s[36:37]
	v_lshrrev_b32_e32 v38, s76, v38
	v_and_b32_e32 v38, s85, v38
	v_lshlrev_b32_e32 v38, 2, v38
	ds_read_b32 v38, v38
	v_cmp_lt_i32_e64 s[36:37], -1, v2
	v_cndmask_b32_e64 v101, v73, -1, s[36:37]
	v_xor_b32_e32 v101, v101, v2
	s_waitcnt lgkmcnt(0)
	v_add_u32_e32 v2, v38, v18
	v_lshlrev_b64 v[2:3], 2, v[2:3]
	v_add_co_u32_e64 v2, s[36:37], s60, v2
	v_addc_co_u32_e64 v3, s[36:37], v99, v3, s[36:37]
	global_store_dword v[2:3], v101, off
	s_or_b64 exec, exec, s[38:39]
	v_cmp_lt_u32_e64 s[36:37], v23, v0
	s_and_saveexec_b64 s[40:41], s[36:37]
	s_cbranch_execnz .LBB1458_286
.LBB1458_279:                           ;   in Loop: Header=BB1458_237 Depth=2
	s_or_b64 exec, exec, s[40:41]
	v_cmp_lt_u32_e64 s[38:39], v25, v0
	s_and_saveexec_b64 s[42:43], s[38:39]
	s_cbranch_execz .LBB1458_287
.LBB1458_280:                           ;   in Loop: Header=BB1458_237 Depth=2
	ds_read_b32 v2, v58 offset:2048
	v_mov_b32_e32 v3, v20
	v_mov_b32_e32 v99, s61
	s_waitcnt lgkmcnt(0)
	v_cmp_ne_u32_e64 s[40:41], s64, v2
	v_cndmask_b32_e64 v38, v73, v2, s[40:41]
	v_lshrrev_b32_e32 v38, s76, v38
	v_and_b32_e32 v38, s85, v38
	v_lshlrev_b32_e32 v38, 2, v38
	ds_read_b32 v38, v38
	v_cmp_lt_i32_e64 s[40:41], -1, v2
	v_cndmask_b32_e64 v101, v73, -1, s[40:41]
	v_xor_b32_e32 v101, v101, v2
	s_waitcnt lgkmcnt(0)
	v_add_u32_e32 v2, v38, v25
	v_lshlrev_b64 v[2:3], 2, v[2:3]
	v_add_co_u32_e64 v2, s[40:41], s60, v2
	v_addc_co_u32_e64 v3, s[40:41], v99, v3, s[40:41]
	global_store_dword v[2:3], v101, off
	s_or_b64 exec, exec, s[42:43]
	v_cmp_lt_u32_e64 s[40:41], v27, v0
	s_and_saveexec_b64 s[44:45], s[40:41]
	s_cbranch_execnz .LBB1458_288
.LBB1458_281:                           ;   in Loop: Header=BB1458_237 Depth=2
	s_or_b64 exec, exec, s[44:45]
	v_cmp_lt_u32_e64 s[42:43], v22, v0
	s_and_saveexec_b64 s[46:47], s[42:43]
	s_cbranch_execz .LBB1458_289
.LBB1458_282:                           ;   in Loop: Header=BB1458_237 Depth=2
	ds_read_b32 v2, v58 offset:4096
	v_mov_b32_e32 v3, v20
	v_mov_b32_e32 v99, s61
	s_waitcnt lgkmcnt(0)
	v_cmp_ne_u32_e64 s[44:45], s64, v2
	v_cndmask_b32_e64 v38, v73, v2, s[44:45]
	v_lshrrev_b32_e32 v38, s76, v38
	v_and_b32_e32 v38, s85, v38
	v_lshlrev_b32_e32 v38, 2, v38
	ds_read_b32 v38, v38
	v_cmp_lt_i32_e64 s[44:45], -1, v2
	v_cndmask_b32_e64 v101, v73, -1, s[44:45]
	v_xor_b32_e32 v101, v101, v2
	s_waitcnt lgkmcnt(0)
	v_add_u32_e32 v2, v38, v22
	v_lshlrev_b64 v[2:3], 2, v[2:3]
	v_add_co_u32_e64 v2, s[44:45], s60, v2
	v_addc_co_u32_e64 v3, s[44:45], v99, v3, s[44:45]
	global_store_dword v[2:3], v101, off
	s_or_b64 exec, exec, s[46:47]
	v_cmp_lt_u32_e64 s[44:45], v24, v0
	s_and_saveexec_b64 s[48:49], s[44:45]
	s_cbranch_execnz .LBB1458_290
.LBB1458_283:                           ;   in Loop: Header=BB1458_237 Depth=2
	s_or_b64 exec, exec, s[48:49]
	v_cmp_lt_u32_e64 s[46:47], v26, v0
	s_and_saveexec_b64 s[52:53], s[46:47]
	s_cbranch_execz .LBB1458_291
.LBB1458_284:                           ;   in Loop: Header=BB1458_237 Depth=2
	ds_read_b32 v2, v58 offset:6144
	v_mov_b32_e32 v3, v20
	v_mov_b32_e32 v99, s61
	s_waitcnt lgkmcnt(0)
	v_cmp_ne_u32_e64 s[48:49], s64, v2
	v_cndmask_b32_e64 v38, v73, v2, s[48:49]
	v_lshrrev_b32_e32 v38, s76, v38
	v_and_b32_e32 v38, s85, v38
	v_lshlrev_b32_e32 v38, 2, v38
	ds_read_b32 v38, v38
	v_cmp_lt_i32_e64 s[48:49], -1, v2
	v_cndmask_b32_e64 v101, v73, -1, s[48:49]
	v_xor_b32_e32 v101, v101, v2
	s_waitcnt lgkmcnt(0)
	v_add_u32_e32 v2, v38, v26
	v_lshlrev_b64 v[2:3], 2, v[2:3]
	v_add_co_u32_e64 v2, s[48:49], s60, v2
	v_addc_co_u32_e64 v3, s[48:49], v99, v3, s[48:49]
	global_store_dword v[2:3], v101, off
	s_or_b64 exec, exec, s[52:53]
	v_cmp_lt_u32_e64 s[48:49], v28, v0
	s_and_saveexec_b64 s[62:63], s[48:49]
	s_cbranch_execnz .LBB1458_292
	s_branch .LBB1458_293
.LBB1458_285:                           ;   in Loop: Header=BB1458_237 Depth=2
	s_or_b64 exec, exec, s[38:39]
	v_cmp_lt_u32_e64 s[36:37], v23, v0
	s_and_saveexec_b64 s[40:41], s[36:37]
	s_cbranch_execz .LBB1458_279
.LBB1458_286:                           ;   in Loop: Header=BB1458_237 Depth=2
	ds_read_b32 v2, v58 offset:1024
	v_mov_b32_e32 v3, v20
	v_mov_b32_e32 v99, s61
	s_waitcnt lgkmcnt(0)
	v_cmp_ne_u32_e64 s[38:39], s64, v2
	v_cndmask_b32_e64 v38, v73, v2, s[38:39]
	v_lshrrev_b32_e32 v38, s76, v38
	v_and_b32_e32 v38, s85, v38
	v_lshlrev_b32_e32 v38, 2, v38
	ds_read_b32 v38, v38
	v_cmp_lt_i32_e64 s[38:39], -1, v2
	v_cndmask_b32_e64 v101, v73, -1, s[38:39]
	v_xor_b32_e32 v101, v101, v2
	s_waitcnt lgkmcnt(0)
	v_add_u32_e32 v2, v38, v23
	v_lshlrev_b64 v[2:3], 2, v[2:3]
	v_add_co_u32_e64 v2, s[38:39], s60, v2
	v_addc_co_u32_e64 v3, s[38:39], v99, v3, s[38:39]
	global_store_dword v[2:3], v101, off
	s_or_b64 exec, exec, s[40:41]
	v_cmp_lt_u32_e64 s[38:39], v25, v0
	s_and_saveexec_b64 s[42:43], s[38:39]
	s_cbranch_execnz .LBB1458_280
.LBB1458_287:                           ;   in Loop: Header=BB1458_237 Depth=2
	s_or_b64 exec, exec, s[42:43]
	v_cmp_lt_u32_e64 s[40:41], v27, v0
	s_and_saveexec_b64 s[44:45], s[40:41]
	s_cbranch_execz .LBB1458_281
.LBB1458_288:                           ;   in Loop: Header=BB1458_237 Depth=2
	ds_read_b32 v2, v58 offset:3072
	v_mov_b32_e32 v3, v20
	v_mov_b32_e32 v99, s61
	s_waitcnt lgkmcnt(0)
	v_cmp_ne_u32_e64 s[42:43], s64, v2
	v_cndmask_b32_e64 v38, v73, v2, s[42:43]
	v_lshrrev_b32_e32 v38, s76, v38
	v_and_b32_e32 v38, s85, v38
	v_lshlrev_b32_e32 v38, 2, v38
	ds_read_b32 v38, v38
	v_cmp_lt_i32_e64 s[42:43], -1, v2
	v_cndmask_b32_e64 v101, v73, -1, s[42:43]
	v_xor_b32_e32 v101, v101, v2
	s_waitcnt lgkmcnt(0)
	v_add_u32_e32 v2, v38, v27
	v_lshlrev_b64 v[2:3], 2, v[2:3]
	v_add_co_u32_e64 v2, s[42:43], s60, v2
	v_addc_co_u32_e64 v3, s[42:43], v99, v3, s[42:43]
	global_store_dword v[2:3], v101, off
	s_or_b64 exec, exec, s[44:45]
	v_cmp_lt_u32_e64 s[42:43], v22, v0
	s_and_saveexec_b64 s[46:47], s[42:43]
	s_cbranch_execnz .LBB1458_282
.LBB1458_289:                           ;   in Loop: Header=BB1458_237 Depth=2
	s_or_b64 exec, exec, s[46:47]
	v_cmp_lt_u32_e64 s[44:45], v24, v0
	s_and_saveexec_b64 s[48:49], s[44:45]
	s_cbranch_execz .LBB1458_283
.LBB1458_290:                           ;   in Loop: Header=BB1458_237 Depth=2
	ds_read_b32 v2, v58 offset:5120
	v_mov_b32_e32 v3, v20
	v_mov_b32_e32 v99, s61
	s_waitcnt lgkmcnt(0)
	v_cmp_ne_u32_e64 s[46:47], s64, v2
	v_cndmask_b32_e64 v38, v73, v2, s[46:47]
	v_lshrrev_b32_e32 v38, s76, v38
	v_and_b32_e32 v38, s85, v38
	v_lshlrev_b32_e32 v38, 2, v38
	ds_read_b32 v38, v38
	v_cmp_lt_i32_e64 s[46:47], -1, v2
	v_cndmask_b32_e64 v101, v73, -1, s[46:47]
	v_xor_b32_e32 v101, v101, v2
	s_waitcnt lgkmcnt(0)
	v_add_u32_e32 v2, v38, v24
	v_lshlrev_b64 v[2:3], 2, v[2:3]
	v_add_co_u32_e64 v2, s[46:47], s60, v2
	v_addc_co_u32_e64 v3, s[46:47], v99, v3, s[46:47]
	global_store_dword v[2:3], v101, off
	s_or_b64 exec, exec, s[48:49]
	v_cmp_lt_u32_e64 s[46:47], v26, v0
	s_and_saveexec_b64 s[52:53], s[46:47]
	s_cbranch_execnz .LBB1458_284
.LBB1458_291:                           ;   in Loop: Header=BB1458_237 Depth=2
	s_or_b64 exec, exec, s[52:53]
	v_cmp_lt_u32_e64 s[48:49], v28, v0
	s_and_saveexec_b64 s[62:63], s[48:49]
	s_cbranch_execz .LBB1458_293
.LBB1458_292:                           ;   in Loop: Header=BB1458_237 Depth=2
	ds_read_b32 v2, v58 offset:7168
	v_mov_b32_e32 v3, v20
	v_mov_b32_e32 v99, s61
	s_waitcnt lgkmcnt(0)
	v_cmp_ne_u32_e64 s[52:53], s64, v2
	v_cndmask_b32_e64 v38, v73, v2, s[52:53]
	v_lshrrev_b32_e32 v38, s76, v38
	v_and_b32_e32 v38, s85, v38
	v_lshlrev_b32_e32 v38, 2, v38
	ds_read_b32 v38, v38
	v_cmp_lt_i32_e64 s[52:53], -1, v2
	v_cndmask_b32_e64 v101, v73, -1, s[52:53]
	v_xor_b32_e32 v101, v101, v2
	s_waitcnt lgkmcnt(0)
	v_add_u32_e32 v2, v38, v28
	v_lshlrev_b64 v[2:3], 2, v[2:3]
	v_add_co_u32_e64 v2, s[52:53], s60, v2
	v_addc_co_u32_e64 v3, s[52:53], v99, v3, s[52:53]
	global_store_dword v[2:3], v101, off
.LBB1458_293:                           ;   in Loop: Header=BB1458_237 Depth=2
	s_or_b64 exec, exec, s[62:63]
	s_lshl_b64 s[52:53], s[80:81], 3
	v_mov_b32_e32 v3, s53
	v_add_co_u32_e64 v2, s[52:53], s52, v83
	v_addc_co_u32_e64 v3, s[52:53], v85, v3, s[52:53]
	v_cmp_lt_u32_e64 s[52:53], v80, v0
	s_and_saveexec_b64 s[62:63], s[52:53]
	s_xor_b64 s[52:53], exec, s[62:63]
	s_cbranch_execz .LBB1458_309
; %bb.294:                              ;   in Loop: Header=BB1458_237 Depth=2
	global_load_dwordx2 v[36:37], v[2:3], off
	s_or_b64 exec, exec, s[52:53]
	v_cmp_lt_u32_e64 s[52:53], v87, v0
	s_and_saveexec_b64 s[62:63], s[52:53]
	s_cbranch_execnz .LBB1458_310
.LBB1458_295:                           ;   in Loop: Header=BB1458_237 Depth=2
	s_or_b64 exec, exec, s[62:63]
	v_cmp_lt_u32_e64 s[52:53], v88, v0
	s_and_saveexec_b64 s[62:63], s[52:53]
	s_cbranch_execz .LBB1458_311
.LBB1458_296:                           ;   in Loop: Header=BB1458_237 Depth=2
	global_load_dwordx2 v[32:33], v[2:3], off offset:1024
	s_or_b64 exec, exec, s[62:63]
	v_cmp_lt_u32_e64 s[52:53], v89, v0
	s_and_saveexec_b64 s[62:63], s[52:53]
	s_cbranch_execnz .LBB1458_312
.LBB1458_297:                           ;   in Loop: Header=BB1458_237 Depth=2
	s_or_b64 exec, exec, s[62:63]
	v_cmp_lt_u32_e64 s[52:53], v90, v0
	s_and_saveexec_b64 s[62:63], s[52:53]
	s_cbranch_execz .LBB1458_313
.LBB1458_298:                           ;   in Loop: Header=BB1458_237 Depth=2
	global_load_dwordx2 v[16:17], v[2:3], off offset:2048
	s_or_b64 exec, exec, s[62:63]
	v_cmp_lt_u32_e64 s[52:53], v91, v0
	s_and_saveexec_b64 s[62:63], s[52:53]
	s_cbranch_execnz .LBB1458_314
.LBB1458_299:                           ;   in Loop: Header=BB1458_237 Depth=2
	s_or_b64 exec, exec, s[62:63]
	v_cmp_lt_u32_e64 s[52:53], v92, v0
	s_and_saveexec_b64 s[62:63], s[52:53]
	s_cbranch_execz .LBB1458_315
.LBB1458_300:                           ;   in Loop: Header=BB1458_237 Depth=2
	global_load_dwordx2 v[12:13], v[2:3], off offset:3072
	s_or_b64 exec, exec, s[62:63]
	v_cmp_lt_u32_e64 s[52:53], v93, v0
	s_and_saveexec_b64 s[62:63], s[52:53]
	s_cbranch_execnz .LBB1458_316
.LBB1458_301:                           ;   in Loop: Header=BB1458_237 Depth=2
	s_or_b64 exec, exec, s[62:63]
	s_and_saveexec_b64 s[62:63], vcc
	s_cbranch_execz .LBB1458_317
.LBB1458_302:                           ;   in Loop: Header=BB1458_237 Depth=2
	ds_read_b32 v0, v53 offset:1024
	s_waitcnt lgkmcnt(0)
	v_cmp_ne_u32_e64 s[52:53], s64, v0
	v_cndmask_b32_e64 v0, v73, v0, s[52:53]
	v_lshrrev_b32_e32 v0, s76, v0
	v_and_b32_e32 v86, s85, v0
	s_or_b64 exec, exec, s[62:63]
	s_and_saveexec_b64 s[62:63], s[36:37]
	s_cbranch_execnz .LBB1458_318
.LBB1458_303:                           ;   in Loop: Header=BB1458_237 Depth=2
	s_or_b64 exec, exec, s[62:63]
	s_and_saveexec_b64 s[62:63], s[38:39]
	s_cbranch_execz .LBB1458_319
.LBB1458_304:                           ;   in Loop: Header=BB1458_237 Depth=2
	ds_read_b32 v0, v58 offset:2048
	s_waitcnt lgkmcnt(0)
	v_cmp_ne_u32_e64 s[52:53], s64, v0
	v_cndmask_b32_e64 v0, v73, v0, s[52:53]
	v_lshrrev_b32_e32 v0, s76, v0
	v_and_b32_e32 v82, s85, v0
	s_or_b64 exec, exec, s[62:63]
	s_and_saveexec_b64 s[62:63], s[40:41]
	s_cbranch_execnz .LBB1458_320
.LBB1458_305:                           ;   in Loop: Header=BB1458_237 Depth=2
	s_or_b64 exec, exec, s[62:63]
	s_and_saveexec_b64 s[62:63], s[42:43]
	s_cbranch_execz .LBB1458_321
.LBB1458_306:                           ;   in Loop: Header=BB1458_237 Depth=2
	ds_read_b32 v0, v58 offset:4096
	s_waitcnt lgkmcnt(0)
	v_cmp_ne_u32_e64 s[52:53], s64, v0
	v_cndmask_b32_e64 v0, v73, v0, s[52:53]
	v_lshrrev_b32_e32 v0, s76, v0
	v_and_b32_e32 v79, s85, v0
	s_or_b64 exec, exec, s[62:63]
	s_and_saveexec_b64 s[62:63], s[44:45]
	s_cbranch_execnz .LBB1458_322
.LBB1458_307:                           ;   in Loop: Header=BB1458_237 Depth=2
	s_or_b64 exec, exec, s[62:63]
	s_and_saveexec_b64 s[62:63], s[46:47]
	s_cbranch_execz .LBB1458_323
.LBB1458_308:                           ;   in Loop: Header=BB1458_237 Depth=2
	ds_read_b32 v0, v58 offset:6144
	s_waitcnt lgkmcnt(0)
	v_cmp_ne_u32_e64 s[52:53], s64, v0
	v_cndmask_b32_e64 v0, v73, v0, s[52:53]
	v_lshrrev_b32_e32 v0, s76, v0
	v_and_b32_e32 v77, s85, v0
	s_or_b64 exec, exec, s[62:63]
	s_and_saveexec_b64 s[62:63], s[48:49]
	s_cbranch_execnz .LBB1458_324
	s_branch .LBB1458_325
.LBB1458_309:                           ;   in Loop: Header=BB1458_237 Depth=2
	s_or_b64 exec, exec, s[52:53]
	v_cmp_lt_u32_e64 s[52:53], v87, v0
	s_and_saveexec_b64 s[62:63], s[52:53]
	s_cbranch_execz .LBB1458_295
.LBB1458_310:                           ;   in Loop: Header=BB1458_237 Depth=2
	global_load_dwordx2 v[34:35], v[2:3], off offset:512
	s_or_b64 exec, exec, s[62:63]
	v_cmp_lt_u32_e64 s[52:53], v88, v0
	s_and_saveexec_b64 s[62:63], s[52:53]
	s_cbranch_execnz .LBB1458_296
.LBB1458_311:                           ;   in Loop: Header=BB1458_237 Depth=2
	s_or_b64 exec, exec, s[62:63]
	v_cmp_lt_u32_e64 s[52:53], v89, v0
	s_and_saveexec_b64 s[62:63], s[52:53]
	s_cbranch_execz .LBB1458_297
.LBB1458_312:                           ;   in Loop: Header=BB1458_237 Depth=2
	global_load_dwordx2 v[30:31], v[2:3], off offset:1536
	s_or_b64 exec, exec, s[62:63]
	v_cmp_lt_u32_e64 s[52:53], v90, v0
	s_and_saveexec_b64 s[62:63], s[52:53]
	s_cbranch_execnz .LBB1458_298
.LBB1458_313:                           ;   in Loop: Header=BB1458_237 Depth=2
	s_or_b64 exec, exec, s[62:63]
	v_cmp_lt_u32_e64 s[52:53], v91, v0
	s_and_saveexec_b64 s[62:63], s[52:53]
	s_cbranch_execz .LBB1458_299
.LBB1458_314:                           ;   in Loop: Header=BB1458_237 Depth=2
	global_load_dwordx2 v[14:15], v[2:3], off offset:2560
	s_or_b64 exec, exec, s[62:63]
	v_cmp_lt_u32_e64 s[52:53], v92, v0
	s_and_saveexec_b64 s[62:63], s[52:53]
	s_cbranch_execnz .LBB1458_300
.LBB1458_315:                           ;   in Loop: Header=BB1458_237 Depth=2
	s_or_b64 exec, exec, s[62:63]
	v_cmp_lt_u32_e64 s[52:53], v93, v0
	s_and_saveexec_b64 s[62:63], s[52:53]
	s_cbranch_execz .LBB1458_301
.LBB1458_316:                           ;   in Loop: Header=BB1458_237 Depth=2
	global_load_dwordx2 v[10:11], v[2:3], off offset:3584
	s_or_b64 exec, exec, s[62:63]
	s_and_saveexec_b64 s[62:63], vcc
	s_cbranch_execnz .LBB1458_302
.LBB1458_317:                           ;   in Loop: Header=BB1458_237 Depth=2
	s_or_b64 exec, exec, s[62:63]
	s_and_saveexec_b64 s[62:63], s[36:37]
	s_cbranch_execz .LBB1458_303
.LBB1458_318:                           ;   in Loop: Header=BB1458_237 Depth=2
	ds_read_b32 v0, v58 offset:1024
	s_waitcnt lgkmcnt(0)
	v_cmp_ne_u32_e64 s[52:53], s64, v0
	v_cndmask_b32_e64 v0, v73, v0, s[52:53]
	v_lshrrev_b32_e32 v0, s76, v0
	v_and_b32_e32 v84, s85, v0
	s_or_b64 exec, exec, s[62:63]
	s_and_saveexec_b64 s[62:63], s[38:39]
	s_cbranch_execnz .LBB1458_304
.LBB1458_319:                           ;   in Loop: Header=BB1458_237 Depth=2
	s_or_b64 exec, exec, s[62:63]
	s_and_saveexec_b64 s[62:63], s[40:41]
	s_cbranch_execz .LBB1458_305
.LBB1458_320:                           ;   in Loop: Header=BB1458_237 Depth=2
	ds_read_b32 v0, v58 offset:3072
	s_waitcnt lgkmcnt(0)
	v_cmp_ne_u32_e64 s[52:53], s64, v0
	v_cndmask_b32_e64 v0, v73, v0, s[52:53]
	v_lshrrev_b32_e32 v0, s76, v0
	v_and_b32_e32 v81, s85, v0
	s_or_b64 exec, exec, s[62:63]
	s_and_saveexec_b64 s[62:63], s[42:43]
	s_cbranch_execnz .LBB1458_306
.LBB1458_321:                           ;   in Loop: Header=BB1458_237 Depth=2
	s_or_b64 exec, exec, s[62:63]
	s_and_saveexec_b64 s[62:63], s[44:45]
	s_cbranch_execz .LBB1458_307
.LBB1458_322:                           ;   in Loop: Header=BB1458_237 Depth=2
	ds_read_b32 v0, v58 offset:5120
	s_waitcnt lgkmcnt(0)
	v_cmp_ne_u32_e64 s[52:53], s64, v0
	v_cndmask_b32_e64 v0, v73, v0, s[52:53]
	v_lshrrev_b32_e32 v0, s76, v0
	v_and_b32_e32 v78, s85, v0
	s_or_b64 exec, exec, s[62:63]
	s_and_saveexec_b64 s[62:63], s[46:47]
	s_cbranch_execnz .LBB1458_308
.LBB1458_323:                           ;   in Loop: Header=BB1458_237 Depth=2
	s_or_b64 exec, exec, s[62:63]
	s_and_saveexec_b64 s[62:63], s[48:49]
	s_cbranch_execz .LBB1458_325
.LBB1458_324:                           ;   in Loop: Header=BB1458_237 Depth=2
	ds_read_b32 v0, v58 offset:7168
	s_waitcnt lgkmcnt(0)
	v_cmp_ne_u32_e64 s[52:53], s64, v0
	v_cndmask_b32_e64 v0, v73, v0, s[52:53]
	v_lshrrev_b32_e32 v0, s76, v0
	v_and_b32_e32 v76, s85, v0
.LBB1458_325:                           ;   in Loop: Header=BB1458_237 Depth=2
	s_or_b64 exec, exec, s[62:63]
	v_lshlrev_b32_e32 v0, 3, v100
	s_barrier
	s_waitcnt vmcnt(0)
	ds_write_b64 v0, v[36:37] offset:1024
	v_lshlrev_b32_e32 v0, 3, v39
	ds_write_b64 v0, v[34:35] offset:1024
	v_lshlrev_b32_e32 v0, 3, v21
	;; [unrolled: 2-line block ×7, first 2 shown]
	ds_write_b64 v0, v[10:11] offset:1024
	s_waitcnt lgkmcnt(0)
	s_barrier
	s_and_saveexec_b64 s[52:53], vcc
	s_cbranch_execz .LBB1458_333
; %bb.326:                              ;   in Loop: Header=BB1458_237 Depth=2
	v_lshlrev_b32_e32 v0, 2, v86
	ds_read_b32 v0, v0
	v_add_u32_e32 v2, v53, v19
	ds_read_b64 v[2:3], v2 offset:1024
	v_mov_b32_e32 v7, v20
	v_mov_b32_e32 v5, s75
	s_waitcnt lgkmcnt(1)
	v_add_u32_e32 v6, v0, v18
	v_lshlrev_b64 v[6:7], 3, v[6:7]
	v_add_co_u32_e32 v6, vcc, s74, v6
	v_addc_co_u32_e32 v7, vcc, v5, v7, vcc
	s_waitcnt lgkmcnt(0)
	global_store_dwordx2 v[6:7], v[2:3], off
	s_or_b64 exec, exec, s[52:53]
	s_and_saveexec_b64 s[52:53], s[36:37]
	s_cbranch_execnz .LBB1458_334
.LBB1458_327:                           ;   in Loop: Header=BB1458_237 Depth=2
	s_or_b64 exec, exec, s[52:53]
	s_and_saveexec_b64 s[36:37], s[38:39]
	s_cbranch_execz .LBB1458_335
.LBB1458_328:                           ;   in Loop: Header=BB1458_237 Depth=2
	v_lshlrev_b32_e32 v0, 2, v82
	ds_read_b32 v0, v0
	v_add_u32_e32 v2, v58, v19
	ds_read_b64 v[2:3], v2 offset:4096
	v_mov_b32_e32 v7, v20
	v_mov_b32_e32 v5, s75
	s_waitcnt lgkmcnt(1)
	v_add_u32_e32 v6, v0, v25
	v_lshlrev_b64 v[6:7], 3, v[6:7]
	v_add_co_u32_e32 v6, vcc, s74, v6
	v_addc_co_u32_e32 v7, vcc, v5, v7, vcc
	s_waitcnt lgkmcnt(0)
	global_store_dwordx2 v[6:7], v[2:3], off
	s_or_b64 exec, exec, s[36:37]
	s_and_saveexec_b64 s[36:37], s[40:41]
	s_cbranch_execnz .LBB1458_336
.LBB1458_329:                           ;   in Loop: Header=BB1458_237 Depth=2
	s_or_b64 exec, exec, s[36:37]
	s_and_saveexec_b64 s[36:37], s[42:43]
	s_cbranch_execz .LBB1458_337
.LBB1458_330:                           ;   in Loop: Header=BB1458_237 Depth=2
	v_lshlrev_b32_e32 v0, 2, v79
	ds_read_b32 v0, v0
	v_add_u32_e32 v2, v58, v19
	ds_read_b64 v[2:3], v2 offset:8192
	v_mov_b32_e32 v7, v20
	v_mov_b32_e32 v5, s75
	s_waitcnt lgkmcnt(1)
	v_add_u32_e32 v6, v0, v22
	v_lshlrev_b64 v[6:7], 3, v[6:7]
	v_add_co_u32_e32 v6, vcc, s74, v6
	v_addc_co_u32_e32 v7, vcc, v5, v7, vcc
	s_waitcnt lgkmcnt(0)
	global_store_dwordx2 v[6:7], v[2:3], off
	s_or_b64 exec, exec, s[36:37]
	s_and_saveexec_b64 s[36:37], s[44:45]
	s_cbranch_execnz .LBB1458_338
.LBB1458_331:                           ;   in Loop: Header=BB1458_237 Depth=2
	s_or_b64 exec, exec, s[36:37]
	s_and_saveexec_b64 s[36:37], s[46:47]
	s_cbranch_execz .LBB1458_339
.LBB1458_332:                           ;   in Loop: Header=BB1458_237 Depth=2
	v_lshlrev_b32_e32 v0, 2, v77
	ds_read_b32 v0, v0
	v_add_u32_e32 v2, v58, v19
	ds_read_b64 v[2:3], v2 offset:12288
	v_mov_b32_e32 v7, v20
	v_mov_b32_e32 v5, s75
	s_waitcnt lgkmcnt(1)
	v_add_u32_e32 v6, v0, v26
	v_lshlrev_b64 v[6:7], 3, v[6:7]
	v_add_co_u32_e32 v6, vcc, s74, v6
	v_addc_co_u32_e32 v7, vcc, v5, v7, vcc
	s_waitcnt lgkmcnt(0)
	global_store_dwordx2 v[6:7], v[2:3], off
	s_or_b64 exec, exec, s[36:37]
	s_and_saveexec_b64 s[36:37], s[48:49]
	s_cbranch_execnz .LBB1458_340
	s_branch .LBB1458_341
.LBB1458_333:                           ;   in Loop: Header=BB1458_237 Depth=2
	s_or_b64 exec, exec, s[52:53]
	s_and_saveexec_b64 s[52:53], s[36:37]
	s_cbranch_execz .LBB1458_327
.LBB1458_334:                           ;   in Loop: Header=BB1458_237 Depth=2
	v_lshlrev_b32_e32 v0, 2, v84
	ds_read_b32 v0, v0
	v_add_u32_e32 v2, v58, v19
	ds_read_b64 v[2:3], v2 offset:2048
	v_mov_b32_e32 v7, v20
	v_mov_b32_e32 v5, s75
	s_waitcnt lgkmcnt(1)
	v_add_u32_e32 v6, v0, v23
	v_lshlrev_b64 v[6:7], 3, v[6:7]
	v_add_co_u32_e32 v6, vcc, s74, v6
	v_addc_co_u32_e32 v7, vcc, v5, v7, vcc
	s_waitcnt lgkmcnt(0)
	global_store_dwordx2 v[6:7], v[2:3], off
	s_or_b64 exec, exec, s[52:53]
	s_and_saveexec_b64 s[36:37], s[38:39]
	s_cbranch_execnz .LBB1458_328
.LBB1458_335:                           ;   in Loop: Header=BB1458_237 Depth=2
	s_or_b64 exec, exec, s[36:37]
	s_and_saveexec_b64 s[36:37], s[40:41]
	s_cbranch_execz .LBB1458_329
.LBB1458_336:                           ;   in Loop: Header=BB1458_237 Depth=2
	v_lshlrev_b32_e32 v0, 2, v81
	ds_read_b32 v0, v0
	v_add_u32_e32 v2, v58, v19
	ds_read_b64 v[2:3], v2 offset:6144
	v_mov_b32_e32 v7, v20
	v_mov_b32_e32 v5, s75
	s_waitcnt lgkmcnt(1)
	v_add_u32_e32 v6, v0, v27
	v_lshlrev_b64 v[6:7], 3, v[6:7]
	v_add_co_u32_e32 v6, vcc, s74, v6
	v_addc_co_u32_e32 v7, vcc, v5, v7, vcc
	s_waitcnt lgkmcnt(0)
	global_store_dwordx2 v[6:7], v[2:3], off
	s_or_b64 exec, exec, s[36:37]
	s_and_saveexec_b64 s[36:37], s[42:43]
	s_cbranch_execnz .LBB1458_330
.LBB1458_337:                           ;   in Loop: Header=BB1458_237 Depth=2
	s_or_b64 exec, exec, s[36:37]
	s_and_saveexec_b64 s[36:37], s[44:45]
	s_cbranch_execz .LBB1458_331
.LBB1458_338:                           ;   in Loop: Header=BB1458_237 Depth=2
	v_lshlrev_b32_e32 v0, 2, v78
	ds_read_b32 v0, v0
	v_add_u32_e32 v2, v58, v19
	ds_read_b64 v[2:3], v2 offset:10240
	v_mov_b32_e32 v7, v20
	v_mov_b32_e32 v5, s75
	s_waitcnt lgkmcnt(1)
	v_add_u32_e32 v6, v0, v24
	v_lshlrev_b64 v[6:7], 3, v[6:7]
	v_add_co_u32_e32 v6, vcc, s74, v6
	v_addc_co_u32_e32 v7, vcc, v5, v7, vcc
	s_waitcnt lgkmcnt(0)
	global_store_dwordx2 v[6:7], v[2:3], off
	s_or_b64 exec, exec, s[36:37]
	s_and_saveexec_b64 s[36:37], s[46:47]
	s_cbranch_execnz .LBB1458_332
.LBB1458_339:                           ;   in Loop: Header=BB1458_237 Depth=2
	s_or_b64 exec, exec, s[36:37]
	s_and_saveexec_b64 s[36:37], s[48:49]
	s_cbranch_execz .LBB1458_341
.LBB1458_340:                           ;   in Loop: Header=BB1458_237 Depth=2
	v_lshlrev_b32_e32 v0, 2, v76
	ds_read_b32 v0, v0
	v_add_u32_e32 v2, v58, v19
	ds_read_b64 v[2:3], v2 offset:14336
	v_mov_b32_e32 v7, v20
	v_mov_b32_e32 v5, s75
	s_waitcnt lgkmcnt(1)
	v_add_u32_e32 v6, v0, v28
	v_lshlrev_b64 v[6:7], 3, v[6:7]
	v_add_co_u32_e32 v6, vcc, s74, v6
	v_addc_co_u32_e32 v7, vcc, v5, v7, vcc
	s_waitcnt lgkmcnt(0)
	global_store_dwordx2 v[6:7], v[2:3], off
.LBB1458_341:                           ;   in Loop: Header=BB1458_237 Depth=2
	s_or_b64 exec, exec, s[36:37]
	s_barrier
	s_and_saveexec_b64 s[36:37], s[4:5]
	s_cbranch_execz .LBB1458_236
; %bb.342:                              ;   in Loop: Header=BB1458_237 Depth=2
	ds_read_b32 v0, v19
	s_waitcnt lgkmcnt(0)
	v_add_u32_e32 v0, v0, v4
	ds_write_b32 v19, v0
	s_branch .LBB1458_236
.LBB1458_343:                           ;   in Loop: Header=BB1458_237 Depth=2
	s_or_b64 exec, exec, s[36:37]
	v_cmp_gt_u32_e32 vcc, s86, v87
	s_and_saveexec_b64 s[36:37], vcc
	s_cbranch_execz .LBB1458_242
.LBB1458_344:                           ;   in Loop: Header=BB1458_237 Depth=2
	global_load_dword v3, v[38:39], off offset:256
	s_or_b64 exec, exec, s[36:37]
	v_cmp_gt_u32_e32 vcc, s86, v88
	s_and_saveexec_b64 s[36:37], vcc
	s_cbranch_execnz .LBB1458_243
.LBB1458_345:                           ;   in Loop: Header=BB1458_237 Depth=2
	s_or_b64 exec, exec, s[36:37]
	v_cmp_gt_u32_e32 vcc, s86, v89
	s_and_saveexec_b64 s[36:37], vcc
	s_cbranch_execz .LBB1458_244
.LBB1458_346:                           ;   in Loop: Header=BB1458_237 Depth=2
	global_load_dword v5, v[38:39], off offset:768
	s_or_b64 exec, exec, s[36:37]
	v_cmp_gt_u32_e32 vcc, s86, v90
	s_and_saveexec_b64 s[36:37], vcc
	s_cbranch_execnz .LBB1458_245
.LBB1458_347:                           ;   in Loop: Header=BB1458_237 Depth=2
	s_or_b64 exec, exec, s[36:37]
	v_cmp_gt_u32_e32 vcc, s86, v91
	s_and_saveexec_b64 s[36:37], vcc
	s_cbranch_execz .LBB1458_246
.LBB1458_348:                           ;   in Loop: Header=BB1458_237 Depth=2
	global_load_dword v7, v[38:39], off offset:1280
	s_or_b64 exec, exec, s[36:37]
	v_cmp_gt_u32_e32 vcc, s86, v92
	s_and_saveexec_b64 s[36:37], vcc
	s_cbranch_execnz .LBB1458_247
	s_branch .LBB1458_248
.LBB1458_349:                           ;   in Loop: Header=BB1458_17 Depth=1
	s_waitcnt lgkmcnt(0)
	s_barrier
.LBB1458_350:                           ;   in Loop: Header=BB1458_17 Depth=1
	s_mov_b64 s[16:17], 0
.LBB1458_351:                           ;   in Loop: Header=BB1458_17 Depth=1
	s_andn2_b64 vcc, exec, s[16:17]
	s_cbranch_vccnz .LBB1458_16
; %bb.352:                              ;   in Loop: Header=BB1458_17 Depth=1
	s_mov_b64 s[16:17], -1
	s_and_b64 vcc, exec, s[54:55]
	s_cbranch_vccz .LBB1458_518
; %bb.353:                              ;   in Loop: Header=BB1458_17 Depth=1
	s_mov_b32 s22, s79
	s_mov_b32 s80, s51
	s_barrier
	s_waitcnt lgkmcnt(0)
                                        ; implicit-def: $vgpr2_vgpr3_vgpr4_vgpr5_vgpr6_vgpr7_vgpr8_vgpr9
	s_branch .LBB1458_355
.LBB1458_354:                           ;   in Loop: Header=BB1458_355 Depth=2
	s_or_b64 exec, exec, s[16:17]
	s_addk_i32 s22, 0xf800
	s_cmp_ge_u32 s23, s84
	s_mov_b32 s80, s23
	s_cbranch_scc1 .LBB1458_393
.LBB1458_355:                           ;   Parent Loop BB1458_17 Depth=1
                                        ; =>  This Inner Loop Header: Depth=2
	s_add_i32 s23, s80, 0x800
	s_cmp_gt_u32 s23, s84
	s_cbranch_scc1 .LBB1458_358
; %bb.356:                              ;   in Loop: Header=BB1458_355 Depth=2
	s_lshl_b64 s[16:17], s[80:81], 2
	v_mov_b32_e32 v0, s17
	v_add_co_u32_e32 v30, vcc, s16, v65
	v_addc_co_u32_e32 v31, vcc, v66, v0, vcc
	v_add_co_u32_e32 v32, vcc, 0x1000, v30
	v_addc_co_u32_e32 v33, vcc, 0, v31, vcc
	global_load_dword v10, v[30:31], off
	global_load_dword v11, v[30:31], off offset:1024
	global_load_dword v12, v[30:31], off offset:2048
	;; [unrolled: 1-line block ×3, first 2 shown]
	global_load_dword v14, v[32:33], off
	global_load_dword v15, v[32:33], off offset:1024
	global_load_dword v16, v[32:33], off offset:2048
	v_add_co_u32_e32 v30, vcc, 0x1c00, v30
	v_addc_co_u32_e32 v31, vcc, 0, v31, vcc
	s_mov_b64 s[16:17], -1
	s_movk_i32 s24, 0x800
	s_cbranch_execz .LBB1458_359
; %bb.357:                              ;   in Loop: Header=BB1458_355 Depth=2
                                        ; implicit-def: $vgpr2_vgpr3_vgpr4_vgpr5_vgpr6_vgpr7_vgpr8_vgpr9
	v_mov_b32_e32 v0, s22
	s_and_saveexec_b64 s[18:19], s[16:17]
	s_cbranch_execnz .LBB1458_370
	s_branch .LBB1458_371
.LBB1458_358:                           ;   in Loop: Header=BB1458_355 Depth=2
	s_mov_b64 s[16:17], 0
                                        ; implicit-def: $sgpr24
                                        ; implicit-def: $vgpr10_vgpr11_vgpr12_vgpr13_vgpr14_vgpr15_vgpr16_vgpr17
                                        ; implicit-def: $vgpr30_vgpr31
.LBB1458_359:                           ;   in Loop: Header=BB1458_355 Depth=2
	s_lshl_b64 s[18:19], s[80:81], 2
	s_add_u32 s18, s56, s18
	s_addc_u32 s19, s57, s19
	v_cmp_gt_u32_e32 vcc, s22, v18
	s_and_saveexec_b64 s[20:21], vcc
	s_cbranch_execz .LBB1458_387
; %bb.360:                              ;   in Loop: Header=BB1458_355 Depth=2
	global_load_dword v2, v72, s[18:19]
	s_or_b64 exec, exec, s[20:21]
	v_cmp_gt_u32_e32 vcc, s22, v23
	s_and_saveexec_b64 s[20:21], vcc
	s_cbranch_execnz .LBB1458_388
.LBB1458_361:                           ;   in Loop: Header=BB1458_355 Depth=2
	s_or_b64 exec, exec, s[20:21]
	v_cmp_gt_u32_e32 vcc, s22, v25
	s_and_saveexec_b64 s[20:21], vcc
	s_cbranch_execz .LBB1458_389
.LBB1458_362:                           ;   in Loop: Header=BB1458_355 Depth=2
	global_load_dword v4, v72, s[18:19] offset:2048
	s_or_b64 exec, exec, s[20:21]
	v_cmp_gt_u32_e32 vcc, s22, v27
	s_and_saveexec_b64 s[20:21], vcc
	s_cbranch_execnz .LBB1458_390
.LBB1458_363:                           ;   in Loop: Header=BB1458_355 Depth=2
	s_or_b64 exec, exec, s[20:21]
	v_cmp_gt_u32_e32 vcc, s22, v22
	s_and_saveexec_b64 s[20:21], vcc
	s_cbranch_execz .LBB1458_391
.LBB1458_364:                           ;   in Loop: Header=BB1458_355 Depth=2
	v_lshlrev_b32_e32 v0, 2, v22
	global_load_dword v6, v0, s[18:19]
	s_or_b64 exec, exec, s[20:21]
	v_cmp_gt_u32_e32 vcc, s22, v24
	s_and_saveexec_b64 s[20:21], vcc
	s_cbranch_execnz .LBB1458_392
.LBB1458_365:                           ;   in Loop: Header=BB1458_355 Depth=2
	s_or_b64 exec, exec, s[20:21]
	v_cmp_gt_u32_e32 vcc, s22, v26
	s_and_saveexec_b64 s[20:21], vcc
	s_cbranch_execz .LBB1458_367
.LBB1458_366:                           ;   in Loop: Header=BB1458_355 Depth=2
	v_lshlrev_b32_e32 v0, 2, v26
	global_load_dword v8, v0, s[18:19]
.LBB1458_367:                           ;   in Loop: Header=BB1458_355 Depth=2
	s_or_b64 exec, exec, s[20:21]
	v_cmp_gt_u32_e32 vcc, s22, v28
                                        ; implicit-def: $sgpr24
                                        ; implicit-def: $vgpr30_vgpr31
	s_and_saveexec_b64 s[20:21], vcc
	s_cbranch_execz .LBB1458_369
; %bb.368:                              ;   in Loop: Header=BB1458_355 Depth=2
	v_lshlrev_b32_e32 v0, 2, v28
	s_waitcnt vmcnt(6)
	v_mov_b32_e32 v10, s19
	v_add_co_u32_e32 v30, vcc, s18, v0
	s_sub_i32 s24, s84, s80
	v_addc_co_u32_e32 v31, vcc, 0, v10, vcc
	s_or_b64 s[16:17], s[16:17], exec
.LBB1458_369:                           ;   in Loop: Header=BB1458_355 Depth=2
	s_or_b64 exec, exec, s[20:21]
	s_waitcnt vmcnt(0)
	v_pk_mov_b32 v[16:17], v[8:9], v[8:9] op_sel:[0,1]
	v_pk_mov_b32 v[14:15], v[6:7], v[6:7] op_sel:[0,1]
	v_pk_mov_b32 v[12:13], v[4:5], v[4:5] op_sel:[0,1]
	v_pk_mov_b32 v[10:11], v[2:3], v[2:3] op_sel:[0,1]
	v_mov_b32_e32 v0, s22
	s_and_saveexec_b64 s[18:19], s[16:17]
	s_cbranch_execz .LBB1458_371
.LBB1458_370:                           ;   in Loop: Header=BB1458_355 Depth=2
	global_load_dword v17, v[30:31], off
	s_waitcnt vmcnt(0)
	v_pk_mov_b32 v[2:3], v[10:11], v[10:11] op_sel:[0,1]
	v_mov_b32_e32 v0, s24
	v_pk_mov_b32 v[4:5], v[12:13], v[12:13] op_sel:[0,1]
	v_pk_mov_b32 v[6:7], v[14:15], v[14:15] op_sel:[0,1]
	;; [unrolled: 1-line block ×3, first 2 shown]
.LBB1458_371:                           ;   in Loop: Header=BB1458_355 Depth=2
	s_or_b64 exec, exec, s[18:19]
	v_cmp_lt_u32_e32 vcc, v18, v0
	s_and_saveexec_b64 s[16:17], vcc
	s_cbranch_execz .LBB1458_379
; %bb.372:                              ;   in Loop: Header=BB1458_355 Depth=2
	v_cmp_lt_i32_e32 vcc, -1, v2
	s_waitcnt vmcnt(6)
	v_cndmask_b32_e32 v10, -1, v73, vcc
	v_xor_b32_e32 v10, v10, v2
	v_cmp_ne_u32_e32 vcc, s64, v10
	v_cndmask_b32_e32 v10, v73, v10, vcc
	v_lshrrev_b32_e32 v10, s77, v10
	v_and_b32_e32 v10, s85, v10
	s_waitcnt vmcnt(5)
	v_lshlrev_b32_e32 v11, 2, v29
	v_lshl_or_b32 v10, v10, 4, v11
	ds_add_u32 v10, v71
	s_or_b64 exec, exec, s[16:17]
	v_cmp_lt_u32_e32 vcc, v23, v0
	s_and_saveexec_b64 s[16:17], vcc
	s_cbranch_execnz .LBB1458_380
.LBB1458_373:                           ;   in Loop: Header=BB1458_355 Depth=2
	s_or_b64 exec, exec, s[16:17]
	v_cmp_lt_u32_e32 vcc, v25, v0
	s_and_saveexec_b64 s[16:17], vcc
	s_cbranch_execz .LBB1458_381
.LBB1458_374:                           ;   in Loop: Header=BB1458_355 Depth=2
	v_cmp_lt_i32_e32 vcc, -1, v4
	s_waitcnt vmcnt(6)
	v_cndmask_b32_e32 v10, -1, v73, vcc
	v_xor_b32_e32 v10, v10, v4
	v_cmp_ne_u32_e32 vcc, s64, v10
	v_cndmask_b32_e32 v10, v73, v10, vcc
	v_lshrrev_b32_e32 v10, s77, v10
	v_and_b32_e32 v10, s85, v10
	s_waitcnt vmcnt(5)
	v_lshlrev_b32_e32 v11, 2, v29
	v_lshl_or_b32 v10, v10, 4, v11
	ds_add_u32 v10, v71
	s_or_b64 exec, exec, s[16:17]
	v_cmp_lt_u32_e32 vcc, v27, v0
	s_and_saveexec_b64 s[16:17], vcc
	s_cbranch_execnz .LBB1458_382
.LBB1458_375:                           ;   in Loop: Header=BB1458_355 Depth=2
	s_or_b64 exec, exec, s[16:17]
	v_cmp_lt_u32_e32 vcc, v22, v0
	s_and_saveexec_b64 s[16:17], vcc
	s_cbranch_execz .LBB1458_383
.LBB1458_376:                           ;   in Loop: Header=BB1458_355 Depth=2
	v_cmp_lt_i32_e32 vcc, -1, v6
	s_waitcnt vmcnt(6)
	v_cndmask_b32_e32 v10, -1, v73, vcc
	v_xor_b32_e32 v10, v10, v6
	v_cmp_ne_u32_e32 vcc, s64, v10
	v_cndmask_b32_e32 v10, v73, v10, vcc
	v_lshrrev_b32_e32 v10, s77, v10
	v_and_b32_e32 v10, s85, v10
	s_waitcnt vmcnt(5)
	v_lshlrev_b32_e32 v11, 2, v29
	v_lshl_or_b32 v10, v10, 4, v11
	ds_add_u32 v10, v71
	s_or_b64 exec, exec, s[16:17]
	v_cmp_lt_u32_e32 vcc, v24, v0
	s_and_saveexec_b64 s[16:17], vcc
	s_cbranch_execnz .LBB1458_384
.LBB1458_377:                           ;   in Loop: Header=BB1458_355 Depth=2
	s_or_b64 exec, exec, s[16:17]
	v_cmp_lt_u32_e32 vcc, v26, v0
	s_and_saveexec_b64 s[16:17], vcc
	s_cbranch_execz .LBB1458_385
.LBB1458_378:                           ;   in Loop: Header=BB1458_355 Depth=2
	v_cmp_lt_i32_e32 vcc, -1, v8
	s_waitcnt vmcnt(6)
	v_cndmask_b32_e32 v10, -1, v73, vcc
	v_xor_b32_e32 v10, v10, v8
	v_cmp_ne_u32_e32 vcc, s64, v10
	v_cndmask_b32_e32 v10, v73, v10, vcc
	v_lshrrev_b32_e32 v10, s77, v10
	v_and_b32_e32 v10, s85, v10
	s_waitcnt vmcnt(5)
	v_lshlrev_b32_e32 v11, 2, v29
	v_lshl_or_b32 v10, v10, 4, v11
	ds_add_u32 v10, v71
	s_or_b64 exec, exec, s[16:17]
	v_cmp_lt_u32_e32 vcc, v28, v0
	s_and_saveexec_b64 s[16:17], vcc
	s_cbranch_execz .LBB1458_354
	s_branch .LBB1458_386
.LBB1458_379:                           ;   in Loop: Header=BB1458_355 Depth=2
	s_or_b64 exec, exec, s[16:17]
	v_cmp_lt_u32_e32 vcc, v23, v0
	s_and_saveexec_b64 s[16:17], vcc
	s_cbranch_execz .LBB1458_373
.LBB1458_380:                           ;   in Loop: Header=BB1458_355 Depth=2
	v_cmp_lt_i32_e32 vcc, -1, v3
	s_waitcnt vmcnt(6)
	v_cndmask_b32_e32 v10, -1, v73, vcc
	v_xor_b32_e32 v10, v10, v3
	v_cmp_ne_u32_e32 vcc, s64, v10
	v_cndmask_b32_e32 v10, v73, v10, vcc
	v_lshrrev_b32_e32 v10, s77, v10
	v_and_b32_e32 v10, s85, v10
	s_waitcnt vmcnt(5)
	v_lshlrev_b32_e32 v11, 2, v29
	v_lshl_or_b32 v10, v10, 4, v11
	ds_add_u32 v10, v71
	s_or_b64 exec, exec, s[16:17]
	v_cmp_lt_u32_e32 vcc, v25, v0
	s_and_saveexec_b64 s[16:17], vcc
	s_cbranch_execnz .LBB1458_374
.LBB1458_381:                           ;   in Loop: Header=BB1458_355 Depth=2
	s_or_b64 exec, exec, s[16:17]
	v_cmp_lt_u32_e32 vcc, v27, v0
	s_and_saveexec_b64 s[16:17], vcc
	s_cbranch_execz .LBB1458_375
.LBB1458_382:                           ;   in Loop: Header=BB1458_355 Depth=2
	v_cmp_lt_i32_e32 vcc, -1, v5
	s_waitcnt vmcnt(6)
	v_cndmask_b32_e32 v10, -1, v73, vcc
	v_xor_b32_e32 v10, v10, v5
	v_cmp_ne_u32_e32 vcc, s64, v10
	v_cndmask_b32_e32 v10, v73, v10, vcc
	v_lshrrev_b32_e32 v10, s77, v10
	v_and_b32_e32 v10, s85, v10
	s_waitcnt vmcnt(5)
	v_lshlrev_b32_e32 v11, 2, v29
	v_lshl_or_b32 v10, v10, 4, v11
	ds_add_u32 v10, v71
	s_or_b64 exec, exec, s[16:17]
	v_cmp_lt_u32_e32 vcc, v22, v0
	s_and_saveexec_b64 s[16:17], vcc
	s_cbranch_execnz .LBB1458_376
.LBB1458_383:                           ;   in Loop: Header=BB1458_355 Depth=2
	s_or_b64 exec, exec, s[16:17]
	v_cmp_lt_u32_e32 vcc, v24, v0
	s_and_saveexec_b64 s[16:17], vcc
	s_cbranch_execz .LBB1458_377
.LBB1458_384:                           ;   in Loop: Header=BB1458_355 Depth=2
	v_cmp_lt_i32_e32 vcc, -1, v7
	s_waitcnt vmcnt(6)
	v_cndmask_b32_e32 v10, -1, v73, vcc
	v_xor_b32_e32 v10, v10, v7
	v_cmp_ne_u32_e32 vcc, s64, v10
	v_cndmask_b32_e32 v10, v73, v10, vcc
	v_lshrrev_b32_e32 v10, s77, v10
	v_and_b32_e32 v10, s85, v10
	s_waitcnt vmcnt(5)
	v_lshlrev_b32_e32 v11, 2, v29
	v_lshl_or_b32 v10, v10, 4, v11
	ds_add_u32 v10, v71
	s_or_b64 exec, exec, s[16:17]
	v_cmp_lt_u32_e32 vcc, v26, v0
	s_and_saveexec_b64 s[16:17], vcc
	s_cbranch_execnz .LBB1458_378
.LBB1458_385:                           ;   in Loop: Header=BB1458_355 Depth=2
	s_or_b64 exec, exec, s[16:17]
	v_cmp_lt_u32_e32 vcc, v28, v0
	s_and_saveexec_b64 s[16:17], vcc
	s_cbranch_execz .LBB1458_354
.LBB1458_386:                           ;   in Loop: Header=BB1458_355 Depth=2
	v_cmp_lt_i32_e32 vcc, -1, v9
	v_cndmask_b32_e32 v0, -1, v73, vcc
	v_xor_b32_e32 v0, v0, v9
	v_cmp_ne_u32_e32 vcc, s64, v0
	v_cndmask_b32_e32 v0, v73, v0, vcc
	v_lshrrev_b32_e32 v0, s77, v0
	v_and_b32_e32 v0, s85, v0
	s_waitcnt vmcnt(6)
	v_lshlrev_b32_e32 v10, 2, v29
	v_lshl_or_b32 v0, v0, 4, v10
	ds_add_u32 v0, v71
	s_branch .LBB1458_354
.LBB1458_387:                           ;   in Loop: Header=BB1458_355 Depth=2
	s_or_b64 exec, exec, s[20:21]
	v_cmp_gt_u32_e32 vcc, s22, v23
	s_and_saveexec_b64 s[20:21], vcc
	s_cbranch_execz .LBB1458_361
.LBB1458_388:                           ;   in Loop: Header=BB1458_355 Depth=2
	global_load_dword v3, v72, s[18:19] offset:1024
	s_or_b64 exec, exec, s[20:21]
	v_cmp_gt_u32_e32 vcc, s22, v25
	s_and_saveexec_b64 s[20:21], vcc
	s_cbranch_execnz .LBB1458_362
.LBB1458_389:                           ;   in Loop: Header=BB1458_355 Depth=2
	s_or_b64 exec, exec, s[20:21]
	v_cmp_gt_u32_e32 vcc, s22, v27
	s_and_saveexec_b64 s[20:21], vcc
	s_cbranch_execz .LBB1458_363
.LBB1458_390:                           ;   in Loop: Header=BB1458_355 Depth=2
	global_load_dword v5, v72, s[18:19] offset:3072
	s_or_b64 exec, exec, s[20:21]
	v_cmp_gt_u32_e32 vcc, s22, v22
	s_and_saveexec_b64 s[20:21], vcc
	s_cbranch_execnz .LBB1458_364
.LBB1458_391:                           ;   in Loop: Header=BB1458_355 Depth=2
	s_or_b64 exec, exec, s[20:21]
	v_cmp_gt_u32_e32 vcc, s22, v24
	s_and_saveexec_b64 s[20:21], vcc
	s_cbranch_execz .LBB1458_365
.LBB1458_392:                           ;   in Loop: Header=BB1458_355 Depth=2
	v_lshlrev_b32_e32 v0, 2, v24
	global_load_dword v7, v0, s[18:19]
	s_or_b64 exec, exec, s[20:21]
	v_cmp_gt_u32_e32 vcc, s22, v26
	s_and_saveexec_b64 s[20:21], vcc
	s_cbranch_execz .LBB1458_367
	s_branch .LBB1458_366
.LBB1458_393:                           ;   in Loop: Header=BB1458_17 Depth=1
	v_mov_b32_e32 v0, 0
	s_waitcnt lgkmcnt(0)
	s_barrier
	s_and_saveexec_b64 s[16:17], s[4:5]
	s_cbranch_execz .LBB1458_395
; %bb.394:                              ;   in Loop: Header=BB1458_17 Depth=1
	ds_read2_b64 v[2:5], v42 offset1:1
	s_waitcnt lgkmcnt(0)
	v_add_u32_e32 v0, v3, v2
	v_add3_u32 v0, v0, v4, v5
.LBB1458_395:                           ;   in Loop: Header=BB1458_17 Depth=1
	s_or_b64 exec, exec, s[16:17]
	v_and_b32_e32 v2, 15, v74
	v_mov_b32_dpp v3, v0 row_shr:1 row_mask:0xf bank_mask:0xf
	v_cmp_eq_u32_e64 s[16:17], 0, v2
	v_cndmask_b32_e64 v3, v3, 0, s[16:17]
	v_add_u32_e32 v0, v3, v0
	v_cmp_lt_u32_e64 s[18:19], 1, v2
	v_cmp_lt_u32_e64 s[20:21], 3, v2
	v_mov_b32_dpp v3, v0 row_shr:2 row_mask:0xf bank_mask:0xf
	v_cndmask_b32_e64 v3, 0, v3, s[18:19]
	v_add_u32_e32 v0, v0, v3
	v_cmp_lt_u32_e64 s[22:23], 7, v2
	v_cmp_lt_u32_e64 s[26:27], 31, v74
	v_mov_b32_dpp v3, v0 row_shr:4 row_mask:0xf bank_mask:0xf
	v_cndmask_b32_e64 v3, 0, v3, s[20:21]
	v_add_u32_e32 v0, v0, v3
	v_and_b32_e32 v4, 16, v74
	v_cmp_eq_u32_e64 s[24:25], 0, v4
	v_mov_b32_dpp v3, v0 row_shr:8 row_mask:0xf bank_mask:0xf
	v_cndmask_b32_e64 v2, 0, v3, s[22:23]
	v_add_u32_e32 v0, v0, v2
	v_bfe_i32 v3, v74, 4, 1
	s_nop 0
	v_mov_b32_dpp v2, v0 row_bcast:15 row_mask:0xf bank_mask:0xf
	v_and_b32_e32 v2, v3, v2
	v_add_u32_e32 v0, v0, v2
	s_nop 1
	v_mov_b32_dpp v2, v0 row_bcast:31 row_mask:0xf bank_mask:0xf
	v_cndmask_b32_e64 v2, 0, v2, s[26:27]
	v_add_u32_e32 v2, v0, v2
	s_and_saveexec_b64 s[28:29], s[6:7]
	s_cbranch_execz .LBB1458_397
; %bb.396:                              ;   in Loop: Header=BB1458_17 Depth=1
	ds_write_b32 v44, v2
.LBB1458_397:                           ;   in Loop: Header=BB1458_17 Depth=1
	s_or_b64 exec, exec, s[28:29]
	v_and_b32_e32 v0, 3, v74
	s_waitcnt lgkmcnt(0)
	s_barrier
	s_and_saveexec_b64 s[28:29], s[8:9]
	s_cbranch_execz .LBB1458_399
; %bb.398:                              ;   in Loop: Header=BB1458_17 Depth=1
	ds_read_b32 v3, v45
	v_cmp_ne_u32_e32 vcc, 0, v0
	s_waitcnt lgkmcnt(0)
	v_mov_b32_dpp v4, v3 row_shr:1 row_mask:0xf bank_mask:0xf
	v_cndmask_b32_e32 v4, 0, v4, vcc
	v_add_u32_e32 v3, v4, v3
	v_cmp_lt_u32_e32 vcc, 1, v0
	s_nop 0
	v_mov_b32_dpp v4, v3 row_shr:2 row_mask:0xf bank_mask:0xf
	v_cndmask_b32_e32 v4, 0, v4, vcc
	v_add_u32_e32 v3, v3, v4
	ds_write_b32 v45, v3
.LBB1458_399:                           ;   in Loop: Header=BB1458_17 Depth=1
	s_or_b64 exec, exec, s[28:29]
	v_mov_b32_e32 v3, 0
	s_waitcnt lgkmcnt(0)
	s_barrier
	s_and_saveexec_b64 s[28:29], s[10:11]
	s_cbranch_execz .LBB1458_401
; %bb.400:                              ;   in Loop: Header=BB1458_17 Depth=1
	ds_read_b32 v3, v46
.LBB1458_401:                           ;   in Loop: Header=BB1458_17 Depth=1
	s_or_b64 exec, exec, s[28:29]
	v_add_u32_e32 v4, -1, v74
	v_and_b32_e32 v5, 64, v74
	v_cmp_lt_i32_e32 vcc, v4, v5
	v_cndmask_b32_e32 v4, v4, v74, vcc
	s_waitcnt lgkmcnt(0)
	v_add_u32_e32 v2, v3, v2
	v_lshlrev_b32_e32 v75, 2, v4
	ds_bpermute_b32 v2, v75, v2
	v_cmp_eq_u32_e64 s[28:29], 0, v74
	s_waitcnt lgkmcnt(0)
	s_barrier
	s_and_saveexec_b64 s[30:31], s[4:5]
	s_cbranch_execz .LBB1458_403
; %bb.402:                              ;   in Loop: Header=BB1458_17 Depth=1
	v_cndmask_b32_e64 v2, v2, v3, s[28:29]
	v_add_u32_e32 v2, s51, v2
	ds_write_b32 v19, v2
.LBB1458_403:                           ;   in Loop: Header=BB1458_17 Depth=1
	s_or_b64 exec, exec, s[30:31]
	s_load_dwordx2 s[30:31], s[82:83], 0x0
	s_mov_b32 s86, s79
	s_mov_b32 s80, s51
                                        ; implicit-def: $vgpr10_vgpr11
                                        ; implicit-def: $vgpr12_vgpr13
                                        ; implicit-def: $vgpr14_vgpr15
                                        ; implicit-def: $vgpr16_vgpr17
                                        ; implicit-def: $vgpr30_vgpr31
                                        ; implicit-def: $vgpr32_vgpr33
                                        ; implicit-def: $vgpr34_vgpr35
                                        ; implicit-def: $vgpr36_vgpr37
                                        ; implicit-def: $vgpr76
                                        ; implicit-def: $vgpr77
                                        ; implicit-def: $vgpr78
                                        ; implicit-def: $vgpr79
                                        ; implicit-def: $vgpr81
                                        ; implicit-def: $vgpr82
                                        ; implicit-def: $vgpr84
                                        ; implicit-def: $vgpr86
	s_waitcnt lgkmcnt(0)
	s_cmp_lt_u32 s50, s30
	s_cselect_b32 s34, 12, 18
	s_cmp_lt_u32 s33, s31
	s_cselect_b32 s30, 14, 20
	s_add_u32 s30, s82, s30
	s_addc_u32 s31, s83, 0
	s_add_u32 s34, s82, s34
	global_load_ushort v2, v20, s[30:31]
	s_addc_u32 s35, s83, 0
	global_load_ushort v3, v20, s[34:35]
	v_cmp_eq_u32_e64 s[30:31], 0, v0
	v_cmp_lt_u32_e64 s[34:35], 1, v0
	v_and_b32_e32 v0, 63, v74
	v_lshlrev_b32_e32 v4, 3, v0
	v_add_co_u32_e32 v83, vcc, v67, v4
	v_or_b32_e32 v80, v0, v47
	v_lshlrev_b32_e32 v0, 2, v0
	v_addc_co_u32_e32 v85, vcc, 0, v68, vcc
	v_add_co_u32_e32 v94, vcc, v69, v0
	v_addc_co_u32_e32 v95, vcc, 0, v70, vcc
	v_add_co_u32_e32 v96, vcc, 0x700, v94
	v_or_b32_e32 v87, 64, v80
	v_or_b32_e32 v88, 0x80, v80
	;; [unrolled: 1-line block ×7, first 2 shown]
	v_addc_co_u32_e32 v97, vcc, 0, v95, vcc
	s_waitcnt vmcnt(1)
	v_mad_u32_u24 v0, v48, v2, v49
	s_waitcnt vmcnt(0)
	v_mad_u64_u32 v[2:3], s[36:37], v0, v3, v[18:19]
	v_lshrrev_b32_e32 v98, 6, v2
	s_branch .LBB1458_405
.LBB1458_404:                           ;   in Loop: Header=BB1458_405 Depth=2
	s_or_b64 exec, exec, s[36:37]
	s_addk_i32 s86, 0xf800
	s_cmp_lt_u32 s87, s84
	s_mov_b32 s80, s87
	s_cbranch_scc0 .LBB1458_517
.LBB1458_405:                           ;   Parent Loop BB1458_17 Depth=1
                                        ; =>  This Inner Loop Header: Depth=2
	s_add_i32 s87, s80, 0x800
	s_cmp_gt_u32 s87, s84
	s_cbranch_scc1 .LBB1458_407
; %bb.406:                              ;   in Loop: Header=BB1458_405 Depth=2
	s_lshl_b64 s[36:37], s[80:81], 2
	v_mov_b32_e32 v0, s37
	v_add_co_u32_e32 v8, vcc, s36, v94
	v_addc_co_u32_e32 v9, vcc, v95, v0, vcc
	global_load_dword v2, v[8:9], off
	global_load_dword v3, v[8:9], off offset:256
	global_load_dword v4, v[8:9], off offset:512
	;; [unrolled: 1-line block ×5, first 2 shown]
	s_nop 0
	global_load_dword v8, v[8:9], off offset:1536
	s_mov_b64 s[36:37], -1
	s_movk_i32 s40, 0x800
	s_cbranch_execz .LBB1458_408
	s_branch .LBB1458_417
.LBB1458_407:                           ;   in Loop: Header=BB1458_405 Depth=2
	s_mov_b64 s[36:37], 0
                                        ; implicit-def: $sgpr40
                                        ; implicit-def: $vgpr2_vgpr3_vgpr4_vgpr5_vgpr6_vgpr7_vgpr8_vgpr9
.LBB1458_408:                           ;   in Loop: Header=BB1458_405 Depth=2
	s_lshl_b64 s[36:37], s[80:81], 2
	v_mov_b32_e32 v0, s37
	v_add_co_u32_e32 v38, vcc, s36, v94
	s_mov_b32 s65, s64
	v_addc_co_u32_e32 v39, vcc, v95, v0, vcc
	s_mov_b32 s66, s64
	s_mov_b32 s67, s64
	;; [unrolled: 1-line block ×6, first 2 shown]
	s_waitcnt vmcnt(0)
	v_pk_mov_b32 v[2:3], s[64:65], s[64:65] op_sel:[0,1]
	v_cmp_gt_u32_e32 vcc, s86, v80
	v_pk_mov_b32 v[4:5], s[66:67], s[66:67] op_sel:[0,1]
	v_pk_mov_b32 v[6:7], s[68:69], s[68:69] op_sel:[0,1]
	;; [unrolled: 1-line block ×3, first 2 shown]
	s_and_saveexec_b64 s[36:37], vcc
	s_cbranch_execz .LBB1458_511
; %bb.409:                              ;   in Loop: Header=BB1458_405 Depth=2
	global_load_dword v0, v[38:39], off
	v_mov_b32_e32 v2, v1
	v_mov_b32_e32 v3, v1
	;; [unrolled: 1-line block ×6, first 2 shown]
	s_waitcnt vmcnt(0)
	v_pk_mov_b32 v[8:9], v[6:7], v[6:7] op_sel:[0,1]
	v_pk_mov_b32 v[6:7], v[4:5], v[4:5] op_sel:[0,1]
	;; [unrolled: 1-line block ×4, first 2 shown]
	s_or_b64 exec, exec, s[36:37]
	v_cmp_gt_u32_e32 vcc, s86, v87
	s_and_saveexec_b64 s[36:37], vcc
	s_cbranch_execnz .LBB1458_512
.LBB1458_410:                           ;   in Loop: Header=BB1458_405 Depth=2
	s_or_b64 exec, exec, s[36:37]
	v_cmp_gt_u32_e32 vcc, s86, v88
	s_and_saveexec_b64 s[36:37], vcc
	s_cbranch_execz .LBB1458_513
.LBB1458_411:                           ;   in Loop: Header=BB1458_405 Depth=2
	global_load_dword v4, v[38:39], off offset:512
	s_or_b64 exec, exec, s[36:37]
	v_cmp_gt_u32_e32 vcc, s86, v89
	s_and_saveexec_b64 s[36:37], vcc
	s_cbranch_execnz .LBB1458_514
.LBB1458_412:                           ;   in Loop: Header=BB1458_405 Depth=2
	s_or_b64 exec, exec, s[36:37]
	v_cmp_gt_u32_e32 vcc, s86, v90
	s_and_saveexec_b64 s[36:37], vcc
	s_cbranch_execz .LBB1458_515
.LBB1458_413:                           ;   in Loop: Header=BB1458_405 Depth=2
	global_load_dword v6, v[38:39], off offset:1024
	s_or_b64 exec, exec, s[36:37]
	v_cmp_gt_u32_e32 vcc, s86, v91
	s_and_saveexec_b64 s[36:37], vcc
	s_cbranch_execnz .LBB1458_516
.LBB1458_414:                           ;   in Loop: Header=BB1458_405 Depth=2
	s_or_b64 exec, exec, s[36:37]
	v_cmp_gt_u32_e32 vcc, s86, v92
	s_and_saveexec_b64 s[36:37], vcc
	s_cbranch_execz .LBB1458_416
.LBB1458_415:                           ;   in Loop: Header=BB1458_405 Depth=2
	global_load_dword v8, v[38:39], off offset:1536
.LBB1458_416:                           ;   in Loop: Header=BB1458_405 Depth=2
	s_or_b64 exec, exec, s[36:37]
	s_sub_i32 s40, s84, s80
	v_cmp_gt_u32_e64 s[36:37], s86, v93
.LBB1458_417:                           ;   in Loop: Header=BB1458_405 Depth=2
	v_mov_b32_e32 v0, s86
	s_and_saveexec_b64 s[38:39], s[36:37]
	s_cbranch_execz .LBB1458_419
; %bb.418:                              ;   in Loop: Header=BB1458_405 Depth=2
	s_lshl_b64 s[36:37], s[80:81], 2
	v_mov_b32_e32 v0, s37
	v_add_co_u32_e32 v38, vcc, s36, v96
	v_addc_co_u32_e32 v39, vcc, v97, v0, vcc
	global_load_dword v9, v[38:39], off
	v_mov_b32_e32 v0, s40
.LBB1458_419:                           ;   in Loop: Header=BB1458_405 Depth=2
	s_or_b64 exec, exec, s[38:39]
	s_waitcnt vmcnt(6)
	v_cmp_lt_i32_e32 vcc, -1, v2
	v_cndmask_b32_e32 v21, -1, v73, vcc
	v_xor_b32_e32 v99, v21, v2
	v_add_u32_e32 v2, 0x410, v50
	v_cmp_ne_u32_e32 vcc, s64, v99
	ds_write2_b32 v2, v20, v20 offset1:1
	ds_write2_b32 v52, v20, v20 offset0:2 offset1:3
	ds_write_b32 v52, v20 offset:16
	v_cndmask_b32_e32 v2, v73, v99, vcc
	v_lshrrev_b32_e32 v2, s77, v2
	v_and_b32_e32 v2, s85, v2
	v_mad_u32_u24 v21, v2, 5, v98
	v_lshl_add_u32 v100, v21, 2, v51
	v_and_b32_e32 v21, 1, v2
	v_add_co_u32_e32 v38, vcc, -1, v21
	v_addc_co_u32_e64 v39, s[36:37], 0, -1, vcc
	v_cmp_ne_u32_e32 vcc, 0, v21
	v_xor_b32_e32 v21, vcc_hi, v39
	v_and_b32_e32 v39, exec_hi, v21
	v_lshlrev_b32_e32 v21, 30, v2
	v_xor_b32_e32 v38, vcc_lo, v38
	v_cmp_gt_i64_e32 vcc, 0, v[20:21]
	v_not_b32_e32 v21, v21
	v_ashrrev_i32_e32 v21, 31, v21
	v_and_b32_e32 v38, exec_lo, v38
	v_xor_b32_e32 v101, vcc_hi, v21
	v_xor_b32_e32 v21, vcc_lo, v21
	v_and_b32_e32 v38, v38, v21
	v_lshlrev_b32_e32 v21, 29, v2
	v_cmp_gt_i64_e32 vcc, 0, v[20:21]
	v_not_b32_e32 v21, v21
	v_ashrrev_i32_e32 v21, 31, v21
	v_and_b32_e32 v39, v39, v101
	v_xor_b32_e32 v101, vcc_hi, v21
	v_xor_b32_e32 v21, vcc_lo, v21
	v_and_b32_e32 v38, v38, v21
	v_lshlrev_b32_e32 v21, 28, v2
	v_cmp_gt_i64_e32 vcc, 0, v[20:21]
	v_not_b32_e32 v21, v21
	v_ashrrev_i32_e32 v21, 31, v21
	v_and_b32_e32 v39, v39, v101
	;; [unrolled: 8-line block ×5, first 2 shown]
	v_xor_b32_e32 v101, vcc_hi, v21
	v_xor_b32_e32 v21, vcc_lo, v21
	v_and_b32_e32 v38, v38, v21
	v_lshlrev_b32_e32 v21, 24, v2
	v_not_b32_e32 v2, v21
	v_cmp_gt_i64_e32 vcc, 0, v[20:21]
	v_ashrrev_i32_e32 v2, 31, v2
	v_xor_b32_e32 v21, vcc_hi, v2
	v_xor_b32_e32 v2, vcc_lo, v2
	v_and_b32_e32 v39, v39, v101
	v_and_b32_e32 v38, v38, v2
	;; [unrolled: 1-line block ×3, first 2 shown]
	v_mbcnt_lo_u32_b32 v2, v38, 0
	v_mbcnt_hi_u32_b32 v101, v39, v2
	v_cmp_eq_u32_e32 vcc, 0, v101
	v_cmp_ne_u64_e64 s[36:37], 0, v[38:39]
	s_and_b64 s[38:39], s[36:37], vcc
	s_waitcnt lgkmcnt(0)
	s_barrier
	s_waitcnt lgkmcnt(0)
	; wave barrier
	s_and_saveexec_b64 s[36:37], s[38:39]
	s_cbranch_execz .LBB1458_421
; %bb.420:                              ;   in Loop: Header=BB1458_405 Depth=2
	v_bcnt_u32_b32 v2, v38, 0
	v_bcnt_u32_b32 v2, v39, v2
	ds_write_b32 v100, v2
.LBB1458_421:                           ;   in Loop: Header=BB1458_405 Depth=2
	s_or_b64 exec, exec, s[36:37]
	s_waitcnt vmcnt(0)
	v_cmp_lt_i32_e32 vcc, -1, v3
	v_cndmask_b32_e32 v2, -1, v73, vcc
	v_xor_b32_e32 v38, v2, v3
	v_cmp_ne_u32_e32 vcc, s64, v38
	v_cndmask_b32_e32 v2, v73, v38, vcc
	v_lshrrev_b32_e32 v2, s77, v2
	v_and_b32_e32 v2, s85, v2
	v_mul_u32_u24_e32 v3, 5, v2
	v_add_lshl_u32 v3, v3, v98, 2
	; wave barrier
	v_add_u32_e32 v102, 0x410, v3
	ds_read_b32 v39, v3 offset:1040
	v_and_b32_e32 v3, 1, v2
	v_add_co_u32_e32 v21, vcc, -1, v3
	v_addc_co_u32_e64 v103, s[36:37], 0, -1, vcc
	v_cmp_ne_u32_e32 vcc, 0, v3
	v_xor_b32_e32 v21, vcc_lo, v21
	v_xor_b32_e32 v3, vcc_hi, v103
	v_and_b32_e32 v103, exec_lo, v21
	v_lshlrev_b32_e32 v21, 30, v2
	v_cmp_gt_i64_e32 vcc, 0, v[20:21]
	v_not_b32_e32 v21, v21
	v_ashrrev_i32_e32 v21, 31, v21
	v_xor_b32_e32 v104, vcc_hi, v21
	v_xor_b32_e32 v21, vcc_lo, v21
	v_and_b32_e32 v103, v103, v21
	v_lshlrev_b32_e32 v21, 29, v2
	v_cmp_gt_i64_e32 vcc, 0, v[20:21]
	v_not_b32_e32 v21, v21
	v_and_b32_e32 v3, exec_hi, v3
	v_ashrrev_i32_e32 v21, 31, v21
	v_and_b32_e32 v3, v3, v104
	v_xor_b32_e32 v104, vcc_hi, v21
	v_xor_b32_e32 v21, vcc_lo, v21
	v_and_b32_e32 v103, v103, v21
	v_lshlrev_b32_e32 v21, 28, v2
	v_cmp_gt_i64_e32 vcc, 0, v[20:21]
	v_not_b32_e32 v21, v21
	v_ashrrev_i32_e32 v21, 31, v21
	v_and_b32_e32 v3, v3, v104
	v_xor_b32_e32 v104, vcc_hi, v21
	v_xor_b32_e32 v21, vcc_lo, v21
	v_and_b32_e32 v103, v103, v21
	v_lshlrev_b32_e32 v21, 27, v2
	v_cmp_gt_i64_e32 vcc, 0, v[20:21]
	v_not_b32_e32 v21, v21
	;; [unrolled: 8-line block ×4, first 2 shown]
	v_ashrrev_i32_e32 v21, 31, v21
	v_and_b32_e32 v3, v3, v104
	v_xor_b32_e32 v104, vcc_hi, v21
	v_xor_b32_e32 v21, vcc_lo, v21
	v_and_b32_e32 v103, v103, v21
	v_lshlrev_b32_e32 v21, 24, v2
	v_not_b32_e32 v2, v21
	v_cmp_gt_i64_e32 vcc, 0, v[20:21]
	v_ashrrev_i32_e32 v2, 31, v2
	v_xor_b32_e32 v21, vcc_hi, v2
	v_xor_b32_e32 v2, vcc_lo, v2
	v_and_b32_e32 v3, v3, v104
	v_and_b32_e32 v2, v103, v2
	;; [unrolled: 1-line block ×3, first 2 shown]
	v_mbcnt_lo_u32_b32 v21, v2, 0
	v_mbcnt_hi_u32_b32 v103, v3, v21
	v_cmp_eq_u32_e32 vcc, 0, v103
	v_cmp_ne_u64_e64 s[36:37], 0, v[2:3]
	s_and_b64 s[38:39], s[36:37], vcc
	; wave barrier
	s_and_saveexec_b64 s[36:37], s[38:39]
	s_cbranch_execz .LBB1458_423
; %bb.422:                              ;   in Loop: Header=BB1458_405 Depth=2
	v_bcnt_u32_b32 v2, v2, 0
	v_bcnt_u32_b32 v2, v3, v2
	s_waitcnt lgkmcnt(0)
	v_add_u32_e32 v2, v39, v2
	ds_write_b32 v102, v2
.LBB1458_423:                           ;   in Loop: Header=BB1458_405 Depth=2
	s_or_b64 exec, exec, s[36:37]
	v_cmp_lt_i32_e32 vcc, -1, v4
	v_cndmask_b32_e32 v2, -1, v73, vcc
	v_xor_b32_e32 v104, v2, v4
	v_cmp_ne_u32_e32 vcc, s64, v104
	v_cndmask_b32_e32 v2, v73, v104, vcc
	v_lshrrev_b32_e32 v2, s77, v2
	v_and_b32_e32 v2, s85, v2
	v_mul_u32_u24_e32 v3, 5, v2
	v_add_lshl_u32 v3, v3, v98, 2
	; wave barrier
	v_add_u32_e32 v106, 0x410, v3
	ds_read_b32 v105, v3 offset:1040
	v_and_b32_e32 v3, 1, v2
	v_add_co_u32_e32 v4, vcc, -1, v3
	v_addc_co_u32_e64 v21, s[36:37], 0, -1, vcc
	v_cmp_ne_u32_e32 vcc, 0, v3
	v_xor_b32_e32 v3, vcc_hi, v21
	v_lshlrev_b32_e32 v21, 30, v2
	v_xor_b32_e32 v4, vcc_lo, v4
	v_cmp_gt_i64_e32 vcc, 0, v[20:21]
	v_not_b32_e32 v21, v21
	v_ashrrev_i32_e32 v21, 31, v21
	v_and_b32_e32 v4, exec_lo, v4
	v_xor_b32_e32 v107, vcc_hi, v21
	v_xor_b32_e32 v21, vcc_lo, v21
	v_and_b32_e32 v4, v4, v21
	v_lshlrev_b32_e32 v21, 29, v2
	v_cmp_gt_i64_e32 vcc, 0, v[20:21]
	v_not_b32_e32 v21, v21
	v_and_b32_e32 v3, exec_hi, v3
	v_ashrrev_i32_e32 v21, 31, v21
	v_and_b32_e32 v3, v3, v107
	v_xor_b32_e32 v107, vcc_hi, v21
	v_xor_b32_e32 v21, vcc_lo, v21
	v_and_b32_e32 v4, v4, v21
	v_lshlrev_b32_e32 v21, 28, v2
	v_cmp_gt_i64_e32 vcc, 0, v[20:21]
	v_not_b32_e32 v21, v21
	v_ashrrev_i32_e32 v21, 31, v21
	v_and_b32_e32 v3, v3, v107
	v_xor_b32_e32 v107, vcc_hi, v21
	v_xor_b32_e32 v21, vcc_lo, v21
	v_and_b32_e32 v4, v4, v21
	v_lshlrev_b32_e32 v21, 27, v2
	v_cmp_gt_i64_e32 vcc, 0, v[20:21]
	v_not_b32_e32 v21, v21
	;; [unrolled: 8-line block ×4, first 2 shown]
	v_ashrrev_i32_e32 v21, 31, v21
	v_and_b32_e32 v3, v3, v107
	v_xor_b32_e32 v107, vcc_hi, v21
	v_xor_b32_e32 v21, vcc_lo, v21
	v_and_b32_e32 v4, v4, v21
	v_lshlrev_b32_e32 v21, 24, v2
	v_not_b32_e32 v2, v21
	v_cmp_gt_i64_e32 vcc, 0, v[20:21]
	v_ashrrev_i32_e32 v2, 31, v2
	v_xor_b32_e32 v21, vcc_hi, v2
	v_xor_b32_e32 v2, vcc_lo, v2
	v_and_b32_e32 v3, v3, v107
	v_and_b32_e32 v2, v4, v2
	;; [unrolled: 1-line block ×3, first 2 shown]
	v_mbcnt_lo_u32_b32 v4, v2, 0
	v_mbcnt_hi_u32_b32 v107, v3, v4
	v_cmp_eq_u32_e32 vcc, 0, v107
	v_cmp_ne_u64_e64 s[36:37], 0, v[2:3]
	s_and_b64 s[38:39], s[36:37], vcc
	; wave barrier
	s_and_saveexec_b64 s[36:37], s[38:39]
	s_cbranch_execz .LBB1458_425
; %bb.424:                              ;   in Loop: Header=BB1458_405 Depth=2
	v_bcnt_u32_b32 v2, v2, 0
	v_bcnt_u32_b32 v2, v3, v2
	s_waitcnt lgkmcnt(0)
	v_add_u32_e32 v2, v105, v2
	ds_write_b32 v106, v2
.LBB1458_425:                           ;   in Loop: Header=BB1458_405 Depth=2
	s_or_b64 exec, exec, s[36:37]
	v_cmp_lt_i32_e32 vcc, -1, v5
	v_cndmask_b32_e32 v2, -1, v73, vcc
	v_xor_b32_e32 v108, v2, v5
	v_cmp_ne_u32_e32 vcc, s64, v108
	v_cndmask_b32_e32 v2, v73, v108, vcc
	v_lshrrev_b32_e32 v2, s77, v2
	v_and_b32_e32 v2, s85, v2
	v_mul_u32_u24_e32 v3, 5, v2
	v_add_lshl_u32 v3, v3, v98, 2
	; wave barrier
	v_add_u32_e32 v110, 0x410, v3
	ds_read_b32 v109, v3 offset:1040
	v_and_b32_e32 v3, 1, v2
	v_add_co_u32_e32 v4, vcc, -1, v3
	v_addc_co_u32_e64 v5, s[36:37], 0, -1, vcc
	v_cmp_ne_u32_e32 vcc, 0, v3
	v_lshlrev_b32_e32 v21, 30, v2
	v_xor_b32_e32 v3, vcc_hi, v5
	v_not_b32_e32 v5, v21
	v_xor_b32_e32 v4, vcc_lo, v4
	v_cmp_gt_i64_e32 vcc, 0, v[20:21]
	v_ashrrev_i32_e32 v5, 31, v5
	v_and_b32_e32 v3, exec_hi, v3
	v_xor_b32_e32 v21, vcc_hi, v5
	v_and_b32_e32 v4, exec_lo, v4
	v_xor_b32_e32 v5, vcc_lo, v5
	v_and_b32_e32 v3, v3, v21
	v_lshlrev_b32_e32 v21, 29, v2
	v_and_b32_e32 v4, v4, v5
	v_not_b32_e32 v5, v21
	v_cmp_gt_i64_e32 vcc, 0, v[20:21]
	v_ashrrev_i32_e32 v5, 31, v5
	v_xor_b32_e32 v21, vcc_hi, v5
	v_xor_b32_e32 v5, vcc_lo, v5
	v_and_b32_e32 v3, v3, v21
	v_lshlrev_b32_e32 v21, 28, v2
	v_and_b32_e32 v4, v4, v5
	v_not_b32_e32 v5, v21
	v_cmp_gt_i64_e32 vcc, 0, v[20:21]
	v_ashrrev_i32_e32 v5, 31, v5
	v_xor_b32_e32 v21, vcc_hi, v5
	;; [unrolled: 8-line block ×5, first 2 shown]
	v_and_b32_e32 v3, v3, v21
	v_lshlrev_b32_e32 v21, 24, v2
	v_not_b32_e32 v2, v21
	v_xor_b32_e32 v5, vcc_lo, v5
	v_cmp_gt_i64_e32 vcc, 0, v[20:21]
	v_ashrrev_i32_e32 v2, 31, v2
	v_and_b32_e32 v4, v4, v5
	v_xor_b32_e32 v5, vcc_hi, v2
	v_xor_b32_e32 v2, vcc_lo, v2
	v_and_b32_e32 v2, v4, v2
	v_and_b32_e32 v3, v3, v5
	v_mbcnt_lo_u32_b32 v4, v2, 0
	v_mbcnt_hi_u32_b32 v111, v3, v4
	v_cmp_eq_u32_e32 vcc, 0, v111
	v_cmp_ne_u64_e64 s[36:37], 0, v[2:3]
	s_and_b64 s[38:39], s[36:37], vcc
	; wave barrier
	s_and_saveexec_b64 s[36:37], s[38:39]
	s_cbranch_execz .LBB1458_427
; %bb.426:                              ;   in Loop: Header=BB1458_405 Depth=2
	v_bcnt_u32_b32 v2, v2, 0
	v_bcnt_u32_b32 v2, v3, v2
	s_waitcnt lgkmcnt(0)
	v_add_u32_e32 v2, v109, v2
	ds_write_b32 v110, v2
.LBB1458_427:                           ;   in Loop: Header=BB1458_405 Depth=2
	s_or_b64 exec, exec, s[36:37]
	v_cmp_lt_i32_e32 vcc, -1, v6
	v_cndmask_b32_e32 v2, -1, v73, vcc
	v_xor_b32_e32 v112, v2, v6
	v_cmp_ne_u32_e32 vcc, s64, v112
	v_cndmask_b32_e32 v2, v73, v112, vcc
	v_lshrrev_b32_e32 v2, s77, v2
	v_and_b32_e32 v2, s85, v2
	v_mul_u32_u24_e32 v3, 5, v2
	v_add_lshl_u32 v3, v3, v98, 2
	; wave barrier
	v_add_u32_e32 v113, 0x410, v3
	ds_read_b32 v6, v3 offset:1040
	v_and_b32_e32 v3, 1, v2
	v_add_co_u32_e32 v4, vcc, -1, v3
	v_addc_co_u32_e64 v5, s[36:37], 0, -1, vcc
	v_cmp_ne_u32_e32 vcc, 0, v3
	v_lshlrev_b32_e32 v21, 30, v2
	v_xor_b32_e32 v3, vcc_hi, v5
	v_not_b32_e32 v5, v21
	v_xor_b32_e32 v4, vcc_lo, v4
	v_cmp_gt_i64_e32 vcc, 0, v[20:21]
	v_ashrrev_i32_e32 v5, 31, v5
	v_and_b32_e32 v3, exec_hi, v3
	v_xor_b32_e32 v21, vcc_hi, v5
	v_and_b32_e32 v4, exec_lo, v4
	v_xor_b32_e32 v5, vcc_lo, v5
	v_and_b32_e32 v3, v3, v21
	v_lshlrev_b32_e32 v21, 29, v2
	v_and_b32_e32 v4, v4, v5
	v_not_b32_e32 v5, v21
	v_cmp_gt_i64_e32 vcc, 0, v[20:21]
	v_ashrrev_i32_e32 v5, 31, v5
	v_xor_b32_e32 v21, vcc_hi, v5
	v_xor_b32_e32 v5, vcc_lo, v5
	v_and_b32_e32 v3, v3, v21
	v_lshlrev_b32_e32 v21, 28, v2
	v_and_b32_e32 v4, v4, v5
	v_not_b32_e32 v5, v21
	v_cmp_gt_i64_e32 vcc, 0, v[20:21]
	v_ashrrev_i32_e32 v5, 31, v5
	v_xor_b32_e32 v21, vcc_hi, v5
	;; [unrolled: 8-line block ×5, first 2 shown]
	v_and_b32_e32 v3, v3, v21
	v_lshlrev_b32_e32 v21, 24, v2
	v_not_b32_e32 v2, v21
	v_xor_b32_e32 v5, vcc_lo, v5
	v_cmp_gt_i64_e32 vcc, 0, v[20:21]
	v_ashrrev_i32_e32 v2, 31, v2
	v_and_b32_e32 v4, v4, v5
	v_xor_b32_e32 v5, vcc_hi, v2
	v_xor_b32_e32 v2, vcc_lo, v2
	v_and_b32_e32 v2, v4, v2
	v_and_b32_e32 v3, v3, v5
	v_mbcnt_lo_u32_b32 v4, v2, 0
	v_mbcnt_hi_u32_b32 v114, v3, v4
	v_cmp_eq_u32_e32 vcc, 0, v114
	v_cmp_ne_u64_e64 s[36:37], 0, v[2:3]
	s_and_b64 s[38:39], s[36:37], vcc
	; wave barrier
	s_and_saveexec_b64 s[36:37], s[38:39]
	s_cbranch_execz .LBB1458_429
; %bb.428:                              ;   in Loop: Header=BB1458_405 Depth=2
	v_bcnt_u32_b32 v2, v2, 0
	v_bcnt_u32_b32 v2, v3, v2
	s_waitcnt lgkmcnt(0)
	v_add_u32_e32 v2, v6, v2
	ds_write_b32 v113, v2
.LBB1458_429:                           ;   in Loop: Header=BB1458_405 Depth=2
	s_or_b64 exec, exec, s[36:37]
	v_cmp_lt_i32_e32 vcc, -1, v7
	v_cndmask_b32_e32 v2, -1, v73, vcc
	v_xor_b32_e32 v115, v2, v7
	v_cmp_ne_u32_e32 vcc, s64, v115
	v_cndmask_b32_e32 v2, v73, v115, vcc
	v_lshrrev_b32_e32 v2, s77, v2
	v_and_b32_e32 v2, s85, v2
	v_mul_u32_u24_e32 v3, 5, v2
	v_add_lshl_u32 v3, v3, v98, 2
	; wave barrier
	v_add_u32_e32 v116, 0x410, v3
	ds_read_b32 v7, v3 offset:1040
	v_and_b32_e32 v3, 1, v2
	v_add_co_u32_e32 v4, vcc, -1, v3
	v_addc_co_u32_e64 v5, s[36:37], 0, -1, vcc
	v_cmp_ne_u32_e32 vcc, 0, v3
	v_lshlrev_b32_e32 v21, 30, v2
	v_xor_b32_e32 v3, vcc_hi, v5
	v_not_b32_e32 v5, v21
	v_xor_b32_e32 v4, vcc_lo, v4
	v_cmp_gt_i64_e32 vcc, 0, v[20:21]
	v_ashrrev_i32_e32 v5, 31, v5
	v_and_b32_e32 v3, exec_hi, v3
	v_xor_b32_e32 v21, vcc_hi, v5
	v_and_b32_e32 v4, exec_lo, v4
	v_xor_b32_e32 v5, vcc_lo, v5
	v_and_b32_e32 v3, v3, v21
	v_lshlrev_b32_e32 v21, 29, v2
	v_and_b32_e32 v4, v4, v5
	v_not_b32_e32 v5, v21
	v_cmp_gt_i64_e32 vcc, 0, v[20:21]
	v_ashrrev_i32_e32 v5, 31, v5
	v_xor_b32_e32 v21, vcc_hi, v5
	v_xor_b32_e32 v5, vcc_lo, v5
	v_and_b32_e32 v3, v3, v21
	v_lshlrev_b32_e32 v21, 28, v2
	v_and_b32_e32 v4, v4, v5
	v_not_b32_e32 v5, v21
	v_cmp_gt_i64_e32 vcc, 0, v[20:21]
	v_ashrrev_i32_e32 v5, 31, v5
	v_xor_b32_e32 v21, vcc_hi, v5
	;; [unrolled: 8-line block ×5, first 2 shown]
	v_and_b32_e32 v3, v3, v21
	v_lshlrev_b32_e32 v21, 24, v2
	v_not_b32_e32 v2, v21
	v_xor_b32_e32 v5, vcc_lo, v5
	v_cmp_gt_i64_e32 vcc, 0, v[20:21]
	v_ashrrev_i32_e32 v2, 31, v2
	v_and_b32_e32 v4, v4, v5
	v_xor_b32_e32 v5, vcc_hi, v2
	v_xor_b32_e32 v2, vcc_lo, v2
	v_and_b32_e32 v2, v4, v2
	v_and_b32_e32 v3, v3, v5
	v_mbcnt_lo_u32_b32 v4, v2, 0
	v_mbcnt_hi_u32_b32 v117, v3, v4
	v_cmp_eq_u32_e32 vcc, 0, v117
	v_cmp_ne_u64_e64 s[36:37], 0, v[2:3]
	s_and_b64 s[38:39], s[36:37], vcc
	; wave barrier
	s_and_saveexec_b64 s[36:37], s[38:39]
	s_cbranch_execz .LBB1458_431
; %bb.430:                              ;   in Loop: Header=BB1458_405 Depth=2
	v_bcnt_u32_b32 v2, v2, 0
	v_bcnt_u32_b32 v2, v3, v2
	s_waitcnt lgkmcnt(0)
	v_add_u32_e32 v2, v7, v2
	ds_write_b32 v116, v2
.LBB1458_431:                           ;   in Loop: Header=BB1458_405 Depth=2
	s_or_b64 exec, exec, s[36:37]
	v_cmp_lt_i32_e32 vcc, -1, v8
	v_cndmask_b32_e32 v2, -1, v73, vcc
	v_xor_b32_e32 v118, v2, v8
	v_cmp_ne_u32_e32 vcc, s64, v118
	v_cndmask_b32_e32 v2, v73, v118, vcc
	v_lshrrev_b32_e32 v2, s77, v2
	v_and_b32_e32 v2, s85, v2
	v_mul_u32_u24_e32 v3, 5, v2
	v_add_lshl_u32 v3, v3, v98, 2
	; wave barrier
	v_add_u32_e32 v8, 0x410, v3
	ds_read_b32 v119, v3 offset:1040
	v_and_b32_e32 v3, 1, v2
	v_add_co_u32_e32 v4, vcc, -1, v3
	v_addc_co_u32_e64 v5, s[36:37], 0, -1, vcc
	v_cmp_ne_u32_e32 vcc, 0, v3
	v_lshlrev_b32_e32 v21, 30, v2
	v_xor_b32_e32 v3, vcc_hi, v5
	v_not_b32_e32 v5, v21
	v_xor_b32_e32 v4, vcc_lo, v4
	v_cmp_gt_i64_e32 vcc, 0, v[20:21]
	v_ashrrev_i32_e32 v5, 31, v5
	v_and_b32_e32 v3, exec_hi, v3
	v_xor_b32_e32 v21, vcc_hi, v5
	v_and_b32_e32 v4, exec_lo, v4
	v_xor_b32_e32 v5, vcc_lo, v5
	v_and_b32_e32 v3, v3, v21
	v_lshlrev_b32_e32 v21, 29, v2
	v_and_b32_e32 v4, v4, v5
	v_not_b32_e32 v5, v21
	v_cmp_gt_i64_e32 vcc, 0, v[20:21]
	v_ashrrev_i32_e32 v5, 31, v5
	v_xor_b32_e32 v21, vcc_hi, v5
	v_xor_b32_e32 v5, vcc_lo, v5
	v_and_b32_e32 v3, v3, v21
	v_lshlrev_b32_e32 v21, 28, v2
	v_and_b32_e32 v4, v4, v5
	v_not_b32_e32 v5, v21
	v_cmp_gt_i64_e32 vcc, 0, v[20:21]
	v_ashrrev_i32_e32 v5, 31, v5
	v_xor_b32_e32 v21, vcc_hi, v5
	;; [unrolled: 8-line block ×5, first 2 shown]
	v_and_b32_e32 v3, v3, v21
	v_lshlrev_b32_e32 v21, 24, v2
	v_not_b32_e32 v2, v21
	v_xor_b32_e32 v5, vcc_lo, v5
	v_cmp_gt_i64_e32 vcc, 0, v[20:21]
	v_ashrrev_i32_e32 v2, 31, v2
	v_and_b32_e32 v4, v4, v5
	v_xor_b32_e32 v5, vcc_hi, v2
	v_xor_b32_e32 v2, vcc_lo, v2
	v_and_b32_e32 v2, v4, v2
	v_and_b32_e32 v3, v3, v5
	v_mbcnt_lo_u32_b32 v4, v2, 0
	v_mbcnt_hi_u32_b32 v120, v3, v4
	v_cmp_eq_u32_e32 vcc, 0, v120
	v_cmp_ne_u64_e64 s[36:37], 0, v[2:3]
	s_and_b64 s[38:39], s[36:37], vcc
	; wave barrier
	s_and_saveexec_b64 s[36:37], s[38:39]
	s_cbranch_execz .LBB1458_433
; %bb.432:                              ;   in Loop: Header=BB1458_405 Depth=2
	v_bcnt_u32_b32 v2, v2, 0
	v_bcnt_u32_b32 v2, v3, v2
	s_waitcnt lgkmcnt(0)
	v_add_u32_e32 v2, v119, v2
	ds_write_b32 v8, v2
.LBB1458_433:                           ;   in Loop: Header=BB1458_405 Depth=2
	s_or_b64 exec, exec, s[36:37]
	v_cmp_lt_i32_e32 vcc, -1, v9
	v_cndmask_b32_e32 v2, -1, v73, vcc
	v_xor_b32_e32 v121, v2, v9
	v_cmp_ne_u32_e32 vcc, s64, v121
	v_cndmask_b32_e32 v2, v73, v121, vcc
	v_lshrrev_b32_e32 v2, s77, v2
	v_and_b32_e32 v2, s85, v2
	v_mul_u32_u24_e32 v3, 5, v2
	v_add_lshl_u32 v3, v3, v98, 2
	; wave barrier
	v_add_u32_e32 v9, 0x410, v3
	ds_read_b32 v122, v3 offset:1040
	v_and_b32_e32 v3, 1, v2
	v_add_co_u32_e32 v4, vcc, -1, v3
	v_addc_co_u32_e64 v5, s[36:37], 0, -1, vcc
	v_cmp_ne_u32_e32 vcc, 0, v3
	v_lshlrev_b32_e32 v21, 30, v2
	v_xor_b32_e32 v3, vcc_hi, v5
	v_not_b32_e32 v5, v21
	v_xor_b32_e32 v4, vcc_lo, v4
	v_cmp_gt_i64_e32 vcc, 0, v[20:21]
	v_ashrrev_i32_e32 v5, 31, v5
	v_and_b32_e32 v3, exec_hi, v3
	v_xor_b32_e32 v21, vcc_hi, v5
	v_and_b32_e32 v4, exec_lo, v4
	v_xor_b32_e32 v5, vcc_lo, v5
	v_and_b32_e32 v3, v3, v21
	v_lshlrev_b32_e32 v21, 29, v2
	v_and_b32_e32 v4, v4, v5
	v_not_b32_e32 v5, v21
	v_cmp_gt_i64_e32 vcc, 0, v[20:21]
	v_ashrrev_i32_e32 v5, 31, v5
	v_xor_b32_e32 v21, vcc_hi, v5
	v_xor_b32_e32 v5, vcc_lo, v5
	v_and_b32_e32 v3, v3, v21
	v_lshlrev_b32_e32 v21, 28, v2
	v_and_b32_e32 v4, v4, v5
	v_not_b32_e32 v5, v21
	v_cmp_gt_i64_e32 vcc, 0, v[20:21]
	v_ashrrev_i32_e32 v5, 31, v5
	v_xor_b32_e32 v21, vcc_hi, v5
	;; [unrolled: 8-line block ×5, first 2 shown]
	v_and_b32_e32 v3, v3, v21
	v_lshlrev_b32_e32 v21, 24, v2
	v_not_b32_e32 v2, v21
	v_xor_b32_e32 v5, vcc_lo, v5
	v_cmp_gt_i64_e32 vcc, 0, v[20:21]
	v_ashrrev_i32_e32 v2, 31, v2
	v_and_b32_e32 v4, v4, v5
	v_xor_b32_e32 v5, vcc_hi, v2
	v_xor_b32_e32 v2, vcc_lo, v2
	v_and_b32_e32 v2, v4, v2
	v_and_b32_e32 v3, v3, v5
	v_mbcnt_lo_u32_b32 v4, v2, 0
	v_mbcnt_hi_u32_b32 v123, v3, v4
	v_cmp_eq_u32_e32 vcc, 0, v123
	v_cmp_ne_u64_e64 s[36:37], 0, v[2:3]
	s_and_b64 s[38:39], s[36:37], vcc
	; wave barrier
	s_and_saveexec_b64 s[36:37], s[38:39]
	s_cbranch_execz .LBB1458_435
; %bb.434:                              ;   in Loop: Header=BB1458_405 Depth=2
	v_bcnt_u32_b32 v2, v2, 0
	v_bcnt_u32_b32 v2, v3, v2
	s_waitcnt lgkmcnt(0)
	v_add_u32_e32 v2, v122, v2
	ds_write_b32 v9, v2
.LBB1458_435:                           ;   in Loop: Header=BB1458_405 Depth=2
	s_or_b64 exec, exec, s[36:37]
	; wave barrier
	s_waitcnt lgkmcnt(0)
	s_barrier
	ds_read_b32 v21, v50 offset:1040
	ds_read2_b32 v[4:5], v52 offset0:1 offset1:2
	ds_read2_b32 v[2:3], v52 offset0:3 offset1:4
	s_waitcnt lgkmcnt(1)
	v_add3_u32 v124, v4, v21, v5
	s_waitcnt lgkmcnt(0)
	v_add3_u32 v3, v124, v2, v3
	s_nop 1
	v_mov_b32_dpp v124, v3 row_shr:1 row_mask:0xf bank_mask:0xf
	v_cndmask_b32_e64 v124, v124, 0, s[16:17]
	v_add_u32_e32 v3, v124, v3
	s_nop 1
	v_mov_b32_dpp v124, v3 row_shr:2 row_mask:0xf bank_mask:0xf
	v_cndmask_b32_e64 v124, 0, v124, s[18:19]
	v_add_u32_e32 v3, v3, v124
	;; [unrolled: 4-line block ×4, first 2 shown]
	s_nop 1
	v_mov_b32_dpp v124, v3 row_bcast:15 row_mask:0xf bank_mask:0xf
	v_cndmask_b32_e64 v124, v124, 0, s[24:25]
	v_add_u32_e32 v3, v3, v124
	s_nop 1
	v_mov_b32_dpp v124, v3 row_bcast:31 row_mask:0xf bank_mask:0xf
	v_cndmask_b32_e64 v124, 0, v124, s[26:27]
	v_add_u32_e32 v3, v3, v124
	s_and_saveexec_b64 s[36:37], s[6:7]
	s_cbranch_execz .LBB1458_437
; %bb.436:                              ;   in Loop: Header=BB1458_405 Depth=2
	ds_write_b32 v43, v3 offset:1024
.LBB1458_437:                           ;   in Loop: Header=BB1458_405 Depth=2
	s_or_b64 exec, exec, s[36:37]
	s_waitcnt lgkmcnt(0)
	s_barrier
	s_and_saveexec_b64 s[36:37], s[8:9]
	s_cbranch_execz .LBB1458_439
; %bb.438:                              ;   in Loop: Header=BB1458_405 Depth=2
	ds_read_b32 v124, v53 offset:1024
	s_waitcnt lgkmcnt(0)
	s_nop 0
	v_mov_b32_dpp v125, v124 row_shr:1 row_mask:0xf bank_mask:0xf
	v_cndmask_b32_e64 v125, v125, 0, s[30:31]
	v_add_u32_e32 v124, v125, v124
	s_nop 1
	v_mov_b32_dpp v125, v124 row_shr:2 row_mask:0xf bank_mask:0xf
	v_cndmask_b32_e64 v125, 0, v125, s[34:35]
	v_add_u32_e32 v124, v124, v125
	ds_write_b32 v53, v124 offset:1024
.LBB1458_439:                           ;   in Loop: Header=BB1458_405 Depth=2
	s_or_b64 exec, exec, s[36:37]
	v_mov_b32_e32 v124, 0
	s_waitcnt lgkmcnt(0)
	s_barrier
	s_and_saveexec_b64 s[36:37], s[10:11]
	s_cbranch_execz .LBB1458_441
; %bb.440:                              ;   in Loop: Header=BB1458_405 Depth=2
	ds_read_b32 v124, v43 offset:1020
.LBB1458_441:                           ;   in Loop: Header=BB1458_405 Depth=2
	s_or_b64 exec, exec, s[36:37]
	s_waitcnt lgkmcnt(0)
	v_add_u32_e32 v3, v124, v3
	ds_bpermute_b32 v3, v75, v3
	s_waitcnt lgkmcnt(0)
	v_cndmask_b32_e64 v3, v3, v124, s[28:29]
	v_cndmask_b32_e64 v3, v3, 0, s[12:13]
	v_add_u32_e32 v21, v3, v21
	ds_write_b32 v50, v3 offset:1040
	v_add_u32_e32 v3, v21, v4
	v_add_u32_e32 v4, v3, v5
	;; [unrolled: 1-line block ×3, first 2 shown]
	ds_write2_b32 v52, v21, v3 offset0:1 offset1:2
	ds_write2_b32 v52, v4, v2 offset0:3 offset1:4
	s_waitcnt lgkmcnt(0)
	s_barrier
	ds_read_b32 v2, v102
	ds_read_b32 v3, v106
	;; [unrolled: 1-line block ×8, first 2 shown]
	ds_read_b32 v9, v50 offset:1040
	v_mov_b32_e32 v4, 0x800
	s_and_saveexec_b64 s[36:37], s[14:15]
	s_cbranch_execz .LBB1458_443
; %bb.442:                              ;   in Loop: Header=BB1458_405 Depth=2
	ds_read_b32 v4, v50 offset:1060
.LBB1458_443:                           ;   in Loop: Header=BB1458_405 Depth=2
	s_or_b64 exec, exec, s[36:37]
	s_waitcnt lgkmcnt(0)
	s_barrier
	s_and_saveexec_b64 s[36:37], s[4:5]
	s_cbranch_execz .LBB1458_445
; %bb.444:                              ;   in Loop: Header=BB1458_405 Depth=2
	ds_read_b32 v21, v19
	s_waitcnt lgkmcnt(0)
	v_sub_u32_e32 v9, v21, v9
	ds_write_b32 v19, v9
.LBB1458_445:                           ;   in Loop: Header=BB1458_405 Depth=2
	s_or_b64 exec, exec, s[36:37]
	v_add_u32_e32 v100, v8, v101
	v_add3_u32 v39, v103, v39, v2
	v_lshlrev_b32_e32 v2, 2, v100
	v_add3_u32 v21, v107, v105, v3
	ds_write_b32 v2, v99 offset:1024
	v_lshlrev_b32_e32 v2, 2, v39
	v_add3_u32 v9, v111, v109, v5
	ds_write_b32 v2, v38 offset:1024
	v_lshlrev_b32_e32 v2, 2, v21
	v_add3_u32 v8, v114, v6, v102
	ds_write_b32 v2, v104 offset:1024
	v_lshlrev_b32_e32 v2, 2, v9
	v_add3_u32 v7, v117, v7, v106
	ds_write_b32 v2, v108 offset:1024
	v_lshlrev_b32_e32 v2, 2, v8
	v_add3_u32 v6, v120, v119, v110
	ds_write_b32 v2, v112 offset:1024
	v_lshlrev_b32_e32 v2, 2, v7
	v_add3_u32 v5, v123, v122, v113
	ds_write_b32 v2, v115 offset:1024
	v_lshlrev_b32_e32 v2, 2, v6
	ds_write_b32 v2, v118 offset:1024
	v_lshlrev_b32_e32 v2, 2, v5
	v_cmp_lt_u32_e32 vcc, v18, v0
	ds_write_b32 v2, v121 offset:1024
	s_waitcnt lgkmcnt(0)
	s_barrier
	s_and_saveexec_b64 s[38:39], vcc
	s_cbranch_execz .LBB1458_453
; %bb.446:                              ;   in Loop: Header=BB1458_405 Depth=2
	ds_read_b32 v2, v53 offset:1024
	v_mov_b32_e32 v3, v20
	v_mov_b32_e32 v99, s59
	s_waitcnt lgkmcnt(0)
	v_cmp_ne_u32_e64 s[36:37], s64, v2
	v_cndmask_b32_e64 v38, v73, v2, s[36:37]
	v_lshrrev_b32_e32 v38, s77, v38
	v_and_b32_e32 v38, s85, v38
	v_lshlrev_b32_e32 v38, 2, v38
	ds_read_b32 v38, v38
	v_cmp_lt_i32_e64 s[36:37], -1, v2
	v_cndmask_b32_e64 v101, v73, -1, s[36:37]
	v_xor_b32_e32 v101, v101, v2
	s_waitcnt lgkmcnt(0)
	v_add_u32_e32 v2, v38, v18
	v_lshlrev_b64 v[2:3], 2, v[2:3]
	v_add_co_u32_e64 v2, s[36:37], s58, v2
	v_addc_co_u32_e64 v3, s[36:37], v99, v3, s[36:37]
	global_store_dword v[2:3], v101, off
	s_or_b64 exec, exec, s[38:39]
	v_cmp_lt_u32_e64 s[36:37], v23, v0
	s_and_saveexec_b64 s[40:41], s[36:37]
	s_cbranch_execnz .LBB1458_454
.LBB1458_447:                           ;   in Loop: Header=BB1458_405 Depth=2
	s_or_b64 exec, exec, s[40:41]
	v_cmp_lt_u32_e64 s[38:39], v25, v0
	s_and_saveexec_b64 s[42:43], s[38:39]
	s_cbranch_execz .LBB1458_455
.LBB1458_448:                           ;   in Loop: Header=BB1458_405 Depth=2
	ds_read_b32 v2, v58 offset:2048
	v_mov_b32_e32 v3, v20
	v_mov_b32_e32 v99, s59
	s_waitcnt lgkmcnt(0)
	v_cmp_ne_u32_e64 s[40:41], s64, v2
	v_cndmask_b32_e64 v38, v73, v2, s[40:41]
	v_lshrrev_b32_e32 v38, s77, v38
	v_and_b32_e32 v38, s85, v38
	v_lshlrev_b32_e32 v38, 2, v38
	ds_read_b32 v38, v38
	v_cmp_lt_i32_e64 s[40:41], -1, v2
	v_cndmask_b32_e64 v101, v73, -1, s[40:41]
	v_xor_b32_e32 v101, v101, v2
	s_waitcnt lgkmcnt(0)
	v_add_u32_e32 v2, v38, v25
	v_lshlrev_b64 v[2:3], 2, v[2:3]
	v_add_co_u32_e64 v2, s[40:41], s58, v2
	v_addc_co_u32_e64 v3, s[40:41], v99, v3, s[40:41]
	global_store_dword v[2:3], v101, off
	s_or_b64 exec, exec, s[42:43]
	v_cmp_lt_u32_e64 s[40:41], v27, v0
	s_and_saveexec_b64 s[44:45], s[40:41]
	s_cbranch_execnz .LBB1458_456
.LBB1458_449:                           ;   in Loop: Header=BB1458_405 Depth=2
	s_or_b64 exec, exec, s[44:45]
	v_cmp_lt_u32_e64 s[42:43], v22, v0
	s_and_saveexec_b64 s[46:47], s[42:43]
	s_cbranch_execz .LBB1458_457
.LBB1458_450:                           ;   in Loop: Header=BB1458_405 Depth=2
	ds_read_b32 v2, v58 offset:4096
	v_mov_b32_e32 v3, v20
	v_mov_b32_e32 v99, s59
	s_waitcnt lgkmcnt(0)
	v_cmp_ne_u32_e64 s[44:45], s64, v2
	v_cndmask_b32_e64 v38, v73, v2, s[44:45]
	v_lshrrev_b32_e32 v38, s77, v38
	v_and_b32_e32 v38, s85, v38
	v_lshlrev_b32_e32 v38, 2, v38
	ds_read_b32 v38, v38
	v_cmp_lt_i32_e64 s[44:45], -1, v2
	v_cndmask_b32_e64 v101, v73, -1, s[44:45]
	v_xor_b32_e32 v101, v101, v2
	s_waitcnt lgkmcnt(0)
	v_add_u32_e32 v2, v38, v22
	v_lshlrev_b64 v[2:3], 2, v[2:3]
	v_add_co_u32_e64 v2, s[44:45], s58, v2
	v_addc_co_u32_e64 v3, s[44:45], v99, v3, s[44:45]
	global_store_dword v[2:3], v101, off
	s_or_b64 exec, exec, s[46:47]
	v_cmp_lt_u32_e64 s[44:45], v24, v0
	s_and_saveexec_b64 s[48:49], s[44:45]
	s_cbranch_execnz .LBB1458_458
.LBB1458_451:                           ;   in Loop: Header=BB1458_405 Depth=2
	s_or_b64 exec, exec, s[48:49]
	v_cmp_lt_u32_e64 s[46:47], v26, v0
	s_and_saveexec_b64 s[52:53], s[46:47]
	s_cbranch_execz .LBB1458_459
.LBB1458_452:                           ;   in Loop: Header=BB1458_405 Depth=2
	ds_read_b32 v2, v58 offset:6144
	v_mov_b32_e32 v3, v20
	v_mov_b32_e32 v99, s59
	s_waitcnt lgkmcnt(0)
	v_cmp_ne_u32_e64 s[48:49], s64, v2
	v_cndmask_b32_e64 v38, v73, v2, s[48:49]
	v_lshrrev_b32_e32 v38, s77, v38
	v_and_b32_e32 v38, s85, v38
	v_lshlrev_b32_e32 v38, 2, v38
	ds_read_b32 v38, v38
	v_cmp_lt_i32_e64 s[48:49], -1, v2
	v_cndmask_b32_e64 v101, v73, -1, s[48:49]
	v_xor_b32_e32 v101, v101, v2
	s_waitcnt lgkmcnt(0)
	v_add_u32_e32 v2, v38, v26
	v_lshlrev_b64 v[2:3], 2, v[2:3]
	v_add_co_u32_e64 v2, s[48:49], s58, v2
	v_addc_co_u32_e64 v3, s[48:49], v99, v3, s[48:49]
	global_store_dword v[2:3], v101, off
	s_or_b64 exec, exec, s[52:53]
	v_cmp_lt_u32_e64 s[48:49], v28, v0
	s_and_saveexec_b64 s[62:63], s[48:49]
	s_cbranch_execnz .LBB1458_460
	s_branch .LBB1458_461
.LBB1458_453:                           ;   in Loop: Header=BB1458_405 Depth=2
	s_or_b64 exec, exec, s[38:39]
	v_cmp_lt_u32_e64 s[36:37], v23, v0
	s_and_saveexec_b64 s[40:41], s[36:37]
	s_cbranch_execz .LBB1458_447
.LBB1458_454:                           ;   in Loop: Header=BB1458_405 Depth=2
	ds_read_b32 v2, v58 offset:1024
	v_mov_b32_e32 v3, v20
	v_mov_b32_e32 v99, s59
	s_waitcnt lgkmcnt(0)
	v_cmp_ne_u32_e64 s[38:39], s64, v2
	v_cndmask_b32_e64 v38, v73, v2, s[38:39]
	v_lshrrev_b32_e32 v38, s77, v38
	v_and_b32_e32 v38, s85, v38
	v_lshlrev_b32_e32 v38, 2, v38
	ds_read_b32 v38, v38
	v_cmp_lt_i32_e64 s[38:39], -1, v2
	v_cndmask_b32_e64 v101, v73, -1, s[38:39]
	v_xor_b32_e32 v101, v101, v2
	s_waitcnt lgkmcnt(0)
	v_add_u32_e32 v2, v38, v23
	v_lshlrev_b64 v[2:3], 2, v[2:3]
	v_add_co_u32_e64 v2, s[38:39], s58, v2
	v_addc_co_u32_e64 v3, s[38:39], v99, v3, s[38:39]
	global_store_dword v[2:3], v101, off
	s_or_b64 exec, exec, s[40:41]
	v_cmp_lt_u32_e64 s[38:39], v25, v0
	s_and_saveexec_b64 s[42:43], s[38:39]
	s_cbranch_execnz .LBB1458_448
.LBB1458_455:                           ;   in Loop: Header=BB1458_405 Depth=2
	s_or_b64 exec, exec, s[42:43]
	v_cmp_lt_u32_e64 s[40:41], v27, v0
	s_and_saveexec_b64 s[44:45], s[40:41]
	s_cbranch_execz .LBB1458_449
.LBB1458_456:                           ;   in Loop: Header=BB1458_405 Depth=2
	ds_read_b32 v2, v58 offset:3072
	v_mov_b32_e32 v3, v20
	v_mov_b32_e32 v99, s59
	s_waitcnt lgkmcnt(0)
	v_cmp_ne_u32_e64 s[42:43], s64, v2
	v_cndmask_b32_e64 v38, v73, v2, s[42:43]
	v_lshrrev_b32_e32 v38, s77, v38
	v_and_b32_e32 v38, s85, v38
	v_lshlrev_b32_e32 v38, 2, v38
	ds_read_b32 v38, v38
	v_cmp_lt_i32_e64 s[42:43], -1, v2
	v_cndmask_b32_e64 v101, v73, -1, s[42:43]
	v_xor_b32_e32 v101, v101, v2
	s_waitcnt lgkmcnt(0)
	v_add_u32_e32 v2, v38, v27
	v_lshlrev_b64 v[2:3], 2, v[2:3]
	v_add_co_u32_e64 v2, s[42:43], s58, v2
	v_addc_co_u32_e64 v3, s[42:43], v99, v3, s[42:43]
	global_store_dword v[2:3], v101, off
	s_or_b64 exec, exec, s[44:45]
	v_cmp_lt_u32_e64 s[42:43], v22, v0
	s_and_saveexec_b64 s[46:47], s[42:43]
	s_cbranch_execnz .LBB1458_450
.LBB1458_457:                           ;   in Loop: Header=BB1458_405 Depth=2
	s_or_b64 exec, exec, s[46:47]
	v_cmp_lt_u32_e64 s[44:45], v24, v0
	s_and_saveexec_b64 s[48:49], s[44:45]
	s_cbranch_execz .LBB1458_451
.LBB1458_458:                           ;   in Loop: Header=BB1458_405 Depth=2
	ds_read_b32 v2, v58 offset:5120
	v_mov_b32_e32 v3, v20
	v_mov_b32_e32 v99, s59
	s_waitcnt lgkmcnt(0)
	v_cmp_ne_u32_e64 s[46:47], s64, v2
	v_cndmask_b32_e64 v38, v73, v2, s[46:47]
	v_lshrrev_b32_e32 v38, s77, v38
	v_and_b32_e32 v38, s85, v38
	v_lshlrev_b32_e32 v38, 2, v38
	ds_read_b32 v38, v38
	v_cmp_lt_i32_e64 s[46:47], -1, v2
	v_cndmask_b32_e64 v101, v73, -1, s[46:47]
	v_xor_b32_e32 v101, v101, v2
	s_waitcnt lgkmcnt(0)
	v_add_u32_e32 v2, v38, v24
	v_lshlrev_b64 v[2:3], 2, v[2:3]
	v_add_co_u32_e64 v2, s[46:47], s58, v2
	v_addc_co_u32_e64 v3, s[46:47], v99, v3, s[46:47]
	global_store_dword v[2:3], v101, off
	s_or_b64 exec, exec, s[48:49]
	v_cmp_lt_u32_e64 s[46:47], v26, v0
	s_and_saveexec_b64 s[52:53], s[46:47]
	s_cbranch_execnz .LBB1458_452
.LBB1458_459:                           ;   in Loop: Header=BB1458_405 Depth=2
	s_or_b64 exec, exec, s[52:53]
	v_cmp_lt_u32_e64 s[48:49], v28, v0
	s_and_saveexec_b64 s[62:63], s[48:49]
	s_cbranch_execz .LBB1458_461
.LBB1458_460:                           ;   in Loop: Header=BB1458_405 Depth=2
	ds_read_b32 v2, v58 offset:7168
	v_mov_b32_e32 v3, v20
	v_mov_b32_e32 v99, s59
	s_waitcnt lgkmcnt(0)
	v_cmp_ne_u32_e64 s[52:53], s64, v2
	v_cndmask_b32_e64 v38, v73, v2, s[52:53]
	v_lshrrev_b32_e32 v38, s77, v38
	v_and_b32_e32 v38, s85, v38
	v_lshlrev_b32_e32 v38, 2, v38
	ds_read_b32 v38, v38
	v_cmp_lt_i32_e64 s[52:53], -1, v2
	v_cndmask_b32_e64 v101, v73, -1, s[52:53]
	v_xor_b32_e32 v101, v101, v2
	s_waitcnt lgkmcnt(0)
	v_add_u32_e32 v2, v38, v28
	v_lshlrev_b64 v[2:3], 2, v[2:3]
	v_add_co_u32_e64 v2, s[52:53], s58, v2
	v_addc_co_u32_e64 v3, s[52:53], v99, v3, s[52:53]
	global_store_dword v[2:3], v101, off
.LBB1458_461:                           ;   in Loop: Header=BB1458_405 Depth=2
	s_or_b64 exec, exec, s[62:63]
	s_lshl_b64 s[52:53], s[80:81], 3
	v_mov_b32_e32 v3, s53
	v_add_co_u32_e64 v2, s[52:53], s52, v83
	v_addc_co_u32_e64 v3, s[52:53], v85, v3, s[52:53]
	v_cmp_lt_u32_e64 s[52:53], v80, v0
	s_and_saveexec_b64 s[62:63], s[52:53]
	s_xor_b64 s[52:53], exec, s[62:63]
	s_cbranch_execz .LBB1458_477
; %bb.462:                              ;   in Loop: Header=BB1458_405 Depth=2
	global_load_dwordx2 v[36:37], v[2:3], off
	s_or_b64 exec, exec, s[52:53]
	v_cmp_lt_u32_e64 s[52:53], v87, v0
	s_and_saveexec_b64 s[62:63], s[52:53]
	s_cbranch_execnz .LBB1458_478
.LBB1458_463:                           ;   in Loop: Header=BB1458_405 Depth=2
	s_or_b64 exec, exec, s[62:63]
	v_cmp_lt_u32_e64 s[52:53], v88, v0
	s_and_saveexec_b64 s[62:63], s[52:53]
	s_cbranch_execz .LBB1458_479
.LBB1458_464:                           ;   in Loop: Header=BB1458_405 Depth=2
	global_load_dwordx2 v[32:33], v[2:3], off offset:1024
	s_or_b64 exec, exec, s[62:63]
	v_cmp_lt_u32_e64 s[52:53], v89, v0
	s_and_saveexec_b64 s[62:63], s[52:53]
	s_cbranch_execnz .LBB1458_480
.LBB1458_465:                           ;   in Loop: Header=BB1458_405 Depth=2
	s_or_b64 exec, exec, s[62:63]
	v_cmp_lt_u32_e64 s[52:53], v90, v0
	s_and_saveexec_b64 s[62:63], s[52:53]
	s_cbranch_execz .LBB1458_481
.LBB1458_466:                           ;   in Loop: Header=BB1458_405 Depth=2
	global_load_dwordx2 v[16:17], v[2:3], off offset:2048
	s_or_b64 exec, exec, s[62:63]
	v_cmp_lt_u32_e64 s[52:53], v91, v0
	s_and_saveexec_b64 s[62:63], s[52:53]
	s_cbranch_execnz .LBB1458_482
.LBB1458_467:                           ;   in Loop: Header=BB1458_405 Depth=2
	s_or_b64 exec, exec, s[62:63]
	v_cmp_lt_u32_e64 s[52:53], v92, v0
	s_and_saveexec_b64 s[62:63], s[52:53]
	s_cbranch_execz .LBB1458_483
.LBB1458_468:                           ;   in Loop: Header=BB1458_405 Depth=2
	global_load_dwordx2 v[12:13], v[2:3], off offset:3072
	s_or_b64 exec, exec, s[62:63]
	v_cmp_lt_u32_e64 s[52:53], v93, v0
	s_and_saveexec_b64 s[62:63], s[52:53]
	s_cbranch_execnz .LBB1458_484
.LBB1458_469:                           ;   in Loop: Header=BB1458_405 Depth=2
	s_or_b64 exec, exec, s[62:63]
	s_and_saveexec_b64 s[62:63], vcc
	s_cbranch_execz .LBB1458_485
.LBB1458_470:                           ;   in Loop: Header=BB1458_405 Depth=2
	ds_read_b32 v0, v53 offset:1024
	s_waitcnt lgkmcnt(0)
	v_cmp_ne_u32_e64 s[52:53], s64, v0
	v_cndmask_b32_e64 v0, v73, v0, s[52:53]
	v_lshrrev_b32_e32 v0, s77, v0
	v_and_b32_e32 v86, s85, v0
	s_or_b64 exec, exec, s[62:63]
	s_and_saveexec_b64 s[62:63], s[36:37]
	s_cbranch_execnz .LBB1458_486
.LBB1458_471:                           ;   in Loop: Header=BB1458_405 Depth=2
	s_or_b64 exec, exec, s[62:63]
	s_and_saveexec_b64 s[62:63], s[38:39]
	s_cbranch_execz .LBB1458_487
.LBB1458_472:                           ;   in Loop: Header=BB1458_405 Depth=2
	ds_read_b32 v0, v58 offset:2048
	s_waitcnt lgkmcnt(0)
	v_cmp_ne_u32_e64 s[52:53], s64, v0
	v_cndmask_b32_e64 v0, v73, v0, s[52:53]
	v_lshrrev_b32_e32 v0, s77, v0
	v_and_b32_e32 v82, s85, v0
	s_or_b64 exec, exec, s[62:63]
	s_and_saveexec_b64 s[62:63], s[40:41]
	s_cbranch_execnz .LBB1458_488
.LBB1458_473:                           ;   in Loop: Header=BB1458_405 Depth=2
	s_or_b64 exec, exec, s[62:63]
	s_and_saveexec_b64 s[62:63], s[42:43]
	s_cbranch_execz .LBB1458_489
.LBB1458_474:                           ;   in Loop: Header=BB1458_405 Depth=2
	ds_read_b32 v0, v58 offset:4096
	s_waitcnt lgkmcnt(0)
	v_cmp_ne_u32_e64 s[52:53], s64, v0
	v_cndmask_b32_e64 v0, v73, v0, s[52:53]
	v_lshrrev_b32_e32 v0, s77, v0
	v_and_b32_e32 v79, s85, v0
	s_or_b64 exec, exec, s[62:63]
	s_and_saveexec_b64 s[62:63], s[44:45]
	s_cbranch_execnz .LBB1458_490
.LBB1458_475:                           ;   in Loop: Header=BB1458_405 Depth=2
	s_or_b64 exec, exec, s[62:63]
	s_and_saveexec_b64 s[62:63], s[46:47]
	s_cbranch_execz .LBB1458_491
.LBB1458_476:                           ;   in Loop: Header=BB1458_405 Depth=2
	ds_read_b32 v0, v58 offset:6144
	s_waitcnt lgkmcnt(0)
	v_cmp_ne_u32_e64 s[52:53], s64, v0
	v_cndmask_b32_e64 v0, v73, v0, s[52:53]
	v_lshrrev_b32_e32 v0, s77, v0
	v_and_b32_e32 v77, s85, v0
	s_or_b64 exec, exec, s[62:63]
	s_and_saveexec_b64 s[62:63], s[48:49]
	s_cbranch_execnz .LBB1458_492
	s_branch .LBB1458_493
.LBB1458_477:                           ;   in Loop: Header=BB1458_405 Depth=2
	s_or_b64 exec, exec, s[52:53]
	v_cmp_lt_u32_e64 s[52:53], v87, v0
	s_and_saveexec_b64 s[62:63], s[52:53]
	s_cbranch_execz .LBB1458_463
.LBB1458_478:                           ;   in Loop: Header=BB1458_405 Depth=2
	global_load_dwordx2 v[34:35], v[2:3], off offset:512
	s_or_b64 exec, exec, s[62:63]
	v_cmp_lt_u32_e64 s[52:53], v88, v0
	s_and_saveexec_b64 s[62:63], s[52:53]
	s_cbranch_execnz .LBB1458_464
.LBB1458_479:                           ;   in Loop: Header=BB1458_405 Depth=2
	s_or_b64 exec, exec, s[62:63]
	v_cmp_lt_u32_e64 s[52:53], v89, v0
	s_and_saveexec_b64 s[62:63], s[52:53]
	s_cbranch_execz .LBB1458_465
.LBB1458_480:                           ;   in Loop: Header=BB1458_405 Depth=2
	global_load_dwordx2 v[30:31], v[2:3], off offset:1536
	s_or_b64 exec, exec, s[62:63]
	v_cmp_lt_u32_e64 s[52:53], v90, v0
	s_and_saveexec_b64 s[62:63], s[52:53]
	s_cbranch_execnz .LBB1458_466
.LBB1458_481:                           ;   in Loop: Header=BB1458_405 Depth=2
	s_or_b64 exec, exec, s[62:63]
	v_cmp_lt_u32_e64 s[52:53], v91, v0
	s_and_saveexec_b64 s[62:63], s[52:53]
	s_cbranch_execz .LBB1458_467
.LBB1458_482:                           ;   in Loop: Header=BB1458_405 Depth=2
	global_load_dwordx2 v[14:15], v[2:3], off offset:2560
	s_or_b64 exec, exec, s[62:63]
	v_cmp_lt_u32_e64 s[52:53], v92, v0
	s_and_saveexec_b64 s[62:63], s[52:53]
	s_cbranch_execnz .LBB1458_468
.LBB1458_483:                           ;   in Loop: Header=BB1458_405 Depth=2
	s_or_b64 exec, exec, s[62:63]
	v_cmp_lt_u32_e64 s[52:53], v93, v0
	s_and_saveexec_b64 s[62:63], s[52:53]
	s_cbranch_execz .LBB1458_469
.LBB1458_484:                           ;   in Loop: Header=BB1458_405 Depth=2
	global_load_dwordx2 v[10:11], v[2:3], off offset:3584
	s_or_b64 exec, exec, s[62:63]
	s_and_saveexec_b64 s[62:63], vcc
	s_cbranch_execnz .LBB1458_470
.LBB1458_485:                           ;   in Loop: Header=BB1458_405 Depth=2
	s_or_b64 exec, exec, s[62:63]
	s_and_saveexec_b64 s[62:63], s[36:37]
	s_cbranch_execz .LBB1458_471
.LBB1458_486:                           ;   in Loop: Header=BB1458_405 Depth=2
	ds_read_b32 v0, v58 offset:1024
	s_waitcnt lgkmcnt(0)
	v_cmp_ne_u32_e64 s[52:53], s64, v0
	v_cndmask_b32_e64 v0, v73, v0, s[52:53]
	v_lshrrev_b32_e32 v0, s77, v0
	v_and_b32_e32 v84, s85, v0
	s_or_b64 exec, exec, s[62:63]
	s_and_saveexec_b64 s[62:63], s[38:39]
	s_cbranch_execnz .LBB1458_472
.LBB1458_487:                           ;   in Loop: Header=BB1458_405 Depth=2
	s_or_b64 exec, exec, s[62:63]
	s_and_saveexec_b64 s[62:63], s[40:41]
	s_cbranch_execz .LBB1458_473
.LBB1458_488:                           ;   in Loop: Header=BB1458_405 Depth=2
	ds_read_b32 v0, v58 offset:3072
	s_waitcnt lgkmcnt(0)
	v_cmp_ne_u32_e64 s[52:53], s64, v0
	v_cndmask_b32_e64 v0, v73, v0, s[52:53]
	v_lshrrev_b32_e32 v0, s77, v0
	v_and_b32_e32 v81, s85, v0
	s_or_b64 exec, exec, s[62:63]
	s_and_saveexec_b64 s[62:63], s[42:43]
	s_cbranch_execnz .LBB1458_474
.LBB1458_489:                           ;   in Loop: Header=BB1458_405 Depth=2
	s_or_b64 exec, exec, s[62:63]
	s_and_saveexec_b64 s[62:63], s[44:45]
	s_cbranch_execz .LBB1458_475
.LBB1458_490:                           ;   in Loop: Header=BB1458_405 Depth=2
	ds_read_b32 v0, v58 offset:5120
	s_waitcnt lgkmcnt(0)
	v_cmp_ne_u32_e64 s[52:53], s64, v0
	v_cndmask_b32_e64 v0, v73, v0, s[52:53]
	v_lshrrev_b32_e32 v0, s77, v0
	v_and_b32_e32 v78, s85, v0
	s_or_b64 exec, exec, s[62:63]
	s_and_saveexec_b64 s[62:63], s[46:47]
	s_cbranch_execnz .LBB1458_476
.LBB1458_491:                           ;   in Loop: Header=BB1458_405 Depth=2
	s_or_b64 exec, exec, s[62:63]
	s_and_saveexec_b64 s[62:63], s[48:49]
	s_cbranch_execz .LBB1458_493
.LBB1458_492:                           ;   in Loop: Header=BB1458_405 Depth=2
	ds_read_b32 v0, v58 offset:7168
	s_waitcnt lgkmcnt(0)
	v_cmp_ne_u32_e64 s[52:53], s64, v0
	v_cndmask_b32_e64 v0, v73, v0, s[52:53]
	v_lshrrev_b32_e32 v0, s77, v0
	v_and_b32_e32 v76, s85, v0
.LBB1458_493:                           ;   in Loop: Header=BB1458_405 Depth=2
	s_or_b64 exec, exec, s[62:63]
	v_lshlrev_b32_e32 v0, 3, v100
	s_barrier
	s_waitcnt vmcnt(0)
	ds_write_b64 v0, v[36:37] offset:1024
	v_lshlrev_b32_e32 v0, 3, v39
	ds_write_b64 v0, v[34:35] offset:1024
	v_lshlrev_b32_e32 v0, 3, v21
	;; [unrolled: 2-line block ×7, first 2 shown]
	ds_write_b64 v0, v[10:11] offset:1024
	s_waitcnt lgkmcnt(0)
	s_barrier
	s_and_saveexec_b64 s[52:53], vcc
	s_cbranch_execz .LBB1458_501
; %bb.494:                              ;   in Loop: Header=BB1458_405 Depth=2
	v_lshlrev_b32_e32 v0, 2, v86
	ds_read_b32 v0, v0
	v_add_u32_e32 v2, v53, v19
	ds_read_b64 v[2:3], v2 offset:1024
	v_mov_b32_e32 v7, v20
	v_mov_b32_e32 v5, s73
	s_waitcnt lgkmcnt(1)
	v_add_u32_e32 v6, v0, v18
	v_lshlrev_b64 v[6:7], 3, v[6:7]
	v_add_co_u32_e32 v6, vcc, s72, v6
	v_addc_co_u32_e32 v7, vcc, v5, v7, vcc
	s_waitcnt lgkmcnt(0)
	global_store_dwordx2 v[6:7], v[2:3], off
	s_or_b64 exec, exec, s[52:53]
	s_and_saveexec_b64 s[52:53], s[36:37]
	s_cbranch_execnz .LBB1458_502
.LBB1458_495:                           ;   in Loop: Header=BB1458_405 Depth=2
	s_or_b64 exec, exec, s[52:53]
	s_and_saveexec_b64 s[36:37], s[38:39]
	s_cbranch_execz .LBB1458_503
.LBB1458_496:                           ;   in Loop: Header=BB1458_405 Depth=2
	v_lshlrev_b32_e32 v0, 2, v82
	ds_read_b32 v0, v0
	v_add_u32_e32 v2, v58, v19
	ds_read_b64 v[2:3], v2 offset:4096
	v_mov_b32_e32 v7, v20
	v_mov_b32_e32 v5, s73
	s_waitcnt lgkmcnt(1)
	v_add_u32_e32 v6, v0, v25
	v_lshlrev_b64 v[6:7], 3, v[6:7]
	v_add_co_u32_e32 v6, vcc, s72, v6
	v_addc_co_u32_e32 v7, vcc, v5, v7, vcc
	s_waitcnt lgkmcnt(0)
	global_store_dwordx2 v[6:7], v[2:3], off
	s_or_b64 exec, exec, s[36:37]
	s_and_saveexec_b64 s[36:37], s[40:41]
	s_cbranch_execnz .LBB1458_504
.LBB1458_497:                           ;   in Loop: Header=BB1458_405 Depth=2
	s_or_b64 exec, exec, s[36:37]
	s_and_saveexec_b64 s[36:37], s[42:43]
	s_cbranch_execz .LBB1458_505
.LBB1458_498:                           ;   in Loop: Header=BB1458_405 Depth=2
	v_lshlrev_b32_e32 v0, 2, v79
	ds_read_b32 v0, v0
	v_add_u32_e32 v2, v58, v19
	ds_read_b64 v[2:3], v2 offset:8192
	v_mov_b32_e32 v7, v20
	v_mov_b32_e32 v5, s73
	s_waitcnt lgkmcnt(1)
	v_add_u32_e32 v6, v0, v22
	v_lshlrev_b64 v[6:7], 3, v[6:7]
	v_add_co_u32_e32 v6, vcc, s72, v6
	v_addc_co_u32_e32 v7, vcc, v5, v7, vcc
	s_waitcnt lgkmcnt(0)
	global_store_dwordx2 v[6:7], v[2:3], off
	s_or_b64 exec, exec, s[36:37]
	s_and_saveexec_b64 s[36:37], s[44:45]
	s_cbranch_execnz .LBB1458_506
.LBB1458_499:                           ;   in Loop: Header=BB1458_405 Depth=2
	s_or_b64 exec, exec, s[36:37]
	s_and_saveexec_b64 s[36:37], s[46:47]
	s_cbranch_execz .LBB1458_507
.LBB1458_500:                           ;   in Loop: Header=BB1458_405 Depth=2
	v_lshlrev_b32_e32 v0, 2, v77
	ds_read_b32 v0, v0
	v_add_u32_e32 v2, v58, v19
	ds_read_b64 v[2:3], v2 offset:12288
	v_mov_b32_e32 v7, v20
	v_mov_b32_e32 v5, s73
	s_waitcnt lgkmcnt(1)
	v_add_u32_e32 v6, v0, v26
	v_lshlrev_b64 v[6:7], 3, v[6:7]
	v_add_co_u32_e32 v6, vcc, s72, v6
	v_addc_co_u32_e32 v7, vcc, v5, v7, vcc
	s_waitcnt lgkmcnt(0)
	global_store_dwordx2 v[6:7], v[2:3], off
	s_or_b64 exec, exec, s[36:37]
	s_and_saveexec_b64 s[36:37], s[48:49]
	s_cbranch_execnz .LBB1458_508
	s_branch .LBB1458_509
.LBB1458_501:                           ;   in Loop: Header=BB1458_405 Depth=2
	s_or_b64 exec, exec, s[52:53]
	s_and_saveexec_b64 s[52:53], s[36:37]
	s_cbranch_execz .LBB1458_495
.LBB1458_502:                           ;   in Loop: Header=BB1458_405 Depth=2
	v_lshlrev_b32_e32 v0, 2, v84
	ds_read_b32 v0, v0
	v_add_u32_e32 v2, v58, v19
	ds_read_b64 v[2:3], v2 offset:2048
	v_mov_b32_e32 v7, v20
	v_mov_b32_e32 v5, s73
	s_waitcnt lgkmcnt(1)
	v_add_u32_e32 v6, v0, v23
	v_lshlrev_b64 v[6:7], 3, v[6:7]
	v_add_co_u32_e32 v6, vcc, s72, v6
	v_addc_co_u32_e32 v7, vcc, v5, v7, vcc
	s_waitcnt lgkmcnt(0)
	global_store_dwordx2 v[6:7], v[2:3], off
	s_or_b64 exec, exec, s[52:53]
	s_and_saveexec_b64 s[36:37], s[38:39]
	s_cbranch_execnz .LBB1458_496
.LBB1458_503:                           ;   in Loop: Header=BB1458_405 Depth=2
	s_or_b64 exec, exec, s[36:37]
	s_and_saveexec_b64 s[36:37], s[40:41]
	s_cbranch_execz .LBB1458_497
.LBB1458_504:                           ;   in Loop: Header=BB1458_405 Depth=2
	v_lshlrev_b32_e32 v0, 2, v81
	ds_read_b32 v0, v0
	v_add_u32_e32 v2, v58, v19
	ds_read_b64 v[2:3], v2 offset:6144
	v_mov_b32_e32 v7, v20
	v_mov_b32_e32 v5, s73
	s_waitcnt lgkmcnt(1)
	v_add_u32_e32 v6, v0, v27
	v_lshlrev_b64 v[6:7], 3, v[6:7]
	v_add_co_u32_e32 v6, vcc, s72, v6
	v_addc_co_u32_e32 v7, vcc, v5, v7, vcc
	s_waitcnt lgkmcnt(0)
	global_store_dwordx2 v[6:7], v[2:3], off
	s_or_b64 exec, exec, s[36:37]
	s_and_saveexec_b64 s[36:37], s[42:43]
	s_cbranch_execnz .LBB1458_498
.LBB1458_505:                           ;   in Loop: Header=BB1458_405 Depth=2
	s_or_b64 exec, exec, s[36:37]
	s_and_saveexec_b64 s[36:37], s[44:45]
	s_cbranch_execz .LBB1458_499
.LBB1458_506:                           ;   in Loop: Header=BB1458_405 Depth=2
	v_lshlrev_b32_e32 v0, 2, v78
	ds_read_b32 v0, v0
	v_add_u32_e32 v2, v58, v19
	ds_read_b64 v[2:3], v2 offset:10240
	v_mov_b32_e32 v7, v20
	v_mov_b32_e32 v5, s73
	s_waitcnt lgkmcnt(1)
	v_add_u32_e32 v6, v0, v24
	v_lshlrev_b64 v[6:7], 3, v[6:7]
	v_add_co_u32_e32 v6, vcc, s72, v6
	v_addc_co_u32_e32 v7, vcc, v5, v7, vcc
	s_waitcnt lgkmcnt(0)
	global_store_dwordx2 v[6:7], v[2:3], off
	s_or_b64 exec, exec, s[36:37]
	s_and_saveexec_b64 s[36:37], s[46:47]
	s_cbranch_execnz .LBB1458_500
.LBB1458_507:                           ;   in Loop: Header=BB1458_405 Depth=2
	s_or_b64 exec, exec, s[36:37]
	s_and_saveexec_b64 s[36:37], s[48:49]
	s_cbranch_execz .LBB1458_509
.LBB1458_508:                           ;   in Loop: Header=BB1458_405 Depth=2
	v_lshlrev_b32_e32 v0, 2, v76
	ds_read_b32 v0, v0
	v_add_u32_e32 v2, v58, v19
	ds_read_b64 v[2:3], v2 offset:14336
	v_mov_b32_e32 v7, v20
	v_mov_b32_e32 v5, s73
	s_waitcnt lgkmcnt(1)
	v_add_u32_e32 v6, v0, v28
	v_lshlrev_b64 v[6:7], 3, v[6:7]
	v_add_co_u32_e32 v6, vcc, s72, v6
	v_addc_co_u32_e32 v7, vcc, v5, v7, vcc
	s_waitcnt lgkmcnt(0)
	global_store_dwordx2 v[6:7], v[2:3], off
.LBB1458_509:                           ;   in Loop: Header=BB1458_405 Depth=2
	s_or_b64 exec, exec, s[36:37]
	s_barrier
	s_and_saveexec_b64 s[36:37], s[4:5]
	s_cbranch_execz .LBB1458_404
; %bb.510:                              ;   in Loop: Header=BB1458_405 Depth=2
	ds_read_b32 v0, v19
	s_waitcnt lgkmcnt(0)
	v_add_u32_e32 v0, v0, v4
	ds_write_b32 v19, v0
	s_branch .LBB1458_404
.LBB1458_511:                           ;   in Loop: Header=BB1458_405 Depth=2
	s_or_b64 exec, exec, s[36:37]
	v_cmp_gt_u32_e32 vcc, s86, v87
	s_and_saveexec_b64 s[36:37], vcc
	s_cbranch_execz .LBB1458_410
.LBB1458_512:                           ;   in Loop: Header=BB1458_405 Depth=2
	global_load_dword v3, v[38:39], off offset:256
	s_or_b64 exec, exec, s[36:37]
	v_cmp_gt_u32_e32 vcc, s86, v88
	s_and_saveexec_b64 s[36:37], vcc
	s_cbranch_execnz .LBB1458_411
.LBB1458_513:                           ;   in Loop: Header=BB1458_405 Depth=2
	s_or_b64 exec, exec, s[36:37]
	v_cmp_gt_u32_e32 vcc, s86, v89
	s_and_saveexec_b64 s[36:37], vcc
	s_cbranch_execz .LBB1458_412
.LBB1458_514:                           ;   in Loop: Header=BB1458_405 Depth=2
	global_load_dword v5, v[38:39], off offset:768
	s_or_b64 exec, exec, s[36:37]
	v_cmp_gt_u32_e32 vcc, s86, v90
	s_and_saveexec_b64 s[36:37], vcc
	s_cbranch_execnz .LBB1458_413
.LBB1458_515:                           ;   in Loop: Header=BB1458_405 Depth=2
	s_or_b64 exec, exec, s[36:37]
	v_cmp_gt_u32_e32 vcc, s86, v91
	s_and_saveexec_b64 s[36:37], vcc
	s_cbranch_execz .LBB1458_414
.LBB1458_516:                           ;   in Loop: Header=BB1458_405 Depth=2
	global_load_dword v7, v[38:39], off offset:1280
	s_or_b64 exec, exec, s[36:37]
	v_cmp_gt_u32_e32 vcc, s86, v92
	s_and_saveexec_b64 s[36:37], vcc
	s_cbranch_execnz .LBB1458_415
	s_branch .LBB1458_416
.LBB1458_517:                           ;   in Loop: Header=BB1458_17 Depth=1
	s_waitcnt lgkmcnt(0)
	s_barrier
	s_mov_b64 s[16:17], 0
.LBB1458_518:                           ;   in Loop: Header=BB1458_17 Depth=1
	s_and_b64 vcc, exec, s[16:17]
	s_cbranch_vccz .LBB1458_16
; %bb.519:                              ;   in Loop: Header=BB1458_17 Depth=1
	s_mov_b32 s22, s79
	s_mov_b32 s80, s51
	s_barrier
	s_waitcnt lgkmcnt(0)
                                        ; implicit-def: $vgpr2_vgpr3_vgpr4_vgpr5_vgpr6_vgpr7_vgpr8_vgpr9
	s_branch .LBB1458_521
.LBB1458_520:                           ;   in Loop: Header=BB1458_521 Depth=2
	s_or_b64 exec, exec, s[16:17]
	s_addk_i32 s22, 0xf800
	s_cmp_ge_u32 s23, s84
	s_mov_b32 s80, s23
	s_cbranch_scc1 .LBB1458_559
.LBB1458_521:                           ;   Parent Loop BB1458_17 Depth=1
                                        ; =>  This Inner Loop Header: Depth=2
	s_add_i32 s23, s80, 0x800
	s_cmp_gt_u32 s23, s84
	s_cbranch_scc1 .LBB1458_524
; %bb.522:                              ;   in Loop: Header=BB1458_521 Depth=2
	s_lshl_b64 s[16:17], s[80:81], 2
	v_mov_b32_e32 v0, s17
	v_add_co_u32_e32 v30, vcc, s16, v65
	v_addc_co_u32_e32 v31, vcc, v66, v0, vcc
	v_add_co_u32_e32 v32, vcc, 0x1000, v30
	v_addc_co_u32_e32 v33, vcc, 0, v31, vcc
	global_load_dword v10, v[30:31], off
	global_load_dword v11, v[30:31], off offset:1024
	global_load_dword v12, v[30:31], off offset:2048
	;; [unrolled: 1-line block ×3, first 2 shown]
	global_load_dword v14, v[32:33], off
	global_load_dword v15, v[32:33], off offset:1024
	global_load_dword v16, v[32:33], off offset:2048
	v_add_co_u32_e32 v30, vcc, 0x1c00, v30
	v_addc_co_u32_e32 v31, vcc, 0, v31, vcc
	s_mov_b64 s[16:17], -1
	s_movk_i32 s24, 0x800
	s_cbranch_execz .LBB1458_525
; %bb.523:                              ;   in Loop: Header=BB1458_521 Depth=2
                                        ; implicit-def: $vgpr2_vgpr3_vgpr4_vgpr5_vgpr6_vgpr7_vgpr8_vgpr9
	v_mov_b32_e32 v0, s22
	s_and_saveexec_b64 s[18:19], s[16:17]
	s_cbranch_execnz .LBB1458_536
	s_branch .LBB1458_537
.LBB1458_524:                           ;   in Loop: Header=BB1458_521 Depth=2
	s_mov_b64 s[16:17], 0
                                        ; implicit-def: $sgpr24
                                        ; implicit-def: $vgpr10_vgpr11_vgpr12_vgpr13_vgpr14_vgpr15_vgpr16_vgpr17
                                        ; implicit-def: $vgpr30_vgpr31
.LBB1458_525:                           ;   in Loop: Header=BB1458_521 Depth=2
	s_lshl_b64 s[18:19], s[80:81], 2
	s_add_u32 s18, s56, s18
	s_addc_u32 s19, s57, s19
	v_cmp_gt_u32_e32 vcc, s22, v18
	s_and_saveexec_b64 s[20:21], vcc
	s_cbranch_execz .LBB1458_553
; %bb.526:                              ;   in Loop: Header=BB1458_521 Depth=2
	global_load_dword v2, v72, s[18:19]
	s_or_b64 exec, exec, s[20:21]
	v_cmp_gt_u32_e32 vcc, s22, v23
	s_and_saveexec_b64 s[20:21], vcc
	s_cbranch_execnz .LBB1458_554
.LBB1458_527:                           ;   in Loop: Header=BB1458_521 Depth=2
	s_or_b64 exec, exec, s[20:21]
	v_cmp_gt_u32_e32 vcc, s22, v25
	s_and_saveexec_b64 s[20:21], vcc
	s_cbranch_execz .LBB1458_555
.LBB1458_528:                           ;   in Loop: Header=BB1458_521 Depth=2
	global_load_dword v4, v72, s[18:19] offset:2048
	s_or_b64 exec, exec, s[20:21]
	v_cmp_gt_u32_e32 vcc, s22, v27
	s_and_saveexec_b64 s[20:21], vcc
	s_cbranch_execnz .LBB1458_556
.LBB1458_529:                           ;   in Loop: Header=BB1458_521 Depth=2
	s_or_b64 exec, exec, s[20:21]
	v_cmp_gt_u32_e32 vcc, s22, v22
	s_and_saveexec_b64 s[20:21], vcc
	s_cbranch_execz .LBB1458_557
.LBB1458_530:                           ;   in Loop: Header=BB1458_521 Depth=2
	v_lshlrev_b32_e32 v0, 2, v22
	global_load_dword v6, v0, s[18:19]
	s_or_b64 exec, exec, s[20:21]
	v_cmp_gt_u32_e32 vcc, s22, v24
	s_and_saveexec_b64 s[20:21], vcc
	s_cbranch_execnz .LBB1458_558
.LBB1458_531:                           ;   in Loop: Header=BB1458_521 Depth=2
	s_or_b64 exec, exec, s[20:21]
	v_cmp_gt_u32_e32 vcc, s22, v26
	s_and_saveexec_b64 s[20:21], vcc
	s_cbranch_execz .LBB1458_533
.LBB1458_532:                           ;   in Loop: Header=BB1458_521 Depth=2
	v_lshlrev_b32_e32 v0, 2, v26
	global_load_dword v8, v0, s[18:19]
.LBB1458_533:                           ;   in Loop: Header=BB1458_521 Depth=2
	s_or_b64 exec, exec, s[20:21]
	v_cmp_gt_u32_e32 vcc, s22, v28
                                        ; implicit-def: $sgpr24
                                        ; implicit-def: $vgpr30_vgpr31
	s_and_saveexec_b64 s[20:21], vcc
	s_cbranch_execz .LBB1458_535
; %bb.534:                              ;   in Loop: Header=BB1458_521 Depth=2
	v_lshlrev_b32_e32 v0, 2, v28
	s_waitcnt vmcnt(6)
	v_mov_b32_e32 v10, s19
	v_add_co_u32_e32 v30, vcc, s18, v0
	s_sub_i32 s24, s84, s80
	v_addc_co_u32_e32 v31, vcc, 0, v10, vcc
	s_or_b64 s[16:17], s[16:17], exec
.LBB1458_535:                           ;   in Loop: Header=BB1458_521 Depth=2
	s_or_b64 exec, exec, s[20:21]
	s_waitcnt vmcnt(0)
	v_pk_mov_b32 v[16:17], v[8:9], v[8:9] op_sel:[0,1]
	v_pk_mov_b32 v[14:15], v[6:7], v[6:7] op_sel:[0,1]
	;; [unrolled: 1-line block ×4, first 2 shown]
	v_mov_b32_e32 v0, s22
	s_and_saveexec_b64 s[18:19], s[16:17]
	s_cbranch_execz .LBB1458_537
.LBB1458_536:                           ;   in Loop: Header=BB1458_521 Depth=2
	global_load_dword v17, v[30:31], off
	s_waitcnt vmcnt(0)
	v_pk_mov_b32 v[2:3], v[10:11], v[10:11] op_sel:[0,1]
	v_mov_b32_e32 v0, s24
	v_pk_mov_b32 v[4:5], v[12:13], v[12:13] op_sel:[0,1]
	v_pk_mov_b32 v[6:7], v[14:15], v[14:15] op_sel:[0,1]
	;; [unrolled: 1-line block ×3, first 2 shown]
.LBB1458_537:                           ;   in Loop: Header=BB1458_521 Depth=2
	s_or_b64 exec, exec, s[18:19]
	v_cmp_lt_u32_e32 vcc, v18, v0
	s_waitcnt vmcnt(6)
	v_lshlrev_b32_e32 v10, 2, v29
	s_and_saveexec_b64 s[16:17], vcc
	s_cbranch_execz .LBB1458_545
; %bb.538:                              ;   in Loop: Header=BB1458_521 Depth=2
	v_cmp_lt_i32_e32 vcc, -1, v2
	s_waitcnt vmcnt(5)
	v_cndmask_b32_e32 v11, -1, v73, vcc
	v_xor_b32_e32 v11, v11, v2
	v_cmp_ne_u32_e32 vcc, s64, v11
	v_cndmask_b32_e32 v11, v73, v11, vcc
	v_lshrrev_b32_e32 v11, s77, v11
	v_and_b32_e32 v11, s85, v11
	v_lshl_or_b32 v11, v11, 4, v10
	ds_add_u32 v11, v71
	s_or_b64 exec, exec, s[16:17]
	v_cmp_lt_u32_e32 vcc, v23, v0
	s_and_saveexec_b64 s[16:17], vcc
	s_cbranch_execnz .LBB1458_546
.LBB1458_539:                           ;   in Loop: Header=BB1458_521 Depth=2
	s_or_b64 exec, exec, s[16:17]
	v_cmp_lt_u32_e32 vcc, v25, v0
	s_and_saveexec_b64 s[16:17], vcc
	s_cbranch_execz .LBB1458_547
.LBB1458_540:                           ;   in Loop: Header=BB1458_521 Depth=2
	v_cmp_lt_i32_e32 vcc, -1, v4
	s_waitcnt vmcnt(5)
	v_cndmask_b32_e32 v11, -1, v73, vcc
	v_xor_b32_e32 v11, v11, v4
	v_cmp_ne_u32_e32 vcc, s64, v11
	v_cndmask_b32_e32 v11, v73, v11, vcc
	v_lshrrev_b32_e32 v11, s77, v11
	v_and_b32_e32 v11, s85, v11
	v_lshl_or_b32 v11, v11, 4, v10
	ds_add_u32 v11, v71
	s_or_b64 exec, exec, s[16:17]
	v_cmp_lt_u32_e32 vcc, v27, v0
	s_and_saveexec_b64 s[16:17], vcc
	s_cbranch_execnz .LBB1458_548
.LBB1458_541:                           ;   in Loop: Header=BB1458_521 Depth=2
	s_or_b64 exec, exec, s[16:17]
	v_cmp_lt_u32_e32 vcc, v22, v0
	s_and_saveexec_b64 s[16:17], vcc
	s_cbranch_execz .LBB1458_549
.LBB1458_542:                           ;   in Loop: Header=BB1458_521 Depth=2
	v_cmp_lt_i32_e32 vcc, -1, v6
	s_waitcnt vmcnt(5)
	v_cndmask_b32_e32 v11, -1, v73, vcc
	v_xor_b32_e32 v11, v11, v6
	v_cmp_ne_u32_e32 vcc, s64, v11
	v_cndmask_b32_e32 v11, v73, v11, vcc
	v_lshrrev_b32_e32 v11, s77, v11
	v_and_b32_e32 v11, s85, v11
	v_lshl_or_b32 v11, v11, 4, v10
	ds_add_u32 v11, v71
	s_or_b64 exec, exec, s[16:17]
	v_cmp_lt_u32_e32 vcc, v24, v0
	s_and_saveexec_b64 s[16:17], vcc
	s_cbranch_execnz .LBB1458_550
.LBB1458_543:                           ;   in Loop: Header=BB1458_521 Depth=2
	s_or_b64 exec, exec, s[16:17]
	v_cmp_lt_u32_e32 vcc, v26, v0
	s_and_saveexec_b64 s[16:17], vcc
	s_cbranch_execz .LBB1458_551
.LBB1458_544:                           ;   in Loop: Header=BB1458_521 Depth=2
	v_cmp_lt_i32_e32 vcc, -1, v8
	s_waitcnt vmcnt(5)
	v_cndmask_b32_e32 v11, -1, v73, vcc
	v_xor_b32_e32 v11, v11, v8
	v_cmp_ne_u32_e32 vcc, s64, v11
	v_cndmask_b32_e32 v11, v73, v11, vcc
	v_lshrrev_b32_e32 v11, s77, v11
	v_and_b32_e32 v11, s85, v11
	v_lshl_or_b32 v11, v11, 4, v10
	ds_add_u32 v11, v71
	s_or_b64 exec, exec, s[16:17]
	v_cmp_lt_u32_e32 vcc, v28, v0
	s_and_saveexec_b64 s[16:17], vcc
	s_cbranch_execz .LBB1458_520
	s_branch .LBB1458_552
.LBB1458_545:                           ;   in Loop: Header=BB1458_521 Depth=2
	s_or_b64 exec, exec, s[16:17]
	v_cmp_lt_u32_e32 vcc, v23, v0
	s_and_saveexec_b64 s[16:17], vcc
	s_cbranch_execz .LBB1458_539
.LBB1458_546:                           ;   in Loop: Header=BB1458_521 Depth=2
	v_cmp_lt_i32_e32 vcc, -1, v3
	s_waitcnt vmcnt(5)
	v_cndmask_b32_e32 v11, -1, v73, vcc
	v_xor_b32_e32 v11, v11, v3
	v_cmp_ne_u32_e32 vcc, s64, v11
	v_cndmask_b32_e32 v11, v73, v11, vcc
	v_lshrrev_b32_e32 v11, s77, v11
	v_and_b32_e32 v11, s85, v11
	v_lshl_or_b32 v11, v11, 4, v10
	ds_add_u32 v11, v71
	s_or_b64 exec, exec, s[16:17]
	v_cmp_lt_u32_e32 vcc, v25, v0
	s_and_saveexec_b64 s[16:17], vcc
	s_cbranch_execnz .LBB1458_540
.LBB1458_547:                           ;   in Loop: Header=BB1458_521 Depth=2
	s_or_b64 exec, exec, s[16:17]
	v_cmp_lt_u32_e32 vcc, v27, v0
	s_and_saveexec_b64 s[16:17], vcc
	s_cbranch_execz .LBB1458_541
.LBB1458_548:                           ;   in Loop: Header=BB1458_521 Depth=2
	v_cmp_lt_i32_e32 vcc, -1, v5
	s_waitcnt vmcnt(5)
	v_cndmask_b32_e32 v11, -1, v73, vcc
	v_xor_b32_e32 v11, v11, v5
	v_cmp_ne_u32_e32 vcc, s64, v11
	v_cndmask_b32_e32 v11, v73, v11, vcc
	v_lshrrev_b32_e32 v11, s77, v11
	v_and_b32_e32 v11, s85, v11
	v_lshl_or_b32 v11, v11, 4, v10
	ds_add_u32 v11, v71
	s_or_b64 exec, exec, s[16:17]
	v_cmp_lt_u32_e32 vcc, v22, v0
	s_and_saveexec_b64 s[16:17], vcc
	s_cbranch_execnz .LBB1458_542
.LBB1458_549:                           ;   in Loop: Header=BB1458_521 Depth=2
	s_or_b64 exec, exec, s[16:17]
	v_cmp_lt_u32_e32 vcc, v24, v0
	s_and_saveexec_b64 s[16:17], vcc
	s_cbranch_execz .LBB1458_543
.LBB1458_550:                           ;   in Loop: Header=BB1458_521 Depth=2
	v_cmp_lt_i32_e32 vcc, -1, v7
	s_waitcnt vmcnt(5)
	v_cndmask_b32_e32 v11, -1, v73, vcc
	v_xor_b32_e32 v11, v11, v7
	v_cmp_ne_u32_e32 vcc, s64, v11
	v_cndmask_b32_e32 v11, v73, v11, vcc
	v_lshrrev_b32_e32 v11, s77, v11
	v_and_b32_e32 v11, s85, v11
	v_lshl_or_b32 v11, v11, 4, v10
	ds_add_u32 v11, v71
	s_or_b64 exec, exec, s[16:17]
	v_cmp_lt_u32_e32 vcc, v26, v0
	s_and_saveexec_b64 s[16:17], vcc
	s_cbranch_execnz .LBB1458_544
.LBB1458_551:                           ;   in Loop: Header=BB1458_521 Depth=2
	s_or_b64 exec, exec, s[16:17]
	v_cmp_lt_u32_e32 vcc, v28, v0
	s_and_saveexec_b64 s[16:17], vcc
	s_cbranch_execz .LBB1458_520
.LBB1458_552:                           ;   in Loop: Header=BB1458_521 Depth=2
	v_cmp_lt_i32_e32 vcc, -1, v9
	v_cndmask_b32_e32 v0, -1, v73, vcc
	v_xor_b32_e32 v0, v0, v9
	v_cmp_ne_u32_e32 vcc, s64, v0
	v_cndmask_b32_e32 v0, v73, v0, vcc
	v_lshrrev_b32_e32 v0, s77, v0
	v_and_b32_e32 v0, s85, v0
	v_lshl_or_b32 v0, v0, 4, v10
	ds_add_u32 v0, v71
	s_branch .LBB1458_520
.LBB1458_553:                           ;   in Loop: Header=BB1458_521 Depth=2
	s_or_b64 exec, exec, s[20:21]
	v_cmp_gt_u32_e32 vcc, s22, v23
	s_and_saveexec_b64 s[20:21], vcc
	s_cbranch_execz .LBB1458_527
.LBB1458_554:                           ;   in Loop: Header=BB1458_521 Depth=2
	global_load_dword v3, v72, s[18:19] offset:1024
	s_or_b64 exec, exec, s[20:21]
	v_cmp_gt_u32_e32 vcc, s22, v25
	s_and_saveexec_b64 s[20:21], vcc
	s_cbranch_execnz .LBB1458_528
.LBB1458_555:                           ;   in Loop: Header=BB1458_521 Depth=2
	s_or_b64 exec, exec, s[20:21]
	v_cmp_gt_u32_e32 vcc, s22, v27
	s_and_saveexec_b64 s[20:21], vcc
	s_cbranch_execz .LBB1458_529
.LBB1458_556:                           ;   in Loop: Header=BB1458_521 Depth=2
	global_load_dword v5, v72, s[18:19] offset:3072
	s_or_b64 exec, exec, s[20:21]
	v_cmp_gt_u32_e32 vcc, s22, v22
	s_and_saveexec_b64 s[20:21], vcc
	s_cbranch_execnz .LBB1458_530
.LBB1458_557:                           ;   in Loop: Header=BB1458_521 Depth=2
	s_or_b64 exec, exec, s[20:21]
	v_cmp_gt_u32_e32 vcc, s22, v24
	s_and_saveexec_b64 s[20:21], vcc
	s_cbranch_execz .LBB1458_531
.LBB1458_558:                           ;   in Loop: Header=BB1458_521 Depth=2
	v_lshlrev_b32_e32 v0, 2, v24
	global_load_dword v7, v0, s[18:19]
	s_or_b64 exec, exec, s[20:21]
	v_cmp_gt_u32_e32 vcc, s22, v26
	s_and_saveexec_b64 s[20:21], vcc
	s_cbranch_execz .LBB1458_533
	s_branch .LBB1458_532
.LBB1458_559:                           ;   in Loop: Header=BB1458_17 Depth=1
	v_mov_b32_e32 v0, 0
	s_waitcnt lgkmcnt(0)
	s_barrier
	s_and_saveexec_b64 s[16:17], s[4:5]
	s_cbranch_execz .LBB1458_561
; %bb.560:                              ;   in Loop: Header=BB1458_17 Depth=1
	ds_read2_b64 v[2:5], v42 offset1:1
	s_waitcnt lgkmcnt(0)
	v_add_u32_e32 v0, v3, v2
	v_add3_u32 v0, v0, v4, v5
.LBB1458_561:                           ;   in Loop: Header=BB1458_17 Depth=1
	s_or_b64 exec, exec, s[16:17]
	v_and_b32_e32 v2, 15, v74
	v_mov_b32_dpp v3, v0 row_shr:1 row_mask:0xf bank_mask:0xf
	v_cmp_eq_u32_e64 s[16:17], 0, v2
	v_cndmask_b32_e64 v3, v3, 0, s[16:17]
	v_add_u32_e32 v0, v3, v0
	v_cmp_lt_u32_e64 s[18:19], 1, v2
	v_cmp_lt_u32_e64 s[20:21], 3, v2
	v_mov_b32_dpp v3, v0 row_shr:2 row_mask:0xf bank_mask:0xf
	v_cndmask_b32_e64 v3, 0, v3, s[18:19]
	v_add_u32_e32 v0, v0, v3
	v_cmp_lt_u32_e64 s[22:23], 7, v2
	v_cmp_lt_u32_e64 s[26:27], 31, v74
	v_mov_b32_dpp v3, v0 row_shr:4 row_mask:0xf bank_mask:0xf
	v_cndmask_b32_e64 v3, 0, v3, s[20:21]
	v_add_u32_e32 v0, v0, v3
	v_and_b32_e32 v4, 16, v74
	v_cmp_eq_u32_e64 s[24:25], 0, v4
	v_mov_b32_dpp v3, v0 row_shr:8 row_mask:0xf bank_mask:0xf
	v_cndmask_b32_e64 v2, 0, v3, s[22:23]
	v_add_u32_e32 v0, v0, v2
	v_bfe_i32 v3, v74, 4, 1
	s_nop 0
	v_mov_b32_dpp v2, v0 row_bcast:15 row_mask:0xf bank_mask:0xf
	v_and_b32_e32 v2, v3, v2
	v_add_u32_e32 v0, v0, v2
	s_nop 1
	v_mov_b32_dpp v2, v0 row_bcast:31 row_mask:0xf bank_mask:0xf
	v_cndmask_b32_e64 v2, 0, v2, s[26:27]
	v_add_u32_e32 v2, v0, v2
	s_and_saveexec_b64 s[28:29], s[6:7]
	s_cbranch_execz .LBB1458_563
; %bb.562:                              ;   in Loop: Header=BB1458_17 Depth=1
	ds_write_b32 v44, v2
.LBB1458_563:                           ;   in Loop: Header=BB1458_17 Depth=1
	s_or_b64 exec, exec, s[28:29]
	v_and_b32_e32 v0, 3, v74
	s_waitcnt lgkmcnt(0)
	s_barrier
	s_and_saveexec_b64 s[28:29], s[8:9]
	s_cbranch_execz .LBB1458_565
; %bb.564:                              ;   in Loop: Header=BB1458_17 Depth=1
	ds_read_b32 v3, v45
	v_cmp_ne_u32_e32 vcc, 0, v0
	s_waitcnt lgkmcnt(0)
	v_mov_b32_dpp v4, v3 row_shr:1 row_mask:0xf bank_mask:0xf
	v_cndmask_b32_e32 v4, 0, v4, vcc
	v_add_u32_e32 v3, v4, v3
	v_cmp_lt_u32_e32 vcc, 1, v0
	s_nop 0
	v_mov_b32_dpp v4, v3 row_shr:2 row_mask:0xf bank_mask:0xf
	v_cndmask_b32_e32 v4, 0, v4, vcc
	v_add_u32_e32 v3, v3, v4
	ds_write_b32 v45, v3
.LBB1458_565:                           ;   in Loop: Header=BB1458_17 Depth=1
	s_or_b64 exec, exec, s[28:29]
	v_mov_b32_e32 v3, 0
	s_waitcnt lgkmcnt(0)
	s_barrier
	s_and_saveexec_b64 s[28:29], s[10:11]
	s_cbranch_execz .LBB1458_567
; %bb.566:                              ;   in Loop: Header=BB1458_17 Depth=1
	ds_read_b32 v3, v46
.LBB1458_567:                           ;   in Loop: Header=BB1458_17 Depth=1
	s_or_b64 exec, exec, s[28:29]
	v_add_u32_e32 v4, -1, v74
	v_and_b32_e32 v5, 64, v74
	v_cmp_lt_i32_e32 vcc, v4, v5
	v_cndmask_b32_e32 v4, v4, v74, vcc
	s_waitcnt lgkmcnt(0)
	v_add_u32_e32 v2, v3, v2
	v_lshlrev_b32_e32 v75, 2, v4
	ds_bpermute_b32 v2, v75, v2
	v_cmp_eq_u32_e64 s[28:29], 0, v74
	s_waitcnt lgkmcnt(0)
	s_barrier
	s_and_saveexec_b64 s[30:31], s[4:5]
	s_cbranch_execz .LBB1458_569
; %bb.568:                              ;   in Loop: Header=BB1458_17 Depth=1
	v_cndmask_b32_e64 v2, v2, v3, s[28:29]
	v_add_u32_e32 v2, s51, v2
	ds_write_b32 v19, v2
.LBB1458_569:                           ;   in Loop: Header=BB1458_17 Depth=1
	s_or_b64 exec, exec, s[30:31]
	s_load_dwordx2 s[30:31], s[82:83], 0x0
	s_mov_b32 s86, s79
	s_mov_b32 s80, s51
                                        ; implicit-def: $vgpr10_vgpr11
                                        ; implicit-def: $vgpr12_vgpr13
                                        ; implicit-def: $vgpr14_vgpr15
                                        ; implicit-def: $vgpr16_vgpr17
                                        ; implicit-def: $vgpr30_vgpr31
                                        ; implicit-def: $vgpr32_vgpr33
                                        ; implicit-def: $vgpr34_vgpr35
                                        ; implicit-def: $vgpr36_vgpr37
                                        ; implicit-def: $vgpr76
                                        ; implicit-def: $vgpr77
                                        ; implicit-def: $vgpr78
                                        ; implicit-def: $vgpr79
                                        ; implicit-def: $vgpr81
                                        ; implicit-def: $vgpr82
                                        ; implicit-def: $vgpr84
                                        ; implicit-def: $vgpr86
	s_waitcnt lgkmcnt(0)
	s_cmp_lt_u32 s50, s30
	s_cselect_b32 s34, 12, 18
	s_cmp_lt_u32 s33, s31
	s_cselect_b32 s30, 14, 20
	s_add_u32 s30, s82, s30
	s_addc_u32 s31, s83, 0
	s_add_u32 s34, s82, s34
	global_load_ushort v2, v20, s[30:31]
	s_addc_u32 s35, s83, 0
	global_load_ushort v3, v20, s[34:35]
	v_cmp_eq_u32_e64 s[30:31], 0, v0
	v_cmp_lt_u32_e64 s[34:35], 1, v0
	v_and_b32_e32 v0, 63, v74
	v_lshlrev_b32_e32 v4, 3, v0
	v_add_co_u32_e32 v83, vcc, v67, v4
	v_or_b32_e32 v80, v0, v47
	v_lshlrev_b32_e32 v0, 2, v0
	v_addc_co_u32_e32 v85, vcc, 0, v68, vcc
	v_add_co_u32_e32 v94, vcc, v69, v0
	v_addc_co_u32_e32 v95, vcc, 0, v70, vcc
	v_add_co_u32_e32 v96, vcc, 0x700, v94
	v_or_b32_e32 v87, 64, v80
	v_or_b32_e32 v88, 0x80, v80
	;; [unrolled: 1-line block ×7, first 2 shown]
	v_addc_co_u32_e32 v97, vcc, 0, v95, vcc
	s_waitcnt vmcnt(1)
	v_mad_u32_u24 v0, v48, v2, v49
	s_waitcnt vmcnt(0)
	v_mad_u64_u32 v[2:3], s[36:37], v0, v3, v[18:19]
	v_lshrrev_b32_e32 v98, 6, v2
	s_branch .LBB1458_571
.LBB1458_570:                           ;   in Loop: Header=BB1458_571 Depth=2
	s_or_b64 exec, exec, s[36:37]
	s_addk_i32 s86, 0xf800
	s_cmp_lt_u32 s87, s84
	s_mov_b32 s80, s87
	s_cbranch_scc0 .LBB1458_15
.LBB1458_571:                           ;   Parent Loop BB1458_17 Depth=1
                                        ; =>  This Inner Loop Header: Depth=2
	s_add_i32 s87, s80, 0x800
	s_cmp_gt_u32 s87, s84
	s_cbranch_scc1 .LBB1458_573
; %bb.572:                              ;   in Loop: Header=BB1458_571 Depth=2
	s_lshl_b64 s[36:37], s[80:81], 2
	v_mov_b32_e32 v0, s37
	v_add_co_u32_e32 v8, vcc, s36, v94
	v_addc_co_u32_e32 v9, vcc, v95, v0, vcc
	global_load_dword v2, v[8:9], off
	global_load_dword v3, v[8:9], off offset:256
	global_load_dword v4, v[8:9], off offset:512
	;; [unrolled: 1-line block ×5, first 2 shown]
	s_nop 0
	global_load_dword v8, v[8:9], off offset:1536
	s_mov_b64 s[36:37], -1
	s_movk_i32 s40, 0x800
	s_cbranch_execz .LBB1458_574
	s_branch .LBB1458_583
.LBB1458_573:                           ;   in Loop: Header=BB1458_571 Depth=2
	s_mov_b64 s[36:37], 0
                                        ; implicit-def: $sgpr40
                                        ; implicit-def: $vgpr2_vgpr3_vgpr4_vgpr5_vgpr6_vgpr7_vgpr8_vgpr9
.LBB1458_574:                           ;   in Loop: Header=BB1458_571 Depth=2
	s_lshl_b64 s[36:37], s[80:81], 2
	v_mov_b32_e32 v0, s37
	v_add_co_u32_e32 v38, vcc, s36, v94
	s_mov_b32 s65, s64
	v_addc_co_u32_e32 v39, vcc, v95, v0, vcc
	s_mov_b32 s66, s64
	s_mov_b32 s67, s64
	;; [unrolled: 1-line block ×6, first 2 shown]
	s_waitcnt vmcnt(0)
	v_pk_mov_b32 v[2:3], s[64:65], s[64:65] op_sel:[0,1]
	v_cmp_gt_u32_e32 vcc, s86, v80
	v_pk_mov_b32 v[4:5], s[66:67], s[66:67] op_sel:[0,1]
	v_pk_mov_b32 v[6:7], s[68:69], s[68:69] op_sel:[0,1]
	;; [unrolled: 1-line block ×3, first 2 shown]
	s_and_saveexec_b64 s[36:37], vcc
	s_cbranch_execz .LBB1458_677
; %bb.575:                              ;   in Loop: Header=BB1458_571 Depth=2
	global_load_dword v0, v[38:39], off
	v_mov_b32_e32 v2, v1
	v_mov_b32_e32 v3, v1
	;; [unrolled: 1-line block ×6, first 2 shown]
	s_waitcnt vmcnt(0)
	v_pk_mov_b32 v[8:9], v[6:7], v[6:7] op_sel:[0,1]
	v_pk_mov_b32 v[6:7], v[4:5], v[4:5] op_sel:[0,1]
	;; [unrolled: 1-line block ×4, first 2 shown]
	s_or_b64 exec, exec, s[36:37]
	v_cmp_gt_u32_e32 vcc, s86, v87
	s_and_saveexec_b64 s[36:37], vcc
	s_cbranch_execnz .LBB1458_678
.LBB1458_576:                           ;   in Loop: Header=BB1458_571 Depth=2
	s_or_b64 exec, exec, s[36:37]
	v_cmp_gt_u32_e32 vcc, s86, v88
	s_and_saveexec_b64 s[36:37], vcc
	s_cbranch_execz .LBB1458_679
.LBB1458_577:                           ;   in Loop: Header=BB1458_571 Depth=2
	global_load_dword v4, v[38:39], off offset:512
	s_or_b64 exec, exec, s[36:37]
	v_cmp_gt_u32_e32 vcc, s86, v89
	s_and_saveexec_b64 s[36:37], vcc
	s_cbranch_execnz .LBB1458_680
.LBB1458_578:                           ;   in Loop: Header=BB1458_571 Depth=2
	s_or_b64 exec, exec, s[36:37]
	v_cmp_gt_u32_e32 vcc, s86, v90
	s_and_saveexec_b64 s[36:37], vcc
	s_cbranch_execz .LBB1458_681
.LBB1458_579:                           ;   in Loop: Header=BB1458_571 Depth=2
	global_load_dword v6, v[38:39], off offset:1024
	s_or_b64 exec, exec, s[36:37]
	v_cmp_gt_u32_e32 vcc, s86, v91
	s_and_saveexec_b64 s[36:37], vcc
	s_cbranch_execnz .LBB1458_682
.LBB1458_580:                           ;   in Loop: Header=BB1458_571 Depth=2
	s_or_b64 exec, exec, s[36:37]
	v_cmp_gt_u32_e32 vcc, s86, v92
	s_and_saveexec_b64 s[36:37], vcc
	s_cbranch_execz .LBB1458_582
.LBB1458_581:                           ;   in Loop: Header=BB1458_571 Depth=2
	global_load_dword v8, v[38:39], off offset:1536
.LBB1458_582:                           ;   in Loop: Header=BB1458_571 Depth=2
	s_or_b64 exec, exec, s[36:37]
	s_sub_i32 s40, s84, s80
	v_cmp_gt_u32_e64 s[36:37], s86, v93
.LBB1458_583:                           ;   in Loop: Header=BB1458_571 Depth=2
	v_mov_b32_e32 v0, s86
	s_and_saveexec_b64 s[38:39], s[36:37]
	s_cbranch_execz .LBB1458_585
; %bb.584:                              ;   in Loop: Header=BB1458_571 Depth=2
	s_lshl_b64 s[36:37], s[80:81], 2
	v_mov_b32_e32 v0, s37
	v_add_co_u32_e32 v38, vcc, s36, v96
	v_addc_co_u32_e32 v39, vcc, v97, v0, vcc
	global_load_dword v9, v[38:39], off
	v_mov_b32_e32 v0, s40
.LBB1458_585:                           ;   in Loop: Header=BB1458_571 Depth=2
	s_or_b64 exec, exec, s[38:39]
	s_waitcnt vmcnt(6)
	v_cmp_lt_i32_e32 vcc, -1, v2
	v_cndmask_b32_e32 v21, -1, v73, vcc
	v_xor_b32_e32 v99, v21, v2
	v_add_u32_e32 v2, 0x410, v50
	v_cmp_ne_u32_e32 vcc, s64, v99
	ds_write2_b32 v2, v20, v20 offset1:1
	ds_write2_b32 v52, v20, v20 offset0:2 offset1:3
	ds_write_b32 v52, v20 offset:16
	v_cndmask_b32_e32 v2, v73, v99, vcc
	v_lshrrev_b32_e32 v2, s77, v2
	v_and_b32_e32 v2, s85, v2
	v_mad_u32_u24 v21, v2, 5, v98
	v_lshl_add_u32 v100, v21, 2, v51
	v_and_b32_e32 v21, 1, v2
	v_add_co_u32_e32 v38, vcc, -1, v21
	v_addc_co_u32_e64 v39, s[36:37], 0, -1, vcc
	v_cmp_ne_u32_e32 vcc, 0, v21
	v_xor_b32_e32 v21, vcc_hi, v39
	v_and_b32_e32 v39, exec_hi, v21
	v_lshlrev_b32_e32 v21, 30, v2
	v_xor_b32_e32 v38, vcc_lo, v38
	v_cmp_gt_i64_e32 vcc, 0, v[20:21]
	v_not_b32_e32 v21, v21
	v_ashrrev_i32_e32 v21, 31, v21
	v_and_b32_e32 v38, exec_lo, v38
	v_xor_b32_e32 v101, vcc_hi, v21
	v_xor_b32_e32 v21, vcc_lo, v21
	v_and_b32_e32 v38, v38, v21
	v_lshlrev_b32_e32 v21, 29, v2
	v_cmp_gt_i64_e32 vcc, 0, v[20:21]
	v_not_b32_e32 v21, v21
	v_ashrrev_i32_e32 v21, 31, v21
	v_and_b32_e32 v39, v39, v101
	v_xor_b32_e32 v101, vcc_hi, v21
	v_xor_b32_e32 v21, vcc_lo, v21
	v_and_b32_e32 v38, v38, v21
	v_lshlrev_b32_e32 v21, 28, v2
	v_cmp_gt_i64_e32 vcc, 0, v[20:21]
	v_not_b32_e32 v21, v21
	v_ashrrev_i32_e32 v21, 31, v21
	v_and_b32_e32 v39, v39, v101
	;; [unrolled: 8-line block ×5, first 2 shown]
	v_xor_b32_e32 v101, vcc_hi, v21
	v_xor_b32_e32 v21, vcc_lo, v21
	v_and_b32_e32 v38, v38, v21
	v_lshlrev_b32_e32 v21, 24, v2
	v_not_b32_e32 v2, v21
	v_cmp_gt_i64_e32 vcc, 0, v[20:21]
	v_ashrrev_i32_e32 v2, 31, v2
	v_xor_b32_e32 v21, vcc_hi, v2
	v_xor_b32_e32 v2, vcc_lo, v2
	v_and_b32_e32 v39, v39, v101
	v_and_b32_e32 v38, v38, v2
	;; [unrolled: 1-line block ×3, first 2 shown]
	v_mbcnt_lo_u32_b32 v2, v38, 0
	v_mbcnt_hi_u32_b32 v101, v39, v2
	v_cmp_eq_u32_e32 vcc, 0, v101
	v_cmp_ne_u64_e64 s[36:37], 0, v[38:39]
	s_and_b64 s[38:39], s[36:37], vcc
	s_waitcnt lgkmcnt(0)
	s_barrier
	s_waitcnt lgkmcnt(0)
	; wave barrier
	s_and_saveexec_b64 s[36:37], s[38:39]
	s_cbranch_execz .LBB1458_587
; %bb.586:                              ;   in Loop: Header=BB1458_571 Depth=2
	v_bcnt_u32_b32 v2, v38, 0
	v_bcnt_u32_b32 v2, v39, v2
	ds_write_b32 v100, v2
.LBB1458_587:                           ;   in Loop: Header=BB1458_571 Depth=2
	s_or_b64 exec, exec, s[36:37]
	s_waitcnt vmcnt(0)
	v_cmp_lt_i32_e32 vcc, -1, v3
	v_cndmask_b32_e32 v2, -1, v73, vcc
	v_xor_b32_e32 v38, v2, v3
	v_cmp_ne_u32_e32 vcc, s64, v38
	v_cndmask_b32_e32 v2, v73, v38, vcc
	v_lshrrev_b32_e32 v2, s77, v2
	v_and_b32_e32 v2, s85, v2
	v_mul_u32_u24_e32 v3, 5, v2
	v_add_lshl_u32 v3, v3, v98, 2
	; wave barrier
	v_add_u32_e32 v102, 0x410, v3
	ds_read_b32 v39, v3 offset:1040
	v_and_b32_e32 v3, 1, v2
	v_add_co_u32_e32 v21, vcc, -1, v3
	v_addc_co_u32_e64 v103, s[36:37], 0, -1, vcc
	v_cmp_ne_u32_e32 vcc, 0, v3
	v_xor_b32_e32 v21, vcc_lo, v21
	v_xor_b32_e32 v3, vcc_hi, v103
	v_and_b32_e32 v103, exec_lo, v21
	v_lshlrev_b32_e32 v21, 30, v2
	v_cmp_gt_i64_e32 vcc, 0, v[20:21]
	v_not_b32_e32 v21, v21
	v_ashrrev_i32_e32 v21, 31, v21
	v_xor_b32_e32 v104, vcc_hi, v21
	v_xor_b32_e32 v21, vcc_lo, v21
	v_and_b32_e32 v103, v103, v21
	v_lshlrev_b32_e32 v21, 29, v2
	v_cmp_gt_i64_e32 vcc, 0, v[20:21]
	v_not_b32_e32 v21, v21
	v_and_b32_e32 v3, exec_hi, v3
	v_ashrrev_i32_e32 v21, 31, v21
	v_and_b32_e32 v3, v3, v104
	v_xor_b32_e32 v104, vcc_hi, v21
	v_xor_b32_e32 v21, vcc_lo, v21
	v_and_b32_e32 v103, v103, v21
	v_lshlrev_b32_e32 v21, 28, v2
	v_cmp_gt_i64_e32 vcc, 0, v[20:21]
	v_not_b32_e32 v21, v21
	v_ashrrev_i32_e32 v21, 31, v21
	v_and_b32_e32 v3, v3, v104
	v_xor_b32_e32 v104, vcc_hi, v21
	v_xor_b32_e32 v21, vcc_lo, v21
	v_and_b32_e32 v103, v103, v21
	v_lshlrev_b32_e32 v21, 27, v2
	v_cmp_gt_i64_e32 vcc, 0, v[20:21]
	v_not_b32_e32 v21, v21
	;; [unrolled: 8-line block ×4, first 2 shown]
	v_ashrrev_i32_e32 v21, 31, v21
	v_and_b32_e32 v3, v3, v104
	v_xor_b32_e32 v104, vcc_hi, v21
	v_xor_b32_e32 v21, vcc_lo, v21
	v_and_b32_e32 v103, v103, v21
	v_lshlrev_b32_e32 v21, 24, v2
	v_not_b32_e32 v2, v21
	v_cmp_gt_i64_e32 vcc, 0, v[20:21]
	v_ashrrev_i32_e32 v2, 31, v2
	v_xor_b32_e32 v21, vcc_hi, v2
	v_xor_b32_e32 v2, vcc_lo, v2
	v_and_b32_e32 v3, v3, v104
	v_and_b32_e32 v2, v103, v2
	;; [unrolled: 1-line block ×3, first 2 shown]
	v_mbcnt_lo_u32_b32 v21, v2, 0
	v_mbcnt_hi_u32_b32 v103, v3, v21
	v_cmp_eq_u32_e32 vcc, 0, v103
	v_cmp_ne_u64_e64 s[36:37], 0, v[2:3]
	s_and_b64 s[38:39], s[36:37], vcc
	; wave barrier
	s_and_saveexec_b64 s[36:37], s[38:39]
	s_cbranch_execz .LBB1458_589
; %bb.588:                              ;   in Loop: Header=BB1458_571 Depth=2
	v_bcnt_u32_b32 v2, v2, 0
	v_bcnt_u32_b32 v2, v3, v2
	s_waitcnt lgkmcnt(0)
	v_add_u32_e32 v2, v39, v2
	ds_write_b32 v102, v2
.LBB1458_589:                           ;   in Loop: Header=BB1458_571 Depth=2
	s_or_b64 exec, exec, s[36:37]
	v_cmp_lt_i32_e32 vcc, -1, v4
	v_cndmask_b32_e32 v2, -1, v73, vcc
	v_xor_b32_e32 v104, v2, v4
	v_cmp_ne_u32_e32 vcc, s64, v104
	v_cndmask_b32_e32 v2, v73, v104, vcc
	v_lshrrev_b32_e32 v2, s77, v2
	v_and_b32_e32 v2, s85, v2
	v_mul_u32_u24_e32 v3, 5, v2
	v_add_lshl_u32 v3, v3, v98, 2
	; wave barrier
	v_add_u32_e32 v106, 0x410, v3
	ds_read_b32 v105, v3 offset:1040
	v_and_b32_e32 v3, 1, v2
	v_add_co_u32_e32 v4, vcc, -1, v3
	v_addc_co_u32_e64 v21, s[36:37], 0, -1, vcc
	v_cmp_ne_u32_e32 vcc, 0, v3
	v_xor_b32_e32 v3, vcc_hi, v21
	v_lshlrev_b32_e32 v21, 30, v2
	v_xor_b32_e32 v4, vcc_lo, v4
	v_cmp_gt_i64_e32 vcc, 0, v[20:21]
	v_not_b32_e32 v21, v21
	v_ashrrev_i32_e32 v21, 31, v21
	v_and_b32_e32 v4, exec_lo, v4
	v_xor_b32_e32 v107, vcc_hi, v21
	v_xor_b32_e32 v21, vcc_lo, v21
	v_and_b32_e32 v4, v4, v21
	v_lshlrev_b32_e32 v21, 29, v2
	v_cmp_gt_i64_e32 vcc, 0, v[20:21]
	v_not_b32_e32 v21, v21
	v_and_b32_e32 v3, exec_hi, v3
	v_ashrrev_i32_e32 v21, 31, v21
	v_and_b32_e32 v3, v3, v107
	v_xor_b32_e32 v107, vcc_hi, v21
	v_xor_b32_e32 v21, vcc_lo, v21
	v_and_b32_e32 v4, v4, v21
	v_lshlrev_b32_e32 v21, 28, v2
	v_cmp_gt_i64_e32 vcc, 0, v[20:21]
	v_not_b32_e32 v21, v21
	v_ashrrev_i32_e32 v21, 31, v21
	v_and_b32_e32 v3, v3, v107
	v_xor_b32_e32 v107, vcc_hi, v21
	v_xor_b32_e32 v21, vcc_lo, v21
	v_and_b32_e32 v4, v4, v21
	v_lshlrev_b32_e32 v21, 27, v2
	v_cmp_gt_i64_e32 vcc, 0, v[20:21]
	v_not_b32_e32 v21, v21
	;; [unrolled: 8-line block ×4, first 2 shown]
	v_ashrrev_i32_e32 v21, 31, v21
	v_and_b32_e32 v3, v3, v107
	v_xor_b32_e32 v107, vcc_hi, v21
	v_xor_b32_e32 v21, vcc_lo, v21
	v_and_b32_e32 v4, v4, v21
	v_lshlrev_b32_e32 v21, 24, v2
	v_not_b32_e32 v2, v21
	v_cmp_gt_i64_e32 vcc, 0, v[20:21]
	v_ashrrev_i32_e32 v2, 31, v2
	v_xor_b32_e32 v21, vcc_hi, v2
	v_xor_b32_e32 v2, vcc_lo, v2
	v_and_b32_e32 v3, v3, v107
	v_and_b32_e32 v2, v4, v2
	;; [unrolled: 1-line block ×3, first 2 shown]
	v_mbcnt_lo_u32_b32 v4, v2, 0
	v_mbcnt_hi_u32_b32 v107, v3, v4
	v_cmp_eq_u32_e32 vcc, 0, v107
	v_cmp_ne_u64_e64 s[36:37], 0, v[2:3]
	s_and_b64 s[38:39], s[36:37], vcc
	; wave barrier
	s_and_saveexec_b64 s[36:37], s[38:39]
	s_cbranch_execz .LBB1458_591
; %bb.590:                              ;   in Loop: Header=BB1458_571 Depth=2
	v_bcnt_u32_b32 v2, v2, 0
	v_bcnt_u32_b32 v2, v3, v2
	s_waitcnt lgkmcnt(0)
	v_add_u32_e32 v2, v105, v2
	ds_write_b32 v106, v2
.LBB1458_591:                           ;   in Loop: Header=BB1458_571 Depth=2
	s_or_b64 exec, exec, s[36:37]
	v_cmp_lt_i32_e32 vcc, -1, v5
	v_cndmask_b32_e32 v2, -1, v73, vcc
	v_xor_b32_e32 v108, v2, v5
	v_cmp_ne_u32_e32 vcc, s64, v108
	v_cndmask_b32_e32 v2, v73, v108, vcc
	v_lshrrev_b32_e32 v2, s77, v2
	v_and_b32_e32 v2, s85, v2
	v_mul_u32_u24_e32 v3, 5, v2
	v_add_lshl_u32 v3, v3, v98, 2
	; wave barrier
	v_add_u32_e32 v110, 0x410, v3
	ds_read_b32 v109, v3 offset:1040
	v_and_b32_e32 v3, 1, v2
	v_add_co_u32_e32 v4, vcc, -1, v3
	v_addc_co_u32_e64 v5, s[36:37], 0, -1, vcc
	v_cmp_ne_u32_e32 vcc, 0, v3
	v_lshlrev_b32_e32 v21, 30, v2
	v_xor_b32_e32 v3, vcc_hi, v5
	v_not_b32_e32 v5, v21
	v_xor_b32_e32 v4, vcc_lo, v4
	v_cmp_gt_i64_e32 vcc, 0, v[20:21]
	v_ashrrev_i32_e32 v5, 31, v5
	v_and_b32_e32 v3, exec_hi, v3
	v_xor_b32_e32 v21, vcc_hi, v5
	v_and_b32_e32 v4, exec_lo, v4
	v_xor_b32_e32 v5, vcc_lo, v5
	v_and_b32_e32 v3, v3, v21
	v_lshlrev_b32_e32 v21, 29, v2
	v_and_b32_e32 v4, v4, v5
	v_not_b32_e32 v5, v21
	v_cmp_gt_i64_e32 vcc, 0, v[20:21]
	v_ashrrev_i32_e32 v5, 31, v5
	v_xor_b32_e32 v21, vcc_hi, v5
	v_xor_b32_e32 v5, vcc_lo, v5
	v_and_b32_e32 v3, v3, v21
	v_lshlrev_b32_e32 v21, 28, v2
	v_and_b32_e32 v4, v4, v5
	v_not_b32_e32 v5, v21
	v_cmp_gt_i64_e32 vcc, 0, v[20:21]
	v_ashrrev_i32_e32 v5, 31, v5
	v_xor_b32_e32 v21, vcc_hi, v5
	;; [unrolled: 8-line block ×5, first 2 shown]
	v_and_b32_e32 v3, v3, v21
	v_lshlrev_b32_e32 v21, 24, v2
	v_not_b32_e32 v2, v21
	v_xor_b32_e32 v5, vcc_lo, v5
	v_cmp_gt_i64_e32 vcc, 0, v[20:21]
	v_ashrrev_i32_e32 v2, 31, v2
	v_and_b32_e32 v4, v4, v5
	v_xor_b32_e32 v5, vcc_hi, v2
	v_xor_b32_e32 v2, vcc_lo, v2
	v_and_b32_e32 v2, v4, v2
	v_and_b32_e32 v3, v3, v5
	v_mbcnt_lo_u32_b32 v4, v2, 0
	v_mbcnt_hi_u32_b32 v111, v3, v4
	v_cmp_eq_u32_e32 vcc, 0, v111
	v_cmp_ne_u64_e64 s[36:37], 0, v[2:3]
	s_and_b64 s[38:39], s[36:37], vcc
	; wave barrier
	s_and_saveexec_b64 s[36:37], s[38:39]
	s_cbranch_execz .LBB1458_593
; %bb.592:                              ;   in Loop: Header=BB1458_571 Depth=2
	v_bcnt_u32_b32 v2, v2, 0
	v_bcnt_u32_b32 v2, v3, v2
	s_waitcnt lgkmcnt(0)
	v_add_u32_e32 v2, v109, v2
	ds_write_b32 v110, v2
.LBB1458_593:                           ;   in Loop: Header=BB1458_571 Depth=2
	s_or_b64 exec, exec, s[36:37]
	v_cmp_lt_i32_e32 vcc, -1, v6
	v_cndmask_b32_e32 v2, -1, v73, vcc
	v_xor_b32_e32 v112, v2, v6
	v_cmp_ne_u32_e32 vcc, s64, v112
	v_cndmask_b32_e32 v2, v73, v112, vcc
	v_lshrrev_b32_e32 v2, s77, v2
	v_and_b32_e32 v2, s85, v2
	v_mul_u32_u24_e32 v3, 5, v2
	v_add_lshl_u32 v3, v3, v98, 2
	; wave barrier
	v_add_u32_e32 v113, 0x410, v3
	ds_read_b32 v6, v3 offset:1040
	v_and_b32_e32 v3, 1, v2
	v_add_co_u32_e32 v4, vcc, -1, v3
	v_addc_co_u32_e64 v5, s[36:37], 0, -1, vcc
	v_cmp_ne_u32_e32 vcc, 0, v3
	v_lshlrev_b32_e32 v21, 30, v2
	v_xor_b32_e32 v3, vcc_hi, v5
	v_not_b32_e32 v5, v21
	v_xor_b32_e32 v4, vcc_lo, v4
	v_cmp_gt_i64_e32 vcc, 0, v[20:21]
	v_ashrrev_i32_e32 v5, 31, v5
	v_and_b32_e32 v3, exec_hi, v3
	v_xor_b32_e32 v21, vcc_hi, v5
	v_and_b32_e32 v4, exec_lo, v4
	v_xor_b32_e32 v5, vcc_lo, v5
	v_and_b32_e32 v3, v3, v21
	v_lshlrev_b32_e32 v21, 29, v2
	v_and_b32_e32 v4, v4, v5
	v_not_b32_e32 v5, v21
	v_cmp_gt_i64_e32 vcc, 0, v[20:21]
	v_ashrrev_i32_e32 v5, 31, v5
	v_xor_b32_e32 v21, vcc_hi, v5
	v_xor_b32_e32 v5, vcc_lo, v5
	v_and_b32_e32 v3, v3, v21
	v_lshlrev_b32_e32 v21, 28, v2
	v_and_b32_e32 v4, v4, v5
	v_not_b32_e32 v5, v21
	v_cmp_gt_i64_e32 vcc, 0, v[20:21]
	v_ashrrev_i32_e32 v5, 31, v5
	v_xor_b32_e32 v21, vcc_hi, v5
	;; [unrolled: 8-line block ×5, first 2 shown]
	v_and_b32_e32 v3, v3, v21
	v_lshlrev_b32_e32 v21, 24, v2
	v_not_b32_e32 v2, v21
	v_xor_b32_e32 v5, vcc_lo, v5
	v_cmp_gt_i64_e32 vcc, 0, v[20:21]
	v_ashrrev_i32_e32 v2, 31, v2
	v_and_b32_e32 v4, v4, v5
	v_xor_b32_e32 v5, vcc_hi, v2
	v_xor_b32_e32 v2, vcc_lo, v2
	v_and_b32_e32 v2, v4, v2
	v_and_b32_e32 v3, v3, v5
	v_mbcnt_lo_u32_b32 v4, v2, 0
	v_mbcnt_hi_u32_b32 v114, v3, v4
	v_cmp_eq_u32_e32 vcc, 0, v114
	v_cmp_ne_u64_e64 s[36:37], 0, v[2:3]
	s_and_b64 s[38:39], s[36:37], vcc
	; wave barrier
	s_and_saveexec_b64 s[36:37], s[38:39]
	s_cbranch_execz .LBB1458_595
; %bb.594:                              ;   in Loop: Header=BB1458_571 Depth=2
	v_bcnt_u32_b32 v2, v2, 0
	v_bcnt_u32_b32 v2, v3, v2
	s_waitcnt lgkmcnt(0)
	v_add_u32_e32 v2, v6, v2
	ds_write_b32 v113, v2
.LBB1458_595:                           ;   in Loop: Header=BB1458_571 Depth=2
	s_or_b64 exec, exec, s[36:37]
	v_cmp_lt_i32_e32 vcc, -1, v7
	v_cndmask_b32_e32 v2, -1, v73, vcc
	v_xor_b32_e32 v115, v2, v7
	v_cmp_ne_u32_e32 vcc, s64, v115
	v_cndmask_b32_e32 v2, v73, v115, vcc
	v_lshrrev_b32_e32 v2, s77, v2
	v_and_b32_e32 v2, s85, v2
	v_mul_u32_u24_e32 v3, 5, v2
	v_add_lshl_u32 v3, v3, v98, 2
	; wave barrier
	v_add_u32_e32 v116, 0x410, v3
	ds_read_b32 v7, v3 offset:1040
	v_and_b32_e32 v3, 1, v2
	v_add_co_u32_e32 v4, vcc, -1, v3
	v_addc_co_u32_e64 v5, s[36:37], 0, -1, vcc
	v_cmp_ne_u32_e32 vcc, 0, v3
	v_lshlrev_b32_e32 v21, 30, v2
	v_xor_b32_e32 v3, vcc_hi, v5
	v_not_b32_e32 v5, v21
	v_xor_b32_e32 v4, vcc_lo, v4
	v_cmp_gt_i64_e32 vcc, 0, v[20:21]
	v_ashrrev_i32_e32 v5, 31, v5
	v_and_b32_e32 v3, exec_hi, v3
	v_xor_b32_e32 v21, vcc_hi, v5
	v_and_b32_e32 v4, exec_lo, v4
	v_xor_b32_e32 v5, vcc_lo, v5
	v_and_b32_e32 v3, v3, v21
	v_lshlrev_b32_e32 v21, 29, v2
	v_and_b32_e32 v4, v4, v5
	v_not_b32_e32 v5, v21
	v_cmp_gt_i64_e32 vcc, 0, v[20:21]
	v_ashrrev_i32_e32 v5, 31, v5
	v_xor_b32_e32 v21, vcc_hi, v5
	v_xor_b32_e32 v5, vcc_lo, v5
	v_and_b32_e32 v3, v3, v21
	v_lshlrev_b32_e32 v21, 28, v2
	v_and_b32_e32 v4, v4, v5
	v_not_b32_e32 v5, v21
	v_cmp_gt_i64_e32 vcc, 0, v[20:21]
	v_ashrrev_i32_e32 v5, 31, v5
	v_xor_b32_e32 v21, vcc_hi, v5
	;; [unrolled: 8-line block ×5, first 2 shown]
	v_and_b32_e32 v3, v3, v21
	v_lshlrev_b32_e32 v21, 24, v2
	v_not_b32_e32 v2, v21
	v_xor_b32_e32 v5, vcc_lo, v5
	v_cmp_gt_i64_e32 vcc, 0, v[20:21]
	v_ashrrev_i32_e32 v2, 31, v2
	v_and_b32_e32 v4, v4, v5
	v_xor_b32_e32 v5, vcc_hi, v2
	v_xor_b32_e32 v2, vcc_lo, v2
	v_and_b32_e32 v2, v4, v2
	v_and_b32_e32 v3, v3, v5
	v_mbcnt_lo_u32_b32 v4, v2, 0
	v_mbcnt_hi_u32_b32 v117, v3, v4
	v_cmp_eq_u32_e32 vcc, 0, v117
	v_cmp_ne_u64_e64 s[36:37], 0, v[2:3]
	s_and_b64 s[38:39], s[36:37], vcc
	; wave barrier
	s_and_saveexec_b64 s[36:37], s[38:39]
	s_cbranch_execz .LBB1458_597
; %bb.596:                              ;   in Loop: Header=BB1458_571 Depth=2
	v_bcnt_u32_b32 v2, v2, 0
	v_bcnt_u32_b32 v2, v3, v2
	s_waitcnt lgkmcnt(0)
	v_add_u32_e32 v2, v7, v2
	ds_write_b32 v116, v2
.LBB1458_597:                           ;   in Loop: Header=BB1458_571 Depth=2
	s_or_b64 exec, exec, s[36:37]
	v_cmp_lt_i32_e32 vcc, -1, v8
	v_cndmask_b32_e32 v2, -1, v73, vcc
	v_xor_b32_e32 v118, v2, v8
	v_cmp_ne_u32_e32 vcc, s64, v118
	v_cndmask_b32_e32 v2, v73, v118, vcc
	v_lshrrev_b32_e32 v2, s77, v2
	v_and_b32_e32 v2, s85, v2
	v_mul_u32_u24_e32 v3, 5, v2
	v_add_lshl_u32 v3, v3, v98, 2
	; wave barrier
	v_add_u32_e32 v8, 0x410, v3
	ds_read_b32 v119, v3 offset:1040
	v_and_b32_e32 v3, 1, v2
	v_add_co_u32_e32 v4, vcc, -1, v3
	v_addc_co_u32_e64 v5, s[36:37], 0, -1, vcc
	v_cmp_ne_u32_e32 vcc, 0, v3
	v_lshlrev_b32_e32 v21, 30, v2
	v_xor_b32_e32 v3, vcc_hi, v5
	v_not_b32_e32 v5, v21
	v_xor_b32_e32 v4, vcc_lo, v4
	v_cmp_gt_i64_e32 vcc, 0, v[20:21]
	v_ashrrev_i32_e32 v5, 31, v5
	v_and_b32_e32 v3, exec_hi, v3
	v_xor_b32_e32 v21, vcc_hi, v5
	v_and_b32_e32 v4, exec_lo, v4
	v_xor_b32_e32 v5, vcc_lo, v5
	v_and_b32_e32 v3, v3, v21
	v_lshlrev_b32_e32 v21, 29, v2
	v_and_b32_e32 v4, v4, v5
	v_not_b32_e32 v5, v21
	v_cmp_gt_i64_e32 vcc, 0, v[20:21]
	v_ashrrev_i32_e32 v5, 31, v5
	v_xor_b32_e32 v21, vcc_hi, v5
	v_xor_b32_e32 v5, vcc_lo, v5
	v_and_b32_e32 v3, v3, v21
	v_lshlrev_b32_e32 v21, 28, v2
	v_and_b32_e32 v4, v4, v5
	v_not_b32_e32 v5, v21
	v_cmp_gt_i64_e32 vcc, 0, v[20:21]
	v_ashrrev_i32_e32 v5, 31, v5
	v_xor_b32_e32 v21, vcc_hi, v5
	;; [unrolled: 8-line block ×5, first 2 shown]
	v_and_b32_e32 v3, v3, v21
	v_lshlrev_b32_e32 v21, 24, v2
	v_not_b32_e32 v2, v21
	v_xor_b32_e32 v5, vcc_lo, v5
	v_cmp_gt_i64_e32 vcc, 0, v[20:21]
	v_ashrrev_i32_e32 v2, 31, v2
	v_and_b32_e32 v4, v4, v5
	v_xor_b32_e32 v5, vcc_hi, v2
	v_xor_b32_e32 v2, vcc_lo, v2
	v_and_b32_e32 v2, v4, v2
	v_and_b32_e32 v3, v3, v5
	v_mbcnt_lo_u32_b32 v4, v2, 0
	v_mbcnt_hi_u32_b32 v120, v3, v4
	v_cmp_eq_u32_e32 vcc, 0, v120
	v_cmp_ne_u64_e64 s[36:37], 0, v[2:3]
	s_and_b64 s[38:39], s[36:37], vcc
	; wave barrier
	s_and_saveexec_b64 s[36:37], s[38:39]
	s_cbranch_execz .LBB1458_599
; %bb.598:                              ;   in Loop: Header=BB1458_571 Depth=2
	v_bcnt_u32_b32 v2, v2, 0
	v_bcnt_u32_b32 v2, v3, v2
	s_waitcnt lgkmcnt(0)
	v_add_u32_e32 v2, v119, v2
	ds_write_b32 v8, v2
.LBB1458_599:                           ;   in Loop: Header=BB1458_571 Depth=2
	s_or_b64 exec, exec, s[36:37]
	v_cmp_lt_i32_e32 vcc, -1, v9
	v_cndmask_b32_e32 v2, -1, v73, vcc
	v_xor_b32_e32 v121, v2, v9
	v_cmp_ne_u32_e32 vcc, s64, v121
	v_cndmask_b32_e32 v2, v73, v121, vcc
	v_lshrrev_b32_e32 v2, s77, v2
	v_and_b32_e32 v2, s85, v2
	v_mul_u32_u24_e32 v3, 5, v2
	v_add_lshl_u32 v3, v3, v98, 2
	; wave barrier
	v_add_u32_e32 v9, 0x410, v3
	ds_read_b32 v122, v3 offset:1040
	v_and_b32_e32 v3, 1, v2
	v_add_co_u32_e32 v4, vcc, -1, v3
	v_addc_co_u32_e64 v5, s[36:37], 0, -1, vcc
	v_cmp_ne_u32_e32 vcc, 0, v3
	v_lshlrev_b32_e32 v21, 30, v2
	v_xor_b32_e32 v3, vcc_hi, v5
	v_not_b32_e32 v5, v21
	v_xor_b32_e32 v4, vcc_lo, v4
	v_cmp_gt_i64_e32 vcc, 0, v[20:21]
	v_ashrrev_i32_e32 v5, 31, v5
	v_and_b32_e32 v3, exec_hi, v3
	v_xor_b32_e32 v21, vcc_hi, v5
	v_and_b32_e32 v4, exec_lo, v4
	v_xor_b32_e32 v5, vcc_lo, v5
	v_and_b32_e32 v3, v3, v21
	v_lshlrev_b32_e32 v21, 29, v2
	v_and_b32_e32 v4, v4, v5
	v_not_b32_e32 v5, v21
	v_cmp_gt_i64_e32 vcc, 0, v[20:21]
	v_ashrrev_i32_e32 v5, 31, v5
	v_xor_b32_e32 v21, vcc_hi, v5
	v_xor_b32_e32 v5, vcc_lo, v5
	v_and_b32_e32 v3, v3, v21
	v_lshlrev_b32_e32 v21, 28, v2
	v_and_b32_e32 v4, v4, v5
	v_not_b32_e32 v5, v21
	v_cmp_gt_i64_e32 vcc, 0, v[20:21]
	v_ashrrev_i32_e32 v5, 31, v5
	v_xor_b32_e32 v21, vcc_hi, v5
	;; [unrolled: 8-line block ×5, first 2 shown]
	v_and_b32_e32 v3, v3, v21
	v_lshlrev_b32_e32 v21, 24, v2
	v_not_b32_e32 v2, v21
	v_xor_b32_e32 v5, vcc_lo, v5
	v_cmp_gt_i64_e32 vcc, 0, v[20:21]
	v_ashrrev_i32_e32 v2, 31, v2
	v_and_b32_e32 v4, v4, v5
	v_xor_b32_e32 v5, vcc_hi, v2
	v_xor_b32_e32 v2, vcc_lo, v2
	v_and_b32_e32 v2, v4, v2
	v_and_b32_e32 v3, v3, v5
	v_mbcnt_lo_u32_b32 v4, v2, 0
	v_mbcnt_hi_u32_b32 v123, v3, v4
	v_cmp_eq_u32_e32 vcc, 0, v123
	v_cmp_ne_u64_e64 s[36:37], 0, v[2:3]
	s_and_b64 s[38:39], s[36:37], vcc
	; wave barrier
	s_and_saveexec_b64 s[36:37], s[38:39]
	s_cbranch_execz .LBB1458_601
; %bb.600:                              ;   in Loop: Header=BB1458_571 Depth=2
	v_bcnt_u32_b32 v2, v2, 0
	v_bcnt_u32_b32 v2, v3, v2
	s_waitcnt lgkmcnt(0)
	v_add_u32_e32 v2, v122, v2
	ds_write_b32 v9, v2
.LBB1458_601:                           ;   in Loop: Header=BB1458_571 Depth=2
	s_or_b64 exec, exec, s[36:37]
	; wave barrier
	s_waitcnt lgkmcnt(0)
	s_barrier
	ds_read_b32 v21, v50 offset:1040
	ds_read2_b32 v[4:5], v52 offset0:1 offset1:2
	ds_read2_b32 v[2:3], v52 offset0:3 offset1:4
	s_waitcnt lgkmcnt(1)
	v_add3_u32 v124, v4, v21, v5
	s_waitcnt lgkmcnt(0)
	v_add3_u32 v3, v124, v2, v3
	s_nop 1
	v_mov_b32_dpp v124, v3 row_shr:1 row_mask:0xf bank_mask:0xf
	v_cndmask_b32_e64 v124, v124, 0, s[16:17]
	v_add_u32_e32 v3, v124, v3
	s_nop 1
	v_mov_b32_dpp v124, v3 row_shr:2 row_mask:0xf bank_mask:0xf
	v_cndmask_b32_e64 v124, 0, v124, s[18:19]
	v_add_u32_e32 v3, v3, v124
	;; [unrolled: 4-line block ×4, first 2 shown]
	s_nop 1
	v_mov_b32_dpp v124, v3 row_bcast:15 row_mask:0xf bank_mask:0xf
	v_cndmask_b32_e64 v124, v124, 0, s[24:25]
	v_add_u32_e32 v3, v3, v124
	s_nop 1
	v_mov_b32_dpp v124, v3 row_bcast:31 row_mask:0xf bank_mask:0xf
	v_cndmask_b32_e64 v124, 0, v124, s[26:27]
	v_add_u32_e32 v3, v3, v124
	s_and_saveexec_b64 s[36:37], s[6:7]
	s_cbranch_execz .LBB1458_603
; %bb.602:                              ;   in Loop: Header=BB1458_571 Depth=2
	ds_write_b32 v43, v3 offset:1024
.LBB1458_603:                           ;   in Loop: Header=BB1458_571 Depth=2
	s_or_b64 exec, exec, s[36:37]
	s_waitcnt lgkmcnt(0)
	s_barrier
	s_and_saveexec_b64 s[36:37], s[8:9]
	s_cbranch_execz .LBB1458_605
; %bb.604:                              ;   in Loop: Header=BB1458_571 Depth=2
	ds_read_b32 v124, v53 offset:1024
	s_waitcnt lgkmcnt(0)
	s_nop 0
	v_mov_b32_dpp v125, v124 row_shr:1 row_mask:0xf bank_mask:0xf
	v_cndmask_b32_e64 v125, v125, 0, s[30:31]
	v_add_u32_e32 v124, v125, v124
	s_nop 1
	v_mov_b32_dpp v125, v124 row_shr:2 row_mask:0xf bank_mask:0xf
	v_cndmask_b32_e64 v125, 0, v125, s[34:35]
	v_add_u32_e32 v124, v124, v125
	ds_write_b32 v53, v124 offset:1024
.LBB1458_605:                           ;   in Loop: Header=BB1458_571 Depth=2
	s_or_b64 exec, exec, s[36:37]
	v_mov_b32_e32 v124, 0
	s_waitcnt lgkmcnt(0)
	s_barrier
	s_and_saveexec_b64 s[36:37], s[10:11]
	s_cbranch_execz .LBB1458_607
; %bb.606:                              ;   in Loop: Header=BB1458_571 Depth=2
	ds_read_b32 v124, v43 offset:1020
.LBB1458_607:                           ;   in Loop: Header=BB1458_571 Depth=2
	s_or_b64 exec, exec, s[36:37]
	s_waitcnt lgkmcnt(0)
	v_add_u32_e32 v3, v124, v3
	ds_bpermute_b32 v3, v75, v3
	s_waitcnt lgkmcnt(0)
	v_cndmask_b32_e64 v3, v3, v124, s[28:29]
	v_cndmask_b32_e64 v3, v3, 0, s[12:13]
	v_add_u32_e32 v21, v3, v21
	ds_write_b32 v50, v3 offset:1040
	v_add_u32_e32 v3, v21, v4
	v_add_u32_e32 v4, v3, v5
	;; [unrolled: 1-line block ×3, first 2 shown]
	ds_write2_b32 v52, v21, v3 offset0:1 offset1:2
	ds_write2_b32 v52, v4, v2 offset0:3 offset1:4
	s_waitcnt lgkmcnt(0)
	s_barrier
	ds_read_b32 v2, v102
	ds_read_b32 v3, v106
	;; [unrolled: 1-line block ×8, first 2 shown]
	ds_read_b32 v9, v50 offset:1040
	v_mov_b32_e32 v4, 0x800
	s_and_saveexec_b64 s[36:37], s[14:15]
	s_cbranch_execz .LBB1458_609
; %bb.608:                              ;   in Loop: Header=BB1458_571 Depth=2
	ds_read_b32 v4, v50 offset:1060
.LBB1458_609:                           ;   in Loop: Header=BB1458_571 Depth=2
	s_or_b64 exec, exec, s[36:37]
	s_waitcnt lgkmcnt(0)
	s_barrier
	s_and_saveexec_b64 s[36:37], s[4:5]
	s_cbranch_execz .LBB1458_611
; %bb.610:                              ;   in Loop: Header=BB1458_571 Depth=2
	ds_read_b32 v21, v19
	s_waitcnt lgkmcnt(0)
	v_sub_u32_e32 v9, v21, v9
	ds_write_b32 v19, v9
.LBB1458_611:                           ;   in Loop: Header=BB1458_571 Depth=2
	s_or_b64 exec, exec, s[36:37]
	v_add_u32_e32 v100, v8, v101
	v_add3_u32 v39, v103, v39, v2
	v_lshlrev_b32_e32 v2, 2, v100
	v_add3_u32 v21, v107, v105, v3
	ds_write_b32 v2, v99 offset:1024
	v_lshlrev_b32_e32 v2, 2, v39
	v_add3_u32 v9, v111, v109, v5
	ds_write_b32 v2, v38 offset:1024
	;; [unrolled: 3-line block ×6, first 2 shown]
	v_lshlrev_b32_e32 v2, 2, v6
	ds_write_b32 v2, v118 offset:1024
	v_lshlrev_b32_e32 v2, 2, v5
	v_cmp_lt_u32_e32 vcc, v18, v0
	ds_write_b32 v2, v121 offset:1024
	s_waitcnt lgkmcnt(0)
	s_barrier
	s_and_saveexec_b64 s[38:39], vcc
	s_cbranch_execz .LBB1458_619
; %bb.612:                              ;   in Loop: Header=BB1458_571 Depth=2
	ds_read_b32 v2, v53 offset:1024
	v_mov_b32_e32 v3, v20
	v_mov_b32_e32 v99, s61
	s_waitcnt lgkmcnt(0)
	v_cmp_ne_u32_e64 s[36:37], s64, v2
	v_cndmask_b32_e64 v38, v73, v2, s[36:37]
	v_lshrrev_b32_e32 v38, s77, v38
	v_and_b32_e32 v38, s85, v38
	v_lshlrev_b32_e32 v38, 2, v38
	ds_read_b32 v38, v38
	v_cmp_lt_i32_e64 s[36:37], -1, v2
	v_cndmask_b32_e64 v101, v73, -1, s[36:37]
	v_xor_b32_e32 v101, v101, v2
	s_waitcnt lgkmcnt(0)
	v_add_u32_e32 v2, v38, v18
	v_lshlrev_b64 v[2:3], 2, v[2:3]
	v_add_co_u32_e64 v2, s[36:37], s60, v2
	v_addc_co_u32_e64 v3, s[36:37], v99, v3, s[36:37]
	global_store_dword v[2:3], v101, off
	s_or_b64 exec, exec, s[38:39]
	v_cmp_lt_u32_e64 s[36:37], v23, v0
	s_and_saveexec_b64 s[40:41], s[36:37]
	s_cbranch_execnz .LBB1458_620
.LBB1458_613:                           ;   in Loop: Header=BB1458_571 Depth=2
	s_or_b64 exec, exec, s[40:41]
	v_cmp_lt_u32_e64 s[38:39], v25, v0
	s_and_saveexec_b64 s[42:43], s[38:39]
	s_cbranch_execz .LBB1458_621
.LBB1458_614:                           ;   in Loop: Header=BB1458_571 Depth=2
	ds_read_b32 v2, v58 offset:2048
	v_mov_b32_e32 v3, v20
	v_mov_b32_e32 v99, s61
	s_waitcnt lgkmcnt(0)
	v_cmp_ne_u32_e64 s[40:41], s64, v2
	v_cndmask_b32_e64 v38, v73, v2, s[40:41]
	v_lshrrev_b32_e32 v38, s77, v38
	v_and_b32_e32 v38, s85, v38
	v_lshlrev_b32_e32 v38, 2, v38
	ds_read_b32 v38, v38
	v_cmp_lt_i32_e64 s[40:41], -1, v2
	v_cndmask_b32_e64 v101, v73, -1, s[40:41]
	v_xor_b32_e32 v101, v101, v2
	s_waitcnt lgkmcnt(0)
	v_add_u32_e32 v2, v38, v25
	v_lshlrev_b64 v[2:3], 2, v[2:3]
	v_add_co_u32_e64 v2, s[40:41], s60, v2
	v_addc_co_u32_e64 v3, s[40:41], v99, v3, s[40:41]
	global_store_dword v[2:3], v101, off
	s_or_b64 exec, exec, s[42:43]
	v_cmp_lt_u32_e64 s[40:41], v27, v0
	s_and_saveexec_b64 s[44:45], s[40:41]
	s_cbranch_execnz .LBB1458_622
.LBB1458_615:                           ;   in Loop: Header=BB1458_571 Depth=2
	s_or_b64 exec, exec, s[44:45]
	v_cmp_lt_u32_e64 s[42:43], v22, v0
	s_and_saveexec_b64 s[46:47], s[42:43]
	s_cbranch_execz .LBB1458_623
.LBB1458_616:                           ;   in Loop: Header=BB1458_571 Depth=2
	ds_read_b32 v2, v58 offset:4096
	v_mov_b32_e32 v3, v20
	v_mov_b32_e32 v99, s61
	s_waitcnt lgkmcnt(0)
	v_cmp_ne_u32_e64 s[44:45], s64, v2
	v_cndmask_b32_e64 v38, v73, v2, s[44:45]
	v_lshrrev_b32_e32 v38, s77, v38
	v_and_b32_e32 v38, s85, v38
	v_lshlrev_b32_e32 v38, 2, v38
	ds_read_b32 v38, v38
	v_cmp_lt_i32_e64 s[44:45], -1, v2
	v_cndmask_b32_e64 v101, v73, -1, s[44:45]
	v_xor_b32_e32 v101, v101, v2
	s_waitcnt lgkmcnt(0)
	v_add_u32_e32 v2, v38, v22
	v_lshlrev_b64 v[2:3], 2, v[2:3]
	v_add_co_u32_e64 v2, s[44:45], s60, v2
	v_addc_co_u32_e64 v3, s[44:45], v99, v3, s[44:45]
	global_store_dword v[2:3], v101, off
	s_or_b64 exec, exec, s[46:47]
	v_cmp_lt_u32_e64 s[44:45], v24, v0
	s_and_saveexec_b64 s[48:49], s[44:45]
	s_cbranch_execnz .LBB1458_624
.LBB1458_617:                           ;   in Loop: Header=BB1458_571 Depth=2
	s_or_b64 exec, exec, s[48:49]
	v_cmp_lt_u32_e64 s[46:47], v26, v0
	s_and_saveexec_b64 s[52:53], s[46:47]
	s_cbranch_execz .LBB1458_625
.LBB1458_618:                           ;   in Loop: Header=BB1458_571 Depth=2
	ds_read_b32 v2, v58 offset:6144
	v_mov_b32_e32 v3, v20
	v_mov_b32_e32 v99, s61
	s_waitcnt lgkmcnt(0)
	v_cmp_ne_u32_e64 s[48:49], s64, v2
	v_cndmask_b32_e64 v38, v73, v2, s[48:49]
	v_lshrrev_b32_e32 v38, s77, v38
	v_and_b32_e32 v38, s85, v38
	v_lshlrev_b32_e32 v38, 2, v38
	ds_read_b32 v38, v38
	v_cmp_lt_i32_e64 s[48:49], -1, v2
	v_cndmask_b32_e64 v101, v73, -1, s[48:49]
	v_xor_b32_e32 v101, v101, v2
	s_waitcnt lgkmcnt(0)
	v_add_u32_e32 v2, v38, v26
	v_lshlrev_b64 v[2:3], 2, v[2:3]
	v_add_co_u32_e64 v2, s[48:49], s60, v2
	v_addc_co_u32_e64 v3, s[48:49], v99, v3, s[48:49]
	global_store_dword v[2:3], v101, off
	s_or_b64 exec, exec, s[52:53]
	v_cmp_lt_u32_e64 s[48:49], v28, v0
	s_and_saveexec_b64 s[62:63], s[48:49]
	s_cbranch_execnz .LBB1458_626
	s_branch .LBB1458_627
.LBB1458_619:                           ;   in Loop: Header=BB1458_571 Depth=2
	s_or_b64 exec, exec, s[38:39]
	v_cmp_lt_u32_e64 s[36:37], v23, v0
	s_and_saveexec_b64 s[40:41], s[36:37]
	s_cbranch_execz .LBB1458_613
.LBB1458_620:                           ;   in Loop: Header=BB1458_571 Depth=2
	ds_read_b32 v2, v58 offset:1024
	v_mov_b32_e32 v3, v20
	v_mov_b32_e32 v99, s61
	s_waitcnt lgkmcnt(0)
	v_cmp_ne_u32_e64 s[38:39], s64, v2
	v_cndmask_b32_e64 v38, v73, v2, s[38:39]
	v_lshrrev_b32_e32 v38, s77, v38
	v_and_b32_e32 v38, s85, v38
	v_lshlrev_b32_e32 v38, 2, v38
	ds_read_b32 v38, v38
	v_cmp_lt_i32_e64 s[38:39], -1, v2
	v_cndmask_b32_e64 v101, v73, -1, s[38:39]
	v_xor_b32_e32 v101, v101, v2
	s_waitcnt lgkmcnt(0)
	v_add_u32_e32 v2, v38, v23
	v_lshlrev_b64 v[2:3], 2, v[2:3]
	v_add_co_u32_e64 v2, s[38:39], s60, v2
	v_addc_co_u32_e64 v3, s[38:39], v99, v3, s[38:39]
	global_store_dword v[2:3], v101, off
	s_or_b64 exec, exec, s[40:41]
	v_cmp_lt_u32_e64 s[38:39], v25, v0
	s_and_saveexec_b64 s[42:43], s[38:39]
	s_cbranch_execnz .LBB1458_614
.LBB1458_621:                           ;   in Loop: Header=BB1458_571 Depth=2
	s_or_b64 exec, exec, s[42:43]
	v_cmp_lt_u32_e64 s[40:41], v27, v0
	s_and_saveexec_b64 s[44:45], s[40:41]
	s_cbranch_execz .LBB1458_615
.LBB1458_622:                           ;   in Loop: Header=BB1458_571 Depth=2
	ds_read_b32 v2, v58 offset:3072
	v_mov_b32_e32 v3, v20
	v_mov_b32_e32 v99, s61
	s_waitcnt lgkmcnt(0)
	v_cmp_ne_u32_e64 s[42:43], s64, v2
	v_cndmask_b32_e64 v38, v73, v2, s[42:43]
	v_lshrrev_b32_e32 v38, s77, v38
	v_and_b32_e32 v38, s85, v38
	v_lshlrev_b32_e32 v38, 2, v38
	ds_read_b32 v38, v38
	v_cmp_lt_i32_e64 s[42:43], -1, v2
	v_cndmask_b32_e64 v101, v73, -1, s[42:43]
	v_xor_b32_e32 v101, v101, v2
	s_waitcnt lgkmcnt(0)
	v_add_u32_e32 v2, v38, v27
	v_lshlrev_b64 v[2:3], 2, v[2:3]
	v_add_co_u32_e64 v2, s[42:43], s60, v2
	v_addc_co_u32_e64 v3, s[42:43], v99, v3, s[42:43]
	global_store_dword v[2:3], v101, off
	s_or_b64 exec, exec, s[44:45]
	v_cmp_lt_u32_e64 s[42:43], v22, v0
	s_and_saveexec_b64 s[46:47], s[42:43]
	s_cbranch_execnz .LBB1458_616
.LBB1458_623:                           ;   in Loop: Header=BB1458_571 Depth=2
	s_or_b64 exec, exec, s[46:47]
	v_cmp_lt_u32_e64 s[44:45], v24, v0
	s_and_saveexec_b64 s[48:49], s[44:45]
	s_cbranch_execz .LBB1458_617
.LBB1458_624:                           ;   in Loop: Header=BB1458_571 Depth=2
	ds_read_b32 v2, v58 offset:5120
	v_mov_b32_e32 v3, v20
	v_mov_b32_e32 v99, s61
	s_waitcnt lgkmcnt(0)
	v_cmp_ne_u32_e64 s[46:47], s64, v2
	v_cndmask_b32_e64 v38, v73, v2, s[46:47]
	v_lshrrev_b32_e32 v38, s77, v38
	v_and_b32_e32 v38, s85, v38
	v_lshlrev_b32_e32 v38, 2, v38
	ds_read_b32 v38, v38
	v_cmp_lt_i32_e64 s[46:47], -1, v2
	v_cndmask_b32_e64 v101, v73, -1, s[46:47]
	v_xor_b32_e32 v101, v101, v2
	s_waitcnt lgkmcnt(0)
	v_add_u32_e32 v2, v38, v24
	v_lshlrev_b64 v[2:3], 2, v[2:3]
	v_add_co_u32_e64 v2, s[46:47], s60, v2
	v_addc_co_u32_e64 v3, s[46:47], v99, v3, s[46:47]
	global_store_dword v[2:3], v101, off
	s_or_b64 exec, exec, s[48:49]
	v_cmp_lt_u32_e64 s[46:47], v26, v0
	s_and_saveexec_b64 s[52:53], s[46:47]
	s_cbranch_execnz .LBB1458_618
.LBB1458_625:                           ;   in Loop: Header=BB1458_571 Depth=2
	s_or_b64 exec, exec, s[52:53]
	v_cmp_lt_u32_e64 s[48:49], v28, v0
	s_and_saveexec_b64 s[62:63], s[48:49]
	s_cbranch_execz .LBB1458_627
.LBB1458_626:                           ;   in Loop: Header=BB1458_571 Depth=2
	ds_read_b32 v2, v58 offset:7168
	v_mov_b32_e32 v3, v20
	v_mov_b32_e32 v99, s61
	s_waitcnt lgkmcnt(0)
	v_cmp_ne_u32_e64 s[52:53], s64, v2
	v_cndmask_b32_e64 v38, v73, v2, s[52:53]
	v_lshrrev_b32_e32 v38, s77, v38
	v_and_b32_e32 v38, s85, v38
	v_lshlrev_b32_e32 v38, 2, v38
	ds_read_b32 v38, v38
	v_cmp_lt_i32_e64 s[52:53], -1, v2
	v_cndmask_b32_e64 v101, v73, -1, s[52:53]
	v_xor_b32_e32 v101, v101, v2
	s_waitcnt lgkmcnt(0)
	v_add_u32_e32 v2, v38, v28
	v_lshlrev_b64 v[2:3], 2, v[2:3]
	v_add_co_u32_e64 v2, s[52:53], s60, v2
	v_addc_co_u32_e64 v3, s[52:53], v99, v3, s[52:53]
	global_store_dword v[2:3], v101, off
.LBB1458_627:                           ;   in Loop: Header=BB1458_571 Depth=2
	s_or_b64 exec, exec, s[62:63]
	s_lshl_b64 s[52:53], s[80:81], 3
	v_mov_b32_e32 v3, s53
	v_add_co_u32_e64 v2, s[52:53], s52, v83
	v_addc_co_u32_e64 v3, s[52:53], v85, v3, s[52:53]
	v_cmp_lt_u32_e64 s[52:53], v80, v0
	s_and_saveexec_b64 s[62:63], s[52:53]
	s_xor_b64 s[52:53], exec, s[62:63]
	s_cbranch_execz .LBB1458_643
; %bb.628:                              ;   in Loop: Header=BB1458_571 Depth=2
	global_load_dwordx2 v[36:37], v[2:3], off
	s_or_b64 exec, exec, s[52:53]
	v_cmp_lt_u32_e64 s[52:53], v87, v0
	s_and_saveexec_b64 s[62:63], s[52:53]
	s_cbranch_execnz .LBB1458_644
.LBB1458_629:                           ;   in Loop: Header=BB1458_571 Depth=2
	s_or_b64 exec, exec, s[62:63]
	v_cmp_lt_u32_e64 s[52:53], v88, v0
	s_and_saveexec_b64 s[62:63], s[52:53]
	s_cbranch_execz .LBB1458_645
.LBB1458_630:                           ;   in Loop: Header=BB1458_571 Depth=2
	global_load_dwordx2 v[32:33], v[2:3], off offset:1024
	s_or_b64 exec, exec, s[62:63]
	v_cmp_lt_u32_e64 s[52:53], v89, v0
	s_and_saveexec_b64 s[62:63], s[52:53]
	s_cbranch_execnz .LBB1458_646
.LBB1458_631:                           ;   in Loop: Header=BB1458_571 Depth=2
	s_or_b64 exec, exec, s[62:63]
	v_cmp_lt_u32_e64 s[52:53], v90, v0
	s_and_saveexec_b64 s[62:63], s[52:53]
	s_cbranch_execz .LBB1458_647
.LBB1458_632:                           ;   in Loop: Header=BB1458_571 Depth=2
	global_load_dwordx2 v[16:17], v[2:3], off offset:2048
	s_or_b64 exec, exec, s[62:63]
	v_cmp_lt_u32_e64 s[52:53], v91, v0
	s_and_saveexec_b64 s[62:63], s[52:53]
	s_cbranch_execnz .LBB1458_648
.LBB1458_633:                           ;   in Loop: Header=BB1458_571 Depth=2
	s_or_b64 exec, exec, s[62:63]
	v_cmp_lt_u32_e64 s[52:53], v92, v0
	s_and_saveexec_b64 s[62:63], s[52:53]
	s_cbranch_execz .LBB1458_649
.LBB1458_634:                           ;   in Loop: Header=BB1458_571 Depth=2
	global_load_dwordx2 v[12:13], v[2:3], off offset:3072
	s_or_b64 exec, exec, s[62:63]
	v_cmp_lt_u32_e64 s[52:53], v93, v0
	s_and_saveexec_b64 s[62:63], s[52:53]
	s_cbranch_execnz .LBB1458_650
.LBB1458_635:                           ;   in Loop: Header=BB1458_571 Depth=2
	s_or_b64 exec, exec, s[62:63]
	s_and_saveexec_b64 s[62:63], vcc
	s_cbranch_execz .LBB1458_651
.LBB1458_636:                           ;   in Loop: Header=BB1458_571 Depth=2
	ds_read_b32 v0, v53 offset:1024
	s_waitcnt lgkmcnt(0)
	v_cmp_ne_u32_e64 s[52:53], s64, v0
	v_cndmask_b32_e64 v0, v73, v0, s[52:53]
	v_lshrrev_b32_e32 v0, s77, v0
	v_and_b32_e32 v86, s85, v0
	s_or_b64 exec, exec, s[62:63]
	s_and_saveexec_b64 s[62:63], s[36:37]
	s_cbranch_execnz .LBB1458_652
.LBB1458_637:                           ;   in Loop: Header=BB1458_571 Depth=2
	s_or_b64 exec, exec, s[62:63]
	s_and_saveexec_b64 s[62:63], s[38:39]
	s_cbranch_execz .LBB1458_653
.LBB1458_638:                           ;   in Loop: Header=BB1458_571 Depth=2
	ds_read_b32 v0, v58 offset:2048
	s_waitcnt lgkmcnt(0)
	v_cmp_ne_u32_e64 s[52:53], s64, v0
	v_cndmask_b32_e64 v0, v73, v0, s[52:53]
	v_lshrrev_b32_e32 v0, s77, v0
	v_and_b32_e32 v82, s85, v0
	s_or_b64 exec, exec, s[62:63]
	s_and_saveexec_b64 s[62:63], s[40:41]
	s_cbranch_execnz .LBB1458_654
.LBB1458_639:                           ;   in Loop: Header=BB1458_571 Depth=2
	s_or_b64 exec, exec, s[62:63]
	s_and_saveexec_b64 s[62:63], s[42:43]
	s_cbranch_execz .LBB1458_655
.LBB1458_640:                           ;   in Loop: Header=BB1458_571 Depth=2
	ds_read_b32 v0, v58 offset:4096
	s_waitcnt lgkmcnt(0)
	v_cmp_ne_u32_e64 s[52:53], s64, v0
	v_cndmask_b32_e64 v0, v73, v0, s[52:53]
	v_lshrrev_b32_e32 v0, s77, v0
	v_and_b32_e32 v79, s85, v0
	s_or_b64 exec, exec, s[62:63]
	s_and_saveexec_b64 s[62:63], s[44:45]
	s_cbranch_execnz .LBB1458_656
.LBB1458_641:                           ;   in Loop: Header=BB1458_571 Depth=2
	s_or_b64 exec, exec, s[62:63]
	s_and_saveexec_b64 s[62:63], s[46:47]
	s_cbranch_execz .LBB1458_657
.LBB1458_642:                           ;   in Loop: Header=BB1458_571 Depth=2
	ds_read_b32 v0, v58 offset:6144
	s_waitcnt lgkmcnt(0)
	v_cmp_ne_u32_e64 s[52:53], s64, v0
	v_cndmask_b32_e64 v0, v73, v0, s[52:53]
	v_lshrrev_b32_e32 v0, s77, v0
	v_and_b32_e32 v77, s85, v0
	s_or_b64 exec, exec, s[62:63]
	s_and_saveexec_b64 s[62:63], s[48:49]
	s_cbranch_execnz .LBB1458_658
	s_branch .LBB1458_659
.LBB1458_643:                           ;   in Loop: Header=BB1458_571 Depth=2
	s_or_b64 exec, exec, s[52:53]
	v_cmp_lt_u32_e64 s[52:53], v87, v0
	s_and_saveexec_b64 s[62:63], s[52:53]
	s_cbranch_execz .LBB1458_629
.LBB1458_644:                           ;   in Loop: Header=BB1458_571 Depth=2
	global_load_dwordx2 v[34:35], v[2:3], off offset:512
	s_or_b64 exec, exec, s[62:63]
	v_cmp_lt_u32_e64 s[52:53], v88, v0
	s_and_saveexec_b64 s[62:63], s[52:53]
	s_cbranch_execnz .LBB1458_630
.LBB1458_645:                           ;   in Loop: Header=BB1458_571 Depth=2
	s_or_b64 exec, exec, s[62:63]
	v_cmp_lt_u32_e64 s[52:53], v89, v0
	s_and_saveexec_b64 s[62:63], s[52:53]
	s_cbranch_execz .LBB1458_631
.LBB1458_646:                           ;   in Loop: Header=BB1458_571 Depth=2
	global_load_dwordx2 v[30:31], v[2:3], off offset:1536
	s_or_b64 exec, exec, s[62:63]
	v_cmp_lt_u32_e64 s[52:53], v90, v0
	s_and_saveexec_b64 s[62:63], s[52:53]
	s_cbranch_execnz .LBB1458_632
.LBB1458_647:                           ;   in Loop: Header=BB1458_571 Depth=2
	s_or_b64 exec, exec, s[62:63]
	v_cmp_lt_u32_e64 s[52:53], v91, v0
	s_and_saveexec_b64 s[62:63], s[52:53]
	s_cbranch_execz .LBB1458_633
.LBB1458_648:                           ;   in Loop: Header=BB1458_571 Depth=2
	global_load_dwordx2 v[14:15], v[2:3], off offset:2560
	s_or_b64 exec, exec, s[62:63]
	v_cmp_lt_u32_e64 s[52:53], v92, v0
	s_and_saveexec_b64 s[62:63], s[52:53]
	s_cbranch_execnz .LBB1458_634
.LBB1458_649:                           ;   in Loop: Header=BB1458_571 Depth=2
	s_or_b64 exec, exec, s[62:63]
	v_cmp_lt_u32_e64 s[52:53], v93, v0
	s_and_saveexec_b64 s[62:63], s[52:53]
	s_cbranch_execz .LBB1458_635
.LBB1458_650:                           ;   in Loop: Header=BB1458_571 Depth=2
	global_load_dwordx2 v[10:11], v[2:3], off offset:3584
	s_or_b64 exec, exec, s[62:63]
	s_and_saveexec_b64 s[62:63], vcc
	s_cbranch_execnz .LBB1458_636
.LBB1458_651:                           ;   in Loop: Header=BB1458_571 Depth=2
	s_or_b64 exec, exec, s[62:63]
	s_and_saveexec_b64 s[62:63], s[36:37]
	s_cbranch_execz .LBB1458_637
.LBB1458_652:                           ;   in Loop: Header=BB1458_571 Depth=2
	ds_read_b32 v0, v58 offset:1024
	s_waitcnt lgkmcnt(0)
	v_cmp_ne_u32_e64 s[52:53], s64, v0
	v_cndmask_b32_e64 v0, v73, v0, s[52:53]
	v_lshrrev_b32_e32 v0, s77, v0
	v_and_b32_e32 v84, s85, v0
	s_or_b64 exec, exec, s[62:63]
	s_and_saveexec_b64 s[62:63], s[38:39]
	s_cbranch_execnz .LBB1458_638
.LBB1458_653:                           ;   in Loop: Header=BB1458_571 Depth=2
	s_or_b64 exec, exec, s[62:63]
	s_and_saveexec_b64 s[62:63], s[40:41]
	s_cbranch_execz .LBB1458_639
.LBB1458_654:                           ;   in Loop: Header=BB1458_571 Depth=2
	ds_read_b32 v0, v58 offset:3072
	s_waitcnt lgkmcnt(0)
	v_cmp_ne_u32_e64 s[52:53], s64, v0
	v_cndmask_b32_e64 v0, v73, v0, s[52:53]
	v_lshrrev_b32_e32 v0, s77, v0
	v_and_b32_e32 v81, s85, v0
	s_or_b64 exec, exec, s[62:63]
	s_and_saveexec_b64 s[62:63], s[42:43]
	s_cbranch_execnz .LBB1458_640
.LBB1458_655:                           ;   in Loop: Header=BB1458_571 Depth=2
	s_or_b64 exec, exec, s[62:63]
	s_and_saveexec_b64 s[62:63], s[44:45]
	s_cbranch_execz .LBB1458_641
.LBB1458_656:                           ;   in Loop: Header=BB1458_571 Depth=2
	ds_read_b32 v0, v58 offset:5120
	s_waitcnt lgkmcnt(0)
	v_cmp_ne_u32_e64 s[52:53], s64, v0
	v_cndmask_b32_e64 v0, v73, v0, s[52:53]
	v_lshrrev_b32_e32 v0, s77, v0
	v_and_b32_e32 v78, s85, v0
	s_or_b64 exec, exec, s[62:63]
	s_and_saveexec_b64 s[62:63], s[46:47]
	s_cbranch_execnz .LBB1458_642
.LBB1458_657:                           ;   in Loop: Header=BB1458_571 Depth=2
	s_or_b64 exec, exec, s[62:63]
	s_and_saveexec_b64 s[62:63], s[48:49]
	s_cbranch_execz .LBB1458_659
.LBB1458_658:                           ;   in Loop: Header=BB1458_571 Depth=2
	ds_read_b32 v0, v58 offset:7168
	s_waitcnt lgkmcnt(0)
	v_cmp_ne_u32_e64 s[52:53], s64, v0
	v_cndmask_b32_e64 v0, v73, v0, s[52:53]
	v_lshrrev_b32_e32 v0, s77, v0
	v_and_b32_e32 v76, s85, v0
.LBB1458_659:                           ;   in Loop: Header=BB1458_571 Depth=2
	s_or_b64 exec, exec, s[62:63]
	v_lshlrev_b32_e32 v0, 3, v100
	s_barrier
	s_waitcnt vmcnt(0)
	ds_write_b64 v0, v[36:37] offset:1024
	v_lshlrev_b32_e32 v0, 3, v39
	ds_write_b64 v0, v[34:35] offset:1024
	v_lshlrev_b32_e32 v0, 3, v21
	;; [unrolled: 2-line block ×7, first 2 shown]
	ds_write_b64 v0, v[10:11] offset:1024
	s_waitcnt lgkmcnt(0)
	s_barrier
	s_and_saveexec_b64 s[52:53], vcc
	s_cbranch_execz .LBB1458_667
; %bb.660:                              ;   in Loop: Header=BB1458_571 Depth=2
	v_lshlrev_b32_e32 v0, 2, v86
	ds_read_b32 v0, v0
	v_add_u32_e32 v2, v53, v19
	ds_read_b64 v[2:3], v2 offset:1024
	v_mov_b32_e32 v7, v20
	v_mov_b32_e32 v5, s75
	s_waitcnt lgkmcnt(1)
	v_add_u32_e32 v6, v0, v18
	v_lshlrev_b64 v[6:7], 3, v[6:7]
	v_add_co_u32_e32 v6, vcc, s74, v6
	v_addc_co_u32_e32 v7, vcc, v5, v7, vcc
	s_waitcnt lgkmcnt(0)
	global_store_dwordx2 v[6:7], v[2:3], off
	s_or_b64 exec, exec, s[52:53]
	v_add_u32_e32 v0, v58, v19
	s_and_saveexec_b64 s[52:53], s[36:37]
	s_cbranch_execnz .LBB1458_668
.LBB1458_661:                           ;   in Loop: Header=BB1458_571 Depth=2
	s_or_b64 exec, exec, s[52:53]
	s_and_saveexec_b64 s[36:37], s[38:39]
	s_cbranch_execz .LBB1458_669
.LBB1458_662:                           ;   in Loop: Header=BB1458_571 Depth=2
	v_lshlrev_b32_e32 v2, 2, v82
	ds_read_b32 v5, v2
	ds_read_b64 v[2:3], v0 offset:4096
	v_mov_b32_e32 v7, v20
	v_mov_b32_e32 v8, s75
	s_waitcnt lgkmcnt(1)
	v_add_u32_e32 v6, v5, v25
	v_lshlrev_b64 v[6:7], 3, v[6:7]
	v_add_co_u32_e32 v6, vcc, s74, v6
	v_addc_co_u32_e32 v7, vcc, v8, v7, vcc
	s_waitcnt lgkmcnt(0)
	global_store_dwordx2 v[6:7], v[2:3], off
	s_or_b64 exec, exec, s[36:37]
	s_and_saveexec_b64 s[36:37], s[40:41]
	s_cbranch_execnz .LBB1458_670
.LBB1458_663:                           ;   in Loop: Header=BB1458_571 Depth=2
	s_or_b64 exec, exec, s[36:37]
	s_and_saveexec_b64 s[36:37], s[42:43]
	s_cbranch_execz .LBB1458_671
.LBB1458_664:                           ;   in Loop: Header=BB1458_571 Depth=2
	v_lshlrev_b32_e32 v2, 2, v79
	ds_read_b32 v5, v2
	ds_read_b64 v[2:3], v0 offset:8192
	v_mov_b32_e32 v7, v20
	v_mov_b32_e32 v8, s75
	s_waitcnt lgkmcnt(1)
	v_add_u32_e32 v6, v5, v22
	v_lshlrev_b64 v[6:7], 3, v[6:7]
	v_add_co_u32_e32 v6, vcc, s74, v6
	v_addc_co_u32_e32 v7, vcc, v8, v7, vcc
	s_waitcnt lgkmcnt(0)
	global_store_dwordx2 v[6:7], v[2:3], off
	s_or_b64 exec, exec, s[36:37]
	s_and_saveexec_b64 s[36:37], s[44:45]
	s_cbranch_execnz .LBB1458_672
.LBB1458_665:                           ;   in Loop: Header=BB1458_571 Depth=2
	s_or_b64 exec, exec, s[36:37]
	s_and_saveexec_b64 s[36:37], s[46:47]
	s_cbranch_execz .LBB1458_673
.LBB1458_666:                           ;   in Loop: Header=BB1458_571 Depth=2
	v_lshlrev_b32_e32 v2, 2, v77
	ds_read_b32 v5, v2
	ds_read_b64 v[2:3], v0 offset:12288
	v_mov_b32_e32 v7, v20
	v_mov_b32_e32 v8, s75
	s_waitcnt lgkmcnt(1)
	v_add_u32_e32 v6, v5, v26
	v_lshlrev_b64 v[6:7], 3, v[6:7]
	v_add_co_u32_e32 v6, vcc, s74, v6
	v_addc_co_u32_e32 v7, vcc, v8, v7, vcc
	s_waitcnt lgkmcnt(0)
	global_store_dwordx2 v[6:7], v[2:3], off
	s_or_b64 exec, exec, s[36:37]
	s_and_saveexec_b64 s[36:37], s[48:49]
	s_cbranch_execnz .LBB1458_674
	s_branch .LBB1458_675
.LBB1458_667:                           ;   in Loop: Header=BB1458_571 Depth=2
	s_or_b64 exec, exec, s[52:53]
	v_add_u32_e32 v0, v58, v19
	s_and_saveexec_b64 s[52:53], s[36:37]
	s_cbranch_execz .LBB1458_661
.LBB1458_668:                           ;   in Loop: Header=BB1458_571 Depth=2
	v_lshlrev_b32_e32 v2, 2, v84
	ds_read_b32 v5, v2
	ds_read_b64 v[2:3], v0 offset:2048
	v_mov_b32_e32 v7, v20
	v_mov_b32_e32 v8, s75
	s_waitcnt lgkmcnt(1)
	v_add_u32_e32 v6, v5, v23
	v_lshlrev_b64 v[6:7], 3, v[6:7]
	v_add_co_u32_e32 v6, vcc, s74, v6
	v_addc_co_u32_e32 v7, vcc, v8, v7, vcc
	s_waitcnt lgkmcnt(0)
	global_store_dwordx2 v[6:7], v[2:3], off
	s_or_b64 exec, exec, s[52:53]
	s_and_saveexec_b64 s[36:37], s[38:39]
	s_cbranch_execnz .LBB1458_662
.LBB1458_669:                           ;   in Loop: Header=BB1458_571 Depth=2
	s_or_b64 exec, exec, s[36:37]
	s_and_saveexec_b64 s[36:37], s[40:41]
	s_cbranch_execz .LBB1458_663
.LBB1458_670:                           ;   in Loop: Header=BB1458_571 Depth=2
	v_lshlrev_b32_e32 v2, 2, v81
	ds_read_b32 v5, v2
	ds_read_b64 v[2:3], v0 offset:6144
	v_mov_b32_e32 v7, v20
	v_mov_b32_e32 v8, s75
	s_waitcnt lgkmcnt(1)
	v_add_u32_e32 v6, v5, v27
	v_lshlrev_b64 v[6:7], 3, v[6:7]
	v_add_co_u32_e32 v6, vcc, s74, v6
	v_addc_co_u32_e32 v7, vcc, v8, v7, vcc
	s_waitcnt lgkmcnt(0)
	global_store_dwordx2 v[6:7], v[2:3], off
	s_or_b64 exec, exec, s[36:37]
	s_and_saveexec_b64 s[36:37], s[42:43]
	s_cbranch_execnz .LBB1458_664
.LBB1458_671:                           ;   in Loop: Header=BB1458_571 Depth=2
	s_or_b64 exec, exec, s[36:37]
	s_and_saveexec_b64 s[36:37], s[44:45]
	s_cbranch_execz .LBB1458_665
.LBB1458_672:                           ;   in Loop: Header=BB1458_571 Depth=2
	v_lshlrev_b32_e32 v2, 2, v78
	ds_read_b32 v5, v2
	ds_read_b64 v[2:3], v0 offset:10240
	v_mov_b32_e32 v7, v20
	v_mov_b32_e32 v8, s75
	s_waitcnt lgkmcnt(1)
	v_add_u32_e32 v6, v5, v24
	v_lshlrev_b64 v[6:7], 3, v[6:7]
	v_add_co_u32_e32 v6, vcc, s74, v6
	v_addc_co_u32_e32 v7, vcc, v8, v7, vcc
	s_waitcnt lgkmcnt(0)
	global_store_dwordx2 v[6:7], v[2:3], off
	s_or_b64 exec, exec, s[36:37]
	s_and_saveexec_b64 s[36:37], s[46:47]
	s_cbranch_execnz .LBB1458_666
.LBB1458_673:                           ;   in Loop: Header=BB1458_571 Depth=2
	s_or_b64 exec, exec, s[36:37]
	s_and_saveexec_b64 s[36:37], s[48:49]
	s_cbranch_execz .LBB1458_675
.LBB1458_674:                           ;   in Loop: Header=BB1458_571 Depth=2
	v_lshlrev_b32_e32 v2, 2, v76
	ds_read_b32 v5, v2
	ds_read_b64 v[2:3], v0 offset:14336
	v_mov_b32_e32 v7, v20
	v_mov_b32_e32 v0, s75
	s_waitcnt lgkmcnt(1)
	v_add_u32_e32 v6, v5, v28
	v_lshlrev_b64 v[6:7], 3, v[6:7]
	v_add_co_u32_e32 v6, vcc, s74, v6
	v_addc_co_u32_e32 v7, vcc, v0, v7, vcc
	s_waitcnt lgkmcnt(0)
	global_store_dwordx2 v[6:7], v[2:3], off
.LBB1458_675:                           ;   in Loop: Header=BB1458_571 Depth=2
	s_or_b64 exec, exec, s[36:37]
	s_barrier
	s_and_saveexec_b64 s[36:37], s[4:5]
	s_cbranch_execz .LBB1458_570
; %bb.676:                              ;   in Loop: Header=BB1458_571 Depth=2
	ds_read_b32 v0, v19
	s_waitcnt lgkmcnt(0)
	v_add_u32_e32 v0, v0, v4
	ds_write_b32 v19, v0
	s_branch .LBB1458_570
.LBB1458_677:                           ;   in Loop: Header=BB1458_571 Depth=2
	s_or_b64 exec, exec, s[36:37]
	v_cmp_gt_u32_e32 vcc, s86, v87
	s_and_saveexec_b64 s[36:37], vcc
	s_cbranch_execz .LBB1458_576
.LBB1458_678:                           ;   in Loop: Header=BB1458_571 Depth=2
	global_load_dword v3, v[38:39], off offset:256
	s_or_b64 exec, exec, s[36:37]
	v_cmp_gt_u32_e32 vcc, s86, v88
	s_and_saveexec_b64 s[36:37], vcc
	s_cbranch_execnz .LBB1458_577
.LBB1458_679:                           ;   in Loop: Header=BB1458_571 Depth=2
	s_or_b64 exec, exec, s[36:37]
	v_cmp_gt_u32_e32 vcc, s86, v89
	s_and_saveexec_b64 s[36:37], vcc
	s_cbranch_execz .LBB1458_578
.LBB1458_680:                           ;   in Loop: Header=BB1458_571 Depth=2
	global_load_dword v5, v[38:39], off offset:768
	s_or_b64 exec, exec, s[36:37]
	v_cmp_gt_u32_e32 vcc, s86, v90
	s_and_saveexec_b64 s[36:37], vcc
	s_cbranch_execnz .LBB1458_579
.LBB1458_681:                           ;   in Loop: Header=BB1458_571 Depth=2
	s_or_b64 exec, exec, s[36:37]
	v_cmp_gt_u32_e32 vcc, s86, v91
	s_and_saveexec_b64 s[36:37], vcc
	s_cbranch_execz .LBB1458_580
.LBB1458_682:                           ;   in Loop: Header=BB1458_571 Depth=2
	global_load_dword v7, v[38:39], off offset:1280
	s_or_b64 exec, exec, s[36:37]
	v_cmp_gt_u32_e32 vcc, s86, v92
	s_and_saveexec_b64 s[36:37], vcc
	s_cbranch_execnz .LBB1458_581
	s_branch .LBB1458_582
.LBB1458_683:
	s_endpgm
	.section	.rodata,"a",@progbits
	.p2align	6, 0x0
	.amdhsa_kernel _ZN7rocprim17ROCPRIM_400000_NS6detail17trampoline_kernelINS0_14default_configENS1_36segmented_radix_sort_config_selectorIflEEZNS1_25segmented_radix_sort_implIS3_Lb0EPKfPfPKlPlN2at6native12_GLOBAL__N_18offset_tEEE10hipError_tPvRmT1_PNSt15iterator_traitsISK_E10value_typeET2_T3_PNSL_ISQ_E10value_typeET4_jRbjT5_SW_jjP12ihipStream_tbEUlT_E2_NS1_11comp_targetILNS1_3genE4ELNS1_11target_archE910ELNS1_3gpuE8ELNS1_3repE0EEENS1_30default_config_static_selectorELNS0_4arch9wavefront6targetE1EEEvSK_
		.amdhsa_group_segment_fixed_size 17424
		.amdhsa_private_segment_fixed_size 8
		.amdhsa_kernarg_size 336
		.amdhsa_user_sgpr_count 8
		.amdhsa_user_sgpr_private_segment_buffer 1
		.amdhsa_user_sgpr_dispatch_ptr 0
		.amdhsa_user_sgpr_queue_ptr 0
		.amdhsa_user_sgpr_kernarg_segment_ptr 1
		.amdhsa_user_sgpr_dispatch_id 0
		.amdhsa_user_sgpr_flat_scratch_init 1
		.amdhsa_user_sgpr_kernarg_preload_length 0
		.amdhsa_user_sgpr_kernarg_preload_offset 0
		.amdhsa_user_sgpr_private_segment_size 0
		.amdhsa_uses_dynamic_stack 0
		.amdhsa_system_sgpr_private_segment_wavefront_offset 1
		.amdhsa_system_sgpr_workgroup_id_x 1
		.amdhsa_system_sgpr_workgroup_id_y 1
		.amdhsa_system_sgpr_workgroup_id_z 0
		.amdhsa_system_sgpr_workgroup_info 0
		.amdhsa_system_vgpr_workitem_id 2
		.amdhsa_next_free_vgpr 195
		.amdhsa_next_free_sgpr 88
		.amdhsa_accum_offset 196
		.amdhsa_reserve_vcc 1
		.amdhsa_reserve_flat_scratch 1
		.amdhsa_float_round_mode_32 0
		.amdhsa_float_round_mode_16_64 0
		.amdhsa_float_denorm_mode_32 3
		.amdhsa_float_denorm_mode_16_64 3
		.amdhsa_dx10_clamp 1
		.amdhsa_ieee_mode 1
		.amdhsa_fp16_overflow 0
		.amdhsa_tg_split 0
		.amdhsa_exception_fp_ieee_invalid_op 0
		.amdhsa_exception_fp_denorm_src 0
		.amdhsa_exception_fp_ieee_div_zero 0
		.amdhsa_exception_fp_ieee_overflow 0
		.amdhsa_exception_fp_ieee_underflow 0
		.amdhsa_exception_fp_ieee_inexact 0
		.amdhsa_exception_int_div_zero 0
	.end_amdhsa_kernel
	.section	.text._ZN7rocprim17ROCPRIM_400000_NS6detail17trampoline_kernelINS0_14default_configENS1_36segmented_radix_sort_config_selectorIflEEZNS1_25segmented_radix_sort_implIS3_Lb0EPKfPfPKlPlN2at6native12_GLOBAL__N_18offset_tEEE10hipError_tPvRmT1_PNSt15iterator_traitsISK_E10value_typeET2_T3_PNSL_ISQ_E10value_typeET4_jRbjT5_SW_jjP12ihipStream_tbEUlT_E2_NS1_11comp_targetILNS1_3genE4ELNS1_11target_archE910ELNS1_3gpuE8ELNS1_3repE0EEENS1_30default_config_static_selectorELNS0_4arch9wavefront6targetE1EEEvSK_,"axG",@progbits,_ZN7rocprim17ROCPRIM_400000_NS6detail17trampoline_kernelINS0_14default_configENS1_36segmented_radix_sort_config_selectorIflEEZNS1_25segmented_radix_sort_implIS3_Lb0EPKfPfPKlPlN2at6native12_GLOBAL__N_18offset_tEEE10hipError_tPvRmT1_PNSt15iterator_traitsISK_E10value_typeET2_T3_PNSL_ISQ_E10value_typeET4_jRbjT5_SW_jjP12ihipStream_tbEUlT_E2_NS1_11comp_targetILNS1_3genE4ELNS1_11target_archE910ELNS1_3gpuE8ELNS1_3repE0EEENS1_30default_config_static_selectorELNS0_4arch9wavefront6targetE1EEEvSK_,comdat
.Lfunc_end1458:
	.size	_ZN7rocprim17ROCPRIM_400000_NS6detail17trampoline_kernelINS0_14default_configENS1_36segmented_radix_sort_config_selectorIflEEZNS1_25segmented_radix_sort_implIS3_Lb0EPKfPfPKlPlN2at6native12_GLOBAL__N_18offset_tEEE10hipError_tPvRmT1_PNSt15iterator_traitsISK_E10value_typeET2_T3_PNSL_ISQ_E10value_typeET4_jRbjT5_SW_jjP12ihipStream_tbEUlT_E2_NS1_11comp_targetILNS1_3genE4ELNS1_11target_archE910ELNS1_3gpuE8ELNS1_3repE0EEENS1_30default_config_static_selectorELNS0_4arch9wavefront6targetE1EEEvSK_, .Lfunc_end1458-_ZN7rocprim17ROCPRIM_400000_NS6detail17trampoline_kernelINS0_14default_configENS1_36segmented_radix_sort_config_selectorIflEEZNS1_25segmented_radix_sort_implIS3_Lb0EPKfPfPKlPlN2at6native12_GLOBAL__N_18offset_tEEE10hipError_tPvRmT1_PNSt15iterator_traitsISK_E10value_typeET2_T3_PNSL_ISQ_E10value_typeET4_jRbjT5_SW_jjP12ihipStream_tbEUlT_E2_NS1_11comp_targetILNS1_3genE4ELNS1_11target_archE910ELNS1_3gpuE8ELNS1_3repE0EEENS1_30default_config_static_selectorELNS0_4arch9wavefront6targetE1EEEvSK_
                                        ; -- End function
	.section	.AMDGPU.csdata,"",@progbits
; Kernel info:
; codeLenInByte = 39016
; NumSgprs: 94
; NumVgprs: 195
; NumAgprs: 0
; TotalNumVgprs: 195
; ScratchSize: 8
; MemoryBound: 0
; FloatMode: 240
; IeeeMode: 1
; LDSByteSize: 17424 bytes/workgroup (compile time only)
; SGPRBlocks: 11
; VGPRBlocks: 24
; NumSGPRsForWavesPerEU: 94
; NumVGPRsForWavesPerEU: 195
; AccumOffset: 196
; Occupancy: 2
; WaveLimiterHint : 1
; COMPUTE_PGM_RSRC2:SCRATCH_EN: 1
; COMPUTE_PGM_RSRC2:USER_SGPR: 8
; COMPUTE_PGM_RSRC2:TRAP_HANDLER: 0
; COMPUTE_PGM_RSRC2:TGID_X_EN: 1
; COMPUTE_PGM_RSRC2:TGID_Y_EN: 1
; COMPUTE_PGM_RSRC2:TGID_Z_EN: 0
; COMPUTE_PGM_RSRC2:TIDIG_COMP_CNT: 2
; COMPUTE_PGM_RSRC3_GFX90A:ACCUM_OFFSET: 48
; COMPUTE_PGM_RSRC3_GFX90A:TG_SPLIT: 0
	.section	.text._ZN7rocprim17ROCPRIM_400000_NS6detail17trampoline_kernelINS0_14default_configENS1_36segmented_radix_sort_config_selectorIflEEZNS1_25segmented_radix_sort_implIS3_Lb0EPKfPfPKlPlN2at6native12_GLOBAL__N_18offset_tEEE10hipError_tPvRmT1_PNSt15iterator_traitsISK_E10value_typeET2_T3_PNSL_ISQ_E10value_typeET4_jRbjT5_SW_jjP12ihipStream_tbEUlT_E2_NS1_11comp_targetILNS1_3genE3ELNS1_11target_archE908ELNS1_3gpuE7ELNS1_3repE0EEENS1_30default_config_static_selectorELNS0_4arch9wavefront6targetE1EEEvSK_,"axG",@progbits,_ZN7rocprim17ROCPRIM_400000_NS6detail17trampoline_kernelINS0_14default_configENS1_36segmented_radix_sort_config_selectorIflEEZNS1_25segmented_radix_sort_implIS3_Lb0EPKfPfPKlPlN2at6native12_GLOBAL__N_18offset_tEEE10hipError_tPvRmT1_PNSt15iterator_traitsISK_E10value_typeET2_T3_PNSL_ISQ_E10value_typeET4_jRbjT5_SW_jjP12ihipStream_tbEUlT_E2_NS1_11comp_targetILNS1_3genE3ELNS1_11target_archE908ELNS1_3gpuE7ELNS1_3repE0EEENS1_30default_config_static_selectorELNS0_4arch9wavefront6targetE1EEEvSK_,comdat
	.globl	_ZN7rocprim17ROCPRIM_400000_NS6detail17trampoline_kernelINS0_14default_configENS1_36segmented_radix_sort_config_selectorIflEEZNS1_25segmented_radix_sort_implIS3_Lb0EPKfPfPKlPlN2at6native12_GLOBAL__N_18offset_tEEE10hipError_tPvRmT1_PNSt15iterator_traitsISK_E10value_typeET2_T3_PNSL_ISQ_E10value_typeET4_jRbjT5_SW_jjP12ihipStream_tbEUlT_E2_NS1_11comp_targetILNS1_3genE3ELNS1_11target_archE908ELNS1_3gpuE7ELNS1_3repE0EEENS1_30default_config_static_selectorELNS0_4arch9wavefront6targetE1EEEvSK_ ; -- Begin function _ZN7rocprim17ROCPRIM_400000_NS6detail17trampoline_kernelINS0_14default_configENS1_36segmented_radix_sort_config_selectorIflEEZNS1_25segmented_radix_sort_implIS3_Lb0EPKfPfPKlPlN2at6native12_GLOBAL__N_18offset_tEEE10hipError_tPvRmT1_PNSt15iterator_traitsISK_E10value_typeET2_T3_PNSL_ISQ_E10value_typeET4_jRbjT5_SW_jjP12ihipStream_tbEUlT_E2_NS1_11comp_targetILNS1_3genE3ELNS1_11target_archE908ELNS1_3gpuE7ELNS1_3repE0EEENS1_30default_config_static_selectorELNS0_4arch9wavefront6targetE1EEEvSK_
	.p2align	8
	.type	_ZN7rocprim17ROCPRIM_400000_NS6detail17trampoline_kernelINS0_14default_configENS1_36segmented_radix_sort_config_selectorIflEEZNS1_25segmented_radix_sort_implIS3_Lb0EPKfPfPKlPlN2at6native12_GLOBAL__N_18offset_tEEE10hipError_tPvRmT1_PNSt15iterator_traitsISK_E10value_typeET2_T3_PNSL_ISQ_E10value_typeET4_jRbjT5_SW_jjP12ihipStream_tbEUlT_E2_NS1_11comp_targetILNS1_3genE3ELNS1_11target_archE908ELNS1_3gpuE7ELNS1_3repE0EEENS1_30default_config_static_selectorELNS0_4arch9wavefront6targetE1EEEvSK_,@function
_ZN7rocprim17ROCPRIM_400000_NS6detail17trampoline_kernelINS0_14default_configENS1_36segmented_radix_sort_config_selectorIflEEZNS1_25segmented_radix_sort_implIS3_Lb0EPKfPfPKlPlN2at6native12_GLOBAL__N_18offset_tEEE10hipError_tPvRmT1_PNSt15iterator_traitsISK_E10value_typeET2_T3_PNSL_ISQ_E10value_typeET4_jRbjT5_SW_jjP12ihipStream_tbEUlT_E2_NS1_11comp_targetILNS1_3genE3ELNS1_11target_archE908ELNS1_3gpuE7ELNS1_3repE0EEENS1_30default_config_static_selectorELNS0_4arch9wavefront6targetE1EEEvSK_: ; @_ZN7rocprim17ROCPRIM_400000_NS6detail17trampoline_kernelINS0_14default_configENS1_36segmented_radix_sort_config_selectorIflEEZNS1_25segmented_radix_sort_implIS3_Lb0EPKfPfPKlPlN2at6native12_GLOBAL__N_18offset_tEEE10hipError_tPvRmT1_PNSt15iterator_traitsISK_E10value_typeET2_T3_PNSL_ISQ_E10value_typeET4_jRbjT5_SW_jjP12ihipStream_tbEUlT_E2_NS1_11comp_targetILNS1_3genE3ELNS1_11target_archE908ELNS1_3gpuE7ELNS1_3repE0EEENS1_30default_config_static_selectorELNS0_4arch9wavefront6targetE1EEEvSK_
; %bb.0:
	.section	.rodata,"a",@progbits
	.p2align	6, 0x0
	.amdhsa_kernel _ZN7rocprim17ROCPRIM_400000_NS6detail17trampoline_kernelINS0_14default_configENS1_36segmented_radix_sort_config_selectorIflEEZNS1_25segmented_radix_sort_implIS3_Lb0EPKfPfPKlPlN2at6native12_GLOBAL__N_18offset_tEEE10hipError_tPvRmT1_PNSt15iterator_traitsISK_E10value_typeET2_T3_PNSL_ISQ_E10value_typeET4_jRbjT5_SW_jjP12ihipStream_tbEUlT_E2_NS1_11comp_targetILNS1_3genE3ELNS1_11target_archE908ELNS1_3gpuE7ELNS1_3repE0EEENS1_30default_config_static_selectorELNS0_4arch9wavefront6targetE1EEEvSK_
		.amdhsa_group_segment_fixed_size 0
		.amdhsa_private_segment_fixed_size 0
		.amdhsa_kernarg_size 80
		.amdhsa_user_sgpr_count 6
		.amdhsa_user_sgpr_private_segment_buffer 1
		.amdhsa_user_sgpr_dispatch_ptr 0
		.amdhsa_user_sgpr_queue_ptr 0
		.amdhsa_user_sgpr_kernarg_segment_ptr 1
		.amdhsa_user_sgpr_dispatch_id 0
		.amdhsa_user_sgpr_flat_scratch_init 0
		.amdhsa_user_sgpr_kernarg_preload_length 0
		.amdhsa_user_sgpr_kernarg_preload_offset 0
		.amdhsa_user_sgpr_private_segment_size 0
		.amdhsa_uses_dynamic_stack 0
		.amdhsa_system_sgpr_private_segment_wavefront_offset 0
		.amdhsa_system_sgpr_workgroup_id_x 1
		.amdhsa_system_sgpr_workgroup_id_y 0
		.amdhsa_system_sgpr_workgroup_id_z 0
		.amdhsa_system_sgpr_workgroup_info 0
		.amdhsa_system_vgpr_workitem_id 0
		.amdhsa_next_free_vgpr 1
		.amdhsa_next_free_sgpr 0
		.amdhsa_accum_offset 4
		.amdhsa_reserve_vcc 0
		.amdhsa_reserve_flat_scratch 0
		.amdhsa_float_round_mode_32 0
		.amdhsa_float_round_mode_16_64 0
		.amdhsa_float_denorm_mode_32 3
		.amdhsa_float_denorm_mode_16_64 3
		.amdhsa_dx10_clamp 1
		.amdhsa_ieee_mode 1
		.amdhsa_fp16_overflow 0
		.amdhsa_tg_split 0
		.amdhsa_exception_fp_ieee_invalid_op 0
		.amdhsa_exception_fp_denorm_src 0
		.amdhsa_exception_fp_ieee_div_zero 0
		.amdhsa_exception_fp_ieee_overflow 0
		.amdhsa_exception_fp_ieee_underflow 0
		.amdhsa_exception_fp_ieee_inexact 0
		.amdhsa_exception_int_div_zero 0
	.end_amdhsa_kernel
	.section	.text._ZN7rocprim17ROCPRIM_400000_NS6detail17trampoline_kernelINS0_14default_configENS1_36segmented_radix_sort_config_selectorIflEEZNS1_25segmented_radix_sort_implIS3_Lb0EPKfPfPKlPlN2at6native12_GLOBAL__N_18offset_tEEE10hipError_tPvRmT1_PNSt15iterator_traitsISK_E10value_typeET2_T3_PNSL_ISQ_E10value_typeET4_jRbjT5_SW_jjP12ihipStream_tbEUlT_E2_NS1_11comp_targetILNS1_3genE3ELNS1_11target_archE908ELNS1_3gpuE7ELNS1_3repE0EEENS1_30default_config_static_selectorELNS0_4arch9wavefront6targetE1EEEvSK_,"axG",@progbits,_ZN7rocprim17ROCPRIM_400000_NS6detail17trampoline_kernelINS0_14default_configENS1_36segmented_radix_sort_config_selectorIflEEZNS1_25segmented_radix_sort_implIS3_Lb0EPKfPfPKlPlN2at6native12_GLOBAL__N_18offset_tEEE10hipError_tPvRmT1_PNSt15iterator_traitsISK_E10value_typeET2_T3_PNSL_ISQ_E10value_typeET4_jRbjT5_SW_jjP12ihipStream_tbEUlT_E2_NS1_11comp_targetILNS1_3genE3ELNS1_11target_archE908ELNS1_3gpuE7ELNS1_3repE0EEENS1_30default_config_static_selectorELNS0_4arch9wavefront6targetE1EEEvSK_,comdat
.Lfunc_end1459:
	.size	_ZN7rocprim17ROCPRIM_400000_NS6detail17trampoline_kernelINS0_14default_configENS1_36segmented_radix_sort_config_selectorIflEEZNS1_25segmented_radix_sort_implIS3_Lb0EPKfPfPKlPlN2at6native12_GLOBAL__N_18offset_tEEE10hipError_tPvRmT1_PNSt15iterator_traitsISK_E10value_typeET2_T3_PNSL_ISQ_E10value_typeET4_jRbjT5_SW_jjP12ihipStream_tbEUlT_E2_NS1_11comp_targetILNS1_3genE3ELNS1_11target_archE908ELNS1_3gpuE7ELNS1_3repE0EEENS1_30default_config_static_selectorELNS0_4arch9wavefront6targetE1EEEvSK_, .Lfunc_end1459-_ZN7rocprim17ROCPRIM_400000_NS6detail17trampoline_kernelINS0_14default_configENS1_36segmented_radix_sort_config_selectorIflEEZNS1_25segmented_radix_sort_implIS3_Lb0EPKfPfPKlPlN2at6native12_GLOBAL__N_18offset_tEEE10hipError_tPvRmT1_PNSt15iterator_traitsISK_E10value_typeET2_T3_PNSL_ISQ_E10value_typeET4_jRbjT5_SW_jjP12ihipStream_tbEUlT_E2_NS1_11comp_targetILNS1_3genE3ELNS1_11target_archE908ELNS1_3gpuE7ELNS1_3repE0EEENS1_30default_config_static_selectorELNS0_4arch9wavefront6targetE1EEEvSK_
                                        ; -- End function
	.section	.AMDGPU.csdata,"",@progbits
; Kernel info:
; codeLenInByte = 0
; NumSgprs: 4
; NumVgprs: 0
; NumAgprs: 0
; TotalNumVgprs: 0
; ScratchSize: 0
; MemoryBound: 0
; FloatMode: 240
; IeeeMode: 1
; LDSByteSize: 0 bytes/workgroup (compile time only)
; SGPRBlocks: 0
; VGPRBlocks: 0
; NumSGPRsForWavesPerEU: 4
; NumVGPRsForWavesPerEU: 1
; AccumOffset: 4
; Occupancy: 8
; WaveLimiterHint : 0
; COMPUTE_PGM_RSRC2:SCRATCH_EN: 0
; COMPUTE_PGM_RSRC2:USER_SGPR: 6
; COMPUTE_PGM_RSRC2:TRAP_HANDLER: 0
; COMPUTE_PGM_RSRC2:TGID_X_EN: 1
; COMPUTE_PGM_RSRC2:TGID_Y_EN: 0
; COMPUTE_PGM_RSRC2:TGID_Z_EN: 0
; COMPUTE_PGM_RSRC2:TIDIG_COMP_CNT: 0
; COMPUTE_PGM_RSRC3_GFX90A:ACCUM_OFFSET: 0
; COMPUTE_PGM_RSRC3_GFX90A:TG_SPLIT: 0
	.section	.text._ZN7rocprim17ROCPRIM_400000_NS6detail17trampoline_kernelINS0_14default_configENS1_36segmented_radix_sort_config_selectorIflEEZNS1_25segmented_radix_sort_implIS3_Lb0EPKfPfPKlPlN2at6native12_GLOBAL__N_18offset_tEEE10hipError_tPvRmT1_PNSt15iterator_traitsISK_E10value_typeET2_T3_PNSL_ISQ_E10value_typeET4_jRbjT5_SW_jjP12ihipStream_tbEUlT_E2_NS1_11comp_targetILNS1_3genE2ELNS1_11target_archE906ELNS1_3gpuE6ELNS1_3repE0EEENS1_30default_config_static_selectorELNS0_4arch9wavefront6targetE1EEEvSK_,"axG",@progbits,_ZN7rocprim17ROCPRIM_400000_NS6detail17trampoline_kernelINS0_14default_configENS1_36segmented_radix_sort_config_selectorIflEEZNS1_25segmented_radix_sort_implIS3_Lb0EPKfPfPKlPlN2at6native12_GLOBAL__N_18offset_tEEE10hipError_tPvRmT1_PNSt15iterator_traitsISK_E10value_typeET2_T3_PNSL_ISQ_E10value_typeET4_jRbjT5_SW_jjP12ihipStream_tbEUlT_E2_NS1_11comp_targetILNS1_3genE2ELNS1_11target_archE906ELNS1_3gpuE6ELNS1_3repE0EEENS1_30default_config_static_selectorELNS0_4arch9wavefront6targetE1EEEvSK_,comdat
	.globl	_ZN7rocprim17ROCPRIM_400000_NS6detail17trampoline_kernelINS0_14default_configENS1_36segmented_radix_sort_config_selectorIflEEZNS1_25segmented_radix_sort_implIS3_Lb0EPKfPfPKlPlN2at6native12_GLOBAL__N_18offset_tEEE10hipError_tPvRmT1_PNSt15iterator_traitsISK_E10value_typeET2_T3_PNSL_ISQ_E10value_typeET4_jRbjT5_SW_jjP12ihipStream_tbEUlT_E2_NS1_11comp_targetILNS1_3genE2ELNS1_11target_archE906ELNS1_3gpuE6ELNS1_3repE0EEENS1_30default_config_static_selectorELNS0_4arch9wavefront6targetE1EEEvSK_ ; -- Begin function _ZN7rocprim17ROCPRIM_400000_NS6detail17trampoline_kernelINS0_14default_configENS1_36segmented_radix_sort_config_selectorIflEEZNS1_25segmented_radix_sort_implIS3_Lb0EPKfPfPKlPlN2at6native12_GLOBAL__N_18offset_tEEE10hipError_tPvRmT1_PNSt15iterator_traitsISK_E10value_typeET2_T3_PNSL_ISQ_E10value_typeET4_jRbjT5_SW_jjP12ihipStream_tbEUlT_E2_NS1_11comp_targetILNS1_3genE2ELNS1_11target_archE906ELNS1_3gpuE6ELNS1_3repE0EEENS1_30default_config_static_selectorELNS0_4arch9wavefront6targetE1EEEvSK_
	.p2align	8
	.type	_ZN7rocprim17ROCPRIM_400000_NS6detail17trampoline_kernelINS0_14default_configENS1_36segmented_radix_sort_config_selectorIflEEZNS1_25segmented_radix_sort_implIS3_Lb0EPKfPfPKlPlN2at6native12_GLOBAL__N_18offset_tEEE10hipError_tPvRmT1_PNSt15iterator_traitsISK_E10value_typeET2_T3_PNSL_ISQ_E10value_typeET4_jRbjT5_SW_jjP12ihipStream_tbEUlT_E2_NS1_11comp_targetILNS1_3genE2ELNS1_11target_archE906ELNS1_3gpuE6ELNS1_3repE0EEENS1_30default_config_static_selectorELNS0_4arch9wavefront6targetE1EEEvSK_,@function
_ZN7rocprim17ROCPRIM_400000_NS6detail17trampoline_kernelINS0_14default_configENS1_36segmented_radix_sort_config_selectorIflEEZNS1_25segmented_radix_sort_implIS3_Lb0EPKfPfPKlPlN2at6native12_GLOBAL__N_18offset_tEEE10hipError_tPvRmT1_PNSt15iterator_traitsISK_E10value_typeET2_T3_PNSL_ISQ_E10value_typeET4_jRbjT5_SW_jjP12ihipStream_tbEUlT_E2_NS1_11comp_targetILNS1_3genE2ELNS1_11target_archE906ELNS1_3gpuE6ELNS1_3repE0EEENS1_30default_config_static_selectorELNS0_4arch9wavefront6targetE1EEEvSK_: ; @_ZN7rocprim17ROCPRIM_400000_NS6detail17trampoline_kernelINS0_14default_configENS1_36segmented_radix_sort_config_selectorIflEEZNS1_25segmented_radix_sort_implIS3_Lb0EPKfPfPKlPlN2at6native12_GLOBAL__N_18offset_tEEE10hipError_tPvRmT1_PNSt15iterator_traitsISK_E10value_typeET2_T3_PNSL_ISQ_E10value_typeET4_jRbjT5_SW_jjP12ihipStream_tbEUlT_E2_NS1_11comp_targetILNS1_3genE2ELNS1_11target_archE906ELNS1_3gpuE6ELNS1_3repE0EEENS1_30default_config_static_selectorELNS0_4arch9wavefront6targetE1EEEvSK_
; %bb.0:
	.section	.rodata,"a",@progbits
	.p2align	6, 0x0
	.amdhsa_kernel _ZN7rocprim17ROCPRIM_400000_NS6detail17trampoline_kernelINS0_14default_configENS1_36segmented_radix_sort_config_selectorIflEEZNS1_25segmented_radix_sort_implIS3_Lb0EPKfPfPKlPlN2at6native12_GLOBAL__N_18offset_tEEE10hipError_tPvRmT1_PNSt15iterator_traitsISK_E10value_typeET2_T3_PNSL_ISQ_E10value_typeET4_jRbjT5_SW_jjP12ihipStream_tbEUlT_E2_NS1_11comp_targetILNS1_3genE2ELNS1_11target_archE906ELNS1_3gpuE6ELNS1_3repE0EEENS1_30default_config_static_selectorELNS0_4arch9wavefront6targetE1EEEvSK_
		.amdhsa_group_segment_fixed_size 0
		.amdhsa_private_segment_fixed_size 0
		.amdhsa_kernarg_size 80
		.amdhsa_user_sgpr_count 6
		.amdhsa_user_sgpr_private_segment_buffer 1
		.amdhsa_user_sgpr_dispatch_ptr 0
		.amdhsa_user_sgpr_queue_ptr 0
		.amdhsa_user_sgpr_kernarg_segment_ptr 1
		.amdhsa_user_sgpr_dispatch_id 0
		.amdhsa_user_sgpr_flat_scratch_init 0
		.amdhsa_user_sgpr_kernarg_preload_length 0
		.amdhsa_user_sgpr_kernarg_preload_offset 0
		.amdhsa_user_sgpr_private_segment_size 0
		.amdhsa_uses_dynamic_stack 0
		.amdhsa_system_sgpr_private_segment_wavefront_offset 0
		.amdhsa_system_sgpr_workgroup_id_x 1
		.amdhsa_system_sgpr_workgroup_id_y 0
		.amdhsa_system_sgpr_workgroup_id_z 0
		.amdhsa_system_sgpr_workgroup_info 0
		.amdhsa_system_vgpr_workitem_id 0
		.amdhsa_next_free_vgpr 1
		.amdhsa_next_free_sgpr 0
		.amdhsa_accum_offset 4
		.amdhsa_reserve_vcc 0
		.amdhsa_reserve_flat_scratch 0
		.amdhsa_float_round_mode_32 0
		.amdhsa_float_round_mode_16_64 0
		.amdhsa_float_denorm_mode_32 3
		.amdhsa_float_denorm_mode_16_64 3
		.amdhsa_dx10_clamp 1
		.amdhsa_ieee_mode 1
		.amdhsa_fp16_overflow 0
		.amdhsa_tg_split 0
		.amdhsa_exception_fp_ieee_invalid_op 0
		.amdhsa_exception_fp_denorm_src 0
		.amdhsa_exception_fp_ieee_div_zero 0
		.amdhsa_exception_fp_ieee_overflow 0
		.amdhsa_exception_fp_ieee_underflow 0
		.amdhsa_exception_fp_ieee_inexact 0
		.amdhsa_exception_int_div_zero 0
	.end_amdhsa_kernel
	.section	.text._ZN7rocprim17ROCPRIM_400000_NS6detail17trampoline_kernelINS0_14default_configENS1_36segmented_radix_sort_config_selectorIflEEZNS1_25segmented_radix_sort_implIS3_Lb0EPKfPfPKlPlN2at6native12_GLOBAL__N_18offset_tEEE10hipError_tPvRmT1_PNSt15iterator_traitsISK_E10value_typeET2_T3_PNSL_ISQ_E10value_typeET4_jRbjT5_SW_jjP12ihipStream_tbEUlT_E2_NS1_11comp_targetILNS1_3genE2ELNS1_11target_archE906ELNS1_3gpuE6ELNS1_3repE0EEENS1_30default_config_static_selectorELNS0_4arch9wavefront6targetE1EEEvSK_,"axG",@progbits,_ZN7rocprim17ROCPRIM_400000_NS6detail17trampoline_kernelINS0_14default_configENS1_36segmented_radix_sort_config_selectorIflEEZNS1_25segmented_radix_sort_implIS3_Lb0EPKfPfPKlPlN2at6native12_GLOBAL__N_18offset_tEEE10hipError_tPvRmT1_PNSt15iterator_traitsISK_E10value_typeET2_T3_PNSL_ISQ_E10value_typeET4_jRbjT5_SW_jjP12ihipStream_tbEUlT_E2_NS1_11comp_targetILNS1_3genE2ELNS1_11target_archE906ELNS1_3gpuE6ELNS1_3repE0EEENS1_30default_config_static_selectorELNS0_4arch9wavefront6targetE1EEEvSK_,comdat
.Lfunc_end1460:
	.size	_ZN7rocprim17ROCPRIM_400000_NS6detail17trampoline_kernelINS0_14default_configENS1_36segmented_radix_sort_config_selectorIflEEZNS1_25segmented_radix_sort_implIS3_Lb0EPKfPfPKlPlN2at6native12_GLOBAL__N_18offset_tEEE10hipError_tPvRmT1_PNSt15iterator_traitsISK_E10value_typeET2_T3_PNSL_ISQ_E10value_typeET4_jRbjT5_SW_jjP12ihipStream_tbEUlT_E2_NS1_11comp_targetILNS1_3genE2ELNS1_11target_archE906ELNS1_3gpuE6ELNS1_3repE0EEENS1_30default_config_static_selectorELNS0_4arch9wavefront6targetE1EEEvSK_, .Lfunc_end1460-_ZN7rocprim17ROCPRIM_400000_NS6detail17trampoline_kernelINS0_14default_configENS1_36segmented_radix_sort_config_selectorIflEEZNS1_25segmented_radix_sort_implIS3_Lb0EPKfPfPKlPlN2at6native12_GLOBAL__N_18offset_tEEE10hipError_tPvRmT1_PNSt15iterator_traitsISK_E10value_typeET2_T3_PNSL_ISQ_E10value_typeET4_jRbjT5_SW_jjP12ihipStream_tbEUlT_E2_NS1_11comp_targetILNS1_3genE2ELNS1_11target_archE906ELNS1_3gpuE6ELNS1_3repE0EEENS1_30default_config_static_selectorELNS0_4arch9wavefront6targetE1EEEvSK_
                                        ; -- End function
	.section	.AMDGPU.csdata,"",@progbits
; Kernel info:
; codeLenInByte = 0
; NumSgprs: 4
; NumVgprs: 0
; NumAgprs: 0
; TotalNumVgprs: 0
; ScratchSize: 0
; MemoryBound: 0
; FloatMode: 240
; IeeeMode: 1
; LDSByteSize: 0 bytes/workgroup (compile time only)
; SGPRBlocks: 0
; VGPRBlocks: 0
; NumSGPRsForWavesPerEU: 4
; NumVGPRsForWavesPerEU: 1
; AccumOffset: 4
; Occupancy: 8
; WaveLimiterHint : 0
; COMPUTE_PGM_RSRC2:SCRATCH_EN: 0
; COMPUTE_PGM_RSRC2:USER_SGPR: 6
; COMPUTE_PGM_RSRC2:TRAP_HANDLER: 0
; COMPUTE_PGM_RSRC2:TGID_X_EN: 1
; COMPUTE_PGM_RSRC2:TGID_Y_EN: 0
; COMPUTE_PGM_RSRC2:TGID_Z_EN: 0
; COMPUTE_PGM_RSRC2:TIDIG_COMP_CNT: 0
; COMPUTE_PGM_RSRC3_GFX90A:ACCUM_OFFSET: 0
; COMPUTE_PGM_RSRC3_GFX90A:TG_SPLIT: 0
	.section	.text._ZN7rocprim17ROCPRIM_400000_NS6detail17trampoline_kernelINS0_14default_configENS1_36segmented_radix_sort_config_selectorIflEEZNS1_25segmented_radix_sort_implIS3_Lb0EPKfPfPKlPlN2at6native12_GLOBAL__N_18offset_tEEE10hipError_tPvRmT1_PNSt15iterator_traitsISK_E10value_typeET2_T3_PNSL_ISQ_E10value_typeET4_jRbjT5_SW_jjP12ihipStream_tbEUlT_E2_NS1_11comp_targetILNS1_3genE10ELNS1_11target_archE1201ELNS1_3gpuE5ELNS1_3repE0EEENS1_30default_config_static_selectorELNS0_4arch9wavefront6targetE1EEEvSK_,"axG",@progbits,_ZN7rocprim17ROCPRIM_400000_NS6detail17trampoline_kernelINS0_14default_configENS1_36segmented_radix_sort_config_selectorIflEEZNS1_25segmented_radix_sort_implIS3_Lb0EPKfPfPKlPlN2at6native12_GLOBAL__N_18offset_tEEE10hipError_tPvRmT1_PNSt15iterator_traitsISK_E10value_typeET2_T3_PNSL_ISQ_E10value_typeET4_jRbjT5_SW_jjP12ihipStream_tbEUlT_E2_NS1_11comp_targetILNS1_3genE10ELNS1_11target_archE1201ELNS1_3gpuE5ELNS1_3repE0EEENS1_30default_config_static_selectorELNS0_4arch9wavefront6targetE1EEEvSK_,comdat
	.globl	_ZN7rocprim17ROCPRIM_400000_NS6detail17trampoline_kernelINS0_14default_configENS1_36segmented_radix_sort_config_selectorIflEEZNS1_25segmented_radix_sort_implIS3_Lb0EPKfPfPKlPlN2at6native12_GLOBAL__N_18offset_tEEE10hipError_tPvRmT1_PNSt15iterator_traitsISK_E10value_typeET2_T3_PNSL_ISQ_E10value_typeET4_jRbjT5_SW_jjP12ihipStream_tbEUlT_E2_NS1_11comp_targetILNS1_3genE10ELNS1_11target_archE1201ELNS1_3gpuE5ELNS1_3repE0EEENS1_30default_config_static_selectorELNS0_4arch9wavefront6targetE1EEEvSK_ ; -- Begin function _ZN7rocprim17ROCPRIM_400000_NS6detail17trampoline_kernelINS0_14default_configENS1_36segmented_radix_sort_config_selectorIflEEZNS1_25segmented_radix_sort_implIS3_Lb0EPKfPfPKlPlN2at6native12_GLOBAL__N_18offset_tEEE10hipError_tPvRmT1_PNSt15iterator_traitsISK_E10value_typeET2_T3_PNSL_ISQ_E10value_typeET4_jRbjT5_SW_jjP12ihipStream_tbEUlT_E2_NS1_11comp_targetILNS1_3genE10ELNS1_11target_archE1201ELNS1_3gpuE5ELNS1_3repE0EEENS1_30default_config_static_selectorELNS0_4arch9wavefront6targetE1EEEvSK_
	.p2align	8
	.type	_ZN7rocprim17ROCPRIM_400000_NS6detail17trampoline_kernelINS0_14default_configENS1_36segmented_radix_sort_config_selectorIflEEZNS1_25segmented_radix_sort_implIS3_Lb0EPKfPfPKlPlN2at6native12_GLOBAL__N_18offset_tEEE10hipError_tPvRmT1_PNSt15iterator_traitsISK_E10value_typeET2_T3_PNSL_ISQ_E10value_typeET4_jRbjT5_SW_jjP12ihipStream_tbEUlT_E2_NS1_11comp_targetILNS1_3genE10ELNS1_11target_archE1201ELNS1_3gpuE5ELNS1_3repE0EEENS1_30default_config_static_selectorELNS0_4arch9wavefront6targetE1EEEvSK_,@function
_ZN7rocprim17ROCPRIM_400000_NS6detail17trampoline_kernelINS0_14default_configENS1_36segmented_radix_sort_config_selectorIflEEZNS1_25segmented_radix_sort_implIS3_Lb0EPKfPfPKlPlN2at6native12_GLOBAL__N_18offset_tEEE10hipError_tPvRmT1_PNSt15iterator_traitsISK_E10value_typeET2_T3_PNSL_ISQ_E10value_typeET4_jRbjT5_SW_jjP12ihipStream_tbEUlT_E2_NS1_11comp_targetILNS1_3genE10ELNS1_11target_archE1201ELNS1_3gpuE5ELNS1_3repE0EEENS1_30default_config_static_selectorELNS0_4arch9wavefront6targetE1EEEvSK_: ; @_ZN7rocprim17ROCPRIM_400000_NS6detail17trampoline_kernelINS0_14default_configENS1_36segmented_radix_sort_config_selectorIflEEZNS1_25segmented_radix_sort_implIS3_Lb0EPKfPfPKlPlN2at6native12_GLOBAL__N_18offset_tEEE10hipError_tPvRmT1_PNSt15iterator_traitsISK_E10value_typeET2_T3_PNSL_ISQ_E10value_typeET4_jRbjT5_SW_jjP12ihipStream_tbEUlT_E2_NS1_11comp_targetILNS1_3genE10ELNS1_11target_archE1201ELNS1_3gpuE5ELNS1_3repE0EEENS1_30default_config_static_selectorELNS0_4arch9wavefront6targetE1EEEvSK_
; %bb.0:
	.section	.rodata,"a",@progbits
	.p2align	6, 0x0
	.amdhsa_kernel _ZN7rocprim17ROCPRIM_400000_NS6detail17trampoline_kernelINS0_14default_configENS1_36segmented_radix_sort_config_selectorIflEEZNS1_25segmented_radix_sort_implIS3_Lb0EPKfPfPKlPlN2at6native12_GLOBAL__N_18offset_tEEE10hipError_tPvRmT1_PNSt15iterator_traitsISK_E10value_typeET2_T3_PNSL_ISQ_E10value_typeET4_jRbjT5_SW_jjP12ihipStream_tbEUlT_E2_NS1_11comp_targetILNS1_3genE10ELNS1_11target_archE1201ELNS1_3gpuE5ELNS1_3repE0EEENS1_30default_config_static_selectorELNS0_4arch9wavefront6targetE1EEEvSK_
		.amdhsa_group_segment_fixed_size 0
		.amdhsa_private_segment_fixed_size 0
		.amdhsa_kernarg_size 80
		.amdhsa_user_sgpr_count 6
		.amdhsa_user_sgpr_private_segment_buffer 1
		.amdhsa_user_sgpr_dispatch_ptr 0
		.amdhsa_user_sgpr_queue_ptr 0
		.amdhsa_user_sgpr_kernarg_segment_ptr 1
		.amdhsa_user_sgpr_dispatch_id 0
		.amdhsa_user_sgpr_flat_scratch_init 0
		.amdhsa_user_sgpr_kernarg_preload_length 0
		.amdhsa_user_sgpr_kernarg_preload_offset 0
		.amdhsa_user_sgpr_private_segment_size 0
		.amdhsa_uses_dynamic_stack 0
		.amdhsa_system_sgpr_private_segment_wavefront_offset 0
		.amdhsa_system_sgpr_workgroup_id_x 1
		.amdhsa_system_sgpr_workgroup_id_y 0
		.amdhsa_system_sgpr_workgroup_id_z 0
		.amdhsa_system_sgpr_workgroup_info 0
		.amdhsa_system_vgpr_workitem_id 0
		.amdhsa_next_free_vgpr 1
		.amdhsa_next_free_sgpr 0
		.amdhsa_accum_offset 4
		.amdhsa_reserve_vcc 0
		.amdhsa_reserve_flat_scratch 0
		.amdhsa_float_round_mode_32 0
		.amdhsa_float_round_mode_16_64 0
		.amdhsa_float_denorm_mode_32 3
		.amdhsa_float_denorm_mode_16_64 3
		.amdhsa_dx10_clamp 1
		.amdhsa_ieee_mode 1
		.amdhsa_fp16_overflow 0
		.amdhsa_tg_split 0
		.amdhsa_exception_fp_ieee_invalid_op 0
		.amdhsa_exception_fp_denorm_src 0
		.amdhsa_exception_fp_ieee_div_zero 0
		.amdhsa_exception_fp_ieee_overflow 0
		.amdhsa_exception_fp_ieee_underflow 0
		.amdhsa_exception_fp_ieee_inexact 0
		.amdhsa_exception_int_div_zero 0
	.end_amdhsa_kernel
	.section	.text._ZN7rocprim17ROCPRIM_400000_NS6detail17trampoline_kernelINS0_14default_configENS1_36segmented_radix_sort_config_selectorIflEEZNS1_25segmented_radix_sort_implIS3_Lb0EPKfPfPKlPlN2at6native12_GLOBAL__N_18offset_tEEE10hipError_tPvRmT1_PNSt15iterator_traitsISK_E10value_typeET2_T3_PNSL_ISQ_E10value_typeET4_jRbjT5_SW_jjP12ihipStream_tbEUlT_E2_NS1_11comp_targetILNS1_3genE10ELNS1_11target_archE1201ELNS1_3gpuE5ELNS1_3repE0EEENS1_30default_config_static_selectorELNS0_4arch9wavefront6targetE1EEEvSK_,"axG",@progbits,_ZN7rocprim17ROCPRIM_400000_NS6detail17trampoline_kernelINS0_14default_configENS1_36segmented_radix_sort_config_selectorIflEEZNS1_25segmented_radix_sort_implIS3_Lb0EPKfPfPKlPlN2at6native12_GLOBAL__N_18offset_tEEE10hipError_tPvRmT1_PNSt15iterator_traitsISK_E10value_typeET2_T3_PNSL_ISQ_E10value_typeET4_jRbjT5_SW_jjP12ihipStream_tbEUlT_E2_NS1_11comp_targetILNS1_3genE10ELNS1_11target_archE1201ELNS1_3gpuE5ELNS1_3repE0EEENS1_30default_config_static_selectorELNS0_4arch9wavefront6targetE1EEEvSK_,comdat
.Lfunc_end1461:
	.size	_ZN7rocprim17ROCPRIM_400000_NS6detail17trampoline_kernelINS0_14default_configENS1_36segmented_radix_sort_config_selectorIflEEZNS1_25segmented_radix_sort_implIS3_Lb0EPKfPfPKlPlN2at6native12_GLOBAL__N_18offset_tEEE10hipError_tPvRmT1_PNSt15iterator_traitsISK_E10value_typeET2_T3_PNSL_ISQ_E10value_typeET4_jRbjT5_SW_jjP12ihipStream_tbEUlT_E2_NS1_11comp_targetILNS1_3genE10ELNS1_11target_archE1201ELNS1_3gpuE5ELNS1_3repE0EEENS1_30default_config_static_selectorELNS0_4arch9wavefront6targetE1EEEvSK_, .Lfunc_end1461-_ZN7rocprim17ROCPRIM_400000_NS6detail17trampoline_kernelINS0_14default_configENS1_36segmented_radix_sort_config_selectorIflEEZNS1_25segmented_radix_sort_implIS3_Lb0EPKfPfPKlPlN2at6native12_GLOBAL__N_18offset_tEEE10hipError_tPvRmT1_PNSt15iterator_traitsISK_E10value_typeET2_T3_PNSL_ISQ_E10value_typeET4_jRbjT5_SW_jjP12ihipStream_tbEUlT_E2_NS1_11comp_targetILNS1_3genE10ELNS1_11target_archE1201ELNS1_3gpuE5ELNS1_3repE0EEENS1_30default_config_static_selectorELNS0_4arch9wavefront6targetE1EEEvSK_
                                        ; -- End function
	.section	.AMDGPU.csdata,"",@progbits
; Kernel info:
; codeLenInByte = 0
; NumSgprs: 4
; NumVgprs: 0
; NumAgprs: 0
; TotalNumVgprs: 0
; ScratchSize: 0
; MemoryBound: 0
; FloatMode: 240
; IeeeMode: 1
; LDSByteSize: 0 bytes/workgroup (compile time only)
; SGPRBlocks: 0
; VGPRBlocks: 0
; NumSGPRsForWavesPerEU: 4
; NumVGPRsForWavesPerEU: 1
; AccumOffset: 4
; Occupancy: 8
; WaveLimiterHint : 0
; COMPUTE_PGM_RSRC2:SCRATCH_EN: 0
; COMPUTE_PGM_RSRC2:USER_SGPR: 6
; COMPUTE_PGM_RSRC2:TRAP_HANDLER: 0
; COMPUTE_PGM_RSRC2:TGID_X_EN: 1
; COMPUTE_PGM_RSRC2:TGID_Y_EN: 0
; COMPUTE_PGM_RSRC2:TGID_Z_EN: 0
; COMPUTE_PGM_RSRC2:TIDIG_COMP_CNT: 0
; COMPUTE_PGM_RSRC3_GFX90A:ACCUM_OFFSET: 0
; COMPUTE_PGM_RSRC3_GFX90A:TG_SPLIT: 0
	.section	.text._ZN7rocprim17ROCPRIM_400000_NS6detail17trampoline_kernelINS0_14default_configENS1_36segmented_radix_sort_config_selectorIflEEZNS1_25segmented_radix_sort_implIS3_Lb0EPKfPfPKlPlN2at6native12_GLOBAL__N_18offset_tEEE10hipError_tPvRmT1_PNSt15iterator_traitsISK_E10value_typeET2_T3_PNSL_ISQ_E10value_typeET4_jRbjT5_SW_jjP12ihipStream_tbEUlT_E2_NS1_11comp_targetILNS1_3genE10ELNS1_11target_archE1200ELNS1_3gpuE4ELNS1_3repE0EEENS1_30default_config_static_selectorELNS0_4arch9wavefront6targetE1EEEvSK_,"axG",@progbits,_ZN7rocprim17ROCPRIM_400000_NS6detail17trampoline_kernelINS0_14default_configENS1_36segmented_radix_sort_config_selectorIflEEZNS1_25segmented_radix_sort_implIS3_Lb0EPKfPfPKlPlN2at6native12_GLOBAL__N_18offset_tEEE10hipError_tPvRmT1_PNSt15iterator_traitsISK_E10value_typeET2_T3_PNSL_ISQ_E10value_typeET4_jRbjT5_SW_jjP12ihipStream_tbEUlT_E2_NS1_11comp_targetILNS1_3genE10ELNS1_11target_archE1200ELNS1_3gpuE4ELNS1_3repE0EEENS1_30default_config_static_selectorELNS0_4arch9wavefront6targetE1EEEvSK_,comdat
	.globl	_ZN7rocprim17ROCPRIM_400000_NS6detail17trampoline_kernelINS0_14default_configENS1_36segmented_radix_sort_config_selectorIflEEZNS1_25segmented_radix_sort_implIS3_Lb0EPKfPfPKlPlN2at6native12_GLOBAL__N_18offset_tEEE10hipError_tPvRmT1_PNSt15iterator_traitsISK_E10value_typeET2_T3_PNSL_ISQ_E10value_typeET4_jRbjT5_SW_jjP12ihipStream_tbEUlT_E2_NS1_11comp_targetILNS1_3genE10ELNS1_11target_archE1200ELNS1_3gpuE4ELNS1_3repE0EEENS1_30default_config_static_selectorELNS0_4arch9wavefront6targetE1EEEvSK_ ; -- Begin function _ZN7rocprim17ROCPRIM_400000_NS6detail17trampoline_kernelINS0_14default_configENS1_36segmented_radix_sort_config_selectorIflEEZNS1_25segmented_radix_sort_implIS3_Lb0EPKfPfPKlPlN2at6native12_GLOBAL__N_18offset_tEEE10hipError_tPvRmT1_PNSt15iterator_traitsISK_E10value_typeET2_T3_PNSL_ISQ_E10value_typeET4_jRbjT5_SW_jjP12ihipStream_tbEUlT_E2_NS1_11comp_targetILNS1_3genE10ELNS1_11target_archE1200ELNS1_3gpuE4ELNS1_3repE0EEENS1_30default_config_static_selectorELNS0_4arch9wavefront6targetE1EEEvSK_
	.p2align	8
	.type	_ZN7rocprim17ROCPRIM_400000_NS6detail17trampoline_kernelINS0_14default_configENS1_36segmented_radix_sort_config_selectorIflEEZNS1_25segmented_radix_sort_implIS3_Lb0EPKfPfPKlPlN2at6native12_GLOBAL__N_18offset_tEEE10hipError_tPvRmT1_PNSt15iterator_traitsISK_E10value_typeET2_T3_PNSL_ISQ_E10value_typeET4_jRbjT5_SW_jjP12ihipStream_tbEUlT_E2_NS1_11comp_targetILNS1_3genE10ELNS1_11target_archE1200ELNS1_3gpuE4ELNS1_3repE0EEENS1_30default_config_static_selectorELNS0_4arch9wavefront6targetE1EEEvSK_,@function
_ZN7rocprim17ROCPRIM_400000_NS6detail17trampoline_kernelINS0_14default_configENS1_36segmented_radix_sort_config_selectorIflEEZNS1_25segmented_radix_sort_implIS3_Lb0EPKfPfPKlPlN2at6native12_GLOBAL__N_18offset_tEEE10hipError_tPvRmT1_PNSt15iterator_traitsISK_E10value_typeET2_T3_PNSL_ISQ_E10value_typeET4_jRbjT5_SW_jjP12ihipStream_tbEUlT_E2_NS1_11comp_targetILNS1_3genE10ELNS1_11target_archE1200ELNS1_3gpuE4ELNS1_3repE0EEENS1_30default_config_static_selectorELNS0_4arch9wavefront6targetE1EEEvSK_: ; @_ZN7rocprim17ROCPRIM_400000_NS6detail17trampoline_kernelINS0_14default_configENS1_36segmented_radix_sort_config_selectorIflEEZNS1_25segmented_radix_sort_implIS3_Lb0EPKfPfPKlPlN2at6native12_GLOBAL__N_18offset_tEEE10hipError_tPvRmT1_PNSt15iterator_traitsISK_E10value_typeET2_T3_PNSL_ISQ_E10value_typeET4_jRbjT5_SW_jjP12ihipStream_tbEUlT_E2_NS1_11comp_targetILNS1_3genE10ELNS1_11target_archE1200ELNS1_3gpuE4ELNS1_3repE0EEENS1_30default_config_static_selectorELNS0_4arch9wavefront6targetE1EEEvSK_
; %bb.0:
	.section	.rodata,"a",@progbits
	.p2align	6, 0x0
	.amdhsa_kernel _ZN7rocprim17ROCPRIM_400000_NS6detail17trampoline_kernelINS0_14default_configENS1_36segmented_radix_sort_config_selectorIflEEZNS1_25segmented_radix_sort_implIS3_Lb0EPKfPfPKlPlN2at6native12_GLOBAL__N_18offset_tEEE10hipError_tPvRmT1_PNSt15iterator_traitsISK_E10value_typeET2_T3_PNSL_ISQ_E10value_typeET4_jRbjT5_SW_jjP12ihipStream_tbEUlT_E2_NS1_11comp_targetILNS1_3genE10ELNS1_11target_archE1200ELNS1_3gpuE4ELNS1_3repE0EEENS1_30default_config_static_selectorELNS0_4arch9wavefront6targetE1EEEvSK_
		.amdhsa_group_segment_fixed_size 0
		.amdhsa_private_segment_fixed_size 0
		.amdhsa_kernarg_size 80
		.amdhsa_user_sgpr_count 6
		.amdhsa_user_sgpr_private_segment_buffer 1
		.amdhsa_user_sgpr_dispatch_ptr 0
		.amdhsa_user_sgpr_queue_ptr 0
		.amdhsa_user_sgpr_kernarg_segment_ptr 1
		.amdhsa_user_sgpr_dispatch_id 0
		.amdhsa_user_sgpr_flat_scratch_init 0
		.amdhsa_user_sgpr_kernarg_preload_length 0
		.amdhsa_user_sgpr_kernarg_preload_offset 0
		.amdhsa_user_sgpr_private_segment_size 0
		.amdhsa_uses_dynamic_stack 0
		.amdhsa_system_sgpr_private_segment_wavefront_offset 0
		.amdhsa_system_sgpr_workgroup_id_x 1
		.amdhsa_system_sgpr_workgroup_id_y 0
		.amdhsa_system_sgpr_workgroup_id_z 0
		.amdhsa_system_sgpr_workgroup_info 0
		.amdhsa_system_vgpr_workitem_id 0
		.amdhsa_next_free_vgpr 1
		.amdhsa_next_free_sgpr 0
		.amdhsa_accum_offset 4
		.amdhsa_reserve_vcc 0
		.amdhsa_reserve_flat_scratch 0
		.amdhsa_float_round_mode_32 0
		.amdhsa_float_round_mode_16_64 0
		.amdhsa_float_denorm_mode_32 3
		.amdhsa_float_denorm_mode_16_64 3
		.amdhsa_dx10_clamp 1
		.amdhsa_ieee_mode 1
		.amdhsa_fp16_overflow 0
		.amdhsa_tg_split 0
		.amdhsa_exception_fp_ieee_invalid_op 0
		.amdhsa_exception_fp_denorm_src 0
		.amdhsa_exception_fp_ieee_div_zero 0
		.amdhsa_exception_fp_ieee_overflow 0
		.amdhsa_exception_fp_ieee_underflow 0
		.amdhsa_exception_fp_ieee_inexact 0
		.amdhsa_exception_int_div_zero 0
	.end_amdhsa_kernel
	.section	.text._ZN7rocprim17ROCPRIM_400000_NS6detail17trampoline_kernelINS0_14default_configENS1_36segmented_radix_sort_config_selectorIflEEZNS1_25segmented_radix_sort_implIS3_Lb0EPKfPfPKlPlN2at6native12_GLOBAL__N_18offset_tEEE10hipError_tPvRmT1_PNSt15iterator_traitsISK_E10value_typeET2_T3_PNSL_ISQ_E10value_typeET4_jRbjT5_SW_jjP12ihipStream_tbEUlT_E2_NS1_11comp_targetILNS1_3genE10ELNS1_11target_archE1200ELNS1_3gpuE4ELNS1_3repE0EEENS1_30default_config_static_selectorELNS0_4arch9wavefront6targetE1EEEvSK_,"axG",@progbits,_ZN7rocprim17ROCPRIM_400000_NS6detail17trampoline_kernelINS0_14default_configENS1_36segmented_radix_sort_config_selectorIflEEZNS1_25segmented_radix_sort_implIS3_Lb0EPKfPfPKlPlN2at6native12_GLOBAL__N_18offset_tEEE10hipError_tPvRmT1_PNSt15iterator_traitsISK_E10value_typeET2_T3_PNSL_ISQ_E10value_typeET4_jRbjT5_SW_jjP12ihipStream_tbEUlT_E2_NS1_11comp_targetILNS1_3genE10ELNS1_11target_archE1200ELNS1_3gpuE4ELNS1_3repE0EEENS1_30default_config_static_selectorELNS0_4arch9wavefront6targetE1EEEvSK_,comdat
.Lfunc_end1462:
	.size	_ZN7rocprim17ROCPRIM_400000_NS6detail17trampoline_kernelINS0_14default_configENS1_36segmented_radix_sort_config_selectorIflEEZNS1_25segmented_radix_sort_implIS3_Lb0EPKfPfPKlPlN2at6native12_GLOBAL__N_18offset_tEEE10hipError_tPvRmT1_PNSt15iterator_traitsISK_E10value_typeET2_T3_PNSL_ISQ_E10value_typeET4_jRbjT5_SW_jjP12ihipStream_tbEUlT_E2_NS1_11comp_targetILNS1_3genE10ELNS1_11target_archE1200ELNS1_3gpuE4ELNS1_3repE0EEENS1_30default_config_static_selectorELNS0_4arch9wavefront6targetE1EEEvSK_, .Lfunc_end1462-_ZN7rocprim17ROCPRIM_400000_NS6detail17trampoline_kernelINS0_14default_configENS1_36segmented_radix_sort_config_selectorIflEEZNS1_25segmented_radix_sort_implIS3_Lb0EPKfPfPKlPlN2at6native12_GLOBAL__N_18offset_tEEE10hipError_tPvRmT1_PNSt15iterator_traitsISK_E10value_typeET2_T3_PNSL_ISQ_E10value_typeET4_jRbjT5_SW_jjP12ihipStream_tbEUlT_E2_NS1_11comp_targetILNS1_3genE10ELNS1_11target_archE1200ELNS1_3gpuE4ELNS1_3repE0EEENS1_30default_config_static_selectorELNS0_4arch9wavefront6targetE1EEEvSK_
                                        ; -- End function
	.section	.AMDGPU.csdata,"",@progbits
; Kernel info:
; codeLenInByte = 0
; NumSgprs: 4
; NumVgprs: 0
; NumAgprs: 0
; TotalNumVgprs: 0
; ScratchSize: 0
; MemoryBound: 0
; FloatMode: 240
; IeeeMode: 1
; LDSByteSize: 0 bytes/workgroup (compile time only)
; SGPRBlocks: 0
; VGPRBlocks: 0
; NumSGPRsForWavesPerEU: 4
; NumVGPRsForWavesPerEU: 1
; AccumOffset: 4
; Occupancy: 8
; WaveLimiterHint : 0
; COMPUTE_PGM_RSRC2:SCRATCH_EN: 0
; COMPUTE_PGM_RSRC2:USER_SGPR: 6
; COMPUTE_PGM_RSRC2:TRAP_HANDLER: 0
; COMPUTE_PGM_RSRC2:TGID_X_EN: 1
; COMPUTE_PGM_RSRC2:TGID_Y_EN: 0
; COMPUTE_PGM_RSRC2:TGID_Z_EN: 0
; COMPUTE_PGM_RSRC2:TIDIG_COMP_CNT: 0
; COMPUTE_PGM_RSRC3_GFX90A:ACCUM_OFFSET: 0
; COMPUTE_PGM_RSRC3_GFX90A:TG_SPLIT: 0
	.section	.text._ZN7rocprim17ROCPRIM_400000_NS6detail17trampoline_kernelINS0_14default_configENS1_36segmented_radix_sort_config_selectorIflEEZNS1_25segmented_radix_sort_implIS3_Lb0EPKfPfPKlPlN2at6native12_GLOBAL__N_18offset_tEEE10hipError_tPvRmT1_PNSt15iterator_traitsISK_E10value_typeET2_T3_PNSL_ISQ_E10value_typeET4_jRbjT5_SW_jjP12ihipStream_tbEUlT_E2_NS1_11comp_targetILNS1_3genE9ELNS1_11target_archE1100ELNS1_3gpuE3ELNS1_3repE0EEENS1_30default_config_static_selectorELNS0_4arch9wavefront6targetE1EEEvSK_,"axG",@progbits,_ZN7rocprim17ROCPRIM_400000_NS6detail17trampoline_kernelINS0_14default_configENS1_36segmented_radix_sort_config_selectorIflEEZNS1_25segmented_radix_sort_implIS3_Lb0EPKfPfPKlPlN2at6native12_GLOBAL__N_18offset_tEEE10hipError_tPvRmT1_PNSt15iterator_traitsISK_E10value_typeET2_T3_PNSL_ISQ_E10value_typeET4_jRbjT5_SW_jjP12ihipStream_tbEUlT_E2_NS1_11comp_targetILNS1_3genE9ELNS1_11target_archE1100ELNS1_3gpuE3ELNS1_3repE0EEENS1_30default_config_static_selectorELNS0_4arch9wavefront6targetE1EEEvSK_,comdat
	.globl	_ZN7rocprim17ROCPRIM_400000_NS6detail17trampoline_kernelINS0_14default_configENS1_36segmented_radix_sort_config_selectorIflEEZNS1_25segmented_radix_sort_implIS3_Lb0EPKfPfPKlPlN2at6native12_GLOBAL__N_18offset_tEEE10hipError_tPvRmT1_PNSt15iterator_traitsISK_E10value_typeET2_T3_PNSL_ISQ_E10value_typeET4_jRbjT5_SW_jjP12ihipStream_tbEUlT_E2_NS1_11comp_targetILNS1_3genE9ELNS1_11target_archE1100ELNS1_3gpuE3ELNS1_3repE0EEENS1_30default_config_static_selectorELNS0_4arch9wavefront6targetE1EEEvSK_ ; -- Begin function _ZN7rocprim17ROCPRIM_400000_NS6detail17trampoline_kernelINS0_14default_configENS1_36segmented_radix_sort_config_selectorIflEEZNS1_25segmented_radix_sort_implIS3_Lb0EPKfPfPKlPlN2at6native12_GLOBAL__N_18offset_tEEE10hipError_tPvRmT1_PNSt15iterator_traitsISK_E10value_typeET2_T3_PNSL_ISQ_E10value_typeET4_jRbjT5_SW_jjP12ihipStream_tbEUlT_E2_NS1_11comp_targetILNS1_3genE9ELNS1_11target_archE1100ELNS1_3gpuE3ELNS1_3repE0EEENS1_30default_config_static_selectorELNS0_4arch9wavefront6targetE1EEEvSK_
	.p2align	8
	.type	_ZN7rocprim17ROCPRIM_400000_NS6detail17trampoline_kernelINS0_14default_configENS1_36segmented_radix_sort_config_selectorIflEEZNS1_25segmented_radix_sort_implIS3_Lb0EPKfPfPKlPlN2at6native12_GLOBAL__N_18offset_tEEE10hipError_tPvRmT1_PNSt15iterator_traitsISK_E10value_typeET2_T3_PNSL_ISQ_E10value_typeET4_jRbjT5_SW_jjP12ihipStream_tbEUlT_E2_NS1_11comp_targetILNS1_3genE9ELNS1_11target_archE1100ELNS1_3gpuE3ELNS1_3repE0EEENS1_30default_config_static_selectorELNS0_4arch9wavefront6targetE1EEEvSK_,@function
_ZN7rocprim17ROCPRIM_400000_NS6detail17trampoline_kernelINS0_14default_configENS1_36segmented_radix_sort_config_selectorIflEEZNS1_25segmented_radix_sort_implIS3_Lb0EPKfPfPKlPlN2at6native12_GLOBAL__N_18offset_tEEE10hipError_tPvRmT1_PNSt15iterator_traitsISK_E10value_typeET2_T3_PNSL_ISQ_E10value_typeET4_jRbjT5_SW_jjP12ihipStream_tbEUlT_E2_NS1_11comp_targetILNS1_3genE9ELNS1_11target_archE1100ELNS1_3gpuE3ELNS1_3repE0EEENS1_30default_config_static_selectorELNS0_4arch9wavefront6targetE1EEEvSK_: ; @_ZN7rocprim17ROCPRIM_400000_NS6detail17trampoline_kernelINS0_14default_configENS1_36segmented_radix_sort_config_selectorIflEEZNS1_25segmented_radix_sort_implIS3_Lb0EPKfPfPKlPlN2at6native12_GLOBAL__N_18offset_tEEE10hipError_tPvRmT1_PNSt15iterator_traitsISK_E10value_typeET2_T3_PNSL_ISQ_E10value_typeET4_jRbjT5_SW_jjP12ihipStream_tbEUlT_E2_NS1_11comp_targetILNS1_3genE9ELNS1_11target_archE1100ELNS1_3gpuE3ELNS1_3repE0EEENS1_30default_config_static_selectorELNS0_4arch9wavefront6targetE1EEEvSK_
; %bb.0:
	.section	.rodata,"a",@progbits
	.p2align	6, 0x0
	.amdhsa_kernel _ZN7rocprim17ROCPRIM_400000_NS6detail17trampoline_kernelINS0_14default_configENS1_36segmented_radix_sort_config_selectorIflEEZNS1_25segmented_radix_sort_implIS3_Lb0EPKfPfPKlPlN2at6native12_GLOBAL__N_18offset_tEEE10hipError_tPvRmT1_PNSt15iterator_traitsISK_E10value_typeET2_T3_PNSL_ISQ_E10value_typeET4_jRbjT5_SW_jjP12ihipStream_tbEUlT_E2_NS1_11comp_targetILNS1_3genE9ELNS1_11target_archE1100ELNS1_3gpuE3ELNS1_3repE0EEENS1_30default_config_static_selectorELNS0_4arch9wavefront6targetE1EEEvSK_
		.amdhsa_group_segment_fixed_size 0
		.amdhsa_private_segment_fixed_size 0
		.amdhsa_kernarg_size 80
		.amdhsa_user_sgpr_count 6
		.amdhsa_user_sgpr_private_segment_buffer 1
		.amdhsa_user_sgpr_dispatch_ptr 0
		.amdhsa_user_sgpr_queue_ptr 0
		.amdhsa_user_sgpr_kernarg_segment_ptr 1
		.amdhsa_user_sgpr_dispatch_id 0
		.amdhsa_user_sgpr_flat_scratch_init 0
		.amdhsa_user_sgpr_kernarg_preload_length 0
		.amdhsa_user_sgpr_kernarg_preload_offset 0
		.amdhsa_user_sgpr_private_segment_size 0
		.amdhsa_uses_dynamic_stack 0
		.amdhsa_system_sgpr_private_segment_wavefront_offset 0
		.amdhsa_system_sgpr_workgroup_id_x 1
		.amdhsa_system_sgpr_workgroup_id_y 0
		.amdhsa_system_sgpr_workgroup_id_z 0
		.amdhsa_system_sgpr_workgroup_info 0
		.amdhsa_system_vgpr_workitem_id 0
		.amdhsa_next_free_vgpr 1
		.amdhsa_next_free_sgpr 0
		.amdhsa_accum_offset 4
		.amdhsa_reserve_vcc 0
		.amdhsa_reserve_flat_scratch 0
		.amdhsa_float_round_mode_32 0
		.amdhsa_float_round_mode_16_64 0
		.amdhsa_float_denorm_mode_32 3
		.amdhsa_float_denorm_mode_16_64 3
		.amdhsa_dx10_clamp 1
		.amdhsa_ieee_mode 1
		.amdhsa_fp16_overflow 0
		.amdhsa_tg_split 0
		.amdhsa_exception_fp_ieee_invalid_op 0
		.amdhsa_exception_fp_denorm_src 0
		.amdhsa_exception_fp_ieee_div_zero 0
		.amdhsa_exception_fp_ieee_overflow 0
		.amdhsa_exception_fp_ieee_underflow 0
		.amdhsa_exception_fp_ieee_inexact 0
		.amdhsa_exception_int_div_zero 0
	.end_amdhsa_kernel
	.section	.text._ZN7rocprim17ROCPRIM_400000_NS6detail17trampoline_kernelINS0_14default_configENS1_36segmented_radix_sort_config_selectorIflEEZNS1_25segmented_radix_sort_implIS3_Lb0EPKfPfPKlPlN2at6native12_GLOBAL__N_18offset_tEEE10hipError_tPvRmT1_PNSt15iterator_traitsISK_E10value_typeET2_T3_PNSL_ISQ_E10value_typeET4_jRbjT5_SW_jjP12ihipStream_tbEUlT_E2_NS1_11comp_targetILNS1_3genE9ELNS1_11target_archE1100ELNS1_3gpuE3ELNS1_3repE0EEENS1_30default_config_static_selectorELNS0_4arch9wavefront6targetE1EEEvSK_,"axG",@progbits,_ZN7rocprim17ROCPRIM_400000_NS6detail17trampoline_kernelINS0_14default_configENS1_36segmented_radix_sort_config_selectorIflEEZNS1_25segmented_radix_sort_implIS3_Lb0EPKfPfPKlPlN2at6native12_GLOBAL__N_18offset_tEEE10hipError_tPvRmT1_PNSt15iterator_traitsISK_E10value_typeET2_T3_PNSL_ISQ_E10value_typeET4_jRbjT5_SW_jjP12ihipStream_tbEUlT_E2_NS1_11comp_targetILNS1_3genE9ELNS1_11target_archE1100ELNS1_3gpuE3ELNS1_3repE0EEENS1_30default_config_static_selectorELNS0_4arch9wavefront6targetE1EEEvSK_,comdat
.Lfunc_end1463:
	.size	_ZN7rocprim17ROCPRIM_400000_NS6detail17trampoline_kernelINS0_14default_configENS1_36segmented_radix_sort_config_selectorIflEEZNS1_25segmented_radix_sort_implIS3_Lb0EPKfPfPKlPlN2at6native12_GLOBAL__N_18offset_tEEE10hipError_tPvRmT1_PNSt15iterator_traitsISK_E10value_typeET2_T3_PNSL_ISQ_E10value_typeET4_jRbjT5_SW_jjP12ihipStream_tbEUlT_E2_NS1_11comp_targetILNS1_3genE9ELNS1_11target_archE1100ELNS1_3gpuE3ELNS1_3repE0EEENS1_30default_config_static_selectorELNS0_4arch9wavefront6targetE1EEEvSK_, .Lfunc_end1463-_ZN7rocprim17ROCPRIM_400000_NS6detail17trampoline_kernelINS0_14default_configENS1_36segmented_radix_sort_config_selectorIflEEZNS1_25segmented_radix_sort_implIS3_Lb0EPKfPfPKlPlN2at6native12_GLOBAL__N_18offset_tEEE10hipError_tPvRmT1_PNSt15iterator_traitsISK_E10value_typeET2_T3_PNSL_ISQ_E10value_typeET4_jRbjT5_SW_jjP12ihipStream_tbEUlT_E2_NS1_11comp_targetILNS1_3genE9ELNS1_11target_archE1100ELNS1_3gpuE3ELNS1_3repE0EEENS1_30default_config_static_selectorELNS0_4arch9wavefront6targetE1EEEvSK_
                                        ; -- End function
	.section	.AMDGPU.csdata,"",@progbits
; Kernel info:
; codeLenInByte = 0
; NumSgprs: 4
; NumVgprs: 0
; NumAgprs: 0
; TotalNumVgprs: 0
; ScratchSize: 0
; MemoryBound: 0
; FloatMode: 240
; IeeeMode: 1
; LDSByteSize: 0 bytes/workgroup (compile time only)
; SGPRBlocks: 0
; VGPRBlocks: 0
; NumSGPRsForWavesPerEU: 4
; NumVGPRsForWavesPerEU: 1
; AccumOffset: 4
; Occupancy: 8
; WaveLimiterHint : 0
; COMPUTE_PGM_RSRC2:SCRATCH_EN: 0
; COMPUTE_PGM_RSRC2:USER_SGPR: 6
; COMPUTE_PGM_RSRC2:TRAP_HANDLER: 0
; COMPUTE_PGM_RSRC2:TGID_X_EN: 1
; COMPUTE_PGM_RSRC2:TGID_Y_EN: 0
; COMPUTE_PGM_RSRC2:TGID_Z_EN: 0
; COMPUTE_PGM_RSRC2:TIDIG_COMP_CNT: 0
; COMPUTE_PGM_RSRC3_GFX90A:ACCUM_OFFSET: 0
; COMPUTE_PGM_RSRC3_GFX90A:TG_SPLIT: 0
	.section	.text._ZN7rocprim17ROCPRIM_400000_NS6detail17trampoline_kernelINS0_14default_configENS1_36segmented_radix_sort_config_selectorIflEEZNS1_25segmented_radix_sort_implIS3_Lb0EPKfPfPKlPlN2at6native12_GLOBAL__N_18offset_tEEE10hipError_tPvRmT1_PNSt15iterator_traitsISK_E10value_typeET2_T3_PNSL_ISQ_E10value_typeET4_jRbjT5_SW_jjP12ihipStream_tbEUlT_E2_NS1_11comp_targetILNS1_3genE8ELNS1_11target_archE1030ELNS1_3gpuE2ELNS1_3repE0EEENS1_30default_config_static_selectorELNS0_4arch9wavefront6targetE1EEEvSK_,"axG",@progbits,_ZN7rocprim17ROCPRIM_400000_NS6detail17trampoline_kernelINS0_14default_configENS1_36segmented_radix_sort_config_selectorIflEEZNS1_25segmented_radix_sort_implIS3_Lb0EPKfPfPKlPlN2at6native12_GLOBAL__N_18offset_tEEE10hipError_tPvRmT1_PNSt15iterator_traitsISK_E10value_typeET2_T3_PNSL_ISQ_E10value_typeET4_jRbjT5_SW_jjP12ihipStream_tbEUlT_E2_NS1_11comp_targetILNS1_3genE8ELNS1_11target_archE1030ELNS1_3gpuE2ELNS1_3repE0EEENS1_30default_config_static_selectorELNS0_4arch9wavefront6targetE1EEEvSK_,comdat
	.globl	_ZN7rocprim17ROCPRIM_400000_NS6detail17trampoline_kernelINS0_14default_configENS1_36segmented_radix_sort_config_selectorIflEEZNS1_25segmented_radix_sort_implIS3_Lb0EPKfPfPKlPlN2at6native12_GLOBAL__N_18offset_tEEE10hipError_tPvRmT1_PNSt15iterator_traitsISK_E10value_typeET2_T3_PNSL_ISQ_E10value_typeET4_jRbjT5_SW_jjP12ihipStream_tbEUlT_E2_NS1_11comp_targetILNS1_3genE8ELNS1_11target_archE1030ELNS1_3gpuE2ELNS1_3repE0EEENS1_30default_config_static_selectorELNS0_4arch9wavefront6targetE1EEEvSK_ ; -- Begin function _ZN7rocprim17ROCPRIM_400000_NS6detail17trampoline_kernelINS0_14default_configENS1_36segmented_radix_sort_config_selectorIflEEZNS1_25segmented_radix_sort_implIS3_Lb0EPKfPfPKlPlN2at6native12_GLOBAL__N_18offset_tEEE10hipError_tPvRmT1_PNSt15iterator_traitsISK_E10value_typeET2_T3_PNSL_ISQ_E10value_typeET4_jRbjT5_SW_jjP12ihipStream_tbEUlT_E2_NS1_11comp_targetILNS1_3genE8ELNS1_11target_archE1030ELNS1_3gpuE2ELNS1_3repE0EEENS1_30default_config_static_selectorELNS0_4arch9wavefront6targetE1EEEvSK_
	.p2align	8
	.type	_ZN7rocprim17ROCPRIM_400000_NS6detail17trampoline_kernelINS0_14default_configENS1_36segmented_radix_sort_config_selectorIflEEZNS1_25segmented_radix_sort_implIS3_Lb0EPKfPfPKlPlN2at6native12_GLOBAL__N_18offset_tEEE10hipError_tPvRmT1_PNSt15iterator_traitsISK_E10value_typeET2_T3_PNSL_ISQ_E10value_typeET4_jRbjT5_SW_jjP12ihipStream_tbEUlT_E2_NS1_11comp_targetILNS1_3genE8ELNS1_11target_archE1030ELNS1_3gpuE2ELNS1_3repE0EEENS1_30default_config_static_selectorELNS0_4arch9wavefront6targetE1EEEvSK_,@function
_ZN7rocprim17ROCPRIM_400000_NS6detail17trampoline_kernelINS0_14default_configENS1_36segmented_radix_sort_config_selectorIflEEZNS1_25segmented_radix_sort_implIS3_Lb0EPKfPfPKlPlN2at6native12_GLOBAL__N_18offset_tEEE10hipError_tPvRmT1_PNSt15iterator_traitsISK_E10value_typeET2_T3_PNSL_ISQ_E10value_typeET4_jRbjT5_SW_jjP12ihipStream_tbEUlT_E2_NS1_11comp_targetILNS1_3genE8ELNS1_11target_archE1030ELNS1_3gpuE2ELNS1_3repE0EEENS1_30default_config_static_selectorELNS0_4arch9wavefront6targetE1EEEvSK_: ; @_ZN7rocprim17ROCPRIM_400000_NS6detail17trampoline_kernelINS0_14default_configENS1_36segmented_radix_sort_config_selectorIflEEZNS1_25segmented_radix_sort_implIS3_Lb0EPKfPfPKlPlN2at6native12_GLOBAL__N_18offset_tEEE10hipError_tPvRmT1_PNSt15iterator_traitsISK_E10value_typeET2_T3_PNSL_ISQ_E10value_typeET4_jRbjT5_SW_jjP12ihipStream_tbEUlT_E2_NS1_11comp_targetILNS1_3genE8ELNS1_11target_archE1030ELNS1_3gpuE2ELNS1_3repE0EEENS1_30default_config_static_selectorELNS0_4arch9wavefront6targetE1EEEvSK_
; %bb.0:
	.section	.rodata,"a",@progbits
	.p2align	6, 0x0
	.amdhsa_kernel _ZN7rocprim17ROCPRIM_400000_NS6detail17trampoline_kernelINS0_14default_configENS1_36segmented_radix_sort_config_selectorIflEEZNS1_25segmented_radix_sort_implIS3_Lb0EPKfPfPKlPlN2at6native12_GLOBAL__N_18offset_tEEE10hipError_tPvRmT1_PNSt15iterator_traitsISK_E10value_typeET2_T3_PNSL_ISQ_E10value_typeET4_jRbjT5_SW_jjP12ihipStream_tbEUlT_E2_NS1_11comp_targetILNS1_3genE8ELNS1_11target_archE1030ELNS1_3gpuE2ELNS1_3repE0EEENS1_30default_config_static_selectorELNS0_4arch9wavefront6targetE1EEEvSK_
		.amdhsa_group_segment_fixed_size 0
		.amdhsa_private_segment_fixed_size 0
		.amdhsa_kernarg_size 80
		.amdhsa_user_sgpr_count 6
		.amdhsa_user_sgpr_private_segment_buffer 1
		.amdhsa_user_sgpr_dispatch_ptr 0
		.amdhsa_user_sgpr_queue_ptr 0
		.amdhsa_user_sgpr_kernarg_segment_ptr 1
		.amdhsa_user_sgpr_dispatch_id 0
		.amdhsa_user_sgpr_flat_scratch_init 0
		.amdhsa_user_sgpr_kernarg_preload_length 0
		.amdhsa_user_sgpr_kernarg_preload_offset 0
		.amdhsa_user_sgpr_private_segment_size 0
		.amdhsa_uses_dynamic_stack 0
		.amdhsa_system_sgpr_private_segment_wavefront_offset 0
		.amdhsa_system_sgpr_workgroup_id_x 1
		.amdhsa_system_sgpr_workgroup_id_y 0
		.amdhsa_system_sgpr_workgroup_id_z 0
		.amdhsa_system_sgpr_workgroup_info 0
		.amdhsa_system_vgpr_workitem_id 0
		.amdhsa_next_free_vgpr 1
		.amdhsa_next_free_sgpr 0
		.amdhsa_accum_offset 4
		.amdhsa_reserve_vcc 0
		.amdhsa_reserve_flat_scratch 0
		.amdhsa_float_round_mode_32 0
		.amdhsa_float_round_mode_16_64 0
		.amdhsa_float_denorm_mode_32 3
		.amdhsa_float_denorm_mode_16_64 3
		.amdhsa_dx10_clamp 1
		.amdhsa_ieee_mode 1
		.amdhsa_fp16_overflow 0
		.amdhsa_tg_split 0
		.amdhsa_exception_fp_ieee_invalid_op 0
		.amdhsa_exception_fp_denorm_src 0
		.amdhsa_exception_fp_ieee_div_zero 0
		.amdhsa_exception_fp_ieee_overflow 0
		.amdhsa_exception_fp_ieee_underflow 0
		.amdhsa_exception_fp_ieee_inexact 0
		.amdhsa_exception_int_div_zero 0
	.end_amdhsa_kernel
	.section	.text._ZN7rocprim17ROCPRIM_400000_NS6detail17trampoline_kernelINS0_14default_configENS1_36segmented_radix_sort_config_selectorIflEEZNS1_25segmented_radix_sort_implIS3_Lb0EPKfPfPKlPlN2at6native12_GLOBAL__N_18offset_tEEE10hipError_tPvRmT1_PNSt15iterator_traitsISK_E10value_typeET2_T3_PNSL_ISQ_E10value_typeET4_jRbjT5_SW_jjP12ihipStream_tbEUlT_E2_NS1_11comp_targetILNS1_3genE8ELNS1_11target_archE1030ELNS1_3gpuE2ELNS1_3repE0EEENS1_30default_config_static_selectorELNS0_4arch9wavefront6targetE1EEEvSK_,"axG",@progbits,_ZN7rocprim17ROCPRIM_400000_NS6detail17trampoline_kernelINS0_14default_configENS1_36segmented_radix_sort_config_selectorIflEEZNS1_25segmented_radix_sort_implIS3_Lb0EPKfPfPKlPlN2at6native12_GLOBAL__N_18offset_tEEE10hipError_tPvRmT1_PNSt15iterator_traitsISK_E10value_typeET2_T3_PNSL_ISQ_E10value_typeET4_jRbjT5_SW_jjP12ihipStream_tbEUlT_E2_NS1_11comp_targetILNS1_3genE8ELNS1_11target_archE1030ELNS1_3gpuE2ELNS1_3repE0EEENS1_30default_config_static_selectorELNS0_4arch9wavefront6targetE1EEEvSK_,comdat
.Lfunc_end1464:
	.size	_ZN7rocprim17ROCPRIM_400000_NS6detail17trampoline_kernelINS0_14default_configENS1_36segmented_radix_sort_config_selectorIflEEZNS1_25segmented_radix_sort_implIS3_Lb0EPKfPfPKlPlN2at6native12_GLOBAL__N_18offset_tEEE10hipError_tPvRmT1_PNSt15iterator_traitsISK_E10value_typeET2_T3_PNSL_ISQ_E10value_typeET4_jRbjT5_SW_jjP12ihipStream_tbEUlT_E2_NS1_11comp_targetILNS1_3genE8ELNS1_11target_archE1030ELNS1_3gpuE2ELNS1_3repE0EEENS1_30default_config_static_selectorELNS0_4arch9wavefront6targetE1EEEvSK_, .Lfunc_end1464-_ZN7rocprim17ROCPRIM_400000_NS6detail17trampoline_kernelINS0_14default_configENS1_36segmented_radix_sort_config_selectorIflEEZNS1_25segmented_radix_sort_implIS3_Lb0EPKfPfPKlPlN2at6native12_GLOBAL__N_18offset_tEEE10hipError_tPvRmT1_PNSt15iterator_traitsISK_E10value_typeET2_T3_PNSL_ISQ_E10value_typeET4_jRbjT5_SW_jjP12ihipStream_tbEUlT_E2_NS1_11comp_targetILNS1_3genE8ELNS1_11target_archE1030ELNS1_3gpuE2ELNS1_3repE0EEENS1_30default_config_static_selectorELNS0_4arch9wavefront6targetE1EEEvSK_
                                        ; -- End function
	.section	.AMDGPU.csdata,"",@progbits
; Kernel info:
; codeLenInByte = 0
; NumSgprs: 4
; NumVgprs: 0
; NumAgprs: 0
; TotalNumVgprs: 0
; ScratchSize: 0
; MemoryBound: 0
; FloatMode: 240
; IeeeMode: 1
; LDSByteSize: 0 bytes/workgroup (compile time only)
; SGPRBlocks: 0
; VGPRBlocks: 0
; NumSGPRsForWavesPerEU: 4
; NumVGPRsForWavesPerEU: 1
; AccumOffset: 4
; Occupancy: 8
; WaveLimiterHint : 0
; COMPUTE_PGM_RSRC2:SCRATCH_EN: 0
; COMPUTE_PGM_RSRC2:USER_SGPR: 6
; COMPUTE_PGM_RSRC2:TRAP_HANDLER: 0
; COMPUTE_PGM_RSRC2:TGID_X_EN: 1
; COMPUTE_PGM_RSRC2:TGID_Y_EN: 0
; COMPUTE_PGM_RSRC2:TGID_Z_EN: 0
; COMPUTE_PGM_RSRC2:TIDIG_COMP_CNT: 0
; COMPUTE_PGM_RSRC3_GFX90A:ACCUM_OFFSET: 0
; COMPUTE_PGM_RSRC3_GFX90A:TG_SPLIT: 0
	.section	.text._ZN2at6native12_GLOBAL__N_123sort_postprocess_kernelIbEEvPKT_PS3_PlPK15HIP_vector_typeIiLj2EEii,"axG",@progbits,_ZN2at6native12_GLOBAL__N_123sort_postprocess_kernelIbEEvPKT_PS3_PlPK15HIP_vector_typeIiLj2EEii,comdat
	.globl	_ZN2at6native12_GLOBAL__N_123sort_postprocess_kernelIbEEvPKT_PS3_PlPK15HIP_vector_typeIiLj2EEii ; -- Begin function _ZN2at6native12_GLOBAL__N_123sort_postprocess_kernelIbEEvPKT_PS3_PlPK15HIP_vector_typeIiLj2EEii
	.p2align	8
	.type	_ZN2at6native12_GLOBAL__N_123sort_postprocess_kernelIbEEvPKT_PS3_PlPK15HIP_vector_typeIiLj2EEii,@function
_ZN2at6native12_GLOBAL__N_123sort_postprocess_kernelIbEEvPKT_PS3_PlPK15HIP_vector_typeIiLj2EEii: ; @_ZN2at6native12_GLOBAL__N_123sort_postprocess_kernelIbEEvPKT_PS3_PlPK15HIP_vector_typeIiLj2EEii
; %bb.0:
	s_load_dword s2, s[4:5], 0x34
	s_load_dwordx2 s[8:9], s[4:5], 0x20
	s_add_u32 s0, s4, 40
	s_addc_u32 s1, s5, 0
	v_mov_b32_e32 v1, 0
	s_waitcnt lgkmcnt(0)
	s_and_b32 s7, s2, 0xffff
	v_mov_b32_e32 v2, s6
	v_mad_u64_u32 v[0:1], s[2:3], s7, v2, v[0:1]
	s_mul_i32 s2, s9, s8
	s_ashr_i32 s3, s2, 31
	v_cmp_gt_i64_e32 vcc, s[2:3], v[0:1]
	s_and_saveexec_b64 s[10:11], vcc
	s_cbranch_execz .LBB1465_3
; %bb.1:
	s_abs_i32 s6, s9
	v_cvt_f32_u32_e32 v2, s6
	s_load_dwordx8 s[8:15], s[4:5], 0x0
	s_load_dword s16, s[0:1], 0x0
	s_sub_i32 s1, 0, s6
	s_mov_b32 s0, 0
	v_rcp_iflag_f32_e32 v2, v2
	s_mov_b64 s[4:5], 0
	s_waitcnt lgkmcnt(0)
	s_mul_i32 s7, s16, s7
	v_mov_b32_e32 v3, s11
	v_mul_f32_e32 v2, 0x4f7ffffe, v2
	v_cvt_u32_f32_e32 v5, v2
	v_mov_b32_e32 v2, s9
	v_mov_b32_e32 v4, s13
	;; [unrolled: 1-line block ×3, first 2 shown]
	v_mul_lo_u32 v6, s1, v5
	v_mul_hi_u32 v6, v5, v6
	v_add_u32_e32 v5, v5, v6
	v_mov_b32_e32 v6, s15
.LBB1465_2:                             ; =>This Inner Loop Header: Depth=1
	v_sub_u32_e32 v9, 0, v0
	v_max_i32_e32 v9, v0, v9
	v_mul_hi_u32 v11, v9, v5
	v_mul_lo_u32 v11, v11, s6
	v_sub_u32_e32 v9, v9, v11
	v_subrev_u32_e32 v11, s6, v9
	v_cmp_le_u32_e32 vcc, s6, v9
	v_cndmask_b32_e32 v9, v9, v11, vcc
	v_subrev_u32_e32 v11, s6, v9
	v_cmp_le_u32_e32 vcc, s6, v9
	v_ashrrev_i32_e32 v8, 31, v0
	v_cndmask_b32_e32 v9, v9, v11, vcc
	v_add_u32_e32 v10, v0, v8
	v_xor_b32_e32 v9, v9, v8
	v_sub_u32_e32 v10, v10, v9
	v_ashrrev_i32_e32 v11, 31, v10
	v_sub_u32_e32 v8, v9, v8
	v_lshlrev_b64 v[12:13], 3, v[10:11]
	v_ashrrev_i32_e32 v9, 31, v8
	v_add_co_u32_e32 v16, vcc, s14, v12
	v_lshlrev_b64 v[14:15], 3, v[8:9]
	v_addc_co_u32_e32 v17, vcc, v6, v13, vcc
	v_add_co_u32_e32 v16, vcc, v16, v14
	v_addc_co_u32_e32 v17, vcc, v17, v15, vcc
	global_load_dword v16, v[16:17], off offset:4
	v_add_co_u32_e32 v18, vcc, s8, v10
	v_addc_co_u32_e32 v19, vcc, v2, v11, vcc
	s_waitcnt vmcnt(0)
	v_ashrrev_i32_e32 v17, 31, v16
	v_add_co_u32_e32 v18, vcc, v18, v16
	v_addc_co_u32_e32 v19, vcc, v19, v17, vcc
	global_load_ubyte v18, v[18:19], off
	v_add_co_u32_e32 v0, vcc, s7, v0
	v_addc_co_u32_e32 v1, vcc, v1, v7, vcc
	v_cmp_le_i64_e32 vcc, s[2:3], v[0:1]
	s_or_b64 s[4:5], vcc, s[4:5]
	v_add_co_u32_e32 v10, vcc, s10, v10
	v_addc_co_u32_e32 v11, vcc, v3, v11, vcc
	v_add_co_u32_e32 v8, vcc, v10, v8
	v_add_co_u32_e64 v10, s[0:1], s12, v12
	v_addc_co_u32_e32 v9, vcc, v11, v9, vcc
	v_addc_co_u32_e64 v12, s[0:1], v4, v13, s[0:1]
	v_add_co_u32_e32 v10, vcc, v10, v14
	v_addc_co_u32_e32 v11, vcc, v12, v15, vcc
	global_store_dwordx2 v[10:11], v[16:17], off
	s_waitcnt vmcnt(1)
	global_store_byte v[8:9], v18, off
	s_andn2_b64 exec, exec, s[4:5]
	s_cbranch_execnz .LBB1465_2
.LBB1465_3:
	s_endpgm
	.section	.rodata,"a",@progbits
	.p2align	6, 0x0
	.amdhsa_kernel _ZN2at6native12_GLOBAL__N_123sort_postprocess_kernelIbEEvPKT_PS3_PlPK15HIP_vector_typeIiLj2EEii
		.amdhsa_group_segment_fixed_size 0
		.amdhsa_private_segment_fixed_size 0
		.amdhsa_kernarg_size 296
		.amdhsa_user_sgpr_count 6
		.amdhsa_user_sgpr_private_segment_buffer 1
		.amdhsa_user_sgpr_dispatch_ptr 0
		.amdhsa_user_sgpr_queue_ptr 0
		.amdhsa_user_sgpr_kernarg_segment_ptr 1
		.amdhsa_user_sgpr_dispatch_id 0
		.amdhsa_user_sgpr_flat_scratch_init 0
		.amdhsa_user_sgpr_kernarg_preload_length 0
		.amdhsa_user_sgpr_kernarg_preload_offset 0
		.amdhsa_user_sgpr_private_segment_size 0
		.amdhsa_uses_dynamic_stack 0
		.amdhsa_system_sgpr_private_segment_wavefront_offset 0
		.amdhsa_system_sgpr_workgroup_id_x 1
		.amdhsa_system_sgpr_workgroup_id_y 0
		.amdhsa_system_sgpr_workgroup_id_z 0
		.amdhsa_system_sgpr_workgroup_info 0
		.amdhsa_system_vgpr_workitem_id 0
		.amdhsa_next_free_vgpr 20
		.amdhsa_next_free_sgpr 17
		.amdhsa_accum_offset 20
		.amdhsa_reserve_vcc 1
		.amdhsa_reserve_flat_scratch 0
		.amdhsa_float_round_mode_32 0
		.amdhsa_float_round_mode_16_64 0
		.amdhsa_float_denorm_mode_32 3
		.amdhsa_float_denorm_mode_16_64 3
		.amdhsa_dx10_clamp 1
		.amdhsa_ieee_mode 1
		.amdhsa_fp16_overflow 0
		.amdhsa_tg_split 0
		.amdhsa_exception_fp_ieee_invalid_op 0
		.amdhsa_exception_fp_denorm_src 0
		.amdhsa_exception_fp_ieee_div_zero 0
		.amdhsa_exception_fp_ieee_overflow 0
		.amdhsa_exception_fp_ieee_underflow 0
		.amdhsa_exception_fp_ieee_inexact 0
		.amdhsa_exception_int_div_zero 0
	.end_amdhsa_kernel
	.section	.text._ZN2at6native12_GLOBAL__N_123sort_postprocess_kernelIbEEvPKT_PS3_PlPK15HIP_vector_typeIiLj2EEii,"axG",@progbits,_ZN2at6native12_GLOBAL__N_123sort_postprocess_kernelIbEEvPKT_PS3_PlPK15HIP_vector_typeIiLj2EEii,comdat
.Lfunc_end1465:
	.size	_ZN2at6native12_GLOBAL__N_123sort_postprocess_kernelIbEEvPKT_PS3_PlPK15HIP_vector_typeIiLj2EEii, .Lfunc_end1465-_ZN2at6native12_GLOBAL__N_123sort_postprocess_kernelIbEEvPKT_PS3_PlPK15HIP_vector_typeIiLj2EEii
                                        ; -- End function
	.section	.AMDGPU.csdata,"",@progbits
; Kernel info:
; codeLenInByte = 412
; NumSgprs: 21
; NumVgprs: 20
; NumAgprs: 0
; TotalNumVgprs: 20
; ScratchSize: 0
; MemoryBound: 0
; FloatMode: 240
; IeeeMode: 1
; LDSByteSize: 0 bytes/workgroup (compile time only)
; SGPRBlocks: 2
; VGPRBlocks: 2
; NumSGPRsForWavesPerEU: 21
; NumVGPRsForWavesPerEU: 20
; AccumOffset: 20
; Occupancy: 8
; WaveLimiterHint : 1
; COMPUTE_PGM_RSRC2:SCRATCH_EN: 0
; COMPUTE_PGM_RSRC2:USER_SGPR: 6
; COMPUTE_PGM_RSRC2:TRAP_HANDLER: 0
; COMPUTE_PGM_RSRC2:TGID_X_EN: 1
; COMPUTE_PGM_RSRC2:TGID_Y_EN: 0
; COMPUTE_PGM_RSRC2:TGID_Z_EN: 0
; COMPUTE_PGM_RSRC2:TIDIG_COMP_CNT: 0
; COMPUTE_PGM_RSRC3_GFX90A:ACCUM_OFFSET: 4
; COMPUTE_PGM_RSRC3_GFX90A:TG_SPLIT: 0
	.section	.text._ZN7rocprim17ROCPRIM_400000_NS6detail17trampoline_kernelINS0_13select_configILj256ELj13ELNS0_17block_load_methodE3ELS4_3ELS4_3ELNS0_20block_scan_algorithmE0ELj4294967295EEENS1_25partition_config_selectorILNS1_17partition_subalgoE4EjNS0_10empty_typeEbEEZZNS1_14partition_implILS8_4ELb0ES6_15HIP_vector_typeIjLj2EENS0_17counting_iteratorIjlEEPS9_SG_NS0_5tupleIJPjSI_NS0_16reverse_iteratorISI_EEEEENSH_IJSG_SG_SG_EEES9_SI_JZNS1_25segmented_radix_sort_implINS0_14default_configELb1EPKbPbPKlPlN2at6native12_GLOBAL__N_18offset_tEEE10hipError_tPvRmT1_PNSt15iterator_traitsIS12_E10value_typeET2_T3_PNS13_IS18_E10value_typeET4_jRbjT5_S1E_jjP12ihipStream_tbEUljE_ZNSN_ISO_Lb1ESQ_SR_ST_SU_SY_EESZ_S10_S11_S12_S16_S17_S18_S1B_S1C_jS1D_jS1E_S1E_jjS1G_bEUljE0_EEESZ_S10_S11_S18_S1C_S1E_T6_T7_T9_mT8_S1G_bDpT10_ENKUlT_T0_E_clISt17integral_constantIbLb0EES1U_EEDaS1P_S1Q_EUlS1P_E_NS1_11comp_targetILNS1_3genE0ELNS1_11target_archE4294967295ELNS1_3gpuE0ELNS1_3repE0EEENS1_30default_config_static_selectorELNS0_4arch9wavefront6targetE1EEEvS12_,"axG",@progbits,_ZN7rocprim17ROCPRIM_400000_NS6detail17trampoline_kernelINS0_13select_configILj256ELj13ELNS0_17block_load_methodE3ELS4_3ELS4_3ELNS0_20block_scan_algorithmE0ELj4294967295EEENS1_25partition_config_selectorILNS1_17partition_subalgoE4EjNS0_10empty_typeEbEEZZNS1_14partition_implILS8_4ELb0ES6_15HIP_vector_typeIjLj2EENS0_17counting_iteratorIjlEEPS9_SG_NS0_5tupleIJPjSI_NS0_16reverse_iteratorISI_EEEEENSH_IJSG_SG_SG_EEES9_SI_JZNS1_25segmented_radix_sort_implINS0_14default_configELb1EPKbPbPKlPlN2at6native12_GLOBAL__N_18offset_tEEE10hipError_tPvRmT1_PNSt15iterator_traitsIS12_E10value_typeET2_T3_PNS13_IS18_E10value_typeET4_jRbjT5_S1E_jjP12ihipStream_tbEUljE_ZNSN_ISO_Lb1ESQ_SR_ST_SU_SY_EESZ_S10_S11_S12_S16_S17_S18_S1B_S1C_jS1D_jS1E_S1E_jjS1G_bEUljE0_EEESZ_S10_S11_S18_S1C_S1E_T6_T7_T9_mT8_S1G_bDpT10_ENKUlT_T0_E_clISt17integral_constantIbLb0EES1U_EEDaS1P_S1Q_EUlS1P_E_NS1_11comp_targetILNS1_3genE0ELNS1_11target_archE4294967295ELNS1_3gpuE0ELNS1_3repE0EEENS1_30default_config_static_selectorELNS0_4arch9wavefront6targetE1EEEvS12_,comdat
	.globl	_ZN7rocprim17ROCPRIM_400000_NS6detail17trampoline_kernelINS0_13select_configILj256ELj13ELNS0_17block_load_methodE3ELS4_3ELS4_3ELNS0_20block_scan_algorithmE0ELj4294967295EEENS1_25partition_config_selectorILNS1_17partition_subalgoE4EjNS0_10empty_typeEbEEZZNS1_14partition_implILS8_4ELb0ES6_15HIP_vector_typeIjLj2EENS0_17counting_iteratorIjlEEPS9_SG_NS0_5tupleIJPjSI_NS0_16reverse_iteratorISI_EEEEENSH_IJSG_SG_SG_EEES9_SI_JZNS1_25segmented_radix_sort_implINS0_14default_configELb1EPKbPbPKlPlN2at6native12_GLOBAL__N_18offset_tEEE10hipError_tPvRmT1_PNSt15iterator_traitsIS12_E10value_typeET2_T3_PNS13_IS18_E10value_typeET4_jRbjT5_S1E_jjP12ihipStream_tbEUljE_ZNSN_ISO_Lb1ESQ_SR_ST_SU_SY_EESZ_S10_S11_S12_S16_S17_S18_S1B_S1C_jS1D_jS1E_S1E_jjS1G_bEUljE0_EEESZ_S10_S11_S18_S1C_S1E_T6_T7_T9_mT8_S1G_bDpT10_ENKUlT_T0_E_clISt17integral_constantIbLb0EES1U_EEDaS1P_S1Q_EUlS1P_E_NS1_11comp_targetILNS1_3genE0ELNS1_11target_archE4294967295ELNS1_3gpuE0ELNS1_3repE0EEENS1_30default_config_static_selectorELNS0_4arch9wavefront6targetE1EEEvS12_ ; -- Begin function _ZN7rocprim17ROCPRIM_400000_NS6detail17trampoline_kernelINS0_13select_configILj256ELj13ELNS0_17block_load_methodE3ELS4_3ELS4_3ELNS0_20block_scan_algorithmE0ELj4294967295EEENS1_25partition_config_selectorILNS1_17partition_subalgoE4EjNS0_10empty_typeEbEEZZNS1_14partition_implILS8_4ELb0ES6_15HIP_vector_typeIjLj2EENS0_17counting_iteratorIjlEEPS9_SG_NS0_5tupleIJPjSI_NS0_16reverse_iteratorISI_EEEEENSH_IJSG_SG_SG_EEES9_SI_JZNS1_25segmented_radix_sort_implINS0_14default_configELb1EPKbPbPKlPlN2at6native12_GLOBAL__N_18offset_tEEE10hipError_tPvRmT1_PNSt15iterator_traitsIS12_E10value_typeET2_T3_PNS13_IS18_E10value_typeET4_jRbjT5_S1E_jjP12ihipStream_tbEUljE_ZNSN_ISO_Lb1ESQ_SR_ST_SU_SY_EESZ_S10_S11_S12_S16_S17_S18_S1B_S1C_jS1D_jS1E_S1E_jjS1G_bEUljE0_EEESZ_S10_S11_S18_S1C_S1E_T6_T7_T9_mT8_S1G_bDpT10_ENKUlT_T0_E_clISt17integral_constantIbLb0EES1U_EEDaS1P_S1Q_EUlS1P_E_NS1_11comp_targetILNS1_3genE0ELNS1_11target_archE4294967295ELNS1_3gpuE0ELNS1_3repE0EEENS1_30default_config_static_selectorELNS0_4arch9wavefront6targetE1EEEvS12_
	.p2align	8
	.type	_ZN7rocprim17ROCPRIM_400000_NS6detail17trampoline_kernelINS0_13select_configILj256ELj13ELNS0_17block_load_methodE3ELS4_3ELS4_3ELNS0_20block_scan_algorithmE0ELj4294967295EEENS1_25partition_config_selectorILNS1_17partition_subalgoE4EjNS0_10empty_typeEbEEZZNS1_14partition_implILS8_4ELb0ES6_15HIP_vector_typeIjLj2EENS0_17counting_iteratorIjlEEPS9_SG_NS0_5tupleIJPjSI_NS0_16reverse_iteratorISI_EEEEENSH_IJSG_SG_SG_EEES9_SI_JZNS1_25segmented_radix_sort_implINS0_14default_configELb1EPKbPbPKlPlN2at6native12_GLOBAL__N_18offset_tEEE10hipError_tPvRmT1_PNSt15iterator_traitsIS12_E10value_typeET2_T3_PNS13_IS18_E10value_typeET4_jRbjT5_S1E_jjP12ihipStream_tbEUljE_ZNSN_ISO_Lb1ESQ_SR_ST_SU_SY_EESZ_S10_S11_S12_S16_S17_S18_S1B_S1C_jS1D_jS1E_S1E_jjS1G_bEUljE0_EEESZ_S10_S11_S18_S1C_S1E_T6_T7_T9_mT8_S1G_bDpT10_ENKUlT_T0_E_clISt17integral_constantIbLb0EES1U_EEDaS1P_S1Q_EUlS1P_E_NS1_11comp_targetILNS1_3genE0ELNS1_11target_archE4294967295ELNS1_3gpuE0ELNS1_3repE0EEENS1_30default_config_static_selectorELNS0_4arch9wavefront6targetE1EEEvS12_,@function
_ZN7rocprim17ROCPRIM_400000_NS6detail17trampoline_kernelINS0_13select_configILj256ELj13ELNS0_17block_load_methodE3ELS4_3ELS4_3ELNS0_20block_scan_algorithmE0ELj4294967295EEENS1_25partition_config_selectorILNS1_17partition_subalgoE4EjNS0_10empty_typeEbEEZZNS1_14partition_implILS8_4ELb0ES6_15HIP_vector_typeIjLj2EENS0_17counting_iteratorIjlEEPS9_SG_NS0_5tupleIJPjSI_NS0_16reverse_iteratorISI_EEEEENSH_IJSG_SG_SG_EEES9_SI_JZNS1_25segmented_radix_sort_implINS0_14default_configELb1EPKbPbPKlPlN2at6native12_GLOBAL__N_18offset_tEEE10hipError_tPvRmT1_PNSt15iterator_traitsIS12_E10value_typeET2_T3_PNS13_IS18_E10value_typeET4_jRbjT5_S1E_jjP12ihipStream_tbEUljE_ZNSN_ISO_Lb1ESQ_SR_ST_SU_SY_EESZ_S10_S11_S12_S16_S17_S18_S1B_S1C_jS1D_jS1E_S1E_jjS1G_bEUljE0_EEESZ_S10_S11_S18_S1C_S1E_T6_T7_T9_mT8_S1G_bDpT10_ENKUlT_T0_E_clISt17integral_constantIbLb0EES1U_EEDaS1P_S1Q_EUlS1P_E_NS1_11comp_targetILNS1_3genE0ELNS1_11target_archE4294967295ELNS1_3gpuE0ELNS1_3repE0EEENS1_30default_config_static_selectorELNS0_4arch9wavefront6targetE1EEEvS12_: ; @_ZN7rocprim17ROCPRIM_400000_NS6detail17trampoline_kernelINS0_13select_configILj256ELj13ELNS0_17block_load_methodE3ELS4_3ELS4_3ELNS0_20block_scan_algorithmE0ELj4294967295EEENS1_25partition_config_selectorILNS1_17partition_subalgoE4EjNS0_10empty_typeEbEEZZNS1_14partition_implILS8_4ELb0ES6_15HIP_vector_typeIjLj2EENS0_17counting_iteratorIjlEEPS9_SG_NS0_5tupleIJPjSI_NS0_16reverse_iteratorISI_EEEEENSH_IJSG_SG_SG_EEES9_SI_JZNS1_25segmented_radix_sort_implINS0_14default_configELb1EPKbPbPKlPlN2at6native12_GLOBAL__N_18offset_tEEE10hipError_tPvRmT1_PNSt15iterator_traitsIS12_E10value_typeET2_T3_PNS13_IS18_E10value_typeET4_jRbjT5_S1E_jjP12ihipStream_tbEUljE_ZNSN_ISO_Lb1ESQ_SR_ST_SU_SY_EESZ_S10_S11_S12_S16_S17_S18_S1B_S1C_jS1D_jS1E_S1E_jjS1G_bEUljE0_EEESZ_S10_S11_S18_S1C_S1E_T6_T7_T9_mT8_S1G_bDpT10_ENKUlT_T0_E_clISt17integral_constantIbLb0EES1U_EEDaS1P_S1Q_EUlS1P_E_NS1_11comp_targetILNS1_3genE0ELNS1_11target_archE4294967295ELNS1_3gpuE0ELNS1_3repE0EEENS1_30default_config_static_selectorELNS0_4arch9wavefront6targetE1EEEvS12_
; %bb.0:
	.section	.rodata,"a",@progbits
	.p2align	6, 0x0
	.amdhsa_kernel _ZN7rocprim17ROCPRIM_400000_NS6detail17trampoline_kernelINS0_13select_configILj256ELj13ELNS0_17block_load_methodE3ELS4_3ELS4_3ELNS0_20block_scan_algorithmE0ELj4294967295EEENS1_25partition_config_selectorILNS1_17partition_subalgoE4EjNS0_10empty_typeEbEEZZNS1_14partition_implILS8_4ELb0ES6_15HIP_vector_typeIjLj2EENS0_17counting_iteratorIjlEEPS9_SG_NS0_5tupleIJPjSI_NS0_16reverse_iteratorISI_EEEEENSH_IJSG_SG_SG_EEES9_SI_JZNS1_25segmented_radix_sort_implINS0_14default_configELb1EPKbPbPKlPlN2at6native12_GLOBAL__N_18offset_tEEE10hipError_tPvRmT1_PNSt15iterator_traitsIS12_E10value_typeET2_T3_PNS13_IS18_E10value_typeET4_jRbjT5_S1E_jjP12ihipStream_tbEUljE_ZNSN_ISO_Lb1ESQ_SR_ST_SU_SY_EESZ_S10_S11_S12_S16_S17_S18_S1B_S1C_jS1D_jS1E_S1E_jjS1G_bEUljE0_EEESZ_S10_S11_S18_S1C_S1E_T6_T7_T9_mT8_S1G_bDpT10_ENKUlT_T0_E_clISt17integral_constantIbLb0EES1U_EEDaS1P_S1Q_EUlS1P_E_NS1_11comp_targetILNS1_3genE0ELNS1_11target_archE4294967295ELNS1_3gpuE0ELNS1_3repE0EEENS1_30default_config_static_selectorELNS0_4arch9wavefront6targetE1EEEvS12_
		.amdhsa_group_segment_fixed_size 0
		.amdhsa_private_segment_fixed_size 0
		.amdhsa_kernarg_size 176
		.amdhsa_user_sgpr_count 6
		.amdhsa_user_sgpr_private_segment_buffer 1
		.amdhsa_user_sgpr_dispatch_ptr 0
		.amdhsa_user_sgpr_queue_ptr 0
		.amdhsa_user_sgpr_kernarg_segment_ptr 1
		.amdhsa_user_sgpr_dispatch_id 0
		.amdhsa_user_sgpr_flat_scratch_init 0
		.amdhsa_user_sgpr_kernarg_preload_length 0
		.amdhsa_user_sgpr_kernarg_preload_offset 0
		.amdhsa_user_sgpr_private_segment_size 0
		.amdhsa_uses_dynamic_stack 0
		.amdhsa_system_sgpr_private_segment_wavefront_offset 0
		.amdhsa_system_sgpr_workgroup_id_x 1
		.amdhsa_system_sgpr_workgroup_id_y 0
		.amdhsa_system_sgpr_workgroup_id_z 0
		.amdhsa_system_sgpr_workgroup_info 0
		.amdhsa_system_vgpr_workitem_id 0
		.amdhsa_next_free_vgpr 1
		.amdhsa_next_free_sgpr 0
		.amdhsa_accum_offset 4
		.amdhsa_reserve_vcc 0
		.amdhsa_reserve_flat_scratch 0
		.amdhsa_float_round_mode_32 0
		.amdhsa_float_round_mode_16_64 0
		.amdhsa_float_denorm_mode_32 3
		.amdhsa_float_denorm_mode_16_64 3
		.amdhsa_dx10_clamp 1
		.amdhsa_ieee_mode 1
		.amdhsa_fp16_overflow 0
		.amdhsa_tg_split 0
		.amdhsa_exception_fp_ieee_invalid_op 0
		.amdhsa_exception_fp_denorm_src 0
		.amdhsa_exception_fp_ieee_div_zero 0
		.amdhsa_exception_fp_ieee_overflow 0
		.amdhsa_exception_fp_ieee_underflow 0
		.amdhsa_exception_fp_ieee_inexact 0
		.amdhsa_exception_int_div_zero 0
	.end_amdhsa_kernel
	.section	.text._ZN7rocprim17ROCPRIM_400000_NS6detail17trampoline_kernelINS0_13select_configILj256ELj13ELNS0_17block_load_methodE3ELS4_3ELS4_3ELNS0_20block_scan_algorithmE0ELj4294967295EEENS1_25partition_config_selectorILNS1_17partition_subalgoE4EjNS0_10empty_typeEbEEZZNS1_14partition_implILS8_4ELb0ES6_15HIP_vector_typeIjLj2EENS0_17counting_iteratorIjlEEPS9_SG_NS0_5tupleIJPjSI_NS0_16reverse_iteratorISI_EEEEENSH_IJSG_SG_SG_EEES9_SI_JZNS1_25segmented_radix_sort_implINS0_14default_configELb1EPKbPbPKlPlN2at6native12_GLOBAL__N_18offset_tEEE10hipError_tPvRmT1_PNSt15iterator_traitsIS12_E10value_typeET2_T3_PNS13_IS18_E10value_typeET4_jRbjT5_S1E_jjP12ihipStream_tbEUljE_ZNSN_ISO_Lb1ESQ_SR_ST_SU_SY_EESZ_S10_S11_S12_S16_S17_S18_S1B_S1C_jS1D_jS1E_S1E_jjS1G_bEUljE0_EEESZ_S10_S11_S18_S1C_S1E_T6_T7_T9_mT8_S1G_bDpT10_ENKUlT_T0_E_clISt17integral_constantIbLb0EES1U_EEDaS1P_S1Q_EUlS1P_E_NS1_11comp_targetILNS1_3genE0ELNS1_11target_archE4294967295ELNS1_3gpuE0ELNS1_3repE0EEENS1_30default_config_static_selectorELNS0_4arch9wavefront6targetE1EEEvS12_,"axG",@progbits,_ZN7rocprim17ROCPRIM_400000_NS6detail17trampoline_kernelINS0_13select_configILj256ELj13ELNS0_17block_load_methodE3ELS4_3ELS4_3ELNS0_20block_scan_algorithmE0ELj4294967295EEENS1_25partition_config_selectorILNS1_17partition_subalgoE4EjNS0_10empty_typeEbEEZZNS1_14partition_implILS8_4ELb0ES6_15HIP_vector_typeIjLj2EENS0_17counting_iteratorIjlEEPS9_SG_NS0_5tupleIJPjSI_NS0_16reverse_iteratorISI_EEEEENSH_IJSG_SG_SG_EEES9_SI_JZNS1_25segmented_radix_sort_implINS0_14default_configELb1EPKbPbPKlPlN2at6native12_GLOBAL__N_18offset_tEEE10hipError_tPvRmT1_PNSt15iterator_traitsIS12_E10value_typeET2_T3_PNS13_IS18_E10value_typeET4_jRbjT5_S1E_jjP12ihipStream_tbEUljE_ZNSN_ISO_Lb1ESQ_SR_ST_SU_SY_EESZ_S10_S11_S12_S16_S17_S18_S1B_S1C_jS1D_jS1E_S1E_jjS1G_bEUljE0_EEESZ_S10_S11_S18_S1C_S1E_T6_T7_T9_mT8_S1G_bDpT10_ENKUlT_T0_E_clISt17integral_constantIbLb0EES1U_EEDaS1P_S1Q_EUlS1P_E_NS1_11comp_targetILNS1_3genE0ELNS1_11target_archE4294967295ELNS1_3gpuE0ELNS1_3repE0EEENS1_30default_config_static_selectorELNS0_4arch9wavefront6targetE1EEEvS12_,comdat
.Lfunc_end1466:
	.size	_ZN7rocprim17ROCPRIM_400000_NS6detail17trampoline_kernelINS0_13select_configILj256ELj13ELNS0_17block_load_methodE3ELS4_3ELS4_3ELNS0_20block_scan_algorithmE0ELj4294967295EEENS1_25partition_config_selectorILNS1_17partition_subalgoE4EjNS0_10empty_typeEbEEZZNS1_14partition_implILS8_4ELb0ES6_15HIP_vector_typeIjLj2EENS0_17counting_iteratorIjlEEPS9_SG_NS0_5tupleIJPjSI_NS0_16reverse_iteratorISI_EEEEENSH_IJSG_SG_SG_EEES9_SI_JZNS1_25segmented_radix_sort_implINS0_14default_configELb1EPKbPbPKlPlN2at6native12_GLOBAL__N_18offset_tEEE10hipError_tPvRmT1_PNSt15iterator_traitsIS12_E10value_typeET2_T3_PNS13_IS18_E10value_typeET4_jRbjT5_S1E_jjP12ihipStream_tbEUljE_ZNSN_ISO_Lb1ESQ_SR_ST_SU_SY_EESZ_S10_S11_S12_S16_S17_S18_S1B_S1C_jS1D_jS1E_S1E_jjS1G_bEUljE0_EEESZ_S10_S11_S18_S1C_S1E_T6_T7_T9_mT8_S1G_bDpT10_ENKUlT_T0_E_clISt17integral_constantIbLb0EES1U_EEDaS1P_S1Q_EUlS1P_E_NS1_11comp_targetILNS1_3genE0ELNS1_11target_archE4294967295ELNS1_3gpuE0ELNS1_3repE0EEENS1_30default_config_static_selectorELNS0_4arch9wavefront6targetE1EEEvS12_, .Lfunc_end1466-_ZN7rocprim17ROCPRIM_400000_NS6detail17trampoline_kernelINS0_13select_configILj256ELj13ELNS0_17block_load_methodE3ELS4_3ELS4_3ELNS0_20block_scan_algorithmE0ELj4294967295EEENS1_25partition_config_selectorILNS1_17partition_subalgoE4EjNS0_10empty_typeEbEEZZNS1_14partition_implILS8_4ELb0ES6_15HIP_vector_typeIjLj2EENS0_17counting_iteratorIjlEEPS9_SG_NS0_5tupleIJPjSI_NS0_16reverse_iteratorISI_EEEEENSH_IJSG_SG_SG_EEES9_SI_JZNS1_25segmented_radix_sort_implINS0_14default_configELb1EPKbPbPKlPlN2at6native12_GLOBAL__N_18offset_tEEE10hipError_tPvRmT1_PNSt15iterator_traitsIS12_E10value_typeET2_T3_PNS13_IS18_E10value_typeET4_jRbjT5_S1E_jjP12ihipStream_tbEUljE_ZNSN_ISO_Lb1ESQ_SR_ST_SU_SY_EESZ_S10_S11_S12_S16_S17_S18_S1B_S1C_jS1D_jS1E_S1E_jjS1G_bEUljE0_EEESZ_S10_S11_S18_S1C_S1E_T6_T7_T9_mT8_S1G_bDpT10_ENKUlT_T0_E_clISt17integral_constantIbLb0EES1U_EEDaS1P_S1Q_EUlS1P_E_NS1_11comp_targetILNS1_3genE0ELNS1_11target_archE4294967295ELNS1_3gpuE0ELNS1_3repE0EEENS1_30default_config_static_selectorELNS0_4arch9wavefront6targetE1EEEvS12_
                                        ; -- End function
	.section	.AMDGPU.csdata,"",@progbits
; Kernel info:
; codeLenInByte = 0
; NumSgprs: 4
; NumVgprs: 0
; NumAgprs: 0
; TotalNumVgprs: 0
; ScratchSize: 0
; MemoryBound: 0
; FloatMode: 240
; IeeeMode: 1
; LDSByteSize: 0 bytes/workgroup (compile time only)
; SGPRBlocks: 0
; VGPRBlocks: 0
; NumSGPRsForWavesPerEU: 4
; NumVGPRsForWavesPerEU: 1
; AccumOffset: 4
; Occupancy: 8
; WaveLimiterHint : 0
; COMPUTE_PGM_RSRC2:SCRATCH_EN: 0
; COMPUTE_PGM_RSRC2:USER_SGPR: 6
; COMPUTE_PGM_RSRC2:TRAP_HANDLER: 0
; COMPUTE_PGM_RSRC2:TGID_X_EN: 1
; COMPUTE_PGM_RSRC2:TGID_Y_EN: 0
; COMPUTE_PGM_RSRC2:TGID_Z_EN: 0
; COMPUTE_PGM_RSRC2:TIDIG_COMP_CNT: 0
; COMPUTE_PGM_RSRC3_GFX90A:ACCUM_OFFSET: 0
; COMPUTE_PGM_RSRC3_GFX90A:TG_SPLIT: 0
	.section	.text._ZN7rocprim17ROCPRIM_400000_NS6detail17trampoline_kernelINS0_13select_configILj256ELj13ELNS0_17block_load_methodE3ELS4_3ELS4_3ELNS0_20block_scan_algorithmE0ELj4294967295EEENS1_25partition_config_selectorILNS1_17partition_subalgoE4EjNS0_10empty_typeEbEEZZNS1_14partition_implILS8_4ELb0ES6_15HIP_vector_typeIjLj2EENS0_17counting_iteratorIjlEEPS9_SG_NS0_5tupleIJPjSI_NS0_16reverse_iteratorISI_EEEEENSH_IJSG_SG_SG_EEES9_SI_JZNS1_25segmented_radix_sort_implINS0_14default_configELb1EPKbPbPKlPlN2at6native12_GLOBAL__N_18offset_tEEE10hipError_tPvRmT1_PNSt15iterator_traitsIS12_E10value_typeET2_T3_PNS13_IS18_E10value_typeET4_jRbjT5_S1E_jjP12ihipStream_tbEUljE_ZNSN_ISO_Lb1ESQ_SR_ST_SU_SY_EESZ_S10_S11_S12_S16_S17_S18_S1B_S1C_jS1D_jS1E_S1E_jjS1G_bEUljE0_EEESZ_S10_S11_S18_S1C_S1E_T6_T7_T9_mT8_S1G_bDpT10_ENKUlT_T0_E_clISt17integral_constantIbLb0EES1U_EEDaS1P_S1Q_EUlS1P_E_NS1_11comp_targetILNS1_3genE5ELNS1_11target_archE942ELNS1_3gpuE9ELNS1_3repE0EEENS1_30default_config_static_selectorELNS0_4arch9wavefront6targetE1EEEvS12_,"axG",@progbits,_ZN7rocprim17ROCPRIM_400000_NS6detail17trampoline_kernelINS0_13select_configILj256ELj13ELNS0_17block_load_methodE3ELS4_3ELS4_3ELNS0_20block_scan_algorithmE0ELj4294967295EEENS1_25partition_config_selectorILNS1_17partition_subalgoE4EjNS0_10empty_typeEbEEZZNS1_14partition_implILS8_4ELb0ES6_15HIP_vector_typeIjLj2EENS0_17counting_iteratorIjlEEPS9_SG_NS0_5tupleIJPjSI_NS0_16reverse_iteratorISI_EEEEENSH_IJSG_SG_SG_EEES9_SI_JZNS1_25segmented_radix_sort_implINS0_14default_configELb1EPKbPbPKlPlN2at6native12_GLOBAL__N_18offset_tEEE10hipError_tPvRmT1_PNSt15iterator_traitsIS12_E10value_typeET2_T3_PNS13_IS18_E10value_typeET4_jRbjT5_S1E_jjP12ihipStream_tbEUljE_ZNSN_ISO_Lb1ESQ_SR_ST_SU_SY_EESZ_S10_S11_S12_S16_S17_S18_S1B_S1C_jS1D_jS1E_S1E_jjS1G_bEUljE0_EEESZ_S10_S11_S18_S1C_S1E_T6_T7_T9_mT8_S1G_bDpT10_ENKUlT_T0_E_clISt17integral_constantIbLb0EES1U_EEDaS1P_S1Q_EUlS1P_E_NS1_11comp_targetILNS1_3genE5ELNS1_11target_archE942ELNS1_3gpuE9ELNS1_3repE0EEENS1_30default_config_static_selectorELNS0_4arch9wavefront6targetE1EEEvS12_,comdat
	.globl	_ZN7rocprim17ROCPRIM_400000_NS6detail17trampoline_kernelINS0_13select_configILj256ELj13ELNS0_17block_load_methodE3ELS4_3ELS4_3ELNS0_20block_scan_algorithmE0ELj4294967295EEENS1_25partition_config_selectorILNS1_17partition_subalgoE4EjNS0_10empty_typeEbEEZZNS1_14partition_implILS8_4ELb0ES6_15HIP_vector_typeIjLj2EENS0_17counting_iteratorIjlEEPS9_SG_NS0_5tupleIJPjSI_NS0_16reverse_iteratorISI_EEEEENSH_IJSG_SG_SG_EEES9_SI_JZNS1_25segmented_radix_sort_implINS0_14default_configELb1EPKbPbPKlPlN2at6native12_GLOBAL__N_18offset_tEEE10hipError_tPvRmT1_PNSt15iterator_traitsIS12_E10value_typeET2_T3_PNS13_IS18_E10value_typeET4_jRbjT5_S1E_jjP12ihipStream_tbEUljE_ZNSN_ISO_Lb1ESQ_SR_ST_SU_SY_EESZ_S10_S11_S12_S16_S17_S18_S1B_S1C_jS1D_jS1E_S1E_jjS1G_bEUljE0_EEESZ_S10_S11_S18_S1C_S1E_T6_T7_T9_mT8_S1G_bDpT10_ENKUlT_T0_E_clISt17integral_constantIbLb0EES1U_EEDaS1P_S1Q_EUlS1P_E_NS1_11comp_targetILNS1_3genE5ELNS1_11target_archE942ELNS1_3gpuE9ELNS1_3repE0EEENS1_30default_config_static_selectorELNS0_4arch9wavefront6targetE1EEEvS12_ ; -- Begin function _ZN7rocprim17ROCPRIM_400000_NS6detail17trampoline_kernelINS0_13select_configILj256ELj13ELNS0_17block_load_methodE3ELS4_3ELS4_3ELNS0_20block_scan_algorithmE0ELj4294967295EEENS1_25partition_config_selectorILNS1_17partition_subalgoE4EjNS0_10empty_typeEbEEZZNS1_14partition_implILS8_4ELb0ES6_15HIP_vector_typeIjLj2EENS0_17counting_iteratorIjlEEPS9_SG_NS0_5tupleIJPjSI_NS0_16reverse_iteratorISI_EEEEENSH_IJSG_SG_SG_EEES9_SI_JZNS1_25segmented_radix_sort_implINS0_14default_configELb1EPKbPbPKlPlN2at6native12_GLOBAL__N_18offset_tEEE10hipError_tPvRmT1_PNSt15iterator_traitsIS12_E10value_typeET2_T3_PNS13_IS18_E10value_typeET4_jRbjT5_S1E_jjP12ihipStream_tbEUljE_ZNSN_ISO_Lb1ESQ_SR_ST_SU_SY_EESZ_S10_S11_S12_S16_S17_S18_S1B_S1C_jS1D_jS1E_S1E_jjS1G_bEUljE0_EEESZ_S10_S11_S18_S1C_S1E_T6_T7_T9_mT8_S1G_bDpT10_ENKUlT_T0_E_clISt17integral_constantIbLb0EES1U_EEDaS1P_S1Q_EUlS1P_E_NS1_11comp_targetILNS1_3genE5ELNS1_11target_archE942ELNS1_3gpuE9ELNS1_3repE0EEENS1_30default_config_static_selectorELNS0_4arch9wavefront6targetE1EEEvS12_
	.p2align	8
	.type	_ZN7rocprim17ROCPRIM_400000_NS6detail17trampoline_kernelINS0_13select_configILj256ELj13ELNS0_17block_load_methodE3ELS4_3ELS4_3ELNS0_20block_scan_algorithmE0ELj4294967295EEENS1_25partition_config_selectorILNS1_17partition_subalgoE4EjNS0_10empty_typeEbEEZZNS1_14partition_implILS8_4ELb0ES6_15HIP_vector_typeIjLj2EENS0_17counting_iteratorIjlEEPS9_SG_NS0_5tupleIJPjSI_NS0_16reverse_iteratorISI_EEEEENSH_IJSG_SG_SG_EEES9_SI_JZNS1_25segmented_radix_sort_implINS0_14default_configELb1EPKbPbPKlPlN2at6native12_GLOBAL__N_18offset_tEEE10hipError_tPvRmT1_PNSt15iterator_traitsIS12_E10value_typeET2_T3_PNS13_IS18_E10value_typeET4_jRbjT5_S1E_jjP12ihipStream_tbEUljE_ZNSN_ISO_Lb1ESQ_SR_ST_SU_SY_EESZ_S10_S11_S12_S16_S17_S18_S1B_S1C_jS1D_jS1E_S1E_jjS1G_bEUljE0_EEESZ_S10_S11_S18_S1C_S1E_T6_T7_T9_mT8_S1G_bDpT10_ENKUlT_T0_E_clISt17integral_constantIbLb0EES1U_EEDaS1P_S1Q_EUlS1P_E_NS1_11comp_targetILNS1_3genE5ELNS1_11target_archE942ELNS1_3gpuE9ELNS1_3repE0EEENS1_30default_config_static_selectorELNS0_4arch9wavefront6targetE1EEEvS12_,@function
_ZN7rocprim17ROCPRIM_400000_NS6detail17trampoline_kernelINS0_13select_configILj256ELj13ELNS0_17block_load_methodE3ELS4_3ELS4_3ELNS0_20block_scan_algorithmE0ELj4294967295EEENS1_25partition_config_selectorILNS1_17partition_subalgoE4EjNS0_10empty_typeEbEEZZNS1_14partition_implILS8_4ELb0ES6_15HIP_vector_typeIjLj2EENS0_17counting_iteratorIjlEEPS9_SG_NS0_5tupleIJPjSI_NS0_16reverse_iteratorISI_EEEEENSH_IJSG_SG_SG_EEES9_SI_JZNS1_25segmented_radix_sort_implINS0_14default_configELb1EPKbPbPKlPlN2at6native12_GLOBAL__N_18offset_tEEE10hipError_tPvRmT1_PNSt15iterator_traitsIS12_E10value_typeET2_T3_PNS13_IS18_E10value_typeET4_jRbjT5_S1E_jjP12ihipStream_tbEUljE_ZNSN_ISO_Lb1ESQ_SR_ST_SU_SY_EESZ_S10_S11_S12_S16_S17_S18_S1B_S1C_jS1D_jS1E_S1E_jjS1G_bEUljE0_EEESZ_S10_S11_S18_S1C_S1E_T6_T7_T9_mT8_S1G_bDpT10_ENKUlT_T0_E_clISt17integral_constantIbLb0EES1U_EEDaS1P_S1Q_EUlS1P_E_NS1_11comp_targetILNS1_3genE5ELNS1_11target_archE942ELNS1_3gpuE9ELNS1_3repE0EEENS1_30default_config_static_selectorELNS0_4arch9wavefront6targetE1EEEvS12_: ; @_ZN7rocprim17ROCPRIM_400000_NS6detail17trampoline_kernelINS0_13select_configILj256ELj13ELNS0_17block_load_methodE3ELS4_3ELS4_3ELNS0_20block_scan_algorithmE0ELj4294967295EEENS1_25partition_config_selectorILNS1_17partition_subalgoE4EjNS0_10empty_typeEbEEZZNS1_14partition_implILS8_4ELb0ES6_15HIP_vector_typeIjLj2EENS0_17counting_iteratorIjlEEPS9_SG_NS0_5tupleIJPjSI_NS0_16reverse_iteratorISI_EEEEENSH_IJSG_SG_SG_EEES9_SI_JZNS1_25segmented_radix_sort_implINS0_14default_configELb1EPKbPbPKlPlN2at6native12_GLOBAL__N_18offset_tEEE10hipError_tPvRmT1_PNSt15iterator_traitsIS12_E10value_typeET2_T3_PNS13_IS18_E10value_typeET4_jRbjT5_S1E_jjP12ihipStream_tbEUljE_ZNSN_ISO_Lb1ESQ_SR_ST_SU_SY_EESZ_S10_S11_S12_S16_S17_S18_S1B_S1C_jS1D_jS1E_S1E_jjS1G_bEUljE0_EEESZ_S10_S11_S18_S1C_S1E_T6_T7_T9_mT8_S1G_bDpT10_ENKUlT_T0_E_clISt17integral_constantIbLb0EES1U_EEDaS1P_S1Q_EUlS1P_E_NS1_11comp_targetILNS1_3genE5ELNS1_11target_archE942ELNS1_3gpuE9ELNS1_3repE0EEENS1_30default_config_static_selectorELNS0_4arch9wavefront6targetE1EEEvS12_
; %bb.0:
	.section	.rodata,"a",@progbits
	.p2align	6, 0x0
	.amdhsa_kernel _ZN7rocprim17ROCPRIM_400000_NS6detail17trampoline_kernelINS0_13select_configILj256ELj13ELNS0_17block_load_methodE3ELS4_3ELS4_3ELNS0_20block_scan_algorithmE0ELj4294967295EEENS1_25partition_config_selectorILNS1_17partition_subalgoE4EjNS0_10empty_typeEbEEZZNS1_14partition_implILS8_4ELb0ES6_15HIP_vector_typeIjLj2EENS0_17counting_iteratorIjlEEPS9_SG_NS0_5tupleIJPjSI_NS0_16reverse_iteratorISI_EEEEENSH_IJSG_SG_SG_EEES9_SI_JZNS1_25segmented_radix_sort_implINS0_14default_configELb1EPKbPbPKlPlN2at6native12_GLOBAL__N_18offset_tEEE10hipError_tPvRmT1_PNSt15iterator_traitsIS12_E10value_typeET2_T3_PNS13_IS18_E10value_typeET4_jRbjT5_S1E_jjP12ihipStream_tbEUljE_ZNSN_ISO_Lb1ESQ_SR_ST_SU_SY_EESZ_S10_S11_S12_S16_S17_S18_S1B_S1C_jS1D_jS1E_S1E_jjS1G_bEUljE0_EEESZ_S10_S11_S18_S1C_S1E_T6_T7_T9_mT8_S1G_bDpT10_ENKUlT_T0_E_clISt17integral_constantIbLb0EES1U_EEDaS1P_S1Q_EUlS1P_E_NS1_11comp_targetILNS1_3genE5ELNS1_11target_archE942ELNS1_3gpuE9ELNS1_3repE0EEENS1_30default_config_static_selectorELNS0_4arch9wavefront6targetE1EEEvS12_
		.amdhsa_group_segment_fixed_size 0
		.amdhsa_private_segment_fixed_size 0
		.amdhsa_kernarg_size 176
		.amdhsa_user_sgpr_count 6
		.amdhsa_user_sgpr_private_segment_buffer 1
		.amdhsa_user_sgpr_dispatch_ptr 0
		.amdhsa_user_sgpr_queue_ptr 0
		.amdhsa_user_sgpr_kernarg_segment_ptr 1
		.amdhsa_user_sgpr_dispatch_id 0
		.amdhsa_user_sgpr_flat_scratch_init 0
		.amdhsa_user_sgpr_kernarg_preload_length 0
		.amdhsa_user_sgpr_kernarg_preload_offset 0
		.amdhsa_user_sgpr_private_segment_size 0
		.amdhsa_uses_dynamic_stack 0
		.amdhsa_system_sgpr_private_segment_wavefront_offset 0
		.amdhsa_system_sgpr_workgroup_id_x 1
		.amdhsa_system_sgpr_workgroup_id_y 0
		.amdhsa_system_sgpr_workgroup_id_z 0
		.amdhsa_system_sgpr_workgroup_info 0
		.amdhsa_system_vgpr_workitem_id 0
		.amdhsa_next_free_vgpr 1
		.amdhsa_next_free_sgpr 0
		.amdhsa_accum_offset 4
		.amdhsa_reserve_vcc 0
		.amdhsa_reserve_flat_scratch 0
		.amdhsa_float_round_mode_32 0
		.amdhsa_float_round_mode_16_64 0
		.amdhsa_float_denorm_mode_32 3
		.amdhsa_float_denorm_mode_16_64 3
		.amdhsa_dx10_clamp 1
		.amdhsa_ieee_mode 1
		.amdhsa_fp16_overflow 0
		.amdhsa_tg_split 0
		.amdhsa_exception_fp_ieee_invalid_op 0
		.amdhsa_exception_fp_denorm_src 0
		.amdhsa_exception_fp_ieee_div_zero 0
		.amdhsa_exception_fp_ieee_overflow 0
		.amdhsa_exception_fp_ieee_underflow 0
		.amdhsa_exception_fp_ieee_inexact 0
		.amdhsa_exception_int_div_zero 0
	.end_amdhsa_kernel
	.section	.text._ZN7rocprim17ROCPRIM_400000_NS6detail17trampoline_kernelINS0_13select_configILj256ELj13ELNS0_17block_load_methodE3ELS4_3ELS4_3ELNS0_20block_scan_algorithmE0ELj4294967295EEENS1_25partition_config_selectorILNS1_17partition_subalgoE4EjNS0_10empty_typeEbEEZZNS1_14partition_implILS8_4ELb0ES6_15HIP_vector_typeIjLj2EENS0_17counting_iteratorIjlEEPS9_SG_NS0_5tupleIJPjSI_NS0_16reverse_iteratorISI_EEEEENSH_IJSG_SG_SG_EEES9_SI_JZNS1_25segmented_radix_sort_implINS0_14default_configELb1EPKbPbPKlPlN2at6native12_GLOBAL__N_18offset_tEEE10hipError_tPvRmT1_PNSt15iterator_traitsIS12_E10value_typeET2_T3_PNS13_IS18_E10value_typeET4_jRbjT5_S1E_jjP12ihipStream_tbEUljE_ZNSN_ISO_Lb1ESQ_SR_ST_SU_SY_EESZ_S10_S11_S12_S16_S17_S18_S1B_S1C_jS1D_jS1E_S1E_jjS1G_bEUljE0_EEESZ_S10_S11_S18_S1C_S1E_T6_T7_T9_mT8_S1G_bDpT10_ENKUlT_T0_E_clISt17integral_constantIbLb0EES1U_EEDaS1P_S1Q_EUlS1P_E_NS1_11comp_targetILNS1_3genE5ELNS1_11target_archE942ELNS1_3gpuE9ELNS1_3repE0EEENS1_30default_config_static_selectorELNS0_4arch9wavefront6targetE1EEEvS12_,"axG",@progbits,_ZN7rocprim17ROCPRIM_400000_NS6detail17trampoline_kernelINS0_13select_configILj256ELj13ELNS0_17block_load_methodE3ELS4_3ELS4_3ELNS0_20block_scan_algorithmE0ELj4294967295EEENS1_25partition_config_selectorILNS1_17partition_subalgoE4EjNS0_10empty_typeEbEEZZNS1_14partition_implILS8_4ELb0ES6_15HIP_vector_typeIjLj2EENS0_17counting_iteratorIjlEEPS9_SG_NS0_5tupleIJPjSI_NS0_16reverse_iteratorISI_EEEEENSH_IJSG_SG_SG_EEES9_SI_JZNS1_25segmented_radix_sort_implINS0_14default_configELb1EPKbPbPKlPlN2at6native12_GLOBAL__N_18offset_tEEE10hipError_tPvRmT1_PNSt15iterator_traitsIS12_E10value_typeET2_T3_PNS13_IS18_E10value_typeET4_jRbjT5_S1E_jjP12ihipStream_tbEUljE_ZNSN_ISO_Lb1ESQ_SR_ST_SU_SY_EESZ_S10_S11_S12_S16_S17_S18_S1B_S1C_jS1D_jS1E_S1E_jjS1G_bEUljE0_EEESZ_S10_S11_S18_S1C_S1E_T6_T7_T9_mT8_S1G_bDpT10_ENKUlT_T0_E_clISt17integral_constantIbLb0EES1U_EEDaS1P_S1Q_EUlS1P_E_NS1_11comp_targetILNS1_3genE5ELNS1_11target_archE942ELNS1_3gpuE9ELNS1_3repE0EEENS1_30default_config_static_selectorELNS0_4arch9wavefront6targetE1EEEvS12_,comdat
.Lfunc_end1467:
	.size	_ZN7rocprim17ROCPRIM_400000_NS6detail17trampoline_kernelINS0_13select_configILj256ELj13ELNS0_17block_load_methodE3ELS4_3ELS4_3ELNS0_20block_scan_algorithmE0ELj4294967295EEENS1_25partition_config_selectorILNS1_17partition_subalgoE4EjNS0_10empty_typeEbEEZZNS1_14partition_implILS8_4ELb0ES6_15HIP_vector_typeIjLj2EENS0_17counting_iteratorIjlEEPS9_SG_NS0_5tupleIJPjSI_NS0_16reverse_iteratorISI_EEEEENSH_IJSG_SG_SG_EEES9_SI_JZNS1_25segmented_radix_sort_implINS0_14default_configELb1EPKbPbPKlPlN2at6native12_GLOBAL__N_18offset_tEEE10hipError_tPvRmT1_PNSt15iterator_traitsIS12_E10value_typeET2_T3_PNS13_IS18_E10value_typeET4_jRbjT5_S1E_jjP12ihipStream_tbEUljE_ZNSN_ISO_Lb1ESQ_SR_ST_SU_SY_EESZ_S10_S11_S12_S16_S17_S18_S1B_S1C_jS1D_jS1E_S1E_jjS1G_bEUljE0_EEESZ_S10_S11_S18_S1C_S1E_T6_T7_T9_mT8_S1G_bDpT10_ENKUlT_T0_E_clISt17integral_constantIbLb0EES1U_EEDaS1P_S1Q_EUlS1P_E_NS1_11comp_targetILNS1_3genE5ELNS1_11target_archE942ELNS1_3gpuE9ELNS1_3repE0EEENS1_30default_config_static_selectorELNS0_4arch9wavefront6targetE1EEEvS12_, .Lfunc_end1467-_ZN7rocprim17ROCPRIM_400000_NS6detail17trampoline_kernelINS0_13select_configILj256ELj13ELNS0_17block_load_methodE3ELS4_3ELS4_3ELNS0_20block_scan_algorithmE0ELj4294967295EEENS1_25partition_config_selectorILNS1_17partition_subalgoE4EjNS0_10empty_typeEbEEZZNS1_14partition_implILS8_4ELb0ES6_15HIP_vector_typeIjLj2EENS0_17counting_iteratorIjlEEPS9_SG_NS0_5tupleIJPjSI_NS0_16reverse_iteratorISI_EEEEENSH_IJSG_SG_SG_EEES9_SI_JZNS1_25segmented_radix_sort_implINS0_14default_configELb1EPKbPbPKlPlN2at6native12_GLOBAL__N_18offset_tEEE10hipError_tPvRmT1_PNSt15iterator_traitsIS12_E10value_typeET2_T3_PNS13_IS18_E10value_typeET4_jRbjT5_S1E_jjP12ihipStream_tbEUljE_ZNSN_ISO_Lb1ESQ_SR_ST_SU_SY_EESZ_S10_S11_S12_S16_S17_S18_S1B_S1C_jS1D_jS1E_S1E_jjS1G_bEUljE0_EEESZ_S10_S11_S18_S1C_S1E_T6_T7_T9_mT8_S1G_bDpT10_ENKUlT_T0_E_clISt17integral_constantIbLb0EES1U_EEDaS1P_S1Q_EUlS1P_E_NS1_11comp_targetILNS1_3genE5ELNS1_11target_archE942ELNS1_3gpuE9ELNS1_3repE0EEENS1_30default_config_static_selectorELNS0_4arch9wavefront6targetE1EEEvS12_
                                        ; -- End function
	.section	.AMDGPU.csdata,"",@progbits
; Kernel info:
; codeLenInByte = 0
; NumSgprs: 4
; NumVgprs: 0
; NumAgprs: 0
; TotalNumVgprs: 0
; ScratchSize: 0
; MemoryBound: 0
; FloatMode: 240
; IeeeMode: 1
; LDSByteSize: 0 bytes/workgroup (compile time only)
; SGPRBlocks: 0
; VGPRBlocks: 0
; NumSGPRsForWavesPerEU: 4
; NumVGPRsForWavesPerEU: 1
; AccumOffset: 4
; Occupancy: 8
; WaveLimiterHint : 0
; COMPUTE_PGM_RSRC2:SCRATCH_EN: 0
; COMPUTE_PGM_RSRC2:USER_SGPR: 6
; COMPUTE_PGM_RSRC2:TRAP_HANDLER: 0
; COMPUTE_PGM_RSRC2:TGID_X_EN: 1
; COMPUTE_PGM_RSRC2:TGID_Y_EN: 0
; COMPUTE_PGM_RSRC2:TGID_Z_EN: 0
; COMPUTE_PGM_RSRC2:TIDIG_COMP_CNT: 0
; COMPUTE_PGM_RSRC3_GFX90A:ACCUM_OFFSET: 0
; COMPUTE_PGM_RSRC3_GFX90A:TG_SPLIT: 0
	.section	.text._ZN7rocprim17ROCPRIM_400000_NS6detail17trampoline_kernelINS0_13select_configILj256ELj13ELNS0_17block_load_methodE3ELS4_3ELS4_3ELNS0_20block_scan_algorithmE0ELj4294967295EEENS1_25partition_config_selectorILNS1_17partition_subalgoE4EjNS0_10empty_typeEbEEZZNS1_14partition_implILS8_4ELb0ES6_15HIP_vector_typeIjLj2EENS0_17counting_iteratorIjlEEPS9_SG_NS0_5tupleIJPjSI_NS0_16reverse_iteratorISI_EEEEENSH_IJSG_SG_SG_EEES9_SI_JZNS1_25segmented_radix_sort_implINS0_14default_configELb1EPKbPbPKlPlN2at6native12_GLOBAL__N_18offset_tEEE10hipError_tPvRmT1_PNSt15iterator_traitsIS12_E10value_typeET2_T3_PNS13_IS18_E10value_typeET4_jRbjT5_S1E_jjP12ihipStream_tbEUljE_ZNSN_ISO_Lb1ESQ_SR_ST_SU_SY_EESZ_S10_S11_S12_S16_S17_S18_S1B_S1C_jS1D_jS1E_S1E_jjS1G_bEUljE0_EEESZ_S10_S11_S18_S1C_S1E_T6_T7_T9_mT8_S1G_bDpT10_ENKUlT_T0_E_clISt17integral_constantIbLb0EES1U_EEDaS1P_S1Q_EUlS1P_E_NS1_11comp_targetILNS1_3genE4ELNS1_11target_archE910ELNS1_3gpuE8ELNS1_3repE0EEENS1_30default_config_static_selectorELNS0_4arch9wavefront6targetE1EEEvS12_,"axG",@progbits,_ZN7rocprim17ROCPRIM_400000_NS6detail17trampoline_kernelINS0_13select_configILj256ELj13ELNS0_17block_load_methodE3ELS4_3ELS4_3ELNS0_20block_scan_algorithmE0ELj4294967295EEENS1_25partition_config_selectorILNS1_17partition_subalgoE4EjNS0_10empty_typeEbEEZZNS1_14partition_implILS8_4ELb0ES6_15HIP_vector_typeIjLj2EENS0_17counting_iteratorIjlEEPS9_SG_NS0_5tupleIJPjSI_NS0_16reverse_iteratorISI_EEEEENSH_IJSG_SG_SG_EEES9_SI_JZNS1_25segmented_radix_sort_implINS0_14default_configELb1EPKbPbPKlPlN2at6native12_GLOBAL__N_18offset_tEEE10hipError_tPvRmT1_PNSt15iterator_traitsIS12_E10value_typeET2_T3_PNS13_IS18_E10value_typeET4_jRbjT5_S1E_jjP12ihipStream_tbEUljE_ZNSN_ISO_Lb1ESQ_SR_ST_SU_SY_EESZ_S10_S11_S12_S16_S17_S18_S1B_S1C_jS1D_jS1E_S1E_jjS1G_bEUljE0_EEESZ_S10_S11_S18_S1C_S1E_T6_T7_T9_mT8_S1G_bDpT10_ENKUlT_T0_E_clISt17integral_constantIbLb0EES1U_EEDaS1P_S1Q_EUlS1P_E_NS1_11comp_targetILNS1_3genE4ELNS1_11target_archE910ELNS1_3gpuE8ELNS1_3repE0EEENS1_30default_config_static_selectorELNS0_4arch9wavefront6targetE1EEEvS12_,comdat
	.globl	_ZN7rocprim17ROCPRIM_400000_NS6detail17trampoline_kernelINS0_13select_configILj256ELj13ELNS0_17block_load_methodE3ELS4_3ELS4_3ELNS0_20block_scan_algorithmE0ELj4294967295EEENS1_25partition_config_selectorILNS1_17partition_subalgoE4EjNS0_10empty_typeEbEEZZNS1_14partition_implILS8_4ELb0ES6_15HIP_vector_typeIjLj2EENS0_17counting_iteratorIjlEEPS9_SG_NS0_5tupleIJPjSI_NS0_16reverse_iteratorISI_EEEEENSH_IJSG_SG_SG_EEES9_SI_JZNS1_25segmented_radix_sort_implINS0_14default_configELb1EPKbPbPKlPlN2at6native12_GLOBAL__N_18offset_tEEE10hipError_tPvRmT1_PNSt15iterator_traitsIS12_E10value_typeET2_T3_PNS13_IS18_E10value_typeET4_jRbjT5_S1E_jjP12ihipStream_tbEUljE_ZNSN_ISO_Lb1ESQ_SR_ST_SU_SY_EESZ_S10_S11_S12_S16_S17_S18_S1B_S1C_jS1D_jS1E_S1E_jjS1G_bEUljE0_EEESZ_S10_S11_S18_S1C_S1E_T6_T7_T9_mT8_S1G_bDpT10_ENKUlT_T0_E_clISt17integral_constantIbLb0EES1U_EEDaS1P_S1Q_EUlS1P_E_NS1_11comp_targetILNS1_3genE4ELNS1_11target_archE910ELNS1_3gpuE8ELNS1_3repE0EEENS1_30default_config_static_selectorELNS0_4arch9wavefront6targetE1EEEvS12_ ; -- Begin function _ZN7rocprim17ROCPRIM_400000_NS6detail17trampoline_kernelINS0_13select_configILj256ELj13ELNS0_17block_load_methodE3ELS4_3ELS4_3ELNS0_20block_scan_algorithmE0ELj4294967295EEENS1_25partition_config_selectorILNS1_17partition_subalgoE4EjNS0_10empty_typeEbEEZZNS1_14partition_implILS8_4ELb0ES6_15HIP_vector_typeIjLj2EENS0_17counting_iteratorIjlEEPS9_SG_NS0_5tupleIJPjSI_NS0_16reverse_iteratorISI_EEEEENSH_IJSG_SG_SG_EEES9_SI_JZNS1_25segmented_radix_sort_implINS0_14default_configELb1EPKbPbPKlPlN2at6native12_GLOBAL__N_18offset_tEEE10hipError_tPvRmT1_PNSt15iterator_traitsIS12_E10value_typeET2_T3_PNS13_IS18_E10value_typeET4_jRbjT5_S1E_jjP12ihipStream_tbEUljE_ZNSN_ISO_Lb1ESQ_SR_ST_SU_SY_EESZ_S10_S11_S12_S16_S17_S18_S1B_S1C_jS1D_jS1E_S1E_jjS1G_bEUljE0_EEESZ_S10_S11_S18_S1C_S1E_T6_T7_T9_mT8_S1G_bDpT10_ENKUlT_T0_E_clISt17integral_constantIbLb0EES1U_EEDaS1P_S1Q_EUlS1P_E_NS1_11comp_targetILNS1_3genE4ELNS1_11target_archE910ELNS1_3gpuE8ELNS1_3repE0EEENS1_30default_config_static_selectorELNS0_4arch9wavefront6targetE1EEEvS12_
	.p2align	8
	.type	_ZN7rocprim17ROCPRIM_400000_NS6detail17trampoline_kernelINS0_13select_configILj256ELj13ELNS0_17block_load_methodE3ELS4_3ELS4_3ELNS0_20block_scan_algorithmE0ELj4294967295EEENS1_25partition_config_selectorILNS1_17partition_subalgoE4EjNS0_10empty_typeEbEEZZNS1_14partition_implILS8_4ELb0ES6_15HIP_vector_typeIjLj2EENS0_17counting_iteratorIjlEEPS9_SG_NS0_5tupleIJPjSI_NS0_16reverse_iteratorISI_EEEEENSH_IJSG_SG_SG_EEES9_SI_JZNS1_25segmented_radix_sort_implINS0_14default_configELb1EPKbPbPKlPlN2at6native12_GLOBAL__N_18offset_tEEE10hipError_tPvRmT1_PNSt15iterator_traitsIS12_E10value_typeET2_T3_PNS13_IS18_E10value_typeET4_jRbjT5_S1E_jjP12ihipStream_tbEUljE_ZNSN_ISO_Lb1ESQ_SR_ST_SU_SY_EESZ_S10_S11_S12_S16_S17_S18_S1B_S1C_jS1D_jS1E_S1E_jjS1G_bEUljE0_EEESZ_S10_S11_S18_S1C_S1E_T6_T7_T9_mT8_S1G_bDpT10_ENKUlT_T0_E_clISt17integral_constantIbLb0EES1U_EEDaS1P_S1Q_EUlS1P_E_NS1_11comp_targetILNS1_3genE4ELNS1_11target_archE910ELNS1_3gpuE8ELNS1_3repE0EEENS1_30default_config_static_selectorELNS0_4arch9wavefront6targetE1EEEvS12_,@function
_ZN7rocprim17ROCPRIM_400000_NS6detail17trampoline_kernelINS0_13select_configILj256ELj13ELNS0_17block_load_methodE3ELS4_3ELS4_3ELNS0_20block_scan_algorithmE0ELj4294967295EEENS1_25partition_config_selectorILNS1_17partition_subalgoE4EjNS0_10empty_typeEbEEZZNS1_14partition_implILS8_4ELb0ES6_15HIP_vector_typeIjLj2EENS0_17counting_iteratorIjlEEPS9_SG_NS0_5tupleIJPjSI_NS0_16reverse_iteratorISI_EEEEENSH_IJSG_SG_SG_EEES9_SI_JZNS1_25segmented_radix_sort_implINS0_14default_configELb1EPKbPbPKlPlN2at6native12_GLOBAL__N_18offset_tEEE10hipError_tPvRmT1_PNSt15iterator_traitsIS12_E10value_typeET2_T3_PNS13_IS18_E10value_typeET4_jRbjT5_S1E_jjP12ihipStream_tbEUljE_ZNSN_ISO_Lb1ESQ_SR_ST_SU_SY_EESZ_S10_S11_S12_S16_S17_S18_S1B_S1C_jS1D_jS1E_S1E_jjS1G_bEUljE0_EEESZ_S10_S11_S18_S1C_S1E_T6_T7_T9_mT8_S1G_bDpT10_ENKUlT_T0_E_clISt17integral_constantIbLb0EES1U_EEDaS1P_S1Q_EUlS1P_E_NS1_11comp_targetILNS1_3genE4ELNS1_11target_archE910ELNS1_3gpuE8ELNS1_3repE0EEENS1_30default_config_static_selectorELNS0_4arch9wavefront6targetE1EEEvS12_: ; @_ZN7rocprim17ROCPRIM_400000_NS6detail17trampoline_kernelINS0_13select_configILj256ELj13ELNS0_17block_load_methodE3ELS4_3ELS4_3ELNS0_20block_scan_algorithmE0ELj4294967295EEENS1_25partition_config_selectorILNS1_17partition_subalgoE4EjNS0_10empty_typeEbEEZZNS1_14partition_implILS8_4ELb0ES6_15HIP_vector_typeIjLj2EENS0_17counting_iteratorIjlEEPS9_SG_NS0_5tupleIJPjSI_NS0_16reverse_iteratorISI_EEEEENSH_IJSG_SG_SG_EEES9_SI_JZNS1_25segmented_radix_sort_implINS0_14default_configELb1EPKbPbPKlPlN2at6native12_GLOBAL__N_18offset_tEEE10hipError_tPvRmT1_PNSt15iterator_traitsIS12_E10value_typeET2_T3_PNS13_IS18_E10value_typeET4_jRbjT5_S1E_jjP12ihipStream_tbEUljE_ZNSN_ISO_Lb1ESQ_SR_ST_SU_SY_EESZ_S10_S11_S12_S16_S17_S18_S1B_S1C_jS1D_jS1E_S1E_jjS1G_bEUljE0_EEESZ_S10_S11_S18_S1C_S1E_T6_T7_T9_mT8_S1G_bDpT10_ENKUlT_T0_E_clISt17integral_constantIbLb0EES1U_EEDaS1P_S1Q_EUlS1P_E_NS1_11comp_targetILNS1_3genE4ELNS1_11target_archE910ELNS1_3gpuE8ELNS1_3repE0EEENS1_30default_config_static_selectorELNS0_4arch9wavefront6targetE1EEEvS12_
; %bb.0:
	s_load_dwordx2 s[0:1], s[4:5], 0x68
	s_load_dword s7, s[4:5], 0x8
	s_load_dwordx2 s[56:57], s[4:5], 0x10
	s_load_dwordx4 s[44:47], s[4:5], 0x58
	s_mul_i32 s33, s6, 0xd00
	s_waitcnt lgkmcnt(0)
	v_mov_b32_e32 v3, s1
	v_mov_b32_e32 v2, s0
	s_load_dword s1, s[4:5], 0x80
	s_load_dwordx2 s[60:61], s[4:5], 0xa8
	s_load_dwordx8 s[36:43], s[4:5], 0x88
	s_load_dwordx4 s[48:51], s[46:47], 0x0
	s_waitcnt lgkmcnt(0)
	s_add_i32 s8, s1, -1
	s_mulk_i32 s1, 0xd00
	s_add_u32 s2, s56, s1
	s_addc_u32 s3, s57, 0
	s_cmp_eq_u32 s6, s8
	s_cselect_b64 s[30:31], -1, 0
	s_cmp_lg_u32 s6, s8
	v_cmp_lt_u64_e32 vcc, s[2:3], v[2:3]
	s_cselect_b64 s[2:3], -1, 0
	s_add_i32 s7, s7, s33
	s_or_b64 s[2:3], s[2:3], vcc
	s_add_i32 s7, s7, s56
	v_add_u32_e32 v1, s7, v0
	s_mov_b64 s[8:9], -1
	s_and_b64 vcc, exec, s[2:3]
	s_cbranch_vccz .LBB1468_2
; %bb.1:
	v_add_u32_e32 v2, 0x100, v1
	v_lshlrev_b32_e32 v14, 2, v0
	v_add_u32_e32 v3, 0x200, v1
	v_add_u32_e32 v4, 0x300, v1
	;; [unrolled: 1-line block ×11, first 2 shown]
	ds_write2st64_b32 v14, v1, v2 offset1:4
	ds_write2st64_b32 v14, v3, v4 offset0:8 offset1:12
	ds_write2st64_b32 v14, v5, v6 offset0:16 offset1:20
	;; [unrolled: 1-line block ×5, first 2 shown]
	ds_write_b32 v14, v13 offset:12288
	s_waitcnt lgkmcnt(0)
	s_barrier
	s_mov_b64 s[8:9], 0
.LBB1468_2:
	s_andn2_b64 vcc, exec, s[8:9]
	s_add_i32 s1, s1, s56
	s_cbranch_vccnz .LBB1468_4
; %bb.3:
	v_add_u32_e32 v2, 0x100, v1
	v_lshlrev_b32_e32 v14, 2, v0
	v_add_u32_e32 v3, 0x200, v1
	v_add_u32_e32 v4, 0x300, v1
	;; [unrolled: 1-line block ×11, first 2 shown]
	ds_write2st64_b32 v14, v1, v2 offset1:4
	ds_write2st64_b32 v14, v3, v4 offset0:8 offset1:12
	ds_write2st64_b32 v14, v5, v6 offset0:16 offset1:20
	;; [unrolled: 1-line block ×5, first 2 shown]
	ds_write_b32 v14, v13 offset:12288
	s_waitcnt lgkmcnt(0)
	s_barrier
.LBB1468_4:
	v_mul_u32_u24_e32 v31, 13, v0
	v_lshlrev_b32_e32 v1, 2, v31
	s_load_dwordx4 s[52:55], s[4:5], 0x28
	s_load_dwordx2 s[34:35], s[4:5], 0x38
	s_waitcnt lgkmcnt(0)
	ds_read2_b32 v[18:19], v1 offset1:1
	ds_read2_b32 v[16:17], v1 offset0:2 offset1:3
	ds_read2_b32 v[14:15], v1 offset0:4 offset1:5
	;; [unrolled: 1-line block ×5, first 2 shown]
	ds_read_b32 v30, v1 offset:48
	v_cndmask_b32_e64 v1, 0, 1, s[2:3]
	s_sub_i32 s7, s0, s1
	v_cmp_ne_u32_e64 s[0:1], 1, v1
	s_andn2_b64 vcc, exec, s[2:3]
	s_waitcnt lgkmcnt(0)
	s_barrier
	s_cbranch_vccnz .LBB1468_32
; %bb.5:
	v_add_u32_e32 v1, s37, v18
	v_add_u32_e32 v2, s39, v18
	v_mul_lo_u32 v1, v1, s36
	v_mul_lo_u32 v2, v2, s38
	v_sub_u32_e32 v1, v1, v2
	v_cmp_lt_u32_e32 vcc, s40, v1
	v_cmp_ge_u32_e64 s[2:3], s40, v1
	s_mov_b64 s[64:65], 0
	s_mov_b64 s[62:63], 0
	s_and_saveexec_b64 s[8:9], s[2:3]
; %bb.6:
	v_add_u32_e32 v1, s42, v18
	v_add_u32_e32 v2, s60, v18
	v_mul_lo_u32 v1, v1, s41
	v_mul_lo_u32 v2, v2, s43
	v_sub_u32_e32 v1, v1, v2
	v_cmp_lt_u32_e64 s[2:3], s61, v1
	s_and_b64 s[62:63], s[2:3], exec
; %bb.7:
	s_or_b64 exec, exec, s[8:9]
	v_add_u32_e32 v1, s37, v19
	v_add_u32_e32 v2, s39, v19
	v_mul_lo_u32 v1, v1, s36
	v_mul_lo_u32 v2, v2, s38
	v_sub_u32_e32 v1, v1, v2
	v_cmp_lt_u32_e64 s[2:3], s40, v1
	v_cmp_ge_u32_e64 s[8:9], s40, v1
	s_and_saveexec_b64 s[10:11], s[8:9]
; %bb.8:
	v_add_u32_e32 v1, s42, v19
	v_add_u32_e32 v2, s60, v19
	v_mul_lo_u32 v1, v1, s41
	v_mul_lo_u32 v2, v2, s43
	v_sub_u32_e32 v1, v1, v2
	v_cmp_lt_u32_e64 s[8:9], s61, v1
	s_and_b64 s[64:65], s[8:9], exec
; %bb.9:
	s_or_b64 exec, exec, s[10:11]
	v_add_u32_e32 v1, s37, v16
	v_add_u32_e32 v2, s39, v16
	v_mul_lo_u32 v1, v1, s36
	v_mul_lo_u32 v2, v2, s38
	v_sub_u32_e32 v1, v1, v2
	v_cmp_lt_u32_e64 s[26:27], s40, v1
	v_cmp_ge_u32_e64 s[8:9], s40, v1
	s_mov_b64 s[68:69], 0
	s_mov_b64 s[66:67], 0
	s_and_saveexec_b64 s[10:11], s[8:9]
; %bb.10:
	v_add_u32_e32 v1, s42, v16
	v_add_u32_e32 v2, s60, v16
	v_mul_lo_u32 v1, v1, s41
	v_mul_lo_u32 v2, v2, s43
	v_sub_u32_e32 v1, v1, v2
	v_cmp_lt_u32_e64 s[8:9], s61, v1
	s_and_b64 s[66:67], s[8:9], exec
; %bb.11:
	s_or_b64 exec, exec, s[10:11]
	v_add_u32_e32 v1, s37, v17
	v_add_u32_e32 v2, s39, v17
	v_mul_lo_u32 v1, v1, s36
	v_mul_lo_u32 v2, v2, s38
	v_sub_u32_e32 v1, v1, v2
	v_cmp_lt_u32_e64 s[8:9], s40, v1
	v_cmp_ge_u32_e64 s[10:11], s40, v1
	s_and_saveexec_b64 s[12:13], s[10:11]
; %bb.12:
	v_add_u32_e32 v1, s42, v17
	v_add_u32_e32 v2, s60, v17
	v_mul_lo_u32 v1, v1, s41
	v_mul_lo_u32 v2, v2, s43
	v_sub_u32_e32 v1, v1, v2
	v_cmp_lt_u32_e64 s[10:11], s61, v1
	s_and_b64 s[68:69], s[10:11], exec
; %bb.13:
	s_or_b64 exec, exec, s[12:13]
	v_add_u32_e32 v1, s37, v14
	v_add_u32_e32 v2, s39, v14
	v_mul_lo_u32 v1, v1, s36
	v_mul_lo_u32 v2, v2, s38
	v_sub_u32_e32 v1, v1, v2
	v_cmp_lt_u32_e64 s[10:11], s40, v1
	;; [unrolled: 38-line block ×5, first 2 shown]
	v_cmp_ge_u32_e64 s[24:25], s40, v1
	s_mov_b64 s[84:85], 0
	s_mov_b64 s[86:87], 0
	s_and_saveexec_b64 s[28:29], s[24:25]
; %bb.26:
	v_add_u32_e32 v1, s42, v8
	v_add_u32_e32 v2, s60, v8
	v_mul_lo_u32 v1, v1, s41
	v_mul_lo_u32 v2, v2, s43
	v_sub_u32_e32 v1, v1, v2
	v_cmp_lt_u32_e64 s[24:25], s61, v1
	s_and_b64 s[86:87], s[24:25], exec
; %bb.27:
	s_or_b64 exec, exec, s[28:29]
	v_add_u32_e32 v1, s37, v9
	v_add_u32_e32 v2, s39, v9
	v_mul_lo_u32 v1, v1, s36
	v_mul_lo_u32 v2, v2, s38
	v_sub_u32_e32 v1, v1, v2
	v_cmp_lt_u32_e64 s[24:25], s40, v1
	v_cmp_ge_u32_e64 s[28:29], s40, v1
	s_and_saveexec_b64 s[46:47], s[28:29]
; %bb.28:
	v_add_u32_e32 v1, s42, v9
	v_add_u32_e32 v2, s60, v9
	v_mul_lo_u32 v1, v1, s41
	v_mul_lo_u32 v2, v2, s43
	v_sub_u32_e32 v1, v1, v2
	v_cmp_lt_u32_e64 s[28:29], s61, v1
	s_and_b64 s[84:85], s[28:29], exec
; %bb.29:
	s_or_b64 exec, exec, s[46:47]
	v_add_u32_e32 v1, s37, v30
	v_add_u32_e32 v2, s39, v30
	v_mul_lo_u32 v1, v1, s36
	v_mul_lo_u32 v2, v2, s38
	v_sub_u32_e32 v1, v1, v2
	v_cmp_ge_u32_e64 s[28:29], s40, v1
	s_mov_b64 s[46:47], -1
	s_mov_b64 s[78:79], 0
	s_mov_b64 s[58:59], 0
	s_and_saveexec_b64 s[88:89], s[28:29]
; %bb.30:
	v_add_u32_e32 v1, s42, v30
	v_add_u32_e32 v2, s60, v30
	v_mul_lo_u32 v1, v1, s41
	v_mul_lo_u32 v2, v2, s43
	v_sub_u32_e32 v1, v1, v2
	v_cmp_lt_u32_e64 s[28:29], s61, v1
	s_and_b64 s[58:59], s[28:29], exec
	s_xor_b64 s[46:47], exec, -1
; %bb.31:
	s_or_b64 exec, exec, s[88:89]
	v_cndmask_b32_e64 v52, 0, 1, s[86:87]
	v_cndmask_b32_e64 v55, 0, 1, s[24:25]
	;; [unrolled: 1-line block ×22, first 2 shown]
	v_cndmask_b32_e64 v32, 0, 1, vcc
	v_cndmask_b32_e64 v54, 0, 1, s[84:85]
	s_load_dwordx2 s[12:13], s[4:5], 0x78
	s_add_i32 s18, s7, 0xd00
	s_and_b64 vcc, exec, s[78:79]
	s_cbranch_vccnz .LBB1468_33
	s_branch .LBB1468_86
.LBB1468_32:
                                        ; implicit-def: $sgpr46_sgpr47
                                        ; implicit-def: $sgpr58_sgpr59
                                        ; implicit-def: $vgpr54
                                        ; implicit-def: $vgpr52
                                        ; implicit-def: $vgpr50
                                        ; implicit-def: $vgpr48
                                        ; implicit-def: $vgpr46
                                        ; implicit-def: $vgpr44
                                        ; implicit-def: $vgpr42
                                        ; implicit-def: $vgpr40
                                        ; implicit-def: $vgpr38
                                        ; implicit-def: $vgpr32
                                        ; implicit-def: $vgpr34
                                        ; implicit-def: $vgpr36
                                        ; implicit-def: $vgpr39
                                        ; implicit-def: $vgpr41
                                        ; implicit-def: $vgpr43
                                        ; implicit-def: $vgpr45
                                        ; implicit-def: $vgpr47
                                        ; implicit-def: $vgpr49
                                        ; implicit-def: $vgpr51
                                        ; implicit-def: $vgpr53
                                        ; implicit-def: $vgpr55
                                        ; implicit-def: $vgpr33
                                        ; implicit-def: $vgpr35
                                        ; implicit-def: $vgpr37
	s_load_dwordx2 s[12:13], s[4:5], 0x78
	s_add_i32 s18, s7, 0xd00
	s_cbranch_execz .LBB1468_86
.LBB1468_33:
	v_cmp_gt_u32_e32 vcc, s18, v31
	v_mov_b32_e32 v33, 0
	v_mov_b32_e32 v32, 0
	s_and_saveexec_b64 s[4:5], vcc
	s_cbranch_execz .LBB1468_37
; %bb.34:
	v_add_u32_e32 v1, s37, v18
	v_add_u32_e32 v2, s39, v18
	v_mul_lo_u32 v1, v1, s36
	v_mul_lo_u32 v2, v2, s38
	v_sub_u32_e32 v1, v1, v2
	v_cmp_lt_u32_e32 vcc, s40, v1
	v_cmp_ge_u32_e64 s[2:3], s40, v1
	s_mov_b64 s[10:11], 0
	s_and_saveexec_b64 s[8:9], s[2:3]
; %bb.35:
	v_add_u32_e32 v1, s42, v18
	v_add_u32_e32 v2, s60, v18
	v_mul_lo_u32 v1, v1, s41
	v_mul_lo_u32 v2, v2, s43
	v_sub_u32_e32 v1, v1, v2
	v_cmp_lt_u32_e64 s[2:3], s61, v1
	s_and_b64 s[10:11], s[2:3], exec
; %bb.36:
	s_or_b64 exec, exec, s[8:9]
	v_cndmask_b32_e64 v32, 0, 1, vcc
	v_cndmask_b32_e64 v33, 0, 1, s[10:11]
.LBB1468_37:
	s_or_b64 exec, exec, s[4:5]
	v_add_u32_e32 v1, 1, v31
	v_cmp_gt_u32_e32 vcc, s18, v1
	v_mov_b32_e32 v34, 0
	v_mov_b32_e32 v35, 0
	s_and_saveexec_b64 s[4:5], vcc
	s_cbranch_execz .LBB1468_41
; %bb.38:
	v_add_u32_e32 v1, s37, v19
	v_add_u32_e32 v2, s39, v19
	v_mul_lo_u32 v1, v1, s36
	v_mul_lo_u32 v2, v2, s38
	v_sub_u32_e32 v1, v1, v2
	v_cmp_lt_u32_e32 vcc, s40, v1
	v_cmp_ge_u32_e64 s[2:3], s40, v1
	s_mov_b64 s[10:11], 0
	s_and_saveexec_b64 s[8:9], s[2:3]
; %bb.39:
	v_add_u32_e32 v1, s42, v19
	v_add_u32_e32 v2, s60, v19
	v_mul_lo_u32 v1, v1, s41
	v_mul_lo_u32 v2, v2, s43
	v_sub_u32_e32 v1, v1, v2
	v_cmp_lt_u32_e64 s[2:3], s61, v1
	s_and_b64 s[10:11], s[2:3], exec
; %bb.40:
	s_or_b64 exec, exec, s[8:9]
	v_cndmask_b32_e64 v34, 0, 1, vcc
	v_cndmask_b32_e64 v35, 0, 1, s[10:11]
.LBB1468_41:
	s_or_b64 exec, exec, s[4:5]
	v_add_u32_e32 v1, 2, v31
	;; [unrolled: 30-line block ×12, first 2 shown]
	v_cmp_gt_u32_e32 vcc, s18, v1
	s_mov_b64 s[46:47], 0
	s_mov_b64 s[58:59], 0
	s_and_saveexec_b64 s[2:3], vcc
	s_cbranch_execz .LBB1468_85
; %bb.82:
	v_add_u32_e32 v1, s37, v30
	v_add_u32_e32 v2, s39, v30
	v_mul_lo_u32 v1, v1, s36
	v_mul_lo_u32 v2, v2, s38
	v_sub_u32_e32 v1, v1, v2
	v_cmp_ge_u32_e32 vcc, s40, v1
	s_mov_b64 s[8:9], -1
	s_mov_b64 s[10:11], 0
	s_and_saveexec_b64 s[4:5], vcc
; %bb.83:
	v_add_u32_e32 v1, s42, v30
	v_add_u32_e32 v2, s60, v30
	v_mul_lo_u32 v1, v1, s41
	v_mul_lo_u32 v2, v2, s43
	v_sub_u32_e32 v1, v1, v2
	v_cmp_lt_u32_e32 vcc, s61, v1
	s_and_b64 s[10:11], vcc, exec
	s_xor_b64 s[8:9], exec, -1
; %bb.84:
	s_or_b64 exec, exec, s[4:5]
	s_and_b64 s[58:59], s[10:11], exec
	s_and_b64 s[46:47], s[8:9], exec
.LBB1468_85:
	s_or_b64 exec, exec, s[2:3]
.LBB1468_86:
	v_and_b32_e32 v63, 0xff, v33
	v_and_b32_e32 v74, 0xff, v35
	;; [unrolled: 1-line block ×5, first 2 shown]
	v_add3_u32 v2, v74, v65, v63
	v_and_b32_e32 v76, 0xff, v42
	v_and_b32_e32 v69, 0xff, v44
	v_add3_u32 v2, v2, v75, v67
	v_and_b32_e32 v62, 0xff, v32
	v_and_b32_e32 v56, 0xff, v34
	;; [unrolled: 1-line block ×5, first 2 shown]
	v_add3_u32 v2, v2, v76, v69
	v_and_b32_e32 v57, 0xff, v39
	v_and_b32_e32 v66, 0xff, v41
	;; [unrolled: 1-line block ×4, first 2 shown]
	v_add3_u32 v3, v56, v64, v62
	v_add3_u32 v2, v2, v77, v71
	v_and_b32_e32 v58, 0xff, v43
	v_and_b32_e32 v68, 0xff, v45
	;; [unrolled: 1-line block ×3, first 2 shown]
	v_cndmask_b32_e64 v1, 0, 1, s[58:59]
	v_add3_u32 v3, v3, v57, v66
	v_add3_u32 v2, v2, v78, v73
	v_and_b32_e32 v59, 0xff, v47
	v_and_b32_e32 v70, 0xff, v49
	v_add3_u32 v3, v3, v58, v68
	v_add3_u32 v86, v2, v79, v1
	v_mbcnt_lo_u32_b32 v1, -1, 0
	v_and_b32_e32 v60, 0xff, v51
	v_and_b32_e32 v72, 0xff, v53
	v_add3_u32 v3, v3, v59, v70
	v_mbcnt_hi_u32_b32 v80, -1, v1
	v_and_b32_e32 v61, 0xff, v55
	v_add3_u32 v3, v3, v60, v72
	v_cndmask_b32_e64 v4, 0, 1, s[46:47]
	v_and_b32_e32 v84, 15, v80
	s_cmp_lg_u32 s6, 0
	v_add3_u32 v85, v3, v61, v4
	v_cmp_eq_u32_e64 s[4:5], 0, v84
	v_cmp_lt_u32_e64 s[2:3], 1, v84
	v_cmp_lt_u32_e64 s[8:9], 3, v84
	;; [unrolled: 1-line block ×3, first 2 shown]
	v_and_b32_e32 v83, 16, v80
	v_cmp_lt_u32_e32 vcc, 31, v80
	v_lshrrev_b32_e32 v81, 6, v0
	v_or_b32_e32 v82, 63, v0
	s_cbranch_scc0 .LBB1468_115
; %bb.87:
	v_mov_b32_dpp v1, v85 row_shr:1 row_mask:0xf bank_mask:0xf
	v_mov_b32_dpp v2, v86 row_shr:1 row_mask:0xf bank_mask:0xf
	v_add_u32_e32 v1, v1, v85
	v_add_u32_e32 v2, v2, v86
	v_cndmask_b32_e64 v2, v2, v86, s[4:5]
	v_cndmask_b32_e64 v1, v1, v85, s[4:5]
	s_nop 0
	v_mov_b32_dpp v4, v2 row_shr:2 row_mask:0xf bank_mask:0xf
	v_mov_b32_dpp v3, v1 row_shr:2 row_mask:0xf bank_mask:0xf
	v_add_u32_e32 v3, v1, v3
	v_add_u32_e32 v4, v2, v4
	v_cndmask_b32_e64 v2, v2, v4, s[2:3]
	v_cndmask_b32_e64 v1, v1, v3, s[2:3]
	s_nop 0
	v_mov_b32_dpp v4, v2 row_shr:4 row_mask:0xf bank_mask:0xf
	v_mov_b32_dpp v3, v1 row_shr:4 row_mask:0xf bank_mask:0xf
	v_add_u32_e32 v3, v1, v3
	v_add_u32_e32 v4, v2, v4
	v_cndmask_b32_e64 v2, v2, v4, s[8:9]
	v_cndmask_b32_e64 v1, v1, v3, s[8:9]
	v_cmp_eq_u32_e64 s[8:9], 0, v83
	v_mov_b32_dpp v4, v2 row_shr:8 row_mask:0xf bank_mask:0xf
	v_mov_b32_dpp v3, v1 row_shr:8 row_mask:0xf bank_mask:0xf
	v_add_u32_e32 v3, v1, v3
	v_add_u32_e32 v4, v2, v4
	v_cndmask_b32_e64 v2, v2, v4, s[10:11]
	v_cndmask_b32_e64 v1, v1, v3, s[10:11]
	s_nop 0
	v_mov_b32_dpp v4, v2 row_bcast:15 row_mask:0xf bank_mask:0xf
	v_mov_b32_dpp v3, v1 row_bcast:15 row_mask:0xf bank_mask:0xf
	v_add_u32_e32 v3, v1, v3
	v_add_u32_e32 v4, v2, v4
	v_cndmask_b32_e64 v2, v4, v2, s[8:9]
	v_cndmask_b32_e64 v1, v3, v1, s[8:9]
	s_nop 0
	v_mov_b32_dpp v4, v2 row_bcast:31 row_mask:0xf bank_mask:0xf
	v_mov_b32_dpp v3, v1 row_bcast:31 row_mask:0xf bank_mask:0xf
	v_add_u32_e32 v4, v2, v4
	v_add_u32_e32 v5, v1, v3
	v_cndmask_b32_e32 v3, v2, v4, vcc
	v_cndmask_b32_e32 v2, v1, v5, vcc
	v_cmp_eq_u32_e32 vcc, v82, v0
	s_and_saveexec_b64 s[8:9], vcc
	s_cbranch_execz .LBB1468_89
; %bb.88:
	v_lshlrev_b32_e32 v1, 3, v81
	ds_write_b64 v1, v[2:3]
.LBB1468_89:
	s_or_b64 exec, exec, s[8:9]
	v_cmp_gt_u32_e32 vcc, 4, v0
	s_waitcnt lgkmcnt(0)
	s_barrier
	s_and_saveexec_b64 s[8:9], vcc
	s_cbranch_execz .LBB1468_91
; %bb.90:
	v_lshlrev_b32_e32 v1, 3, v0
	ds_read_b64 v[4:5], v1
	v_and_b32_e32 v6, 3, v80
	v_cmp_eq_u32_e32 vcc, 0, v6
	s_waitcnt lgkmcnt(0)
	v_mov_b32_dpp v7, v4 row_shr:1 row_mask:0xf bank_mask:0xf
	v_mov_b32_dpp v20, v5 row_shr:1 row_mask:0xf bank_mask:0xf
	v_add_u32_e32 v7, v7, v4
	v_add_u32_e32 v20, v20, v5
	v_cndmask_b32_e32 v5, v20, v5, vcc
	v_cndmask_b32_e32 v4, v7, v4, vcc
	v_cmp_lt_u32_e32 vcc, 1, v6
	v_mov_b32_dpp v20, v5 row_shr:2 row_mask:0xf bank_mask:0xf
	v_mov_b32_dpp v7, v4 row_shr:2 row_mask:0xf bank_mask:0xf
	v_cndmask_b32_e32 v6, 0, v7, vcc
	v_cndmask_b32_e32 v7, 0, v20, vcc
	v_add_u32_e32 v5, v7, v5
	v_add_u32_e32 v4, v6, v4
	ds_write_b64 v1, v[4:5]
.LBB1468_91:
	s_or_b64 exec, exec, s[8:9]
	v_cmp_gt_u32_e32 vcc, 64, v0
	v_cmp_lt_u32_e64 s[8:9], 63, v0
	s_waitcnt lgkmcnt(0)
	s_barrier
	s_waitcnt lgkmcnt(0)
                                        ; implicit-def: $vgpr21
	s_and_saveexec_b64 s[10:11], s[8:9]
	s_xor_b64 s[8:9], exec, s[10:11]
	s_cbranch_execz .LBB1468_93
; %bb.92:
	v_lshl_add_u32 v1, v81, 3, -8
	ds_read_b64 v[20:21], v1
	s_waitcnt lgkmcnt(0)
	v_add_u32_e32 v3, v21, v3
	v_add_u32_e32 v2, v20, v2
.LBB1468_93:
	s_andn2_saveexec_b64 s[8:9], s[8:9]
; %bb.94:
                                        ; implicit-def: $vgpr20
; %bb.95:
	s_or_b64 exec, exec, s[8:9]
	v_add_u32_e32 v1, -1, v80
	v_and_b32_e32 v4, 64, v80
	v_cmp_lt_i32_e64 s[8:9], v1, v4
	v_cndmask_b32_e64 v1, v1, v80, s[8:9]
	v_lshlrev_b32_e32 v4, 2, v1
	ds_bpermute_b32 v1, v4, v2
	ds_bpermute_b32 v87, v4, v3
	v_cmp_eq_u32_e64 s[8:9], 0, v80
	s_and_saveexec_b64 s[10:11], vcc
	s_cbranch_execz .LBB1468_114
; %bb.96:
	v_mov_b32_e32 v7, 0
	ds_read_b64 v[22:23], v7 offset:24
	s_and_saveexec_b64 s[14:15], s[8:9]
	s_cbranch_execz .LBB1468_98
; %bb.97:
	s_add_i32 s16, s6, 64
	s_mov_b32 s17, 0
	s_lshl_b64 s[16:17], s[16:17], 4
	s_waitcnt lgkmcnt(0)
	v_and_b32_e32 v2, 0xff000000, v23
	v_and_b32_e32 v3, 0xff0000, v23
	s_add_u32 s16, s12, s16
	v_or_b32_e32 v2, v3, v2
	v_and_b32_e32 v3, 0xff00, v23
	s_addc_u32 s17, s13, s17
	v_or_b32_e32 v2, v2, v3
	v_or_b32_sdwa v5, v2, v23 dst_sel:DWORD dst_unused:UNUSED_PAD src0_sel:DWORD src1_sel:BYTE_0
	v_mov_b32_e32 v6, 1
	v_mov_b32_e32 v4, v22
	v_pk_mov_b32 v[2:3], s[16:17], s[16:17] op_sel:[0,1]
	;;#ASMSTART
	global_store_dwordx4 v[2:3], v[4:7] off	
s_waitcnt vmcnt(0)
	;;#ASMEND
.LBB1468_98:
	s_or_b64 exec, exec, s[14:15]
	v_xad_u32 v24, v80, -1, s6
	v_add_u32_e32 v6, 64, v24
	v_lshlrev_b64 v[2:3], 4, v[6:7]
	v_mov_b32_e32 v4, s13
	v_add_co_u32_e32 v26, vcc, s12, v2
	v_addc_co_u32_e32 v27, vcc, v4, v3, vcc
	;;#ASMSTART
	global_load_dwordx4 v[2:5], v[26:27] off glc	
s_waitcnt vmcnt(0)
	;;#ASMEND
	v_and_b32_e32 v5, 0xff, v3
	v_and_b32_e32 v6, 0xff00, v3
	v_or3_b32 v5, 0, v5, v6
	v_or3_b32 v2, v2, 0, 0
	v_and_b32_e32 v6, 0xff000000, v3
	v_and_b32_e32 v3, 0xff0000, v3
	v_or3_b32 v3, v5, v3, v6
	v_or3_b32 v2, v2, 0, 0
	v_cmp_eq_u16_sdwa s[16:17], v4, v7 src0_sel:BYTE_0 src1_sel:DWORD
	s_and_saveexec_b64 s[14:15], s[16:17]
	s_cbranch_execz .LBB1468_102
; %bb.99:
	s_mov_b64 s[16:17], 0
	v_mov_b32_e32 v6, 0
.LBB1468_100:                           ; =>This Inner Loop Header: Depth=1
	;;#ASMSTART
	global_load_dwordx4 v[2:5], v[26:27] off glc	
s_waitcnt vmcnt(0)
	;;#ASMEND
	v_cmp_ne_u16_sdwa s[20:21], v4, v6 src0_sel:BYTE_0 src1_sel:DWORD
	s_or_b64 s[16:17], s[20:21], s[16:17]
	s_andn2_b64 exec, exec, s[16:17]
	s_cbranch_execnz .LBB1468_100
; %bb.101:
	s_or_b64 exec, exec, s[16:17]
.LBB1468_102:
	s_or_b64 exec, exec, s[14:15]
	v_and_b32_e32 v89, 63, v80
	v_cmp_ne_u32_e32 vcc, 63, v89
	v_mov_b32_e32 v88, 2
	v_addc_co_u32_e32 v26, vcc, 0, v80, vcc
	v_cmp_eq_u16_sdwa s[14:15], v4, v88 src0_sel:BYTE_0 src1_sel:DWORD
	v_lshlrev_b64 v[6:7], v80, -1
	v_lshlrev_b32_e32 v90, 2, v26
	v_and_b32_e32 v5, s15, v7
	ds_bpermute_b32 v26, v90, v2
	ds_bpermute_b32 v27, v90, v3
	v_or_b32_e32 v5, 0x80000000, v5
	v_and_b32_e32 v25, s14, v6
	v_ffbl_b32_e32 v5, v5
	v_add_u32_e32 v5, 32, v5
	v_ffbl_b32_e32 v25, v25
	v_min_u32_e32 v5, v25, v5
	s_waitcnt lgkmcnt(1)
	v_add_u32_e32 v25, v26, v2
	s_waitcnt lgkmcnt(0)
	v_add_u32_e32 v26, v27, v3
	v_cmp_lt_u32_e32 vcc, v89, v5
	v_cndmask_b32_e32 v3, v3, v26, vcc
	v_cndmask_b32_e32 v2, v2, v25, vcc
	v_cmp_gt_u32_e32 vcc, 62, v89
	v_cndmask_b32_e64 v25, 0, 1, vcc
	v_lshlrev_b32_e32 v25, 1, v25
	v_add_lshl_u32 v91, v25, v80, 2
	ds_bpermute_b32 v25, v91, v2
	ds_bpermute_b32 v26, v91, v3
	v_add_u32_e32 v92, 2, v89
	v_cmp_gt_u32_e32 vcc, v92, v5
	v_add_u32_e32 v94, 4, v89
	s_waitcnt lgkmcnt(1)
	v_add_u32_e32 v25, v2, v25
	s_waitcnt lgkmcnt(0)
	v_add_u32_e32 v26, v3, v26
	v_cndmask_b32_e32 v3, v26, v3, vcc
	v_cndmask_b32_e32 v2, v25, v2, vcc
	v_cmp_gt_u32_e32 vcc, 60, v89
	v_cndmask_b32_e64 v25, 0, 1, vcc
	v_lshlrev_b32_e32 v25, 2, v25
	v_add_lshl_u32 v93, v25, v80, 2
	ds_bpermute_b32 v25, v93, v2
	ds_bpermute_b32 v26, v93, v3
	v_cmp_gt_u32_e32 vcc, v94, v5
	v_add_u32_e32 v96, 8, v89
	v_add_u32_e32 v98, 16, v89
	s_waitcnt lgkmcnt(1)
	v_add_u32_e32 v25, v2, v25
	s_waitcnt lgkmcnt(0)
	v_add_u32_e32 v26, v3, v26
	v_cndmask_b32_e32 v3, v26, v3, vcc
	v_cndmask_b32_e32 v2, v25, v2, vcc
	v_cmp_gt_u32_e32 vcc, 56, v89
	v_cndmask_b32_e64 v25, 0, 1, vcc
	v_lshlrev_b32_e32 v25, 3, v25
	v_add_lshl_u32 v95, v25, v80, 2
	ds_bpermute_b32 v25, v95, v2
	ds_bpermute_b32 v26, v95, v3
	v_cmp_gt_u32_e32 vcc, v96, v5
	v_add_u32_e32 v100, 32, v89
	s_waitcnt lgkmcnt(1)
	v_add_u32_e32 v25, v2, v25
	s_waitcnt lgkmcnt(0)
	v_add_u32_e32 v26, v3, v26
	v_cndmask_b32_e32 v3, v26, v3, vcc
	v_cndmask_b32_e32 v2, v25, v2, vcc
	v_cmp_gt_u32_e32 vcc, 48, v89
	v_cndmask_b32_e64 v25, 0, 1, vcc
	v_lshlrev_b32_e32 v25, 4, v25
	v_add_lshl_u32 v97, v25, v80, 2
	ds_bpermute_b32 v25, v97, v2
	ds_bpermute_b32 v26, v97, v3
	v_cmp_gt_u32_e32 vcc, v98, v5
	s_waitcnt lgkmcnt(1)
	v_add_u32_e32 v25, v2, v25
	s_waitcnt lgkmcnt(0)
	v_add_u32_e32 v26, v3, v26
	v_cndmask_b32_e32 v3, v26, v3, vcc
	v_cndmask_b32_e32 v2, v25, v2, vcc
	v_cmp_gt_u32_e32 vcc, 32, v89
	v_cndmask_b32_e64 v25, 0, 1, vcc
	v_lshlrev_b32_e32 v25, 5, v25
	v_add_lshl_u32 v99, v25, v80, 2
	ds_bpermute_b32 v25, v99, v2
	ds_bpermute_b32 v26, v99, v3
	v_cmp_le_u32_e32 vcc, v100, v5
	s_waitcnt lgkmcnt(1)
	v_cndmask_b32_e32 v5, 0, v25, vcc
	s_waitcnt lgkmcnt(0)
	v_cndmask_b32_e32 v25, 0, v26, vcc
	v_add_u32_e32 v3, v3, v25
	v_add_u32_e32 v2, v2, v5
	v_mov_b32_e32 v25, 0
	s_branch .LBB1468_104
.LBB1468_103:                           ;   in Loop: Header=BB1468_104 Depth=1
	s_or_b64 exec, exec, s[14:15]
	v_cmp_eq_u16_sdwa s[14:15], v4, v88 src0_sel:BYTE_0 src1_sel:DWORD
	v_and_b32_e32 v5, s15, v7
	ds_bpermute_b32 v29, v90, v2
	ds_bpermute_b32 v101, v90, v3
	v_or_b32_e32 v5, 0x80000000, v5
	v_and_b32_e32 v28, s14, v6
	v_ffbl_b32_e32 v5, v5
	v_add_u32_e32 v5, 32, v5
	v_ffbl_b32_e32 v28, v28
	v_min_u32_e32 v5, v28, v5
	s_waitcnt lgkmcnt(1)
	v_add_u32_e32 v28, v29, v2
	s_waitcnt lgkmcnt(0)
	v_add_u32_e32 v29, v101, v3
	v_cmp_lt_u32_e32 vcc, v89, v5
	v_cndmask_b32_e32 v3, v3, v29, vcc
	v_cndmask_b32_e32 v2, v2, v28, vcc
	ds_bpermute_b32 v28, v91, v2
	ds_bpermute_b32 v29, v91, v3
	v_cmp_gt_u32_e32 vcc, v92, v5
	v_subrev_u32_e32 v24, 64, v24
	s_waitcnt lgkmcnt(1)
	v_add_u32_e32 v28, v2, v28
	s_waitcnt lgkmcnt(0)
	v_add_u32_e32 v29, v3, v29
	v_cndmask_b32_e32 v3, v29, v3, vcc
	v_cndmask_b32_e32 v2, v28, v2, vcc
	ds_bpermute_b32 v28, v93, v2
	ds_bpermute_b32 v29, v93, v3
	v_cmp_gt_u32_e32 vcc, v94, v5
	s_waitcnt lgkmcnt(1)
	v_add_u32_e32 v28, v2, v28
	s_waitcnt lgkmcnt(0)
	v_add_u32_e32 v29, v3, v29
	v_cndmask_b32_e32 v3, v29, v3, vcc
	v_cndmask_b32_e32 v2, v28, v2, vcc
	ds_bpermute_b32 v28, v95, v2
	ds_bpermute_b32 v29, v95, v3
	v_cmp_gt_u32_e32 vcc, v96, v5
	;; [unrolled: 9-line block ×3, first 2 shown]
	s_waitcnt lgkmcnt(1)
	v_add_u32_e32 v28, v2, v28
	s_waitcnt lgkmcnt(0)
	v_add_u32_e32 v29, v3, v29
	v_cndmask_b32_e32 v3, v29, v3, vcc
	v_cndmask_b32_e32 v2, v28, v2, vcc
	ds_bpermute_b32 v28, v99, v2
	ds_bpermute_b32 v29, v99, v3
	v_cmp_le_u32_e32 vcc, v100, v5
	s_waitcnt lgkmcnt(1)
	v_cndmask_b32_e32 v5, 0, v28, vcc
	s_waitcnt lgkmcnt(0)
	v_cndmask_b32_e32 v28, 0, v29, vcc
	v_add3_u32 v3, v28, v27, v3
	v_add3_u32 v2, v5, v26, v2
.LBB1468_104:                           ; =>This Loop Header: Depth=1
                                        ;     Child Loop BB1468_107 Depth 2
	v_cmp_ne_u16_sdwa s[14:15], v4, v88 src0_sel:BYTE_0 src1_sel:DWORD
	v_cndmask_b32_e64 v4, 0, 1, s[14:15]
	;;#ASMSTART
	;;#ASMEND
	v_cmp_ne_u32_e32 vcc, 0, v4
	s_cmp_lg_u64 vcc, exec
	v_pk_mov_b32 v[26:27], v[2:3], v[2:3] op_sel:[0,1]
	s_cbranch_scc1 .LBB1468_109
; %bb.105:                              ;   in Loop: Header=BB1468_104 Depth=1
	v_lshlrev_b64 v[2:3], 4, v[24:25]
	v_mov_b32_e32 v4, s13
	v_add_co_u32_e32 v28, vcc, s12, v2
	v_addc_co_u32_e32 v29, vcc, v4, v3, vcc
	;;#ASMSTART
	global_load_dwordx4 v[2:5], v[28:29] off glc	
s_waitcnt vmcnt(0)
	;;#ASMEND
	v_and_b32_e32 v5, 0xff, v3
	v_and_b32_e32 v101, 0xff00, v3
	v_or3_b32 v5, 0, v5, v101
	v_or3_b32 v2, v2, 0, 0
	v_and_b32_e32 v101, 0xff000000, v3
	v_and_b32_e32 v3, 0xff0000, v3
	v_or3_b32 v3, v5, v3, v101
	v_or3_b32 v2, v2, 0, 0
	v_cmp_eq_u16_sdwa s[16:17], v4, v25 src0_sel:BYTE_0 src1_sel:DWORD
	s_and_saveexec_b64 s[14:15], s[16:17]
	s_cbranch_execz .LBB1468_103
; %bb.106:                              ;   in Loop: Header=BB1468_104 Depth=1
	s_mov_b64 s[16:17], 0
.LBB1468_107:                           ;   Parent Loop BB1468_104 Depth=1
                                        ; =>  This Inner Loop Header: Depth=2
	;;#ASMSTART
	global_load_dwordx4 v[2:5], v[28:29] off glc	
s_waitcnt vmcnt(0)
	;;#ASMEND
	v_cmp_ne_u16_sdwa s[20:21], v4, v25 src0_sel:BYTE_0 src1_sel:DWORD
	s_or_b64 s[16:17], s[20:21], s[16:17]
	s_andn2_b64 exec, exec, s[16:17]
	s_cbranch_execnz .LBB1468_107
; %bb.108:                              ;   in Loop: Header=BB1468_104 Depth=1
	s_or_b64 exec, exec, s[16:17]
	s_branch .LBB1468_103
.LBB1468_109:                           ;   in Loop: Header=BB1468_104 Depth=1
                                        ; implicit-def: $vgpr4
                                        ; implicit-def: $vgpr2_vgpr3
	s_cbranch_execz .LBB1468_104
; %bb.110:
	s_and_saveexec_b64 s[14:15], s[8:9]
	s_cbranch_execz .LBB1468_112
; %bb.111:
	s_add_i32 s6, s6, 64
	s_mov_b32 s7, 0
	v_add_u32_e32 v3, v27, v23
	s_lshl_b64 s[6:7], s[6:7], 4
	s_add_u32 s6, s12, s6
	v_and_b32_e32 v4, 0xff000000, v3
	v_and_b32_e32 v6, 0xff0000, v3
	s_addc_u32 s7, s13, s7
	v_or_b32_e32 v4, v6, v4
	v_and_b32_e32 v6, 0xff00, v3
	v_and_b32_e32 v3, 0xff, v3
	v_add_u32_e32 v2, v26, v22
	v_mov_b32_e32 v5, 0
	v_or3_b32 v3, v4, v6, v3
	v_mov_b32_e32 v4, 2
	v_pk_mov_b32 v[6:7], s[6:7], s[6:7] op_sel:[0,1]
	;;#ASMSTART
	global_store_dwordx4 v[6:7], v[2:5] off	
s_waitcnt vmcnt(0)
	;;#ASMEND
	s_movk_i32 s6, 0x3400
	v_add_u32_e64 v2, s6, 0
	ds_write2_b32 v2, v22, v23 offset1:2
	ds_write2_b32 v2, v26, v27 offset0:4 offset1:6
.LBB1468_112:
	s_or_b64 exec, exec, s[14:15]
	v_cmp_eq_u32_e32 vcc, 0, v0
	s_and_b64 exec, exec, vcc
	s_cbranch_execz .LBB1468_114
; %bb.113:
	v_mov_b32_e32 v2, 0
	ds_write_b64 v2, v[26:27] offset:24
.LBB1468_114:
	s_or_b64 exec, exec, s[10:11]
	v_mov_b32_e32 v2, 0
	s_waitcnt lgkmcnt(0)
	s_barrier
	ds_read_b64 v[6:7], v2 offset:24
	s_movk_i32 s6, 0x3400
	v_cndmask_b32_e64 v2, v87, v21, s[8:9]
	v_cndmask_b32_e64 v1, v1, v20, s[8:9]
	v_add_u32_e64 v4, s6, 0
	s_waitcnt lgkmcnt(0)
	v_add_u32_e32 v20, v6, v1
	v_add_u32_e32 v1, v7, v2
	s_barrier
	ds_read2_b32 v[2:3], v4 offset1:2
	ds_read2_b32 v[4:5], v4 offset0:4 offset1:6
	v_cmp_eq_u32_e32 vcc, 0, v0
	v_cndmask_b32_e32 v1, v1, v7, vcc
	v_cndmask_b32_e32 v20, v20, v6, vcc
	s_branch .LBB1468_125
.LBB1468_115:
                                        ; implicit-def: $vgpr1
                                        ; implicit-def: $vgpr4
                                        ; implicit-def: $vgpr2
                                        ; implicit-def: $vgpr20_vgpr21
	s_cbranch_execz .LBB1468_125
; %bb.116:
	s_nop 0
	v_mov_b32_dpp v1, v85 row_shr:1 row_mask:0xf bank_mask:0xf
	s_waitcnt lgkmcnt(0)
	v_mov_b32_dpp v2, v86 row_shr:1 row_mask:0xf bank_mask:0xf
	v_add_u32_e32 v1, v1, v85
	v_add_u32_e32 v2, v2, v86
	v_cndmask_b32_e64 v2, v2, v86, s[4:5]
	v_cndmask_b32_e64 v1, v1, v85, s[4:5]
	v_cmp_lt_u32_e32 vcc, 3, v84
	v_mov_b32_dpp v4, v2 row_shr:2 row_mask:0xf bank_mask:0xf
	v_mov_b32_dpp v3, v1 row_shr:2 row_mask:0xf bank_mask:0xf
	v_add_u32_e32 v3, v1, v3
	v_add_u32_e32 v4, v2, v4
	v_cndmask_b32_e64 v2, v2, v4, s[2:3]
	v_cndmask_b32_e64 v1, v1, v3, s[2:3]
	s_nop 0
	v_mov_b32_dpp v4, v2 row_shr:4 row_mask:0xf bank_mask:0xf
	v_mov_b32_dpp v3, v1 row_shr:4 row_mask:0xf bank_mask:0xf
	v_add_u32_e32 v3, v1, v3
	v_add_u32_e32 v4, v2, v4
	v_cndmask_b32_e32 v2, v2, v4, vcc
	v_cndmask_b32_e32 v1, v1, v3, vcc
	v_cmp_lt_u32_e32 vcc, 7, v84
	v_mov_b32_dpp v4, v2 row_shr:8 row_mask:0xf bank_mask:0xf
	v_mov_b32_dpp v3, v1 row_shr:8 row_mask:0xf bank_mask:0xf
	v_add_u32_e32 v3, v1, v3
	v_add_u32_e32 v4, v2, v4
	v_cndmask_b32_e32 v2, v2, v4, vcc
	v_cndmask_b32_e32 v1, v1, v3, vcc
	v_cmp_eq_u32_e32 vcc, 0, v83
	v_mov_b32_dpp v4, v2 row_bcast:15 row_mask:0xf bank_mask:0xf
	v_mov_b32_dpp v3, v1 row_bcast:15 row_mask:0xf bank_mask:0xf
	v_add_u32_e32 v3, v1, v3
	v_add_u32_e32 v4, v2, v4
	v_cndmask_b32_e32 v2, v4, v2, vcc
	v_cndmask_b32_e32 v1, v3, v1, vcc
	v_cmp_lt_u32_e32 vcc, 31, v80
	v_mov_b32_dpp v4, v2 row_bcast:31 row_mask:0xf bank_mask:0xf
	v_mov_b32_dpp v3, v1 row_bcast:31 row_mask:0xf bank_mask:0xf
	v_add_u32_e32 v4, v2, v4
	v_add_u32_e32 v5, v1, v3
	v_cndmask_b32_e32 v3, v2, v4, vcc
	v_cndmask_b32_e32 v2, v1, v5, vcc
	v_cmp_eq_u32_e32 vcc, v82, v0
	s_and_saveexec_b64 s[2:3], vcc
	s_cbranch_execz .LBB1468_118
; %bb.117:
	v_lshlrev_b32_e32 v1, 3, v81
	ds_write_b64 v1, v[2:3]
.LBB1468_118:
	s_or_b64 exec, exec, s[2:3]
	v_cmp_gt_u32_e32 vcc, 4, v0
	s_waitcnt lgkmcnt(0)
	s_barrier
	s_and_saveexec_b64 s[2:3], vcc
	s_cbranch_execz .LBB1468_120
; %bb.119:
	v_lshlrev_b32_e32 v1, 3, v0
	ds_read_b64 v[4:5], v1
	v_and_b32_e32 v6, 3, v80
	v_cmp_eq_u32_e32 vcc, 0, v6
	s_waitcnt lgkmcnt(0)
	v_mov_b32_dpp v7, v4 row_shr:1 row_mask:0xf bank_mask:0xf
	v_mov_b32_dpp v20, v5 row_shr:1 row_mask:0xf bank_mask:0xf
	v_add_u32_e32 v7, v7, v4
	v_add_u32_e32 v20, v20, v5
	v_cndmask_b32_e32 v5, v20, v5, vcc
	v_cndmask_b32_e32 v4, v7, v4, vcc
	v_cmp_lt_u32_e32 vcc, 1, v6
	v_mov_b32_dpp v20, v5 row_shr:2 row_mask:0xf bank_mask:0xf
	v_mov_b32_dpp v7, v4 row_shr:2 row_mask:0xf bank_mask:0xf
	v_cndmask_b32_e32 v6, 0, v7, vcc
	v_cndmask_b32_e32 v7, 0, v20, vcc
	v_add_u32_e32 v5, v7, v5
	v_add_u32_e32 v4, v6, v4
	ds_write_b64 v1, v[4:5]
.LBB1468_120:
	s_or_b64 exec, exec, s[2:3]
	v_cmp_lt_u32_e32 vcc, 63, v0
	v_mov_b32_e32 v4, 0
	v_mov_b32_e32 v6, 0
	;; [unrolled: 1-line block ×3, first 2 shown]
	s_waitcnt lgkmcnt(0)
	s_barrier
	s_and_saveexec_b64 s[2:3], vcc
	s_cbranch_execz .LBB1468_122
; %bb.121:
	v_lshl_add_u32 v1, v81, 3, -8
	ds_read_b64 v[6:7], v1
.LBB1468_122:
	s_or_b64 exec, exec, s[2:3]
	s_waitcnt lgkmcnt(0)
	v_add_u32_e32 v5, v7, v3
	v_add_u32_e32 v1, v6, v2
	v_add_u32_e32 v2, -1, v80
	v_and_b32_e32 v3, 64, v80
	v_cmp_lt_i32_e32 vcc, v2, v3
	v_cndmask_b32_e32 v2, v2, v80, vcc
	v_lshlrev_b32_e32 v20, 2, v2
	ds_read_b64 v[2:3], v4 offset:24
	ds_bpermute_b32 v1, v20, v1
	ds_bpermute_b32 v20, v20, v5
	v_cmp_eq_u32_e32 vcc, 0, v0
	s_waitcnt lgkmcnt(2)
	v_readfirstlane_b32 s4, v3
	s_and_saveexec_b64 s[2:3], vcc
	s_cbranch_execz .LBB1468_124
; %bb.123:
	s_add_u32 s6, s12, 0x400
	s_mov_b32 s8, 0
	s_addc_u32 s7, s13, 0
	s_and_b32 s9, s4, 0xff000000
	s_and_b32 s11, s4, 0xff0000
	s_mov_b32 s10, s8
	s_or_b64 s[10:11], s[10:11], s[8:9]
	s_and_b32 s9, s4, 0xff00
	s_or_b64 s[10:11], s[10:11], s[8:9]
	s_and_b32 s9, s4, 0xff
	s_or_b64 s[8:9], s[10:11], s[8:9]
	v_mov_b32_e32 v3, s9
	v_mov_b32_e32 v4, 2
	;; [unrolled: 1-line block ×3, first 2 shown]
	v_pk_mov_b32 v[22:23], s[6:7], s[6:7] op_sel:[0,1]
	;;#ASMSTART
	global_store_dwordx4 v[22:23], v[2:5] off	
s_waitcnt vmcnt(0)
	;;#ASMEND
.LBB1468_124:
	s_or_b64 exec, exec, s[2:3]
	v_cmp_eq_u32_e64 s[2:3], 0, v80
	s_waitcnt lgkmcnt(1)
	v_cndmask_b32_e64 v3, v1, v6, s[2:3]
	s_waitcnt lgkmcnt(0)
	v_cndmask_b32_e64 v1, v20, v7, s[2:3]
	v_mov_b32_e32 v4, 0
	v_cndmask_b32_e64 v1, v1, 0, vcc
	v_cndmask_b32_e64 v20, v3, 0, vcc
	s_barrier
	v_mov_b32_e32 v3, s4
	v_mov_b32_e32 v5, 0
.LBB1468_125:
	v_add_u32_e32 v24, v1, v63
	v_add_u32_e32 v25, v24, v74
	;; [unrolled: 1-line block ×14, first 2 shown]
	v_mov_b32_e32 v7, s49
	s_waitcnt lgkmcnt(0)
	v_add_co_u32_e32 v6, vcc, s48, v4
	v_add_u32_e32 v64, v58, v68
	v_add_u32_e32 v68, v66, v71
	v_addc_co_u32_e32 v7, vcc, 0, v7, vcc
	v_add_u32_e32 v69, v68, v78
	v_mov_b32_e32 v22, s51
	v_sub_co_u32_e32 v23, vcc, s50, v2
	v_add_u32_e32 v71, v69, v73
	v_subbrev_co_u32_e32 v73, vcc, 0, v22, vcc
	v_add_co_u32_e32 v22, vcc, v23, v5
	v_addc_co_u32_e32 v23, vcc, 0, v73, vcc
	v_lshlrev_b32_e32 v73, 1, v2
	v_sub_u32_e32 v1, v1, v5
	v_add_u32_e32 v74, v73, v3
	v_sub_u32_e32 v20, v20, v4
	v_add_u32_e32 v1, v1, v2
	v_add_u32_e32 v31, v74, v31
	v_and_b32_e32 v33, 1, v33
	v_add_u32_e32 v74, v20, v1
	v_and_b32_e32 v32, 1, v32
	v_sub_u32_e32 v74, v31, v74
	v_cmp_eq_u32_e32 vcc, 1, v33
	v_cndmask_b32_e32 v1, v74, v1, vcc
	v_cmp_eq_u32_e32 vcc, 1, v32
	v_cndmask_b32_e32 v1, v1, v20, vcc
	v_lshlrev_b32_e32 v1, 2, v1
	v_sub_u32_e32 v20, v24, v5
	ds_write_b32 v1, v18
	v_sub_u32_e32 v1, v21, v4
	v_add_u32_e32 v20, v20, v2
	v_add_u32_e32 v24, v20, v1
	v_and_b32_e32 v21, 1, v35
	v_sub_u32_e32 v24, v31, v24
	v_and_b32_e32 v18, 1, v34
	v_add_u32_e32 v24, 1, v24
	v_cmp_eq_u32_e32 vcc, 1, v21
	v_cndmask_b32_e32 v20, v24, v20, vcc
	v_cmp_eq_u32_e32 vcc, 1, v18
	v_cndmask_b32_e32 v1, v20, v1, vcc
	v_lshlrev_b32_e32 v1, 2, v1
	ds_write_b32 v1, v19
	v_sub_u32_e32 v19, v25, v5
	v_sub_u32_e32 v1, v26, v4
	v_add_u32_e32 v19, v19, v2
	v_add_u32_e32 v21, v19, v1
	v_and_b32_e32 v20, 1, v37
	v_sub_u32_e32 v21, v31, v21
	v_and_b32_e32 v18, 1, v36
	v_add_u32_e32 v21, 2, v21
	v_cmp_eq_u32_e32 vcc, 1, v20
	v_cndmask_b32_e32 v19, v21, v19, vcc
	v_cmp_eq_u32_e32 vcc, 1, v18
	v_cndmask_b32_e32 v1, v19, v1, vcc
	v_lshlrev_b32_e32 v1, 2, v1
	v_sub_u32_e32 v18, v28, v5
	ds_write_b32 v1, v16
	v_sub_u32_e32 v1, v27, v4
	v_add_u32_e32 v18, v18, v2
	v_add_u32_e32 v20, v1, v18
	v_and_b32_e32 v19, 1, v38
	v_sub_u32_e32 v20, v31, v20
	v_and_b32_e32 v16, 1, v39
	v_add_u32_e32 v20, 3, v20
	v_cmp_eq_u32_e32 vcc, 1, v19
	v_cndmask_b32_e32 v18, v20, v18, vcc
	v_cmp_eq_u32_e32 vcc, 1, v16
	v_cndmask_b32_e32 v1, v18, v1, vcc
	v_lshlrev_b32_e32 v1, 2, v1
	ds_write_b32 v1, v17
	v_sub_u32_e32 v17, v29, v5
	v_sub_u32_e32 v1, v56, v4
	v_add_u32_e32 v17, v17, v2
	v_add_u32_e32 v19, v1, v17
	v_and_b32_e32 v18, 1, v40
	v_sub_u32_e32 v19, v31, v19
	v_and_b32_e32 v16, 1, v41
	v_add_u32_e32 v19, 4, v19
	;; [unrolled: 28-line block ×3, first 2 shown]
	v_cmp_eq_u32_e32 vcc, 1, v16
	v_cndmask_b32_e32 v15, v17, v15, vcc
	v_cmp_eq_u32_e32 vcc, 1, v14
	v_cndmask_b32_e32 v1, v15, v1, vcc
	v_lshlrev_b32_e32 v1, 2, v1
	v_sub_u32_e32 v14, v65, v5
	ds_write_b32 v1, v12
	v_sub_u32_e32 v1, v64, v4
	v_add_u32_e32 v14, v14, v2
	v_add_u32_e32 v16, v1, v14
	v_and_b32_e32 v15, 1, v46
	v_sub_u32_e32 v16, v31, v16
	v_and_b32_e32 v12, 1, v47
	v_add_u32_e32 v16, 7, v16
	v_cmp_eq_u32_e32 vcc, 1, v15
	v_cndmask_b32_e32 v14, v16, v14, vcc
	v_cmp_eq_u32_e32 vcc, 1, v12
	v_cndmask_b32_e32 v1, v14, v1, vcc
	v_lshlrev_b32_e32 v1, 2, v1
	v_add_u32_e32 v59, v64, v59
	ds_write_b32 v1, v13
	v_sub_u32_e32 v13, v66, v5
	v_sub_u32_e32 v1, v59, v4
	v_add_u32_e32 v13, v13, v2
	v_add_u32_e32 v15, v1, v13
	v_and_b32_e32 v14, 1, v48
	v_sub_u32_e32 v15, v31, v15
	v_and_b32_e32 v12, 1, v49
	v_add_u32_e32 v15, 8, v15
	v_cmp_eq_u32_e32 vcc, 1, v14
	v_cndmask_b32_e32 v13, v15, v13, vcc
	v_cmp_eq_u32_e32 vcc, 1, v12
	v_cndmask_b32_e32 v1, v13, v1, vcc
	v_add_u32_e32 v67, v59, v70
	v_lshlrev_b32_e32 v1, 2, v1
	v_sub_u32_e32 v12, v68, v5
	ds_write_b32 v1, v10
	v_sub_u32_e32 v1, v67, v4
	v_add_u32_e32 v12, v12, v2
	v_add_u32_e32 v14, v1, v12
	v_and_b32_e32 v13, 1, v50
	v_sub_u32_e32 v14, v31, v14
	v_and_b32_e32 v10, 1, v51
	v_add_u32_e32 v14, 9, v14
	v_cmp_eq_u32_e32 vcc, 1, v13
	v_cndmask_b32_e32 v12, v14, v12, vcc
	v_cmp_eq_u32_e32 vcc, 1, v10
	v_cndmask_b32_e32 v1, v12, v1, vcc
	v_lshlrev_b32_e32 v1, 2, v1
	v_add_u32_e32 v60, v67, v60
	ds_write_b32 v1, v11
	v_sub_u32_e32 v11, v69, v5
	v_sub_u32_e32 v1, v60, v4
	v_add_u32_e32 v11, v11, v2
	v_add_u32_e32 v13, v1, v11
	v_and_b32_e32 v12, 1, v52
	v_sub_u32_e32 v13, v31, v13
	v_and_b32_e32 v10, 1, v53
	v_add_u32_e32 v13, 10, v13
	v_cmp_eq_u32_e32 vcc, 1, v12
	v_cndmask_b32_e32 v11, v13, v11, vcc
	v_cmp_eq_u32_e32 vcc, 1, v10
	v_cndmask_b32_e32 v1, v11, v1, vcc
	v_add_u32_e32 v70, v60, v72
	v_lshlrev_b32_e32 v1, 2, v1
	v_sub_u32_e32 v10, v71, v5
	ds_write_b32 v1, v8
	v_sub_u32_e32 v1, v70, v4
	v_add_u32_e32 v10, v10, v2
	v_add_u32_e32 v12, v1, v10
	v_and_b32_e32 v11, 1, v54
	v_sub_u32_e32 v12, v31, v12
	v_and_b32_e32 v8, 1, v55
	v_add_u32_e32 v12, 11, v12
	v_cmp_eq_u32_e32 vcc, 1, v11
	v_cndmask_b32_e32 v10, v12, v10, vcc
	v_cmp_eq_u32_e32 vcc, 1, v8
	v_cndmask_b32_e32 v1, v10, v1, vcc
	v_add_u32_e32 v72, v71, v79
	v_add_u32_e32 v61, v70, v61
	v_lshlrev_b32_e32 v1, 2, v1
	ds_write_b32 v1, v9
	v_sub_u32_e32 v1, v61, v4
	v_sub_u32_e32 v4, v72, v5
	v_add_u32_e32 v4, v4, v2
	v_add_u32_e32 v8, v1, v4
	v_sub_u32_e32 v8, v31, v8
	v_add_u32_e32 v8, 12, v8
	v_cndmask_b32_e64 v4, v8, v4, s[58:59]
	v_cndmask_b32_e64 v1, v4, v1, s[46:47]
	v_lshlrev_b32_e32 v1, 2, v1
	ds_write_b32 v1, v30
	v_add_co_u32_e32 v1, vcc, v3, v73
	v_addc_co_u32_e64 v4, s[2:3], 0, 0, vcc
	v_add_co_u32_e32 v1, vcc, v1, v22
	v_addc_co_u32_e32 v4, vcc, v4, v23, vcc
	s_add_u32 s4, s56, s33
	v_add_co_u32_e32 v1, vcc, v1, v6
	s_addc_u32 s5, s57, 0
	v_addc_co_u32_e32 v4, vcc, v4, v7, vcc
	v_mov_b32_e32 v8, s5
	v_sub_co_u32_e32 v1, vcc, s4, v1
	v_subb_co_u32_e32 v4, vcc, v8, v4, vcc
	v_lshlrev_b64 v[8:9], 2, v[22:23]
	v_mov_b32_e32 v10, s55
	v_add_co_u32_e32 v8, vcc, s54, v8
	v_addc_co_u32_e32 v9, vcc, v10, v9, vcc
	v_lshlrev_b64 v[10:11], 2, v[6:7]
	v_mov_b32_e32 v13, s53
	v_add_co_u32_e32 v10, vcc, s52, v10
	s_add_u32 s6, s34, -4
	v_addc_co_u32_e32 v11, vcc, v13, v11, vcc
	s_addc_u32 s7, s35, -1
	v_add_u32_e32 v12, v2, v3
	s_and_b64 vcc, exec, s[0:1]
	s_mov_b64 s[0:1], -1
	s_waitcnt lgkmcnt(0)
	s_barrier
	s_cbranch_vccz .LBB1468_129
; %bb.126:
	s_and_b64 vcc, exec, s[0:1]
	s_cbranch_vccnz .LBB1468_234
.LBB1468_127:
	v_cmp_eq_u32_e32 vcc, 0, v0
	s_and_b64 s[0:1], vcc, s[30:31]
	s_and_saveexec_b64 s[2:3], s[0:1]
	s_cbranch_execnz .LBB1468_352
.LBB1468_128:
	s_endpgm
.LBB1468_129:
	v_cmp_le_u32_e32 vcc, v2, v0
	s_and_saveexec_b64 s[0:1], vcc
	s_xor_b64 s[0:1], exec, s[0:1]
	s_cbranch_execz .LBB1468_135
; %bb.130:
	v_cmp_le_u32_e32 vcc, v12, v0
	s_and_saveexec_b64 s[2:3], vcc
	s_xor_b64 s[2:3], exec, s[2:3]
	s_cbranch_execz .LBB1468_132
; %bb.131:
	v_lshlrev_b32_e32 v13, 2, v0
	v_add_co_u32_e32 v14, vcc, v1, v0
	ds_read_b32 v13, v13
	v_addc_co_u32_e32 v15, vcc, 0, v4, vcc
	v_lshlrev_b64 v[14:15], 2, v[14:15]
	v_mov_b32_e32 v16, s35
	v_sub_co_u32_e32 v14, vcc, s34, v14
	v_subb_co_u32_e32 v15, vcc, v16, v15, vcc
	s_waitcnt lgkmcnt(0)
	global_store_dword v[14:15], v13, off offset:-4
.LBB1468_132:
	s_andn2_saveexec_b64 s[2:3], s[2:3]
	s_cbranch_execz .LBB1468_134
; %bb.133:
	v_lshlrev_b32_e32 v13, 2, v0
	ds_read_b32 v14, v13
	v_readfirstlane_b32 s4, v8
	v_readfirstlane_b32 s5, v9
	s_waitcnt lgkmcnt(0)
	s_nop 3
	global_store_dword v13, v14, s[4:5]
.LBB1468_134:
	s_or_b64 exec, exec, s[2:3]
.LBB1468_135:
	s_andn2_saveexec_b64 s[0:1], s[0:1]
	s_cbranch_execz .LBB1468_137
; %bb.136:
	v_lshlrev_b32_e32 v13, 2, v0
	ds_read_b32 v14, v13
	v_readfirstlane_b32 s2, v10
	v_readfirstlane_b32 s3, v11
	s_waitcnt lgkmcnt(0)
	s_nop 3
	global_store_dword v13, v14, s[2:3]
.LBB1468_137:
	s_or_b64 exec, exec, s[0:1]
	v_or_b32_e32 v13, 0x100, v0
	v_cmp_le_u32_e32 vcc, v2, v13
	s_and_saveexec_b64 s[0:1], vcc
	s_xor_b64 s[0:1], exec, s[0:1]
	s_cbranch_execz .LBB1468_143
; %bb.138:
	v_cmp_le_u32_e32 vcc, v12, v13
	s_and_saveexec_b64 s[2:3], vcc
	s_xor_b64 s[2:3], exec, s[2:3]
	s_cbranch_execz .LBB1468_140
; %bb.139:
	v_lshlrev_b32_e32 v13, 2, v0
	ds_read_b32 v13, v13 offset:1024
	v_add_co_u32_e32 v14, vcc, v1, v0
	v_addc_co_u32_e32 v15, vcc, 0, v4, vcc
	v_lshlrev_b64 v[14:15], 2, v[14:15]
	v_mov_b32_e32 v16, s7
	v_sub_co_u32_e32 v14, vcc, s6, v14
	v_subb_co_u32_e32 v15, vcc, v16, v15, vcc
	s_waitcnt lgkmcnt(0)
	global_store_dword v[14:15], v13, off offset:-1024
.LBB1468_140:
	s_andn2_saveexec_b64 s[2:3], s[2:3]
	s_cbranch_execz .LBB1468_142
; %bb.141:
	v_lshlrev_b32_e32 v13, 2, v0
	ds_read_b32 v14, v13 offset:1024
	v_readfirstlane_b32 s4, v8
	v_readfirstlane_b32 s5, v9
	s_waitcnt lgkmcnt(0)
	s_nop 3
	global_store_dword v13, v14, s[4:5] offset:1024
.LBB1468_142:
	s_or_b64 exec, exec, s[2:3]
.LBB1468_143:
	s_andn2_saveexec_b64 s[0:1], s[0:1]
	s_cbranch_execz .LBB1468_145
; %bb.144:
	v_lshlrev_b32_e32 v13, 2, v0
	ds_read_b32 v14, v13 offset:1024
	v_readfirstlane_b32 s2, v10
	v_readfirstlane_b32 s3, v11
	s_waitcnt lgkmcnt(0)
	s_nop 3
	global_store_dword v13, v14, s[2:3] offset:1024
.LBB1468_145:
	s_or_b64 exec, exec, s[0:1]
	v_or_b32_e32 v13, 0x200, v0
	v_cmp_le_u32_e32 vcc, v2, v13
	s_and_saveexec_b64 s[0:1], vcc
	s_xor_b64 s[0:1], exec, s[0:1]
	s_cbranch_execz .LBB1468_151
; %bb.146:
	v_cmp_le_u32_e32 vcc, v12, v13
	s_and_saveexec_b64 s[2:3], vcc
	s_xor_b64 s[2:3], exec, s[2:3]
	s_cbranch_execz .LBB1468_148
; %bb.147:
	v_lshlrev_b32_e32 v13, 2, v0
	ds_read_b32 v13, v13 offset:2048
	v_add_co_u32_e32 v14, vcc, v1, v0
	v_addc_co_u32_e32 v15, vcc, 0, v4, vcc
	v_lshlrev_b64 v[14:15], 2, v[14:15]
	v_mov_b32_e32 v16, s7
	v_sub_co_u32_e32 v14, vcc, s6, v14
	v_subb_co_u32_e32 v15, vcc, v16, v15, vcc
	s_waitcnt lgkmcnt(0)
	global_store_dword v[14:15], v13, off offset:-2048
.LBB1468_148:
	s_andn2_saveexec_b64 s[2:3], s[2:3]
	s_cbranch_execz .LBB1468_150
; %bb.149:
	v_lshlrev_b32_e32 v13, 2, v0
	ds_read_b32 v14, v13 offset:2048
	v_readfirstlane_b32 s4, v8
	v_readfirstlane_b32 s5, v9
	s_waitcnt lgkmcnt(0)
	s_nop 3
	global_store_dword v13, v14, s[4:5] offset:2048
.LBB1468_150:
	s_or_b64 exec, exec, s[2:3]
.LBB1468_151:
	s_andn2_saveexec_b64 s[0:1], s[0:1]
	s_cbranch_execz .LBB1468_153
; %bb.152:
	v_lshlrev_b32_e32 v13, 2, v0
	ds_read_b32 v14, v13 offset:2048
	v_readfirstlane_b32 s2, v10
	v_readfirstlane_b32 s3, v11
	s_waitcnt lgkmcnt(0)
	s_nop 3
	global_store_dword v13, v14, s[2:3] offset:2048
.LBB1468_153:
	s_or_b64 exec, exec, s[0:1]
	v_or_b32_e32 v13, 0x300, v0
	v_cmp_le_u32_e32 vcc, v2, v13
	s_and_saveexec_b64 s[0:1], vcc
	s_xor_b64 s[0:1], exec, s[0:1]
	s_cbranch_execz .LBB1468_159
; %bb.154:
	v_cmp_le_u32_e32 vcc, v12, v13
	s_and_saveexec_b64 s[2:3], vcc
	s_xor_b64 s[2:3], exec, s[2:3]
	s_cbranch_execz .LBB1468_156
; %bb.155:
	v_lshlrev_b32_e32 v13, 2, v0
	ds_read_b32 v13, v13 offset:3072
	v_add_co_u32_e32 v14, vcc, v1, v0
	v_addc_co_u32_e32 v15, vcc, 0, v4, vcc
	v_lshlrev_b64 v[14:15], 2, v[14:15]
	v_mov_b32_e32 v16, s7
	v_sub_co_u32_e32 v14, vcc, s6, v14
	v_subb_co_u32_e32 v15, vcc, v16, v15, vcc
	s_waitcnt lgkmcnt(0)
	global_store_dword v[14:15], v13, off offset:-3072
.LBB1468_156:
	s_andn2_saveexec_b64 s[2:3], s[2:3]
	s_cbranch_execz .LBB1468_158
; %bb.157:
	v_lshlrev_b32_e32 v13, 2, v0
	ds_read_b32 v14, v13 offset:3072
	v_readfirstlane_b32 s4, v8
	v_readfirstlane_b32 s5, v9
	s_waitcnt lgkmcnt(0)
	s_nop 3
	global_store_dword v13, v14, s[4:5] offset:3072
.LBB1468_158:
	s_or_b64 exec, exec, s[2:3]
.LBB1468_159:
	s_andn2_saveexec_b64 s[0:1], s[0:1]
	s_cbranch_execz .LBB1468_161
; %bb.160:
	v_lshlrev_b32_e32 v13, 2, v0
	ds_read_b32 v14, v13 offset:3072
	v_readfirstlane_b32 s2, v10
	v_readfirstlane_b32 s3, v11
	s_waitcnt lgkmcnt(0)
	s_nop 3
	global_store_dword v13, v14, s[2:3] offset:3072
.LBB1468_161:
	s_or_b64 exec, exec, s[0:1]
	v_or_b32_e32 v13, 0x400, v0
	v_cmp_le_u32_e32 vcc, v2, v13
	s_and_saveexec_b64 s[0:1], vcc
	s_xor_b64 s[0:1], exec, s[0:1]
	s_cbranch_execz .LBB1468_167
; %bb.162:
	v_cmp_le_u32_e32 vcc, v12, v13
	s_and_saveexec_b64 s[2:3], vcc
	s_xor_b64 s[2:3], exec, s[2:3]
	s_cbranch_execz .LBB1468_164
; %bb.163:
	v_lshlrev_b32_e32 v13, 2, v0
	ds_read_b32 v13, v13 offset:4096
	v_add_co_u32_e32 v14, vcc, v1, v0
	v_addc_co_u32_e32 v15, vcc, 0, v4, vcc
	v_lshlrev_b64 v[14:15], 2, v[14:15]
	v_mov_b32_e32 v16, s7
	v_sub_co_u32_e32 v14, vcc, s6, v14
	v_subb_co_u32_e32 v15, vcc, v16, v15, vcc
	s_waitcnt lgkmcnt(0)
	global_store_dword v[14:15], v13, off offset:-4096
                                        ; implicit-def: $vgpr13
.LBB1468_164:
	s_andn2_saveexec_b64 s[2:3], s[2:3]
	s_cbranch_execz .LBB1468_166
; %bb.165:
	v_lshlrev_b32_e32 v14, 2, v0
	ds_read_b32 v14, v14 offset:4096
	v_lshlrev_b32_e32 v13, 2, v13
	v_readfirstlane_b32 s4, v8
	v_readfirstlane_b32 s5, v9
	s_waitcnt lgkmcnt(0)
	s_nop 3
	global_store_dword v13, v14, s[4:5]
.LBB1468_166:
	s_or_b64 exec, exec, s[2:3]
                                        ; implicit-def: $vgpr13
.LBB1468_167:
	s_andn2_saveexec_b64 s[0:1], s[0:1]
	s_cbranch_execz .LBB1468_169
; %bb.168:
	v_lshlrev_b32_e32 v14, 2, v0
	ds_read_b32 v14, v14 offset:4096
	v_lshlrev_b32_e32 v13, 2, v13
	v_readfirstlane_b32 s2, v10
	v_readfirstlane_b32 s3, v11
	s_waitcnt lgkmcnt(0)
	s_nop 3
	global_store_dword v13, v14, s[2:3]
.LBB1468_169:
	s_or_b64 exec, exec, s[0:1]
	v_or_b32_e32 v13, 0x500, v0
	v_cmp_le_u32_e32 vcc, v2, v13
	s_and_saveexec_b64 s[0:1], vcc
	s_xor_b64 s[0:1], exec, s[0:1]
	s_cbranch_execz .LBB1468_175
; %bb.170:
	v_cmp_le_u32_e32 vcc, v12, v13
	s_and_saveexec_b64 s[2:3], vcc
	s_xor_b64 s[2:3], exec, s[2:3]
	s_cbranch_execz .LBB1468_172
; %bb.171:
	v_add_co_u32_e32 v14, vcc, v1, v13
	v_lshlrev_b32_e32 v13, 2, v0
	ds_read_b32 v13, v13 offset:5120
	v_addc_co_u32_e32 v15, vcc, 0, v4, vcc
	v_lshlrev_b64 v[14:15], 2, v[14:15]
	v_mov_b32_e32 v16, s7
	v_sub_co_u32_e32 v14, vcc, s6, v14
	v_subb_co_u32_e32 v15, vcc, v16, v15, vcc
	s_waitcnt lgkmcnt(0)
	global_store_dword v[14:15], v13, off
                                        ; implicit-def: $vgpr13
.LBB1468_172:
	s_andn2_saveexec_b64 s[2:3], s[2:3]
	s_cbranch_execz .LBB1468_174
; %bb.173:
	v_lshlrev_b32_e32 v14, 2, v0
	ds_read_b32 v14, v14 offset:5120
	v_lshlrev_b32_e32 v13, 2, v13
	v_readfirstlane_b32 s4, v8
	v_readfirstlane_b32 s5, v9
	s_waitcnt lgkmcnt(0)
	s_nop 3
	global_store_dword v13, v14, s[4:5]
.LBB1468_174:
	s_or_b64 exec, exec, s[2:3]
                                        ; implicit-def: $vgpr13
.LBB1468_175:
	s_andn2_saveexec_b64 s[0:1], s[0:1]
	s_cbranch_execz .LBB1468_177
; %bb.176:
	v_lshlrev_b32_e32 v14, 2, v0
	ds_read_b32 v14, v14 offset:5120
	v_lshlrev_b32_e32 v13, 2, v13
	v_readfirstlane_b32 s2, v10
	v_readfirstlane_b32 s3, v11
	s_waitcnt lgkmcnt(0)
	s_nop 3
	global_store_dword v13, v14, s[2:3]
.LBB1468_177:
	s_or_b64 exec, exec, s[0:1]
	v_or_b32_e32 v13, 0x600, v0
	v_cmp_le_u32_e32 vcc, v2, v13
	s_and_saveexec_b64 s[0:1], vcc
	s_xor_b64 s[0:1], exec, s[0:1]
	s_cbranch_execz .LBB1468_183
; %bb.178:
	v_cmp_le_u32_e32 vcc, v12, v13
	s_and_saveexec_b64 s[2:3], vcc
	s_xor_b64 s[2:3], exec, s[2:3]
	s_cbranch_execz .LBB1468_180
; %bb.179:
	v_add_co_u32_e32 v14, vcc, v1, v13
	v_lshlrev_b32_e32 v13, 2, v0
	ds_read_b32 v13, v13 offset:6144
	v_addc_co_u32_e32 v15, vcc, 0, v4, vcc
	v_lshlrev_b64 v[14:15], 2, v[14:15]
	v_mov_b32_e32 v16, s7
	v_sub_co_u32_e32 v14, vcc, s6, v14
	v_subb_co_u32_e32 v15, vcc, v16, v15, vcc
	s_waitcnt lgkmcnt(0)
	global_store_dword v[14:15], v13, off
                                        ; implicit-def: $vgpr13
.LBB1468_180:
	s_andn2_saveexec_b64 s[2:3], s[2:3]
	s_cbranch_execz .LBB1468_182
; %bb.181:
	v_lshlrev_b32_e32 v14, 2, v0
	ds_read_b32 v14, v14 offset:6144
	v_lshlrev_b32_e32 v13, 2, v13
	v_readfirstlane_b32 s4, v8
	v_readfirstlane_b32 s5, v9
	s_waitcnt lgkmcnt(0)
	s_nop 3
	global_store_dword v13, v14, s[4:5]
.LBB1468_182:
	s_or_b64 exec, exec, s[2:3]
                                        ; implicit-def: $vgpr13
.LBB1468_183:
	;; [unrolled: 51-line block ×8, first 2 shown]
	s_andn2_saveexec_b64 s[0:1], s[0:1]
	s_cbranch_execz .LBB1468_233
; %bb.232:
	v_lshlrev_b32_e32 v14, 2, v0
	ds_read_b32 v14, v14 offset:12288
	v_lshlrev_b32_e32 v13, 2, v13
	v_readfirstlane_b32 s2, v10
	v_readfirstlane_b32 s3, v11
	s_waitcnt lgkmcnt(0)
	s_nop 3
	global_store_dword v13, v14, s[2:3]
.LBB1468_233:
	s_or_b64 exec, exec, s[0:1]
	s_branch .LBB1468_127
.LBB1468_234:
	v_cmp_gt_u32_e32 vcc, s18, v0
	s_and_saveexec_b64 s[0:1], vcc
	s_cbranch_execz .LBB1468_243
; %bb.235:
	v_cmp_le_u32_e32 vcc, v2, v0
	s_and_saveexec_b64 s[2:3], vcc
	s_xor_b64 s[2:3], exec, s[2:3]
	s_cbranch_execz .LBB1468_241
; %bb.236:
	v_cmp_le_u32_e32 vcc, v12, v0
	s_and_saveexec_b64 s[4:5], vcc
	s_xor_b64 s[4:5], exec, s[4:5]
	s_cbranch_execz .LBB1468_238
; %bb.237:
	v_lshlrev_b32_e32 v13, 2, v0
	v_add_co_u32_e32 v14, vcc, v1, v0
	ds_read_b32 v13, v13
	v_addc_co_u32_e32 v15, vcc, 0, v4, vcc
	v_lshlrev_b64 v[14:15], 2, v[14:15]
	v_mov_b32_e32 v16, s35
	v_sub_co_u32_e32 v14, vcc, s34, v14
	v_subb_co_u32_e32 v15, vcc, v16, v15, vcc
	s_waitcnt lgkmcnt(0)
	global_store_dword v[14:15], v13, off offset:-4
.LBB1468_238:
	s_andn2_saveexec_b64 s[4:5], s[4:5]
	s_cbranch_execz .LBB1468_240
; %bb.239:
	v_lshlrev_b32_e32 v13, 2, v0
	ds_read_b32 v14, v13
	v_readfirstlane_b32 s8, v8
	v_readfirstlane_b32 s9, v9
	s_waitcnt lgkmcnt(0)
	s_nop 3
	global_store_dword v13, v14, s[8:9]
.LBB1468_240:
	s_or_b64 exec, exec, s[4:5]
.LBB1468_241:
	s_andn2_saveexec_b64 s[2:3], s[2:3]
	s_cbranch_execz .LBB1468_243
; %bb.242:
	v_lshlrev_b32_e32 v13, 2, v0
	ds_read_b32 v14, v13
	v_readfirstlane_b32 s2, v10
	v_readfirstlane_b32 s3, v11
	s_waitcnt lgkmcnt(0)
	s_nop 3
	global_store_dword v13, v14, s[2:3]
.LBB1468_243:
	s_or_b64 exec, exec, s[0:1]
	v_or_b32_e32 v13, 0x100, v0
	v_cmp_gt_u32_e32 vcc, s18, v13
	s_and_saveexec_b64 s[0:1], vcc
	s_cbranch_execz .LBB1468_252
; %bb.244:
	v_cmp_le_u32_e32 vcc, v2, v13
	s_and_saveexec_b64 s[2:3], vcc
	s_xor_b64 s[2:3], exec, s[2:3]
	s_cbranch_execz .LBB1468_250
; %bb.245:
	v_cmp_le_u32_e32 vcc, v12, v13
	s_and_saveexec_b64 s[4:5], vcc
	s_xor_b64 s[4:5], exec, s[4:5]
	s_cbranch_execz .LBB1468_247
; %bb.246:
	v_lshlrev_b32_e32 v13, 2, v0
	ds_read_b32 v13, v13 offset:1024
	v_add_co_u32_e32 v14, vcc, v1, v0
	v_addc_co_u32_e32 v15, vcc, 0, v4, vcc
	v_lshlrev_b64 v[14:15], 2, v[14:15]
	v_mov_b32_e32 v16, s7
	v_sub_co_u32_e32 v14, vcc, s6, v14
	v_subb_co_u32_e32 v15, vcc, v16, v15, vcc
	s_waitcnt lgkmcnt(0)
	global_store_dword v[14:15], v13, off offset:-1024
.LBB1468_247:
	s_andn2_saveexec_b64 s[4:5], s[4:5]
	s_cbranch_execz .LBB1468_249
; %bb.248:
	v_lshlrev_b32_e32 v13, 2, v0
	ds_read_b32 v14, v13 offset:1024
	v_readfirstlane_b32 s8, v8
	v_readfirstlane_b32 s9, v9
	s_waitcnt lgkmcnt(0)
	s_nop 3
	global_store_dword v13, v14, s[8:9] offset:1024
.LBB1468_249:
	s_or_b64 exec, exec, s[4:5]
.LBB1468_250:
	s_andn2_saveexec_b64 s[2:3], s[2:3]
	s_cbranch_execz .LBB1468_252
; %bb.251:
	v_lshlrev_b32_e32 v13, 2, v0
	ds_read_b32 v14, v13 offset:1024
	v_readfirstlane_b32 s2, v10
	v_readfirstlane_b32 s3, v11
	s_waitcnt lgkmcnt(0)
	s_nop 3
	global_store_dword v13, v14, s[2:3] offset:1024
.LBB1468_252:
	s_or_b64 exec, exec, s[0:1]
	v_or_b32_e32 v13, 0x200, v0
	v_cmp_gt_u32_e32 vcc, s18, v13
	s_and_saveexec_b64 s[0:1], vcc
	s_cbranch_execz .LBB1468_261
; %bb.253:
	v_cmp_le_u32_e32 vcc, v2, v13
	s_and_saveexec_b64 s[2:3], vcc
	s_xor_b64 s[2:3], exec, s[2:3]
	s_cbranch_execz .LBB1468_259
; %bb.254:
	v_cmp_le_u32_e32 vcc, v12, v13
	s_and_saveexec_b64 s[4:5], vcc
	s_xor_b64 s[4:5], exec, s[4:5]
	s_cbranch_execz .LBB1468_256
; %bb.255:
	v_lshlrev_b32_e32 v13, 2, v0
	ds_read_b32 v13, v13 offset:2048
	v_add_co_u32_e32 v14, vcc, v1, v0
	v_addc_co_u32_e32 v15, vcc, 0, v4, vcc
	v_lshlrev_b64 v[14:15], 2, v[14:15]
	v_mov_b32_e32 v16, s7
	v_sub_co_u32_e32 v14, vcc, s6, v14
	v_subb_co_u32_e32 v15, vcc, v16, v15, vcc
	s_waitcnt lgkmcnt(0)
	global_store_dword v[14:15], v13, off offset:-2048
.LBB1468_256:
	s_andn2_saveexec_b64 s[4:5], s[4:5]
	s_cbranch_execz .LBB1468_258
; %bb.257:
	v_lshlrev_b32_e32 v13, 2, v0
	ds_read_b32 v14, v13 offset:2048
	v_readfirstlane_b32 s8, v8
	v_readfirstlane_b32 s9, v9
	s_waitcnt lgkmcnt(0)
	s_nop 3
	global_store_dword v13, v14, s[8:9] offset:2048
.LBB1468_258:
	s_or_b64 exec, exec, s[4:5]
.LBB1468_259:
	s_andn2_saveexec_b64 s[2:3], s[2:3]
	s_cbranch_execz .LBB1468_261
; %bb.260:
	v_lshlrev_b32_e32 v13, 2, v0
	ds_read_b32 v14, v13 offset:2048
	v_readfirstlane_b32 s2, v10
	v_readfirstlane_b32 s3, v11
	s_waitcnt lgkmcnt(0)
	s_nop 3
	global_store_dword v13, v14, s[2:3] offset:2048
.LBB1468_261:
	;; [unrolled: 51-line block ×3, first 2 shown]
	s_or_b64 exec, exec, s[0:1]
	v_or_b32_e32 v13, 0x400, v0
	v_cmp_gt_u32_e32 vcc, s18, v13
	s_and_saveexec_b64 s[0:1], vcc
	s_cbranch_execz .LBB1468_279
; %bb.271:
	v_cmp_le_u32_e32 vcc, v2, v13
	s_and_saveexec_b64 s[2:3], vcc
	s_xor_b64 s[2:3], exec, s[2:3]
	s_cbranch_execz .LBB1468_277
; %bb.272:
	v_cmp_le_u32_e32 vcc, v12, v13
	s_and_saveexec_b64 s[4:5], vcc
	s_xor_b64 s[4:5], exec, s[4:5]
	s_cbranch_execz .LBB1468_274
; %bb.273:
	v_lshlrev_b32_e32 v13, 2, v0
	ds_read_b32 v13, v13 offset:4096
	v_add_co_u32_e32 v14, vcc, v1, v0
	v_addc_co_u32_e32 v15, vcc, 0, v4, vcc
	v_lshlrev_b64 v[14:15], 2, v[14:15]
	v_mov_b32_e32 v16, s7
	v_sub_co_u32_e32 v14, vcc, s6, v14
	v_subb_co_u32_e32 v15, vcc, v16, v15, vcc
	s_waitcnt lgkmcnt(0)
	global_store_dword v[14:15], v13, off offset:-4096
                                        ; implicit-def: $vgpr13
.LBB1468_274:
	s_andn2_saveexec_b64 s[4:5], s[4:5]
	s_cbranch_execz .LBB1468_276
; %bb.275:
	v_lshlrev_b32_e32 v14, 2, v0
	ds_read_b32 v14, v14 offset:4096
	v_lshlrev_b32_e32 v13, 2, v13
	v_readfirstlane_b32 s8, v8
	v_readfirstlane_b32 s9, v9
	s_waitcnt lgkmcnt(0)
	s_nop 3
	global_store_dword v13, v14, s[8:9]
.LBB1468_276:
	s_or_b64 exec, exec, s[4:5]
                                        ; implicit-def: $vgpr13
.LBB1468_277:
	s_andn2_saveexec_b64 s[2:3], s[2:3]
	s_cbranch_execz .LBB1468_279
; %bb.278:
	v_lshlrev_b32_e32 v14, 2, v0
	ds_read_b32 v14, v14 offset:4096
	v_lshlrev_b32_e32 v13, 2, v13
	v_readfirstlane_b32 s2, v10
	v_readfirstlane_b32 s3, v11
	s_waitcnt lgkmcnt(0)
	s_nop 3
	global_store_dword v13, v14, s[2:3]
.LBB1468_279:
	s_or_b64 exec, exec, s[0:1]
	v_or_b32_e32 v13, 0x500, v0
	v_cmp_gt_u32_e32 vcc, s18, v13
	s_and_saveexec_b64 s[0:1], vcc
	s_cbranch_execz .LBB1468_288
; %bb.280:
	v_cmp_le_u32_e32 vcc, v2, v13
	s_and_saveexec_b64 s[2:3], vcc
	s_xor_b64 s[2:3], exec, s[2:3]
	s_cbranch_execz .LBB1468_286
; %bb.281:
	v_cmp_le_u32_e32 vcc, v12, v13
	s_and_saveexec_b64 s[4:5], vcc
	s_xor_b64 s[4:5], exec, s[4:5]
	s_cbranch_execz .LBB1468_283
; %bb.282:
	v_add_co_u32_e32 v14, vcc, v1, v13
	v_lshlrev_b32_e32 v13, 2, v0
	ds_read_b32 v13, v13 offset:5120
	v_addc_co_u32_e32 v15, vcc, 0, v4, vcc
	v_lshlrev_b64 v[14:15], 2, v[14:15]
	v_mov_b32_e32 v16, s7
	v_sub_co_u32_e32 v14, vcc, s6, v14
	v_subb_co_u32_e32 v15, vcc, v16, v15, vcc
	s_waitcnt lgkmcnt(0)
	global_store_dword v[14:15], v13, off
                                        ; implicit-def: $vgpr13
.LBB1468_283:
	s_andn2_saveexec_b64 s[4:5], s[4:5]
	s_cbranch_execz .LBB1468_285
; %bb.284:
	v_lshlrev_b32_e32 v14, 2, v0
	ds_read_b32 v14, v14 offset:5120
	v_lshlrev_b32_e32 v13, 2, v13
	v_readfirstlane_b32 s8, v8
	v_readfirstlane_b32 s9, v9
	s_waitcnt lgkmcnt(0)
	s_nop 3
	global_store_dword v13, v14, s[8:9]
.LBB1468_285:
	s_or_b64 exec, exec, s[4:5]
                                        ; implicit-def: $vgpr13
.LBB1468_286:
	s_andn2_saveexec_b64 s[2:3], s[2:3]
	s_cbranch_execz .LBB1468_288
; %bb.287:
	v_lshlrev_b32_e32 v14, 2, v0
	ds_read_b32 v14, v14 offset:5120
	v_lshlrev_b32_e32 v13, 2, v13
	v_readfirstlane_b32 s2, v10
	v_readfirstlane_b32 s3, v11
	s_waitcnt lgkmcnt(0)
	s_nop 3
	global_store_dword v13, v14, s[2:3]
.LBB1468_288:
	s_or_b64 exec, exec, s[0:1]
	v_or_b32_e32 v13, 0x600, v0
	v_cmp_gt_u32_e32 vcc, s18, v13
	s_and_saveexec_b64 s[0:1], vcc
	s_cbranch_execz .LBB1468_297
; %bb.289:
	v_cmp_le_u32_e32 vcc, v2, v13
	s_and_saveexec_b64 s[2:3], vcc
	s_xor_b64 s[2:3], exec, s[2:3]
	s_cbranch_execz .LBB1468_295
; %bb.290:
	v_cmp_le_u32_e32 vcc, v12, v13
	s_and_saveexec_b64 s[4:5], vcc
	s_xor_b64 s[4:5], exec, s[4:5]
	s_cbranch_execz .LBB1468_292
; %bb.291:
	v_add_co_u32_e32 v14, vcc, v1, v13
	v_lshlrev_b32_e32 v13, 2, v0
	ds_read_b32 v13, v13 offset:6144
	v_addc_co_u32_e32 v15, vcc, 0, v4, vcc
	v_lshlrev_b64 v[14:15], 2, v[14:15]
	v_mov_b32_e32 v16, s7
	v_sub_co_u32_e32 v14, vcc, s6, v14
	v_subb_co_u32_e32 v15, vcc, v16, v15, vcc
	s_waitcnt lgkmcnt(0)
	global_store_dword v[14:15], v13, off
                                        ; implicit-def: $vgpr13
.LBB1468_292:
	s_andn2_saveexec_b64 s[4:5], s[4:5]
	s_cbranch_execz .LBB1468_294
; %bb.293:
	v_lshlrev_b32_e32 v14, 2, v0
	ds_read_b32 v14, v14 offset:6144
	v_lshlrev_b32_e32 v13, 2, v13
	v_readfirstlane_b32 s8, v8
	v_readfirstlane_b32 s9, v9
	s_waitcnt lgkmcnt(0)
	s_nop 3
	global_store_dword v13, v14, s[8:9]
.LBB1468_294:
	s_or_b64 exec, exec, s[4:5]
                                        ; implicit-def: $vgpr13
.LBB1468_295:
	s_andn2_saveexec_b64 s[2:3], s[2:3]
	s_cbranch_execz .LBB1468_297
; %bb.296:
	v_lshlrev_b32_e32 v14, 2, v0
	ds_read_b32 v14, v14 offset:6144
	v_lshlrev_b32_e32 v13, 2, v13
	v_readfirstlane_b32 s2, v10
	v_readfirstlane_b32 s3, v11
	s_waitcnt lgkmcnt(0)
	s_nop 3
	global_store_dword v13, v14, s[2:3]
.LBB1468_297:
	;; [unrolled: 55-line block ×7, first 2 shown]
	s_or_b64 exec, exec, s[0:1]
	v_or_b32_e32 v13, 0xc00, v0
	v_cmp_gt_u32_e32 vcc, s18, v13
	s_and_saveexec_b64 s[0:1], vcc
	s_cbranch_execz .LBB1468_351
; %bb.343:
	v_cmp_le_u32_e32 vcc, v2, v13
	s_and_saveexec_b64 s[2:3], vcc
	s_xor_b64 s[2:3], exec, s[2:3]
	s_cbranch_execz .LBB1468_349
; %bb.344:
	v_cmp_le_u32_e32 vcc, v12, v13
	s_and_saveexec_b64 s[4:5], vcc
	s_xor_b64 s[4:5], exec, s[4:5]
	s_cbranch_execz .LBB1468_346
; %bb.345:
	v_add_co_u32_e32 v8, vcc, v1, v13
	v_lshlrev_b32_e32 v1, 2, v0
	ds_read_b32 v1, v1 offset:12288
	v_addc_co_u32_e32 v9, vcc, 0, v4, vcc
	v_lshlrev_b64 v[8:9], 2, v[8:9]
	v_mov_b32_e32 v4, s7
	v_sub_co_u32_e32 v8, vcc, s6, v8
	v_subb_co_u32_e32 v9, vcc, v4, v9, vcc
	s_waitcnt lgkmcnt(0)
	global_store_dword v[8:9], v1, off
                                        ; implicit-def: $vgpr13
                                        ; implicit-def: $vgpr8_vgpr9
.LBB1468_346:
	s_andn2_saveexec_b64 s[4:5], s[4:5]
	s_cbranch_execz .LBB1468_348
; %bb.347:
	v_lshlrev_b32_e32 v1, 2, v0
	ds_read_b32 v1, v1 offset:12288
	v_lshlrev_b32_e32 v4, 2, v13
	v_readfirstlane_b32 s6, v8
	v_readfirstlane_b32 s7, v9
	s_waitcnt lgkmcnt(0)
	s_nop 3
	global_store_dword v4, v1, s[6:7]
.LBB1468_348:
	s_or_b64 exec, exec, s[4:5]
                                        ; implicit-def: $vgpr13
                                        ; implicit-def: $vgpr10_vgpr11
.LBB1468_349:
	s_andn2_saveexec_b64 s[2:3], s[2:3]
	s_cbranch_execz .LBB1468_351
; %bb.350:
	v_lshlrev_b32_e32 v1, 2, v0
	ds_read_b32 v1, v1 offset:12288
	v_lshlrev_b32_e32 v4, 2, v13
	v_readfirstlane_b32 s2, v10
	v_readfirstlane_b32 s3, v11
	s_waitcnt lgkmcnt(0)
	s_nop 3
	global_store_dword v4, v1, s[2:3]
.LBB1468_351:
	s_or_b64 exec, exec, s[0:1]
	v_cmp_eq_u32_e32 vcc, 0, v0
	s_and_b64 s[0:1], vcc, s[30:31]
	s_and_saveexec_b64 s[2:3], s[0:1]
	s_cbranch_execz .LBB1468_128
.LBB1468_352:
	v_add_co_u32_e32 v0, vcc, v6, v2
	v_addc_co_u32_e32 v1, vcc, 0, v7, vcc
	v_mov_b32_e32 v2, s51
	v_add_co_u32_e32 v3, vcc, s50, v3
	v_addc_co_u32_e32 v6, vcc, 0, v2, vcc
	v_add_co_u32_e32 v2, vcc, v3, v5
	v_mov_b32_e32 v4, 0
	v_addc_co_u32_e32 v3, vcc, 0, v6, vcc
	global_store_dwordx4 v4, v[0:3], s[44:45]
	s_endpgm
	.section	.rodata,"a",@progbits
	.p2align	6, 0x0
	.amdhsa_kernel _ZN7rocprim17ROCPRIM_400000_NS6detail17trampoline_kernelINS0_13select_configILj256ELj13ELNS0_17block_load_methodE3ELS4_3ELS4_3ELNS0_20block_scan_algorithmE0ELj4294967295EEENS1_25partition_config_selectorILNS1_17partition_subalgoE4EjNS0_10empty_typeEbEEZZNS1_14partition_implILS8_4ELb0ES6_15HIP_vector_typeIjLj2EENS0_17counting_iteratorIjlEEPS9_SG_NS0_5tupleIJPjSI_NS0_16reverse_iteratorISI_EEEEENSH_IJSG_SG_SG_EEES9_SI_JZNS1_25segmented_radix_sort_implINS0_14default_configELb1EPKbPbPKlPlN2at6native12_GLOBAL__N_18offset_tEEE10hipError_tPvRmT1_PNSt15iterator_traitsIS12_E10value_typeET2_T3_PNS13_IS18_E10value_typeET4_jRbjT5_S1E_jjP12ihipStream_tbEUljE_ZNSN_ISO_Lb1ESQ_SR_ST_SU_SY_EESZ_S10_S11_S12_S16_S17_S18_S1B_S1C_jS1D_jS1E_S1E_jjS1G_bEUljE0_EEESZ_S10_S11_S18_S1C_S1E_T6_T7_T9_mT8_S1G_bDpT10_ENKUlT_T0_E_clISt17integral_constantIbLb0EES1U_EEDaS1P_S1Q_EUlS1P_E_NS1_11comp_targetILNS1_3genE4ELNS1_11target_archE910ELNS1_3gpuE8ELNS1_3repE0EEENS1_30default_config_static_selectorELNS0_4arch9wavefront6targetE1EEEvS12_
		.amdhsa_group_segment_fixed_size 13340
		.amdhsa_private_segment_fixed_size 0
		.amdhsa_kernarg_size 176
		.amdhsa_user_sgpr_count 6
		.amdhsa_user_sgpr_private_segment_buffer 1
		.amdhsa_user_sgpr_dispatch_ptr 0
		.amdhsa_user_sgpr_queue_ptr 0
		.amdhsa_user_sgpr_kernarg_segment_ptr 1
		.amdhsa_user_sgpr_dispatch_id 0
		.amdhsa_user_sgpr_flat_scratch_init 0
		.amdhsa_user_sgpr_kernarg_preload_length 0
		.amdhsa_user_sgpr_kernarg_preload_offset 0
		.amdhsa_user_sgpr_private_segment_size 0
		.amdhsa_uses_dynamic_stack 0
		.amdhsa_system_sgpr_private_segment_wavefront_offset 0
		.amdhsa_system_sgpr_workgroup_id_x 1
		.amdhsa_system_sgpr_workgroup_id_y 0
		.amdhsa_system_sgpr_workgroup_id_z 0
		.amdhsa_system_sgpr_workgroup_info 0
		.amdhsa_system_vgpr_workitem_id 0
		.amdhsa_next_free_vgpr 102
		.amdhsa_next_free_sgpr 90
		.amdhsa_accum_offset 104
		.amdhsa_reserve_vcc 1
		.amdhsa_reserve_flat_scratch 0
		.amdhsa_float_round_mode_32 0
		.amdhsa_float_round_mode_16_64 0
		.amdhsa_float_denorm_mode_32 3
		.amdhsa_float_denorm_mode_16_64 3
		.amdhsa_dx10_clamp 1
		.amdhsa_ieee_mode 1
		.amdhsa_fp16_overflow 0
		.amdhsa_tg_split 0
		.amdhsa_exception_fp_ieee_invalid_op 0
		.amdhsa_exception_fp_denorm_src 0
		.amdhsa_exception_fp_ieee_div_zero 0
		.amdhsa_exception_fp_ieee_overflow 0
		.amdhsa_exception_fp_ieee_underflow 0
		.amdhsa_exception_fp_ieee_inexact 0
		.amdhsa_exception_int_div_zero 0
	.end_amdhsa_kernel
	.section	.text._ZN7rocprim17ROCPRIM_400000_NS6detail17trampoline_kernelINS0_13select_configILj256ELj13ELNS0_17block_load_methodE3ELS4_3ELS4_3ELNS0_20block_scan_algorithmE0ELj4294967295EEENS1_25partition_config_selectorILNS1_17partition_subalgoE4EjNS0_10empty_typeEbEEZZNS1_14partition_implILS8_4ELb0ES6_15HIP_vector_typeIjLj2EENS0_17counting_iteratorIjlEEPS9_SG_NS0_5tupleIJPjSI_NS0_16reverse_iteratorISI_EEEEENSH_IJSG_SG_SG_EEES9_SI_JZNS1_25segmented_radix_sort_implINS0_14default_configELb1EPKbPbPKlPlN2at6native12_GLOBAL__N_18offset_tEEE10hipError_tPvRmT1_PNSt15iterator_traitsIS12_E10value_typeET2_T3_PNS13_IS18_E10value_typeET4_jRbjT5_S1E_jjP12ihipStream_tbEUljE_ZNSN_ISO_Lb1ESQ_SR_ST_SU_SY_EESZ_S10_S11_S12_S16_S17_S18_S1B_S1C_jS1D_jS1E_S1E_jjS1G_bEUljE0_EEESZ_S10_S11_S18_S1C_S1E_T6_T7_T9_mT8_S1G_bDpT10_ENKUlT_T0_E_clISt17integral_constantIbLb0EES1U_EEDaS1P_S1Q_EUlS1P_E_NS1_11comp_targetILNS1_3genE4ELNS1_11target_archE910ELNS1_3gpuE8ELNS1_3repE0EEENS1_30default_config_static_selectorELNS0_4arch9wavefront6targetE1EEEvS12_,"axG",@progbits,_ZN7rocprim17ROCPRIM_400000_NS6detail17trampoline_kernelINS0_13select_configILj256ELj13ELNS0_17block_load_methodE3ELS4_3ELS4_3ELNS0_20block_scan_algorithmE0ELj4294967295EEENS1_25partition_config_selectorILNS1_17partition_subalgoE4EjNS0_10empty_typeEbEEZZNS1_14partition_implILS8_4ELb0ES6_15HIP_vector_typeIjLj2EENS0_17counting_iteratorIjlEEPS9_SG_NS0_5tupleIJPjSI_NS0_16reverse_iteratorISI_EEEEENSH_IJSG_SG_SG_EEES9_SI_JZNS1_25segmented_radix_sort_implINS0_14default_configELb1EPKbPbPKlPlN2at6native12_GLOBAL__N_18offset_tEEE10hipError_tPvRmT1_PNSt15iterator_traitsIS12_E10value_typeET2_T3_PNS13_IS18_E10value_typeET4_jRbjT5_S1E_jjP12ihipStream_tbEUljE_ZNSN_ISO_Lb1ESQ_SR_ST_SU_SY_EESZ_S10_S11_S12_S16_S17_S18_S1B_S1C_jS1D_jS1E_S1E_jjS1G_bEUljE0_EEESZ_S10_S11_S18_S1C_S1E_T6_T7_T9_mT8_S1G_bDpT10_ENKUlT_T0_E_clISt17integral_constantIbLb0EES1U_EEDaS1P_S1Q_EUlS1P_E_NS1_11comp_targetILNS1_3genE4ELNS1_11target_archE910ELNS1_3gpuE8ELNS1_3repE0EEENS1_30default_config_static_selectorELNS0_4arch9wavefront6targetE1EEEvS12_,comdat
.Lfunc_end1468:
	.size	_ZN7rocprim17ROCPRIM_400000_NS6detail17trampoline_kernelINS0_13select_configILj256ELj13ELNS0_17block_load_methodE3ELS4_3ELS4_3ELNS0_20block_scan_algorithmE0ELj4294967295EEENS1_25partition_config_selectorILNS1_17partition_subalgoE4EjNS0_10empty_typeEbEEZZNS1_14partition_implILS8_4ELb0ES6_15HIP_vector_typeIjLj2EENS0_17counting_iteratorIjlEEPS9_SG_NS0_5tupleIJPjSI_NS0_16reverse_iteratorISI_EEEEENSH_IJSG_SG_SG_EEES9_SI_JZNS1_25segmented_radix_sort_implINS0_14default_configELb1EPKbPbPKlPlN2at6native12_GLOBAL__N_18offset_tEEE10hipError_tPvRmT1_PNSt15iterator_traitsIS12_E10value_typeET2_T3_PNS13_IS18_E10value_typeET4_jRbjT5_S1E_jjP12ihipStream_tbEUljE_ZNSN_ISO_Lb1ESQ_SR_ST_SU_SY_EESZ_S10_S11_S12_S16_S17_S18_S1B_S1C_jS1D_jS1E_S1E_jjS1G_bEUljE0_EEESZ_S10_S11_S18_S1C_S1E_T6_T7_T9_mT8_S1G_bDpT10_ENKUlT_T0_E_clISt17integral_constantIbLb0EES1U_EEDaS1P_S1Q_EUlS1P_E_NS1_11comp_targetILNS1_3genE4ELNS1_11target_archE910ELNS1_3gpuE8ELNS1_3repE0EEENS1_30default_config_static_selectorELNS0_4arch9wavefront6targetE1EEEvS12_, .Lfunc_end1468-_ZN7rocprim17ROCPRIM_400000_NS6detail17trampoline_kernelINS0_13select_configILj256ELj13ELNS0_17block_load_methodE3ELS4_3ELS4_3ELNS0_20block_scan_algorithmE0ELj4294967295EEENS1_25partition_config_selectorILNS1_17partition_subalgoE4EjNS0_10empty_typeEbEEZZNS1_14partition_implILS8_4ELb0ES6_15HIP_vector_typeIjLj2EENS0_17counting_iteratorIjlEEPS9_SG_NS0_5tupleIJPjSI_NS0_16reverse_iteratorISI_EEEEENSH_IJSG_SG_SG_EEES9_SI_JZNS1_25segmented_radix_sort_implINS0_14default_configELb1EPKbPbPKlPlN2at6native12_GLOBAL__N_18offset_tEEE10hipError_tPvRmT1_PNSt15iterator_traitsIS12_E10value_typeET2_T3_PNS13_IS18_E10value_typeET4_jRbjT5_S1E_jjP12ihipStream_tbEUljE_ZNSN_ISO_Lb1ESQ_SR_ST_SU_SY_EESZ_S10_S11_S12_S16_S17_S18_S1B_S1C_jS1D_jS1E_S1E_jjS1G_bEUljE0_EEESZ_S10_S11_S18_S1C_S1E_T6_T7_T9_mT8_S1G_bDpT10_ENKUlT_T0_E_clISt17integral_constantIbLb0EES1U_EEDaS1P_S1Q_EUlS1P_E_NS1_11comp_targetILNS1_3genE4ELNS1_11target_archE910ELNS1_3gpuE8ELNS1_3repE0EEENS1_30default_config_static_selectorELNS0_4arch9wavefront6targetE1EEEvS12_
                                        ; -- End function
	.section	.AMDGPU.csdata,"",@progbits
; Kernel info:
; codeLenInByte = 13332
; NumSgprs: 94
; NumVgprs: 102
; NumAgprs: 0
; TotalNumVgprs: 102
; ScratchSize: 0
; MemoryBound: 0
; FloatMode: 240
; IeeeMode: 1
; LDSByteSize: 13340 bytes/workgroup (compile time only)
; SGPRBlocks: 11
; VGPRBlocks: 12
; NumSGPRsForWavesPerEU: 94
; NumVGPRsForWavesPerEU: 102
; AccumOffset: 104
; Occupancy: 4
; WaveLimiterHint : 1
; COMPUTE_PGM_RSRC2:SCRATCH_EN: 0
; COMPUTE_PGM_RSRC2:USER_SGPR: 6
; COMPUTE_PGM_RSRC2:TRAP_HANDLER: 0
; COMPUTE_PGM_RSRC2:TGID_X_EN: 1
; COMPUTE_PGM_RSRC2:TGID_Y_EN: 0
; COMPUTE_PGM_RSRC2:TGID_Z_EN: 0
; COMPUTE_PGM_RSRC2:TIDIG_COMP_CNT: 0
; COMPUTE_PGM_RSRC3_GFX90A:ACCUM_OFFSET: 25
; COMPUTE_PGM_RSRC3_GFX90A:TG_SPLIT: 0
	.section	.text._ZN7rocprim17ROCPRIM_400000_NS6detail17trampoline_kernelINS0_13select_configILj256ELj13ELNS0_17block_load_methodE3ELS4_3ELS4_3ELNS0_20block_scan_algorithmE0ELj4294967295EEENS1_25partition_config_selectorILNS1_17partition_subalgoE4EjNS0_10empty_typeEbEEZZNS1_14partition_implILS8_4ELb0ES6_15HIP_vector_typeIjLj2EENS0_17counting_iteratorIjlEEPS9_SG_NS0_5tupleIJPjSI_NS0_16reverse_iteratorISI_EEEEENSH_IJSG_SG_SG_EEES9_SI_JZNS1_25segmented_radix_sort_implINS0_14default_configELb1EPKbPbPKlPlN2at6native12_GLOBAL__N_18offset_tEEE10hipError_tPvRmT1_PNSt15iterator_traitsIS12_E10value_typeET2_T3_PNS13_IS18_E10value_typeET4_jRbjT5_S1E_jjP12ihipStream_tbEUljE_ZNSN_ISO_Lb1ESQ_SR_ST_SU_SY_EESZ_S10_S11_S12_S16_S17_S18_S1B_S1C_jS1D_jS1E_S1E_jjS1G_bEUljE0_EEESZ_S10_S11_S18_S1C_S1E_T6_T7_T9_mT8_S1G_bDpT10_ENKUlT_T0_E_clISt17integral_constantIbLb0EES1U_EEDaS1P_S1Q_EUlS1P_E_NS1_11comp_targetILNS1_3genE3ELNS1_11target_archE908ELNS1_3gpuE7ELNS1_3repE0EEENS1_30default_config_static_selectorELNS0_4arch9wavefront6targetE1EEEvS12_,"axG",@progbits,_ZN7rocprim17ROCPRIM_400000_NS6detail17trampoline_kernelINS0_13select_configILj256ELj13ELNS0_17block_load_methodE3ELS4_3ELS4_3ELNS0_20block_scan_algorithmE0ELj4294967295EEENS1_25partition_config_selectorILNS1_17partition_subalgoE4EjNS0_10empty_typeEbEEZZNS1_14partition_implILS8_4ELb0ES6_15HIP_vector_typeIjLj2EENS0_17counting_iteratorIjlEEPS9_SG_NS0_5tupleIJPjSI_NS0_16reverse_iteratorISI_EEEEENSH_IJSG_SG_SG_EEES9_SI_JZNS1_25segmented_radix_sort_implINS0_14default_configELb1EPKbPbPKlPlN2at6native12_GLOBAL__N_18offset_tEEE10hipError_tPvRmT1_PNSt15iterator_traitsIS12_E10value_typeET2_T3_PNS13_IS18_E10value_typeET4_jRbjT5_S1E_jjP12ihipStream_tbEUljE_ZNSN_ISO_Lb1ESQ_SR_ST_SU_SY_EESZ_S10_S11_S12_S16_S17_S18_S1B_S1C_jS1D_jS1E_S1E_jjS1G_bEUljE0_EEESZ_S10_S11_S18_S1C_S1E_T6_T7_T9_mT8_S1G_bDpT10_ENKUlT_T0_E_clISt17integral_constantIbLb0EES1U_EEDaS1P_S1Q_EUlS1P_E_NS1_11comp_targetILNS1_3genE3ELNS1_11target_archE908ELNS1_3gpuE7ELNS1_3repE0EEENS1_30default_config_static_selectorELNS0_4arch9wavefront6targetE1EEEvS12_,comdat
	.globl	_ZN7rocprim17ROCPRIM_400000_NS6detail17trampoline_kernelINS0_13select_configILj256ELj13ELNS0_17block_load_methodE3ELS4_3ELS4_3ELNS0_20block_scan_algorithmE0ELj4294967295EEENS1_25partition_config_selectorILNS1_17partition_subalgoE4EjNS0_10empty_typeEbEEZZNS1_14partition_implILS8_4ELb0ES6_15HIP_vector_typeIjLj2EENS0_17counting_iteratorIjlEEPS9_SG_NS0_5tupleIJPjSI_NS0_16reverse_iteratorISI_EEEEENSH_IJSG_SG_SG_EEES9_SI_JZNS1_25segmented_radix_sort_implINS0_14default_configELb1EPKbPbPKlPlN2at6native12_GLOBAL__N_18offset_tEEE10hipError_tPvRmT1_PNSt15iterator_traitsIS12_E10value_typeET2_T3_PNS13_IS18_E10value_typeET4_jRbjT5_S1E_jjP12ihipStream_tbEUljE_ZNSN_ISO_Lb1ESQ_SR_ST_SU_SY_EESZ_S10_S11_S12_S16_S17_S18_S1B_S1C_jS1D_jS1E_S1E_jjS1G_bEUljE0_EEESZ_S10_S11_S18_S1C_S1E_T6_T7_T9_mT8_S1G_bDpT10_ENKUlT_T0_E_clISt17integral_constantIbLb0EES1U_EEDaS1P_S1Q_EUlS1P_E_NS1_11comp_targetILNS1_3genE3ELNS1_11target_archE908ELNS1_3gpuE7ELNS1_3repE0EEENS1_30default_config_static_selectorELNS0_4arch9wavefront6targetE1EEEvS12_ ; -- Begin function _ZN7rocprim17ROCPRIM_400000_NS6detail17trampoline_kernelINS0_13select_configILj256ELj13ELNS0_17block_load_methodE3ELS4_3ELS4_3ELNS0_20block_scan_algorithmE0ELj4294967295EEENS1_25partition_config_selectorILNS1_17partition_subalgoE4EjNS0_10empty_typeEbEEZZNS1_14partition_implILS8_4ELb0ES6_15HIP_vector_typeIjLj2EENS0_17counting_iteratorIjlEEPS9_SG_NS0_5tupleIJPjSI_NS0_16reverse_iteratorISI_EEEEENSH_IJSG_SG_SG_EEES9_SI_JZNS1_25segmented_radix_sort_implINS0_14default_configELb1EPKbPbPKlPlN2at6native12_GLOBAL__N_18offset_tEEE10hipError_tPvRmT1_PNSt15iterator_traitsIS12_E10value_typeET2_T3_PNS13_IS18_E10value_typeET4_jRbjT5_S1E_jjP12ihipStream_tbEUljE_ZNSN_ISO_Lb1ESQ_SR_ST_SU_SY_EESZ_S10_S11_S12_S16_S17_S18_S1B_S1C_jS1D_jS1E_S1E_jjS1G_bEUljE0_EEESZ_S10_S11_S18_S1C_S1E_T6_T7_T9_mT8_S1G_bDpT10_ENKUlT_T0_E_clISt17integral_constantIbLb0EES1U_EEDaS1P_S1Q_EUlS1P_E_NS1_11comp_targetILNS1_3genE3ELNS1_11target_archE908ELNS1_3gpuE7ELNS1_3repE0EEENS1_30default_config_static_selectorELNS0_4arch9wavefront6targetE1EEEvS12_
	.p2align	8
	.type	_ZN7rocprim17ROCPRIM_400000_NS6detail17trampoline_kernelINS0_13select_configILj256ELj13ELNS0_17block_load_methodE3ELS4_3ELS4_3ELNS0_20block_scan_algorithmE0ELj4294967295EEENS1_25partition_config_selectorILNS1_17partition_subalgoE4EjNS0_10empty_typeEbEEZZNS1_14partition_implILS8_4ELb0ES6_15HIP_vector_typeIjLj2EENS0_17counting_iteratorIjlEEPS9_SG_NS0_5tupleIJPjSI_NS0_16reverse_iteratorISI_EEEEENSH_IJSG_SG_SG_EEES9_SI_JZNS1_25segmented_radix_sort_implINS0_14default_configELb1EPKbPbPKlPlN2at6native12_GLOBAL__N_18offset_tEEE10hipError_tPvRmT1_PNSt15iterator_traitsIS12_E10value_typeET2_T3_PNS13_IS18_E10value_typeET4_jRbjT5_S1E_jjP12ihipStream_tbEUljE_ZNSN_ISO_Lb1ESQ_SR_ST_SU_SY_EESZ_S10_S11_S12_S16_S17_S18_S1B_S1C_jS1D_jS1E_S1E_jjS1G_bEUljE0_EEESZ_S10_S11_S18_S1C_S1E_T6_T7_T9_mT8_S1G_bDpT10_ENKUlT_T0_E_clISt17integral_constantIbLb0EES1U_EEDaS1P_S1Q_EUlS1P_E_NS1_11comp_targetILNS1_3genE3ELNS1_11target_archE908ELNS1_3gpuE7ELNS1_3repE0EEENS1_30default_config_static_selectorELNS0_4arch9wavefront6targetE1EEEvS12_,@function
_ZN7rocprim17ROCPRIM_400000_NS6detail17trampoline_kernelINS0_13select_configILj256ELj13ELNS0_17block_load_methodE3ELS4_3ELS4_3ELNS0_20block_scan_algorithmE0ELj4294967295EEENS1_25partition_config_selectorILNS1_17partition_subalgoE4EjNS0_10empty_typeEbEEZZNS1_14partition_implILS8_4ELb0ES6_15HIP_vector_typeIjLj2EENS0_17counting_iteratorIjlEEPS9_SG_NS0_5tupleIJPjSI_NS0_16reverse_iteratorISI_EEEEENSH_IJSG_SG_SG_EEES9_SI_JZNS1_25segmented_radix_sort_implINS0_14default_configELb1EPKbPbPKlPlN2at6native12_GLOBAL__N_18offset_tEEE10hipError_tPvRmT1_PNSt15iterator_traitsIS12_E10value_typeET2_T3_PNS13_IS18_E10value_typeET4_jRbjT5_S1E_jjP12ihipStream_tbEUljE_ZNSN_ISO_Lb1ESQ_SR_ST_SU_SY_EESZ_S10_S11_S12_S16_S17_S18_S1B_S1C_jS1D_jS1E_S1E_jjS1G_bEUljE0_EEESZ_S10_S11_S18_S1C_S1E_T6_T7_T9_mT8_S1G_bDpT10_ENKUlT_T0_E_clISt17integral_constantIbLb0EES1U_EEDaS1P_S1Q_EUlS1P_E_NS1_11comp_targetILNS1_3genE3ELNS1_11target_archE908ELNS1_3gpuE7ELNS1_3repE0EEENS1_30default_config_static_selectorELNS0_4arch9wavefront6targetE1EEEvS12_: ; @_ZN7rocprim17ROCPRIM_400000_NS6detail17trampoline_kernelINS0_13select_configILj256ELj13ELNS0_17block_load_methodE3ELS4_3ELS4_3ELNS0_20block_scan_algorithmE0ELj4294967295EEENS1_25partition_config_selectorILNS1_17partition_subalgoE4EjNS0_10empty_typeEbEEZZNS1_14partition_implILS8_4ELb0ES6_15HIP_vector_typeIjLj2EENS0_17counting_iteratorIjlEEPS9_SG_NS0_5tupleIJPjSI_NS0_16reverse_iteratorISI_EEEEENSH_IJSG_SG_SG_EEES9_SI_JZNS1_25segmented_radix_sort_implINS0_14default_configELb1EPKbPbPKlPlN2at6native12_GLOBAL__N_18offset_tEEE10hipError_tPvRmT1_PNSt15iterator_traitsIS12_E10value_typeET2_T3_PNS13_IS18_E10value_typeET4_jRbjT5_S1E_jjP12ihipStream_tbEUljE_ZNSN_ISO_Lb1ESQ_SR_ST_SU_SY_EESZ_S10_S11_S12_S16_S17_S18_S1B_S1C_jS1D_jS1E_S1E_jjS1G_bEUljE0_EEESZ_S10_S11_S18_S1C_S1E_T6_T7_T9_mT8_S1G_bDpT10_ENKUlT_T0_E_clISt17integral_constantIbLb0EES1U_EEDaS1P_S1Q_EUlS1P_E_NS1_11comp_targetILNS1_3genE3ELNS1_11target_archE908ELNS1_3gpuE7ELNS1_3repE0EEENS1_30default_config_static_selectorELNS0_4arch9wavefront6targetE1EEEvS12_
; %bb.0:
	.section	.rodata,"a",@progbits
	.p2align	6, 0x0
	.amdhsa_kernel _ZN7rocprim17ROCPRIM_400000_NS6detail17trampoline_kernelINS0_13select_configILj256ELj13ELNS0_17block_load_methodE3ELS4_3ELS4_3ELNS0_20block_scan_algorithmE0ELj4294967295EEENS1_25partition_config_selectorILNS1_17partition_subalgoE4EjNS0_10empty_typeEbEEZZNS1_14partition_implILS8_4ELb0ES6_15HIP_vector_typeIjLj2EENS0_17counting_iteratorIjlEEPS9_SG_NS0_5tupleIJPjSI_NS0_16reverse_iteratorISI_EEEEENSH_IJSG_SG_SG_EEES9_SI_JZNS1_25segmented_radix_sort_implINS0_14default_configELb1EPKbPbPKlPlN2at6native12_GLOBAL__N_18offset_tEEE10hipError_tPvRmT1_PNSt15iterator_traitsIS12_E10value_typeET2_T3_PNS13_IS18_E10value_typeET4_jRbjT5_S1E_jjP12ihipStream_tbEUljE_ZNSN_ISO_Lb1ESQ_SR_ST_SU_SY_EESZ_S10_S11_S12_S16_S17_S18_S1B_S1C_jS1D_jS1E_S1E_jjS1G_bEUljE0_EEESZ_S10_S11_S18_S1C_S1E_T6_T7_T9_mT8_S1G_bDpT10_ENKUlT_T0_E_clISt17integral_constantIbLb0EES1U_EEDaS1P_S1Q_EUlS1P_E_NS1_11comp_targetILNS1_3genE3ELNS1_11target_archE908ELNS1_3gpuE7ELNS1_3repE0EEENS1_30default_config_static_selectorELNS0_4arch9wavefront6targetE1EEEvS12_
		.amdhsa_group_segment_fixed_size 0
		.amdhsa_private_segment_fixed_size 0
		.amdhsa_kernarg_size 176
		.amdhsa_user_sgpr_count 6
		.amdhsa_user_sgpr_private_segment_buffer 1
		.amdhsa_user_sgpr_dispatch_ptr 0
		.amdhsa_user_sgpr_queue_ptr 0
		.amdhsa_user_sgpr_kernarg_segment_ptr 1
		.amdhsa_user_sgpr_dispatch_id 0
		.amdhsa_user_sgpr_flat_scratch_init 0
		.amdhsa_user_sgpr_kernarg_preload_length 0
		.amdhsa_user_sgpr_kernarg_preload_offset 0
		.amdhsa_user_sgpr_private_segment_size 0
		.amdhsa_uses_dynamic_stack 0
		.amdhsa_system_sgpr_private_segment_wavefront_offset 0
		.amdhsa_system_sgpr_workgroup_id_x 1
		.amdhsa_system_sgpr_workgroup_id_y 0
		.amdhsa_system_sgpr_workgroup_id_z 0
		.amdhsa_system_sgpr_workgroup_info 0
		.amdhsa_system_vgpr_workitem_id 0
		.amdhsa_next_free_vgpr 1
		.amdhsa_next_free_sgpr 0
		.amdhsa_accum_offset 4
		.amdhsa_reserve_vcc 0
		.amdhsa_reserve_flat_scratch 0
		.amdhsa_float_round_mode_32 0
		.amdhsa_float_round_mode_16_64 0
		.amdhsa_float_denorm_mode_32 3
		.amdhsa_float_denorm_mode_16_64 3
		.amdhsa_dx10_clamp 1
		.amdhsa_ieee_mode 1
		.amdhsa_fp16_overflow 0
		.amdhsa_tg_split 0
		.amdhsa_exception_fp_ieee_invalid_op 0
		.amdhsa_exception_fp_denorm_src 0
		.amdhsa_exception_fp_ieee_div_zero 0
		.amdhsa_exception_fp_ieee_overflow 0
		.amdhsa_exception_fp_ieee_underflow 0
		.amdhsa_exception_fp_ieee_inexact 0
		.amdhsa_exception_int_div_zero 0
	.end_amdhsa_kernel
	.section	.text._ZN7rocprim17ROCPRIM_400000_NS6detail17trampoline_kernelINS0_13select_configILj256ELj13ELNS0_17block_load_methodE3ELS4_3ELS4_3ELNS0_20block_scan_algorithmE0ELj4294967295EEENS1_25partition_config_selectorILNS1_17partition_subalgoE4EjNS0_10empty_typeEbEEZZNS1_14partition_implILS8_4ELb0ES6_15HIP_vector_typeIjLj2EENS0_17counting_iteratorIjlEEPS9_SG_NS0_5tupleIJPjSI_NS0_16reverse_iteratorISI_EEEEENSH_IJSG_SG_SG_EEES9_SI_JZNS1_25segmented_radix_sort_implINS0_14default_configELb1EPKbPbPKlPlN2at6native12_GLOBAL__N_18offset_tEEE10hipError_tPvRmT1_PNSt15iterator_traitsIS12_E10value_typeET2_T3_PNS13_IS18_E10value_typeET4_jRbjT5_S1E_jjP12ihipStream_tbEUljE_ZNSN_ISO_Lb1ESQ_SR_ST_SU_SY_EESZ_S10_S11_S12_S16_S17_S18_S1B_S1C_jS1D_jS1E_S1E_jjS1G_bEUljE0_EEESZ_S10_S11_S18_S1C_S1E_T6_T7_T9_mT8_S1G_bDpT10_ENKUlT_T0_E_clISt17integral_constantIbLb0EES1U_EEDaS1P_S1Q_EUlS1P_E_NS1_11comp_targetILNS1_3genE3ELNS1_11target_archE908ELNS1_3gpuE7ELNS1_3repE0EEENS1_30default_config_static_selectorELNS0_4arch9wavefront6targetE1EEEvS12_,"axG",@progbits,_ZN7rocprim17ROCPRIM_400000_NS6detail17trampoline_kernelINS0_13select_configILj256ELj13ELNS0_17block_load_methodE3ELS4_3ELS4_3ELNS0_20block_scan_algorithmE0ELj4294967295EEENS1_25partition_config_selectorILNS1_17partition_subalgoE4EjNS0_10empty_typeEbEEZZNS1_14partition_implILS8_4ELb0ES6_15HIP_vector_typeIjLj2EENS0_17counting_iteratorIjlEEPS9_SG_NS0_5tupleIJPjSI_NS0_16reverse_iteratorISI_EEEEENSH_IJSG_SG_SG_EEES9_SI_JZNS1_25segmented_radix_sort_implINS0_14default_configELb1EPKbPbPKlPlN2at6native12_GLOBAL__N_18offset_tEEE10hipError_tPvRmT1_PNSt15iterator_traitsIS12_E10value_typeET2_T3_PNS13_IS18_E10value_typeET4_jRbjT5_S1E_jjP12ihipStream_tbEUljE_ZNSN_ISO_Lb1ESQ_SR_ST_SU_SY_EESZ_S10_S11_S12_S16_S17_S18_S1B_S1C_jS1D_jS1E_S1E_jjS1G_bEUljE0_EEESZ_S10_S11_S18_S1C_S1E_T6_T7_T9_mT8_S1G_bDpT10_ENKUlT_T0_E_clISt17integral_constantIbLb0EES1U_EEDaS1P_S1Q_EUlS1P_E_NS1_11comp_targetILNS1_3genE3ELNS1_11target_archE908ELNS1_3gpuE7ELNS1_3repE0EEENS1_30default_config_static_selectorELNS0_4arch9wavefront6targetE1EEEvS12_,comdat
.Lfunc_end1469:
	.size	_ZN7rocprim17ROCPRIM_400000_NS6detail17trampoline_kernelINS0_13select_configILj256ELj13ELNS0_17block_load_methodE3ELS4_3ELS4_3ELNS0_20block_scan_algorithmE0ELj4294967295EEENS1_25partition_config_selectorILNS1_17partition_subalgoE4EjNS0_10empty_typeEbEEZZNS1_14partition_implILS8_4ELb0ES6_15HIP_vector_typeIjLj2EENS0_17counting_iteratorIjlEEPS9_SG_NS0_5tupleIJPjSI_NS0_16reverse_iteratorISI_EEEEENSH_IJSG_SG_SG_EEES9_SI_JZNS1_25segmented_radix_sort_implINS0_14default_configELb1EPKbPbPKlPlN2at6native12_GLOBAL__N_18offset_tEEE10hipError_tPvRmT1_PNSt15iterator_traitsIS12_E10value_typeET2_T3_PNS13_IS18_E10value_typeET4_jRbjT5_S1E_jjP12ihipStream_tbEUljE_ZNSN_ISO_Lb1ESQ_SR_ST_SU_SY_EESZ_S10_S11_S12_S16_S17_S18_S1B_S1C_jS1D_jS1E_S1E_jjS1G_bEUljE0_EEESZ_S10_S11_S18_S1C_S1E_T6_T7_T9_mT8_S1G_bDpT10_ENKUlT_T0_E_clISt17integral_constantIbLb0EES1U_EEDaS1P_S1Q_EUlS1P_E_NS1_11comp_targetILNS1_3genE3ELNS1_11target_archE908ELNS1_3gpuE7ELNS1_3repE0EEENS1_30default_config_static_selectorELNS0_4arch9wavefront6targetE1EEEvS12_, .Lfunc_end1469-_ZN7rocprim17ROCPRIM_400000_NS6detail17trampoline_kernelINS0_13select_configILj256ELj13ELNS0_17block_load_methodE3ELS4_3ELS4_3ELNS0_20block_scan_algorithmE0ELj4294967295EEENS1_25partition_config_selectorILNS1_17partition_subalgoE4EjNS0_10empty_typeEbEEZZNS1_14partition_implILS8_4ELb0ES6_15HIP_vector_typeIjLj2EENS0_17counting_iteratorIjlEEPS9_SG_NS0_5tupleIJPjSI_NS0_16reverse_iteratorISI_EEEEENSH_IJSG_SG_SG_EEES9_SI_JZNS1_25segmented_radix_sort_implINS0_14default_configELb1EPKbPbPKlPlN2at6native12_GLOBAL__N_18offset_tEEE10hipError_tPvRmT1_PNSt15iterator_traitsIS12_E10value_typeET2_T3_PNS13_IS18_E10value_typeET4_jRbjT5_S1E_jjP12ihipStream_tbEUljE_ZNSN_ISO_Lb1ESQ_SR_ST_SU_SY_EESZ_S10_S11_S12_S16_S17_S18_S1B_S1C_jS1D_jS1E_S1E_jjS1G_bEUljE0_EEESZ_S10_S11_S18_S1C_S1E_T6_T7_T9_mT8_S1G_bDpT10_ENKUlT_T0_E_clISt17integral_constantIbLb0EES1U_EEDaS1P_S1Q_EUlS1P_E_NS1_11comp_targetILNS1_3genE3ELNS1_11target_archE908ELNS1_3gpuE7ELNS1_3repE0EEENS1_30default_config_static_selectorELNS0_4arch9wavefront6targetE1EEEvS12_
                                        ; -- End function
	.section	.AMDGPU.csdata,"",@progbits
; Kernel info:
; codeLenInByte = 0
; NumSgprs: 4
; NumVgprs: 0
; NumAgprs: 0
; TotalNumVgprs: 0
; ScratchSize: 0
; MemoryBound: 0
; FloatMode: 240
; IeeeMode: 1
; LDSByteSize: 0 bytes/workgroup (compile time only)
; SGPRBlocks: 0
; VGPRBlocks: 0
; NumSGPRsForWavesPerEU: 4
; NumVGPRsForWavesPerEU: 1
; AccumOffset: 4
; Occupancy: 8
; WaveLimiterHint : 0
; COMPUTE_PGM_RSRC2:SCRATCH_EN: 0
; COMPUTE_PGM_RSRC2:USER_SGPR: 6
; COMPUTE_PGM_RSRC2:TRAP_HANDLER: 0
; COMPUTE_PGM_RSRC2:TGID_X_EN: 1
; COMPUTE_PGM_RSRC2:TGID_Y_EN: 0
; COMPUTE_PGM_RSRC2:TGID_Z_EN: 0
; COMPUTE_PGM_RSRC2:TIDIG_COMP_CNT: 0
; COMPUTE_PGM_RSRC3_GFX90A:ACCUM_OFFSET: 0
; COMPUTE_PGM_RSRC3_GFX90A:TG_SPLIT: 0
	.section	.text._ZN7rocprim17ROCPRIM_400000_NS6detail17trampoline_kernelINS0_13select_configILj256ELj13ELNS0_17block_load_methodE3ELS4_3ELS4_3ELNS0_20block_scan_algorithmE0ELj4294967295EEENS1_25partition_config_selectorILNS1_17partition_subalgoE4EjNS0_10empty_typeEbEEZZNS1_14partition_implILS8_4ELb0ES6_15HIP_vector_typeIjLj2EENS0_17counting_iteratorIjlEEPS9_SG_NS0_5tupleIJPjSI_NS0_16reverse_iteratorISI_EEEEENSH_IJSG_SG_SG_EEES9_SI_JZNS1_25segmented_radix_sort_implINS0_14default_configELb1EPKbPbPKlPlN2at6native12_GLOBAL__N_18offset_tEEE10hipError_tPvRmT1_PNSt15iterator_traitsIS12_E10value_typeET2_T3_PNS13_IS18_E10value_typeET4_jRbjT5_S1E_jjP12ihipStream_tbEUljE_ZNSN_ISO_Lb1ESQ_SR_ST_SU_SY_EESZ_S10_S11_S12_S16_S17_S18_S1B_S1C_jS1D_jS1E_S1E_jjS1G_bEUljE0_EEESZ_S10_S11_S18_S1C_S1E_T6_T7_T9_mT8_S1G_bDpT10_ENKUlT_T0_E_clISt17integral_constantIbLb0EES1U_EEDaS1P_S1Q_EUlS1P_E_NS1_11comp_targetILNS1_3genE2ELNS1_11target_archE906ELNS1_3gpuE6ELNS1_3repE0EEENS1_30default_config_static_selectorELNS0_4arch9wavefront6targetE1EEEvS12_,"axG",@progbits,_ZN7rocprim17ROCPRIM_400000_NS6detail17trampoline_kernelINS0_13select_configILj256ELj13ELNS0_17block_load_methodE3ELS4_3ELS4_3ELNS0_20block_scan_algorithmE0ELj4294967295EEENS1_25partition_config_selectorILNS1_17partition_subalgoE4EjNS0_10empty_typeEbEEZZNS1_14partition_implILS8_4ELb0ES6_15HIP_vector_typeIjLj2EENS0_17counting_iteratorIjlEEPS9_SG_NS0_5tupleIJPjSI_NS0_16reverse_iteratorISI_EEEEENSH_IJSG_SG_SG_EEES9_SI_JZNS1_25segmented_radix_sort_implINS0_14default_configELb1EPKbPbPKlPlN2at6native12_GLOBAL__N_18offset_tEEE10hipError_tPvRmT1_PNSt15iterator_traitsIS12_E10value_typeET2_T3_PNS13_IS18_E10value_typeET4_jRbjT5_S1E_jjP12ihipStream_tbEUljE_ZNSN_ISO_Lb1ESQ_SR_ST_SU_SY_EESZ_S10_S11_S12_S16_S17_S18_S1B_S1C_jS1D_jS1E_S1E_jjS1G_bEUljE0_EEESZ_S10_S11_S18_S1C_S1E_T6_T7_T9_mT8_S1G_bDpT10_ENKUlT_T0_E_clISt17integral_constantIbLb0EES1U_EEDaS1P_S1Q_EUlS1P_E_NS1_11comp_targetILNS1_3genE2ELNS1_11target_archE906ELNS1_3gpuE6ELNS1_3repE0EEENS1_30default_config_static_selectorELNS0_4arch9wavefront6targetE1EEEvS12_,comdat
	.globl	_ZN7rocprim17ROCPRIM_400000_NS6detail17trampoline_kernelINS0_13select_configILj256ELj13ELNS0_17block_load_methodE3ELS4_3ELS4_3ELNS0_20block_scan_algorithmE0ELj4294967295EEENS1_25partition_config_selectorILNS1_17partition_subalgoE4EjNS0_10empty_typeEbEEZZNS1_14partition_implILS8_4ELb0ES6_15HIP_vector_typeIjLj2EENS0_17counting_iteratorIjlEEPS9_SG_NS0_5tupleIJPjSI_NS0_16reverse_iteratorISI_EEEEENSH_IJSG_SG_SG_EEES9_SI_JZNS1_25segmented_radix_sort_implINS0_14default_configELb1EPKbPbPKlPlN2at6native12_GLOBAL__N_18offset_tEEE10hipError_tPvRmT1_PNSt15iterator_traitsIS12_E10value_typeET2_T3_PNS13_IS18_E10value_typeET4_jRbjT5_S1E_jjP12ihipStream_tbEUljE_ZNSN_ISO_Lb1ESQ_SR_ST_SU_SY_EESZ_S10_S11_S12_S16_S17_S18_S1B_S1C_jS1D_jS1E_S1E_jjS1G_bEUljE0_EEESZ_S10_S11_S18_S1C_S1E_T6_T7_T9_mT8_S1G_bDpT10_ENKUlT_T0_E_clISt17integral_constantIbLb0EES1U_EEDaS1P_S1Q_EUlS1P_E_NS1_11comp_targetILNS1_3genE2ELNS1_11target_archE906ELNS1_3gpuE6ELNS1_3repE0EEENS1_30default_config_static_selectorELNS0_4arch9wavefront6targetE1EEEvS12_ ; -- Begin function _ZN7rocprim17ROCPRIM_400000_NS6detail17trampoline_kernelINS0_13select_configILj256ELj13ELNS0_17block_load_methodE3ELS4_3ELS4_3ELNS0_20block_scan_algorithmE0ELj4294967295EEENS1_25partition_config_selectorILNS1_17partition_subalgoE4EjNS0_10empty_typeEbEEZZNS1_14partition_implILS8_4ELb0ES6_15HIP_vector_typeIjLj2EENS0_17counting_iteratorIjlEEPS9_SG_NS0_5tupleIJPjSI_NS0_16reverse_iteratorISI_EEEEENSH_IJSG_SG_SG_EEES9_SI_JZNS1_25segmented_radix_sort_implINS0_14default_configELb1EPKbPbPKlPlN2at6native12_GLOBAL__N_18offset_tEEE10hipError_tPvRmT1_PNSt15iterator_traitsIS12_E10value_typeET2_T3_PNS13_IS18_E10value_typeET4_jRbjT5_S1E_jjP12ihipStream_tbEUljE_ZNSN_ISO_Lb1ESQ_SR_ST_SU_SY_EESZ_S10_S11_S12_S16_S17_S18_S1B_S1C_jS1D_jS1E_S1E_jjS1G_bEUljE0_EEESZ_S10_S11_S18_S1C_S1E_T6_T7_T9_mT8_S1G_bDpT10_ENKUlT_T0_E_clISt17integral_constantIbLb0EES1U_EEDaS1P_S1Q_EUlS1P_E_NS1_11comp_targetILNS1_3genE2ELNS1_11target_archE906ELNS1_3gpuE6ELNS1_3repE0EEENS1_30default_config_static_selectorELNS0_4arch9wavefront6targetE1EEEvS12_
	.p2align	8
	.type	_ZN7rocprim17ROCPRIM_400000_NS6detail17trampoline_kernelINS0_13select_configILj256ELj13ELNS0_17block_load_methodE3ELS4_3ELS4_3ELNS0_20block_scan_algorithmE0ELj4294967295EEENS1_25partition_config_selectorILNS1_17partition_subalgoE4EjNS0_10empty_typeEbEEZZNS1_14partition_implILS8_4ELb0ES6_15HIP_vector_typeIjLj2EENS0_17counting_iteratorIjlEEPS9_SG_NS0_5tupleIJPjSI_NS0_16reverse_iteratorISI_EEEEENSH_IJSG_SG_SG_EEES9_SI_JZNS1_25segmented_radix_sort_implINS0_14default_configELb1EPKbPbPKlPlN2at6native12_GLOBAL__N_18offset_tEEE10hipError_tPvRmT1_PNSt15iterator_traitsIS12_E10value_typeET2_T3_PNS13_IS18_E10value_typeET4_jRbjT5_S1E_jjP12ihipStream_tbEUljE_ZNSN_ISO_Lb1ESQ_SR_ST_SU_SY_EESZ_S10_S11_S12_S16_S17_S18_S1B_S1C_jS1D_jS1E_S1E_jjS1G_bEUljE0_EEESZ_S10_S11_S18_S1C_S1E_T6_T7_T9_mT8_S1G_bDpT10_ENKUlT_T0_E_clISt17integral_constantIbLb0EES1U_EEDaS1P_S1Q_EUlS1P_E_NS1_11comp_targetILNS1_3genE2ELNS1_11target_archE906ELNS1_3gpuE6ELNS1_3repE0EEENS1_30default_config_static_selectorELNS0_4arch9wavefront6targetE1EEEvS12_,@function
_ZN7rocprim17ROCPRIM_400000_NS6detail17trampoline_kernelINS0_13select_configILj256ELj13ELNS0_17block_load_methodE3ELS4_3ELS4_3ELNS0_20block_scan_algorithmE0ELj4294967295EEENS1_25partition_config_selectorILNS1_17partition_subalgoE4EjNS0_10empty_typeEbEEZZNS1_14partition_implILS8_4ELb0ES6_15HIP_vector_typeIjLj2EENS0_17counting_iteratorIjlEEPS9_SG_NS0_5tupleIJPjSI_NS0_16reverse_iteratorISI_EEEEENSH_IJSG_SG_SG_EEES9_SI_JZNS1_25segmented_radix_sort_implINS0_14default_configELb1EPKbPbPKlPlN2at6native12_GLOBAL__N_18offset_tEEE10hipError_tPvRmT1_PNSt15iterator_traitsIS12_E10value_typeET2_T3_PNS13_IS18_E10value_typeET4_jRbjT5_S1E_jjP12ihipStream_tbEUljE_ZNSN_ISO_Lb1ESQ_SR_ST_SU_SY_EESZ_S10_S11_S12_S16_S17_S18_S1B_S1C_jS1D_jS1E_S1E_jjS1G_bEUljE0_EEESZ_S10_S11_S18_S1C_S1E_T6_T7_T9_mT8_S1G_bDpT10_ENKUlT_T0_E_clISt17integral_constantIbLb0EES1U_EEDaS1P_S1Q_EUlS1P_E_NS1_11comp_targetILNS1_3genE2ELNS1_11target_archE906ELNS1_3gpuE6ELNS1_3repE0EEENS1_30default_config_static_selectorELNS0_4arch9wavefront6targetE1EEEvS12_: ; @_ZN7rocprim17ROCPRIM_400000_NS6detail17trampoline_kernelINS0_13select_configILj256ELj13ELNS0_17block_load_methodE3ELS4_3ELS4_3ELNS0_20block_scan_algorithmE0ELj4294967295EEENS1_25partition_config_selectorILNS1_17partition_subalgoE4EjNS0_10empty_typeEbEEZZNS1_14partition_implILS8_4ELb0ES6_15HIP_vector_typeIjLj2EENS0_17counting_iteratorIjlEEPS9_SG_NS0_5tupleIJPjSI_NS0_16reverse_iteratorISI_EEEEENSH_IJSG_SG_SG_EEES9_SI_JZNS1_25segmented_radix_sort_implINS0_14default_configELb1EPKbPbPKlPlN2at6native12_GLOBAL__N_18offset_tEEE10hipError_tPvRmT1_PNSt15iterator_traitsIS12_E10value_typeET2_T3_PNS13_IS18_E10value_typeET4_jRbjT5_S1E_jjP12ihipStream_tbEUljE_ZNSN_ISO_Lb1ESQ_SR_ST_SU_SY_EESZ_S10_S11_S12_S16_S17_S18_S1B_S1C_jS1D_jS1E_S1E_jjS1G_bEUljE0_EEESZ_S10_S11_S18_S1C_S1E_T6_T7_T9_mT8_S1G_bDpT10_ENKUlT_T0_E_clISt17integral_constantIbLb0EES1U_EEDaS1P_S1Q_EUlS1P_E_NS1_11comp_targetILNS1_3genE2ELNS1_11target_archE906ELNS1_3gpuE6ELNS1_3repE0EEENS1_30default_config_static_selectorELNS0_4arch9wavefront6targetE1EEEvS12_
; %bb.0:
	.section	.rodata,"a",@progbits
	.p2align	6, 0x0
	.amdhsa_kernel _ZN7rocprim17ROCPRIM_400000_NS6detail17trampoline_kernelINS0_13select_configILj256ELj13ELNS0_17block_load_methodE3ELS4_3ELS4_3ELNS0_20block_scan_algorithmE0ELj4294967295EEENS1_25partition_config_selectorILNS1_17partition_subalgoE4EjNS0_10empty_typeEbEEZZNS1_14partition_implILS8_4ELb0ES6_15HIP_vector_typeIjLj2EENS0_17counting_iteratorIjlEEPS9_SG_NS0_5tupleIJPjSI_NS0_16reverse_iteratorISI_EEEEENSH_IJSG_SG_SG_EEES9_SI_JZNS1_25segmented_radix_sort_implINS0_14default_configELb1EPKbPbPKlPlN2at6native12_GLOBAL__N_18offset_tEEE10hipError_tPvRmT1_PNSt15iterator_traitsIS12_E10value_typeET2_T3_PNS13_IS18_E10value_typeET4_jRbjT5_S1E_jjP12ihipStream_tbEUljE_ZNSN_ISO_Lb1ESQ_SR_ST_SU_SY_EESZ_S10_S11_S12_S16_S17_S18_S1B_S1C_jS1D_jS1E_S1E_jjS1G_bEUljE0_EEESZ_S10_S11_S18_S1C_S1E_T6_T7_T9_mT8_S1G_bDpT10_ENKUlT_T0_E_clISt17integral_constantIbLb0EES1U_EEDaS1P_S1Q_EUlS1P_E_NS1_11comp_targetILNS1_3genE2ELNS1_11target_archE906ELNS1_3gpuE6ELNS1_3repE0EEENS1_30default_config_static_selectorELNS0_4arch9wavefront6targetE1EEEvS12_
		.amdhsa_group_segment_fixed_size 0
		.amdhsa_private_segment_fixed_size 0
		.amdhsa_kernarg_size 176
		.amdhsa_user_sgpr_count 6
		.amdhsa_user_sgpr_private_segment_buffer 1
		.amdhsa_user_sgpr_dispatch_ptr 0
		.amdhsa_user_sgpr_queue_ptr 0
		.amdhsa_user_sgpr_kernarg_segment_ptr 1
		.amdhsa_user_sgpr_dispatch_id 0
		.amdhsa_user_sgpr_flat_scratch_init 0
		.amdhsa_user_sgpr_kernarg_preload_length 0
		.amdhsa_user_sgpr_kernarg_preload_offset 0
		.amdhsa_user_sgpr_private_segment_size 0
		.amdhsa_uses_dynamic_stack 0
		.amdhsa_system_sgpr_private_segment_wavefront_offset 0
		.amdhsa_system_sgpr_workgroup_id_x 1
		.amdhsa_system_sgpr_workgroup_id_y 0
		.amdhsa_system_sgpr_workgroup_id_z 0
		.amdhsa_system_sgpr_workgroup_info 0
		.amdhsa_system_vgpr_workitem_id 0
		.amdhsa_next_free_vgpr 1
		.amdhsa_next_free_sgpr 0
		.amdhsa_accum_offset 4
		.amdhsa_reserve_vcc 0
		.amdhsa_reserve_flat_scratch 0
		.amdhsa_float_round_mode_32 0
		.amdhsa_float_round_mode_16_64 0
		.amdhsa_float_denorm_mode_32 3
		.amdhsa_float_denorm_mode_16_64 3
		.amdhsa_dx10_clamp 1
		.amdhsa_ieee_mode 1
		.amdhsa_fp16_overflow 0
		.amdhsa_tg_split 0
		.amdhsa_exception_fp_ieee_invalid_op 0
		.amdhsa_exception_fp_denorm_src 0
		.amdhsa_exception_fp_ieee_div_zero 0
		.amdhsa_exception_fp_ieee_overflow 0
		.amdhsa_exception_fp_ieee_underflow 0
		.amdhsa_exception_fp_ieee_inexact 0
		.amdhsa_exception_int_div_zero 0
	.end_amdhsa_kernel
	.section	.text._ZN7rocprim17ROCPRIM_400000_NS6detail17trampoline_kernelINS0_13select_configILj256ELj13ELNS0_17block_load_methodE3ELS4_3ELS4_3ELNS0_20block_scan_algorithmE0ELj4294967295EEENS1_25partition_config_selectorILNS1_17partition_subalgoE4EjNS0_10empty_typeEbEEZZNS1_14partition_implILS8_4ELb0ES6_15HIP_vector_typeIjLj2EENS0_17counting_iteratorIjlEEPS9_SG_NS0_5tupleIJPjSI_NS0_16reverse_iteratorISI_EEEEENSH_IJSG_SG_SG_EEES9_SI_JZNS1_25segmented_radix_sort_implINS0_14default_configELb1EPKbPbPKlPlN2at6native12_GLOBAL__N_18offset_tEEE10hipError_tPvRmT1_PNSt15iterator_traitsIS12_E10value_typeET2_T3_PNS13_IS18_E10value_typeET4_jRbjT5_S1E_jjP12ihipStream_tbEUljE_ZNSN_ISO_Lb1ESQ_SR_ST_SU_SY_EESZ_S10_S11_S12_S16_S17_S18_S1B_S1C_jS1D_jS1E_S1E_jjS1G_bEUljE0_EEESZ_S10_S11_S18_S1C_S1E_T6_T7_T9_mT8_S1G_bDpT10_ENKUlT_T0_E_clISt17integral_constantIbLb0EES1U_EEDaS1P_S1Q_EUlS1P_E_NS1_11comp_targetILNS1_3genE2ELNS1_11target_archE906ELNS1_3gpuE6ELNS1_3repE0EEENS1_30default_config_static_selectorELNS0_4arch9wavefront6targetE1EEEvS12_,"axG",@progbits,_ZN7rocprim17ROCPRIM_400000_NS6detail17trampoline_kernelINS0_13select_configILj256ELj13ELNS0_17block_load_methodE3ELS4_3ELS4_3ELNS0_20block_scan_algorithmE0ELj4294967295EEENS1_25partition_config_selectorILNS1_17partition_subalgoE4EjNS0_10empty_typeEbEEZZNS1_14partition_implILS8_4ELb0ES6_15HIP_vector_typeIjLj2EENS0_17counting_iteratorIjlEEPS9_SG_NS0_5tupleIJPjSI_NS0_16reverse_iteratorISI_EEEEENSH_IJSG_SG_SG_EEES9_SI_JZNS1_25segmented_radix_sort_implINS0_14default_configELb1EPKbPbPKlPlN2at6native12_GLOBAL__N_18offset_tEEE10hipError_tPvRmT1_PNSt15iterator_traitsIS12_E10value_typeET2_T3_PNS13_IS18_E10value_typeET4_jRbjT5_S1E_jjP12ihipStream_tbEUljE_ZNSN_ISO_Lb1ESQ_SR_ST_SU_SY_EESZ_S10_S11_S12_S16_S17_S18_S1B_S1C_jS1D_jS1E_S1E_jjS1G_bEUljE0_EEESZ_S10_S11_S18_S1C_S1E_T6_T7_T9_mT8_S1G_bDpT10_ENKUlT_T0_E_clISt17integral_constantIbLb0EES1U_EEDaS1P_S1Q_EUlS1P_E_NS1_11comp_targetILNS1_3genE2ELNS1_11target_archE906ELNS1_3gpuE6ELNS1_3repE0EEENS1_30default_config_static_selectorELNS0_4arch9wavefront6targetE1EEEvS12_,comdat
.Lfunc_end1470:
	.size	_ZN7rocprim17ROCPRIM_400000_NS6detail17trampoline_kernelINS0_13select_configILj256ELj13ELNS0_17block_load_methodE3ELS4_3ELS4_3ELNS0_20block_scan_algorithmE0ELj4294967295EEENS1_25partition_config_selectorILNS1_17partition_subalgoE4EjNS0_10empty_typeEbEEZZNS1_14partition_implILS8_4ELb0ES6_15HIP_vector_typeIjLj2EENS0_17counting_iteratorIjlEEPS9_SG_NS0_5tupleIJPjSI_NS0_16reverse_iteratorISI_EEEEENSH_IJSG_SG_SG_EEES9_SI_JZNS1_25segmented_radix_sort_implINS0_14default_configELb1EPKbPbPKlPlN2at6native12_GLOBAL__N_18offset_tEEE10hipError_tPvRmT1_PNSt15iterator_traitsIS12_E10value_typeET2_T3_PNS13_IS18_E10value_typeET4_jRbjT5_S1E_jjP12ihipStream_tbEUljE_ZNSN_ISO_Lb1ESQ_SR_ST_SU_SY_EESZ_S10_S11_S12_S16_S17_S18_S1B_S1C_jS1D_jS1E_S1E_jjS1G_bEUljE0_EEESZ_S10_S11_S18_S1C_S1E_T6_T7_T9_mT8_S1G_bDpT10_ENKUlT_T0_E_clISt17integral_constantIbLb0EES1U_EEDaS1P_S1Q_EUlS1P_E_NS1_11comp_targetILNS1_3genE2ELNS1_11target_archE906ELNS1_3gpuE6ELNS1_3repE0EEENS1_30default_config_static_selectorELNS0_4arch9wavefront6targetE1EEEvS12_, .Lfunc_end1470-_ZN7rocprim17ROCPRIM_400000_NS6detail17trampoline_kernelINS0_13select_configILj256ELj13ELNS0_17block_load_methodE3ELS4_3ELS4_3ELNS0_20block_scan_algorithmE0ELj4294967295EEENS1_25partition_config_selectorILNS1_17partition_subalgoE4EjNS0_10empty_typeEbEEZZNS1_14partition_implILS8_4ELb0ES6_15HIP_vector_typeIjLj2EENS0_17counting_iteratorIjlEEPS9_SG_NS0_5tupleIJPjSI_NS0_16reverse_iteratorISI_EEEEENSH_IJSG_SG_SG_EEES9_SI_JZNS1_25segmented_radix_sort_implINS0_14default_configELb1EPKbPbPKlPlN2at6native12_GLOBAL__N_18offset_tEEE10hipError_tPvRmT1_PNSt15iterator_traitsIS12_E10value_typeET2_T3_PNS13_IS18_E10value_typeET4_jRbjT5_S1E_jjP12ihipStream_tbEUljE_ZNSN_ISO_Lb1ESQ_SR_ST_SU_SY_EESZ_S10_S11_S12_S16_S17_S18_S1B_S1C_jS1D_jS1E_S1E_jjS1G_bEUljE0_EEESZ_S10_S11_S18_S1C_S1E_T6_T7_T9_mT8_S1G_bDpT10_ENKUlT_T0_E_clISt17integral_constantIbLb0EES1U_EEDaS1P_S1Q_EUlS1P_E_NS1_11comp_targetILNS1_3genE2ELNS1_11target_archE906ELNS1_3gpuE6ELNS1_3repE0EEENS1_30default_config_static_selectorELNS0_4arch9wavefront6targetE1EEEvS12_
                                        ; -- End function
	.section	.AMDGPU.csdata,"",@progbits
; Kernel info:
; codeLenInByte = 0
; NumSgprs: 4
; NumVgprs: 0
; NumAgprs: 0
; TotalNumVgprs: 0
; ScratchSize: 0
; MemoryBound: 0
; FloatMode: 240
; IeeeMode: 1
; LDSByteSize: 0 bytes/workgroup (compile time only)
; SGPRBlocks: 0
; VGPRBlocks: 0
; NumSGPRsForWavesPerEU: 4
; NumVGPRsForWavesPerEU: 1
; AccumOffset: 4
; Occupancy: 8
; WaveLimiterHint : 0
; COMPUTE_PGM_RSRC2:SCRATCH_EN: 0
; COMPUTE_PGM_RSRC2:USER_SGPR: 6
; COMPUTE_PGM_RSRC2:TRAP_HANDLER: 0
; COMPUTE_PGM_RSRC2:TGID_X_EN: 1
; COMPUTE_PGM_RSRC2:TGID_Y_EN: 0
; COMPUTE_PGM_RSRC2:TGID_Z_EN: 0
; COMPUTE_PGM_RSRC2:TIDIG_COMP_CNT: 0
; COMPUTE_PGM_RSRC3_GFX90A:ACCUM_OFFSET: 0
; COMPUTE_PGM_RSRC3_GFX90A:TG_SPLIT: 0
	.section	.text._ZN7rocprim17ROCPRIM_400000_NS6detail17trampoline_kernelINS0_13select_configILj256ELj13ELNS0_17block_load_methodE3ELS4_3ELS4_3ELNS0_20block_scan_algorithmE0ELj4294967295EEENS1_25partition_config_selectorILNS1_17partition_subalgoE4EjNS0_10empty_typeEbEEZZNS1_14partition_implILS8_4ELb0ES6_15HIP_vector_typeIjLj2EENS0_17counting_iteratorIjlEEPS9_SG_NS0_5tupleIJPjSI_NS0_16reverse_iteratorISI_EEEEENSH_IJSG_SG_SG_EEES9_SI_JZNS1_25segmented_radix_sort_implINS0_14default_configELb1EPKbPbPKlPlN2at6native12_GLOBAL__N_18offset_tEEE10hipError_tPvRmT1_PNSt15iterator_traitsIS12_E10value_typeET2_T3_PNS13_IS18_E10value_typeET4_jRbjT5_S1E_jjP12ihipStream_tbEUljE_ZNSN_ISO_Lb1ESQ_SR_ST_SU_SY_EESZ_S10_S11_S12_S16_S17_S18_S1B_S1C_jS1D_jS1E_S1E_jjS1G_bEUljE0_EEESZ_S10_S11_S18_S1C_S1E_T6_T7_T9_mT8_S1G_bDpT10_ENKUlT_T0_E_clISt17integral_constantIbLb0EES1U_EEDaS1P_S1Q_EUlS1P_E_NS1_11comp_targetILNS1_3genE10ELNS1_11target_archE1200ELNS1_3gpuE4ELNS1_3repE0EEENS1_30default_config_static_selectorELNS0_4arch9wavefront6targetE1EEEvS12_,"axG",@progbits,_ZN7rocprim17ROCPRIM_400000_NS6detail17trampoline_kernelINS0_13select_configILj256ELj13ELNS0_17block_load_methodE3ELS4_3ELS4_3ELNS0_20block_scan_algorithmE0ELj4294967295EEENS1_25partition_config_selectorILNS1_17partition_subalgoE4EjNS0_10empty_typeEbEEZZNS1_14partition_implILS8_4ELb0ES6_15HIP_vector_typeIjLj2EENS0_17counting_iteratorIjlEEPS9_SG_NS0_5tupleIJPjSI_NS0_16reverse_iteratorISI_EEEEENSH_IJSG_SG_SG_EEES9_SI_JZNS1_25segmented_radix_sort_implINS0_14default_configELb1EPKbPbPKlPlN2at6native12_GLOBAL__N_18offset_tEEE10hipError_tPvRmT1_PNSt15iterator_traitsIS12_E10value_typeET2_T3_PNS13_IS18_E10value_typeET4_jRbjT5_S1E_jjP12ihipStream_tbEUljE_ZNSN_ISO_Lb1ESQ_SR_ST_SU_SY_EESZ_S10_S11_S12_S16_S17_S18_S1B_S1C_jS1D_jS1E_S1E_jjS1G_bEUljE0_EEESZ_S10_S11_S18_S1C_S1E_T6_T7_T9_mT8_S1G_bDpT10_ENKUlT_T0_E_clISt17integral_constantIbLb0EES1U_EEDaS1P_S1Q_EUlS1P_E_NS1_11comp_targetILNS1_3genE10ELNS1_11target_archE1200ELNS1_3gpuE4ELNS1_3repE0EEENS1_30default_config_static_selectorELNS0_4arch9wavefront6targetE1EEEvS12_,comdat
	.globl	_ZN7rocprim17ROCPRIM_400000_NS6detail17trampoline_kernelINS0_13select_configILj256ELj13ELNS0_17block_load_methodE3ELS4_3ELS4_3ELNS0_20block_scan_algorithmE0ELj4294967295EEENS1_25partition_config_selectorILNS1_17partition_subalgoE4EjNS0_10empty_typeEbEEZZNS1_14partition_implILS8_4ELb0ES6_15HIP_vector_typeIjLj2EENS0_17counting_iteratorIjlEEPS9_SG_NS0_5tupleIJPjSI_NS0_16reverse_iteratorISI_EEEEENSH_IJSG_SG_SG_EEES9_SI_JZNS1_25segmented_radix_sort_implINS0_14default_configELb1EPKbPbPKlPlN2at6native12_GLOBAL__N_18offset_tEEE10hipError_tPvRmT1_PNSt15iterator_traitsIS12_E10value_typeET2_T3_PNS13_IS18_E10value_typeET4_jRbjT5_S1E_jjP12ihipStream_tbEUljE_ZNSN_ISO_Lb1ESQ_SR_ST_SU_SY_EESZ_S10_S11_S12_S16_S17_S18_S1B_S1C_jS1D_jS1E_S1E_jjS1G_bEUljE0_EEESZ_S10_S11_S18_S1C_S1E_T6_T7_T9_mT8_S1G_bDpT10_ENKUlT_T0_E_clISt17integral_constantIbLb0EES1U_EEDaS1P_S1Q_EUlS1P_E_NS1_11comp_targetILNS1_3genE10ELNS1_11target_archE1200ELNS1_3gpuE4ELNS1_3repE0EEENS1_30default_config_static_selectorELNS0_4arch9wavefront6targetE1EEEvS12_ ; -- Begin function _ZN7rocprim17ROCPRIM_400000_NS6detail17trampoline_kernelINS0_13select_configILj256ELj13ELNS0_17block_load_methodE3ELS4_3ELS4_3ELNS0_20block_scan_algorithmE0ELj4294967295EEENS1_25partition_config_selectorILNS1_17partition_subalgoE4EjNS0_10empty_typeEbEEZZNS1_14partition_implILS8_4ELb0ES6_15HIP_vector_typeIjLj2EENS0_17counting_iteratorIjlEEPS9_SG_NS0_5tupleIJPjSI_NS0_16reverse_iteratorISI_EEEEENSH_IJSG_SG_SG_EEES9_SI_JZNS1_25segmented_radix_sort_implINS0_14default_configELb1EPKbPbPKlPlN2at6native12_GLOBAL__N_18offset_tEEE10hipError_tPvRmT1_PNSt15iterator_traitsIS12_E10value_typeET2_T3_PNS13_IS18_E10value_typeET4_jRbjT5_S1E_jjP12ihipStream_tbEUljE_ZNSN_ISO_Lb1ESQ_SR_ST_SU_SY_EESZ_S10_S11_S12_S16_S17_S18_S1B_S1C_jS1D_jS1E_S1E_jjS1G_bEUljE0_EEESZ_S10_S11_S18_S1C_S1E_T6_T7_T9_mT8_S1G_bDpT10_ENKUlT_T0_E_clISt17integral_constantIbLb0EES1U_EEDaS1P_S1Q_EUlS1P_E_NS1_11comp_targetILNS1_3genE10ELNS1_11target_archE1200ELNS1_3gpuE4ELNS1_3repE0EEENS1_30default_config_static_selectorELNS0_4arch9wavefront6targetE1EEEvS12_
	.p2align	8
	.type	_ZN7rocprim17ROCPRIM_400000_NS6detail17trampoline_kernelINS0_13select_configILj256ELj13ELNS0_17block_load_methodE3ELS4_3ELS4_3ELNS0_20block_scan_algorithmE0ELj4294967295EEENS1_25partition_config_selectorILNS1_17partition_subalgoE4EjNS0_10empty_typeEbEEZZNS1_14partition_implILS8_4ELb0ES6_15HIP_vector_typeIjLj2EENS0_17counting_iteratorIjlEEPS9_SG_NS0_5tupleIJPjSI_NS0_16reverse_iteratorISI_EEEEENSH_IJSG_SG_SG_EEES9_SI_JZNS1_25segmented_radix_sort_implINS0_14default_configELb1EPKbPbPKlPlN2at6native12_GLOBAL__N_18offset_tEEE10hipError_tPvRmT1_PNSt15iterator_traitsIS12_E10value_typeET2_T3_PNS13_IS18_E10value_typeET4_jRbjT5_S1E_jjP12ihipStream_tbEUljE_ZNSN_ISO_Lb1ESQ_SR_ST_SU_SY_EESZ_S10_S11_S12_S16_S17_S18_S1B_S1C_jS1D_jS1E_S1E_jjS1G_bEUljE0_EEESZ_S10_S11_S18_S1C_S1E_T6_T7_T9_mT8_S1G_bDpT10_ENKUlT_T0_E_clISt17integral_constantIbLb0EES1U_EEDaS1P_S1Q_EUlS1P_E_NS1_11comp_targetILNS1_3genE10ELNS1_11target_archE1200ELNS1_3gpuE4ELNS1_3repE0EEENS1_30default_config_static_selectorELNS0_4arch9wavefront6targetE1EEEvS12_,@function
_ZN7rocprim17ROCPRIM_400000_NS6detail17trampoline_kernelINS0_13select_configILj256ELj13ELNS0_17block_load_methodE3ELS4_3ELS4_3ELNS0_20block_scan_algorithmE0ELj4294967295EEENS1_25partition_config_selectorILNS1_17partition_subalgoE4EjNS0_10empty_typeEbEEZZNS1_14partition_implILS8_4ELb0ES6_15HIP_vector_typeIjLj2EENS0_17counting_iteratorIjlEEPS9_SG_NS0_5tupleIJPjSI_NS0_16reverse_iteratorISI_EEEEENSH_IJSG_SG_SG_EEES9_SI_JZNS1_25segmented_radix_sort_implINS0_14default_configELb1EPKbPbPKlPlN2at6native12_GLOBAL__N_18offset_tEEE10hipError_tPvRmT1_PNSt15iterator_traitsIS12_E10value_typeET2_T3_PNS13_IS18_E10value_typeET4_jRbjT5_S1E_jjP12ihipStream_tbEUljE_ZNSN_ISO_Lb1ESQ_SR_ST_SU_SY_EESZ_S10_S11_S12_S16_S17_S18_S1B_S1C_jS1D_jS1E_S1E_jjS1G_bEUljE0_EEESZ_S10_S11_S18_S1C_S1E_T6_T7_T9_mT8_S1G_bDpT10_ENKUlT_T0_E_clISt17integral_constantIbLb0EES1U_EEDaS1P_S1Q_EUlS1P_E_NS1_11comp_targetILNS1_3genE10ELNS1_11target_archE1200ELNS1_3gpuE4ELNS1_3repE0EEENS1_30default_config_static_selectorELNS0_4arch9wavefront6targetE1EEEvS12_: ; @_ZN7rocprim17ROCPRIM_400000_NS6detail17trampoline_kernelINS0_13select_configILj256ELj13ELNS0_17block_load_methodE3ELS4_3ELS4_3ELNS0_20block_scan_algorithmE0ELj4294967295EEENS1_25partition_config_selectorILNS1_17partition_subalgoE4EjNS0_10empty_typeEbEEZZNS1_14partition_implILS8_4ELb0ES6_15HIP_vector_typeIjLj2EENS0_17counting_iteratorIjlEEPS9_SG_NS0_5tupleIJPjSI_NS0_16reverse_iteratorISI_EEEEENSH_IJSG_SG_SG_EEES9_SI_JZNS1_25segmented_radix_sort_implINS0_14default_configELb1EPKbPbPKlPlN2at6native12_GLOBAL__N_18offset_tEEE10hipError_tPvRmT1_PNSt15iterator_traitsIS12_E10value_typeET2_T3_PNS13_IS18_E10value_typeET4_jRbjT5_S1E_jjP12ihipStream_tbEUljE_ZNSN_ISO_Lb1ESQ_SR_ST_SU_SY_EESZ_S10_S11_S12_S16_S17_S18_S1B_S1C_jS1D_jS1E_S1E_jjS1G_bEUljE0_EEESZ_S10_S11_S18_S1C_S1E_T6_T7_T9_mT8_S1G_bDpT10_ENKUlT_T0_E_clISt17integral_constantIbLb0EES1U_EEDaS1P_S1Q_EUlS1P_E_NS1_11comp_targetILNS1_3genE10ELNS1_11target_archE1200ELNS1_3gpuE4ELNS1_3repE0EEENS1_30default_config_static_selectorELNS0_4arch9wavefront6targetE1EEEvS12_
; %bb.0:
	.section	.rodata,"a",@progbits
	.p2align	6, 0x0
	.amdhsa_kernel _ZN7rocprim17ROCPRIM_400000_NS6detail17trampoline_kernelINS0_13select_configILj256ELj13ELNS0_17block_load_methodE3ELS4_3ELS4_3ELNS0_20block_scan_algorithmE0ELj4294967295EEENS1_25partition_config_selectorILNS1_17partition_subalgoE4EjNS0_10empty_typeEbEEZZNS1_14partition_implILS8_4ELb0ES6_15HIP_vector_typeIjLj2EENS0_17counting_iteratorIjlEEPS9_SG_NS0_5tupleIJPjSI_NS0_16reverse_iteratorISI_EEEEENSH_IJSG_SG_SG_EEES9_SI_JZNS1_25segmented_radix_sort_implINS0_14default_configELb1EPKbPbPKlPlN2at6native12_GLOBAL__N_18offset_tEEE10hipError_tPvRmT1_PNSt15iterator_traitsIS12_E10value_typeET2_T3_PNS13_IS18_E10value_typeET4_jRbjT5_S1E_jjP12ihipStream_tbEUljE_ZNSN_ISO_Lb1ESQ_SR_ST_SU_SY_EESZ_S10_S11_S12_S16_S17_S18_S1B_S1C_jS1D_jS1E_S1E_jjS1G_bEUljE0_EEESZ_S10_S11_S18_S1C_S1E_T6_T7_T9_mT8_S1G_bDpT10_ENKUlT_T0_E_clISt17integral_constantIbLb0EES1U_EEDaS1P_S1Q_EUlS1P_E_NS1_11comp_targetILNS1_3genE10ELNS1_11target_archE1200ELNS1_3gpuE4ELNS1_3repE0EEENS1_30default_config_static_selectorELNS0_4arch9wavefront6targetE1EEEvS12_
		.amdhsa_group_segment_fixed_size 0
		.amdhsa_private_segment_fixed_size 0
		.amdhsa_kernarg_size 176
		.amdhsa_user_sgpr_count 6
		.amdhsa_user_sgpr_private_segment_buffer 1
		.amdhsa_user_sgpr_dispatch_ptr 0
		.amdhsa_user_sgpr_queue_ptr 0
		.amdhsa_user_sgpr_kernarg_segment_ptr 1
		.amdhsa_user_sgpr_dispatch_id 0
		.amdhsa_user_sgpr_flat_scratch_init 0
		.amdhsa_user_sgpr_kernarg_preload_length 0
		.amdhsa_user_sgpr_kernarg_preload_offset 0
		.amdhsa_user_sgpr_private_segment_size 0
		.amdhsa_uses_dynamic_stack 0
		.amdhsa_system_sgpr_private_segment_wavefront_offset 0
		.amdhsa_system_sgpr_workgroup_id_x 1
		.amdhsa_system_sgpr_workgroup_id_y 0
		.amdhsa_system_sgpr_workgroup_id_z 0
		.amdhsa_system_sgpr_workgroup_info 0
		.amdhsa_system_vgpr_workitem_id 0
		.amdhsa_next_free_vgpr 1
		.amdhsa_next_free_sgpr 0
		.amdhsa_accum_offset 4
		.amdhsa_reserve_vcc 0
		.amdhsa_reserve_flat_scratch 0
		.amdhsa_float_round_mode_32 0
		.amdhsa_float_round_mode_16_64 0
		.amdhsa_float_denorm_mode_32 3
		.amdhsa_float_denorm_mode_16_64 3
		.amdhsa_dx10_clamp 1
		.amdhsa_ieee_mode 1
		.amdhsa_fp16_overflow 0
		.amdhsa_tg_split 0
		.amdhsa_exception_fp_ieee_invalid_op 0
		.amdhsa_exception_fp_denorm_src 0
		.amdhsa_exception_fp_ieee_div_zero 0
		.amdhsa_exception_fp_ieee_overflow 0
		.amdhsa_exception_fp_ieee_underflow 0
		.amdhsa_exception_fp_ieee_inexact 0
		.amdhsa_exception_int_div_zero 0
	.end_amdhsa_kernel
	.section	.text._ZN7rocprim17ROCPRIM_400000_NS6detail17trampoline_kernelINS0_13select_configILj256ELj13ELNS0_17block_load_methodE3ELS4_3ELS4_3ELNS0_20block_scan_algorithmE0ELj4294967295EEENS1_25partition_config_selectorILNS1_17partition_subalgoE4EjNS0_10empty_typeEbEEZZNS1_14partition_implILS8_4ELb0ES6_15HIP_vector_typeIjLj2EENS0_17counting_iteratorIjlEEPS9_SG_NS0_5tupleIJPjSI_NS0_16reverse_iteratorISI_EEEEENSH_IJSG_SG_SG_EEES9_SI_JZNS1_25segmented_radix_sort_implINS0_14default_configELb1EPKbPbPKlPlN2at6native12_GLOBAL__N_18offset_tEEE10hipError_tPvRmT1_PNSt15iterator_traitsIS12_E10value_typeET2_T3_PNS13_IS18_E10value_typeET4_jRbjT5_S1E_jjP12ihipStream_tbEUljE_ZNSN_ISO_Lb1ESQ_SR_ST_SU_SY_EESZ_S10_S11_S12_S16_S17_S18_S1B_S1C_jS1D_jS1E_S1E_jjS1G_bEUljE0_EEESZ_S10_S11_S18_S1C_S1E_T6_T7_T9_mT8_S1G_bDpT10_ENKUlT_T0_E_clISt17integral_constantIbLb0EES1U_EEDaS1P_S1Q_EUlS1P_E_NS1_11comp_targetILNS1_3genE10ELNS1_11target_archE1200ELNS1_3gpuE4ELNS1_3repE0EEENS1_30default_config_static_selectorELNS0_4arch9wavefront6targetE1EEEvS12_,"axG",@progbits,_ZN7rocprim17ROCPRIM_400000_NS6detail17trampoline_kernelINS0_13select_configILj256ELj13ELNS0_17block_load_methodE3ELS4_3ELS4_3ELNS0_20block_scan_algorithmE0ELj4294967295EEENS1_25partition_config_selectorILNS1_17partition_subalgoE4EjNS0_10empty_typeEbEEZZNS1_14partition_implILS8_4ELb0ES6_15HIP_vector_typeIjLj2EENS0_17counting_iteratorIjlEEPS9_SG_NS0_5tupleIJPjSI_NS0_16reverse_iteratorISI_EEEEENSH_IJSG_SG_SG_EEES9_SI_JZNS1_25segmented_radix_sort_implINS0_14default_configELb1EPKbPbPKlPlN2at6native12_GLOBAL__N_18offset_tEEE10hipError_tPvRmT1_PNSt15iterator_traitsIS12_E10value_typeET2_T3_PNS13_IS18_E10value_typeET4_jRbjT5_S1E_jjP12ihipStream_tbEUljE_ZNSN_ISO_Lb1ESQ_SR_ST_SU_SY_EESZ_S10_S11_S12_S16_S17_S18_S1B_S1C_jS1D_jS1E_S1E_jjS1G_bEUljE0_EEESZ_S10_S11_S18_S1C_S1E_T6_T7_T9_mT8_S1G_bDpT10_ENKUlT_T0_E_clISt17integral_constantIbLb0EES1U_EEDaS1P_S1Q_EUlS1P_E_NS1_11comp_targetILNS1_3genE10ELNS1_11target_archE1200ELNS1_3gpuE4ELNS1_3repE0EEENS1_30default_config_static_selectorELNS0_4arch9wavefront6targetE1EEEvS12_,comdat
.Lfunc_end1471:
	.size	_ZN7rocprim17ROCPRIM_400000_NS6detail17trampoline_kernelINS0_13select_configILj256ELj13ELNS0_17block_load_methodE3ELS4_3ELS4_3ELNS0_20block_scan_algorithmE0ELj4294967295EEENS1_25partition_config_selectorILNS1_17partition_subalgoE4EjNS0_10empty_typeEbEEZZNS1_14partition_implILS8_4ELb0ES6_15HIP_vector_typeIjLj2EENS0_17counting_iteratorIjlEEPS9_SG_NS0_5tupleIJPjSI_NS0_16reverse_iteratorISI_EEEEENSH_IJSG_SG_SG_EEES9_SI_JZNS1_25segmented_radix_sort_implINS0_14default_configELb1EPKbPbPKlPlN2at6native12_GLOBAL__N_18offset_tEEE10hipError_tPvRmT1_PNSt15iterator_traitsIS12_E10value_typeET2_T3_PNS13_IS18_E10value_typeET4_jRbjT5_S1E_jjP12ihipStream_tbEUljE_ZNSN_ISO_Lb1ESQ_SR_ST_SU_SY_EESZ_S10_S11_S12_S16_S17_S18_S1B_S1C_jS1D_jS1E_S1E_jjS1G_bEUljE0_EEESZ_S10_S11_S18_S1C_S1E_T6_T7_T9_mT8_S1G_bDpT10_ENKUlT_T0_E_clISt17integral_constantIbLb0EES1U_EEDaS1P_S1Q_EUlS1P_E_NS1_11comp_targetILNS1_3genE10ELNS1_11target_archE1200ELNS1_3gpuE4ELNS1_3repE0EEENS1_30default_config_static_selectorELNS0_4arch9wavefront6targetE1EEEvS12_, .Lfunc_end1471-_ZN7rocprim17ROCPRIM_400000_NS6detail17trampoline_kernelINS0_13select_configILj256ELj13ELNS0_17block_load_methodE3ELS4_3ELS4_3ELNS0_20block_scan_algorithmE0ELj4294967295EEENS1_25partition_config_selectorILNS1_17partition_subalgoE4EjNS0_10empty_typeEbEEZZNS1_14partition_implILS8_4ELb0ES6_15HIP_vector_typeIjLj2EENS0_17counting_iteratorIjlEEPS9_SG_NS0_5tupleIJPjSI_NS0_16reverse_iteratorISI_EEEEENSH_IJSG_SG_SG_EEES9_SI_JZNS1_25segmented_radix_sort_implINS0_14default_configELb1EPKbPbPKlPlN2at6native12_GLOBAL__N_18offset_tEEE10hipError_tPvRmT1_PNSt15iterator_traitsIS12_E10value_typeET2_T3_PNS13_IS18_E10value_typeET4_jRbjT5_S1E_jjP12ihipStream_tbEUljE_ZNSN_ISO_Lb1ESQ_SR_ST_SU_SY_EESZ_S10_S11_S12_S16_S17_S18_S1B_S1C_jS1D_jS1E_S1E_jjS1G_bEUljE0_EEESZ_S10_S11_S18_S1C_S1E_T6_T7_T9_mT8_S1G_bDpT10_ENKUlT_T0_E_clISt17integral_constantIbLb0EES1U_EEDaS1P_S1Q_EUlS1P_E_NS1_11comp_targetILNS1_3genE10ELNS1_11target_archE1200ELNS1_3gpuE4ELNS1_3repE0EEENS1_30default_config_static_selectorELNS0_4arch9wavefront6targetE1EEEvS12_
                                        ; -- End function
	.section	.AMDGPU.csdata,"",@progbits
; Kernel info:
; codeLenInByte = 0
; NumSgprs: 4
; NumVgprs: 0
; NumAgprs: 0
; TotalNumVgprs: 0
; ScratchSize: 0
; MemoryBound: 0
; FloatMode: 240
; IeeeMode: 1
; LDSByteSize: 0 bytes/workgroup (compile time only)
; SGPRBlocks: 0
; VGPRBlocks: 0
; NumSGPRsForWavesPerEU: 4
; NumVGPRsForWavesPerEU: 1
; AccumOffset: 4
; Occupancy: 8
; WaveLimiterHint : 0
; COMPUTE_PGM_RSRC2:SCRATCH_EN: 0
; COMPUTE_PGM_RSRC2:USER_SGPR: 6
; COMPUTE_PGM_RSRC2:TRAP_HANDLER: 0
; COMPUTE_PGM_RSRC2:TGID_X_EN: 1
; COMPUTE_PGM_RSRC2:TGID_Y_EN: 0
; COMPUTE_PGM_RSRC2:TGID_Z_EN: 0
; COMPUTE_PGM_RSRC2:TIDIG_COMP_CNT: 0
; COMPUTE_PGM_RSRC3_GFX90A:ACCUM_OFFSET: 0
; COMPUTE_PGM_RSRC3_GFX90A:TG_SPLIT: 0
	.section	.text._ZN7rocprim17ROCPRIM_400000_NS6detail17trampoline_kernelINS0_13select_configILj256ELj13ELNS0_17block_load_methodE3ELS4_3ELS4_3ELNS0_20block_scan_algorithmE0ELj4294967295EEENS1_25partition_config_selectorILNS1_17partition_subalgoE4EjNS0_10empty_typeEbEEZZNS1_14partition_implILS8_4ELb0ES6_15HIP_vector_typeIjLj2EENS0_17counting_iteratorIjlEEPS9_SG_NS0_5tupleIJPjSI_NS0_16reverse_iteratorISI_EEEEENSH_IJSG_SG_SG_EEES9_SI_JZNS1_25segmented_radix_sort_implINS0_14default_configELb1EPKbPbPKlPlN2at6native12_GLOBAL__N_18offset_tEEE10hipError_tPvRmT1_PNSt15iterator_traitsIS12_E10value_typeET2_T3_PNS13_IS18_E10value_typeET4_jRbjT5_S1E_jjP12ihipStream_tbEUljE_ZNSN_ISO_Lb1ESQ_SR_ST_SU_SY_EESZ_S10_S11_S12_S16_S17_S18_S1B_S1C_jS1D_jS1E_S1E_jjS1G_bEUljE0_EEESZ_S10_S11_S18_S1C_S1E_T6_T7_T9_mT8_S1G_bDpT10_ENKUlT_T0_E_clISt17integral_constantIbLb0EES1U_EEDaS1P_S1Q_EUlS1P_E_NS1_11comp_targetILNS1_3genE9ELNS1_11target_archE1100ELNS1_3gpuE3ELNS1_3repE0EEENS1_30default_config_static_selectorELNS0_4arch9wavefront6targetE1EEEvS12_,"axG",@progbits,_ZN7rocprim17ROCPRIM_400000_NS6detail17trampoline_kernelINS0_13select_configILj256ELj13ELNS0_17block_load_methodE3ELS4_3ELS4_3ELNS0_20block_scan_algorithmE0ELj4294967295EEENS1_25partition_config_selectorILNS1_17partition_subalgoE4EjNS0_10empty_typeEbEEZZNS1_14partition_implILS8_4ELb0ES6_15HIP_vector_typeIjLj2EENS0_17counting_iteratorIjlEEPS9_SG_NS0_5tupleIJPjSI_NS0_16reverse_iteratorISI_EEEEENSH_IJSG_SG_SG_EEES9_SI_JZNS1_25segmented_radix_sort_implINS0_14default_configELb1EPKbPbPKlPlN2at6native12_GLOBAL__N_18offset_tEEE10hipError_tPvRmT1_PNSt15iterator_traitsIS12_E10value_typeET2_T3_PNS13_IS18_E10value_typeET4_jRbjT5_S1E_jjP12ihipStream_tbEUljE_ZNSN_ISO_Lb1ESQ_SR_ST_SU_SY_EESZ_S10_S11_S12_S16_S17_S18_S1B_S1C_jS1D_jS1E_S1E_jjS1G_bEUljE0_EEESZ_S10_S11_S18_S1C_S1E_T6_T7_T9_mT8_S1G_bDpT10_ENKUlT_T0_E_clISt17integral_constantIbLb0EES1U_EEDaS1P_S1Q_EUlS1P_E_NS1_11comp_targetILNS1_3genE9ELNS1_11target_archE1100ELNS1_3gpuE3ELNS1_3repE0EEENS1_30default_config_static_selectorELNS0_4arch9wavefront6targetE1EEEvS12_,comdat
	.globl	_ZN7rocprim17ROCPRIM_400000_NS6detail17trampoline_kernelINS0_13select_configILj256ELj13ELNS0_17block_load_methodE3ELS4_3ELS4_3ELNS0_20block_scan_algorithmE0ELj4294967295EEENS1_25partition_config_selectorILNS1_17partition_subalgoE4EjNS0_10empty_typeEbEEZZNS1_14partition_implILS8_4ELb0ES6_15HIP_vector_typeIjLj2EENS0_17counting_iteratorIjlEEPS9_SG_NS0_5tupleIJPjSI_NS0_16reverse_iteratorISI_EEEEENSH_IJSG_SG_SG_EEES9_SI_JZNS1_25segmented_radix_sort_implINS0_14default_configELb1EPKbPbPKlPlN2at6native12_GLOBAL__N_18offset_tEEE10hipError_tPvRmT1_PNSt15iterator_traitsIS12_E10value_typeET2_T3_PNS13_IS18_E10value_typeET4_jRbjT5_S1E_jjP12ihipStream_tbEUljE_ZNSN_ISO_Lb1ESQ_SR_ST_SU_SY_EESZ_S10_S11_S12_S16_S17_S18_S1B_S1C_jS1D_jS1E_S1E_jjS1G_bEUljE0_EEESZ_S10_S11_S18_S1C_S1E_T6_T7_T9_mT8_S1G_bDpT10_ENKUlT_T0_E_clISt17integral_constantIbLb0EES1U_EEDaS1P_S1Q_EUlS1P_E_NS1_11comp_targetILNS1_3genE9ELNS1_11target_archE1100ELNS1_3gpuE3ELNS1_3repE0EEENS1_30default_config_static_selectorELNS0_4arch9wavefront6targetE1EEEvS12_ ; -- Begin function _ZN7rocprim17ROCPRIM_400000_NS6detail17trampoline_kernelINS0_13select_configILj256ELj13ELNS0_17block_load_methodE3ELS4_3ELS4_3ELNS0_20block_scan_algorithmE0ELj4294967295EEENS1_25partition_config_selectorILNS1_17partition_subalgoE4EjNS0_10empty_typeEbEEZZNS1_14partition_implILS8_4ELb0ES6_15HIP_vector_typeIjLj2EENS0_17counting_iteratorIjlEEPS9_SG_NS0_5tupleIJPjSI_NS0_16reverse_iteratorISI_EEEEENSH_IJSG_SG_SG_EEES9_SI_JZNS1_25segmented_radix_sort_implINS0_14default_configELb1EPKbPbPKlPlN2at6native12_GLOBAL__N_18offset_tEEE10hipError_tPvRmT1_PNSt15iterator_traitsIS12_E10value_typeET2_T3_PNS13_IS18_E10value_typeET4_jRbjT5_S1E_jjP12ihipStream_tbEUljE_ZNSN_ISO_Lb1ESQ_SR_ST_SU_SY_EESZ_S10_S11_S12_S16_S17_S18_S1B_S1C_jS1D_jS1E_S1E_jjS1G_bEUljE0_EEESZ_S10_S11_S18_S1C_S1E_T6_T7_T9_mT8_S1G_bDpT10_ENKUlT_T0_E_clISt17integral_constantIbLb0EES1U_EEDaS1P_S1Q_EUlS1P_E_NS1_11comp_targetILNS1_3genE9ELNS1_11target_archE1100ELNS1_3gpuE3ELNS1_3repE0EEENS1_30default_config_static_selectorELNS0_4arch9wavefront6targetE1EEEvS12_
	.p2align	8
	.type	_ZN7rocprim17ROCPRIM_400000_NS6detail17trampoline_kernelINS0_13select_configILj256ELj13ELNS0_17block_load_methodE3ELS4_3ELS4_3ELNS0_20block_scan_algorithmE0ELj4294967295EEENS1_25partition_config_selectorILNS1_17partition_subalgoE4EjNS0_10empty_typeEbEEZZNS1_14partition_implILS8_4ELb0ES6_15HIP_vector_typeIjLj2EENS0_17counting_iteratorIjlEEPS9_SG_NS0_5tupleIJPjSI_NS0_16reverse_iteratorISI_EEEEENSH_IJSG_SG_SG_EEES9_SI_JZNS1_25segmented_radix_sort_implINS0_14default_configELb1EPKbPbPKlPlN2at6native12_GLOBAL__N_18offset_tEEE10hipError_tPvRmT1_PNSt15iterator_traitsIS12_E10value_typeET2_T3_PNS13_IS18_E10value_typeET4_jRbjT5_S1E_jjP12ihipStream_tbEUljE_ZNSN_ISO_Lb1ESQ_SR_ST_SU_SY_EESZ_S10_S11_S12_S16_S17_S18_S1B_S1C_jS1D_jS1E_S1E_jjS1G_bEUljE0_EEESZ_S10_S11_S18_S1C_S1E_T6_T7_T9_mT8_S1G_bDpT10_ENKUlT_T0_E_clISt17integral_constantIbLb0EES1U_EEDaS1P_S1Q_EUlS1P_E_NS1_11comp_targetILNS1_3genE9ELNS1_11target_archE1100ELNS1_3gpuE3ELNS1_3repE0EEENS1_30default_config_static_selectorELNS0_4arch9wavefront6targetE1EEEvS12_,@function
_ZN7rocprim17ROCPRIM_400000_NS6detail17trampoline_kernelINS0_13select_configILj256ELj13ELNS0_17block_load_methodE3ELS4_3ELS4_3ELNS0_20block_scan_algorithmE0ELj4294967295EEENS1_25partition_config_selectorILNS1_17partition_subalgoE4EjNS0_10empty_typeEbEEZZNS1_14partition_implILS8_4ELb0ES6_15HIP_vector_typeIjLj2EENS0_17counting_iteratorIjlEEPS9_SG_NS0_5tupleIJPjSI_NS0_16reverse_iteratorISI_EEEEENSH_IJSG_SG_SG_EEES9_SI_JZNS1_25segmented_radix_sort_implINS0_14default_configELb1EPKbPbPKlPlN2at6native12_GLOBAL__N_18offset_tEEE10hipError_tPvRmT1_PNSt15iterator_traitsIS12_E10value_typeET2_T3_PNS13_IS18_E10value_typeET4_jRbjT5_S1E_jjP12ihipStream_tbEUljE_ZNSN_ISO_Lb1ESQ_SR_ST_SU_SY_EESZ_S10_S11_S12_S16_S17_S18_S1B_S1C_jS1D_jS1E_S1E_jjS1G_bEUljE0_EEESZ_S10_S11_S18_S1C_S1E_T6_T7_T9_mT8_S1G_bDpT10_ENKUlT_T0_E_clISt17integral_constantIbLb0EES1U_EEDaS1P_S1Q_EUlS1P_E_NS1_11comp_targetILNS1_3genE9ELNS1_11target_archE1100ELNS1_3gpuE3ELNS1_3repE0EEENS1_30default_config_static_selectorELNS0_4arch9wavefront6targetE1EEEvS12_: ; @_ZN7rocprim17ROCPRIM_400000_NS6detail17trampoline_kernelINS0_13select_configILj256ELj13ELNS0_17block_load_methodE3ELS4_3ELS4_3ELNS0_20block_scan_algorithmE0ELj4294967295EEENS1_25partition_config_selectorILNS1_17partition_subalgoE4EjNS0_10empty_typeEbEEZZNS1_14partition_implILS8_4ELb0ES6_15HIP_vector_typeIjLj2EENS0_17counting_iteratorIjlEEPS9_SG_NS0_5tupleIJPjSI_NS0_16reverse_iteratorISI_EEEEENSH_IJSG_SG_SG_EEES9_SI_JZNS1_25segmented_radix_sort_implINS0_14default_configELb1EPKbPbPKlPlN2at6native12_GLOBAL__N_18offset_tEEE10hipError_tPvRmT1_PNSt15iterator_traitsIS12_E10value_typeET2_T3_PNS13_IS18_E10value_typeET4_jRbjT5_S1E_jjP12ihipStream_tbEUljE_ZNSN_ISO_Lb1ESQ_SR_ST_SU_SY_EESZ_S10_S11_S12_S16_S17_S18_S1B_S1C_jS1D_jS1E_S1E_jjS1G_bEUljE0_EEESZ_S10_S11_S18_S1C_S1E_T6_T7_T9_mT8_S1G_bDpT10_ENKUlT_T0_E_clISt17integral_constantIbLb0EES1U_EEDaS1P_S1Q_EUlS1P_E_NS1_11comp_targetILNS1_3genE9ELNS1_11target_archE1100ELNS1_3gpuE3ELNS1_3repE0EEENS1_30default_config_static_selectorELNS0_4arch9wavefront6targetE1EEEvS12_
; %bb.0:
	.section	.rodata,"a",@progbits
	.p2align	6, 0x0
	.amdhsa_kernel _ZN7rocprim17ROCPRIM_400000_NS6detail17trampoline_kernelINS0_13select_configILj256ELj13ELNS0_17block_load_methodE3ELS4_3ELS4_3ELNS0_20block_scan_algorithmE0ELj4294967295EEENS1_25partition_config_selectorILNS1_17partition_subalgoE4EjNS0_10empty_typeEbEEZZNS1_14partition_implILS8_4ELb0ES6_15HIP_vector_typeIjLj2EENS0_17counting_iteratorIjlEEPS9_SG_NS0_5tupleIJPjSI_NS0_16reverse_iteratorISI_EEEEENSH_IJSG_SG_SG_EEES9_SI_JZNS1_25segmented_radix_sort_implINS0_14default_configELb1EPKbPbPKlPlN2at6native12_GLOBAL__N_18offset_tEEE10hipError_tPvRmT1_PNSt15iterator_traitsIS12_E10value_typeET2_T3_PNS13_IS18_E10value_typeET4_jRbjT5_S1E_jjP12ihipStream_tbEUljE_ZNSN_ISO_Lb1ESQ_SR_ST_SU_SY_EESZ_S10_S11_S12_S16_S17_S18_S1B_S1C_jS1D_jS1E_S1E_jjS1G_bEUljE0_EEESZ_S10_S11_S18_S1C_S1E_T6_T7_T9_mT8_S1G_bDpT10_ENKUlT_T0_E_clISt17integral_constantIbLb0EES1U_EEDaS1P_S1Q_EUlS1P_E_NS1_11comp_targetILNS1_3genE9ELNS1_11target_archE1100ELNS1_3gpuE3ELNS1_3repE0EEENS1_30default_config_static_selectorELNS0_4arch9wavefront6targetE1EEEvS12_
		.amdhsa_group_segment_fixed_size 0
		.amdhsa_private_segment_fixed_size 0
		.amdhsa_kernarg_size 176
		.amdhsa_user_sgpr_count 6
		.amdhsa_user_sgpr_private_segment_buffer 1
		.amdhsa_user_sgpr_dispatch_ptr 0
		.amdhsa_user_sgpr_queue_ptr 0
		.amdhsa_user_sgpr_kernarg_segment_ptr 1
		.amdhsa_user_sgpr_dispatch_id 0
		.amdhsa_user_sgpr_flat_scratch_init 0
		.amdhsa_user_sgpr_kernarg_preload_length 0
		.amdhsa_user_sgpr_kernarg_preload_offset 0
		.amdhsa_user_sgpr_private_segment_size 0
		.amdhsa_uses_dynamic_stack 0
		.amdhsa_system_sgpr_private_segment_wavefront_offset 0
		.amdhsa_system_sgpr_workgroup_id_x 1
		.amdhsa_system_sgpr_workgroup_id_y 0
		.amdhsa_system_sgpr_workgroup_id_z 0
		.amdhsa_system_sgpr_workgroup_info 0
		.amdhsa_system_vgpr_workitem_id 0
		.amdhsa_next_free_vgpr 1
		.amdhsa_next_free_sgpr 0
		.amdhsa_accum_offset 4
		.amdhsa_reserve_vcc 0
		.amdhsa_reserve_flat_scratch 0
		.amdhsa_float_round_mode_32 0
		.amdhsa_float_round_mode_16_64 0
		.amdhsa_float_denorm_mode_32 3
		.amdhsa_float_denorm_mode_16_64 3
		.amdhsa_dx10_clamp 1
		.amdhsa_ieee_mode 1
		.amdhsa_fp16_overflow 0
		.amdhsa_tg_split 0
		.amdhsa_exception_fp_ieee_invalid_op 0
		.amdhsa_exception_fp_denorm_src 0
		.amdhsa_exception_fp_ieee_div_zero 0
		.amdhsa_exception_fp_ieee_overflow 0
		.amdhsa_exception_fp_ieee_underflow 0
		.amdhsa_exception_fp_ieee_inexact 0
		.amdhsa_exception_int_div_zero 0
	.end_amdhsa_kernel
	.section	.text._ZN7rocprim17ROCPRIM_400000_NS6detail17trampoline_kernelINS0_13select_configILj256ELj13ELNS0_17block_load_methodE3ELS4_3ELS4_3ELNS0_20block_scan_algorithmE0ELj4294967295EEENS1_25partition_config_selectorILNS1_17partition_subalgoE4EjNS0_10empty_typeEbEEZZNS1_14partition_implILS8_4ELb0ES6_15HIP_vector_typeIjLj2EENS0_17counting_iteratorIjlEEPS9_SG_NS0_5tupleIJPjSI_NS0_16reverse_iteratorISI_EEEEENSH_IJSG_SG_SG_EEES9_SI_JZNS1_25segmented_radix_sort_implINS0_14default_configELb1EPKbPbPKlPlN2at6native12_GLOBAL__N_18offset_tEEE10hipError_tPvRmT1_PNSt15iterator_traitsIS12_E10value_typeET2_T3_PNS13_IS18_E10value_typeET4_jRbjT5_S1E_jjP12ihipStream_tbEUljE_ZNSN_ISO_Lb1ESQ_SR_ST_SU_SY_EESZ_S10_S11_S12_S16_S17_S18_S1B_S1C_jS1D_jS1E_S1E_jjS1G_bEUljE0_EEESZ_S10_S11_S18_S1C_S1E_T6_T7_T9_mT8_S1G_bDpT10_ENKUlT_T0_E_clISt17integral_constantIbLb0EES1U_EEDaS1P_S1Q_EUlS1P_E_NS1_11comp_targetILNS1_3genE9ELNS1_11target_archE1100ELNS1_3gpuE3ELNS1_3repE0EEENS1_30default_config_static_selectorELNS0_4arch9wavefront6targetE1EEEvS12_,"axG",@progbits,_ZN7rocprim17ROCPRIM_400000_NS6detail17trampoline_kernelINS0_13select_configILj256ELj13ELNS0_17block_load_methodE3ELS4_3ELS4_3ELNS0_20block_scan_algorithmE0ELj4294967295EEENS1_25partition_config_selectorILNS1_17partition_subalgoE4EjNS0_10empty_typeEbEEZZNS1_14partition_implILS8_4ELb0ES6_15HIP_vector_typeIjLj2EENS0_17counting_iteratorIjlEEPS9_SG_NS0_5tupleIJPjSI_NS0_16reverse_iteratorISI_EEEEENSH_IJSG_SG_SG_EEES9_SI_JZNS1_25segmented_radix_sort_implINS0_14default_configELb1EPKbPbPKlPlN2at6native12_GLOBAL__N_18offset_tEEE10hipError_tPvRmT1_PNSt15iterator_traitsIS12_E10value_typeET2_T3_PNS13_IS18_E10value_typeET4_jRbjT5_S1E_jjP12ihipStream_tbEUljE_ZNSN_ISO_Lb1ESQ_SR_ST_SU_SY_EESZ_S10_S11_S12_S16_S17_S18_S1B_S1C_jS1D_jS1E_S1E_jjS1G_bEUljE0_EEESZ_S10_S11_S18_S1C_S1E_T6_T7_T9_mT8_S1G_bDpT10_ENKUlT_T0_E_clISt17integral_constantIbLb0EES1U_EEDaS1P_S1Q_EUlS1P_E_NS1_11comp_targetILNS1_3genE9ELNS1_11target_archE1100ELNS1_3gpuE3ELNS1_3repE0EEENS1_30default_config_static_selectorELNS0_4arch9wavefront6targetE1EEEvS12_,comdat
.Lfunc_end1472:
	.size	_ZN7rocprim17ROCPRIM_400000_NS6detail17trampoline_kernelINS0_13select_configILj256ELj13ELNS0_17block_load_methodE3ELS4_3ELS4_3ELNS0_20block_scan_algorithmE0ELj4294967295EEENS1_25partition_config_selectorILNS1_17partition_subalgoE4EjNS0_10empty_typeEbEEZZNS1_14partition_implILS8_4ELb0ES6_15HIP_vector_typeIjLj2EENS0_17counting_iteratorIjlEEPS9_SG_NS0_5tupleIJPjSI_NS0_16reverse_iteratorISI_EEEEENSH_IJSG_SG_SG_EEES9_SI_JZNS1_25segmented_radix_sort_implINS0_14default_configELb1EPKbPbPKlPlN2at6native12_GLOBAL__N_18offset_tEEE10hipError_tPvRmT1_PNSt15iterator_traitsIS12_E10value_typeET2_T3_PNS13_IS18_E10value_typeET4_jRbjT5_S1E_jjP12ihipStream_tbEUljE_ZNSN_ISO_Lb1ESQ_SR_ST_SU_SY_EESZ_S10_S11_S12_S16_S17_S18_S1B_S1C_jS1D_jS1E_S1E_jjS1G_bEUljE0_EEESZ_S10_S11_S18_S1C_S1E_T6_T7_T9_mT8_S1G_bDpT10_ENKUlT_T0_E_clISt17integral_constantIbLb0EES1U_EEDaS1P_S1Q_EUlS1P_E_NS1_11comp_targetILNS1_3genE9ELNS1_11target_archE1100ELNS1_3gpuE3ELNS1_3repE0EEENS1_30default_config_static_selectorELNS0_4arch9wavefront6targetE1EEEvS12_, .Lfunc_end1472-_ZN7rocprim17ROCPRIM_400000_NS6detail17trampoline_kernelINS0_13select_configILj256ELj13ELNS0_17block_load_methodE3ELS4_3ELS4_3ELNS0_20block_scan_algorithmE0ELj4294967295EEENS1_25partition_config_selectorILNS1_17partition_subalgoE4EjNS0_10empty_typeEbEEZZNS1_14partition_implILS8_4ELb0ES6_15HIP_vector_typeIjLj2EENS0_17counting_iteratorIjlEEPS9_SG_NS0_5tupleIJPjSI_NS0_16reverse_iteratorISI_EEEEENSH_IJSG_SG_SG_EEES9_SI_JZNS1_25segmented_radix_sort_implINS0_14default_configELb1EPKbPbPKlPlN2at6native12_GLOBAL__N_18offset_tEEE10hipError_tPvRmT1_PNSt15iterator_traitsIS12_E10value_typeET2_T3_PNS13_IS18_E10value_typeET4_jRbjT5_S1E_jjP12ihipStream_tbEUljE_ZNSN_ISO_Lb1ESQ_SR_ST_SU_SY_EESZ_S10_S11_S12_S16_S17_S18_S1B_S1C_jS1D_jS1E_S1E_jjS1G_bEUljE0_EEESZ_S10_S11_S18_S1C_S1E_T6_T7_T9_mT8_S1G_bDpT10_ENKUlT_T0_E_clISt17integral_constantIbLb0EES1U_EEDaS1P_S1Q_EUlS1P_E_NS1_11comp_targetILNS1_3genE9ELNS1_11target_archE1100ELNS1_3gpuE3ELNS1_3repE0EEENS1_30default_config_static_selectorELNS0_4arch9wavefront6targetE1EEEvS12_
                                        ; -- End function
	.section	.AMDGPU.csdata,"",@progbits
; Kernel info:
; codeLenInByte = 0
; NumSgprs: 4
; NumVgprs: 0
; NumAgprs: 0
; TotalNumVgprs: 0
; ScratchSize: 0
; MemoryBound: 0
; FloatMode: 240
; IeeeMode: 1
; LDSByteSize: 0 bytes/workgroup (compile time only)
; SGPRBlocks: 0
; VGPRBlocks: 0
; NumSGPRsForWavesPerEU: 4
; NumVGPRsForWavesPerEU: 1
; AccumOffset: 4
; Occupancy: 8
; WaveLimiterHint : 0
; COMPUTE_PGM_RSRC2:SCRATCH_EN: 0
; COMPUTE_PGM_RSRC2:USER_SGPR: 6
; COMPUTE_PGM_RSRC2:TRAP_HANDLER: 0
; COMPUTE_PGM_RSRC2:TGID_X_EN: 1
; COMPUTE_PGM_RSRC2:TGID_Y_EN: 0
; COMPUTE_PGM_RSRC2:TGID_Z_EN: 0
; COMPUTE_PGM_RSRC2:TIDIG_COMP_CNT: 0
; COMPUTE_PGM_RSRC3_GFX90A:ACCUM_OFFSET: 0
; COMPUTE_PGM_RSRC3_GFX90A:TG_SPLIT: 0
	.section	.text._ZN7rocprim17ROCPRIM_400000_NS6detail17trampoline_kernelINS0_13select_configILj256ELj13ELNS0_17block_load_methodE3ELS4_3ELS4_3ELNS0_20block_scan_algorithmE0ELj4294967295EEENS1_25partition_config_selectorILNS1_17partition_subalgoE4EjNS0_10empty_typeEbEEZZNS1_14partition_implILS8_4ELb0ES6_15HIP_vector_typeIjLj2EENS0_17counting_iteratorIjlEEPS9_SG_NS0_5tupleIJPjSI_NS0_16reverse_iteratorISI_EEEEENSH_IJSG_SG_SG_EEES9_SI_JZNS1_25segmented_radix_sort_implINS0_14default_configELb1EPKbPbPKlPlN2at6native12_GLOBAL__N_18offset_tEEE10hipError_tPvRmT1_PNSt15iterator_traitsIS12_E10value_typeET2_T3_PNS13_IS18_E10value_typeET4_jRbjT5_S1E_jjP12ihipStream_tbEUljE_ZNSN_ISO_Lb1ESQ_SR_ST_SU_SY_EESZ_S10_S11_S12_S16_S17_S18_S1B_S1C_jS1D_jS1E_S1E_jjS1G_bEUljE0_EEESZ_S10_S11_S18_S1C_S1E_T6_T7_T9_mT8_S1G_bDpT10_ENKUlT_T0_E_clISt17integral_constantIbLb0EES1U_EEDaS1P_S1Q_EUlS1P_E_NS1_11comp_targetILNS1_3genE8ELNS1_11target_archE1030ELNS1_3gpuE2ELNS1_3repE0EEENS1_30default_config_static_selectorELNS0_4arch9wavefront6targetE1EEEvS12_,"axG",@progbits,_ZN7rocprim17ROCPRIM_400000_NS6detail17trampoline_kernelINS0_13select_configILj256ELj13ELNS0_17block_load_methodE3ELS4_3ELS4_3ELNS0_20block_scan_algorithmE0ELj4294967295EEENS1_25partition_config_selectorILNS1_17partition_subalgoE4EjNS0_10empty_typeEbEEZZNS1_14partition_implILS8_4ELb0ES6_15HIP_vector_typeIjLj2EENS0_17counting_iteratorIjlEEPS9_SG_NS0_5tupleIJPjSI_NS0_16reverse_iteratorISI_EEEEENSH_IJSG_SG_SG_EEES9_SI_JZNS1_25segmented_radix_sort_implINS0_14default_configELb1EPKbPbPKlPlN2at6native12_GLOBAL__N_18offset_tEEE10hipError_tPvRmT1_PNSt15iterator_traitsIS12_E10value_typeET2_T3_PNS13_IS18_E10value_typeET4_jRbjT5_S1E_jjP12ihipStream_tbEUljE_ZNSN_ISO_Lb1ESQ_SR_ST_SU_SY_EESZ_S10_S11_S12_S16_S17_S18_S1B_S1C_jS1D_jS1E_S1E_jjS1G_bEUljE0_EEESZ_S10_S11_S18_S1C_S1E_T6_T7_T9_mT8_S1G_bDpT10_ENKUlT_T0_E_clISt17integral_constantIbLb0EES1U_EEDaS1P_S1Q_EUlS1P_E_NS1_11comp_targetILNS1_3genE8ELNS1_11target_archE1030ELNS1_3gpuE2ELNS1_3repE0EEENS1_30default_config_static_selectorELNS0_4arch9wavefront6targetE1EEEvS12_,comdat
	.globl	_ZN7rocprim17ROCPRIM_400000_NS6detail17trampoline_kernelINS0_13select_configILj256ELj13ELNS0_17block_load_methodE3ELS4_3ELS4_3ELNS0_20block_scan_algorithmE0ELj4294967295EEENS1_25partition_config_selectorILNS1_17partition_subalgoE4EjNS0_10empty_typeEbEEZZNS1_14partition_implILS8_4ELb0ES6_15HIP_vector_typeIjLj2EENS0_17counting_iteratorIjlEEPS9_SG_NS0_5tupleIJPjSI_NS0_16reverse_iteratorISI_EEEEENSH_IJSG_SG_SG_EEES9_SI_JZNS1_25segmented_radix_sort_implINS0_14default_configELb1EPKbPbPKlPlN2at6native12_GLOBAL__N_18offset_tEEE10hipError_tPvRmT1_PNSt15iterator_traitsIS12_E10value_typeET2_T3_PNS13_IS18_E10value_typeET4_jRbjT5_S1E_jjP12ihipStream_tbEUljE_ZNSN_ISO_Lb1ESQ_SR_ST_SU_SY_EESZ_S10_S11_S12_S16_S17_S18_S1B_S1C_jS1D_jS1E_S1E_jjS1G_bEUljE0_EEESZ_S10_S11_S18_S1C_S1E_T6_T7_T9_mT8_S1G_bDpT10_ENKUlT_T0_E_clISt17integral_constantIbLb0EES1U_EEDaS1P_S1Q_EUlS1P_E_NS1_11comp_targetILNS1_3genE8ELNS1_11target_archE1030ELNS1_3gpuE2ELNS1_3repE0EEENS1_30default_config_static_selectorELNS0_4arch9wavefront6targetE1EEEvS12_ ; -- Begin function _ZN7rocprim17ROCPRIM_400000_NS6detail17trampoline_kernelINS0_13select_configILj256ELj13ELNS0_17block_load_methodE3ELS4_3ELS4_3ELNS0_20block_scan_algorithmE0ELj4294967295EEENS1_25partition_config_selectorILNS1_17partition_subalgoE4EjNS0_10empty_typeEbEEZZNS1_14partition_implILS8_4ELb0ES6_15HIP_vector_typeIjLj2EENS0_17counting_iteratorIjlEEPS9_SG_NS0_5tupleIJPjSI_NS0_16reverse_iteratorISI_EEEEENSH_IJSG_SG_SG_EEES9_SI_JZNS1_25segmented_radix_sort_implINS0_14default_configELb1EPKbPbPKlPlN2at6native12_GLOBAL__N_18offset_tEEE10hipError_tPvRmT1_PNSt15iterator_traitsIS12_E10value_typeET2_T3_PNS13_IS18_E10value_typeET4_jRbjT5_S1E_jjP12ihipStream_tbEUljE_ZNSN_ISO_Lb1ESQ_SR_ST_SU_SY_EESZ_S10_S11_S12_S16_S17_S18_S1B_S1C_jS1D_jS1E_S1E_jjS1G_bEUljE0_EEESZ_S10_S11_S18_S1C_S1E_T6_T7_T9_mT8_S1G_bDpT10_ENKUlT_T0_E_clISt17integral_constantIbLb0EES1U_EEDaS1P_S1Q_EUlS1P_E_NS1_11comp_targetILNS1_3genE8ELNS1_11target_archE1030ELNS1_3gpuE2ELNS1_3repE0EEENS1_30default_config_static_selectorELNS0_4arch9wavefront6targetE1EEEvS12_
	.p2align	8
	.type	_ZN7rocprim17ROCPRIM_400000_NS6detail17trampoline_kernelINS0_13select_configILj256ELj13ELNS0_17block_load_methodE3ELS4_3ELS4_3ELNS0_20block_scan_algorithmE0ELj4294967295EEENS1_25partition_config_selectorILNS1_17partition_subalgoE4EjNS0_10empty_typeEbEEZZNS1_14partition_implILS8_4ELb0ES6_15HIP_vector_typeIjLj2EENS0_17counting_iteratorIjlEEPS9_SG_NS0_5tupleIJPjSI_NS0_16reverse_iteratorISI_EEEEENSH_IJSG_SG_SG_EEES9_SI_JZNS1_25segmented_radix_sort_implINS0_14default_configELb1EPKbPbPKlPlN2at6native12_GLOBAL__N_18offset_tEEE10hipError_tPvRmT1_PNSt15iterator_traitsIS12_E10value_typeET2_T3_PNS13_IS18_E10value_typeET4_jRbjT5_S1E_jjP12ihipStream_tbEUljE_ZNSN_ISO_Lb1ESQ_SR_ST_SU_SY_EESZ_S10_S11_S12_S16_S17_S18_S1B_S1C_jS1D_jS1E_S1E_jjS1G_bEUljE0_EEESZ_S10_S11_S18_S1C_S1E_T6_T7_T9_mT8_S1G_bDpT10_ENKUlT_T0_E_clISt17integral_constantIbLb0EES1U_EEDaS1P_S1Q_EUlS1P_E_NS1_11comp_targetILNS1_3genE8ELNS1_11target_archE1030ELNS1_3gpuE2ELNS1_3repE0EEENS1_30default_config_static_selectorELNS0_4arch9wavefront6targetE1EEEvS12_,@function
_ZN7rocprim17ROCPRIM_400000_NS6detail17trampoline_kernelINS0_13select_configILj256ELj13ELNS0_17block_load_methodE3ELS4_3ELS4_3ELNS0_20block_scan_algorithmE0ELj4294967295EEENS1_25partition_config_selectorILNS1_17partition_subalgoE4EjNS0_10empty_typeEbEEZZNS1_14partition_implILS8_4ELb0ES6_15HIP_vector_typeIjLj2EENS0_17counting_iteratorIjlEEPS9_SG_NS0_5tupleIJPjSI_NS0_16reverse_iteratorISI_EEEEENSH_IJSG_SG_SG_EEES9_SI_JZNS1_25segmented_radix_sort_implINS0_14default_configELb1EPKbPbPKlPlN2at6native12_GLOBAL__N_18offset_tEEE10hipError_tPvRmT1_PNSt15iterator_traitsIS12_E10value_typeET2_T3_PNS13_IS18_E10value_typeET4_jRbjT5_S1E_jjP12ihipStream_tbEUljE_ZNSN_ISO_Lb1ESQ_SR_ST_SU_SY_EESZ_S10_S11_S12_S16_S17_S18_S1B_S1C_jS1D_jS1E_S1E_jjS1G_bEUljE0_EEESZ_S10_S11_S18_S1C_S1E_T6_T7_T9_mT8_S1G_bDpT10_ENKUlT_T0_E_clISt17integral_constantIbLb0EES1U_EEDaS1P_S1Q_EUlS1P_E_NS1_11comp_targetILNS1_3genE8ELNS1_11target_archE1030ELNS1_3gpuE2ELNS1_3repE0EEENS1_30default_config_static_selectorELNS0_4arch9wavefront6targetE1EEEvS12_: ; @_ZN7rocprim17ROCPRIM_400000_NS6detail17trampoline_kernelINS0_13select_configILj256ELj13ELNS0_17block_load_methodE3ELS4_3ELS4_3ELNS0_20block_scan_algorithmE0ELj4294967295EEENS1_25partition_config_selectorILNS1_17partition_subalgoE4EjNS0_10empty_typeEbEEZZNS1_14partition_implILS8_4ELb0ES6_15HIP_vector_typeIjLj2EENS0_17counting_iteratorIjlEEPS9_SG_NS0_5tupleIJPjSI_NS0_16reverse_iteratorISI_EEEEENSH_IJSG_SG_SG_EEES9_SI_JZNS1_25segmented_radix_sort_implINS0_14default_configELb1EPKbPbPKlPlN2at6native12_GLOBAL__N_18offset_tEEE10hipError_tPvRmT1_PNSt15iterator_traitsIS12_E10value_typeET2_T3_PNS13_IS18_E10value_typeET4_jRbjT5_S1E_jjP12ihipStream_tbEUljE_ZNSN_ISO_Lb1ESQ_SR_ST_SU_SY_EESZ_S10_S11_S12_S16_S17_S18_S1B_S1C_jS1D_jS1E_S1E_jjS1G_bEUljE0_EEESZ_S10_S11_S18_S1C_S1E_T6_T7_T9_mT8_S1G_bDpT10_ENKUlT_T0_E_clISt17integral_constantIbLb0EES1U_EEDaS1P_S1Q_EUlS1P_E_NS1_11comp_targetILNS1_3genE8ELNS1_11target_archE1030ELNS1_3gpuE2ELNS1_3repE0EEENS1_30default_config_static_selectorELNS0_4arch9wavefront6targetE1EEEvS12_
; %bb.0:
	.section	.rodata,"a",@progbits
	.p2align	6, 0x0
	.amdhsa_kernel _ZN7rocprim17ROCPRIM_400000_NS6detail17trampoline_kernelINS0_13select_configILj256ELj13ELNS0_17block_load_methodE3ELS4_3ELS4_3ELNS0_20block_scan_algorithmE0ELj4294967295EEENS1_25partition_config_selectorILNS1_17partition_subalgoE4EjNS0_10empty_typeEbEEZZNS1_14partition_implILS8_4ELb0ES6_15HIP_vector_typeIjLj2EENS0_17counting_iteratorIjlEEPS9_SG_NS0_5tupleIJPjSI_NS0_16reverse_iteratorISI_EEEEENSH_IJSG_SG_SG_EEES9_SI_JZNS1_25segmented_radix_sort_implINS0_14default_configELb1EPKbPbPKlPlN2at6native12_GLOBAL__N_18offset_tEEE10hipError_tPvRmT1_PNSt15iterator_traitsIS12_E10value_typeET2_T3_PNS13_IS18_E10value_typeET4_jRbjT5_S1E_jjP12ihipStream_tbEUljE_ZNSN_ISO_Lb1ESQ_SR_ST_SU_SY_EESZ_S10_S11_S12_S16_S17_S18_S1B_S1C_jS1D_jS1E_S1E_jjS1G_bEUljE0_EEESZ_S10_S11_S18_S1C_S1E_T6_T7_T9_mT8_S1G_bDpT10_ENKUlT_T0_E_clISt17integral_constantIbLb0EES1U_EEDaS1P_S1Q_EUlS1P_E_NS1_11comp_targetILNS1_3genE8ELNS1_11target_archE1030ELNS1_3gpuE2ELNS1_3repE0EEENS1_30default_config_static_selectorELNS0_4arch9wavefront6targetE1EEEvS12_
		.amdhsa_group_segment_fixed_size 0
		.amdhsa_private_segment_fixed_size 0
		.amdhsa_kernarg_size 176
		.amdhsa_user_sgpr_count 6
		.amdhsa_user_sgpr_private_segment_buffer 1
		.amdhsa_user_sgpr_dispatch_ptr 0
		.amdhsa_user_sgpr_queue_ptr 0
		.amdhsa_user_sgpr_kernarg_segment_ptr 1
		.amdhsa_user_sgpr_dispatch_id 0
		.amdhsa_user_sgpr_flat_scratch_init 0
		.amdhsa_user_sgpr_kernarg_preload_length 0
		.amdhsa_user_sgpr_kernarg_preload_offset 0
		.amdhsa_user_sgpr_private_segment_size 0
		.amdhsa_uses_dynamic_stack 0
		.amdhsa_system_sgpr_private_segment_wavefront_offset 0
		.amdhsa_system_sgpr_workgroup_id_x 1
		.amdhsa_system_sgpr_workgroup_id_y 0
		.amdhsa_system_sgpr_workgroup_id_z 0
		.amdhsa_system_sgpr_workgroup_info 0
		.amdhsa_system_vgpr_workitem_id 0
		.amdhsa_next_free_vgpr 1
		.amdhsa_next_free_sgpr 0
		.amdhsa_accum_offset 4
		.amdhsa_reserve_vcc 0
		.amdhsa_reserve_flat_scratch 0
		.amdhsa_float_round_mode_32 0
		.amdhsa_float_round_mode_16_64 0
		.amdhsa_float_denorm_mode_32 3
		.amdhsa_float_denorm_mode_16_64 3
		.amdhsa_dx10_clamp 1
		.amdhsa_ieee_mode 1
		.amdhsa_fp16_overflow 0
		.amdhsa_tg_split 0
		.amdhsa_exception_fp_ieee_invalid_op 0
		.amdhsa_exception_fp_denorm_src 0
		.amdhsa_exception_fp_ieee_div_zero 0
		.amdhsa_exception_fp_ieee_overflow 0
		.amdhsa_exception_fp_ieee_underflow 0
		.amdhsa_exception_fp_ieee_inexact 0
		.amdhsa_exception_int_div_zero 0
	.end_amdhsa_kernel
	.section	.text._ZN7rocprim17ROCPRIM_400000_NS6detail17trampoline_kernelINS0_13select_configILj256ELj13ELNS0_17block_load_methodE3ELS4_3ELS4_3ELNS0_20block_scan_algorithmE0ELj4294967295EEENS1_25partition_config_selectorILNS1_17partition_subalgoE4EjNS0_10empty_typeEbEEZZNS1_14partition_implILS8_4ELb0ES6_15HIP_vector_typeIjLj2EENS0_17counting_iteratorIjlEEPS9_SG_NS0_5tupleIJPjSI_NS0_16reverse_iteratorISI_EEEEENSH_IJSG_SG_SG_EEES9_SI_JZNS1_25segmented_radix_sort_implINS0_14default_configELb1EPKbPbPKlPlN2at6native12_GLOBAL__N_18offset_tEEE10hipError_tPvRmT1_PNSt15iterator_traitsIS12_E10value_typeET2_T3_PNS13_IS18_E10value_typeET4_jRbjT5_S1E_jjP12ihipStream_tbEUljE_ZNSN_ISO_Lb1ESQ_SR_ST_SU_SY_EESZ_S10_S11_S12_S16_S17_S18_S1B_S1C_jS1D_jS1E_S1E_jjS1G_bEUljE0_EEESZ_S10_S11_S18_S1C_S1E_T6_T7_T9_mT8_S1G_bDpT10_ENKUlT_T0_E_clISt17integral_constantIbLb0EES1U_EEDaS1P_S1Q_EUlS1P_E_NS1_11comp_targetILNS1_3genE8ELNS1_11target_archE1030ELNS1_3gpuE2ELNS1_3repE0EEENS1_30default_config_static_selectorELNS0_4arch9wavefront6targetE1EEEvS12_,"axG",@progbits,_ZN7rocprim17ROCPRIM_400000_NS6detail17trampoline_kernelINS0_13select_configILj256ELj13ELNS0_17block_load_methodE3ELS4_3ELS4_3ELNS0_20block_scan_algorithmE0ELj4294967295EEENS1_25partition_config_selectorILNS1_17partition_subalgoE4EjNS0_10empty_typeEbEEZZNS1_14partition_implILS8_4ELb0ES6_15HIP_vector_typeIjLj2EENS0_17counting_iteratorIjlEEPS9_SG_NS0_5tupleIJPjSI_NS0_16reverse_iteratorISI_EEEEENSH_IJSG_SG_SG_EEES9_SI_JZNS1_25segmented_radix_sort_implINS0_14default_configELb1EPKbPbPKlPlN2at6native12_GLOBAL__N_18offset_tEEE10hipError_tPvRmT1_PNSt15iterator_traitsIS12_E10value_typeET2_T3_PNS13_IS18_E10value_typeET4_jRbjT5_S1E_jjP12ihipStream_tbEUljE_ZNSN_ISO_Lb1ESQ_SR_ST_SU_SY_EESZ_S10_S11_S12_S16_S17_S18_S1B_S1C_jS1D_jS1E_S1E_jjS1G_bEUljE0_EEESZ_S10_S11_S18_S1C_S1E_T6_T7_T9_mT8_S1G_bDpT10_ENKUlT_T0_E_clISt17integral_constantIbLb0EES1U_EEDaS1P_S1Q_EUlS1P_E_NS1_11comp_targetILNS1_3genE8ELNS1_11target_archE1030ELNS1_3gpuE2ELNS1_3repE0EEENS1_30default_config_static_selectorELNS0_4arch9wavefront6targetE1EEEvS12_,comdat
.Lfunc_end1473:
	.size	_ZN7rocprim17ROCPRIM_400000_NS6detail17trampoline_kernelINS0_13select_configILj256ELj13ELNS0_17block_load_methodE3ELS4_3ELS4_3ELNS0_20block_scan_algorithmE0ELj4294967295EEENS1_25partition_config_selectorILNS1_17partition_subalgoE4EjNS0_10empty_typeEbEEZZNS1_14partition_implILS8_4ELb0ES6_15HIP_vector_typeIjLj2EENS0_17counting_iteratorIjlEEPS9_SG_NS0_5tupleIJPjSI_NS0_16reverse_iteratorISI_EEEEENSH_IJSG_SG_SG_EEES9_SI_JZNS1_25segmented_radix_sort_implINS0_14default_configELb1EPKbPbPKlPlN2at6native12_GLOBAL__N_18offset_tEEE10hipError_tPvRmT1_PNSt15iterator_traitsIS12_E10value_typeET2_T3_PNS13_IS18_E10value_typeET4_jRbjT5_S1E_jjP12ihipStream_tbEUljE_ZNSN_ISO_Lb1ESQ_SR_ST_SU_SY_EESZ_S10_S11_S12_S16_S17_S18_S1B_S1C_jS1D_jS1E_S1E_jjS1G_bEUljE0_EEESZ_S10_S11_S18_S1C_S1E_T6_T7_T9_mT8_S1G_bDpT10_ENKUlT_T0_E_clISt17integral_constantIbLb0EES1U_EEDaS1P_S1Q_EUlS1P_E_NS1_11comp_targetILNS1_3genE8ELNS1_11target_archE1030ELNS1_3gpuE2ELNS1_3repE0EEENS1_30default_config_static_selectorELNS0_4arch9wavefront6targetE1EEEvS12_, .Lfunc_end1473-_ZN7rocprim17ROCPRIM_400000_NS6detail17trampoline_kernelINS0_13select_configILj256ELj13ELNS0_17block_load_methodE3ELS4_3ELS4_3ELNS0_20block_scan_algorithmE0ELj4294967295EEENS1_25partition_config_selectorILNS1_17partition_subalgoE4EjNS0_10empty_typeEbEEZZNS1_14partition_implILS8_4ELb0ES6_15HIP_vector_typeIjLj2EENS0_17counting_iteratorIjlEEPS9_SG_NS0_5tupleIJPjSI_NS0_16reverse_iteratorISI_EEEEENSH_IJSG_SG_SG_EEES9_SI_JZNS1_25segmented_radix_sort_implINS0_14default_configELb1EPKbPbPKlPlN2at6native12_GLOBAL__N_18offset_tEEE10hipError_tPvRmT1_PNSt15iterator_traitsIS12_E10value_typeET2_T3_PNS13_IS18_E10value_typeET4_jRbjT5_S1E_jjP12ihipStream_tbEUljE_ZNSN_ISO_Lb1ESQ_SR_ST_SU_SY_EESZ_S10_S11_S12_S16_S17_S18_S1B_S1C_jS1D_jS1E_S1E_jjS1G_bEUljE0_EEESZ_S10_S11_S18_S1C_S1E_T6_T7_T9_mT8_S1G_bDpT10_ENKUlT_T0_E_clISt17integral_constantIbLb0EES1U_EEDaS1P_S1Q_EUlS1P_E_NS1_11comp_targetILNS1_3genE8ELNS1_11target_archE1030ELNS1_3gpuE2ELNS1_3repE0EEENS1_30default_config_static_selectorELNS0_4arch9wavefront6targetE1EEEvS12_
                                        ; -- End function
	.section	.AMDGPU.csdata,"",@progbits
; Kernel info:
; codeLenInByte = 0
; NumSgprs: 4
; NumVgprs: 0
; NumAgprs: 0
; TotalNumVgprs: 0
; ScratchSize: 0
; MemoryBound: 0
; FloatMode: 240
; IeeeMode: 1
; LDSByteSize: 0 bytes/workgroup (compile time only)
; SGPRBlocks: 0
; VGPRBlocks: 0
; NumSGPRsForWavesPerEU: 4
; NumVGPRsForWavesPerEU: 1
; AccumOffset: 4
; Occupancy: 8
; WaveLimiterHint : 0
; COMPUTE_PGM_RSRC2:SCRATCH_EN: 0
; COMPUTE_PGM_RSRC2:USER_SGPR: 6
; COMPUTE_PGM_RSRC2:TRAP_HANDLER: 0
; COMPUTE_PGM_RSRC2:TGID_X_EN: 1
; COMPUTE_PGM_RSRC2:TGID_Y_EN: 0
; COMPUTE_PGM_RSRC2:TGID_Z_EN: 0
; COMPUTE_PGM_RSRC2:TIDIG_COMP_CNT: 0
; COMPUTE_PGM_RSRC3_GFX90A:ACCUM_OFFSET: 0
; COMPUTE_PGM_RSRC3_GFX90A:TG_SPLIT: 0
	.section	.text._ZN7rocprim17ROCPRIM_400000_NS6detail17trampoline_kernelINS0_13select_configILj256ELj13ELNS0_17block_load_methodE3ELS4_3ELS4_3ELNS0_20block_scan_algorithmE0ELj4294967295EEENS1_25partition_config_selectorILNS1_17partition_subalgoE4EjNS0_10empty_typeEbEEZZNS1_14partition_implILS8_4ELb0ES6_15HIP_vector_typeIjLj2EENS0_17counting_iteratorIjlEEPS9_SG_NS0_5tupleIJPjSI_NS0_16reverse_iteratorISI_EEEEENSH_IJSG_SG_SG_EEES9_SI_JZNS1_25segmented_radix_sort_implINS0_14default_configELb1EPKbPbPKlPlN2at6native12_GLOBAL__N_18offset_tEEE10hipError_tPvRmT1_PNSt15iterator_traitsIS12_E10value_typeET2_T3_PNS13_IS18_E10value_typeET4_jRbjT5_S1E_jjP12ihipStream_tbEUljE_ZNSN_ISO_Lb1ESQ_SR_ST_SU_SY_EESZ_S10_S11_S12_S16_S17_S18_S1B_S1C_jS1D_jS1E_S1E_jjS1G_bEUljE0_EEESZ_S10_S11_S18_S1C_S1E_T6_T7_T9_mT8_S1G_bDpT10_ENKUlT_T0_E_clISt17integral_constantIbLb1EES1U_EEDaS1P_S1Q_EUlS1P_E_NS1_11comp_targetILNS1_3genE0ELNS1_11target_archE4294967295ELNS1_3gpuE0ELNS1_3repE0EEENS1_30default_config_static_selectorELNS0_4arch9wavefront6targetE1EEEvS12_,"axG",@progbits,_ZN7rocprim17ROCPRIM_400000_NS6detail17trampoline_kernelINS0_13select_configILj256ELj13ELNS0_17block_load_methodE3ELS4_3ELS4_3ELNS0_20block_scan_algorithmE0ELj4294967295EEENS1_25partition_config_selectorILNS1_17partition_subalgoE4EjNS0_10empty_typeEbEEZZNS1_14partition_implILS8_4ELb0ES6_15HIP_vector_typeIjLj2EENS0_17counting_iteratorIjlEEPS9_SG_NS0_5tupleIJPjSI_NS0_16reverse_iteratorISI_EEEEENSH_IJSG_SG_SG_EEES9_SI_JZNS1_25segmented_radix_sort_implINS0_14default_configELb1EPKbPbPKlPlN2at6native12_GLOBAL__N_18offset_tEEE10hipError_tPvRmT1_PNSt15iterator_traitsIS12_E10value_typeET2_T3_PNS13_IS18_E10value_typeET4_jRbjT5_S1E_jjP12ihipStream_tbEUljE_ZNSN_ISO_Lb1ESQ_SR_ST_SU_SY_EESZ_S10_S11_S12_S16_S17_S18_S1B_S1C_jS1D_jS1E_S1E_jjS1G_bEUljE0_EEESZ_S10_S11_S18_S1C_S1E_T6_T7_T9_mT8_S1G_bDpT10_ENKUlT_T0_E_clISt17integral_constantIbLb1EES1U_EEDaS1P_S1Q_EUlS1P_E_NS1_11comp_targetILNS1_3genE0ELNS1_11target_archE4294967295ELNS1_3gpuE0ELNS1_3repE0EEENS1_30default_config_static_selectorELNS0_4arch9wavefront6targetE1EEEvS12_,comdat
	.globl	_ZN7rocprim17ROCPRIM_400000_NS6detail17trampoline_kernelINS0_13select_configILj256ELj13ELNS0_17block_load_methodE3ELS4_3ELS4_3ELNS0_20block_scan_algorithmE0ELj4294967295EEENS1_25partition_config_selectorILNS1_17partition_subalgoE4EjNS0_10empty_typeEbEEZZNS1_14partition_implILS8_4ELb0ES6_15HIP_vector_typeIjLj2EENS0_17counting_iteratorIjlEEPS9_SG_NS0_5tupleIJPjSI_NS0_16reverse_iteratorISI_EEEEENSH_IJSG_SG_SG_EEES9_SI_JZNS1_25segmented_radix_sort_implINS0_14default_configELb1EPKbPbPKlPlN2at6native12_GLOBAL__N_18offset_tEEE10hipError_tPvRmT1_PNSt15iterator_traitsIS12_E10value_typeET2_T3_PNS13_IS18_E10value_typeET4_jRbjT5_S1E_jjP12ihipStream_tbEUljE_ZNSN_ISO_Lb1ESQ_SR_ST_SU_SY_EESZ_S10_S11_S12_S16_S17_S18_S1B_S1C_jS1D_jS1E_S1E_jjS1G_bEUljE0_EEESZ_S10_S11_S18_S1C_S1E_T6_T7_T9_mT8_S1G_bDpT10_ENKUlT_T0_E_clISt17integral_constantIbLb1EES1U_EEDaS1P_S1Q_EUlS1P_E_NS1_11comp_targetILNS1_3genE0ELNS1_11target_archE4294967295ELNS1_3gpuE0ELNS1_3repE0EEENS1_30default_config_static_selectorELNS0_4arch9wavefront6targetE1EEEvS12_ ; -- Begin function _ZN7rocprim17ROCPRIM_400000_NS6detail17trampoline_kernelINS0_13select_configILj256ELj13ELNS0_17block_load_methodE3ELS4_3ELS4_3ELNS0_20block_scan_algorithmE0ELj4294967295EEENS1_25partition_config_selectorILNS1_17partition_subalgoE4EjNS0_10empty_typeEbEEZZNS1_14partition_implILS8_4ELb0ES6_15HIP_vector_typeIjLj2EENS0_17counting_iteratorIjlEEPS9_SG_NS0_5tupleIJPjSI_NS0_16reverse_iteratorISI_EEEEENSH_IJSG_SG_SG_EEES9_SI_JZNS1_25segmented_radix_sort_implINS0_14default_configELb1EPKbPbPKlPlN2at6native12_GLOBAL__N_18offset_tEEE10hipError_tPvRmT1_PNSt15iterator_traitsIS12_E10value_typeET2_T3_PNS13_IS18_E10value_typeET4_jRbjT5_S1E_jjP12ihipStream_tbEUljE_ZNSN_ISO_Lb1ESQ_SR_ST_SU_SY_EESZ_S10_S11_S12_S16_S17_S18_S1B_S1C_jS1D_jS1E_S1E_jjS1G_bEUljE0_EEESZ_S10_S11_S18_S1C_S1E_T6_T7_T9_mT8_S1G_bDpT10_ENKUlT_T0_E_clISt17integral_constantIbLb1EES1U_EEDaS1P_S1Q_EUlS1P_E_NS1_11comp_targetILNS1_3genE0ELNS1_11target_archE4294967295ELNS1_3gpuE0ELNS1_3repE0EEENS1_30default_config_static_selectorELNS0_4arch9wavefront6targetE1EEEvS12_
	.p2align	8
	.type	_ZN7rocprim17ROCPRIM_400000_NS6detail17trampoline_kernelINS0_13select_configILj256ELj13ELNS0_17block_load_methodE3ELS4_3ELS4_3ELNS0_20block_scan_algorithmE0ELj4294967295EEENS1_25partition_config_selectorILNS1_17partition_subalgoE4EjNS0_10empty_typeEbEEZZNS1_14partition_implILS8_4ELb0ES6_15HIP_vector_typeIjLj2EENS0_17counting_iteratorIjlEEPS9_SG_NS0_5tupleIJPjSI_NS0_16reverse_iteratorISI_EEEEENSH_IJSG_SG_SG_EEES9_SI_JZNS1_25segmented_radix_sort_implINS0_14default_configELb1EPKbPbPKlPlN2at6native12_GLOBAL__N_18offset_tEEE10hipError_tPvRmT1_PNSt15iterator_traitsIS12_E10value_typeET2_T3_PNS13_IS18_E10value_typeET4_jRbjT5_S1E_jjP12ihipStream_tbEUljE_ZNSN_ISO_Lb1ESQ_SR_ST_SU_SY_EESZ_S10_S11_S12_S16_S17_S18_S1B_S1C_jS1D_jS1E_S1E_jjS1G_bEUljE0_EEESZ_S10_S11_S18_S1C_S1E_T6_T7_T9_mT8_S1G_bDpT10_ENKUlT_T0_E_clISt17integral_constantIbLb1EES1U_EEDaS1P_S1Q_EUlS1P_E_NS1_11comp_targetILNS1_3genE0ELNS1_11target_archE4294967295ELNS1_3gpuE0ELNS1_3repE0EEENS1_30default_config_static_selectorELNS0_4arch9wavefront6targetE1EEEvS12_,@function
_ZN7rocprim17ROCPRIM_400000_NS6detail17trampoline_kernelINS0_13select_configILj256ELj13ELNS0_17block_load_methodE3ELS4_3ELS4_3ELNS0_20block_scan_algorithmE0ELj4294967295EEENS1_25partition_config_selectorILNS1_17partition_subalgoE4EjNS0_10empty_typeEbEEZZNS1_14partition_implILS8_4ELb0ES6_15HIP_vector_typeIjLj2EENS0_17counting_iteratorIjlEEPS9_SG_NS0_5tupleIJPjSI_NS0_16reverse_iteratorISI_EEEEENSH_IJSG_SG_SG_EEES9_SI_JZNS1_25segmented_radix_sort_implINS0_14default_configELb1EPKbPbPKlPlN2at6native12_GLOBAL__N_18offset_tEEE10hipError_tPvRmT1_PNSt15iterator_traitsIS12_E10value_typeET2_T3_PNS13_IS18_E10value_typeET4_jRbjT5_S1E_jjP12ihipStream_tbEUljE_ZNSN_ISO_Lb1ESQ_SR_ST_SU_SY_EESZ_S10_S11_S12_S16_S17_S18_S1B_S1C_jS1D_jS1E_S1E_jjS1G_bEUljE0_EEESZ_S10_S11_S18_S1C_S1E_T6_T7_T9_mT8_S1G_bDpT10_ENKUlT_T0_E_clISt17integral_constantIbLb1EES1U_EEDaS1P_S1Q_EUlS1P_E_NS1_11comp_targetILNS1_3genE0ELNS1_11target_archE4294967295ELNS1_3gpuE0ELNS1_3repE0EEENS1_30default_config_static_selectorELNS0_4arch9wavefront6targetE1EEEvS12_: ; @_ZN7rocprim17ROCPRIM_400000_NS6detail17trampoline_kernelINS0_13select_configILj256ELj13ELNS0_17block_load_methodE3ELS4_3ELS4_3ELNS0_20block_scan_algorithmE0ELj4294967295EEENS1_25partition_config_selectorILNS1_17partition_subalgoE4EjNS0_10empty_typeEbEEZZNS1_14partition_implILS8_4ELb0ES6_15HIP_vector_typeIjLj2EENS0_17counting_iteratorIjlEEPS9_SG_NS0_5tupleIJPjSI_NS0_16reverse_iteratorISI_EEEEENSH_IJSG_SG_SG_EEES9_SI_JZNS1_25segmented_radix_sort_implINS0_14default_configELb1EPKbPbPKlPlN2at6native12_GLOBAL__N_18offset_tEEE10hipError_tPvRmT1_PNSt15iterator_traitsIS12_E10value_typeET2_T3_PNS13_IS18_E10value_typeET4_jRbjT5_S1E_jjP12ihipStream_tbEUljE_ZNSN_ISO_Lb1ESQ_SR_ST_SU_SY_EESZ_S10_S11_S12_S16_S17_S18_S1B_S1C_jS1D_jS1E_S1E_jjS1G_bEUljE0_EEESZ_S10_S11_S18_S1C_S1E_T6_T7_T9_mT8_S1G_bDpT10_ENKUlT_T0_E_clISt17integral_constantIbLb1EES1U_EEDaS1P_S1Q_EUlS1P_E_NS1_11comp_targetILNS1_3genE0ELNS1_11target_archE4294967295ELNS1_3gpuE0ELNS1_3repE0EEENS1_30default_config_static_selectorELNS0_4arch9wavefront6targetE1EEEvS12_
; %bb.0:
	.section	.rodata,"a",@progbits
	.p2align	6, 0x0
	.amdhsa_kernel _ZN7rocprim17ROCPRIM_400000_NS6detail17trampoline_kernelINS0_13select_configILj256ELj13ELNS0_17block_load_methodE3ELS4_3ELS4_3ELNS0_20block_scan_algorithmE0ELj4294967295EEENS1_25partition_config_selectorILNS1_17partition_subalgoE4EjNS0_10empty_typeEbEEZZNS1_14partition_implILS8_4ELb0ES6_15HIP_vector_typeIjLj2EENS0_17counting_iteratorIjlEEPS9_SG_NS0_5tupleIJPjSI_NS0_16reverse_iteratorISI_EEEEENSH_IJSG_SG_SG_EEES9_SI_JZNS1_25segmented_radix_sort_implINS0_14default_configELb1EPKbPbPKlPlN2at6native12_GLOBAL__N_18offset_tEEE10hipError_tPvRmT1_PNSt15iterator_traitsIS12_E10value_typeET2_T3_PNS13_IS18_E10value_typeET4_jRbjT5_S1E_jjP12ihipStream_tbEUljE_ZNSN_ISO_Lb1ESQ_SR_ST_SU_SY_EESZ_S10_S11_S12_S16_S17_S18_S1B_S1C_jS1D_jS1E_S1E_jjS1G_bEUljE0_EEESZ_S10_S11_S18_S1C_S1E_T6_T7_T9_mT8_S1G_bDpT10_ENKUlT_T0_E_clISt17integral_constantIbLb1EES1U_EEDaS1P_S1Q_EUlS1P_E_NS1_11comp_targetILNS1_3genE0ELNS1_11target_archE4294967295ELNS1_3gpuE0ELNS1_3repE0EEENS1_30default_config_static_selectorELNS0_4arch9wavefront6targetE1EEEvS12_
		.amdhsa_group_segment_fixed_size 0
		.amdhsa_private_segment_fixed_size 0
		.amdhsa_kernarg_size 184
		.amdhsa_user_sgpr_count 6
		.amdhsa_user_sgpr_private_segment_buffer 1
		.amdhsa_user_sgpr_dispatch_ptr 0
		.amdhsa_user_sgpr_queue_ptr 0
		.amdhsa_user_sgpr_kernarg_segment_ptr 1
		.amdhsa_user_sgpr_dispatch_id 0
		.amdhsa_user_sgpr_flat_scratch_init 0
		.amdhsa_user_sgpr_kernarg_preload_length 0
		.amdhsa_user_sgpr_kernarg_preload_offset 0
		.amdhsa_user_sgpr_private_segment_size 0
		.amdhsa_uses_dynamic_stack 0
		.amdhsa_system_sgpr_private_segment_wavefront_offset 0
		.amdhsa_system_sgpr_workgroup_id_x 1
		.amdhsa_system_sgpr_workgroup_id_y 0
		.amdhsa_system_sgpr_workgroup_id_z 0
		.amdhsa_system_sgpr_workgroup_info 0
		.amdhsa_system_vgpr_workitem_id 0
		.amdhsa_next_free_vgpr 1
		.amdhsa_next_free_sgpr 0
		.amdhsa_accum_offset 4
		.amdhsa_reserve_vcc 0
		.amdhsa_reserve_flat_scratch 0
		.amdhsa_float_round_mode_32 0
		.amdhsa_float_round_mode_16_64 0
		.amdhsa_float_denorm_mode_32 3
		.amdhsa_float_denorm_mode_16_64 3
		.amdhsa_dx10_clamp 1
		.amdhsa_ieee_mode 1
		.amdhsa_fp16_overflow 0
		.amdhsa_tg_split 0
		.amdhsa_exception_fp_ieee_invalid_op 0
		.amdhsa_exception_fp_denorm_src 0
		.amdhsa_exception_fp_ieee_div_zero 0
		.amdhsa_exception_fp_ieee_overflow 0
		.amdhsa_exception_fp_ieee_underflow 0
		.amdhsa_exception_fp_ieee_inexact 0
		.amdhsa_exception_int_div_zero 0
	.end_amdhsa_kernel
	.section	.text._ZN7rocprim17ROCPRIM_400000_NS6detail17trampoline_kernelINS0_13select_configILj256ELj13ELNS0_17block_load_methodE3ELS4_3ELS4_3ELNS0_20block_scan_algorithmE0ELj4294967295EEENS1_25partition_config_selectorILNS1_17partition_subalgoE4EjNS0_10empty_typeEbEEZZNS1_14partition_implILS8_4ELb0ES6_15HIP_vector_typeIjLj2EENS0_17counting_iteratorIjlEEPS9_SG_NS0_5tupleIJPjSI_NS0_16reverse_iteratorISI_EEEEENSH_IJSG_SG_SG_EEES9_SI_JZNS1_25segmented_radix_sort_implINS0_14default_configELb1EPKbPbPKlPlN2at6native12_GLOBAL__N_18offset_tEEE10hipError_tPvRmT1_PNSt15iterator_traitsIS12_E10value_typeET2_T3_PNS13_IS18_E10value_typeET4_jRbjT5_S1E_jjP12ihipStream_tbEUljE_ZNSN_ISO_Lb1ESQ_SR_ST_SU_SY_EESZ_S10_S11_S12_S16_S17_S18_S1B_S1C_jS1D_jS1E_S1E_jjS1G_bEUljE0_EEESZ_S10_S11_S18_S1C_S1E_T6_T7_T9_mT8_S1G_bDpT10_ENKUlT_T0_E_clISt17integral_constantIbLb1EES1U_EEDaS1P_S1Q_EUlS1P_E_NS1_11comp_targetILNS1_3genE0ELNS1_11target_archE4294967295ELNS1_3gpuE0ELNS1_3repE0EEENS1_30default_config_static_selectorELNS0_4arch9wavefront6targetE1EEEvS12_,"axG",@progbits,_ZN7rocprim17ROCPRIM_400000_NS6detail17trampoline_kernelINS0_13select_configILj256ELj13ELNS0_17block_load_methodE3ELS4_3ELS4_3ELNS0_20block_scan_algorithmE0ELj4294967295EEENS1_25partition_config_selectorILNS1_17partition_subalgoE4EjNS0_10empty_typeEbEEZZNS1_14partition_implILS8_4ELb0ES6_15HIP_vector_typeIjLj2EENS0_17counting_iteratorIjlEEPS9_SG_NS0_5tupleIJPjSI_NS0_16reverse_iteratorISI_EEEEENSH_IJSG_SG_SG_EEES9_SI_JZNS1_25segmented_radix_sort_implINS0_14default_configELb1EPKbPbPKlPlN2at6native12_GLOBAL__N_18offset_tEEE10hipError_tPvRmT1_PNSt15iterator_traitsIS12_E10value_typeET2_T3_PNS13_IS18_E10value_typeET4_jRbjT5_S1E_jjP12ihipStream_tbEUljE_ZNSN_ISO_Lb1ESQ_SR_ST_SU_SY_EESZ_S10_S11_S12_S16_S17_S18_S1B_S1C_jS1D_jS1E_S1E_jjS1G_bEUljE0_EEESZ_S10_S11_S18_S1C_S1E_T6_T7_T9_mT8_S1G_bDpT10_ENKUlT_T0_E_clISt17integral_constantIbLb1EES1U_EEDaS1P_S1Q_EUlS1P_E_NS1_11comp_targetILNS1_3genE0ELNS1_11target_archE4294967295ELNS1_3gpuE0ELNS1_3repE0EEENS1_30default_config_static_selectorELNS0_4arch9wavefront6targetE1EEEvS12_,comdat
.Lfunc_end1474:
	.size	_ZN7rocprim17ROCPRIM_400000_NS6detail17trampoline_kernelINS0_13select_configILj256ELj13ELNS0_17block_load_methodE3ELS4_3ELS4_3ELNS0_20block_scan_algorithmE0ELj4294967295EEENS1_25partition_config_selectorILNS1_17partition_subalgoE4EjNS0_10empty_typeEbEEZZNS1_14partition_implILS8_4ELb0ES6_15HIP_vector_typeIjLj2EENS0_17counting_iteratorIjlEEPS9_SG_NS0_5tupleIJPjSI_NS0_16reverse_iteratorISI_EEEEENSH_IJSG_SG_SG_EEES9_SI_JZNS1_25segmented_radix_sort_implINS0_14default_configELb1EPKbPbPKlPlN2at6native12_GLOBAL__N_18offset_tEEE10hipError_tPvRmT1_PNSt15iterator_traitsIS12_E10value_typeET2_T3_PNS13_IS18_E10value_typeET4_jRbjT5_S1E_jjP12ihipStream_tbEUljE_ZNSN_ISO_Lb1ESQ_SR_ST_SU_SY_EESZ_S10_S11_S12_S16_S17_S18_S1B_S1C_jS1D_jS1E_S1E_jjS1G_bEUljE0_EEESZ_S10_S11_S18_S1C_S1E_T6_T7_T9_mT8_S1G_bDpT10_ENKUlT_T0_E_clISt17integral_constantIbLb1EES1U_EEDaS1P_S1Q_EUlS1P_E_NS1_11comp_targetILNS1_3genE0ELNS1_11target_archE4294967295ELNS1_3gpuE0ELNS1_3repE0EEENS1_30default_config_static_selectorELNS0_4arch9wavefront6targetE1EEEvS12_, .Lfunc_end1474-_ZN7rocprim17ROCPRIM_400000_NS6detail17trampoline_kernelINS0_13select_configILj256ELj13ELNS0_17block_load_methodE3ELS4_3ELS4_3ELNS0_20block_scan_algorithmE0ELj4294967295EEENS1_25partition_config_selectorILNS1_17partition_subalgoE4EjNS0_10empty_typeEbEEZZNS1_14partition_implILS8_4ELb0ES6_15HIP_vector_typeIjLj2EENS0_17counting_iteratorIjlEEPS9_SG_NS0_5tupleIJPjSI_NS0_16reverse_iteratorISI_EEEEENSH_IJSG_SG_SG_EEES9_SI_JZNS1_25segmented_radix_sort_implINS0_14default_configELb1EPKbPbPKlPlN2at6native12_GLOBAL__N_18offset_tEEE10hipError_tPvRmT1_PNSt15iterator_traitsIS12_E10value_typeET2_T3_PNS13_IS18_E10value_typeET4_jRbjT5_S1E_jjP12ihipStream_tbEUljE_ZNSN_ISO_Lb1ESQ_SR_ST_SU_SY_EESZ_S10_S11_S12_S16_S17_S18_S1B_S1C_jS1D_jS1E_S1E_jjS1G_bEUljE0_EEESZ_S10_S11_S18_S1C_S1E_T6_T7_T9_mT8_S1G_bDpT10_ENKUlT_T0_E_clISt17integral_constantIbLb1EES1U_EEDaS1P_S1Q_EUlS1P_E_NS1_11comp_targetILNS1_3genE0ELNS1_11target_archE4294967295ELNS1_3gpuE0ELNS1_3repE0EEENS1_30default_config_static_selectorELNS0_4arch9wavefront6targetE1EEEvS12_
                                        ; -- End function
	.section	.AMDGPU.csdata,"",@progbits
; Kernel info:
; codeLenInByte = 0
; NumSgprs: 4
; NumVgprs: 0
; NumAgprs: 0
; TotalNumVgprs: 0
; ScratchSize: 0
; MemoryBound: 0
; FloatMode: 240
; IeeeMode: 1
; LDSByteSize: 0 bytes/workgroup (compile time only)
; SGPRBlocks: 0
; VGPRBlocks: 0
; NumSGPRsForWavesPerEU: 4
; NumVGPRsForWavesPerEU: 1
; AccumOffset: 4
; Occupancy: 8
; WaveLimiterHint : 0
; COMPUTE_PGM_RSRC2:SCRATCH_EN: 0
; COMPUTE_PGM_RSRC2:USER_SGPR: 6
; COMPUTE_PGM_RSRC2:TRAP_HANDLER: 0
; COMPUTE_PGM_RSRC2:TGID_X_EN: 1
; COMPUTE_PGM_RSRC2:TGID_Y_EN: 0
; COMPUTE_PGM_RSRC2:TGID_Z_EN: 0
; COMPUTE_PGM_RSRC2:TIDIG_COMP_CNT: 0
; COMPUTE_PGM_RSRC3_GFX90A:ACCUM_OFFSET: 0
; COMPUTE_PGM_RSRC3_GFX90A:TG_SPLIT: 0
	.section	.text._ZN7rocprim17ROCPRIM_400000_NS6detail17trampoline_kernelINS0_13select_configILj256ELj13ELNS0_17block_load_methodE3ELS4_3ELS4_3ELNS0_20block_scan_algorithmE0ELj4294967295EEENS1_25partition_config_selectorILNS1_17partition_subalgoE4EjNS0_10empty_typeEbEEZZNS1_14partition_implILS8_4ELb0ES6_15HIP_vector_typeIjLj2EENS0_17counting_iteratorIjlEEPS9_SG_NS0_5tupleIJPjSI_NS0_16reverse_iteratorISI_EEEEENSH_IJSG_SG_SG_EEES9_SI_JZNS1_25segmented_radix_sort_implINS0_14default_configELb1EPKbPbPKlPlN2at6native12_GLOBAL__N_18offset_tEEE10hipError_tPvRmT1_PNSt15iterator_traitsIS12_E10value_typeET2_T3_PNS13_IS18_E10value_typeET4_jRbjT5_S1E_jjP12ihipStream_tbEUljE_ZNSN_ISO_Lb1ESQ_SR_ST_SU_SY_EESZ_S10_S11_S12_S16_S17_S18_S1B_S1C_jS1D_jS1E_S1E_jjS1G_bEUljE0_EEESZ_S10_S11_S18_S1C_S1E_T6_T7_T9_mT8_S1G_bDpT10_ENKUlT_T0_E_clISt17integral_constantIbLb1EES1U_EEDaS1P_S1Q_EUlS1P_E_NS1_11comp_targetILNS1_3genE5ELNS1_11target_archE942ELNS1_3gpuE9ELNS1_3repE0EEENS1_30default_config_static_selectorELNS0_4arch9wavefront6targetE1EEEvS12_,"axG",@progbits,_ZN7rocprim17ROCPRIM_400000_NS6detail17trampoline_kernelINS0_13select_configILj256ELj13ELNS0_17block_load_methodE3ELS4_3ELS4_3ELNS0_20block_scan_algorithmE0ELj4294967295EEENS1_25partition_config_selectorILNS1_17partition_subalgoE4EjNS0_10empty_typeEbEEZZNS1_14partition_implILS8_4ELb0ES6_15HIP_vector_typeIjLj2EENS0_17counting_iteratorIjlEEPS9_SG_NS0_5tupleIJPjSI_NS0_16reverse_iteratorISI_EEEEENSH_IJSG_SG_SG_EEES9_SI_JZNS1_25segmented_radix_sort_implINS0_14default_configELb1EPKbPbPKlPlN2at6native12_GLOBAL__N_18offset_tEEE10hipError_tPvRmT1_PNSt15iterator_traitsIS12_E10value_typeET2_T3_PNS13_IS18_E10value_typeET4_jRbjT5_S1E_jjP12ihipStream_tbEUljE_ZNSN_ISO_Lb1ESQ_SR_ST_SU_SY_EESZ_S10_S11_S12_S16_S17_S18_S1B_S1C_jS1D_jS1E_S1E_jjS1G_bEUljE0_EEESZ_S10_S11_S18_S1C_S1E_T6_T7_T9_mT8_S1G_bDpT10_ENKUlT_T0_E_clISt17integral_constantIbLb1EES1U_EEDaS1P_S1Q_EUlS1P_E_NS1_11comp_targetILNS1_3genE5ELNS1_11target_archE942ELNS1_3gpuE9ELNS1_3repE0EEENS1_30default_config_static_selectorELNS0_4arch9wavefront6targetE1EEEvS12_,comdat
	.globl	_ZN7rocprim17ROCPRIM_400000_NS6detail17trampoline_kernelINS0_13select_configILj256ELj13ELNS0_17block_load_methodE3ELS4_3ELS4_3ELNS0_20block_scan_algorithmE0ELj4294967295EEENS1_25partition_config_selectorILNS1_17partition_subalgoE4EjNS0_10empty_typeEbEEZZNS1_14partition_implILS8_4ELb0ES6_15HIP_vector_typeIjLj2EENS0_17counting_iteratorIjlEEPS9_SG_NS0_5tupleIJPjSI_NS0_16reverse_iteratorISI_EEEEENSH_IJSG_SG_SG_EEES9_SI_JZNS1_25segmented_radix_sort_implINS0_14default_configELb1EPKbPbPKlPlN2at6native12_GLOBAL__N_18offset_tEEE10hipError_tPvRmT1_PNSt15iterator_traitsIS12_E10value_typeET2_T3_PNS13_IS18_E10value_typeET4_jRbjT5_S1E_jjP12ihipStream_tbEUljE_ZNSN_ISO_Lb1ESQ_SR_ST_SU_SY_EESZ_S10_S11_S12_S16_S17_S18_S1B_S1C_jS1D_jS1E_S1E_jjS1G_bEUljE0_EEESZ_S10_S11_S18_S1C_S1E_T6_T7_T9_mT8_S1G_bDpT10_ENKUlT_T0_E_clISt17integral_constantIbLb1EES1U_EEDaS1P_S1Q_EUlS1P_E_NS1_11comp_targetILNS1_3genE5ELNS1_11target_archE942ELNS1_3gpuE9ELNS1_3repE0EEENS1_30default_config_static_selectorELNS0_4arch9wavefront6targetE1EEEvS12_ ; -- Begin function _ZN7rocprim17ROCPRIM_400000_NS6detail17trampoline_kernelINS0_13select_configILj256ELj13ELNS0_17block_load_methodE3ELS4_3ELS4_3ELNS0_20block_scan_algorithmE0ELj4294967295EEENS1_25partition_config_selectorILNS1_17partition_subalgoE4EjNS0_10empty_typeEbEEZZNS1_14partition_implILS8_4ELb0ES6_15HIP_vector_typeIjLj2EENS0_17counting_iteratorIjlEEPS9_SG_NS0_5tupleIJPjSI_NS0_16reverse_iteratorISI_EEEEENSH_IJSG_SG_SG_EEES9_SI_JZNS1_25segmented_radix_sort_implINS0_14default_configELb1EPKbPbPKlPlN2at6native12_GLOBAL__N_18offset_tEEE10hipError_tPvRmT1_PNSt15iterator_traitsIS12_E10value_typeET2_T3_PNS13_IS18_E10value_typeET4_jRbjT5_S1E_jjP12ihipStream_tbEUljE_ZNSN_ISO_Lb1ESQ_SR_ST_SU_SY_EESZ_S10_S11_S12_S16_S17_S18_S1B_S1C_jS1D_jS1E_S1E_jjS1G_bEUljE0_EEESZ_S10_S11_S18_S1C_S1E_T6_T7_T9_mT8_S1G_bDpT10_ENKUlT_T0_E_clISt17integral_constantIbLb1EES1U_EEDaS1P_S1Q_EUlS1P_E_NS1_11comp_targetILNS1_3genE5ELNS1_11target_archE942ELNS1_3gpuE9ELNS1_3repE0EEENS1_30default_config_static_selectorELNS0_4arch9wavefront6targetE1EEEvS12_
	.p2align	8
	.type	_ZN7rocprim17ROCPRIM_400000_NS6detail17trampoline_kernelINS0_13select_configILj256ELj13ELNS0_17block_load_methodE3ELS4_3ELS4_3ELNS0_20block_scan_algorithmE0ELj4294967295EEENS1_25partition_config_selectorILNS1_17partition_subalgoE4EjNS0_10empty_typeEbEEZZNS1_14partition_implILS8_4ELb0ES6_15HIP_vector_typeIjLj2EENS0_17counting_iteratorIjlEEPS9_SG_NS0_5tupleIJPjSI_NS0_16reverse_iteratorISI_EEEEENSH_IJSG_SG_SG_EEES9_SI_JZNS1_25segmented_radix_sort_implINS0_14default_configELb1EPKbPbPKlPlN2at6native12_GLOBAL__N_18offset_tEEE10hipError_tPvRmT1_PNSt15iterator_traitsIS12_E10value_typeET2_T3_PNS13_IS18_E10value_typeET4_jRbjT5_S1E_jjP12ihipStream_tbEUljE_ZNSN_ISO_Lb1ESQ_SR_ST_SU_SY_EESZ_S10_S11_S12_S16_S17_S18_S1B_S1C_jS1D_jS1E_S1E_jjS1G_bEUljE0_EEESZ_S10_S11_S18_S1C_S1E_T6_T7_T9_mT8_S1G_bDpT10_ENKUlT_T0_E_clISt17integral_constantIbLb1EES1U_EEDaS1P_S1Q_EUlS1P_E_NS1_11comp_targetILNS1_3genE5ELNS1_11target_archE942ELNS1_3gpuE9ELNS1_3repE0EEENS1_30default_config_static_selectorELNS0_4arch9wavefront6targetE1EEEvS12_,@function
_ZN7rocprim17ROCPRIM_400000_NS6detail17trampoline_kernelINS0_13select_configILj256ELj13ELNS0_17block_load_methodE3ELS4_3ELS4_3ELNS0_20block_scan_algorithmE0ELj4294967295EEENS1_25partition_config_selectorILNS1_17partition_subalgoE4EjNS0_10empty_typeEbEEZZNS1_14partition_implILS8_4ELb0ES6_15HIP_vector_typeIjLj2EENS0_17counting_iteratorIjlEEPS9_SG_NS0_5tupleIJPjSI_NS0_16reverse_iteratorISI_EEEEENSH_IJSG_SG_SG_EEES9_SI_JZNS1_25segmented_radix_sort_implINS0_14default_configELb1EPKbPbPKlPlN2at6native12_GLOBAL__N_18offset_tEEE10hipError_tPvRmT1_PNSt15iterator_traitsIS12_E10value_typeET2_T3_PNS13_IS18_E10value_typeET4_jRbjT5_S1E_jjP12ihipStream_tbEUljE_ZNSN_ISO_Lb1ESQ_SR_ST_SU_SY_EESZ_S10_S11_S12_S16_S17_S18_S1B_S1C_jS1D_jS1E_S1E_jjS1G_bEUljE0_EEESZ_S10_S11_S18_S1C_S1E_T6_T7_T9_mT8_S1G_bDpT10_ENKUlT_T0_E_clISt17integral_constantIbLb1EES1U_EEDaS1P_S1Q_EUlS1P_E_NS1_11comp_targetILNS1_3genE5ELNS1_11target_archE942ELNS1_3gpuE9ELNS1_3repE0EEENS1_30default_config_static_selectorELNS0_4arch9wavefront6targetE1EEEvS12_: ; @_ZN7rocprim17ROCPRIM_400000_NS6detail17trampoline_kernelINS0_13select_configILj256ELj13ELNS0_17block_load_methodE3ELS4_3ELS4_3ELNS0_20block_scan_algorithmE0ELj4294967295EEENS1_25partition_config_selectorILNS1_17partition_subalgoE4EjNS0_10empty_typeEbEEZZNS1_14partition_implILS8_4ELb0ES6_15HIP_vector_typeIjLj2EENS0_17counting_iteratorIjlEEPS9_SG_NS0_5tupleIJPjSI_NS0_16reverse_iteratorISI_EEEEENSH_IJSG_SG_SG_EEES9_SI_JZNS1_25segmented_radix_sort_implINS0_14default_configELb1EPKbPbPKlPlN2at6native12_GLOBAL__N_18offset_tEEE10hipError_tPvRmT1_PNSt15iterator_traitsIS12_E10value_typeET2_T3_PNS13_IS18_E10value_typeET4_jRbjT5_S1E_jjP12ihipStream_tbEUljE_ZNSN_ISO_Lb1ESQ_SR_ST_SU_SY_EESZ_S10_S11_S12_S16_S17_S18_S1B_S1C_jS1D_jS1E_S1E_jjS1G_bEUljE0_EEESZ_S10_S11_S18_S1C_S1E_T6_T7_T9_mT8_S1G_bDpT10_ENKUlT_T0_E_clISt17integral_constantIbLb1EES1U_EEDaS1P_S1Q_EUlS1P_E_NS1_11comp_targetILNS1_3genE5ELNS1_11target_archE942ELNS1_3gpuE9ELNS1_3repE0EEENS1_30default_config_static_selectorELNS0_4arch9wavefront6targetE1EEEvS12_
; %bb.0:
	.section	.rodata,"a",@progbits
	.p2align	6, 0x0
	.amdhsa_kernel _ZN7rocprim17ROCPRIM_400000_NS6detail17trampoline_kernelINS0_13select_configILj256ELj13ELNS0_17block_load_methodE3ELS4_3ELS4_3ELNS0_20block_scan_algorithmE0ELj4294967295EEENS1_25partition_config_selectorILNS1_17partition_subalgoE4EjNS0_10empty_typeEbEEZZNS1_14partition_implILS8_4ELb0ES6_15HIP_vector_typeIjLj2EENS0_17counting_iteratorIjlEEPS9_SG_NS0_5tupleIJPjSI_NS0_16reverse_iteratorISI_EEEEENSH_IJSG_SG_SG_EEES9_SI_JZNS1_25segmented_radix_sort_implINS0_14default_configELb1EPKbPbPKlPlN2at6native12_GLOBAL__N_18offset_tEEE10hipError_tPvRmT1_PNSt15iterator_traitsIS12_E10value_typeET2_T3_PNS13_IS18_E10value_typeET4_jRbjT5_S1E_jjP12ihipStream_tbEUljE_ZNSN_ISO_Lb1ESQ_SR_ST_SU_SY_EESZ_S10_S11_S12_S16_S17_S18_S1B_S1C_jS1D_jS1E_S1E_jjS1G_bEUljE0_EEESZ_S10_S11_S18_S1C_S1E_T6_T7_T9_mT8_S1G_bDpT10_ENKUlT_T0_E_clISt17integral_constantIbLb1EES1U_EEDaS1P_S1Q_EUlS1P_E_NS1_11comp_targetILNS1_3genE5ELNS1_11target_archE942ELNS1_3gpuE9ELNS1_3repE0EEENS1_30default_config_static_selectorELNS0_4arch9wavefront6targetE1EEEvS12_
		.amdhsa_group_segment_fixed_size 0
		.amdhsa_private_segment_fixed_size 0
		.amdhsa_kernarg_size 184
		.amdhsa_user_sgpr_count 6
		.amdhsa_user_sgpr_private_segment_buffer 1
		.amdhsa_user_sgpr_dispatch_ptr 0
		.amdhsa_user_sgpr_queue_ptr 0
		.amdhsa_user_sgpr_kernarg_segment_ptr 1
		.amdhsa_user_sgpr_dispatch_id 0
		.amdhsa_user_sgpr_flat_scratch_init 0
		.amdhsa_user_sgpr_kernarg_preload_length 0
		.amdhsa_user_sgpr_kernarg_preload_offset 0
		.amdhsa_user_sgpr_private_segment_size 0
		.amdhsa_uses_dynamic_stack 0
		.amdhsa_system_sgpr_private_segment_wavefront_offset 0
		.amdhsa_system_sgpr_workgroup_id_x 1
		.amdhsa_system_sgpr_workgroup_id_y 0
		.amdhsa_system_sgpr_workgroup_id_z 0
		.amdhsa_system_sgpr_workgroup_info 0
		.amdhsa_system_vgpr_workitem_id 0
		.amdhsa_next_free_vgpr 1
		.amdhsa_next_free_sgpr 0
		.amdhsa_accum_offset 4
		.amdhsa_reserve_vcc 0
		.amdhsa_reserve_flat_scratch 0
		.amdhsa_float_round_mode_32 0
		.amdhsa_float_round_mode_16_64 0
		.amdhsa_float_denorm_mode_32 3
		.amdhsa_float_denorm_mode_16_64 3
		.amdhsa_dx10_clamp 1
		.amdhsa_ieee_mode 1
		.amdhsa_fp16_overflow 0
		.amdhsa_tg_split 0
		.amdhsa_exception_fp_ieee_invalid_op 0
		.amdhsa_exception_fp_denorm_src 0
		.amdhsa_exception_fp_ieee_div_zero 0
		.amdhsa_exception_fp_ieee_overflow 0
		.amdhsa_exception_fp_ieee_underflow 0
		.amdhsa_exception_fp_ieee_inexact 0
		.amdhsa_exception_int_div_zero 0
	.end_amdhsa_kernel
	.section	.text._ZN7rocprim17ROCPRIM_400000_NS6detail17trampoline_kernelINS0_13select_configILj256ELj13ELNS0_17block_load_methodE3ELS4_3ELS4_3ELNS0_20block_scan_algorithmE0ELj4294967295EEENS1_25partition_config_selectorILNS1_17partition_subalgoE4EjNS0_10empty_typeEbEEZZNS1_14partition_implILS8_4ELb0ES6_15HIP_vector_typeIjLj2EENS0_17counting_iteratorIjlEEPS9_SG_NS0_5tupleIJPjSI_NS0_16reverse_iteratorISI_EEEEENSH_IJSG_SG_SG_EEES9_SI_JZNS1_25segmented_radix_sort_implINS0_14default_configELb1EPKbPbPKlPlN2at6native12_GLOBAL__N_18offset_tEEE10hipError_tPvRmT1_PNSt15iterator_traitsIS12_E10value_typeET2_T3_PNS13_IS18_E10value_typeET4_jRbjT5_S1E_jjP12ihipStream_tbEUljE_ZNSN_ISO_Lb1ESQ_SR_ST_SU_SY_EESZ_S10_S11_S12_S16_S17_S18_S1B_S1C_jS1D_jS1E_S1E_jjS1G_bEUljE0_EEESZ_S10_S11_S18_S1C_S1E_T6_T7_T9_mT8_S1G_bDpT10_ENKUlT_T0_E_clISt17integral_constantIbLb1EES1U_EEDaS1P_S1Q_EUlS1P_E_NS1_11comp_targetILNS1_3genE5ELNS1_11target_archE942ELNS1_3gpuE9ELNS1_3repE0EEENS1_30default_config_static_selectorELNS0_4arch9wavefront6targetE1EEEvS12_,"axG",@progbits,_ZN7rocprim17ROCPRIM_400000_NS6detail17trampoline_kernelINS0_13select_configILj256ELj13ELNS0_17block_load_methodE3ELS4_3ELS4_3ELNS0_20block_scan_algorithmE0ELj4294967295EEENS1_25partition_config_selectorILNS1_17partition_subalgoE4EjNS0_10empty_typeEbEEZZNS1_14partition_implILS8_4ELb0ES6_15HIP_vector_typeIjLj2EENS0_17counting_iteratorIjlEEPS9_SG_NS0_5tupleIJPjSI_NS0_16reverse_iteratorISI_EEEEENSH_IJSG_SG_SG_EEES9_SI_JZNS1_25segmented_radix_sort_implINS0_14default_configELb1EPKbPbPKlPlN2at6native12_GLOBAL__N_18offset_tEEE10hipError_tPvRmT1_PNSt15iterator_traitsIS12_E10value_typeET2_T3_PNS13_IS18_E10value_typeET4_jRbjT5_S1E_jjP12ihipStream_tbEUljE_ZNSN_ISO_Lb1ESQ_SR_ST_SU_SY_EESZ_S10_S11_S12_S16_S17_S18_S1B_S1C_jS1D_jS1E_S1E_jjS1G_bEUljE0_EEESZ_S10_S11_S18_S1C_S1E_T6_T7_T9_mT8_S1G_bDpT10_ENKUlT_T0_E_clISt17integral_constantIbLb1EES1U_EEDaS1P_S1Q_EUlS1P_E_NS1_11comp_targetILNS1_3genE5ELNS1_11target_archE942ELNS1_3gpuE9ELNS1_3repE0EEENS1_30default_config_static_selectorELNS0_4arch9wavefront6targetE1EEEvS12_,comdat
.Lfunc_end1475:
	.size	_ZN7rocprim17ROCPRIM_400000_NS6detail17trampoline_kernelINS0_13select_configILj256ELj13ELNS0_17block_load_methodE3ELS4_3ELS4_3ELNS0_20block_scan_algorithmE0ELj4294967295EEENS1_25partition_config_selectorILNS1_17partition_subalgoE4EjNS0_10empty_typeEbEEZZNS1_14partition_implILS8_4ELb0ES6_15HIP_vector_typeIjLj2EENS0_17counting_iteratorIjlEEPS9_SG_NS0_5tupleIJPjSI_NS0_16reverse_iteratorISI_EEEEENSH_IJSG_SG_SG_EEES9_SI_JZNS1_25segmented_radix_sort_implINS0_14default_configELb1EPKbPbPKlPlN2at6native12_GLOBAL__N_18offset_tEEE10hipError_tPvRmT1_PNSt15iterator_traitsIS12_E10value_typeET2_T3_PNS13_IS18_E10value_typeET4_jRbjT5_S1E_jjP12ihipStream_tbEUljE_ZNSN_ISO_Lb1ESQ_SR_ST_SU_SY_EESZ_S10_S11_S12_S16_S17_S18_S1B_S1C_jS1D_jS1E_S1E_jjS1G_bEUljE0_EEESZ_S10_S11_S18_S1C_S1E_T6_T7_T9_mT8_S1G_bDpT10_ENKUlT_T0_E_clISt17integral_constantIbLb1EES1U_EEDaS1P_S1Q_EUlS1P_E_NS1_11comp_targetILNS1_3genE5ELNS1_11target_archE942ELNS1_3gpuE9ELNS1_3repE0EEENS1_30default_config_static_selectorELNS0_4arch9wavefront6targetE1EEEvS12_, .Lfunc_end1475-_ZN7rocprim17ROCPRIM_400000_NS6detail17trampoline_kernelINS0_13select_configILj256ELj13ELNS0_17block_load_methodE3ELS4_3ELS4_3ELNS0_20block_scan_algorithmE0ELj4294967295EEENS1_25partition_config_selectorILNS1_17partition_subalgoE4EjNS0_10empty_typeEbEEZZNS1_14partition_implILS8_4ELb0ES6_15HIP_vector_typeIjLj2EENS0_17counting_iteratorIjlEEPS9_SG_NS0_5tupleIJPjSI_NS0_16reverse_iteratorISI_EEEEENSH_IJSG_SG_SG_EEES9_SI_JZNS1_25segmented_radix_sort_implINS0_14default_configELb1EPKbPbPKlPlN2at6native12_GLOBAL__N_18offset_tEEE10hipError_tPvRmT1_PNSt15iterator_traitsIS12_E10value_typeET2_T3_PNS13_IS18_E10value_typeET4_jRbjT5_S1E_jjP12ihipStream_tbEUljE_ZNSN_ISO_Lb1ESQ_SR_ST_SU_SY_EESZ_S10_S11_S12_S16_S17_S18_S1B_S1C_jS1D_jS1E_S1E_jjS1G_bEUljE0_EEESZ_S10_S11_S18_S1C_S1E_T6_T7_T9_mT8_S1G_bDpT10_ENKUlT_T0_E_clISt17integral_constantIbLb1EES1U_EEDaS1P_S1Q_EUlS1P_E_NS1_11comp_targetILNS1_3genE5ELNS1_11target_archE942ELNS1_3gpuE9ELNS1_3repE0EEENS1_30default_config_static_selectorELNS0_4arch9wavefront6targetE1EEEvS12_
                                        ; -- End function
	.section	.AMDGPU.csdata,"",@progbits
; Kernel info:
; codeLenInByte = 0
; NumSgprs: 4
; NumVgprs: 0
; NumAgprs: 0
; TotalNumVgprs: 0
; ScratchSize: 0
; MemoryBound: 0
; FloatMode: 240
; IeeeMode: 1
; LDSByteSize: 0 bytes/workgroup (compile time only)
; SGPRBlocks: 0
; VGPRBlocks: 0
; NumSGPRsForWavesPerEU: 4
; NumVGPRsForWavesPerEU: 1
; AccumOffset: 4
; Occupancy: 8
; WaveLimiterHint : 0
; COMPUTE_PGM_RSRC2:SCRATCH_EN: 0
; COMPUTE_PGM_RSRC2:USER_SGPR: 6
; COMPUTE_PGM_RSRC2:TRAP_HANDLER: 0
; COMPUTE_PGM_RSRC2:TGID_X_EN: 1
; COMPUTE_PGM_RSRC2:TGID_Y_EN: 0
; COMPUTE_PGM_RSRC2:TGID_Z_EN: 0
; COMPUTE_PGM_RSRC2:TIDIG_COMP_CNT: 0
; COMPUTE_PGM_RSRC3_GFX90A:ACCUM_OFFSET: 0
; COMPUTE_PGM_RSRC3_GFX90A:TG_SPLIT: 0
	.section	.text._ZN7rocprim17ROCPRIM_400000_NS6detail17trampoline_kernelINS0_13select_configILj256ELj13ELNS0_17block_load_methodE3ELS4_3ELS4_3ELNS0_20block_scan_algorithmE0ELj4294967295EEENS1_25partition_config_selectorILNS1_17partition_subalgoE4EjNS0_10empty_typeEbEEZZNS1_14partition_implILS8_4ELb0ES6_15HIP_vector_typeIjLj2EENS0_17counting_iteratorIjlEEPS9_SG_NS0_5tupleIJPjSI_NS0_16reverse_iteratorISI_EEEEENSH_IJSG_SG_SG_EEES9_SI_JZNS1_25segmented_radix_sort_implINS0_14default_configELb1EPKbPbPKlPlN2at6native12_GLOBAL__N_18offset_tEEE10hipError_tPvRmT1_PNSt15iterator_traitsIS12_E10value_typeET2_T3_PNS13_IS18_E10value_typeET4_jRbjT5_S1E_jjP12ihipStream_tbEUljE_ZNSN_ISO_Lb1ESQ_SR_ST_SU_SY_EESZ_S10_S11_S12_S16_S17_S18_S1B_S1C_jS1D_jS1E_S1E_jjS1G_bEUljE0_EEESZ_S10_S11_S18_S1C_S1E_T6_T7_T9_mT8_S1G_bDpT10_ENKUlT_T0_E_clISt17integral_constantIbLb1EES1U_EEDaS1P_S1Q_EUlS1P_E_NS1_11comp_targetILNS1_3genE4ELNS1_11target_archE910ELNS1_3gpuE8ELNS1_3repE0EEENS1_30default_config_static_selectorELNS0_4arch9wavefront6targetE1EEEvS12_,"axG",@progbits,_ZN7rocprim17ROCPRIM_400000_NS6detail17trampoline_kernelINS0_13select_configILj256ELj13ELNS0_17block_load_methodE3ELS4_3ELS4_3ELNS0_20block_scan_algorithmE0ELj4294967295EEENS1_25partition_config_selectorILNS1_17partition_subalgoE4EjNS0_10empty_typeEbEEZZNS1_14partition_implILS8_4ELb0ES6_15HIP_vector_typeIjLj2EENS0_17counting_iteratorIjlEEPS9_SG_NS0_5tupleIJPjSI_NS0_16reverse_iteratorISI_EEEEENSH_IJSG_SG_SG_EEES9_SI_JZNS1_25segmented_radix_sort_implINS0_14default_configELb1EPKbPbPKlPlN2at6native12_GLOBAL__N_18offset_tEEE10hipError_tPvRmT1_PNSt15iterator_traitsIS12_E10value_typeET2_T3_PNS13_IS18_E10value_typeET4_jRbjT5_S1E_jjP12ihipStream_tbEUljE_ZNSN_ISO_Lb1ESQ_SR_ST_SU_SY_EESZ_S10_S11_S12_S16_S17_S18_S1B_S1C_jS1D_jS1E_S1E_jjS1G_bEUljE0_EEESZ_S10_S11_S18_S1C_S1E_T6_T7_T9_mT8_S1G_bDpT10_ENKUlT_T0_E_clISt17integral_constantIbLb1EES1U_EEDaS1P_S1Q_EUlS1P_E_NS1_11comp_targetILNS1_3genE4ELNS1_11target_archE910ELNS1_3gpuE8ELNS1_3repE0EEENS1_30default_config_static_selectorELNS0_4arch9wavefront6targetE1EEEvS12_,comdat
	.globl	_ZN7rocprim17ROCPRIM_400000_NS6detail17trampoline_kernelINS0_13select_configILj256ELj13ELNS0_17block_load_methodE3ELS4_3ELS4_3ELNS0_20block_scan_algorithmE0ELj4294967295EEENS1_25partition_config_selectorILNS1_17partition_subalgoE4EjNS0_10empty_typeEbEEZZNS1_14partition_implILS8_4ELb0ES6_15HIP_vector_typeIjLj2EENS0_17counting_iteratorIjlEEPS9_SG_NS0_5tupleIJPjSI_NS0_16reverse_iteratorISI_EEEEENSH_IJSG_SG_SG_EEES9_SI_JZNS1_25segmented_radix_sort_implINS0_14default_configELb1EPKbPbPKlPlN2at6native12_GLOBAL__N_18offset_tEEE10hipError_tPvRmT1_PNSt15iterator_traitsIS12_E10value_typeET2_T3_PNS13_IS18_E10value_typeET4_jRbjT5_S1E_jjP12ihipStream_tbEUljE_ZNSN_ISO_Lb1ESQ_SR_ST_SU_SY_EESZ_S10_S11_S12_S16_S17_S18_S1B_S1C_jS1D_jS1E_S1E_jjS1G_bEUljE0_EEESZ_S10_S11_S18_S1C_S1E_T6_T7_T9_mT8_S1G_bDpT10_ENKUlT_T0_E_clISt17integral_constantIbLb1EES1U_EEDaS1P_S1Q_EUlS1P_E_NS1_11comp_targetILNS1_3genE4ELNS1_11target_archE910ELNS1_3gpuE8ELNS1_3repE0EEENS1_30default_config_static_selectorELNS0_4arch9wavefront6targetE1EEEvS12_ ; -- Begin function _ZN7rocprim17ROCPRIM_400000_NS6detail17trampoline_kernelINS0_13select_configILj256ELj13ELNS0_17block_load_methodE3ELS4_3ELS4_3ELNS0_20block_scan_algorithmE0ELj4294967295EEENS1_25partition_config_selectorILNS1_17partition_subalgoE4EjNS0_10empty_typeEbEEZZNS1_14partition_implILS8_4ELb0ES6_15HIP_vector_typeIjLj2EENS0_17counting_iteratorIjlEEPS9_SG_NS0_5tupleIJPjSI_NS0_16reverse_iteratorISI_EEEEENSH_IJSG_SG_SG_EEES9_SI_JZNS1_25segmented_radix_sort_implINS0_14default_configELb1EPKbPbPKlPlN2at6native12_GLOBAL__N_18offset_tEEE10hipError_tPvRmT1_PNSt15iterator_traitsIS12_E10value_typeET2_T3_PNS13_IS18_E10value_typeET4_jRbjT5_S1E_jjP12ihipStream_tbEUljE_ZNSN_ISO_Lb1ESQ_SR_ST_SU_SY_EESZ_S10_S11_S12_S16_S17_S18_S1B_S1C_jS1D_jS1E_S1E_jjS1G_bEUljE0_EEESZ_S10_S11_S18_S1C_S1E_T6_T7_T9_mT8_S1G_bDpT10_ENKUlT_T0_E_clISt17integral_constantIbLb1EES1U_EEDaS1P_S1Q_EUlS1P_E_NS1_11comp_targetILNS1_3genE4ELNS1_11target_archE910ELNS1_3gpuE8ELNS1_3repE0EEENS1_30default_config_static_selectorELNS0_4arch9wavefront6targetE1EEEvS12_
	.p2align	8
	.type	_ZN7rocprim17ROCPRIM_400000_NS6detail17trampoline_kernelINS0_13select_configILj256ELj13ELNS0_17block_load_methodE3ELS4_3ELS4_3ELNS0_20block_scan_algorithmE0ELj4294967295EEENS1_25partition_config_selectorILNS1_17partition_subalgoE4EjNS0_10empty_typeEbEEZZNS1_14partition_implILS8_4ELb0ES6_15HIP_vector_typeIjLj2EENS0_17counting_iteratorIjlEEPS9_SG_NS0_5tupleIJPjSI_NS0_16reverse_iteratorISI_EEEEENSH_IJSG_SG_SG_EEES9_SI_JZNS1_25segmented_radix_sort_implINS0_14default_configELb1EPKbPbPKlPlN2at6native12_GLOBAL__N_18offset_tEEE10hipError_tPvRmT1_PNSt15iterator_traitsIS12_E10value_typeET2_T3_PNS13_IS18_E10value_typeET4_jRbjT5_S1E_jjP12ihipStream_tbEUljE_ZNSN_ISO_Lb1ESQ_SR_ST_SU_SY_EESZ_S10_S11_S12_S16_S17_S18_S1B_S1C_jS1D_jS1E_S1E_jjS1G_bEUljE0_EEESZ_S10_S11_S18_S1C_S1E_T6_T7_T9_mT8_S1G_bDpT10_ENKUlT_T0_E_clISt17integral_constantIbLb1EES1U_EEDaS1P_S1Q_EUlS1P_E_NS1_11comp_targetILNS1_3genE4ELNS1_11target_archE910ELNS1_3gpuE8ELNS1_3repE0EEENS1_30default_config_static_selectorELNS0_4arch9wavefront6targetE1EEEvS12_,@function
_ZN7rocprim17ROCPRIM_400000_NS6detail17trampoline_kernelINS0_13select_configILj256ELj13ELNS0_17block_load_methodE3ELS4_3ELS4_3ELNS0_20block_scan_algorithmE0ELj4294967295EEENS1_25partition_config_selectorILNS1_17partition_subalgoE4EjNS0_10empty_typeEbEEZZNS1_14partition_implILS8_4ELb0ES6_15HIP_vector_typeIjLj2EENS0_17counting_iteratorIjlEEPS9_SG_NS0_5tupleIJPjSI_NS0_16reverse_iteratorISI_EEEEENSH_IJSG_SG_SG_EEES9_SI_JZNS1_25segmented_radix_sort_implINS0_14default_configELb1EPKbPbPKlPlN2at6native12_GLOBAL__N_18offset_tEEE10hipError_tPvRmT1_PNSt15iterator_traitsIS12_E10value_typeET2_T3_PNS13_IS18_E10value_typeET4_jRbjT5_S1E_jjP12ihipStream_tbEUljE_ZNSN_ISO_Lb1ESQ_SR_ST_SU_SY_EESZ_S10_S11_S12_S16_S17_S18_S1B_S1C_jS1D_jS1E_S1E_jjS1G_bEUljE0_EEESZ_S10_S11_S18_S1C_S1E_T6_T7_T9_mT8_S1G_bDpT10_ENKUlT_T0_E_clISt17integral_constantIbLb1EES1U_EEDaS1P_S1Q_EUlS1P_E_NS1_11comp_targetILNS1_3genE4ELNS1_11target_archE910ELNS1_3gpuE8ELNS1_3repE0EEENS1_30default_config_static_selectorELNS0_4arch9wavefront6targetE1EEEvS12_: ; @_ZN7rocprim17ROCPRIM_400000_NS6detail17trampoline_kernelINS0_13select_configILj256ELj13ELNS0_17block_load_methodE3ELS4_3ELS4_3ELNS0_20block_scan_algorithmE0ELj4294967295EEENS1_25partition_config_selectorILNS1_17partition_subalgoE4EjNS0_10empty_typeEbEEZZNS1_14partition_implILS8_4ELb0ES6_15HIP_vector_typeIjLj2EENS0_17counting_iteratorIjlEEPS9_SG_NS0_5tupleIJPjSI_NS0_16reverse_iteratorISI_EEEEENSH_IJSG_SG_SG_EEES9_SI_JZNS1_25segmented_radix_sort_implINS0_14default_configELb1EPKbPbPKlPlN2at6native12_GLOBAL__N_18offset_tEEE10hipError_tPvRmT1_PNSt15iterator_traitsIS12_E10value_typeET2_T3_PNS13_IS18_E10value_typeET4_jRbjT5_S1E_jjP12ihipStream_tbEUljE_ZNSN_ISO_Lb1ESQ_SR_ST_SU_SY_EESZ_S10_S11_S12_S16_S17_S18_S1B_S1C_jS1D_jS1E_S1E_jjS1G_bEUljE0_EEESZ_S10_S11_S18_S1C_S1E_T6_T7_T9_mT8_S1G_bDpT10_ENKUlT_T0_E_clISt17integral_constantIbLb1EES1U_EEDaS1P_S1Q_EUlS1P_E_NS1_11comp_targetILNS1_3genE4ELNS1_11target_archE910ELNS1_3gpuE8ELNS1_3repE0EEENS1_30default_config_static_selectorELNS0_4arch9wavefront6targetE1EEEvS12_
; %bb.0:
	s_load_dwordx2 s[48:49], s[4:5], 0x10
	s_load_dwordx4 s[44:47], s[4:5], 0x28
	s_load_dwordx2 s[34:35], s[4:5], 0x38
	s_load_dwordx4 s[28:31], s[4:5], 0x58
	s_load_dwordx2 s[2:3], s[4:5], 0x68
	s_load_dwordx2 s[50:51], s[4:5], 0x78
	;; [unrolled: 1-line block ×3, first 2 shown]
	s_load_dwordx8 s[36:43], s[4:5], 0x90
	v_cmp_eq_u32_e64 s[0:1], 0, v0
	s_and_saveexec_b64 s[6:7], s[0:1]
	s_cbranch_execz .LBB1476_4
; %bb.1:
	s_mov_b64 s[10:11], exec
	v_mbcnt_lo_u32_b32 v1, s10, 0
	v_mbcnt_hi_u32_b32 v1, s11, v1
	v_cmp_eq_u32_e32 vcc, 0, v1
                                        ; implicit-def: $vgpr2
	s_and_saveexec_b64 s[8:9], vcc
	s_cbranch_execz .LBB1476_3
; %bb.2:
	s_load_dwordx2 s[12:13], s[4:5], 0x88
	s_bcnt1_i32_b64 s10, s[10:11]
	v_mov_b32_e32 v2, 0
	v_mov_b32_e32 v3, s10
	s_waitcnt lgkmcnt(0)
	global_atomic_add v2, v2, v3, s[12:13] glc
.LBB1476_3:
	s_or_b64 exec, exec, s[8:9]
	s_waitcnt vmcnt(0)
	v_readfirstlane_b32 s8, v2
	v_add_u32_e32 v1, s8, v1
	v_mov_b32_e32 v2, 0
	ds_write_b32 v2, v1
.LBB1476_4:
	s_or_b64 exec, exec, s[6:7]
	v_mov_b32_e32 v1, 0
	s_load_dword s7, s[4:5], 0x8
	s_load_dword s6, s[4:5], 0x80
	s_waitcnt lgkmcnt(0)
	s_barrier
	ds_read_b32 v8, v1
	s_waitcnt lgkmcnt(0)
	s_barrier
	global_load_dwordx4 v[2:5], v1, s[30:31]
	v_mov_b32_e32 v7, s3
	s_movk_i32 s3, 0xd00
	s_add_i32 s8, s7, s48
	v_mul_lo_u32 v34, v8, s3
	s_add_i32 s7, s6, -1
	s_mul_i32 s3, s6, 0xd00
	s_add_u32 s4, s48, s3
	v_readfirstlane_b32 s33, v8
	s_addc_u32 s5, s49, 0
	s_cmp_eq_u32 s33, s7
	v_mov_b32_e32 v6, s2
	s_cselect_b64 s[30:31], -1, 0
	s_cmp_lg_u32 s33, s7
	v_cmp_lt_u64_e32 vcc, s[4:5], v[6:7]
	s_cselect_b64 s[4:5], -1, 0
	s_or_b64 s[4:5], vcc, s[4:5]
	v_add_u32_e32 v1, s8, v34
	s_mov_b64 s[6:7], -1
	s_and_b64 vcc, exec, s[4:5]
	v_add_u32_e32 v1, v1, v0
	s_cbranch_vccz .LBB1476_6
; %bb.5:
	v_add_u32_e32 v6, 0x100, v1
	v_lshlrev_b32_e32 v18, 2, v0
	v_add_u32_e32 v7, 0x200, v1
	v_add_u32_e32 v8, 0x300, v1
	;; [unrolled: 1-line block ×11, first 2 shown]
	ds_write2st64_b32 v18, v1, v6 offset1:4
	ds_write2st64_b32 v18, v7, v8 offset0:8 offset1:12
	ds_write2st64_b32 v18, v9, v10 offset0:16 offset1:20
	;; [unrolled: 1-line block ×5, first 2 shown]
	ds_write_b32 v18, v17 offset:12288
	s_waitcnt lgkmcnt(0)
	s_barrier
	s_mov_b64 s[6:7], 0
.LBB1476_6:
	s_andn2_b64 vcc, exec, s[6:7]
	s_add_i32 s3, s3, s48
	s_cbranch_vccnz .LBB1476_8
; %bb.7:
	v_add_u32_e32 v6, 0x100, v1
	v_lshlrev_b32_e32 v18, 2, v0
	v_add_u32_e32 v7, 0x200, v1
	v_add_u32_e32 v8, 0x300, v1
	;; [unrolled: 1-line block ×11, first 2 shown]
	ds_write2st64_b32 v18, v1, v6 offset1:4
	ds_write2st64_b32 v18, v7, v8 offset0:8 offset1:12
	ds_write2st64_b32 v18, v9, v10 offset0:16 offset1:20
	;; [unrolled: 1-line block ×5, first 2 shown]
	ds_write_b32 v18, v17 offset:12288
	s_waitcnt lgkmcnt(0)
	s_barrier
.LBB1476_8:
	v_mul_u32_u24_e32 v36, 13, v0
	v_lshlrev_b32_e32 v1, 2, v36
	ds_read2_b32 v[22:23], v1 offset1:1
	ds_read2_b32 v[20:21], v1 offset0:2 offset1:3
	ds_read2_b32 v[18:19], v1 offset0:4 offset1:5
	;; [unrolled: 1-line block ×5, first 2 shown]
	ds_read_b32 v35, v1 offset:48
	v_cndmask_b32_e64 v1, 0, 1, s[4:5]
	s_sub_i32 s86, s2, s3
	v_cmp_ne_u32_e64 s[2:3], 1, v1
	s_andn2_b64 vcc, exec, s[4:5]
	s_waitcnt lgkmcnt(0)
	s_barrier
	s_cbranch_vccnz .LBB1476_36
; %bb.9:
	v_add_u32_e32 v1, s37, v22
	v_add_u32_e32 v6, s39, v22
	v_mul_lo_u32 v1, v1, s36
	v_mul_lo_u32 v6, v6, s38
	v_sub_u32_e32 v1, v1, v6
	v_cmp_lt_u32_e32 vcc, s40, v1
	v_cmp_ge_u32_e64 s[4:5], s40, v1
	s_mov_b64 s[60:61], 0
	s_mov_b64 s[58:59], 0
	s_and_saveexec_b64 s[6:7], s[4:5]
; %bb.10:
	v_add_u32_e32 v1, s42, v22
	v_add_u32_e32 v6, s56, v22
	v_mul_lo_u32 v1, v1, s41
	v_mul_lo_u32 v6, v6, s43
	v_sub_u32_e32 v1, v1, v6
	v_cmp_lt_u32_e64 s[4:5], s57, v1
	s_and_b64 s[58:59], s[4:5], exec
; %bb.11:
	s_or_b64 exec, exec, s[6:7]
	v_add_u32_e32 v1, s37, v23
	v_add_u32_e32 v6, s39, v23
	v_mul_lo_u32 v1, v1, s36
	v_mul_lo_u32 v6, v6, s38
	v_sub_u32_e32 v1, v1, v6
	v_cmp_lt_u32_e64 s[4:5], s40, v1
	v_cmp_ge_u32_e64 s[6:7], s40, v1
	s_and_saveexec_b64 s[8:9], s[6:7]
; %bb.12:
	v_add_u32_e32 v1, s42, v23
	v_add_u32_e32 v6, s56, v23
	v_mul_lo_u32 v1, v1, s41
	v_mul_lo_u32 v6, v6, s43
	v_sub_u32_e32 v1, v1, v6
	v_cmp_lt_u32_e64 s[6:7], s57, v1
	s_and_b64 s[60:61], s[6:7], exec
; %bb.13:
	s_or_b64 exec, exec, s[8:9]
	v_add_u32_e32 v1, s37, v20
	v_add_u32_e32 v6, s39, v20
	v_mul_lo_u32 v1, v1, s36
	v_mul_lo_u32 v6, v6, s38
	v_sub_u32_e32 v1, v1, v6
	v_cmp_lt_u32_e64 s[6:7], s40, v1
	v_cmp_ge_u32_e64 s[8:9], s40, v1
	s_mov_b64 s[64:65], 0
	s_mov_b64 s[62:63], 0
	s_and_saveexec_b64 s[10:11], s[8:9]
; %bb.14:
	v_add_u32_e32 v1, s42, v20
	v_add_u32_e32 v6, s56, v20
	v_mul_lo_u32 v1, v1, s41
	v_mul_lo_u32 v6, v6, s43
	v_sub_u32_e32 v1, v1, v6
	v_cmp_lt_u32_e64 s[8:9], s57, v1
	s_and_b64 s[62:63], s[8:9], exec
; %bb.15:
	s_or_b64 exec, exec, s[10:11]
	v_add_u32_e32 v1, s37, v21
	v_add_u32_e32 v6, s39, v21
	v_mul_lo_u32 v1, v1, s36
	v_mul_lo_u32 v6, v6, s38
	v_sub_u32_e32 v1, v1, v6
	v_cmp_lt_u32_e64 s[8:9], s40, v1
	v_cmp_ge_u32_e64 s[10:11], s40, v1
	s_and_saveexec_b64 s[12:13], s[10:11]
; %bb.16:
	v_add_u32_e32 v1, s42, v21
	v_add_u32_e32 v6, s56, v21
	v_mul_lo_u32 v1, v1, s41
	v_mul_lo_u32 v6, v6, s43
	v_sub_u32_e32 v1, v1, v6
	v_cmp_lt_u32_e64 s[10:11], s57, v1
	s_and_b64 s[64:65], s[10:11], exec
; %bb.17:
	s_or_b64 exec, exec, s[12:13]
	v_add_u32_e32 v1, s37, v18
	v_add_u32_e32 v6, s39, v18
	v_mul_lo_u32 v1, v1, s36
	v_mul_lo_u32 v6, v6, s38
	v_sub_u32_e32 v1, v1, v6
	v_cmp_lt_u32_e64 s[10:11], s40, v1
	;; [unrolled: 38-line block ×5, first 2 shown]
	v_cmp_ge_u32_e64 s[24:25], s40, v1
	s_mov_b64 s[80:81], 0
	s_mov_b64 s[82:83], 0
	s_and_saveexec_b64 s[26:27], s[24:25]
; %bb.30:
	v_add_u32_e32 v1, s42, v12
	v_add_u32_e32 v6, s56, v12
	v_mul_lo_u32 v1, v1, s41
	v_mul_lo_u32 v6, v6, s43
	v_sub_u32_e32 v1, v1, v6
	v_cmp_lt_u32_e64 s[24:25], s57, v1
	s_and_b64 s[82:83], s[24:25], exec
; %bb.31:
	s_or_b64 exec, exec, s[26:27]
	v_add_u32_e32 v1, s37, v13
	v_add_u32_e32 v6, s39, v13
	v_mul_lo_u32 v1, v1, s36
	v_mul_lo_u32 v6, v6, s38
	v_sub_u32_e32 v1, v1, v6
	v_cmp_lt_u32_e64 s[24:25], s40, v1
	v_cmp_ge_u32_e64 s[26:27], s40, v1
	s_and_saveexec_b64 s[52:53], s[26:27]
; %bb.32:
	v_add_u32_e32 v1, s42, v13
	v_add_u32_e32 v6, s56, v13
	v_mul_lo_u32 v1, v1, s41
	v_mul_lo_u32 v6, v6, s43
	v_sub_u32_e32 v1, v1, v6
	v_cmp_lt_u32_e64 s[26:27], s57, v1
	s_and_b64 s[80:81], s[26:27], exec
; %bb.33:
	s_or_b64 exec, exec, s[52:53]
	v_add_u32_e32 v1, s37, v35
	v_add_u32_e32 v6, s39, v35
	v_mul_lo_u32 v1, v1, s36
	v_mul_lo_u32 v6, v6, s38
	v_sub_u32_e32 v1, v1, v6
	v_cmp_ge_u32_e64 s[26:27], s40, v1
	s_mov_b64 s[52:53], -1
	s_mov_b64 s[74:75], 0
	s_mov_b64 s[54:55], 0
	s_and_saveexec_b64 s[84:85], s[26:27]
; %bb.34:
	v_add_u32_e32 v1, s42, v35
	v_add_u32_e32 v6, s56, v35
	v_mul_lo_u32 v1, v1, s41
	v_mul_lo_u32 v6, v6, s43
	v_sub_u32_e32 v1, v1, v6
	v_cmp_lt_u32_e64 s[26:27], s57, v1
	s_and_b64 s[54:55], s[26:27], exec
	s_xor_b64 s[52:53], exec, -1
; %bb.35:
	s_or_b64 exec, exec, s[84:85]
	v_cndmask_b32_e64 v57, 0, 1, s[82:83]
	v_cndmask_b32_e64 v60, 0, 1, s[24:25]
	;; [unrolled: 1-line block ×22, first 2 shown]
	v_cndmask_b32_e64 v37, 0, 1, vcc
	v_cndmask_b32_e64 v59, 0, 1, s[80:81]
	s_add_i32 s16, s86, 0xd00
	s_and_b64 vcc, exec, s[74:75]
	s_cbranch_vccnz .LBB1476_37
	s_branch .LBB1476_90
.LBB1476_36:
                                        ; implicit-def: $sgpr52_sgpr53
                                        ; implicit-def: $sgpr54_sgpr55
                                        ; implicit-def: $vgpr59
                                        ; implicit-def: $vgpr57
                                        ; implicit-def: $vgpr55
                                        ; implicit-def: $vgpr53
                                        ; implicit-def: $vgpr51
                                        ; implicit-def: $vgpr49
                                        ; implicit-def: $vgpr47
                                        ; implicit-def: $vgpr45
                                        ; implicit-def: $vgpr43
                                        ; implicit-def: $vgpr37
                                        ; implicit-def: $vgpr39
                                        ; implicit-def: $vgpr41
                                        ; implicit-def: $vgpr44
                                        ; implicit-def: $vgpr46
                                        ; implicit-def: $vgpr48
                                        ; implicit-def: $vgpr50
                                        ; implicit-def: $vgpr52
                                        ; implicit-def: $vgpr54
                                        ; implicit-def: $vgpr56
                                        ; implicit-def: $vgpr58
                                        ; implicit-def: $vgpr60
                                        ; implicit-def: $vgpr38
                                        ; implicit-def: $vgpr40
                                        ; implicit-def: $vgpr42
	s_add_i32 s16, s86, 0xd00
	s_cbranch_execz .LBB1476_90
.LBB1476_37:
	v_cmp_gt_u32_e32 vcc, s16, v36
	v_mov_b32_e32 v38, 0
	v_mov_b32_e32 v37, 0
	s_and_saveexec_b64 s[6:7], vcc
	s_cbranch_execz .LBB1476_41
; %bb.38:
	v_add_u32_e32 v1, s37, v22
	v_add_u32_e32 v6, s39, v22
	v_mul_lo_u32 v1, v1, s36
	v_mul_lo_u32 v6, v6, s38
	v_sub_u32_e32 v1, v1, v6
	v_cmp_lt_u32_e32 vcc, s40, v1
	v_cmp_ge_u32_e64 s[4:5], s40, v1
	s_mov_b64 s[10:11], 0
	s_and_saveexec_b64 s[8:9], s[4:5]
; %bb.39:
	v_add_u32_e32 v1, s42, v22
	v_add_u32_e32 v6, s56, v22
	v_mul_lo_u32 v1, v1, s41
	v_mul_lo_u32 v6, v6, s43
	v_sub_u32_e32 v1, v1, v6
	v_cmp_lt_u32_e64 s[4:5], s57, v1
	s_and_b64 s[10:11], s[4:5], exec
; %bb.40:
	s_or_b64 exec, exec, s[8:9]
	v_cndmask_b32_e64 v37, 0, 1, vcc
	v_cndmask_b32_e64 v38, 0, 1, s[10:11]
.LBB1476_41:
	s_or_b64 exec, exec, s[6:7]
	v_add_u32_e32 v1, 1, v36
	v_cmp_gt_u32_e32 vcc, s16, v1
	v_mov_b32_e32 v39, 0
	v_mov_b32_e32 v40, 0
	s_and_saveexec_b64 s[6:7], vcc
	s_cbranch_execz .LBB1476_45
; %bb.42:
	v_add_u32_e32 v1, s37, v23
	v_add_u32_e32 v6, s39, v23
	v_mul_lo_u32 v1, v1, s36
	v_mul_lo_u32 v6, v6, s38
	v_sub_u32_e32 v1, v1, v6
	v_cmp_lt_u32_e32 vcc, s40, v1
	v_cmp_ge_u32_e64 s[4:5], s40, v1
	s_mov_b64 s[10:11], 0
	s_and_saveexec_b64 s[8:9], s[4:5]
; %bb.43:
	v_add_u32_e32 v1, s42, v23
	v_add_u32_e32 v6, s56, v23
	v_mul_lo_u32 v1, v1, s41
	v_mul_lo_u32 v6, v6, s43
	v_sub_u32_e32 v1, v1, v6
	v_cmp_lt_u32_e64 s[4:5], s57, v1
	s_and_b64 s[10:11], s[4:5], exec
; %bb.44:
	s_or_b64 exec, exec, s[8:9]
	v_cndmask_b32_e64 v39, 0, 1, vcc
	v_cndmask_b32_e64 v40, 0, 1, s[10:11]
.LBB1476_45:
	s_or_b64 exec, exec, s[6:7]
	v_add_u32_e32 v1, 2, v36
	;; [unrolled: 30-line block ×12, first 2 shown]
	v_cmp_gt_u32_e32 vcc, s16, v1
	s_mov_b64 s[52:53], 0
	s_mov_b64 s[54:55], 0
	s_and_saveexec_b64 s[4:5], vcc
	s_cbranch_execz .LBB1476_89
; %bb.86:
	v_add_u32_e32 v1, s37, v35
	v_add_u32_e32 v6, s39, v35
	v_mul_lo_u32 v1, v1, s36
	v_mul_lo_u32 v6, v6, s38
	v_sub_u32_e32 v1, v1, v6
	v_cmp_ge_u32_e32 vcc, s40, v1
	s_mov_b64 s[8:9], -1
	s_mov_b64 s[10:11], 0
	s_and_saveexec_b64 s[6:7], vcc
; %bb.87:
	v_add_u32_e32 v1, s42, v35
	v_add_u32_e32 v6, s56, v35
	v_mul_lo_u32 v1, v1, s41
	v_mul_lo_u32 v6, v6, s43
	v_sub_u32_e32 v1, v1, v6
	v_cmp_lt_u32_e32 vcc, s57, v1
	s_and_b64 s[10:11], vcc, exec
	s_xor_b64 s[8:9], exec, -1
; %bb.88:
	s_or_b64 exec, exec, s[6:7]
	s_and_b64 s[54:55], s[10:11], exec
	s_and_b64 s[52:53], s[8:9], exec
.LBB1476_89:
	s_or_b64 exec, exec, s[4:5]
.LBB1476_90:
	v_and_b32_e32 v68, 0xff, v38
	v_and_b32_e32 v79, 0xff, v40
	v_and_b32_e32 v70, 0xff, v42
	v_and_b32_e32 v80, 0xff, v43
	v_and_b32_e32 v72, 0xff, v45
	v_add3_u32 v6, v79, v70, v68
	v_and_b32_e32 v81, 0xff, v47
	v_and_b32_e32 v74, 0xff, v49
	v_add3_u32 v6, v6, v80, v72
	v_and_b32_e32 v67, 0xff, v37
	v_and_b32_e32 v61, 0xff, v39
	;; [unrolled: 1-line block ×5, first 2 shown]
	v_add3_u32 v6, v6, v81, v74
	v_and_b32_e32 v62, 0xff, v44
	v_and_b32_e32 v71, 0xff, v46
	;; [unrolled: 1-line block ×4, first 2 shown]
	v_add3_u32 v7, v61, v69, v67
	v_add3_u32 v6, v6, v82, v76
	v_and_b32_e32 v63, 0xff, v48
	v_and_b32_e32 v73, 0xff, v50
	;; [unrolled: 1-line block ×3, first 2 shown]
	v_cndmask_b32_e64 v1, 0, 1, s[54:55]
	v_add3_u32 v7, v7, v62, v71
	v_add3_u32 v6, v6, v83, v78
	v_and_b32_e32 v64, 0xff, v52
	v_and_b32_e32 v75, 0xff, v54
	v_add3_u32 v7, v7, v63, v73
	v_add3_u32 v91, v6, v84, v1
	v_mbcnt_lo_u32_b32 v1, -1, 0
	v_and_b32_e32 v65, 0xff, v56
	v_and_b32_e32 v77, 0xff, v58
	v_add3_u32 v7, v7, v64, v75
	v_mbcnt_hi_u32_b32 v85, -1, v1
	v_and_b32_e32 v66, 0xff, v60
	v_add3_u32 v7, v7, v65, v77
	v_cndmask_b32_e64 v8, 0, 1, s[52:53]
	v_and_b32_e32 v89, 15, v85
	s_cmp_lg_u32 s33, 0
	v_add3_u32 v90, v7, v66, v8
	v_cmp_eq_u32_e64 s[6:7], 0, v89
	v_cmp_lt_u32_e64 s[4:5], 1, v89
	v_cmp_lt_u32_e64 s[10:11], 3, v89
	;; [unrolled: 1-line block ×3, first 2 shown]
	v_and_b32_e32 v88, 16, v85
	v_cmp_lt_u32_e32 vcc, 31, v85
	v_lshrrev_b32_e32 v86, 6, v0
	v_or_b32_e32 v87, 63, v0
	s_cbranch_scc0 .LBB1476_123
; %bb.91:
	v_mov_b32_dpp v1, v90 row_shr:1 row_mask:0xf bank_mask:0xf
	v_mov_b32_dpp v6, v91 row_shr:1 row_mask:0xf bank_mask:0xf
	v_add_u32_e32 v1, v1, v90
	v_add_u32_e32 v6, v6, v91
	v_cndmask_b32_e64 v6, v6, v91, s[6:7]
	v_cndmask_b32_e64 v1, v1, v90, s[6:7]
	s_nop 0
	v_mov_b32_dpp v8, v6 row_shr:2 row_mask:0xf bank_mask:0xf
	v_mov_b32_dpp v7, v1 row_shr:2 row_mask:0xf bank_mask:0xf
	v_add_u32_e32 v7, v1, v7
	v_add_u32_e32 v8, v6, v8
	v_cndmask_b32_e64 v6, v6, v8, s[4:5]
	v_cndmask_b32_e64 v1, v1, v7, s[4:5]
	s_nop 0
	;; [unrolled: 7-line block ×3, first 2 shown]
	v_mov_b32_dpp v8, v6 row_shr:8 row_mask:0xf bank_mask:0xf
	v_mov_b32_dpp v7, v1 row_shr:8 row_mask:0xf bank_mask:0xf
	v_add_u32_e32 v7, v1, v7
	v_add_u32_e32 v8, v6, v8
	v_cndmask_b32_e64 v6, v6, v8, s[8:9]
	v_cndmask_b32_e64 v1, v1, v7, s[8:9]
	v_cmp_eq_u32_e64 s[8:9], 0, v88
	v_mov_b32_dpp v8, v6 row_bcast:15 row_mask:0xf bank_mask:0xf
	v_mov_b32_dpp v7, v1 row_bcast:15 row_mask:0xf bank_mask:0xf
	v_add_u32_e32 v7, v1, v7
	v_add_u32_e32 v8, v6, v8
	v_cndmask_b32_e64 v6, v8, v6, s[8:9]
	v_cndmask_b32_e64 v1, v7, v1, s[8:9]
	s_nop 0
	v_mov_b32_dpp v8, v6 row_bcast:31 row_mask:0xf bank_mask:0xf
	v_mov_b32_dpp v7, v1 row_bcast:31 row_mask:0xf bank_mask:0xf
	v_add_u32_e32 v8, v6, v8
	v_add_u32_e32 v9, v1, v7
	v_cndmask_b32_e32 v7, v6, v8, vcc
	v_cndmask_b32_e32 v6, v1, v9, vcc
	v_cmp_eq_u32_e32 vcc, v87, v0
	s_and_saveexec_b64 s[8:9], vcc
	s_cbranch_execz .LBB1476_93
; %bb.92:
	v_lshlrev_b32_e32 v1, 3, v86
	ds_write_b64 v1, v[6:7]
.LBB1476_93:
	s_or_b64 exec, exec, s[8:9]
	v_cmp_gt_u32_e32 vcc, 4, v0
	s_waitcnt lgkmcnt(0)
	s_barrier
	s_and_saveexec_b64 s[8:9], vcc
	s_cbranch_execz .LBB1476_95
; %bb.94:
	v_lshlrev_b32_e32 v1, 3, v0
	ds_read_b64 v[8:9], v1
	v_and_b32_e32 v10, 3, v85
	v_cmp_eq_u32_e32 vcc, 0, v10
	s_waitcnt lgkmcnt(0)
	v_mov_b32_dpp v11, v8 row_shr:1 row_mask:0xf bank_mask:0xf
	v_mov_b32_dpp v24, v9 row_shr:1 row_mask:0xf bank_mask:0xf
	v_add_u32_e32 v11, v11, v8
	v_add_u32_e32 v24, v24, v9
	v_cndmask_b32_e32 v9, v24, v9, vcc
	v_cndmask_b32_e32 v8, v11, v8, vcc
	v_cmp_lt_u32_e32 vcc, 1, v10
	v_mov_b32_dpp v24, v9 row_shr:2 row_mask:0xf bank_mask:0xf
	v_mov_b32_dpp v11, v8 row_shr:2 row_mask:0xf bank_mask:0xf
	v_cndmask_b32_e32 v10, 0, v11, vcc
	v_cndmask_b32_e32 v11, 0, v24, vcc
	v_add_u32_e32 v9, v11, v9
	v_add_u32_e32 v8, v10, v8
	ds_write_b64 v1, v[8:9]
.LBB1476_95:
	s_or_b64 exec, exec, s[8:9]
	v_cmp_gt_u32_e32 vcc, 64, v0
	v_cmp_lt_u32_e64 s[8:9], 63, v0
	s_waitcnt lgkmcnt(0)
	s_barrier
	s_waitcnt lgkmcnt(0)
                                        ; implicit-def: $vgpr25
	s_and_saveexec_b64 s[10:11], s[8:9]
	s_xor_b64 s[8:9], exec, s[10:11]
	s_cbranch_execz .LBB1476_97
; %bb.96:
	v_lshl_add_u32 v1, v86, 3, -8
	ds_read_b64 v[24:25], v1
	s_waitcnt lgkmcnt(0)
	v_add_u32_e32 v7, v25, v7
	v_add_u32_e32 v6, v24, v6
.LBB1476_97:
	s_andn2_saveexec_b64 s[8:9], s[8:9]
; %bb.98:
                                        ; implicit-def: $vgpr24
; %bb.99:
	s_or_b64 exec, exec, s[8:9]
	v_add_u32_e32 v1, -1, v85
	v_and_b32_e32 v8, 64, v85
	v_cmp_lt_i32_e64 s[8:9], v1, v8
	v_cndmask_b32_e64 v1, v1, v85, s[8:9]
	v_lshlrev_b32_e32 v8, 2, v1
	ds_bpermute_b32 v1, v8, v6
	ds_bpermute_b32 v92, v8, v7
	v_cmp_eq_u32_e64 s[8:9], 0, v85
	s_and_saveexec_b64 s[10:11], vcc
	s_cbranch_execz .LBB1476_122
; %bb.100:
	v_mov_b32_e32 v11, 0
	ds_read_b64 v[26:27], v11 offset:24
	s_and_saveexec_b64 s[12:13], s[8:9]
	s_cbranch_execz .LBB1476_102
; %bb.101:
	s_add_i32 s14, s33, 64
	s_mov_b32 s15, 0
	s_lshl_b64 s[14:15], s[14:15], 4
	s_waitcnt lgkmcnt(0)
	v_and_b32_e32 v6, 0xff000000, v27
	v_and_b32_e32 v7, 0xff0000, v27
	s_add_u32 s14, s50, s14
	v_or_b32_e32 v6, v7, v6
	v_and_b32_e32 v7, 0xff00, v27
	s_addc_u32 s15, s51, s15
	v_or_b32_e32 v6, v6, v7
	v_or_b32_sdwa v9, v6, v27 dst_sel:DWORD dst_unused:UNUSED_PAD src0_sel:DWORD src1_sel:BYTE_0
	v_mov_b32_e32 v10, 1
	v_mov_b32_e32 v8, v26
	v_pk_mov_b32 v[6:7], s[14:15], s[14:15] op_sel:[0,1]
	;;#ASMSTART
	global_store_dwordx4 v[6:7], v[8:11] off	
s_waitcnt vmcnt(0)
	;;#ASMEND
.LBB1476_102:
	s_or_b64 exec, exec, s[12:13]
	v_xad_u32 v28, v85, -1, s33
	v_add_u32_e32 v10, 64, v28
	v_lshlrev_b64 v[6:7], 4, v[10:11]
	v_mov_b32_e32 v8, s51
	v_add_co_u32_e32 v30, vcc, s50, v6
	v_addc_co_u32_e32 v31, vcc, v8, v7, vcc
	;;#ASMSTART
	global_load_dwordx4 v[6:9], v[30:31] off glc	
s_waitcnt vmcnt(0)
	;;#ASMEND
	v_and_b32_e32 v9, 0xff, v7
	v_and_b32_e32 v10, 0xff00, v7
	v_or3_b32 v9, 0, v9, v10
	v_or3_b32 v6, v6, 0, 0
	v_and_b32_e32 v10, 0xff000000, v7
	v_and_b32_e32 v7, 0xff0000, v7
	v_or3_b32 v7, v9, v7, v10
	v_or3_b32 v6, v6, 0, 0
	v_cmp_eq_u16_sdwa s[14:15], v8, v11 src0_sel:BYTE_0 src1_sel:DWORD
	s_and_saveexec_b64 s[12:13], s[14:15]
	s_cbranch_execz .LBB1476_108
; %bb.103:
	s_mov_b32 s17, 1
	s_mov_b64 s[14:15], 0
	v_mov_b32_e32 v10, 0
.LBB1476_104:                           ; =>This Loop Header: Depth=1
                                        ;     Child Loop BB1476_105 Depth 2
	s_max_u32 s18, s17, 1
.LBB1476_105:                           ;   Parent Loop BB1476_104 Depth=1
                                        ; =>  This Inner Loop Header: Depth=2
	s_add_i32 s18, s18, -1
	s_cmp_eq_u32 s18, 0
	s_sleep 1
	s_cbranch_scc0 .LBB1476_105
; %bb.106:                              ;   in Loop: Header=BB1476_104 Depth=1
	s_cmp_lt_u32 s17, 32
	s_cselect_b64 s[18:19], -1, 0
	s_cmp_lg_u64 s[18:19], 0
	s_addc_u32 s17, s17, 0
	;;#ASMSTART
	global_load_dwordx4 v[6:9], v[30:31] off glc	
s_waitcnt vmcnt(0)
	;;#ASMEND
	v_cmp_ne_u16_sdwa s[18:19], v8, v10 src0_sel:BYTE_0 src1_sel:DWORD
	s_or_b64 s[14:15], s[18:19], s[14:15]
	s_andn2_b64 exec, exec, s[14:15]
	s_cbranch_execnz .LBB1476_104
; %bb.107:
	s_or_b64 exec, exec, s[14:15]
.LBB1476_108:
	s_or_b64 exec, exec, s[12:13]
	v_and_b32_e32 v94, 63, v85
	v_cmp_ne_u32_e32 vcc, 63, v94
	v_mov_b32_e32 v93, 2
	v_addc_co_u32_e32 v30, vcc, 0, v85, vcc
	v_cmp_eq_u16_sdwa s[12:13], v8, v93 src0_sel:BYTE_0 src1_sel:DWORD
	v_lshlrev_b64 v[10:11], v85, -1
	v_lshlrev_b32_e32 v95, 2, v30
	v_and_b32_e32 v9, s13, v11
	ds_bpermute_b32 v30, v95, v6
	ds_bpermute_b32 v31, v95, v7
	v_or_b32_e32 v9, 0x80000000, v9
	v_and_b32_e32 v29, s12, v10
	v_ffbl_b32_e32 v9, v9
	v_add_u32_e32 v9, 32, v9
	v_ffbl_b32_e32 v29, v29
	v_min_u32_e32 v9, v29, v9
	s_waitcnt lgkmcnt(1)
	v_add_u32_e32 v29, v30, v6
	s_waitcnt lgkmcnt(0)
	v_add_u32_e32 v30, v31, v7
	v_cmp_lt_u32_e32 vcc, v94, v9
	v_cndmask_b32_e32 v7, v7, v30, vcc
	v_cndmask_b32_e32 v6, v6, v29, vcc
	v_cmp_gt_u32_e32 vcc, 62, v94
	v_cndmask_b32_e64 v29, 0, 1, vcc
	v_lshlrev_b32_e32 v29, 1, v29
	v_add_lshl_u32 v96, v29, v85, 2
	ds_bpermute_b32 v29, v96, v6
	ds_bpermute_b32 v30, v96, v7
	v_add_u32_e32 v97, 2, v94
	v_cmp_gt_u32_e32 vcc, v97, v9
	v_add_u32_e32 v99, 4, v94
	s_waitcnt lgkmcnt(1)
	v_add_u32_e32 v29, v6, v29
	s_waitcnt lgkmcnt(0)
	v_add_u32_e32 v30, v7, v30
	v_cndmask_b32_e32 v7, v30, v7, vcc
	v_cndmask_b32_e32 v6, v29, v6, vcc
	v_cmp_gt_u32_e32 vcc, 60, v94
	v_cndmask_b32_e64 v29, 0, 1, vcc
	v_lshlrev_b32_e32 v29, 2, v29
	v_add_lshl_u32 v98, v29, v85, 2
	ds_bpermute_b32 v29, v98, v6
	ds_bpermute_b32 v30, v98, v7
	v_cmp_gt_u32_e32 vcc, v99, v9
	v_add_u32_e32 v101, 8, v94
	v_add_u32_e32 v103, 16, v94
	s_waitcnt lgkmcnt(1)
	v_add_u32_e32 v29, v6, v29
	s_waitcnt lgkmcnt(0)
	v_add_u32_e32 v30, v7, v30
	v_cndmask_b32_e32 v7, v30, v7, vcc
	v_cndmask_b32_e32 v6, v29, v6, vcc
	v_cmp_gt_u32_e32 vcc, 56, v94
	v_cndmask_b32_e64 v29, 0, 1, vcc
	v_lshlrev_b32_e32 v29, 3, v29
	v_add_lshl_u32 v100, v29, v85, 2
	ds_bpermute_b32 v29, v100, v6
	ds_bpermute_b32 v30, v100, v7
	v_cmp_gt_u32_e32 vcc, v101, v9
	v_add_u32_e32 v105, 32, v94
	s_waitcnt lgkmcnt(1)
	v_add_u32_e32 v29, v6, v29
	s_waitcnt lgkmcnt(0)
	v_add_u32_e32 v30, v7, v30
	v_cndmask_b32_e32 v7, v30, v7, vcc
	v_cndmask_b32_e32 v6, v29, v6, vcc
	v_cmp_gt_u32_e32 vcc, 48, v94
	v_cndmask_b32_e64 v29, 0, 1, vcc
	v_lshlrev_b32_e32 v29, 4, v29
	v_add_lshl_u32 v102, v29, v85, 2
	ds_bpermute_b32 v29, v102, v6
	ds_bpermute_b32 v30, v102, v7
	v_cmp_gt_u32_e32 vcc, v103, v9
	s_waitcnt lgkmcnt(1)
	v_add_u32_e32 v29, v6, v29
	s_waitcnt lgkmcnt(0)
	v_add_u32_e32 v30, v7, v30
	v_cndmask_b32_e32 v7, v30, v7, vcc
	v_cndmask_b32_e32 v6, v29, v6, vcc
	v_cmp_gt_u32_e32 vcc, 32, v94
	v_cndmask_b32_e64 v29, 0, 1, vcc
	v_lshlrev_b32_e32 v29, 5, v29
	v_add_lshl_u32 v104, v29, v85, 2
	ds_bpermute_b32 v29, v104, v6
	ds_bpermute_b32 v30, v104, v7
	v_cmp_le_u32_e32 vcc, v105, v9
	s_waitcnt lgkmcnt(1)
	v_cndmask_b32_e32 v9, 0, v29, vcc
	s_waitcnt lgkmcnt(0)
	v_cndmask_b32_e32 v29, 0, v30, vcc
	v_add_u32_e32 v7, v7, v29
	v_add_u32_e32 v6, v6, v9
	v_mov_b32_e32 v29, 0
	s_branch .LBB1476_110
.LBB1476_109:                           ;   in Loop: Header=BB1476_110 Depth=1
	s_or_b64 exec, exec, s[12:13]
	v_cmp_eq_u16_sdwa s[12:13], v8, v93 src0_sel:BYTE_0 src1_sel:DWORD
	v_and_b32_e32 v9, s13, v11
	ds_bpermute_b32 v33, v95, v6
	ds_bpermute_b32 v106, v95, v7
	v_or_b32_e32 v9, 0x80000000, v9
	v_and_b32_e32 v32, s12, v10
	v_ffbl_b32_e32 v9, v9
	v_add_u32_e32 v9, 32, v9
	v_ffbl_b32_e32 v32, v32
	v_min_u32_e32 v9, v32, v9
	s_waitcnt lgkmcnt(1)
	v_add_u32_e32 v32, v33, v6
	s_waitcnt lgkmcnt(0)
	v_add_u32_e32 v33, v106, v7
	v_cmp_lt_u32_e32 vcc, v94, v9
	v_cndmask_b32_e32 v7, v7, v33, vcc
	v_cndmask_b32_e32 v6, v6, v32, vcc
	ds_bpermute_b32 v32, v96, v6
	ds_bpermute_b32 v33, v96, v7
	v_cmp_gt_u32_e32 vcc, v97, v9
	v_subrev_u32_e32 v28, 64, v28
	s_waitcnt lgkmcnt(1)
	v_add_u32_e32 v32, v6, v32
	s_waitcnt lgkmcnt(0)
	v_add_u32_e32 v33, v7, v33
	v_cndmask_b32_e32 v7, v33, v7, vcc
	v_cndmask_b32_e32 v6, v32, v6, vcc
	ds_bpermute_b32 v32, v98, v6
	ds_bpermute_b32 v33, v98, v7
	v_cmp_gt_u32_e32 vcc, v99, v9
	s_waitcnt lgkmcnt(1)
	v_add_u32_e32 v32, v6, v32
	s_waitcnt lgkmcnt(0)
	v_add_u32_e32 v33, v7, v33
	v_cndmask_b32_e32 v7, v33, v7, vcc
	v_cndmask_b32_e32 v6, v32, v6, vcc
	ds_bpermute_b32 v32, v100, v6
	ds_bpermute_b32 v33, v100, v7
	v_cmp_gt_u32_e32 vcc, v101, v9
	;; [unrolled: 9-line block ×3, first 2 shown]
	s_waitcnt lgkmcnt(1)
	v_add_u32_e32 v32, v6, v32
	s_waitcnt lgkmcnt(0)
	v_add_u32_e32 v33, v7, v33
	v_cndmask_b32_e32 v7, v33, v7, vcc
	v_cndmask_b32_e32 v6, v32, v6, vcc
	ds_bpermute_b32 v32, v104, v6
	ds_bpermute_b32 v33, v104, v7
	v_cmp_le_u32_e32 vcc, v105, v9
	s_waitcnt lgkmcnt(1)
	v_cndmask_b32_e32 v9, 0, v32, vcc
	s_waitcnt lgkmcnt(0)
	v_cndmask_b32_e32 v32, 0, v33, vcc
	v_add3_u32 v7, v32, v31, v7
	v_add3_u32 v6, v9, v30, v6
.LBB1476_110:                           ; =>This Loop Header: Depth=1
                                        ;     Child Loop BB1476_113 Depth 2
                                        ;       Child Loop BB1476_114 Depth 3
	v_cmp_ne_u16_sdwa s[12:13], v8, v93 src0_sel:BYTE_0 src1_sel:DWORD
	v_cndmask_b32_e64 v8, 0, 1, s[12:13]
	;;#ASMSTART
	;;#ASMEND
	v_cmp_ne_u32_e32 vcc, 0, v8
	s_cmp_lg_u64 vcc, exec
	v_pk_mov_b32 v[30:31], v[6:7], v[6:7] op_sel:[0,1]
	s_cbranch_scc1 .LBB1476_117
; %bb.111:                              ;   in Loop: Header=BB1476_110 Depth=1
	v_lshlrev_b64 v[6:7], 4, v[28:29]
	v_mov_b32_e32 v8, s51
	v_add_co_u32_e32 v32, vcc, s50, v6
	v_addc_co_u32_e32 v33, vcc, v8, v7, vcc
	;;#ASMSTART
	global_load_dwordx4 v[6:9], v[32:33] off glc	
s_waitcnt vmcnt(0)
	;;#ASMEND
	v_and_b32_e32 v9, 0xff, v7
	v_and_b32_e32 v106, 0xff00, v7
	v_or3_b32 v9, 0, v9, v106
	v_or3_b32 v6, v6, 0, 0
	v_and_b32_e32 v106, 0xff000000, v7
	v_and_b32_e32 v7, 0xff0000, v7
	v_or3_b32 v7, v9, v7, v106
	v_or3_b32 v6, v6, 0, 0
	v_cmp_eq_u16_sdwa s[14:15], v8, v29 src0_sel:BYTE_0 src1_sel:DWORD
	s_and_saveexec_b64 s[12:13], s[14:15]
	s_cbranch_execz .LBB1476_109
; %bb.112:                              ;   in Loop: Header=BB1476_110 Depth=1
	s_mov_b32 s17, 1
	s_mov_b64 s[14:15], 0
.LBB1476_113:                           ;   Parent Loop BB1476_110 Depth=1
                                        ; =>  This Loop Header: Depth=2
                                        ;       Child Loop BB1476_114 Depth 3
	s_max_u32 s18, s17, 1
.LBB1476_114:                           ;   Parent Loop BB1476_110 Depth=1
                                        ;     Parent Loop BB1476_113 Depth=2
                                        ; =>    This Inner Loop Header: Depth=3
	s_add_i32 s18, s18, -1
	s_cmp_eq_u32 s18, 0
	s_sleep 1
	s_cbranch_scc0 .LBB1476_114
; %bb.115:                              ;   in Loop: Header=BB1476_113 Depth=2
	s_cmp_lt_u32 s17, 32
	s_cselect_b64 s[18:19], -1, 0
	s_cmp_lg_u64 s[18:19], 0
	s_addc_u32 s17, s17, 0
	;;#ASMSTART
	global_load_dwordx4 v[6:9], v[32:33] off glc	
s_waitcnt vmcnt(0)
	;;#ASMEND
	v_cmp_ne_u16_sdwa s[18:19], v8, v29 src0_sel:BYTE_0 src1_sel:DWORD
	s_or_b64 s[14:15], s[18:19], s[14:15]
	s_andn2_b64 exec, exec, s[14:15]
	s_cbranch_execnz .LBB1476_113
; %bb.116:                              ;   in Loop: Header=BB1476_110 Depth=1
	s_or_b64 exec, exec, s[14:15]
	s_branch .LBB1476_109
.LBB1476_117:                           ;   in Loop: Header=BB1476_110 Depth=1
                                        ; implicit-def: $vgpr8
                                        ; implicit-def: $vgpr6_vgpr7
	s_cbranch_execz .LBB1476_110
; %bb.118:
	s_and_saveexec_b64 s[12:13], s[8:9]
	s_cbranch_execz .LBB1476_120
; %bb.119:
	s_add_i32 s14, s33, 64
	s_mov_b32 s15, 0
	v_add_u32_e32 v7, v31, v27
	s_lshl_b64 s[14:15], s[14:15], 4
	s_add_u32 s14, s50, s14
	v_and_b32_e32 v8, 0xff000000, v7
	v_and_b32_e32 v10, 0xff0000, v7
	s_addc_u32 s15, s51, s15
	v_or_b32_e32 v8, v10, v8
	v_and_b32_e32 v10, 0xff00, v7
	v_and_b32_e32 v7, 0xff, v7
	v_add_u32_e32 v6, v30, v26
	v_mov_b32_e32 v9, 0
	v_or3_b32 v7, v8, v10, v7
	v_mov_b32_e32 v8, 2
	v_pk_mov_b32 v[10:11], s[14:15], s[14:15] op_sel:[0,1]
	;;#ASMSTART
	global_store_dwordx4 v[10:11], v[6:9] off	
s_waitcnt vmcnt(0)
	;;#ASMEND
	s_movk_i32 s14, 0x3400
	v_add_u32_e64 v6, s14, 0
	ds_write2_b32 v6, v26, v27 offset1:2
	ds_write2_b32 v6, v30, v31 offset0:4 offset1:6
.LBB1476_120:
	s_or_b64 exec, exec, s[12:13]
	s_and_b64 exec, exec, s[0:1]
	s_cbranch_execz .LBB1476_122
; %bb.121:
	v_mov_b32_e32 v6, 0
	ds_write_b64 v6, v[30:31] offset:24
.LBB1476_122:
	s_or_b64 exec, exec, s[10:11]
	v_mov_b32_e32 v6, 0
	s_waitcnt lgkmcnt(0)
	s_barrier
	ds_read_b64 v[10:11], v6 offset:24
	v_cndmask_b32_e64 v25, v92, v25, s[8:9]
	v_cndmask_b32_e64 v1, v1, v24, s[8:9]
	s_movk_i32 s8, 0x3400
	s_waitcnt lgkmcnt(0)
	v_add_u32_e32 v24, v10, v1
	v_add_u32_e64 v1, s8, 0
	s_barrier
	ds_read2_b32 v[6:7], v1 offset1:2
	ds_read2_b32 v[8:9], v1 offset0:4 offset1:6
	v_add_u32_e32 v1, v11, v25
	v_cndmask_b32_e64 v1, v1, v11, s[0:1]
	v_cndmask_b32_e64 v10, v24, v10, s[0:1]
	s_branch .LBB1476_133
.LBB1476_123:
                                        ; implicit-def: $vgpr1
                                        ; implicit-def: $vgpr8
                                        ; implicit-def: $vgpr6
                                        ; implicit-def: $vgpr10_vgpr11
	s_cbranch_execz .LBB1476_133
; %bb.124:
	s_nop 0
	v_mov_b32_dpp v1, v90 row_shr:1 row_mask:0xf bank_mask:0xf
	s_waitcnt lgkmcnt(1)
	v_mov_b32_dpp v6, v91 row_shr:1 row_mask:0xf bank_mask:0xf
	v_add_u32_e32 v1, v1, v90
	v_add_u32_e32 v6, v6, v91
	v_cndmask_b32_e64 v6, v6, v91, s[6:7]
	v_cndmask_b32_e64 v1, v1, v90, s[6:7]
	v_cmp_lt_u32_e32 vcc, 3, v89
	s_waitcnt lgkmcnt(0)
	v_mov_b32_dpp v8, v6 row_shr:2 row_mask:0xf bank_mask:0xf
	v_mov_b32_dpp v7, v1 row_shr:2 row_mask:0xf bank_mask:0xf
	v_add_u32_e32 v7, v1, v7
	v_add_u32_e32 v8, v6, v8
	v_cndmask_b32_e64 v6, v6, v8, s[4:5]
	v_cndmask_b32_e64 v1, v1, v7, s[4:5]
	s_nop 0
	v_mov_b32_dpp v8, v6 row_shr:4 row_mask:0xf bank_mask:0xf
	v_mov_b32_dpp v7, v1 row_shr:4 row_mask:0xf bank_mask:0xf
	v_add_u32_e32 v7, v1, v7
	v_add_u32_e32 v8, v6, v8
	v_cndmask_b32_e32 v6, v6, v8, vcc
	v_cndmask_b32_e32 v1, v1, v7, vcc
	v_cmp_lt_u32_e32 vcc, 7, v89
	v_mov_b32_dpp v8, v6 row_shr:8 row_mask:0xf bank_mask:0xf
	v_mov_b32_dpp v7, v1 row_shr:8 row_mask:0xf bank_mask:0xf
	v_add_u32_e32 v7, v1, v7
	v_add_u32_e32 v8, v6, v8
	v_cndmask_b32_e32 v6, v6, v8, vcc
	v_cndmask_b32_e32 v1, v1, v7, vcc
	v_cmp_eq_u32_e32 vcc, 0, v88
	v_mov_b32_dpp v8, v6 row_bcast:15 row_mask:0xf bank_mask:0xf
	v_mov_b32_dpp v7, v1 row_bcast:15 row_mask:0xf bank_mask:0xf
	v_add_u32_e32 v7, v1, v7
	v_add_u32_e32 v8, v6, v8
	v_cndmask_b32_e32 v6, v8, v6, vcc
	v_cndmask_b32_e32 v1, v7, v1, vcc
	v_cmp_lt_u32_e32 vcc, 31, v85
	v_mov_b32_dpp v8, v6 row_bcast:31 row_mask:0xf bank_mask:0xf
	v_mov_b32_dpp v7, v1 row_bcast:31 row_mask:0xf bank_mask:0xf
	v_add_u32_e32 v8, v6, v8
	v_add_u32_e32 v9, v1, v7
	v_cndmask_b32_e32 v7, v6, v8, vcc
	v_cndmask_b32_e32 v6, v1, v9, vcc
	v_cmp_eq_u32_e32 vcc, v87, v0
	s_and_saveexec_b64 s[4:5], vcc
	s_cbranch_execz .LBB1476_126
; %bb.125:
	v_lshlrev_b32_e32 v1, 3, v86
	ds_write_b64 v1, v[6:7]
.LBB1476_126:
	s_or_b64 exec, exec, s[4:5]
	v_cmp_gt_u32_e32 vcc, 4, v0
	s_waitcnt lgkmcnt(0)
	s_barrier
	s_and_saveexec_b64 s[4:5], vcc
	s_cbranch_execz .LBB1476_128
; %bb.127:
	v_lshlrev_b32_e32 v1, 3, v0
	ds_read_b64 v[8:9], v1
	v_and_b32_e32 v10, 3, v85
	v_cmp_eq_u32_e32 vcc, 0, v10
	s_waitcnt lgkmcnt(0)
	v_mov_b32_dpp v11, v8 row_shr:1 row_mask:0xf bank_mask:0xf
	v_mov_b32_dpp v24, v9 row_shr:1 row_mask:0xf bank_mask:0xf
	v_add_u32_e32 v11, v11, v8
	v_add_u32_e32 v24, v24, v9
	v_cndmask_b32_e32 v9, v24, v9, vcc
	v_cndmask_b32_e32 v8, v11, v8, vcc
	v_cmp_lt_u32_e32 vcc, 1, v10
	v_mov_b32_dpp v24, v9 row_shr:2 row_mask:0xf bank_mask:0xf
	v_mov_b32_dpp v11, v8 row_shr:2 row_mask:0xf bank_mask:0xf
	v_cndmask_b32_e32 v10, 0, v11, vcc
	v_cndmask_b32_e32 v11, 0, v24, vcc
	v_add_u32_e32 v9, v11, v9
	v_add_u32_e32 v8, v10, v8
	ds_write_b64 v1, v[8:9]
.LBB1476_128:
	s_or_b64 exec, exec, s[4:5]
	v_cmp_lt_u32_e32 vcc, 63, v0
	v_mov_b32_e32 v8, 0
	v_mov_b32_e32 v10, 0
	;; [unrolled: 1-line block ×3, first 2 shown]
	s_waitcnt lgkmcnt(0)
	s_barrier
	s_and_saveexec_b64 s[4:5], vcc
	s_cbranch_execz .LBB1476_130
; %bb.129:
	v_lshl_add_u32 v1, v86, 3, -8
	ds_read_b64 v[10:11], v1
.LBB1476_130:
	s_or_b64 exec, exec, s[4:5]
	s_waitcnt lgkmcnt(0)
	v_add_u32_e32 v9, v11, v7
	v_add_u32_e32 v1, v10, v6
	v_add_u32_e32 v6, -1, v85
	v_and_b32_e32 v7, 64, v85
	v_cmp_lt_i32_e32 vcc, v6, v7
	v_cndmask_b32_e32 v6, v6, v85, vcc
	v_lshlrev_b32_e32 v24, 2, v6
	ds_read_b64 v[6:7], v8 offset:24
	ds_bpermute_b32 v1, v24, v1
	ds_bpermute_b32 v24, v24, v9
	s_waitcnt lgkmcnt(2)
	v_readfirstlane_b32 s6, v7
	s_and_saveexec_b64 s[4:5], s[0:1]
	s_cbranch_execz .LBB1476_132
; %bb.131:
	s_add_u32 s8, s50, 0x400
	s_mov_b32 s10, 0
	s_addc_u32 s9, s51, 0
	s_and_b32 s11, s6, 0xff000000
	s_and_b32 s13, s6, 0xff0000
	s_mov_b32 s12, s10
	s_or_b64 s[12:13], s[12:13], s[10:11]
	s_and_b32 s11, s6, 0xff00
	s_or_b64 s[12:13], s[12:13], s[10:11]
	s_and_b32 s11, s6, 0xff
	s_or_b64 s[10:11], s[12:13], s[10:11]
	v_mov_b32_e32 v7, s11
	v_mov_b32_e32 v8, 2
	;; [unrolled: 1-line block ×3, first 2 shown]
	v_pk_mov_b32 v[26:27], s[8:9], s[8:9] op_sel:[0,1]
	;;#ASMSTART
	global_store_dwordx4 v[26:27], v[6:9] off	
s_waitcnt vmcnt(0)
	;;#ASMEND
.LBB1476_132:
	s_or_b64 exec, exec, s[4:5]
	v_cmp_eq_u32_e32 vcc, 0, v85
	s_waitcnt lgkmcnt(1)
	v_cndmask_b32_e32 v7, v1, v10, vcc
	s_waitcnt lgkmcnt(0)
	v_cndmask_b32_e32 v1, v24, v11, vcc
	v_mov_b32_e32 v8, 0
	v_cndmask_b32_e64 v1, v1, 0, s[0:1]
	v_cndmask_b32_e64 v10, v7, 0, s[0:1]
	s_barrier
	v_mov_b32_e32 v7, s6
	v_mov_b32_e32 v9, 0
.LBB1476_133:
	v_add_u32_e32 v11, v10, v67
	v_add_u32_e32 v26, v1, v68
	;; [unrolled: 1-line block ×13, first 2 shown]
	s_waitcnt vmcnt(0) lgkmcnt(0)
	v_add_co_u32_e32 v2, vcc, v2, v8
	v_add_u32_e32 v68, v62, v74
	v_add_u32_e32 v64, v67, v64
	v_addc_co_u32_e32 v3, vcc, 0, v3, vcc
	v_add_u32_e32 v69, v68, v82
	v_add_u32_e32 v70, v64, v75
	v_sub_co_u32_e32 v24, vcc, v4, v6
	v_add_u32_e32 v71, v69, v76
	v_add_u32_e32 v65, v70, v65
	v_subbrev_co_u32_e32 v25, vcc, 0, v5, vcc
	v_lshlrev_b32_e32 v76, 1, v6
	v_sub_u32_e32 v1, v1, v9
	v_add_u32_e32 v73, v65, v77
	v_add_co_u32_e32 v24, vcc, v24, v9
	v_add_u32_e32 v77, v76, v7
	v_sub_u32_e32 v10, v10, v8
	v_add_u32_e32 v1, v1, v6
	v_addc_co_u32_e32 v25, vcc, 0, v25, vcc
	v_add_u32_e32 v36, v77, v36
	v_and_b32_e32 v38, 1, v38
	v_add_u32_e32 v77, v10, v1
	v_and_b32_e32 v37, 1, v37
	v_sub_u32_e32 v77, v36, v77
	v_cmp_eq_u32_e32 vcc, 1, v38
	v_cndmask_b32_e32 v1, v77, v1, vcc
	v_cmp_eq_u32_e32 vcc, 1, v37
	v_cndmask_b32_e32 v1, v1, v10, vcc
	v_lshlrev_b32_e32 v1, 2, v1
	ds_write_b32 v1, v22
	v_sub_u32_e32 v1, v11, v8
	v_sub_u32_e32 v11, v26, v9
	v_add_u32_e32 v11, v11, v6
	v_add_u32_e32 v26, v11, v1
	v_and_b32_e32 v22, 1, v40
	v_sub_u32_e32 v26, v36, v26
	v_and_b32_e32 v10, 1, v39
	v_add_u32_e32 v26, 1, v26
	v_cmp_eq_u32_e32 vcc, 1, v22
	v_cndmask_b32_e32 v11, v26, v11, vcc
	v_cmp_eq_u32_e32 vcc, 1, v10
	v_cndmask_b32_e32 v1, v11, v1, vcc
	v_lshlrev_b32_e32 v1, 2, v1
	v_sub_u32_e32 v11, v27, v9
	ds_write_b32 v1, v23
	v_sub_u32_e32 v1, v28, v8
	v_add_u32_e32 v11, v11, v6
	v_add_u32_e32 v23, v11, v1
	v_and_b32_e32 v22, 1, v42
	v_sub_u32_e32 v23, v36, v23
	v_and_b32_e32 v10, 1, v41
	v_add_u32_e32 v23, 2, v23
	v_cmp_eq_u32_e32 vcc, 1, v22
	v_cndmask_b32_e32 v11, v23, v11, vcc
	v_cmp_eq_u32_e32 vcc, 1, v10
	v_cndmask_b32_e32 v1, v11, v1, vcc
	v_lshlrev_b32_e32 v1, 2, v1
	v_sub_u32_e32 v11, v30, v9
	ds_write_b32 v1, v20
	;; [unrolled: 14-line block ×8, first 2 shown]
	v_sub_u32_e32 v1, v70, v8
	v_add_u32_e32 v11, v11, v6
	v_add_u32_e32 v16, v1, v11
	v_and_b32_e32 v14, 1, v55
	v_sub_u32_e32 v16, v36, v16
	v_and_b32_e32 v10, 1, v56
	v_add_u32_e32 v16, 9, v16
	v_cmp_eq_u32_e32 vcc, 1, v14
	v_cndmask_b32_e32 v11, v16, v11, vcc
	v_cmp_eq_u32_e32 vcc, 1, v10
	v_add_u32_e32 v72, v71, v83
	v_cndmask_b32_e32 v1, v11, v1, vcc
	v_lshlrev_b32_e32 v1, 2, v1
	v_sub_u32_e32 v11, v72, v9
	ds_write_b32 v1, v15
	v_sub_u32_e32 v1, v65, v8
	v_add_u32_e32 v11, v11, v6
	v_add_u32_e32 v15, v1, v11
	v_and_b32_e32 v14, 1, v57
	v_sub_u32_e32 v15, v36, v15
	v_and_b32_e32 v10, 1, v58
	v_add_u32_e32 v15, 10, v15
	v_cmp_eq_u32_e32 vcc, 1, v14
	v_cndmask_b32_e32 v11, v15, v11, vcc
	v_cmp_eq_u32_e32 vcc, 1, v10
	v_add_u32_e32 v74, v72, v78
	v_cndmask_b32_e32 v1, v11, v1, vcc
	v_lshlrev_b32_e32 v1, 2, v1
	v_sub_u32_e32 v11, v74, v9
	ds_write_b32 v1, v12
	v_sub_u32_e32 v1, v73, v8
	v_add_u32_e32 v11, v11, v6
	v_add_u32_e32 v14, v1, v11
	v_and_b32_e32 v12, 1, v59
	v_sub_u32_e32 v14, v36, v14
	v_and_b32_e32 v10, 1, v60
	v_add_u32_e32 v14, 11, v14
	v_cmp_eq_u32_e32 vcc, 1, v12
	v_cndmask_b32_e32 v11, v14, v11, vcc
	v_cmp_eq_u32_e32 vcc, 1, v10
	v_cndmask_b32_e32 v1, v11, v1, vcc
	v_add_u32_e32 v75, v74, v84
	v_add_u32_e32 v66, v73, v66
	v_lshlrev_b32_e32 v1, 2, v1
	ds_write_b32 v1, v13
	v_sub_u32_e32 v1, v66, v8
	v_sub_u32_e32 v8, v75, v9
	v_add_u32_e32 v8, v8, v6
	v_add_u32_e32 v10, v1, v8
	v_sub_u32_e32 v10, v36, v10
	v_add_u32_e32 v10, 12, v10
	v_cndmask_b32_e64 v8, v10, v8, s[54:55]
	v_cndmask_b32_e64 v1, v8, v1, s[52:53]
	v_lshlrev_b32_e32 v1, 2, v1
	ds_write_b32 v1, v35
	v_mov_b32_e32 v1, s49
	v_add_co_u32_e32 v8, vcc, s48, v34
	v_addc_co_u32_e32 v10, vcc, 0, v1, vcc
	v_add_co_u32_e32 v1, vcc, v7, v76
	v_addc_co_u32_e64 v11, s[4:5], 0, 0, vcc
	v_add_co_u32_e32 v1, vcc, v1, v24
	v_addc_co_u32_e32 v11, vcc, v11, v25, vcc
	v_add_co_u32_e32 v1, vcc, v1, v2
	v_addc_co_u32_e32 v11, vcc, v11, v3, vcc
	v_sub_co_u32_e32 v1, vcc, v8, v1
	v_subb_co_u32_e32 v8, vcc, v10, v11, vcc
	v_lshlrev_b64 v[10:11], 2, v[24:25]
	v_mov_b32_e32 v12, s47
	v_add_co_u32_e32 v10, vcc, s46, v10
	v_addc_co_u32_e32 v11, vcc, v12, v11, vcc
	v_lshlrev_b64 v[12:13], 2, v[2:3]
	v_mov_b32_e32 v15, s45
	v_add_co_u32_e32 v12, vcc, s44, v12
	s_add_u32 s8, s34, -4
	v_addc_co_u32_e32 v13, vcc, v15, v13, vcc
	s_addc_u32 s9, s35, -1
	v_add_u32_e32 v14, v6, v7
	s_and_b64 vcc, exec, s[2:3]
	s_mov_b64 s[2:3], -1
	s_waitcnt lgkmcnt(0)
	s_barrier
	s_cbranch_vccz .LBB1476_137
; %bb.134:
	s_and_b64 vcc, exec, s[2:3]
	s_cbranch_vccnz .LBB1476_242
.LBB1476_135:
	s_and_b64 s[0:1], s[0:1], s[30:31]
	s_and_saveexec_b64 s[2:3], s[0:1]
	s_cbranch_execnz .LBB1476_360
.LBB1476_136:
	s_endpgm
.LBB1476_137:
	v_cmp_le_u32_e32 vcc, v6, v0
	s_and_saveexec_b64 s[2:3], vcc
	s_xor_b64 s[2:3], exec, s[2:3]
	s_cbranch_execz .LBB1476_143
; %bb.138:
	v_cmp_le_u32_e32 vcc, v14, v0
	s_and_saveexec_b64 s[4:5], vcc
	s_xor_b64 s[4:5], exec, s[4:5]
	s_cbranch_execz .LBB1476_140
; %bb.139:
	v_lshlrev_b32_e32 v15, 2, v0
	v_add_co_u32_e32 v16, vcc, v1, v0
	ds_read_b32 v15, v15
	v_addc_co_u32_e32 v17, vcc, 0, v8, vcc
	v_lshlrev_b64 v[16:17], 2, v[16:17]
	v_mov_b32_e32 v18, s35
	v_sub_co_u32_e32 v16, vcc, s34, v16
	v_subb_co_u32_e32 v17, vcc, v18, v17, vcc
	s_waitcnt lgkmcnt(0)
	global_store_dword v[16:17], v15, off offset:-4
.LBB1476_140:
	s_andn2_saveexec_b64 s[4:5], s[4:5]
	s_cbranch_execz .LBB1476_142
; %bb.141:
	v_lshlrev_b32_e32 v15, 2, v0
	ds_read_b32 v16, v15
	v_readfirstlane_b32 s6, v10
	v_readfirstlane_b32 s7, v11
	s_waitcnt lgkmcnt(0)
	s_nop 3
	global_store_dword v15, v16, s[6:7]
.LBB1476_142:
	s_or_b64 exec, exec, s[4:5]
.LBB1476_143:
	s_andn2_saveexec_b64 s[2:3], s[2:3]
	s_cbranch_execz .LBB1476_145
; %bb.144:
	v_lshlrev_b32_e32 v15, 2, v0
	ds_read_b32 v16, v15
	v_readfirstlane_b32 s4, v12
	v_readfirstlane_b32 s5, v13
	s_waitcnt lgkmcnt(0)
	s_nop 3
	global_store_dword v15, v16, s[4:5]
.LBB1476_145:
	s_or_b64 exec, exec, s[2:3]
	v_or_b32_e32 v15, 0x100, v0
	v_cmp_le_u32_e32 vcc, v6, v15
	s_and_saveexec_b64 s[2:3], vcc
	s_xor_b64 s[2:3], exec, s[2:3]
	s_cbranch_execz .LBB1476_151
; %bb.146:
	v_cmp_le_u32_e32 vcc, v14, v15
	s_and_saveexec_b64 s[4:5], vcc
	s_xor_b64 s[4:5], exec, s[4:5]
	s_cbranch_execz .LBB1476_148
; %bb.147:
	v_lshlrev_b32_e32 v15, 2, v0
	ds_read_b32 v15, v15 offset:1024
	v_add_co_u32_e32 v16, vcc, v1, v0
	v_addc_co_u32_e32 v17, vcc, 0, v8, vcc
	v_lshlrev_b64 v[16:17], 2, v[16:17]
	v_mov_b32_e32 v18, s9
	v_sub_co_u32_e32 v16, vcc, s8, v16
	v_subb_co_u32_e32 v17, vcc, v18, v17, vcc
	s_waitcnt lgkmcnt(0)
	global_store_dword v[16:17], v15, off offset:-1024
.LBB1476_148:
	s_andn2_saveexec_b64 s[4:5], s[4:5]
	s_cbranch_execz .LBB1476_150
; %bb.149:
	v_lshlrev_b32_e32 v15, 2, v0
	ds_read_b32 v16, v15 offset:1024
	v_readfirstlane_b32 s6, v10
	v_readfirstlane_b32 s7, v11
	s_waitcnt lgkmcnt(0)
	s_nop 3
	global_store_dword v15, v16, s[6:7] offset:1024
.LBB1476_150:
	s_or_b64 exec, exec, s[4:5]
.LBB1476_151:
	s_andn2_saveexec_b64 s[2:3], s[2:3]
	s_cbranch_execz .LBB1476_153
; %bb.152:
	v_lshlrev_b32_e32 v15, 2, v0
	ds_read_b32 v16, v15 offset:1024
	v_readfirstlane_b32 s4, v12
	v_readfirstlane_b32 s5, v13
	s_waitcnt lgkmcnt(0)
	s_nop 3
	global_store_dword v15, v16, s[4:5] offset:1024
.LBB1476_153:
	s_or_b64 exec, exec, s[2:3]
	v_or_b32_e32 v15, 0x200, v0
	v_cmp_le_u32_e32 vcc, v6, v15
	s_and_saveexec_b64 s[2:3], vcc
	s_xor_b64 s[2:3], exec, s[2:3]
	s_cbranch_execz .LBB1476_159
; %bb.154:
	v_cmp_le_u32_e32 vcc, v14, v15
	s_and_saveexec_b64 s[4:5], vcc
	s_xor_b64 s[4:5], exec, s[4:5]
	s_cbranch_execz .LBB1476_156
; %bb.155:
	v_lshlrev_b32_e32 v15, 2, v0
	ds_read_b32 v15, v15 offset:2048
	v_add_co_u32_e32 v16, vcc, v1, v0
	v_addc_co_u32_e32 v17, vcc, 0, v8, vcc
	v_lshlrev_b64 v[16:17], 2, v[16:17]
	v_mov_b32_e32 v18, s9
	v_sub_co_u32_e32 v16, vcc, s8, v16
	v_subb_co_u32_e32 v17, vcc, v18, v17, vcc
	s_waitcnt lgkmcnt(0)
	global_store_dword v[16:17], v15, off offset:-2048
.LBB1476_156:
	s_andn2_saveexec_b64 s[4:5], s[4:5]
	s_cbranch_execz .LBB1476_158
; %bb.157:
	v_lshlrev_b32_e32 v15, 2, v0
	ds_read_b32 v16, v15 offset:2048
	v_readfirstlane_b32 s6, v10
	v_readfirstlane_b32 s7, v11
	s_waitcnt lgkmcnt(0)
	s_nop 3
	global_store_dword v15, v16, s[6:7] offset:2048
.LBB1476_158:
	s_or_b64 exec, exec, s[4:5]
.LBB1476_159:
	s_andn2_saveexec_b64 s[2:3], s[2:3]
	s_cbranch_execz .LBB1476_161
; %bb.160:
	v_lshlrev_b32_e32 v15, 2, v0
	ds_read_b32 v16, v15 offset:2048
	v_readfirstlane_b32 s4, v12
	v_readfirstlane_b32 s5, v13
	s_waitcnt lgkmcnt(0)
	s_nop 3
	global_store_dword v15, v16, s[4:5] offset:2048
.LBB1476_161:
	;; [unrolled: 47-line block ×3, first 2 shown]
	s_or_b64 exec, exec, s[2:3]
	v_or_b32_e32 v15, 0x400, v0
	v_cmp_le_u32_e32 vcc, v6, v15
	s_and_saveexec_b64 s[2:3], vcc
	s_xor_b64 s[2:3], exec, s[2:3]
	s_cbranch_execz .LBB1476_175
; %bb.170:
	v_cmp_le_u32_e32 vcc, v14, v15
	s_and_saveexec_b64 s[4:5], vcc
	s_xor_b64 s[4:5], exec, s[4:5]
	s_cbranch_execz .LBB1476_172
; %bb.171:
	v_lshlrev_b32_e32 v15, 2, v0
	ds_read_b32 v15, v15 offset:4096
	v_add_co_u32_e32 v16, vcc, v1, v0
	v_addc_co_u32_e32 v17, vcc, 0, v8, vcc
	v_lshlrev_b64 v[16:17], 2, v[16:17]
	v_mov_b32_e32 v18, s9
	v_sub_co_u32_e32 v16, vcc, s8, v16
	v_subb_co_u32_e32 v17, vcc, v18, v17, vcc
	s_waitcnt lgkmcnt(0)
	global_store_dword v[16:17], v15, off offset:-4096
                                        ; implicit-def: $vgpr15
.LBB1476_172:
	s_andn2_saveexec_b64 s[4:5], s[4:5]
	s_cbranch_execz .LBB1476_174
; %bb.173:
	v_lshlrev_b32_e32 v16, 2, v0
	ds_read_b32 v16, v16 offset:4096
	v_lshlrev_b32_e32 v15, 2, v15
	v_readfirstlane_b32 s6, v10
	v_readfirstlane_b32 s7, v11
	s_waitcnt lgkmcnt(0)
	s_nop 3
	global_store_dword v15, v16, s[6:7]
.LBB1476_174:
	s_or_b64 exec, exec, s[4:5]
                                        ; implicit-def: $vgpr15
.LBB1476_175:
	s_andn2_saveexec_b64 s[2:3], s[2:3]
	s_cbranch_execz .LBB1476_177
; %bb.176:
	v_lshlrev_b32_e32 v16, 2, v0
	ds_read_b32 v16, v16 offset:4096
	v_lshlrev_b32_e32 v15, 2, v15
	v_readfirstlane_b32 s4, v12
	v_readfirstlane_b32 s5, v13
	s_waitcnt lgkmcnt(0)
	s_nop 3
	global_store_dword v15, v16, s[4:5]
.LBB1476_177:
	s_or_b64 exec, exec, s[2:3]
	v_or_b32_e32 v15, 0x500, v0
	v_cmp_le_u32_e32 vcc, v6, v15
	s_and_saveexec_b64 s[2:3], vcc
	s_xor_b64 s[2:3], exec, s[2:3]
	s_cbranch_execz .LBB1476_183
; %bb.178:
	v_cmp_le_u32_e32 vcc, v14, v15
	s_and_saveexec_b64 s[4:5], vcc
	s_xor_b64 s[4:5], exec, s[4:5]
	s_cbranch_execz .LBB1476_180
; %bb.179:
	v_add_co_u32_e32 v16, vcc, v1, v15
	v_lshlrev_b32_e32 v15, 2, v0
	ds_read_b32 v15, v15 offset:5120
	v_addc_co_u32_e32 v17, vcc, 0, v8, vcc
	v_lshlrev_b64 v[16:17], 2, v[16:17]
	v_mov_b32_e32 v18, s9
	v_sub_co_u32_e32 v16, vcc, s8, v16
	v_subb_co_u32_e32 v17, vcc, v18, v17, vcc
	s_waitcnt lgkmcnt(0)
	global_store_dword v[16:17], v15, off
                                        ; implicit-def: $vgpr15
.LBB1476_180:
	s_andn2_saveexec_b64 s[4:5], s[4:5]
	s_cbranch_execz .LBB1476_182
; %bb.181:
	v_lshlrev_b32_e32 v16, 2, v0
	ds_read_b32 v16, v16 offset:5120
	v_lshlrev_b32_e32 v15, 2, v15
	v_readfirstlane_b32 s6, v10
	v_readfirstlane_b32 s7, v11
	s_waitcnt lgkmcnt(0)
	s_nop 3
	global_store_dword v15, v16, s[6:7]
.LBB1476_182:
	s_or_b64 exec, exec, s[4:5]
                                        ; implicit-def: $vgpr15
.LBB1476_183:
	s_andn2_saveexec_b64 s[2:3], s[2:3]
	s_cbranch_execz .LBB1476_185
; %bb.184:
	v_lshlrev_b32_e32 v16, 2, v0
	ds_read_b32 v16, v16 offset:5120
	v_lshlrev_b32_e32 v15, 2, v15
	v_readfirstlane_b32 s4, v12
	v_readfirstlane_b32 s5, v13
	s_waitcnt lgkmcnt(0)
	s_nop 3
	global_store_dword v15, v16, s[4:5]
.LBB1476_185:
	s_or_b64 exec, exec, s[2:3]
	v_or_b32_e32 v15, 0x600, v0
	v_cmp_le_u32_e32 vcc, v6, v15
	s_and_saveexec_b64 s[2:3], vcc
	s_xor_b64 s[2:3], exec, s[2:3]
	s_cbranch_execz .LBB1476_191
; %bb.186:
	v_cmp_le_u32_e32 vcc, v14, v15
	s_and_saveexec_b64 s[4:5], vcc
	s_xor_b64 s[4:5], exec, s[4:5]
	s_cbranch_execz .LBB1476_188
; %bb.187:
	v_add_co_u32_e32 v16, vcc, v1, v15
	v_lshlrev_b32_e32 v15, 2, v0
	ds_read_b32 v15, v15 offset:6144
	v_addc_co_u32_e32 v17, vcc, 0, v8, vcc
	v_lshlrev_b64 v[16:17], 2, v[16:17]
	v_mov_b32_e32 v18, s9
	v_sub_co_u32_e32 v16, vcc, s8, v16
	v_subb_co_u32_e32 v17, vcc, v18, v17, vcc
	s_waitcnt lgkmcnt(0)
	global_store_dword v[16:17], v15, off
                                        ; implicit-def: $vgpr15
.LBB1476_188:
	s_andn2_saveexec_b64 s[4:5], s[4:5]
	s_cbranch_execz .LBB1476_190
; %bb.189:
	v_lshlrev_b32_e32 v16, 2, v0
	ds_read_b32 v16, v16 offset:6144
	v_lshlrev_b32_e32 v15, 2, v15
	v_readfirstlane_b32 s6, v10
	v_readfirstlane_b32 s7, v11
	s_waitcnt lgkmcnt(0)
	s_nop 3
	global_store_dword v15, v16, s[6:7]
.LBB1476_190:
	s_or_b64 exec, exec, s[4:5]
                                        ; implicit-def: $vgpr15
.LBB1476_191:
	;; [unrolled: 51-line block ×8, first 2 shown]
	s_andn2_saveexec_b64 s[2:3], s[2:3]
	s_cbranch_execz .LBB1476_241
; %bb.240:
	v_lshlrev_b32_e32 v16, 2, v0
	ds_read_b32 v16, v16 offset:12288
	v_lshlrev_b32_e32 v15, 2, v15
	v_readfirstlane_b32 s4, v12
	v_readfirstlane_b32 s5, v13
	s_waitcnt lgkmcnt(0)
	s_nop 3
	global_store_dword v15, v16, s[4:5]
.LBB1476_241:
	s_or_b64 exec, exec, s[2:3]
	s_branch .LBB1476_135
.LBB1476_242:
	v_cmp_gt_u32_e32 vcc, s16, v0
	s_and_saveexec_b64 s[2:3], vcc
	s_cbranch_execz .LBB1476_251
; %bb.243:
	v_cmp_le_u32_e32 vcc, v6, v0
	s_and_saveexec_b64 s[4:5], vcc
	s_xor_b64 s[4:5], exec, s[4:5]
	s_cbranch_execz .LBB1476_249
; %bb.244:
	v_cmp_le_u32_e32 vcc, v14, v0
	s_and_saveexec_b64 s[6:7], vcc
	s_xor_b64 s[6:7], exec, s[6:7]
	s_cbranch_execz .LBB1476_246
; %bb.245:
	v_lshlrev_b32_e32 v15, 2, v0
	v_add_co_u32_e32 v16, vcc, v1, v0
	ds_read_b32 v15, v15
	v_addc_co_u32_e32 v17, vcc, 0, v8, vcc
	v_lshlrev_b64 v[16:17], 2, v[16:17]
	v_mov_b32_e32 v18, s35
	v_sub_co_u32_e32 v16, vcc, s34, v16
	v_subb_co_u32_e32 v17, vcc, v18, v17, vcc
	s_waitcnt lgkmcnt(0)
	global_store_dword v[16:17], v15, off offset:-4
.LBB1476_246:
	s_andn2_saveexec_b64 s[6:7], s[6:7]
	s_cbranch_execz .LBB1476_248
; %bb.247:
	v_lshlrev_b32_e32 v15, 2, v0
	ds_read_b32 v16, v15
	v_readfirstlane_b32 s10, v10
	v_readfirstlane_b32 s11, v11
	s_waitcnt lgkmcnt(0)
	s_nop 3
	global_store_dword v15, v16, s[10:11]
.LBB1476_248:
	s_or_b64 exec, exec, s[6:7]
.LBB1476_249:
	s_andn2_saveexec_b64 s[4:5], s[4:5]
	s_cbranch_execz .LBB1476_251
; %bb.250:
	v_lshlrev_b32_e32 v15, 2, v0
	ds_read_b32 v16, v15
	v_readfirstlane_b32 s4, v12
	v_readfirstlane_b32 s5, v13
	s_waitcnt lgkmcnt(0)
	s_nop 3
	global_store_dword v15, v16, s[4:5]
.LBB1476_251:
	s_or_b64 exec, exec, s[2:3]
	v_or_b32_e32 v15, 0x100, v0
	v_cmp_gt_u32_e32 vcc, s16, v15
	s_and_saveexec_b64 s[2:3], vcc
	s_cbranch_execz .LBB1476_260
; %bb.252:
	v_cmp_le_u32_e32 vcc, v6, v15
	s_and_saveexec_b64 s[4:5], vcc
	s_xor_b64 s[4:5], exec, s[4:5]
	s_cbranch_execz .LBB1476_258
; %bb.253:
	v_cmp_le_u32_e32 vcc, v14, v15
	s_and_saveexec_b64 s[6:7], vcc
	s_xor_b64 s[6:7], exec, s[6:7]
	s_cbranch_execz .LBB1476_255
; %bb.254:
	v_lshlrev_b32_e32 v15, 2, v0
	ds_read_b32 v15, v15 offset:1024
	v_add_co_u32_e32 v16, vcc, v1, v0
	v_addc_co_u32_e32 v17, vcc, 0, v8, vcc
	v_lshlrev_b64 v[16:17], 2, v[16:17]
	v_mov_b32_e32 v18, s9
	v_sub_co_u32_e32 v16, vcc, s8, v16
	v_subb_co_u32_e32 v17, vcc, v18, v17, vcc
	s_waitcnt lgkmcnt(0)
	global_store_dword v[16:17], v15, off offset:-1024
.LBB1476_255:
	s_andn2_saveexec_b64 s[6:7], s[6:7]
	s_cbranch_execz .LBB1476_257
; %bb.256:
	v_lshlrev_b32_e32 v15, 2, v0
	ds_read_b32 v16, v15 offset:1024
	v_readfirstlane_b32 s10, v10
	v_readfirstlane_b32 s11, v11
	s_waitcnt lgkmcnt(0)
	s_nop 3
	global_store_dword v15, v16, s[10:11] offset:1024
.LBB1476_257:
	s_or_b64 exec, exec, s[6:7]
.LBB1476_258:
	s_andn2_saveexec_b64 s[4:5], s[4:5]
	s_cbranch_execz .LBB1476_260
; %bb.259:
	v_lshlrev_b32_e32 v15, 2, v0
	ds_read_b32 v16, v15 offset:1024
	v_readfirstlane_b32 s4, v12
	v_readfirstlane_b32 s5, v13
	s_waitcnt lgkmcnt(0)
	s_nop 3
	global_store_dword v15, v16, s[4:5] offset:1024
.LBB1476_260:
	s_or_b64 exec, exec, s[2:3]
	v_or_b32_e32 v15, 0x200, v0
	v_cmp_gt_u32_e32 vcc, s16, v15
	s_and_saveexec_b64 s[2:3], vcc
	s_cbranch_execz .LBB1476_269
; %bb.261:
	v_cmp_le_u32_e32 vcc, v6, v15
	s_and_saveexec_b64 s[4:5], vcc
	s_xor_b64 s[4:5], exec, s[4:5]
	s_cbranch_execz .LBB1476_267
; %bb.262:
	v_cmp_le_u32_e32 vcc, v14, v15
	s_and_saveexec_b64 s[6:7], vcc
	s_xor_b64 s[6:7], exec, s[6:7]
	s_cbranch_execz .LBB1476_264
; %bb.263:
	v_lshlrev_b32_e32 v15, 2, v0
	ds_read_b32 v15, v15 offset:2048
	v_add_co_u32_e32 v16, vcc, v1, v0
	v_addc_co_u32_e32 v17, vcc, 0, v8, vcc
	v_lshlrev_b64 v[16:17], 2, v[16:17]
	v_mov_b32_e32 v18, s9
	v_sub_co_u32_e32 v16, vcc, s8, v16
	v_subb_co_u32_e32 v17, vcc, v18, v17, vcc
	s_waitcnt lgkmcnt(0)
	global_store_dword v[16:17], v15, off offset:-2048
.LBB1476_264:
	s_andn2_saveexec_b64 s[6:7], s[6:7]
	s_cbranch_execz .LBB1476_266
; %bb.265:
	v_lshlrev_b32_e32 v15, 2, v0
	ds_read_b32 v16, v15 offset:2048
	v_readfirstlane_b32 s10, v10
	v_readfirstlane_b32 s11, v11
	s_waitcnt lgkmcnt(0)
	s_nop 3
	global_store_dword v15, v16, s[10:11] offset:2048
.LBB1476_266:
	s_or_b64 exec, exec, s[6:7]
.LBB1476_267:
	s_andn2_saveexec_b64 s[4:5], s[4:5]
	s_cbranch_execz .LBB1476_269
; %bb.268:
	v_lshlrev_b32_e32 v15, 2, v0
	ds_read_b32 v16, v15 offset:2048
	v_readfirstlane_b32 s4, v12
	v_readfirstlane_b32 s5, v13
	s_waitcnt lgkmcnt(0)
	s_nop 3
	global_store_dword v15, v16, s[4:5] offset:2048
.LBB1476_269:
	;; [unrolled: 51-line block ×3, first 2 shown]
	s_or_b64 exec, exec, s[2:3]
	v_or_b32_e32 v15, 0x400, v0
	v_cmp_gt_u32_e32 vcc, s16, v15
	s_and_saveexec_b64 s[2:3], vcc
	s_cbranch_execz .LBB1476_287
; %bb.279:
	v_cmp_le_u32_e32 vcc, v6, v15
	s_and_saveexec_b64 s[4:5], vcc
	s_xor_b64 s[4:5], exec, s[4:5]
	s_cbranch_execz .LBB1476_285
; %bb.280:
	v_cmp_le_u32_e32 vcc, v14, v15
	s_and_saveexec_b64 s[6:7], vcc
	s_xor_b64 s[6:7], exec, s[6:7]
	s_cbranch_execz .LBB1476_282
; %bb.281:
	v_lshlrev_b32_e32 v15, 2, v0
	ds_read_b32 v15, v15 offset:4096
	v_add_co_u32_e32 v16, vcc, v1, v0
	v_addc_co_u32_e32 v17, vcc, 0, v8, vcc
	v_lshlrev_b64 v[16:17], 2, v[16:17]
	v_mov_b32_e32 v18, s9
	v_sub_co_u32_e32 v16, vcc, s8, v16
	v_subb_co_u32_e32 v17, vcc, v18, v17, vcc
	s_waitcnt lgkmcnt(0)
	global_store_dword v[16:17], v15, off offset:-4096
                                        ; implicit-def: $vgpr15
.LBB1476_282:
	s_andn2_saveexec_b64 s[6:7], s[6:7]
	s_cbranch_execz .LBB1476_284
; %bb.283:
	v_lshlrev_b32_e32 v16, 2, v0
	ds_read_b32 v16, v16 offset:4096
	v_lshlrev_b32_e32 v15, 2, v15
	v_readfirstlane_b32 s10, v10
	v_readfirstlane_b32 s11, v11
	s_waitcnt lgkmcnt(0)
	s_nop 3
	global_store_dword v15, v16, s[10:11]
.LBB1476_284:
	s_or_b64 exec, exec, s[6:7]
                                        ; implicit-def: $vgpr15
.LBB1476_285:
	s_andn2_saveexec_b64 s[4:5], s[4:5]
	s_cbranch_execz .LBB1476_287
; %bb.286:
	v_lshlrev_b32_e32 v16, 2, v0
	ds_read_b32 v16, v16 offset:4096
	v_lshlrev_b32_e32 v15, 2, v15
	v_readfirstlane_b32 s4, v12
	v_readfirstlane_b32 s5, v13
	s_waitcnt lgkmcnt(0)
	s_nop 3
	global_store_dword v15, v16, s[4:5]
.LBB1476_287:
	s_or_b64 exec, exec, s[2:3]
	v_or_b32_e32 v15, 0x500, v0
	v_cmp_gt_u32_e32 vcc, s16, v15
	s_and_saveexec_b64 s[2:3], vcc
	s_cbranch_execz .LBB1476_296
; %bb.288:
	v_cmp_le_u32_e32 vcc, v6, v15
	s_and_saveexec_b64 s[4:5], vcc
	s_xor_b64 s[4:5], exec, s[4:5]
	s_cbranch_execz .LBB1476_294
; %bb.289:
	v_cmp_le_u32_e32 vcc, v14, v15
	s_and_saveexec_b64 s[6:7], vcc
	s_xor_b64 s[6:7], exec, s[6:7]
	s_cbranch_execz .LBB1476_291
; %bb.290:
	v_add_co_u32_e32 v16, vcc, v1, v15
	v_lshlrev_b32_e32 v15, 2, v0
	ds_read_b32 v15, v15 offset:5120
	v_addc_co_u32_e32 v17, vcc, 0, v8, vcc
	v_lshlrev_b64 v[16:17], 2, v[16:17]
	v_mov_b32_e32 v18, s9
	v_sub_co_u32_e32 v16, vcc, s8, v16
	v_subb_co_u32_e32 v17, vcc, v18, v17, vcc
	s_waitcnt lgkmcnt(0)
	global_store_dword v[16:17], v15, off
                                        ; implicit-def: $vgpr15
.LBB1476_291:
	s_andn2_saveexec_b64 s[6:7], s[6:7]
	s_cbranch_execz .LBB1476_293
; %bb.292:
	v_lshlrev_b32_e32 v16, 2, v0
	ds_read_b32 v16, v16 offset:5120
	v_lshlrev_b32_e32 v15, 2, v15
	v_readfirstlane_b32 s10, v10
	v_readfirstlane_b32 s11, v11
	s_waitcnt lgkmcnt(0)
	s_nop 3
	global_store_dword v15, v16, s[10:11]
.LBB1476_293:
	s_or_b64 exec, exec, s[6:7]
                                        ; implicit-def: $vgpr15
.LBB1476_294:
	s_andn2_saveexec_b64 s[4:5], s[4:5]
	s_cbranch_execz .LBB1476_296
; %bb.295:
	v_lshlrev_b32_e32 v16, 2, v0
	ds_read_b32 v16, v16 offset:5120
	v_lshlrev_b32_e32 v15, 2, v15
	v_readfirstlane_b32 s4, v12
	v_readfirstlane_b32 s5, v13
	s_waitcnt lgkmcnt(0)
	s_nop 3
	global_store_dword v15, v16, s[4:5]
.LBB1476_296:
	s_or_b64 exec, exec, s[2:3]
	v_or_b32_e32 v15, 0x600, v0
	v_cmp_gt_u32_e32 vcc, s16, v15
	s_and_saveexec_b64 s[2:3], vcc
	s_cbranch_execz .LBB1476_305
; %bb.297:
	v_cmp_le_u32_e32 vcc, v6, v15
	s_and_saveexec_b64 s[4:5], vcc
	s_xor_b64 s[4:5], exec, s[4:5]
	s_cbranch_execz .LBB1476_303
; %bb.298:
	v_cmp_le_u32_e32 vcc, v14, v15
	s_and_saveexec_b64 s[6:7], vcc
	s_xor_b64 s[6:7], exec, s[6:7]
	s_cbranch_execz .LBB1476_300
; %bb.299:
	v_add_co_u32_e32 v16, vcc, v1, v15
	v_lshlrev_b32_e32 v15, 2, v0
	ds_read_b32 v15, v15 offset:6144
	v_addc_co_u32_e32 v17, vcc, 0, v8, vcc
	v_lshlrev_b64 v[16:17], 2, v[16:17]
	v_mov_b32_e32 v18, s9
	v_sub_co_u32_e32 v16, vcc, s8, v16
	v_subb_co_u32_e32 v17, vcc, v18, v17, vcc
	s_waitcnt lgkmcnt(0)
	global_store_dword v[16:17], v15, off
                                        ; implicit-def: $vgpr15
.LBB1476_300:
	s_andn2_saveexec_b64 s[6:7], s[6:7]
	s_cbranch_execz .LBB1476_302
; %bb.301:
	v_lshlrev_b32_e32 v16, 2, v0
	ds_read_b32 v16, v16 offset:6144
	v_lshlrev_b32_e32 v15, 2, v15
	v_readfirstlane_b32 s10, v10
	v_readfirstlane_b32 s11, v11
	s_waitcnt lgkmcnt(0)
	s_nop 3
	global_store_dword v15, v16, s[10:11]
.LBB1476_302:
	s_or_b64 exec, exec, s[6:7]
                                        ; implicit-def: $vgpr15
.LBB1476_303:
	s_andn2_saveexec_b64 s[4:5], s[4:5]
	s_cbranch_execz .LBB1476_305
; %bb.304:
	v_lshlrev_b32_e32 v16, 2, v0
	ds_read_b32 v16, v16 offset:6144
	v_lshlrev_b32_e32 v15, 2, v15
	v_readfirstlane_b32 s4, v12
	v_readfirstlane_b32 s5, v13
	s_waitcnt lgkmcnt(0)
	s_nop 3
	global_store_dword v15, v16, s[4:5]
.LBB1476_305:
	;; [unrolled: 55-line block ×7, first 2 shown]
	s_or_b64 exec, exec, s[2:3]
	v_or_b32_e32 v15, 0xc00, v0
	v_cmp_gt_u32_e32 vcc, s16, v15
	s_and_saveexec_b64 s[2:3], vcc
	s_cbranch_execz .LBB1476_359
; %bb.351:
	v_cmp_le_u32_e32 vcc, v6, v15
	s_and_saveexec_b64 s[4:5], vcc
	s_xor_b64 s[4:5], exec, s[4:5]
	s_cbranch_execz .LBB1476_357
; %bb.352:
	v_cmp_le_u32_e32 vcc, v14, v15
	s_and_saveexec_b64 s[6:7], vcc
	s_xor_b64 s[6:7], exec, s[6:7]
	s_cbranch_execz .LBB1476_354
; %bb.353:
	v_add_co_u32_e32 v10, vcc, v1, v15
	v_lshlrev_b32_e32 v0, 2, v0
	v_addc_co_u32_e32 v11, vcc, 0, v8, vcc
	ds_read_b32 v8, v0 offset:12288
	v_lshlrev_b64 v[0:1], 2, v[10:11]
	v_mov_b32_e32 v10, s9
	v_sub_co_u32_e32 v0, vcc, s8, v0
	v_subb_co_u32_e32 v1, vcc, v10, v1, vcc
	s_waitcnt lgkmcnt(0)
	global_store_dword v[0:1], v8, off
                                        ; implicit-def: $vgpr0
                                        ; implicit-def: $vgpr15
                                        ; implicit-def: $vgpr10_vgpr11
.LBB1476_354:
	s_andn2_saveexec_b64 s[6:7], s[6:7]
	s_cbranch_execz .LBB1476_356
; %bb.355:
	v_lshlrev_b32_e32 v0, 2, v0
	ds_read_b32 v0, v0 offset:12288
	v_lshlrev_b32_e32 v1, 2, v15
	v_readfirstlane_b32 s8, v10
	v_readfirstlane_b32 s9, v11
	s_waitcnt lgkmcnt(0)
	s_nop 3
	global_store_dword v1, v0, s[8:9]
.LBB1476_356:
	s_or_b64 exec, exec, s[6:7]
                                        ; implicit-def: $vgpr0
                                        ; implicit-def: $vgpr15
                                        ; implicit-def: $vgpr12_vgpr13
.LBB1476_357:
	s_andn2_saveexec_b64 s[4:5], s[4:5]
	s_cbranch_execz .LBB1476_359
; %bb.358:
	v_lshlrev_b32_e32 v0, 2, v0
	ds_read_b32 v0, v0 offset:12288
	v_lshlrev_b32_e32 v1, 2, v15
	v_readfirstlane_b32 s4, v12
	v_readfirstlane_b32 s5, v13
	s_waitcnt lgkmcnt(0)
	s_nop 3
	global_store_dword v1, v0, s[4:5]
.LBB1476_359:
	s_or_b64 exec, exec, s[2:3]
	s_and_b64 s[0:1], s[0:1], s[30:31]
	s_and_saveexec_b64 s[2:3], s[0:1]
	s_cbranch_execz .LBB1476_136
.LBB1476_360:
	v_add_co_u32_e32 v0, vcc, v2, v6
	v_addc_co_u32_e32 v1, vcc, 0, v3, vcc
	v_add_co_u32_e32 v2, vcc, v4, v7
	v_addc_co_u32_e32 v3, vcc, 0, v5, vcc
	v_add_co_u32_e32 v2, vcc, v2, v9
	v_mov_b32_e32 v8, 0
	v_addc_co_u32_e32 v3, vcc, 0, v3, vcc
	global_store_dwordx4 v8, v[0:3], s[28:29]
	s_endpgm
	.section	.rodata,"a",@progbits
	.p2align	6, 0x0
	.amdhsa_kernel _ZN7rocprim17ROCPRIM_400000_NS6detail17trampoline_kernelINS0_13select_configILj256ELj13ELNS0_17block_load_methodE3ELS4_3ELS4_3ELNS0_20block_scan_algorithmE0ELj4294967295EEENS1_25partition_config_selectorILNS1_17partition_subalgoE4EjNS0_10empty_typeEbEEZZNS1_14partition_implILS8_4ELb0ES6_15HIP_vector_typeIjLj2EENS0_17counting_iteratorIjlEEPS9_SG_NS0_5tupleIJPjSI_NS0_16reverse_iteratorISI_EEEEENSH_IJSG_SG_SG_EEES9_SI_JZNS1_25segmented_radix_sort_implINS0_14default_configELb1EPKbPbPKlPlN2at6native12_GLOBAL__N_18offset_tEEE10hipError_tPvRmT1_PNSt15iterator_traitsIS12_E10value_typeET2_T3_PNS13_IS18_E10value_typeET4_jRbjT5_S1E_jjP12ihipStream_tbEUljE_ZNSN_ISO_Lb1ESQ_SR_ST_SU_SY_EESZ_S10_S11_S12_S16_S17_S18_S1B_S1C_jS1D_jS1E_S1E_jjS1G_bEUljE0_EEESZ_S10_S11_S18_S1C_S1E_T6_T7_T9_mT8_S1G_bDpT10_ENKUlT_T0_E_clISt17integral_constantIbLb1EES1U_EEDaS1P_S1Q_EUlS1P_E_NS1_11comp_targetILNS1_3genE4ELNS1_11target_archE910ELNS1_3gpuE8ELNS1_3repE0EEENS1_30default_config_static_selectorELNS0_4arch9wavefront6targetE1EEEvS12_
		.amdhsa_group_segment_fixed_size 13340
		.amdhsa_private_segment_fixed_size 0
		.amdhsa_kernarg_size 184
		.amdhsa_user_sgpr_count 6
		.amdhsa_user_sgpr_private_segment_buffer 1
		.amdhsa_user_sgpr_dispatch_ptr 0
		.amdhsa_user_sgpr_queue_ptr 0
		.amdhsa_user_sgpr_kernarg_segment_ptr 1
		.amdhsa_user_sgpr_dispatch_id 0
		.amdhsa_user_sgpr_flat_scratch_init 0
		.amdhsa_user_sgpr_kernarg_preload_length 0
		.amdhsa_user_sgpr_kernarg_preload_offset 0
		.amdhsa_user_sgpr_private_segment_size 0
		.amdhsa_uses_dynamic_stack 0
		.amdhsa_system_sgpr_private_segment_wavefront_offset 0
		.amdhsa_system_sgpr_workgroup_id_x 1
		.amdhsa_system_sgpr_workgroup_id_y 0
		.amdhsa_system_sgpr_workgroup_id_z 0
		.amdhsa_system_sgpr_workgroup_info 0
		.amdhsa_system_vgpr_workitem_id 0
		.amdhsa_next_free_vgpr 107
		.amdhsa_next_free_sgpr 87
		.amdhsa_accum_offset 108
		.amdhsa_reserve_vcc 1
		.amdhsa_reserve_flat_scratch 0
		.amdhsa_float_round_mode_32 0
		.amdhsa_float_round_mode_16_64 0
		.amdhsa_float_denorm_mode_32 3
		.amdhsa_float_denorm_mode_16_64 3
		.amdhsa_dx10_clamp 1
		.amdhsa_ieee_mode 1
		.amdhsa_fp16_overflow 0
		.amdhsa_tg_split 0
		.amdhsa_exception_fp_ieee_invalid_op 0
		.amdhsa_exception_fp_denorm_src 0
		.amdhsa_exception_fp_ieee_div_zero 0
		.amdhsa_exception_fp_ieee_overflow 0
		.amdhsa_exception_fp_ieee_underflow 0
		.amdhsa_exception_fp_ieee_inexact 0
		.amdhsa_exception_int_div_zero 0
	.end_amdhsa_kernel
	.section	.text._ZN7rocprim17ROCPRIM_400000_NS6detail17trampoline_kernelINS0_13select_configILj256ELj13ELNS0_17block_load_methodE3ELS4_3ELS4_3ELNS0_20block_scan_algorithmE0ELj4294967295EEENS1_25partition_config_selectorILNS1_17partition_subalgoE4EjNS0_10empty_typeEbEEZZNS1_14partition_implILS8_4ELb0ES6_15HIP_vector_typeIjLj2EENS0_17counting_iteratorIjlEEPS9_SG_NS0_5tupleIJPjSI_NS0_16reverse_iteratorISI_EEEEENSH_IJSG_SG_SG_EEES9_SI_JZNS1_25segmented_radix_sort_implINS0_14default_configELb1EPKbPbPKlPlN2at6native12_GLOBAL__N_18offset_tEEE10hipError_tPvRmT1_PNSt15iterator_traitsIS12_E10value_typeET2_T3_PNS13_IS18_E10value_typeET4_jRbjT5_S1E_jjP12ihipStream_tbEUljE_ZNSN_ISO_Lb1ESQ_SR_ST_SU_SY_EESZ_S10_S11_S12_S16_S17_S18_S1B_S1C_jS1D_jS1E_S1E_jjS1G_bEUljE0_EEESZ_S10_S11_S18_S1C_S1E_T6_T7_T9_mT8_S1G_bDpT10_ENKUlT_T0_E_clISt17integral_constantIbLb1EES1U_EEDaS1P_S1Q_EUlS1P_E_NS1_11comp_targetILNS1_3genE4ELNS1_11target_archE910ELNS1_3gpuE8ELNS1_3repE0EEENS1_30default_config_static_selectorELNS0_4arch9wavefront6targetE1EEEvS12_,"axG",@progbits,_ZN7rocprim17ROCPRIM_400000_NS6detail17trampoline_kernelINS0_13select_configILj256ELj13ELNS0_17block_load_methodE3ELS4_3ELS4_3ELNS0_20block_scan_algorithmE0ELj4294967295EEENS1_25partition_config_selectorILNS1_17partition_subalgoE4EjNS0_10empty_typeEbEEZZNS1_14partition_implILS8_4ELb0ES6_15HIP_vector_typeIjLj2EENS0_17counting_iteratorIjlEEPS9_SG_NS0_5tupleIJPjSI_NS0_16reverse_iteratorISI_EEEEENSH_IJSG_SG_SG_EEES9_SI_JZNS1_25segmented_radix_sort_implINS0_14default_configELb1EPKbPbPKlPlN2at6native12_GLOBAL__N_18offset_tEEE10hipError_tPvRmT1_PNSt15iterator_traitsIS12_E10value_typeET2_T3_PNS13_IS18_E10value_typeET4_jRbjT5_S1E_jjP12ihipStream_tbEUljE_ZNSN_ISO_Lb1ESQ_SR_ST_SU_SY_EESZ_S10_S11_S12_S16_S17_S18_S1B_S1C_jS1D_jS1E_S1E_jjS1G_bEUljE0_EEESZ_S10_S11_S18_S1C_S1E_T6_T7_T9_mT8_S1G_bDpT10_ENKUlT_T0_E_clISt17integral_constantIbLb1EES1U_EEDaS1P_S1Q_EUlS1P_E_NS1_11comp_targetILNS1_3genE4ELNS1_11target_archE910ELNS1_3gpuE8ELNS1_3repE0EEENS1_30default_config_static_selectorELNS0_4arch9wavefront6targetE1EEEvS12_,comdat
.Lfunc_end1476:
	.size	_ZN7rocprim17ROCPRIM_400000_NS6detail17trampoline_kernelINS0_13select_configILj256ELj13ELNS0_17block_load_methodE3ELS4_3ELS4_3ELNS0_20block_scan_algorithmE0ELj4294967295EEENS1_25partition_config_selectorILNS1_17partition_subalgoE4EjNS0_10empty_typeEbEEZZNS1_14partition_implILS8_4ELb0ES6_15HIP_vector_typeIjLj2EENS0_17counting_iteratorIjlEEPS9_SG_NS0_5tupleIJPjSI_NS0_16reverse_iteratorISI_EEEEENSH_IJSG_SG_SG_EEES9_SI_JZNS1_25segmented_radix_sort_implINS0_14default_configELb1EPKbPbPKlPlN2at6native12_GLOBAL__N_18offset_tEEE10hipError_tPvRmT1_PNSt15iterator_traitsIS12_E10value_typeET2_T3_PNS13_IS18_E10value_typeET4_jRbjT5_S1E_jjP12ihipStream_tbEUljE_ZNSN_ISO_Lb1ESQ_SR_ST_SU_SY_EESZ_S10_S11_S12_S16_S17_S18_S1B_S1C_jS1D_jS1E_S1E_jjS1G_bEUljE0_EEESZ_S10_S11_S18_S1C_S1E_T6_T7_T9_mT8_S1G_bDpT10_ENKUlT_T0_E_clISt17integral_constantIbLb1EES1U_EEDaS1P_S1Q_EUlS1P_E_NS1_11comp_targetILNS1_3genE4ELNS1_11target_archE910ELNS1_3gpuE8ELNS1_3repE0EEENS1_30default_config_static_selectorELNS0_4arch9wavefront6targetE1EEEvS12_, .Lfunc_end1476-_ZN7rocprim17ROCPRIM_400000_NS6detail17trampoline_kernelINS0_13select_configILj256ELj13ELNS0_17block_load_methodE3ELS4_3ELS4_3ELNS0_20block_scan_algorithmE0ELj4294967295EEENS1_25partition_config_selectorILNS1_17partition_subalgoE4EjNS0_10empty_typeEbEEZZNS1_14partition_implILS8_4ELb0ES6_15HIP_vector_typeIjLj2EENS0_17counting_iteratorIjlEEPS9_SG_NS0_5tupleIJPjSI_NS0_16reverse_iteratorISI_EEEEENSH_IJSG_SG_SG_EEES9_SI_JZNS1_25segmented_radix_sort_implINS0_14default_configELb1EPKbPbPKlPlN2at6native12_GLOBAL__N_18offset_tEEE10hipError_tPvRmT1_PNSt15iterator_traitsIS12_E10value_typeET2_T3_PNS13_IS18_E10value_typeET4_jRbjT5_S1E_jjP12ihipStream_tbEUljE_ZNSN_ISO_Lb1ESQ_SR_ST_SU_SY_EESZ_S10_S11_S12_S16_S17_S18_S1B_S1C_jS1D_jS1E_S1E_jjS1G_bEUljE0_EEESZ_S10_S11_S18_S1C_S1E_T6_T7_T9_mT8_S1G_bDpT10_ENKUlT_T0_E_clISt17integral_constantIbLb1EES1U_EEDaS1P_S1Q_EUlS1P_E_NS1_11comp_targetILNS1_3genE4ELNS1_11target_archE910ELNS1_3gpuE8ELNS1_3repE0EEENS1_30default_config_static_selectorELNS0_4arch9wavefront6targetE1EEEvS12_
                                        ; -- End function
	.section	.AMDGPU.csdata,"",@progbits
; Kernel info:
; codeLenInByte = 13512
; NumSgprs: 91
; NumVgprs: 107
; NumAgprs: 0
; TotalNumVgprs: 107
; ScratchSize: 0
; MemoryBound: 0
; FloatMode: 240
; IeeeMode: 1
; LDSByteSize: 13340 bytes/workgroup (compile time only)
; SGPRBlocks: 11
; VGPRBlocks: 13
; NumSGPRsForWavesPerEU: 91
; NumVGPRsForWavesPerEU: 107
; AccumOffset: 108
; Occupancy: 4
; WaveLimiterHint : 1
; COMPUTE_PGM_RSRC2:SCRATCH_EN: 0
; COMPUTE_PGM_RSRC2:USER_SGPR: 6
; COMPUTE_PGM_RSRC2:TRAP_HANDLER: 0
; COMPUTE_PGM_RSRC2:TGID_X_EN: 1
; COMPUTE_PGM_RSRC2:TGID_Y_EN: 0
; COMPUTE_PGM_RSRC2:TGID_Z_EN: 0
; COMPUTE_PGM_RSRC2:TIDIG_COMP_CNT: 0
; COMPUTE_PGM_RSRC3_GFX90A:ACCUM_OFFSET: 26
; COMPUTE_PGM_RSRC3_GFX90A:TG_SPLIT: 0
	.section	.text._ZN7rocprim17ROCPRIM_400000_NS6detail17trampoline_kernelINS0_13select_configILj256ELj13ELNS0_17block_load_methodE3ELS4_3ELS4_3ELNS0_20block_scan_algorithmE0ELj4294967295EEENS1_25partition_config_selectorILNS1_17partition_subalgoE4EjNS0_10empty_typeEbEEZZNS1_14partition_implILS8_4ELb0ES6_15HIP_vector_typeIjLj2EENS0_17counting_iteratorIjlEEPS9_SG_NS0_5tupleIJPjSI_NS0_16reverse_iteratorISI_EEEEENSH_IJSG_SG_SG_EEES9_SI_JZNS1_25segmented_radix_sort_implINS0_14default_configELb1EPKbPbPKlPlN2at6native12_GLOBAL__N_18offset_tEEE10hipError_tPvRmT1_PNSt15iterator_traitsIS12_E10value_typeET2_T3_PNS13_IS18_E10value_typeET4_jRbjT5_S1E_jjP12ihipStream_tbEUljE_ZNSN_ISO_Lb1ESQ_SR_ST_SU_SY_EESZ_S10_S11_S12_S16_S17_S18_S1B_S1C_jS1D_jS1E_S1E_jjS1G_bEUljE0_EEESZ_S10_S11_S18_S1C_S1E_T6_T7_T9_mT8_S1G_bDpT10_ENKUlT_T0_E_clISt17integral_constantIbLb1EES1U_EEDaS1P_S1Q_EUlS1P_E_NS1_11comp_targetILNS1_3genE3ELNS1_11target_archE908ELNS1_3gpuE7ELNS1_3repE0EEENS1_30default_config_static_selectorELNS0_4arch9wavefront6targetE1EEEvS12_,"axG",@progbits,_ZN7rocprim17ROCPRIM_400000_NS6detail17trampoline_kernelINS0_13select_configILj256ELj13ELNS0_17block_load_methodE3ELS4_3ELS4_3ELNS0_20block_scan_algorithmE0ELj4294967295EEENS1_25partition_config_selectorILNS1_17partition_subalgoE4EjNS0_10empty_typeEbEEZZNS1_14partition_implILS8_4ELb0ES6_15HIP_vector_typeIjLj2EENS0_17counting_iteratorIjlEEPS9_SG_NS0_5tupleIJPjSI_NS0_16reverse_iteratorISI_EEEEENSH_IJSG_SG_SG_EEES9_SI_JZNS1_25segmented_radix_sort_implINS0_14default_configELb1EPKbPbPKlPlN2at6native12_GLOBAL__N_18offset_tEEE10hipError_tPvRmT1_PNSt15iterator_traitsIS12_E10value_typeET2_T3_PNS13_IS18_E10value_typeET4_jRbjT5_S1E_jjP12ihipStream_tbEUljE_ZNSN_ISO_Lb1ESQ_SR_ST_SU_SY_EESZ_S10_S11_S12_S16_S17_S18_S1B_S1C_jS1D_jS1E_S1E_jjS1G_bEUljE0_EEESZ_S10_S11_S18_S1C_S1E_T6_T7_T9_mT8_S1G_bDpT10_ENKUlT_T0_E_clISt17integral_constantIbLb1EES1U_EEDaS1P_S1Q_EUlS1P_E_NS1_11comp_targetILNS1_3genE3ELNS1_11target_archE908ELNS1_3gpuE7ELNS1_3repE0EEENS1_30default_config_static_selectorELNS0_4arch9wavefront6targetE1EEEvS12_,comdat
	.globl	_ZN7rocprim17ROCPRIM_400000_NS6detail17trampoline_kernelINS0_13select_configILj256ELj13ELNS0_17block_load_methodE3ELS4_3ELS4_3ELNS0_20block_scan_algorithmE0ELj4294967295EEENS1_25partition_config_selectorILNS1_17partition_subalgoE4EjNS0_10empty_typeEbEEZZNS1_14partition_implILS8_4ELb0ES6_15HIP_vector_typeIjLj2EENS0_17counting_iteratorIjlEEPS9_SG_NS0_5tupleIJPjSI_NS0_16reverse_iteratorISI_EEEEENSH_IJSG_SG_SG_EEES9_SI_JZNS1_25segmented_radix_sort_implINS0_14default_configELb1EPKbPbPKlPlN2at6native12_GLOBAL__N_18offset_tEEE10hipError_tPvRmT1_PNSt15iterator_traitsIS12_E10value_typeET2_T3_PNS13_IS18_E10value_typeET4_jRbjT5_S1E_jjP12ihipStream_tbEUljE_ZNSN_ISO_Lb1ESQ_SR_ST_SU_SY_EESZ_S10_S11_S12_S16_S17_S18_S1B_S1C_jS1D_jS1E_S1E_jjS1G_bEUljE0_EEESZ_S10_S11_S18_S1C_S1E_T6_T7_T9_mT8_S1G_bDpT10_ENKUlT_T0_E_clISt17integral_constantIbLb1EES1U_EEDaS1P_S1Q_EUlS1P_E_NS1_11comp_targetILNS1_3genE3ELNS1_11target_archE908ELNS1_3gpuE7ELNS1_3repE0EEENS1_30default_config_static_selectorELNS0_4arch9wavefront6targetE1EEEvS12_ ; -- Begin function _ZN7rocprim17ROCPRIM_400000_NS6detail17trampoline_kernelINS0_13select_configILj256ELj13ELNS0_17block_load_methodE3ELS4_3ELS4_3ELNS0_20block_scan_algorithmE0ELj4294967295EEENS1_25partition_config_selectorILNS1_17partition_subalgoE4EjNS0_10empty_typeEbEEZZNS1_14partition_implILS8_4ELb0ES6_15HIP_vector_typeIjLj2EENS0_17counting_iteratorIjlEEPS9_SG_NS0_5tupleIJPjSI_NS0_16reverse_iteratorISI_EEEEENSH_IJSG_SG_SG_EEES9_SI_JZNS1_25segmented_radix_sort_implINS0_14default_configELb1EPKbPbPKlPlN2at6native12_GLOBAL__N_18offset_tEEE10hipError_tPvRmT1_PNSt15iterator_traitsIS12_E10value_typeET2_T3_PNS13_IS18_E10value_typeET4_jRbjT5_S1E_jjP12ihipStream_tbEUljE_ZNSN_ISO_Lb1ESQ_SR_ST_SU_SY_EESZ_S10_S11_S12_S16_S17_S18_S1B_S1C_jS1D_jS1E_S1E_jjS1G_bEUljE0_EEESZ_S10_S11_S18_S1C_S1E_T6_T7_T9_mT8_S1G_bDpT10_ENKUlT_T0_E_clISt17integral_constantIbLb1EES1U_EEDaS1P_S1Q_EUlS1P_E_NS1_11comp_targetILNS1_3genE3ELNS1_11target_archE908ELNS1_3gpuE7ELNS1_3repE0EEENS1_30default_config_static_selectorELNS0_4arch9wavefront6targetE1EEEvS12_
	.p2align	8
	.type	_ZN7rocprim17ROCPRIM_400000_NS6detail17trampoline_kernelINS0_13select_configILj256ELj13ELNS0_17block_load_methodE3ELS4_3ELS4_3ELNS0_20block_scan_algorithmE0ELj4294967295EEENS1_25partition_config_selectorILNS1_17partition_subalgoE4EjNS0_10empty_typeEbEEZZNS1_14partition_implILS8_4ELb0ES6_15HIP_vector_typeIjLj2EENS0_17counting_iteratorIjlEEPS9_SG_NS0_5tupleIJPjSI_NS0_16reverse_iteratorISI_EEEEENSH_IJSG_SG_SG_EEES9_SI_JZNS1_25segmented_radix_sort_implINS0_14default_configELb1EPKbPbPKlPlN2at6native12_GLOBAL__N_18offset_tEEE10hipError_tPvRmT1_PNSt15iterator_traitsIS12_E10value_typeET2_T3_PNS13_IS18_E10value_typeET4_jRbjT5_S1E_jjP12ihipStream_tbEUljE_ZNSN_ISO_Lb1ESQ_SR_ST_SU_SY_EESZ_S10_S11_S12_S16_S17_S18_S1B_S1C_jS1D_jS1E_S1E_jjS1G_bEUljE0_EEESZ_S10_S11_S18_S1C_S1E_T6_T7_T9_mT8_S1G_bDpT10_ENKUlT_T0_E_clISt17integral_constantIbLb1EES1U_EEDaS1P_S1Q_EUlS1P_E_NS1_11comp_targetILNS1_3genE3ELNS1_11target_archE908ELNS1_3gpuE7ELNS1_3repE0EEENS1_30default_config_static_selectorELNS0_4arch9wavefront6targetE1EEEvS12_,@function
_ZN7rocprim17ROCPRIM_400000_NS6detail17trampoline_kernelINS0_13select_configILj256ELj13ELNS0_17block_load_methodE3ELS4_3ELS4_3ELNS0_20block_scan_algorithmE0ELj4294967295EEENS1_25partition_config_selectorILNS1_17partition_subalgoE4EjNS0_10empty_typeEbEEZZNS1_14partition_implILS8_4ELb0ES6_15HIP_vector_typeIjLj2EENS0_17counting_iteratorIjlEEPS9_SG_NS0_5tupleIJPjSI_NS0_16reverse_iteratorISI_EEEEENSH_IJSG_SG_SG_EEES9_SI_JZNS1_25segmented_radix_sort_implINS0_14default_configELb1EPKbPbPKlPlN2at6native12_GLOBAL__N_18offset_tEEE10hipError_tPvRmT1_PNSt15iterator_traitsIS12_E10value_typeET2_T3_PNS13_IS18_E10value_typeET4_jRbjT5_S1E_jjP12ihipStream_tbEUljE_ZNSN_ISO_Lb1ESQ_SR_ST_SU_SY_EESZ_S10_S11_S12_S16_S17_S18_S1B_S1C_jS1D_jS1E_S1E_jjS1G_bEUljE0_EEESZ_S10_S11_S18_S1C_S1E_T6_T7_T9_mT8_S1G_bDpT10_ENKUlT_T0_E_clISt17integral_constantIbLb1EES1U_EEDaS1P_S1Q_EUlS1P_E_NS1_11comp_targetILNS1_3genE3ELNS1_11target_archE908ELNS1_3gpuE7ELNS1_3repE0EEENS1_30default_config_static_selectorELNS0_4arch9wavefront6targetE1EEEvS12_: ; @_ZN7rocprim17ROCPRIM_400000_NS6detail17trampoline_kernelINS0_13select_configILj256ELj13ELNS0_17block_load_methodE3ELS4_3ELS4_3ELNS0_20block_scan_algorithmE0ELj4294967295EEENS1_25partition_config_selectorILNS1_17partition_subalgoE4EjNS0_10empty_typeEbEEZZNS1_14partition_implILS8_4ELb0ES6_15HIP_vector_typeIjLj2EENS0_17counting_iteratorIjlEEPS9_SG_NS0_5tupleIJPjSI_NS0_16reverse_iteratorISI_EEEEENSH_IJSG_SG_SG_EEES9_SI_JZNS1_25segmented_radix_sort_implINS0_14default_configELb1EPKbPbPKlPlN2at6native12_GLOBAL__N_18offset_tEEE10hipError_tPvRmT1_PNSt15iterator_traitsIS12_E10value_typeET2_T3_PNS13_IS18_E10value_typeET4_jRbjT5_S1E_jjP12ihipStream_tbEUljE_ZNSN_ISO_Lb1ESQ_SR_ST_SU_SY_EESZ_S10_S11_S12_S16_S17_S18_S1B_S1C_jS1D_jS1E_S1E_jjS1G_bEUljE0_EEESZ_S10_S11_S18_S1C_S1E_T6_T7_T9_mT8_S1G_bDpT10_ENKUlT_T0_E_clISt17integral_constantIbLb1EES1U_EEDaS1P_S1Q_EUlS1P_E_NS1_11comp_targetILNS1_3genE3ELNS1_11target_archE908ELNS1_3gpuE7ELNS1_3repE0EEENS1_30default_config_static_selectorELNS0_4arch9wavefront6targetE1EEEvS12_
; %bb.0:
	.section	.rodata,"a",@progbits
	.p2align	6, 0x0
	.amdhsa_kernel _ZN7rocprim17ROCPRIM_400000_NS6detail17trampoline_kernelINS0_13select_configILj256ELj13ELNS0_17block_load_methodE3ELS4_3ELS4_3ELNS0_20block_scan_algorithmE0ELj4294967295EEENS1_25partition_config_selectorILNS1_17partition_subalgoE4EjNS0_10empty_typeEbEEZZNS1_14partition_implILS8_4ELb0ES6_15HIP_vector_typeIjLj2EENS0_17counting_iteratorIjlEEPS9_SG_NS0_5tupleIJPjSI_NS0_16reverse_iteratorISI_EEEEENSH_IJSG_SG_SG_EEES9_SI_JZNS1_25segmented_radix_sort_implINS0_14default_configELb1EPKbPbPKlPlN2at6native12_GLOBAL__N_18offset_tEEE10hipError_tPvRmT1_PNSt15iterator_traitsIS12_E10value_typeET2_T3_PNS13_IS18_E10value_typeET4_jRbjT5_S1E_jjP12ihipStream_tbEUljE_ZNSN_ISO_Lb1ESQ_SR_ST_SU_SY_EESZ_S10_S11_S12_S16_S17_S18_S1B_S1C_jS1D_jS1E_S1E_jjS1G_bEUljE0_EEESZ_S10_S11_S18_S1C_S1E_T6_T7_T9_mT8_S1G_bDpT10_ENKUlT_T0_E_clISt17integral_constantIbLb1EES1U_EEDaS1P_S1Q_EUlS1P_E_NS1_11comp_targetILNS1_3genE3ELNS1_11target_archE908ELNS1_3gpuE7ELNS1_3repE0EEENS1_30default_config_static_selectorELNS0_4arch9wavefront6targetE1EEEvS12_
		.amdhsa_group_segment_fixed_size 0
		.amdhsa_private_segment_fixed_size 0
		.amdhsa_kernarg_size 184
		.amdhsa_user_sgpr_count 6
		.amdhsa_user_sgpr_private_segment_buffer 1
		.amdhsa_user_sgpr_dispatch_ptr 0
		.amdhsa_user_sgpr_queue_ptr 0
		.amdhsa_user_sgpr_kernarg_segment_ptr 1
		.amdhsa_user_sgpr_dispatch_id 0
		.amdhsa_user_sgpr_flat_scratch_init 0
		.amdhsa_user_sgpr_kernarg_preload_length 0
		.amdhsa_user_sgpr_kernarg_preload_offset 0
		.amdhsa_user_sgpr_private_segment_size 0
		.amdhsa_uses_dynamic_stack 0
		.amdhsa_system_sgpr_private_segment_wavefront_offset 0
		.amdhsa_system_sgpr_workgroup_id_x 1
		.amdhsa_system_sgpr_workgroup_id_y 0
		.amdhsa_system_sgpr_workgroup_id_z 0
		.amdhsa_system_sgpr_workgroup_info 0
		.amdhsa_system_vgpr_workitem_id 0
		.amdhsa_next_free_vgpr 1
		.amdhsa_next_free_sgpr 0
		.amdhsa_accum_offset 4
		.amdhsa_reserve_vcc 0
		.amdhsa_reserve_flat_scratch 0
		.amdhsa_float_round_mode_32 0
		.amdhsa_float_round_mode_16_64 0
		.amdhsa_float_denorm_mode_32 3
		.amdhsa_float_denorm_mode_16_64 3
		.amdhsa_dx10_clamp 1
		.amdhsa_ieee_mode 1
		.amdhsa_fp16_overflow 0
		.amdhsa_tg_split 0
		.amdhsa_exception_fp_ieee_invalid_op 0
		.amdhsa_exception_fp_denorm_src 0
		.amdhsa_exception_fp_ieee_div_zero 0
		.amdhsa_exception_fp_ieee_overflow 0
		.amdhsa_exception_fp_ieee_underflow 0
		.amdhsa_exception_fp_ieee_inexact 0
		.amdhsa_exception_int_div_zero 0
	.end_amdhsa_kernel
	.section	.text._ZN7rocprim17ROCPRIM_400000_NS6detail17trampoline_kernelINS0_13select_configILj256ELj13ELNS0_17block_load_methodE3ELS4_3ELS4_3ELNS0_20block_scan_algorithmE0ELj4294967295EEENS1_25partition_config_selectorILNS1_17partition_subalgoE4EjNS0_10empty_typeEbEEZZNS1_14partition_implILS8_4ELb0ES6_15HIP_vector_typeIjLj2EENS0_17counting_iteratorIjlEEPS9_SG_NS0_5tupleIJPjSI_NS0_16reverse_iteratorISI_EEEEENSH_IJSG_SG_SG_EEES9_SI_JZNS1_25segmented_radix_sort_implINS0_14default_configELb1EPKbPbPKlPlN2at6native12_GLOBAL__N_18offset_tEEE10hipError_tPvRmT1_PNSt15iterator_traitsIS12_E10value_typeET2_T3_PNS13_IS18_E10value_typeET4_jRbjT5_S1E_jjP12ihipStream_tbEUljE_ZNSN_ISO_Lb1ESQ_SR_ST_SU_SY_EESZ_S10_S11_S12_S16_S17_S18_S1B_S1C_jS1D_jS1E_S1E_jjS1G_bEUljE0_EEESZ_S10_S11_S18_S1C_S1E_T6_T7_T9_mT8_S1G_bDpT10_ENKUlT_T0_E_clISt17integral_constantIbLb1EES1U_EEDaS1P_S1Q_EUlS1P_E_NS1_11comp_targetILNS1_3genE3ELNS1_11target_archE908ELNS1_3gpuE7ELNS1_3repE0EEENS1_30default_config_static_selectorELNS0_4arch9wavefront6targetE1EEEvS12_,"axG",@progbits,_ZN7rocprim17ROCPRIM_400000_NS6detail17trampoline_kernelINS0_13select_configILj256ELj13ELNS0_17block_load_methodE3ELS4_3ELS4_3ELNS0_20block_scan_algorithmE0ELj4294967295EEENS1_25partition_config_selectorILNS1_17partition_subalgoE4EjNS0_10empty_typeEbEEZZNS1_14partition_implILS8_4ELb0ES6_15HIP_vector_typeIjLj2EENS0_17counting_iteratorIjlEEPS9_SG_NS0_5tupleIJPjSI_NS0_16reverse_iteratorISI_EEEEENSH_IJSG_SG_SG_EEES9_SI_JZNS1_25segmented_radix_sort_implINS0_14default_configELb1EPKbPbPKlPlN2at6native12_GLOBAL__N_18offset_tEEE10hipError_tPvRmT1_PNSt15iterator_traitsIS12_E10value_typeET2_T3_PNS13_IS18_E10value_typeET4_jRbjT5_S1E_jjP12ihipStream_tbEUljE_ZNSN_ISO_Lb1ESQ_SR_ST_SU_SY_EESZ_S10_S11_S12_S16_S17_S18_S1B_S1C_jS1D_jS1E_S1E_jjS1G_bEUljE0_EEESZ_S10_S11_S18_S1C_S1E_T6_T7_T9_mT8_S1G_bDpT10_ENKUlT_T0_E_clISt17integral_constantIbLb1EES1U_EEDaS1P_S1Q_EUlS1P_E_NS1_11comp_targetILNS1_3genE3ELNS1_11target_archE908ELNS1_3gpuE7ELNS1_3repE0EEENS1_30default_config_static_selectorELNS0_4arch9wavefront6targetE1EEEvS12_,comdat
.Lfunc_end1477:
	.size	_ZN7rocprim17ROCPRIM_400000_NS6detail17trampoline_kernelINS0_13select_configILj256ELj13ELNS0_17block_load_methodE3ELS4_3ELS4_3ELNS0_20block_scan_algorithmE0ELj4294967295EEENS1_25partition_config_selectorILNS1_17partition_subalgoE4EjNS0_10empty_typeEbEEZZNS1_14partition_implILS8_4ELb0ES6_15HIP_vector_typeIjLj2EENS0_17counting_iteratorIjlEEPS9_SG_NS0_5tupleIJPjSI_NS0_16reverse_iteratorISI_EEEEENSH_IJSG_SG_SG_EEES9_SI_JZNS1_25segmented_radix_sort_implINS0_14default_configELb1EPKbPbPKlPlN2at6native12_GLOBAL__N_18offset_tEEE10hipError_tPvRmT1_PNSt15iterator_traitsIS12_E10value_typeET2_T3_PNS13_IS18_E10value_typeET4_jRbjT5_S1E_jjP12ihipStream_tbEUljE_ZNSN_ISO_Lb1ESQ_SR_ST_SU_SY_EESZ_S10_S11_S12_S16_S17_S18_S1B_S1C_jS1D_jS1E_S1E_jjS1G_bEUljE0_EEESZ_S10_S11_S18_S1C_S1E_T6_T7_T9_mT8_S1G_bDpT10_ENKUlT_T0_E_clISt17integral_constantIbLb1EES1U_EEDaS1P_S1Q_EUlS1P_E_NS1_11comp_targetILNS1_3genE3ELNS1_11target_archE908ELNS1_3gpuE7ELNS1_3repE0EEENS1_30default_config_static_selectorELNS0_4arch9wavefront6targetE1EEEvS12_, .Lfunc_end1477-_ZN7rocprim17ROCPRIM_400000_NS6detail17trampoline_kernelINS0_13select_configILj256ELj13ELNS0_17block_load_methodE3ELS4_3ELS4_3ELNS0_20block_scan_algorithmE0ELj4294967295EEENS1_25partition_config_selectorILNS1_17partition_subalgoE4EjNS0_10empty_typeEbEEZZNS1_14partition_implILS8_4ELb0ES6_15HIP_vector_typeIjLj2EENS0_17counting_iteratorIjlEEPS9_SG_NS0_5tupleIJPjSI_NS0_16reverse_iteratorISI_EEEEENSH_IJSG_SG_SG_EEES9_SI_JZNS1_25segmented_radix_sort_implINS0_14default_configELb1EPKbPbPKlPlN2at6native12_GLOBAL__N_18offset_tEEE10hipError_tPvRmT1_PNSt15iterator_traitsIS12_E10value_typeET2_T3_PNS13_IS18_E10value_typeET4_jRbjT5_S1E_jjP12ihipStream_tbEUljE_ZNSN_ISO_Lb1ESQ_SR_ST_SU_SY_EESZ_S10_S11_S12_S16_S17_S18_S1B_S1C_jS1D_jS1E_S1E_jjS1G_bEUljE0_EEESZ_S10_S11_S18_S1C_S1E_T6_T7_T9_mT8_S1G_bDpT10_ENKUlT_T0_E_clISt17integral_constantIbLb1EES1U_EEDaS1P_S1Q_EUlS1P_E_NS1_11comp_targetILNS1_3genE3ELNS1_11target_archE908ELNS1_3gpuE7ELNS1_3repE0EEENS1_30default_config_static_selectorELNS0_4arch9wavefront6targetE1EEEvS12_
                                        ; -- End function
	.section	.AMDGPU.csdata,"",@progbits
; Kernel info:
; codeLenInByte = 0
; NumSgprs: 4
; NumVgprs: 0
; NumAgprs: 0
; TotalNumVgprs: 0
; ScratchSize: 0
; MemoryBound: 0
; FloatMode: 240
; IeeeMode: 1
; LDSByteSize: 0 bytes/workgroup (compile time only)
; SGPRBlocks: 0
; VGPRBlocks: 0
; NumSGPRsForWavesPerEU: 4
; NumVGPRsForWavesPerEU: 1
; AccumOffset: 4
; Occupancy: 8
; WaveLimiterHint : 0
; COMPUTE_PGM_RSRC2:SCRATCH_EN: 0
; COMPUTE_PGM_RSRC2:USER_SGPR: 6
; COMPUTE_PGM_RSRC2:TRAP_HANDLER: 0
; COMPUTE_PGM_RSRC2:TGID_X_EN: 1
; COMPUTE_PGM_RSRC2:TGID_Y_EN: 0
; COMPUTE_PGM_RSRC2:TGID_Z_EN: 0
; COMPUTE_PGM_RSRC2:TIDIG_COMP_CNT: 0
; COMPUTE_PGM_RSRC3_GFX90A:ACCUM_OFFSET: 0
; COMPUTE_PGM_RSRC3_GFX90A:TG_SPLIT: 0
	.section	.text._ZN7rocprim17ROCPRIM_400000_NS6detail17trampoline_kernelINS0_13select_configILj256ELj13ELNS0_17block_load_methodE3ELS4_3ELS4_3ELNS0_20block_scan_algorithmE0ELj4294967295EEENS1_25partition_config_selectorILNS1_17partition_subalgoE4EjNS0_10empty_typeEbEEZZNS1_14partition_implILS8_4ELb0ES6_15HIP_vector_typeIjLj2EENS0_17counting_iteratorIjlEEPS9_SG_NS0_5tupleIJPjSI_NS0_16reverse_iteratorISI_EEEEENSH_IJSG_SG_SG_EEES9_SI_JZNS1_25segmented_radix_sort_implINS0_14default_configELb1EPKbPbPKlPlN2at6native12_GLOBAL__N_18offset_tEEE10hipError_tPvRmT1_PNSt15iterator_traitsIS12_E10value_typeET2_T3_PNS13_IS18_E10value_typeET4_jRbjT5_S1E_jjP12ihipStream_tbEUljE_ZNSN_ISO_Lb1ESQ_SR_ST_SU_SY_EESZ_S10_S11_S12_S16_S17_S18_S1B_S1C_jS1D_jS1E_S1E_jjS1G_bEUljE0_EEESZ_S10_S11_S18_S1C_S1E_T6_T7_T9_mT8_S1G_bDpT10_ENKUlT_T0_E_clISt17integral_constantIbLb1EES1U_EEDaS1P_S1Q_EUlS1P_E_NS1_11comp_targetILNS1_3genE2ELNS1_11target_archE906ELNS1_3gpuE6ELNS1_3repE0EEENS1_30default_config_static_selectorELNS0_4arch9wavefront6targetE1EEEvS12_,"axG",@progbits,_ZN7rocprim17ROCPRIM_400000_NS6detail17trampoline_kernelINS0_13select_configILj256ELj13ELNS0_17block_load_methodE3ELS4_3ELS4_3ELNS0_20block_scan_algorithmE0ELj4294967295EEENS1_25partition_config_selectorILNS1_17partition_subalgoE4EjNS0_10empty_typeEbEEZZNS1_14partition_implILS8_4ELb0ES6_15HIP_vector_typeIjLj2EENS0_17counting_iteratorIjlEEPS9_SG_NS0_5tupleIJPjSI_NS0_16reverse_iteratorISI_EEEEENSH_IJSG_SG_SG_EEES9_SI_JZNS1_25segmented_radix_sort_implINS0_14default_configELb1EPKbPbPKlPlN2at6native12_GLOBAL__N_18offset_tEEE10hipError_tPvRmT1_PNSt15iterator_traitsIS12_E10value_typeET2_T3_PNS13_IS18_E10value_typeET4_jRbjT5_S1E_jjP12ihipStream_tbEUljE_ZNSN_ISO_Lb1ESQ_SR_ST_SU_SY_EESZ_S10_S11_S12_S16_S17_S18_S1B_S1C_jS1D_jS1E_S1E_jjS1G_bEUljE0_EEESZ_S10_S11_S18_S1C_S1E_T6_T7_T9_mT8_S1G_bDpT10_ENKUlT_T0_E_clISt17integral_constantIbLb1EES1U_EEDaS1P_S1Q_EUlS1P_E_NS1_11comp_targetILNS1_3genE2ELNS1_11target_archE906ELNS1_3gpuE6ELNS1_3repE0EEENS1_30default_config_static_selectorELNS0_4arch9wavefront6targetE1EEEvS12_,comdat
	.globl	_ZN7rocprim17ROCPRIM_400000_NS6detail17trampoline_kernelINS0_13select_configILj256ELj13ELNS0_17block_load_methodE3ELS4_3ELS4_3ELNS0_20block_scan_algorithmE0ELj4294967295EEENS1_25partition_config_selectorILNS1_17partition_subalgoE4EjNS0_10empty_typeEbEEZZNS1_14partition_implILS8_4ELb0ES6_15HIP_vector_typeIjLj2EENS0_17counting_iteratorIjlEEPS9_SG_NS0_5tupleIJPjSI_NS0_16reverse_iteratorISI_EEEEENSH_IJSG_SG_SG_EEES9_SI_JZNS1_25segmented_radix_sort_implINS0_14default_configELb1EPKbPbPKlPlN2at6native12_GLOBAL__N_18offset_tEEE10hipError_tPvRmT1_PNSt15iterator_traitsIS12_E10value_typeET2_T3_PNS13_IS18_E10value_typeET4_jRbjT5_S1E_jjP12ihipStream_tbEUljE_ZNSN_ISO_Lb1ESQ_SR_ST_SU_SY_EESZ_S10_S11_S12_S16_S17_S18_S1B_S1C_jS1D_jS1E_S1E_jjS1G_bEUljE0_EEESZ_S10_S11_S18_S1C_S1E_T6_T7_T9_mT8_S1G_bDpT10_ENKUlT_T0_E_clISt17integral_constantIbLb1EES1U_EEDaS1P_S1Q_EUlS1P_E_NS1_11comp_targetILNS1_3genE2ELNS1_11target_archE906ELNS1_3gpuE6ELNS1_3repE0EEENS1_30default_config_static_selectorELNS0_4arch9wavefront6targetE1EEEvS12_ ; -- Begin function _ZN7rocprim17ROCPRIM_400000_NS6detail17trampoline_kernelINS0_13select_configILj256ELj13ELNS0_17block_load_methodE3ELS4_3ELS4_3ELNS0_20block_scan_algorithmE0ELj4294967295EEENS1_25partition_config_selectorILNS1_17partition_subalgoE4EjNS0_10empty_typeEbEEZZNS1_14partition_implILS8_4ELb0ES6_15HIP_vector_typeIjLj2EENS0_17counting_iteratorIjlEEPS9_SG_NS0_5tupleIJPjSI_NS0_16reverse_iteratorISI_EEEEENSH_IJSG_SG_SG_EEES9_SI_JZNS1_25segmented_radix_sort_implINS0_14default_configELb1EPKbPbPKlPlN2at6native12_GLOBAL__N_18offset_tEEE10hipError_tPvRmT1_PNSt15iterator_traitsIS12_E10value_typeET2_T3_PNS13_IS18_E10value_typeET4_jRbjT5_S1E_jjP12ihipStream_tbEUljE_ZNSN_ISO_Lb1ESQ_SR_ST_SU_SY_EESZ_S10_S11_S12_S16_S17_S18_S1B_S1C_jS1D_jS1E_S1E_jjS1G_bEUljE0_EEESZ_S10_S11_S18_S1C_S1E_T6_T7_T9_mT8_S1G_bDpT10_ENKUlT_T0_E_clISt17integral_constantIbLb1EES1U_EEDaS1P_S1Q_EUlS1P_E_NS1_11comp_targetILNS1_3genE2ELNS1_11target_archE906ELNS1_3gpuE6ELNS1_3repE0EEENS1_30default_config_static_selectorELNS0_4arch9wavefront6targetE1EEEvS12_
	.p2align	8
	.type	_ZN7rocprim17ROCPRIM_400000_NS6detail17trampoline_kernelINS0_13select_configILj256ELj13ELNS0_17block_load_methodE3ELS4_3ELS4_3ELNS0_20block_scan_algorithmE0ELj4294967295EEENS1_25partition_config_selectorILNS1_17partition_subalgoE4EjNS0_10empty_typeEbEEZZNS1_14partition_implILS8_4ELb0ES6_15HIP_vector_typeIjLj2EENS0_17counting_iteratorIjlEEPS9_SG_NS0_5tupleIJPjSI_NS0_16reverse_iteratorISI_EEEEENSH_IJSG_SG_SG_EEES9_SI_JZNS1_25segmented_radix_sort_implINS0_14default_configELb1EPKbPbPKlPlN2at6native12_GLOBAL__N_18offset_tEEE10hipError_tPvRmT1_PNSt15iterator_traitsIS12_E10value_typeET2_T3_PNS13_IS18_E10value_typeET4_jRbjT5_S1E_jjP12ihipStream_tbEUljE_ZNSN_ISO_Lb1ESQ_SR_ST_SU_SY_EESZ_S10_S11_S12_S16_S17_S18_S1B_S1C_jS1D_jS1E_S1E_jjS1G_bEUljE0_EEESZ_S10_S11_S18_S1C_S1E_T6_T7_T9_mT8_S1G_bDpT10_ENKUlT_T0_E_clISt17integral_constantIbLb1EES1U_EEDaS1P_S1Q_EUlS1P_E_NS1_11comp_targetILNS1_3genE2ELNS1_11target_archE906ELNS1_3gpuE6ELNS1_3repE0EEENS1_30default_config_static_selectorELNS0_4arch9wavefront6targetE1EEEvS12_,@function
_ZN7rocprim17ROCPRIM_400000_NS6detail17trampoline_kernelINS0_13select_configILj256ELj13ELNS0_17block_load_methodE3ELS4_3ELS4_3ELNS0_20block_scan_algorithmE0ELj4294967295EEENS1_25partition_config_selectorILNS1_17partition_subalgoE4EjNS0_10empty_typeEbEEZZNS1_14partition_implILS8_4ELb0ES6_15HIP_vector_typeIjLj2EENS0_17counting_iteratorIjlEEPS9_SG_NS0_5tupleIJPjSI_NS0_16reverse_iteratorISI_EEEEENSH_IJSG_SG_SG_EEES9_SI_JZNS1_25segmented_radix_sort_implINS0_14default_configELb1EPKbPbPKlPlN2at6native12_GLOBAL__N_18offset_tEEE10hipError_tPvRmT1_PNSt15iterator_traitsIS12_E10value_typeET2_T3_PNS13_IS18_E10value_typeET4_jRbjT5_S1E_jjP12ihipStream_tbEUljE_ZNSN_ISO_Lb1ESQ_SR_ST_SU_SY_EESZ_S10_S11_S12_S16_S17_S18_S1B_S1C_jS1D_jS1E_S1E_jjS1G_bEUljE0_EEESZ_S10_S11_S18_S1C_S1E_T6_T7_T9_mT8_S1G_bDpT10_ENKUlT_T0_E_clISt17integral_constantIbLb1EES1U_EEDaS1P_S1Q_EUlS1P_E_NS1_11comp_targetILNS1_3genE2ELNS1_11target_archE906ELNS1_3gpuE6ELNS1_3repE0EEENS1_30default_config_static_selectorELNS0_4arch9wavefront6targetE1EEEvS12_: ; @_ZN7rocprim17ROCPRIM_400000_NS6detail17trampoline_kernelINS0_13select_configILj256ELj13ELNS0_17block_load_methodE3ELS4_3ELS4_3ELNS0_20block_scan_algorithmE0ELj4294967295EEENS1_25partition_config_selectorILNS1_17partition_subalgoE4EjNS0_10empty_typeEbEEZZNS1_14partition_implILS8_4ELb0ES6_15HIP_vector_typeIjLj2EENS0_17counting_iteratorIjlEEPS9_SG_NS0_5tupleIJPjSI_NS0_16reverse_iteratorISI_EEEEENSH_IJSG_SG_SG_EEES9_SI_JZNS1_25segmented_radix_sort_implINS0_14default_configELb1EPKbPbPKlPlN2at6native12_GLOBAL__N_18offset_tEEE10hipError_tPvRmT1_PNSt15iterator_traitsIS12_E10value_typeET2_T3_PNS13_IS18_E10value_typeET4_jRbjT5_S1E_jjP12ihipStream_tbEUljE_ZNSN_ISO_Lb1ESQ_SR_ST_SU_SY_EESZ_S10_S11_S12_S16_S17_S18_S1B_S1C_jS1D_jS1E_S1E_jjS1G_bEUljE0_EEESZ_S10_S11_S18_S1C_S1E_T6_T7_T9_mT8_S1G_bDpT10_ENKUlT_T0_E_clISt17integral_constantIbLb1EES1U_EEDaS1P_S1Q_EUlS1P_E_NS1_11comp_targetILNS1_3genE2ELNS1_11target_archE906ELNS1_3gpuE6ELNS1_3repE0EEENS1_30default_config_static_selectorELNS0_4arch9wavefront6targetE1EEEvS12_
; %bb.0:
	.section	.rodata,"a",@progbits
	.p2align	6, 0x0
	.amdhsa_kernel _ZN7rocprim17ROCPRIM_400000_NS6detail17trampoline_kernelINS0_13select_configILj256ELj13ELNS0_17block_load_methodE3ELS4_3ELS4_3ELNS0_20block_scan_algorithmE0ELj4294967295EEENS1_25partition_config_selectorILNS1_17partition_subalgoE4EjNS0_10empty_typeEbEEZZNS1_14partition_implILS8_4ELb0ES6_15HIP_vector_typeIjLj2EENS0_17counting_iteratorIjlEEPS9_SG_NS0_5tupleIJPjSI_NS0_16reverse_iteratorISI_EEEEENSH_IJSG_SG_SG_EEES9_SI_JZNS1_25segmented_radix_sort_implINS0_14default_configELb1EPKbPbPKlPlN2at6native12_GLOBAL__N_18offset_tEEE10hipError_tPvRmT1_PNSt15iterator_traitsIS12_E10value_typeET2_T3_PNS13_IS18_E10value_typeET4_jRbjT5_S1E_jjP12ihipStream_tbEUljE_ZNSN_ISO_Lb1ESQ_SR_ST_SU_SY_EESZ_S10_S11_S12_S16_S17_S18_S1B_S1C_jS1D_jS1E_S1E_jjS1G_bEUljE0_EEESZ_S10_S11_S18_S1C_S1E_T6_T7_T9_mT8_S1G_bDpT10_ENKUlT_T0_E_clISt17integral_constantIbLb1EES1U_EEDaS1P_S1Q_EUlS1P_E_NS1_11comp_targetILNS1_3genE2ELNS1_11target_archE906ELNS1_3gpuE6ELNS1_3repE0EEENS1_30default_config_static_selectorELNS0_4arch9wavefront6targetE1EEEvS12_
		.amdhsa_group_segment_fixed_size 0
		.amdhsa_private_segment_fixed_size 0
		.amdhsa_kernarg_size 184
		.amdhsa_user_sgpr_count 6
		.amdhsa_user_sgpr_private_segment_buffer 1
		.amdhsa_user_sgpr_dispatch_ptr 0
		.amdhsa_user_sgpr_queue_ptr 0
		.amdhsa_user_sgpr_kernarg_segment_ptr 1
		.amdhsa_user_sgpr_dispatch_id 0
		.amdhsa_user_sgpr_flat_scratch_init 0
		.amdhsa_user_sgpr_kernarg_preload_length 0
		.amdhsa_user_sgpr_kernarg_preload_offset 0
		.amdhsa_user_sgpr_private_segment_size 0
		.amdhsa_uses_dynamic_stack 0
		.amdhsa_system_sgpr_private_segment_wavefront_offset 0
		.amdhsa_system_sgpr_workgroup_id_x 1
		.amdhsa_system_sgpr_workgroup_id_y 0
		.amdhsa_system_sgpr_workgroup_id_z 0
		.amdhsa_system_sgpr_workgroup_info 0
		.amdhsa_system_vgpr_workitem_id 0
		.amdhsa_next_free_vgpr 1
		.amdhsa_next_free_sgpr 0
		.amdhsa_accum_offset 4
		.amdhsa_reserve_vcc 0
		.amdhsa_reserve_flat_scratch 0
		.amdhsa_float_round_mode_32 0
		.amdhsa_float_round_mode_16_64 0
		.amdhsa_float_denorm_mode_32 3
		.amdhsa_float_denorm_mode_16_64 3
		.amdhsa_dx10_clamp 1
		.amdhsa_ieee_mode 1
		.amdhsa_fp16_overflow 0
		.amdhsa_tg_split 0
		.amdhsa_exception_fp_ieee_invalid_op 0
		.amdhsa_exception_fp_denorm_src 0
		.amdhsa_exception_fp_ieee_div_zero 0
		.amdhsa_exception_fp_ieee_overflow 0
		.amdhsa_exception_fp_ieee_underflow 0
		.amdhsa_exception_fp_ieee_inexact 0
		.amdhsa_exception_int_div_zero 0
	.end_amdhsa_kernel
	.section	.text._ZN7rocprim17ROCPRIM_400000_NS6detail17trampoline_kernelINS0_13select_configILj256ELj13ELNS0_17block_load_methodE3ELS4_3ELS4_3ELNS0_20block_scan_algorithmE0ELj4294967295EEENS1_25partition_config_selectorILNS1_17partition_subalgoE4EjNS0_10empty_typeEbEEZZNS1_14partition_implILS8_4ELb0ES6_15HIP_vector_typeIjLj2EENS0_17counting_iteratorIjlEEPS9_SG_NS0_5tupleIJPjSI_NS0_16reverse_iteratorISI_EEEEENSH_IJSG_SG_SG_EEES9_SI_JZNS1_25segmented_radix_sort_implINS0_14default_configELb1EPKbPbPKlPlN2at6native12_GLOBAL__N_18offset_tEEE10hipError_tPvRmT1_PNSt15iterator_traitsIS12_E10value_typeET2_T3_PNS13_IS18_E10value_typeET4_jRbjT5_S1E_jjP12ihipStream_tbEUljE_ZNSN_ISO_Lb1ESQ_SR_ST_SU_SY_EESZ_S10_S11_S12_S16_S17_S18_S1B_S1C_jS1D_jS1E_S1E_jjS1G_bEUljE0_EEESZ_S10_S11_S18_S1C_S1E_T6_T7_T9_mT8_S1G_bDpT10_ENKUlT_T0_E_clISt17integral_constantIbLb1EES1U_EEDaS1P_S1Q_EUlS1P_E_NS1_11comp_targetILNS1_3genE2ELNS1_11target_archE906ELNS1_3gpuE6ELNS1_3repE0EEENS1_30default_config_static_selectorELNS0_4arch9wavefront6targetE1EEEvS12_,"axG",@progbits,_ZN7rocprim17ROCPRIM_400000_NS6detail17trampoline_kernelINS0_13select_configILj256ELj13ELNS0_17block_load_methodE3ELS4_3ELS4_3ELNS0_20block_scan_algorithmE0ELj4294967295EEENS1_25partition_config_selectorILNS1_17partition_subalgoE4EjNS0_10empty_typeEbEEZZNS1_14partition_implILS8_4ELb0ES6_15HIP_vector_typeIjLj2EENS0_17counting_iteratorIjlEEPS9_SG_NS0_5tupleIJPjSI_NS0_16reverse_iteratorISI_EEEEENSH_IJSG_SG_SG_EEES9_SI_JZNS1_25segmented_radix_sort_implINS0_14default_configELb1EPKbPbPKlPlN2at6native12_GLOBAL__N_18offset_tEEE10hipError_tPvRmT1_PNSt15iterator_traitsIS12_E10value_typeET2_T3_PNS13_IS18_E10value_typeET4_jRbjT5_S1E_jjP12ihipStream_tbEUljE_ZNSN_ISO_Lb1ESQ_SR_ST_SU_SY_EESZ_S10_S11_S12_S16_S17_S18_S1B_S1C_jS1D_jS1E_S1E_jjS1G_bEUljE0_EEESZ_S10_S11_S18_S1C_S1E_T6_T7_T9_mT8_S1G_bDpT10_ENKUlT_T0_E_clISt17integral_constantIbLb1EES1U_EEDaS1P_S1Q_EUlS1P_E_NS1_11comp_targetILNS1_3genE2ELNS1_11target_archE906ELNS1_3gpuE6ELNS1_3repE0EEENS1_30default_config_static_selectorELNS0_4arch9wavefront6targetE1EEEvS12_,comdat
.Lfunc_end1478:
	.size	_ZN7rocprim17ROCPRIM_400000_NS6detail17trampoline_kernelINS0_13select_configILj256ELj13ELNS0_17block_load_methodE3ELS4_3ELS4_3ELNS0_20block_scan_algorithmE0ELj4294967295EEENS1_25partition_config_selectorILNS1_17partition_subalgoE4EjNS0_10empty_typeEbEEZZNS1_14partition_implILS8_4ELb0ES6_15HIP_vector_typeIjLj2EENS0_17counting_iteratorIjlEEPS9_SG_NS0_5tupleIJPjSI_NS0_16reverse_iteratorISI_EEEEENSH_IJSG_SG_SG_EEES9_SI_JZNS1_25segmented_radix_sort_implINS0_14default_configELb1EPKbPbPKlPlN2at6native12_GLOBAL__N_18offset_tEEE10hipError_tPvRmT1_PNSt15iterator_traitsIS12_E10value_typeET2_T3_PNS13_IS18_E10value_typeET4_jRbjT5_S1E_jjP12ihipStream_tbEUljE_ZNSN_ISO_Lb1ESQ_SR_ST_SU_SY_EESZ_S10_S11_S12_S16_S17_S18_S1B_S1C_jS1D_jS1E_S1E_jjS1G_bEUljE0_EEESZ_S10_S11_S18_S1C_S1E_T6_T7_T9_mT8_S1G_bDpT10_ENKUlT_T0_E_clISt17integral_constantIbLb1EES1U_EEDaS1P_S1Q_EUlS1P_E_NS1_11comp_targetILNS1_3genE2ELNS1_11target_archE906ELNS1_3gpuE6ELNS1_3repE0EEENS1_30default_config_static_selectorELNS0_4arch9wavefront6targetE1EEEvS12_, .Lfunc_end1478-_ZN7rocprim17ROCPRIM_400000_NS6detail17trampoline_kernelINS0_13select_configILj256ELj13ELNS0_17block_load_methodE3ELS4_3ELS4_3ELNS0_20block_scan_algorithmE0ELj4294967295EEENS1_25partition_config_selectorILNS1_17partition_subalgoE4EjNS0_10empty_typeEbEEZZNS1_14partition_implILS8_4ELb0ES6_15HIP_vector_typeIjLj2EENS0_17counting_iteratorIjlEEPS9_SG_NS0_5tupleIJPjSI_NS0_16reverse_iteratorISI_EEEEENSH_IJSG_SG_SG_EEES9_SI_JZNS1_25segmented_radix_sort_implINS0_14default_configELb1EPKbPbPKlPlN2at6native12_GLOBAL__N_18offset_tEEE10hipError_tPvRmT1_PNSt15iterator_traitsIS12_E10value_typeET2_T3_PNS13_IS18_E10value_typeET4_jRbjT5_S1E_jjP12ihipStream_tbEUljE_ZNSN_ISO_Lb1ESQ_SR_ST_SU_SY_EESZ_S10_S11_S12_S16_S17_S18_S1B_S1C_jS1D_jS1E_S1E_jjS1G_bEUljE0_EEESZ_S10_S11_S18_S1C_S1E_T6_T7_T9_mT8_S1G_bDpT10_ENKUlT_T0_E_clISt17integral_constantIbLb1EES1U_EEDaS1P_S1Q_EUlS1P_E_NS1_11comp_targetILNS1_3genE2ELNS1_11target_archE906ELNS1_3gpuE6ELNS1_3repE0EEENS1_30default_config_static_selectorELNS0_4arch9wavefront6targetE1EEEvS12_
                                        ; -- End function
	.section	.AMDGPU.csdata,"",@progbits
; Kernel info:
; codeLenInByte = 0
; NumSgprs: 4
; NumVgprs: 0
; NumAgprs: 0
; TotalNumVgprs: 0
; ScratchSize: 0
; MemoryBound: 0
; FloatMode: 240
; IeeeMode: 1
; LDSByteSize: 0 bytes/workgroup (compile time only)
; SGPRBlocks: 0
; VGPRBlocks: 0
; NumSGPRsForWavesPerEU: 4
; NumVGPRsForWavesPerEU: 1
; AccumOffset: 4
; Occupancy: 8
; WaveLimiterHint : 0
; COMPUTE_PGM_RSRC2:SCRATCH_EN: 0
; COMPUTE_PGM_RSRC2:USER_SGPR: 6
; COMPUTE_PGM_RSRC2:TRAP_HANDLER: 0
; COMPUTE_PGM_RSRC2:TGID_X_EN: 1
; COMPUTE_PGM_RSRC2:TGID_Y_EN: 0
; COMPUTE_PGM_RSRC2:TGID_Z_EN: 0
; COMPUTE_PGM_RSRC2:TIDIG_COMP_CNT: 0
; COMPUTE_PGM_RSRC3_GFX90A:ACCUM_OFFSET: 0
; COMPUTE_PGM_RSRC3_GFX90A:TG_SPLIT: 0
	.section	.text._ZN7rocprim17ROCPRIM_400000_NS6detail17trampoline_kernelINS0_13select_configILj256ELj13ELNS0_17block_load_methodE3ELS4_3ELS4_3ELNS0_20block_scan_algorithmE0ELj4294967295EEENS1_25partition_config_selectorILNS1_17partition_subalgoE4EjNS0_10empty_typeEbEEZZNS1_14partition_implILS8_4ELb0ES6_15HIP_vector_typeIjLj2EENS0_17counting_iteratorIjlEEPS9_SG_NS0_5tupleIJPjSI_NS0_16reverse_iteratorISI_EEEEENSH_IJSG_SG_SG_EEES9_SI_JZNS1_25segmented_radix_sort_implINS0_14default_configELb1EPKbPbPKlPlN2at6native12_GLOBAL__N_18offset_tEEE10hipError_tPvRmT1_PNSt15iterator_traitsIS12_E10value_typeET2_T3_PNS13_IS18_E10value_typeET4_jRbjT5_S1E_jjP12ihipStream_tbEUljE_ZNSN_ISO_Lb1ESQ_SR_ST_SU_SY_EESZ_S10_S11_S12_S16_S17_S18_S1B_S1C_jS1D_jS1E_S1E_jjS1G_bEUljE0_EEESZ_S10_S11_S18_S1C_S1E_T6_T7_T9_mT8_S1G_bDpT10_ENKUlT_T0_E_clISt17integral_constantIbLb1EES1U_EEDaS1P_S1Q_EUlS1P_E_NS1_11comp_targetILNS1_3genE10ELNS1_11target_archE1200ELNS1_3gpuE4ELNS1_3repE0EEENS1_30default_config_static_selectorELNS0_4arch9wavefront6targetE1EEEvS12_,"axG",@progbits,_ZN7rocprim17ROCPRIM_400000_NS6detail17trampoline_kernelINS0_13select_configILj256ELj13ELNS0_17block_load_methodE3ELS4_3ELS4_3ELNS0_20block_scan_algorithmE0ELj4294967295EEENS1_25partition_config_selectorILNS1_17partition_subalgoE4EjNS0_10empty_typeEbEEZZNS1_14partition_implILS8_4ELb0ES6_15HIP_vector_typeIjLj2EENS0_17counting_iteratorIjlEEPS9_SG_NS0_5tupleIJPjSI_NS0_16reverse_iteratorISI_EEEEENSH_IJSG_SG_SG_EEES9_SI_JZNS1_25segmented_radix_sort_implINS0_14default_configELb1EPKbPbPKlPlN2at6native12_GLOBAL__N_18offset_tEEE10hipError_tPvRmT1_PNSt15iterator_traitsIS12_E10value_typeET2_T3_PNS13_IS18_E10value_typeET4_jRbjT5_S1E_jjP12ihipStream_tbEUljE_ZNSN_ISO_Lb1ESQ_SR_ST_SU_SY_EESZ_S10_S11_S12_S16_S17_S18_S1B_S1C_jS1D_jS1E_S1E_jjS1G_bEUljE0_EEESZ_S10_S11_S18_S1C_S1E_T6_T7_T9_mT8_S1G_bDpT10_ENKUlT_T0_E_clISt17integral_constantIbLb1EES1U_EEDaS1P_S1Q_EUlS1P_E_NS1_11comp_targetILNS1_3genE10ELNS1_11target_archE1200ELNS1_3gpuE4ELNS1_3repE0EEENS1_30default_config_static_selectorELNS0_4arch9wavefront6targetE1EEEvS12_,comdat
	.globl	_ZN7rocprim17ROCPRIM_400000_NS6detail17trampoline_kernelINS0_13select_configILj256ELj13ELNS0_17block_load_methodE3ELS4_3ELS4_3ELNS0_20block_scan_algorithmE0ELj4294967295EEENS1_25partition_config_selectorILNS1_17partition_subalgoE4EjNS0_10empty_typeEbEEZZNS1_14partition_implILS8_4ELb0ES6_15HIP_vector_typeIjLj2EENS0_17counting_iteratorIjlEEPS9_SG_NS0_5tupleIJPjSI_NS0_16reverse_iteratorISI_EEEEENSH_IJSG_SG_SG_EEES9_SI_JZNS1_25segmented_radix_sort_implINS0_14default_configELb1EPKbPbPKlPlN2at6native12_GLOBAL__N_18offset_tEEE10hipError_tPvRmT1_PNSt15iterator_traitsIS12_E10value_typeET2_T3_PNS13_IS18_E10value_typeET4_jRbjT5_S1E_jjP12ihipStream_tbEUljE_ZNSN_ISO_Lb1ESQ_SR_ST_SU_SY_EESZ_S10_S11_S12_S16_S17_S18_S1B_S1C_jS1D_jS1E_S1E_jjS1G_bEUljE0_EEESZ_S10_S11_S18_S1C_S1E_T6_T7_T9_mT8_S1G_bDpT10_ENKUlT_T0_E_clISt17integral_constantIbLb1EES1U_EEDaS1P_S1Q_EUlS1P_E_NS1_11comp_targetILNS1_3genE10ELNS1_11target_archE1200ELNS1_3gpuE4ELNS1_3repE0EEENS1_30default_config_static_selectorELNS0_4arch9wavefront6targetE1EEEvS12_ ; -- Begin function _ZN7rocprim17ROCPRIM_400000_NS6detail17trampoline_kernelINS0_13select_configILj256ELj13ELNS0_17block_load_methodE3ELS4_3ELS4_3ELNS0_20block_scan_algorithmE0ELj4294967295EEENS1_25partition_config_selectorILNS1_17partition_subalgoE4EjNS0_10empty_typeEbEEZZNS1_14partition_implILS8_4ELb0ES6_15HIP_vector_typeIjLj2EENS0_17counting_iteratorIjlEEPS9_SG_NS0_5tupleIJPjSI_NS0_16reverse_iteratorISI_EEEEENSH_IJSG_SG_SG_EEES9_SI_JZNS1_25segmented_radix_sort_implINS0_14default_configELb1EPKbPbPKlPlN2at6native12_GLOBAL__N_18offset_tEEE10hipError_tPvRmT1_PNSt15iterator_traitsIS12_E10value_typeET2_T3_PNS13_IS18_E10value_typeET4_jRbjT5_S1E_jjP12ihipStream_tbEUljE_ZNSN_ISO_Lb1ESQ_SR_ST_SU_SY_EESZ_S10_S11_S12_S16_S17_S18_S1B_S1C_jS1D_jS1E_S1E_jjS1G_bEUljE0_EEESZ_S10_S11_S18_S1C_S1E_T6_T7_T9_mT8_S1G_bDpT10_ENKUlT_T0_E_clISt17integral_constantIbLb1EES1U_EEDaS1P_S1Q_EUlS1P_E_NS1_11comp_targetILNS1_3genE10ELNS1_11target_archE1200ELNS1_3gpuE4ELNS1_3repE0EEENS1_30default_config_static_selectorELNS0_4arch9wavefront6targetE1EEEvS12_
	.p2align	8
	.type	_ZN7rocprim17ROCPRIM_400000_NS6detail17trampoline_kernelINS0_13select_configILj256ELj13ELNS0_17block_load_methodE3ELS4_3ELS4_3ELNS0_20block_scan_algorithmE0ELj4294967295EEENS1_25partition_config_selectorILNS1_17partition_subalgoE4EjNS0_10empty_typeEbEEZZNS1_14partition_implILS8_4ELb0ES6_15HIP_vector_typeIjLj2EENS0_17counting_iteratorIjlEEPS9_SG_NS0_5tupleIJPjSI_NS0_16reverse_iteratorISI_EEEEENSH_IJSG_SG_SG_EEES9_SI_JZNS1_25segmented_radix_sort_implINS0_14default_configELb1EPKbPbPKlPlN2at6native12_GLOBAL__N_18offset_tEEE10hipError_tPvRmT1_PNSt15iterator_traitsIS12_E10value_typeET2_T3_PNS13_IS18_E10value_typeET4_jRbjT5_S1E_jjP12ihipStream_tbEUljE_ZNSN_ISO_Lb1ESQ_SR_ST_SU_SY_EESZ_S10_S11_S12_S16_S17_S18_S1B_S1C_jS1D_jS1E_S1E_jjS1G_bEUljE0_EEESZ_S10_S11_S18_S1C_S1E_T6_T7_T9_mT8_S1G_bDpT10_ENKUlT_T0_E_clISt17integral_constantIbLb1EES1U_EEDaS1P_S1Q_EUlS1P_E_NS1_11comp_targetILNS1_3genE10ELNS1_11target_archE1200ELNS1_3gpuE4ELNS1_3repE0EEENS1_30default_config_static_selectorELNS0_4arch9wavefront6targetE1EEEvS12_,@function
_ZN7rocprim17ROCPRIM_400000_NS6detail17trampoline_kernelINS0_13select_configILj256ELj13ELNS0_17block_load_methodE3ELS4_3ELS4_3ELNS0_20block_scan_algorithmE0ELj4294967295EEENS1_25partition_config_selectorILNS1_17partition_subalgoE4EjNS0_10empty_typeEbEEZZNS1_14partition_implILS8_4ELb0ES6_15HIP_vector_typeIjLj2EENS0_17counting_iteratorIjlEEPS9_SG_NS0_5tupleIJPjSI_NS0_16reverse_iteratorISI_EEEEENSH_IJSG_SG_SG_EEES9_SI_JZNS1_25segmented_radix_sort_implINS0_14default_configELb1EPKbPbPKlPlN2at6native12_GLOBAL__N_18offset_tEEE10hipError_tPvRmT1_PNSt15iterator_traitsIS12_E10value_typeET2_T3_PNS13_IS18_E10value_typeET4_jRbjT5_S1E_jjP12ihipStream_tbEUljE_ZNSN_ISO_Lb1ESQ_SR_ST_SU_SY_EESZ_S10_S11_S12_S16_S17_S18_S1B_S1C_jS1D_jS1E_S1E_jjS1G_bEUljE0_EEESZ_S10_S11_S18_S1C_S1E_T6_T7_T9_mT8_S1G_bDpT10_ENKUlT_T0_E_clISt17integral_constantIbLb1EES1U_EEDaS1P_S1Q_EUlS1P_E_NS1_11comp_targetILNS1_3genE10ELNS1_11target_archE1200ELNS1_3gpuE4ELNS1_3repE0EEENS1_30default_config_static_selectorELNS0_4arch9wavefront6targetE1EEEvS12_: ; @_ZN7rocprim17ROCPRIM_400000_NS6detail17trampoline_kernelINS0_13select_configILj256ELj13ELNS0_17block_load_methodE3ELS4_3ELS4_3ELNS0_20block_scan_algorithmE0ELj4294967295EEENS1_25partition_config_selectorILNS1_17partition_subalgoE4EjNS0_10empty_typeEbEEZZNS1_14partition_implILS8_4ELb0ES6_15HIP_vector_typeIjLj2EENS0_17counting_iteratorIjlEEPS9_SG_NS0_5tupleIJPjSI_NS0_16reverse_iteratorISI_EEEEENSH_IJSG_SG_SG_EEES9_SI_JZNS1_25segmented_radix_sort_implINS0_14default_configELb1EPKbPbPKlPlN2at6native12_GLOBAL__N_18offset_tEEE10hipError_tPvRmT1_PNSt15iterator_traitsIS12_E10value_typeET2_T3_PNS13_IS18_E10value_typeET4_jRbjT5_S1E_jjP12ihipStream_tbEUljE_ZNSN_ISO_Lb1ESQ_SR_ST_SU_SY_EESZ_S10_S11_S12_S16_S17_S18_S1B_S1C_jS1D_jS1E_S1E_jjS1G_bEUljE0_EEESZ_S10_S11_S18_S1C_S1E_T6_T7_T9_mT8_S1G_bDpT10_ENKUlT_T0_E_clISt17integral_constantIbLb1EES1U_EEDaS1P_S1Q_EUlS1P_E_NS1_11comp_targetILNS1_3genE10ELNS1_11target_archE1200ELNS1_3gpuE4ELNS1_3repE0EEENS1_30default_config_static_selectorELNS0_4arch9wavefront6targetE1EEEvS12_
; %bb.0:
	.section	.rodata,"a",@progbits
	.p2align	6, 0x0
	.amdhsa_kernel _ZN7rocprim17ROCPRIM_400000_NS6detail17trampoline_kernelINS0_13select_configILj256ELj13ELNS0_17block_load_methodE3ELS4_3ELS4_3ELNS0_20block_scan_algorithmE0ELj4294967295EEENS1_25partition_config_selectorILNS1_17partition_subalgoE4EjNS0_10empty_typeEbEEZZNS1_14partition_implILS8_4ELb0ES6_15HIP_vector_typeIjLj2EENS0_17counting_iteratorIjlEEPS9_SG_NS0_5tupleIJPjSI_NS0_16reverse_iteratorISI_EEEEENSH_IJSG_SG_SG_EEES9_SI_JZNS1_25segmented_radix_sort_implINS0_14default_configELb1EPKbPbPKlPlN2at6native12_GLOBAL__N_18offset_tEEE10hipError_tPvRmT1_PNSt15iterator_traitsIS12_E10value_typeET2_T3_PNS13_IS18_E10value_typeET4_jRbjT5_S1E_jjP12ihipStream_tbEUljE_ZNSN_ISO_Lb1ESQ_SR_ST_SU_SY_EESZ_S10_S11_S12_S16_S17_S18_S1B_S1C_jS1D_jS1E_S1E_jjS1G_bEUljE0_EEESZ_S10_S11_S18_S1C_S1E_T6_T7_T9_mT8_S1G_bDpT10_ENKUlT_T0_E_clISt17integral_constantIbLb1EES1U_EEDaS1P_S1Q_EUlS1P_E_NS1_11comp_targetILNS1_3genE10ELNS1_11target_archE1200ELNS1_3gpuE4ELNS1_3repE0EEENS1_30default_config_static_selectorELNS0_4arch9wavefront6targetE1EEEvS12_
		.amdhsa_group_segment_fixed_size 0
		.amdhsa_private_segment_fixed_size 0
		.amdhsa_kernarg_size 184
		.amdhsa_user_sgpr_count 6
		.amdhsa_user_sgpr_private_segment_buffer 1
		.amdhsa_user_sgpr_dispatch_ptr 0
		.amdhsa_user_sgpr_queue_ptr 0
		.amdhsa_user_sgpr_kernarg_segment_ptr 1
		.amdhsa_user_sgpr_dispatch_id 0
		.amdhsa_user_sgpr_flat_scratch_init 0
		.amdhsa_user_sgpr_kernarg_preload_length 0
		.amdhsa_user_sgpr_kernarg_preload_offset 0
		.amdhsa_user_sgpr_private_segment_size 0
		.amdhsa_uses_dynamic_stack 0
		.amdhsa_system_sgpr_private_segment_wavefront_offset 0
		.amdhsa_system_sgpr_workgroup_id_x 1
		.amdhsa_system_sgpr_workgroup_id_y 0
		.amdhsa_system_sgpr_workgroup_id_z 0
		.amdhsa_system_sgpr_workgroup_info 0
		.amdhsa_system_vgpr_workitem_id 0
		.amdhsa_next_free_vgpr 1
		.amdhsa_next_free_sgpr 0
		.amdhsa_accum_offset 4
		.amdhsa_reserve_vcc 0
		.amdhsa_reserve_flat_scratch 0
		.amdhsa_float_round_mode_32 0
		.amdhsa_float_round_mode_16_64 0
		.amdhsa_float_denorm_mode_32 3
		.amdhsa_float_denorm_mode_16_64 3
		.amdhsa_dx10_clamp 1
		.amdhsa_ieee_mode 1
		.amdhsa_fp16_overflow 0
		.amdhsa_tg_split 0
		.amdhsa_exception_fp_ieee_invalid_op 0
		.amdhsa_exception_fp_denorm_src 0
		.amdhsa_exception_fp_ieee_div_zero 0
		.amdhsa_exception_fp_ieee_overflow 0
		.amdhsa_exception_fp_ieee_underflow 0
		.amdhsa_exception_fp_ieee_inexact 0
		.amdhsa_exception_int_div_zero 0
	.end_amdhsa_kernel
	.section	.text._ZN7rocprim17ROCPRIM_400000_NS6detail17trampoline_kernelINS0_13select_configILj256ELj13ELNS0_17block_load_methodE3ELS4_3ELS4_3ELNS0_20block_scan_algorithmE0ELj4294967295EEENS1_25partition_config_selectorILNS1_17partition_subalgoE4EjNS0_10empty_typeEbEEZZNS1_14partition_implILS8_4ELb0ES6_15HIP_vector_typeIjLj2EENS0_17counting_iteratorIjlEEPS9_SG_NS0_5tupleIJPjSI_NS0_16reverse_iteratorISI_EEEEENSH_IJSG_SG_SG_EEES9_SI_JZNS1_25segmented_radix_sort_implINS0_14default_configELb1EPKbPbPKlPlN2at6native12_GLOBAL__N_18offset_tEEE10hipError_tPvRmT1_PNSt15iterator_traitsIS12_E10value_typeET2_T3_PNS13_IS18_E10value_typeET4_jRbjT5_S1E_jjP12ihipStream_tbEUljE_ZNSN_ISO_Lb1ESQ_SR_ST_SU_SY_EESZ_S10_S11_S12_S16_S17_S18_S1B_S1C_jS1D_jS1E_S1E_jjS1G_bEUljE0_EEESZ_S10_S11_S18_S1C_S1E_T6_T7_T9_mT8_S1G_bDpT10_ENKUlT_T0_E_clISt17integral_constantIbLb1EES1U_EEDaS1P_S1Q_EUlS1P_E_NS1_11comp_targetILNS1_3genE10ELNS1_11target_archE1200ELNS1_3gpuE4ELNS1_3repE0EEENS1_30default_config_static_selectorELNS0_4arch9wavefront6targetE1EEEvS12_,"axG",@progbits,_ZN7rocprim17ROCPRIM_400000_NS6detail17trampoline_kernelINS0_13select_configILj256ELj13ELNS0_17block_load_methodE3ELS4_3ELS4_3ELNS0_20block_scan_algorithmE0ELj4294967295EEENS1_25partition_config_selectorILNS1_17partition_subalgoE4EjNS0_10empty_typeEbEEZZNS1_14partition_implILS8_4ELb0ES6_15HIP_vector_typeIjLj2EENS0_17counting_iteratorIjlEEPS9_SG_NS0_5tupleIJPjSI_NS0_16reverse_iteratorISI_EEEEENSH_IJSG_SG_SG_EEES9_SI_JZNS1_25segmented_radix_sort_implINS0_14default_configELb1EPKbPbPKlPlN2at6native12_GLOBAL__N_18offset_tEEE10hipError_tPvRmT1_PNSt15iterator_traitsIS12_E10value_typeET2_T3_PNS13_IS18_E10value_typeET4_jRbjT5_S1E_jjP12ihipStream_tbEUljE_ZNSN_ISO_Lb1ESQ_SR_ST_SU_SY_EESZ_S10_S11_S12_S16_S17_S18_S1B_S1C_jS1D_jS1E_S1E_jjS1G_bEUljE0_EEESZ_S10_S11_S18_S1C_S1E_T6_T7_T9_mT8_S1G_bDpT10_ENKUlT_T0_E_clISt17integral_constantIbLb1EES1U_EEDaS1P_S1Q_EUlS1P_E_NS1_11comp_targetILNS1_3genE10ELNS1_11target_archE1200ELNS1_3gpuE4ELNS1_3repE0EEENS1_30default_config_static_selectorELNS0_4arch9wavefront6targetE1EEEvS12_,comdat
.Lfunc_end1479:
	.size	_ZN7rocprim17ROCPRIM_400000_NS6detail17trampoline_kernelINS0_13select_configILj256ELj13ELNS0_17block_load_methodE3ELS4_3ELS4_3ELNS0_20block_scan_algorithmE0ELj4294967295EEENS1_25partition_config_selectorILNS1_17partition_subalgoE4EjNS0_10empty_typeEbEEZZNS1_14partition_implILS8_4ELb0ES6_15HIP_vector_typeIjLj2EENS0_17counting_iteratorIjlEEPS9_SG_NS0_5tupleIJPjSI_NS0_16reverse_iteratorISI_EEEEENSH_IJSG_SG_SG_EEES9_SI_JZNS1_25segmented_radix_sort_implINS0_14default_configELb1EPKbPbPKlPlN2at6native12_GLOBAL__N_18offset_tEEE10hipError_tPvRmT1_PNSt15iterator_traitsIS12_E10value_typeET2_T3_PNS13_IS18_E10value_typeET4_jRbjT5_S1E_jjP12ihipStream_tbEUljE_ZNSN_ISO_Lb1ESQ_SR_ST_SU_SY_EESZ_S10_S11_S12_S16_S17_S18_S1B_S1C_jS1D_jS1E_S1E_jjS1G_bEUljE0_EEESZ_S10_S11_S18_S1C_S1E_T6_T7_T9_mT8_S1G_bDpT10_ENKUlT_T0_E_clISt17integral_constantIbLb1EES1U_EEDaS1P_S1Q_EUlS1P_E_NS1_11comp_targetILNS1_3genE10ELNS1_11target_archE1200ELNS1_3gpuE4ELNS1_3repE0EEENS1_30default_config_static_selectorELNS0_4arch9wavefront6targetE1EEEvS12_, .Lfunc_end1479-_ZN7rocprim17ROCPRIM_400000_NS6detail17trampoline_kernelINS0_13select_configILj256ELj13ELNS0_17block_load_methodE3ELS4_3ELS4_3ELNS0_20block_scan_algorithmE0ELj4294967295EEENS1_25partition_config_selectorILNS1_17partition_subalgoE4EjNS0_10empty_typeEbEEZZNS1_14partition_implILS8_4ELb0ES6_15HIP_vector_typeIjLj2EENS0_17counting_iteratorIjlEEPS9_SG_NS0_5tupleIJPjSI_NS0_16reverse_iteratorISI_EEEEENSH_IJSG_SG_SG_EEES9_SI_JZNS1_25segmented_radix_sort_implINS0_14default_configELb1EPKbPbPKlPlN2at6native12_GLOBAL__N_18offset_tEEE10hipError_tPvRmT1_PNSt15iterator_traitsIS12_E10value_typeET2_T3_PNS13_IS18_E10value_typeET4_jRbjT5_S1E_jjP12ihipStream_tbEUljE_ZNSN_ISO_Lb1ESQ_SR_ST_SU_SY_EESZ_S10_S11_S12_S16_S17_S18_S1B_S1C_jS1D_jS1E_S1E_jjS1G_bEUljE0_EEESZ_S10_S11_S18_S1C_S1E_T6_T7_T9_mT8_S1G_bDpT10_ENKUlT_T0_E_clISt17integral_constantIbLb1EES1U_EEDaS1P_S1Q_EUlS1P_E_NS1_11comp_targetILNS1_3genE10ELNS1_11target_archE1200ELNS1_3gpuE4ELNS1_3repE0EEENS1_30default_config_static_selectorELNS0_4arch9wavefront6targetE1EEEvS12_
                                        ; -- End function
	.section	.AMDGPU.csdata,"",@progbits
; Kernel info:
; codeLenInByte = 0
; NumSgprs: 4
; NumVgprs: 0
; NumAgprs: 0
; TotalNumVgprs: 0
; ScratchSize: 0
; MemoryBound: 0
; FloatMode: 240
; IeeeMode: 1
; LDSByteSize: 0 bytes/workgroup (compile time only)
; SGPRBlocks: 0
; VGPRBlocks: 0
; NumSGPRsForWavesPerEU: 4
; NumVGPRsForWavesPerEU: 1
; AccumOffset: 4
; Occupancy: 8
; WaveLimiterHint : 0
; COMPUTE_PGM_RSRC2:SCRATCH_EN: 0
; COMPUTE_PGM_RSRC2:USER_SGPR: 6
; COMPUTE_PGM_RSRC2:TRAP_HANDLER: 0
; COMPUTE_PGM_RSRC2:TGID_X_EN: 1
; COMPUTE_PGM_RSRC2:TGID_Y_EN: 0
; COMPUTE_PGM_RSRC2:TGID_Z_EN: 0
; COMPUTE_PGM_RSRC2:TIDIG_COMP_CNT: 0
; COMPUTE_PGM_RSRC3_GFX90A:ACCUM_OFFSET: 0
; COMPUTE_PGM_RSRC3_GFX90A:TG_SPLIT: 0
	.section	.text._ZN7rocprim17ROCPRIM_400000_NS6detail17trampoline_kernelINS0_13select_configILj256ELj13ELNS0_17block_load_methodE3ELS4_3ELS4_3ELNS0_20block_scan_algorithmE0ELj4294967295EEENS1_25partition_config_selectorILNS1_17partition_subalgoE4EjNS0_10empty_typeEbEEZZNS1_14partition_implILS8_4ELb0ES6_15HIP_vector_typeIjLj2EENS0_17counting_iteratorIjlEEPS9_SG_NS0_5tupleIJPjSI_NS0_16reverse_iteratorISI_EEEEENSH_IJSG_SG_SG_EEES9_SI_JZNS1_25segmented_radix_sort_implINS0_14default_configELb1EPKbPbPKlPlN2at6native12_GLOBAL__N_18offset_tEEE10hipError_tPvRmT1_PNSt15iterator_traitsIS12_E10value_typeET2_T3_PNS13_IS18_E10value_typeET4_jRbjT5_S1E_jjP12ihipStream_tbEUljE_ZNSN_ISO_Lb1ESQ_SR_ST_SU_SY_EESZ_S10_S11_S12_S16_S17_S18_S1B_S1C_jS1D_jS1E_S1E_jjS1G_bEUljE0_EEESZ_S10_S11_S18_S1C_S1E_T6_T7_T9_mT8_S1G_bDpT10_ENKUlT_T0_E_clISt17integral_constantIbLb1EES1U_EEDaS1P_S1Q_EUlS1P_E_NS1_11comp_targetILNS1_3genE9ELNS1_11target_archE1100ELNS1_3gpuE3ELNS1_3repE0EEENS1_30default_config_static_selectorELNS0_4arch9wavefront6targetE1EEEvS12_,"axG",@progbits,_ZN7rocprim17ROCPRIM_400000_NS6detail17trampoline_kernelINS0_13select_configILj256ELj13ELNS0_17block_load_methodE3ELS4_3ELS4_3ELNS0_20block_scan_algorithmE0ELj4294967295EEENS1_25partition_config_selectorILNS1_17partition_subalgoE4EjNS0_10empty_typeEbEEZZNS1_14partition_implILS8_4ELb0ES6_15HIP_vector_typeIjLj2EENS0_17counting_iteratorIjlEEPS9_SG_NS0_5tupleIJPjSI_NS0_16reverse_iteratorISI_EEEEENSH_IJSG_SG_SG_EEES9_SI_JZNS1_25segmented_radix_sort_implINS0_14default_configELb1EPKbPbPKlPlN2at6native12_GLOBAL__N_18offset_tEEE10hipError_tPvRmT1_PNSt15iterator_traitsIS12_E10value_typeET2_T3_PNS13_IS18_E10value_typeET4_jRbjT5_S1E_jjP12ihipStream_tbEUljE_ZNSN_ISO_Lb1ESQ_SR_ST_SU_SY_EESZ_S10_S11_S12_S16_S17_S18_S1B_S1C_jS1D_jS1E_S1E_jjS1G_bEUljE0_EEESZ_S10_S11_S18_S1C_S1E_T6_T7_T9_mT8_S1G_bDpT10_ENKUlT_T0_E_clISt17integral_constantIbLb1EES1U_EEDaS1P_S1Q_EUlS1P_E_NS1_11comp_targetILNS1_3genE9ELNS1_11target_archE1100ELNS1_3gpuE3ELNS1_3repE0EEENS1_30default_config_static_selectorELNS0_4arch9wavefront6targetE1EEEvS12_,comdat
	.globl	_ZN7rocprim17ROCPRIM_400000_NS6detail17trampoline_kernelINS0_13select_configILj256ELj13ELNS0_17block_load_methodE3ELS4_3ELS4_3ELNS0_20block_scan_algorithmE0ELj4294967295EEENS1_25partition_config_selectorILNS1_17partition_subalgoE4EjNS0_10empty_typeEbEEZZNS1_14partition_implILS8_4ELb0ES6_15HIP_vector_typeIjLj2EENS0_17counting_iteratorIjlEEPS9_SG_NS0_5tupleIJPjSI_NS0_16reverse_iteratorISI_EEEEENSH_IJSG_SG_SG_EEES9_SI_JZNS1_25segmented_radix_sort_implINS0_14default_configELb1EPKbPbPKlPlN2at6native12_GLOBAL__N_18offset_tEEE10hipError_tPvRmT1_PNSt15iterator_traitsIS12_E10value_typeET2_T3_PNS13_IS18_E10value_typeET4_jRbjT5_S1E_jjP12ihipStream_tbEUljE_ZNSN_ISO_Lb1ESQ_SR_ST_SU_SY_EESZ_S10_S11_S12_S16_S17_S18_S1B_S1C_jS1D_jS1E_S1E_jjS1G_bEUljE0_EEESZ_S10_S11_S18_S1C_S1E_T6_T7_T9_mT8_S1G_bDpT10_ENKUlT_T0_E_clISt17integral_constantIbLb1EES1U_EEDaS1P_S1Q_EUlS1P_E_NS1_11comp_targetILNS1_3genE9ELNS1_11target_archE1100ELNS1_3gpuE3ELNS1_3repE0EEENS1_30default_config_static_selectorELNS0_4arch9wavefront6targetE1EEEvS12_ ; -- Begin function _ZN7rocprim17ROCPRIM_400000_NS6detail17trampoline_kernelINS0_13select_configILj256ELj13ELNS0_17block_load_methodE3ELS4_3ELS4_3ELNS0_20block_scan_algorithmE0ELj4294967295EEENS1_25partition_config_selectorILNS1_17partition_subalgoE4EjNS0_10empty_typeEbEEZZNS1_14partition_implILS8_4ELb0ES6_15HIP_vector_typeIjLj2EENS0_17counting_iteratorIjlEEPS9_SG_NS0_5tupleIJPjSI_NS0_16reverse_iteratorISI_EEEEENSH_IJSG_SG_SG_EEES9_SI_JZNS1_25segmented_radix_sort_implINS0_14default_configELb1EPKbPbPKlPlN2at6native12_GLOBAL__N_18offset_tEEE10hipError_tPvRmT1_PNSt15iterator_traitsIS12_E10value_typeET2_T3_PNS13_IS18_E10value_typeET4_jRbjT5_S1E_jjP12ihipStream_tbEUljE_ZNSN_ISO_Lb1ESQ_SR_ST_SU_SY_EESZ_S10_S11_S12_S16_S17_S18_S1B_S1C_jS1D_jS1E_S1E_jjS1G_bEUljE0_EEESZ_S10_S11_S18_S1C_S1E_T6_T7_T9_mT8_S1G_bDpT10_ENKUlT_T0_E_clISt17integral_constantIbLb1EES1U_EEDaS1P_S1Q_EUlS1P_E_NS1_11comp_targetILNS1_3genE9ELNS1_11target_archE1100ELNS1_3gpuE3ELNS1_3repE0EEENS1_30default_config_static_selectorELNS0_4arch9wavefront6targetE1EEEvS12_
	.p2align	8
	.type	_ZN7rocprim17ROCPRIM_400000_NS6detail17trampoline_kernelINS0_13select_configILj256ELj13ELNS0_17block_load_methodE3ELS4_3ELS4_3ELNS0_20block_scan_algorithmE0ELj4294967295EEENS1_25partition_config_selectorILNS1_17partition_subalgoE4EjNS0_10empty_typeEbEEZZNS1_14partition_implILS8_4ELb0ES6_15HIP_vector_typeIjLj2EENS0_17counting_iteratorIjlEEPS9_SG_NS0_5tupleIJPjSI_NS0_16reverse_iteratorISI_EEEEENSH_IJSG_SG_SG_EEES9_SI_JZNS1_25segmented_radix_sort_implINS0_14default_configELb1EPKbPbPKlPlN2at6native12_GLOBAL__N_18offset_tEEE10hipError_tPvRmT1_PNSt15iterator_traitsIS12_E10value_typeET2_T3_PNS13_IS18_E10value_typeET4_jRbjT5_S1E_jjP12ihipStream_tbEUljE_ZNSN_ISO_Lb1ESQ_SR_ST_SU_SY_EESZ_S10_S11_S12_S16_S17_S18_S1B_S1C_jS1D_jS1E_S1E_jjS1G_bEUljE0_EEESZ_S10_S11_S18_S1C_S1E_T6_T7_T9_mT8_S1G_bDpT10_ENKUlT_T0_E_clISt17integral_constantIbLb1EES1U_EEDaS1P_S1Q_EUlS1P_E_NS1_11comp_targetILNS1_3genE9ELNS1_11target_archE1100ELNS1_3gpuE3ELNS1_3repE0EEENS1_30default_config_static_selectorELNS0_4arch9wavefront6targetE1EEEvS12_,@function
_ZN7rocprim17ROCPRIM_400000_NS6detail17trampoline_kernelINS0_13select_configILj256ELj13ELNS0_17block_load_methodE3ELS4_3ELS4_3ELNS0_20block_scan_algorithmE0ELj4294967295EEENS1_25partition_config_selectorILNS1_17partition_subalgoE4EjNS0_10empty_typeEbEEZZNS1_14partition_implILS8_4ELb0ES6_15HIP_vector_typeIjLj2EENS0_17counting_iteratorIjlEEPS9_SG_NS0_5tupleIJPjSI_NS0_16reverse_iteratorISI_EEEEENSH_IJSG_SG_SG_EEES9_SI_JZNS1_25segmented_radix_sort_implINS0_14default_configELb1EPKbPbPKlPlN2at6native12_GLOBAL__N_18offset_tEEE10hipError_tPvRmT1_PNSt15iterator_traitsIS12_E10value_typeET2_T3_PNS13_IS18_E10value_typeET4_jRbjT5_S1E_jjP12ihipStream_tbEUljE_ZNSN_ISO_Lb1ESQ_SR_ST_SU_SY_EESZ_S10_S11_S12_S16_S17_S18_S1B_S1C_jS1D_jS1E_S1E_jjS1G_bEUljE0_EEESZ_S10_S11_S18_S1C_S1E_T6_T7_T9_mT8_S1G_bDpT10_ENKUlT_T0_E_clISt17integral_constantIbLb1EES1U_EEDaS1P_S1Q_EUlS1P_E_NS1_11comp_targetILNS1_3genE9ELNS1_11target_archE1100ELNS1_3gpuE3ELNS1_3repE0EEENS1_30default_config_static_selectorELNS0_4arch9wavefront6targetE1EEEvS12_: ; @_ZN7rocprim17ROCPRIM_400000_NS6detail17trampoline_kernelINS0_13select_configILj256ELj13ELNS0_17block_load_methodE3ELS4_3ELS4_3ELNS0_20block_scan_algorithmE0ELj4294967295EEENS1_25partition_config_selectorILNS1_17partition_subalgoE4EjNS0_10empty_typeEbEEZZNS1_14partition_implILS8_4ELb0ES6_15HIP_vector_typeIjLj2EENS0_17counting_iteratorIjlEEPS9_SG_NS0_5tupleIJPjSI_NS0_16reverse_iteratorISI_EEEEENSH_IJSG_SG_SG_EEES9_SI_JZNS1_25segmented_radix_sort_implINS0_14default_configELb1EPKbPbPKlPlN2at6native12_GLOBAL__N_18offset_tEEE10hipError_tPvRmT1_PNSt15iterator_traitsIS12_E10value_typeET2_T3_PNS13_IS18_E10value_typeET4_jRbjT5_S1E_jjP12ihipStream_tbEUljE_ZNSN_ISO_Lb1ESQ_SR_ST_SU_SY_EESZ_S10_S11_S12_S16_S17_S18_S1B_S1C_jS1D_jS1E_S1E_jjS1G_bEUljE0_EEESZ_S10_S11_S18_S1C_S1E_T6_T7_T9_mT8_S1G_bDpT10_ENKUlT_T0_E_clISt17integral_constantIbLb1EES1U_EEDaS1P_S1Q_EUlS1P_E_NS1_11comp_targetILNS1_3genE9ELNS1_11target_archE1100ELNS1_3gpuE3ELNS1_3repE0EEENS1_30default_config_static_selectorELNS0_4arch9wavefront6targetE1EEEvS12_
; %bb.0:
	.section	.rodata,"a",@progbits
	.p2align	6, 0x0
	.amdhsa_kernel _ZN7rocprim17ROCPRIM_400000_NS6detail17trampoline_kernelINS0_13select_configILj256ELj13ELNS0_17block_load_methodE3ELS4_3ELS4_3ELNS0_20block_scan_algorithmE0ELj4294967295EEENS1_25partition_config_selectorILNS1_17partition_subalgoE4EjNS0_10empty_typeEbEEZZNS1_14partition_implILS8_4ELb0ES6_15HIP_vector_typeIjLj2EENS0_17counting_iteratorIjlEEPS9_SG_NS0_5tupleIJPjSI_NS0_16reverse_iteratorISI_EEEEENSH_IJSG_SG_SG_EEES9_SI_JZNS1_25segmented_radix_sort_implINS0_14default_configELb1EPKbPbPKlPlN2at6native12_GLOBAL__N_18offset_tEEE10hipError_tPvRmT1_PNSt15iterator_traitsIS12_E10value_typeET2_T3_PNS13_IS18_E10value_typeET4_jRbjT5_S1E_jjP12ihipStream_tbEUljE_ZNSN_ISO_Lb1ESQ_SR_ST_SU_SY_EESZ_S10_S11_S12_S16_S17_S18_S1B_S1C_jS1D_jS1E_S1E_jjS1G_bEUljE0_EEESZ_S10_S11_S18_S1C_S1E_T6_T7_T9_mT8_S1G_bDpT10_ENKUlT_T0_E_clISt17integral_constantIbLb1EES1U_EEDaS1P_S1Q_EUlS1P_E_NS1_11comp_targetILNS1_3genE9ELNS1_11target_archE1100ELNS1_3gpuE3ELNS1_3repE0EEENS1_30default_config_static_selectorELNS0_4arch9wavefront6targetE1EEEvS12_
		.amdhsa_group_segment_fixed_size 0
		.amdhsa_private_segment_fixed_size 0
		.amdhsa_kernarg_size 184
		.amdhsa_user_sgpr_count 6
		.amdhsa_user_sgpr_private_segment_buffer 1
		.amdhsa_user_sgpr_dispatch_ptr 0
		.amdhsa_user_sgpr_queue_ptr 0
		.amdhsa_user_sgpr_kernarg_segment_ptr 1
		.amdhsa_user_sgpr_dispatch_id 0
		.amdhsa_user_sgpr_flat_scratch_init 0
		.amdhsa_user_sgpr_kernarg_preload_length 0
		.amdhsa_user_sgpr_kernarg_preload_offset 0
		.amdhsa_user_sgpr_private_segment_size 0
		.amdhsa_uses_dynamic_stack 0
		.amdhsa_system_sgpr_private_segment_wavefront_offset 0
		.amdhsa_system_sgpr_workgroup_id_x 1
		.amdhsa_system_sgpr_workgroup_id_y 0
		.amdhsa_system_sgpr_workgroup_id_z 0
		.amdhsa_system_sgpr_workgroup_info 0
		.amdhsa_system_vgpr_workitem_id 0
		.amdhsa_next_free_vgpr 1
		.amdhsa_next_free_sgpr 0
		.amdhsa_accum_offset 4
		.amdhsa_reserve_vcc 0
		.amdhsa_reserve_flat_scratch 0
		.amdhsa_float_round_mode_32 0
		.amdhsa_float_round_mode_16_64 0
		.amdhsa_float_denorm_mode_32 3
		.amdhsa_float_denorm_mode_16_64 3
		.amdhsa_dx10_clamp 1
		.amdhsa_ieee_mode 1
		.amdhsa_fp16_overflow 0
		.amdhsa_tg_split 0
		.amdhsa_exception_fp_ieee_invalid_op 0
		.amdhsa_exception_fp_denorm_src 0
		.amdhsa_exception_fp_ieee_div_zero 0
		.amdhsa_exception_fp_ieee_overflow 0
		.amdhsa_exception_fp_ieee_underflow 0
		.amdhsa_exception_fp_ieee_inexact 0
		.amdhsa_exception_int_div_zero 0
	.end_amdhsa_kernel
	.section	.text._ZN7rocprim17ROCPRIM_400000_NS6detail17trampoline_kernelINS0_13select_configILj256ELj13ELNS0_17block_load_methodE3ELS4_3ELS4_3ELNS0_20block_scan_algorithmE0ELj4294967295EEENS1_25partition_config_selectorILNS1_17partition_subalgoE4EjNS0_10empty_typeEbEEZZNS1_14partition_implILS8_4ELb0ES6_15HIP_vector_typeIjLj2EENS0_17counting_iteratorIjlEEPS9_SG_NS0_5tupleIJPjSI_NS0_16reverse_iteratorISI_EEEEENSH_IJSG_SG_SG_EEES9_SI_JZNS1_25segmented_radix_sort_implINS0_14default_configELb1EPKbPbPKlPlN2at6native12_GLOBAL__N_18offset_tEEE10hipError_tPvRmT1_PNSt15iterator_traitsIS12_E10value_typeET2_T3_PNS13_IS18_E10value_typeET4_jRbjT5_S1E_jjP12ihipStream_tbEUljE_ZNSN_ISO_Lb1ESQ_SR_ST_SU_SY_EESZ_S10_S11_S12_S16_S17_S18_S1B_S1C_jS1D_jS1E_S1E_jjS1G_bEUljE0_EEESZ_S10_S11_S18_S1C_S1E_T6_T7_T9_mT8_S1G_bDpT10_ENKUlT_T0_E_clISt17integral_constantIbLb1EES1U_EEDaS1P_S1Q_EUlS1P_E_NS1_11comp_targetILNS1_3genE9ELNS1_11target_archE1100ELNS1_3gpuE3ELNS1_3repE0EEENS1_30default_config_static_selectorELNS0_4arch9wavefront6targetE1EEEvS12_,"axG",@progbits,_ZN7rocprim17ROCPRIM_400000_NS6detail17trampoline_kernelINS0_13select_configILj256ELj13ELNS0_17block_load_methodE3ELS4_3ELS4_3ELNS0_20block_scan_algorithmE0ELj4294967295EEENS1_25partition_config_selectorILNS1_17partition_subalgoE4EjNS0_10empty_typeEbEEZZNS1_14partition_implILS8_4ELb0ES6_15HIP_vector_typeIjLj2EENS0_17counting_iteratorIjlEEPS9_SG_NS0_5tupleIJPjSI_NS0_16reverse_iteratorISI_EEEEENSH_IJSG_SG_SG_EEES9_SI_JZNS1_25segmented_radix_sort_implINS0_14default_configELb1EPKbPbPKlPlN2at6native12_GLOBAL__N_18offset_tEEE10hipError_tPvRmT1_PNSt15iterator_traitsIS12_E10value_typeET2_T3_PNS13_IS18_E10value_typeET4_jRbjT5_S1E_jjP12ihipStream_tbEUljE_ZNSN_ISO_Lb1ESQ_SR_ST_SU_SY_EESZ_S10_S11_S12_S16_S17_S18_S1B_S1C_jS1D_jS1E_S1E_jjS1G_bEUljE0_EEESZ_S10_S11_S18_S1C_S1E_T6_T7_T9_mT8_S1G_bDpT10_ENKUlT_T0_E_clISt17integral_constantIbLb1EES1U_EEDaS1P_S1Q_EUlS1P_E_NS1_11comp_targetILNS1_3genE9ELNS1_11target_archE1100ELNS1_3gpuE3ELNS1_3repE0EEENS1_30default_config_static_selectorELNS0_4arch9wavefront6targetE1EEEvS12_,comdat
.Lfunc_end1480:
	.size	_ZN7rocprim17ROCPRIM_400000_NS6detail17trampoline_kernelINS0_13select_configILj256ELj13ELNS0_17block_load_methodE3ELS4_3ELS4_3ELNS0_20block_scan_algorithmE0ELj4294967295EEENS1_25partition_config_selectorILNS1_17partition_subalgoE4EjNS0_10empty_typeEbEEZZNS1_14partition_implILS8_4ELb0ES6_15HIP_vector_typeIjLj2EENS0_17counting_iteratorIjlEEPS9_SG_NS0_5tupleIJPjSI_NS0_16reverse_iteratorISI_EEEEENSH_IJSG_SG_SG_EEES9_SI_JZNS1_25segmented_radix_sort_implINS0_14default_configELb1EPKbPbPKlPlN2at6native12_GLOBAL__N_18offset_tEEE10hipError_tPvRmT1_PNSt15iterator_traitsIS12_E10value_typeET2_T3_PNS13_IS18_E10value_typeET4_jRbjT5_S1E_jjP12ihipStream_tbEUljE_ZNSN_ISO_Lb1ESQ_SR_ST_SU_SY_EESZ_S10_S11_S12_S16_S17_S18_S1B_S1C_jS1D_jS1E_S1E_jjS1G_bEUljE0_EEESZ_S10_S11_S18_S1C_S1E_T6_T7_T9_mT8_S1G_bDpT10_ENKUlT_T0_E_clISt17integral_constantIbLb1EES1U_EEDaS1P_S1Q_EUlS1P_E_NS1_11comp_targetILNS1_3genE9ELNS1_11target_archE1100ELNS1_3gpuE3ELNS1_3repE0EEENS1_30default_config_static_selectorELNS0_4arch9wavefront6targetE1EEEvS12_, .Lfunc_end1480-_ZN7rocprim17ROCPRIM_400000_NS6detail17trampoline_kernelINS0_13select_configILj256ELj13ELNS0_17block_load_methodE3ELS4_3ELS4_3ELNS0_20block_scan_algorithmE0ELj4294967295EEENS1_25partition_config_selectorILNS1_17partition_subalgoE4EjNS0_10empty_typeEbEEZZNS1_14partition_implILS8_4ELb0ES6_15HIP_vector_typeIjLj2EENS0_17counting_iteratorIjlEEPS9_SG_NS0_5tupleIJPjSI_NS0_16reverse_iteratorISI_EEEEENSH_IJSG_SG_SG_EEES9_SI_JZNS1_25segmented_radix_sort_implINS0_14default_configELb1EPKbPbPKlPlN2at6native12_GLOBAL__N_18offset_tEEE10hipError_tPvRmT1_PNSt15iterator_traitsIS12_E10value_typeET2_T3_PNS13_IS18_E10value_typeET4_jRbjT5_S1E_jjP12ihipStream_tbEUljE_ZNSN_ISO_Lb1ESQ_SR_ST_SU_SY_EESZ_S10_S11_S12_S16_S17_S18_S1B_S1C_jS1D_jS1E_S1E_jjS1G_bEUljE0_EEESZ_S10_S11_S18_S1C_S1E_T6_T7_T9_mT8_S1G_bDpT10_ENKUlT_T0_E_clISt17integral_constantIbLb1EES1U_EEDaS1P_S1Q_EUlS1P_E_NS1_11comp_targetILNS1_3genE9ELNS1_11target_archE1100ELNS1_3gpuE3ELNS1_3repE0EEENS1_30default_config_static_selectorELNS0_4arch9wavefront6targetE1EEEvS12_
                                        ; -- End function
	.section	.AMDGPU.csdata,"",@progbits
; Kernel info:
; codeLenInByte = 0
; NumSgprs: 4
; NumVgprs: 0
; NumAgprs: 0
; TotalNumVgprs: 0
; ScratchSize: 0
; MemoryBound: 0
; FloatMode: 240
; IeeeMode: 1
; LDSByteSize: 0 bytes/workgroup (compile time only)
; SGPRBlocks: 0
; VGPRBlocks: 0
; NumSGPRsForWavesPerEU: 4
; NumVGPRsForWavesPerEU: 1
; AccumOffset: 4
; Occupancy: 8
; WaveLimiterHint : 0
; COMPUTE_PGM_RSRC2:SCRATCH_EN: 0
; COMPUTE_PGM_RSRC2:USER_SGPR: 6
; COMPUTE_PGM_RSRC2:TRAP_HANDLER: 0
; COMPUTE_PGM_RSRC2:TGID_X_EN: 1
; COMPUTE_PGM_RSRC2:TGID_Y_EN: 0
; COMPUTE_PGM_RSRC2:TGID_Z_EN: 0
; COMPUTE_PGM_RSRC2:TIDIG_COMP_CNT: 0
; COMPUTE_PGM_RSRC3_GFX90A:ACCUM_OFFSET: 0
; COMPUTE_PGM_RSRC3_GFX90A:TG_SPLIT: 0
	.section	.text._ZN7rocprim17ROCPRIM_400000_NS6detail17trampoline_kernelINS0_13select_configILj256ELj13ELNS0_17block_load_methodE3ELS4_3ELS4_3ELNS0_20block_scan_algorithmE0ELj4294967295EEENS1_25partition_config_selectorILNS1_17partition_subalgoE4EjNS0_10empty_typeEbEEZZNS1_14partition_implILS8_4ELb0ES6_15HIP_vector_typeIjLj2EENS0_17counting_iteratorIjlEEPS9_SG_NS0_5tupleIJPjSI_NS0_16reverse_iteratorISI_EEEEENSH_IJSG_SG_SG_EEES9_SI_JZNS1_25segmented_radix_sort_implINS0_14default_configELb1EPKbPbPKlPlN2at6native12_GLOBAL__N_18offset_tEEE10hipError_tPvRmT1_PNSt15iterator_traitsIS12_E10value_typeET2_T3_PNS13_IS18_E10value_typeET4_jRbjT5_S1E_jjP12ihipStream_tbEUljE_ZNSN_ISO_Lb1ESQ_SR_ST_SU_SY_EESZ_S10_S11_S12_S16_S17_S18_S1B_S1C_jS1D_jS1E_S1E_jjS1G_bEUljE0_EEESZ_S10_S11_S18_S1C_S1E_T6_T7_T9_mT8_S1G_bDpT10_ENKUlT_T0_E_clISt17integral_constantIbLb1EES1U_EEDaS1P_S1Q_EUlS1P_E_NS1_11comp_targetILNS1_3genE8ELNS1_11target_archE1030ELNS1_3gpuE2ELNS1_3repE0EEENS1_30default_config_static_selectorELNS0_4arch9wavefront6targetE1EEEvS12_,"axG",@progbits,_ZN7rocprim17ROCPRIM_400000_NS6detail17trampoline_kernelINS0_13select_configILj256ELj13ELNS0_17block_load_methodE3ELS4_3ELS4_3ELNS0_20block_scan_algorithmE0ELj4294967295EEENS1_25partition_config_selectorILNS1_17partition_subalgoE4EjNS0_10empty_typeEbEEZZNS1_14partition_implILS8_4ELb0ES6_15HIP_vector_typeIjLj2EENS0_17counting_iteratorIjlEEPS9_SG_NS0_5tupleIJPjSI_NS0_16reverse_iteratorISI_EEEEENSH_IJSG_SG_SG_EEES9_SI_JZNS1_25segmented_radix_sort_implINS0_14default_configELb1EPKbPbPKlPlN2at6native12_GLOBAL__N_18offset_tEEE10hipError_tPvRmT1_PNSt15iterator_traitsIS12_E10value_typeET2_T3_PNS13_IS18_E10value_typeET4_jRbjT5_S1E_jjP12ihipStream_tbEUljE_ZNSN_ISO_Lb1ESQ_SR_ST_SU_SY_EESZ_S10_S11_S12_S16_S17_S18_S1B_S1C_jS1D_jS1E_S1E_jjS1G_bEUljE0_EEESZ_S10_S11_S18_S1C_S1E_T6_T7_T9_mT8_S1G_bDpT10_ENKUlT_T0_E_clISt17integral_constantIbLb1EES1U_EEDaS1P_S1Q_EUlS1P_E_NS1_11comp_targetILNS1_3genE8ELNS1_11target_archE1030ELNS1_3gpuE2ELNS1_3repE0EEENS1_30default_config_static_selectorELNS0_4arch9wavefront6targetE1EEEvS12_,comdat
	.globl	_ZN7rocprim17ROCPRIM_400000_NS6detail17trampoline_kernelINS0_13select_configILj256ELj13ELNS0_17block_load_methodE3ELS4_3ELS4_3ELNS0_20block_scan_algorithmE0ELj4294967295EEENS1_25partition_config_selectorILNS1_17partition_subalgoE4EjNS0_10empty_typeEbEEZZNS1_14partition_implILS8_4ELb0ES6_15HIP_vector_typeIjLj2EENS0_17counting_iteratorIjlEEPS9_SG_NS0_5tupleIJPjSI_NS0_16reverse_iteratorISI_EEEEENSH_IJSG_SG_SG_EEES9_SI_JZNS1_25segmented_radix_sort_implINS0_14default_configELb1EPKbPbPKlPlN2at6native12_GLOBAL__N_18offset_tEEE10hipError_tPvRmT1_PNSt15iterator_traitsIS12_E10value_typeET2_T3_PNS13_IS18_E10value_typeET4_jRbjT5_S1E_jjP12ihipStream_tbEUljE_ZNSN_ISO_Lb1ESQ_SR_ST_SU_SY_EESZ_S10_S11_S12_S16_S17_S18_S1B_S1C_jS1D_jS1E_S1E_jjS1G_bEUljE0_EEESZ_S10_S11_S18_S1C_S1E_T6_T7_T9_mT8_S1G_bDpT10_ENKUlT_T0_E_clISt17integral_constantIbLb1EES1U_EEDaS1P_S1Q_EUlS1P_E_NS1_11comp_targetILNS1_3genE8ELNS1_11target_archE1030ELNS1_3gpuE2ELNS1_3repE0EEENS1_30default_config_static_selectorELNS0_4arch9wavefront6targetE1EEEvS12_ ; -- Begin function _ZN7rocprim17ROCPRIM_400000_NS6detail17trampoline_kernelINS0_13select_configILj256ELj13ELNS0_17block_load_methodE3ELS4_3ELS4_3ELNS0_20block_scan_algorithmE0ELj4294967295EEENS1_25partition_config_selectorILNS1_17partition_subalgoE4EjNS0_10empty_typeEbEEZZNS1_14partition_implILS8_4ELb0ES6_15HIP_vector_typeIjLj2EENS0_17counting_iteratorIjlEEPS9_SG_NS0_5tupleIJPjSI_NS0_16reverse_iteratorISI_EEEEENSH_IJSG_SG_SG_EEES9_SI_JZNS1_25segmented_radix_sort_implINS0_14default_configELb1EPKbPbPKlPlN2at6native12_GLOBAL__N_18offset_tEEE10hipError_tPvRmT1_PNSt15iterator_traitsIS12_E10value_typeET2_T3_PNS13_IS18_E10value_typeET4_jRbjT5_S1E_jjP12ihipStream_tbEUljE_ZNSN_ISO_Lb1ESQ_SR_ST_SU_SY_EESZ_S10_S11_S12_S16_S17_S18_S1B_S1C_jS1D_jS1E_S1E_jjS1G_bEUljE0_EEESZ_S10_S11_S18_S1C_S1E_T6_T7_T9_mT8_S1G_bDpT10_ENKUlT_T0_E_clISt17integral_constantIbLb1EES1U_EEDaS1P_S1Q_EUlS1P_E_NS1_11comp_targetILNS1_3genE8ELNS1_11target_archE1030ELNS1_3gpuE2ELNS1_3repE0EEENS1_30default_config_static_selectorELNS0_4arch9wavefront6targetE1EEEvS12_
	.p2align	8
	.type	_ZN7rocprim17ROCPRIM_400000_NS6detail17trampoline_kernelINS0_13select_configILj256ELj13ELNS0_17block_load_methodE3ELS4_3ELS4_3ELNS0_20block_scan_algorithmE0ELj4294967295EEENS1_25partition_config_selectorILNS1_17partition_subalgoE4EjNS0_10empty_typeEbEEZZNS1_14partition_implILS8_4ELb0ES6_15HIP_vector_typeIjLj2EENS0_17counting_iteratorIjlEEPS9_SG_NS0_5tupleIJPjSI_NS0_16reverse_iteratorISI_EEEEENSH_IJSG_SG_SG_EEES9_SI_JZNS1_25segmented_radix_sort_implINS0_14default_configELb1EPKbPbPKlPlN2at6native12_GLOBAL__N_18offset_tEEE10hipError_tPvRmT1_PNSt15iterator_traitsIS12_E10value_typeET2_T3_PNS13_IS18_E10value_typeET4_jRbjT5_S1E_jjP12ihipStream_tbEUljE_ZNSN_ISO_Lb1ESQ_SR_ST_SU_SY_EESZ_S10_S11_S12_S16_S17_S18_S1B_S1C_jS1D_jS1E_S1E_jjS1G_bEUljE0_EEESZ_S10_S11_S18_S1C_S1E_T6_T7_T9_mT8_S1G_bDpT10_ENKUlT_T0_E_clISt17integral_constantIbLb1EES1U_EEDaS1P_S1Q_EUlS1P_E_NS1_11comp_targetILNS1_3genE8ELNS1_11target_archE1030ELNS1_3gpuE2ELNS1_3repE0EEENS1_30default_config_static_selectorELNS0_4arch9wavefront6targetE1EEEvS12_,@function
_ZN7rocprim17ROCPRIM_400000_NS6detail17trampoline_kernelINS0_13select_configILj256ELj13ELNS0_17block_load_methodE3ELS4_3ELS4_3ELNS0_20block_scan_algorithmE0ELj4294967295EEENS1_25partition_config_selectorILNS1_17partition_subalgoE4EjNS0_10empty_typeEbEEZZNS1_14partition_implILS8_4ELb0ES6_15HIP_vector_typeIjLj2EENS0_17counting_iteratorIjlEEPS9_SG_NS0_5tupleIJPjSI_NS0_16reverse_iteratorISI_EEEEENSH_IJSG_SG_SG_EEES9_SI_JZNS1_25segmented_radix_sort_implINS0_14default_configELb1EPKbPbPKlPlN2at6native12_GLOBAL__N_18offset_tEEE10hipError_tPvRmT1_PNSt15iterator_traitsIS12_E10value_typeET2_T3_PNS13_IS18_E10value_typeET4_jRbjT5_S1E_jjP12ihipStream_tbEUljE_ZNSN_ISO_Lb1ESQ_SR_ST_SU_SY_EESZ_S10_S11_S12_S16_S17_S18_S1B_S1C_jS1D_jS1E_S1E_jjS1G_bEUljE0_EEESZ_S10_S11_S18_S1C_S1E_T6_T7_T9_mT8_S1G_bDpT10_ENKUlT_T0_E_clISt17integral_constantIbLb1EES1U_EEDaS1P_S1Q_EUlS1P_E_NS1_11comp_targetILNS1_3genE8ELNS1_11target_archE1030ELNS1_3gpuE2ELNS1_3repE0EEENS1_30default_config_static_selectorELNS0_4arch9wavefront6targetE1EEEvS12_: ; @_ZN7rocprim17ROCPRIM_400000_NS6detail17trampoline_kernelINS0_13select_configILj256ELj13ELNS0_17block_load_methodE3ELS4_3ELS4_3ELNS0_20block_scan_algorithmE0ELj4294967295EEENS1_25partition_config_selectorILNS1_17partition_subalgoE4EjNS0_10empty_typeEbEEZZNS1_14partition_implILS8_4ELb0ES6_15HIP_vector_typeIjLj2EENS0_17counting_iteratorIjlEEPS9_SG_NS0_5tupleIJPjSI_NS0_16reverse_iteratorISI_EEEEENSH_IJSG_SG_SG_EEES9_SI_JZNS1_25segmented_radix_sort_implINS0_14default_configELb1EPKbPbPKlPlN2at6native12_GLOBAL__N_18offset_tEEE10hipError_tPvRmT1_PNSt15iterator_traitsIS12_E10value_typeET2_T3_PNS13_IS18_E10value_typeET4_jRbjT5_S1E_jjP12ihipStream_tbEUljE_ZNSN_ISO_Lb1ESQ_SR_ST_SU_SY_EESZ_S10_S11_S12_S16_S17_S18_S1B_S1C_jS1D_jS1E_S1E_jjS1G_bEUljE0_EEESZ_S10_S11_S18_S1C_S1E_T6_T7_T9_mT8_S1G_bDpT10_ENKUlT_T0_E_clISt17integral_constantIbLb1EES1U_EEDaS1P_S1Q_EUlS1P_E_NS1_11comp_targetILNS1_3genE8ELNS1_11target_archE1030ELNS1_3gpuE2ELNS1_3repE0EEENS1_30default_config_static_selectorELNS0_4arch9wavefront6targetE1EEEvS12_
; %bb.0:
	.section	.rodata,"a",@progbits
	.p2align	6, 0x0
	.amdhsa_kernel _ZN7rocprim17ROCPRIM_400000_NS6detail17trampoline_kernelINS0_13select_configILj256ELj13ELNS0_17block_load_methodE3ELS4_3ELS4_3ELNS0_20block_scan_algorithmE0ELj4294967295EEENS1_25partition_config_selectorILNS1_17partition_subalgoE4EjNS0_10empty_typeEbEEZZNS1_14partition_implILS8_4ELb0ES6_15HIP_vector_typeIjLj2EENS0_17counting_iteratorIjlEEPS9_SG_NS0_5tupleIJPjSI_NS0_16reverse_iteratorISI_EEEEENSH_IJSG_SG_SG_EEES9_SI_JZNS1_25segmented_radix_sort_implINS0_14default_configELb1EPKbPbPKlPlN2at6native12_GLOBAL__N_18offset_tEEE10hipError_tPvRmT1_PNSt15iterator_traitsIS12_E10value_typeET2_T3_PNS13_IS18_E10value_typeET4_jRbjT5_S1E_jjP12ihipStream_tbEUljE_ZNSN_ISO_Lb1ESQ_SR_ST_SU_SY_EESZ_S10_S11_S12_S16_S17_S18_S1B_S1C_jS1D_jS1E_S1E_jjS1G_bEUljE0_EEESZ_S10_S11_S18_S1C_S1E_T6_T7_T9_mT8_S1G_bDpT10_ENKUlT_T0_E_clISt17integral_constantIbLb1EES1U_EEDaS1P_S1Q_EUlS1P_E_NS1_11comp_targetILNS1_3genE8ELNS1_11target_archE1030ELNS1_3gpuE2ELNS1_3repE0EEENS1_30default_config_static_selectorELNS0_4arch9wavefront6targetE1EEEvS12_
		.amdhsa_group_segment_fixed_size 0
		.amdhsa_private_segment_fixed_size 0
		.amdhsa_kernarg_size 184
		.amdhsa_user_sgpr_count 6
		.amdhsa_user_sgpr_private_segment_buffer 1
		.amdhsa_user_sgpr_dispatch_ptr 0
		.amdhsa_user_sgpr_queue_ptr 0
		.amdhsa_user_sgpr_kernarg_segment_ptr 1
		.amdhsa_user_sgpr_dispatch_id 0
		.amdhsa_user_sgpr_flat_scratch_init 0
		.amdhsa_user_sgpr_kernarg_preload_length 0
		.amdhsa_user_sgpr_kernarg_preload_offset 0
		.amdhsa_user_sgpr_private_segment_size 0
		.amdhsa_uses_dynamic_stack 0
		.amdhsa_system_sgpr_private_segment_wavefront_offset 0
		.amdhsa_system_sgpr_workgroup_id_x 1
		.amdhsa_system_sgpr_workgroup_id_y 0
		.amdhsa_system_sgpr_workgroup_id_z 0
		.amdhsa_system_sgpr_workgroup_info 0
		.amdhsa_system_vgpr_workitem_id 0
		.amdhsa_next_free_vgpr 1
		.amdhsa_next_free_sgpr 0
		.amdhsa_accum_offset 4
		.amdhsa_reserve_vcc 0
		.amdhsa_reserve_flat_scratch 0
		.amdhsa_float_round_mode_32 0
		.amdhsa_float_round_mode_16_64 0
		.amdhsa_float_denorm_mode_32 3
		.amdhsa_float_denorm_mode_16_64 3
		.amdhsa_dx10_clamp 1
		.amdhsa_ieee_mode 1
		.amdhsa_fp16_overflow 0
		.amdhsa_tg_split 0
		.amdhsa_exception_fp_ieee_invalid_op 0
		.amdhsa_exception_fp_denorm_src 0
		.amdhsa_exception_fp_ieee_div_zero 0
		.amdhsa_exception_fp_ieee_overflow 0
		.amdhsa_exception_fp_ieee_underflow 0
		.amdhsa_exception_fp_ieee_inexact 0
		.amdhsa_exception_int_div_zero 0
	.end_amdhsa_kernel
	.section	.text._ZN7rocprim17ROCPRIM_400000_NS6detail17trampoline_kernelINS0_13select_configILj256ELj13ELNS0_17block_load_methodE3ELS4_3ELS4_3ELNS0_20block_scan_algorithmE0ELj4294967295EEENS1_25partition_config_selectorILNS1_17partition_subalgoE4EjNS0_10empty_typeEbEEZZNS1_14partition_implILS8_4ELb0ES6_15HIP_vector_typeIjLj2EENS0_17counting_iteratorIjlEEPS9_SG_NS0_5tupleIJPjSI_NS0_16reverse_iteratorISI_EEEEENSH_IJSG_SG_SG_EEES9_SI_JZNS1_25segmented_radix_sort_implINS0_14default_configELb1EPKbPbPKlPlN2at6native12_GLOBAL__N_18offset_tEEE10hipError_tPvRmT1_PNSt15iterator_traitsIS12_E10value_typeET2_T3_PNS13_IS18_E10value_typeET4_jRbjT5_S1E_jjP12ihipStream_tbEUljE_ZNSN_ISO_Lb1ESQ_SR_ST_SU_SY_EESZ_S10_S11_S12_S16_S17_S18_S1B_S1C_jS1D_jS1E_S1E_jjS1G_bEUljE0_EEESZ_S10_S11_S18_S1C_S1E_T6_T7_T9_mT8_S1G_bDpT10_ENKUlT_T0_E_clISt17integral_constantIbLb1EES1U_EEDaS1P_S1Q_EUlS1P_E_NS1_11comp_targetILNS1_3genE8ELNS1_11target_archE1030ELNS1_3gpuE2ELNS1_3repE0EEENS1_30default_config_static_selectorELNS0_4arch9wavefront6targetE1EEEvS12_,"axG",@progbits,_ZN7rocprim17ROCPRIM_400000_NS6detail17trampoline_kernelINS0_13select_configILj256ELj13ELNS0_17block_load_methodE3ELS4_3ELS4_3ELNS0_20block_scan_algorithmE0ELj4294967295EEENS1_25partition_config_selectorILNS1_17partition_subalgoE4EjNS0_10empty_typeEbEEZZNS1_14partition_implILS8_4ELb0ES6_15HIP_vector_typeIjLj2EENS0_17counting_iteratorIjlEEPS9_SG_NS0_5tupleIJPjSI_NS0_16reverse_iteratorISI_EEEEENSH_IJSG_SG_SG_EEES9_SI_JZNS1_25segmented_radix_sort_implINS0_14default_configELb1EPKbPbPKlPlN2at6native12_GLOBAL__N_18offset_tEEE10hipError_tPvRmT1_PNSt15iterator_traitsIS12_E10value_typeET2_T3_PNS13_IS18_E10value_typeET4_jRbjT5_S1E_jjP12ihipStream_tbEUljE_ZNSN_ISO_Lb1ESQ_SR_ST_SU_SY_EESZ_S10_S11_S12_S16_S17_S18_S1B_S1C_jS1D_jS1E_S1E_jjS1G_bEUljE0_EEESZ_S10_S11_S18_S1C_S1E_T6_T7_T9_mT8_S1G_bDpT10_ENKUlT_T0_E_clISt17integral_constantIbLb1EES1U_EEDaS1P_S1Q_EUlS1P_E_NS1_11comp_targetILNS1_3genE8ELNS1_11target_archE1030ELNS1_3gpuE2ELNS1_3repE0EEENS1_30default_config_static_selectorELNS0_4arch9wavefront6targetE1EEEvS12_,comdat
.Lfunc_end1481:
	.size	_ZN7rocprim17ROCPRIM_400000_NS6detail17trampoline_kernelINS0_13select_configILj256ELj13ELNS0_17block_load_methodE3ELS4_3ELS4_3ELNS0_20block_scan_algorithmE0ELj4294967295EEENS1_25partition_config_selectorILNS1_17partition_subalgoE4EjNS0_10empty_typeEbEEZZNS1_14partition_implILS8_4ELb0ES6_15HIP_vector_typeIjLj2EENS0_17counting_iteratorIjlEEPS9_SG_NS0_5tupleIJPjSI_NS0_16reverse_iteratorISI_EEEEENSH_IJSG_SG_SG_EEES9_SI_JZNS1_25segmented_radix_sort_implINS0_14default_configELb1EPKbPbPKlPlN2at6native12_GLOBAL__N_18offset_tEEE10hipError_tPvRmT1_PNSt15iterator_traitsIS12_E10value_typeET2_T3_PNS13_IS18_E10value_typeET4_jRbjT5_S1E_jjP12ihipStream_tbEUljE_ZNSN_ISO_Lb1ESQ_SR_ST_SU_SY_EESZ_S10_S11_S12_S16_S17_S18_S1B_S1C_jS1D_jS1E_S1E_jjS1G_bEUljE0_EEESZ_S10_S11_S18_S1C_S1E_T6_T7_T9_mT8_S1G_bDpT10_ENKUlT_T0_E_clISt17integral_constantIbLb1EES1U_EEDaS1P_S1Q_EUlS1P_E_NS1_11comp_targetILNS1_3genE8ELNS1_11target_archE1030ELNS1_3gpuE2ELNS1_3repE0EEENS1_30default_config_static_selectorELNS0_4arch9wavefront6targetE1EEEvS12_, .Lfunc_end1481-_ZN7rocprim17ROCPRIM_400000_NS6detail17trampoline_kernelINS0_13select_configILj256ELj13ELNS0_17block_load_methodE3ELS4_3ELS4_3ELNS0_20block_scan_algorithmE0ELj4294967295EEENS1_25partition_config_selectorILNS1_17partition_subalgoE4EjNS0_10empty_typeEbEEZZNS1_14partition_implILS8_4ELb0ES6_15HIP_vector_typeIjLj2EENS0_17counting_iteratorIjlEEPS9_SG_NS0_5tupleIJPjSI_NS0_16reverse_iteratorISI_EEEEENSH_IJSG_SG_SG_EEES9_SI_JZNS1_25segmented_radix_sort_implINS0_14default_configELb1EPKbPbPKlPlN2at6native12_GLOBAL__N_18offset_tEEE10hipError_tPvRmT1_PNSt15iterator_traitsIS12_E10value_typeET2_T3_PNS13_IS18_E10value_typeET4_jRbjT5_S1E_jjP12ihipStream_tbEUljE_ZNSN_ISO_Lb1ESQ_SR_ST_SU_SY_EESZ_S10_S11_S12_S16_S17_S18_S1B_S1C_jS1D_jS1E_S1E_jjS1G_bEUljE0_EEESZ_S10_S11_S18_S1C_S1E_T6_T7_T9_mT8_S1G_bDpT10_ENKUlT_T0_E_clISt17integral_constantIbLb1EES1U_EEDaS1P_S1Q_EUlS1P_E_NS1_11comp_targetILNS1_3genE8ELNS1_11target_archE1030ELNS1_3gpuE2ELNS1_3repE0EEENS1_30default_config_static_selectorELNS0_4arch9wavefront6targetE1EEEvS12_
                                        ; -- End function
	.section	.AMDGPU.csdata,"",@progbits
; Kernel info:
; codeLenInByte = 0
; NumSgprs: 4
; NumVgprs: 0
; NumAgprs: 0
; TotalNumVgprs: 0
; ScratchSize: 0
; MemoryBound: 0
; FloatMode: 240
; IeeeMode: 1
; LDSByteSize: 0 bytes/workgroup (compile time only)
; SGPRBlocks: 0
; VGPRBlocks: 0
; NumSGPRsForWavesPerEU: 4
; NumVGPRsForWavesPerEU: 1
; AccumOffset: 4
; Occupancy: 8
; WaveLimiterHint : 0
; COMPUTE_PGM_RSRC2:SCRATCH_EN: 0
; COMPUTE_PGM_RSRC2:USER_SGPR: 6
; COMPUTE_PGM_RSRC2:TRAP_HANDLER: 0
; COMPUTE_PGM_RSRC2:TGID_X_EN: 1
; COMPUTE_PGM_RSRC2:TGID_Y_EN: 0
; COMPUTE_PGM_RSRC2:TGID_Z_EN: 0
; COMPUTE_PGM_RSRC2:TIDIG_COMP_CNT: 0
; COMPUTE_PGM_RSRC3_GFX90A:ACCUM_OFFSET: 0
; COMPUTE_PGM_RSRC3_GFX90A:TG_SPLIT: 0
	.section	.text._ZN7rocprim17ROCPRIM_400000_NS6detail17trampoline_kernelINS0_13select_configILj256ELj13ELNS0_17block_load_methodE3ELS4_3ELS4_3ELNS0_20block_scan_algorithmE0ELj4294967295EEENS1_25partition_config_selectorILNS1_17partition_subalgoE4EjNS0_10empty_typeEbEEZZNS1_14partition_implILS8_4ELb0ES6_15HIP_vector_typeIjLj2EENS0_17counting_iteratorIjlEEPS9_SG_NS0_5tupleIJPjSI_NS0_16reverse_iteratorISI_EEEEENSH_IJSG_SG_SG_EEES9_SI_JZNS1_25segmented_radix_sort_implINS0_14default_configELb1EPKbPbPKlPlN2at6native12_GLOBAL__N_18offset_tEEE10hipError_tPvRmT1_PNSt15iterator_traitsIS12_E10value_typeET2_T3_PNS13_IS18_E10value_typeET4_jRbjT5_S1E_jjP12ihipStream_tbEUljE_ZNSN_ISO_Lb1ESQ_SR_ST_SU_SY_EESZ_S10_S11_S12_S16_S17_S18_S1B_S1C_jS1D_jS1E_S1E_jjS1G_bEUljE0_EEESZ_S10_S11_S18_S1C_S1E_T6_T7_T9_mT8_S1G_bDpT10_ENKUlT_T0_E_clISt17integral_constantIbLb1EES1T_IbLb0EEEEDaS1P_S1Q_EUlS1P_E_NS1_11comp_targetILNS1_3genE0ELNS1_11target_archE4294967295ELNS1_3gpuE0ELNS1_3repE0EEENS1_30default_config_static_selectorELNS0_4arch9wavefront6targetE1EEEvS12_,"axG",@progbits,_ZN7rocprim17ROCPRIM_400000_NS6detail17trampoline_kernelINS0_13select_configILj256ELj13ELNS0_17block_load_methodE3ELS4_3ELS4_3ELNS0_20block_scan_algorithmE0ELj4294967295EEENS1_25partition_config_selectorILNS1_17partition_subalgoE4EjNS0_10empty_typeEbEEZZNS1_14partition_implILS8_4ELb0ES6_15HIP_vector_typeIjLj2EENS0_17counting_iteratorIjlEEPS9_SG_NS0_5tupleIJPjSI_NS0_16reverse_iteratorISI_EEEEENSH_IJSG_SG_SG_EEES9_SI_JZNS1_25segmented_radix_sort_implINS0_14default_configELb1EPKbPbPKlPlN2at6native12_GLOBAL__N_18offset_tEEE10hipError_tPvRmT1_PNSt15iterator_traitsIS12_E10value_typeET2_T3_PNS13_IS18_E10value_typeET4_jRbjT5_S1E_jjP12ihipStream_tbEUljE_ZNSN_ISO_Lb1ESQ_SR_ST_SU_SY_EESZ_S10_S11_S12_S16_S17_S18_S1B_S1C_jS1D_jS1E_S1E_jjS1G_bEUljE0_EEESZ_S10_S11_S18_S1C_S1E_T6_T7_T9_mT8_S1G_bDpT10_ENKUlT_T0_E_clISt17integral_constantIbLb1EES1T_IbLb0EEEEDaS1P_S1Q_EUlS1P_E_NS1_11comp_targetILNS1_3genE0ELNS1_11target_archE4294967295ELNS1_3gpuE0ELNS1_3repE0EEENS1_30default_config_static_selectorELNS0_4arch9wavefront6targetE1EEEvS12_,comdat
	.globl	_ZN7rocprim17ROCPRIM_400000_NS6detail17trampoline_kernelINS0_13select_configILj256ELj13ELNS0_17block_load_methodE3ELS4_3ELS4_3ELNS0_20block_scan_algorithmE0ELj4294967295EEENS1_25partition_config_selectorILNS1_17partition_subalgoE4EjNS0_10empty_typeEbEEZZNS1_14partition_implILS8_4ELb0ES6_15HIP_vector_typeIjLj2EENS0_17counting_iteratorIjlEEPS9_SG_NS0_5tupleIJPjSI_NS0_16reverse_iteratorISI_EEEEENSH_IJSG_SG_SG_EEES9_SI_JZNS1_25segmented_radix_sort_implINS0_14default_configELb1EPKbPbPKlPlN2at6native12_GLOBAL__N_18offset_tEEE10hipError_tPvRmT1_PNSt15iterator_traitsIS12_E10value_typeET2_T3_PNS13_IS18_E10value_typeET4_jRbjT5_S1E_jjP12ihipStream_tbEUljE_ZNSN_ISO_Lb1ESQ_SR_ST_SU_SY_EESZ_S10_S11_S12_S16_S17_S18_S1B_S1C_jS1D_jS1E_S1E_jjS1G_bEUljE0_EEESZ_S10_S11_S18_S1C_S1E_T6_T7_T9_mT8_S1G_bDpT10_ENKUlT_T0_E_clISt17integral_constantIbLb1EES1T_IbLb0EEEEDaS1P_S1Q_EUlS1P_E_NS1_11comp_targetILNS1_3genE0ELNS1_11target_archE4294967295ELNS1_3gpuE0ELNS1_3repE0EEENS1_30default_config_static_selectorELNS0_4arch9wavefront6targetE1EEEvS12_ ; -- Begin function _ZN7rocprim17ROCPRIM_400000_NS6detail17trampoline_kernelINS0_13select_configILj256ELj13ELNS0_17block_load_methodE3ELS4_3ELS4_3ELNS0_20block_scan_algorithmE0ELj4294967295EEENS1_25partition_config_selectorILNS1_17partition_subalgoE4EjNS0_10empty_typeEbEEZZNS1_14partition_implILS8_4ELb0ES6_15HIP_vector_typeIjLj2EENS0_17counting_iteratorIjlEEPS9_SG_NS0_5tupleIJPjSI_NS0_16reverse_iteratorISI_EEEEENSH_IJSG_SG_SG_EEES9_SI_JZNS1_25segmented_radix_sort_implINS0_14default_configELb1EPKbPbPKlPlN2at6native12_GLOBAL__N_18offset_tEEE10hipError_tPvRmT1_PNSt15iterator_traitsIS12_E10value_typeET2_T3_PNS13_IS18_E10value_typeET4_jRbjT5_S1E_jjP12ihipStream_tbEUljE_ZNSN_ISO_Lb1ESQ_SR_ST_SU_SY_EESZ_S10_S11_S12_S16_S17_S18_S1B_S1C_jS1D_jS1E_S1E_jjS1G_bEUljE0_EEESZ_S10_S11_S18_S1C_S1E_T6_T7_T9_mT8_S1G_bDpT10_ENKUlT_T0_E_clISt17integral_constantIbLb1EES1T_IbLb0EEEEDaS1P_S1Q_EUlS1P_E_NS1_11comp_targetILNS1_3genE0ELNS1_11target_archE4294967295ELNS1_3gpuE0ELNS1_3repE0EEENS1_30default_config_static_selectorELNS0_4arch9wavefront6targetE1EEEvS12_
	.p2align	8
	.type	_ZN7rocprim17ROCPRIM_400000_NS6detail17trampoline_kernelINS0_13select_configILj256ELj13ELNS0_17block_load_methodE3ELS4_3ELS4_3ELNS0_20block_scan_algorithmE0ELj4294967295EEENS1_25partition_config_selectorILNS1_17partition_subalgoE4EjNS0_10empty_typeEbEEZZNS1_14partition_implILS8_4ELb0ES6_15HIP_vector_typeIjLj2EENS0_17counting_iteratorIjlEEPS9_SG_NS0_5tupleIJPjSI_NS0_16reverse_iteratorISI_EEEEENSH_IJSG_SG_SG_EEES9_SI_JZNS1_25segmented_radix_sort_implINS0_14default_configELb1EPKbPbPKlPlN2at6native12_GLOBAL__N_18offset_tEEE10hipError_tPvRmT1_PNSt15iterator_traitsIS12_E10value_typeET2_T3_PNS13_IS18_E10value_typeET4_jRbjT5_S1E_jjP12ihipStream_tbEUljE_ZNSN_ISO_Lb1ESQ_SR_ST_SU_SY_EESZ_S10_S11_S12_S16_S17_S18_S1B_S1C_jS1D_jS1E_S1E_jjS1G_bEUljE0_EEESZ_S10_S11_S18_S1C_S1E_T6_T7_T9_mT8_S1G_bDpT10_ENKUlT_T0_E_clISt17integral_constantIbLb1EES1T_IbLb0EEEEDaS1P_S1Q_EUlS1P_E_NS1_11comp_targetILNS1_3genE0ELNS1_11target_archE4294967295ELNS1_3gpuE0ELNS1_3repE0EEENS1_30default_config_static_selectorELNS0_4arch9wavefront6targetE1EEEvS12_,@function
_ZN7rocprim17ROCPRIM_400000_NS6detail17trampoline_kernelINS0_13select_configILj256ELj13ELNS0_17block_load_methodE3ELS4_3ELS4_3ELNS0_20block_scan_algorithmE0ELj4294967295EEENS1_25partition_config_selectorILNS1_17partition_subalgoE4EjNS0_10empty_typeEbEEZZNS1_14partition_implILS8_4ELb0ES6_15HIP_vector_typeIjLj2EENS0_17counting_iteratorIjlEEPS9_SG_NS0_5tupleIJPjSI_NS0_16reverse_iteratorISI_EEEEENSH_IJSG_SG_SG_EEES9_SI_JZNS1_25segmented_radix_sort_implINS0_14default_configELb1EPKbPbPKlPlN2at6native12_GLOBAL__N_18offset_tEEE10hipError_tPvRmT1_PNSt15iterator_traitsIS12_E10value_typeET2_T3_PNS13_IS18_E10value_typeET4_jRbjT5_S1E_jjP12ihipStream_tbEUljE_ZNSN_ISO_Lb1ESQ_SR_ST_SU_SY_EESZ_S10_S11_S12_S16_S17_S18_S1B_S1C_jS1D_jS1E_S1E_jjS1G_bEUljE0_EEESZ_S10_S11_S18_S1C_S1E_T6_T7_T9_mT8_S1G_bDpT10_ENKUlT_T0_E_clISt17integral_constantIbLb1EES1T_IbLb0EEEEDaS1P_S1Q_EUlS1P_E_NS1_11comp_targetILNS1_3genE0ELNS1_11target_archE4294967295ELNS1_3gpuE0ELNS1_3repE0EEENS1_30default_config_static_selectorELNS0_4arch9wavefront6targetE1EEEvS12_: ; @_ZN7rocprim17ROCPRIM_400000_NS6detail17trampoline_kernelINS0_13select_configILj256ELj13ELNS0_17block_load_methodE3ELS4_3ELS4_3ELNS0_20block_scan_algorithmE0ELj4294967295EEENS1_25partition_config_selectorILNS1_17partition_subalgoE4EjNS0_10empty_typeEbEEZZNS1_14partition_implILS8_4ELb0ES6_15HIP_vector_typeIjLj2EENS0_17counting_iteratorIjlEEPS9_SG_NS0_5tupleIJPjSI_NS0_16reverse_iteratorISI_EEEEENSH_IJSG_SG_SG_EEES9_SI_JZNS1_25segmented_radix_sort_implINS0_14default_configELb1EPKbPbPKlPlN2at6native12_GLOBAL__N_18offset_tEEE10hipError_tPvRmT1_PNSt15iterator_traitsIS12_E10value_typeET2_T3_PNS13_IS18_E10value_typeET4_jRbjT5_S1E_jjP12ihipStream_tbEUljE_ZNSN_ISO_Lb1ESQ_SR_ST_SU_SY_EESZ_S10_S11_S12_S16_S17_S18_S1B_S1C_jS1D_jS1E_S1E_jjS1G_bEUljE0_EEESZ_S10_S11_S18_S1C_S1E_T6_T7_T9_mT8_S1G_bDpT10_ENKUlT_T0_E_clISt17integral_constantIbLb1EES1T_IbLb0EEEEDaS1P_S1Q_EUlS1P_E_NS1_11comp_targetILNS1_3genE0ELNS1_11target_archE4294967295ELNS1_3gpuE0ELNS1_3repE0EEENS1_30default_config_static_selectorELNS0_4arch9wavefront6targetE1EEEvS12_
; %bb.0:
	.section	.rodata,"a",@progbits
	.p2align	6, 0x0
	.amdhsa_kernel _ZN7rocprim17ROCPRIM_400000_NS6detail17trampoline_kernelINS0_13select_configILj256ELj13ELNS0_17block_load_methodE3ELS4_3ELS4_3ELNS0_20block_scan_algorithmE0ELj4294967295EEENS1_25partition_config_selectorILNS1_17partition_subalgoE4EjNS0_10empty_typeEbEEZZNS1_14partition_implILS8_4ELb0ES6_15HIP_vector_typeIjLj2EENS0_17counting_iteratorIjlEEPS9_SG_NS0_5tupleIJPjSI_NS0_16reverse_iteratorISI_EEEEENSH_IJSG_SG_SG_EEES9_SI_JZNS1_25segmented_radix_sort_implINS0_14default_configELb1EPKbPbPKlPlN2at6native12_GLOBAL__N_18offset_tEEE10hipError_tPvRmT1_PNSt15iterator_traitsIS12_E10value_typeET2_T3_PNS13_IS18_E10value_typeET4_jRbjT5_S1E_jjP12ihipStream_tbEUljE_ZNSN_ISO_Lb1ESQ_SR_ST_SU_SY_EESZ_S10_S11_S12_S16_S17_S18_S1B_S1C_jS1D_jS1E_S1E_jjS1G_bEUljE0_EEESZ_S10_S11_S18_S1C_S1E_T6_T7_T9_mT8_S1G_bDpT10_ENKUlT_T0_E_clISt17integral_constantIbLb1EES1T_IbLb0EEEEDaS1P_S1Q_EUlS1P_E_NS1_11comp_targetILNS1_3genE0ELNS1_11target_archE4294967295ELNS1_3gpuE0ELNS1_3repE0EEENS1_30default_config_static_selectorELNS0_4arch9wavefront6targetE1EEEvS12_
		.amdhsa_group_segment_fixed_size 0
		.amdhsa_private_segment_fixed_size 0
		.amdhsa_kernarg_size 176
		.amdhsa_user_sgpr_count 6
		.amdhsa_user_sgpr_private_segment_buffer 1
		.amdhsa_user_sgpr_dispatch_ptr 0
		.amdhsa_user_sgpr_queue_ptr 0
		.amdhsa_user_sgpr_kernarg_segment_ptr 1
		.amdhsa_user_sgpr_dispatch_id 0
		.amdhsa_user_sgpr_flat_scratch_init 0
		.amdhsa_user_sgpr_kernarg_preload_length 0
		.amdhsa_user_sgpr_kernarg_preload_offset 0
		.amdhsa_user_sgpr_private_segment_size 0
		.amdhsa_uses_dynamic_stack 0
		.amdhsa_system_sgpr_private_segment_wavefront_offset 0
		.amdhsa_system_sgpr_workgroup_id_x 1
		.amdhsa_system_sgpr_workgroup_id_y 0
		.amdhsa_system_sgpr_workgroup_id_z 0
		.amdhsa_system_sgpr_workgroup_info 0
		.amdhsa_system_vgpr_workitem_id 0
		.amdhsa_next_free_vgpr 1
		.amdhsa_next_free_sgpr 0
		.amdhsa_accum_offset 4
		.amdhsa_reserve_vcc 0
		.amdhsa_reserve_flat_scratch 0
		.amdhsa_float_round_mode_32 0
		.amdhsa_float_round_mode_16_64 0
		.amdhsa_float_denorm_mode_32 3
		.amdhsa_float_denorm_mode_16_64 3
		.amdhsa_dx10_clamp 1
		.amdhsa_ieee_mode 1
		.amdhsa_fp16_overflow 0
		.amdhsa_tg_split 0
		.amdhsa_exception_fp_ieee_invalid_op 0
		.amdhsa_exception_fp_denorm_src 0
		.amdhsa_exception_fp_ieee_div_zero 0
		.amdhsa_exception_fp_ieee_overflow 0
		.amdhsa_exception_fp_ieee_underflow 0
		.amdhsa_exception_fp_ieee_inexact 0
		.amdhsa_exception_int_div_zero 0
	.end_amdhsa_kernel
	.section	.text._ZN7rocprim17ROCPRIM_400000_NS6detail17trampoline_kernelINS0_13select_configILj256ELj13ELNS0_17block_load_methodE3ELS4_3ELS4_3ELNS0_20block_scan_algorithmE0ELj4294967295EEENS1_25partition_config_selectorILNS1_17partition_subalgoE4EjNS0_10empty_typeEbEEZZNS1_14partition_implILS8_4ELb0ES6_15HIP_vector_typeIjLj2EENS0_17counting_iteratorIjlEEPS9_SG_NS0_5tupleIJPjSI_NS0_16reverse_iteratorISI_EEEEENSH_IJSG_SG_SG_EEES9_SI_JZNS1_25segmented_radix_sort_implINS0_14default_configELb1EPKbPbPKlPlN2at6native12_GLOBAL__N_18offset_tEEE10hipError_tPvRmT1_PNSt15iterator_traitsIS12_E10value_typeET2_T3_PNS13_IS18_E10value_typeET4_jRbjT5_S1E_jjP12ihipStream_tbEUljE_ZNSN_ISO_Lb1ESQ_SR_ST_SU_SY_EESZ_S10_S11_S12_S16_S17_S18_S1B_S1C_jS1D_jS1E_S1E_jjS1G_bEUljE0_EEESZ_S10_S11_S18_S1C_S1E_T6_T7_T9_mT8_S1G_bDpT10_ENKUlT_T0_E_clISt17integral_constantIbLb1EES1T_IbLb0EEEEDaS1P_S1Q_EUlS1P_E_NS1_11comp_targetILNS1_3genE0ELNS1_11target_archE4294967295ELNS1_3gpuE0ELNS1_3repE0EEENS1_30default_config_static_selectorELNS0_4arch9wavefront6targetE1EEEvS12_,"axG",@progbits,_ZN7rocprim17ROCPRIM_400000_NS6detail17trampoline_kernelINS0_13select_configILj256ELj13ELNS0_17block_load_methodE3ELS4_3ELS4_3ELNS0_20block_scan_algorithmE0ELj4294967295EEENS1_25partition_config_selectorILNS1_17partition_subalgoE4EjNS0_10empty_typeEbEEZZNS1_14partition_implILS8_4ELb0ES6_15HIP_vector_typeIjLj2EENS0_17counting_iteratorIjlEEPS9_SG_NS0_5tupleIJPjSI_NS0_16reverse_iteratorISI_EEEEENSH_IJSG_SG_SG_EEES9_SI_JZNS1_25segmented_radix_sort_implINS0_14default_configELb1EPKbPbPKlPlN2at6native12_GLOBAL__N_18offset_tEEE10hipError_tPvRmT1_PNSt15iterator_traitsIS12_E10value_typeET2_T3_PNS13_IS18_E10value_typeET4_jRbjT5_S1E_jjP12ihipStream_tbEUljE_ZNSN_ISO_Lb1ESQ_SR_ST_SU_SY_EESZ_S10_S11_S12_S16_S17_S18_S1B_S1C_jS1D_jS1E_S1E_jjS1G_bEUljE0_EEESZ_S10_S11_S18_S1C_S1E_T6_T7_T9_mT8_S1G_bDpT10_ENKUlT_T0_E_clISt17integral_constantIbLb1EES1T_IbLb0EEEEDaS1P_S1Q_EUlS1P_E_NS1_11comp_targetILNS1_3genE0ELNS1_11target_archE4294967295ELNS1_3gpuE0ELNS1_3repE0EEENS1_30default_config_static_selectorELNS0_4arch9wavefront6targetE1EEEvS12_,comdat
.Lfunc_end1482:
	.size	_ZN7rocprim17ROCPRIM_400000_NS6detail17trampoline_kernelINS0_13select_configILj256ELj13ELNS0_17block_load_methodE3ELS4_3ELS4_3ELNS0_20block_scan_algorithmE0ELj4294967295EEENS1_25partition_config_selectorILNS1_17partition_subalgoE4EjNS0_10empty_typeEbEEZZNS1_14partition_implILS8_4ELb0ES6_15HIP_vector_typeIjLj2EENS0_17counting_iteratorIjlEEPS9_SG_NS0_5tupleIJPjSI_NS0_16reverse_iteratorISI_EEEEENSH_IJSG_SG_SG_EEES9_SI_JZNS1_25segmented_radix_sort_implINS0_14default_configELb1EPKbPbPKlPlN2at6native12_GLOBAL__N_18offset_tEEE10hipError_tPvRmT1_PNSt15iterator_traitsIS12_E10value_typeET2_T3_PNS13_IS18_E10value_typeET4_jRbjT5_S1E_jjP12ihipStream_tbEUljE_ZNSN_ISO_Lb1ESQ_SR_ST_SU_SY_EESZ_S10_S11_S12_S16_S17_S18_S1B_S1C_jS1D_jS1E_S1E_jjS1G_bEUljE0_EEESZ_S10_S11_S18_S1C_S1E_T6_T7_T9_mT8_S1G_bDpT10_ENKUlT_T0_E_clISt17integral_constantIbLb1EES1T_IbLb0EEEEDaS1P_S1Q_EUlS1P_E_NS1_11comp_targetILNS1_3genE0ELNS1_11target_archE4294967295ELNS1_3gpuE0ELNS1_3repE0EEENS1_30default_config_static_selectorELNS0_4arch9wavefront6targetE1EEEvS12_, .Lfunc_end1482-_ZN7rocprim17ROCPRIM_400000_NS6detail17trampoline_kernelINS0_13select_configILj256ELj13ELNS0_17block_load_methodE3ELS4_3ELS4_3ELNS0_20block_scan_algorithmE0ELj4294967295EEENS1_25partition_config_selectorILNS1_17partition_subalgoE4EjNS0_10empty_typeEbEEZZNS1_14partition_implILS8_4ELb0ES6_15HIP_vector_typeIjLj2EENS0_17counting_iteratorIjlEEPS9_SG_NS0_5tupleIJPjSI_NS0_16reverse_iteratorISI_EEEEENSH_IJSG_SG_SG_EEES9_SI_JZNS1_25segmented_radix_sort_implINS0_14default_configELb1EPKbPbPKlPlN2at6native12_GLOBAL__N_18offset_tEEE10hipError_tPvRmT1_PNSt15iterator_traitsIS12_E10value_typeET2_T3_PNS13_IS18_E10value_typeET4_jRbjT5_S1E_jjP12ihipStream_tbEUljE_ZNSN_ISO_Lb1ESQ_SR_ST_SU_SY_EESZ_S10_S11_S12_S16_S17_S18_S1B_S1C_jS1D_jS1E_S1E_jjS1G_bEUljE0_EEESZ_S10_S11_S18_S1C_S1E_T6_T7_T9_mT8_S1G_bDpT10_ENKUlT_T0_E_clISt17integral_constantIbLb1EES1T_IbLb0EEEEDaS1P_S1Q_EUlS1P_E_NS1_11comp_targetILNS1_3genE0ELNS1_11target_archE4294967295ELNS1_3gpuE0ELNS1_3repE0EEENS1_30default_config_static_selectorELNS0_4arch9wavefront6targetE1EEEvS12_
                                        ; -- End function
	.section	.AMDGPU.csdata,"",@progbits
; Kernel info:
; codeLenInByte = 0
; NumSgprs: 4
; NumVgprs: 0
; NumAgprs: 0
; TotalNumVgprs: 0
; ScratchSize: 0
; MemoryBound: 0
; FloatMode: 240
; IeeeMode: 1
; LDSByteSize: 0 bytes/workgroup (compile time only)
; SGPRBlocks: 0
; VGPRBlocks: 0
; NumSGPRsForWavesPerEU: 4
; NumVGPRsForWavesPerEU: 1
; AccumOffset: 4
; Occupancy: 8
; WaveLimiterHint : 0
; COMPUTE_PGM_RSRC2:SCRATCH_EN: 0
; COMPUTE_PGM_RSRC2:USER_SGPR: 6
; COMPUTE_PGM_RSRC2:TRAP_HANDLER: 0
; COMPUTE_PGM_RSRC2:TGID_X_EN: 1
; COMPUTE_PGM_RSRC2:TGID_Y_EN: 0
; COMPUTE_PGM_RSRC2:TGID_Z_EN: 0
; COMPUTE_PGM_RSRC2:TIDIG_COMP_CNT: 0
; COMPUTE_PGM_RSRC3_GFX90A:ACCUM_OFFSET: 0
; COMPUTE_PGM_RSRC3_GFX90A:TG_SPLIT: 0
	.section	.text._ZN7rocprim17ROCPRIM_400000_NS6detail17trampoline_kernelINS0_13select_configILj256ELj13ELNS0_17block_load_methodE3ELS4_3ELS4_3ELNS0_20block_scan_algorithmE0ELj4294967295EEENS1_25partition_config_selectorILNS1_17partition_subalgoE4EjNS0_10empty_typeEbEEZZNS1_14partition_implILS8_4ELb0ES6_15HIP_vector_typeIjLj2EENS0_17counting_iteratorIjlEEPS9_SG_NS0_5tupleIJPjSI_NS0_16reverse_iteratorISI_EEEEENSH_IJSG_SG_SG_EEES9_SI_JZNS1_25segmented_radix_sort_implINS0_14default_configELb1EPKbPbPKlPlN2at6native12_GLOBAL__N_18offset_tEEE10hipError_tPvRmT1_PNSt15iterator_traitsIS12_E10value_typeET2_T3_PNS13_IS18_E10value_typeET4_jRbjT5_S1E_jjP12ihipStream_tbEUljE_ZNSN_ISO_Lb1ESQ_SR_ST_SU_SY_EESZ_S10_S11_S12_S16_S17_S18_S1B_S1C_jS1D_jS1E_S1E_jjS1G_bEUljE0_EEESZ_S10_S11_S18_S1C_S1E_T6_T7_T9_mT8_S1G_bDpT10_ENKUlT_T0_E_clISt17integral_constantIbLb1EES1T_IbLb0EEEEDaS1P_S1Q_EUlS1P_E_NS1_11comp_targetILNS1_3genE5ELNS1_11target_archE942ELNS1_3gpuE9ELNS1_3repE0EEENS1_30default_config_static_selectorELNS0_4arch9wavefront6targetE1EEEvS12_,"axG",@progbits,_ZN7rocprim17ROCPRIM_400000_NS6detail17trampoline_kernelINS0_13select_configILj256ELj13ELNS0_17block_load_methodE3ELS4_3ELS4_3ELNS0_20block_scan_algorithmE0ELj4294967295EEENS1_25partition_config_selectorILNS1_17partition_subalgoE4EjNS0_10empty_typeEbEEZZNS1_14partition_implILS8_4ELb0ES6_15HIP_vector_typeIjLj2EENS0_17counting_iteratorIjlEEPS9_SG_NS0_5tupleIJPjSI_NS0_16reverse_iteratorISI_EEEEENSH_IJSG_SG_SG_EEES9_SI_JZNS1_25segmented_radix_sort_implINS0_14default_configELb1EPKbPbPKlPlN2at6native12_GLOBAL__N_18offset_tEEE10hipError_tPvRmT1_PNSt15iterator_traitsIS12_E10value_typeET2_T3_PNS13_IS18_E10value_typeET4_jRbjT5_S1E_jjP12ihipStream_tbEUljE_ZNSN_ISO_Lb1ESQ_SR_ST_SU_SY_EESZ_S10_S11_S12_S16_S17_S18_S1B_S1C_jS1D_jS1E_S1E_jjS1G_bEUljE0_EEESZ_S10_S11_S18_S1C_S1E_T6_T7_T9_mT8_S1G_bDpT10_ENKUlT_T0_E_clISt17integral_constantIbLb1EES1T_IbLb0EEEEDaS1P_S1Q_EUlS1P_E_NS1_11comp_targetILNS1_3genE5ELNS1_11target_archE942ELNS1_3gpuE9ELNS1_3repE0EEENS1_30default_config_static_selectorELNS0_4arch9wavefront6targetE1EEEvS12_,comdat
	.globl	_ZN7rocprim17ROCPRIM_400000_NS6detail17trampoline_kernelINS0_13select_configILj256ELj13ELNS0_17block_load_methodE3ELS4_3ELS4_3ELNS0_20block_scan_algorithmE0ELj4294967295EEENS1_25partition_config_selectorILNS1_17partition_subalgoE4EjNS0_10empty_typeEbEEZZNS1_14partition_implILS8_4ELb0ES6_15HIP_vector_typeIjLj2EENS0_17counting_iteratorIjlEEPS9_SG_NS0_5tupleIJPjSI_NS0_16reverse_iteratorISI_EEEEENSH_IJSG_SG_SG_EEES9_SI_JZNS1_25segmented_radix_sort_implINS0_14default_configELb1EPKbPbPKlPlN2at6native12_GLOBAL__N_18offset_tEEE10hipError_tPvRmT1_PNSt15iterator_traitsIS12_E10value_typeET2_T3_PNS13_IS18_E10value_typeET4_jRbjT5_S1E_jjP12ihipStream_tbEUljE_ZNSN_ISO_Lb1ESQ_SR_ST_SU_SY_EESZ_S10_S11_S12_S16_S17_S18_S1B_S1C_jS1D_jS1E_S1E_jjS1G_bEUljE0_EEESZ_S10_S11_S18_S1C_S1E_T6_T7_T9_mT8_S1G_bDpT10_ENKUlT_T0_E_clISt17integral_constantIbLb1EES1T_IbLb0EEEEDaS1P_S1Q_EUlS1P_E_NS1_11comp_targetILNS1_3genE5ELNS1_11target_archE942ELNS1_3gpuE9ELNS1_3repE0EEENS1_30default_config_static_selectorELNS0_4arch9wavefront6targetE1EEEvS12_ ; -- Begin function _ZN7rocprim17ROCPRIM_400000_NS6detail17trampoline_kernelINS0_13select_configILj256ELj13ELNS0_17block_load_methodE3ELS4_3ELS4_3ELNS0_20block_scan_algorithmE0ELj4294967295EEENS1_25partition_config_selectorILNS1_17partition_subalgoE4EjNS0_10empty_typeEbEEZZNS1_14partition_implILS8_4ELb0ES6_15HIP_vector_typeIjLj2EENS0_17counting_iteratorIjlEEPS9_SG_NS0_5tupleIJPjSI_NS0_16reverse_iteratorISI_EEEEENSH_IJSG_SG_SG_EEES9_SI_JZNS1_25segmented_radix_sort_implINS0_14default_configELb1EPKbPbPKlPlN2at6native12_GLOBAL__N_18offset_tEEE10hipError_tPvRmT1_PNSt15iterator_traitsIS12_E10value_typeET2_T3_PNS13_IS18_E10value_typeET4_jRbjT5_S1E_jjP12ihipStream_tbEUljE_ZNSN_ISO_Lb1ESQ_SR_ST_SU_SY_EESZ_S10_S11_S12_S16_S17_S18_S1B_S1C_jS1D_jS1E_S1E_jjS1G_bEUljE0_EEESZ_S10_S11_S18_S1C_S1E_T6_T7_T9_mT8_S1G_bDpT10_ENKUlT_T0_E_clISt17integral_constantIbLb1EES1T_IbLb0EEEEDaS1P_S1Q_EUlS1P_E_NS1_11comp_targetILNS1_3genE5ELNS1_11target_archE942ELNS1_3gpuE9ELNS1_3repE0EEENS1_30default_config_static_selectorELNS0_4arch9wavefront6targetE1EEEvS12_
	.p2align	8
	.type	_ZN7rocprim17ROCPRIM_400000_NS6detail17trampoline_kernelINS0_13select_configILj256ELj13ELNS0_17block_load_methodE3ELS4_3ELS4_3ELNS0_20block_scan_algorithmE0ELj4294967295EEENS1_25partition_config_selectorILNS1_17partition_subalgoE4EjNS0_10empty_typeEbEEZZNS1_14partition_implILS8_4ELb0ES6_15HIP_vector_typeIjLj2EENS0_17counting_iteratorIjlEEPS9_SG_NS0_5tupleIJPjSI_NS0_16reverse_iteratorISI_EEEEENSH_IJSG_SG_SG_EEES9_SI_JZNS1_25segmented_radix_sort_implINS0_14default_configELb1EPKbPbPKlPlN2at6native12_GLOBAL__N_18offset_tEEE10hipError_tPvRmT1_PNSt15iterator_traitsIS12_E10value_typeET2_T3_PNS13_IS18_E10value_typeET4_jRbjT5_S1E_jjP12ihipStream_tbEUljE_ZNSN_ISO_Lb1ESQ_SR_ST_SU_SY_EESZ_S10_S11_S12_S16_S17_S18_S1B_S1C_jS1D_jS1E_S1E_jjS1G_bEUljE0_EEESZ_S10_S11_S18_S1C_S1E_T6_T7_T9_mT8_S1G_bDpT10_ENKUlT_T0_E_clISt17integral_constantIbLb1EES1T_IbLb0EEEEDaS1P_S1Q_EUlS1P_E_NS1_11comp_targetILNS1_3genE5ELNS1_11target_archE942ELNS1_3gpuE9ELNS1_3repE0EEENS1_30default_config_static_selectorELNS0_4arch9wavefront6targetE1EEEvS12_,@function
_ZN7rocprim17ROCPRIM_400000_NS6detail17trampoline_kernelINS0_13select_configILj256ELj13ELNS0_17block_load_methodE3ELS4_3ELS4_3ELNS0_20block_scan_algorithmE0ELj4294967295EEENS1_25partition_config_selectorILNS1_17partition_subalgoE4EjNS0_10empty_typeEbEEZZNS1_14partition_implILS8_4ELb0ES6_15HIP_vector_typeIjLj2EENS0_17counting_iteratorIjlEEPS9_SG_NS0_5tupleIJPjSI_NS0_16reverse_iteratorISI_EEEEENSH_IJSG_SG_SG_EEES9_SI_JZNS1_25segmented_radix_sort_implINS0_14default_configELb1EPKbPbPKlPlN2at6native12_GLOBAL__N_18offset_tEEE10hipError_tPvRmT1_PNSt15iterator_traitsIS12_E10value_typeET2_T3_PNS13_IS18_E10value_typeET4_jRbjT5_S1E_jjP12ihipStream_tbEUljE_ZNSN_ISO_Lb1ESQ_SR_ST_SU_SY_EESZ_S10_S11_S12_S16_S17_S18_S1B_S1C_jS1D_jS1E_S1E_jjS1G_bEUljE0_EEESZ_S10_S11_S18_S1C_S1E_T6_T7_T9_mT8_S1G_bDpT10_ENKUlT_T0_E_clISt17integral_constantIbLb1EES1T_IbLb0EEEEDaS1P_S1Q_EUlS1P_E_NS1_11comp_targetILNS1_3genE5ELNS1_11target_archE942ELNS1_3gpuE9ELNS1_3repE0EEENS1_30default_config_static_selectorELNS0_4arch9wavefront6targetE1EEEvS12_: ; @_ZN7rocprim17ROCPRIM_400000_NS6detail17trampoline_kernelINS0_13select_configILj256ELj13ELNS0_17block_load_methodE3ELS4_3ELS4_3ELNS0_20block_scan_algorithmE0ELj4294967295EEENS1_25partition_config_selectorILNS1_17partition_subalgoE4EjNS0_10empty_typeEbEEZZNS1_14partition_implILS8_4ELb0ES6_15HIP_vector_typeIjLj2EENS0_17counting_iteratorIjlEEPS9_SG_NS0_5tupleIJPjSI_NS0_16reverse_iteratorISI_EEEEENSH_IJSG_SG_SG_EEES9_SI_JZNS1_25segmented_radix_sort_implINS0_14default_configELb1EPKbPbPKlPlN2at6native12_GLOBAL__N_18offset_tEEE10hipError_tPvRmT1_PNSt15iterator_traitsIS12_E10value_typeET2_T3_PNS13_IS18_E10value_typeET4_jRbjT5_S1E_jjP12ihipStream_tbEUljE_ZNSN_ISO_Lb1ESQ_SR_ST_SU_SY_EESZ_S10_S11_S12_S16_S17_S18_S1B_S1C_jS1D_jS1E_S1E_jjS1G_bEUljE0_EEESZ_S10_S11_S18_S1C_S1E_T6_T7_T9_mT8_S1G_bDpT10_ENKUlT_T0_E_clISt17integral_constantIbLb1EES1T_IbLb0EEEEDaS1P_S1Q_EUlS1P_E_NS1_11comp_targetILNS1_3genE5ELNS1_11target_archE942ELNS1_3gpuE9ELNS1_3repE0EEENS1_30default_config_static_selectorELNS0_4arch9wavefront6targetE1EEEvS12_
; %bb.0:
	.section	.rodata,"a",@progbits
	.p2align	6, 0x0
	.amdhsa_kernel _ZN7rocprim17ROCPRIM_400000_NS6detail17trampoline_kernelINS0_13select_configILj256ELj13ELNS0_17block_load_methodE3ELS4_3ELS4_3ELNS0_20block_scan_algorithmE0ELj4294967295EEENS1_25partition_config_selectorILNS1_17partition_subalgoE4EjNS0_10empty_typeEbEEZZNS1_14partition_implILS8_4ELb0ES6_15HIP_vector_typeIjLj2EENS0_17counting_iteratorIjlEEPS9_SG_NS0_5tupleIJPjSI_NS0_16reverse_iteratorISI_EEEEENSH_IJSG_SG_SG_EEES9_SI_JZNS1_25segmented_radix_sort_implINS0_14default_configELb1EPKbPbPKlPlN2at6native12_GLOBAL__N_18offset_tEEE10hipError_tPvRmT1_PNSt15iterator_traitsIS12_E10value_typeET2_T3_PNS13_IS18_E10value_typeET4_jRbjT5_S1E_jjP12ihipStream_tbEUljE_ZNSN_ISO_Lb1ESQ_SR_ST_SU_SY_EESZ_S10_S11_S12_S16_S17_S18_S1B_S1C_jS1D_jS1E_S1E_jjS1G_bEUljE0_EEESZ_S10_S11_S18_S1C_S1E_T6_T7_T9_mT8_S1G_bDpT10_ENKUlT_T0_E_clISt17integral_constantIbLb1EES1T_IbLb0EEEEDaS1P_S1Q_EUlS1P_E_NS1_11comp_targetILNS1_3genE5ELNS1_11target_archE942ELNS1_3gpuE9ELNS1_3repE0EEENS1_30default_config_static_selectorELNS0_4arch9wavefront6targetE1EEEvS12_
		.amdhsa_group_segment_fixed_size 0
		.amdhsa_private_segment_fixed_size 0
		.amdhsa_kernarg_size 176
		.amdhsa_user_sgpr_count 6
		.amdhsa_user_sgpr_private_segment_buffer 1
		.amdhsa_user_sgpr_dispatch_ptr 0
		.amdhsa_user_sgpr_queue_ptr 0
		.amdhsa_user_sgpr_kernarg_segment_ptr 1
		.amdhsa_user_sgpr_dispatch_id 0
		.amdhsa_user_sgpr_flat_scratch_init 0
		.amdhsa_user_sgpr_kernarg_preload_length 0
		.amdhsa_user_sgpr_kernarg_preload_offset 0
		.amdhsa_user_sgpr_private_segment_size 0
		.amdhsa_uses_dynamic_stack 0
		.amdhsa_system_sgpr_private_segment_wavefront_offset 0
		.amdhsa_system_sgpr_workgroup_id_x 1
		.amdhsa_system_sgpr_workgroup_id_y 0
		.amdhsa_system_sgpr_workgroup_id_z 0
		.amdhsa_system_sgpr_workgroup_info 0
		.amdhsa_system_vgpr_workitem_id 0
		.amdhsa_next_free_vgpr 1
		.amdhsa_next_free_sgpr 0
		.amdhsa_accum_offset 4
		.amdhsa_reserve_vcc 0
		.amdhsa_reserve_flat_scratch 0
		.amdhsa_float_round_mode_32 0
		.amdhsa_float_round_mode_16_64 0
		.amdhsa_float_denorm_mode_32 3
		.amdhsa_float_denorm_mode_16_64 3
		.amdhsa_dx10_clamp 1
		.amdhsa_ieee_mode 1
		.amdhsa_fp16_overflow 0
		.amdhsa_tg_split 0
		.amdhsa_exception_fp_ieee_invalid_op 0
		.amdhsa_exception_fp_denorm_src 0
		.amdhsa_exception_fp_ieee_div_zero 0
		.amdhsa_exception_fp_ieee_overflow 0
		.amdhsa_exception_fp_ieee_underflow 0
		.amdhsa_exception_fp_ieee_inexact 0
		.amdhsa_exception_int_div_zero 0
	.end_amdhsa_kernel
	.section	.text._ZN7rocprim17ROCPRIM_400000_NS6detail17trampoline_kernelINS0_13select_configILj256ELj13ELNS0_17block_load_methodE3ELS4_3ELS4_3ELNS0_20block_scan_algorithmE0ELj4294967295EEENS1_25partition_config_selectorILNS1_17partition_subalgoE4EjNS0_10empty_typeEbEEZZNS1_14partition_implILS8_4ELb0ES6_15HIP_vector_typeIjLj2EENS0_17counting_iteratorIjlEEPS9_SG_NS0_5tupleIJPjSI_NS0_16reverse_iteratorISI_EEEEENSH_IJSG_SG_SG_EEES9_SI_JZNS1_25segmented_radix_sort_implINS0_14default_configELb1EPKbPbPKlPlN2at6native12_GLOBAL__N_18offset_tEEE10hipError_tPvRmT1_PNSt15iterator_traitsIS12_E10value_typeET2_T3_PNS13_IS18_E10value_typeET4_jRbjT5_S1E_jjP12ihipStream_tbEUljE_ZNSN_ISO_Lb1ESQ_SR_ST_SU_SY_EESZ_S10_S11_S12_S16_S17_S18_S1B_S1C_jS1D_jS1E_S1E_jjS1G_bEUljE0_EEESZ_S10_S11_S18_S1C_S1E_T6_T7_T9_mT8_S1G_bDpT10_ENKUlT_T0_E_clISt17integral_constantIbLb1EES1T_IbLb0EEEEDaS1P_S1Q_EUlS1P_E_NS1_11comp_targetILNS1_3genE5ELNS1_11target_archE942ELNS1_3gpuE9ELNS1_3repE0EEENS1_30default_config_static_selectorELNS0_4arch9wavefront6targetE1EEEvS12_,"axG",@progbits,_ZN7rocprim17ROCPRIM_400000_NS6detail17trampoline_kernelINS0_13select_configILj256ELj13ELNS0_17block_load_methodE3ELS4_3ELS4_3ELNS0_20block_scan_algorithmE0ELj4294967295EEENS1_25partition_config_selectorILNS1_17partition_subalgoE4EjNS0_10empty_typeEbEEZZNS1_14partition_implILS8_4ELb0ES6_15HIP_vector_typeIjLj2EENS0_17counting_iteratorIjlEEPS9_SG_NS0_5tupleIJPjSI_NS0_16reverse_iteratorISI_EEEEENSH_IJSG_SG_SG_EEES9_SI_JZNS1_25segmented_radix_sort_implINS0_14default_configELb1EPKbPbPKlPlN2at6native12_GLOBAL__N_18offset_tEEE10hipError_tPvRmT1_PNSt15iterator_traitsIS12_E10value_typeET2_T3_PNS13_IS18_E10value_typeET4_jRbjT5_S1E_jjP12ihipStream_tbEUljE_ZNSN_ISO_Lb1ESQ_SR_ST_SU_SY_EESZ_S10_S11_S12_S16_S17_S18_S1B_S1C_jS1D_jS1E_S1E_jjS1G_bEUljE0_EEESZ_S10_S11_S18_S1C_S1E_T6_T7_T9_mT8_S1G_bDpT10_ENKUlT_T0_E_clISt17integral_constantIbLb1EES1T_IbLb0EEEEDaS1P_S1Q_EUlS1P_E_NS1_11comp_targetILNS1_3genE5ELNS1_11target_archE942ELNS1_3gpuE9ELNS1_3repE0EEENS1_30default_config_static_selectorELNS0_4arch9wavefront6targetE1EEEvS12_,comdat
.Lfunc_end1483:
	.size	_ZN7rocprim17ROCPRIM_400000_NS6detail17trampoline_kernelINS0_13select_configILj256ELj13ELNS0_17block_load_methodE3ELS4_3ELS4_3ELNS0_20block_scan_algorithmE0ELj4294967295EEENS1_25partition_config_selectorILNS1_17partition_subalgoE4EjNS0_10empty_typeEbEEZZNS1_14partition_implILS8_4ELb0ES6_15HIP_vector_typeIjLj2EENS0_17counting_iteratorIjlEEPS9_SG_NS0_5tupleIJPjSI_NS0_16reverse_iteratorISI_EEEEENSH_IJSG_SG_SG_EEES9_SI_JZNS1_25segmented_radix_sort_implINS0_14default_configELb1EPKbPbPKlPlN2at6native12_GLOBAL__N_18offset_tEEE10hipError_tPvRmT1_PNSt15iterator_traitsIS12_E10value_typeET2_T3_PNS13_IS18_E10value_typeET4_jRbjT5_S1E_jjP12ihipStream_tbEUljE_ZNSN_ISO_Lb1ESQ_SR_ST_SU_SY_EESZ_S10_S11_S12_S16_S17_S18_S1B_S1C_jS1D_jS1E_S1E_jjS1G_bEUljE0_EEESZ_S10_S11_S18_S1C_S1E_T6_T7_T9_mT8_S1G_bDpT10_ENKUlT_T0_E_clISt17integral_constantIbLb1EES1T_IbLb0EEEEDaS1P_S1Q_EUlS1P_E_NS1_11comp_targetILNS1_3genE5ELNS1_11target_archE942ELNS1_3gpuE9ELNS1_3repE0EEENS1_30default_config_static_selectorELNS0_4arch9wavefront6targetE1EEEvS12_, .Lfunc_end1483-_ZN7rocprim17ROCPRIM_400000_NS6detail17trampoline_kernelINS0_13select_configILj256ELj13ELNS0_17block_load_methodE3ELS4_3ELS4_3ELNS0_20block_scan_algorithmE0ELj4294967295EEENS1_25partition_config_selectorILNS1_17partition_subalgoE4EjNS0_10empty_typeEbEEZZNS1_14partition_implILS8_4ELb0ES6_15HIP_vector_typeIjLj2EENS0_17counting_iteratorIjlEEPS9_SG_NS0_5tupleIJPjSI_NS0_16reverse_iteratorISI_EEEEENSH_IJSG_SG_SG_EEES9_SI_JZNS1_25segmented_radix_sort_implINS0_14default_configELb1EPKbPbPKlPlN2at6native12_GLOBAL__N_18offset_tEEE10hipError_tPvRmT1_PNSt15iterator_traitsIS12_E10value_typeET2_T3_PNS13_IS18_E10value_typeET4_jRbjT5_S1E_jjP12ihipStream_tbEUljE_ZNSN_ISO_Lb1ESQ_SR_ST_SU_SY_EESZ_S10_S11_S12_S16_S17_S18_S1B_S1C_jS1D_jS1E_S1E_jjS1G_bEUljE0_EEESZ_S10_S11_S18_S1C_S1E_T6_T7_T9_mT8_S1G_bDpT10_ENKUlT_T0_E_clISt17integral_constantIbLb1EES1T_IbLb0EEEEDaS1P_S1Q_EUlS1P_E_NS1_11comp_targetILNS1_3genE5ELNS1_11target_archE942ELNS1_3gpuE9ELNS1_3repE0EEENS1_30default_config_static_selectorELNS0_4arch9wavefront6targetE1EEEvS12_
                                        ; -- End function
	.section	.AMDGPU.csdata,"",@progbits
; Kernel info:
; codeLenInByte = 0
; NumSgprs: 4
; NumVgprs: 0
; NumAgprs: 0
; TotalNumVgprs: 0
; ScratchSize: 0
; MemoryBound: 0
; FloatMode: 240
; IeeeMode: 1
; LDSByteSize: 0 bytes/workgroup (compile time only)
; SGPRBlocks: 0
; VGPRBlocks: 0
; NumSGPRsForWavesPerEU: 4
; NumVGPRsForWavesPerEU: 1
; AccumOffset: 4
; Occupancy: 8
; WaveLimiterHint : 0
; COMPUTE_PGM_RSRC2:SCRATCH_EN: 0
; COMPUTE_PGM_RSRC2:USER_SGPR: 6
; COMPUTE_PGM_RSRC2:TRAP_HANDLER: 0
; COMPUTE_PGM_RSRC2:TGID_X_EN: 1
; COMPUTE_PGM_RSRC2:TGID_Y_EN: 0
; COMPUTE_PGM_RSRC2:TGID_Z_EN: 0
; COMPUTE_PGM_RSRC2:TIDIG_COMP_CNT: 0
; COMPUTE_PGM_RSRC3_GFX90A:ACCUM_OFFSET: 0
; COMPUTE_PGM_RSRC3_GFX90A:TG_SPLIT: 0
	.section	.text._ZN7rocprim17ROCPRIM_400000_NS6detail17trampoline_kernelINS0_13select_configILj256ELj13ELNS0_17block_load_methodE3ELS4_3ELS4_3ELNS0_20block_scan_algorithmE0ELj4294967295EEENS1_25partition_config_selectorILNS1_17partition_subalgoE4EjNS0_10empty_typeEbEEZZNS1_14partition_implILS8_4ELb0ES6_15HIP_vector_typeIjLj2EENS0_17counting_iteratorIjlEEPS9_SG_NS0_5tupleIJPjSI_NS0_16reverse_iteratorISI_EEEEENSH_IJSG_SG_SG_EEES9_SI_JZNS1_25segmented_radix_sort_implINS0_14default_configELb1EPKbPbPKlPlN2at6native12_GLOBAL__N_18offset_tEEE10hipError_tPvRmT1_PNSt15iterator_traitsIS12_E10value_typeET2_T3_PNS13_IS18_E10value_typeET4_jRbjT5_S1E_jjP12ihipStream_tbEUljE_ZNSN_ISO_Lb1ESQ_SR_ST_SU_SY_EESZ_S10_S11_S12_S16_S17_S18_S1B_S1C_jS1D_jS1E_S1E_jjS1G_bEUljE0_EEESZ_S10_S11_S18_S1C_S1E_T6_T7_T9_mT8_S1G_bDpT10_ENKUlT_T0_E_clISt17integral_constantIbLb1EES1T_IbLb0EEEEDaS1P_S1Q_EUlS1P_E_NS1_11comp_targetILNS1_3genE4ELNS1_11target_archE910ELNS1_3gpuE8ELNS1_3repE0EEENS1_30default_config_static_selectorELNS0_4arch9wavefront6targetE1EEEvS12_,"axG",@progbits,_ZN7rocprim17ROCPRIM_400000_NS6detail17trampoline_kernelINS0_13select_configILj256ELj13ELNS0_17block_load_methodE3ELS4_3ELS4_3ELNS0_20block_scan_algorithmE0ELj4294967295EEENS1_25partition_config_selectorILNS1_17partition_subalgoE4EjNS0_10empty_typeEbEEZZNS1_14partition_implILS8_4ELb0ES6_15HIP_vector_typeIjLj2EENS0_17counting_iteratorIjlEEPS9_SG_NS0_5tupleIJPjSI_NS0_16reverse_iteratorISI_EEEEENSH_IJSG_SG_SG_EEES9_SI_JZNS1_25segmented_radix_sort_implINS0_14default_configELb1EPKbPbPKlPlN2at6native12_GLOBAL__N_18offset_tEEE10hipError_tPvRmT1_PNSt15iterator_traitsIS12_E10value_typeET2_T3_PNS13_IS18_E10value_typeET4_jRbjT5_S1E_jjP12ihipStream_tbEUljE_ZNSN_ISO_Lb1ESQ_SR_ST_SU_SY_EESZ_S10_S11_S12_S16_S17_S18_S1B_S1C_jS1D_jS1E_S1E_jjS1G_bEUljE0_EEESZ_S10_S11_S18_S1C_S1E_T6_T7_T9_mT8_S1G_bDpT10_ENKUlT_T0_E_clISt17integral_constantIbLb1EES1T_IbLb0EEEEDaS1P_S1Q_EUlS1P_E_NS1_11comp_targetILNS1_3genE4ELNS1_11target_archE910ELNS1_3gpuE8ELNS1_3repE0EEENS1_30default_config_static_selectorELNS0_4arch9wavefront6targetE1EEEvS12_,comdat
	.globl	_ZN7rocprim17ROCPRIM_400000_NS6detail17trampoline_kernelINS0_13select_configILj256ELj13ELNS0_17block_load_methodE3ELS4_3ELS4_3ELNS0_20block_scan_algorithmE0ELj4294967295EEENS1_25partition_config_selectorILNS1_17partition_subalgoE4EjNS0_10empty_typeEbEEZZNS1_14partition_implILS8_4ELb0ES6_15HIP_vector_typeIjLj2EENS0_17counting_iteratorIjlEEPS9_SG_NS0_5tupleIJPjSI_NS0_16reverse_iteratorISI_EEEEENSH_IJSG_SG_SG_EEES9_SI_JZNS1_25segmented_radix_sort_implINS0_14default_configELb1EPKbPbPKlPlN2at6native12_GLOBAL__N_18offset_tEEE10hipError_tPvRmT1_PNSt15iterator_traitsIS12_E10value_typeET2_T3_PNS13_IS18_E10value_typeET4_jRbjT5_S1E_jjP12ihipStream_tbEUljE_ZNSN_ISO_Lb1ESQ_SR_ST_SU_SY_EESZ_S10_S11_S12_S16_S17_S18_S1B_S1C_jS1D_jS1E_S1E_jjS1G_bEUljE0_EEESZ_S10_S11_S18_S1C_S1E_T6_T7_T9_mT8_S1G_bDpT10_ENKUlT_T0_E_clISt17integral_constantIbLb1EES1T_IbLb0EEEEDaS1P_S1Q_EUlS1P_E_NS1_11comp_targetILNS1_3genE4ELNS1_11target_archE910ELNS1_3gpuE8ELNS1_3repE0EEENS1_30default_config_static_selectorELNS0_4arch9wavefront6targetE1EEEvS12_ ; -- Begin function _ZN7rocprim17ROCPRIM_400000_NS6detail17trampoline_kernelINS0_13select_configILj256ELj13ELNS0_17block_load_methodE3ELS4_3ELS4_3ELNS0_20block_scan_algorithmE0ELj4294967295EEENS1_25partition_config_selectorILNS1_17partition_subalgoE4EjNS0_10empty_typeEbEEZZNS1_14partition_implILS8_4ELb0ES6_15HIP_vector_typeIjLj2EENS0_17counting_iteratorIjlEEPS9_SG_NS0_5tupleIJPjSI_NS0_16reverse_iteratorISI_EEEEENSH_IJSG_SG_SG_EEES9_SI_JZNS1_25segmented_radix_sort_implINS0_14default_configELb1EPKbPbPKlPlN2at6native12_GLOBAL__N_18offset_tEEE10hipError_tPvRmT1_PNSt15iterator_traitsIS12_E10value_typeET2_T3_PNS13_IS18_E10value_typeET4_jRbjT5_S1E_jjP12ihipStream_tbEUljE_ZNSN_ISO_Lb1ESQ_SR_ST_SU_SY_EESZ_S10_S11_S12_S16_S17_S18_S1B_S1C_jS1D_jS1E_S1E_jjS1G_bEUljE0_EEESZ_S10_S11_S18_S1C_S1E_T6_T7_T9_mT8_S1G_bDpT10_ENKUlT_T0_E_clISt17integral_constantIbLb1EES1T_IbLb0EEEEDaS1P_S1Q_EUlS1P_E_NS1_11comp_targetILNS1_3genE4ELNS1_11target_archE910ELNS1_3gpuE8ELNS1_3repE0EEENS1_30default_config_static_selectorELNS0_4arch9wavefront6targetE1EEEvS12_
	.p2align	8
	.type	_ZN7rocprim17ROCPRIM_400000_NS6detail17trampoline_kernelINS0_13select_configILj256ELj13ELNS0_17block_load_methodE3ELS4_3ELS4_3ELNS0_20block_scan_algorithmE0ELj4294967295EEENS1_25partition_config_selectorILNS1_17partition_subalgoE4EjNS0_10empty_typeEbEEZZNS1_14partition_implILS8_4ELb0ES6_15HIP_vector_typeIjLj2EENS0_17counting_iteratorIjlEEPS9_SG_NS0_5tupleIJPjSI_NS0_16reverse_iteratorISI_EEEEENSH_IJSG_SG_SG_EEES9_SI_JZNS1_25segmented_radix_sort_implINS0_14default_configELb1EPKbPbPKlPlN2at6native12_GLOBAL__N_18offset_tEEE10hipError_tPvRmT1_PNSt15iterator_traitsIS12_E10value_typeET2_T3_PNS13_IS18_E10value_typeET4_jRbjT5_S1E_jjP12ihipStream_tbEUljE_ZNSN_ISO_Lb1ESQ_SR_ST_SU_SY_EESZ_S10_S11_S12_S16_S17_S18_S1B_S1C_jS1D_jS1E_S1E_jjS1G_bEUljE0_EEESZ_S10_S11_S18_S1C_S1E_T6_T7_T9_mT8_S1G_bDpT10_ENKUlT_T0_E_clISt17integral_constantIbLb1EES1T_IbLb0EEEEDaS1P_S1Q_EUlS1P_E_NS1_11comp_targetILNS1_3genE4ELNS1_11target_archE910ELNS1_3gpuE8ELNS1_3repE0EEENS1_30default_config_static_selectorELNS0_4arch9wavefront6targetE1EEEvS12_,@function
_ZN7rocprim17ROCPRIM_400000_NS6detail17trampoline_kernelINS0_13select_configILj256ELj13ELNS0_17block_load_methodE3ELS4_3ELS4_3ELNS0_20block_scan_algorithmE0ELj4294967295EEENS1_25partition_config_selectorILNS1_17partition_subalgoE4EjNS0_10empty_typeEbEEZZNS1_14partition_implILS8_4ELb0ES6_15HIP_vector_typeIjLj2EENS0_17counting_iteratorIjlEEPS9_SG_NS0_5tupleIJPjSI_NS0_16reverse_iteratorISI_EEEEENSH_IJSG_SG_SG_EEES9_SI_JZNS1_25segmented_radix_sort_implINS0_14default_configELb1EPKbPbPKlPlN2at6native12_GLOBAL__N_18offset_tEEE10hipError_tPvRmT1_PNSt15iterator_traitsIS12_E10value_typeET2_T3_PNS13_IS18_E10value_typeET4_jRbjT5_S1E_jjP12ihipStream_tbEUljE_ZNSN_ISO_Lb1ESQ_SR_ST_SU_SY_EESZ_S10_S11_S12_S16_S17_S18_S1B_S1C_jS1D_jS1E_S1E_jjS1G_bEUljE0_EEESZ_S10_S11_S18_S1C_S1E_T6_T7_T9_mT8_S1G_bDpT10_ENKUlT_T0_E_clISt17integral_constantIbLb1EES1T_IbLb0EEEEDaS1P_S1Q_EUlS1P_E_NS1_11comp_targetILNS1_3genE4ELNS1_11target_archE910ELNS1_3gpuE8ELNS1_3repE0EEENS1_30default_config_static_selectorELNS0_4arch9wavefront6targetE1EEEvS12_: ; @_ZN7rocprim17ROCPRIM_400000_NS6detail17trampoline_kernelINS0_13select_configILj256ELj13ELNS0_17block_load_methodE3ELS4_3ELS4_3ELNS0_20block_scan_algorithmE0ELj4294967295EEENS1_25partition_config_selectorILNS1_17partition_subalgoE4EjNS0_10empty_typeEbEEZZNS1_14partition_implILS8_4ELb0ES6_15HIP_vector_typeIjLj2EENS0_17counting_iteratorIjlEEPS9_SG_NS0_5tupleIJPjSI_NS0_16reverse_iteratorISI_EEEEENSH_IJSG_SG_SG_EEES9_SI_JZNS1_25segmented_radix_sort_implINS0_14default_configELb1EPKbPbPKlPlN2at6native12_GLOBAL__N_18offset_tEEE10hipError_tPvRmT1_PNSt15iterator_traitsIS12_E10value_typeET2_T3_PNS13_IS18_E10value_typeET4_jRbjT5_S1E_jjP12ihipStream_tbEUljE_ZNSN_ISO_Lb1ESQ_SR_ST_SU_SY_EESZ_S10_S11_S12_S16_S17_S18_S1B_S1C_jS1D_jS1E_S1E_jjS1G_bEUljE0_EEESZ_S10_S11_S18_S1C_S1E_T6_T7_T9_mT8_S1G_bDpT10_ENKUlT_T0_E_clISt17integral_constantIbLb1EES1T_IbLb0EEEEDaS1P_S1Q_EUlS1P_E_NS1_11comp_targetILNS1_3genE4ELNS1_11target_archE910ELNS1_3gpuE8ELNS1_3repE0EEENS1_30default_config_static_selectorELNS0_4arch9wavefront6targetE1EEEvS12_
; %bb.0:
	s_load_dwordx2 s[0:1], s[4:5], 0x68
	s_load_dword s7, s[4:5], 0x8
	s_load_dwordx2 s[56:57], s[4:5], 0x10
	s_load_dwordx4 s[44:47], s[4:5], 0x58
	s_mul_i32 s33, s6, 0xd00
	s_waitcnt lgkmcnt(0)
	v_mov_b32_e32 v3, s1
	v_mov_b32_e32 v2, s0
	s_load_dword s1, s[4:5], 0x80
	s_load_dwordx2 s[60:61], s[4:5], 0xa8
	s_load_dwordx8 s[36:43], s[4:5], 0x88
	s_load_dwordx4 s[48:51], s[46:47], 0x0
	s_waitcnt lgkmcnt(0)
	s_add_i32 s8, s1, -1
	s_mulk_i32 s1, 0xd00
	s_add_u32 s2, s56, s1
	s_addc_u32 s3, s57, 0
	s_cmp_eq_u32 s6, s8
	s_cselect_b64 s[30:31], -1, 0
	s_cmp_lg_u32 s6, s8
	v_cmp_lt_u64_e32 vcc, s[2:3], v[2:3]
	s_cselect_b64 s[2:3], -1, 0
	s_add_i32 s7, s7, s33
	s_or_b64 s[2:3], s[2:3], vcc
	s_add_i32 s7, s7, s56
	v_add_u32_e32 v1, s7, v0
	s_mov_b64 s[8:9], -1
	s_and_b64 vcc, exec, s[2:3]
	s_cbranch_vccz .LBB1484_2
; %bb.1:
	v_add_u32_e32 v2, 0x100, v1
	v_lshlrev_b32_e32 v14, 2, v0
	v_add_u32_e32 v3, 0x200, v1
	v_add_u32_e32 v4, 0x300, v1
	;; [unrolled: 1-line block ×11, first 2 shown]
	ds_write2st64_b32 v14, v1, v2 offset1:4
	ds_write2st64_b32 v14, v3, v4 offset0:8 offset1:12
	ds_write2st64_b32 v14, v5, v6 offset0:16 offset1:20
	;; [unrolled: 1-line block ×5, first 2 shown]
	ds_write_b32 v14, v13 offset:12288
	s_waitcnt lgkmcnt(0)
	s_barrier
	s_mov_b64 s[8:9], 0
.LBB1484_2:
	s_andn2_b64 vcc, exec, s[8:9]
	s_add_i32 s1, s1, s56
	s_cbranch_vccnz .LBB1484_4
; %bb.3:
	v_add_u32_e32 v2, 0x100, v1
	v_lshlrev_b32_e32 v14, 2, v0
	v_add_u32_e32 v3, 0x200, v1
	v_add_u32_e32 v4, 0x300, v1
	;; [unrolled: 1-line block ×11, first 2 shown]
	ds_write2st64_b32 v14, v1, v2 offset1:4
	ds_write2st64_b32 v14, v3, v4 offset0:8 offset1:12
	ds_write2st64_b32 v14, v5, v6 offset0:16 offset1:20
	;; [unrolled: 1-line block ×5, first 2 shown]
	ds_write_b32 v14, v13 offset:12288
	s_waitcnt lgkmcnt(0)
	s_barrier
.LBB1484_4:
	v_mul_u32_u24_e32 v31, 13, v0
	v_lshlrev_b32_e32 v1, 2, v31
	s_load_dwordx4 s[52:55], s[4:5], 0x28
	s_load_dwordx2 s[34:35], s[4:5], 0x38
	s_waitcnt lgkmcnt(0)
	ds_read2_b32 v[18:19], v1 offset1:1
	ds_read2_b32 v[16:17], v1 offset0:2 offset1:3
	ds_read2_b32 v[14:15], v1 offset0:4 offset1:5
	;; [unrolled: 1-line block ×5, first 2 shown]
	ds_read_b32 v30, v1 offset:48
	v_cndmask_b32_e64 v1, 0, 1, s[2:3]
	s_sub_i32 s7, s0, s1
	v_cmp_ne_u32_e64 s[0:1], 1, v1
	s_andn2_b64 vcc, exec, s[2:3]
	s_waitcnt lgkmcnt(0)
	s_barrier
	s_cbranch_vccnz .LBB1484_32
; %bb.5:
	v_add_u32_e32 v1, s37, v18
	v_add_u32_e32 v2, s39, v18
	v_mul_lo_u32 v1, v1, s36
	v_mul_lo_u32 v2, v2, s38
	v_sub_u32_e32 v1, v1, v2
	v_cmp_lt_u32_e32 vcc, s40, v1
	v_cmp_ge_u32_e64 s[2:3], s40, v1
	s_mov_b64 s[64:65], 0
	s_mov_b64 s[62:63], 0
	s_and_saveexec_b64 s[8:9], s[2:3]
; %bb.6:
	v_add_u32_e32 v1, s42, v18
	v_add_u32_e32 v2, s60, v18
	v_mul_lo_u32 v1, v1, s41
	v_mul_lo_u32 v2, v2, s43
	v_sub_u32_e32 v1, v1, v2
	v_cmp_lt_u32_e64 s[2:3], s61, v1
	s_and_b64 s[62:63], s[2:3], exec
; %bb.7:
	s_or_b64 exec, exec, s[8:9]
	v_add_u32_e32 v1, s37, v19
	v_add_u32_e32 v2, s39, v19
	v_mul_lo_u32 v1, v1, s36
	v_mul_lo_u32 v2, v2, s38
	v_sub_u32_e32 v1, v1, v2
	v_cmp_lt_u32_e64 s[2:3], s40, v1
	v_cmp_ge_u32_e64 s[8:9], s40, v1
	s_and_saveexec_b64 s[10:11], s[8:9]
; %bb.8:
	v_add_u32_e32 v1, s42, v19
	v_add_u32_e32 v2, s60, v19
	v_mul_lo_u32 v1, v1, s41
	v_mul_lo_u32 v2, v2, s43
	v_sub_u32_e32 v1, v1, v2
	v_cmp_lt_u32_e64 s[8:9], s61, v1
	s_and_b64 s[64:65], s[8:9], exec
; %bb.9:
	s_or_b64 exec, exec, s[10:11]
	v_add_u32_e32 v1, s37, v16
	v_add_u32_e32 v2, s39, v16
	v_mul_lo_u32 v1, v1, s36
	v_mul_lo_u32 v2, v2, s38
	v_sub_u32_e32 v1, v1, v2
	v_cmp_lt_u32_e64 s[26:27], s40, v1
	v_cmp_ge_u32_e64 s[8:9], s40, v1
	s_mov_b64 s[68:69], 0
	s_mov_b64 s[66:67], 0
	s_and_saveexec_b64 s[10:11], s[8:9]
; %bb.10:
	v_add_u32_e32 v1, s42, v16
	v_add_u32_e32 v2, s60, v16
	v_mul_lo_u32 v1, v1, s41
	v_mul_lo_u32 v2, v2, s43
	v_sub_u32_e32 v1, v1, v2
	v_cmp_lt_u32_e64 s[8:9], s61, v1
	s_and_b64 s[66:67], s[8:9], exec
; %bb.11:
	s_or_b64 exec, exec, s[10:11]
	v_add_u32_e32 v1, s37, v17
	v_add_u32_e32 v2, s39, v17
	v_mul_lo_u32 v1, v1, s36
	v_mul_lo_u32 v2, v2, s38
	v_sub_u32_e32 v1, v1, v2
	v_cmp_lt_u32_e64 s[8:9], s40, v1
	v_cmp_ge_u32_e64 s[10:11], s40, v1
	s_and_saveexec_b64 s[12:13], s[10:11]
; %bb.12:
	v_add_u32_e32 v1, s42, v17
	v_add_u32_e32 v2, s60, v17
	v_mul_lo_u32 v1, v1, s41
	v_mul_lo_u32 v2, v2, s43
	v_sub_u32_e32 v1, v1, v2
	v_cmp_lt_u32_e64 s[10:11], s61, v1
	s_and_b64 s[68:69], s[10:11], exec
; %bb.13:
	s_or_b64 exec, exec, s[12:13]
	v_add_u32_e32 v1, s37, v14
	v_add_u32_e32 v2, s39, v14
	v_mul_lo_u32 v1, v1, s36
	v_mul_lo_u32 v2, v2, s38
	v_sub_u32_e32 v1, v1, v2
	v_cmp_lt_u32_e64 s[10:11], s40, v1
	;; [unrolled: 38-line block ×5, first 2 shown]
	v_cmp_ge_u32_e64 s[24:25], s40, v1
	s_mov_b64 s[84:85], 0
	s_mov_b64 s[86:87], 0
	s_and_saveexec_b64 s[28:29], s[24:25]
; %bb.26:
	v_add_u32_e32 v1, s42, v8
	v_add_u32_e32 v2, s60, v8
	v_mul_lo_u32 v1, v1, s41
	v_mul_lo_u32 v2, v2, s43
	v_sub_u32_e32 v1, v1, v2
	v_cmp_lt_u32_e64 s[24:25], s61, v1
	s_and_b64 s[86:87], s[24:25], exec
; %bb.27:
	s_or_b64 exec, exec, s[28:29]
	v_add_u32_e32 v1, s37, v9
	v_add_u32_e32 v2, s39, v9
	v_mul_lo_u32 v1, v1, s36
	v_mul_lo_u32 v2, v2, s38
	v_sub_u32_e32 v1, v1, v2
	v_cmp_lt_u32_e64 s[24:25], s40, v1
	v_cmp_ge_u32_e64 s[28:29], s40, v1
	s_and_saveexec_b64 s[46:47], s[28:29]
; %bb.28:
	v_add_u32_e32 v1, s42, v9
	v_add_u32_e32 v2, s60, v9
	v_mul_lo_u32 v1, v1, s41
	v_mul_lo_u32 v2, v2, s43
	v_sub_u32_e32 v1, v1, v2
	v_cmp_lt_u32_e64 s[28:29], s61, v1
	s_and_b64 s[84:85], s[28:29], exec
; %bb.29:
	s_or_b64 exec, exec, s[46:47]
	v_add_u32_e32 v1, s37, v30
	v_add_u32_e32 v2, s39, v30
	v_mul_lo_u32 v1, v1, s36
	v_mul_lo_u32 v2, v2, s38
	v_sub_u32_e32 v1, v1, v2
	v_cmp_ge_u32_e64 s[28:29], s40, v1
	s_mov_b64 s[46:47], -1
	s_mov_b64 s[78:79], 0
	s_mov_b64 s[58:59], 0
	s_and_saveexec_b64 s[88:89], s[28:29]
; %bb.30:
	v_add_u32_e32 v1, s42, v30
	v_add_u32_e32 v2, s60, v30
	v_mul_lo_u32 v1, v1, s41
	v_mul_lo_u32 v2, v2, s43
	v_sub_u32_e32 v1, v1, v2
	v_cmp_lt_u32_e64 s[28:29], s61, v1
	s_and_b64 s[58:59], s[28:29], exec
	s_xor_b64 s[46:47], exec, -1
; %bb.31:
	s_or_b64 exec, exec, s[88:89]
	v_cndmask_b32_e64 v52, 0, 1, s[86:87]
	v_cndmask_b32_e64 v55, 0, 1, s[24:25]
	;; [unrolled: 1-line block ×22, first 2 shown]
	v_cndmask_b32_e64 v32, 0, 1, vcc
	v_cndmask_b32_e64 v54, 0, 1, s[84:85]
	s_load_dwordx2 s[12:13], s[4:5], 0x78
	s_add_i32 s18, s7, 0xd00
	s_and_b64 vcc, exec, s[78:79]
	s_cbranch_vccnz .LBB1484_33
	s_branch .LBB1484_86
.LBB1484_32:
                                        ; implicit-def: $sgpr46_sgpr47
                                        ; implicit-def: $sgpr58_sgpr59
                                        ; implicit-def: $vgpr54
                                        ; implicit-def: $vgpr52
                                        ; implicit-def: $vgpr50
                                        ; implicit-def: $vgpr48
                                        ; implicit-def: $vgpr46
                                        ; implicit-def: $vgpr44
                                        ; implicit-def: $vgpr42
                                        ; implicit-def: $vgpr40
                                        ; implicit-def: $vgpr38
                                        ; implicit-def: $vgpr32
                                        ; implicit-def: $vgpr34
                                        ; implicit-def: $vgpr36
                                        ; implicit-def: $vgpr39
                                        ; implicit-def: $vgpr41
                                        ; implicit-def: $vgpr43
                                        ; implicit-def: $vgpr45
                                        ; implicit-def: $vgpr47
                                        ; implicit-def: $vgpr49
                                        ; implicit-def: $vgpr51
                                        ; implicit-def: $vgpr53
                                        ; implicit-def: $vgpr55
                                        ; implicit-def: $vgpr33
                                        ; implicit-def: $vgpr35
                                        ; implicit-def: $vgpr37
	s_load_dwordx2 s[12:13], s[4:5], 0x78
	s_add_i32 s18, s7, 0xd00
	s_cbranch_execz .LBB1484_86
.LBB1484_33:
	v_cmp_gt_u32_e32 vcc, s18, v31
	v_mov_b32_e32 v33, 0
	v_mov_b32_e32 v32, 0
	s_and_saveexec_b64 s[4:5], vcc
	s_cbranch_execz .LBB1484_37
; %bb.34:
	v_add_u32_e32 v1, s37, v18
	v_add_u32_e32 v2, s39, v18
	v_mul_lo_u32 v1, v1, s36
	v_mul_lo_u32 v2, v2, s38
	v_sub_u32_e32 v1, v1, v2
	v_cmp_lt_u32_e32 vcc, s40, v1
	v_cmp_ge_u32_e64 s[2:3], s40, v1
	s_mov_b64 s[10:11], 0
	s_and_saveexec_b64 s[8:9], s[2:3]
; %bb.35:
	v_add_u32_e32 v1, s42, v18
	v_add_u32_e32 v2, s60, v18
	v_mul_lo_u32 v1, v1, s41
	v_mul_lo_u32 v2, v2, s43
	v_sub_u32_e32 v1, v1, v2
	v_cmp_lt_u32_e64 s[2:3], s61, v1
	s_and_b64 s[10:11], s[2:3], exec
; %bb.36:
	s_or_b64 exec, exec, s[8:9]
	v_cndmask_b32_e64 v32, 0, 1, vcc
	v_cndmask_b32_e64 v33, 0, 1, s[10:11]
.LBB1484_37:
	s_or_b64 exec, exec, s[4:5]
	v_add_u32_e32 v1, 1, v31
	v_cmp_gt_u32_e32 vcc, s18, v1
	v_mov_b32_e32 v34, 0
	v_mov_b32_e32 v35, 0
	s_and_saveexec_b64 s[4:5], vcc
	s_cbranch_execz .LBB1484_41
; %bb.38:
	v_add_u32_e32 v1, s37, v19
	v_add_u32_e32 v2, s39, v19
	v_mul_lo_u32 v1, v1, s36
	v_mul_lo_u32 v2, v2, s38
	v_sub_u32_e32 v1, v1, v2
	v_cmp_lt_u32_e32 vcc, s40, v1
	v_cmp_ge_u32_e64 s[2:3], s40, v1
	s_mov_b64 s[10:11], 0
	s_and_saveexec_b64 s[8:9], s[2:3]
; %bb.39:
	v_add_u32_e32 v1, s42, v19
	v_add_u32_e32 v2, s60, v19
	v_mul_lo_u32 v1, v1, s41
	v_mul_lo_u32 v2, v2, s43
	v_sub_u32_e32 v1, v1, v2
	v_cmp_lt_u32_e64 s[2:3], s61, v1
	s_and_b64 s[10:11], s[2:3], exec
; %bb.40:
	s_or_b64 exec, exec, s[8:9]
	v_cndmask_b32_e64 v34, 0, 1, vcc
	v_cndmask_b32_e64 v35, 0, 1, s[10:11]
.LBB1484_41:
	s_or_b64 exec, exec, s[4:5]
	v_add_u32_e32 v1, 2, v31
	;; [unrolled: 30-line block ×12, first 2 shown]
	v_cmp_gt_u32_e32 vcc, s18, v1
	s_mov_b64 s[46:47], 0
	s_mov_b64 s[58:59], 0
	s_and_saveexec_b64 s[2:3], vcc
	s_cbranch_execz .LBB1484_85
; %bb.82:
	v_add_u32_e32 v1, s37, v30
	v_add_u32_e32 v2, s39, v30
	v_mul_lo_u32 v1, v1, s36
	v_mul_lo_u32 v2, v2, s38
	v_sub_u32_e32 v1, v1, v2
	v_cmp_ge_u32_e32 vcc, s40, v1
	s_mov_b64 s[8:9], -1
	s_mov_b64 s[10:11], 0
	s_and_saveexec_b64 s[4:5], vcc
; %bb.83:
	v_add_u32_e32 v1, s42, v30
	v_add_u32_e32 v2, s60, v30
	v_mul_lo_u32 v1, v1, s41
	v_mul_lo_u32 v2, v2, s43
	v_sub_u32_e32 v1, v1, v2
	v_cmp_lt_u32_e32 vcc, s61, v1
	s_and_b64 s[10:11], vcc, exec
	s_xor_b64 s[8:9], exec, -1
; %bb.84:
	s_or_b64 exec, exec, s[4:5]
	s_and_b64 s[58:59], s[10:11], exec
	s_and_b64 s[46:47], s[8:9], exec
.LBB1484_85:
	s_or_b64 exec, exec, s[2:3]
.LBB1484_86:
	v_and_b32_e32 v63, 0xff, v33
	v_and_b32_e32 v74, 0xff, v35
	;; [unrolled: 1-line block ×5, first 2 shown]
	v_add3_u32 v2, v74, v65, v63
	v_and_b32_e32 v76, 0xff, v42
	v_and_b32_e32 v69, 0xff, v44
	v_add3_u32 v2, v2, v75, v67
	v_and_b32_e32 v62, 0xff, v32
	v_and_b32_e32 v56, 0xff, v34
	;; [unrolled: 1-line block ×5, first 2 shown]
	v_add3_u32 v2, v2, v76, v69
	v_and_b32_e32 v57, 0xff, v39
	v_and_b32_e32 v66, 0xff, v41
	;; [unrolled: 1-line block ×4, first 2 shown]
	v_add3_u32 v3, v56, v64, v62
	v_add3_u32 v2, v2, v77, v71
	v_and_b32_e32 v58, 0xff, v43
	v_and_b32_e32 v68, 0xff, v45
	;; [unrolled: 1-line block ×3, first 2 shown]
	v_cndmask_b32_e64 v1, 0, 1, s[58:59]
	v_add3_u32 v3, v3, v57, v66
	v_add3_u32 v2, v2, v78, v73
	v_and_b32_e32 v59, 0xff, v47
	v_and_b32_e32 v70, 0xff, v49
	v_add3_u32 v3, v3, v58, v68
	v_add3_u32 v86, v2, v79, v1
	v_mbcnt_lo_u32_b32 v1, -1, 0
	v_and_b32_e32 v60, 0xff, v51
	v_and_b32_e32 v72, 0xff, v53
	v_add3_u32 v3, v3, v59, v70
	v_mbcnt_hi_u32_b32 v80, -1, v1
	v_and_b32_e32 v61, 0xff, v55
	v_add3_u32 v3, v3, v60, v72
	v_cndmask_b32_e64 v4, 0, 1, s[46:47]
	v_and_b32_e32 v84, 15, v80
	s_cmp_lg_u32 s6, 0
	v_add3_u32 v85, v3, v61, v4
	v_cmp_eq_u32_e64 s[4:5], 0, v84
	v_cmp_lt_u32_e64 s[2:3], 1, v84
	v_cmp_lt_u32_e64 s[8:9], 3, v84
	;; [unrolled: 1-line block ×3, first 2 shown]
	v_and_b32_e32 v83, 16, v80
	v_cmp_lt_u32_e32 vcc, 31, v80
	v_lshrrev_b32_e32 v81, 6, v0
	v_or_b32_e32 v82, 63, v0
	s_cbranch_scc0 .LBB1484_119
; %bb.87:
	v_mov_b32_dpp v1, v85 row_shr:1 row_mask:0xf bank_mask:0xf
	v_mov_b32_dpp v2, v86 row_shr:1 row_mask:0xf bank_mask:0xf
	v_add_u32_e32 v1, v1, v85
	v_add_u32_e32 v2, v2, v86
	v_cndmask_b32_e64 v2, v2, v86, s[4:5]
	v_cndmask_b32_e64 v1, v1, v85, s[4:5]
	s_nop 0
	v_mov_b32_dpp v4, v2 row_shr:2 row_mask:0xf bank_mask:0xf
	v_mov_b32_dpp v3, v1 row_shr:2 row_mask:0xf bank_mask:0xf
	v_add_u32_e32 v3, v1, v3
	v_add_u32_e32 v4, v2, v4
	v_cndmask_b32_e64 v2, v2, v4, s[2:3]
	v_cndmask_b32_e64 v1, v1, v3, s[2:3]
	s_nop 0
	v_mov_b32_dpp v4, v2 row_shr:4 row_mask:0xf bank_mask:0xf
	v_mov_b32_dpp v3, v1 row_shr:4 row_mask:0xf bank_mask:0xf
	v_add_u32_e32 v3, v1, v3
	v_add_u32_e32 v4, v2, v4
	v_cndmask_b32_e64 v2, v2, v4, s[8:9]
	v_cndmask_b32_e64 v1, v1, v3, s[8:9]
	v_cmp_eq_u32_e64 s[8:9], 0, v83
	v_mov_b32_dpp v4, v2 row_shr:8 row_mask:0xf bank_mask:0xf
	v_mov_b32_dpp v3, v1 row_shr:8 row_mask:0xf bank_mask:0xf
	v_add_u32_e32 v3, v1, v3
	v_add_u32_e32 v4, v2, v4
	v_cndmask_b32_e64 v2, v2, v4, s[10:11]
	v_cndmask_b32_e64 v1, v1, v3, s[10:11]
	s_nop 0
	v_mov_b32_dpp v4, v2 row_bcast:15 row_mask:0xf bank_mask:0xf
	v_mov_b32_dpp v3, v1 row_bcast:15 row_mask:0xf bank_mask:0xf
	v_add_u32_e32 v3, v1, v3
	v_add_u32_e32 v4, v2, v4
	v_cndmask_b32_e64 v2, v4, v2, s[8:9]
	v_cndmask_b32_e64 v1, v3, v1, s[8:9]
	s_nop 0
	v_mov_b32_dpp v4, v2 row_bcast:31 row_mask:0xf bank_mask:0xf
	v_mov_b32_dpp v3, v1 row_bcast:31 row_mask:0xf bank_mask:0xf
	v_add_u32_e32 v4, v2, v4
	v_add_u32_e32 v5, v1, v3
	v_cndmask_b32_e32 v3, v2, v4, vcc
	v_cndmask_b32_e32 v2, v1, v5, vcc
	v_cmp_eq_u32_e32 vcc, v82, v0
	s_and_saveexec_b64 s[8:9], vcc
	s_cbranch_execz .LBB1484_89
; %bb.88:
	v_lshlrev_b32_e32 v1, 3, v81
	ds_write_b64 v1, v[2:3]
.LBB1484_89:
	s_or_b64 exec, exec, s[8:9]
	v_cmp_gt_u32_e32 vcc, 4, v0
	s_waitcnt lgkmcnt(0)
	s_barrier
	s_and_saveexec_b64 s[8:9], vcc
	s_cbranch_execz .LBB1484_91
; %bb.90:
	v_lshlrev_b32_e32 v1, 3, v0
	ds_read_b64 v[4:5], v1
	v_and_b32_e32 v6, 3, v80
	v_cmp_eq_u32_e32 vcc, 0, v6
	s_waitcnt lgkmcnt(0)
	v_mov_b32_dpp v7, v4 row_shr:1 row_mask:0xf bank_mask:0xf
	v_mov_b32_dpp v20, v5 row_shr:1 row_mask:0xf bank_mask:0xf
	v_add_u32_e32 v7, v7, v4
	v_add_u32_e32 v20, v20, v5
	v_cndmask_b32_e32 v5, v20, v5, vcc
	v_cndmask_b32_e32 v4, v7, v4, vcc
	v_cmp_lt_u32_e32 vcc, 1, v6
	v_mov_b32_dpp v20, v5 row_shr:2 row_mask:0xf bank_mask:0xf
	v_mov_b32_dpp v7, v4 row_shr:2 row_mask:0xf bank_mask:0xf
	v_cndmask_b32_e32 v6, 0, v7, vcc
	v_cndmask_b32_e32 v7, 0, v20, vcc
	v_add_u32_e32 v5, v7, v5
	v_add_u32_e32 v4, v6, v4
	ds_write_b64 v1, v[4:5]
.LBB1484_91:
	s_or_b64 exec, exec, s[8:9]
	v_cmp_gt_u32_e32 vcc, 64, v0
	v_cmp_lt_u32_e64 s[8:9], 63, v0
	s_waitcnt lgkmcnt(0)
	s_barrier
	s_waitcnt lgkmcnt(0)
                                        ; implicit-def: $vgpr21
	s_and_saveexec_b64 s[10:11], s[8:9]
	s_xor_b64 s[8:9], exec, s[10:11]
	s_cbranch_execz .LBB1484_93
; %bb.92:
	v_lshl_add_u32 v1, v81, 3, -8
	ds_read_b64 v[20:21], v1
	s_waitcnt lgkmcnt(0)
	v_add_u32_e32 v3, v21, v3
	v_add_u32_e32 v2, v20, v2
.LBB1484_93:
	s_andn2_saveexec_b64 s[8:9], s[8:9]
; %bb.94:
                                        ; implicit-def: $vgpr20
; %bb.95:
	s_or_b64 exec, exec, s[8:9]
	v_add_u32_e32 v1, -1, v80
	v_and_b32_e32 v4, 64, v80
	v_cmp_lt_i32_e64 s[8:9], v1, v4
	v_cndmask_b32_e64 v1, v1, v80, s[8:9]
	v_lshlrev_b32_e32 v4, 2, v1
	ds_bpermute_b32 v1, v4, v2
	ds_bpermute_b32 v87, v4, v3
	v_cmp_eq_u32_e64 s[8:9], 0, v80
	s_and_saveexec_b64 s[10:11], vcc
	s_cbranch_execz .LBB1484_118
; %bb.96:
	v_mov_b32_e32 v7, 0
	ds_read_b64 v[22:23], v7 offset:24
	s_and_saveexec_b64 s[14:15], s[8:9]
	s_cbranch_execz .LBB1484_98
; %bb.97:
	s_add_i32 s16, s6, 64
	s_mov_b32 s17, 0
	s_lshl_b64 s[16:17], s[16:17], 4
	s_waitcnt lgkmcnt(0)
	v_and_b32_e32 v2, 0xff000000, v23
	v_and_b32_e32 v3, 0xff0000, v23
	s_add_u32 s16, s12, s16
	v_or_b32_e32 v2, v3, v2
	v_and_b32_e32 v3, 0xff00, v23
	s_addc_u32 s17, s13, s17
	v_or_b32_e32 v2, v2, v3
	v_or_b32_sdwa v5, v2, v23 dst_sel:DWORD dst_unused:UNUSED_PAD src0_sel:DWORD src1_sel:BYTE_0
	v_mov_b32_e32 v6, 1
	v_mov_b32_e32 v4, v22
	v_pk_mov_b32 v[2:3], s[16:17], s[16:17] op_sel:[0,1]
	;;#ASMSTART
	global_store_dwordx4 v[2:3], v[4:7] off	
s_waitcnt vmcnt(0)
	;;#ASMEND
.LBB1484_98:
	s_or_b64 exec, exec, s[14:15]
	v_xad_u32 v24, v80, -1, s6
	v_add_u32_e32 v6, 64, v24
	v_lshlrev_b64 v[2:3], 4, v[6:7]
	v_mov_b32_e32 v4, s13
	v_add_co_u32_e32 v26, vcc, s12, v2
	v_addc_co_u32_e32 v27, vcc, v4, v3, vcc
	;;#ASMSTART
	global_load_dwordx4 v[2:5], v[26:27] off glc	
s_waitcnt vmcnt(0)
	;;#ASMEND
	v_and_b32_e32 v5, 0xff, v3
	v_and_b32_e32 v6, 0xff00, v3
	v_or3_b32 v5, 0, v5, v6
	v_or3_b32 v2, v2, 0, 0
	v_and_b32_e32 v6, 0xff000000, v3
	v_and_b32_e32 v3, 0xff0000, v3
	v_or3_b32 v3, v5, v3, v6
	v_or3_b32 v2, v2, 0, 0
	v_cmp_eq_u16_sdwa s[16:17], v4, v7 src0_sel:BYTE_0 src1_sel:DWORD
	s_and_saveexec_b64 s[14:15], s[16:17]
	s_cbranch_execz .LBB1484_104
; %bb.99:
	s_mov_b32 s7, 1
	s_mov_b64 s[16:17], 0
	v_mov_b32_e32 v6, 0
.LBB1484_100:                           ; =>This Loop Header: Depth=1
                                        ;     Child Loop BB1484_101 Depth 2
	s_max_u32 s19, s7, 1
.LBB1484_101:                           ;   Parent Loop BB1484_100 Depth=1
                                        ; =>  This Inner Loop Header: Depth=2
	s_add_i32 s19, s19, -1
	s_cmp_eq_u32 s19, 0
	s_sleep 1
	s_cbranch_scc0 .LBB1484_101
; %bb.102:                              ;   in Loop: Header=BB1484_100 Depth=1
	s_cmp_lt_u32 s7, 32
	s_cselect_b64 s[20:21], -1, 0
	s_cmp_lg_u64 s[20:21], 0
	s_addc_u32 s7, s7, 0
	;;#ASMSTART
	global_load_dwordx4 v[2:5], v[26:27] off glc	
s_waitcnt vmcnt(0)
	;;#ASMEND
	v_cmp_ne_u16_sdwa s[20:21], v4, v6 src0_sel:BYTE_0 src1_sel:DWORD
	s_or_b64 s[16:17], s[20:21], s[16:17]
	s_andn2_b64 exec, exec, s[16:17]
	s_cbranch_execnz .LBB1484_100
; %bb.103:
	s_or_b64 exec, exec, s[16:17]
.LBB1484_104:
	s_or_b64 exec, exec, s[14:15]
	v_and_b32_e32 v89, 63, v80
	v_cmp_ne_u32_e32 vcc, 63, v89
	v_mov_b32_e32 v88, 2
	v_addc_co_u32_e32 v26, vcc, 0, v80, vcc
	v_cmp_eq_u16_sdwa s[14:15], v4, v88 src0_sel:BYTE_0 src1_sel:DWORD
	v_lshlrev_b64 v[6:7], v80, -1
	v_lshlrev_b32_e32 v90, 2, v26
	v_and_b32_e32 v5, s15, v7
	ds_bpermute_b32 v26, v90, v2
	ds_bpermute_b32 v27, v90, v3
	v_or_b32_e32 v5, 0x80000000, v5
	v_and_b32_e32 v25, s14, v6
	v_ffbl_b32_e32 v5, v5
	v_add_u32_e32 v5, 32, v5
	v_ffbl_b32_e32 v25, v25
	v_min_u32_e32 v5, v25, v5
	s_waitcnt lgkmcnt(1)
	v_add_u32_e32 v25, v26, v2
	s_waitcnt lgkmcnt(0)
	v_add_u32_e32 v26, v27, v3
	v_cmp_lt_u32_e32 vcc, v89, v5
	v_cndmask_b32_e32 v3, v3, v26, vcc
	v_cndmask_b32_e32 v2, v2, v25, vcc
	v_cmp_gt_u32_e32 vcc, 62, v89
	v_cndmask_b32_e64 v25, 0, 1, vcc
	v_lshlrev_b32_e32 v25, 1, v25
	v_add_lshl_u32 v91, v25, v80, 2
	ds_bpermute_b32 v25, v91, v2
	ds_bpermute_b32 v26, v91, v3
	v_add_u32_e32 v92, 2, v89
	v_cmp_gt_u32_e32 vcc, v92, v5
	v_add_u32_e32 v94, 4, v89
	s_waitcnt lgkmcnt(1)
	v_add_u32_e32 v25, v2, v25
	s_waitcnt lgkmcnt(0)
	v_add_u32_e32 v26, v3, v26
	v_cndmask_b32_e32 v3, v26, v3, vcc
	v_cndmask_b32_e32 v2, v25, v2, vcc
	v_cmp_gt_u32_e32 vcc, 60, v89
	v_cndmask_b32_e64 v25, 0, 1, vcc
	v_lshlrev_b32_e32 v25, 2, v25
	v_add_lshl_u32 v93, v25, v80, 2
	ds_bpermute_b32 v25, v93, v2
	ds_bpermute_b32 v26, v93, v3
	v_cmp_gt_u32_e32 vcc, v94, v5
	v_add_u32_e32 v96, 8, v89
	v_add_u32_e32 v98, 16, v89
	s_waitcnt lgkmcnt(1)
	v_add_u32_e32 v25, v2, v25
	s_waitcnt lgkmcnt(0)
	v_add_u32_e32 v26, v3, v26
	v_cndmask_b32_e32 v3, v26, v3, vcc
	v_cndmask_b32_e32 v2, v25, v2, vcc
	v_cmp_gt_u32_e32 vcc, 56, v89
	v_cndmask_b32_e64 v25, 0, 1, vcc
	v_lshlrev_b32_e32 v25, 3, v25
	v_add_lshl_u32 v95, v25, v80, 2
	ds_bpermute_b32 v25, v95, v2
	ds_bpermute_b32 v26, v95, v3
	v_cmp_gt_u32_e32 vcc, v96, v5
	v_add_u32_e32 v100, 32, v89
	s_waitcnt lgkmcnt(1)
	v_add_u32_e32 v25, v2, v25
	s_waitcnt lgkmcnt(0)
	v_add_u32_e32 v26, v3, v26
	v_cndmask_b32_e32 v3, v26, v3, vcc
	v_cndmask_b32_e32 v2, v25, v2, vcc
	v_cmp_gt_u32_e32 vcc, 48, v89
	v_cndmask_b32_e64 v25, 0, 1, vcc
	v_lshlrev_b32_e32 v25, 4, v25
	v_add_lshl_u32 v97, v25, v80, 2
	ds_bpermute_b32 v25, v97, v2
	ds_bpermute_b32 v26, v97, v3
	v_cmp_gt_u32_e32 vcc, v98, v5
	s_waitcnt lgkmcnt(1)
	v_add_u32_e32 v25, v2, v25
	s_waitcnt lgkmcnt(0)
	v_add_u32_e32 v26, v3, v26
	v_cndmask_b32_e32 v3, v26, v3, vcc
	v_cndmask_b32_e32 v2, v25, v2, vcc
	v_cmp_gt_u32_e32 vcc, 32, v89
	v_cndmask_b32_e64 v25, 0, 1, vcc
	v_lshlrev_b32_e32 v25, 5, v25
	v_add_lshl_u32 v99, v25, v80, 2
	ds_bpermute_b32 v25, v99, v2
	ds_bpermute_b32 v26, v99, v3
	v_cmp_le_u32_e32 vcc, v100, v5
	s_waitcnt lgkmcnt(1)
	v_cndmask_b32_e32 v5, 0, v25, vcc
	s_waitcnt lgkmcnt(0)
	v_cndmask_b32_e32 v25, 0, v26, vcc
	v_add_u32_e32 v3, v3, v25
	v_add_u32_e32 v2, v2, v5
	v_mov_b32_e32 v25, 0
	s_branch .LBB1484_106
.LBB1484_105:                           ;   in Loop: Header=BB1484_106 Depth=1
	s_or_b64 exec, exec, s[14:15]
	v_cmp_eq_u16_sdwa s[14:15], v4, v88 src0_sel:BYTE_0 src1_sel:DWORD
	v_and_b32_e32 v5, s15, v7
	ds_bpermute_b32 v29, v90, v2
	ds_bpermute_b32 v101, v90, v3
	v_or_b32_e32 v5, 0x80000000, v5
	v_and_b32_e32 v28, s14, v6
	v_ffbl_b32_e32 v5, v5
	v_add_u32_e32 v5, 32, v5
	v_ffbl_b32_e32 v28, v28
	v_min_u32_e32 v5, v28, v5
	s_waitcnt lgkmcnt(1)
	v_add_u32_e32 v28, v29, v2
	s_waitcnt lgkmcnt(0)
	v_add_u32_e32 v29, v101, v3
	v_cmp_lt_u32_e32 vcc, v89, v5
	v_cndmask_b32_e32 v3, v3, v29, vcc
	v_cndmask_b32_e32 v2, v2, v28, vcc
	ds_bpermute_b32 v28, v91, v2
	ds_bpermute_b32 v29, v91, v3
	v_cmp_gt_u32_e32 vcc, v92, v5
	v_subrev_u32_e32 v24, 64, v24
	s_waitcnt lgkmcnt(1)
	v_add_u32_e32 v28, v2, v28
	s_waitcnt lgkmcnt(0)
	v_add_u32_e32 v29, v3, v29
	v_cndmask_b32_e32 v3, v29, v3, vcc
	v_cndmask_b32_e32 v2, v28, v2, vcc
	ds_bpermute_b32 v28, v93, v2
	ds_bpermute_b32 v29, v93, v3
	v_cmp_gt_u32_e32 vcc, v94, v5
	s_waitcnt lgkmcnt(1)
	v_add_u32_e32 v28, v2, v28
	s_waitcnt lgkmcnt(0)
	v_add_u32_e32 v29, v3, v29
	v_cndmask_b32_e32 v3, v29, v3, vcc
	v_cndmask_b32_e32 v2, v28, v2, vcc
	ds_bpermute_b32 v28, v95, v2
	ds_bpermute_b32 v29, v95, v3
	v_cmp_gt_u32_e32 vcc, v96, v5
	;; [unrolled: 9-line block ×3, first 2 shown]
	s_waitcnt lgkmcnt(1)
	v_add_u32_e32 v28, v2, v28
	s_waitcnt lgkmcnt(0)
	v_add_u32_e32 v29, v3, v29
	v_cndmask_b32_e32 v3, v29, v3, vcc
	v_cndmask_b32_e32 v2, v28, v2, vcc
	ds_bpermute_b32 v28, v99, v2
	ds_bpermute_b32 v29, v99, v3
	v_cmp_le_u32_e32 vcc, v100, v5
	s_waitcnt lgkmcnt(1)
	v_cndmask_b32_e32 v5, 0, v28, vcc
	s_waitcnt lgkmcnt(0)
	v_cndmask_b32_e32 v28, 0, v29, vcc
	v_add3_u32 v3, v28, v27, v3
	v_add3_u32 v2, v5, v26, v2
.LBB1484_106:                           ; =>This Loop Header: Depth=1
                                        ;     Child Loop BB1484_109 Depth 2
                                        ;       Child Loop BB1484_110 Depth 3
	v_cmp_ne_u16_sdwa s[14:15], v4, v88 src0_sel:BYTE_0 src1_sel:DWORD
	v_cndmask_b32_e64 v4, 0, 1, s[14:15]
	;;#ASMSTART
	;;#ASMEND
	v_cmp_ne_u32_e32 vcc, 0, v4
	s_cmp_lg_u64 vcc, exec
	v_pk_mov_b32 v[26:27], v[2:3], v[2:3] op_sel:[0,1]
	s_cbranch_scc1 .LBB1484_113
; %bb.107:                              ;   in Loop: Header=BB1484_106 Depth=1
	v_lshlrev_b64 v[2:3], 4, v[24:25]
	v_mov_b32_e32 v4, s13
	v_add_co_u32_e32 v28, vcc, s12, v2
	v_addc_co_u32_e32 v29, vcc, v4, v3, vcc
	;;#ASMSTART
	global_load_dwordx4 v[2:5], v[28:29] off glc	
s_waitcnt vmcnt(0)
	;;#ASMEND
	v_and_b32_e32 v5, 0xff, v3
	v_and_b32_e32 v101, 0xff00, v3
	v_or3_b32 v5, 0, v5, v101
	v_or3_b32 v2, v2, 0, 0
	v_and_b32_e32 v101, 0xff000000, v3
	v_and_b32_e32 v3, 0xff0000, v3
	v_or3_b32 v3, v5, v3, v101
	v_or3_b32 v2, v2, 0, 0
	v_cmp_eq_u16_sdwa s[16:17], v4, v25 src0_sel:BYTE_0 src1_sel:DWORD
	s_and_saveexec_b64 s[14:15], s[16:17]
	s_cbranch_execz .LBB1484_105
; %bb.108:                              ;   in Loop: Header=BB1484_106 Depth=1
	s_mov_b32 s7, 1
	s_mov_b64 s[16:17], 0
.LBB1484_109:                           ;   Parent Loop BB1484_106 Depth=1
                                        ; =>  This Loop Header: Depth=2
                                        ;       Child Loop BB1484_110 Depth 3
	s_max_u32 s19, s7, 1
.LBB1484_110:                           ;   Parent Loop BB1484_106 Depth=1
                                        ;     Parent Loop BB1484_109 Depth=2
                                        ; =>    This Inner Loop Header: Depth=3
	s_add_i32 s19, s19, -1
	s_cmp_eq_u32 s19, 0
	s_sleep 1
	s_cbranch_scc0 .LBB1484_110
; %bb.111:                              ;   in Loop: Header=BB1484_109 Depth=2
	s_cmp_lt_u32 s7, 32
	s_cselect_b64 s[20:21], -1, 0
	s_cmp_lg_u64 s[20:21], 0
	s_addc_u32 s7, s7, 0
	;;#ASMSTART
	global_load_dwordx4 v[2:5], v[28:29] off glc	
s_waitcnt vmcnt(0)
	;;#ASMEND
	v_cmp_ne_u16_sdwa s[20:21], v4, v25 src0_sel:BYTE_0 src1_sel:DWORD
	s_or_b64 s[16:17], s[20:21], s[16:17]
	s_andn2_b64 exec, exec, s[16:17]
	s_cbranch_execnz .LBB1484_109
; %bb.112:                              ;   in Loop: Header=BB1484_106 Depth=1
	s_or_b64 exec, exec, s[16:17]
	s_branch .LBB1484_105
.LBB1484_113:                           ;   in Loop: Header=BB1484_106 Depth=1
                                        ; implicit-def: $vgpr4
                                        ; implicit-def: $vgpr2_vgpr3
	s_cbranch_execz .LBB1484_106
; %bb.114:
	s_and_saveexec_b64 s[14:15], s[8:9]
	s_cbranch_execz .LBB1484_116
; %bb.115:
	s_add_i32 s6, s6, 64
	s_mov_b32 s7, 0
	v_add_u32_e32 v3, v27, v23
	s_lshl_b64 s[6:7], s[6:7], 4
	s_add_u32 s6, s12, s6
	v_and_b32_e32 v4, 0xff000000, v3
	v_and_b32_e32 v6, 0xff0000, v3
	s_addc_u32 s7, s13, s7
	v_or_b32_e32 v4, v6, v4
	v_and_b32_e32 v6, 0xff00, v3
	v_and_b32_e32 v3, 0xff, v3
	v_add_u32_e32 v2, v26, v22
	v_mov_b32_e32 v5, 0
	v_or3_b32 v3, v4, v6, v3
	v_mov_b32_e32 v4, 2
	v_pk_mov_b32 v[6:7], s[6:7], s[6:7] op_sel:[0,1]
	;;#ASMSTART
	global_store_dwordx4 v[6:7], v[2:5] off	
s_waitcnt vmcnt(0)
	;;#ASMEND
	s_movk_i32 s6, 0x3400
	v_add_u32_e64 v2, s6, 0
	ds_write2_b32 v2, v22, v23 offset1:2
	ds_write2_b32 v2, v26, v27 offset0:4 offset1:6
.LBB1484_116:
	s_or_b64 exec, exec, s[14:15]
	v_cmp_eq_u32_e32 vcc, 0, v0
	s_and_b64 exec, exec, vcc
	s_cbranch_execz .LBB1484_118
; %bb.117:
	v_mov_b32_e32 v2, 0
	ds_write_b64 v2, v[26:27] offset:24
.LBB1484_118:
	s_or_b64 exec, exec, s[10:11]
	v_mov_b32_e32 v2, 0
	s_waitcnt lgkmcnt(0)
	s_barrier
	ds_read_b64 v[6:7], v2 offset:24
	s_movk_i32 s6, 0x3400
	v_cndmask_b32_e64 v2, v87, v21, s[8:9]
	v_cndmask_b32_e64 v1, v1, v20, s[8:9]
	v_add_u32_e64 v4, s6, 0
	s_waitcnt lgkmcnt(0)
	v_add_u32_e32 v20, v6, v1
	v_add_u32_e32 v1, v7, v2
	s_barrier
	ds_read2_b32 v[2:3], v4 offset1:2
	ds_read2_b32 v[4:5], v4 offset0:4 offset1:6
	v_cmp_eq_u32_e32 vcc, 0, v0
	v_cndmask_b32_e32 v1, v1, v7, vcc
	v_cndmask_b32_e32 v20, v20, v6, vcc
	s_branch .LBB1484_129
.LBB1484_119:
                                        ; implicit-def: $vgpr1
                                        ; implicit-def: $vgpr4
                                        ; implicit-def: $vgpr2
                                        ; implicit-def: $vgpr20_vgpr21
	s_cbranch_execz .LBB1484_129
; %bb.120:
	s_nop 0
	v_mov_b32_dpp v1, v85 row_shr:1 row_mask:0xf bank_mask:0xf
	s_waitcnt lgkmcnt(0)
	v_mov_b32_dpp v2, v86 row_shr:1 row_mask:0xf bank_mask:0xf
	v_add_u32_e32 v1, v1, v85
	v_add_u32_e32 v2, v2, v86
	v_cndmask_b32_e64 v2, v2, v86, s[4:5]
	v_cndmask_b32_e64 v1, v1, v85, s[4:5]
	v_cmp_lt_u32_e32 vcc, 3, v84
	v_mov_b32_dpp v4, v2 row_shr:2 row_mask:0xf bank_mask:0xf
	v_mov_b32_dpp v3, v1 row_shr:2 row_mask:0xf bank_mask:0xf
	v_add_u32_e32 v3, v1, v3
	v_add_u32_e32 v4, v2, v4
	v_cndmask_b32_e64 v2, v2, v4, s[2:3]
	v_cndmask_b32_e64 v1, v1, v3, s[2:3]
	s_nop 0
	v_mov_b32_dpp v4, v2 row_shr:4 row_mask:0xf bank_mask:0xf
	v_mov_b32_dpp v3, v1 row_shr:4 row_mask:0xf bank_mask:0xf
	v_add_u32_e32 v3, v1, v3
	v_add_u32_e32 v4, v2, v4
	v_cndmask_b32_e32 v2, v2, v4, vcc
	v_cndmask_b32_e32 v1, v1, v3, vcc
	v_cmp_lt_u32_e32 vcc, 7, v84
	v_mov_b32_dpp v4, v2 row_shr:8 row_mask:0xf bank_mask:0xf
	v_mov_b32_dpp v3, v1 row_shr:8 row_mask:0xf bank_mask:0xf
	v_add_u32_e32 v3, v1, v3
	v_add_u32_e32 v4, v2, v4
	v_cndmask_b32_e32 v2, v2, v4, vcc
	v_cndmask_b32_e32 v1, v1, v3, vcc
	v_cmp_eq_u32_e32 vcc, 0, v83
	v_mov_b32_dpp v4, v2 row_bcast:15 row_mask:0xf bank_mask:0xf
	v_mov_b32_dpp v3, v1 row_bcast:15 row_mask:0xf bank_mask:0xf
	v_add_u32_e32 v3, v1, v3
	v_add_u32_e32 v4, v2, v4
	v_cndmask_b32_e32 v2, v4, v2, vcc
	v_cndmask_b32_e32 v1, v3, v1, vcc
	v_cmp_lt_u32_e32 vcc, 31, v80
	v_mov_b32_dpp v4, v2 row_bcast:31 row_mask:0xf bank_mask:0xf
	v_mov_b32_dpp v3, v1 row_bcast:31 row_mask:0xf bank_mask:0xf
	v_add_u32_e32 v4, v2, v4
	v_add_u32_e32 v5, v1, v3
	v_cndmask_b32_e32 v3, v2, v4, vcc
	v_cndmask_b32_e32 v2, v1, v5, vcc
	v_cmp_eq_u32_e32 vcc, v82, v0
	s_and_saveexec_b64 s[2:3], vcc
	s_cbranch_execz .LBB1484_122
; %bb.121:
	v_lshlrev_b32_e32 v1, 3, v81
	ds_write_b64 v1, v[2:3]
.LBB1484_122:
	s_or_b64 exec, exec, s[2:3]
	v_cmp_gt_u32_e32 vcc, 4, v0
	s_waitcnt lgkmcnt(0)
	s_barrier
	s_and_saveexec_b64 s[2:3], vcc
	s_cbranch_execz .LBB1484_124
; %bb.123:
	v_lshlrev_b32_e32 v1, 3, v0
	ds_read_b64 v[4:5], v1
	v_and_b32_e32 v6, 3, v80
	v_cmp_eq_u32_e32 vcc, 0, v6
	s_waitcnt lgkmcnt(0)
	v_mov_b32_dpp v7, v4 row_shr:1 row_mask:0xf bank_mask:0xf
	v_mov_b32_dpp v20, v5 row_shr:1 row_mask:0xf bank_mask:0xf
	v_add_u32_e32 v7, v7, v4
	v_add_u32_e32 v20, v20, v5
	v_cndmask_b32_e32 v5, v20, v5, vcc
	v_cndmask_b32_e32 v4, v7, v4, vcc
	v_cmp_lt_u32_e32 vcc, 1, v6
	v_mov_b32_dpp v20, v5 row_shr:2 row_mask:0xf bank_mask:0xf
	v_mov_b32_dpp v7, v4 row_shr:2 row_mask:0xf bank_mask:0xf
	v_cndmask_b32_e32 v6, 0, v7, vcc
	v_cndmask_b32_e32 v7, 0, v20, vcc
	v_add_u32_e32 v5, v7, v5
	v_add_u32_e32 v4, v6, v4
	ds_write_b64 v1, v[4:5]
.LBB1484_124:
	s_or_b64 exec, exec, s[2:3]
	v_cmp_lt_u32_e32 vcc, 63, v0
	v_mov_b32_e32 v4, 0
	v_mov_b32_e32 v6, 0
	;; [unrolled: 1-line block ×3, first 2 shown]
	s_waitcnt lgkmcnt(0)
	s_barrier
	s_and_saveexec_b64 s[2:3], vcc
	s_cbranch_execz .LBB1484_126
; %bb.125:
	v_lshl_add_u32 v1, v81, 3, -8
	ds_read_b64 v[6:7], v1
.LBB1484_126:
	s_or_b64 exec, exec, s[2:3]
	s_waitcnt lgkmcnt(0)
	v_add_u32_e32 v5, v7, v3
	v_add_u32_e32 v1, v6, v2
	v_add_u32_e32 v2, -1, v80
	v_and_b32_e32 v3, 64, v80
	v_cmp_lt_i32_e32 vcc, v2, v3
	v_cndmask_b32_e32 v2, v2, v80, vcc
	v_lshlrev_b32_e32 v20, 2, v2
	ds_read_b64 v[2:3], v4 offset:24
	ds_bpermute_b32 v1, v20, v1
	ds_bpermute_b32 v20, v20, v5
	v_cmp_eq_u32_e32 vcc, 0, v0
	s_waitcnt lgkmcnt(2)
	v_readfirstlane_b32 s4, v3
	s_and_saveexec_b64 s[2:3], vcc
	s_cbranch_execz .LBB1484_128
; %bb.127:
	s_add_u32 s6, s12, 0x400
	s_mov_b32 s8, 0
	s_addc_u32 s7, s13, 0
	s_and_b32 s9, s4, 0xff000000
	s_and_b32 s11, s4, 0xff0000
	s_mov_b32 s10, s8
	s_or_b64 s[10:11], s[10:11], s[8:9]
	s_and_b32 s9, s4, 0xff00
	s_or_b64 s[10:11], s[10:11], s[8:9]
	s_and_b32 s9, s4, 0xff
	s_or_b64 s[8:9], s[10:11], s[8:9]
	v_mov_b32_e32 v3, s9
	v_mov_b32_e32 v4, 2
	;; [unrolled: 1-line block ×3, first 2 shown]
	v_pk_mov_b32 v[22:23], s[6:7], s[6:7] op_sel:[0,1]
	;;#ASMSTART
	global_store_dwordx4 v[22:23], v[2:5] off	
s_waitcnt vmcnt(0)
	;;#ASMEND
.LBB1484_128:
	s_or_b64 exec, exec, s[2:3]
	v_cmp_eq_u32_e64 s[2:3], 0, v80
	s_waitcnt lgkmcnt(1)
	v_cndmask_b32_e64 v3, v1, v6, s[2:3]
	s_waitcnt lgkmcnt(0)
	v_cndmask_b32_e64 v1, v20, v7, s[2:3]
	v_mov_b32_e32 v4, 0
	v_cndmask_b32_e64 v1, v1, 0, vcc
	v_cndmask_b32_e64 v20, v3, 0, vcc
	s_barrier
	v_mov_b32_e32 v3, s4
	v_mov_b32_e32 v5, 0
.LBB1484_129:
	v_add_u32_e32 v24, v1, v63
	v_add_u32_e32 v25, v24, v74
	;; [unrolled: 1-line block ×14, first 2 shown]
	v_mov_b32_e32 v7, s49
	s_waitcnt lgkmcnt(0)
	v_add_co_u32_e32 v6, vcc, s48, v4
	v_add_u32_e32 v64, v58, v68
	v_add_u32_e32 v68, v66, v71
	v_addc_co_u32_e32 v7, vcc, 0, v7, vcc
	v_add_u32_e32 v69, v68, v78
	v_mov_b32_e32 v22, s51
	v_sub_co_u32_e32 v23, vcc, s50, v2
	v_add_u32_e32 v71, v69, v73
	v_subbrev_co_u32_e32 v73, vcc, 0, v22, vcc
	v_add_co_u32_e32 v22, vcc, v23, v5
	v_addc_co_u32_e32 v23, vcc, 0, v73, vcc
	v_lshlrev_b32_e32 v73, 1, v2
	v_sub_u32_e32 v1, v1, v5
	v_add_u32_e32 v74, v73, v3
	v_sub_u32_e32 v20, v20, v4
	v_add_u32_e32 v1, v1, v2
	v_add_u32_e32 v31, v74, v31
	v_and_b32_e32 v33, 1, v33
	v_add_u32_e32 v74, v20, v1
	v_and_b32_e32 v32, 1, v32
	v_sub_u32_e32 v74, v31, v74
	v_cmp_eq_u32_e32 vcc, 1, v33
	v_cndmask_b32_e32 v1, v74, v1, vcc
	v_cmp_eq_u32_e32 vcc, 1, v32
	v_cndmask_b32_e32 v1, v1, v20, vcc
	v_lshlrev_b32_e32 v1, 2, v1
	v_sub_u32_e32 v20, v24, v5
	ds_write_b32 v1, v18
	v_sub_u32_e32 v1, v21, v4
	v_add_u32_e32 v20, v20, v2
	v_add_u32_e32 v24, v20, v1
	v_and_b32_e32 v21, 1, v35
	v_sub_u32_e32 v24, v31, v24
	v_and_b32_e32 v18, 1, v34
	v_add_u32_e32 v24, 1, v24
	v_cmp_eq_u32_e32 vcc, 1, v21
	v_cndmask_b32_e32 v20, v24, v20, vcc
	v_cmp_eq_u32_e32 vcc, 1, v18
	v_cndmask_b32_e32 v1, v20, v1, vcc
	v_lshlrev_b32_e32 v1, 2, v1
	ds_write_b32 v1, v19
	v_sub_u32_e32 v19, v25, v5
	v_sub_u32_e32 v1, v26, v4
	v_add_u32_e32 v19, v19, v2
	v_add_u32_e32 v21, v19, v1
	v_and_b32_e32 v20, 1, v37
	v_sub_u32_e32 v21, v31, v21
	v_and_b32_e32 v18, 1, v36
	v_add_u32_e32 v21, 2, v21
	v_cmp_eq_u32_e32 vcc, 1, v20
	v_cndmask_b32_e32 v19, v21, v19, vcc
	v_cmp_eq_u32_e32 vcc, 1, v18
	v_cndmask_b32_e32 v1, v19, v1, vcc
	v_lshlrev_b32_e32 v1, 2, v1
	v_sub_u32_e32 v18, v28, v5
	ds_write_b32 v1, v16
	v_sub_u32_e32 v1, v27, v4
	v_add_u32_e32 v18, v18, v2
	v_add_u32_e32 v20, v1, v18
	v_and_b32_e32 v19, 1, v38
	v_sub_u32_e32 v20, v31, v20
	v_and_b32_e32 v16, 1, v39
	v_add_u32_e32 v20, 3, v20
	v_cmp_eq_u32_e32 vcc, 1, v19
	v_cndmask_b32_e32 v18, v20, v18, vcc
	v_cmp_eq_u32_e32 vcc, 1, v16
	v_cndmask_b32_e32 v1, v18, v1, vcc
	v_lshlrev_b32_e32 v1, 2, v1
	ds_write_b32 v1, v17
	v_sub_u32_e32 v17, v29, v5
	v_sub_u32_e32 v1, v56, v4
	v_add_u32_e32 v17, v17, v2
	v_add_u32_e32 v19, v1, v17
	v_and_b32_e32 v18, 1, v40
	v_sub_u32_e32 v19, v31, v19
	v_and_b32_e32 v16, 1, v41
	v_add_u32_e32 v19, 4, v19
	;; [unrolled: 28-line block ×3, first 2 shown]
	v_cmp_eq_u32_e32 vcc, 1, v16
	v_cndmask_b32_e32 v15, v17, v15, vcc
	v_cmp_eq_u32_e32 vcc, 1, v14
	v_cndmask_b32_e32 v1, v15, v1, vcc
	v_lshlrev_b32_e32 v1, 2, v1
	v_sub_u32_e32 v14, v65, v5
	ds_write_b32 v1, v12
	v_sub_u32_e32 v1, v64, v4
	v_add_u32_e32 v14, v14, v2
	v_add_u32_e32 v16, v1, v14
	v_and_b32_e32 v15, 1, v46
	v_sub_u32_e32 v16, v31, v16
	v_and_b32_e32 v12, 1, v47
	v_add_u32_e32 v16, 7, v16
	v_cmp_eq_u32_e32 vcc, 1, v15
	v_cndmask_b32_e32 v14, v16, v14, vcc
	v_cmp_eq_u32_e32 vcc, 1, v12
	v_cndmask_b32_e32 v1, v14, v1, vcc
	v_lshlrev_b32_e32 v1, 2, v1
	v_add_u32_e32 v59, v64, v59
	ds_write_b32 v1, v13
	v_sub_u32_e32 v13, v66, v5
	v_sub_u32_e32 v1, v59, v4
	v_add_u32_e32 v13, v13, v2
	v_add_u32_e32 v15, v1, v13
	v_and_b32_e32 v14, 1, v48
	v_sub_u32_e32 v15, v31, v15
	v_and_b32_e32 v12, 1, v49
	v_add_u32_e32 v15, 8, v15
	v_cmp_eq_u32_e32 vcc, 1, v14
	v_cndmask_b32_e32 v13, v15, v13, vcc
	v_cmp_eq_u32_e32 vcc, 1, v12
	v_cndmask_b32_e32 v1, v13, v1, vcc
	v_add_u32_e32 v67, v59, v70
	v_lshlrev_b32_e32 v1, 2, v1
	v_sub_u32_e32 v12, v68, v5
	ds_write_b32 v1, v10
	v_sub_u32_e32 v1, v67, v4
	v_add_u32_e32 v12, v12, v2
	v_add_u32_e32 v14, v1, v12
	v_and_b32_e32 v13, 1, v50
	v_sub_u32_e32 v14, v31, v14
	v_and_b32_e32 v10, 1, v51
	v_add_u32_e32 v14, 9, v14
	v_cmp_eq_u32_e32 vcc, 1, v13
	v_cndmask_b32_e32 v12, v14, v12, vcc
	v_cmp_eq_u32_e32 vcc, 1, v10
	v_cndmask_b32_e32 v1, v12, v1, vcc
	v_lshlrev_b32_e32 v1, 2, v1
	v_add_u32_e32 v60, v67, v60
	ds_write_b32 v1, v11
	v_sub_u32_e32 v11, v69, v5
	v_sub_u32_e32 v1, v60, v4
	v_add_u32_e32 v11, v11, v2
	v_add_u32_e32 v13, v1, v11
	v_and_b32_e32 v12, 1, v52
	v_sub_u32_e32 v13, v31, v13
	v_and_b32_e32 v10, 1, v53
	v_add_u32_e32 v13, 10, v13
	v_cmp_eq_u32_e32 vcc, 1, v12
	v_cndmask_b32_e32 v11, v13, v11, vcc
	v_cmp_eq_u32_e32 vcc, 1, v10
	v_cndmask_b32_e32 v1, v11, v1, vcc
	v_add_u32_e32 v70, v60, v72
	v_lshlrev_b32_e32 v1, 2, v1
	v_sub_u32_e32 v10, v71, v5
	ds_write_b32 v1, v8
	v_sub_u32_e32 v1, v70, v4
	v_add_u32_e32 v10, v10, v2
	v_add_u32_e32 v12, v1, v10
	v_and_b32_e32 v11, 1, v54
	v_sub_u32_e32 v12, v31, v12
	v_and_b32_e32 v8, 1, v55
	v_add_u32_e32 v12, 11, v12
	v_cmp_eq_u32_e32 vcc, 1, v11
	v_cndmask_b32_e32 v10, v12, v10, vcc
	v_cmp_eq_u32_e32 vcc, 1, v8
	v_cndmask_b32_e32 v1, v10, v1, vcc
	v_add_u32_e32 v72, v71, v79
	v_add_u32_e32 v61, v70, v61
	v_lshlrev_b32_e32 v1, 2, v1
	ds_write_b32 v1, v9
	v_sub_u32_e32 v1, v61, v4
	v_sub_u32_e32 v4, v72, v5
	v_add_u32_e32 v4, v4, v2
	v_add_u32_e32 v8, v1, v4
	v_sub_u32_e32 v8, v31, v8
	v_add_u32_e32 v8, 12, v8
	v_cndmask_b32_e64 v4, v8, v4, s[58:59]
	v_cndmask_b32_e64 v1, v4, v1, s[46:47]
	v_lshlrev_b32_e32 v1, 2, v1
	ds_write_b32 v1, v30
	v_add_co_u32_e32 v1, vcc, v3, v73
	v_addc_co_u32_e64 v4, s[2:3], 0, 0, vcc
	v_add_co_u32_e32 v1, vcc, v1, v22
	v_addc_co_u32_e32 v4, vcc, v4, v23, vcc
	s_add_u32 s4, s56, s33
	v_add_co_u32_e32 v1, vcc, v1, v6
	s_addc_u32 s5, s57, 0
	v_addc_co_u32_e32 v4, vcc, v4, v7, vcc
	v_mov_b32_e32 v8, s5
	v_sub_co_u32_e32 v1, vcc, s4, v1
	v_subb_co_u32_e32 v4, vcc, v8, v4, vcc
	v_lshlrev_b64 v[8:9], 2, v[22:23]
	v_mov_b32_e32 v10, s55
	v_add_co_u32_e32 v8, vcc, s54, v8
	v_addc_co_u32_e32 v9, vcc, v10, v9, vcc
	v_lshlrev_b64 v[10:11], 2, v[6:7]
	v_mov_b32_e32 v13, s53
	v_add_co_u32_e32 v10, vcc, s52, v10
	s_add_u32 s6, s34, -4
	v_addc_co_u32_e32 v11, vcc, v13, v11, vcc
	s_addc_u32 s7, s35, -1
	v_add_u32_e32 v12, v2, v3
	s_and_b64 vcc, exec, s[0:1]
	s_mov_b64 s[0:1], -1
	s_waitcnt lgkmcnt(0)
	s_barrier
	s_cbranch_vccz .LBB1484_133
; %bb.130:
	s_and_b64 vcc, exec, s[0:1]
	s_cbranch_vccnz .LBB1484_238
.LBB1484_131:
	v_cmp_eq_u32_e32 vcc, 0, v0
	s_and_b64 s[0:1], vcc, s[30:31]
	s_and_saveexec_b64 s[2:3], s[0:1]
	s_cbranch_execnz .LBB1484_356
.LBB1484_132:
	s_endpgm
.LBB1484_133:
	v_cmp_le_u32_e32 vcc, v2, v0
	s_and_saveexec_b64 s[0:1], vcc
	s_xor_b64 s[0:1], exec, s[0:1]
	s_cbranch_execz .LBB1484_139
; %bb.134:
	v_cmp_le_u32_e32 vcc, v12, v0
	s_and_saveexec_b64 s[2:3], vcc
	s_xor_b64 s[2:3], exec, s[2:3]
	s_cbranch_execz .LBB1484_136
; %bb.135:
	v_lshlrev_b32_e32 v13, 2, v0
	v_add_co_u32_e32 v14, vcc, v1, v0
	ds_read_b32 v13, v13
	v_addc_co_u32_e32 v15, vcc, 0, v4, vcc
	v_lshlrev_b64 v[14:15], 2, v[14:15]
	v_mov_b32_e32 v16, s35
	v_sub_co_u32_e32 v14, vcc, s34, v14
	v_subb_co_u32_e32 v15, vcc, v16, v15, vcc
	s_waitcnt lgkmcnt(0)
	global_store_dword v[14:15], v13, off offset:-4
.LBB1484_136:
	s_andn2_saveexec_b64 s[2:3], s[2:3]
	s_cbranch_execz .LBB1484_138
; %bb.137:
	v_lshlrev_b32_e32 v13, 2, v0
	ds_read_b32 v14, v13
	v_readfirstlane_b32 s4, v8
	v_readfirstlane_b32 s5, v9
	s_waitcnt lgkmcnt(0)
	s_nop 3
	global_store_dword v13, v14, s[4:5]
.LBB1484_138:
	s_or_b64 exec, exec, s[2:3]
.LBB1484_139:
	s_andn2_saveexec_b64 s[0:1], s[0:1]
	s_cbranch_execz .LBB1484_141
; %bb.140:
	v_lshlrev_b32_e32 v13, 2, v0
	ds_read_b32 v14, v13
	v_readfirstlane_b32 s2, v10
	v_readfirstlane_b32 s3, v11
	s_waitcnt lgkmcnt(0)
	s_nop 3
	global_store_dword v13, v14, s[2:3]
.LBB1484_141:
	s_or_b64 exec, exec, s[0:1]
	v_or_b32_e32 v13, 0x100, v0
	v_cmp_le_u32_e32 vcc, v2, v13
	s_and_saveexec_b64 s[0:1], vcc
	s_xor_b64 s[0:1], exec, s[0:1]
	s_cbranch_execz .LBB1484_147
; %bb.142:
	v_cmp_le_u32_e32 vcc, v12, v13
	s_and_saveexec_b64 s[2:3], vcc
	s_xor_b64 s[2:3], exec, s[2:3]
	s_cbranch_execz .LBB1484_144
; %bb.143:
	v_lshlrev_b32_e32 v13, 2, v0
	ds_read_b32 v13, v13 offset:1024
	v_add_co_u32_e32 v14, vcc, v1, v0
	v_addc_co_u32_e32 v15, vcc, 0, v4, vcc
	v_lshlrev_b64 v[14:15], 2, v[14:15]
	v_mov_b32_e32 v16, s7
	v_sub_co_u32_e32 v14, vcc, s6, v14
	v_subb_co_u32_e32 v15, vcc, v16, v15, vcc
	s_waitcnt lgkmcnt(0)
	global_store_dword v[14:15], v13, off offset:-1024
.LBB1484_144:
	s_andn2_saveexec_b64 s[2:3], s[2:3]
	s_cbranch_execz .LBB1484_146
; %bb.145:
	v_lshlrev_b32_e32 v13, 2, v0
	ds_read_b32 v14, v13 offset:1024
	v_readfirstlane_b32 s4, v8
	v_readfirstlane_b32 s5, v9
	s_waitcnt lgkmcnt(0)
	s_nop 3
	global_store_dword v13, v14, s[4:5] offset:1024
.LBB1484_146:
	s_or_b64 exec, exec, s[2:3]
.LBB1484_147:
	s_andn2_saveexec_b64 s[0:1], s[0:1]
	s_cbranch_execz .LBB1484_149
; %bb.148:
	v_lshlrev_b32_e32 v13, 2, v0
	ds_read_b32 v14, v13 offset:1024
	v_readfirstlane_b32 s2, v10
	v_readfirstlane_b32 s3, v11
	s_waitcnt lgkmcnt(0)
	s_nop 3
	global_store_dword v13, v14, s[2:3] offset:1024
.LBB1484_149:
	s_or_b64 exec, exec, s[0:1]
	v_or_b32_e32 v13, 0x200, v0
	v_cmp_le_u32_e32 vcc, v2, v13
	s_and_saveexec_b64 s[0:1], vcc
	s_xor_b64 s[0:1], exec, s[0:1]
	s_cbranch_execz .LBB1484_155
; %bb.150:
	v_cmp_le_u32_e32 vcc, v12, v13
	s_and_saveexec_b64 s[2:3], vcc
	s_xor_b64 s[2:3], exec, s[2:3]
	s_cbranch_execz .LBB1484_152
; %bb.151:
	v_lshlrev_b32_e32 v13, 2, v0
	ds_read_b32 v13, v13 offset:2048
	v_add_co_u32_e32 v14, vcc, v1, v0
	v_addc_co_u32_e32 v15, vcc, 0, v4, vcc
	v_lshlrev_b64 v[14:15], 2, v[14:15]
	v_mov_b32_e32 v16, s7
	v_sub_co_u32_e32 v14, vcc, s6, v14
	v_subb_co_u32_e32 v15, vcc, v16, v15, vcc
	s_waitcnt lgkmcnt(0)
	global_store_dword v[14:15], v13, off offset:-2048
.LBB1484_152:
	s_andn2_saveexec_b64 s[2:3], s[2:3]
	s_cbranch_execz .LBB1484_154
; %bb.153:
	v_lshlrev_b32_e32 v13, 2, v0
	ds_read_b32 v14, v13 offset:2048
	v_readfirstlane_b32 s4, v8
	v_readfirstlane_b32 s5, v9
	s_waitcnt lgkmcnt(0)
	s_nop 3
	global_store_dword v13, v14, s[4:5] offset:2048
.LBB1484_154:
	s_or_b64 exec, exec, s[2:3]
.LBB1484_155:
	s_andn2_saveexec_b64 s[0:1], s[0:1]
	s_cbranch_execz .LBB1484_157
; %bb.156:
	v_lshlrev_b32_e32 v13, 2, v0
	ds_read_b32 v14, v13 offset:2048
	v_readfirstlane_b32 s2, v10
	v_readfirstlane_b32 s3, v11
	s_waitcnt lgkmcnt(0)
	s_nop 3
	global_store_dword v13, v14, s[2:3] offset:2048
.LBB1484_157:
	;; [unrolled: 47-line block ×3, first 2 shown]
	s_or_b64 exec, exec, s[0:1]
	v_or_b32_e32 v13, 0x400, v0
	v_cmp_le_u32_e32 vcc, v2, v13
	s_and_saveexec_b64 s[0:1], vcc
	s_xor_b64 s[0:1], exec, s[0:1]
	s_cbranch_execz .LBB1484_171
; %bb.166:
	v_cmp_le_u32_e32 vcc, v12, v13
	s_and_saveexec_b64 s[2:3], vcc
	s_xor_b64 s[2:3], exec, s[2:3]
	s_cbranch_execz .LBB1484_168
; %bb.167:
	v_lshlrev_b32_e32 v13, 2, v0
	ds_read_b32 v13, v13 offset:4096
	v_add_co_u32_e32 v14, vcc, v1, v0
	v_addc_co_u32_e32 v15, vcc, 0, v4, vcc
	v_lshlrev_b64 v[14:15], 2, v[14:15]
	v_mov_b32_e32 v16, s7
	v_sub_co_u32_e32 v14, vcc, s6, v14
	v_subb_co_u32_e32 v15, vcc, v16, v15, vcc
	s_waitcnt lgkmcnt(0)
	global_store_dword v[14:15], v13, off offset:-4096
                                        ; implicit-def: $vgpr13
.LBB1484_168:
	s_andn2_saveexec_b64 s[2:3], s[2:3]
	s_cbranch_execz .LBB1484_170
; %bb.169:
	v_lshlrev_b32_e32 v14, 2, v0
	ds_read_b32 v14, v14 offset:4096
	v_lshlrev_b32_e32 v13, 2, v13
	v_readfirstlane_b32 s4, v8
	v_readfirstlane_b32 s5, v9
	s_waitcnt lgkmcnt(0)
	s_nop 3
	global_store_dword v13, v14, s[4:5]
.LBB1484_170:
	s_or_b64 exec, exec, s[2:3]
                                        ; implicit-def: $vgpr13
.LBB1484_171:
	s_andn2_saveexec_b64 s[0:1], s[0:1]
	s_cbranch_execz .LBB1484_173
; %bb.172:
	v_lshlrev_b32_e32 v14, 2, v0
	ds_read_b32 v14, v14 offset:4096
	v_lshlrev_b32_e32 v13, 2, v13
	v_readfirstlane_b32 s2, v10
	v_readfirstlane_b32 s3, v11
	s_waitcnt lgkmcnt(0)
	s_nop 3
	global_store_dword v13, v14, s[2:3]
.LBB1484_173:
	s_or_b64 exec, exec, s[0:1]
	v_or_b32_e32 v13, 0x500, v0
	v_cmp_le_u32_e32 vcc, v2, v13
	s_and_saveexec_b64 s[0:1], vcc
	s_xor_b64 s[0:1], exec, s[0:1]
	s_cbranch_execz .LBB1484_179
; %bb.174:
	v_cmp_le_u32_e32 vcc, v12, v13
	s_and_saveexec_b64 s[2:3], vcc
	s_xor_b64 s[2:3], exec, s[2:3]
	s_cbranch_execz .LBB1484_176
; %bb.175:
	v_add_co_u32_e32 v14, vcc, v1, v13
	v_lshlrev_b32_e32 v13, 2, v0
	ds_read_b32 v13, v13 offset:5120
	v_addc_co_u32_e32 v15, vcc, 0, v4, vcc
	v_lshlrev_b64 v[14:15], 2, v[14:15]
	v_mov_b32_e32 v16, s7
	v_sub_co_u32_e32 v14, vcc, s6, v14
	v_subb_co_u32_e32 v15, vcc, v16, v15, vcc
	s_waitcnt lgkmcnt(0)
	global_store_dword v[14:15], v13, off
                                        ; implicit-def: $vgpr13
.LBB1484_176:
	s_andn2_saveexec_b64 s[2:3], s[2:3]
	s_cbranch_execz .LBB1484_178
; %bb.177:
	v_lshlrev_b32_e32 v14, 2, v0
	ds_read_b32 v14, v14 offset:5120
	v_lshlrev_b32_e32 v13, 2, v13
	v_readfirstlane_b32 s4, v8
	v_readfirstlane_b32 s5, v9
	s_waitcnt lgkmcnt(0)
	s_nop 3
	global_store_dword v13, v14, s[4:5]
.LBB1484_178:
	s_or_b64 exec, exec, s[2:3]
                                        ; implicit-def: $vgpr13
.LBB1484_179:
	s_andn2_saveexec_b64 s[0:1], s[0:1]
	s_cbranch_execz .LBB1484_181
; %bb.180:
	v_lshlrev_b32_e32 v14, 2, v0
	ds_read_b32 v14, v14 offset:5120
	v_lshlrev_b32_e32 v13, 2, v13
	v_readfirstlane_b32 s2, v10
	v_readfirstlane_b32 s3, v11
	s_waitcnt lgkmcnt(0)
	s_nop 3
	global_store_dword v13, v14, s[2:3]
.LBB1484_181:
	s_or_b64 exec, exec, s[0:1]
	v_or_b32_e32 v13, 0x600, v0
	v_cmp_le_u32_e32 vcc, v2, v13
	s_and_saveexec_b64 s[0:1], vcc
	s_xor_b64 s[0:1], exec, s[0:1]
	s_cbranch_execz .LBB1484_187
; %bb.182:
	v_cmp_le_u32_e32 vcc, v12, v13
	s_and_saveexec_b64 s[2:3], vcc
	s_xor_b64 s[2:3], exec, s[2:3]
	s_cbranch_execz .LBB1484_184
; %bb.183:
	v_add_co_u32_e32 v14, vcc, v1, v13
	v_lshlrev_b32_e32 v13, 2, v0
	ds_read_b32 v13, v13 offset:6144
	v_addc_co_u32_e32 v15, vcc, 0, v4, vcc
	v_lshlrev_b64 v[14:15], 2, v[14:15]
	v_mov_b32_e32 v16, s7
	v_sub_co_u32_e32 v14, vcc, s6, v14
	v_subb_co_u32_e32 v15, vcc, v16, v15, vcc
	s_waitcnt lgkmcnt(0)
	global_store_dword v[14:15], v13, off
                                        ; implicit-def: $vgpr13
.LBB1484_184:
	s_andn2_saveexec_b64 s[2:3], s[2:3]
	s_cbranch_execz .LBB1484_186
; %bb.185:
	v_lshlrev_b32_e32 v14, 2, v0
	ds_read_b32 v14, v14 offset:6144
	v_lshlrev_b32_e32 v13, 2, v13
	v_readfirstlane_b32 s4, v8
	v_readfirstlane_b32 s5, v9
	s_waitcnt lgkmcnt(0)
	s_nop 3
	global_store_dword v13, v14, s[4:5]
.LBB1484_186:
	s_or_b64 exec, exec, s[2:3]
                                        ; implicit-def: $vgpr13
.LBB1484_187:
	;; [unrolled: 51-line block ×8, first 2 shown]
	s_andn2_saveexec_b64 s[0:1], s[0:1]
	s_cbranch_execz .LBB1484_237
; %bb.236:
	v_lshlrev_b32_e32 v14, 2, v0
	ds_read_b32 v14, v14 offset:12288
	v_lshlrev_b32_e32 v13, 2, v13
	v_readfirstlane_b32 s2, v10
	v_readfirstlane_b32 s3, v11
	s_waitcnt lgkmcnt(0)
	s_nop 3
	global_store_dword v13, v14, s[2:3]
.LBB1484_237:
	s_or_b64 exec, exec, s[0:1]
	s_branch .LBB1484_131
.LBB1484_238:
	v_cmp_gt_u32_e32 vcc, s18, v0
	s_and_saveexec_b64 s[0:1], vcc
	s_cbranch_execz .LBB1484_247
; %bb.239:
	v_cmp_le_u32_e32 vcc, v2, v0
	s_and_saveexec_b64 s[2:3], vcc
	s_xor_b64 s[2:3], exec, s[2:3]
	s_cbranch_execz .LBB1484_245
; %bb.240:
	v_cmp_le_u32_e32 vcc, v12, v0
	s_and_saveexec_b64 s[4:5], vcc
	s_xor_b64 s[4:5], exec, s[4:5]
	s_cbranch_execz .LBB1484_242
; %bb.241:
	v_lshlrev_b32_e32 v13, 2, v0
	v_add_co_u32_e32 v14, vcc, v1, v0
	ds_read_b32 v13, v13
	v_addc_co_u32_e32 v15, vcc, 0, v4, vcc
	v_lshlrev_b64 v[14:15], 2, v[14:15]
	v_mov_b32_e32 v16, s35
	v_sub_co_u32_e32 v14, vcc, s34, v14
	v_subb_co_u32_e32 v15, vcc, v16, v15, vcc
	s_waitcnt lgkmcnt(0)
	global_store_dword v[14:15], v13, off offset:-4
.LBB1484_242:
	s_andn2_saveexec_b64 s[4:5], s[4:5]
	s_cbranch_execz .LBB1484_244
; %bb.243:
	v_lshlrev_b32_e32 v13, 2, v0
	ds_read_b32 v14, v13
	v_readfirstlane_b32 s8, v8
	v_readfirstlane_b32 s9, v9
	s_waitcnt lgkmcnt(0)
	s_nop 3
	global_store_dword v13, v14, s[8:9]
.LBB1484_244:
	s_or_b64 exec, exec, s[4:5]
.LBB1484_245:
	s_andn2_saveexec_b64 s[2:3], s[2:3]
	s_cbranch_execz .LBB1484_247
; %bb.246:
	v_lshlrev_b32_e32 v13, 2, v0
	ds_read_b32 v14, v13
	v_readfirstlane_b32 s2, v10
	v_readfirstlane_b32 s3, v11
	s_waitcnt lgkmcnt(0)
	s_nop 3
	global_store_dword v13, v14, s[2:3]
.LBB1484_247:
	s_or_b64 exec, exec, s[0:1]
	v_or_b32_e32 v13, 0x100, v0
	v_cmp_gt_u32_e32 vcc, s18, v13
	s_and_saveexec_b64 s[0:1], vcc
	s_cbranch_execz .LBB1484_256
; %bb.248:
	v_cmp_le_u32_e32 vcc, v2, v13
	s_and_saveexec_b64 s[2:3], vcc
	s_xor_b64 s[2:3], exec, s[2:3]
	s_cbranch_execz .LBB1484_254
; %bb.249:
	v_cmp_le_u32_e32 vcc, v12, v13
	s_and_saveexec_b64 s[4:5], vcc
	s_xor_b64 s[4:5], exec, s[4:5]
	s_cbranch_execz .LBB1484_251
; %bb.250:
	v_lshlrev_b32_e32 v13, 2, v0
	ds_read_b32 v13, v13 offset:1024
	v_add_co_u32_e32 v14, vcc, v1, v0
	v_addc_co_u32_e32 v15, vcc, 0, v4, vcc
	v_lshlrev_b64 v[14:15], 2, v[14:15]
	v_mov_b32_e32 v16, s7
	v_sub_co_u32_e32 v14, vcc, s6, v14
	v_subb_co_u32_e32 v15, vcc, v16, v15, vcc
	s_waitcnt lgkmcnt(0)
	global_store_dword v[14:15], v13, off offset:-1024
.LBB1484_251:
	s_andn2_saveexec_b64 s[4:5], s[4:5]
	s_cbranch_execz .LBB1484_253
; %bb.252:
	v_lshlrev_b32_e32 v13, 2, v0
	ds_read_b32 v14, v13 offset:1024
	v_readfirstlane_b32 s8, v8
	v_readfirstlane_b32 s9, v9
	s_waitcnt lgkmcnt(0)
	s_nop 3
	global_store_dword v13, v14, s[8:9] offset:1024
.LBB1484_253:
	s_or_b64 exec, exec, s[4:5]
.LBB1484_254:
	s_andn2_saveexec_b64 s[2:3], s[2:3]
	s_cbranch_execz .LBB1484_256
; %bb.255:
	v_lshlrev_b32_e32 v13, 2, v0
	ds_read_b32 v14, v13 offset:1024
	v_readfirstlane_b32 s2, v10
	v_readfirstlane_b32 s3, v11
	s_waitcnt lgkmcnt(0)
	s_nop 3
	global_store_dword v13, v14, s[2:3] offset:1024
.LBB1484_256:
	s_or_b64 exec, exec, s[0:1]
	v_or_b32_e32 v13, 0x200, v0
	v_cmp_gt_u32_e32 vcc, s18, v13
	s_and_saveexec_b64 s[0:1], vcc
	s_cbranch_execz .LBB1484_265
; %bb.257:
	v_cmp_le_u32_e32 vcc, v2, v13
	s_and_saveexec_b64 s[2:3], vcc
	s_xor_b64 s[2:3], exec, s[2:3]
	s_cbranch_execz .LBB1484_263
; %bb.258:
	v_cmp_le_u32_e32 vcc, v12, v13
	s_and_saveexec_b64 s[4:5], vcc
	s_xor_b64 s[4:5], exec, s[4:5]
	s_cbranch_execz .LBB1484_260
; %bb.259:
	v_lshlrev_b32_e32 v13, 2, v0
	ds_read_b32 v13, v13 offset:2048
	v_add_co_u32_e32 v14, vcc, v1, v0
	v_addc_co_u32_e32 v15, vcc, 0, v4, vcc
	v_lshlrev_b64 v[14:15], 2, v[14:15]
	v_mov_b32_e32 v16, s7
	v_sub_co_u32_e32 v14, vcc, s6, v14
	v_subb_co_u32_e32 v15, vcc, v16, v15, vcc
	s_waitcnt lgkmcnt(0)
	global_store_dword v[14:15], v13, off offset:-2048
.LBB1484_260:
	s_andn2_saveexec_b64 s[4:5], s[4:5]
	s_cbranch_execz .LBB1484_262
; %bb.261:
	v_lshlrev_b32_e32 v13, 2, v0
	ds_read_b32 v14, v13 offset:2048
	v_readfirstlane_b32 s8, v8
	v_readfirstlane_b32 s9, v9
	s_waitcnt lgkmcnt(0)
	s_nop 3
	global_store_dword v13, v14, s[8:9] offset:2048
.LBB1484_262:
	s_or_b64 exec, exec, s[4:5]
.LBB1484_263:
	s_andn2_saveexec_b64 s[2:3], s[2:3]
	s_cbranch_execz .LBB1484_265
; %bb.264:
	v_lshlrev_b32_e32 v13, 2, v0
	ds_read_b32 v14, v13 offset:2048
	v_readfirstlane_b32 s2, v10
	v_readfirstlane_b32 s3, v11
	s_waitcnt lgkmcnt(0)
	s_nop 3
	global_store_dword v13, v14, s[2:3] offset:2048
.LBB1484_265:
	;; [unrolled: 51-line block ×3, first 2 shown]
	s_or_b64 exec, exec, s[0:1]
	v_or_b32_e32 v13, 0x400, v0
	v_cmp_gt_u32_e32 vcc, s18, v13
	s_and_saveexec_b64 s[0:1], vcc
	s_cbranch_execz .LBB1484_283
; %bb.275:
	v_cmp_le_u32_e32 vcc, v2, v13
	s_and_saveexec_b64 s[2:3], vcc
	s_xor_b64 s[2:3], exec, s[2:3]
	s_cbranch_execz .LBB1484_281
; %bb.276:
	v_cmp_le_u32_e32 vcc, v12, v13
	s_and_saveexec_b64 s[4:5], vcc
	s_xor_b64 s[4:5], exec, s[4:5]
	s_cbranch_execz .LBB1484_278
; %bb.277:
	v_lshlrev_b32_e32 v13, 2, v0
	ds_read_b32 v13, v13 offset:4096
	v_add_co_u32_e32 v14, vcc, v1, v0
	v_addc_co_u32_e32 v15, vcc, 0, v4, vcc
	v_lshlrev_b64 v[14:15], 2, v[14:15]
	v_mov_b32_e32 v16, s7
	v_sub_co_u32_e32 v14, vcc, s6, v14
	v_subb_co_u32_e32 v15, vcc, v16, v15, vcc
	s_waitcnt lgkmcnt(0)
	global_store_dword v[14:15], v13, off offset:-4096
                                        ; implicit-def: $vgpr13
.LBB1484_278:
	s_andn2_saveexec_b64 s[4:5], s[4:5]
	s_cbranch_execz .LBB1484_280
; %bb.279:
	v_lshlrev_b32_e32 v14, 2, v0
	ds_read_b32 v14, v14 offset:4096
	v_lshlrev_b32_e32 v13, 2, v13
	v_readfirstlane_b32 s8, v8
	v_readfirstlane_b32 s9, v9
	s_waitcnt lgkmcnt(0)
	s_nop 3
	global_store_dword v13, v14, s[8:9]
.LBB1484_280:
	s_or_b64 exec, exec, s[4:5]
                                        ; implicit-def: $vgpr13
.LBB1484_281:
	s_andn2_saveexec_b64 s[2:3], s[2:3]
	s_cbranch_execz .LBB1484_283
; %bb.282:
	v_lshlrev_b32_e32 v14, 2, v0
	ds_read_b32 v14, v14 offset:4096
	v_lshlrev_b32_e32 v13, 2, v13
	v_readfirstlane_b32 s2, v10
	v_readfirstlane_b32 s3, v11
	s_waitcnt lgkmcnt(0)
	s_nop 3
	global_store_dword v13, v14, s[2:3]
.LBB1484_283:
	s_or_b64 exec, exec, s[0:1]
	v_or_b32_e32 v13, 0x500, v0
	v_cmp_gt_u32_e32 vcc, s18, v13
	s_and_saveexec_b64 s[0:1], vcc
	s_cbranch_execz .LBB1484_292
; %bb.284:
	v_cmp_le_u32_e32 vcc, v2, v13
	s_and_saveexec_b64 s[2:3], vcc
	s_xor_b64 s[2:3], exec, s[2:3]
	s_cbranch_execz .LBB1484_290
; %bb.285:
	v_cmp_le_u32_e32 vcc, v12, v13
	s_and_saveexec_b64 s[4:5], vcc
	s_xor_b64 s[4:5], exec, s[4:5]
	s_cbranch_execz .LBB1484_287
; %bb.286:
	v_add_co_u32_e32 v14, vcc, v1, v13
	v_lshlrev_b32_e32 v13, 2, v0
	ds_read_b32 v13, v13 offset:5120
	v_addc_co_u32_e32 v15, vcc, 0, v4, vcc
	v_lshlrev_b64 v[14:15], 2, v[14:15]
	v_mov_b32_e32 v16, s7
	v_sub_co_u32_e32 v14, vcc, s6, v14
	v_subb_co_u32_e32 v15, vcc, v16, v15, vcc
	s_waitcnt lgkmcnt(0)
	global_store_dword v[14:15], v13, off
                                        ; implicit-def: $vgpr13
.LBB1484_287:
	s_andn2_saveexec_b64 s[4:5], s[4:5]
	s_cbranch_execz .LBB1484_289
; %bb.288:
	v_lshlrev_b32_e32 v14, 2, v0
	ds_read_b32 v14, v14 offset:5120
	v_lshlrev_b32_e32 v13, 2, v13
	v_readfirstlane_b32 s8, v8
	v_readfirstlane_b32 s9, v9
	s_waitcnt lgkmcnt(0)
	s_nop 3
	global_store_dword v13, v14, s[8:9]
.LBB1484_289:
	s_or_b64 exec, exec, s[4:5]
                                        ; implicit-def: $vgpr13
.LBB1484_290:
	s_andn2_saveexec_b64 s[2:3], s[2:3]
	s_cbranch_execz .LBB1484_292
; %bb.291:
	v_lshlrev_b32_e32 v14, 2, v0
	ds_read_b32 v14, v14 offset:5120
	v_lshlrev_b32_e32 v13, 2, v13
	v_readfirstlane_b32 s2, v10
	v_readfirstlane_b32 s3, v11
	s_waitcnt lgkmcnt(0)
	s_nop 3
	global_store_dword v13, v14, s[2:3]
.LBB1484_292:
	s_or_b64 exec, exec, s[0:1]
	v_or_b32_e32 v13, 0x600, v0
	v_cmp_gt_u32_e32 vcc, s18, v13
	s_and_saveexec_b64 s[0:1], vcc
	s_cbranch_execz .LBB1484_301
; %bb.293:
	v_cmp_le_u32_e32 vcc, v2, v13
	s_and_saveexec_b64 s[2:3], vcc
	s_xor_b64 s[2:3], exec, s[2:3]
	s_cbranch_execz .LBB1484_299
; %bb.294:
	v_cmp_le_u32_e32 vcc, v12, v13
	s_and_saveexec_b64 s[4:5], vcc
	s_xor_b64 s[4:5], exec, s[4:5]
	s_cbranch_execz .LBB1484_296
; %bb.295:
	v_add_co_u32_e32 v14, vcc, v1, v13
	v_lshlrev_b32_e32 v13, 2, v0
	ds_read_b32 v13, v13 offset:6144
	v_addc_co_u32_e32 v15, vcc, 0, v4, vcc
	v_lshlrev_b64 v[14:15], 2, v[14:15]
	v_mov_b32_e32 v16, s7
	v_sub_co_u32_e32 v14, vcc, s6, v14
	v_subb_co_u32_e32 v15, vcc, v16, v15, vcc
	s_waitcnt lgkmcnt(0)
	global_store_dword v[14:15], v13, off
                                        ; implicit-def: $vgpr13
.LBB1484_296:
	s_andn2_saveexec_b64 s[4:5], s[4:5]
	s_cbranch_execz .LBB1484_298
; %bb.297:
	v_lshlrev_b32_e32 v14, 2, v0
	ds_read_b32 v14, v14 offset:6144
	v_lshlrev_b32_e32 v13, 2, v13
	v_readfirstlane_b32 s8, v8
	v_readfirstlane_b32 s9, v9
	s_waitcnt lgkmcnt(0)
	s_nop 3
	global_store_dword v13, v14, s[8:9]
.LBB1484_298:
	s_or_b64 exec, exec, s[4:5]
                                        ; implicit-def: $vgpr13
.LBB1484_299:
	s_andn2_saveexec_b64 s[2:3], s[2:3]
	s_cbranch_execz .LBB1484_301
; %bb.300:
	v_lshlrev_b32_e32 v14, 2, v0
	ds_read_b32 v14, v14 offset:6144
	v_lshlrev_b32_e32 v13, 2, v13
	v_readfirstlane_b32 s2, v10
	v_readfirstlane_b32 s3, v11
	s_waitcnt lgkmcnt(0)
	s_nop 3
	global_store_dword v13, v14, s[2:3]
.LBB1484_301:
	;; [unrolled: 55-line block ×7, first 2 shown]
	s_or_b64 exec, exec, s[0:1]
	v_or_b32_e32 v13, 0xc00, v0
	v_cmp_gt_u32_e32 vcc, s18, v13
	s_and_saveexec_b64 s[0:1], vcc
	s_cbranch_execz .LBB1484_355
; %bb.347:
	v_cmp_le_u32_e32 vcc, v2, v13
	s_and_saveexec_b64 s[2:3], vcc
	s_xor_b64 s[2:3], exec, s[2:3]
	s_cbranch_execz .LBB1484_353
; %bb.348:
	v_cmp_le_u32_e32 vcc, v12, v13
	s_and_saveexec_b64 s[4:5], vcc
	s_xor_b64 s[4:5], exec, s[4:5]
	s_cbranch_execz .LBB1484_350
; %bb.349:
	v_add_co_u32_e32 v8, vcc, v1, v13
	v_lshlrev_b32_e32 v1, 2, v0
	ds_read_b32 v1, v1 offset:12288
	v_addc_co_u32_e32 v9, vcc, 0, v4, vcc
	v_lshlrev_b64 v[8:9], 2, v[8:9]
	v_mov_b32_e32 v4, s7
	v_sub_co_u32_e32 v8, vcc, s6, v8
	v_subb_co_u32_e32 v9, vcc, v4, v9, vcc
	s_waitcnt lgkmcnt(0)
	global_store_dword v[8:9], v1, off
                                        ; implicit-def: $vgpr13
                                        ; implicit-def: $vgpr8_vgpr9
.LBB1484_350:
	s_andn2_saveexec_b64 s[4:5], s[4:5]
	s_cbranch_execz .LBB1484_352
; %bb.351:
	v_lshlrev_b32_e32 v1, 2, v0
	ds_read_b32 v1, v1 offset:12288
	v_lshlrev_b32_e32 v4, 2, v13
	v_readfirstlane_b32 s6, v8
	v_readfirstlane_b32 s7, v9
	s_waitcnt lgkmcnt(0)
	s_nop 3
	global_store_dword v4, v1, s[6:7]
.LBB1484_352:
	s_or_b64 exec, exec, s[4:5]
                                        ; implicit-def: $vgpr13
                                        ; implicit-def: $vgpr10_vgpr11
.LBB1484_353:
	s_andn2_saveexec_b64 s[2:3], s[2:3]
	s_cbranch_execz .LBB1484_355
; %bb.354:
	v_lshlrev_b32_e32 v1, 2, v0
	ds_read_b32 v1, v1 offset:12288
	v_lshlrev_b32_e32 v4, 2, v13
	v_readfirstlane_b32 s2, v10
	v_readfirstlane_b32 s3, v11
	s_waitcnt lgkmcnt(0)
	s_nop 3
	global_store_dword v4, v1, s[2:3]
.LBB1484_355:
	s_or_b64 exec, exec, s[0:1]
	v_cmp_eq_u32_e32 vcc, 0, v0
	s_and_b64 s[0:1], vcc, s[30:31]
	s_and_saveexec_b64 s[2:3], s[0:1]
	s_cbranch_execz .LBB1484_132
.LBB1484_356:
	v_add_co_u32_e32 v0, vcc, v6, v2
	v_addc_co_u32_e32 v1, vcc, 0, v7, vcc
	v_mov_b32_e32 v2, s51
	v_add_co_u32_e32 v3, vcc, s50, v3
	v_addc_co_u32_e32 v6, vcc, 0, v2, vcc
	v_add_co_u32_e32 v2, vcc, v3, v5
	v_mov_b32_e32 v4, 0
	v_addc_co_u32_e32 v3, vcc, 0, v6, vcc
	global_store_dwordx4 v4, v[0:3], s[44:45]
	s_endpgm
	.section	.rodata,"a",@progbits
	.p2align	6, 0x0
	.amdhsa_kernel _ZN7rocprim17ROCPRIM_400000_NS6detail17trampoline_kernelINS0_13select_configILj256ELj13ELNS0_17block_load_methodE3ELS4_3ELS4_3ELNS0_20block_scan_algorithmE0ELj4294967295EEENS1_25partition_config_selectorILNS1_17partition_subalgoE4EjNS0_10empty_typeEbEEZZNS1_14partition_implILS8_4ELb0ES6_15HIP_vector_typeIjLj2EENS0_17counting_iteratorIjlEEPS9_SG_NS0_5tupleIJPjSI_NS0_16reverse_iteratorISI_EEEEENSH_IJSG_SG_SG_EEES9_SI_JZNS1_25segmented_radix_sort_implINS0_14default_configELb1EPKbPbPKlPlN2at6native12_GLOBAL__N_18offset_tEEE10hipError_tPvRmT1_PNSt15iterator_traitsIS12_E10value_typeET2_T3_PNS13_IS18_E10value_typeET4_jRbjT5_S1E_jjP12ihipStream_tbEUljE_ZNSN_ISO_Lb1ESQ_SR_ST_SU_SY_EESZ_S10_S11_S12_S16_S17_S18_S1B_S1C_jS1D_jS1E_S1E_jjS1G_bEUljE0_EEESZ_S10_S11_S18_S1C_S1E_T6_T7_T9_mT8_S1G_bDpT10_ENKUlT_T0_E_clISt17integral_constantIbLb1EES1T_IbLb0EEEEDaS1P_S1Q_EUlS1P_E_NS1_11comp_targetILNS1_3genE4ELNS1_11target_archE910ELNS1_3gpuE8ELNS1_3repE0EEENS1_30default_config_static_selectorELNS0_4arch9wavefront6targetE1EEEvS12_
		.amdhsa_group_segment_fixed_size 13340
		.amdhsa_private_segment_fixed_size 0
		.amdhsa_kernarg_size 176
		.amdhsa_user_sgpr_count 6
		.amdhsa_user_sgpr_private_segment_buffer 1
		.amdhsa_user_sgpr_dispatch_ptr 0
		.amdhsa_user_sgpr_queue_ptr 0
		.amdhsa_user_sgpr_kernarg_segment_ptr 1
		.amdhsa_user_sgpr_dispatch_id 0
		.amdhsa_user_sgpr_flat_scratch_init 0
		.amdhsa_user_sgpr_kernarg_preload_length 0
		.amdhsa_user_sgpr_kernarg_preload_offset 0
		.amdhsa_user_sgpr_private_segment_size 0
		.amdhsa_uses_dynamic_stack 0
		.amdhsa_system_sgpr_private_segment_wavefront_offset 0
		.amdhsa_system_sgpr_workgroup_id_x 1
		.amdhsa_system_sgpr_workgroup_id_y 0
		.amdhsa_system_sgpr_workgroup_id_z 0
		.amdhsa_system_sgpr_workgroup_info 0
		.amdhsa_system_vgpr_workitem_id 0
		.amdhsa_next_free_vgpr 102
		.amdhsa_next_free_sgpr 90
		.amdhsa_accum_offset 104
		.amdhsa_reserve_vcc 1
		.amdhsa_reserve_flat_scratch 0
		.amdhsa_float_round_mode_32 0
		.amdhsa_float_round_mode_16_64 0
		.amdhsa_float_denorm_mode_32 3
		.amdhsa_float_denorm_mode_16_64 3
		.amdhsa_dx10_clamp 1
		.amdhsa_ieee_mode 1
		.amdhsa_fp16_overflow 0
		.amdhsa_tg_split 0
		.amdhsa_exception_fp_ieee_invalid_op 0
		.amdhsa_exception_fp_denorm_src 0
		.amdhsa_exception_fp_ieee_div_zero 0
		.amdhsa_exception_fp_ieee_overflow 0
		.amdhsa_exception_fp_ieee_underflow 0
		.amdhsa_exception_fp_ieee_inexact 0
		.amdhsa_exception_int_div_zero 0
	.end_amdhsa_kernel
	.section	.text._ZN7rocprim17ROCPRIM_400000_NS6detail17trampoline_kernelINS0_13select_configILj256ELj13ELNS0_17block_load_methodE3ELS4_3ELS4_3ELNS0_20block_scan_algorithmE0ELj4294967295EEENS1_25partition_config_selectorILNS1_17partition_subalgoE4EjNS0_10empty_typeEbEEZZNS1_14partition_implILS8_4ELb0ES6_15HIP_vector_typeIjLj2EENS0_17counting_iteratorIjlEEPS9_SG_NS0_5tupleIJPjSI_NS0_16reverse_iteratorISI_EEEEENSH_IJSG_SG_SG_EEES9_SI_JZNS1_25segmented_radix_sort_implINS0_14default_configELb1EPKbPbPKlPlN2at6native12_GLOBAL__N_18offset_tEEE10hipError_tPvRmT1_PNSt15iterator_traitsIS12_E10value_typeET2_T3_PNS13_IS18_E10value_typeET4_jRbjT5_S1E_jjP12ihipStream_tbEUljE_ZNSN_ISO_Lb1ESQ_SR_ST_SU_SY_EESZ_S10_S11_S12_S16_S17_S18_S1B_S1C_jS1D_jS1E_S1E_jjS1G_bEUljE0_EEESZ_S10_S11_S18_S1C_S1E_T6_T7_T9_mT8_S1G_bDpT10_ENKUlT_T0_E_clISt17integral_constantIbLb1EES1T_IbLb0EEEEDaS1P_S1Q_EUlS1P_E_NS1_11comp_targetILNS1_3genE4ELNS1_11target_archE910ELNS1_3gpuE8ELNS1_3repE0EEENS1_30default_config_static_selectorELNS0_4arch9wavefront6targetE1EEEvS12_,"axG",@progbits,_ZN7rocprim17ROCPRIM_400000_NS6detail17trampoline_kernelINS0_13select_configILj256ELj13ELNS0_17block_load_methodE3ELS4_3ELS4_3ELNS0_20block_scan_algorithmE0ELj4294967295EEENS1_25partition_config_selectorILNS1_17partition_subalgoE4EjNS0_10empty_typeEbEEZZNS1_14partition_implILS8_4ELb0ES6_15HIP_vector_typeIjLj2EENS0_17counting_iteratorIjlEEPS9_SG_NS0_5tupleIJPjSI_NS0_16reverse_iteratorISI_EEEEENSH_IJSG_SG_SG_EEES9_SI_JZNS1_25segmented_radix_sort_implINS0_14default_configELb1EPKbPbPKlPlN2at6native12_GLOBAL__N_18offset_tEEE10hipError_tPvRmT1_PNSt15iterator_traitsIS12_E10value_typeET2_T3_PNS13_IS18_E10value_typeET4_jRbjT5_S1E_jjP12ihipStream_tbEUljE_ZNSN_ISO_Lb1ESQ_SR_ST_SU_SY_EESZ_S10_S11_S12_S16_S17_S18_S1B_S1C_jS1D_jS1E_S1E_jjS1G_bEUljE0_EEESZ_S10_S11_S18_S1C_S1E_T6_T7_T9_mT8_S1G_bDpT10_ENKUlT_T0_E_clISt17integral_constantIbLb1EES1T_IbLb0EEEEDaS1P_S1Q_EUlS1P_E_NS1_11comp_targetILNS1_3genE4ELNS1_11target_archE910ELNS1_3gpuE8ELNS1_3repE0EEENS1_30default_config_static_selectorELNS0_4arch9wavefront6targetE1EEEvS12_,comdat
.Lfunc_end1484:
	.size	_ZN7rocprim17ROCPRIM_400000_NS6detail17trampoline_kernelINS0_13select_configILj256ELj13ELNS0_17block_load_methodE3ELS4_3ELS4_3ELNS0_20block_scan_algorithmE0ELj4294967295EEENS1_25partition_config_selectorILNS1_17partition_subalgoE4EjNS0_10empty_typeEbEEZZNS1_14partition_implILS8_4ELb0ES6_15HIP_vector_typeIjLj2EENS0_17counting_iteratorIjlEEPS9_SG_NS0_5tupleIJPjSI_NS0_16reverse_iteratorISI_EEEEENSH_IJSG_SG_SG_EEES9_SI_JZNS1_25segmented_radix_sort_implINS0_14default_configELb1EPKbPbPKlPlN2at6native12_GLOBAL__N_18offset_tEEE10hipError_tPvRmT1_PNSt15iterator_traitsIS12_E10value_typeET2_T3_PNS13_IS18_E10value_typeET4_jRbjT5_S1E_jjP12ihipStream_tbEUljE_ZNSN_ISO_Lb1ESQ_SR_ST_SU_SY_EESZ_S10_S11_S12_S16_S17_S18_S1B_S1C_jS1D_jS1E_S1E_jjS1G_bEUljE0_EEESZ_S10_S11_S18_S1C_S1E_T6_T7_T9_mT8_S1G_bDpT10_ENKUlT_T0_E_clISt17integral_constantIbLb1EES1T_IbLb0EEEEDaS1P_S1Q_EUlS1P_E_NS1_11comp_targetILNS1_3genE4ELNS1_11target_archE910ELNS1_3gpuE8ELNS1_3repE0EEENS1_30default_config_static_selectorELNS0_4arch9wavefront6targetE1EEEvS12_, .Lfunc_end1484-_ZN7rocprim17ROCPRIM_400000_NS6detail17trampoline_kernelINS0_13select_configILj256ELj13ELNS0_17block_load_methodE3ELS4_3ELS4_3ELNS0_20block_scan_algorithmE0ELj4294967295EEENS1_25partition_config_selectorILNS1_17partition_subalgoE4EjNS0_10empty_typeEbEEZZNS1_14partition_implILS8_4ELb0ES6_15HIP_vector_typeIjLj2EENS0_17counting_iteratorIjlEEPS9_SG_NS0_5tupleIJPjSI_NS0_16reverse_iteratorISI_EEEEENSH_IJSG_SG_SG_EEES9_SI_JZNS1_25segmented_radix_sort_implINS0_14default_configELb1EPKbPbPKlPlN2at6native12_GLOBAL__N_18offset_tEEE10hipError_tPvRmT1_PNSt15iterator_traitsIS12_E10value_typeET2_T3_PNS13_IS18_E10value_typeET4_jRbjT5_S1E_jjP12ihipStream_tbEUljE_ZNSN_ISO_Lb1ESQ_SR_ST_SU_SY_EESZ_S10_S11_S12_S16_S17_S18_S1B_S1C_jS1D_jS1E_S1E_jjS1G_bEUljE0_EEESZ_S10_S11_S18_S1C_S1E_T6_T7_T9_mT8_S1G_bDpT10_ENKUlT_T0_E_clISt17integral_constantIbLb1EES1T_IbLb0EEEEDaS1P_S1Q_EUlS1P_E_NS1_11comp_targetILNS1_3genE4ELNS1_11target_archE910ELNS1_3gpuE8ELNS1_3repE0EEENS1_30default_config_static_selectorELNS0_4arch9wavefront6targetE1EEEvS12_
                                        ; -- End function
	.section	.AMDGPU.csdata,"",@progbits
; Kernel info:
; codeLenInByte = 13412
; NumSgprs: 94
; NumVgprs: 102
; NumAgprs: 0
; TotalNumVgprs: 102
; ScratchSize: 0
; MemoryBound: 0
; FloatMode: 240
; IeeeMode: 1
; LDSByteSize: 13340 bytes/workgroup (compile time only)
; SGPRBlocks: 11
; VGPRBlocks: 12
; NumSGPRsForWavesPerEU: 94
; NumVGPRsForWavesPerEU: 102
; AccumOffset: 104
; Occupancy: 4
; WaveLimiterHint : 1
; COMPUTE_PGM_RSRC2:SCRATCH_EN: 0
; COMPUTE_PGM_RSRC2:USER_SGPR: 6
; COMPUTE_PGM_RSRC2:TRAP_HANDLER: 0
; COMPUTE_PGM_RSRC2:TGID_X_EN: 1
; COMPUTE_PGM_RSRC2:TGID_Y_EN: 0
; COMPUTE_PGM_RSRC2:TGID_Z_EN: 0
; COMPUTE_PGM_RSRC2:TIDIG_COMP_CNT: 0
; COMPUTE_PGM_RSRC3_GFX90A:ACCUM_OFFSET: 25
; COMPUTE_PGM_RSRC3_GFX90A:TG_SPLIT: 0
	.section	.text._ZN7rocprim17ROCPRIM_400000_NS6detail17trampoline_kernelINS0_13select_configILj256ELj13ELNS0_17block_load_methodE3ELS4_3ELS4_3ELNS0_20block_scan_algorithmE0ELj4294967295EEENS1_25partition_config_selectorILNS1_17partition_subalgoE4EjNS0_10empty_typeEbEEZZNS1_14partition_implILS8_4ELb0ES6_15HIP_vector_typeIjLj2EENS0_17counting_iteratorIjlEEPS9_SG_NS0_5tupleIJPjSI_NS0_16reverse_iteratorISI_EEEEENSH_IJSG_SG_SG_EEES9_SI_JZNS1_25segmented_radix_sort_implINS0_14default_configELb1EPKbPbPKlPlN2at6native12_GLOBAL__N_18offset_tEEE10hipError_tPvRmT1_PNSt15iterator_traitsIS12_E10value_typeET2_T3_PNS13_IS18_E10value_typeET4_jRbjT5_S1E_jjP12ihipStream_tbEUljE_ZNSN_ISO_Lb1ESQ_SR_ST_SU_SY_EESZ_S10_S11_S12_S16_S17_S18_S1B_S1C_jS1D_jS1E_S1E_jjS1G_bEUljE0_EEESZ_S10_S11_S18_S1C_S1E_T6_T7_T9_mT8_S1G_bDpT10_ENKUlT_T0_E_clISt17integral_constantIbLb1EES1T_IbLb0EEEEDaS1P_S1Q_EUlS1P_E_NS1_11comp_targetILNS1_3genE3ELNS1_11target_archE908ELNS1_3gpuE7ELNS1_3repE0EEENS1_30default_config_static_selectorELNS0_4arch9wavefront6targetE1EEEvS12_,"axG",@progbits,_ZN7rocprim17ROCPRIM_400000_NS6detail17trampoline_kernelINS0_13select_configILj256ELj13ELNS0_17block_load_methodE3ELS4_3ELS4_3ELNS0_20block_scan_algorithmE0ELj4294967295EEENS1_25partition_config_selectorILNS1_17partition_subalgoE4EjNS0_10empty_typeEbEEZZNS1_14partition_implILS8_4ELb0ES6_15HIP_vector_typeIjLj2EENS0_17counting_iteratorIjlEEPS9_SG_NS0_5tupleIJPjSI_NS0_16reverse_iteratorISI_EEEEENSH_IJSG_SG_SG_EEES9_SI_JZNS1_25segmented_radix_sort_implINS0_14default_configELb1EPKbPbPKlPlN2at6native12_GLOBAL__N_18offset_tEEE10hipError_tPvRmT1_PNSt15iterator_traitsIS12_E10value_typeET2_T3_PNS13_IS18_E10value_typeET4_jRbjT5_S1E_jjP12ihipStream_tbEUljE_ZNSN_ISO_Lb1ESQ_SR_ST_SU_SY_EESZ_S10_S11_S12_S16_S17_S18_S1B_S1C_jS1D_jS1E_S1E_jjS1G_bEUljE0_EEESZ_S10_S11_S18_S1C_S1E_T6_T7_T9_mT8_S1G_bDpT10_ENKUlT_T0_E_clISt17integral_constantIbLb1EES1T_IbLb0EEEEDaS1P_S1Q_EUlS1P_E_NS1_11comp_targetILNS1_3genE3ELNS1_11target_archE908ELNS1_3gpuE7ELNS1_3repE0EEENS1_30default_config_static_selectorELNS0_4arch9wavefront6targetE1EEEvS12_,comdat
	.globl	_ZN7rocprim17ROCPRIM_400000_NS6detail17trampoline_kernelINS0_13select_configILj256ELj13ELNS0_17block_load_methodE3ELS4_3ELS4_3ELNS0_20block_scan_algorithmE0ELj4294967295EEENS1_25partition_config_selectorILNS1_17partition_subalgoE4EjNS0_10empty_typeEbEEZZNS1_14partition_implILS8_4ELb0ES6_15HIP_vector_typeIjLj2EENS0_17counting_iteratorIjlEEPS9_SG_NS0_5tupleIJPjSI_NS0_16reverse_iteratorISI_EEEEENSH_IJSG_SG_SG_EEES9_SI_JZNS1_25segmented_radix_sort_implINS0_14default_configELb1EPKbPbPKlPlN2at6native12_GLOBAL__N_18offset_tEEE10hipError_tPvRmT1_PNSt15iterator_traitsIS12_E10value_typeET2_T3_PNS13_IS18_E10value_typeET4_jRbjT5_S1E_jjP12ihipStream_tbEUljE_ZNSN_ISO_Lb1ESQ_SR_ST_SU_SY_EESZ_S10_S11_S12_S16_S17_S18_S1B_S1C_jS1D_jS1E_S1E_jjS1G_bEUljE0_EEESZ_S10_S11_S18_S1C_S1E_T6_T7_T9_mT8_S1G_bDpT10_ENKUlT_T0_E_clISt17integral_constantIbLb1EES1T_IbLb0EEEEDaS1P_S1Q_EUlS1P_E_NS1_11comp_targetILNS1_3genE3ELNS1_11target_archE908ELNS1_3gpuE7ELNS1_3repE0EEENS1_30default_config_static_selectorELNS0_4arch9wavefront6targetE1EEEvS12_ ; -- Begin function _ZN7rocprim17ROCPRIM_400000_NS6detail17trampoline_kernelINS0_13select_configILj256ELj13ELNS0_17block_load_methodE3ELS4_3ELS4_3ELNS0_20block_scan_algorithmE0ELj4294967295EEENS1_25partition_config_selectorILNS1_17partition_subalgoE4EjNS0_10empty_typeEbEEZZNS1_14partition_implILS8_4ELb0ES6_15HIP_vector_typeIjLj2EENS0_17counting_iteratorIjlEEPS9_SG_NS0_5tupleIJPjSI_NS0_16reverse_iteratorISI_EEEEENSH_IJSG_SG_SG_EEES9_SI_JZNS1_25segmented_radix_sort_implINS0_14default_configELb1EPKbPbPKlPlN2at6native12_GLOBAL__N_18offset_tEEE10hipError_tPvRmT1_PNSt15iterator_traitsIS12_E10value_typeET2_T3_PNS13_IS18_E10value_typeET4_jRbjT5_S1E_jjP12ihipStream_tbEUljE_ZNSN_ISO_Lb1ESQ_SR_ST_SU_SY_EESZ_S10_S11_S12_S16_S17_S18_S1B_S1C_jS1D_jS1E_S1E_jjS1G_bEUljE0_EEESZ_S10_S11_S18_S1C_S1E_T6_T7_T9_mT8_S1G_bDpT10_ENKUlT_T0_E_clISt17integral_constantIbLb1EES1T_IbLb0EEEEDaS1P_S1Q_EUlS1P_E_NS1_11comp_targetILNS1_3genE3ELNS1_11target_archE908ELNS1_3gpuE7ELNS1_3repE0EEENS1_30default_config_static_selectorELNS0_4arch9wavefront6targetE1EEEvS12_
	.p2align	8
	.type	_ZN7rocprim17ROCPRIM_400000_NS6detail17trampoline_kernelINS0_13select_configILj256ELj13ELNS0_17block_load_methodE3ELS4_3ELS4_3ELNS0_20block_scan_algorithmE0ELj4294967295EEENS1_25partition_config_selectorILNS1_17partition_subalgoE4EjNS0_10empty_typeEbEEZZNS1_14partition_implILS8_4ELb0ES6_15HIP_vector_typeIjLj2EENS0_17counting_iteratorIjlEEPS9_SG_NS0_5tupleIJPjSI_NS0_16reverse_iteratorISI_EEEEENSH_IJSG_SG_SG_EEES9_SI_JZNS1_25segmented_radix_sort_implINS0_14default_configELb1EPKbPbPKlPlN2at6native12_GLOBAL__N_18offset_tEEE10hipError_tPvRmT1_PNSt15iterator_traitsIS12_E10value_typeET2_T3_PNS13_IS18_E10value_typeET4_jRbjT5_S1E_jjP12ihipStream_tbEUljE_ZNSN_ISO_Lb1ESQ_SR_ST_SU_SY_EESZ_S10_S11_S12_S16_S17_S18_S1B_S1C_jS1D_jS1E_S1E_jjS1G_bEUljE0_EEESZ_S10_S11_S18_S1C_S1E_T6_T7_T9_mT8_S1G_bDpT10_ENKUlT_T0_E_clISt17integral_constantIbLb1EES1T_IbLb0EEEEDaS1P_S1Q_EUlS1P_E_NS1_11comp_targetILNS1_3genE3ELNS1_11target_archE908ELNS1_3gpuE7ELNS1_3repE0EEENS1_30default_config_static_selectorELNS0_4arch9wavefront6targetE1EEEvS12_,@function
_ZN7rocprim17ROCPRIM_400000_NS6detail17trampoline_kernelINS0_13select_configILj256ELj13ELNS0_17block_load_methodE3ELS4_3ELS4_3ELNS0_20block_scan_algorithmE0ELj4294967295EEENS1_25partition_config_selectorILNS1_17partition_subalgoE4EjNS0_10empty_typeEbEEZZNS1_14partition_implILS8_4ELb0ES6_15HIP_vector_typeIjLj2EENS0_17counting_iteratorIjlEEPS9_SG_NS0_5tupleIJPjSI_NS0_16reverse_iteratorISI_EEEEENSH_IJSG_SG_SG_EEES9_SI_JZNS1_25segmented_radix_sort_implINS0_14default_configELb1EPKbPbPKlPlN2at6native12_GLOBAL__N_18offset_tEEE10hipError_tPvRmT1_PNSt15iterator_traitsIS12_E10value_typeET2_T3_PNS13_IS18_E10value_typeET4_jRbjT5_S1E_jjP12ihipStream_tbEUljE_ZNSN_ISO_Lb1ESQ_SR_ST_SU_SY_EESZ_S10_S11_S12_S16_S17_S18_S1B_S1C_jS1D_jS1E_S1E_jjS1G_bEUljE0_EEESZ_S10_S11_S18_S1C_S1E_T6_T7_T9_mT8_S1G_bDpT10_ENKUlT_T0_E_clISt17integral_constantIbLb1EES1T_IbLb0EEEEDaS1P_S1Q_EUlS1P_E_NS1_11comp_targetILNS1_3genE3ELNS1_11target_archE908ELNS1_3gpuE7ELNS1_3repE0EEENS1_30default_config_static_selectorELNS0_4arch9wavefront6targetE1EEEvS12_: ; @_ZN7rocprim17ROCPRIM_400000_NS6detail17trampoline_kernelINS0_13select_configILj256ELj13ELNS0_17block_load_methodE3ELS4_3ELS4_3ELNS0_20block_scan_algorithmE0ELj4294967295EEENS1_25partition_config_selectorILNS1_17partition_subalgoE4EjNS0_10empty_typeEbEEZZNS1_14partition_implILS8_4ELb0ES6_15HIP_vector_typeIjLj2EENS0_17counting_iteratorIjlEEPS9_SG_NS0_5tupleIJPjSI_NS0_16reverse_iteratorISI_EEEEENSH_IJSG_SG_SG_EEES9_SI_JZNS1_25segmented_radix_sort_implINS0_14default_configELb1EPKbPbPKlPlN2at6native12_GLOBAL__N_18offset_tEEE10hipError_tPvRmT1_PNSt15iterator_traitsIS12_E10value_typeET2_T3_PNS13_IS18_E10value_typeET4_jRbjT5_S1E_jjP12ihipStream_tbEUljE_ZNSN_ISO_Lb1ESQ_SR_ST_SU_SY_EESZ_S10_S11_S12_S16_S17_S18_S1B_S1C_jS1D_jS1E_S1E_jjS1G_bEUljE0_EEESZ_S10_S11_S18_S1C_S1E_T6_T7_T9_mT8_S1G_bDpT10_ENKUlT_T0_E_clISt17integral_constantIbLb1EES1T_IbLb0EEEEDaS1P_S1Q_EUlS1P_E_NS1_11comp_targetILNS1_3genE3ELNS1_11target_archE908ELNS1_3gpuE7ELNS1_3repE0EEENS1_30default_config_static_selectorELNS0_4arch9wavefront6targetE1EEEvS12_
; %bb.0:
	.section	.rodata,"a",@progbits
	.p2align	6, 0x0
	.amdhsa_kernel _ZN7rocprim17ROCPRIM_400000_NS6detail17trampoline_kernelINS0_13select_configILj256ELj13ELNS0_17block_load_methodE3ELS4_3ELS4_3ELNS0_20block_scan_algorithmE0ELj4294967295EEENS1_25partition_config_selectorILNS1_17partition_subalgoE4EjNS0_10empty_typeEbEEZZNS1_14partition_implILS8_4ELb0ES6_15HIP_vector_typeIjLj2EENS0_17counting_iteratorIjlEEPS9_SG_NS0_5tupleIJPjSI_NS0_16reverse_iteratorISI_EEEEENSH_IJSG_SG_SG_EEES9_SI_JZNS1_25segmented_radix_sort_implINS0_14default_configELb1EPKbPbPKlPlN2at6native12_GLOBAL__N_18offset_tEEE10hipError_tPvRmT1_PNSt15iterator_traitsIS12_E10value_typeET2_T3_PNS13_IS18_E10value_typeET4_jRbjT5_S1E_jjP12ihipStream_tbEUljE_ZNSN_ISO_Lb1ESQ_SR_ST_SU_SY_EESZ_S10_S11_S12_S16_S17_S18_S1B_S1C_jS1D_jS1E_S1E_jjS1G_bEUljE0_EEESZ_S10_S11_S18_S1C_S1E_T6_T7_T9_mT8_S1G_bDpT10_ENKUlT_T0_E_clISt17integral_constantIbLb1EES1T_IbLb0EEEEDaS1P_S1Q_EUlS1P_E_NS1_11comp_targetILNS1_3genE3ELNS1_11target_archE908ELNS1_3gpuE7ELNS1_3repE0EEENS1_30default_config_static_selectorELNS0_4arch9wavefront6targetE1EEEvS12_
		.amdhsa_group_segment_fixed_size 0
		.amdhsa_private_segment_fixed_size 0
		.amdhsa_kernarg_size 176
		.amdhsa_user_sgpr_count 6
		.amdhsa_user_sgpr_private_segment_buffer 1
		.amdhsa_user_sgpr_dispatch_ptr 0
		.amdhsa_user_sgpr_queue_ptr 0
		.amdhsa_user_sgpr_kernarg_segment_ptr 1
		.amdhsa_user_sgpr_dispatch_id 0
		.amdhsa_user_sgpr_flat_scratch_init 0
		.amdhsa_user_sgpr_kernarg_preload_length 0
		.amdhsa_user_sgpr_kernarg_preload_offset 0
		.amdhsa_user_sgpr_private_segment_size 0
		.amdhsa_uses_dynamic_stack 0
		.amdhsa_system_sgpr_private_segment_wavefront_offset 0
		.amdhsa_system_sgpr_workgroup_id_x 1
		.amdhsa_system_sgpr_workgroup_id_y 0
		.amdhsa_system_sgpr_workgroup_id_z 0
		.amdhsa_system_sgpr_workgroup_info 0
		.amdhsa_system_vgpr_workitem_id 0
		.amdhsa_next_free_vgpr 1
		.amdhsa_next_free_sgpr 0
		.amdhsa_accum_offset 4
		.amdhsa_reserve_vcc 0
		.amdhsa_reserve_flat_scratch 0
		.amdhsa_float_round_mode_32 0
		.amdhsa_float_round_mode_16_64 0
		.amdhsa_float_denorm_mode_32 3
		.amdhsa_float_denorm_mode_16_64 3
		.amdhsa_dx10_clamp 1
		.amdhsa_ieee_mode 1
		.amdhsa_fp16_overflow 0
		.amdhsa_tg_split 0
		.amdhsa_exception_fp_ieee_invalid_op 0
		.amdhsa_exception_fp_denorm_src 0
		.amdhsa_exception_fp_ieee_div_zero 0
		.amdhsa_exception_fp_ieee_overflow 0
		.amdhsa_exception_fp_ieee_underflow 0
		.amdhsa_exception_fp_ieee_inexact 0
		.amdhsa_exception_int_div_zero 0
	.end_amdhsa_kernel
	.section	.text._ZN7rocprim17ROCPRIM_400000_NS6detail17trampoline_kernelINS0_13select_configILj256ELj13ELNS0_17block_load_methodE3ELS4_3ELS4_3ELNS0_20block_scan_algorithmE0ELj4294967295EEENS1_25partition_config_selectorILNS1_17partition_subalgoE4EjNS0_10empty_typeEbEEZZNS1_14partition_implILS8_4ELb0ES6_15HIP_vector_typeIjLj2EENS0_17counting_iteratorIjlEEPS9_SG_NS0_5tupleIJPjSI_NS0_16reverse_iteratorISI_EEEEENSH_IJSG_SG_SG_EEES9_SI_JZNS1_25segmented_radix_sort_implINS0_14default_configELb1EPKbPbPKlPlN2at6native12_GLOBAL__N_18offset_tEEE10hipError_tPvRmT1_PNSt15iterator_traitsIS12_E10value_typeET2_T3_PNS13_IS18_E10value_typeET4_jRbjT5_S1E_jjP12ihipStream_tbEUljE_ZNSN_ISO_Lb1ESQ_SR_ST_SU_SY_EESZ_S10_S11_S12_S16_S17_S18_S1B_S1C_jS1D_jS1E_S1E_jjS1G_bEUljE0_EEESZ_S10_S11_S18_S1C_S1E_T6_T7_T9_mT8_S1G_bDpT10_ENKUlT_T0_E_clISt17integral_constantIbLb1EES1T_IbLb0EEEEDaS1P_S1Q_EUlS1P_E_NS1_11comp_targetILNS1_3genE3ELNS1_11target_archE908ELNS1_3gpuE7ELNS1_3repE0EEENS1_30default_config_static_selectorELNS0_4arch9wavefront6targetE1EEEvS12_,"axG",@progbits,_ZN7rocprim17ROCPRIM_400000_NS6detail17trampoline_kernelINS0_13select_configILj256ELj13ELNS0_17block_load_methodE3ELS4_3ELS4_3ELNS0_20block_scan_algorithmE0ELj4294967295EEENS1_25partition_config_selectorILNS1_17partition_subalgoE4EjNS0_10empty_typeEbEEZZNS1_14partition_implILS8_4ELb0ES6_15HIP_vector_typeIjLj2EENS0_17counting_iteratorIjlEEPS9_SG_NS0_5tupleIJPjSI_NS0_16reverse_iteratorISI_EEEEENSH_IJSG_SG_SG_EEES9_SI_JZNS1_25segmented_radix_sort_implINS0_14default_configELb1EPKbPbPKlPlN2at6native12_GLOBAL__N_18offset_tEEE10hipError_tPvRmT1_PNSt15iterator_traitsIS12_E10value_typeET2_T3_PNS13_IS18_E10value_typeET4_jRbjT5_S1E_jjP12ihipStream_tbEUljE_ZNSN_ISO_Lb1ESQ_SR_ST_SU_SY_EESZ_S10_S11_S12_S16_S17_S18_S1B_S1C_jS1D_jS1E_S1E_jjS1G_bEUljE0_EEESZ_S10_S11_S18_S1C_S1E_T6_T7_T9_mT8_S1G_bDpT10_ENKUlT_T0_E_clISt17integral_constantIbLb1EES1T_IbLb0EEEEDaS1P_S1Q_EUlS1P_E_NS1_11comp_targetILNS1_3genE3ELNS1_11target_archE908ELNS1_3gpuE7ELNS1_3repE0EEENS1_30default_config_static_selectorELNS0_4arch9wavefront6targetE1EEEvS12_,comdat
.Lfunc_end1485:
	.size	_ZN7rocprim17ROCPRIM_400000_NS6detail17trampoline_kernelINS0_13select_configILj256ELj13ELNS0_17block_load_methodE3ELS4_3ELS4_3ELNS0_20block_scan_algorithmE0ELj4294967295EEENS1_25partition_config_selectorILNS1_17partition_subalgoE4EjNS0_10empty_typeEbEEZZNS1_14partition_implILS8_4ELb0ES6_15HIP_vector_typeIjLj2EENS0_17counting_iteratorIjlEEPS9_SG_NS0_5tupleIJPjSI_NS0_16reverse_iteratorISI_EEEEENSH_IJSG_SG_SG_EEES9_SI_JZNS1_25segmented_radix_sort_implINS0_14default_configELb1EPKbPbPKlPlN2at6native12_GLOBAL__N_18offset_tEEE10hipError_tPvRmT1_PNSt15iterator_traitsIS12_E10value_typeET2_T3_PNS13_IS18_E10value_typeET4_jRbjT5_S1E_jjP12ihipStream_tbEUljE_ZNSN_ISO_Lb1ESQ_SR_ST_SU_SY_EESZ_S10_S11_S12_S16_S17_S18_S1B_S1C_jS1D_jS1E_S1E_jjS1G_bEUljE0_EEESZ_S10_S11_S18_S1C_S1E_T6_T7_T9_mT8_S1G_bDpT10_ENKUlT_T0_E_clISt17integral_constantIbLb1EES1T_IbLb0EEEEDaS1P_S1Q_EUlS1P_E_NS1_11comp_targetILNS1_3genE3ELNS1_11target_archE908ELNS1_3gpuE7ELNS1_3repE0EEENS1_30default_config_static_selectorELNS0_4arch9wavefront6targetE1EEEvS12_, .Lfunc_end1485-_ZN7rocprim17ROCPRIM_400000_NS6detail17trampoline_kernelINS0_13select_configILj256ELj13ELNS0_17block_load_methodE3ELS4_3ELS4_3ELNS0_20block_scan_algorithmE0ELj4294967295EEENS1_25partition_config_selectorILNS1_17partition_subalgoE4EjNS0_10empty_typeEbEEZZNS1_14partition_implILS8_4ELb0ES6_15HIP_vector_typeIjLj2EENS0_17counting_iteratorIjlEEPS9_SG_NS0_5tupleIJPjSI_NS0_16reverse_iteratorISI_EEEEENSH_IJSG_SG_SG_EEES9_SI_JZNS1_25segmented_radix_sort_implINS0_14default_configELb1EPKbPbPKlPlN2at6native12_GLOBAL__N_18offset_tEEE10hipError_tPvRmT1_PNSt15iterator_traitsIS12_E10value_typeET2_T3_PNS13_IS18_E10value_typeET4_jRbjT5_S1E_jjP12ihipStream_tbEUljE_ZNSN_ISO_Lb1ESQ_SR_ST_SU_SY_EESZ_S10_S11_S12_S16_S17_S18_S1B_S1C_jS1D_jS1E_S1E_jjS1G_bEUljE0_EEESZ_S10_S11_S18_S1C_S1E_T6_T7_T9_mT8_S1G_bDpT10_ENKUlT_T0_E_clISt17integral_constantIbLb1EES1T_IbLb0EEEEDaS1P_S1Q_EUlS1P_E_NS1_11comp_targetILNS1_3genE3ELNS1_11target_archE908ELNS1_3gpuE7ELNS1_3repE0EEENS1_30default_config_static_selectorELNS0_4arch9wavefront6targetE1EEEvS12_
                                        ; -- End function
	.section	.AMDGPU.csdata,"",@progbits
; Kernel info:
; codeLenInByte = 0
; NumSgprs: 4
; NumVgprs: 0
; NumAgprs: 0
; TotalNumVgprs: 0
; ScratchSize: 0
; MemoryBound: 0
; FloatMode: 240
; IeeeMode: 1
; LDSByteSize: 0 bytes/workgroup (compile time only)
; SGPRBlocks: 0
; VGPRBlocks: 0
; NumSGPRsForWavesPerEU: 4
; NumVGPRsForWavesPerEU: 1
; AccumOffset: 4
; Occupancy: 8
; WaveLimiterHint : 0
; COMPUTE_PGM_RSRC2:SCRATCH_EN: 0
; COMPUTE_PGM_RSRC2:USER_SGPR: 6
; COMPUTE_PGM_RSRC2:TRAP_HANDLER: 0
; COMPUTE_PGM_RSRC2:TGID_X_EN: 1
; COMPUTE_PGM_RSRC2:TGID_Y_EN: 0
; COMPUTE_PGM_RSRC2:TGID_Z_EN: 0
; COMPUTE_PGM_RSRC2:TIDIG_COMP_CNT: 0
; COMPUTE_PGM_RSRC3_GFX90A:ACCUM_OFFSET: 0
; COMPUTE_PGM_RSRC3_GFX90A:TG_SPLIT: 0
	.section	.text._ZN7rocprim17ROCPRIM_400000_NS6detail17trampoline_kernelINS0_13select_configILj256ELj13ELNS0_17block_load_methodE3ELS4_3ELS4_3ELNS0_20block_scan_algorithmE0ELj4294967295EEENS1_25partition_config_selectorILNS1_17partition_subalgoE4EjNS0_10empty_typeEbEEZZNS1_14partition_implILS8_4ELb0ES6_15HIP_vector_typeIjLj2EENS0_17counting_iteratorIjlEEPS9_SG_NS0_5tupleIJPjSI_NS0_16reverse_iteratorISI_EEEEENSH_IJSG_SG_SG_EEES9_SI_JZNS1_25segmented_radix_sort_implINS0_14default_configELb1EPKbPbPKlPlN2at6native12_GLOBAL__N_18offset_tEEE10hipError_tPvRmT1_PNSt15iterator_traitsIS12_E10value_typeET2_T3_PNS13_IS18_E10value_typeET4_jRbjT5_S1E_jjP12ihipStream_tbEUljE_ZNSN_ISO_Lb1ESQ_SR_ST_SU_SY_EESZ_S10_S11_S12_S16_S17_S18_S1B_S1C_jS1D_jS1E_S1E_jjS1G_bEUljE0_EEESZ_S10_S11_S18_S1C_S1E_T6_T7_T9_mT8_S1G_bDpT10_ENKUlT_T0_E_clISt17integral_constantIbLb1EES1T_IbLb0EEEEDaS1P_S1Q_EUlS1P_E_NS1_11comp_targetILNS1_3genE2ELNS1_11target_archE906ELNS1_3gpuE6ELNS1_3repE0EEENS1_30default_config_static_selectorELNS0_4arch9wavefront6targetE1EEEvS12_,"axG",@progbits,_ZN7rocprim17ROCPRIM_400000_NS6detail17trampoline_kernelINS0_13select_configILj256ELj13ELNS0_17block_load_methodE3ELS4_3ELS4_3ELNS0_20block_scan_algorithmE0ELj4294967295EEENS1_25partition_config_selectorILNS1_17partition_subalgoE4EjNS0_10empty_typeEbEEZZNS1_14partition_implILS8_4ELb0ES6_15HIP_vector_typeIjLj2EENS0_17counting_iteratorIjlEEPS9_SG_NS0_5tupleIJPjSI_NS0_16reverse_iteratorISI_EEEEENSH_IJSG_SG_SG_EEES9_SI_JZNS1_25segmented_radix_sort_implINS0_14default_configELb1EPKbPbPKlPlN2at6native12_GLOBAL__N_18offset_tEEE10hipError_tPvRmT1_PNSt15iterator_traitsIS12_E10value_typeET2_T3_PNS13_IS18_E10value_typeET4_jRbjT5_S1E_jjP12ihipStream_tbEUljE_ZNSN_ISO_Lb1ESQ_SR_ST_SU_SY_EESZ_S10_S11_S12_S16_S17_S18_S1B_S1C_jS1D_jS1E_S1E_jjS1G_bEUljE0_EEESZ_S10_S11_S18_S1C_S1E_T6_T7_T9_mT8_S1G_bDpT10_ENKUlT_T0_E_clISt17integral_constantIbLb1EES1T_IbLb0EEEEDaS1P_S1Q_EUlS1P_E_NS1_11comp_targetILNS1_3genE2ELNS1_11target_archE906ELNS1_3gpuE6ELNS1_3repE0EEENS1_30default_config_static_selectorELNS0_4arch9wavefront6targetE1EEEvS12_,comdat
	.globl	_ZN7rocprim17ROCPRIM_400000_NS6detail17trampoline_kernelINS0_13select_configILj256ELj13ELNS0_17block_load_methodE3ELS4_3ELS4_3ELNS0_20block_scan_algorithmE0ELj4294967295EEENS1_25partition_config_selectorILNS1_17partition_subalgoE4EjNS0_10empty_typeEbEEZZNS1_14partition_implILS8_4ELb0ES6_15HIP_vector_typeIjLj2EENS0_17counting_iteratorIjlEEPS9_SG_NS0_5tupleIJPjSI_NS0_16reverse_iteratorISI_EEEEENSH_IJSG_SG_SG_EEES9_SI_JZNS1_25segmented_radix_sort_implINS0_14default_configELb1EPKbPbPKlPlN2at6native12_GLOBAL__N_18offset_tEEE10hipError_tPvRmT1_PNSt15iterator_traitsIS12_E10value_typeET2_T3_PNS13_IS18_E10value_typeET4_jRbjT5_S1E_jjP12ihipStream_tbEUljE_ZNSN_ISO_Lb1ESQ_SR_ST_SU_SY_EESZ_S10_S11_S12_S16_S17_S18_S1B_S1C_jS1D_jS1E_S1E_jjS1G_bEUljE0_EEESZ_S10_S11_S18_S1C_S1E_T6_T7_T9_mT8_S1G_bDpT10_ENKUlT_T0_E_clISt17integral_constantIbLb1EES1T_IbLb0EEEEDaS1P_S1Q_EUlS1P_E_NS1_11comp_targetILNS1_3genE2ELNS1_11target_archE906ELNS1_3gpuE6ELNS1_3repE0EEENS1_30default_config_static_selectorELNS0_4arch9wavefront6targetE1EEEvS12_ ; -- Begin function _ZN7rocprim17ROCPRIM_400000_NS6detail17trampoline_kernelINS0_13select_configILj256ELj13ELNS0_17block_load_methodE3ELS4_3ELS4_3ELNS0_20block_scan_algorithmE0ELj4294967295EEENS1_25partition_config_selectorILNS1_17partition_subalgoE4EjNS0_10empty_typeEbEEZZNS1_14partition_implILS8_4ELb0ES6_15HIP_vector_typeIjLj2EENS0_17counting_iteratorIjlEEPS9_SG_NS0_5tupleIJPjSI_NS0_16reverse_iteratorISI_EEEEENSH_IJSG_SG_SG_EEES9_SI_JZNS1_25segmented_radix_sort_implINS0_14default_configELb1EPKbPbPKlPlN2at6native12_GLOBAL__N_18offset_tEEE10hipError_tPvRmT1_PNSt15iterator_traitsIS12_E10value_typeET2_T3_PNS13_IS18_E10value_typeET4_jRbjT5_S1E_jjP12ihipStream_tbEUljE_ZNSN_ISO_Lb1ESQ_SR_ST_SU_SY_EESZ_S10_S11_S12_S16_S17_S18_S1B_S1C_jS1D_jS1E_S1E_jjS1G_bEUljE0_EEESZ_S10_S11_S18_S1C_S1E_T6_T7_T9_mT8_S1G_bDpT10_ENKUlT_T0_E_clISt17integral_constantIbLb1EES1T_IbLb0EEEEDaS1P_S1Q_EUlS1P_E_NS1_11comp_targetILNS1_3genE2ELNS1_11target_archE906ELNS1_3gpuE6ELNS1_3repE0EEENS1_30default_config_static_selectorELNS0_4arch9wavefront6targetE1EEEvS12_
	.p2align	8
	.type	_ZN7rocprim17ROCPRIM_400000_NS6detail17trampoline_kernelINS0_13select_configILj256ELj13ELNS0_17block_load_methodE3ELS4_3ELS4_3ELNS0_20block_scan_algorithmE0ELj4294967295EEENS1_25partition_config_selectorILNS1_17partition_subalgoE4EjNS0_10empty_typeEbEEZZNS1_14partition_implILS8_4ELb0ES6_15HIP_vector_typeIjLj2EENS0_17counting_iteratorIjlEEPS9_SG_NS0_5tupleIJPjSI_NS0_16reverse_iteratorISI_EEEEENSH_IJSG_SG_SG_EEES9_SI_JZNS1_25segmented_radix_sort_implINS0_14default_configELb1EPKbPbPKlPlN2at6native12_GLOBAL__N_18offset_tEEE10hipError_tPvRmT1_PNSt15iterator_traitsIS12_E10value_typeET2_T3_PNS13_IS18_E10value_typeET4_jRbjT5_S1E_jjP12ihipStream_tbEUljE_ZNSN_ISO_Lb1ESQ_SR_ST_SU_SY_EESZ_S10_S11_S12_S16_S17_S18_S1B_S1C_jS1D_jS1E_S1E_jjS1G_bEUljE0_EEESZ_S10_S11_S18_S1C_S1E_T6_T7_T9_mT8_S1G_bDpT10_ENKUlT_T0_E_clISt17integral_constantIbLb1EES1T_IbLb0EEEEDaS1P_S1Q_EUlS1P_E_NS1_11comp_targetILNS1_3genE2ELNS1_11target_archE906ELNS1_3gpuE6ELNS1_3repE0EEENS1_30default_config_static_selectorELNS0_4arch9wavefront6targetE1EEEvS12_,@function
_ZN7rocprim17ROCPRIM_400000_NS6detail17trampoline_kernelINS0_13select_configILj256ELj13ELNS0_17block_load_methodE3ELS4_3ELS4_3ELNS0_20block_scan_algorithmE0ELj4294967295EEENS1_25partition_config_selectorILNS1_17partition_subalgoE4EjNS0_10empty_typeEbEEZZNS1_14partition_implILS8_4ELb0ES6_15HIP_vector_typeIjLj2EENS0_17counting_iteratorIjlEEPS9_SG_NS0_5tupleIJPjSI_NS0_16reverse_iteratorISI_EEEEENSH_IJSG_SG_SG_EEES9_SI_JZNS1_25segmented_radix_sort_implINS0_14default_configELb1EPKbPbPKlPlN2at6native12_GLOBAL__N_18offset_tEEE10hipError_tPvRmT1_PNSt15iterator_traitsIS12_E10value_typeET2_T3_PNS13_IS18_E10value_typeET4_jRbjT5_S1E_jjP12ihipStream_tbEUljE_ZNSN_ISO_Lb1ESQ_SR_ST_SU_SY_EESZ_S10_S11_S12_S16_S17_S18_S1B_S1C_jS1D_jS1E_S1E_jjS1G_bEUljE0_EEESZ_S10_S11_S18_S1C_S1E_T6_T7_T9_mT8_S1G_bDpT10_ENKUlT_T0_E_clISt17integral_constantIbLb1EES1T_IbLb0EEEEDaS1P_S1Q_EUlS1P_E_NS1_11comp_targetILNS1_3genE2ELNS1_11target_archE906ELNS1_3gpuE6ELNS1_3repE0EEENS1_30default_config_static_selectorELNS0_4arch9wavefront6targetE1EEEvS12_: ; @_ZN7rocprim17ROCPRIM_400000_NS6detail17trampoline_kernelINS0_13select_configILj256ELj13ELNS0_17block_load_methodE3ELS4_3ELS4_3ELNS0_20block_scan_algorithmE0ELj4294967295EEENS1_25partition_config_selectorILNS1_17partition_subalgoE4EjNS0_10empty_typeEbEEZZNS1_14partition_implILS8_4ELb0ES6_15HIP_vector_typeIjLj2EENS0_17counting_iteratorIjlEEPS9_SG_NS0_5tupleIJPjSI_NS0_16reverse_iteratorISI_EEEEENSH_IJSG_SG_SG_EEES9_SI_JZNS1_25segmented_radix_sort_implINS0_14default_configELb1EPKbPbPKlPlN2at6native12_GLOBAL__N_18offset_tEEE10hipError_tPvRmT1_PNSt15iterator_traitsIS12_E10value_typeET2_T3_PNS13_IS18_E10value_typeET4_jRbjT5_S1E_jjP12ihipStream_tbEUljE_ZNSN_ISO_Lb1ESQ_SR_ST_SU_SY_EESZ_S10_S11_S12_S16_S17_S18_S1B_S1C_jS1D_jS1E_S1E_jjS1G_bEUljE0_EEESZ_S10_S11_S18_S1C_S1E_T6_T7_T9_mT8_S1G_bDpT10_ENKUlT_T0_E_clISt17integral_constantIbLb1EES1T_IbLb0EEEEDaS1P_S1Q_EUlS1P_E_NS1_11comp_targetILNS1_3genE2ELNS1_11target_archE906ELNS1_3gpuE6ELNS1_3repE0EEENS1_30default_config_static_selectorELNS0_4arch9wavefront6targetE1EEEvS12_
; %bb.0:
	.section	.rodata,"a",@progbits
	.p2align	6, 0x0
	.amdhsa_kernel _ZN7rocprim17ROCPRIM_400000_NS6detail17trampoline_kernelINS0_13select_configILj256ELj13ELNS0_17block_load_methodE3ELS4_3ELS4_3ELNS0_20block_scan_algorithmE0ELj4294967295EEENS1_25partition_config_selectorILNS1_17partition_subalgoE4EjNS0_10empty_typeEbEEZZNS1_14partition_implILS8_4ELb0ES6_15HIP_vector_typeIjLj2EENS0_17counting_iteratorIjlEEPS9_SG_NS0_5tupleIJPjSI_NS0_16reverse_iteratorISI_EEEEENSH_IJSG_SG_SG_EEES9_SI_JZNS1_25segmented_radix_sort_implINS0_14default_configELb1EPKbPbPKlPlN2at6native12_GLOBAL__N_18offset_tEEE10hipError_tPvRmT1_PNSt15iterator_traitsIS12_E10value_typeET2_T3_PNS13_IS18_E10value_typeET4_jRbjT5_S1E_jjP12ihipStream_tbEUljE_ZNSN_ISO_Lb1ESQ_SR_ST_SU_SY_EESZ_S10_S11_S12_S16_S17_S18_S1B_S1C_jS1D_jS1E_S1E_jjS1G_bEUljE0_EEESZ_S10_S11_S18_S1C_S1E_T6_T7_T9_mT8_S1G_bDpT10_ENKUlT_T0_E_clISt17integral_constantIbLb1EES1T_IbLb0EEEEDaS1P_S1Q_EUlS1P_E_NS1_11comp_targetILNS1_3genE2ELNS1_11target_archE906ELNS1_3gpuE6ELNS1_3repE0EEENS1_30default_config_static_selectorELNS0_4arch9wavefront6targetE1EEEvS12_
		.amdhsa_group_segment_fixed_size 0
		.amdhsa_private_segment_fixed_size 0
		.amdhsa_kernarg_size 176
		.amdhsa_user_sgpr_count 6
		.amdhsa_user_sgpr_private_segment_buffer 1
		.amdhsa_user_sgpr_dispatch_ptr 0
		.amdhsa_user_sgpr_queue_ptr 0
		.amdhsa_user_sgpr_kernarg_segment_ptr 1
		.amdhsa_user_sgpr_dispatch_id 0
		.amdhsa_user_sgpr_flat_scratch_init 0
		.amdhsa_user_sgpr_kernarg_preload_length 0
		.amdhsa_user_sgpr_kernarg_preload_offset 0
		.amdhsa_user_sgpr_private_segment_size 0
		.amdhsa_uses_dynamic_stack 0
		.amdhsa_system_sgpr_private_segment_wavefront_offset 0
		.amdhsa_system_sgpr_workgroup_id_x 1
		.amdhsa_system_sgpr_workgroup_id_y 0
		.amdhsa_system_sgpr_workgroup_id_z 0
		.amdhsa_system_sgpr_workgroup_info 0
		.amdhsa_system_vgpr_workitem_id 0
		.amdhsa_next_free_vgpr 1
		.amdhsa_next_free_sgpr 0
		.amdhsa_accum_offset 4
		.amdhsa_reserve_vcc 0
		.amdhsa_reserve_flat_scratch 0
		.amdhsa_float_round_mode_32 0
		.amdhsa_float_round_mode_16_64 0
		.amdhsa_float_denorm_mode_32 3
		.amdhsa_float_denorm_mode_16_64 3
		.amdhsa_dx10_clamp 1
		.amdhsa_ieee_mode 1
		.amdhsa_fp16_overflow 0
		.amdhsa_tg_split 0
		.amdhsa_exception_fp_ieee_invalid_op 0
		.amdhsa_exception_fp_denorm_src 0
		.amdhsa_exception_fp_ieee_div_zero 0
		.amdhsa_exception_fp_ieee_overflow 0
		.amdhsa_exception_fp_ieee_underflow 0
		.amdhsa_exception_fp_ieee_inexact 0
		.amdhsa_exception_int_div_zero 0
	.end_amdhsa_kernel
	.section	.text._ZN7rocprim17ROCPRIM_400000_NS6detail17trampoline_kernelINS0_13select_configILj256ELj13ELNS0_17block_load_methodE3ELS4_3ELS4_3ELNS0_20block_scan_algorithmE0ELj4294967295EEENS1_25partition_config_selectorILNS1_17partition_subalgoE4EjNS0_10empty_typeEbEEZZNS1_14partition_implILS8_4ELb0ES6_15HIP_vector_typeIjLj2EENS0_17counting_iteratorIjlEEPS9_SG_NS0_5tupleIJPjSI_NS0_16reverse_iteratorISI_EEEEENSH_IJSG_SG_SG_EEES9_SI_JZNS1_25segmented_radix_sort_implINS0_14default_configELb1EPKbPbPKlPlN2at6native12_GLOBAL__N_18offset_tEEE10hipError_tPvRmT1_PNSt15iterator_traitsIS12_E10value_typeET2_T3_PNS13_IS18_E10value_typeET4_jRbjT5_S1E_jjP12ihipStream_tbEUljE_ZNSN_ISO_Lb1ESQ_SR_ST_SU_SY_EESZ_S10_S11_S12_S16_S17_S18_S1B_S1C_jS1D_jS1E_S1E_jjS1G_bEUljE0_EEESZ_S10_S11_S18_S1C_S1E_T6_T7_T9_mT8_S1G_bDpT10_ENKUlT_T0_E_clISt17integral_constantIbLb1EES1T_IbLb0EEEEDaS1P_S1Q_EUlS1P_E_NS1_11comp_targetILNS1_3genE2ELNS1_11target_archE906ELNS1_3gpuE6ELNS1_3repE0EEENS1_30default_config_static_selectorELNS0_4arch9wavefront6targetE1EEEvS12_,"axG",@progbits,_ZN7rocprim17ROCPRIM_400000_NS6detail17trampoline_kernelINS0_13select_configILj256ELj13ELNS0_17block_load_methodE3ELS4_3ELS4_3ELNS0_20block_scan_algorithmE0ELj4294967295EEENS1_25partition_config_selectorILNS1_17partition_subalgoE4EjNS0_10empty_typeEbEEZZNS1_14partition_implILS8_4ELb0ES6_15HIP_vector_typeIjLj2EENS0_17counting_iteratorIjlEEPS9_SG_NS0_5tupleIJPjSI_NS0_16reverse_iteratorISI_EEEEENSH_IJSG_SG_SG_EEES9_SI_JZNS1_25segmented_radix_sort_implINS0_14default_configELb1EPKbPbPKlPlN2at6native12_GLOBAL__N_18offset_tEEE10hipError_tPvRmT1_PNSt15iterator_traitsIS12_E10value_typeET2_T3_PNS13_IS18_E10value_typeET4_jRbjT5_S1E_jjP12ihipStream_tbEUljE_ZNSN_ISO_Lb1ESQ_SR_ST_SU_SY_EESZ_S10_S11_S12_S16_S17_S18_S1B_S1C_jS1D_jS1E_S1E_jjS1G_bEUljE0_EEESZ_S10_S11_S18_S1C_S1E_T6_T7_T9_mT8_S1G_bDpT10_ENKUlT_T0_E_clISt17integral_constantIbLb1EES1T_IbLb0EEEEDaS1P_S1Q_EUlS1P_E_NS1_11comp_targetILNS1_3genE2ELNS1_11target_archE906ELNS1_3gpuE6ELNS1_3repE0EEENS1_30default_config_static_selectorELNS0_4arch9wavefront6targetE1EEEvS12_,comdat
.Lfunc_end1486:
	.size	_ZN7rocprim17ROCPRIM_400000_NS6detail17trampoline_kernelINS0_13select_configILj256ELj13ELNS0_17block_load_methodE3ELS4_3ELS4_3ELNS0_20block_scan_algorithmE0ELj4294967295EEENS1_25partition_config_selectorILNS1_17partition_subalgoE4EjNS0_10empty_typeEbEEZZNS1_14partition_implILS8_4ELb0ES6_15HIP_vector_typeIjLj2EENS0_17counting_iteratorIjlEEPS9_SG_NS0_5tupleIJPjSI_NS0_16reverse_iteratorISI_EEEEENSH_IJSG_SG_SG_EEES9_SI_JZNS1_25segmented_radix_sort_implINS0_14default_configELb1EPKbPbPKlPlN2at6native12_GLOBAL__N_18offset_tEEE10hipError_tPvRmT1_PNSt15iterator_traitsIS12_E10value_typeET2_T3_PNS13_IS18_E10value_typeET4_jRbjT5_S1E_jjP12ihipStream_tbEUljE_ZNSN_ISO_Lb1ESQ_SR_ST_SU_SY_EESZ_S10_S11_S12_S16_S17_S18_S1B_S1C_jS1D_jS1E_S1E_jjS1G_bEUljE0_EEESZ_S10_S11_S18_S1C_S1E_T6_T7_T9_mT8_S1G_bDpT10_ENKUlT_T0_E_clISt17integral_constantIbLb1EES1T_IbLb0EEEEDaS1P_S1Q_EUlS1P_E_NS1_11comp_targetILNS1_3genE2ELNS1_11target_archE906ELNS1_3gpuE6ELNS1_3repE0EEENS1_30default_config_static_selectorELNS0_4arch9wavefront6targetE1EEEvS12_, .Lfunc_end1486-_ZN7rocprim17ROCPRIM_400000_NS6detail17trampoline_kernelINS0_13select_configILj256ELj13ELNS0_17block_load_methodE3ELS4_3ELS4_3ELNS0_20block_scan_algorithmE0ELj4294967295EEENS1_25partition_config_selectorILNS1_17partition_subalgoE4EjNS0_10empty_typeEbEEZZNS1_14partition_implILS8_4ELb0ES6_15HIP_vector_typeIjLj2EENS0_17counting_iteratorIjlEEPS9_SG_NS0_5tupleIJPjSI_NS0_16reverse_iteratorISI_EEEEENSH_IJSG_SG_SG_EEES9_SI_JZNS1_25segmented_radix_sort_implINS0_14default_configELb1EPKbPbPKlPlN2at6native12_GLOBAL__N_18offset_tEEE10hipError_tPvRmT1_PNSt15iterator_traitsIS12_E10value_typeET2_T3_PNS13_IS18_E10value_typeET4_jRbjT5_S1E_jjP12ihipStream_tbEUljE_ZNSN_ISO_Lb1ESQ_SR_ST_SU_SY_EESZ_S10_S11_S12_S16_S17_S18_S1B_S1C_jS1D_jS1E_S1E_jjS1G_bEUljE0_EEESZ_S10_S11_S18_S1C_S1E_T6_T7_T9_mT8_S1G_bDpT10_ENKUlT_T0_E_clISt17integral_constantIbLb1EES1T_IbLb0EEEEDaS1P_S1Q_EUlS1P_E_NS1_11comp_targetILNS1_3genE2ELNS1_11target_archE906ELNS1_3gpuE6ELNS1_3repE0EEENS1_30default_config_static_selectorELNS0_4arch9wavefront6targetE1EEEvS12_
                                        ; -- End function
	.section	.AMDGPU.csdata,"",@progbits
; Kernel info:
; codeLenInByte = 0
; NumSgprs: 4
; NumVgprs: 0
; NumAgprs: 0
; TotalNumVgprs: 0
; ScratchSize: 0
; MemoryBound: 0
; FloatMode: 240
; IeeeMode: 1
; LDSByteSize: 0 bytes/workgroup (compile time only)
; SGPRBlocks: 0
; VGPRBlocks: 0
; NumSGPRsForWavesPerEU: 4
; NumVGPRsForWavesPerEU: 1
; AccumOffset: 4
; Occupancy: 8
; WaveLimiterHint : 0
; COMPUTE_PGM_RSRC2:SCRATCH_EN: 0
; COMPUTE_PGM_RSRC2:USER_SGPR: 6
; COMPUTE_PGM_RSRC2:TRAP_HANDLER: 0
; COMPUTE_PGM_RSRC2:TGID_X_EN: 1
; COMPUTE_PGM_RSRC2:TGID_Y_EN: 0
; COMPUTE_PGM_RSRC2:TGID_Z_EN: 0
; COMPUTE_PGM_RSRC2:TIDIG_COMP_CNT: 0
; COMPUTE_PGM_RSRC3_GFX90A:ACCUM_OFFSET: 0
; COMPUTE_PGM_RSRC3_GFX90A:TG_SPLIT: 0
	.section	.text._ZN7rocprim17ROCPRIM_400000_NS6detail17trampoline_kernelINS0_13select_configILj256ELj13ELNS0_17block_load_methodE3ELS4_3ELS4_3ELNS0_20block_scan_algorithmE0ELj4294967295EEENS1_25partition_config_selectorILNS1_17partition_subalgoE4EjNS0_10empty_typeEbEEZZNS1_14partition_implILS8_4ELb0ES6_15HIP_vector_typeIjLj2EENS0_17counting_iteratorIjlEEPS9_SG_NS0_5tupleIJPjSI_NS0_16reverse_iteratorISI_EEEEENSH_IJSG_SG_SG_EEES9_SI_JZNS1_25segmented_radix_sort_implINS0_14default_configELb1EPKbPbPKlPlN2at6native12_GLOBAL__N_18offset_tEEE10hipError_tPvRmT1_PNSt15iterator_traitsIS12_E10value_typeET2_T3_PNS13_IS18_E10value_typeET4_jRbjT5_S1E_jjP12ihipStream_tbEUljE_ZNSN_ISO_Lb1ESQ_SR_ST_SU_SY_EESZ_S10_S11_S12_S16_S17_S18_S1B_S1C_jS1D_jS1E_S1E_jjS1G_bEUljE0_EEESZ_S10_S11_S18_S1C_S1E_T6_T7_T9_mT8_S1G_bDpT10_ENKUlT_T0_E_clISt17integral_constantIbLb1EES1T_IbLb0EEEEDaS1P_S1Q_EUlS1P_E_NS1_11comp_targetILNS1_3genE10ELNS1_11target_archE1200ELNS1_3gpuE4ELNS1_3repE0EEENS1_30default_config_static_selectorELNS0_4arch9wavefront6targetE1EEEvS12_,"axG",@progbits,_ZN7rocprim17ROCPRIM_400000_NS6detail17trampoline_kernelINS0_13select_configILj256ELj13ELNS0_17block_load_methodE3ELS4_3ELS4_3ELNS0_20block_scan_algorithmE0ELj4294967295EEENS1_25partition_config_selectorILNS1_17partition_subalgoE4EjNS0_10empty_typeEbEEZZNS1_14partition_implILS8_4ELb0ES6_15HIP_vector_typeIjLj2EENS0_17counting_iteratorIjlEEPS9_SG_NS0_5tupleIJPjSI_NS0_16reverse_iteratorISI_EEEEENSH_IJSG_SG_SG_EEES9_SI_JZNS1_25segmented_radix_sort_implINS0_14default_configELb1EPKbPbPKlPlN2at6native12_GLOBAL__N_18offset_tEEE10hipError_tPvRmT1_PNSt15iterator_traitsIS12_E10value_typeET2_T3_PNS13_IS18_E10value_typeET4_jRbjT5_S1E_jjP12ihipStream_tbEUljE_ZNSN_ISO_Lb1ESQ_SR_ST_SU_SY_EESZ_S10_S11_S12_S16_S17_S18_S1B_S1C_jS1D_jS1E_S1E_jjS1G_bEUljE0_EEESZ_S10_S11_S18_S1C_S1E_T6_T7_T9_mT8_S1G_bDpT10_ENKUlT_T0_E_clISt17integral_constantIbLb1EES1T_IbLb0EEEEDaS1P_S1Q_EUlS1P_E_NS1_11comp_targetILNS1_3genE10ELNS1_11target_archE1200ELNS1_3gpuE4ELNS1_3repE0EEENS1_30default_config_static_selectorELNS0_4arch9wavefront6targetE1EEEvS12_,comdat
	.globl	_ZN7rocprim17ROCPRIM_400000_NS6detail17trampoline_kernelINS0_13select_configILj256ELj13ELNS0_17block_load_methodE3ELS4_3ELS4_3ELNS0_20block_scan_algorithmE0ELj4294967295EEENS1_25partition_config_selectorILNS1_17partition_subalgoE4EjNS0_10empty_typeEbEEZZNS1_14partition_implILS8_4ELb0ES6_15HIP_vector_typeIjLj2EENS0_17counting_iteratorIjlEEPS9_SG_NS0_5tupleIJPjSI_NS0_16reverse_iteratorISI_EEEEENSH_IJSG_SG_SG_EEES9_SI_JZNS1_25segmented_radix_sort_implINS0_14default_configELb1EPKbPbPKlPlN2at6native12_GLOBAL__N_18offset_tEEE10hipError_tPvRmT1_PNSt15iterator_traitsIS12_E10value_typeET2_T3_PNS13_IS18_E10value_typeET4_jRbjT5_S1E_jjP12ihipStream_tbEUljE_ZNSN_ISO_Lb1ESQ_SR_ST_SU_SY_EESZ_S10_S11_S12_S16_S17_S18_S1B_S1C_jS1D_jS1E_S1E_jjS1G_bEUljE0_EEESZ_S10_S11_S18_S1C_S1E_T6_T7_T9_mT8_S1G_bDpT10_ENKUlT_T0_E_clISt17integral_constantIbLb1EES1T_IbLb0EEEEDaS1P_S1Q_EUlS1P_E_NS1_11comp_targetILNS1_3genE10ELNS1_11target_archE1200ELNS1_3gpuE4ELNS1_3repE0EEENS1_30default_config_static_selectorELNS0_4arch9wavefront6targetE1EEEvS12_ ; -- Begin function _ZN7rocprim17ROCPRIM_400000_NS6detail17trampoline_kernelINS0_13select_configILj256ELj13ELNS0_17block_load_methodE3ELS4_3ELS4_3ELNS0_20block_scan_algorithmE0ELj4294967295EEENS1_25partition_config_selectorILNS1_17partition_subalgoE4EjNS0_10empty_typeEbEEZZNS1_14partition_implILS8_4ELb0ES6_15HIP_vector_typeIjLj2EENS0_17counting_iteratorIjlEEPS9_SG_NS0_5tupleIJPjSI_NS0_16reverse_iteratorISI_EEEEENSH_IJSG_SG_SG_EEES9_SI_JZNS1_25segmented_radix_sort_implINS0_14default_configELb1EPKbPbPKlPlN2at6native12_GLOBAL__N_18offset_tEEE10hipError_tPvRmT1_PNSt15iterator_traitsIS12_E10value_typeET2_T3_PNS13_IS18_E10value_typeET4_jRbjT5_S1E_jjP12ihipStream_tbEUljE_ZNSN_ISO_Lb1ESQ_SR_ST_SU_SY_EESZ_S10_S11_S12_S16_S17_S18_S1B_S1C_jS1D_jS1E_S1E_jjS1G_bEUljE0_EEESZ_S10_S11_S18_S1C_S1E_T6_T7_T9_mT8_S1G_bDpT10_ENKUlT_T0_E_clISt17integral_constantIbLb1EES1T_IbLb0EEEEDaS1P_S1Q_EUlS1P_E_NS1_11comp_targetILNS1_3genE10ELNS1_11target_archE1200ELNS1_3gpuE4ELNS1_3repE0EEENS1_30default_config_static_selectorELNS0_4arch9wavefront6targetE1EEEvS12_
	.p2align	8
	.type	_ZN7rocprim17ROCPRIM_400000_NS6detail17trampoline_kernelINS0_13select_configILj256ELj13ELNS0_17block_load_methodE3ELS4_3ELS4_3ELNS0_20block_scan_algorithmE0ELj4294967295EEENS1_25partition_config_selectorILNS1_17partition_subalgoE4EjNS0_10empty_typeEbEEZZNS1_14partition_implILS8_4ELb0ES6_15HIP_vector_typeIjLj2EENS0_17counting_iteratorIjlEEPS9_SG_NS0_5tupleIJPjSI_NS0_16reverse_iteratorISI_EEEEENSH_IJSG_SG_SG_EEES9_SI_JZNS1_25segmented_radix_sort_implINS0_14default_configELb1EPKbPbPKlPlN2at6native12_GLOBAL__N_18offset_tEEE10hipError_tPvRmT1_PNSt15iterator_traitsIS12_E10value_typeET2_T3_PNS13_IS18_E10value_typeET4_jRbjT5_S1E_jjP12ihipStream_tbEUljE_ZNSN_ISO_Lb1ESQ_SR_ST_SU_SY_EESZ_S10_S11_S12_S16_S17_S18_S1B_S1C_jS1D_jS1E_S1E_jjS1G_bEUljE0_EEESZ_S10_S11_S18_S1C_S1E_T6_T7_T9_mT8_S1G_bDpT10_ENKUlT_T0_E_clISt17integral_constantIbLb1EES1T_IbLb0EEEEDaS1P_S1Q_EUlS1P_E_NS1_11comp_targetILNS1_3genE10ELNS1_11target_archE1200ELNS1_3gpuE4ELNS1_3repE0EEENS1_30default_config_static_selectorELNS0_4arch9wavefront6targetE1EEEvS12_,@function
_ZN7rocprim17ROCPRIM_400000_NS6detail17trampoline_kernelINS0_13select_configILj256ELj13ELNS0_17block_load_methodE3ELS4_3ELS4_3ELNS0_20block_scan_algorithmE0ELj4294967295EEENS1_25partition_config_selectorILNS1_17partition_subalgoE4EjNS0_10empty_typeEbEEZZNS1_14partition_implILS8_4ELb0ES6_15HIP_vector_typeIjLj2EENS0_17counting_iteratorIjlEEPS9_SG_NS0_5tupleIJPjSI_NS0_16reverse_iteratorISI_EEEEENSH_IJSG_SG_SG_EEES9_SI_JZNS1_25segmented_radix_sort_implINS0_14default_configELb1EPKbPbPKlPlN2at6native12_GLOBAL__N_18offset_tEEE10hipError_tPvRmT1_PNSt15iterator_traitsIS12_E10value_typeET2_T3_PNS13_IS18_E10value_typeET4_jRbjT5_S1E_jjP12ihipStream_tbEUljE_ZNSN_ISO_Lb1ESQ_SR_ST_SU_SY_EESZ_S10_S11_S12_S16_S17_S18_S1B_S1C_jS1D_jS1E_S1E_jjS1G_bEUljE0_EEESZ_S10_S11_S18_S1C_S1E_T6_T7_T9_mT8_S1G_bDpT10_ENKUlT_T0_E_clISt17integral_constantIbLb1EES1T_IbLb0EEEEDaS1P_S1Q_EUlS1P_E_NS1_11comp_targetILNS1_3genE10ELNS1_11target_archE1200ELNS1_3gpuE4ELNS1_3repE0EEENS1_30default_config_static_selectorELNS0_4arch9wavefront6targetE1EEEvS12_: ; @_ZN7rocprim17ROCPRIM_400000_NS6detail17trampoline_kernelINS0_13select_configILj256ELj13ELNS0_17block_load_methodE3ELS4_3ELS4_3ELNS0_20block_scan_algorithmE0ELj4294967295EEENS1_25partition_config_selectorILNS1_17partition_subalgoE4EjNS0_10empty_typeEbEEZZNS1_14partition_implILS8_4ELb0ES6_15HIP_vector_typeIjLj2EENS0_17counting_iteratorIjlEEPS9_SG_NS0_5tupleIJPjSI_NS0_16reverse_iteratorISI_EEEEENSH_IJSG_SG_SG_EEES9_SI_JZNS1_25segmented_radix_sort_implINS0_14default_configELb1EPKbPbPKlPlN2at6native12_GLOBAL__N_18offset_tEEE10hipError_tPvRmT1_PNSt15iterator_traitsIS12_E10value_typeET2_T3_PNS13_IS18_E10value_typeET4_jRbjT5_S1E_jjP12ihipStream_tbEUljE_ZNSN_ISO_Lb1ESQ_SR_ST_SU_SY_EESZ_S10_S11_S12_S16_S17_S18_S1B_S1C_jS1D_jS1E_S1E_jjS1G_bEUljE0_EEESZ_S10_S11_S18_S1C_S1E_T6_T7_T9_mT8_S1G_bDpT10_ENKUlT_T0_E_clISt17integral_constantIbLb1EES1T_IbLb0EEEEDaS1P_S1Q_EUlS1P_E_NS1_11comp_targetILNS1_3genE10ELNS1_11target_archE1200ELNS1_3gpuE4ELNS1_3repE0EEENS1_30default_config_static_selectorELNS0_4arch9wavefront6targetE1EEEvS12_
; %bb.0:
	.section	.rodata,"a",@progbits
	.p2align	6, 0x0
	.amdhsa_kernel _ZN7rocprim17ROCPRIM_400000_NS6detail17trampoline_kernelINS0_13select_configILj256ELj13ELNS0_17block_load_methodE3ELS4_3ELS4_3ELNS0_20block_scan_algorithmE0ELj4294967295EEENS1_25partition_config_selectorILNS1_17partition_subalgoE4EjNS0_10empty_typeEbEEZZNS1_14partition_implILS8_4ELb0ES6_15HIP_vector_typeIjLj2EENS0_17counting_iteratorIjlEEPS9_SG_NS0_5tupleIJPjSI_NS0_16reverse_iteratorISI_EEEEENSH_IJSG_SG_SG_EEES9_SI_JZNS1_25segmented_radix_sort_implINS0_14default_configELb1EPKbPbPKlPlN2at6native12_GLOBAL__N_18offset_tEEE10hipError_tPvRmT1_PNSt15iterator_traitsIS12_E10value_typeET2_T3_PNS13_IS18_E10value_typeET4_jRbjT5_S1E_jjP12ihipStream_tbEUljE_ZNSN_ISO_Lb1ESQ_SR_ST_SU_SY_EESZ_S10_S11_S12_S16_S17_S18_S1B_S1C_jS1D_jS1E_S1E_jjS1G_bEUljE0_EEESZ_S10_S11_S18_S1C_S1E_T6_T7_T9_mT8_S1G_bDpT10_ENKUlT_T0_E_clISt17integral_constantIbLb1EES1T_IbLb0EEEEDaS1P_S1Q_EUlS1P_E_NS1_11comp_targetILNS1_3genE10ELNS1_11target_archE1200ELNS1_3gpuE4ELNS1_3repE0EEENS1_30default_config_static_selectorELNS0_4arch9wavefront6targetE1EEEvS12_
		.amdhsa_group_segment_fixed_size 0
		.amdhsa_private_segment_fixed_size 0
		.amdhsa_kernarg_size 176
		.amdhsa_user_sgpr_count 6
		.amdhsa_user_sgpr_private_segment_buffer 1
		.amdhsa_user_sgpr_dispatch_ptr 0
		.amdhsa_user_sgpr_queue_ptr 0
		.amdhsa_user_sgpr_kernarg_segment_ptr 1
		.amdhsa_user_sgpr_dispatch_id 0
		.amdhsa_user_sgpr_flat_scratch_init 0
		.amdhsa_user_sgpr_kernarg_preload_length 0
		.amdhsa_user_sgpr_kernarg_preload_offset 0
		.amdhsa_user_sgpr_private_segment_size 0
		.amdhsa_uses_dynamic_stack 0
		.amdhsa_system_sgpr_private_segment_wavefront_offset 0
		.amdhsa_system_sgpr_workgroup_id_x 1
		.amdhsa_system_sgpr_workgroup_id_y 0
		.amdhsa_system_sgpr_workgroup_id_z 0
		.amdhsa_system_sgpr_workgroup_info 0
		.amdhsa_system_vgpr_workitem_id 0
		.amdhsa_next_free_vgpr 1
		.amdhsa_next_free_sgpr 0
		.amdhsa_accum_offset 4
		.amdhsa_reserve_vcc 0
		.amdhsa_reserve_flat_scratch 0
		.amdhsa_float_round_mode_32 0
		.amdhsa_float_round_mode_16_64 0
		.amdhsa_float_denorm_mode_32 3
		.amdhsa_float_denorm_mode_16_64 3
		.amdhsa_dx10_clamp 1
		.amdhsa_ieee_mode 1
		.amdhsa_fp16_overflow 0
		.amdhsa_tg_split 0
		.amdhsa_exception_fp_ieee_invalid_op 0
		.amdhsa_exception_fp_denorm_src 0
		.amdhsa_exception_fp_ieee_div_zero 0
		.amdhsa_exception_fp_ieee_overflow 0
		.amdhsa_exception_fp_ieee_underflow 0
		.amdhsa_exception_fp_ieee_inexact 0
		.amdhsa_exception_int_div_zero 0
	.end_amdhsa_kernel
	.section	.text._ZN7rocprim17ROCPRIM_400000_NS6detail17trampoline_kernelINS0_13select_configILj256ELj13ELNS0_17block_load_methodE3ELS4_3ELS4_3ELNS0_20block_scan_algorithmE0ELj4294967295EEENS1_25partition_config_selectorILNS1_17partition_subalgoE4EjNS0_10empty_typeEbEEZZNS1_14partition_implILS8_4ELb0ES6_15HIP_vector_typeIjLj2EENS0_17counting_iteratorIjlEEPS9_SG_NS0_5tupleIJPjSI_NS0_16reverse_iteratorISI_EEEEENSH_IJSG_SG_SG_EEES9_SI_JZNS1_25segmented_radix_sort_implINS0_14default_configELb1EPKbPbPKlPlN2at6native12_GLOBAL__N_18offset_tEEE10hipError_tPvRmT1_PNSt15iterator_traitsIS12_E10value_typeET2_T3_PNS13_IS18_E10value_typeET4_jRbjT5_S1E_jjP12ihipStream_tbEUljE_ZNSN_ISO_Lb1ESQ_SR_ST_SU_SY_EESZ_S10_S11_S12_S16_S17_S18_S1B_S1C_jS1D_jS1E_S1E_jjS1G_bEUljE0_EEESZ_S10_S11_S18_S1C_S1E_T6_T7_T9_mT8_S1G_bDpT10_ENKUlT_T0_E_clISt17integral_constantIbLb1EES1T_IbLb0EEEEDaS1P_S1Q_EUlS1P_E_NS1_11comp_targetILNS1_3genE10ELNS1_11target_archE1200ELNS1_3gpuE4ELNS1_3repE0EEENS1_30default_config_static_selectorELNS0_4arch9wavefront6targetE1EEEvS12_,"axG",@progbits,_ZN7rocprim17ROCPRIM_400000_NS6detail17trampoline_kernelINS0_13select_configILj256ELj13ELNS0_17block_load_methodE3ELS4_3ELS4_3ELNS0_20block_scan_algorithmE0ELj4294967295EEENS1_25partition_config_selectorILNS1_17partition_subalgoE4EjNS0_10empty_typeEbEEZZNS1_14partition_implILS8_4ELb0ES6_15HIP_vector_typeIjLj2EENS0_17counting_iteratorIjlEEPS9_SG_NS0_5tupleIJPjSI_NS0_16reverse_iteratorISI_EEEEENSH_IJSG_SG_SG_EEES9_SI_JZNS1_25segmented_radix_sort_implINS0_14default_configELb1EPKbPbPKlPlN2at6native12_GLOBAL__N_18offset_tEEE10hipError_tPvRmT1_PNSt15iterator_traitsIS12_E10value_typeET2_T3_PNS13_IS18_E10value_typeET4_jRbjT5_S1E_jjP12ihipStream_tbEUljE_ZNSN_ISO_Lb1ESQ_SR_ST_SU_SY_EESZ_S10_S11_S12_S16_S17_S18_S1B_S1C_jS1D_jS1E_S1E_jjS1G_bEUljE0_EEESZ_S10_S11_S18_S1C_S1E_T6_T7_T9_mT8_S1G_bDpT10_ENKUlT_T0_E_clISt17integral_constantIbLb1EES1T_IbLb0EEEEDaS1P_S1Q_EUlS1P_E_NS1_11comp_targetILNS1_3genE10ELNS1_11target_archE1200ELNS1_3gpuE4ELNS1_3repE0EEENS1_30default_config_static_selectorELNS0_4arch9wavefront6targetE1EEEvS12_,comdat
.Lfunc_end1487:
	.size	_ZN7rocprim17ROCPRIM_400000_NS6detail17trampoline_kernelINS0_13select_configILj256ELj13ELNS0_17block_load_methodE3ELS4_3ELS4_3ELNS0_20block_scan_algorithmE0ELj4294967295EEENS1_25partition_config_selectorILNS1_17partition_subalgoE4EjNS0_10empty_typeEbEEZZNS1_14partition_implILS8_4ELb0ES6_15HIP_vector_typeIjLj2EENS0_17counting_iteratorIjlEEPS9_SG_NS0_5tupleIJPjSI_NS0_16reverse_iteratorISI_EEEEENSH_IJSG_SG_SG_EEES9_SI_JZNS1_25segmented_radix_sort_implINS0_14default_configELb1EPKbPbPKlPlN2at6native12_GLOBAL__N_18offset_tEEE10hipError_tPvRmT1_PNSt15iterator_traitsIS12_E10value_typeET2_T3_PNS13_IS18_E10value_typeET4_jRbjT5_S1E_jjP12ihipStream_tbEUljE_ZNSN_ISO_Lb1ESQ_SR_ST_SU_SY_EESZ_S10_S11_S12_S16_S17_S18_S1B_S1C_jS1D_jS1E_S1E_jjS1G_bEUljE0_EEESZ_S10_S11_S18_S1C_S1E_T6_T7_T9_mT8_S1G_bDpT10_ENKUlT_T0_E_clISt17integral_constantIbLb1EES1T_IbLb0EEEEDaS1P_S1Q_EUlS1P_E_NS1_11comp_targetILNS1_3genE10ELNS1_11target_archE1200ELNS1_3gpuE4ELNS1_3repE0EEENS1_30default_config_static_selectorELNS0_4arch9wavefront6targetE1EEEvS12_, .Lfunc_end1487-_ZN7rocprim17ROCPRIM_400000_NS6detail17trampoline_kernelINS0_13select_configILj256ELj13ELNS0_17block_load_methodE3ELS4_3ELS4_3ELNS0_20block_scan_algorithmE0ELj4294967295EEENS1_25partition_config_selectorILNS1_17partition_subalgoE4EjNS0_10empty_typeEbEEZZNS1_14partition_implILS8_4ELb0ES6_15HIP_vector_typeIjLj2EENS0_17counting_iteratorIjlEEPS9_SG_NS0_5tupleIJPjSI_NS0_16reverse_iteratorISI_EEEEENSH_IJSG_SG_SG_EEES9_SI_JZNS1_25segmented_radix_sort_implINS0_14default_configELb1EPKbPbPKlPlN2at6native12_GLOBAL__N_18offset_tEEE10hipError_tPvRmT1_PNSt15iterator_traitsIS12_E10value_typeET2_T3_PNS13_IS18_E10value_typeET4_jRbjT5_S1E_jjP12ihipStream_tbEUljE_ZNSN_ISO_Lb1ESQ_SR_ST_SU_SY_EESZ_S10_S11_S12_S16_S17_S18_S1B_S1C_jS1D_jS1E_S1E_jjS1G_bEUljE0_EEESZ_S10_S11_S18_S1C_S1E_T6_T7_T9_mT8_S1G_bDpT10_ENKUlT_T0_E_clISt17integral_constantIbLb1EES1T_IbLb0EEEEDaS1P_S1Q_EUlS1P_E_NS1_11comp_targetILNS1_3genE10ELNS1_11target_archE1200ELNS1_3gpuE4ELNS1_3repE0EEENS1_30default_config_static_selectorELNS0_4arch9wavefront6targetE1EEEvS12_
                                        ; -- End function
	.section	.AMDGPU.csdata,"",@progbits
; Kernel info:
; codeLenInByte = 0
; NumSgprs: 4
; NumVgprs: 0
; NumAgprs: 0
; TotalNumVgprs: 0
; ScratchSize: 0
; MemoryBound: 0
; FloatMode: 240
; IeeeMode: 1
; LDSByteSize: 0 bytes/workgroup (compile time only)
; SGPRBlocks: 0
; VGPRBlocks: 0
; NumSGPRsForWavesPerEU: 4
; NumVGPRsForWavesPerEU: 1
; AccumOffset: 4
; Occupancy: 8
; WaveLimiterHint : 0
; COMPUTE_PGM_RSRC2:SCRATCH_EN: 0
; COMPUTE_PGM_RSRC2:USER_SGPR: 6
; COMPUTE_PGM_RSRC2:TRAP_HANDLER: 0
; COMPUTE_PGM_RSRC2:TGID_X_EN: 1
; COMPUTE_PGM_RSRC2:TGID_Y_EN: 0
; COMPUTE_PGM_RSRC2:TGID_Z_EN: 0
; COMPUTE_PGM_RSRC2:TIDIG_COMP_CNT: 0
; COMPUTE_PGM_RSRC3_GFX90A:ACCUM_OFFSET: 0
; COMPUTE_PGM_RSRC3_GFX90A:TG_SPLIT: 0
	.section	.text._ZN7rocprim17ROCPRIM_400000_NS6detail17trampoline_kernelINS0_13select_configILj256ELj13ELNS0_17block_load_methodE3ELS4_3ELS4_3ELNS0_20block_scan_algorithmE0ELj4294967295EEENS1_25partition_config_selectorILNS1_17partition_subalgoE4EjNS0_10empty_typeEbEEZZNS1_14partition_implILS8_4ELb0ES6_15HIP_vector_typeIjLj2EENS0_17counting_iteratorIjlEEPS9_SG_NS0_5tupleIJPjSI_NS0_16reverse_iteratorISI_EEEEENSH_IJSG_SG_SG_EEES9_SI_JZNS1_25segmented_radix_sort_implINS0_14default_configELb1EPKbPbPKlPlN2at6native12_GLOBAL__N_18offset_tEEE10hipError_tPvRmT1_PNSt15iterator_traitsIS12_E10value_typeET2_T3_PNS13_IS18_E10value_typeET4_jRbjT5_S1E_jjP12ihipStream_tbEUljE_ZNSN_ISO_Lb1ESQ_SR_ST_SU_SY_EESZ_S10_S11_S12_S16_S17_S18_S1B_S1C_jS1D_jS1E_S1E_jjS1G_bEUljE0_EEESZ_S10_S11_S18_S1C_S1E_T6_T7_T9_mT8_S1G_bDpT10_ENKUlT_T0_E_clISt17integral_constantIbLb1EES1T_IbLb0EEEEDaS1P_S1Q_EUlS1P_E_NS1_11comp_targetILNS1_3genE9ELNS1_11target_archE1100ELNS1_3gpuE3ELNS1_3repE0EEENS1_30default_config_static_selectorELNS0_4arch9wavefront6targetE1EEEvS12_,"axG",@progbits,_ZN7rocprim17ROCPRIM_400000_NS6detail17trampoline_kernelINS0_13select_configILj256ELj13ELNS0_17block_load_methodE3ELS4_3ELS4_3ELNS0_20block_scan_algorithmE0ELj4294967295EEENS1_25partition_config_selectorILNS1_17partition_subalgoE4EjNS0_10empty_typeEbEEZZNS1_14partition_implILS8_4ELb0ES6_15HIP_vector_typeIjLj2EENS0_17counting_iteratorIjlEEPS9_SG_NS0_5tupleIJPjSI_NS0_16reverse_iteratorISI_EEEEENSH_IJSG_SG_SG_EEES9_SI_JZNS1_25segmented_radix_sort_implINS0_14default_configELb1EPKbPbPKlPlN2at6native12_GLOBAL__N_18offset_tEEE10hipError_tPvRmT1_PNSt15iterator_traitsIS12_E10value_typeET2_T3_PNS13_IS18_E10value_typeET4_jRbjT5_S1E_jjP12ihipStream_tbEUljE_ZNSN_ISO_Lb1ESQ_SR_ST_SU_SY_EESZ_S10_S11_S12_S16_S17_S18_S1B_S1C_jS1D_jS1E_S1E_jjS1G_bEUljE0_EEESZ_S10_S11_S18_S1C_S1E_T6_T7_T9_mT8_S1G_bDpT10_ENKUlT_T0_E_clISt17integral_constantIbLb1EES1T_IbLb0EEEEDaS1P_S1Q_EUlS1P_E_NS1_11comp_targetILNS1_3genE9ELNS1_11target_archE1100ELNS1_3gpuE3ELNS1_3repE0EEENS1_30default_config_static_selectorELNS0_4arch9wavefront6targetE1EEEvS12_,comdat
	.globl	_ZN7rocprim17ROCPRIM_400000_NS6detail17trampoline_kernelINS0_13select_configILj256ELj13ELNS0_17block_load_methodE3ELS4_3ELS4_3ELNS0_20block_scan_algorithmE0ELj4294967295EEENS1_25partition_config_selectorILNS1_17partition_subalgoE4EjNS0_10empty_typeEbEEZZNS1_14partition_implILS8_4ELb0ES6_15HIP_vector_typeIjLj2EENS0_17counting_iteratorIjlEEPS9_SG_NS0_5tupleIJPjSI_NS0_16reverse_iteratorISI_EEEEENSH_IJSG_SG_SG_EEES9_SI_JZNS1_25segmented_radix_sort_implINS0_14default_configELb1EPKbPbPKlPlN2at6native12_GLOBAL__N_18offset_tEEE10hipError_tPvRmT1_PNSt15iterator_traitsIS12_E10value_typeET2_T3_PNS13_IS18_E10value_typeET4_jRbjT5_S1E_jjP12ihipStream_tbEUljE_ZNSN_ISO_Lb1ESQ_SR_ST_SU_SY_EESZ_S10_S11_S12_S16_S17_S18_S1B_S1C_jS1D_jS1E_S1E_jjS1G_bEUljE0_EEESZ_S10_S11_S18_S1C_S1E_T6_T7_T9_mT8_S1G_bDpT10_ENKUlT_T0_E_clISt17integral_constantIbLb1EES1T_IbLb0EEEEDaS1P_S1Q_EUlS1P_E_NS1_11comp_targetILNS1_3genE9ELNS1_11target_archE1100ELNS1_3gpuE3ELNS1_3repE0EEENS1_30default_config_static_selectorELNS0_4arch9wavefront6targetE1EEEvS12_ ; -- Begin function _ZN7rocprim17ROCPRIM_400000_NS6detail17trampoline_kernelINS0_13select_configILj256ELj13ELNS0_17block_load_methodE3ELS4_3ELS4_3ELNS0_20block_scan_algorithmE0ELj4294967295EEENS1_25partition_config_selectorILNS1_17partition_subalgoE4EjNS0_10empty_typeEbEEZZNS1_14partition_implILS8_4ELb0ES6_15HIP_vector_typeIjLj2EENS0_17counting_iteratorIjlEEPS9_SG_NS0_5tupleIJPjSI_NS0_16reverse_iteratorISI_EEEEENSH_IJSG_SG_SG_EEES9_SI_JZNS1_25segmented_radix_sort_implINS0_14default_configELb1EPKbPbPKlPlN2at6native12_GLOBAL__N_18offset_tEEE10hipError_tPvRmT1_PNSt15iterator_traitsIS12_E10value_typeET2_T3_PNS13_IS18_E10value_typeET4_jRbjT5_S1E_jjP12ihipStream_tbEUljE_ZNSN_ISO_Lb1ESQ_SR_ST_SU_SY_EESZ_S10_S11_S12_S16_S17_S18_S1B_S1C_jS1D_jS1E_S1E_jjS1G_bEUljE0_EEESZ_S10_S11_S18_S1C_S1E_T6_T7_T9_mT8_S1G_bDpT10_ENKUlT_T0_E_clISt17integral_constantIbLb1EES1T_IbLb0EEEEDaS1P_S1Q_EUlS1P_E_NS1_11comp_targetILNS1_3genE9ELNS1_11target_archE1100ELNS1_3gpuE3ELNS1_3repE0EEENS1_30default_config_static_selectorELNS0_4arch9wavefront6targetE1EEEvS12_
	.p2align	8
	.type	_ZN7rocprim17ROCPRIM_400000_NS6detail17trampoline_kernelINS0_13select_configILj256ELj13ELNS0_17block_load_methodE3ELS4_3ELS4_3ELNS0_20block_scan_algorithmE0ELj4294967295EEENS1_25partition_config_selectorILNS1_17partition_subalgoE4EjNS0_10empty_typeEbEEZZNS1_14partition_implILS8_4ELb0ES6_15HIP_vector_typeIjLj2EENS0_17counting_iteratorIjlEEPS9_SG_NS0_5tupleIJPjSI_NS0_16reverse_iteratorISI_EEEEENSH_IJSG_SG_SG_EEES9_SI_JZNS1_25segmented_radix_sort_implINS0_14default_configELb1EPKbPbPKlPlN2at6native12_GLOBAL__N_18offset_tEEE10hipError_tPvRmT1_PNSt15iterator_traitsIS12_E10value_typeET2_T3_PNS13_IS18_E10value_typeET4_jRbjT5_S1E_jjP12ihipStream_tbEUljE_ZNSN_ISO_Lb1ESQ_SR_ST_SU_SY_EESZ_S10_S11_S12_S16_S17_S18_S1B_S1C_jS1D_jS1E_S1E_jjS1G_bEUljE0_EEESZ_S10_S11_S18_S1C_S1E_T6_T7_T9_mT8_S1G_bDpT10_ENKUlT_T0_E_clISt17integral_constantIbLb1EES1T_IbLb0EEEEDaS1P_S1Q_EUlS1P_E_NS1_11comp_targetILNS1_3genE9ELNS1_11target_archE1100ELNS1_3gpuE3ELNS1_3repE0EEENS1_30default_config_static_selectorELNS0_4arch9wavefront6targetE1EEEvS12_,@function
_ZN7rocprim17ROCPRIM_400000_NS6detail17trampoline_kernelINS0_13select_configILj256ELj13ELNS0_17block_load_methodE3ELS4_3ELS4_3ELNS0_20block_scan_algorithmE0ELj4294967295EEENS1_25partition_config_selectorILNS1_17partition_subalgoE4EjNS0_10empty_typeEbEEZZNS1_14partition_implILS8_4ELb0ES6_15HIP_vector_typeIjLj2EENS0_17counting_iteratorIjlEEPS9_SG_NS0_5tupleIJPjSI_NS0_16reverse_iteratorISI_EEEEENSH_IJSG_SG_SG_EEES9_SI_JZNS1_25segmented_radix_sort_implINS0_14default_configELb1EPKbPbPKlPlN2at6native12_GLOBAL__N_18offset_tEEE10hipError_tPvRmT1_PNSt15iterator_traitsIS12_E10value_typeET2_T3_PNS13_IS18_E10value_typeET4_jRbjT5_S1E_jjP12ihipStream_tbEUljE_ZNSN_ISO_Lb1ESQ_SR_ST_SU_SY_EESZ_S10_S11_S12_S16_S17_S18_S1B_S1C_jS1D_jS1E_S1E_jjS1G_bEUljE0_EEESZ_S10_S11_S18_S1C_S1E_T6_T7_T9_mT8_S1G_bDpT10_ENKUlT_T0_E_clISt17integral_constantIbLb1EES1T_IbLb0EEEEDaS1P_S1Q_EUlS1P_E_NS1_11comp_targetILNS1_3genE9ELNS1_11target_archE1100ELNS1_3gpuE3ELNS1_3repE0EEENS1_30default_config_static_selectorELNS0_4arch9wavefront6targetE1EEEvS12_: ; @_ZN7rocprim17ROCPRIM_400000_NS6detail17trampoline_kernelINS0_13select_configILj256ELj13ELNS0_17block_load_methodE3ELS4_3ELS4_3ELNS0_20block_scan_algorithmE0ELj4294967295EEENS1_25partition_config_selectorILNS1_17partition_subalgoE4EjNS0_10empty_typeEbEEZZNS1_14partition_implILS8_4ELb0ES6_15HIP_vector_typeIjLj2EENS0_17counting_iteratorIjlEEPS9_SG_NS0_5tupleIJPjSI_NS0_16reverse_iteratorISI_EEEEENSH_IJSG_SG_SG_EEES9_SI_JZNS1_25segmented_radix_sort_implINS0_14default_configELb1EPKbPbPKlPlN2at6native12_GLOBAL__N_18offset_tEEE10hipError_tPvRmT1_PNSt15iterator_traitsIS12_E10value_typeET2_T3_PNS13_IS18_E10value_typeET4_jRbjT5_S1E_jjP12ihipStream_tbEUljE_ZNSN_ISO_Lb1ESQ_SR_ST_SU_SY_EESZ_S10_S11_S12_S16_S17_S18_S1B_S1C_jS1D_jS1E_S1E_jjS1G_bEUljE0_EEESZ_S10_S11_S18_S1C_S1E_T6_T7_T9_mT8_S1G_bDpT10_ENKUlT_T0_E_clISt17integral_constantIbLb1EES1T_IbLb0EEEEDaS1P_S1Q_EUlS1P_E_NS1_11comp_targetILNS1_3genE9ELNS1_11target_archE1100ELNS1_3gpuE3ELNS1_3repE0EEENS1_30default_config_static_selectorELNS0_4arch9wavefront6targetE1EEEvS12_
; %bb.0:
	.section	.rodata,"a",@progbits
	.p2align	6, 0x0
	.amdhsa_kernel _ZN7rocprim17ROCPRIM_400000_NS6detail17trampoline_kernelINS0_13select_configILj256ELj13ELNS0_17block_load_methodE3ELS4_3ELS4_3ELNS0_20block_scan_algorithmE0ELj4294967295EEENS1_25partition_config_selectorILNS1_17partition_subalgoE4EjNS0_10empty_typeEbEEZZNS1_14partition_implILS8_4ELb0ES6_15HIP_vector_typeIjLj2EENS0_17counting_iteratorIjlEEPS9_SG_NS0_5tupleIJPjSI_NS0_16reverse_iteratorISI_EEEEENSH_IJSG_SG_SG_EEES9_SI_JZNS1_25segmented_radix_sort_implINS0_14default_configELb1EPKbPbPKlPlN2at6native12_GLOBAL__N_18offset_tEEE10hipError_tPvRmT1_PNSt15iterator_traitsIS12_E10value_typeET2_T3_PNS13_IS18_E10value_typeET4_jRbjT5_S1E_jjP12ihipStream_tbEUljE_ZNSN_ISO_Lb1ESQ_SR_ST_SU_SY_EESZ_S10_S11_S12_S16_S17_S18_S1B_S1C_jS1D_jS1E_S1E_jjS1G_bEUljE0_EEESZ_S10_S11_S18_S1C_S1E_T6_T7_T9_mT8_S1G_bDpT10_ENKUlT_T0_E_clISt17integral_constantIbLb1EES1T_IbLb0EEEEDaS1P_S1Q_EUlS1P_E_NS1_11comp_targetILNS1_3genE9ELNS1_11target_archE1100ELNS1_3gpuE3ELNS1_3repE0EEENS1_30default_config_static_selectorELNS0_4arch9wavefront6targetE1EEEvS12_
		.amdhsa_group_segment_fixed_size 0
		.amdhsa_private_segment_fixed_size 0
		.amdhsa_kernarg_size 176
		.amdhsa_user_sgpr_count 6
		.amdhsa_user_sgpr_private_segment_buffer 1
		.amdhsa_user_sgpr_dispatch_ptr 0
		.amdhsa_user_sgpr_queue_ptr 0
		.amdhsa_user_sgpr_kernarg_segment_ptr 1
		.amdhsa_user_sgpr_dispatch_id 0
		.amdhsa_user_sgpr_flat_scratch_init 0
		.amdhsa_user_sgpr_kernarg_preload_length 0
		.amdhsa_user_sgpr_kernarg_preload_offset 0
		.amdhsa_user_sgpr_private_segment_size 0
		.amdhsa_uses_dynamic_stack 0
		.amdhsa_system_sgpr_private_segment_wavefront_offset 0
		.amdhsa_system_sgpr_workgroup_id_x 1
		.amdhsa_system_sgpr_workgroup_id_y 0
		.amdhsa_system_sgpr_workgroup_id_z 0
		.amdhsa_system_sgpr_workgroup_info 0
		.amdhsa_system_vgpr_workitem_id 0
		.amdhsa_next_free_vgpr 1
		.amdhsa_next_free_sgpr 0
		.amdhsa_accum_offset 4
		.amdhsa_reserve_vcc 0
		.amdhsa_reserve_flat_scratch 0
		.amdhsa_float_round_mode_32 0
		.amdhsa_float_round_mode_16_64 0
		.amdhsa_float_denorm_mode_32 3
		.amdhsa_float_denorm_mode_16_64 3
		.amdhsa_dx10_clamp 1
		.amdhsa_ieee_mode 1
		.amdhsa_fp16_overflow 0
		.amdhsa_tg_split 0
		.amdhsa_exception_fp_ieee_invalid_op 0
		.amdhsa_exception_fp_denorm_src 0
		.amdhsa_exception_fp_ieee_div_zero 0
		.amdhsa_exception_fp_ieee_overflow 0
		.amdhsa_exception_fp_ieee_underflow 0
		.amdhsa_exception_fp_ieee_inexact 0
		.amdhsa_exception_int_div_zero 0
	.end_amdhsa_kernel
	.section	.text._ZN7rocprim17ROCPRIM_400000_NS6detail17trampoline_kernelINS0_13select_configILj256ELj13ELNS0_17block_load_methodE3ELS4_3ELS4_3ELNS0_20block_scan_algorithmE0ELj4294967295EEENS1_25partition_config_selectorILNS1_17partition_subalgoE4EjNS0_10empty_typeEbEEZZNS1_14partition_implILS8_4ELb0ES6_15HIP_vector_typeIjLj2EENS0_17counting_iteratorIjlEEPS9_SG_NS0_5tupleIJPjSI_NS0_16reverse_iteratorISI_EEEEENSH_IJSG_SG_SG_EEES9_SI_JZNS1_25segmented_radix_sort_implINS0_14default_configELb1EPKbPbPKlPlN2at6native12_GLOBAL__N_18offset_tEEE10hipError_tPvRmT1_PNSt15iterator_traitsIS12_E10value_typeET2_T3_PNS13_IS18_E10value_typeET4_jRbjT5_S1E_jjP12ihipStream_tbEUljE_ZNSN_ISO_Lb1ESQ_SR_ST_SU_SY_EESZ_S10_S11_S12_S16_S17_S18_S1B_S1C_jS1D_jS1E_S1E_jjS1G_bEUljE0_EEESZ_S10_S11_S18_S1C_S1E_T6_T7_T9_mT8_S1G_bDpT10_ENKUlT_T0_E_clISt17integral_constantIbLb1EES1T_IbLb0EEEEDaS1P_S1Q_EUlS1P_E_NS1_11comp_targetILNS1_3genE9ELNS1_11target_archE1100ELNS1_3gpuE3ELNS1_3repE0EEENS1_30default_config_static_selectorELNS0_4arch9wavefront6targetE1EEEvS12_,"axG",@progbits,_ZN7rocprim17ROCPRIM_400000_NS6detail17trampoline_kernelINS0_13select_configILj256ELj13ELNS0_17block_load_methodE3ELS4_3ELS4_3ELNS0_20block_scan_algorithmE0ELj4294967295EEENS1_25partition_config_selectorILNS1_17partition_subalgoE4EjNS0_10empty_typeEbEEZZNS1_14partition_implILS8_4ELb0ES6_15HIP_vector_typeIjLj2EENS0_17counting_iteratorIjlEEPS9_SG_NS0_5tupleIJPjSI_NS0_16reverse_iteratorISI_EEEEENSH_IJSG_SG_SG_EEES9_SI_JZNS1_25segmented_radix_sort_implINS0_14default_configELb1EPKbPbPKlPlN2at6native12_GLOBAL__N_18offset_tEEE10hipError_tPvRmT1_PNSt15iterator_traitsIS12_E10value_typeET2_T3_PNS13_IS18_E10value_typeET4_jRbjT5_S1E_jjP12ihipStream_tbEUljE_ZNSN_ISO_Lb1ESQ_SR_ST_SU_SY_EESZ_S10_S11_S12_S16_S17_S18_S1B_S1C_jS1D_jS1E_S1E_jjS1G_bEUljE0_EEESZ_S10_S11_S18_S1C_S1E_T6_T7_T9_mT8_S1G_bDpT10_ENKUlT_T0_E_clISt17integral_constantIbLb1EES1T_IbLb0EEEEDaS1P_S1Q_EUlS1P_E_NS1_11comp_targetILNS1_3genE9ELNS1_11target_archE1100ELNS1_3gpuE3ELNS1_3repE0EEENS1_30default_config_static_selectorELNS0_4arch9wavefront6targetE1EEEvS12_,comdat
.Lfunc_end1488:
	.size	_ZN7rocprim17ROCPRIM_400000_NS6detail17trampoline_kernelINS0_13select_configILj256ELj13ELNS0_17block_load_methodE3ELS4_3ELS4_3ELNS0_20block_scan_algorithmE0ELj4294967295EEENS1_25partition_config_selectorILNS1_17partition_subalgoE4EjNS0_10empty_typeEbEEZZNS1_14partition_implILS8_4ELb0ES6_15HIP_vector_typeIjLj2EENS0_17counting_iteratorIjlEEPS9_SG_NS0_5tupleIJPjSI_NS0_16reverse_iteratorISI_EEEEENSH_IJSG_SG_SG_EEES9_SI_JZNS1_25segmented_radix_sort_implINS0_14default_configELb1EPKbPbPKlPlN2at6native12_GLOBAL__N_18offset_tEEE10hipError_tPvRmT1_PNSt15iterator_traitsIS12_E10value_typeET2_T3_PNS13_IS18_E10value_typeET4_jRbjT5_S1E_jjP12ihipStream_tbEUljE_ZNSN_ISO_Lb1ESQ_SR_ST_SU_SY_EESZ_S10_S11_S12_S16_S17_S18_S1B_S1C_jS1D_jS1E_S1E_jjS1G_bEUljE0_EEESZ_S10_S11_S18_S1C_S1E_T6_T7_T9_mT8_S1G_bDpT10_ENKUlT_T0_E_clISt17integral_constantIbLb1EES1T_IbLb0EEEEDaS1P_S1Q_EUlS1P_E_NS1_11comp_targetILNS1_3genE9ELNS1_11target_archE1100ELNS1_3gpuE3ELNS1_3repE0EEENS1_30default_config_static_selectorELNS0_4arch9wavefront6targetE1EEEvS12_, .Lfunc_end1488-_ZN7rocprim17ROCPRIM_400000_NS6detail17trampoline_kernelINS0_13select_configILj256ELj13ELNS0_17block_load_methodE3ELS4_3ELS4_3ELNS0_20block_scan_algorithmE0ELj4294967295EEENS1_25partition_config_selectorILNS1_17partition_subalgoE4EjNS0_10empty_typeEbEEZZNS1_14partition_implILS8_4ELb0ES6_15HIP_vector_typeIjLj2EENS0_17counting_iteratorIjlEEPS9_SG_NS0_5tupleIJPjSI_NS0_16reverse_iteratorISI_EEEEENSH_IJSG_SG_SG_EEES9_SI_JZNS1_25segmented_radix_sort_implINS0_14default_configELb1EPKbPbPKlPlN2at6native12_GLOBAL__N_18offset_tEEE10hipError_tPvRmT1_PNSt15iterator_traitsIS12_E10value_typeET2_T3_PNS13_IS18_E10value_typeET4_jRbjT5_S1E_jjP12ihipStream_tbEUljE_ZNSN_ISO_Lb1ESQ_SR_ST_SU_SY_EESZ_S10_S11_S12_S16_S17_S18_S1B_S1C_jS1D_jS1E_S1E_jjS1G_bEUljE0_EEESZ_S10_S11_S18_S1C_S1E_T6_T7_T9_mT8_S1G_bDpT10_ENKUlT_T0_E_clISt17integral_constantIbLb1EES1T_IbLb0EEEEDaS1P_S1Q_EUlS1P_E_NS1_11comp_targetILNS1_3genE9ELNS1_11target_archE1100ELNS1_3gpuE3ELNS1_3repE0EEENS1_30default_config_static_selectorELNS0_4arch9wavefront6targetE1EEEvS12_
                                        ; -- End function
	.section	.AMDGPU.csdata,"",@progbits
; Kernel info:
; codeLenInByte = 0
; NumSgprs: 4
; NumVgprs: 0
; NumAgprs: 0
; TotalNumVgprs: 0
; ScratchSize: 0
; MemoryBound: 0
; FloatMode: 240
; IeeeMode: 1
; LDSByteSize: 0 bytes/workgroup (compile time only)
; SGPRBlocks: 0
; VGPRBlocks: 0
; NumSGPRsForWavesPerEU: 4
; NumVGPRsForWavesPerEU: 1
; AccumOffset: 4
; Occupancy: 8
; WaveLimiterHint : 0
; COMPUTE_PGM_RSRC2:SCRATCH_EN: 0
; COMPUTE_PGM_RSRC2:USER_SGPR: 6
; COMPUTE_PGM_RSRC2:TRAP_HANDLER: 0
; COMPUTE_PGM_RSRC2:TGID_X_EN: 1
; COMPUTE_PGM_RSRC2:TGID_Y_EN: 0
; COMPUTE_PGM_RSRC2:TGID_Z_EN: 0
; COMPUTE_PGM_RSRC2:TIDIG_COMP_CNT: 0
; COMPUTE_PGM_RSRC3_GFX90A:ACCUM_OFFSET: 0
; COMPUTE_PGM_RSRC3_GFX90A:TG_SPLIT: 0
	.section	.text._ZN7rocprim17ROCPRIM_400000_NS6detail17trampoline_kernelINS0_13select_configILj256ELj13ELNS0_17block_load_methodE3ELS4_3ELS4_3ELNS0_20block_scan_algorithmE0ELj4294967295EEENS1_25partition_config_selectorILNS1_17partition_subalgoE4EjNS0_10empty_typeEbEEZZNS1_14partition_implILS8_4ELb0ES6_15HIP_vector_typeIjLj2EENS0_17counting_iteratorIjlEEPS9_SG_NS0_5tupleIJPjSI_NS0_16reverse_iteratorISI_EEEEENSH_IJSG_SG_SG_EEES9_SI_JZNS1_25segmented_radix_sort_implINS0_14default_configELb1EPKbPbPKlPlN2at6native12_GLOBAL__N_18offset_tEEE10hipError_tPvRmT1_PNSt15iterator_traitsIS12_E10value_typeET2_T3_PNS13_IS18_E10value_typeET4_jRbjT5_S1E_jjP12ihipStream_tbEUljE_ZNSN_ISO_Lb1ESQ_SR_ST_SU_SY_EESZ_S10_S11_S12_S16_S17_S18_S1B_S1C_jS1D_jS1E_S1E_jjS1G_bEUljE0_EEESZ_S10_S11_S18_S1C_S1E_T6_T7_T9_mT8_S1G_bDpT10_ENKUlT_T0_E_clISt17integral_constantIbLb1EES1T_IbLb0EEEEDaS1P_S1Q_EUlS1P_E_NS1_11comp_targetILNS1_3genE8ELNS1_11target_archE1030ELNS1_3gpuE2ELNS1_3repE0EEENS1_30default_config_static_selectorELNS0_4arch9wavefront6targetE1EEEvS12_,"axG",@progbits,_ZN7rocprim17ROCPRIM_400000_NS6detail17trampoline_kernelINS0_13select_configILj256ELj13ELNS0_17block_load_methodE3ELS4_3ELS4_3ELNS0_20block_scan_algorithmE0ELj4294967295EEENS1_25partition_config_selectorILNS1_17partition_subalgoE4EjNS0_10empty_typeEbEEZZNS1_14partition_implILS8_4ELb0ES6_15HIP_vector_typeIjLj2EENS0_17counting_iteratorIjlEEPS9_SG_NS0_5tupleIJPjSI_NS0_16reverse_iteratorISI_EEEEENSH_IJSG_SG_SG_EEES9_SI_JZNS1_25segmented_radix_sort_implINS0_14default_configELb1EPKbPbPKlPlN2at6native12_GLOBAL__N_18offset_tEEE10hipError_tPvRmT1_PNSt15iterator_traitsIS12_E10value_typeET2_T3_PNS13_IS18_E10value_typeET4_jRbjT5_S1E_jjP12ihipStream_tbEUljE_ZNSN_ISO_Lb1ESQ_SR_ST_SU_SY_EESZ_S10_S11_S12_S16_S17_S18_S1B_S1C_jS1D_jS1E_S1E_jjS1G_bEUljE0_EEESZ_S10_S11_S18_S1C_S1E_T6_T7_T9_mT8_S1G_bDpT10_ENKUlT_T0_E_clISt17integral_constantIbLb1EES1T_IbLb0EEEEDaS1P_S1Q_EUlS1P_E_NS1_11comp_targetILNS1_3genE8ELNS1_11target_archE1030ELNS1_3gpuE2ELNS1_3repE0EEENS1_30default_config_static_selectorELNS0_4arch9wavefront6targetE1EEEvS12_,comdat
	.globl	_ZN7rocprim17ROCPRIM_400000_NS6detail17trampoline_kernelINS0_13select_configILj256ELj13ELNS0_17block_load_methodE3ELS4_3ELS4_3ELNS0_20block_scan_algorithmE0ELj4294967295EEENS1_25partition_config_selectorILNS1_17partition_subalgoE4EjNS0_10empty_typeEbEEZZNS1_14partition_implILS8_4ELb0ES6_15HIP_vector_typeIjLj2EENS0_17counting_iteratorIjlEEPS9_SG_NS0_5tupleIJPjSI_NS0_16reverse_iteratorISI_EEEEENSH_IJSG_SG_SG_EEES9_SI_JZNS1_25segmented_radix_sort_implINS0_14default_configELb1EPKbPbPKlPlN2at6native12_GLOBAL__N_18offset_tEEE10hipError_tPvRmT1_PNSt15iterator_traitsIS12_E10value_typeET2_T3_PNS13_IS18_E10value_typeET4_jRbjT5_S1E_jjP12ihipStream_tbEUljE_ZNSN_ISO_Lb1ESQ_SR_ST_SU_SY_EESZ_S10_S11_S12_S16_S17_S18_S1B_S1C_jS1D_jS1E_S1E_jjS1G_bEUljE0_EEESZ_S10_S11_S18_S1C_S1E_T6_T7_T9_mT8_S1G_bDpT10_ENKUlT_T0_E_clISt17integral_constantIbLb1EES1T_IbLb0EEEEDaS1P_S1Q_EUlS1P_E_NS1_11comp_targetILNS1_3genE8ELNS1_11target_archE1030ELNS1_3gpuE2ELNS1_3repE0EEENS1_30default_config_static_selectorELNS0_4arch9wavefront6targetE1EEEvS12_ ; -- Begin function _ZN7rocprim17ROCPRIM_400000_NS6detail17trampoline_kernelINS0_13select_configILj256ELj13ELNS0_17block_load_methodE3ELS4_3ELS4_3ELNS0_20block_scan_algorithmE0ELj4294967295EEENS1_25partition_config_selectorILNS1_17partition_subalgoE4EjNS0_10empty_typeEbEEZZNS1_14partition_implILS8_4ELb0ES6_15HIP_vector_typeIjLj2EENS0_17counting_iteratorIjlEEPS9_SG_NS0_5tupleIJPjSI_NS0_16reverse_iteratorISI_EEEEENSH_IJSG_SG_SG_EEES9_SI_JZNS1_25segmented_radix_sort_implINS0_14default_configELb1EPKbPbPKlPlN2at6native12_GLOBAL__N_18offset_tEEE10hipError_tPvRmT1_PNSt15iterator_traitsIS12_E10value_typeET2_T3_PNS13_IS18_E10value_typeET4_jRbjT5_S1E_jjP12ihipStream_tbEUljE_ZNSN_ISO_Lb1ESQ_SR_ST_SU_SY_EESZ_S10_S11_S12_S16_S17_S18_S1B_S1C_jS1D_jS1E_S1E_jjS1G_bEUljE0_EEESZ_S10_S11_S18_S1C_S1E_T6_T7_T9_mT8_S1G_bDpT10_ENKUlT_T0_E_clISt17integral_constantIbLb1EES1T_IbLb0EEEEDaS1P_S1Q_EUlS1P_E_NS1_11comp_targetILNS1_3genE8ELNS1_11target_archE1030ELNS1_3gpuE2ELNS1_3repE0EEENS1_30default_config_static_selectorELNS0_4arch9wavefront6targetE1EEEvS12_
	.p2align	8
	.type	_ZN7rocprim17ROCPRIM_400000_NS6detail17trampoline_kernelINS0_13select_configILj256ELj13ELNS0_17block_load_methodE3ELS4_3ELS4_3ELNS0_20block_scan_algorithmE0ELj4294967295EEENS1_25partition_config_selectorILNS1_17partition_subalgoE4EjNS0_10empty_typeEbEEZZNS1_14partition_implILS8_4ELb0ES6_15HIP_vector_typeIjLj2EENS0_17counting_iteratorIjlEEPS9_SG_NS0_5tupleIJPjSI_NS0_16reverse_iteratorISI_EEEEENSH_IJSG_SG_SG_EEES9_SI_JZNS1_25segmented_radix_sort_implINS0_14default_configELb1EPKbPbPKlPlN2at6native12_GLOBAL__N_18offset_tEEE10hipError_tPvRmT1_PNSt15iterator_traitsIS12_E10value_typeET2_T3_PNS13_IS18_E10value_typeET4_jRbjT5_S1E_jjP12ihipStream_tbEUljE_ZNSN_ISO_Lb1ESQ_SR_ST_SU_SY_EESZ_S10_S11_S12_S16_S17_S18_S1B_S1C_jS1D_jS1E_S1E_jjS1G_bEUljE0_EEESZ_S10_S11_S18_S1C_S1E_T6_T7_T9_mT8_S1G_bDpT10_ENKUlT_T0_E_clISt17integral_constantIbLb1EES1T_IbLb0EEEEDaS1P_S1Q_EUlS1P_E_NS1_11comp_targetILNS1_3genE8ELNS1_11target_archE1030ELNS1_3gpuE2ELNS1_3repE0EEENS1_30default_config_static_selectorELNS0_4arch9wavefront6targetE1EEEvS12_,@function
_ZN7rocprim17ROCPRIM_400000_NS6detail17trampoline_kernelINS0_13select_configILj256ELj13ELNS0_17block_load_methodE3ELS4_3ELS4_3ELNS0_20block_scan_algorithmE0ELj4294967295EEENS1_25partition_config_selectorILNS1_17partition_subalgoE4EjNS0_10empty_typeEbEEZZNS1_14partition_implILS8_4ELb0ES6_15HIP_vector_typeIjLj2EENS0_17counting_iteratorIjlEEPS9_SG_NS0_5tupleIJPjSI_NS0_16reverse_iteratorISI_EEEEENSH_IJSG_SG_SG_EEES9_SI_JZNS1_25segmented_radix_sort_implINS0_14default_configELb1EPKbPbPKlPlN2at6native12_GLOBAL__N_18offset_tEEE10hipError_tPvRmT1_PNSt15iterator_traitsIS12_E10value_typeET2_T3_PNS13_IS18_E10value_typeET4_jRbjT5_S1E_jjP12ihipStream_tbEUljE_ZNSN_ISO_Lb1ESQ_SR_ST_SU_SY_EESZ_S10_S11_S12_S16_S17_S18_S1B_S1C_jS1D_jS1E_S1E_jjS1G_bEUljE0_EEESZ_S10_S11_S18_S1C_S1E_T6_T7_T9_mT8_S1G_bDpT10_ENKUlT_T0_E_clISt17integral_constantIbLb1EES1T_IbLb0EEEEDaS1P_S1Q_EUlS1P_E_NS1_11comp_targetILNS1_3genE8ELNS1_11target_archE1030ELNS1_3gpuE2ELNS1_3repE0EEENS1_30default_config_static_selectorELNS0_4arch9wavefront6targetE1EEEvS12_: ; @_ZN7rocprim17ROCPRIM_400000_NS6detail17trampoline_kernelINS0_13select_configILj256ELj13ELNS0_17block_load_methodE3ELS4_3ELS4_3ELNS0_20block_scan_algorithmE0ELj4294967295EEENS1_25partition_config_selectorILNS1_17partition_subalgoE4EjNS0_10empty_typeEbEEZZNS1_14partition_implILS8_4ELb0ES6_15HIP_vector_typeIjLj2EENS0_17counting_iteratorIjlEEPS9_SG_NS0_5tupleIJPjSI_NS0_16reverse_iteratorISI_EEEEENSH_IJSG_SG_SG_EEES9_SI_JZNS1_25segmented_radix_sort_implINS0_14default_configELb1EPKbPbPKlPlN2at6native12_GLOBAL__N_18offset_tEEE10hipError_tPvRmT1_PNSt15iterator_traitsIS12_E10value_typeET2_T3_PNS13_IS18_E10value_typeET4_jRbjT5_S1E_jjP12ihipStream_tbEUljE_ZNSN_ISO_Lb1ESQ_SR_ST_SU_SY_EESZ_S10_S11_S12_S16_S17_S18_S1B_S1C_jS1D_jS1E_S1E_jjS1G_bEUljE0_EEESZ_S10_S11_S18_S1C_S1E_T6_T7_T9_mT8_S1G_bDpT10_ENKUlT_T0_E_clISt17integral_constantIbLb1EES1T_IbLb0EEEEDaS1P_S1Q_EUlS1P_E_NS1_11comp_targetILNS1_3genE8ELNS1_11target_archE1030ELNS1_3gpuE2ELNS1_3repE0EEENS1_30default_config_static_selectorELNS0_4arch9wavefront6targetE1EEEvS12_
; %bb.0:
	.section	.rodata,"a",@progbits
	.p2align	6, 0x0
	.amdhsa_kernel _ZN7rocprim17ROCPRIM_400000_NS6detail17trampoline_kernelINS0_13select_configILj256ELj13ELNS0_17block_load_methodE3ELS4_3ELS4_3ELNS0_20block_scan_algorithmE0ELj4294967295EEENS1_25partition_config_selectorILNS1_17partition_subalgoE4EjNS0_10empty_typeEbEEZZNS1_14partition_implILS8_4ELb0ES6_15HIP_vector_typeIjLj2EENS0_17counting_iteratorIjlEEPS9_SG_NS0_5tupleIJPjSI_NS0_16reverse_iteratorISI_EEEEENSH_IJSG_SG_SG_EEES9_SI_JZNS1_25segmented_radix_sort_implINS0_14default_configELb1EPKbPbPKlPlN2at6native12_GLOBAL__N_18offset_tEEE10hipError_tPvRmT1_PNSt15iterator_traitsIS12_E10value_typeET2_T3_PNS13_IS18_E10value_typeET4_jRbjT5_S1E_jjP12ihipStream_tbEUljE_ZNSN_ISO_Lb1ESQ_SR_ST_SU_SY_EESZ_S10_S11_S12_S16_S17_S18_S1B_S1C_jS1D_jS1E_S1E_jjS1G_bEUljE0_EEESZ_S10_S11_S18_S1C_S1E_T6_T7_T9_mT8_S1G_bDpT10_ENKUlT_T0_E_clISt17integral_constantIbLb1EES1T_IbLb0EEEEDaS1P_S1Q_EUlS1P_E_NS1_11comp_targetILNS1_3genE8ELNS1_11target_archE1030ELNS1_3gpuE2ELNS1_3repE0EEENS1_30default_config_static_selectorELNS0_4arch9wavefront6targetE1EEEvS12_
		.amdhsa_group_segment_fixed_size 0
		.amdhsa_private_segment_fixed_size 0
		.amdhsa_kernarg_size 176
		.amdhsa_user_sgpr_count 6
		.amdhsa_user_sgpr_private_segment_buffer 1
		.amdhsa_user_sgpr_dispatch_ptr 0
		.amdhsa_user_sgpr_queue_ptr 0
		.amdhsa_user_sgpr_kernarg_segment_ptr 1
		.amdhsa_user_sgpr_dispatch_id 0
		.amdhsa_user_sgpr_flat_scratch_init 0
		.amdhsa_user_sgpr_kernarg_preload_length 0
		.amdhsa_user_sgpr_kernarg_preload_offset 0
		.amdhsa_user_sgpr_private_segment_size 0
		.amdhsa_uses_dynamic_stack 0
		.amdhsa_system_sgpr_private_segment_wavefront_offset 0
		.amdhsa_system_sgpr_workgroup_id_x 1
		.amdhsa_system_sgpr_workgroup_id_y 0
		.amdhsa_system_sgpr_workgroup_id_z 0
		.amdhsa_system_sgpr_workgroup_info 0
		.amdhsa_system_vgpr_workitem_id 0
		.amdhsa_next_free_vgpr 1
		.amdhsa_next_free_sgpr 0
		.amdhsa_accum_offset 4
		.amdhsa_reserve_vcc 0
		.amdhsa_reserve_flat_scratch 0
		.amdhsa_float_round_mode_32 0
		.amdhsa_float_round_mode_16_64 0
		.amdhsa_float_denorm_mode_32 3
		.amdhsa_float_denorm_mode_16_64 3
		.amdhsa_dx10_clamp 1
		.amdhsa_ieee_mode 1
		.amdhsa_fp16_overflow 0
		.amdhsa_tg_split 0
		.amdhsa_exception_fp_ieee_invalid_op 0
		.amdhsa_exception_fp_denorm_src 0
		.amdhsa_exception_fp_ieee_div_zero 0
		.amdhsa_exception_fp_ieee_overflow 0
		.amdhsa_exception_fp_ieee_underflow 0
		.amdhsa_exception_fp_ieee_inexact 0
		.amdhsa_exception_int_div_zero 0
	.end_amdhsa_kernel
	.section	.text._ZN7rocprim17ROCPRIM_400000_NS6detail17trampoline_kernelINS0_13select_configILj256ELj13ELNS0_17block_load_methodE3ELS4_3ELS4_3ELNS0_20block_scan_algorithmE0ELj4294967295EEENS1_25partition_config_selectorILNS1_17partition_subalgoE4EjNS0_10empty_typeEbEEZZNS1_14partition_implILS8_4ELb0ES6_15HIP_vector_typeIjLj2EENS0_17counting_iteratorIjlEEPS9_SG_NS0_5tupleIJPjSI_NS0_16reverse_iteratorISI_EEEEENSH_IJSG_SG_SG_EEES9_SI_JZNS1_25segmented_radix_sort_implINS0_14default_configELb1EPKbPbPKlPlN2at6native12_GLOBAL__N_18offset_tEEE10hipError_tPvRmT1_PNSt15iterator_traitsIS12_E10value_typeET2_T3_PNS13_IS18_E10value_typeET4_jRbjT5_S1E_jjP12ihipStream_tbEUljE_ZNSN_ISO_Lb1ESQ_SR_ST_SU_SY_EESZ_S10_S11_S12_S16_S17_S18_S1B_S1C_jS1D_jS1E_S1E_jjS1G_bEUljE0_EEESZ_S10_S11_S18_S1C_S1E_T6_T7_T9_mT8_S1G_bDpT10_ENKUlT_T0_E_clISt17integral_constantIbLb1EES1T_IbLb0EEEEDaS1P_S1Q_EUlS1P_E_NS1_11comp_targetILNS1_3genE8ELNS1_11target_archE1030ELNS1_3gpuE2ELNS1_3repE0EEENS1_30default_config_static_selectorELNS0_4arch9wavefront6targetE1EEEvS12_,"axG",@progbits,_ZN7rocprim17ROCPRIM_400000_NS6detail17trampoline_kernelINS0_13select_configILj256ELj13ELNS0_17block_load_methodE3ELS4_3ELS4_3ELNS0_20block_scan_algorithmE0ELj4294967295EEENS1_25partition_config_selectorILNS1_17partition_subalgoE4EjNS0_10empty_typeEbEEZZNS1_14partition_implILS8_4ELb0ES6_15HIP_vector_typeIjLj2EENS0_17counting_iteratorIjlEEPS9_SG_NS0_5tupleIJPjSI_NS0_16reverse_iteratorISI_EEEEENSH_IJSG_SG_SG_EEES9_SI_JZNS1_25segmented_radix_sort_implINS0_14default_configELb1EPKbPbPKlPlN2at6native12_GLOBAL__N_18offset_tEEE10hipError_tPvRmT1_PNSt15iterator_traitsIS12_E10value_typeET2_T3_PNS13_IS18_E10value_typeET4_jRbjT5_S1E_jjP12ihipStream_tbEUljE_ZNSN_ISO_Lb1ESQ_SR_ST_SU_SY_EESZ_S10_S11_S12_S16_S17_S18_S1B_S1C_jS1D_jS1E_S1E_jjS1G_bEUljE0_EEESZ_S10_S11_S18_S1C_S1E_T6_T7_T9_mT8_S1G_bDpT10_ENKUlT_T0_E_clISt17integral_constantIbLb1EES1T_IbLb0EEEEDaS1P_S1Q_EUlS1P_E_NS1_11comp_targetILNS1_3genE8ELNS1_11target_archE1030ELNS1_3gpuE2ELNS1_3repE0EEENS1_30default_config_static_selectorELNS0_4arch9wavefront6targetE1EEEvS12_,comdat
.Lfunc_end1489:
	.size	_ZN7rocprim17ROCPRIM_400000_NS6detail17trampoline_kernelINS0_13select_configILj256ELj13ELNS0_17block_load_methodE3ELS4_3ELS4_3ELNS0_20block_scan_algorithmE0ELj4294967295EEENS1_25partition_config_selectorILNS1_17partition_subalgoE4EjNS0_10empty_typeEbEEZZNS1_14partition_implILS8_4ELb0ES6_15HIP_vector_typeIjLj2EENS0_17counting_iteratorIjlEEPS9_SG_NS0_5tupleIJPjSI_NS0_16reverse_iteratorISI_EEEEENSH_IJSG_SG_SG_EEES9_SI_JZNS1_25segmented_radix_sort_implINS0_14default_configELb1EPKbPbPKlPlN2at6native12_GLOBAL__N_18offset_tEEE10hipError_tPvRmT1_PNSt15iterator_traitsIS12_E10value_typeET2_T3_PNS13_IS18_E10value_typeET4_jRbjT5_S1E_jjP12ihipStream_tbEUljE_ZNSN_ISO_Lb1ESQ_SR_ST_SU_SY_EESZ_S10_S11_S12_S16_S17_S18_S1B_S1C_jS1D_jS1E_S1E_jjS1G_bEUljE0_EEESZ_S10_S11_S18_S1C_S1E_T6_T7_T9_mT8_S1G_bDpT10_ENKUlT_T0_E_clISt17integral_constantIbLb1EES1T_IbLb0EEEEDaS1P_S1Q_EUlS1P_E_NS1_11comp_targetILNS1_3genE8ELNS1_11target_archE1030ELNS1_3gpuE2ELNS1_3repE0EEENS1_30default_config_static_selectorELNS0_4arch9wavefront6targetE1EEEvS12_, .Lfunc_end1489-_ZN7rocprim17ROCPRIM_400000_NS6detail17trampoline_kernelINS0_13select_configILj256ELj13ELNS0_17block_load_methodE3ELS4_3ELS4_3ELNS0_20block_scan_algorithmE0ELj4294967295EEENS1_25partition_config_selectorILNS1_17partition_subalgoE4EjNS0_10empty_typeEbEEZZNS1_14partition_implILS8_4ELb0ES6_15HIP_vector_typeIjLj2EENS0_17counting_iteratorIjlEEPS9_SG_NS0_5tupleIJPjSI_NS0_16reverse_iteratorISI_EEEEENSH_IJSG_SG_SG_EEES9_SI_JZNS1_25segmented_radix_sort_implINS0_14default_configELb1EPKbPbPKlPlN2at6native12_GLOBAL__N_18offset_tEEE10hipError_tPvRmT1_PNSt15iterator_traitsIS12_E10value_typeET2_T3_PNS13_IS18_E10value_typeET4_jRbjT5_S1E_jjP12ihipStream_tbEUljE_ZNSN_ISO_Lb1ESQ_SR_ST_SU_SY_EESZ_S10_S11_S12_S16_S17_S18_S1B_S1C_jS1D_jS1E_S1E_jjS1G_bEUljE0_EEESZ_S10_S11_S18_S1C_S1E_T6_T7_T9_mT8_S1G_bDpT10_ENKUlT_T0_E_clISt17integral_constantIbLb1EES1T_IbLb0EEEEDaS1P_S1Q_EUlS1P_E_NS1_11comp_targetILNS1_3genE8ELNS1_11target_archE1030ELNS1_3gpuE2ELNS1_3repE0EEENS1_30default_config_static_selectorELNS0_4arch9wavefront6targetE1EEEvS12_
                                        ; -- End function
	.section	.AMDGPU.csdata,"",@progbits
; Kernel info:
; codeLenInByte = 0
; NumSgprs: 4
; NumVgprs: 0
; NumAgprs: 0
; TotalNumVgprs: 0
; ScratchSize: 0
; MemoryBound: 0
; FloatMode: 240
; IeeeMode: 1
; LDSByteSize: 0 bytes/workgroup (compile time only)
; SGPRBlocks: 0
; VGPRBlocks: 0
; NumSGPRsForWavesPerEU: 4
; NumVGPRsForWavesPerEU: 1
; AccumOffset: 4
; Occupancy: 8
; WaveLimiterHint : 0
; COMPUTE_PGM_RSRC2:SCRATCH_EN: 0
; COMPUTE_PGM_RSRC2:USER_SGPR: 6
; COMPUTE_PGM_RSRC2:TRAP_HANDLER: 0
; COMPUTE_PGM_RSRC2:TGID_X_EN: 1
; COMPUTE_PGM_RSRC2:TGID_Y_EN: 0
; COMPUTE_PGM_RSRC2:TGID_Z_EN: 0
; COMPUTE_PGM_RSRC2:TIDIG_COMP_CNT: 0
; COMPUTE_PGM_RSRC3_GFX90A:ACCUM_OFFSET: 0
; COMPUTE_PGM_RSRC3_GFX90A:TG_SPLIT: 0
	.section	.text._ZN7rocprim17ROCPRIM_400000_NS6detail17trampoline_kernelINS0_13select_configILj256ELj13ELNS0_17block_load_methodE3ELS4_3ELS4_3ELNS0_20block_scan_algorithmE0ELj4294967295EEENS1_25partition_config_selectorILNS1_17partition_subalgoE4EjNS0_10empty_typeEbEEZZNS1_14partition_implILS8_4ELb0ES6_15HIP_vector_typeIjLj2EENS0_17counting_iteratorIjlEEPS9_SG_NS0_5tupleIJPjSI_NS0_16reverse_iteratorISI_EEEEENSH_IJSG_SG_SG_EEES9_SI_JZNS1_25segmented_radix_sort_implINS0_14default_configELb1EPKbPbPKlPlN2at6native12_GLOBAL__N_18offset_tEEE10hipError_tPvRmT1_PNSt15iterator_traitsIS12_E10value_typeET2_T3_PNS13_IS18_E10value_typeET4_jRbjT5_S1E_jjP12ihipStream_tbEUljE_ZNSN_ISO_Lb1ESQ_SR_ST_SU_SY_EESZ_S10_S11_S12_S16_S17_S18_S1B_S1C_jS1D_jS1E_S1E_jjS1G_bEUljE0_EEESZ_S10_S11_S18_S1C_S1E_T6_T7_T9_mT8_S1G_bDpT10_ENKUlT_T0_E_clISt17integral_constantIbLb0EES1T_IbLb1EEEEDaS1P_S1Q_EUlS1P_E_NS1_11comp_targetILNS1_3genE0ELNS1_11target_archE4294967295ELNS1_3gpuE0ELNS1_3repE0EEENS1_30default_config_static_selectorELNS0_4arch9wavefront6targetE1EEEvS12_,"axG",@progbits,_ZN7rocprim17ROCPRIM_400000_NS6detail17trampoline_kernelINS0_13select_configILj256ELj13ELNS0_17block_load_methodE3ELS4_3ELS4_3ELNS0_20block_scan_algorithmE0ELj4294967295EEENS1_25partition_config_selectorILNS1_17partition_subalgoE4EjNS0_10empty_typeEbEEZZNS1_14partition_implILS8_4ELb0ES6_15HIP_vector_typeIjLj2EENS0_17counting_iteratorIjlEEPS9_SG_NS0_5tupleIJPjSI_NS0_16reverse_iteratorISI_EEEEENSH_IJSG_SG_SG_EEES9_SI_JZNS1_25segmented_radix_sort_implINS0_14default_configELb1EPKbPbPKlPlN2at6native12_GLOBAL__N_18offset_tEEE10hipError_tPvRmT1_PNSt15iterator_traitsIS12_E10value_typeET2_T3_PNS13_IS18_E10value_typeET4_jRbjT5_S1E_jjP12ihipStream_tbEUljE_ZNSN_ISO_Lb1ESQ_SR_ST_SU_SY_EESZ_S10_S11_S12_S16_S17_S18_S1B_S1C_jS1D_jS1E_S1E_jjS1G_bEUljE0_EEESZ_S10_S11_S18_S1C_S1E_T6_T7_T9_mT8_S1G_bDpT10_ENKUlT_T0_E_clISt17integral_constantIbLb0EES1T_IbLb1EEEEDaS1P_S1Q_EUlS1P_E_NS1_11comp_targetILNS1_3genE0ELNS1_11target_archE4294967295ELNS1_3gpuE0ELNS1_3repE0EEENS1_30default_config_static_selectorELNS0_4arch9wavefront6targetE1EEEvS12_,comdat
	.globl	_ZN7rocprim17ROCPRIM_400000_NS6detail17trampoline_kernelINS0_13select_configILj256ELj13ELNS0_17block_load_methodE3ELS4_3ELS4_3ELNS0_20block_scan_algorithmE0ELj4294967295EEENS1_25partition_config_selectorILNS1_17partition_subalgoE4EjNS0_10empty_typeEbEEZZNS1_14partition_implILS8_4ELb0ES6_15HIP_vector_typeIjLj2EENS0_17counting_iteratorIjlEEPS9_SG_NS0_5tupleIJPjSI_NS0_16reverse_iteratorISI_EEEEENSH_IJSG_SG_SG_EEES9_SI_JZNS1_25segmented_radix_sort_implINS0_14default_configELb1EPKbPbPKlPlN2at6native12_GLOBAL__N_18offset_tEEE10hipError_tPvRmT1_PNSt15iterator_traitsIS12_E10value_typeET2_T3_PNS13_IS18_E10value_typeET4_jRbjT5_S1E_jjP12ihipStream_tbEUljE_ZNSN_ISO_Lb1ESQ_SR_ST_SU_SY_EESZ_S10_S11_S12_S16_S17_S18_S1B_S1C_jS1D_jS1E_S1E_jjS1G_bEUljE0_EEESZ_S10_S11_S18_S1C_S1E_T6_T7_T9_mT8_S1G_bDpT10_ENKUlT_T0_E_clISt17integral_constantIbLb0EES1T_IbLb1EEEEDaS1P_S1Q_EUlS1P_E_NS1_11comp_targetILNS1_3genE0ELNS1_11target_archE4294967295ELNS1_3gpuE0ELNS1_3repE0EEENS1_30default_config_static_selectorELNS0_4arch9wavefront6targetE1EEEvS12_ ; -- Begin function _ZN7rocprim17ROCPRIM_400000_NS6detail17trampoline_kernelINS0_13select_configILj256ELj13ELNS0_17block_load_methodE3ELS4_3ELS4_3ELNS0_20block_scan_algorithmE0ELj4294967295EEENS1_25partition_config_selectorILNS1_17partition_subalgoE4EjNS0_10empty_typeEbEEZZNS1_14partition_implILS8_4ELb0ES6_15HIP_vector_typeIjLj2EENS0_17counting_iteratorIjlEEPS9_SG_NS0_5tupleIJPjSI_NS0_16reverse_iteratorISI_EEEEENSH_IJSG_SG_SG_EEES9_SI_JZNS1_25segmented_radix_sort_implINS0_14default_configELb1EPKbPbPKlPlN2at6native12_GLOBAL__N_18offset_tEEE10hipError_tPvRmT1_PNSt15iterator_traitsIS12_E10value_typeET2_T3_PNS13_IS18_E10value_typeET4_jRbjT5_S1E_jjP12ihipStream_tbEUljE_ZNSN_ISO_Lb1ESQ_SR_ST_SU_SY_EESZ_S10_S11_S12_S16_S17_S18_S1B_S1C_jS1D_jS1E_S1E_jjS1G_bEUljE0_EEESZ_S10_S11_S18_S1C_S1E_T6_T7_T9_mT8_S1G_bDpT10_ENKUlT_T0_E_clISt17integral_constantIbLb0EES1T_IbLb1EEEEDaS1P_S1Q_EUlS1P_E_NS1_11comp_targetILNS1_3genE0ELNS1_11target_archE4294967295ELNS1_3gpuE0ELNS1_3repE0EEENS1_30default_config_static_selectorELNS0_4arch9wavefront6targetE1EEEvS12_
	.p2align	8
	.type	_ZN7rocprim17ROCPRIM_400000_NS6detail17trampoline_kernelINS0_13select_configILj256ELj13ELNS0_17block_load_methodE3ELS4_3ELS4_3ELNS0_20block_scan_algorithmE0ELj4294967295EEENS1_25partition_config_selectorILNS1_17partition_subalgoE4EjNS0_10empty_typeEbEEZZNS1_14partition_implILS8_4ELb0ES6_15HIP_vector_typeIjLj2EENS0_17counting_iteratorIjlEEPS9_SG_NS0_5tupleIJPjSI_NS0_16reverse_iteratorISI_EEEEENSH_IJSG_SG_SG_EEES9_SI_JZNS1_25segmented_radix_sort_implINS0_14default_configELb1EPKbPbPKlPlN2at6native12_GLOBAL__N_18offset_tEEE10hipError_tPvRmT1_PNSt15iterator_traitsIS12_E10value_typeET2_T3_PNS13_IS18_E10value_typeET4_jRbjT5_S1E_jjP12ihipStream_tbEUljE_ZNSN_ISO_Lb1ESQ_SR_ST_SU_SY_EESZ_S10_S11_S12_S16_S17_S18_S1B_S1C_jS1D_jS1E_S1E_jjS1G_bEUljE0_EEESZ_S10_S11_S18_S1C_S1E_T6_T7_T9_mT8_S1G_bDpT10_ENKUlT_T0_E_clISt17integral_constantIbLb0EES1T_IbLb1EEEEDaS1P_S1Q_EUlS1P_E_NS1_11comp_targetILNS1_3genE0ELNS1_11target_archE4294967295ELNS1_3gpuE0ELNS1_3repE0EEENS1_30default_config_static_selectorELNS0_4arch9wavefront6targetE1EEEvS12_,@function
_ZN7rocprim17ROCPRIM_400000_NS6detail17trampoline_kernelINS0_13select_configILj256ELj13ELNS0_17block_load_methodE3ELS4_3ELS4_3ELNS0_20block_scan_algorithmE0ELj4294967295EEENS1_25partition_config_selectorILNS1_17partition_subalgoE4EjNS0_10empty_typeEbEEZZNS1_14partition_implILS8_4ELb0ES6_15HIP_vector_typeIjLj2EENS0_17counting_iteratorIjlEEPS9_SG_NS0_5tupleIJPjSI_NS0_16reverse_iteratorISI_EEEEENSH_IJSG_SG_SG_EEES9_SI_JZNS1_25segmented_radix_sort_implINS0_14default_configELb1EPKbPbPKlPlN2at6native12_GLOBAL__N_18offset_tEEE10hipError_tPvRmT1_PNSt15iterator_traitsIS12_E10value_typeET2_T3_PNS13_IS18_E10value_typeET4_jRbjT5_S1E_jjP12ihipStream_tbEUljE_ZNSN_ISO_Lb1ESQ_SR_ST_SU_SY_EESZ_S10_S11_S12_S16_S17_S18_S1B_S1C_jS1D_jS1E_S1E_jjS1G_bEUljE0_EEESZ_S10_S11_S18_S1C_S1E_T6_T7_T9_mT8_S1G_bDpT10_ENKUlT_T0_E_clISt17integral_constantIbLb0EES1T_IbLb1EEEEDaS1P_S1Q_EUlS1P_E_NS1_11comp_targetILNS1_3genE0ELNS1_11target_archE4294967295ELNS1_3gpuE0ELNS1_3repE0EEENS1_30default_config_static_selectorELNS0_4arch9wavefront6targetE1EEEvS12_: ; @_ZN7rocprim17ROCPRIM_400000_NS6detail17trampoline_kernelINS0_13select_configILj256ELj13ELNS0_17block_load_methodE3ELS4_3ELS4_3ELNS0_20block_scan_algorithmE0ELj4294967295EEENS1_25partition_config_selectorILNS1_17partition_subalgoE4EjNS0_10empty_typeEbEEZZNS1_14partition_implILS8_4ELb0ES6_15HIP_vector_typeIjLj2EENS0_17counting_iteratorIjlEEPS9_SG_NS0_5tupleIJPjSI_NS0_16reverse_iteratorISI_EEEEENSH_IJSG_SG_SG_EEES9_SI_JZNS1_25segmented_radix_sort_implINS0_14default_configELb1EPKbPbPKlPlN2at6native12_GLOBAL__N_18offset_tEEE10hipError_tPvRmT1_PNSt15iterator_traitsIS12_E10value_typeET2_T3_PNS13_IS18_E10value_typeET4_jRbjT5_S1E_jjP12ihipStream_tbEUljE_ZNSN_ISO_Lb1ESQ_SR_ST_SU_SY_EESZ_S10_S11_S12_S16_S17_S18_S1B_S1C_jS1D_jS1E_S1E_jjS1G_bEUljE0_EEESZ_S10_S11_S18_S1C_S1E_T6_T7_T9_mT8_S1G_bDpT10_ENKUlT_T0_E_clISt17integral_constantIbLb0EES1T_IbLb1EEEEDaS1P_S1Q_EUlS1P_E_NS1_11comp_targetILNS1_3genE0ELNS1_11target_archE4294967295ELNS1_3gpuE0ELNS1_3repE0EEENS1_30default_config_static_selectorELNS0_4arch9wavefront6targetE1EEEvS12_
; %bb.0:
	.section	.rodata,"a",@progbits
	.p2align	6, 0x0
	.amdhsa_kernel _ZN7rocprim17ROCPRIM_400000_NS6detail17trampoline_kernelINS0_13select_configILj256ELj13ELNS0_17block_load_methodE3ELS4_3ELS4_3ELNS0_20block_scan_algorithmE0ELj4294967295EEENS1_25partition_config_selectorILNS1_17partition_subalgoE4EjNS0_10empty_typeEbEEZZNS1_14partition_implILS8_4ELb0ES6_15HIP_vector_typeIjLj2EENS0_17counting_iteratorIjlEEPS9_SG_NS0_5tupleIJPjSI_NS0_16reverse_iteratorISI_EEEEENSH_IJSG_SG_SG_EEES9_SI_JZNS1_25segmented_radix_sort_implINS0_14default_configELb1EPKbPbPKlPlN2at6native12_GLOBAL__N_18offset_tEEE10hipError_tPvRmT1_PNSt15iterator_traitsIS12_E10value_typeET2_T3_PNS13_IS18_E10value_typeET4_jRbjT5_S1E_jjP12ihipStream_tbEUljE_ZNSN_ISO_Lb1ESQ_SR_ST_SU_SY_EESZ_S10_S11_S12_S16_S17_S18_S1B_S1C_jS1D_jS1E_S1E_jjS1G_bEUljE0_EEESZ_S10_S11_S18_S1C_S1E_T6_T7_T9_mT8_S1G_bDpT10_ENKUlT_T0_E_clISt17integral_constantIbLb0EES1T_IbLb1EEEEDaS1P_S1Q_EUlS1P_E_NS1_11comp_targetILNS1_3genE0ELNS1_11target_archE4294967295ELNS1_3gpuE0ELNS1_3repE0EEENS1_30default_config_static_selectorELNS0_4arch9wavefront6targetE1EEEvS12_
		.amdhsa_group_segment_fixed_size 0
		.amdhsa_private_segment_fixed_size 0
		.amdhsa_kernarg_size 184
		.amdhsa_user_sgpr_count 6
		.amdhsa_user_sgpr_private_segment_buffer 1
		.amdhsa_user_sgpr_dispatch_ptr 0
		.amdhsa_user_sgpr_queue_ptr 0
		.amdhsa_user_sgpr_kernarg_segment_ptr 1
		.amdhsa_user_sgpr_dispatch_id 0
		.amdhsa_user_sgpr_flat_scratch_init 0
		.amdhsa_user_sgpr_kernarg_preload_length 0
		.amdhsa_user_sgpr_kernarg_preload_offset 0
		.amdhsa_user_sgpr_private_segment_size 0
		.amdhsa_uses_dynamic_stack 0
		.amdhsa_system_sgpr_private_segment_wavefront_offset 0
		.amdhsa_system_sgpr_workgroup_id_x 1
		.amdhsa_system_sgpr_workgroup_id_y 0
		.amdhsa_system_sgpr_workgroup_id_z 0
		.amdhsa_system_sgpr_workgroup_info 0
		.amdhsa_system_vgpr_workitem_id 0
		.amdhsa_next_free_vgpr 1
		.amdhsa_next_free_sgpr 0
		.amdhsa_accum_offset 4
		.amdhsa_reserve_vcc 0
		.amdhsa_reserve_flat_scratch 0
		.amdhsa_float_round_mode_32 0
		.amdhsa_float_round_mode_16_64 0
		.amdhsa_float_denorm_mode_32 3
		.amdhsa_float_denorm_mode_16_64 3
		.amdhsa_dx10_clamp 1
		.amdhsa_ieee_mode 1
		.amdhsa_fp16_overflow 0
		.amdhsa_tg_split 0
		.amdhsa_exception_fp_ieee_invalid_op 0
		.amdhsa_exception_fp_denorm_src 0
		.amdhsa_exception_fp_ieee_div_zero 0
		.amdhsa_exception_fp_ieee_overflow 0
		.amdhsa_exception_fp_ieee_underflow 0
		.amdhsa_exception_fp_ieee_inexact 0
		.amdhsa_exception_int_div_zero 0
	.end_amdhsa_kernel
	.section	.text._ZN7rocprim17ROCPRIM_400000_NS6detail17trampoline_kernelINS0_13select_configILj256ELj13ELNS0_17block_load_methodE3ELS4_3ELS4_3ELNS0_20block_scan_algorithmE0ELj4294967295EEENS1_25partition_config_selectorILNS1_17partition_subalgoE4EjNS0_10empty_typeEbEEZZNS1_14partition_implILS8_4ELb0ES6_15HIP_vector_typeIjLj2EENS0_17counting_iteratorIjlEEPS9_SG_NS0_5tupleIJPjSI_NS0_16reverse_iteratorISI_EEEEENSH_IJSG_SG_SG_EEES9_SI_JZNS1_25segmented_radix_sort_implINS0_14default_configELb1EPKbPbPKlPlN2at6native12_GLOBAL__N_18offset_tEEE10hipError_tPvRmT1_PNSt15iterator_traitsIS12_E10value_typeET2_T3_PNS13_IS18_E10value_typeET4_jRbjT5_S1E_jjP12ihipStream_tbEUljE_ZNSN_ISO_Lb1ESQ_SR_ST_SU_SY_EESZ_S10_S11_S12_S16_S17_S18_S1B_S1C_jS1D_jS1E_S1E_jjS1G_bEUljE0_EEESZ_S10_S11_S18_S1C_S1E_T6_T7_T9_mT8_S1G_bDpT10_ENKUlT_T0_E_clISt17integral_constantIbLb0EES1T_IbLb1EEEEDaS1P_S1Q_EUlS1P_E_NS1_11comp_targetILNS1_3genE0ELNS1_11target_archE4294967295ELNS1_3gpuE0ELNS1_3repE0EEENS1_30default_config_static_selectorELNS0_4arch9wavefront6targetE1EEEvS12_,"axG",@progbits,_ZN7rocprim17ROCPRIM_400000_NS6detail17trampoline_kernelINS0_13select_configILj256ELj13ELNS0_17block_load_methodE3ELS4_3ELS4_3ELNS0_20block_scan_algorithmE0ELj4294967295EEENS1_25partition_config_selectorILNS1_17partition_subalgoE4EjNS0_10empty_typeEbEEZZNS1_14partition_implILS8_4ELb0ES6_15HIP_vector_typeIjLj2EENS0_17counting_iteratorIjlEEPS9_SG_NS0_5tupleIJPjSI_NS0_16reverse_iteratorISI_EEEEENSH_IJSG_SG_SG_EEES9_SI_JZNS1_25segmented_radix_sort_implINS0_14default_configELb1EPKbPbPKlPlN2at6native12_GLOBAL__N_18offset_tEEE10hipError_tPvRmT1_PNSt15iterator_traitsIS12_E10value_typeET2_T3_PNS13_IS18_E10value_typeET4_jRbjT5_S1E_jjP12ihipStream_tbEUljE_ZNSN_ISO_Lb1ESQ_SR_ST_SU_SY_EESZ_S10_S11_S12_S16_S17_S18_S1B_S1C_jS1D_jS1E_S1E_jjS1G_bEUljE0_EEESZ_S10_S11_S18_S1C_S1E_T6_T7_T9_mT8_S1G_bDpT10_ENKUlT_T0_E_clISt17integral_constantIbLb0EES1T_IbLb1EEEEDaS1P_S1Q_EUlS1P_E_NS1_11comp_targetILNS1_3genE0ELNS1_11target_archE4294967295ELNS1_3gpuE0ELNS1_3repE0EEENS1_30default_config_static_selectorELNS0_4arch9wavefront6targetE1EEEvS12_,comdat
.Lfunc_end1490:
	.size	_ZN7rocprim17ROCPRIM_400000_NS6detail17trampoline_kernelINS0_13select_configILj256ELj13ELNS0_17block_load_methodE3ELS4_3ELS4_3ELNS0_20block_scan_algorithmE0ELj4294967295EEENS1_25partition_config_selectorILNS1_17partition_subalgoE4EjNS0_10empty_typeEbEEZZNS1_14partition_implILS8_4ELb0ES6_15HIP_vector_typeIjLj2EENS0_17counting_iteratorIjlEEPS9_SG_NS0_5tupleIJPjSI_NS0_16reverse_iteratorISI_EEEEENSH_IJSG_SG_SG_EEES9_SI_JZNS1_25segmented_radix_sort_implINS0_14default_configELb1EPKbPbPKlPlN2at6native12_GLOBAL__N_18offset_tEEE10hipError_tPvRmT1_PNSt15iterator_traitsIS12_E10value_typeET2_T3_PNS13_IS18_E10value_typeET4_jRbjT5_S1E_jjP12ihipStream_tbEUljE_ZNSN_ISO_Lb1ESQ_SR_ST_SU_SY_EESZ_S10_S11_S12_S16_S17_S18_S1B_S1C_jS1D_jS1E_S1E_jjS1G_bEUljE0_EEESZ_S10_S11_S18_S1C_S1E_T6_T7_T9_mT8_S1G_bDpT10_ENKUlT_T0_E_clISt17integral_constantIbLb0EES1T_IbLb1EEEEDaS1P_S1Q_EUlS1P_E_NS1_11comp_targetILNS1_3genE0ELNS1_11target_archE4294967295ELNS1_3gpuE0ELNS1_3repE0EEENS1_30default_config_static_selectorELNS0_4arch9wavefront6targetE1EEEvS12_, .Lfunc_end1490-_ZN7rocprim17ROCPRIM_400000_NS6detail17trampoline_kernelINS0_13select_configILj256ELj13ELNS0_17block_load_methodE3ELS4_3ELS4_3ELNS0_20block_scan_algorithmE0ELj4294967295EEENS1_25partition_config_selectorILNS1_17partition_subalgoE4EjNS0_10empty_typeEbEEZZNS1_14partition_implILS8_4ELb0ES6_15HIP_vector_typeIjLj2EENS0_17counting_iteratorIjlEEPS9_SG_NS0_5tupleIJPjSI_NS0_16reverse_iteratorISI_EEEEENSH_IJSG_SG_SG_EEES9_SI_JZNS1_25segmented_radix_sort_implINS0_14default_configELb1EPKbPbPKlPlN2at6native12_GLOBAL__N_18offset_tEEE10hipError_tPvRmT1_PNSt15iterator_traitsIS12_E10value_typeET2_T3_PNS13_IS18_E10value_typeET4_jRbjT5_S1E_jjP12ihipStream_tbEUljE_ZNSN_ISO_Lb1ESQ_SR_ST_SU_SY_EESZ_S10_S11_S12_S16_S17_S18_S1B_S1C_jS1D_jS1E_S1E_jjS1G_bEUljE0_EEESZ_S10_S11_S18_S1C_S1E_T6_T7_T9_mT8_S1G_bDpT10_ENKUlT_T0_E_clISt17integral_constantIbLb0EES1T_IbLb1EEEEDaS1P_S1Q_EUlS1P_E_NS1_11comp_targetILNS1_3genE0ELNS1_11target_archE4294967295ELNS1_3gpuE0ELNS1_3repE0EEENS1_30default_config_static_selectorELNS0_4arch9wavefront6targetE1EEEvS12_
                                        ; -- End function
	.section	.AMDGPU.csdata,"",@progbits
; Kernel info:
; codeLenInByte = 0
; NumSgprs: 4
; NumVgprs: 0
; NumAgprs: 0
; TotalNumVgprs: 0
; ScratchSize: 0
; MemoryBound: 0
; FloatMode: 240
; IeeeMode: 1
; LDSByteSize: 0 bytes/workgroup (compile time only)
; SGPRBlocks: 0
; VGPRBlocks: 0
; NumSGPRsForWavesPerEU: 4
; NumVGPRsForWavesPerEU: 1
; AccumOffset: 4
; Occupancy: 8
; WaveLimiterHint : 0
; COMPUTE_PGM_RSRC2:SCRATCH_EN: 0
; COMPUTE_PGM_RSRC2:USER_SGPR: 6
; COMPUTE_PGM_RSRC2:TRAP_HANDLER: 0
; COMPUTE_PGM_RSRC2:TGID_X_EN: 1
; COMPUTE_PGM_RSRC2:TGID_Y_EN: 0
; COMPUTE_PGM_RSRC2:TGID_Z_EN: 0
; COMPUTE_PGM_RSRC2:TIDIG_COMP_CNT: 0
; COMPUTE_PGM_RSRC3_GFX90A:ACCUM_OFFSET: 0
; COMPUTE_PGM_RSRC3_GFX90A:TG_SPLIT: 0
	.section	.text._ZN7rocprim17ROCPRIM_400000_NS6detail17trampoline_kernelINS0_13select_configILj256ELj13ELNS0_17block_load_methodE3ELS4_3ELS4_3ELNS0_20block_scan_algorithmE0ELj4294967295EEENS1_25partition_config_selectorILNS1_17partition_subalgoE4EjNS0_10empty_typeEbEEZZNS1_14partition_implILS8_4ELb0ES6_15HIP_vector_typeIjLj2EENS0_17counting_iteratorIjlEEPS9_SG_NS0_5tupleIJPjSI_NS0_16reverse_iteratorISI_EEEEENSH_IJSG_SG_SG_EEES9_SI_JZNS1_25segmented_radix_sort_implINS0_14default_configELb1EPKbPbPKlPlN2at6native12_GLOBAL__N_18offset_tEEE10hipError_tPvRmT1_PNSt15iterator_traitsIS12_E10value_typeET2_T3_PNS13_IS18_E10value_typeET4_jRbjT5_S1E_jjP12ihipStream_tbEUljE_ZNSN_ISO_Lb1ESQ_SR_ST_SU_SY_EESZ_S10_S11_S12_S16_S17_S18_S1B_S1C_jS1D_jS1E_S1E_jjS1G_bEUljE0_EEESZ_S10_S11_S18_S1C_S1E_T6_T7_T9_mT8_S1G_bDpT10_ENKUlT_T0_E_clISt17integral_constantIbLb0EES1T_IbLb1EEEEDaS1P_S1Q_EUlS1P_E_NS1_11comp_targetILNS1_3genE5ELNS1_11target_archE942ELNS1_3gpuE9ELNS1_3repE0EEENS1_30default_config_static_selectorELNS0_4arch9wavefront6targetE1EEEvS12_,"axG",@progbits,_ZN7rocprim17ROCPRIM_400000_NS6detail17trampoline_kernelINS0_13select_configILj256ELj13ELNS0_17block_load_methodE3ELS4_3ELS4_3ELNS0_20block_scan_algorithmE0ELj4294967295EEENS1_25partition_config_selectorILNS1_17partition_subalgoE4EjNS0_10empty_typeEbEEZZNS1_14partition_implILS8_4ELb0ES6_15HIP_vector_typeIjLj2EENS0_17counting_iteratorIjlEEPS9_SG_NS0_5tupleIJPjSI_NS0_16reverse_iteratorISI_EEEEENSH_IJSG_SG_SG_EEES9_SI_JZNS1_25segmented_radix_sort_implINS0_14default_configELb1EPKbPbPKlPlN2at6native12_GLOBAL__N_18offset_tEEE10hipError_tPvRmT1_PNSt15iterator_traitsIS12_E10value_typeET2_T3_PNS13_IS18_E10value_typeET4_jRbjT5_S1E_jjP12ihipStream_tbEUljE_ZNSN_ISO_Lb1ESQ_SR_ST_SU_SY_EESZ_S10_S11_S12_S16_S17_S18_S1B_S1C_jS1D_jS1E_S1E_jjS1G_bEUljE0_EEESZ_S10_S11_S18_S1C_S1E_T6_T7_T9_mT8_S1G_bDpT10_ENKUlT_T0_E_clISt17integral_constantIbLb0EES1T_IbLb1EEEEDaS1P_S1Q_EUlS1P_E_NS1_11comp_targetILNS1_3genE5ELNS1_11target_archE942ELNS1_3gpuE9ELNS1_3repE0EEENS1_30default_config_static_selectorELNS0_4arch9wavefront6targetE1EEEvS12_,comdat
	.globl	_ZN7rocprim17ROCPRIM_400000_NS6detail17trampoline_kernelINS0_13select_configILj256ELj13ELNS0_17block_load_methodE3ELS4_3ELS4_3ELNS0_20block_scan_algorithmE0ELj4294967295EEENS1_25partition_config_selectorILNS1_17partition_subalgoE4EjNS0_10empty_typeEbEEZZNS1_14partition_implILS8_4ELb0ES6_15HIP_vector_typeIjLj2EENS0_17counting_iteratorIjlEEPS9_SG_NS0_5tupleIJPjSI_NS0_16reverse_iteratorISI_EEEEENSH_IJSG_SG_SG_EEES9_SI_JZNS1_25segmented_radix_sort_implINS0_14default_configELb1EPKbPbPKlPlN2at6native12_GLOBAL__N_18offset_tEEE10hipError_tPvRmT1_PNSt15iterator_traitsIS12_E10value_typeET2_T3_PNS13_IS18_E10value_typeET4_jRbjT5_S1E_jjP12ihipStream_tbEUljE_ZNSN_ISO_Lb1ESQ_SR_ST_SU_SY_EESZ_S10_S11_S12_S16_S17_S18_S1B_S1C_jS1D_jS1E_S1E_jjS1G_bEUljE0_EEESZ_S10_S11_S18_S1C_S1E_T6_T7_T9_mT8_S1G_bDpT10_ENKUlT_T0_E_clISt17integral_constantIbLb0EES1T_IbLb1EEEEDaS1P_S1Q_EUlS1P_E_NS1_11comp_targetILNS1_3genE5ELNS1_11target_archE942ELNS1_3gpuE9ELNS1_3repE0EEENS1_30default_config_static_selectorELNS0_4arch9wavefront6targetE1EEEvS12_ ; -- Begin function _ZN7rocprim17ROCPRIM_400000_NS6detail17trampoline_kernelINS0_13select_configILj256ELj13ELNS0_17block_load_methodE3ELS4_3ELS4_3ELNS0_20block_scan_algorithmE0ELj4294967295EEENS1_25partition_config_selectorILNS1_17partition_subalgoE4EjNS0_10empty_typeEbEEZZNS1_14partition_implILS8_4ELb0ES6_15HIP_vector_typeIjLj2EENS0_17counting_iteratorIjlEEPS9_SG_NS0_5tupleIJPjSI_NS0_16reverse_iteratorISI_EEEEENSH_IJSG_SG_SG_EEES9_SI_JZNS1_25segmented_radix_sort_implINS0_14default_configELb1EPKbPbPKlPlN2at6native12_GLOBAL__N_18offset_tEEE10hipError_tPvRmT1_PNSt15iterator_traitsIS12_E10value_typeET2_T3_PNS13_IS18_E10value_typeET4_jRbjT5_S1E_jjP12ihipStream_tbEUljE_ZNSN_ISO_Lb1ESQ_SR_ST_SU_SY_EESZ_S10_S11_S12_S16_S17_S18_S1B_S1C_jS1D_jS1E_S1E_jjS1G_bEUljE0_EEESZ_S10_S11_S18_S1C_S1E_T6_T7_T9_mT8_S1G_bDpT10_ENKUlT_T0_E_clISt17integral_constantIbLb0EES1T_IbLb1EEEEDaS1P_S1Q_EUlS1P_E_NS1_11comp_targetILNS1_3genE5ELNS1_11target_archE942ELNS1_3gpuE9ELNS1_3repE0EEENS1_30default_config_static_selectorELNS0_4arch9wavefront6targetE1EEEvS12_
	.p2align	8
	.type	_ZN7rocprim17ROCPRIM_400000_NS6detail17trampoline_kernelINS0_13select_configILj256ELj13ELNS0_17block_load_methodE3ELS4_3ELS4_3ELNS0_20block_scan_algorithmE0ELj4294967295EEENS1_25partition_config_selectorILNS1_17partition_subalgoE4EjNS0_10empty_typeEbEEZZNS1_14partition_implILS8_4ELb0ES6_15HIP_vector_typeIjLj2EENS0_17counting_iteratorIjlEEPS9_SG_NS0_5tupleIJPjSI_NS0_16reverse_iteratorISI_EEEEENSH_IJSG_SG_SG_EEES9_SI_JZNS1_25segmented_radix_sort_implINS0_14default_configELb1EPKbPbPKlPlN2at6native12_GLOBAL__N_18offset_tEEE10hipError_tPvRmT1_PNSt15iterator_traitsIS12_E10value_typeET2_T3_PNS13_IS18_E10value_typeET4_jRbjT5_S1E_jjP12ihipStream_tbEUljE_ZNSN_ISO_Lb1ESQ_SR_ST_SU_SY_EESZ_S10_S11_S12_S16_S17_S18_S1B_S1C_jS1D_jS1E_S1E_jjS1G_bEUljE0_EEESZ_S10_S11_S18_S1C_S1E_T6_T7_T9_mT8_S1G_bDpT10_ENKUlT_T0_E_clISt17integral_constantIbLb0EES1T_IbLb1EEEEDaS1P_S1Q_EUlS1P_E_NS1_11comp_targetILNS1_3genE5ELNS1_11target_archE942ELNS1_3gpuE9ELNS1_3repE0EEENS1_30default_config_static_selectorELNS0_4arch9wavefront6targetE1EEEvS12_,@function
_ZN7rocprim17ROCPRIM_400000_NS6detail17trampoline_kernelINS0_13select_configILj256ELj13ELNS0_17block_load_methodE3ELS4_3ELS4_3ELNS0_20block_scan_algorithmE0ELj4294967295EEENS1_25partition_config_selectorILNS1_17partition_subalgoE4EjNS0_10empty_typeEbEEZZNS1_14partition_implILS8_4ELb0ES6_15HIP_vector_typeIjLj2EENS0_17counting_iteratorIjlEEPS9_SG_NS0_5tupleIJPjSI_NS0_16reverse_iteratorISI_EEEEENSH_IJSG_SG_SG_EEES9_SI_JZNS1_25segmented_radix_sort_implINS0_14default_configELb1EPKbPbPKlPlN2at6native12_GLOBAL__N_18offset_tEEE10hipError_tPvRmT1_PNSt15iterator_traitsIS12_E10value_typeET2_T3_PNS13_IS18_E10value_typeET4_jRbjT5_S1E_jjP12ihipStream_tbEUljE_ZNSN_ISO_Lb1ESQ_SR_ST_SU_SY_EESZ_S10_S11_S12_S16_S17_S18_S1B_S1C_jS1D_jS1E_S1E_jjS1G_bEUljE0_EEESZ_S10_S11_S18_S1C_S1E_T6_T7_T9_mT8_S1G_bDpT10_ENKUlT_T0_E_clISt17integral_constantIbLb0EES1T_IbLb1EEEEDaS1P_S1Q_EUlS1P_E_NS1_11comp_targetILNS1_3genE5ELNS1_11target_archE942ELNS1_3gpuE9ELNS1_3repE0EEENS1_30default_config_static_selectorELNS0_4arch9wavefront6targetE1EEEvS12_: ; @_ZN7rocprim17ROCPRIM_400000_NS6detail17trampoline_kernelINS0_13select_configILj256ELj13ELNS0_17block_load_methodE3ELS4_3ELS4_3ELNS0_20block_scan_algorithmE0ELj4294967295EEENS1_25partition_config_selectorILNS1_17partition_subalgoE4EjNS0_10empty_typeEbEEZZNS1_14partition_implILS8_4ELb0ES6_15HIP_vector_typeIjLj2EENS0_17counting_iteratorIjlEEPS9_SG_NS0_5tupleIJPjSI_NS0_16reverse_iteratorISI_EEEEENSH_IJSG_SG_SG_EEES9_SI_JZNS1_25segmented_radix_sort_implINS0_14default_configELb1EPKbPbPKlPlN2at6native12_GLOBAL__N_18offset_tEEE10hipError_tPvRmT1_PNSt15iterator_traitsIS12_E10value_typeET2_T3_PNS13_IS18_E10value_typeET4_jRbjT5_S1E_jjP12ihipStream_tbEUljE_ZNSN_ISO_Lb1ESQ_SR_ST_SU_SY_EESZ_S10_S11_S12_S16_S17_S18_S1B_S1C_jS1D_jS1E_S1E_jjS1G_bEUljE0_EEESZ_S10_S11_S18_S1C_S1E_T6_T7_T9_mT8_S1G_bDpT10_ENKUlT_T0_E_clISt17integral_constantIbLb0EES1T_IbLb1EEEEDaS1P_S1Q_EUlS1P_E_NS1_11comp_targetILNS1_3genE5ELNS1_11target_archE942ELNS1_3gpuE9ELNS1_3repE0EEENS1_30default_config_static_selectorELNS0_4arch9wavefront6targetE1EEEvS12_
; %bb.0:
	.section	.rodata,"a",@progbits
	.p2align	6, 0x0
	.amdhsa_kernel _ZN7rocprim17ROCPRIM_400000_NS6detail17trampoline_kernelINS0_13select_configILj256ELj13ELNS0_17block_load_methodE3ELS4_3ELS4_3ELNS0_20block_scan_algorithmE0ELj4294967295EEENS1_25partition_config_selectorILNS1_17partition_subalgoE4EjNS0_10empty_typeEbEEZZNS1_14partition_implILS8_4ELb0ES6_15HIP_vector_typeIjLj2EENS0_17counting_iteratorIjlEEPS9_SG_NS0_5tupleIJPjSI_NS0_16reverse_iteratorISI_EEEEENSH_IJSG_SG_SG_EEES9_SI_JZNS1_25segmented_radix_sort_implINS0_14default_configELb1EPKbPbPKlPlN2at6native12_GLOBAL__N_18offset_tEEE10hipError_tPvRmT1_PNSt15iterator_traitsIS12_E10value_typeET2_T3_PNS13_IS18_E10value_typeET4_jRbjT5_S1E_jjP12ihipStream_tbEUljE_ZNSN_ISO_Lb1ESQ_SR_ST_SU_SY_EESZ_S10_S11_S12_S16_S17_S18_S1B_S1C_jS1D_jS1E_S1E_jjS1G_bEUljE0_EEESZ_S10_S11_S18_S1C_S1E_T6_T7_T9_mT8_S1G_bDpT10_ENKUlT_T0_E_clISt17integral_constantIbLb0EES1T_IbLb1EEEEDaS1P_S1Q_EUlS1P_E_NS1_11comp_targetILNS1_3genE5ELNS1_11target_archE942ELNS1_3gpuE9ELNS1_3repE0EEENS1_30default_config_static_selectorELNS0_4arch9wavefront6targetE1EEEvS12_
		.amdhsa_group_segment_fixed_size 0
		.amdhsa_private_segment_fixed_size 0
		.amdhsa_kernarg_size 184
		.amdhsa_user_sgpr_count 6
		.amdhsa_user_sgpr_private_segment_buffer 1
		.amdhsa_user_sgpr_dispatch_ptr 0
		.amdhsa_user_sgpr_queue_ptr 0
		.amdhsa_user_sgpr_kernarg_segment_ptr 1
		.amdhsa_user_sgpr_dispatch_id 0
		.amdhsa_user_sgpr_flat_scratch_init 0
		.amdhsa_user_sgpr_kernarg_preload_length 0
		.amdhsa_user_sgpr_kernarg_preload_offset 0
		.amdhsa_user_sgpr_private_segment_size 0
		.amdhsa_uses_dynamic_stack 0
		.amdhsa_system_sgpr_private_segment_wavefront_offset 0
		.amdhsa_system_sgpr_workgroup_id_x 1
		.amdhsa_system_sgpr_workgroup_id_y 0
		.amdhsa_system_sgpr_workgroup_id_z 0
		.amdhsa_system_sgpr_workgroup_info 0
		.amdhsa_system_vgpr_workitem_id 0
		.amdhsa_next_free_vgpr 1
		.amdhsa_next_free_sgpr 0
		.amdhsa_accum_offset 4
		.amdhsa_reserve_vcc 0
		.amdhsa_reserve_flat_scratch 0
		.amdhsa_float_round_mode_32 0
		.amdhsa_float_round_mode_16_64 0
		.amdhsa_float_denorm_mode_32 3
		.amdhsa_float_denorm_mode_16_64 3
		.amdhsa_dx10_clamp 1
		.amdhsa_ieee_mode 1
		.amdhsa_fp16_overflow 0
		.amdhsa_tg_split 0
		.amdhsa_exception_fp_ieee_invalid_op 0
		.amdhsa_exception_fp_denorm_src 0
		.amdhsa_exception_fp_ieee_div_zero 0
		.amdhsa_exception_fp_ieee_overflow 0
		.amdhsa_exception_fp_ieee_underflow 0
		.amdhsa_exception_fp_ieee_inexact 0
		.amdhsa_exception_int_div_zero 0
	.end_amdhsa_kernel
	.section	.text._ZN7rocprim17ROCPRIM_400000_NS6detail17trampoline_kernelINS0_13select_configILj256ELj13ELNS0_17block_load_methodE3ELS4_3ELS4_3ELNS0_20block_scan_algorithmE0ELj4294967295EEENS1_25partition_config_selectorILNS1_17partition_subalgoE4EjNS0_10empty_typeEbEEZZNS1_14partition_implILS8_4ELb0ES6_15HIP_vector_typeIjLj2EENS0_17counting_iteratorIjlEEPS9_SG_NS0_5tupleIJPjSI_NS0_16reverse_iteratorISI_EEEEENSH_IJSG_SG_SG_EEES9_SI_JZNS1_25segmented_radix_sort_implINS0_14default_configELb1EPKbPbPKlPlN2at6native12_GLOBAL__N_18offset_tEEE10hipError_tPvRmT1_PNSt15iterator_traitsIS12_E10value_typeET2_T3_PNS13_IS18_E10value_typeET4_jRbjT5_S1E_jjP12ihipStream_tbEUljE_ZNSN_ISO_Lb1ESQ_SR_ST_SU_SY_EESZ_S10_S11_S12_S16_S17_S18_S1B_S1C_jS1D_jS1E_S1E_jjS1G_bEUljE0_EEESZ_S10_S11_S18_S1C_S1E_T6_T7_T9_mT8_S1G_bDpT10_ENKUlT_T0_E_clISt17integral_constantIbLb0EES1T_IbLb1EEEEDaS1P_S1Q_EUlS1P_E_NS1_11comp_targetILNS1_3genE5ELNS1_11target_archE942ELNS1_3gpuE9ELNS1_3repE0EEENS1_30default_config_static_selectorELNS0_4arch9wavefront6targetE1EEEvS12_,"axG",@progbits,_ZN7rocprim17ROCPRIM_400000_NS6detail17trampoline_kernelINS0_13select_configILj256ELj13ELNS0_17block_load_methodE3ELS4_3ELS4_3ELNS0_20block_scan_algorithmE0ELj4294967295EEENS1_25partition_config_selectorILNS1_17partition_subalgoE4EjNS0_10empty_typeEbEEZZNS1_14partition_implILS8_4ELb0ES6_15HIP_vector_typeIjLj2EENS0_17counting_iteratorIjlEEPS9_SG_NS0_5tupleIJPjSI_NS0_16reverse_iteratorISI_EEEEENSH_IJSG_SG_SG_EEES9_SI_JZNS1_25segmented_radix_sort_implINS0_14default_configELb1EPKbPbPKlPlN2at6native12_GLOBAL__N_18offset_tEEE10hipError_tPvRmT1_PNSt15iterator_traitsIS12_E10value_typeET2_T3_PNS13_IS18_E10value_typeET4_jRbjT5_S1E_jjP12ihipStream_tbEUljE_ZNSN_ISO_Lb1ESQ_SR_ST_SU_SY_EESZ_S10_S11_S12_S16_S17_S18_S1B_S1C_jS1D_jS1E_S1E_jjS1G_bEUljE0_EEESZ_S10_S11_S18_S1C_S1E_T6_T7_T9_mT8_S1G_bDpT10_ENKUlT_T0_E_clISt17integral_constantIbLb0EES1T_IbLb1EEEEDaS1P_S1Q_EUlS1P_E_NS1_11comp_targetILNS1_3genE5ELNS1_11target_archE942ELNS1_3gpuE9ELNS1_3repE0EEENS1_30default_config_static_selectorELNS0_4arch9wavefront6targetE1EEEvS12_,comdat
.Lfunc_end1491:
	.size	_ZN7rocprim17ROCPRIM_400000_NS6detail17trampoline_kernelINS0_13select_configILj256ELj13ELNS0_17block_load_methodE3ELS4_3ELS4_3ELNS0_20block_scan_algorithmE0ELj4294967295EEENS1_25partition_config_selectorILNS1_17partition_subalgoE4EjNS0_10empty_typeEbEEZZNS1_14partition_implILS8_4ELb0ES6_15HIP_vector_typeIjLj2EENS0_17counting_iteratorIjlEEPS9_SG_NS0_5tupleIJPjSI_NS0_16reverse_iteratorISI_EEEEENSH_IJSG_SG_SG_EEES9_SI_JZNS1_25segmented_radix_sort_implINS0_14default_configELb1EPKbPbPKlPlN2at6native12_GLOBAL__N_18offset_tEEE10hipError_tPvRmT1_PNSt15iterator_traitsIS12_E10value_typeET2_T3_PNS13_IS18_E10value_typeET4_jRbjT5_S1E_jjP12ihipStream_tbEUljE_ZNSN_ISO_Lb1ESQ_SR_ST_SU_SY_EESZ_S10_S11_S12_S16_S17_S18_S1B_S1C_jS1D_jS1E_S1E_jjS1G_bEUljE0_EEESZ_S10_S11_S18_S1C_S1E_T6_T7_T9_mT8_S1G_bDpT10_ENKUlT_T0_E_clISt17integral_constantIbLb0EES1T_IbLb1EEEEDaS1P_S1Q_EUlS1P_E_NS1_11comp_targetILNS1_3genE5ELNS1_11target_archE942ELNS1_3gpuE9ELNS1_3repE0EEENS1_30default_config_static_selectorELNS0_4arch9wavefront6targetE1EEEvS12_, .Lfunc_end1491-_ZN7rocprim17ROCPRIM_400000_NS6detail17trampoline_kernelINS0_13select_configILj256ELj13ELNS0_17block_load_methodE3ELS4_3ELS4_3ELNS0_20block_scan_algorithmE0ELj4294967295EEENS1_25partition_config_selectorILNS1_17partition_subalgoE4EjNS0_10empty_typeEbEEZZNS1_14partition_implILS8_4ELb0ES6_15HIP_vector_typeIjLj2EENS0_17counting_iteratorIjlEEPS9_SG_NS0_5tupleIJPjSI_NS0_16reverse_iteratorISI_EEEEENSH_IJSG_SG_SG_EEES9_SI_JZNS1_25segmented_radix_sort_implINS0_14default_configELb1EPKbPbPKlPlN2at6native12_GLOBAL__N_18offset_tEEE10hipError_tPvRmT1_PNSt15iterator_traitsIS12_E10value_typeET2_T3_PNS13_IS18_E10value_typeET4_jRbjT5_S1E_jjP12ihipStream_tbEUljE_ZNSN_ISO_Lb1ESQ_SR_ST_SU_SY_EESZ_S10_S11_S12_S16_S17_S18_S1B_S1C_jS1D_jS1E_S1E_jjS1G_bEUljE0_EEESZ_S10_S11_S18_S1C_S1E_T6_T7_T9_mT8_S1G_bDpT10_ENKUlT_T0_E_clISt17integral_constantIbLb0EES1T_IbLb1EEEEDaS1P_S1Q_EUlS1P_E_NS1_11comp_targetILNS1_3genE5ELNS1_11target_archE942ELNS1_3gpuE9ELNS1_3repE0EEENS1_30default_config_static_selectorELNS0_4arch9wavefront6targetE1EEEvS12_
                                        ; -- End function
	.section	.AMDGPU.csdata,"",@progbits
; Kernel info:
; codeLenInByte = 0
; NumSgprs: 4
; NumVgprs: 0
; NumAgprs: 0
; TotalNumVgprs: 0
; ScratchSize: 0
; MemoryBound: 0
; FloatMode: 240
; IeeeMode: 1
; LDSByteSize: 0 bytes/workgroup (compile time only)
; SGPRBlocks: 0
; VGPRBlocks: 0
; NumSGPRsForWavesPerEU: 4
; NumVGPRsForWavesPerEU: 1
; AccumOffset: 4
; Occupancy: 8
; WaveLimiterHint : 0
; COMPUTE_PGM_RSRC2:SCRATCH_EN: 0
; COMPUTE_PGM_RSRC2:USER_SGPR: 6
; COMPUTE_PGM_RSRC2:TRAP_HANDLER: 0
; COMPUTE_PGM_RSRC2:TGID_X_EN: 1
; COMPUTE_PGM_RSRC2:TGID_Y_EN: 0
; COMPUTE_PGM_RSRC2:TGID_Z_EN: 0
; COMPUTE_PGM_RSRC2:TIDIG_COMP_CNT: 0
; COMPUTE_PGM_RSRC3_GFX90A:ACCUM_OFFSET: 0
; COMPUTE_PGM_RSRC3_GFX90A:TG_SPLIT: 0
	.section	.text._ZN7rocprim17ROCPRIM_400000_NS6detail17trampoline_kernelINS0_13select_configILj256ELj13ELNS0_17block_load_methodE3ELS4_3ELS4_3ELNS0_20block_scan_algorithmE0ELj4294967295EEENS1_25partition_config_selectorILNS1_17partition_subalgoE4EjNS0_10empty_typeEbEEZZNS1_14partition_implILS8_4ELb0ES6_15HIP_vector_typeIjLj2EENS0_17counting_iteratorIjlEEPS9_SG_NS0_5tupleIJPjSI_NS0_16reverse_iteratorISI_EEEEENSH_IJSG_SG_SG_EEES9_SI_JZNS1_25segmented_radix_sort_implINS0_14default_configELb1EPKbPbPKlPlN2at6native12_GLOBAL__N_18offset_tEEE10hipError_tPvRmT1_PNSt15iterator_traitsIS12_E10value_typeET2_T3_PNS13_IS18_E10value_typeET4_jRbjT5_S1E_jjP12ihipStream_tbEUljE_ZNSN_ISO_Lb1ESQ_SR_ST_SU_SY_EESZ_S10_S11_S12_S16_S17_S18_S1B_S1C_jS1D_jS1E_S1E_jjS1G_bEUljE0_EEESZ_S10_S11_S18_S1C_S1E_T6_T7_T9_mT8_S1G_bDpT10_ENKUlT_T0_E_clISt17integral_constantIbLb0EES1T_IbLb1EEEEDaS1P_S1Q_EUlS1P_E_NS1_11comp_targetILNS1_3genE4ELNS1_11target_archE910ELNS1_3gpuE8ELNS1_3repE0EEENS1_30default_config_static_selectorELNS0_4arch9wavefront6targetE1EEEvS12_,"axG",@progbits,_ZN7rocprim17ROCPRIM_400000_NS6detail17trampoline_kernelINS0_13select_configILj256ELj13ELNS0_17block_load_methodE3ELS4_3ELS4_3ELNS0_20block_scan_algorithmE0ELj4294967295EEENS1_25partition_config_selectorILNS1_17partition_subalgoE4EjNS0_10empty_typeEbEEZZNS1_14partition_implILS8_4ELb0ES6_15HIP_vector_typeIjLj2EENS0_17counting_iteratorIjlEEPS9_SG_NS0_5tupleIJPjSI_NS0_16reverse_iteratorISI_EEEEENSH_IJSG_SG_SG_EEES9_SI_JZNS1_25segmented_radix_sort_implINS0_14default_configELb1EPKbPbPKlPlN2at6native12_GLOBAL__N_18offset_tEEE10hipError_tPvRmT1_PNSt15iterator_traitsIS12_E10value_typeET2_T3_PNS13_IS18_E10value_typeET4_jRbjT5_S1E_jjP12ihipStream_tbEUljE_ZNSN_ISO_Lb1ESQ_SR_ST_SU_SY_EESZ_S10_S11_S12_S16_S17_S18_S1B_S1C_jS1D_jS1E_S1E_jjS1G_bEUljE0_EEESZ_S10_S11_S18_S1C_S1E_T6_T7_T9_mT8_S1G_bDpT10_ENKUlT_T0_E_clISt17integral_constantIbLb0EES1T_IbLb1EEEEDaS1P_S1Q_EUlS1P_E_NS1_11comp_targetILNS1_3genE4ELNS1_11target_archE910ELNS1_3gpuE8ELNS1_3repE0EEENS1_30default_config_static_selectorELNS0_4arch9wavefront6targetE1EEEvS12_,comdat
	.globl	_ZN7rocprim17ROCPRIM_400000_NS6detail17trampoline_kernelINS0_13select_configILj256ELj13ELNS0_17block_load_methodE3ELS4_3ELS4_3ELNS0_20block_scan_algorithmE0ELj4294967295EEENS1_25partition_config_selectorILNS1_17partition_subalgoE4EjNS0_10empty_typeEbEEZZNS1_14partition_implILS8_4ELb0ES6_15HIP_vector_typeIjLj2EENS0_17counting_iteratorIjlEEPS9_SG_NS0_5tupleIJPjSI_NS0_16reverse_iteratorISI_EEEEENSH_IJSG_SG_SG_EEES9_SI_JZNS1_25segmented_radix_sort_implINS0_14default_configELb1EPKbPbPKlPlN2at6native12_GLOBAL__N_18offset_tEEE10hipError_tPvRmT1_PNSt15iterator_traitsIS12_E10value_typeET2_T3_PNS13_IS18_E10value_typeET4_jRbjT5_S1E_jjP12ihipStream_tbEUljE_ZNSN_ISO_Lb1ESQ_SR_ST_SU_SY_EESZ_S10_S11_S12_S16_S17_S18_S1B_S1C_jS1D_jS1E_S1E_jjS1G_bEUljE0_EEESZ_S10_S11_S18_S1C_S1E_T6_T7_T9_mT8_S1G_bDpT10_ENKUlT_T0_E_clISt17integral_constantIbLb0EES1T_IbLb1EEEEDaS1P_S1Q_EUlS1P_E_NS1_11comp_targetILNS1_3genE4ELNS1_11target_archE910ELNS1_3gpuE8ELNS1_3repE0EEENS1_30default_config_static_selectorELNS0_4arch9wavefront6targetE1EEEvS12_ ; -- Begin function _ZN7rocprim17ROCPRIM_400000_NS6detail17trampoline_kernelINS0_13select_configILj256ELj13ELNS0_17block_load_methodE3ELS4_3ELS4_3ELNS0_20block_scan_algorithmE0ELj4294967295EEENS1_25partition_config_selectorILNS1_17partition_subalgoE4EjNS0_10empty_typeEbEEZZNS1_14partition_implILS8_4ELb0ES6_15HIP_vector_typeIjLj2EENS0_17counting_iteratorIjlEEPS9_SG_NS0_5tupleIJPjSI_NS0_16reverse_iteratorISI_EEEEENSH_IJSG_SG_SG_EEES9_SI_JZNS1_25segmented_radix_sort_implINS0_14default_configELb1EPKbPbPKlPlN2at6native12_GLOBAL__N_18offset_tEEE10hipError_tPvRmT1_PNSt15iterator_traitsIS12_E10value_typeET2_T3_PNS13_IS18_E10value_typeET4_jRbjT5_S1E_jjP12ihipStream_tbEUljE_ZNSN_ISO_Lb1ESQ_SR_ST_SU_SY_EESZ_S10_S11_S12_S16_S17_S18_S1B_S1C_jS1D_jS1E_S1E_jjS1G_bEUljE0_EEESZ_S10_S11_S18_S1C_S1E_T6_T7_T9_mT8_S1G_bDpT10_ENKUlT_T0_E_clISt17integral_constantIbLb0EES1T_IbLb1EEEEDaS1P_S1Q_EUlS1P_E_NS1_11comp_targetILNS1_3genE4ELNS1_11target_archE910ELNS1_3gpuE8ELNS1_3repE0EEENS1_30default_config_static_selectorELNS0_4arch9wavefront6targetE1EEEvS12_
	.p2align	8
	.type	_ZN7rocprim17ROCPRIM_400000_NS6detail17trampoline_kernelINS0_13select_configILj256ELj13ELNS0_17block_load_methodE3ELS4_3ELS4_3ELNS0_20block_scan_algorithmE0ELj4294967295EEENS1_25partition_config_selectorILNS1_17partition_subalgoE4EjNS0_10empty_typeEbEEZZNS1_14partition_implILS8_4ELb0ES6_15HIP_vector_typeIjLj2EENS0_17counting_iteratorIjlEEPS9_SG_NS0_5tupleIJPjSI_NS0_16reverse_iteratorISI_EEEEENSH_IJSG_SG_SG_EEES9_SI_JZNS1_25segmented_radix_sort_implINS0_14default_configELb1EPKbPbPKlPlN2at6native12_GLOBAL__N_18offset_tEEE10hipError_tPvRmT1_PNSt15iterator_traitsIS12_E10value_typeET2_T3_PNS13_IS18_E10value_typeET4_jRbjT5_S1E_jjP12ihipStream_tbEUljE_ZNSN_ISO_Lb1ESQ_SR_ST_SU_SY_EESZ_S10_S11_S12_S16_S17_S18_S1B_S1C_jS1D_jS1E_S1E_jjS1G_bEUljE0_EEESZ_S10_S11_S18_S1C_S1E_T6_T7_T9_mT8_S1G_bDpT10_ENKUlT_T0_E_clISt17integral_constantIbLb0EES1T_IbLb1EEEEDaS1P_S1Q_EUlS1P_E_NS1_11comp_targetILNS1_3genE4ELNS1_11target_archE910ELNS1_3gpuE8ELNS1_3repE0EEENS1_30default_config_static_selectorELNS0_4arch9wavefront6targetE1EEEvS12_,@function
_ZN7rocprim17ROCPRIM_400000_NS6detail17trampoline_kernelINS0_13select_configILj256ELj13ELNS0_17block_load_methodE3ELS4_3ELS4_3ELNS0_20block_scan_algorithmE0ELj4294967295EEENS1_25partition_config_selectorILNS1_17partition_subalgoE4EjNS0_10empty_typeEbEEZZNS1_14partition_implILS8_4ELb0ES6_15HIP_vector_typeIjLj2EENS0_17counting_iteratorIjlEEPS9_SG_NS0_5tupleIJPjSI_NS0_16reverse_iteratorISI_EEEEENSH_IJSG_SG_SG_EEES9_SI_JZNS1_25segmented_radix_sort_implINS0_14default_configELb1EPKbPbPKlPlN2at6native12_GLOBAL__N_18offset_tEEE10hipError_tPvRmT1_PNSt15iterator_traitsIS12_E10value_typeET2_T3_PNS13_IS18_E10value_typeET4_jRbjT5_S1E_jjP12ihipStream_tbEUljE_ZNSN_ISO_Lb1ESQ_SR_ST_SU_SY_EESZ_S10_S11_S12_S16_S17_S18_S1B_S1C_jS1D_jS1E_S1E_jjS1G_bEUljE0_EEESZ_S10_S11_S18_S1C_S1E_T6_T7_T9_mT8_S1G_bDpT10_ENKUlT_T0_E_clISt17integral_constantIbLb0EES1T_IbLb1EEEEDaS1P_S1Q_EUlS1P_E_NS1_11comp_targetILNS1_3genE4ELNS1_11target_archE910ELNS1_3gpuE8ELNS1_3repE0EEENS1_30default_config_static_selectorELNS0_4arch9wavefront6targetE1EEEvS12_: ; @_ZN7rocprim17ROCPRIM_400000_NS6detail17trampoline_kernelINS0_13select_configILj256ELj13ELNS0_17block_load_methodE3ELS4_3ELS4_3ELNS0_20block_scan_algorithmE0ELj4294967295EEENS1_25partition_config_selectorILNS1_17partition_subalgoE4EjNS0_10empty_typeEbEEZZNS1_14partition_implILS8_4ELb0ES6_15HIP_vector_typeIjLj2EENS0_17counting_iteratorIjlEEPS9_SG_NS0_5tupleIJPjSI_NS0_16reverse_iteratorISI_EEEEENSH_IJSG_SG_SG_EEES9_SI_JZNS1_25segmented_radix_sort_implINS0_14default_configELb1EPKbPbPKlPlN2at6native12_GLOBAL__N_18offset_tEEE10hipError_tPvRmT1_PNSt15iterator_traitsIS12_E10value_typeET2_T3_PNS13_IS18_E10value_typeET4_jRbjT5_S1E_jjP12ihipStream_tbEUljE_ZNSN_ISO_Lb1ESQ_SR_ST_SU_SY_EESZ_S10_S11_S12_S16_S17_S18_S1B_S1C_jS1D_jS1E_S1E_jjS1G_bEUljE0_EEESZ_S10_S11_S18_S1C_S1E_T6_T7_T9_mT8_S1G_bDpT10_ENKUlT_T0_E_clISt17integral_constantIbLb0EES1T_IbLb1EEEEDaS1P_S1Q_EUlS1P_E_NS1_11comp_targetILNS1_3genE4ELNS1_11target_archE910ELNS1_3gpuE8ELNS1_3repE0EEENS1_30default_config_static_selectorELNS0_4arch9wavefront6targetE1EEEvS12_
; %bb.0:
	s_load_dwordx2 s[48:49], s[4:5], 0x10
	s_load_dwordx4 s[44:47], s[4:5], 0x28
	s_load_dwordx2 s[34:35], s[4:5], 0x38
	s_load_dwordx4 s[28:31], s[4:5], 0x58
	s_load_dwordx2 s[2:3], s[4:5], 0x68
	s_load_dwordx2 s[50:51], s[4:5], 0x78
	s_load_dwordx2 s[56:57], s[4:5], 0xb0
	s_load_dwordx8 s[36:43], s[4:5], 0x90
	v_cmp_eq_u32_e64 s[0:1], 0, v0
	s_and_saveexec_b64 s[6:7], s[0:1]
	s_cbranch_execz .LBB1492_4
; %bb.1:
	s_mov_b64 s[10:11], exec
	v_mbcnt_lo_u32_b32 v1, s10, 0
	v_mbcnt_hi_u32_b32 v1, s11, v1
	v_cmp_eq_u32_e32 vcc, 0, v1
                                        ; implicit-def: $vgpr2
	s_and_saveexec_b64 s[8:9], vcc
	s_cbranch_execz .LBB1492_3
; %bb.2:
	s_load_dwordx2 s[12:13], s[4:5], 0x88
	s_bcnt1_i32_b64 s10, s[10:11]
	v_mov_b32_e32 v2, 0
	v_mov_b32_e32 v3, s10
	s_waitcnt lgkmcnt(0)
	global_atomic_add v2, v2, v3, s[12:13] glc
.LBB1492_3:
	s_or_b64 exec, exec, s[8:9]
	s_waitcnt vmcnt(0)
	v_readfirstlane_b32 s8, v2
	v_add_u32_e32 v1, s8, v1
	v_mov_b32_e32 v2, 0
	ds_write_b32 v2, v1
.LBB1492_4:
	s_or_b64 exec, exec, s[6:7]
	v_mov_b32_e32 v1, 0
	s_load_dword s7, s[4:5], 0x8
	s_load_dword s6, s[4:5], 0x80
	s_waitcnt lgkmcnt(0)
	s_barrier
	ds_read_b32 v8, v1
	s_waitcnt lgkmcnt(0)
	s_barrier
	global_load_dwordx4 v[2:5], v1, s[30:31]
	v_mov_b32_e32 v7, s3
	s_movk_i32 s3, 0xd00
	s_add_i32 s8, s7, s48
	v_mul_lo_u32 v34, v8, s3
	s_add_i32 s7, s6, -1
	s_mul_i32 s3, s6, 0xd00
	s_add_u32 s4, s48, s3
	v_readfirstlane_b32 s33, v8
	s_addc_u32 s5, s49, 0
	s_cmp_eq_u32 s33, s7
	v_mov_b32_e32 v6, s2
	s_cselect_b64 s[30:31], -1, 0
	s_cmp_lg_u32 s33, s7
	v_cmp_lt_u64_e32 vcc, s[4:5], v[6:7]
	s_cselect_b64 s[4:5], -1, 0
	s_or_b64 s[4:5], vcc, s[4:5]
	v_add_u32_e32 v1, s8, v34
	s_mov_b64 s[6:7], -1
	s_and_b64 vcc, exec, s[4:5]
	v_add_u32_e32 v1, v1, v0
	s_cbranch_vccz .LBB1492_6
; %bb.5:
	v_add_u32_e32 v6, 0x100, v1
	v_lshlrev_b32_e32 v18, 2, v0
	v_add_u32_e32 v7, 0x200, v1
	v_add_u32_e32 v8, 0x300, v1
	;; [unrolled: 1-line block ×11, first 2 shown]
	ds_write2st64_b32 v18, v1, v6 offset1:4
	ds_write2st64_b32 v18, v7, v8 offset0:8 offset1:12
	ds_write2st64_b32 v18, v9, v10 offset0:16 offset1:20
	;; [unrolled: 1-line block ×5, first 2 shown]
	ds_write_b32 v18, v17 offset:12288
	s_waitcnt lgkmcnt(0)
	s_barrier
	s_mov_b64 s[6:7], 0
.LBB1492_6:
	s_andn2_b64 vcc, exec, s[6:7]
	s_add_i32 s3, s3, s48
	s_cbranch_vccnz .LBB1492_8
; %bb.7:
	v_add_u32_e32 v6, 0x100, v1
	v_lshlrev_b32_e32 v18, 2, v0
	v_add_u32_e32 v7, 0x200, v1
	v_add_u32_e32 v8, 0x300, v1
	;; [unrolled: 1-line block ×11, first 2 shown]
	ds_write2st64_b32 v18, v1, v6 offset1:4
	ds_write2st64_b32 v18, v7, v8 offset0:8 offset1:12
	ds_write2st64_b32 v18, v9, v10 offset0:16 offset1:20
	;; [unrolled: 1-line block ×5, first 2 shown]
	ds_write_b32 v18, v17 offset:12288
	s_waitcnt lgkmcnt(0)
	s_barrier
.LBB1492_8:
	v_mul_u32_u24_e32 v36, 13, v0
	v_lshlrev_b32_e32 v1, 2, v36
	ds_read2_b32 v[22:23], v1 offset1:1
	ds_read2_b32 v[20:21], v1 offset0:2 offset1:3
	ds_read2_b32 v[18:19], v1 offset0:4 offset1:5
	ds_read2_b32 v[16:17], v1 offset0:6 offset1:7
	ds_read2_b32 v[14:15], v1 offset0:8 offset1:9
	ds_read2_b32 v[12:13], v1 offset0:10 offset1:11
	ds_read_b32 v35, v1 offset:48
	v_cndmask_b32_e64 v1, 0, 1, s[4:5]
	s_sub_i32 s86, s2, s3
	v_cmp_ne_u32_e64 s[2:3], 1, v1
	s_andn2_b64 vcc, exec, s[4:5]
	s_waitcnt lgkmcnt(0)
	s_barrier
	s_cbranch_vccnz .LBB1492_36
; %bb.9:
	v_add_u32_e32 v1, s37, v22
	v_add_u32_e32 v6, s39, v22
	v_mul_lo_u32 v1, v1, s36
	v_mul_lo_u32 v6, v6, s38
	v_sub_u32_e32 v1, v1, v6
	v_cmp_lt_u32_e32 vcc, s40, v1
	v_cmp_ge_u32_e64 s[4:5], s40, v1
	s_mov_b64 s[60:61], 0
	s_mov_b64 s[58:59], 0
	s_and_saveexec_b64 s[6:7], s[4:5]
; %bb.10:
	v_add_u32_e32 v1, s42, v22
	v_add_u32_e32 v6, s56, v22
	v_mul_lo_u32 v1, v1, s41
	v_mul_lo_u32 v6, v6, s43
	v_sub_u32_e32 v1, v1, v6
	v_cmp_lt_u32_e64 s[4:5], s57, v1
	s_and_b64 s[58:59], s[4:5], exec
; %bb.11:
	s_or_b64 exec, exec, s[6:7]
	v_add_u32_e32 v1, s37, v23
	v_add_u32_e32 v6, s39, v23
	v_mul_lo_u32 v1, v1, s36
	v_mul_lo_u32 v6, v6, s38
	v_sub_u32_e32 v1, v1, v6
	v_cmp_lt_u32_e64 s[4:5], s40, v1
	v_cmp_ge_u32_e64 s[6:7], s40, v1
	s_and_saveexec_b64 s[8:9], s[6:7]
; %bb.12:
	v_add_u32_e32 v1, s42, v23
	v_add_u32_e32 v6, s56, v23
	v_mul_lo_u32 v1, v1, s41
	v_mul_lo_u32 v6, v6, s43
	v_sub_u32_e32 v1, v1, v6
	v_cmp_lt_u32_e64 s[6:7], s57, v1
	s_and_b64 s[60:61], s[6:7], exec
; %bb.13:
	s_or_b64 exec, exec, s[8:9]
	v_add_u32_e32 v1, s37, v20
	v_add_u32_e32 v6, s39, v20
	v_mul_lo_u32 v1, v1, s36
	v_mul_lo_u32 v6, v6, s38
	v_sub_u32_e32 v1, v1, v6
	v_cmp_lt_u32_e64 s[6:7], s40, v1
	v_cmp_ge_u32_e64 s[8:9], s40, v1
	s_mov_b64 s[64:65], 0
	s_mov_b64 s[62:63], 0
	s_and_saveexec_b64 s[10:11], s[8:9]
; %bb.14:
	v_add_u32_e32 v1, s42, v20
	v_add_u32_e32 v6, s56, v20
	v_mul_lo_u32 v1, v1, s41
	v_mul_lo_u32 v6, v6, s43
	v_sub_u32_e32 v1, v1, v6
	v_cmp_lt_u32_e64 s[8:9], s57, v1
	s_and_b64 s[62:63], s[8:9], exec
; %bb.15:
	s_or_b64 exec, exec, s[10:11]
	v_add_u32_e32 v1, s37, v21
	v_add_u32_e32 v6, s39, v21
	v_mul_lo_u32 v1, v1, s36
	v_mul_lo_u32 v6, v6, s38
	v_sub_u32_e32 v1, v1, v6
	v_cmp_lt_u32_e64 s[8:9], s40, v1
	v_cmp_ge_u32_e64 s[10:11], s40, v1
	s_and_saveexec_b64 s[12:13], s[10:11]
; %bb.16:
	v_add_u32_e32 v1, s42, v21
	v_add_u32_e32 v6, s56, v21
	v_mul_lo_u32 v1, v1, s41
	v_mul_lo_u32 v6, v6, s43
	v_sub_u32_e32 v1, v1, v6
	v_cmp_lt_u32_e64 s[10:11], s57, v1
	s_and_b64 s[64:65], s[10:11], exec
; %bb.17:
	s_or_b64 exec, exec, s[12:13]
	v_add_u32_e32 v1, s37, v18
	v_add_u32_e32 v6, s39, v18
	v_mul_lo_u32 v1, v1, s36
	v_mul_lo_u32 v6, v6, s38
	v_sub_u32_e32 v1, v1, v6
	v_cmp_lt_u32_e64 s[10:11], s40, v1
	;; [unrolled: 38-line block ×5, first 2 shown]
	v_cmp_ge_u32_e64 s[24:25], s40, v1
	s_mov_b64 s[80:81], 0
	s_mov_b64 s[82:83], 0
	s_and_saveexec_b64 s[26:27], s[24:25]
; %bb.30:
	v_add_u32_e32 v1, s42, v12
	v_add_u32_e32 v6, s56, v12
	v_mul_lo_u32 v1, v1, s41
	v_mul_lo_u32 v6, v6, s43
	v_sub_u32_e32 v1, v1, v6
	v_cmp_lt_u32_e64 s[24:25], s57, v1
	s_and_b64 s[82:83], s[24:25], exec
; %bb.31:
	s_or_b64 exec, exec, s[26:27]
	v_add_u32_e32 v1, s37, v13
	v_add_u32_e32 v6, s39, v13
	v_mul_lo_u32 v1, v1, s36
	v_mul_lo_u32 v6, v6, s38
	v_sub_u32_e32 v1, v1, v6
	v_cmp_lt_u32_e64 s[24:25], s40, v1
	v_cmp_ge_u32_e64 s[26:27], s40, v1
	s_and_saveexec_b64 s[52:53], s[26:27]
; %bb.32:
	v_add_u32_e32 v1, s42, v13
	v_add_u32_e32 v6, s56, v13
	v_mul_lo_u32 v1, v1, s41
	v_mul_lo_u32 v6, v6, s43
	v_sub_u32_e32 v1, v1, v6
	v_cmp_lt_u32_e64 s[26:27], s57, v1
	s_and_b64 s[80:81], s[26:27], exec
; %bb.33:
	s_or_b64 exec, exec, s[52:53]
	v_add_u32_e32 v1, s37, v35
	v_add_u32_e32 v6, s39, v35
	v_mul_lo_u32 v1, v1, s36
	v_mul_lo_u32 v6, v6, s38
	v_sub_u32_e32 v1, v1, v6
	v_cmp_ge_u32_e64 s[26:27], s40, v1
	s_mov_b64 s[52:53], -1
	s_mov_b64 s[74:75], 0
	s_mov_b64 s[54:55], 0
	s_and_saveexec_b64 s[84:85], s[26:27]
; %bb.34:
	v_add_u32_e32 v1, s42, v35
	v_add_u32_e32 v6, s56, v35
	v_mul_lo_u32 v1, v1, s41
	v_mul_lo_u32 v6, v6, s43
	v_sub_u32_e32 v1, v1, v6
	v_cmp_lt_u32_e64 s[26:27], s57, v1
	s_and_b64 s[54:55], s[26:27], exec
	s_xor_b64 s[52:53], exec, -1
; %bb.35:
	s_or_b64 exec, exec, s[84:85]
	v_cndmask_b32_e64 v57, 0, 1, s[82:83]
	v_cndmask_b32_e64 v60, 0, 1, s[24:25]
	;; [unrolled: 1-line block ×22, first 2 shown]
	v_cndmask_b32_e64 v37, 0, 1, vcc
	v_cndmask_b32_e64 v59, 0, 1, s[80:81]
	s_add_i32 s16, s86, 0xd00
	s_and_b64 vcc, exec, s[74:75]
	s_cbranch_vccnz .LBB1492_37
	s_branch .LBB1492_90
.LBB1492_36:
                                        ; implicit-def: $sgpr52_sgpr53
                                        ; implicit-def: $sgpr54_sgpr55
                                        ; implicit-def: $vgpr59
                                        ; implicit-def: $vgpr57
                                        ; implicit-def: $vgpr55
                                        ; implicit-def: $vgpr53
                                        ; implicit-def: $vgpr51
                                        ; implicit-def: $vgpr49
                                        ; implicit-def: $vgpr47
                                        ; implicit-def: $vgpr45
                                        ; implicit-def: $vgpr43
                                        ; implicit-def: $vgpr37
                                        ; implicit-def: $vgpr39
                                        ; implicit-def: $vgpr41
                                        ; implicit-def: $vgpr44
                                        ; implicit-def: $vgpr46
                                        ; implicit-def: $vgpr48
                                        ; implicit-def: $vgpr50
                                        ; implicit-def: $vgpr52
                                        ; implicit-def: $vgpr54
                                        ; implicit-def: $vgpr56
                                        ; implicit-def: $vgpr58
                                        ; implicit-def: $vgpr60
                                        ; implicit-def: $vgpr38
                                        ; implicit-def: $vgpr40
                                        ; implicit-def: $vgpr42
	s_add_i32 s16, s86, 0xd00
	s_cbranch_execz .LBB1492_90
.LBB1492_37:
	v_cmp_gt_u32_e32 vcc, s16, v36
	v_mov_b32_e32 v38, 0
	v_mov_b32_e32 v37, 0
	s_and_saveexec_b64 s[6:7], vcc
	s_cbranch_execz .LBB1492_41
; %bb.38:
	v_add_u32_e32 v1, s37, v22
	v_add_u32_e32 v6, s39, v22
	v_mul_lo_u32 v1, v1, s36
	v_mul_lo_u32 v6, v6, s38
	v_sub_u32_e32 v1, v1, v6
	v_cmp_lt_u32_e32 vcc, s40, v1
	v_cmp_ge_u32_e64 s[4:5], s40, v1
	s_mov_b64 s[10:11], 0
	s_and_saveexec_b64 s[8:9], s[4:5]
; %bb.39:
	v_add_u32_e32 v1, s42, v22
	v_add_u32_e32 v6, s56, v22
	v_mul_lo_u32 v1, v1, s41
	v_mul_lo_u32 v6, v6, s43
	v_sub_u32_e32 v1, v1, v6
	v_cmp_lt_u32_e64 s[4:5], s57, v1
	s_and_b64 s[10:11], s[4:5], exec
; %bb.40:
	s_or_b64 exec, exec, s[8:9]
	v_cndmask_b32_e64 v37, 0, 1, vcc
	v_cndmask_b32_e64 v38, 0, 1, s[10:11]
.LBB1492_41:
	s_or_b64 exec, exec, s[6:7]
	v_add_u32_e32 v1, 1, v36
	v_cmp_gt_u32_e32 vcc, s16, v1
	v_mov_b32_e32 v39, 0
	v_mov_b32_e32 v40, 0
	s_and_saveexec_b64 s[6:7], vcc
	s_cbranch_execz .LBB1492_45
; %bb.42:
	v_add_u32_e32 v1, s37, v23
	v_add_u32_e32 v6, s39, v23
	v_mul_lo_u32 v1, v1, s36
	v_mul_lo_u32 v6, v6, s38
	v_sub_u32_e32 v1, v1, v6
	v_cmp_lt_u32_e32 vcc, s40, v1
	v_cmp_ge_u32_e64 s[4:5], s40, v1
	s_mov_b64 s[10:11], 0
	s_and_saveexec_b64 s[8:9], s[4:5]
; %bb.43:
	v_add_u32_e32 v1, s42, v23
	v_add_u32_e32 v6, s56, v23
	v_mul_lo_u32 v1, v1, s41
	v_mul_lo_u32 v6, v6, s43
	v_sub_u32_e32 v1, v1, v6
	v_cmp_lt_u32_e64 s[4:5], s57, v1
	s_and_b64 s[10:11], s[4:5], exec
; %bb.44:
	s_or_b64 exec, exec, s[8:9]
	v_cndmask_b32_e64 v39, 0, 1, vcc
	v_cndmask_b32_e64 v40, 0, 1, s[10:11]
.LBB1492_45:
	s_or_b64 exec, exec, s[6:7]
	v_add_u32_e32 v1, 2, v36
	;; [unrolled: 30-line block ×12, first 2 shown]
	v_cmp_gt_u32_e32 vcc, s16, v1
	s_mov_b64 s[52:53], 0
	s_mov_b64 s[54:55], 0
	s_and_saveexec_b64 s[4:5], vcc
	s_cbranch_execz .LBB1492_89
; %bb.86:
	v_add_u32_e32 v1, s37, v35
	v_add_u32_e32 v6, s39, v35
	v_mul_lo_u32 v1, v1, s36
	v_mul_lo_u32 v6, v6, s38
	v_sub_u32_e32 v1, v1, v6
	v_cmp_ge_u32_e32 vcc, s40, v1
	s_mov_b64 s[8:9], -1
	s_mov_b64 s[10:11], 0
	s_and_saveexec_b64 s[6:7], vcc
; %bb.87:
	v_add_u32_e32 v1, s42, v35
	v_add_u32_e32 v6, s56, v35
	v_mul_lo_u32 v1, v1, s41
	v_mul_lo_u32 v6, v6, s43
	v_sub_u32_e32 v1, v1, v6
	v_cmp_lt_u32_e32 vcc, s57, v1
	s_and_b64 s[10:11], vcc, exec
	s_xor_b64 s[8:9], exec, -1
; %bb.88:
	s_or_b64 exec, exec, s[6:7]
	s_and_b64 s[54:55], s[10:11], exec
	s_and_b64 s[52:53], s[8:9], exec
.LBB1492_89:
	s_or_b64 exec, exec, s[4:5]
.LBB1492_90:
	v_and_b32_e32 v68, 0xff, v38
	v_and_b32_e32 v79, 0xff, v40
	;; [unrolled: 1-line block ×5, first 2 shown]
	v_add3_u32 v6, v79, v70, v68
	v_and_b32_e32 v81, 0xff, v47
	v_and_b32_e32 v74, 0xff, v49
	v_add3_u32 v6, v6, v80, v72
	v_and_b32_e32 v67, 0xff, v37
	v_and_b32_e32 v61, 0xff, v39
	;; [unrolled: 1-line block ×5, first 2 shown]
	v_add3_u32 v6, v6, v81, v74
	v_and_b32_e32 v62, 0xff, v44
	v_and_b32_e32 v71, 0xff, v46
	;; [unrolled: 1-line block ×4, first 2 shown]
	v_add3_u32 v7, v61, v69, v67
	v_add3_u32 v6, v6, v82, v76
	v_and_b32_e32 v63, 0xff, v48
	v_and_b32_e32 v73, 0xff, v50
	;; [unrolled: 1-line block ×3, first 2 shown]
	v_cndmask_b32_e64 v1, 0, 1, s[54:55]
	v_add3_u32 v7, v7, v62, v71
	v_add3_u32 v6, v6, v83, v78
	v_and_b32_e32 v64, 0xff, v52
	v_and_b32_e32 v75, 0xff, v54
	v_add3_u32 v7, v7, v63, v73
	v_add3_u32 v91, v6, v84, v1
	v_mbcnt_lo_u32_b32 v1, -1, 0
	v_and_b32_e32 v65, 0xff, v56
	v_and_b32_e32 v77, 0xff, v58
	v_add3_u32 v7, v7, v64, v75
	v_mbcnt_hi_u32_b32 v85, -1, v1
	v_and_b32_e32 v66, 0xff, v60
	v_add3_u32 v7, v7, v65, v77
	v_cndmask_b32_e64 v8, 0, 1, s[52:53]
	v_and_b32_e32 v89, 15, v85
	s_cmp_lg_u32 s33, 0
	v_add3_u32 v90, v7, v66, v8
	v_cmp_eq_u32_e64 s[6:7], 0, v89
	v_cmp_lt_u32_e64 s[4:5], 1, v89
	v_cmp_lt_u32_e64 s[10:11], 3, v89
	v_cmp_lt_u32_e64 s[8:9], 7, v89
	v_and_b32_e32 v88, 16, v85
	v_cmp_lt_u32_e32 vcc, 31, v85
	v_lshrrev_b32_e32 v86, 6, v0
	v_or_b32_e32 v87, 63, v0
	s_cbranch_scc0 .LBB1492_119
; %bb.91:
	v_mov_b32_dpp v1, v90 row_shr:1 row_mask:0xf bank_mask:0xf
	v_mov_b32_dpp v6, v91 row_shr:1 row_mask:0xf bank_mask:0xf
	v_add_u32_e32 v1, v1, v90
	v_add_u32_e32 v6, v6, v91
	v_cndmask_b32_e64 v6, v6, v91, s[6:7]
	v_cndmask_b32_e64 v1, v1, v90, s[6:7]
	s_nop 0
	v_mov_b32_dpp v8, v6 row_shr:2 row_mask:0xf bank_mask:0xf
	v_mov_b32_dpp v7, v1 row_shr:2 row_mask:0xf bank_mask:0xf
	v_add_u32_e32 v7, v1, v7
	v_add_u32_e32 v8, v6, v8
	v_cndmask_b32_e64 v6, v6, v8, s[4:5]
	v_cndmask_b32_e64 v1, v1, v7, s[4:5]
	s_nop 0
	v_mov_b32_dpp v8, v6 row_shr:4 row_mask:0xf bank_mask:0xf
	v_mov_b32_dpp v7, v1 row_shr:4 row_mask:0xf bank_mask:0xf
	v_add_u32_e32 v7, v1, v7
	v_add_u32_e32 v8, v6, v8
	v_cndmask_b32_e64 v6, v6, v8, s[10:11]
	v_cndmask_b32_e64 v1, v1, v7, s[10:11]
	s_nop 0
	v_mov_b32_dpp v8, v6 row_shr:8 row_mask:0xf bank_mask:0xf
	v_mov_b32_dpp v7, v1 row_shr:8 row_mask:0xf bank_mask:0xf
	v_add_u32_e32 v7, v1, v7
	v_add_u32_e32 v8, v6, v8
	v_cndmask_b32_e64 v6, v6, v8, s[8:9]
	v_cndmask_b32_e64 v1, v1, v7, s[8:9]
	v_cmp_eq_u32_e64 s[8:9], 0, v88
	v_mov_b32_dpp v8, v6 row_bcast:15 row_mask:0xf bank_mask:0xf
	v_mov_b32_dpp v7, v1 row_bcast:15 row_mask:0xf bank_mask:0xf
	v_add_u32_e32 v7, v1, v7
	v_add_u32_e32 v8, v6, v8
	v_cndmask_b32_e64 v6, v8, v6, s[8:9]
	v_cndmask_b32_e64 v1, v7, v1, s[8:9]
	s_nop 0
	v_mov_b32_dpp v8, v6 row_bcast:31 row_mask:0xf bank_mask:0xf
	v_mov_b32_dpp v7, v1 row_bcast:31 row_mask:0xf bank_mask:0xf
	v_add_u32_e32 v8, v6, v8
	v_add_u32_e32 v9, v1, v7
	v_cndmask_b32_e32 v7, v6, v8, vcc
	v_cndmask_b32_e32 v6, v1, v9, vcc
	v_cmp_eq_u32_e32 vcc, v87, v0
	s_and_saveexec_b64 s[8:9], vcc
	s_cbranch_execz .LBB1492_93
; %bb.92:
	v_lshlrev_b32_e32 v1, 3, v86
	ds_write_b64 v1, v[6:7]
.LBB1492_93:
	s_or_b64 exec, exec, s[8:9]
	v_cmp_gt_u32_e32 vcc, 4, v0
	s_waitcnt lgkmcnt(0)
	s_barrier
	s_and_saveexec_b64 s[8:9], vcc
	s_cbranch_execz .LBB1492_95
; %bb.94:
	v_lshlrev_b32_e32 v1, 3, v0
	ds_read_b64 v[8:9], v1
	v_and_b32_e32 v10, 3, v85
	v_cmp_eq_u32_e32 vcc, 0, v10
	s_waitcnt lgkmcnt(0)
	v_mov_b32_dpp v11, v8 row_shr:1 row_mask:0xf bank_mask:0xf
	v_mov_b32_dpp v24, v9 row_shr:1 row_mask:0xf bank_mask:0xf
	v_add_u32_e32 v11, v11, v8
	v_add_u32_e32 v24, v24, v9
	v_cndmask_b32_e32 v9, v24, v9, vcc
	v_cndmask_b32_e32 v8, v11, v8, vcc
	v_cmp_lt_u32_e32 vcc, 1, v10
	v_mov_b32_dpp v24, v9 row_shr:2 row_mask:0xf bank_mask:0xf
	v_mov_b32_dpp v11, v8 row_shr:2 row_mask:0xf bank_mask:0xf
	v_cndmask_b32_e32 v10, 0, v11, vcc
	v_cndmask_b32_e32 v11, 0, v24, vcc
	v_add_u32_e32 v9, v11, v9
	v_add_u32_e32 v8, v10, v8
	ds_write_b64 v1, v[8:9]
.LBB1492_95:
	s_or_b64 exec, exec, s[8:9]
	v_cmp_gt_u32_e32 vcc, 64, v0
	v_cmp_lt_u32_e64 s[8:9], 63, v0
	s_waitcnt lgkmcnt(0)
	s_barrier
	s_waitcnt lgkmcnt(0)
                                        ; implicit-def: $vgpr25
	s_and_saveexec_b64 s[10:11], s[8:9]
	s_xor_b64 s[8:9], exec, s[10:11]
	s_cbranch_execz .LBB1492_97
; %bb.96:
	v_lshl_add_u32 v1, v86, 3, -8
	ds_read_b64 v[24:25], v1
	s_waitcnt lgkmcnt(0)
	v_add_u32_e32 v7, v25, v7
	v_add_u32_e32 v6, v24, v6
.LBB1492_97:
	s_andn2_saveexec_b64 s[8:9], s[8:9]
; %bb.98:
                                        ; implicit-def: $vgpr24
; %bb.99:
	s_or_b64 exec, exec, s[8:9]
	v_add_u32_e32 v1, -1, v85
	v_and_b32_e32 v8, 64, v85
	v_cmp_lt_i32_e64 s[8:9], v1, v8
	v_cndmask_b32_e64 v1, v1, v85, s[8:9]
	v_lshlrev_b32_e32 v8, 2, v1
	ds_bpermute_b32 v1, v8, v6
	ds_bpermute_b32 v92, v8, v7
	v_cmp_eq_u32_e64 s[8:9], 0, v85
	s_and_saveexec_b64 s[10:11], vcc
	s_cbranch_execz .LBB1492_118
; %bb.100:
	v_mov_b32_e32 v11, 0
	ds_read_b64 v[26:27], v11 offset:24
	s_and_saveexec_b64 s[12:13], s[8:9]
	s_cbranch_execz .LBB1492_102
; %bb.101:
	s_add_i32 s14, s33, 64
	s_mov_b32 s15, 0
	s_lshl_b64 s[14:15], s[14:15], 4
	s_waitcnt lgkmcnt(0)
	v_and_b32_e32 v6, 0xff000000, v27
	v_and_b32_e32 v7, 0xff0000, v27
	s_add_u32 s14, s50, s14
	v_or_b32_e32 v6, v7, v6
	v_and_b32_e32 v7, 0xff00, v27
	s_addc_u32 s15, s51, s15
	v_or_b32_e32 v6, v6, v7
	v_or_b32_sdwa v9, v6, v27 dst_sel:DWORD dst_unused:UNUSED_PAD src0_sel:DWORD src1_sel:BYTE_0
	v_mov_b32_e32 v10, 1
	v_mov_b32_e32 v8, v26
	v_pk_mov_b32 v[6:7], s[14:15], s[14:15] op_sel:[0,1]
	;;#ASMSTART
	global_store_dwordx4 v[6:7], v[8:11] off	
s_waitcnt vmcnt(0)
	;;#ASMEND
.LBB1492_102:
	s_or_b64 exec, exec, s[12:13]
	v_xad_u32 v28, v85, -1, s33
	v_add_u32_e32 v10, 64, v28
	v_lshlrev_b64 v[6:7], 4, v[10:11]
	v_mov_b32_e32 v8, s51
	v_add_co_u32_e32 v30, vcc, s50, v6
	v_addc_co_u32_e32 v31, vcc, v8, v7, vcc
	;;#ASMSTART
	global_load_dwordx4 v[6:9], v[30:31] off glc	
s_waitcnt vmcnt(0)
	;;#ASMEND
	v_and_b32_e32 v9, 0xff, v7
	v_and_b32_e32 v10, 0xff00, v7
	v_or3_b32 v9, 0, v9, v10
	v_or3_b32 v6, v6, 0, 0
	v_and_b32_e32 v10, 0xff000000, v7
	v_and_b32_e32 v7, 0xff0000, v7
	v_or3_b32 v7, v9, v7, v10
	v_or3_b32 v6, v6, 0, 0
	v_cmp_eq_u16_sdwa s[14:15], v8, v11 src0_sel:BYTE_0 src1_sel:DWORD
	s_and_saveexec_b64 s[12:13], s[14:15]
	s_cbranch_execz .LBB1492_106
; %bb.103:
	s_mov_b64 s[14:15], 0
	v_mov_b32_e32 v10, 0
.LBB1492_104:                           ; =>This Inner Loop Header: Depth=1
	;;#ASMSTART
	global_load_dwordx4 v[6:9], v[30:31] off glc	
s_waitcnt vmcnt(0)
	;;#ASMEND
	v_cmp_ne_u16_sdwa s[18:19], v8, v10 src0_sel:BYTE_0 src1_sel:DWORD
	s_or_b64 s[14:15], s[18:19], s[14:15]
	s_andn2_b64 exec, exec, s[14:15]
	s_cbranch_execnz .LBB1492_104
; %bb.105:
	s_or_b64 exec, exec, s[14:15]
.LBB1492_106:
	s_or_b64 exec, exec, s[12:13]
	v_and_b32_e32 v94, 63, v85
	v_cmp_ne_u32_e32 vcc, 63, v94
	v_mov_b32_e32 v93, 2
	v_addc_co_u32_e32 v30, vcc, 0, v85, vcc
	v_cmp_eq_u16_sdwa s[12:13], v8, v93 src0_sel:BYTE_0 src1_sel:DWORD
	v_lshlrev_b64 v[10:11], v85, -1
	v_lshlrev_b32_e32 v95, 2, v30
	v_and_b32_e32 v9, s13, v11
	ds_bpermute_b32 v30, v95, v6
	ds_bpermute_b32 v31, v95, v7
	v_or_b32_e32 v9, 0x80000000, v9
	v_and_b32_e32 v29, s12, v10
	v_ffbl_b32_e32 v9, v9
	v_add_u32_e32 v9, 32, v9
	v_ffbl_b32_e32 v29, v29
	v_min_u32_e32 v9, v29, v9
	s_waitcnt lgkmcnt(1)
	v_add_u32_e32 v29, v30, v6
	s_waitcnt lgkmcnt(0)
	v_add_u32_e32 v30, v31, v7
	v_cmp_lt_u32_e32 vcc, v94, v9
	v_cndmask_b32_e32 v7, v7, v30, vcc
	v_cndmask_b32_e32 v6, v6, v29, vcc
	v_cmp_gt_u32_e32 vcc, 62, v94
	v_cndmask_b32_e64 v29, 0, 1, vcc
	v_lshlrev_b32_e32 v29, 1, v29
	v_add_lshl_u32 v96, v29, v85, 2
	ds_bpermute_b32 v29, v96, v6
	ds_bpermute_b32 v30, v96, v7
	v_add_u32_e32 v97, 2, v94
	v_cmp_gt_u32_e32 vcc, v97, v9
	v_add_u32_e32 v99, 4, v94
	s_waitcnt lgkmcnt(1)
	v_add_u32_e32 v29, v6, v29
	s_waitcnt lgkmcnt(0)
	v_add_u32_e32 v30, v7, v30
	v_cndmask_b32_e32 v7, v30, v7, vcc
	v_cndmask_b32_e32 v6, v29, v6, vcc
	v_cmp_gt_u32_e32 vcc, 60, v94
	v_cndmask_b32_e64 v29, 0, 1, vcc
	v_lshlrev_b32_e32 v29, 2, v29
	v_add_lshl_u32 v98, v29, v85, 2
	ds_bpermute_b32 v29, v98, v6
	ds_bpermute_b32 v30, v98, v7
	v_cmp_gt_u32_e32 vcc, v99, v9
	v_add_u32_e32 v101, 8, v94
	v_add_u32_e32 v103, 16, v94
	s_waitcnt lgkmcnt(1)
	v_add_u32_e32 v29, v6, v29
	s_waitcnt lgkmcnt(0)
	v_add_u32_e32 v30, v7, v30
	v_cndmask_b32_e32 v7, v30, v7, vcc
	v_cndmask_b32_e32 v6, v29, v6, vcc
	v_cmp_gt_u32_e32 vcc, 56, v94
	v_cndmask_b32_e64 v29, 0, 1, vcc
	v_lshlrev_b32_e32 v29, 3, v29
	v_add_lshl_u32 v100, v29, v85, 2
	ds_bpermute_b32 v29, v100, v6
	ds_bpermute_b32 v30, v100, v7
	v_cmp_gt_u32_e32 vcc, v101, v9
	v_add_u32_e32 v105, 32, v94
	s_waitcnt lgkmcnt(1)
	v_add_u32_e32 v29, v6, v29
	s_waitcnt lgkmcnt(0)
	v_add_u32_e32 v30, v7, v30
	v_cndmask_b32_e32 v7, v30, v7, vcc
	v_cndmask_b32_e32 v6, v29, v6, vcc
	v_cmp_gt_u32_e32 vcc, 48, v94
	v_cndmask_b32_e64 v29, 0, 1, vcc
	v_lshlrev_b32_e32 v29, 4, v29
	v_add_lshl_u32 v102, v29, v85, 2
	ds_bpermute_b32 v29, v102, v6
	ds_bpermute_b32 v30, v102, v7
	v_cmp_gt_u32_e32 vcc, v103, v9
	s_waitcnt lgkmcnt(1)
	v_add_u32_e32 v29, v6, v29
	s_waitcnt lgkmcnt(0)
	v_add_u32_e32 v30, v7, v30
	v_cndmask_b32_e32 v7, v30, v7, vcc
	v_cndmask_b32_e32 v6, v29, v6, vcc
	v_cmp_gt_u32_e32 vcc, 32, v94
	v_cndmask_b32_e64 v29, 0, 1, vcc
	v_lshlrev_b32_e32 v29, 5, v29
	v_add_lshl_u32 v104, v29, v85, 2
	ds_bpermute_b32 v29, v104, v6
	ds_bpermute_b32 v30, v104, v7
	v_cmp_le_u32_e32 vcc, v105, v9
	s_waitcnt lgkmcnt(1)
	v_cndmask_b32_e32 v9, 0, v29, vcc
	s_waitcnt lgkmcnt(0)
	v_cndmask_b32_e32 v29, 0, v30, vcc
	v_add_u32_e32 v7, v7, v29
	v_add_u32_e32 v6, v6, v9
	v_mov_b32_e32 v29, 0
	s_branch .LBB1492_108
.LBB1492_107:                           ;   in Loop: Header=BB1492_108 Depth=1
	s_or_b64 exec, exec, s[12:13]
	v_cmp_eq_u16_sdwa s[12:13], v8, v93 src0_sel:BYTE_0 src1_sel:DWORD
	v_and_b32_e32 v9, s13, v11
	ds_bpermute_b32 v33, v95, v6
	ds_bpermute_b32 v106, v95, v7
	v_or_b32_e32 v9, 0x80000000, v9
	v_and_b32_e32 v32, s12, v10
	v_ffbl_b32_e32 v9, v9
	v_add_u32_e32 v9, 32, v9
	v_ffbl_b32_e32 v32, v32
	v_min_u32_e32 v9, v32, v9
	s_waitcnt lgkmcnt(1)
	v_add_u32_e32 v32, v33, v6
	s_waitcnt lgkmcnt(0)
	v_add_u32_e32 v33, v106, v7
	v_cmp_lt_u32_e32 vcc, v94, v9
	v_cndmask_b32_e32 v7, v7, v33, vcc
	v_cndmask_b32_e32 v6, v6, v32, vcc
	ds_bpermute_b32 v32, v96, v6
	ds_bpermute_b32 v33, v96, v7
	v_cmp_gt_u32_e32 vcc, v97, v9
	v_subrev_u32_e32 v28, 64, v28
	s_waitcnt lgkmcnt(1)
	v_add_u32_e32 v32, v6, v32
	s_waitcnt lgkmcnt(0)
	v_add_u32_e32 v33, v7, v33
	v_cndmask_b32_e32 v7, v33, v7, vcc
	v_cndmask_b32_e32 v6, v32, v6, vcc
	ds_bpermute_b32 v32, v98, v6
	ds_bpermute_b32 v33, v98, v7
	v_cmp_gt_u32_e32 vcc, v99, v9
	s_waitcnt lgkmcnt(1)
	v_add_u32_e32 v32, v6, v32
	s_waitcnt lgkmcnt(0)
	v_add_u32_e32 v33, v7, v33
	v_cndmask_b32_e32 v7, v33, v7, vcc
	v_cndmask_b32_e32 v6, v32, v6, vcc
	ds_bpermute_b32 v32, v100, v6
	ds_bpermute_b32 v33, v100, v7
	v_cmp_gt_u32_e32 vcc, v101, v9
	;; [unrolled: 9-line block ×3, first 2 shown]
	s_waitcnt lgkmcnt(1)
	v_add_u32_e32 v32, v6, v32
	s_waitcnt lgkmcnt(0)
	v_add_u32_e32 v33, v7, v33
	v_cndmask_b32_e32 v7, v33, v7, vcc
	v_cndmask_b32_e32 v6, v32, v6, vcc
	ds_bpermute_b32 v32, v104, v6
	ds_bpermute_b32 v33, v104, v7
	v_cmp_le_u32_e32 vcc, v105, v9
	s_waitcnt lgkmcnt(1)
	v_cndmask_b32_e32 v9, 0, v32, vcc
	s_waitcnt lgkmcnt(0)
	v_cndmask_b32_e32 v32, 0, v33, vcc
	v_add3_u32 v7, v32, v31, v7
	v_add3_u32 v6, v9, v30, v6
.LBB1492_108:                           ; =>This Loop Header: Depth=1
                                        ;     Child Loop BB1492_111 Depth 2
	v_cmp_ne_u16_sdwa s[12:13], v8, v93 src0_sel:BYTE_0 src1_sel:DWORD
	v_cndmask_b32_e64 v8, 0, 1, s[12:13]
	;;#ASMSTART
	;;#ASMEND
	v_cmp_ne_u32_e32 vcc, 0, v8
	s_cmp_lg_u64 vcc, exec
	v_pk_mov_b32 v[30:31], v[6:7], v[6:7] op_sel:[0,1]
	s_cbranch_scc1 .LBB1492_113
; %bb.109:                              ;   in Loop: Header=BB1492_108 Depth=1
	v_lshlrev_b64 v[6:7], 4, v[28:29]
	v_mov_b32_e32 v8, s51
	v_add_co_u32_e32 v32, vcc, s50, v6
	v_addc_co_u32_e32 v33, vcc, v8, v7, vcc
	;;#ASMSTART
	global_load_dwordx4 v[6:9], v[32:33] off glc	
s_waitcnt vmcnt(0)
	;;#ASMEND
	v_and_b32_e32 v9, 0xff, v7
	v_and_b32_e32 v106, 0xff00, v7
	v_or3_b32 v9, 0, v9, v106
	v_or3_b32 v6, v6, 0, 0
	v_and_b32_e32 v106, 0xff000000, v7
	v_and_b32_e32 v7, 0xff0000, v7
	v_or3_b32 v7, v9, v7, v106
	v_or3_b32 v6, v6, 0, 0
	v_cmp_eq_u16_sdwa s[14:15], v8, v29 src0_sel:BYTE_0 src1_sel:DWORD
	s_and_saveexec_b64 s[12:13], s[14:15]
	s_cbranch_execz .LBB1492_107
; %bb.110:                              ;   in Loop: Header=BB1492_108 Depth=1
	s_mov_b64 s[14:15], 0
.LBB1492_111:                           ;   Parent Loop BB1492_108 Depth=1
                                        ; =>  This Inner Loop Header: Depth=2
	;;#ASMSTART
	global_load_dwordx4 v[6:9], v[32:33] off glc	
s_waitcnt vmcnt(0)
	;;#ASMEND
	v_cmp_ne_u16_sdwa s[18:19], v8, v29 src0_sel:BYTE_0 src1_sel:DWORD
	s_or_b64 s[14:15], s[18:19], s[14:15]
	s_andn2_b64 exec, exec, s[14:15]
	s_cbranch_execnz .LBB1492_111
; %bb.112:                              ;   in Loop: Header=BB1492_108 Depth=1
	s_or_b64 exec, exec, s[14:15]
	s_branch .LBB1492_107
.LBB1492_113:                           ;   in Loop: Header=BB1492_108 Depth=1
                                        ; implicit-def: $vgpr8
                                        ; implicit-def: $vgpr6_vgpr7
	s_cbranch_execz .LBB1492_108
; %bb.114:
	s_and_saveexec_b64 s[12:13], s[8:9]
	s_cbranch_execz .LBB1492_116
; %bb.115:
	s_add_i32 s14, s33, 64
	s_mov_b32 s15, 0
	v_add_u32_e32 v7, v31, v27
	s_lshl_b64 s[14:15], s[14:15], 4
	s_add_u32 s14, s50, s14
	v_and_b32_e32 v8, 0xff000000, v7
	v_and_b32_e32 v10, 0xff0000, v7
	s_addc_u32 s15, s51, s15
	v_or_b32_e32 v8, v10, v8
	v_and_b32_e32 v10, 0xff00, v7
	v_and_b32_e32 v7, 0xff, v7
	v_add_u32_e32 v6, v30, v26
	v_mov_b32_e32 v9, 0
	v_or3_b32 v7, v8, v10, v7
	v_mov_b32_e32 v8, 2
	v_pk_mov_b32 v[10:11], s[14:15], s[14:15] op_sel:[0,1]
	;;#ASMSTART
	global_store_dwordx4 v[10:11], v[6:9] off	
s_waitcnt vmcnt(0)
	;;#ASMEND
	s_movk_i32 s14, 0x3400
	v_add_u32_e64 v6, s14, 0
	ds_write2_b32 v6, v26, v27 offset1:2
	ds_write2_b32 v6, v30, v31 offset0:4 offset1:6
.LBB1492_116:
	s_or_b64 exec, exec, s[12:13]
	s_and_b64 exec, exec, s[0:1]
	s_cbranch_execz .LBB1492_118
; %bb.117:
	v_mov_b32_e32 v6, 0
	ds_write_b64 v6, v[30:31] offset:24
.LBB1492_118:
	s_or_b64 exec, exec, s[10:11]
	v_mov_b32_e32 v6, 0
	s_waitcnt lgkmcnt(0)
	s_barrier
	ds_read_b64 v[10:11], v6 offset:24
	v_cndmask_b32_e64 v25, v92, v25, s[8:9]
	v_cndmask_b32_e64 v1, v1, v24, s[8:9]
	s_movk_i32 s8, 0x3400
	s_waitcnt lgkmcnt(0)
	v_add_u32_e32 v24, v10, v1
	v_add_u32_e64 v1, s8, 0
	s_barrier
	ds_read2_b32 v[6:7], v1 offset1:2
	ds_read2_b32 v[8:9], v1 offset0:4 offset1:6
	v_add_u32_e32 v1, v11, v25
	v_cndmask_b32_e64 v1, v1, v11, s[0:1]
	v_cndmask_b32_e64 v10, v24, v10, s[0:1]
	s_branch .LBB1492_129
.LBB1492_119:
                                        ; implicit-def: $vgpr1
                                        ; implicit-def: $vgpr8
                                        ; implicit-def: $vgpr6
                                        ; implicit-def: $vgpr10_vgpr11
	s_cbranch_execz .LBB1492_129
; %bb.120:
	s_nop 0
	v_mov_b32_dpp v1, v90 row_shr:1 row_mask:0xf bank_mask:0xf
	s_waitcnt lgkmcnt(1)
	v_mov_b32_dpp v6, v91 row_shr:1 row_mask:0xf bank_mask:0xf
	v_add_u32_e32 v1, v1, v90
	v_add_u32_e32 v6, v6, v91
	v_cndmask_b32_e64 v6, v6, v91, s[6:7]
	v_cndmask_b32_e64 v1, v1, v90, s[6:7]
	v_cmp_lt_u32_e32 vcc, 3, v89
	s_waitcnt lgkmcnt(0)
	v_mov_b32_dpp v8, v6 row_shr:2 row_mask:0xf bank_mask:0xf
	v_mov_b32_dpp v7, v1 row_shr:2 row_mask:0xf bank_mask:0xf
	v_add_u32_e32 v7, v1, v7
	v_add_u32_e32 v8, v6, v8
	v_cndmask_b32_e64 v6, v6, v8, s[4:5]
	v_cndmask_b32_e64 v1, v1, v7, s[4:5]
	s_nop 0
	v_mov_b32_dpp v8, v6 row_shr:4 row_mask:0xf bank_mask:0xf
	v_mov_b32_dpp v7, v1 row_shr:4 row_mask:0xf bank_mask:0xf
	v_add_u32_e32 v7, v1, v7
	v_add_u32_e32 v8, v6, v8
	v_cndmask_b32_e32 v6, v6, v8, vcc
	v_cndmask_b32_e32 v1, v1, v7, vcc
	v_cmp_lt_u32_e32 vcc, 7, v89
	v_mov_b32_dpp v8, v6 row_shr:8 row_mask:0xf bank_mask:0xf
	v_mov_b32_dpp v7, v1 row_shr:8 row_mask:0xf bank_mask:0xf
	v_add_u32_e32 v7, v1, v7
	v_add_u32_e32 v8, v6, v8
	v_cndmask_b32_e32 v6, v6, v8, vcc
	v_cndmask_b32_e32 v1, v1, v7, vcc
	v_cmp_eq_u32_e32 vcc, 0, v88
	v_mov_b32_dpp v8, v6 row_bcast:15 row_mask:0xf bank_mask:0xf
	v_mov_b32_dpp v7, v1 row_bcast:15 row_mask:0xf bank_mask:0xf
	v_add_u32_e32 v7, v1, v7
	v_add_u32_e32 v8, v6, v8
	v_cndmask_b32_e32 v6, v8, v6, vcc
	v_cndmask_b32_e32 v1, v7, v1, vcc
	v_cmp_lt_u32_e32 vcc, 31, v85
	v_mov_b32_dpp v8, v6 row_bcast:31 row_mask:0xf bank_mask:0xf
	v_mov_b32_dpp v7, v1 row_bcast:31 row_mask:0xf bank_mask:0xf
	v_add_u32_e32 v8, v6, v8
	v_add_u32_e32 v9, v1, v7
	v_cndmask_b32_e32 v7, v6, v8, vcc
	v_cndmask_b32_e32 v6, v1, v9, vcc
	v_cmp_eq_u32_e32 vcc, v87, v0
	s_and_saveexec_b64 s[4:5], vcc
	s_cbranch_execz .LBB1492_122
; %bb.121:
	v_lshlrev_b32_e32 v1, 3, v86
	ds_write_b64 v1, v[6:7]
.LBB1492_122:
	s_or_b64 exec, exec, s[4:5]
	v_cmp_gt_u32_e32 vcc, 4, v0
	s_waitcnt lgkmcnt(0)
	s_barrier
	s_and_saveexec_b64 s[4:5], vcc
	s_cbranch_execz .LBB1492_124
; %bb.123:
	v_lshlrev_b32_e32 v1, 3, v0
	ds_read_b64 v[8:9], v1
	v_and_b32_e32 v10, 3, v85
	v_cmp_eq_u32_e32 vcc, 0, v10
	s_waitcnt lgkmcnt(0)
	v_mov_b32_dpp v11, v8 row_shr:1 row_mask:0xf bank_mask:0xf
	v_mov_b32_dpp v24, v9 row_shr:1 row_mask:0xf bank_mask:0xf
	v_add_u32_e32 v11, v11, v8
	v_add_u32_e32 v24, v24, v9
	v_cndmask_b32_e32 v9, v24, v9, vcc
	v_cndmask_b32_e32 v8, v11, v8, vcc
	v_cmp_lt_u32_e32 vcc, 1, v10
	v_mov_b32_dpp v24, v9 row_shr:2 row_mask:0xf bank_mask:0xf
	v_mov_b32_dpp v11, v8 row_shr:2 row_mask:0xf bank_mask:0xf
	v_cndmask_b32_e32 v10, 0, v11, vcc
	v_cndmask_b32_e32 v11, 0, v24, vcc
	v_add_u32_e32 v9, v11, v9
	v_add_u32_e32 v8, v10, v8
	ds_write_b64 v1, v[8:9]
.LBB1492_124:
	s_or_b64 exec, exec, s[4:5]
	v_cmp_lt_u32_e32 vcc, 63, v0
	v_mov_b32_e32 v8, 0
	v_mov_b32_e32 v10, 0
	;; [unrolled: 1-line block ×3, first 2 shown]
	s_waitcnt lgkmcnt(0)
	s_barrier
	s_and_saveexec_b64 s[4:5], vcc
	s_cbranch_execz .LBB1492_126
; %bb.125:
	v_lshl_add_u32 v1, v86, 3, -8
	ds_read_b64 v[10:11], v1
.LBB1492_126:
	s_or_b64 exec, exec, s[4:5]
	s_waitcnt lgkmcnt(0)
	v_add_u32_e32 v9, v11, v7
	v_add_u32_e32 v1, v10, v6
	v_add_u32_e32 v6, -1, v85
	v_and_b32_e32 v7, 64, v85
	v_cmp_lt_i32_e32 vcc, v6, v7
	v_cndmask_b32_e32 v6, v6, v85, vcc
	v_lshlrev_b32_e32 v24, 2, v6
	ds_read_b64 v[6:7], v8 offset:24
	ds_bpermute_b32 v1, v24, v1
	ds_bpermute_b32 v24, v24, v9
	s_waitcnt lgkmcnt(2)
	v_readfirstlane_b32 s6, v7
	s_and_saveexec_b64 s[4:5], s[0:1]
	s_cbranch_execz .LBB1492_128
; %bb.127:
	s_add_u32 s8, s50, 0x400
	s_mov_b32 s10, 0
	s_addc_u32 s9, s51, 0
	s_and_b32 s11, s6, 0xff000000
	s_and_b32 s13, s6, 0xff0000
	s_mov_b32 s12, s10
	s_or_b64 s[12:13], s[12:13], s[10:11]
	s_and_b32 s11, s6, 0xff00
	s_or_b64 s[12:13], s[12:13], s[10:11]
	s_and_b32 s11, s6, 0xff
	s_or_b64 s[10:11], s[12:13], s[10:11]
	v_mov_b32_e32 v7, s11
	v_mov_b32_e32 v8, 2
	;; [unrolled: 1-line block ×3, first 2 shown]
	v_pk_mov_b32 v[26:27], s[8:9], s[8:9] op_sel:[0,1]
	;;#ASMSTART
	global_store_dwordx4 v[26:27], v[6:9] off	
s_waitcnt vmcnt(0)
	;;#ASMEND
.LBB1492_128:
	s_or_b64 exec, exec, s[4:5]
	v_cmp_eq_u32_e32 vcc, 0, v85
	s_waitcnt lgkmcnt(1)
	v_cndmask_b32_e32 v7, v1, v10, vcc
	s_waitcnt lgkmcnt(0)
	v_cndmask_b32_e32 v1, v24, v11, vcc
	v_mov_b32_e32 v8, 0
	v_cndmask_b32_e64 v1, v1, 0, s[0:1]
	v_cndmask_b32_e64 v10, v7, 0, s[0:1]
	s_barrier
	v_mov_b32_e32 v7, s6
	v_mov_b32_e32 v9, 0
.LBB1492_129:
	v_add_u32_e32 v11, v10, v67
	v_add_u32_e32 v26, v1, v68
	v_add_u32_e32 v28, v11, v61
	v_add_u32_e32 v27, v26, v79
	v_add_u32_e32 v29, v28, v69
	v_add_u32_e32 v30, v27, v70
	v_add_u32_e32 v32, v29, v62
	v_add_u32_e32 v31, v30, v80
	v_add_u32_e32 v33, v32, v71
	v_add_u32_e32 v61, v31, v72
	v_add_u32_e32 v63, v33, v63
	v_add_u32_e32 v62, v61, v81
	v_add_u32_e32 v67, v63, v73
	s_waitcnt vmcnt(0) lgkmcnt(0)
	v_add_co_u32_e32 v2, vcc, v2, v8
	v_add_u32_e32 v68, v62, v74
	v_add_u32_e32 v64, v67, v64
	v_addc_co_u32_e32 v3, vcc, 0, v3, vcc
	v_add_u32_e32 v69, v68, v82
	v_add_u32_e32 v70, v64, v75
	v_sub_co_u32_e32 v24, vcc, v4, v6
	v_add_u32_e32 v71, v69, v76
	v_add_u32_e32 v65, v70, v65
	v_subbrev_co_u32_e32 v25, vcc, 0, v5, vcc
	v_lshlrev_b32_e32 v76, 1, v6
	v_sub_u32_e32 v1, v1, v9
	v_add_u32_e32 v73, v65, v77
	v_add_co_u32_e32 v24, vcc, v24, v9
	v_add_u32_e32 v77, v76, v7
	v_sub_u32_e32 v10, v10, v8
	v_add_u32_e32 v1, v1, v6
	v_addc_co_u32_e32 v25, vcc, 0, v25, vcc
	v_add_u32_e32 v36, v77, v36
	v_and_b32_e32 v38, 1, v38
	v_add_u32_e32 v77, v10, v1
	v_and_b32_e32 v37, 1, v37
	v_sub_u32_e32 v77, v36, v77
	v_cmp_eq_u32_e32 vcc, 1, v38
	v_cndmask_b32_e32 v1, v77, v1, vcc
	v_cmp_eq_u32_e32 vcc, 1, v37
	v_cndmask_b32_e32 v1, v1, v10, vcc
	v_lshlrev_b32_e32 v1, 2, v1
	ds_write_b32 v1, v22
	v_sub_u32_e32 v1, v11, v8
	v_sub_u32_e32 v11, v26, v9
	v_add_u32_e32 v11, v11, v6
	v_add_u32_e32 v26, v11, v1
	v_and_b32_e32 v22, 1, v40
	v_sub_u32_e32 v26, v36, v26
	v_and_b32_e32 v10, 1, v39
	v_add_u32_e32 v26, 1, v26
	v_cmp_eq_u32_e32 vcc, 1, v22
	v_cndmask_b32_e32 v11, v26, v11, vcc
	v_cmp_eq_u32_e32 vcc, 1, v10
	v_cndmask_b32_e32 v1, v11, v1, vcc
	v_lshlrev_b32_e32 v1, 2, v1
	v_sub_u32_e32 v11, v27, v9
	ds_write_b32 v1, v23
	v_sub_u32_e32 v1, v28, v8
	v_add_u32_e32 v11, v11, v6
	v_add_u32_e32 v23, v11, v1
	v_and_b32_e32 v22, 1, v42
	v_sub_u32_e32 v23, v36, v23
	v_and_b32_e32 v10, 1, v41
	v_add_u32_e32 v23, 2, v23
	v_cmp_eq_u32_e32 vcc, 1, v22
	v_cndmask_b32_e32 v11, v23, v11, vcc
	v_cmp_eq_u32_e32 vcc, 1, v10
	v_cndmask_b32_e32 v1, v11, v1, vcc
	v_lshlrev_b32_e32 v1, 2, v1
	v_sub_u32_e32 v11, v30, v9
	ds_write_b32 v1, v20
	;; [unrolled: 14-line block ×8, first 2 shown]
	v_sub_u32_e32 v1, v70, v8
	v_add_u32_e32 v11, v11, v6
	v_add_u32_e32 v16, v1, v11
	v_and_b32_e32 v14, 1, v55
	v_sub_u32_e32 v16, v36, v16
	v_and_b32_e32 v10, 1, v56
	v_add_u32_e32 v16, 9, v16
	v_cmp_eq_u32_e32 vcc, 1, v14
	v_cndmask_b32_e32 v11, v16, v11, vcc
	v_cmp_eq_u32_e32 vcc, 1, v10
	v_add_u32_e32 v72, v71, v83
	v_cndmask_b32_e32 v1, v11, v1, vcc
	v_lshlrev_b32_e32 v1, 2, v1
	v_sub_u32_e32 v11, v72, v9
	ds_write_b32 v1, v15
	v_sub_u32_e32 v1, v65, v8
	v_add_u32_e32 v11, v11, v6
	v_add_u32_e32 v15, v1, v11
	v_and_b32_e32 v14, 1, v57
	v_sub_u32_e32 v15, v36, v15
	v_and_b32_e32 v10, 1, v58
	v_add_u32_e32 v15, 10, v15
	v_cmp_eq_u32_e32 vcc, 1, v14
	v_cndmask_b32_e32 v11, v15, v11, vcc
	v_cmp_eq_u32_e32 vcc, 1, v10
	v_add_u32_e32 v74, v72, v78
	v_cndmask_b32_e32 v1, v11, v1, vcc
	v_lshlrev_b32_e32 v1, 2, v1
	v_sub_u32_e32 v11, v74, v9
	ds_write_b32 v1, v12
	v_sub_u32_e32 v1, v73, v8
	v_add_u32_e32 v11, v11, v6
	v_add_u32_e32 v14, v1, v11
	v_and_b32_e32 v12, 1, v59
	v_sub_u32_e32 v14, v36, v14
	v_and_b32_e32 v10, 1, v60
	v_add_u32_e32 v14, 11, v14
	v_cmp_eq_u32_e32 vcc, 1, v12
	v_cndmask_b32_e32 v11, v14, v11, vcc
	v_cmp_eq_u32_e32 vcc, 1, v10
	v_cndmask_b32_e32 v1, v11, v1, vcc
	v_add_u32_e32 v75, v74, v84
	v_add_u32_e32 v66, v73, v66
	v_lshlrev_b32_e32 v1, 2, v1
	ds_write_b32 v1, v13
	v_sub_u32_e32 v1, v66, v8
	v_sub_u32_e32 v8, v75, v9
	v_add_u32_e32 v8, v8, v6
	v_add_u32_e32 v10, v1, v8
	v_sub_u32_e32 v10, v36, v10
	v_add_u32_e32 v10, 12, v10
	v_cndmask_b32_e64 v8, v10, v8, s[54:55]
	v_cndmask_b32_e64 v1, v8, v1, s[52:53]
	v_lshlrev_b32_e32 v1, 2, v1
	ds_write_b32 v1, v35
	v_mov_b32_e32 v1, s49
	v_add_co_u32_e32 v8, vcc, s48, v34
	v_addc_co_u32_e32 v10, vcc, 0, v1, vcc
	v_add_co_u32_e32 v1, vcc, v7, v76
	v_addc_co_u32_e64 v11, s[4:5], 0, 0, vcc
	v_add_co_u32_e32 v1, vcc, v1, v24
	v_addc_co_u32_e32 v11, vcc, v11, v25, vcc
	v_add_co_u32_e32 v1, vcc, v1, v2
	v_addc_co_u32_e32 v11, vcc, v11, v3, vcc
	v_sub_co_u32_e32 v1, vcc, v8, v1
	v_subb_co_u32_e32 v8, vcc, v10, v11, vcc
	v_lshlrev_b64 v[10:11], 2, v[24:25]
	v_mov_b32_e32 v12, s47
	v_add_co_u32_e32 v10, vcc, s46, v10
	v_addc_co_u32_e32 v11, vcc, v12, v11, vcc
	v_lshlrev_b64 v[12:13], 2, v[2:3]
	v_mov_b32_e32 v15, s45
	v_add_co_u32_e32 v12, vcc, s44, v12
	s_add_u32 s8, s34, -4
	v_addc_co_u32_e32 v13, vcc, v15, v13, vcc
	s_addc_u32 s9, s35, -1
	v_add_u32_e32 v14, v6, v7
	s_and_b64 vcc, exec, s[2:3]
	s_mov_b64 s[2:3], -1
	s_waitcnt lgkmcnt(0)
	s_barrier
	s_cbranch_vccz .LBB1492_133
; %bb.130:
	s_and_b64 vcc, exec, s[2:3]
	s_cbranch_vccnz .LBB1492_238
.LBB1492_131:
	s_and_b64 s[0:1], s[0:1], s[30:31]
	s_and_saveexec_b64 s[2:3], s[0:1]
	s_cbranch_execnz .LBB1492_356
.LBB1492_132:
	s_endpgm
.LBB1492_133:
	v_cmp_le_u32_e32 vcc, v6, v0
	s_and_saveexec_b64 s[2:3], vcc
	s_xor_b64 s[2:3], exec, s[2:3]
	s_cbranch_execz .LBB1492_139
; %bb.134:
	v_cmp_le_u32_e32 vcc, v14, v0
	s_and_saveexec_b64 s[4:5], vcc
	s_xor_b64 s[4:5], exec, s[4:5]
	s_cbranch_execz .LBB1492_136
; %bb.135:
	v_lshlrev_b32_e32 v15, 2, v0
	v_add_co_u32_e32 v16, vcc, v1, v0
	ds_read_b32 v15, v15
	v_addc_co_u32_e32 v17, vcc, 0, v8, vcc
	v_lshlrev_b64 v[16:17], 2, v[16:17]
	v_mov_b32_e32 v18, s35
	v_sub_co_u32_e32 v16, vcc, s34, v16
	v_subb_co_u32_e32 v17, vcc, v18, v17, vcc
	s_waitcnt lgkmcnt(0)
	global_store_dword v[16:17], v15, off offset:-4
.LBB1492_136:
	s_andn2_saveexec_b64 s[4:5], s[4:5]
	s_cbranch_execz .LBB1492_138
; %bb.137:
	v_lshlrev_b32_e32 v15, 2, v0
	ds_read_b32 v16, v15
	v_readfirstlane_b32 s6, v10
	v_readfirstlane_b32 s7, v11
	s_waitcnt lgkmcnt(0)
	s_nop 3
	global_store_dword v15, v16, s[6:7]
.LBB1492_138:
	s_or_b64 exec, exec, s[4:5]
.LBB1492_139:
	s_andn2_saveexec_b64 s[2:3], s[2:3]
	s_cbranch_execz .LBB1492_141
; %bb.140:
	v_lshlrev_b32_e32 v15, 2, v0
	ds_read_b32 v16, v15
	v_readfirstlane_b32 s4, v12
	v_readfirstlane_b32 s5, v13
	s_waitcnt lgkmcnt(0)
	s_nop 3
	global_store_dword v15, v16, s[4:5]
.LBB1492_141:
	s_or_b64 exec, exec, s[2:3]
	v_or_b32_e32 v15, 0x100, v0
	v_cmp_le_u32_e32 vcc, v6, v15
	s_and_saveexec_b64 s[2:3], vcc
	s_xor_b64 s[2:3], exec, s[2:3]
	s_cbranch_execz .LBB1492_147
; %bb.142:
	v_cmp_le_u32_e32 vcc, v14, v15
	s_and_saveexec_b64 s[4:5], vcc
	s_xor_b64 s[4:5], exec, s[4:5]
	s_cbranch_execz .LBB1492_144
; %bb.143:
	v_lshlrev_b32_e32 v15, 2, v0
	ds_read_b32 v15, v15 offset:1024
	v_add_co_u32_e32 v16, vcc, v1, v0
	v_addc_co_u32_e32 v17, vcc, 0, v8, vcc
	v_lshlrev_b64 v[16:17], 2, v[16:17]
	v_mov_b32_e32 v18, s9
	v_sub_co_u32_e32 v16, vcc, s8, v16
	v_subb_co_u32_e32 v17, vcc, v18, v17, vcc
	s_waitcnt lgkmcnt(0)
	global_store_dword v[16:17], v15, off offset:-1024
.LBB1492_144:
	s_andn2_saveexec_b64 s[4:5], s[4:5]
	s_cbranch_execz .LBB1492_146
; %bb.145:
	v_lshlrev_b32_e32 v15, 2, v0
	ds_read_b32 v16, v15 offset:1024
	v_readfirstlane_b32 s6, v10
	v_readfirstlane_b32 s7, v11
	s_waitcnt lgkmcnt(0)
	s_nop 3
	global_store_dword v15, v16, s[6:7] offset:1024
.LBB1492_146:
	s_or_b64 exec, exec, s[4:5]
.LBB1492_147:
	s_andn2_saveexec_b64 s[2:3], s[2:3]
	s_cbranch_execz .LBB1492_149
; %bb.148:
	v_lshlrev_b32_e32 v15, 2, v0
	ds_read_b32 v16, v15 offset:1024
	v_readfirstlane_b32 s4, v12
	v_readfirstlane_b32 s5, v13
	s_waitcnt lgkmcnt(0)
	s_nop 3
	global_store_dword v15, v16, s[4:5] offset:1024
.LBB1492_149:
	s_or_b64 exec, exec, s[2:3]
	v_or_b32_e32 v15, 0x200, v0
	v_cmp_le_u32_e32 vcc, v6, v15
	s_and_saveexec_b64 s[2:3], vcc
	s_xor_b64 s[2:3], exec, s[2:3]
	s_cbranch_execz .LBB1492_155
; %bb.150:
	v_cmp_le_u32_e32 vcc, v14, v15
	s_and_saveexec_b64 s[4:5], vcc
	s_xor_b64 s[4:5], exec, s[4:5]
	s_cbranch_execz .LBB1492_152
; %bb.151:
	v_lshlrev_b32_e32 v15, 2, v0
	ds_read_b32 v15, v15 offset:2048
	v_add_co_u32_e32 v16, vcc, v1, v0
	v_addc_co_u32_e32 v17, vcc, 0, v8, vcc
	v_lshlrev_b64 v[16:17], 2, v[16:17]
	v_mov_b32_e32 v18, s9
	v_sub_co_u32_e32 v16, vcc, s8, v16
	v_subb_co_u32_e32 v17, vcc, v18, v17, vcc
	s_waitcnt lgkmcnt(0)
	global_store_dword v[16:17], v15, off offset:-2048
.LBB1492_152:
	s_andn2_saveexec_b64 s[4:5], s[4:5]
	s_cbranch_execz .LBB1492_154
; %bb.153:
	v_lshlrev_b32_e32 v15, 2, v0
	ds_read_b32 v16, v15 offset:2048
	v_readfirstlane_b32 s6, v10
	v_readfirstlane_b32 s7, v11
	s_waitcnt lgkmcnt(0)
	s_nop 3
	global_store_dword v15, v16, s[6:7] offset:2048
.LBB1492_154:
	s_or_b64 exec, exec, s[4:5]
.LBB1492_155:
	s_andn2_saveexec_b64 s[2:3], s[2:3]
	s_cbranch_execz .LBB1492_157
; %bb.156:
	v_lshlrev_b32_e32 v15, 2, v0
	ds_read_b32 v16, v15 offset:2048
	v_readfirstlane_b32 s4, v12
	v_readfirstlane_b32 s5, v13
	s_waitcnt lgkmcnt(0)
	s_nop 3
	global_store_dword v15, v16, s[4:5] offset:2048
.LBB1492_157:
	s_or_b64 exec, exec, s[2:3]
	v_or_b32_e32 v15, 0x300, v0
	v_cmp_le_u32_e32 vcc, v6, v15
	s_and_saveexec_b64 s[2:3], vcc
	s_xor_b64 s[2:3], exec, s[2:3]
	s_cbranch_execz .LBB1492_163
; %bb.158:
	v_cmp_le_u32_e32 vcc, v14, v15
	s_and_saveexec_b64 s[4:5], vcc
	s_xor_b64 s[4:5], exec, s[4:5]
	s_cbranch_execz .LBB1492_160
; %bb.159:
	v_lshlrev_b32_e32 v15, 2, v0
	ds_read_b32 v15, v15 offset:3072
	v_add_co_u32_e32 v16, vcc, v1, v0
	v_addc_co_u32_e32 v17, vcc, 0, v8, vcc
	v_lshlrev_b64 v[16:17], 2, v[16:17]
	v_mov_b32_e32 v18, s9
	v_sub_co_u32_e32 v16, vcc, s8, v16
	v_subb_co_u32_e32 v17, vcc, v18, v17, vcc
	s_waitcnt lgkmcnt(0)
	global_store_dword v[16:17], v15, off offset:-3072
.LBB1492_160:
	s_andn2_saveexec_b64 s[4:5], s[4:5]
	s_cbranch_execz .LBB1492_162
; %bb.161:
	v_lshlrev_b32_e32 v15, 2, v0
	ds_read_b32 v16, v15 offset:3072
	v_readfirstlane_b32 s6, v10
	v_readfirstlane_b32 s7, v11
	s_waitcnt lgkmcnt(0)
	s_nop 3
	global_store_dword v15, v16, s[6:7] offset:3072
.LBB1492_162:
	s_or_b64 exec, exec, s[4:5]
.LBB1492_163:
	s_andn2_saveexec_b64 s[2:3], s[2:3]
	s_cbranch_execz .LBB1492_165
; %bb.164:
	v_lshlrev_b32_e32 v15, 2, v0
	ds_read_b32 v16, v15 offset:3072
	v_readfirstlane_b32 s4, v12
	v_readfirstlane_b32 s5, v13
	s_waitcnt lgkmcnt(0)
	s_nop 3
	global_store_dword v15, v16, s[4:5] offset:3072
.LBB1492_165:
	s_or_b64 exec, exec, s[2:3]
	v_or_b32_e32 v15, 0x400, v0
	v_cmp_le_u32_e32 vcc, v6, v15
	s_and_saveexec_b64 s[2:3], vcc
	s_xor_b64 s[2:3], exec, s[2:3]
	s_cbranch_execz .LBB1492_171
; %bb.166:
	v_cmp_le_u32_e32 vcc, v14, v15
	s_and_saveexec_b64 s[4:5], vcc
	s_xor_b64 s[4:5], exec, s[4:5]
	s_cbranch_execz .LBB1492_168
; %bb.167:
	v_lshlrev_b32_e32 v15, 2, v0
	ds_read_b32 v15, v15 offset:4096
	v_add_co_u32_e32 v16, vcc, v1, v0
	v_addc_co_u32_e32 v17, vcc, 0, v8, vcc
	v_lshlrev_b64 v[16:17], 2, v[16:17]
	v_mov_b32_e32 v18, s9
	v_sub_co_u32_e32 v16, vcc, s8, v16
	v_subb_co_u32_e32 v17, vcc, v18, v17, vcc
	s_waitcnt lgkmcnt(0)
	global_store_dword v[16:17], v15, off offset:-4096
                                        ; implicit-def: $vgpr15
.LBB1492_168:
	s_andn2_saveexec_b64 s[4:5], s[4:5]
	s_cbranch_execz .LBB1492_170
; %bb.169:
	v_lshlrev_b32_e32 v16, 2, v0
	ds_read_b32 v16, v16 offset:4096
	v_lshlrev_b32_e32 v15, 2, v15
	v_readfirstlane_b32 s6, v10
	v_readfirstlane_b32 s7, v11
	s_waitcnt lgkmcnt(0)
	s_nop 3
	global_store_dword v15, v16, s[6:7]
.LBB1492_170:
	s_or_b64 exec, exec, s[4:5]
                                        ; implicit-def: $vgpr15
.LBB1492_171:
	s_andn2_saveexec_b64 s[2:3], s[2:3]
	s_cbranch_execz .LBB1492_173
; %bb.172:
	v_lshlrev_b32_e32 v16, 2, v0
	ds_read_b32 v16, v16 offset:4096
	v_lshlrev_b32_e32 v15, 2, v15
	v_readfirstlane_b32 s4, v12
	v_readfirstlane_b32 s5, v13
	s_waitcnt lgkmcnt(0)
	s_nop 3
	global_store_dword v15, v16, s[4:5]
.LBB1492_173:
	s_or_b64 exec, exec, s[2:3]
	v_or_b32_e32 v15, 0x500, v0
	v_cmp_le_u32_e32 vcc, v6, v15
	s_and_saveexec_b64 s[2:3], vcc
	s_xor_b64 s[2:3], exec, s[2:3]
	s_cbranch_execz .LBB1492_179
; %bb.174:
	v_cmp_le_u32_e32 vcc, v14, v15
	s_and_saveexec_b64 s[4:5], vcc
	s_xor_b64 s[4:5], exec, s[4:5]
	s_cbranch_execz .LBB1492_176
; %bb.175:
	v_add_co_u32_e32 v16, vcc, v1, v15
	v_lshlrev_b32_e32 v15, 2, v0
	ds_read_b32 v15, v15 offset:5120
	v_addc_co_u32_e32 v17, vcc, 0, v8, vcc
	v_lshlrev_b64 v[16:17], 2, v[16:17]
	v_mov_b32_e32 v18, s9
	v_sub_co_u32_e32 v16, vcc, s8, v16
	v_subb_co_u32_e32 v17, vcc, v18, v17, vcc
	s_waitcnt lgkmcnt(0)
	global_store_dword v[16:17], v15, off
                                        ; implicit-def: $vgpr15
.LBB1492_176:
	s_andn2_saveexec_b64 s[4:5], s[4:5]
	s_cbranch_execz .LBB1492_178
; %bb.177:
	v_lshlrev_b32_e32 v16, 2, v0
	ds_read_b32 v16, v16 offset:5120
	v_lshlrev_b32_e32 v15, 2, v15
	v_readfirstlane_b32 s6, v10
	v_readfirstlane_b32 s7, v11
	s_waitcnt lgkmcnt(0)
	s_nop 3
	global_store_dword v15, v16, s[6:7]
.LBB1492_178:
	s_or_b64 exec, exec, s[4:5]
                                        ; implicit-def: $vgpr15
.LBB1492_179:
	s_andn2_saveexec_b64 s[2:3], s[2:3]
	s_cbranch_execz .LBB1492_181
; %bb.180:
	v_lshlrev_b32_e32 v16, 2, v0
	ds_read_b32 v16, v16 offset:5120
	v_lshlrev_b32_e32 v15, 2, v15
	v_readfirstlane_b32 s4, v12
	v_readfirstlane_b32 s5, v13
	s_waitcnt lgkmcnt(0)
	s_nop 3
	global_store_dword v15, v16, s[4:5]
.LBB1492_181:
	s_or_b64 exec, exec, s[2:3]
	v_or_b32_e32 v15, 0x600, v0
	v_cmp_le_u32_e32 vcc, v6, v15
	s_and_saveexec_b64 s[2:3], vcc
	s_xor_b64 s[2:3], exec, s[2:3]
	s_cbranch_execz .LBB1492_187
; %bb.182:
	v_cmp_le_u32_e32 vcc, v14, v15
	s_and_saveexec_b64 s[4:5], vcc
	s_xor_b64 s[4:5], exec, s[4:5]
	s_cbranch_execz .LBB1492_184
; %bb.183:
	v_add_co_u32_e32 v16, vcc, v1, v15
	v_lshlrev_b32_e32 v15, 2, v0
	ds_read_b32 v15, v15 offset:6144
	v_addc_co_u32_e32 v17, vcc, 0, v8, vcc
	v_lshlrev_b64 v[16:17], 2, v[16:17]
	v_mov_b32_e32 v18, s9
	v_sub_co_u32_e32 v16, vcc, s8, v16
	v_subb_co_u32_e32 v17, vcc, v18, v17, vcc
	s_waitcnt lgkmcnt(0)
	global_store_dword v[16:17], v15, off
                                        ; implicit-def: $vgpr15
.LBB1492_184:
	s_andn2_saveexec_b64 s[4:5], s[4:5]
	s_cbranch_execz .LBB1492_186
; %bb.185:
	v_lshlrev_b32_e32 v16, 2, v0
	ds_read_b32 v16, v16 offset:6144
	v_lshlrev_b32_e32 v15, 2, v15
	v_readfirstlane_b32 s6, v10
	v_readfirstlane_b32 s7, v11
	s_waitcnt lgkmcnt(0)
	s_nop 3
	global_store_dword v15, v16, s[6:7]
.LBB1492_186:
	s_or_b64 exec, exec, s[4:5]
                                        ; implicit-def: $vgpr15
.LBB1492_187:
	;; [unrolled: 51-line block ×8, first 2 shown]
	s_andn2_saveexec_b64 s[2:3], s[2:3]
	s_cbranch_execz .LBB1492_237
; %bb.236:
	v_lshlrev_b32_e32 v16, 2, v0
	ds_read_b32 v16, v16 offset:12288
	v_lshlrev_b32_e32 v15, 2, v15
	v_readfirstlane_b32 s4, v12
	v_readfirstlane_b32 s5, v13
	s_waitcnt lgkmcnt(0)
	s_nop 3
	global_store_dword v15, v16, s[4:5]
.LBB1492_237:
	s_or_b64 exec, exec, s[2:3]
	s_branch .LBB1492_131
.LBB1492_238:
	v_cmp_gt_u32_e32 vcc, s16, v0
	s_and_saveexec_b64 s[2:3], vcc
	s_cbranch_execz .LBB1492_247
; %bb.239:
	v_cmp_le_u32_e32 vcc, v6, v0
	s_and_saveexec_b64 s[4:5], vcc
	s_xor_b64 s[4:5], exec, s[4:5]
	s_cbranch_execz .LBB1492_245
; %bb.240:
	v_cmp_le_u32_e32 vcc, v14, v0
	s_and_saveexec_b64 s[6:7], vcc
	s_xor_b64 s[6:7], exec, s[6:7]
	s_cbranch_execz .LBB1492_242
; %bb.241:
	v_lshlrev_b32_e32 v15, 2, v0
	v_add_co_u32_e32 v16, vcc, v1, v0
	ds_read_b32 v15, v15
	v_addc_co_u32_e32 v17, vcc, 0, v8, vcc
	v_lshlrev_b64 v[16:17], 2, v[16:17]
	v_mov_b32_e32 v18, s35
	v_sub_co_u32_e32 v16, vcc, s34, v16
	v_subb_co_u32_e32 v17, vcc, v18, v17, vcc
	s_waitcnt lgkmcnt(0)
	global_store_dword v[16:17], v15, off offset:-4
.LBB1492_242:
	s_andn2_saveexec_b64 s[6:7], s[6:7]
	s_cbranch_execz .LBB1492_244
; %bb.243:
	v_lshlrev_b32_e32 v15, 2, v0
	ds_read_b32 v16, v15
	v_readfirstlane_b32 s10, v10
	v_readfirstlane_b32 s11, v11
	s_waitcnt lgkmcnt(0)
	s_nop 3
	global_store_dword v15, v16, s[10:11]
.LBB1492_244:
	s_or_b64 exec, exec, s[6:7]
.LBB1492_245:
	s_andn2_saveexec_b64 s[4:5], s[4:5]
	s_cbranch_execz .LBB1492_247
; %bb.246:
	v_lshlrev_b32_e32 v15, 2, v0
	ds_read_b32 v16, v15
	v_readfirstlane_b32 s4, v12
	v_readfirstlane_b32 s5, v13
	s_waitcnt lgkmcnt(0)
	s_nop 3
	global_store_dword v15, v16, s[4:5]
.LBB1492_247:
	s_or_b64 exec, exec, s[2:3]
	v_or_b32_e32 v15, 0x100, v0
	v_cmp_gt_u32_e32 vcc, s16, v15
	s_and_saveexec_b64 s[2:3], vcc
	s_cbranch_execz .LBB1492_256
; %bb.248:
	v_cmp_le_u32_e32 vcc, v6, v15
	s_and_saveexec_b64 s[4:5], vcc
	s_xor_b64 s[4:5], exec, s[4:5]
	s_cbranch_execz .LBB1492_254
; %bb.249:
	v_cmp_le_u32_e32 vcc, v14, v15
	s_and_saveexec_b64 s[6:7], vcc
	s_xor_b64 s[6:7], exec, s[6:7]
	s_cbranch_execz .LBB1492_251
; %bb.250:
	v_lshlrev_b32_e32 v15, 2, v0
	ds_read_b32 v15, v15 offset:1024
	v_add_co_u32_e32 v16, vcc, v1, v0
	v_addc_co_u32_e32 v17, vcc, 0, v8, vcc
	v_lshlrev_b64 v[16:17], 2, v[16:17]
	v_mov_b32_e32 v18, s9
	v_sub_co_u32_e32 v16, vcc, s8, v16
	v_subb_co_u32_e32 v17, vcc, v18, v17, vcc
	s_waitcnt lgkmcnt(0)
	global_store_dword v[16:17], v15, off offset:-1024
.LBB1492_251:
	s_andn2_saveexec_b64 s[6:7], s[6:7]
	s_cbranch_execz .LBB1492_253
; %bb.252:
	v_lshlrev_b32_e32 v15, 2, v0
	ds_read_b32 v16, v15 offset:1024
	v_readfirstlane_b32 s10, v10
	v_readfirstlane_b32 s11, v11
	s_waitcnt lgkmcnt(0)
	s_nop 3
	global_store_dword v15, v16, s[10:11] offset:1024
.LBB1492_253:
	s_or_b64 exec, exec, s[6:7]
.LBB1492_254:
	s_andn2_saveexec_b64 s[4:5], s[4:5]
	s_cbranch_execz .LBB1492_256
; %bb.255:
	v_lshlrev_b32_e32 v15, 2, v0
	ds_read_b32 v16, v15 offset:1024
	v_readfirstlane_b32 s4, v12
	v_readfirstlane_b32 s5, v13
	s_waitcnt lgkmcnt(0)
	s_nop 3
	global_store_dword v15, v16, s[4:5] offset:1024
.LBB1492_256:
	s_or_b64 exec, exec, s[2:3]
	v_or_b32_e32 v15, 0x200, v0
	v_cmp_gt_u32_e32 vcc, s16, v15
	s_and_saveexec_b64 s[2:3], vcc
	s_cbranch_execz .LBB1492_265
; %bb.257:
	v_cmp_le_u32_e32 vcc, v6, v15
	s_and_saveexec_b64 s[4:5], vcc
	s_xor_b64 s[4:5], exec, s[4:5]
	s_cbranch_execz .LBB1492_263
; %bb.258:
	v_cmp_le_u32_e32 vcc, v14, v15
	s_and_saveexec_b64 s[6:7], vcc
	s_xor_b64 s[6:7], exec, s[6:7]
	s_cbranch_execz .LBB1492_260
; %bb.259:
	v_lshlrev_b32_e32 v15, 2, v0
	ds_read_b32 v15, v15 offset:2048
	v_add_co_u32_e32 v16, vcc, v1, v0
	v_addc_co_u32_e32 v17, vcc, 0, v8, vcc
	v_lshlrev_b64 v[16:17], 2, v[16:17]
	v_mov_b32_e32 v18, s9
	v_sub_co_u32_e32 v16, vcc, s8, v16
	v_subb_co_u32_e32 v17, vcc, v18, v17, vcc
	s_waitcnt lgkmcnt(0)
	global_store_dword v[16:17], v15, off offset:-2048
.LBB1492_260:
	s_andn2_saveexec_b64 s[6:7], s[6:7]
	s_cbranch_execz .LBB1492_262
; %bb.261:
	v_lshlrev_b32_e32 v15, 2, v0
	ds_read_b32 v16, v15 offset:2048
	v_readfirstlane_b32 s10, v10
	v_readfirstlane_b32 s11, v11
	s_waitcnt lgkmcnt(0)
	s_nop 3
	global_store_dword v15, v16, s[10:11] offset:2048
.LBB1492_262:
	s_or_b64 exec, exec, s[6:7]
.LBB1492_263:
	s_andn2_saveexec_b64 s[4:5], s[4:5]
	s_cbranch_execz .LBB1492_265
; %bb.264:
	v_lshlrev_b32_e32 v15, 2, v0
	ds_read_b32 v16, v15 offset:2048
	v_readfirstlane_b32 s4, v12
	v_readfirstlane_b32 s5, v13
	s_waitcnt lgkmcnt(0)
	s_nop 3
	global_store_dword v15, v16, s[4:5] offset:2048
.LBB1492_265:
	;; [unrolled: 51-line block ×3, first 2 shown]
	s_or_b64 exec, exec, s[2:3]
	v_or_b32_e32 v15, 0x400, v0
	v_cmp_gt_u32_e32 vcc, s16, v15
	s_and_saveexec_b64 s[2:3], vcc
	s_cbranch_execz .LBB1492_283
; %bb.275:
	v_cmp_le_u32_e32 vcc, v6, v15
	s_and_saveexec_b64 s[4:5], vcc
	s_xor_b64 s[4:5], exec, s[4:5]
	s_cbranch_execz .LBB1492_281
; %bb.276:
	v_cmp_le_u32_e32 vcc, v14, v15
	s_and_saveexec_b64 s[6:7], vcc
	s_xor_b64 s[6:7], exec, s[6:7]
	s_cbranch_execz .LBB1492_278
; %bb.277:
	v_lshlrev_b32_e32 v15, 2, v0
	ds_read_b32 v15, v15 offset:4096
	v_add_co_u32_e32 v16, vcc, v1, v0
	v_addc_co_u32_e32 v17, vcc, 0, v8, vcc
	v_lshlrev_b64 v[16:17], 2, v[16:17]
	v_mov_b32_e32 v18, s9
	v_sub_co_u32_e32 v16, vcc, s8, v16
	v_subb_co_u32_e32 v17, vcc, v18, v17, vcc
	s_waitcnt lgkmcnt(0)
	global_store_dword v[16:17], v15, off offset:-4096
                                        ; implicit-def: $vgpr15
.LBB1492_278:
	s_andn2_saveexec_b64 s[6:7], s[6:7]
	s_cbranch_execz .LBB1492_280
; %bb.279:
	v_lshlrev_b32_e32 v16, 2, v0
	ds_read_b32 v16, v16 offset:4096
	v_lshlrev_b32_e32 v15, 2, v15
	v_readfirstlane_b32 s10, v10
	v_readfirstlane_b32 s11, v11
	s_waitcnt lgkmcnt(0)
	s_nop 3
	global_store_dword v15, v16, s[10:11]
.LBB1492_280:
	s_or_b64 exec, exec, s[6:7]
                                        ; implicit-def: $vgpr15
.LBB1492_281:
	s_andn2_saveexec_b64 s[4:5], s[4:5]
	s_cbranch_execz .LBB1492_283
; %bb.282:
	v_lshlrev_b32_e32 v16, 2, v0
	ds_read_b32 v16, v16 offset:4096
	v_lshlrev_b32_e32 v15, 2, v15
	v_readfirstlane_b32 s4, v12
	v_readfirstlane_b32 s5, v13
	s_waitcnt lgkmcnt(0)
	s_nop 3
	global_store_dword v15, v16, s[4:5]
.LBB1492_283:
	s_or_b64 exec, exec, s[2:3]
	v_or_b32_e32 v15, 0x500, v0
	v_cmp_gt_u32_e32 vcc, s16, v15
	s_and_saveexec_b64 s[2:3], vcc
	s_cbranch_execz .LBB1492_292
; %bb.284:
	v_cmp_le_u32_e32 vcc, v6, v15
	s_and_saveexec_b64 s[4:5], vcc
	s_xor_b64 s[4:5], exec, s[4:5]
	s_cbranch_execz .LBB1492_290
; %bb.285:
	v_cmp_le_u32_e32 vcc, v14, v15
	s_and_saveexec_b64 s[6:7], vcc
	s_xor_b64 s[6:7], exec, s[6:7]
	s_cbranch_execz .LBB1492_287
; %bb.286:
	v_add_co_u32_e32 v16, vcc, v1, v15
	v_lshlrev_b32_e32 v15, 2, v0
	ds_read_b32 v15, v15 offset:5120
	v_addc_co_u32_e32 v17, vcc, 0, v8, vcc
	v_lshlrev_b64 v[16:17], 2, v[16:17]
	v_mov_b32_e32 v18, s9
	v_sub_co_u32_e32 v16, vcc, s8, v16
	v_subb_co_u32_e32 v17, vcc, v18, v17, vcc
	s_waitcnt lgkmcnt(0)
	global_store_dword v[16:17], v15, off
                                        ; implicit-def: $vgpr15
.LBB1492_287:
	s_andn2_saveexec_b64 s[6:7], s[6:7]
	s_cbranch_execz .LBB1492_289
; %bb.288:
	v_lshlrev_b32_e32 v16, 2, v0
	ds_read_b32 v16, v16 offset:5120
	v_lshlrev_b32_e32 v15, 2, v15
	v_readfirstlane_b32 s10, v10
	v_readfirstlane_b32 s11, v11
	s_waitcnt lgkmcnt(0)
	s_nop 3
	global_store_dword v15, v16, s[10:11]
.LBB1492_289:
	s_or_b64 exec, exec, s[6:7]
                                        ; implicit-def: $vgpr15
.LBB1492_290:
	s_andn2_saveexec_b64 s[4:5], s[4:5]
	s_cbranch_execz .LBB1492_292
; %bb.291:
	v_lshlrev_b32_e32 v16, 2, v0
	ds_read_b32 v16, v16 offset:5120
	v_lshlrev_b32_e32 v15, 2, v15
	v_readfirstlane_b32 s4, v12
	v_readfirstlane_b32 s5, v13
	s_waitcnt lgkmcnt(0)
	s_nop 3
	global_store_dword v15, v16, s[4:5]
.LBB1492_292:
	s_or_b64 exec, exec, s[2:3]
	v_or_b32_e32 v15, 0x600, v0
	v_cmp_gt_u32_e32 vcc, s16, v15
	s_and_saveexec_b64 s[2:3], vcc
	s_cbranch_execz .LBB1492_301
; %bb.293:
	v_cmp_le_u32_e32 vcc, v6, v15
	s_and_saveexec_b64 s[4:5], vcc
	s_xor_b64 s[4:5], exec, s[4:5]
	s_cbranch_execz .LBB1492_299
; %bb.294:
	v_cmp_le_u32_e32 vcc, v14, v15
	s_and_saveexec_b64 s[6:7], vcc
	s_xor_b64 s[6:7], exec, s[6:7]
	s_cbranch_execz .LBB1492_296
; %bb.295:
	v_add_co_u32_e32 v16, vcc, v1, v15
	v_lshlrev_b32_e32 v15, 2, v0
	ds_read_b32 v15, v15 offset:6144
	v_addc_co_u32_e32 v17, vcc, 0, v8, vcc
	v_lshlrev_b64 v[16:17], 2, v[16:17]
	v_mov_b32_e32 v18, s9
	v_sub_co_u32_e32 v16, vcc, s8, v16
	v_subb_co_u32_e32 v17, vcc, v18, v17, vcc
	s_waitcnt lgkmcnt(0)
	global_store_dword v[16:17], v15, off
                                        ; implicit-def: $vgpr15
.LBB1492_296:
	s_andn2_saveexec_b64 s[6:7], s[6:7]
	s_cbranch_execz .LBB1492_298
; %bb.297:
	v_lshlrev_b32_e32 v16, 2, v0
	ds_read_b32 v16, v16 offset:6144
	v_lshlrev_b32_e32 v15, 2, v15
	v_readfirstlane_b32 s10, v10
	v_readfirstlane_b32 s11, v11
	s_waitcnt lgkmcnt(0)
	s_nop 3
	global_store_dword v15, v16, s[10:11]
.LBB1492_298:
	s_or_b64 exec, exec, s[6:7]
                                        ; implicit-def: $vgpr15
.LBB1492_299:
	s_andn2_saveexec_b64 s[4:5], s[4:5]
	s_cbranch_execz .LBB1492_301
; %bb.300:
	v_lshlrev_b32_e32 v16, 2, v0
	ds_read_b32 v16, v16 offset:6144
	v_lshlrev_b32_e32 v15, 2, v15
	v_readfirstlane_b32 s4, v12
	v_readfirstlane_b32 s5, v13
	s_waitcnt lgkmcnt(0)
	s_nop 3
	global_store_dword v15, v16, s[4:5]
.LBB1492_301:
	;; [unrolled: 55-line block ×7, first 2 shown]
	s_or_b64 exec, exec, s[2:3]
	v_or_b32_e32 v15, 0xc00, v0
	v_cmp_gt_u32_e32 vcc, s16, v15
	s_and_saveexec_b64 s[2:3], vcc
	s_cbranch_execz .LBB1492_355
; %bb.347:
	v_cmp_le_u32_e32 vcc, v6, v15
	s_and_saveexec_b64 s[4:5], vcc
	s_xor_b64 s[4:5], exec, s[4:5]
	s_cbranch_execz .LBB1492_353
; %bb.348:
	v_cmp_le_u32_e32 vcc, v14, v15
	s_and_saveexec_b64 s[6:7], vcc
	s_xor_b64 s[6:7], exec, s[6:7]
	s_cbranch_execz .LBB1492_350
; %bb.349:
	v_add_co_u32_e32 v10, vcc, v1, v15
	v_lshlrev_b32_e32 v0, 2, v0
	v_addc_co_u32_e32 v11, vcc, 0, v8, vcc
	ds_read_b32 v8, v0 offset:12288
	v_lshlrev_b64 v[0:1], 2, v[10:11]
	v_mov_b32_e32 v10, s9
	v_sub_co_u32_e32 v0, vcc, s8, v0
	v_subb_co_u32_e32 v1, vcc, v10, v1, vcc
	s_waitcnt lgkmcnt(0)
	global_store_dword v[0:1], v8, off
                                        ; implicit-def: $vgpr0
                                        ; implicit-def: $vgpr15
                                        ; implicit-def: $vgpr10_vgpr11
.LBB1492_350:
	s_andn2_saveexec_b64 s[6:7], s[6:7]
	s_cbranch_execz .LBB1492_352
; %bb.351:
	v_lshlrev_b32_e32 v0, 2, v0
	ds_read_b32 v0, v0 offset:12288
	v_lshlrev_b32_e32 v1, 2, v15
	v_readfirstlane_b32 s8, v10
	v_readfirstlane_b32 s9, v11
	s_waitcnt lgkmcnt(0)
	s_nop 3
	global_store_dword v1, v0, s[8:9]
.LBB1492_352:
	s_or_b64 exec, exec, s[6:7]
                                        ; implicit-def: $vgpr0
                                        ; implicit-def: $vgpr15
                                        ; implicit-def: $vgpr12_vgpr13
.LBB1492_353:
	s_andn2_saveexec_b64 s[4:5], s[4:5]
	s_cbranch_execz .LBB1492_355
; %bb.354:
	v_lshlrev_b32_e32 v0, 2, v0
	ds_read_b32 v0, v0 offset:12288
	v_lshlrev_b32_e32 v1, 2, v15
	v_readfirstlane_b32 s4, v12
	v_readfirstlane_b32 s5, v13
	s_waitcnt lgkmcnt(0)
	s_nop 3
	global_store_dword v1, v0, s[4:5]
.LBB1492_355:
	s_or_b64 exec, exec, s[2:3]
	s_and_b64 s[0:1], s[0:1], s[30:31]
	s_and_saveexec_b64 s[2:3], s[0:1]
	s_cbranch_execz .LBB1492_132
.LBB1492_356:
	v_add_co_u32_e32 v0, vcc, v2, v6
	v_addc_co_u32_e32 v1, vcc, 0, v3, vcc
	v_add_co_u32_e32 v2, vcc, v4, v7
	v_addc_co_u32_e32 v3, vcc, 0, v5, vcc
	v_add_co_u32_e32 v2, vcc, v2, v9
	v_mov_b32_e32 v8, 0
	v_addc_co_u32_e32 v3, vcc, 0, v3, vcc
	global_store_dwordx4 v8, v[0:3], s[28:29]
	s_endpgm
	.section	.rodata,"a",@progbits
	.p2align	6, 0x0
	.amdhsa_kernel _ZN7rocprim17ROCPRIM_400000_NS6detail17trampoline_kernelINS0_13select_configILj256ELj13ELNS0_17block_load_methodE3ELS4_3ELS4_3ELNS0_20block_scan_algorithmE0ELj4294967295EEENS1_25partition_config_selectorILNS1_17partition_subalgoE4EjNS0_10empty_typeEbEEZZNS1_14partition_implILS8_4ELb0ES6_15HIP_vector_typeIjLj2EENS0_17counting_iteratorIjlEEPS9_SG_NS0_5tupleIJPjSI_NS0_16reverse_iteratorISI_EEEEENSH_IJSG_SG_SG_EEES9_SI_JZNS1_25segmented_radix_sort_implINS0_14default_configELb1EPKbPbPKlPlN2at6native12_GLOBAL__N_18offset_tEEE10hipError_tPvRmT1_PNSt15iterator_traitsIS12_E10value_typeET2_T3_PNS13_IS18_E10value_typeET4_jRbjT5_S1E_jjP12ihipStream_tbEUljE_ZNSN_ISO_Lb1ESQ_SR_ST_SU_SY_EESZ_S10_S11_S12_S16_S17_S18_S1B_S1C_jS1D_jS1E_S1E_jjS1G_bEUljE0_EEESZ_S10_S11_S18_S1C_S1E_T6_T7_T9_mT8_S1G_bDpT10_ENKUlT_T0_E_clISt17integral_constantIbLb0EES1T_IbLb1EEEEDaS1P_S1Q_EUlS1P_E_NS1_11comp_targetILNS1_3genE4ELNS1_11target_archE910ELNS1_3gpuE8ELNS1_3repE0EEENS1_30default_config_static_selectorELNS0_4arch9wavefront6targetE1EEEvS12_
		.amdhsa_group_segment_fixed_size 13340
		.amdhsa_private_segment_fixed_size 0
		.amdhsa_kernarg_size 184
		.amdhsa_user_sgpr_count 6
		.amdhsa_user_sgpr_private_segment_buffer 1
		.amdhsa_user_sgpr_dispatch_ptr 0
		.amdhsa_user_sgpr_queue_ptr 0
		.amdhsa_user_sgpr_kernarg_segment_ptr 1
		.amdhsa_user_sgpr_dispatch_id 0
		.amdhsa_user_sgpr_flat_scratch_init 0
		.amdhsa_user_sgpr_kernarg_preload_length 0
		.amdhsa_user_sgpr_kernarg_preload_offset 0
		.amdhsa_user_sgpr_private_segment_size 0
		.amdhsa_uses_dynamic_stack 0
		.amdhsa_system_sgpr_private_segment_wavefront_offset 0
		.amdhsa_system_sgpr_workgroup_id_x 1
		.amdhsa_system_sgpr_workgroup_id_y 0
		.amdhsa_system_sgpr_workgroup_id_z 0
		.amdhsa_system_sgpr_workgroup_info 0
		.amdhsa_system_vgpr_workitem_id 0
		.amdhsa_next_free_vgpr 107
		.amdhsa_next_free_sgpr 87
		.amdhsa_accum_offset 108
		.amdhsa_reserve_vcc 1
		.amdhsa_reserve_flat_scratch 0
		.amdhsa_float_round_mode_32 0
		.amdhsa_float_round_mode_16_64 0
		.amdhsa_float_denorm_mode_32 3
		.amdhsa_float_denorm_mode_16_64 3
		.amdhsa_dx10_clamp 1
		.amdhsa_ieee_mode 1
		.amdhsa_fp16_overflow 0
		.amdhsa_tg_split 0
		.amdhsa_exception_fp_ieee_invalid_op 0
		.amdhsa_exception_fp_denorm_src 0
		.amdhsa_exception_fp_ieee_div_zero 0
		.amdhsa_exception_fp_ieee_overflow 0
		.amdhsa_exception_fp_ieee_underflow 0
		.amdhsa_exception_fp_ieee_inexact 0
		.amdhsa_exception_int_div_zero 0
	.end_amdhsa_kernel
	.section	.text._ZN7rocprim17ROCPRIM_400000_NS6detail17trampoline_kernelINS0_13select_configILj256ELj13ELNS0_17block_load_methodE3ELS4_3ELS4_3ELNS0_20block_scan_algorithmE0ELj4294967295EEENS1_25partition_config_selectorILNS1_17partition_subalgoE4EjNS0_10empty_typeEbEEZZNS1_14partition_implILS8_4ELb0ES6_15HIP_vector_typeIjLj2EENS0_17counting_iteratorIjlEEPS9_SG_NS0_5tupleIJPjSI_NS0_16reverse_iteratorISI_EEEEENSH_IJSG_SG_SG_EEES9_SI_JZNS1_25segmented_radix_sort_implINS0_14default_configELb1EPKbPbPKlPlN2at6native12_GLOBAL__N_18offset_tEEE10hipError_tPvRmT1_PNSt15iterator_traitsIS12_E10value_typeET2_T3_PNS13_IS18_E10value_typeET4_jRbjT5_S1E_jjP12ihipStream_tbEUljE_ZNSN_ISO_Lb1ESQ_SR_ST_SU_SY_EESZ_S10_S11_S12_S16_S17_S18_S1B_S1C_jS1D_jS1E_S1E_jjS1G_bEUljE0_EEESZ_S10_S11_S18_S1C_S1E_T6_T7_T9_mT8_S1G_bDpT10_ENKUlT_T0_E_clISt17integral_constantIbLb0EES1T_IbLb1EEEEDaS1P_S1Q_EUlS1P_E_NS1_11comp_targetILNS1_3genE4ELNS1_11target_archE910ELNS1_3gpuE8ELNS1_3repE0EEENS1_30default_config_static_selectorELNS0_4arch9wavefront6targetE1EEEvS12_,"axG",@progbits,_ZN7rocprim17ROCPRIM_400000_NS6detail17trampoline_kernelINS0_13select_configILj256ELj13ELNS0_17block_load_methodE3ELS4_3ELS4_3ELNS0_20block_scan_algorithmE0ELj4294967295EEENS1_25partition_config_selectorILNS1_17partition_subalgoE4EjNS0_10empty_typeEbEEZZNS1_14partition_implILS8_4ELb0ES6_15HIP_vector_typeIjLj2EENS0_17counting_iteratorIjlEEPS9_SG_NS0_5tupleIJPjSI_NS0_16reverse_iteratorISI_EEEEENSH_IJSG_SG_SG_EEES9_SI_JZNS1_25segmented_radix_sort_implINS0_14default_configELb1EPKbPbPKlPlN2at6native12_GLOBAL__N_18offset_tEEE10hipError_tPvRmT1_PNSt15iterator_traitsIS12_E10value_typeET2_T3_PNS13_IS18_E10value_typeET4_jRbjT5_S1E_jjP12ihipStream_tbEUljE_ZNSN_ISO_Lb1ESQ_SR_ST_SU_SY_EESZ_S10_S11_S12_S16_S17_S18_S1B_S1C_jS1D_jS1E_S1E_jjS1G_bEUljE0_EEESZ_S10_S11_S18_S1C_S1E_T6_T7_T9_mT8_S1G_bDpT10_ENKUlT_T0_E_clISt17integral_constantIbLb0EES1T_IbLb1EEEEDaS1P_S1Q_EUlS1P_E_NS1_11comp_targetILNS1_3genE4ELNS1_11target_archE910ELNS1_3gpuE8ELNS1_3repE0EEENS1_30default_config_static_selectorELNS0_4arch9wavefront6targetE1EEEvS12_,comdat
.Lfunc_end1492:
	.size	_ZN7rocprim17ROCPRIM_400000_NS6detail17trampoline_kernelINS0_13select_configILj256ELj13ELNS0_17block_load_methodE3ELS4_3ELS4_3ELNS0_20block_scan_algorithmE0ELj4294967295EEENS1_25partition_config_selectorILNS1_17partition_subalgoE4EjNS0_10empty_typeEbEEZZNS1_14partition_implILS8_4ELb0ES6_15HIP_vector_typeIjLj2EENS0_17counting_iteratorIjlEEPS9_SG_NS0_5tupleIJPjSI_NS0_16reverse_iteratorISI_EEEEENSH_IJSG_SG_SG_EEES9_SI_JZNS1_25segmented_radix_sort_implINS0_14default_configELb1EPKbPbPKlPlN2at6native12_GLOBAL__N_18offset_tEEE10hipError_tPvRmT1_PNSt15iterator_traitsIS12_E10value_typeET2_T3_PNS13_IS18_E10value_typeET4_jRbjT5_S1E_jjP12ihipStream_tbEUljE_ZNSN_ISO_Lb1ESQ_SR_ST_SU_SY_EESZ_S10_S11_S12_S16_S17_S18_S1B_S1C_jS1D_jS1E_S1E_jjS1G_bEUljE0_EEESZ_S10_S11_S18_S1C_S1E_T6_T7_T9_mT8_S1G_bDpT10_ENKUlT_T0_E_clISt17integral_constantIbLb0EES1T_IbLb1EEEEDaS1P_S1Q_EUlS1P_E_NS1_11comp_targetILNS1_3genE4ELNS1_11target_archE910ELNS1_3gpuE8ELNS1_3repE0EEENS1_30default_config_static_selectorELNS0_4arch9wavefront6targetE1EEEvS12_, .Lfunc_end1492-_ZN7rocprim17ROCPRIM_400000_NS6detail17trampoline_kernelINS0_13select_configILj256ELj13ELNS0_17block_load_methodE3ELS4_3ELS4_3ELNS0_20block_scan_algorithmE0ELj4294967295EEENS1_25partition_config_selectorILNS1_17partition_subalgoE4EjNS0_10empty_typeEbEEZZNS1_14partition_implILS8_4ELb0ES6_15HIP_vector_typeIjLj2EENS0_17counting_iteratorIjlEEPS9_SG_NS0_5tupleIJPjSI_NS0_16reverse_iteratorISI_EEEEENSH_IJSG_SG_SG_EEES9_SI_JZNS1_25segmented_radix_sort_implINS0_14default_configELb1EPKbPbPKlPlN2at6native12_GLOBAL__N_18offset_tEEE10hipError_tPvRmT1_PNSt15iterator_traitsIS12_E10value_typeET2_T3_PNS13_IS18_E10value_typeET4_jRbjT5_S1E_jjP12ihipStream_tbEUljE_ZNSN_ISO_Lb1ESQ_SR_ST_SU_SY_EESZ_S10_S11_S12_S16_S17_S18_S1B_S1C_jS1D_jS1E_S1E_jjS1G_bEUljE0_EEESZ_S10_S11_S18_S1C_S1E_T6_T7_T9_mT8_S1G_bDpT10_ENKUlT_T0_E_clISt17integral_constantIbLb0EES1T_IbLb1EEEEDaS1P_S1Q_EUlS1P_E_NS1_11comp_targetILNS1_3genE4ELNS1_11target_archE910ELNS1_3gpuE8ELNS1_3repE0EEENS1_30default_config_static_selectorELNS0_4arch9wavefront6targetE1EEEvS12_
                                        ; -- End function
	.section	.AMDGPU.csdata,"",@progbits
; Kernel info:
; codeLenInByte = 13432
; NumSgprs: 91
; NumVgprs: 107
; NumAgprs: 0
; TotalNumVgprs: 107
; ScratchSize: 0
; MemoryBound: 0
; FloatMode: 240
; IeeeMode: 1
; LDSByteSize: 13340 bytes/workgroup (compile time only)
; SGPRBlocks: 11
; VGPRBlocks: 13
; NumSGPRsForWavesPerEU: 91
; NumVGPRsForWavesPerEU: 107
; AccumOffset: 108
; Occupancy: 4
; WaveLimiterHint : 1
; COMPUTE_PGM_RSRC2:SCRATCH_EN: 0
; COMPUTE_PGM_RSRC2:USER_SGPR: 6
; COMPUTE_PGM_RSRC2:TRAP_HANDLER: 0
; COMPUTE_PGM_RSRC2:TGID_X_EN: 1
; COMPUTE_PGM_RSRC2:TGID_Y_EN: 0
; COMPUTE_PGM_RSRC2:TGID_Z_EN: 0
; COMPUTE_PGM_RSRC2:TIDIG_COMP_CNT: 0
; COMPUTE_PGM_RSRC3_GFX90A:ACCUM_OFFSET: 26
; COMPUTE_PGM_RSRC3_GFX90A:TG_SPLIT: 0
	.section	.text._ZN7rocprim17ROCPRIM_400000_NS6detail17trampoline_kernelINS0_13select_configILj256ELj13ELNS0_17block_load_methodE3ELS4_3ELS4_3ELNS0_20block_scan_algorithmE0ELj4294967295EEENS1_25partition_config_selectorILNS1_17partition_subalgoE4EjNS0_10empty_typeEbEEZZNS1_14partition_implILS8_4ELb0ES6_15HIP_vector_typeIjLj2EENS0_17counting_iteratorIjlEEPS9_SG_NS0_5tupleIJPjSI_NS0_16reverse_iteratorISI_EEEEENSH_IJSG_SG_SG_EEES9_SI_JZNS1_25segmented_radix_sort_implINS0_14default_configELb1EPKbPbPKlPlN2at6native12_GLOBAL__N_18offset_tEEE10hipError_tPvRmT1_PNSt15iterator_traitsIS12_E10value_typeET2_T3_PNS13_IS18_E10value_typeET4_jRbjT5_S1E_jjP12ihipStream_tbEUljE_ZNSN_ISO_Lb1ESQ_SR_ST_SU_SY_EESZ_S10_S11_S12_S16_S17_S18_S1B_S1C_jS1D_jS1E_S1E_jjS1G_bEUljE0_EEESZ_S10_S11_S18_S1C_S1E_T6_T7_T9_mT8_S1G_bDpT10_ENKUlT_T0_E_clISt17integral_constantIbLb0EES1T_IbLb1EEEEDaS1P_S1Q_EUlS1P_E_NS1_11comp_targetILNS1_3genE3ELNS1_11target_archE908ELNS1_3gpuE7ELNS1_3repE0EEENS1_30default_config_static_selectorELNS0_4arch9wavefront6targetE1EEEvS12_,"axG",@progbits,_ZN7rocprim17ROCPRIM_400000_NS6detail17trampoline_kernelINS0_13select_configILj256ELj13ELNS0_17block_load_methodE3ELS4_3ELS4_3ELNS0_20block_scan_algorithmE0ELj4294967295EEENS1_25partition_config_selectorILNS1_17partition_subalgoE4EjNS0_10empty_typeEbEEZZNS1_14partition_implILS8_4ELb0ES6_15HIP_vector_typeIjLj2EENS0_17counting_iteratorIjlEEPS9_SG_NS0_5tupleIJPjSI_NS0_16reverse_iteratorISI_EEEEENSH_IJSG_SG_SG_EEES9_SI_JZNS1_25segmented_radix_sort_implINS0_14default_configELb1EPKbPbPKlPlN2at6native12_GLOBAL__N_18offset_tEEE10hipError_tPvRmT1_PNSt15iterator_traitsIS12_E10value_typeET2_T3_PNS13_IS18_E10value_typeET4_jRbjT5_S1E_jjP12ihipStream_tbEUljE_ZNSN_ISO_Lb1ESQ_SR_ST_SU_SY_EESZ_S10_S11_S12_S16_S17_S18_S1B_S1C_jS1D_jS1E_S1E_jjS1G_bEUljE0_EEESZ_S10_S11_S18_S1C_S1E_T6_T7_T9_mT8_S1G_bDpT10_ENKUlT_T0_E_clISt17integral_constantIbLb0EES1T_IbLb1EEEEDaS1P_S1Q_EUlS1P_E_NS1_11comp_targetILNS1_3genE3ELNS1_11target_archE908ELNS1_3gpuE7ELNS1_3repE0EEENS1_30default_config_static_selectorELNS0_4arch9wavefront6targetE1EEEvS12_,comdat
	.globl	_ZN7rocprim17ROCPRIM_400000_NS6detail17trampoline_kernelINS0_13select_configILj256ELj13ELNS0_17block_load_methodE3ELS4_3ELS4_3ELNS0_20block_scan_algorithmE0ELj4294967295EEENS1_25partition_config_selectorILNS1_17partition_subalgoE4EjNS0_10empty_typeEbEEZZNS1_14partition_implILS8_4ELb0ES6_15HIP_vector_typeIjLj2EENS0_17counting_iteratorIjlEEPS9_SG_NS0_5tupleIJPjSI_NS0_16reverse_iteratorISI_EEEEENSH_IJSG_SG_SG_EEES9_SI_JZNS1_25segmented_radix_sort_implINS0_14default_configELb1EPKbPbPKlPlN2at6native12_GLOBAL__N_18offset_tEEE10hipError_tPvRmT1_PNSt15iterator_traitsIS12_E10value_typeET2_T3_PNS13_IS18_E10value_typeET4_jRbjT5_S1E_jjP12ihipStream_tbEUljE_ZNSN_ISO_Lb1ESQ_SR_ST_SU_SY_EESZ_S10_S11_S12_S16_S17_S18_S1B_S1C_jS1D_jS1E_S1E_jjS1G_bEUljE0_EEESZ_S10_S11_S18_S1C_S1E_T6_T7_T9_mT8_S1G_bDpT10_ENKUlT_T0_E_clISt17integral_constantIbLb0EES1T_IbLb1EEEEDaS1P_S1Q_EUlS1P_E_NS1_11comp_targetILNS1_3genE3ELNS1_11target_archE908ELNS1_3gpuE7ELNS1_3repE0EEENS1_30default_config_static_selectorELNS0_4arch9wavefront6targetE1EEEvS12_ ; -- Begin function _ZN7rocprim17ROCPRIM_400000_NS6detail17trampoline_kernelINS0_13select_configILj256ELj13ELNS0_17block_load_methodE3ELS4_3ELS4_3ELNS0_20block_scan_algorithmE0ELj4294967295EEENS1_25partition_config_selectorILNS1_17partition_subalgoE4EjNS0_10empty_typeEbEEZZNS1_14partition_implILS8_4ELb0ES6_15HIP_vector_typeIjLj2EENS0_17counting_iteratorIjlEEPS9_SG_NS0_5tupleIJPjSI_NS0_16reverse_iteratorISI_EEEEENSH_IJSG_SG_SG_EEES9_SI_JZNS1_25segmented_radix_sort_implINS0_14default_configELb1EPKbPbPKlPlN2at6native12_GLOBAL__N_18offset_tEEE10hipError_tPvRmT1_PNSt15iterator_traitsIS12_E10value_typeET2_T3_PNS13_IS18_E10value_typeET4_jRbjT5_S1E_jjP12ihipStream_tbEUljE_ZNSN_ISO_Lb1ESQ_SR_ST_SU_SY_EESZ_S10_S11_S12_S16_S17_S18_S1B_S1C_jS1D_jS1E_S1E_jjS1G_bEUljE0_EEESZ_S10_S11_S18_S1C_S1E_T6_T7_T9_mT8_S1G_bDpT10_ENKUlT_T0_E_clISt17integral_constantIbLb0EES1T_IbLb1EEEEDaS1P_S1Q_EUlS1P_E_NS1_11comp_targetILNS1_3genE3ELNS1_11target_archE908ELNS1_3gpuE7ELNS1_3repE0EEENS1_30default_config_static_selectorELNS0_4arch9wavefront6targetE1EEEvS12_
	.p2align	8
	.type	_ZN7rocprim17ROCPRIM_400000_NS6detail17trampoline_kernelINS0_13select_configILj256ELj13ELNS0_17block_load_methodE3ELS4_3ELS4_3ELNS0_20block_scan_algorithmE0ELj4294967295EEENS1_25partition_config_selectorILNS1_17partition_subalgoE4EjNS0_10empty_typeEbEEZZNS1_14partition_implILS8_4ELb0ES6_15HIP_vector_typeIjLj2EENS0_17counting_iteratorIjlEEPS9_SG_NS0_5tupleIJPjSI_NS0_16reverse_iteratorISI_EEEEENSH_IJSG_SG_SG_EEES9_SI_JZNS1_25segmented_radix_sort_implINS0_14default_configELb1EPKbPbPKlPlN2at6native12_GLOBAL__N_18offset_tEEE10hipError_tPvRmT1_PNSt15iterator_traitsIS12_E10value_typeET2_T3_PNS13_IS18_E10value_typeET4_jRbjT5_S1E_jjP12ihipStream_tbEUljE_ZNSN_ISO_Lb1ESQ_SR_ST_SU_SY_EESZ_S10_S11_S12_S16_S17_S18_S1B_S1C_jS1D_jS1E_S1E_jjS1G_bEUljE0_EEESZ_S10_S11_S18_S1C_S1E_T6_T7_T9_mT8_S1G_bDpT10_ENKUlT_T0_E_clISt17integral_constantIbLb0EES1T_IbLb1EEEEDaS1P_S1Q_EUlS1P_E_NS1_11comp_targetILNS1_3genE3ELNS1_11target_archE908ELNS1_3gpuE7ELNS1_3repE0EEENS1_30default_config_static_selectorELNS0_4arch9wavefront6targetE1EEEvS12_,@function
_ZN7rocprim17ROCPRIM_400000_NS6detail17trampoline_kernelINS0_13select_configILj256ELj13ELNS0_17block_load_methodE3ELS4_3ELS4_3ELNS0_20block_scan_algorithmE0ELj4294967295EEENS1_25partition_config_selectorILNS1_17partition_subalgoE4EjNS0_10empty_typeEbEEZZNS1_14partition_implILS8_4ELb0ES6_15HIP_vector_typeIjLj2EENS0_17counting_iteratorIjlEEPS9_SG_NS0_5tupleIJPjSI_NS0_16reverse_iteratorISI_EEEEENSH_IJSG_SG_SG_EEES9_SI_JZNS1_25segmented_radix_sort_implINS0_14default_configELb1EPKbPbPKlPlN2at6native12_GLOBAL__N_18offset_tEEE10hipError_tPvRmT1_PNSt15iterator_traitsIS12_E10value_typeET2_T3_PNS13_IS18_E10value_typeET4_jRbjT5_S1E_jjP12ihipStream_tbEUljE_ZNSN_ISO_Lb1ESQ_SR_ST_SU_SY_EESZ_S10_S11_S12_S16_S17_S18_S1B_S1C_jS1D_jS1E_S1E_jjS1G_bEUljE0_EEESZ_S10_S11_S18_S1C_S1E_T6_T7_T9_mT8_S1G_bDpT10_ENKUlT_T0_E_clISt17integral_constantIbLb0EES1T_IbLb1EEEEDaS1P_S1Q_EUlS1P_E_NS1_11comp_targetILNS1_3genE3ELNS1_11target_archE908ELNS1_3gpuE7ELNS1_3repE0EEENS1_30default_config_static_selectorELNS0_4arch9wavefront6targetE1EEEvS12_: ; @_ZN7rocprim17ROCPRIM_400000_NS6detail17trampoline_kernelINS0_13select_configILj256ELj13ELNS0_17block_load_methodE3ELS4_3ELS4_3ELNS0_20block_scan_algorithmE0ELj4294967295EEENS1_25partition_config_selectorILNS1_17partition_subalgoE4EjNS0_10empty_typeEbEEZZNS1_14partition_implILS8_4ELb0ES6_15HIP_vector_typeIjLj2EENS0_17counting_iteratorIjlEEPS9_SG_NS0_5tupleIJPjSI_NS0_16reverse_iteratorISI_EEEEENSH_IJSG_SG_SG_EEES9_SI_JZNS1_25segmented_radix_sort_implINS0_14default_configELb1EPKbPbPKlPlN2at6native12_GLOBAL__N_18offset_tEEE10hipError_tPvRmT1_PNSt15iterator_traitsIS12_E10value_typeET2_T3_PNS13_IS18_E10value_typeET4_jRbjT5_S1E_jjP12ihipStream_tbEUljE_ZNSN_ISO_Lb1ESQ_SR_ST_SU_SY_EESZ_S10_S11_S12_S16_S17_S18_S1B_S1C_jS1D_jS1E_S1E_jjS1G_bEUljE0_EEESZ_S10_S11_S18_S1C_S1E_T6_T7_T9_mT8_S1G_bDpT10_ENKUlT_T0_E_clISt17integral_constantIbLb0EES1T_IbLb1EEEEDaS1P_S1Q_EUlS1P_E_NS1_11comp_targetILNS1_3genE3ELNS1_11target_archE908ELNS1_3gpuE7ELNS1_3repE0EEENS1_30default_config_static_selectorELNS0_4arch9wavefront6targetE1EEEvS12_
; %bb.0:
	.section	.rodata,"a",@progbits
	.p2align	6, 0x0
	.amdhsa_kernel _ZN7rocprim17ROCPRIM_400000_NS6detail17trampoline_kernelINS0_13select_configILj256ELj13ELNS0_17block_load_methodE3ELS4_3ELS4_3ELNS0_20block_scan_algorithmE0ELj4294967295EEENS1_25partition_config_selectorILNS1_17partition_subalgoE4EjNS0_10empty_typeEbEEZZNS1_14partition_implILS8_4ELb0ES6_15HIP_vector_typeIjLj2EENS0_17counting_iteratorIjlEEPS9_SG_NS0_5tupleIJPjSI_NS0_16reverse_iteratorISI_EEEEENSH_IJSG_SG_SG_EEES9_SI_JZNS1_25segmented_radix_sort_implINS0_14default_configELb1EPKbPbPKlPlN2at6native12_GLOBAL__N_18offset_tEEE10hipError_tPvRmT1_PNSt15iterator_traitsIS12_E10value_typeET2_T3_PNS13_IS18_E10value_typeET4_jRbjT5_S1E_jjP12ihipStream_tbEUljE_ZNSN_ISO_Lb1ESQ_SR_ST_SU_SY_EESZ_S10_S11_S12_S16_S17_S18_S1B_S1C_jS1D_jS1E_S1E_jjS1G_bEUljE0_EEESZ_S10_S11_S18_S1C_S1E_T6_T7_T9_mT8_S1G_bDpT10_ENKUlT_T0_E_clISt17integral_constantIbLb0EES1T_IbLb1EEEEDaS1P_S1Q_EUlS1P_E_NS1_11comp_targetILNS1_3genE3ELNS1_11target_archE908ELNS1_3gpuE7ELNS1_3repE0EEENS1_30default_config_static_selectorELNS0_4arch9wavefront6targetE1EEEvS12_
		.amdhsa_group_segment_fixed_size 0
		.amdhsa_private_segment_fixed_size 0
		.amdhsa_kernarg_size 184
		.amdhsa_user_sgpr_count 6
		.amdhsa_user_sgpr_private_segment_buffer 1
		.amdhsa_user_sgpr_dispatch_ptr 0
		.amdhsa_user_sgpr_queue_ptr 0
		.amdhsa_user_sgpr_kernarg_segment_ptr 1
		.amdhsa_user_sgpr_dispatch_id 0
		.amdhsa_user_sgpr_flat_scratch_init 0
		.amdhsa_user_sgpr_kernarg_preload_length 0
		.amdhsa_user_sgpr_kernarg_preload_offset 0
		.amdhsa_user_sgpr_private_segment_size 0
		.amdhsa_uses_dynamic_stack 0
		.amdhsa_system_sgpr_private_segment_wavefront_offset 0
		.amdhsa_system_sgpr_workgroup_id_x 1
		.amdhsa_system_sgpr_workgroup_id_y 0
		.amdhsa_system_sgpr_workgroup_id_z 0
		.amdhsa_system_sgpr_workgroup_info 0
		.amdhsa_system_vgpr_workitem_id 0
		.amdhsa_next_free_vgpr 1
		.amdhsa_next_free_sgpr 0
		.amdhsa_accum_offset 4
		.amdhsa_reserve_vcc 0
		.amdhsa_reserve_flat_scratch 0
		.amdhsa_float_round_mode_32 0
		.amdhsa_float_round_mode_16_64 0
		.amdhsa_float_denorm_mode_32 3
		.amdhsa_float_denorm_mode_16_64 3
		.amdhsa_dx10_clamp 1
		.amdhsa_ieee_mode 1
		.amdhsa_fp16_overflow 0
		.amdhsa_tg_split 0
		.amdhsa_exception_fp_ieee_invalid_op 0
		.amdhsa_exception_fp_denorm_src 0
		.amdhsa_exception_fp_ieee_div_zero 0
		.amdhsa_exception_fp_ieee_overflow 0
		.amdhsa_exception_fp_ieee_underflow 0
		.amdhsa_exception_fp_ieee_inexact 0
		.amdhsa_exception_int_div_zero 0
	.end_amdhsa_kernel
	.section	.text._ZN7rocprim17ROCPRIM_400000_NS6detail17trampoline_kernelINS0_13select_configILj256ELj13ELNS0_17block_load_methodE3ELS4_3ELS4_3ELNS0_20block_scan_algorithmE0ELj4294967295EEENS1_25partition_config_selectorILNS1_17partition_subalgoE4EjNS0_10empty_typeEbEEZZNS1_14partition_implILS8_4ELb0ES6_15HIP_vector_typeIjLj2EENS0_17counting_iteratorIjlEEPS9_SG_NS0_5tupleIJPjSI_NS0_16reverse_iteratorISI_EEEEENSH_IJSG_SG_SG_EEES9_SI_JZNS1_25segmented_radix_sort_implINS0_14default_configELb1EPKbPbPKlPlN2at6native12_GLOBAL__N_18offset_tEEE10hipError_tPvRmT1_PNSt15iterator_traitsIS12_E10value_typeET2_T3_PNS13_IS18_E10value_typeET4_jRbjT5_S1E_jjP12ihipStream_tbEUljE_ZNSN_ISO_Lb1ESQ_SR_ST_SU_SY_EESZ_S10_S11_S12_S16_S17_S18_S1B_S1C_jS1D_jS1E_S1E_jjS1G_bEUljE0_EEESZ_S10_S11_S18_S1C_S1E_T6_T7_T9_mT8_S1G_bDpT10_ENKUlT_T0_E_clISt17integral_constantIbLb0EES1T_IbLb1EEEEDaS1P_S1Q_EUlS1P_E_NS1_11comp_targetILNS1_3genE3ELNS1_11target_archE908ELNS1_3gpuE7ELNS1_3repE0EEENS1_30default_config_static_selectorELNS0_4arch9wavefront6targetE1EEEvS12_,"axG",@progbits,_ZN7rocprim17ROCPRIM_400000_NS6detail17trampoline_kernelINS0_13select_configILj256ELj13ELNS0_17block_load_methodE3ELS4_3ELS4_3ELNS0_20block_scan_algorithmE0ELj4294967295EEENS1_25partition_config_selectorILNS1_17partition_subalgoE4EjNS0_10empty_typeEbEEZZNS1_14partition_implILS8_4ELb0ES6_15HIP_vector_typeIjLj2EENS0_17counting_iteratorIjlEEPS9_SG_NS0_5tupleIJPjSI_NS0_16reverse_iteratorISI_EEEEENSH_IJSG_SG_SG_EEES9_SI_JZNS1_25segmented_radix_sort_implINS0_14default_configELb1EPKbPbPKlPlN2at6native12_GLOBAL__N_18offset_tEEE10hipError_tPvRmT1_PNSt15iterator_traitsIS12_E10value_typeET2_T3_PNS13_IS18_E10value_typeET4_jRbjT5_S1E_jjP12ihipStream_tbEUljE_ZNSN_ISO_Lb1ESQ_SR_ST_SU_SY_EESZ_S10_S11_S12_S16_S17_S18_S1B_S1C_jS1D_jS1E_S1E_jjS1G_bEUljE0_EEESZ_S10_S11_S18_S1C_S1E_T6_T7_T9_mT8_S1G_bDpT10_ENKUlT_T0_E_clISt17integral_constantIbLb0EES1T_IbLb1EEEEDaS1P_S1Q_EUlS1P_E_NS1_11comp_targetILNS1_3genE3ELNS1_11target_archE908ELNS1_3gpuE7ELNS1_3repE0EEENS1_30default_config_static_selectorELNS0_4arch9wavefront6targetE1EEEvS12_,comdat
.Lfunc_end1493:
	.size	_ZN7rocprim17ROCPRIM_400000_NS6detail17trampoline_kernelINS0_13select_configILj256ELj13ELNS0_17block_load_methodE3ELS4_3ELS4_3ELNS0_20block_scan_algorithmE0ELj4294967295EEENS1_25partition_config_selectorILNS1_17partition_subalgoE4EjNS0_10empty_typeEbEEZZNS1_14partition_implILS8_4ELb0ES6_15HIP_vector_typeIjLj2EENS0_17counting_iteratorIjlEEPS9_SG_NS0_5tupleIJPjSI_NS0_16reverse_iteratorISI_EEEEENSH_IJSG_SG_SG_EEES9_SI_JZNS1_25segmented_radix_sort_implINS0_14default_configELb1EPKbPbPKlPlN2at6native12_GLOBAL__N_18offset_tEEE10hipError_tPvRmT1_PNSt15iterator_traitsIS12_E10value_typeET2_T3_PNS13_IS18_E10value_typeET4_jRbjT5_S1E_jjP12ihipStream_tbEUljE_ZNSN_ISO_Lb1ESQ_SR_ST_SU_SY_EESZ_S10_S11_S12_S16_S17_S18_S1B_S1C_jS1D_jS1E_S1E_jjS1G_bEUljE0_EEESZ_S10_S11_S18_S1C_S1E_T6_T7_T9_mT8_S1G_bDpT10_ENKUlT_T0_E_clISt17integral_constantIbLb0EES1T_IbLb1EEEEDaS1P_S1Q_EUlS1P_E_NS1_11comp_targetILNS1_3genE3ELNS1_11target_archE908ELNS1_3gpuE7ELNS1_3repE0EEENS1_30default_config_static_selectorELNS0_4arch9wavefront6targetE1EEEvS12_, .Lfunc_end1493-_ZN7rocprim17ROCPRIM_400000_NS6detail17trampoline_kernelINS0_13select_configILj256ELj13ELNS0_17block_load_methodE3ELS4_3ELS4_3ELNS0_20block_scan_algorithmE0ELj4294967295EEENS1_25partition_config_selectorILNS1_17partition_subalgoE4EjNS0_10empty_typeEbEEZZNS1_14partition_implILS8_4ELb0ES6_15HIP_vector_typeIjLj2EENS0_17counting_iteratorIjlEEPS9_SG_NS0_5tupleIJPjSI_NS0_16reverse_iteratorISI_EEEEENSH_IJSG_SG_SG_EEES9_SI_JZNS1_25segmented_radix_sort_implINS0_14default_configELb1EPKbPbPKlPlN2at6native12_GLOBAL__N_18offset_tEEE10hipError_tPvRmT1_PNSt15iterator_traitsIS12_E10value_typeET2_T3_PNS13_IS18_E10value_typeET4_jRbjT5_S1E_jjP12ihipStream_tbEUljE_ZNSN_ISO_Lb1ESQ_SR_ST_SU_SY_EESZ_S10_S11_S12_S16_S17_S18_S1B_S1C_jS1D_jS1E_S1E_jjS1G_bEUljE0_EEESZ_S10_S11_S18_S1C_S1E_T6_T7_T9_mT8_S1G_bDpT10_ENKUlT_T0_E_clISt17integral_constantIbLb0EES1T_IbLb1EEEEDaS1P_S1Q_EUlS1P_E_NS1_11comp_targetILNS1_3genE3ELNS1_11target_archE908ELNS1_3gpuE7ELNS1_3repE0EEENS1_30default_config_static_selectorELNS0_4arch9wavefront6targetE1EEEvS12_
                                        ; -- End function
	.section	.AMDGPU.csdata,"",@progbits
; Kernel info:
; codeLenInByte = 0
; NumSgprs: 4
; NumVgprs: 0
; NumAgprs: 0
; TotalNumVgprs: 0
; ScratchSize: 0
; MemoryBound: 0
; FloatMode: 240
; IeeeMode: 1
; LDSByteSize: 0 bytes/workgroup (compile time only)
; SGPRBlocks: 0
; VGPRBlocks: 0
; NumSGPRsForWavesPerEU: 4
; NumVGPRsForWavesPerEU: 1
; AccumOffset: 4
; Occupancy: 8
; WaveLimiterHint : 0
; COMPUTE_PGM_RSRC2:SCRATCH_EN: 0
; COMPUTE_PGM_RSRC2:USER_SGPR: 6
; COMPUTE_PGM_RSRC2:TRAP_HANDLER: 0
; COMPUTE_PGM_RSRC2:TGID_X_EN: 1
; COMPUTE_PGM_RSRC2:TGID_Y_EN: 0
; COMPUTE_PGM_RSRC2:TGID_Z_EN: 0
; COMPUTE_PGM_RSRC2:TIDIG_COMP_CNT: 0
; COMPUTE_PGM_RSRC3_GFX90A:ACCUM_OFFSET: 0
; COMPUTE_PGM_RSRC3_GFX90A:TG_SPLIT: 0
	.section	.text._ZN7rocprim17ROCPRIM_400000_NS6detail17trampoline_kernelINS0_13select_configILj256ELj13ELNS0_17block_load_methodE3ELS4_3ELS4_3ELNS0_20block_scan_algorithmE0ELj4294967295EEENS1_25partition_config_selectorILNS1_17partition_subalgoE4EjNS0_10empty_typeEbEEZZNS1_14partition_implILS8_4ELb0ES6_15HIP_vector_typeIjLj2EENS0_17counting_iteratorIjlEEPS9_SG_NS0_5tupleIJPjSI_NS0_16reverse_iteratorISI_EEEEENSH_IJSG_SG_SG_EEES9_SI_JZNS1_25segmented_radix_sort_implINS0_14default_configELb1EPKbPbPKlPlN2at6native12_GLOBAL__N_18offset_tEEE10hipError_tPvRmT1_PNSt15iterator_traitsIS12_E10value_typeET2_T3_PNS13_IS18_E10value_typeET4_jRbjT5_S1E_jjP12ihipStream_tbEUljE_ZNSN_ISO_Lb1ESQ_SR_ST_SU_SY_EESZ_S10_S11_S12_S16_S17_S18_S1B_S1C_jS1D_jS1E_S1E_jjS1G_bEUljE0_EEESZ_S10_S11_S18_S1C_S1E_T6_T7_T9_mT8_S1G_bDpT10_ENKUlT_T0_E_clISt17integral_constantIbLb0EES1T_IbLb1EEEEDaS1P_S1Q_EUlS1P_E_NS1_11comp_targetILNS1_3genE2ELNS1_11target_archE906ELNS1_3gpuE6ELNS1_3repE0EEENS1_30default_config_static_selectorELNS0_4arch9wavefront6targetE1EEEvS12_,"axG",@progbits,_ZN7rocprim17ROCPRIM_400000_NS6detail17trampoline_kernelINS0_13select_configILj256ELj13ELNS0_17block_load_methodE3ELS4_3ELS4_3ELNS0_20block_scan_algorithmE0ELj4294967295EEENS1_25partition_config_selectorILNS1_17partition_subalgoE4EjNS0_10empty_typeEbEEZZNS1_14partition_implILS8_4ELb0ES6_15HIP_vector_typeIjLj2EENS0_17counting_iteratorIjlEEPS9_SG_NS0_5tupleIJPjSI_NS0_16reverse_iteratorISI_EEEEENSH_IJSG_SG_SG_EEES9_SI_JZNS1_25segmented_radix_sort_implINS0_14default_configELb1EPKbPbPKlPlN2at6native12_GLOBAL__N_18offset_tEEE10hipError_tPvRmT1_PNSt15iterator_traitsIS12_E10value_typeET2_T3_PNS13_IS18_E10value_typeET4_jRbjT5_S1E_jjP12ihipStream_tbEUljE_ZNSN_ISO_Lb1ESQ_SR_ST_SU_SY_EESZ_S10_S11_S12_S16_S17_S18_S1B_S1C_jS1D_jS1E_S1E_jjS1G_bEUljE0_EEESZ_S10_S11_S18_S1C_S1E_T6_T7_T9_mT8_S1G_bDpT10_ENKUlT_T0_E_clISt17integral_constantIbLb0EES1T_IbLb1EEEEDaS1P_S1Q_EUlS1P_E_NS1_11comp_targetILNS1_3genE2ELNS1_11target_archE906ELNS1_3gpuE6ELNS1_3repE0EEENS1_30default_config_static_selectorELNS0_4arch9wavefront6targetE1EEEvS12_,comdat
	.globl	_ZN7rocprim17ROCPRIM_400000_NS6detail17trampoline_kernelINS0_13select_configILj256ELj13ELNS0_17block_load_methodE3ELS4_3ELS4_3ELNS0_20block_scan_algorithmE0ELj4294967295EEENS1_25partition_config_selectorILNS1_17partition_subalgoE4EjNS0_10empty_typeEbEEZZNS1_14partition_implILS8_4ELb0ES6_15HIP_vector_typeIjLj2EENS0_17counting_iteratorIjlEEPS9_SG_NS0_5tupleIJPjSI_NS0_16reverse_iteratorISI_EEEEENSH_IJSG_SG_SG_EEES9_SI_JZNS1_25segmented_radix_sort_implINS0_14default_configELb1EPKbPbPKlPlN2at6native12_GLOBAL__N_18offset_tEEE10hipError_tPvRmT1_PNSt15iterator_traitsIS12_E10value_typeET2_T3_PNS13_IS18_E10value_typeET4_jRbjT5_S1E_jjP12ihipStream_tbEUljE_ZNSN_ISO_Lb1ESQ_SR_ST_SU_SY_EESZ_S10_S11_S12_S16_S17_S18_S1B_S1C_jS1D_jS1E_S1E_jjS1G_bEUljE0_EEESZ_S10_S11_S18_S1C_S1E_T6_T7_T9_mT8_S1G_bDpT10_ENKUlT_T0_E_clISt17integral_constantIbLb0EES1T_IbLb1EEEEDaS1P_S1Q_EUlS1P_E_NS1_11comp_targetILNS1_3genE2ELNS1_11target_archE906ELNS1_3gpuE6ELNS1_3repE0EEENS1_30default_config_static_selectorELNS0_4arch9wavefront6targetE1EEEvS12_ ; -- Begin function _ZN7rocprim17ROCPRIM_400000_NS6detail17trampoline_kernelINS0_13select_configILj256ELj13ELNS0_17block_load_methodE3ELS4_3ELS4_3ELNS0_20block_scan_algorithmE0ELj4294967295EEENS1_25partition_config_selectorILNS1_17partition_subalgoE4EjNS0_10empty_typeEbEEZZNS1_14partition_implILS8_4ELb0ES6_15HIP_vector_typeIjLj2EENS0_17counting_iteratorIjlEEPS9_SG_NS0_5tupleIJPjSI_NS0_16reverse_iteratorISI_EEEEENSH_IJSG_SG_SG_EEES9_SI_JZNS1_25segmented_radix_sort_implINS0_14default_configELb1EPKbPbPKlPlN2at6native12_GLOBAL__N_18offset_tEEE10hipError_tPvRmT1_PNSt15iterator_traitsIS12_E10value_typeET2_T3_PNS13_IS18_E10value_typeET4_jRbjT5_S1E_jjP12ihipStream_tbEUljE_ZNSN_ISO_Lb1ESQ_SR_ST_SU_SY_EESZ_S10_S11_S12_S16_S17_S18_S1B_S1C_jS1D_jS1E_S1E_jjS1G_bEUljE0_EEESZ_S10_S11_S18_S1C_S1E_T6_T7_T9_mT8_S1G_bDpT10_ENKUlT_T0_E_clISt17integral_constantIbLb0EES1T_IbLb1EEEEDaS1P_S1Q_EUlS1P_E_NS1_11comp_targetILNS1_3genE2ELNS1_11target_archE906ELNS1_3gpuE6ELNS1_3repE0EEENS1_30default_config_static_selectorELNS0_4arch9wavefront6targetE1EEEvS12_
	.p2align	8
	.type	_ZN7rocprim17ROCPRIM_400000_NS6detail17trampoline_kernelINS0_13select_configILj256ELj13ELNS0_17block_load_methodE3ELS4_3ELS4_3ELNS0_20block_scan_algorithmE0ELj4294967295EEENS1_25partition_config_selectorILNS1_17partition_subalgoE4EjNS0_10empty_typeEbEEZZNS1_14partition_implILS8_4ELb0ES6_15HIP_vector_typeIjLj2EENS0_17counting_iteratorIjlEEPS9_SG_NS0_5tupleIJPjSI_NS0_16reverse_iteratorISI_EEEEENSH_IJSG_SG_SG_EEES9_SI_JZNS1_25segmented_radix_sort_implINS0_14default_configELb1EPKbPbPKlPlN2at6native12_GLOBAL__N_18offset_tEEE10hipError_tPvRmT1_PNSt15iterator_traitsIS12_E10value_typeET2_T3_PNS13_IS18_E10value_typeET4_jRbjT5_S1E_jjP12ihipStream_tbEUljE_ZNSN_ISO_Lb1ESQ_SR_ST_SU_SY_EESZ_S10_S11_S12_S16_S17_S18_S1B_S1C_jS1D_jS1E_S1E_jjS1G_bEUljE0_EEESZ_S10_S11_S18_S1C_S1E_T6_T7_T9_mT8_S1G_bDpT10_ENKUlT_T0_E_clISt17integral_constantIbLb0EES1T_IbLb1EEEEDaS1P_S1Q_EUlS1P_E_NS1_11comp_targetILNS1_3genE2ELNS1_11target_archE906ELNS1_3gpuE6ELNS1_3repE0EEENS1_30default_config_static_selectorELNS0_4arch9wavefront6targetE1EEEvS12_,@function
_ZN7rocprim17ROCPRIM_400000_NS6detail17trampoline_kernelINS0_13select_configILj256ELj13ELNS0_17block_load_methodE3ELS4_3ELS4_3ELNS0_20block_scan_algorithmE0ELj4294967295EEENS1_25partition_config_selectorILNS1_17partition_subalgoE4EjNS0_10empty_typeEbEEZZNS1_14partition_implILS8_4ELb0ES6_15HIP_vector_typeIjLj2EENS0_17counting_iteratorIjlEEPS9_SG_NS0_5tupleIJPjSI_NS0_16reverse_iteratorISI_EEEEENSH_IJSG_SG_SG_EEES9_SI_JZNS1_25segmented_radix_sort_implINS0_14default_configELb1EPKbPbPKlPlN2at6native12_GLOBAL__N_18offset_tEEE10hipError_tPvRmT1_PNSt15iterator_traitsIS12_E10value_typeET2_T3_PNS13_IS18_E10value_typeET4_jRbjT5_S1E_jjP12ihipStream_tbEUljE_ZNSN_ISO_Lb1ESQ_SR_ST_SU_SY_EESZ_S10_S11_S12_S16_S17_S18_S1B_S1C_jS1D_jS1E_S1E_jjS1G_bEUljE0_EEESZ_S10_S11_S18_S1C_S1E_T6_T7_T9_mT8_S1G_bDpT10_ENKUlT_T0_E_clISt17integral_constantIbLb0EES1T_IbLb1EEEEDaS1P_S1Q_EUlS1P_E_NS1_11comp_targetILNS1_3genE2ELNS1_11target_archE906ELNS1_3gpuE6ELNS1_3repE0EEENS1_30default_config_static_selectorELNS0_4arch9wavefront6targetE1EEEvS12_: ; @_ZN7rocprim17ROCPRIM_400000_NS6detail17trampoline_kernelINS0_13select_configILj256ELj13ELNS0_17block_load_methodE3ELS4_3ELS4_3ELNS0_20block_scan_algorithmE0ELj4294967295EEENS1_25partition_config_selectorILNS1_17partition_subalgoE4EjNS0_10empty_typeEbEEZZNS1_14partition_implILS8_4ELb0ES6_15HIP_vector_typeIjLj2EENS0_17counting_iteratorIjlEEPS9_SG_NS0_5tupleIJPjSI_NS0_16reverse_iteratorISI_EEEEENSH_IJSG_SG_SG_EEES9_SI_JZNS1_25segmented_radix_sort_implINS0_14default_configELb1EPKbPbPKlPlN2at6native12_GLOBAL__N_18offset_tEEE10hipError_tPvRmT1_PNSt15iterator_traitsIS12_E10value_typeET2_T3_PNS13_IS18_E10value_typeET4_jRbjT5_S1E_jjP12ihipStream_tbEUljE_ZNSN_ISO_Lb1ESQ_SR_ST_SU_SY_EESZ_S10_S11_S12_S16_S17_S18_S1B_S1C_jS1D_jS1E_S1E_jjS1G_bEUljE0_EEESZ_S10_S11_S18_S1C_S1E_T6_T7_T9_mT8_S1G_bDpT10_ENKUlT_T0_E_clISt17integral_constantIbLb0EES1T_IbLb1EEEEDaS1P_S1Q_EUlS1P_E_NS1_11comp_targetILNS1_3genE2ELNS1_11target_archE906ELNS1_3gpuE6ELNS1_3repE0EEENS1_30default_config_static_selectorELNS0_4arch9wavefront6targetE1EEEvS12_
; %bb.0:
	.section	.rodata,"a",@progbits
	.p2align	6, 0x0
	.amdhsa_kernel _ZN7rocprim17ROCPRIM_400000_NS6detail17trampoline_kernelINS0_13select_configILj256ELj13ELNS0_17block_load_methodE3ELS4_3ELS4_3ELNS0_20block_scan_algorithmE0ELj4294967295EEENS1_25partition_config_selectorILNS1_17partition_subalgoE4EjNS0_10empty_typeEbEEZZNS1_14partition_implILS8_4ELb0ES6_15HIP_vector_typeIjLj2EENS0_17counting_iteratorIjlEEPS9_SG_NS0_5tupleIJPjSI_NS0_16reverse_iteratorISI_EEEEENSH_IJSG_SG_SG_EEES9_SI_JZNS1_25segmented_radix_sort_implINS0_14default_configELb1EPKbPbPKlPlN2at6native12_GLOBAL__N_18offset_tEEE10hipError_tPvRmT1_PNSt15iterator_traitsIS12_E10value_typeET2_T3_PNS13_IS18_E10value_typeET4_jRbjT5_S1E_jjP12ihipStream_tbEUljE_ZNSN_ISO_Lb1ESQ_SR_ST_SU_SY_EESZ_S10_S11_S12_S16_S17_S18_S1B_S1C_jS1D_jS1E_S1E_jjS1G_bEUljE0_EEESZ_S10_S11_S18_S1C_S1E_T6_T7_T9_mT8_S1G_bDpT10_ENKUlT_T0_E_clISt17integral_constantIbLb0EES1T_IbLb1EEEEDaS1P_S1Q_EUlS1P_E_NS1_11comp_targetILNS1_3genE2ELNS1_11target_archE906ELNS1_3gpuE6ELNS1_3repE0EEENS1_30default_config_static_selectorELNS0_4arch9wavefront6targetE1EEEvS12_
		.amdhsa_group_segment_fixed_size 0
		.amdhsa_private_segment_fixed_size 0
		.amdhsa_kernarg_size 184
		.amdhsa_user_sgpr_count 6
		.amdhsa_user_sgpr_private_segment_buffer 1
		.amdhsa_user_sgpr_dispatch_ptr 0
		.amdhsa_user_sgpr_queue_ptr 0
		.amdhsa_user_sgpr_kernarg_segment_ptr 1
		.amdhsa_user_sgpr_dispatch_id 0
		.amdhsa_user_sgpr_flat_scratch_init 0
		.amdhsa_user_sgpr_kernarg_preload_length 0
		.amdhsa_user_sgpr_kernarg_preload_offset 0
		.amdhsa_user_sgpr_private_segment_size 0
		.amdhsa_uses_dynamic_stack 0
		.amdhsa_system_sgpr_private_segment_wavefront_offset 0
		.amdhsa_system_sgpr_workgroup_id_x 1
		.amdhsa_system_sgpr_workgroup_id_y 0
		.amdhsa_system_sgpr_workgroup_id_z 0
		.amdhsa_system_sgpr_workgroup_info 0
		.amdhsa_system_vgpr_workitem_id 0
		.amdhsa_next_free_vgpr 1
		.amdhsa_next_free_sgpr 0
		.amdhsa_accum_offset 4
		.amdhsa_reserve_vcc 0
		.amdhsa_reserve_flat_scratch 0
		.amdhsa_float_round_mode_32 0
		.amdhsa_float_round_mode_16_64 0
		.amdhsa_float_denorm_mode_32 3
		.amdhsa_float_denorm_mode_16_64 3
		.amdhsa_dx10_clamp 1
		.amdhsa_ieee_mode 1
		.amdhsa_fp16_overflow 0
		.amdhsa_tg_split 0
		.amdhsa_exception_fp_ieee_invalid_op 0
		.amdhsa_exception_fp_denorm_src 0
		.amdhsa_exception_fp_ieee_div_zero 0
		.amdhsa_exception_fp_ieee_overflow 0
		.amdhsa_exception_fp_ieee_underflow 0
		.amdhsa_exception_fp_ieee_inexact 0
		.amdhsa_exception_int_div_zero 0
	.end_amdhsa_kernel
	.section	.text._ZN7rocprim17ROCPRIM_400000_NS6detail17trampoline_kernelINS0_13select_configILj256ELj13ELNS0_17block_load_methodE3ELS4_3ELS4_3ELNS0_20block_scan_algorithmE0ELj4294967295EEENS1_25partition_config_selectorILNS1_17partition_subalgoE4EjNS0_10empty_typeEbEEZZNS1_14partition_implILS8_4ELb0ES6_15HIP_vector_typeIjLj2EENS0_17counting_iteratorIjlEEPS9_SG_NS0_5tupleIJPjSI_NS0_16reverse_iteratorISI_EEEEENSH_IJSG_SG_SG_EEES9_SI_JZNS1_25segmented_radix_sort_implINS0_14default_configELb1EPKbPbPKlPlN2at6native12_GLOBAL__N_18offset_tEEE10hipError_tPvRmT1_PNSt15iterator_traitsIS12_E10value_typeET2_T3_PNS13_IS18_E10value_typeET4_jRbjT5_S1E_jjP12ihipStream_tbEUljE_ZNSN_ISO_Lb1ESQ_SR_ST_SU_SY_EESZ_S10_S11_S12_S16_S17_S18_S1B_S1C_jS1D_jS1E_S1E_jjS1G_bEUljE0_EEESZ_S10_S11_S18_S1C_S1E_T6_T7_T9_mT8_S1G_bDpT10_ENKUlT_T0_E_clISt17integral_constantIbLb0EES1T_IbLb1EEEEDaS1P_S1Q_EUlS1P_E_NS1_11comp_targetILNS1_3genE2ELNS1_11target_archE906ELNS1_3gpuE6ELNS1_3repE0EEENS1_30default_config_static_selectorELNS0_4arch9wavefront6targetE1EEEvS12_,"axG",@progbits,_ZN7rocprim17ROCPRIM_400000_NS6detail17trampoline_kernelINS0_13select_configILj256ELj13ELNS0_17block_load_methodE3ELS4_3ELS4_3ELNS0_20block_scan_algorithmE0ELj4294967295EEENS1_25partition_config_selectorILNS1_17partition_subalgoE4EjNS0_10empty_typeEbEEZZNS1_14partition_implILS8_4ELb0ES6_15HIP_vector_typeIjLj2EENS0_17counting_iteratorIjlEEPS9_SG_NS0_5tupleIJPjSI_NS0_16reverse_iteratorISI_EEEEENSH_IJSG_SG_SG_EEES9_SI_JZNS1_25segmented_radix_sort_implINS0_14default_configELb1EPKbPbPKlPlN2at6native12_GLOBAL__N_18offset_tEEE10hipError_tPvRmT1_PNSt15iterator_traitsIS12_E10value_typeET2_T3_PNS13_IS18_E10value_typeET4_jRbjT5_S1E_jjP12ihipStream_tbEUljE_ZNSN_ISO_Lb1ESQ_SR_ST_SU_SY_EESZ_S10_S11_S12_S16_S17_S18_S1B_S1C_jS1D_jS1E_S1E_jjS1G_bEUljE0_EEESZ_S10_S11_S18_S1C_S1E_T6_T7_T9_mT8_S1G_bDpT10_ENKUlT_T0_E_clISt17integral_constantIbLb0EES1T_IbLb1EEEEDaS1P_S1Q_EUlS1P_E_NS1_11comp_targetILNS1_3genE2ELNS1_11target_archE906ELNS1_3gpuE6ELNS1_3repE0EEENS1_30default_config_static_selectorELNS0_4arch9wavefront6targetE1EEEvS12_,comdat
.Lfunc_end1494:
	.size	_ZN7rocprim17ROCPRIM_400000_NS6detail17trampoline_kernelINS0_13select_configILj256ELj13ELNS0_17block_load_methodE3ELS4_3ELS4_3ELNS0_20block_scan_algorithmE0ELj4294967295EEENS1_25partition_config_selectorILNS1_17partition_subalgoE4EjNS0_10empty_typeEbEEZZNS1_14partition_implILS8_4ELb0ES6_15HIP_vector_typeIjLj2EENS0_17counting_iteratorIjlEEPS9_SG_NS0_5tupleIJPjSI_NS0_16reverse_iteratorISI_EEEEENSH_IJSG_SG_SG_EEES9_SI_JZNS1_25segmented_radix_sort_implINS0_14default_configELb1EPKbPbPKlPlN2at6native12_GLOBAL__N_18offset_tEEE10hipError_tPvRmT1_PNSt15iterator_traitsIS12_E10value_typeET2_T3_PNS13_IS18_E10value_typeET4_jRbjT5_S1E_jjP12ihipStream_tbEUljE_ZNSN_ISO_Lb1ESQ_SR_ST_SU_SY_EESZ_S10_S11_S12_S16_S17_S18_S1B_S1C_jS1D_jS1E_S1E_jjS1G_bEUljE0_EEESZ_S10_S11_S18_S1C_S1E_T6_T7_T9_mT8_S1G_bDpT10_ENKUlT_T0_E_clISt17integral_constantIbLb0EES1T_IbLb1EEEEDaS1P_S1Q_EUlS1P_E_NS1_11comp_targetILNS1_3genE2ELNS1_11target_archE906ELNS1_3gpuE6ELNS1_3repE0EEENS1_30default_config_static_selectorELNS0_4arch9wavefront6targetE1EEEvS12_, .Lfunc_end1494-_ZN7rocprim17ROCPRIM_400000_NS6detail17trampoline_kernelINS0_13select_configILj256ELj13ELNS0_17block_load_methodE3ELS4_3ELS4_3ELNS0_20block_scan_algorithmE0ELj4294967295EEENS1_25partition_config_selectorILNS1_17partition_subalgoE4EjNS0_10empty_typeEbEEZZNS1_14partition_implILS8_4ELb0ES6_15HIP_vector_typeIjLj2EENS0_17counting_iteratorIjlEEPS9_SG_NS0_5tupleIJPjSI_NS0_16reverse_iteratorISI_EEEEENSH_IJSG_SG_SG_EEES9_SI_JZNS1_25segmented_radix_sort_implINS0_14default_configELb1EPKbPbPKlPlN2at6native12_GLOBAL__N_18offset_tEEE10hipError_tPvRmT1_PNSt15iterator_traitsIS12_E10value_typeET2_T3_PNS13_IS18_E10value_typeET4_jRbjT5_S1E_jjP12ihipStream_tbEUljE_ZNSN_ISO_Lb1ESQ_SR_ST_SU_SY_EESZ_S10_S11_S12_S16_S17_S18_S1B_S1C_jS1D_jS1E_S1E_jjS1G_bEUljE0_EEESZ_S10_S11_S18_S1C_S1E_T6_T7_T9_mT8_S1G_bDpT10_ENKUlT_T0_E_clISt17integral_constantIbLb0EES1T_IbLb1EEEEDaS1P_S1Q_EUlS1P_E_NS1_11comp_targetILNS1_3genE2ELNS1_11target_archE906ELNS1_3gpuE6ELNS1_3repE0EEENS1_30default_config_static_selectorELNS0_4arch9wavefront6targetE1EEEvS12_
                                        ; -- End function
	.section	.AMDGPU.csdata,"",@progbits
; Kernel info:
; codeLenInByte = 0
; NumSgprs: 4
; NumVgprs: 0
; NumAgprs: 0
; TotalNumVgprs: 0
; ScratchSize: 0
; MemoryBound: 0
; FloatMode: 240
; IeeeMode: 1
; LDSByteSize: 0 bytes/workgroup (compile time only)
; SGPRBlocks: 0
; VGPRBlocks: 0
; NumSGPRsForWavesPerEU: 4
; NumVGPRsForWavesPerEU: 1
; AccumOffset: 4
; Occupancy: 8
; WaveLimiterHint : 0
; COMPUTE_PGM_RSRC2:SCRATCH_EN: 0
; COMPUTE_PGM_RSRC2:USER_SGPR: 6
; COMPUTE_PGM_RSRC2:TRAP_HANDLER: 0
; COMPUTE_PGM_RSRC2:TGID_X_EN: 1
; COMPUTE_PGM_RSRC2:TGID_Y_EN: 0
; COMPUTE_PGM_RSRC2:TGID_Z_EN: 0
; COMPUTE_PGM_RSRC2:TIDIG_COMP_CNT: 0
; COMPUTE_PGM_RSRC3_GFX90A:ACCUM_OFFSET: 0
; COMPUTE_PGM_RSRC3_GFX90A:TG_SPLIT: 0
	.section	.text._ZN7rocprim17ROCPRIM_400000_NS6detail17trampoline_kernelINS0_13select_configILj256ELj13ELNS0_17block_load_methodE3ELS4_3ELS4_3ELNS0_20block_scan_algorithmE0ELj4294967295EEENS1_25partition_config_selectorILNS1_17partition_subalgoE4EjNS0_10empty_typeEbEEZZNS1_14partition_implILS8_4ELb0ES6_15HIP_vector_typeIjLj2EENS0_17counting_iteratorIjlEEPS9_SG_NS0_5tupleIJPjSI_NS0_16reverse_iteratorISI_EEEEENSH_IJSG_SG_SG_EEES9_SI_JZNS1_25segmented_radix_sort_implINS0_14default_configELb1EPKbPbPKlPlN2at6native12_GLOBAL__N_18offset_tEEE10hipError_tPvRmT1_PNSt15iterator_traitsIS12_E10value_typeET2_T3_PNS13_IS18_E10value_typeET4_jRbjT5_S1E_jjP12ihipStream_tbEUljE_ZNSN_ISO_Lb1ESQ_SR_ST_SU_SY_EESZ_S10_S11_S12_S16_S17_S18_S1B_S1C_jS1D_jS1E_S1E_jjS1G_bEUljE0_EEESZ_S10_S11_S18_S1C_S1E_T6_T7_T9_mT8_S1G_bDpT10_ENKUlT_T0_E_clISt17integral_constantIbLb0EES1T_IbLb1EEEEDaS1P_S1Q_EUlS1P_E_NS1_11comp_targetILNS1_3genE10ELNS1_11target_archE1200ELNS1_3gpuE4ELNS1_3repE0EEENS1_30default_config_static_selectorELNS0_4arch9wavefront6targetE1EEEvS12_,"axG",@progbits,_ZN7rocprim17ROCPRIM_400000_NS6detail17trampoline_kernelINS0_13select_configILj256ELj13ELNS0_17block_load_methodE3ELS4_3ELS4_3ELNS0_20block_scan_algorithmE0ELj4294967295EEENS1_25partition_config_selectorILNS1_17partition_subalgoE4EjNS0_10empty_typeEbEEZZNS1_14partition_implILS8_4ELb0ES6_15HIP_vector_typeIjLj2EENS0_17counting_iteratorIjlEEPS9_SG_NS0_5tupleIJPjSI_NS0_16reverse_iteratorISI_EEEEENSH_IJSG_SG_SG_EEES9_SI_JZNS1_25segmented_radix_sort_implINS0_14default_configELb1EPKbPbPKlPlN2at6native12_GLOBAL__N_18offset_tEEE10hipError_tPvRmT1_PNSt15iterator_traitsIS12_E10value_typeET2_T3_PNS13_IS18_E10value_typeET4_jRbjT5_S1E_jjP12ihipStream_tbEUljE_ZNSN_ISO_Lb1ESQ_SR_ST_SU_SY_EESZ_S10_S11_S12_S16_S17_S18_S1B_S1C_jS1D_jS1E_S1E_jjS1G_bEUljE0_EEESZ_S10_S11_S18_S1C_S1E_T6_T7_T9_mT8_S1G_bDpT10_ENKUlT_T0_E_clISt17integral_constantIbLb0EES1T_IbLb1EEEEDaS1P_S1Q_EUlS1P_E_NS1_11comp_targetILNS1_3genE10ELNS1_11target_archE1200ELNS1_3gpuE4ELNS1_3repE0EEENS1_30default_config_static_selectorELNS0_4arch9wavefront6targetE1EEEvS12_,comdat
	.globl	_ZN7rocprim17ROCPRIM_400000_NS6detail17trampoline_kernelINS0_13select_configILj256ELj13ELNS0_17block_load_methodE3ELS4_3ELS4_3ELNS0_20block_scan_algorithmE0ELj4294967295EEENS1_25partition_config_selectorILNS1_17partition_subalgoE4EjNS0_10empty_typeEbEEZZNS1_14partition_implILS8_4ELb0ES6_15HIP_vector_typeIjLj2EENS0_17counting_iteratorIjlEEPS9_SG_NS0_5tupleIJPjSI_NS0_16reverse_iteratorISI_EEEEENSH_IJSG_SG_SG_EEES9_SI_JZNS1_25segmented_radix_sort_implINS0_14default_configELb1EPKbPbPKlPlN2at6native12_GLOBAL__N_18offset_tEEE10hipError_tPvRmT1_PNSt15iterator_traitsIS12_E10value_typeET2_T3_PNS13_IS18_E10value_typeET4_jRbjT5_S1E_jjP12ihipStream_tbEUljE_ZNSN_ISO_Lb1ESQ_SR_ST_SU_SY_EESZ_S10_S11_S12_S16_S17_S18_S1B_S1C_jS1D_jS1E_S1E_jjS1G_bEUljE0_EEESZ_S10_S11_S18_S1C_S1E_T6_T7_T9_mT8_S1G_bDpT10_ENKUlT_T0_E_clISt17integral_constantIbLb0EES1T_IbLb1EEEEDaS1P_S1Q_EUlS1P_E_NS1_11comp_targetILNS1_3genE10ELNS1_11target_archE1200ELNS1_3gpuE4ELNS1_3repE0EEENS1_30default_config_static_selectorELNS0_4arch9wavefront6targetE1EEEvS12_ ; -- Begin function _ZN7rocprim17ROCPRIM_400000_NS6detail17trampoline_kernelINS0_13select_configILj256ELj13ELNS0_17block_load_methodE3ELS4_3ELS4_3ELNS0_20block_scan_algorithmE0ELj4294967295EEENS1_25partition_config_selectorILNS1_17partition_subalgoE4EjNS0_10empty_typeEbEEZZNS1_14partition_implILS8_4ELb0ES6_15HIP_vector_typeIjLj2EENS0_17counting_iteratorIjlEEPS9_SG_NS0_5tupleIJPjSI_NS0_16reverse_iteratorISI_EEEEENSH_IJSG_SG_SG_EEES9_SI_JZNS1_25segmented_radix_sort_implINS0_14default_configELb1EPKbPbPKlPlN2at6native12_GLOBAL__N_18offset_tEEE10hipError_tPvRmT1_PNSt15iterator_traitsIS12_E10value_typeET2_T3_PNS13_IS18_E10value_typeET4_jRbjT5_S1E_jjP12ihipStream_tbEUljE_ZNSN_ISO_Lb1ESQ_SR_ST_SU_SY_EESZ_S10_S11_S12_S16_S17_S18_S1B_S1C_jS1D_jS1E_S1E_jjS1G_bEUljE0_EEESZ_S10_S11_S18_S1C_S1E_T6_T7_T9_mT8_S1G_bDpT10_ENKUlT_T0_E_clISt17integral_constantIbLb0EES1T_IbLb1EEEEDaS1P_S1Q_EUlS1P_E_NS1_11comp_targetILNS1_3genE10ELNS1_11target_archE1200ELNS1_3gpuE4ELNS1_3repE0EEENS1_30default_config_static_selectorELNS0_4arch9wavefront6targetE1EEEvS12_
	.p2align	8
	.type	_ZN7rocprim17ROCPRIM_400000_NS6detail17trampoline_kernelINS0_13select_configILj256ELj13ELNS0_17block_load_methodE3ELS4_3ELS4_3ELNS0_20block_scan_algorithmE0ELj4294967295EEENS1_25partition_config_selectorILNS1_17partition_subalgoE4EjNS0_10empty_typeEbEEZZNS1_14partition_implILS8_4ELb0ES6_15HIP_vector_typeIjLj2EENS0_17counting_iteratorIjlEEPS9_SG_NS0_5tupleIJPjSI_NS0_16reverse_iteratorISI_EEEEENSH_IJSG_SG_SG_EEES9_SI_JZNS1_25segmented_radix_sort_implINS0_14default_configELb1EPKbPbPKlPlN2at6native12_GLOBAL__N_18offset_tEEE10hipError_tPvRmT1_PNSt15iterator_traitsIS12_E10value_typeET2_T3_PNS13_IS18_E10value_typeET4_jRbjT5_S1E_jjP12ihipStream_tbEUljE_ZNSN_ISO_Lb1ESQ_SR_ST_SU_SY_EESZ_S10_S11_S12_S16_S17_S18_S1B_S1C_jS1D_jS1E_S1E_jjS1G_bEUljE0_EEESZ_S10_S11_S18_S1C_S1E_T6_T7_T9_mT8_S1G_bDpT10_ENKUlT_T0_E_clISt17integral_constantIbLb0EES1T_IbLb1EEEEDaS1P_S1Q_EUlS1P_E_NS1_11comp_targetILNS1_3genE10ELNS1_11target_archE1200ELNS1_3gpuE4ELNS1_3repE0EEENS1_30default_config_static_selectorELNS0_4arch9wavefront6targetE1EEEvS12_,@function
_ZN7rocprim17ROCPRIM_400000_NS6detail17trampoline_kernelINS0_13select_configILj256ELj13ELNS0_17block_load_methodE3ELS4_3ELS4_3ELNS0_20block_scan_algorithmE0ELj4294967295EEENS1_25partition_config_selectorILNS1_17partition_subalgoE4EjNS0_10empty_typeEbEEZZNS1_14partition_implILS8_4ELb0ES6_15HIP_vector_typeIjLj2EENS0_17counting_iteratorIjlEEPS9_SG_NS0_5tupleIJPjSI_NS0_16reverse_iteratorISI_EEEEENSH_IJSG_SG_SG_EEES9_SI_JZNS1_25segmented_radix_sort_implINS0_14default_configELb1EPKbPbPKlPlN2at6native12_GLOBAL__N_18offset_tEEE10hipError_tPvRmT1_PNSt15iterator_traitsIS12_E10value_typeET2_T3_PNS13_IS18_E10value_typeET4_jRbjT5_S1E_jjP12ihipStream_tbEUljE_ZNSN_ISO_Lb1ESQ_SR_ST_SU_SY_EESZ_S10_S11_S12_S16_S17_S18_S1B_S1C_jS1D_jS1E_S1E_jjS1G_bEUljE0_EEESZ_S10_S11_S18_S1C_S1E_T6_T7_T9_mT8_S1G_bDpT10_ENKUlT_T0_E_clISt17integral_constantIbLb0EES1T_IbLb1EEEEDaS1P_S1Q_EUlS1P_E_NS1_11comp_targetILNS1_3genE10ELNS1_11target_archE1200ELNS1_3gpuE4ELNS1_3repE0EEENS1_30default_config_static_selectorELNS0_4arch9wavefront6targetE1EEEvS12_: ; @_ZN7rocprim17ROCPRIM_400000_NS6detail17trampoline_kernelINS0_13select_configILj256ELj13ELNS0_17block_load_methodE3ELS4_3ELS4_3ELNS0_20block_scan_algorithmE0ELj4294967295EEENS1_25partition_config_selectorILNS1_17partition_subalgoE4EjNS0_10empty_typeEbEEZZNS1_14partition_implILS8_4ELb0ES6_15HIP_vector_typeIjLj2EENS0_17counting_iteratorIjlEEPS9_SG_NS0_5tupleIJPjSI_NS0_16reverse_iteratorISI_EEEEENSH_IJSG_SG_SG_EEES9_SI_JZNS1_25segmented_radix_sort_implINS0_14default_configELb1EPKbPbPKlPlN2at6native12_GLOBAL__N_18offset_tEEE10hipError_tPvRmT1_PNSt15iterator_traitsIS12_E10value_typeET2_T3_PNS13_IS18_E10value_typeET4_jRbjT5_S1E_jjP12ihipStream_tbEUljE_ZNSN_ISO_Lb1ESQ_SR_ST_SU_SY_EESZ_S10_S11_S12_S16_S17_S18_S1B_S1C_jS1D_jS1E_S1E_jjS1G_bEUljE0_EEESZ_S10_S11_S18_S1C_S1E_T6_T7_T9_mT8_S1G_bDpT10_ENKUlT_T0_E_clISt17integral_constantIbLb0EES1T_IbLb1EEEEDaS1P_S1Q_EUlS1P_E_NS1_11comp_targetILNS1_3genE10ELNS1_11target_archE1200ELNS1_3gpuE4ELNS1_3repE0EEENS1_30default_config_static_selectorELNS0_4arch9wavefront6targetE1EEEvS12_
; %bb.0:
	.section	.rodata,"a",@progbits
	.p2align	6, 0x0
	.amdhsa_kernel _ZN7rocprim17ROCPRIM_400000_NS6detail17trampoline_kernelINS0_13select_configILj256ELj13ELNS0_17block_load_methodE3ELS4_3ELS4_3ELNS0_20block_scan_algorithmE0ELj4294967295EEENS1_25partition_config_selectorILNS1_17partition_subalgoE4EjNS0_10empty_typeEbEEZZNS1_14partition_implILS8_4ELb0ES6_15HIP_vector_typeIjLj2EENS0_17counting_iteratorIjlEEPS9_SG_NS0_5tupleIJPjSI_NS0_16reverse_iteratorISI_EEEEENSH_IJSG_SG_SG_EEES9_SI_JZNS1_25segmented_radix_sort_implINS0_14default_configELb1EPKbPbPKlPlN2at6native12_GLOBAL__N_18offset_tEEE10hipError_tPvRmT1_PNSt15iterator_traitsIS12_E10value_typeET2_T3_PNS13_IS18_E10value_typeET4_jRbjT5_S1E_jjP12ihipStream_tbEUljE_ZNSN_ISO_Lb1ESQ_SR_ST_SU_SY_EESZ_S10_S11_S12_S16_S17_S18_S1B_S1C_jS1D_jS1E_S1E_jjS1G_bEUljE0_EEESZ_S10_S11_S18_S1C_S1E_T6_T7_T9_mT8_S1G_bDpT10_ENKUlT_T0_E_clISt17integral_constantIbLb0EES1T_IbLb1EEEEDaS1P_S1Q_EUlS1P_E_NS1_11comp_targetILNS1_3genE10ELNS1_11target_archE1200ELNS1_3gpuE4ELNS1_3repE0EEENS1_30default_config_static_selectorELNS0_4arch9wavefront6targetE1EEEvS12_
		.amdhsa_group_segment_fixed_size 0
		.amdhsa_private_segment_fixed_size 0
		.amdhsa_kernarg_size 184
		.amdhsa_user_sgpr_count 6
		.amdhsa_user_sgpr_private_segment_buffer 1
		.amdhsa_user_sgpr_dispatch_ptr 0
		.amdhsa_user_sgpr_queue_ptr 0
		.amdhsa_user_sgpr_kernarg_segment_ptr 1
		.amdhsa_user_sgpr_dispatch_id 0
		.amdhsa_user_sgpr_flat_scratch_init 0
		.amdhsa_user_sgpr_kernarg_preload_length 0
		.amdhsa_user_sgpr_kernarg_preload_offset 0
		.amdhsa_user_sgpr_private_segment_size 0
		.amdhsa_uses_dynamic_stack 0
		.amdhsa_system_sgpr_private_segment_wavefront_offset 0
		.amdhsa_system_sgpr_workgroup_id_x 1
		.amdhsa_system_sgpr_workgroup_id_y 0
		.amdhsa_system_sgpr_workgroup_id_z 0
		.amdhsa_system_sgpr_workgroup_info 0
		.amdhsa_system_vgpr_workitem_id 0
		.amdhsa_next_free_vgpr 1
		.amdhsa_next_free_sgpr 0
		.amdhsa_accum_offset 4
		.amdhsa_reserve_vcc 0
		.amdhsa_reserve_flat_scratch 0
		.amdhsa_float_round_mode_32 0
		.amdhsa_float_round_mode_16_64 0
		.amdhsa_float_denorm_mode_32 3
		.amdhsa_float_denorm_mode_16_64 3
		.amdhsa_dx10_clamp 1
		.amdhsa_ieee_mode 1
		.amdhsa_fp16_overflow 0
		.amdhsa_tg_split 0
		.amdhsa_exception_fp_ieee_invalid_op 0
		.amdhsa_exception_fp_denorm_src 0
		.amdhsa_exception_fp_ieee_div_zero 0
		.amdhsa_exception_fp_ieee_overflow 0
		.amdhsa_exception_fp_ieee_underflow 0
		.amdhsa_exception_fp_ieee_inexact 0
		.amdhsa_exception_int_div_zero 0
	.end_amdhsa_kernel
	.section	.text._ZN7rocprim17ROCPRIM_400000_NS6detail17trampoline_kernelINS0_13select_configILj256ELj13ELNS0_17block_load_methodE3ELS4_3ELS4_3ELNS0_20block_scan_algorithmE0ELj4294967295EEENS1_25partition_config_selectorILNS1_17partition_subalgoE4EjNS0_10empty_typeEbEEZZNS1_14partition_implILS8_4ELb0ES6_15HIP_vector_typeIjLj2EENS0_17counting_iteratorIjlEEPS9_SG_NS0_5tupleIJPjSI_NS0_16reverse_iteratorISI_EEEEENSH_IJSG_SG_SG_EEES9_SI_JZNS1_25segmented_radix_sort_implINS0_14default_configELb1EPKbPbPKlPlN2at6native12_GLOBAL__N_18offset_tEEE10hipError_tPvRmT1_PNSt15iterator_traitsIS12_E10value_typeET2_T3_PNS13_IS18_E10value_typeET4_jRbjT5_S1E_jjP12ihipStream_tbEUljE_ZNSN_ISO_Lb1ESQ_SR_ST_SU_SY_EESZ_S10_S11_S12_S16_S17_S18_S1B_S1C_jS1D_jS1E_S1E_jjS1G_bEUljE0_EEESZ_S10_S11_S18_S1C_S1E_T6_T7_T9_mT8_S1G_bDpT10_ENKUlT_T0_E_clISt17integral_constantIbLb0EES1T_IbLb1EEEEDaS1P_S1Q_EUlS1P_E_NS1_11comp_targetILNS1_3genE10ELNS1_11target_archE1200ELNS1_3gpuE4ELNS1_3repE0EEENS1_30default_config_static_selectorELNS0_4arch9wavefront6targetE1EEEvS12_,"axG",@progbits,_ZN7rocprim17ROCPRIM_400000_NS6detail17trampoline_kernelINS0_13select_configILj256ELj13ELNS0_17block_load_methodE3ELS4_3ELS4_3ELNS0_20block_scan_algorithmE0ELj4294967295EEENS1_25partition_config_selectorILNS1_17partition_subalgoE4EjNS0_10empty_typeEbEEZZNS1_14partition_implILS8_4ELb0ES6_15HIP_vector_typeIjLj2EENS0_17counting_iteratorIjlEEPS9_SG_NS0_5tupleIJPjSI_NS0_16reverse_iteratorISI_EEEEENSH_IJSG_SG_SG_EEES9_SI_JZNS1_25segmented_radix_sort_implINS0_14default_configELb1EPKbPbPKlPlN2at6native12_GLOBAL__N_18offset_tEEE10hipError_tPvRmT1_PNSt15iterator_traitsIS12_E10value_typeET2_T3_PNS13_IS18_E10value_typeET4_jRbjT5_S1E_jjP12ihipStream_tbEUljE_ZNSN_ISO_Lb1ESQ_SR_ST_SU_SY_EESZ_S10_S11_S12_S16_S17_S18_S1B_S1C_jS1D_jS1E_S1E_jjS1G_bEUljE0_EEESZ_S10_S11_S18_S1C_S1E_T6_T7_T9_mT8_S1G_bDpT10_ENKUlT_T0_E_clISt17integral_constantIbLb0EES1T_IbLb1EEEEDaS1P_S1Q_EUlS1P_E_NS1_11comp_targetILNS1_3genE10ELNS1_11target_archE1200ELNS1_3gpuE4ELNS1_3repE0EEENS1_30default_config_static_selectorELNS0_4arch9wavefront6targetE1EEEvS12_,comdat
.Lfunc_end1495:
	.size	_ZN7rocprim17ROCPRIM_400000_NS6detail17trampoline_kernelINS0_13select_configILj256ELj13ELNS0_17block_load_methodE3ELS4_3ELS4_3ELNS0_20block_scan_algorithmE0ELj4294967295EEENS1_25partition_config_selectorILNS1_17partition_subalgoE4EjNS0_10empty_typeEbEEZZNS1_14partition_implILS8_4ELb0ES6_15HIP_vector_typeIjLj2EENS0_17counting_iteratorIjlEEPS9_SG_NS0_5tupleIJPjSI_NS0_16reverse_iteratorISI_EEEEENSH_IJSG_SG_SG_EEES9_SI_JZNS1_25segmented_radix_sort_implINS0_14default_configELb1EPKbPbPKlPlN2at6native12_GLOBAL__N_18offset_tEEE10hipError_tPvRmT1_PNSt15iterator_traitsIS12_E10value_typeET2_T3_PNS13_IS18_E10value_typeET4_jRbjT5_S1E_jjP12ihipStream_tbEUljE_ZNSN_ISO_Lb1ESQ_SR_ST_SU_SY_EESZ_S10_S11_S12_S16_S17_S18_S1B_S1C_jS1D_jS1E_S1E_jjS1G_bEUljE0_EEESZ_S10_S11_S18_S1C_S1E_T6_T7_T9_mT8_S1G_bDpT10_ENKUlT_T0_E_clISt17integral_constantIbLb0EES1T_IbLb1EEEEDaS1P_S1Q_EUlS1P_E_NS1_11comp_targetILNS1_3genE10ELNS1_11target_archE1200ELNS1_3gpuE4ELNS1_3repE0EEENS1_30default_config_static_selectorELNS0_4arch9wavefront6targetE1EEEvS12_, .Lfunc_end1495-_ZN7rocprim17ROCPRIM_400000_NS6detail17trampoline_kernelINS0_13select_configILj256ELj13ELNS0_17block_load_methodE3ELS4_3ELS4_3ELNS0_20block_scan_algorithmE0ELj4294967295EEENS1_25partition_config_selectorILNS1_17partition_subalgoE4EjNS0_10empty_typeEbEEZZNS1_14partition_implILS8_4ELb0ES6_15HIP_vector_typeIjLj2EENS0_17counting_iteratorIjlEEPS9_SG_NS0_5tupleIJPjSI_NS0_16reverse_iteratorISI_EEEEENSH_IJSG_SG_SG_EEES9_SI_JZNS1_25segmented_radix_sort_implINS0_14default_configELb1EPKbPbPKlPlN2at6native12_GLOBAL__N_18offset_tEEE10hipError_tPvRmT1_PNSt15iterator_traitsIS12_E10value_typeET2_T3_PNS13_IS18_E10value_typeET4_jRbjT5_S1E_jjP12ihipStream_tbEUljE_ZNSN_ISO_Lb1ESQ_SR_ST_SU_SY_EESZ_S10_S11_S12_S16_S17_S18_S1B_S1C_jS1D_jS1E_S1E_jjS1G_bEUljE0_EEESZ_S10_S11_S18_S1C_S1E_T6_T7_T9_mT8_S1G_bDpT10_ENKUlT_T0_E_clISt17integral_constantIbLb0EES1T_IbLb1EEEEDaS1P_S1Q_EUlS1P_E_NS1_11comp_targetILNS1_3genE10ELNS1_11target_archE1200ELNS1_3gpuE4ELNS1_3repE0EEENS1_30default_config_static_selectorELNS0_4arch9wavefront6targetE1EEEvS12_
                                        ; -- End function
	.section	.AMDGPU.csdata,"",@progbits
; Kernel info:
; codeLenInByte = 0
; NumSgprs: 4
; NumVgprs: 0
; NumAgprs: 0
; TotalNumVgprs: 0
; ScratchSize: 0
; MemoryBound: 0
; FloatMode: 240
; IeeeMode: 1
; LDSByteSize: 0 bytes/workgroup (compile time only)
; SGPRBlocks: 0
; VGPRBlocks: 0
; NumSGPRsForWavesPerEU: 4
; NumVGPRsForWavesPerEU: 1
; AccumOffset: 4
; Occupancy: 8
; WaveLimiterHint : 0
; COMPUTE_PGM_RSRC2:SCRATCH_EN: 0
; COMPUTE_PGM_RSRC2:USER_SGPR: 6
; COMPUTE_PGM_RSRC2:TRAP_HANDLER: 0
; COMPUTE_PGM_RSRC2:TGID_X_EN: 1
; COMPUTE_PGM_RSRC2:TGID_Y_EN: 0
; COMPUTE_PGM_RSRC2:TGID_Z_EN: 0
; COMPUTE_PGM_RSRC2:TIDIG_COMP_CNT: 0
; COMPUTE_PGM_RSRC3_GFX90A:ACCUM_OFFSET: 0
; COMPUTE_PGM_RSRC3_GFX90A:TG_SPLIT: 0
	.section	.text._ZN7rocprim17ROCPRIM_400000_NS6detail17trampoline_kernelINS0_13select_configILj256ELj13ELNS0_17block_load_methodE3ELS4_3ELS4_3ELNS0_20block_scan_algorithmE0ELj4294967295EEENS1_25partition_config_selectorILNS1_17partition_subalgoE4EjNS0_10empty_typeEbEEZZNS1_14partition_implILS8_4ELb0ES6_15HIP_vector_typeIjLj2EENS0_17counting_iteratorIjlEEPS9_SG_NS0_5tupleIJPjSI_NS0_16reverse_iteratorISI_EEEEENSH_IJSG_SG_SG_EEES9_SI_JZNS1_25segmented_radix_sort_implINS0_14default_configELb1EPKbPbPKlPlN2at6native12_GLOBAL__N_18offset_tEEE10hipError_tPvRmT1_PNSt15iterator_traitsIS12_E10value_typeET2_T3_PNS13_IS18_E10value_typeET4_jRbjT5_S1E_jjP12ihipStream_tbEUljE_ZNSN_ISO_Lb1ESQ_SR_ST_SU_SY_EESZ_S10_S11_S12_S16_S17_S18_S1B_S1C_jS1D_jS1E_S1E_jjS1G_bEUljE0_EEESZ_S10_S11_S18_S1C_S1E_T6_T7_T9_mT8_S1G_bDpT10_ENKUlT_T0_E_clISt17integral_constantIbLb0EES1T_IbLb1EEEEDaS1P_S1Q_EUlS1P_E_NS1_11comp_targetILNS1_3genE9ELNS1_11target_archE1100ELNS1_3gpuE3ELNS1_3repE0EEENS1_30default_config_static_selectorELNS0_4arch9wavefront6targetE1EEEvS12_,"axG",@progbits,_ZN7rocprim17ROCPRIM_400000_NS6detail17trampoline_kernelINS0_13select_configILj256ELj13ELNS0_17block_load_methodE3ELS4_3ELS4_3ELNS0_20block_scan_algorithmE0ELj4294967295EEENS1_25partition_config_selectorILNS1_17partition_subalgoE4EjNS0_10empty_typeEbEEZZNS1_14partition_implILS8_4ELb0ES6_15HIP_vector_typeIjLj2EENS0_17counting_iteratorIjlEEPS9_SG_NS0_5tupleIJPjSI_NS0_16reverse_iteratorISI_EEEEENSH_IJSG_SG_SG_EEES9_SI_JZNS1_25segmented_radix_sort_implINS0_14default_configELb1EPKbPbPKlPlN2at6native12_GLOBAL__N_18offset_tEEE10hipError_tPvRmT1_PNSt15iterator_traitsIS12_E10value_typeET2_T3_PNS13_IS18_E10value_typeET4_jRbjT5_S1E_jjP12ihipStream_tbEUljE_ZNSN_ISO_Lb1ESQ_SR_ST_SU_SY_EESZ_S10_S11_S12_S16_S17_S18_S1B_S1C_jS1D_jS1E_S1E_jjS1G_bEUljE0_EEESZ_S10_S11_S18_S1C_S1E_T6_T7_T9_mT8_S1G_bDpT10_ENKUlT_T0_E_clISt17integral_constantIbLb0EES1T_IbLb1EEEEDaS1P_S1Q_EUlS1P_E_NS1_11comp_targetILNS1_3genE9ELNS1_11target_archE1100ELNS1_3gpuE3ELNS1_3repE0EEENS1_30default_config_static_selectorELNS0_4arch9wavefront6targetE1EEEvS12_,comdat
	.globl	_ZN7rocprim17ROCPRIM_400000_NS6detail17trampoline_kernelINS0_13select_configILj256ELj13ELNS0_17block_load_methodE3ELS4_3ELS4_3ELNS0_20block_scan_algorithmE0ELj4294967295EEENS1_25partition_config_selectorILNS1_17partition_subalgoE4EjNS0_10empty_typeEbEEZZNS1_14partition_implILS8_4ELb0ES6_15HIP_vector_typeIjLj2EENS0_17counting_iteratorIjlEEPS9_SG_NS0_5tupleIJPjSI_NS0_16reverse_iteratorISI_EEEEENSH_IJSG_SG_SG_EEES9_SI_JZNS1_25segmented_radix_sort_implINS0_14default_configELb1EPKbPbPKlPlN2at6native12_GLOBAL__N_18offset_tEEE10hipError_tPvRmT1_PNSt15iterator_traitsIS12_E10value_typeET2_T3_PNS13_IS18_E10value_typeET4_jRbjT5_S1E_jjP12ihipStream_tbEUljE_ZNSN_ISO_Lb1ESQ_SR_ST_SU_SY_EESZ_S10_S11_S12_S16_S17_S18_S1B_S1C_jS1D_jS1E_S1E_jjS1G_bEUljE0_EEESZ_S10_S11_S18_S1C_S1E_T6_T7_T9_mT8_S1G_bDpT10_ENKUlT_T0_E_clISt17integral_constantIbLb0EES1T_IbLb1EEEEDaS1P_S1Q_EUlS1P_E_NS1_11comp_targetILNS1_3genE9ELNS1_11target_archE1100ELNS1_3gpuE3ELNS1_3repE0EEENS1_30default_config_static_selectorELNS0_4arch9wavefront6targetE1EEEvS12_ ; -- Begin function _ZN7rocprim17ROCPRIM_400000_NS6detail17trampoline_kernelINS0_13select_configILj256ELj13ELNS0_17block_load_methodE3ELS4_3ELS4_3ELNS0_20block_scan_algorithmE0ELj4294967295EEENS1_25partition_config_selectorILNS1_17partition_subalgoE4EjNS0_10empty_typeEbEEZZNS1_14partition_implILS8_4ELb0ES6_15HIP_vector_typeIjLj2EENS0_17counting_iteratorIjlEEPS9_SG_NS0_5tupleIJPjSI_NS0_16reverse_iteratorISI_EEEEENSH_IJSG_SG_SG_EEES9_SI_JZNS1_25segmented_radix_sort_implINS0_14default_configELb1EPKbPbPKlPlN2at6native12_GLOBAL__N_18offset_tEEE10hipError_tPvRmT1_PNSt15iterator_traitsIS12_E10value_typeET2_T3_PNS13_IS18_E10value_typeET4_jRbjT5_S1E_jjP12ihipStream_tbEUljE_ZNSN_ISO_Lb1ESQ_SR_ST_SU_SY_EESZ_S10_S11_S12_S16_S17_S18_S1B_S1C_jS1D_jS1E_S1E_jjS1G_bEUljE0_EEESZ_S10_S11_S18_S1C_S1E_T6_T7_T9_mT8_S1G_bDpT10_ENKUlT_T0_E_clISt17integral_constantIbLb0EES1T_IbLb1EEEEDaS1P_S1Q_EUlS1P_E_NS1_11comp_targetILNS1_3genE9ELNS1_11target_archE1100ELNS1_3gpuE3ELNS1_3repE0EEENS1_30default_config_static_selectorELNS0_4arch9wavefront6targetE1EEEvS12_
	.p2align	8
	.type	_ZN7rocprim17ROCPRIM_400000_NS6detail17trampoline_kernelINS0_13select_configILj256ELj13ELNS0_17block_load_methodE3ELS4_3ELS4_3ELNS0_20block_scan_algorithmE0ELj4294967295EEENS1_25partition_config_selectorILNS1_17partition_subalgoE4EjNS0_10empty_typeEbEEZZNS1_14partition_implILS8_4ELb0ES6_15HIP_vector_typeIjLj2EENS0_17counting_iteratorIjlEEPS9_SG_NS0_5tupleIJPjSI_NS0_16reverse_iteratorISI_EEEEENSH_IJSG_SG_SG_EEES9_SI_JZNS1_25segmented_radix_sort_implINS0_14default_configELb1EPKbPbPKlPlN2at6native12_GLOBAL__N_18offset_tEEE10hipError_tPvRmT1_PNSt15iterator_traitsIS12_E10value_typeET2_T3_PNS13_IS18_E10value_typeET4_jRbjT5_S1E_jjP12ihipStream_tbEUljE_ZNSN_ISO_Lb1ESQ_SR_ST_SU_SY_EESZ_S10_S11_S12_S16_S17_S18_S1B_S1C_jS1D_jS1E_S1E_jjS1G_bEUljE0_EEESZ_S10_S11_S18_S1C_S1E_T6_T7_T9_mT8_S1G_bDpT10_ENKUlT_T0_E_clISt17integral_constantIbLb0EES1T_IbLb1EEEEDaS1P_S1Q_EUlS1P_E_NS1_11comp_targetILNS1_3genE9ELNS1_11target_archE1100ELNS1_3gpuE3ELNS1_3repE0EEENS1_30default_config_static_selectorELNS0_4arch9wavefront6targetE1EEEvS12_,@function
_ZN7rocprim17ROCPRIM_400000_NS6detail17trampoline_kernelINS0_13select_configILj256ELj13ELNS0_17block_load_methodE3ELS4_3ELS4_3ELNS0_20block_scan_algorithmE0ELj4294967295EEENS1_25partition_config_selectorILNS1_17partition_subalgoE4EjNS0_10empty_typeEbEEZZNS1_14partition_implILS8_4ELb0ES6_15HIP_vector_typeIjLj2EENS0_17counting_iteratorIjlEEPS9_SG_NS0_5tupleIJPjSI_NS0_16reverse_iteratorISI_EEEEENSH_IJSG_SG_SG_EEES9_SI_JZNS1_25segmented_radix_sort_implINS0_14default_configELb1EPKbPbPKlPlN2at6native12_GLOBAL__N_18offset_tEEE10hipError_tPvRmT1_PNSt15iterator_traitsIS12_E10value_typeET2_T3_PNS13_IS18_E10value_typeET4_jRbjT5_S1E_jjP12ihipStream_tbEUljE_ZNSN_ISO_Lb1ESQ_SR_ST_SU_SY_EESZ_S10_S11_S12_S16_S17_S18_S1B_S1C_jS1D_jS1E_S1E_jjS1G_bEUljE0_EEESZ_S10_S11_S18_S1C_S1E_T6_T7_T9_mT8_S1G_bDpT10_ENKUlT_T0_E_clISt17integral_constantIbLb0EES1T_IbLb1EEEEDaS1P_S1Q_EUlS1P_E_NS1_11comp_targetILNS1_3genE9ELNS1_11target_archE1100ELNS1_3gpuE3ELNS1_3repE0EEENS1_30default_config_static_selectorELNS0_4arch9wavefront6targetE1EEEvS12_: ; @_ZN7rocprim17ROCPRIM_400000_NS6detail17trampoline_kernelINS0_13select_configILj256ELj13ELNS0_17block_load_methodE3ELS4_3ELS4_3ELNS0_20block_scan_algorithmE0ELj4294967295EEENS1_25partition_config_selectorILNS1_17partition_subalgoE4EjNS0_10empty_typeEbEEZZNS1_14partition_implILS8_4ELb0ES6_15HIP_vector_typeIjLj2EENS0_17counting_iteratorIjlEEPS9_SG_NS0_5tupleIJPjSI_NS0_16reverse_iteratorISI_EEEEENSH_IJSG_SG_SG_EEES9_SI_JZNS1_25segmented_radix_sort_implINS0_14default_configELb1EPKbPbPKlPlN2at6native12_GLOBAL__N_18offset_tEEE10hipError_tPvRmT1_PNSt15iterator_traitsIS12_E10value_typeET2_T3_PNS13_IS18_E10value_typeET4_jRbjT5_S1E_jjP12ihipStream_tbEUljE_ZNSN_ISO_Lb1ESQ_SR_ST_SU_SY_EESZ_S10_S11_S12_S16_S17_S18_S1B_S1C_jS1D_jS1E_S1E_jjS1G_bEUljE0_EEESZ_S10_S11_S18_S1C_S1E_T6_T7_T9_mT8_S1G_bDpT10_ENKUlT_T0_E_clISt17integral_constantIbLb0EES1T_IbLb1EEEEDaS1P_S1Q_EUlS1P_E_NS1_11comp_targetILNS1_3genE9ELNS1_11target_archE1100ELNS1_3gpuE3ELNS1_3repE0EEENS1_30default_config_static_selectorELNS0_4arch9wavefront6targetE1EEEvS12_
; %bb.0:
	.section	.rodata,"a",@progbits
	.p2align	6, 0x0
	.amdhsa_kernel _ZN7rocprim17ROCPRIM_400000_NS6detail17trampoline_kernelINS0_13select_configILj256ELj13ELNS0_17block_load_methodE3ELS4_3ELS4_3ELNS0_20block_scan_algorithmE0ELj4294967295EEENS1_25partition_config_selectorILNS1_17partition_subalgoE4EjNS0_10empty_typeEbEEZZNS1_14partition_implILS8_4ELb0ES6_15HIP_vector_typeIjLj2EENS0_17counting_iteratorIjlEEPS9_SG_NS0_5tupleIJPjSI_NS0_16reverse_iteratorISI_EEEEENSH_IJSG_SG_SG_EEES9_SI_JZNS1_25segmented_radix_sort_implINS0_14default_configELb1EPKbPbPKlPlN2at6native12_GLOBAL__N_18offset_tEEE10hipError_tPvRmT1_PNSt15iterator_traitsIS12_E10value_typeET2_T3_PNS13_IS18_E10value_typeET4_jRbjT5_S1E_jjP12ihipStream_tbEUljE_ZNSN_ISO_Lb1ESQ_SR_ST_SU_SY_EESZ_S10_S11_S12_S16_S17_S18_S1B_S1C_jS1D_jS1E_S1E_jjS1G_bEUljE0_EEESZ_S10_S11_S18_S1C_S1E_T6_T7_T9_mT8_S1G_bDpT10_ENKUlT_T0_E_clISt17integral_constantIbLb0EES1T_IbLb1EEEEDaS1P_S1Q_EUlS1P_E_NS1_11comp_targetILNS1_3genE9ELNS1_11target_archE1100ELNS1_3gpuE3ELNS1_3repE0EEENS1_30default_config_static_selectorELNS0_4arch9wavefront6targetE1EEEvS12_
		.amdhsa_group_segment_fixed_size 0
		.amdhsa_private_segment_fixed_size 0
		.amdhsa_kernarg_size 184
		.amdhsa_user_sgpr_count 6
		.amdhsa_user_sgpr_private_segment_buffer 1
		.amdhsa_user_sgpr_dispatch_ptr 0
		.amdhsa_user_sgpr_queue_ptr 0
		.amdhsa_user_sgpr_kernarg_segment_ptr 1
		.amdhsa_user_sgpr_dispatch_id 0
		.amdhsa_user_sgpr_flat_scratch_init 0
		.amdhsa_user_sgpr_kernarg_preload_length 0
		.amdhsa_user_sgpr_kernarg_preload_offset 0
		.amdhsa_user_sgpr_private_segment_size 0
		.amdhsa_uses_dynamic_stack 0
		.amdhsa_system_sgpr_private_segment_wavefront_offset 0
		.amdhsa_system_sgpr_workgroup_id_x 1
		.amdhsa_system_sgpr_workgroup_id_y 0
		.amdhsa_system_sgpr_workgroup_id_z 0
		.amdhsa_system_sgpr_workgroup_info 0
		.amdhsa_system_vgpr_workitem_id 0
		.amdhsa_next_free_vgpr 1
		.amdhsa_next_free_sgpr 0
		.amdhsa_accum_offset 4
		.amdhsa_reserve_vcc 0
		.amdhsa_reserve_flat_scratch 0
		.amdhsa_float_round_mode_32 0
		.amdhsa_float_round_mode_16_64 0
		.amdhsa_float_denorm_mode_32 3
		.amdhsa_float_denorm_mode_16_64 3
		.amdhsa_dx10_clamp 1
		.amdhsa_ieee_mode 1
		.amdhsa_fp16_overflow 0
		.amdhsa_tg_split 0
		.amdhsa_exception_fp_ieee_invalid_op 0
		.amdhsa_exception_fp_denorm_src 0
		.amdhsa_exception_fp_ieee_div_zero 0
		.amdhsa_exception_fp_ieee_overflow 0
		.amdhsa_exception_fp_ieee_underflow 0
		.amdhsa_exception_fp_ieee_inexact 0
		.amdhsa_exception_int_div_zero 0
	.end_amdhsa_kernel
	.section	.text._ZN7rocprim17ROCPRIM_400000_NS6detail17trampoline_kernelINS0_13select_configILj256ELj13ELNS0_17block_load_methodE3ELS4_3ELS4_3ELNS0_20block_scan_algorithmE0ELj4294967295EEENS1_25partition_config_selectorILNS1_17partition_subalgoE4EjNS0_10empty_typeEbEEZZNS1_14partition_implILS8_4ELb0ES6_15HIP_vector_typeIjLj2EENS0_17counting_iteratorIjlEEPS9_SG_NS0_5tupleIJPjSI_NS0_16reverse_iteratorISI_EEEEENSH_IJSG_SG_SG_EEES9_SI_JZNS1_25segmented_radix_sort_implINS0_14default_configELb1EPKbPbPKlPlN2at6native12_GLOBAL__N_18offset_tEEE10hipError_tPvRmT1_PNSt15iterator_traitsIS12_E10value_typeET2_T3_PNS13_IS18_E10value_typeET4_jRbjT5_S1E_jjP12ihipStream_tbEUljE_ZNSN_ISO_Lb1ESQ_SR_ST_SU_SY_EESZ_S10_S11_S12_S16_S17_S18_S1B_S1C_jS1D_jS1E_S1E_jjS1G_bEUljE0_EEESZ_S10_S11_S18_S1C_S1E_T6_T7_T9_mT8_S1G_bDpT10_ENKUlT_T0_E_clISt17integral_constantIbLb0EES1T_IbLb1EEEEDaS1P_S1Q_EUlS1P_E_NS1_11comp_targetILNS1_3genE9ELNS1_11target_archE1100ELNS1_3gpuE3ELNS1_3repE0EEENS1_30default_config_static_selectorELNS0_4arch9wavefront6targetE1EEEvS12_,"axG",@progbits,_ZN7rocprim17ROCPRIM_400000_NS6detail17trampoline_kernelINS0_13select_configILj256ELj13ELNS0_17block_load_methodE3ELS4_3ELS4_3ELNS0_20block_scan_algorithmE0ELj4294967295EEENS1_25partition_config_selectorILNS1_17partition_subalgoE4EjNS0_10empty_typeEbEEZZNS1_14partition_implILS8_4ELb0ES6_15HIP_vector_typeIjLj2EENS0_17counting_iteratorIjlEEPS9_SG_NS0_5tupleIJPjSI_NS0_16reverse_iteratorISI_EEEEENSH_IJSG_SG_SG_EEES9_SI_JZNS1_25segmented_radix_sort_implINS0_14default_configELb1EPKbPbPKlPlN2at6native12_GLOBAL__N_18offset_tEEE10hipError_tPvRmT1_PNSt15iterator_traitsIS12_E10value_typeET2_T3_PNS13_IS18_E10value_typeET4_jRbjT5_S1E_jjP12ihipStream_tbEUljE_ZNSN_ISO_Lb1ESQ_SR_ST_SU_SY_EESZ_S10_S11_S12_S16_S17_S18_S1B_S1C_jS1D_jS1E_S1E_jjS1G_bEUljE0_EEESZ_S10_S11_S18_S1C_S1E_T6_T7_T9_mT8_S1G_bDpT10_ENKUlT_T0_E_clISt17integral_constantIbLb0EES1T_IbLb1EEEEDaS1P_S1Q_EUlS1P_E_NS1_11comp_targetILNS1_3genE9ELNS1_11target_archE1100ELNS1_3gpuE3ELNS1_3repE0EEENS1_30default_config_static_selectorELNS0_4arch9wavefront6targetE1EEEvS12_,comdat
.Lfunc_end1496:
	.size	_ZN7rocprim17ROCPRIM_400000_NS6detail17trampoline_kernelINS0_13select_configILj256ELj13ELNS0_17block_load_methodE3ELS4_3ELS4_3ELNS0_20block_scan_algorithmE0ELj4294967295EEENS1_25partition_config_selectorILNS1_17partition_subalgoE4EjNS0_10empty_typeEbEEZZNS1_14partition_implILS8_4ELb0ES6_15HIP_vector_typeIjLj2EENS0_17counting_iteratorIjlEEPS9_SG_NS0_5tupleIJPjSI_NS0_16reverse_iteratorISI_EEEEENSH_IJSG_SG_SG_EEES9_SI_JZNS1_25segmented_radix_sort_implINS0_14default_configELb1EPKbPbPKlPlN2at6native12_GLOBAL__N_18offset_tEEE10hipError_tPvRmT1_PNSt15iterator_traitsIS12_E10value_typeET2_T3_PNS13_IS18_E10value_typeET4_jRbjT5_S1E_jjP12ihipStream_tbEUljE_ZNSN_ISO_Lb1ESQ_SR_ST_SU_SY_EESZ_S10_S11_S12_S16_S17_S18_S1B_S1C_jS1D_jS1E_S1E_jjS1G_bEUljE0_EEESZ_S10_S11_S18_S1C_S1E_T6_T7_T9_mT8_S1G_bDpT10_ENKUlT_T0_E_clISt17integral_constantIbLb0EES1T_IbLb1EEEEDaS1P_S1Q_EUlS1P_E_NS1_11comp_targetILNS1_3genE9ELNS1_11target_archE1100ELNS1_3gpuE3ELNS1_3repE0EEENS1_30default_config_static_selectorELNS0_4arch9wavefront6targetE1EEEvS12_, .Lfunc_end1496-_ZN7rocprim17ROCPRIM_400000_NS6detail17trampoline_kernelINS0_13select_configILj256ELj13ELNS0_17block_load_methodE3ELS4_3ELS4_3ELNS0_20block_scan_algorithmE0ELj4294967295EEENS1_25partition_config_selectorILNS1_17partition_subalgoE4EjNS0_10empty_typeEbEEZZNS1_14partition_implILS8_4ELb0ES6_15HIP_vector_typeIjLj2EENS0_17counting_iteratorIjlEEPS9_SG_NS0_5tupleIJPjSI_NS0_16reverse_iteratorISI_EEEEENSH_IJSG_SG_SG_EEES9_SI_JZNS1_25segmented_radix_sort_implINS0_14default_configELb1EPKbPbPKlPlN2at6native12_GLOBAL__N_18offset_tEEE10hipError_tPvRmT1_PNSt15iterator_traitsIS12_E10value_typeET2_T3_PNS13_IS18_E10value_typeET4_jRbjT5_S1E_jjP12ihipStream_tbEUljE_ZNSN_ISO_Lb1ESQ_SR_ST_SU_SY_EESZ_S10_S11_S12_S16_S17_S18_S1B_S1C_jS1D_jS1E_S1E_jjS1G_bEUljE0_EEESZ_S10_S11_S18_S1C_S1E_T6_T7_T9_mT8_S1G_bDpT10_ENKUlT_T0_E_clISt17integral_constantIbLb0EES1T_IbLb1EEEEDaS1P_S1Q_EUlS1P_E_NS1_11comp_targetILNS1_3genE9ELNS1_11target_archE1100ELNS1_3gpuE3ELNS1_3repE0EEENS1_30default_config_static_selectorELNS0_4arch9wavefront6targetE1EEEvS12_
                                        ; -- End function
	.section	.AMDGPU.csdata,"",@progbits
; Kernel info:
; codeLenInByte = 0
; NumSgprs: 4
; NumVgprs: 0
; NumAgprs: 0
; TotalNumVgprs: 0
; ScratchSize: 0
; MemoryBound: 0
; FloatMode: 240
; IeeeMode: 1
; LDSByteSize: 0 bytes/workgroup (compile time only)
; SGPRBlocks: 0
; VGPRBlocks: 0
; NumSGPRsForWavesPerEU: 4
; NumVGPRsForWavesPerEU: 1
; AccumOffset: 4
; Occupancy: 8
; WaveLimiterHint : 0
; COMPUTE_PGM_RSRC2:SCRATCH_EN: 0
; COMPUTE_PGM_RSRC2:USER_SGPR: 6
; COMPUTE_PGM_RSRC2:TRAP_HANDLER: 0
; COMPUTE_PGM_RSRC2:TGID_X_EN: 1
; COMPUTE_PGM_RSRC2:TGID_Y_EN: 0
; COMPUTE_PGM_RSRC2:TGID_Z_EN: 0
; COMPUTE_PGM_RSRC2:TIDIG_COMP_CNT: 0
; COMPUTE_PGM_RSRC3_GFX90A:ACCUM_OFFSET: 0
; COMPUTE_PGM_RSRC3_GFX90A:TG_SPLIT: 0
	.section	.text._ZN7rocprim17ROCPRIM_400000_NS6detail17trampoline_kernelINS0_13select_configILj256ELj13ELNS0_17block_load_methodE3ELS4_3ELS4_3ELNS0_20block_scan_algorithmE0ELj4294967295EEENS1_25partition_config_selectorILNS1_17partition_subalgoE4EjNS0_10empty_typeEbEEZZNS1_14partition_implILS8_4ELb0ES6_15HIP_vector_typeIjLj2EENS0_17counting_iteratorIjlEEPS9_SG_NS0_5tupleIJPjSI_NS0_16reverse_iteratorISI_EEEEENSH_IJSG_SG_SG_EEES9_SI_JZNS1_25segmented_radix_sort_implINS0_14default_configELb1EPKbPbPKlPlN2at6native12_GLOBAL__N_18offset_tEEE10hipError_tPvRmT1_PNSt15iterator_traitsIS12_E10value_typeET2_T3_PNS13_IS18_E10value_typeET4_jRbjT5_S1E_jjP12ihipStream_tbEUljE_ZNSN_ISO_Lb1ESQ_SR_ST_SU_SY_EESZ_S10_S11_S12_S16_S17_S18_S1B_S1C_jS1D_jS1E_S1E_jjS1G_bEUljE0_EEESZ_S10_S11_S18_S1C_S1E_T6_T7_T9_mT8_S1G_bDpT10_ENKUlT_T0_E_clISt17integral_constantIbLb0EES1T_IbLb1EEEEDaS1P_S1Q_EUlS1P_E_NS1_11comp_targetILNS1_3genE8ELNS1_11target_archE1030ELNS1_3gpuE2ELNS1_3repE0EEENS1_30default_config_static_selectorELNS0_4arch9wavefront6targetE1EEEvS12_,"axG",@progbits,_ZN7rocprim17ROCPRIM_400000_NS6detail17trampoline_kernelINS0_13select_configILj256ELj13ELNS0_17block_load_methodE3ELS4_3ELS4_3ELNS0_20block_scan_algorithmE0ELj4294967295EEENS1_25partition_config_selectorILNS1_17partition_subalgoE4EjNS0_10empty_typeEbEEZZNS1_14partition_implILS8_4ELb0ES6_15HIP_vector_typeIjLj2EENS0_17counting_iteratorIjlEEPS9_SG_NS0_5tupleIJPjSI_NS0_16reverse_iteratorISI_EEEEENSH_IJSG_SG_SG_EEES9_SI_JZNS1_25segmented_radix_sort_implINS0_14default_configELb1EPKbPbPKlPlN2at6native12_GLOBAL__N_18offset_tEEE10hipError_tPvRmT1_PNSt15iterator_traitsIS12_E10value_typeET2_T3_PNS13_IS18_E10value_typeET4_jRbjT5_S1E_jjP12ihipStream_tbEUljE_ZNSN_ISO_Lb1ESQ_SR_ST_SU_SY_EESZ_S10_S11_S12_S16_S17_S18_S1B_S1C_jS1D_jS1E_S1E_jjS1G_bEUljE0_EEESZ_S10_S11_S18_S1C_S1E_T6_T7_T9_mT8_S1G_bDpT10_ENKUlT_T0_E_clISt17integral_constantIbLb0EES1T_IbLb1EEEEDaS1P_S1Q_EUlS1P_E_NS1_11comp_targetILNS1_3genE8ELNS1_11target_archE1030ELNS1_3gpuE2ELNS1_3repE0EEENS1_30default_config_static_selectorELNS0_4arch9wavefront6targetE1EEEvS12_,comdat
	.globl	_ZN7rocprim17ROCPRIM_400000_NS6detail17trampoline_kernelINS0_13select_configILj256ELj13ELNS0_17block_load_methodE3ELS4_3ELS4_3ELNS0_20block_scan_algorithmE0ELj4294967295EEENS1_25partition_config_selectorILNS1_17partition_subalgoE4EjNS0_10empty_typeEbEEZZNS1_14partition_implILS8_4ELb0ES6_15HIP_vector_typeIjLj2EENS0_17counting_iteratorIjlEEPS9_SG_NS0_5tupleIJPjSI_NS0_16reverse_iteratorISI_EEEEENSH_IJSG_SG_SG_EEES9_SI_JZNS1_25segmented_radix_sort_implINS0_14default_configELb1EPKbPbPKlPlN2at6native12_GLOBAL__N_18offset_tEEE10hipError_tPvRmT1_PNSt15iterator_traitsIS12_E10value_typeET2_T3_PNS13_IS18_E10value_typeET4_jRbjT5_S1E_jjP12ihipStream_tbEUljE_ZNSN_ISO_Lb1ESQ_SR_ST_SU_SY_EESZ_S10_S11_S12_S16_S17_S18_S1B_S1C_jS1D_jS1E_S1E_jjS1G_bEUljE0_EEESZ_S10_S11_S18_S1C_S1E_T6_T7_T9_mT8_S1G_bDpT10_ENKUlT_T0_E_clISt17integral_constantIbLb0EES1T_IbLb1EEEEDaS1P_S1Q_EUlS1P_E_NS1_11comp_targetILNS1_3genE8ELNS1_11target_archE1030ELNS1_3gpuE2ELNS1_3repE0EEENS1_30default_config_static_selectorELNS0_4arch9wavefront6targetE1EEEvS12_ ; -- Begin function _ZN7rocprim17ROCPRIM_400000_NS6detail17trampoline_kernelINS0_13select_configILj256ELj13ELNS0_17block_load_methodE3ELS4_3ELS4_3ELNS0_20block_scan_algorithmE0ELj4294967295EEENS1_25partition_config_selectorILNS1_17partition_subalgoE4EjNS0_10empty_typeEbEEZZNS1_14partition_implILS8_4ELb0ES6_15HIP_vector_typeIjLj2EENS0_17counting_iteratorIjlEEPS9_SG_NS0_5tupleIJPjSI_NS0_16reverse_iteratorISI_EEEEENSH_IJSG_SG_SG_EEES9_SI_JZNS1_25segmented_radix_sort_implINS0_14default_configELb1EPKbPbPKlPlN2at6native12_GLOBAL__N_18offset_tEEE10hipError_tPvRmT1_PNSt15iterator_traitsIS12_E10value_typeET2_T3_PNS13_IS18_E10value_typeET4_jRbjT5_S1E_jjP12ihipStream_tbEUljE_ZNSN_ISO_Lb1ESQ_SR_ST_SU_SY_EESZ_S10_S11_S12_S16_S17_S18_S1B_S1C_jS1D_jS1E_S1E_jjS1G_bEUljE0_EEESZ_S10_S11_S18_S1C_S1E_T6_T7_T9_mT8_S1G_bDpT10_ENKUlT_T0_E_clISt17integral_constantIbLb0EES1T_IbLb1EEEEDaS1P_S1Q_EUlS1P_E_NS1_11comp_targetILNS1_3genE8ELNS1_11target_archE1030ELNS1_3gpuE2ELNS1_3repE0EEENS1_30default_config_static_selectorELNS0_4arch9wavefront6targetE1EEEvS12_
	.p2align	8
	.type	_ZN7rocprim17ROCPRIM_400000_NS6detail17trampoline_kernelINS0_13select_configILj256ELj13ELNS0_17block_load_methodE3ELS4_3ELS4_3ELNS0_20block_scan_algorithmE0ELj4294967295EEENS1_25partition_config_selectorILNS1_17partition_subalgoE4EjNS0_10empty_typeEbEEZZNS1_14partition_implILS8_4ELb0ES6_15HIP_vector_typeIjLj2EENS0_17counting_iteratorIjlEEPS9_SG_NS0_5tupleIJPjSI_NS0_16reverse_iteratorISI_EEEEENSH_IJSG_SG_SG_EEES9_SI_JZNS1_25segmented_radix_sort_implINS0_14default_configELb1EPKbPbPKlPlN2at6native12_GLOBAL__N_18offset_tEEE10hipError_tPvRmT1_PNSt15iterator_traitsIS12_E10value_typeET2_T3_PNS13_IS18_E10value_typeET4_jRbjT5_S1E_jjP12ihipStream_tbEUljE_ZNSN_ISO_Lb1ESQ_SR_ST_SU_SY_EESZ_S10_S11_S12_S16_S17_S18_S1B_S1C_jS1D_jS1E_S1E_jjS1G_bEUljE0_EEESZ_S10_S11_S18_S1C_S1E_T6_T7_T9_mT8_S1G_bDpT10_ENKUlT_T0_E_clISt17integral_constantIbLb0EES1T_IbLb1EEEEDaS1P_S1Q_EUlS1P_E_NS1_11comp_targetILNS1_3genE8ELNS1_11target_archE1030ELNS1_3gpuE2ELNS1_3repE0EEENS1_30default_config_static_selectorELNS0_4arch9wavefront6targetE1EEEvS12_,@function
_ZN7rocprim17ROCPRIM_400000_NS6detail17trampoline_kernelINS0_13select_configILj256ELj13ELNS0_17block_load_methodE3ELS4_3ELS4_3ELNS0_20block_scan_algorithmE0ELj4294967295EEENS1_25partition_config_selectorILNS1_17partition_subalgoE4EjNS0_10empty_typeEbEEZZNS1_14partition_implILS8_4ELb0ES6_15HIP_vector_typeIjLj2EENS0_17counting_iteratorIjlEEPS9_SG_NS0_5tupleIJPjSI_NS0_16reverse_iteratorISI_EEEEENSH_IJSG_SG_SG_EEES9_SI_JZNS1_25segmented_radix_sort_implINS0_14default_configELb1EPKbPbPKlPlN2at6native12_GLOBAL__N_18offset_tEEE10hipError_tPvRmT1_PNSt15iterator_traitsIS12_E10value_typeET2_T3_PNS13_IS18_E10value_typeET4_jRbjT5_S1E_jjP12ihipStream_tbEUljE_ZNSN_ISO_Lb1ESQ_SR_ST_SU_SY_EESZ_S10_S11_S12_S16_S17_S18_S1B_S1C_jS1D_jS1E_S1E_jjS1G_bEUljE0_EEESZ_S10_S11_S18_S1C_S1E_T6_T7_T9_mT8_S1G_bDpT10_ENKUlT_T0_E_clISt17integral_constantIbLb0EES1T_IbLb1EEEEDaS1P_S1Q_EUlS1P_E_NS1_11comp_targetILNS1_3genE8ELNS1_11target_archE1030ELNS1_3gpuE2ELNS1_3repE0EEENS1_30default_config_static_selectorELNS0_4arch9wavefront6targetE1EEEvS12_: ; @_ZN7rocprim17ROCPRIM_400000_NS6detail17trampoline_kernelINS0_13select_configILj256ELj13ELNS0_17block_load_methodE3ELS4_3ELS4_3ELNS0_20block_scan_algorithmE0ELj4294967295EEENS1_25partition_config_selectorILNS1_17partition_subalgoE4EjNS0_10empty_typeEbEEZZNS1_14partition_implILS8_4ELb0ES6_15HIP_vector_typeIjLj2EENS0_17counting_iteratorIjlEEPS9_SG_NS0_5tupleIJPjSI_NS0_16reverse_iteratorISI_EEEEENSH_IJSG_SG_SG_EEES9_SI_JZNS1_25segmented_radix_sort_implINS0_14default_configELb1EPKbPbPKlPlN2at6native12_GLOBAL__N_18offset_tEEE10hipError_tPvRmT1_PNSt15iterator_traitsIS12_E10value_typeET2_T3_PNS13_IS18_E10value_typeET4_jRbjT5_S1E_jjP12ihipStream_tbEUljE_ZNSN_ISO_Lb1ESQ_SR_ST_SU_SY_EESZ_S10_S11_S12_S16_S17_S18_S1B_S1C_jS1D_jS1E_S1E_jjS1G_bEUljE0_EEESZ_S10_S11_S18_S1C_S1E_T6_T7_T9_mT8_S1G_bDpT10_ENKUlT_T0_E_clISt17integral_constantIbLb0EES1T_IbLb1EEEEDaS1P_S1Q_EUlS1P_E_NS1_11comp_targetILNS1_3genE8ELNS1_11target_archE1030ELNS1_3gpuE2ELNS1_3repE0EEENS1_30default_config_static_selectorELNS0_4arch9wavefront6targetE1EEEvS12_
; %bb.0:
	.section	.rodata,"a",@progbits
	.p2align	6, 0x0
	.amdhsa_kernel _ZN7rocprim17ROCPRIM_400000_NS6detail17trampoline_kernelINS0_13select_configILj256ELj13ELNS0_17block_load_methodE3ELS4_3ELS4_3ELNS0_20block_scan_algorithmE0ELj4294967295EEENS1_25partition_config_selectorILNS1_17partition_subalgoE4EjNS0_10empty_typeEbEEZZNS1_14partition_implILS8_4ELb0ES6_15HIP_vector_typeIjLj2EENS0_17counting_iteratorIjlEEPS9_SG_NS0_5tupleIJPjSI_NS0_16reverse_iteratorISI_EEEEENSH_IJSG_SG_SG_EEES9_SI_JZNS1_25segmented_radix_sort_implINS0_14default_configELb1EPKbPbPKlPlN2at6native12_GLOBAL__N_18offset_tEEE10hipError_tPvRmT1_PNSt15iterator_traitsIS12_E10value_typeET2_T3_PNS13_IS18_E10value_typeET4_jRbjT5_S1E_jjP12ihipStream_tbEUljE_ZNSN_ISO_Lb1ESQ_SR_ST_SU_SY_EESZ_S10_S11_S12_S16_S17_S18_S1B_S1C_jS1D_jS1E_S1E_jjS1G_bEUljE0_EEESZ_S10_S11_S18_S1C_S1E_T6_T7_T9_mT8_S1G_bDpT10_ENKUlT_T0_E_clISt17integral_constantIbLb0EES1T_IbLb1EEEEDaS1P_S1Q_EUlS1P_E_NS1_11comp_targetILNS1_3genE8ELNS1_11target_archE1030ELNS1_3gpuE2ELNS1_3repE0EEENS1_30default_config_static_selectorELNS0_4arch9wavefront6targetE1EEEvS12_
		.amdhsa_group_segment_fixed_size 0
		.amdhsa_private_segment_fixed_size 0
		.amdhsa_kernarg_size 184
		.amdhsa_user_sgpr_count 6
		.amdhsa_user_sgpr_private_segment_buffer 1
		.amdhsa_user_sgpr_dispatch_ptr 0
		.amdhsa_user_sgpr_queue_ptr 0
		.amdhsa_user_sgpr_kernarg_segment_ptr 1
		.amdhsa_user_sgpr_dispatch_id 0
		.amdhsa_user_sgpr_flat_scratch_init 0
		.amdhsa_user_sgpr_kernarg_preload_length 0
		.amdhsa_user_sgpr_kernarg_preload_offset 0
		.amdhsa_user_sgpr_private_segment_size 0
		.amdhsa_uses_dynamic_stack 0
		.amdhsa_system_sgpr_private_segment_wavefront_offset 0
		.amdhsa_system_sgpr_workgroup_id_x 1
		.amdhsa_system_sgpr_workgroup_id_y 0
		.amdhsa_system_sgpr_workgroup_id_z 0
		.amdhsa_system_sgpr_workgroup_info 0
		.amdhsa_system_vgpr_workitem_id 0
		.amdhsa_next_free_vgpr 1
		.amdhsa_next_free_sgpr 0
		.amdhsa_accum_offset 4
		.amdhsa_reserve_vcc 0
		.amdhsa_reserve_flat_scratch 0
		.amdhsa_float_round_mode_32 0
		.amdhsa_float_round_mode_16_64 0
		.amdhsa_float_denorm_mode_32 3
		.amdhsa_float_denorm_mode_16_64 3
		.amdhsa_dx10_clamp 1
		.amdhsa_ieee_mode 1
		.amdhsa_fp16_overflow 0
		.amdhsa_tg_split 0
		.amdhsa_exception_fp_ieee_invalid_op 0
		.amdhsa_exception_fp_denorm_src 0
		.amdhsa_exception_fp_ieee_div_zero 0
		.amdhsa_exception_fp_ieee_overflow 0
		.amdhsa_exception_fp_ieee_underflow 0
		.amdhsa_exception_fp_ieee_inexact 0
		.amdhsa_exception_int_div_zero 0
	.end_amdhsa_kernel
	.section	.text._ZN7rocprim17ROCPRIM_400000_NS6detail17trampoline_kernelINS0_13select_configILj256ELj13ELNS0_17block_load_methodE3ELS4_3ELS4_3ELNS0_20block_scan_algorithmE0ELj4294967295EEENS1_25partition_config_selectorILNS1_17partition_subalgoE4EjNS0_10empty_typeEbEEZZNS1_14partition_implILS8_4ELb0ES6_15HIP_vector_typeIjLj2EENS0_17counting_iteratorIjlEEPS9_SG_NS0_5tupleIJPjSI_NS0_16reverse_iteratorISI_EEEEENSH_IJSG_SG_SG_EEES9_SI_JZNS1_25segmented_radix_sort_implINS0_14default_configELb1EPKbPbPKlPlN2at6native12_GLOBAL__N_18offset_tEEE10hipError_tPvRmT1_PNSt15iterator_traitsIS12_E10value_typeET2_T3_PNS13_IS18_E10value_typeET4_jRbjT5_S1E_jjP12ihipStream_tbEUljE_ZNSN_ISO_Lb1ESQ_SR_ST_SU_SY_EESZ_S10_S11_S12_S16_S17_S18_S1B_S1C_jS1D_jS1E_S1E_jjS1G_bEUljE0_EEESZ_S10_S11_S18_S1C_S1E_T6_T7_T9_mT8_S1G_bDpT10_ENKUlT_T0_E_clISt17integral_constantIbLb0EES1T_IbLb1EEEEDaS1P_S1Q_EUlS1P_E_NS1_11comp_targetILNS1_3genE8ELNS1_11target_archE1030ELNS1_3gpuE2ELNS1_3repE0EEENS1_30default_config_static_selectorELNS0_4arch9wavefront6targetE1EEEvS12_,"axG",@progbits,_ZN7rocprim17ROCPRIM_400000_NS6detail17trampoline_kernelINS0_13select_configILj256ELj13ELNS0_17block_load_methodE3ELS4_3ELS4_3ELNS0_20block_scan_algorithmE0ELj4294967295EEENS1_25partition_config_selectorILNS1_17partition_subalgoE4EjNS0_10empty_typeEbEEZZNS1_14partition_implILS8_4ELb0ES6_15HIP_vector_typeIjLj2EENS0_17counting_iteratorIjlEEPS9_SG_NS0_5tupleIJPjSI_NS0_16reverse_iteratorISI_EEEEENSH_IJSG_SG_SG_EEES9_SI_JZNS1_25segmented_radix_sort_implINS0_14default_configELb1EPKbPbPKlPlN2at6native12_GLOBAL__N_18offset_tEEE10hipError_tPvRmT1_PNSt15iterator_traitsIS12_E10value_typeET2_T3_PNS13_IS18_E10value_typeET4_jRbjT5_S1E_jjP12ihipStream_tbEUljE_ZNSN_ISO_Lb1ESQ_SR_ST_SU_SY_EESZ_S10_S11_S12_S16_S17_S18_S1B_S1C_jS1D_jS1E_S1E_jjS1G_bEUljE0_EEESZ_S10_S11_S18_S1C_S1E_T6_T7_T9_mT8_S1G_bDpT10_ENKUlT_T0_E_clISt17integral_constantIbLb0EES1T_IbLb1EEEEDaS1P_S1Q_EUlS1P_E_NS1_11comp_targetILNS1_3genE8ELNS1_11target_archE1030ELNS1_3gpuE2ELNS1_3repE0EEENS1_30default_config_static_selectorELNS0_4arch9wavefront6targetE1EEEvS12_,comdat
.Lfunc_end1497:
	.size	_ZN7rocprim17ROCPRIM_400000_NS6detail17trampoline_kernelINS0_13select_configILj256ELj13ELNS0_17block_load_methodE3ELS4_3ELS4_3ELNS0_20block_scan_algorithmE0ELj4294967295EEENS1_25partition_config_selectorILNS1_17partition_subalgoE4EjNS0_10empty_typeEbEEZZNS1_14partition_implILS8_4ELb0ES6_15HIP_vector_typeIjLj2EENS0_17counting_iteratorIjlEEPS9_SG_NS0_5tupleIJPjSI_NS0_16reverse_iteratorISI_EEEEENSH_IJSG_SG_SG_EEES9_SI_JZNS1_25segmented_radix_sort_implINS0_14default_configELb1EPKbPbPKlPlN2at6native12_GLOBAL__N_18offset_tEEE10hipError_tPvRmT1_PNSt15iterator_traitsIS12_E10value_typeET2_T3_PNS13_IS18_E10value_typeET4_jRbjT5_S1E_jjP12ihipStream_tbEUljE_ZNSN_ISO_Lb1ESQ_SR_ST_SU_SY_EESZ_S10_S11_S12_S16_S17_S18_S1B_S1C_jS1D_jS1E_S1E_jjS1G_bEUljE0_EEESZ_S10_S11_S18_S1C_S1E_T6_T7_T9_mT8_S1G_bDpT10_ENKUlT_T0_E_clISt17integral_constantIbLb0EES1T_IbLb1EEEEDaS1P_S1Q_EUlS1P_E_NS1_11comp_targetILNS1_3genE8ELNS1_11target_archE1030ELNS1_3gpuE2ELNS1_3repE0EEENS1_30default_config_static_selectorELNS0_4arch9wavefront6targetE1EEEvS12_, .Lfunc_end1497-_ZN7rocprim17ROCPRIM_400000_NS6detail17trampoline_kernelINS0_13select_configILj256ELj13ELNS0_17block_load_methodE3ELS4_3ELS4_3ELNS0_20block_scan_algorithmE0ELj4294967295EEENS1_25partition_config_selectorILNS1_17partition_subalgoE4EjNS0_10empty_typeEbEEZZNS1_14partition_implILS8_4ELb0ES6_15HIP_vector_typeIjLj2EENS0_17counting_iteratorIjlEEPS9_SG_NS0_5tupleIJPjSI_NS0_16reverse_iteratorISI_EEEEENSH_IJSG_SG_SG_EEES9_SI_JZNS1_25segmented_radix_sort_implINS0_14default_configELb1EPKbPbPKlPlN2at6native12_GLOBAL__N_18offset_tEEE10hipError_tPvRmT1_PNSt15iterator_traitsIS12_E10value_typeET2_T3_PNS13_IS18_E10value_typeET4_jRbjT5_S1E_jjP12ihipStream_tbEUljE_ZNSN_ISO_Lb1ESQ_SR_ST_SU_SY_EESZ_S10_S11_S12_S16_S17_S18_S1B_S1C_jS1D_jS1E_S1E_jjS1G_bEUljE0_EEESZ_S10_S11_S18_S1C_S1E_T6_T7_T9_mT8_S1G_bDpT10_ENKUlT_T0_E_clISt17integral_constantIbLb0EES1T_IbLb1EEEEDaS1P_S1Q_EUlS1P_E_NS1_11comp_targetILNS1_3genE8ELNS1_11target_archE1030ELNS1_3gpuE2ELNS1_3repE0EEENS1_30default_config_static_selectorELNS0_4arch9wavefront6targetE1EEEvS12_
                                        ; -- End function
	.section	.AMDGPU.csdata,"",@progbits
; Kernel info:
; codeLenInByte = 0
; NumSgprs: 4
; NumVgprs: 0
; NumAgprs: 0
; TotalNumVgprs: 0
; ScratchSize: 0
; MemoryBound: 0
; FloatMode: 240
; IeeeMode: 1
; LDSByteSize: 0 bytes/workgroup (compile time only)
; SGPRBlocks: 0
; VGPRBlocks: 0
; NumSGPRsForWavesPerEU: 4
; NumVGPRsForWavesPerEU: 1
; AccumOffset: 4
; Occupancy: 8
; WaveLimiterHint : 0
; COMPUTE_PGM_RSRC2:SCRATCH_EN: 0
; COMPUTE_PGM_RSRC2:USER_SGPR: 6
; COMPUTE_PGM_RSRC2:TRAP_HANDLER: 0
; COMPUTE_PGM_RSRC2:TGID_X_EN: 1
; COMPUTE_PGM_RSRC2:TGID_Y_EN: 0
; COMPUTE_PGM_RSRC2:TGID_Z_EN: 0
; COMPUTE_PGM_RSRC2:TIDIG_COMP_CNT: 0
; COMPUTE_PGM_RSRC3_GFX90A:ACCUM_OFFSET: 0
; COMPUTE_PGM_RSRC3_GFX90A:TG_SPLIT: 0
	.section	.text._ZN7rocprim17ROCPRIM_400000_NS6detail17trampoline_kernelINS0_13select_configILj256ELj13ELNS0_17block_load_methodE3ELS4_3ELS4_3ELNS0_20block_scan_algorithmE0ELj4294967295EEENS1_25partition_config_selectorILNS1_17partition_subalgoE3EjNS0_10empty_typeEbEEZZNS1_14partition_implILS8_3ELb0ES6_jNS0_17counting_iteratorIjlEEPS9_SE_NS0_5tupleIJPjSE_EEENSF_IJSE_SE_EEES9_SG_JZNS1_25segmented_radix_sort_implINS0_14default_configELb1EPKbPbPKlPlN2at6native12_GLOBAL__N_18offset_tEEE10hipError_tPvRmT1_PNSt15iterator_traitsISY_E10value_typeET2_T3_PNSZ_IS14_E10value_typeET4_jRbjT5_S1A_jjP12ihipStream_tbEUljE_EEESV_SW_SX_S14_S18_S1A_T6_T7_T9_mT8_S1C_bDpT10_ENKUlT_T0_E_clISt17integral_constantIbLb0EES1P_EEDaS1K_S1L_EUlS1K_E_NS1_11comp_targetILNS1_3genE0ELNS1_11target_archE4294967295ELNS1_3gpuE0ELNS1_3repE0EEENS1_30default_config_static_selectorELNS0_4arch9wavefront6targetE1EEEvSY_,"axG",@progbits,_ZN7rocprim17ROCPRIM_400000_NS6detail17trampoline_kernelINS0_13select_configILj256ELj13ELNS0_17block_load_methodE3ELS4_3ELS4_3ELNS0_20block_scan_algorithmE0ELj4294967295EEENS1_25partition_config_selectorILNS1_17partition_subalgoE3EjNS0_10empty_typeEbEEZZNS1_14partition_implILS8_3ELb0ES6_jNS0_17counting_iteratorIjlEEPS9_SE_NS0_5tupleIJPjSE_EEENSF_IJSE_SE_EEES9_SG_JZNS1_25segmented_radix_sort_implINS0_14default_configELb1EPKbPbPKlPlN2at6native12_GLOBAL__N_18offset_tEEE10hipError_tPvRmT1_PNSt15iterator_traitsISY_E10value_typeET2_T3_PNSZ_IS14_E10value_typeET4_jRbjT5_S1A_jjP12ihipStream_tbEUljE_EEESV_SW_SX_S14_S18_S1A_T6_T7_T9_mT8_S1C_bDpT10_ENKUlT_T0_E_clISt17integral_constantIbLb0EES1P_EEDaS1K_S1L_EUlS1K_E_NS1_11comp_targetILNS1_3genE0ELNS1_11target_archE4294967295ELNS1_3gpuE0ELNS1_3repE0EEENS1_30default_config_static_selectorELNS0_4arch9wavefront6targetE1EEEvSY_,comdat
	.globl	_ZN7rocprim17ROCPRIM_400000_NS6detail17trampoline_kernelINS0_13select_configILj256ELj13ELNS0_17block_load_methodE3ELS4_3ELS4_3ELNS0_20block_scan_algorithmE0ELj4294967295EEENS1_25partition_config_selectorILNS1_17partition_subalgoE3EjNS0_10empty_typeEbEEZZNS1_14partition_implILS8_3ELb0ES6_jNS0_17counting_iteratorIjlEEPS9_SE_NS0_5tupleIJPjSE_EEENSF_IJSE_SE_EEES9_SG_JZNS1_25segmented_radix_sort_implINS0_14default_configELb1EPKbPbPKlPlN2at6native12_GLOBAL__N_18offset_tEEE10hipError_tPvRmT1_PNSt15iterator_traitsISY_E10value_typeET2_T3_PNSZ_IS14_E10value_typeET4_jRbjT5_S1A_jjP12ihipStream_tbEUljE_EEESV_SW_SX_S14_S18_S1A_T6_T7_T9_mT8_S1C_bDpT10_ENKUlT_T0_E_clISt17integral_constantIbLb0EES1P_EEDaS1K_S1L_EUlS1K_E_NS1_11comp_targetILNS1_3genE0ELNS1_11target_archE4294967295ELNS1_3gpuE0ELNS1_3repE0EEENS1_30default_config_static_selectorELNS0_4arch9wavefront6targetE1EEEvSY_ ; -- Begin function _ZN7rocprim17ROCPRIM_400000_NS6detail17trampoline_kernelINS0_13select_configILj256ELj13ELNS0_17block_load_methodE3ELS4_3ELS4_3ELNS0_20block_scan_algorithmE0ELj4294967295EEENS1_25partition_config_selectorILNS1_17partition_subalgoE3EjNS0_10empty_typeEbEEZZNS1_14partition_implILS8_3ELb0ES6_jNS0_17counting_iteratorIjlEEPS9_SE_NS0_5tupleIJPjSE_EEENSF_IJSE_SE_EEES9_SG_JZNS1_25segmented_radix_sort_implINS0_14default_configELb1EPKbPbPKlPlN2at6native12_GLOBAL__N_18offset_tEEE10hipError_tPvRmT1_PNSt15iterator_traitsISY_E10value_typeET2_T3_PNSZ_IS14_E10value_typeET4_jRbjT5_S1A_jjP12ihipStream_tbEUljE_EEESV_SW_SX_S14_S18_S1A_T6_T7_T9_mT8_S1C_bDpT10_ENKUlT_T0_E_clISt17integral_constantIbLb0EES1P_EEDaS1K_S1L_EUlS1K_E_NS1_11comp_targetILNS1_3genE0ELNS1_11target_archE4294967295ELNS1_3gpuE0ELNS1_3repE0EEENS1_30default_config_static_selectorELNS0_4arch9wavefront6targetE1EEEvSY_
	.p2align	8
	.type	_ZN7rocprim17ROCPRIM_400000_NS6detail17trampoline_kernelINS0_13select_configILj256ELj13ELNS0_17block_load_methodE3ELS4_3ELS4_3ELNS0_20block_scan_algorithmE0ELj4294967295EEENS1_25partition_config_selectorILNS1_17partition_subalgoE3EjNS0_10empty_typeEbEEZZNS1_14partition_implILS8_3ELb0ES6_jNS0_17counting_iteratorIjlEEPS9_SE_NS0_5tupleIJPjSE_EEENSF_IJSE_SE_EEES9_SG_JZNS1_25segmented_radix_sort_implINS0_14default_configELb1EPKbPbPKlPlN2at6native12_GLOBAL__N_18offset_tEEE10hipError_tPvRmT1_PNSt15iterator_traitsISY_E10value_typeET2_T3_PNSZ_IS14_E10value_typeET4_jRbjT5_S1A_jjP12ihipStream_tbEUljE_EEESV_SW_SX_S14_S18_S1A_T6_T7_T9_mT8_S1C_bDpT10_ENKUlT_T0_E_clISt17integral_constantIbLb0EES1P_EEDaS1K_S1L_EUlS1K_E_NS1_11comp_targetILNS1_3genE0ELNS1_11target_archE4294967295ELNS1_3gpuE0ELNS1_3repE0EEENS1_30default_config_static_selectorELNS0_4arch9wavefront6targetE1EEEvSY_,@function
_ZN7rocprim17ROCPRIM_400000_NS6detail17trampoline_kernelINS0_13select_configILj256ELj13ELNS0_17block_load_methodE3ELS4_3ELS4_3ELNS0_20block_scan_algorithmE0ELj4294967295EEENS1_25partition_config_selectorILNS1_17partition_subalgoE3EjNS0_10empty_typeEbEEZZNS1_14partition_implILS8_3ELb0ES6_jNS0_17counting_iteratorIjlEEPS9_SE_NS0_5tupleIJPjSE_EEENSF_IJSE_SE_EEES9_SG_JZNS1_25segmented_radix_sort_implINS0_14default_configELb1EPKbPbPKlPlN2at6native12_GLOBAL__N_18offset_tEEE10hipError_tPvRmT1_PNSt15iterator_traitsISY_E10value_typeET2_T3_PNSZ_IS14_E10value_typeET4_jRbjT5_S1A_jjP12ihipStream_tbEUljE_EEESV_SW_SX_S14_S18_S1A_T6_T7_T9_mT8_S1C_bDpT10_ENKUlT_T0_E_clISt17integral_constantIbLb0EES1P_EEDaS1K_S1L_EUlS1K_E_NS1_11comp_targetILNS1_3genE0ELNS1_11target_archE4294967295ELNS1_3gpuE0ELNS1_3repE0EEENS1_30default_config_static_selectorELNS0_4arch9wavefront6targetE1EEEvSY_: ; @_ZN7rocprim17ROCPRIM_400000_NS6detail17trampoline_kernelINS0_13select_configILj256ELj13ELNS0_17block_load_methodE3ELS4_3ELS4_3ELNS0_20block_scan_algorithmE0ELj4294967295EEENS1_25partition_config_selectorILNS1_17partition_subalgoE3EjNS0_10empty_typeEbEEZZNS1_14partition_implILS8_3ELb0ES6_jNS0_17counting_iteratorIjlEEPS9_SE_NS0_5tupleIJPjSE_EEENSF_IJSE_SE_EEES9_SG_JZNS1_25segmented_radix_sort_implINS0_14default_configELb1EPKbPbPKlPlN2at6native12_GLOBAL__N_18offset_tEEE10hipError_tPvRmT1_PNSt15iterator_traitsISY_E10value_typeET2_T3_PNSZ_IS14_E10value_typeET4_jRbjT5_S1A_jjP12ihipStream_tbEUljE_EEESV_SW_SX_S14_S18_S1A_T6_T7_T9_mT8_S1C_bDpT10_ENKUlT_T0_E_clISt17integral_constantIbLb0EES1P_EEDaS1K_S1L_EUlS1K_E_NS1_11comp_targetILNS1_3genE0ELNS1_11target_archE4294967295ELNS1_3gpuE0ELNS1_3repE0EEENS1_30default_config_static_selectorELNS0_4arch9wavefront6targetE1EEEvSY_
; %bb.0:
	.section	.rodata,"a",@progbits
	.p2align	6, 0x0
	.amdhsa_kernel _ZN7rocprim17ROCPRIM_400000_NS6detail17trampoline_kernelINS0_13select_configILj256ELj13ELNS0_17block_load_methodE3ELS4_3ELS4_3ELNS0_20block_scan_algorithmE0ELj4294967295EEENS1_25partition_config_selectorILNS1_17partition_subalgoE3EjNS0_10empty_typeEbEEZZNS1_14partition_implILS8_3ELb0ES6_jNS0_17counting_iteratorIjlEEPS9_SE_NS0_5tupleIJPjSE_EEENSF_IJSE_SE_EEES9_SG_JZNS1_25segmented_radix_sort_implINS0_14default_configELb1EPKbPbPKlPlN2at6native12_GLOBAL__N_18offset_tEEE10hipError_tPvRmT1_PNSt15iterator_traitsISY_E10value_typeET2_T3_PNSZ_IS14_E10value_typeET4_jRbjT5_S1A_jjP12ihipStream_tbEUljE_EEESV_SW_SX_S14_S18_S1A_T6_T7_T9_mT8_S1C_bDpT10_ENKUlT_T0_E_clISt17integral_constantIbLb0EES1P_EEDaS1K_S1L_EUlS1K_E_NS1_11comp_targetILNS1_3genE0ELNS1_11target_archE4294967295ELNS1_3gpuE0ELNS1_3repE0EEENS1_30default_config_static_selectorELNS0_4arch9wavefront6targetE1EEEvSY_
		.amdhsa_group_segment_fixed_size 0
		.amdhsa_private_segment_fixed_size 0
		.amdhsa_kernarg_size 144
		.amdhsa_user_sgpr_count 6
		.amdhsa_user_sgpr_private_segment_buffer 1
		.amdhsa_user_sgpr_dispatch_ptr 0
		.amdhsa_user_sgpr_queue_ptr 0
		.amdhsa_user_sgpr_kernarg_segment_ptr 1
		.amdhsa_user_sgpr_dispatch_id 0
		.amdhsa_user_sgpr_flat_scratch_init 0
		.amdhsa_user_sgpr_kernarg_preload_length 0
		.amdhsa_user_sgpr_kernarg_preload_offset 0
		.amdhsa_user_sgpr_private_segment_size 0
		.amdhsa_uses_dynamic_stack 0
		.amdhsa_system_sgpr_private_segment_wavefront_offset 0
		.amdhsa_system_sgpr_workgroup_id_x 1
		.amdhsa_system_sgpr_workgroup_id_y 0
		.amdhsa_system_sgpr_workgroup_id_z 0
		.amdhsa_system_sgpr_workgroup_info 0
		.amdhsa_system_vgpr_workitem_id 0
		.amdhsa_next_free_vgpr 1
		.amdhsa_next_free_sgpr 0
		.amdhsa_accum_offset 4
		.amdhsa_reserve_vcc 0
		.amdhsa_reserve_flat_scratch 0
		.amdhsa_float_round_mode_32 0
		.amdhsa_float_round_mode_16_64 0
		.amdhsa_float_denorm_mode_32 3
		.amdhsa_float_denorm_mode_16_64 3
		.amdhsa_dx10_clamp 1
		.amdhsa_ieee_mode 1
		.amdhsa_fp16_overflow 0
		.amdhsa_tg_split 0
		.amdhsa_exception_fp_ieee_invalid_op 0
		.amdhsa_exception_fp_denorm_src 0
		.amdhsa_exception_fp_ieee_div_zero 0
		.amdhsa_exception_fp_ieee_overflow 0
		.amdhsa_exception_fp_ieee_underflow 0
		.amdhsa_exception_fp_ieee_inexact 0
		.amdhsa_exception_int_div_zero 0
	.end_amdhsa_kernel
	.section	.text._ZN7rocprim17ROCPRIM_400000_NS6detail17trampoline_kernelINS0_13select_configILj256ELj13ELNS0_17block_load_methodE3ELS4_3ELS4_3ELNS0_20block_scan_algorithmE0ELj4294967295EEENS1_25partition_config_selectorILNS1_17partition_subalgoE3EjNS0_10empty_typeEbEEZZNS1_14partition_implILS8_3ELb0ES6_jNS0_17counting_iteratorIjlEEPS9_SE_NS0_5tupleIJPjSE_EEENSF_IJSE_SE_EEES9_SG_JZNS1_25segmented_radix_sort_implINS0_14default_configELb1EPKbPbPKlPlN2at6native12_GLOBAL__N_18offset_tEEE10hipError_tPvRmT1_PNSt15iterator_traitsISY_E10value_typeET2_T3_PNSZ_IS14_E10value_typeET4_jRbjT5_S1A_jjP12ihipStream_tbEUljE_EEESV_SW_SX_S14_S18_S1A_T6_T7_T9_mT8_S1C_bDpT10_ENKUlT_T0_E_clISt17integral_constantIbLb0EES1P_EEDaS1K_S1L_EUlS1K_E_NS1_11comp_targetILNS1_3genE0ELNS1_11target_archE4294967295ELNS1_3gpuE0ELNS1_3repE0EEENS1_30default_config_static_selectorELNS0_4arch9wavefront6targetE1EEEvSY_,"axG",@progbits,_ZN7rocprim17ROCPRIM_400000_NS6detail17trampoline_kernelINS0_13select_configILj256ELj13ELNS0_17block_load_methodE3ELS4_3ELS4_3ELNS0_20block_scan_algorithmE0ELj4294967295EEENS1_25partition_config_selectorILNS1_17partition_subalgoE3EjNS0_10empty_typeEbEEZZNS1_14partition_implILS8_3ELb0ES6_jNS0_17counting_iteratorIjlEEPS9_SE_NS0_5tupleIJPjSE_EEENSF_IJSE_SE_EEES9_SG_JZNS1_25segmented_radix_sort_implINS0_14default_configELb1EPKbPbPKlPlN2at6native12_GLOBAL__N_18offset_tEEE10hipError_tPvRmT1_PNSt15iterator_traitsISY_E10value_typeET2_T3_PNSZ_IS14_E10value_typeET4_jRbjT5_S1A_jjP12ihipStream_tbEUljE_EEESV_SW_SX_S14_S18_S1A_T6_T7_T9_mT8_S1C_bDpT10_ENKUlT_T0_E_clISt17integral_constantIbLb0EES1P_EEDaS1K_S1L_EUlS1K_E_NS1_11comp_targetILNS1_3genE0ELNS1_11target_archE4294967295ELNS1_3gpuE0ELNS1_3repE0EEENS1_30default_config_static_selectorELNS0_4arch9wavefront6targetE1EEEvSY_,comdat
.Lfunc_end1498:
	.size	_ZN7rocprim17ROCPRIM_400000_NS6detail17trampoline_kernelINS0_13select_configILj256ELj13ELNS0_17block_load_methodE3ELS4_3ELS4_3ELNS0_20block_scan_algorithmE0ELj4294967295EEENS1_25partition_config_selectorILNS1_17partition_subalgoE3EjNS0_10empty_typeEbEEZZNS1_14partition_implILS8_3ELb0ES6_jNS0_17counting_iteratorIjlEEPS9_SE_NS0_5tupleIJPjSE_EEENSF_IJSE_SE_EEES9_SG_JZNS1_25segmented_radix_sort_implINS0_14default_configELb1EPKbPbPKlPlN2at6native12_GLOBAL__N_18offset_tEEE10hipError_tPvRmT1_PNSt15iterator_traitsISY_E10value_typeET2_T3_PNSZ_IS14_E10value_typeET4_jRbjT5_S1A_jjP12ihipStream_tbEUljE_EEESV_SW_SX_S14_S18_S1A_T6_T7_T9_mT8_S1C_bDpT10_ENKUlT_T0_E_clISt17integral_constantIbLb0EES1P_EEDaS1K_S1L_EUlS1K_E_NS1_11comp_targetILNS1_3genE0ELNS1_11target_archE4294967295ELNS1_3gpuE0ELNS1_3repE0EEENS1_30default_config_static_selectorELNS0_4arch9wavefront6targetE1EEEvSY_, .Lfunc_end1498-_ZN7rocprim17ROCPRIM_400000_NS6detail17trampoline_kernelINS0_13select_configILj256ELj13ELNS0_17block_load_methodE3ELS4_3ELS4_3ELNS0_20block_scan_algorithmE0ELj4294967295EEENS1_25partition_config_selectorILNS1_17partition_subalgoE3EjNS0_10empty_typeEbEEZZNS1_14partition_implILS8_3ELb0ES6_jNS0_17counting_iteratorIjlEEPS9_SE_NS0_5tupleIJPjSE_EEENSF_IJSE_SE_EEES9_SG_JZNS1_25segmented_radix_sort_implINS0_14default_configELb1EPKbPbPKlPlN2at6native12_GLOBAL__N_18offset_tEEE10hipError_tPvRmT1_PNSt15iterator_traitsISY_E10value_typeET2_T3_PNSZ_IS14_E10value_typeET4_jRbjT5_S1A_jjP12ihipStream_tbEUljE_EEESV_SW_SX_S14_S18_S1A_T6_T7_T9_mT8_S1C_bDpT10_ENKUlT_T0_E_clISt17integral_constantIbLb0EES1P_EEDaS1K_S1L_EUlS1K_E_NS1_11comp_targetILNS1_3genE0ELNS1_11target_archE4294967295ELNS1_3gpuE0ELNS1_3repE0EEENS1_30default_config_static_selectorELNS0_4arch9wavefront6targetE1EEEvSY_
                                        ; -- End function
	.section	.AMDGPU.csdata,"",@progbits
; Kernel info:
; codeLenInByte = 0
; NumSgprs: 4
; NumVgprs: 0
; NumAgprs: 0
; TotalNumVgprs: 0
; ScratchSize: 0
; MemoryBound: 0
; FloatMode: 240
; IeeeMode: 1
; LDSByteSize: 0 bytes/workgroup (compile time only)
; SGPRBlocks: 0
; VGPRBlocks: 0
; NumSGPRsForWavesPerEU: 4
; NumVGPRsForWavesPerEU: 1
; AccumOffset: 4
; Occupancy: 8
; WaveLimiterHint : 0
; COMPUTE_PGM_RSRC2:SCRATCH_EN: 0
; COMPUTE_PGM_RSRC2:USER_SGPR: 6
; COMPUTE_PGM_RSRC2:TRAP_HANDLER: 0
; COMPUTE_PGM_RSRC2:TGID_X_EN: 1
; COMPUTE_PGM_RSRC2:TGID_Y_EN: 0
; COMPUTE_PGM_RSRC2:TGID_Z_EN: 0
; COMPUTE_PGM_RSRC2:TIDIG_COMP_CNT: 0
; COMPUTE_PGM_RSRC3_GFX90A:ACCUM_OFFSET: 0
; COMPUTE_PGM_RSRC3_GFX90A:TG_SPLIT: 0
	.section	.text._ZN7rocprim17ROCPRIM_400000_NS6detail17trampoline_kernelINS0_13select_configILj256ELj13ELNS0_17block_load_methodE3ELS4_3ELS4_3ELNS0_20block_scan_algorithmE0ELj4294967295EEENS1_25partition_config_selectorILNS1_17partition_subalgoE3EjNS0_10empty_typeEbEEZZNS1_14partition_implILS8_3ELb0ES6_jNS0_17counting_iteratorIjlEEPS9_SE_NS0_5tupleIJPjSE_EEENSF_IJSE_SE_EEES9_SG_JZNS1_25segmented_radix_sort_implINS0_14default_configELb1EPKbPbPKlPlN2at6native12_GLOBAL__N_18offset_tEEE10hipError_tPvRmT1_PNSt15iterator_traitsISY_E10value_typeET2_T3_PNSZ_IS14_E10value_typeET4_jRbjT5_S1A_jjP12ihipStream_tbEUljE_EEESV_SW_SX_S14_S18_S1A_T6_T7_T9_mT8_S1C_bDpT10_ENKUlT_T0_E_clISt17integral_constantIbLb0EES1P_EEDaS1K_S1L_EUlS1K_E_NS1_11comp_targetILNS1_3genE5ELNS1_11target_archE942ELNS1_3gpuE9ELNS1_3repE0EEENS1_30default_config_static_selectorELNS0_4arch9wavefront6targetE1EEEvSY_,"axG",@progbits,_ZN7rocprim17ROCPRIM_400000_NS6detail17trampoline_kernelINS0_13select_configILj256ELj13ELNS0_17block_load_methodE3ELS4_3ELS4_3ELNS0_20block_scan_algorithmE0ELj4294967295EEENS1_25partition_config_selectorILNS1_17partition_subalgoE3EjNS0_10empty_typeEbEEZZNS1_14partition_implILS8_3ELb0ES6_jNS0_17counting_iteratorIjlEEPS9_SE_NS0_5tupleIJPjSE_EEENSF_IJSE_SE_EEES9_SG_JZNS1_25segmented_radix_sort_implINS0_14default_configELb1EPKbPbPKlPlN2at6native12_GLOBAL__N_18offset_tEEE10hipError_tPvRmT1_PNSt15iterator_traitsISY_E10value_typeET2_T3_PNSZ_IS14_E10value_typeET4_jRbjT5_S1A_jjP12ihipStream_tbEUljE_EEESV_SW_SX_S14_S18_S1A_T6_T7_T9_mT8_S1C_bDpT10_ENKUlT_T0_E_clISt17integral_constantIbLb0EES1P_EEDaS1K_S1L_EUlS1K_E_NS1_11comp_targetILNS1_3genE5ELNS1_11target_archE942ELNS1_3gpuE9ELNS1_3repE0EEENS1_30default_config_static_selectorELNS0_4arch9wavefront6targetE1EEEvSY_,comdat
	.globl	_ZN7rocprim17ROCPRIM_400000_NS6detail17trampoline_kernelINS0_13select_configILj256ELj13ELNS0_17block_load_methodE3ELS4_3ELS4_3ELNS0_20block_scan_algorithmE0ELj4294967295EEENS1_25partition_config_selectorILNS1_17partition_subalgoE3EjNS0_10empty_typeEbEEZZNS1_14partition_implILS8_3ELb0ES6_jNS0_17counting_iteratorIjlEEPS9_SE_NS0_5tupleIJPjSE_EEENSF_IJSE_SE_EEES9_SG_JZNS1_25segmented_radix_sort_implINS0_14default_configELb1EPKbPbPKlPlN2at6native12_GLOBAL__N_18offset_tEEE10hipError_tPvRmT1_PNSt15iterator_traitsISY_E10value_typeET2_T3_PNSZ_IS14_E10value_typeET4_jRbjT5_S1A_jjP12ihipStream_tbEUljE_EEESV_SW_SX_S14_S18_S1A_T6_T7_T9_mT8_S1C_bDpT10_ENKUlT_T0_E_clISt17integral_constantIbLb0EES1P_EEDaS1K_S1L_EUlS1K_E_NS1_11comp_targetILNS1_3genE5ELNS1_11target_archE942ELNS1_3gpuE9ELNS1_3repE0EEENS1_30default_config_static_selectorELNS0_4arch9wavefront6targetE1EEEvSY_ ; -- Begin function _ZN7rocprim17ROCPRIM_400000_NS6detail17trampoline_kernelINS0_13select_configILj256ELj13ELNS0_17block_load_methodE3ELS4_3ELS4_3ELNS0_20block_scan_algorithmE0ELj4294967295EEENS1_25partition_config_selectorILNS1_17partition_subalgoE3EjNS0_10empty_typeEbEEZZNS1_14partition_implILS8_3ELb0ES6_jNS0_17counting_iteratorIjlEEPS9_SE_NS0_5tupleIJPjSE_EEENSF_IJSE_SE_EEES9_SG_JZNS1_25segmented_radix_sort_implINS0_14default_configELb1EPKbPbPKlPlN2at6native12_GLOBAL__N_18offset_tEEE10hipError_tPvRmT1_PNSt15iterator_traitsISY_E10value_typeET2_T3_PNSZ_IS14_E10value_typeET4_jRbjT5_S1A_jjP12ihipStream_tbEUljE_EEESV_SW_SX_S14_S18_S1A_T6_T7_T9_mT8_S1C_bDpT10_ENKUlT_T0_E_clISt17integral_constantIbLb0EES1P_EEDaS1K_S1L_EUlS1K_E_NS1_11comp_targetILNS1_3genE5ELNS1_11target_archE942ELNS1_3gpuE9ELNS1_3repE0EEENS1_30default_config_static_selectorELNS0_4arch9wavefront6targetE1EEEvSY_
	.p2align	8
	.type	_ZN7rocprim17ROCPRIM_400000_NS6detail17trampoline_kernelINS0_13select_configILj256ELj13ELNS0_17block_load_methodE3ELS4_3ELS4_3ELNS0_20block_scan_algorithmE0ELj4294967295EEENS1_25partition_config_selectorILNS1_17partition_subalgoE3EjNS0_10empty_typeEbEEZZNS1_14partition_implILS8_3ELb0ES6_jNS0_17counting_iteratorIjlEEPS9_SE_NS0_5tupleIJPjSE_EEENSF_IJSE_SE_EEES9_SG_JZNS1_25segmented_radix_sort_implINS0_14default_configELb1EPKbPbPKlPlN2at6native12_GLOBAL__N_18offset_tEEE10hipError_tPvRmT1_PNSt15iterator_traitsISY_E10value_typeET2_T3_PNSZ_IS14_E10value_typeET4_jRbjT5_S1A_jjP12ihipStream_tbEUljE_EEESV_SW_SX_S14_S18_S1A_T6_T7_T9_mT8_S1C_bDpT10_ENKUlT_T0_E_clISt17integral_constantIbLb0EES1P_EEDaS1K_S1L_EUlS1K_E_NS1_11comp_targetILNS1_3genE5ELNS1_11target_archE942ELNS1_3gpuE9ELNS1_3repE0EEENS1_30default_config_static_selectorELNS0_4arch9wavefront6targetE1EEEvSY_,@function
_ZN7rocprim17ROCPRIM_400000_NS6detail17trampoline_kernelINS0_13select_configILj256ELj13ELNS0_17block_load_methodE3ELS4_3ELS4_3ELNS0_20block_scan_algorithmE0ELj4294967295EEENS1_25partition_config_selectorILNS1_17partition_subalgoE3EjNS0_10empty_typeEbEEZZNS1_14partition_implILS8_3ELb0ES6_jNS0_17counting_iteratorIjlEEPS9_SE_NS0_5tupleIJPjSE_EEENSF_IJSE_SE_EEES9_SG_JZNS1_25segmented_radix_sort_implINS0_14default_configELb1EPKbPbPKlPlN2at6native12_GLOBAL__N_18offset_tEEE10hipError_tPvRmT1_PNSt15iterator_traitsISY_E10value_typeET2_T3_PNSZ_IS14_E10value_typeET4_jRbjT5_S1A_jjP12ihipStream_tbEUljE_EEESV_SW_SX_S14_S18_S1A_T6_T7_T9_mT8_S1C_bDpT10_ENKUlT_T0_E_clISt17integral_constantIbLb0EES1P_EEDaS1K_S1L_EUlS1K_E_NS1_11comp_targetILNS1_3genE5ELNS1_11target_archE942ELNS1_3gpuE9ELNS1_3repE0EEENS1_30default_config_static_selectorELNS0_4arch9wavefront6targetE1EEEvSY_: ; @_ZN7rocprim17ROCPRIM_400000_NS6detail17trampoline_kernelINS0_13select_configILj256ELj13ELNS0_17block_load_methodE3ELS4_3ELS4_3ELNS0_20block_scan_algorithmE0ELj4294967295EEENS1_25partition_config_selectorILNS1_17partition_subalgoE3EjNS0_10empty_typeEbEEZZNS1_14partition_implILS8_3ELb0ES6_jNS0_17counting_iteratorIjlEEPS9_SE_NS0_5tupleIJPjSE_EEENSF_IJSE_SE_EEES9_SG_JZNS1_25segmented_radix_sort_implINS0_14default_configELb1EPKbPbPKlPlN2at6native12_GLOBAL__N_18offset_tEEE10hipError_tPvRmT1_PNSt15iterator_traitsISY_E10value_typeET2_T3_PNSZ_IS14_E10value_typeET4_jRbjT5_S1A_jjP12ihipStream_tbEUljE_EEESV_SW_SX_S14_S18_S1A_T6_T7_T9_mT8_S1C_bDpT10_ENKUlT_T0_E_clISt17integral_constantIbLb0EES1P_EEDaS1K_S1L_EUlS1K_E_NS1_11comp_targetILNS1_3genE5ELNS1_11target_archE942ELNS1_3gpuE9ELNS1_3repE0EEENS1_30default_config_static_selectorELNS0_4arch9wavefront6targetE1EEEvSY_
; %bb.0:
	.section	.rodata,"a",@progbits
	.p2align	6, 0x0
	.amdhsa_kernel _ZN7rocprim17ROCPRIM_400000_NS6detail17trampoline_kernelINS0_13select_configILj256ELj13ELNS0_17block_load_methodE3ELS4_3ELS4_3ELNS0_20block_scan_algorithmE0ELj4294967295EEENS1_25partition_config_selectorILNS1_17partition_subalgoE3EjNS0_10empty_typeEbEEZZNS1_14partition_implILS8_3ELb0ES6_jNS0_17counting_iteratorIjlEEPS9_SE_NS0_5tupleIJPjSE_EEENSF_IJSE_SE_EEES9_SG_JZNS1_25segmented_radix_sort_implINS0_14default_configELb1EPKbPbPKlPlN2at6native12_GLOBAL__N_18offset_tEEE10hipError_tPvRmT1_PNSt15iterator_traitsISY_E10value_typeET2_T3_PNSZ_IS14_E10value_typeET4_jRbjT5_S1A_jjP12ihipStream_tbEUljE_EEESV_SW_SX_S14_S18_S1A_T6_T7_T9_mT8_S1C_bDpT10_ENKUlT_T0_E_clISt17integral_constantIbLb0EES1P_EEDaS1K_S1L_EUlS1K_E_NS1_11comp_targetILNS1_3genE5ELNS1_11target_archE942ELNS1_3gpuE9ELNS1_3repE0EEENS1_30default_config_static_selectorELNS0_4arch9wavefront6targetE1EEEvSY_
		.amdhsa_group_segment_fixed_size 0
		.amdhsa_private_segment_fixed_size 0
		.amdhsa_kernarg_size 144
		.amdhsa_user_sgpr_count 6
		.amdhsa_user_sgpr_private_segment_buffer 1
		.amdhsa_user_sgpr_dispatch_ptr 0
		.amdhsa_user_sgpr_queue_ptr 0
		.amdhsa_user_sgpr_kernarg_segment_ptr 1
		.amdhsa_user_sgpr_dispatch_id 0
		.amdhsa_user_sgpr_flat_scratch_init 0
		.amdhsa_user_sgpr_kernarg_preload_length 0
		.amdhsa_user_sgpr_kernarg_preload_offset 0
		.amdhsa_user_sgpr_private_segment_size 0
		.amdhsa_uses_dynamic_stack 0
		.amdhsa_system_sgpr_private_segment_wavefront_offset 0
		.amdhsa_system_sgpr_workgroup_id_x 1
		.amdhsa_system_sgpr_workgroup_id_y 0
		.amdhsa_system_sgpr_workgroup_id_z 0
		.amdhsa_system_sgpr_workgroup_info 0
		.amdhsa_system_vgpr_workitem_id 0
		.amdhsa_next_free_vgpr 1
		.amdhsa_next_free_sgpr 0
		.amdhsa_accum_offset 4
		.amdhsa_reserve_vcc 0
		.amdhsa_reserve_flat_scratch 0
		.amdhsa_float_round_mode_32 0
		.amdhsa_float_round_mode_16_64 0
		.amdhsa_float_denorm_mode_32 3
		.amdhsa_float_denorm_mode_16_64 3
		.amdhsa_dx10_clamp 1
		.amdhsa_ieee_mode 1
		.amdhsa_fp16_overflow 0
		.amdhsa_tg_split 0
		.amdhsa_exception_fp_ieee_invalid_op 0
		.amdhsa_exception_fp_denorm_src 0
		.amdhsa_exception_fp_ieee_div_zero 0
		.amdhsa_exception_fp_ieee_overflow 0
		.amdhsa_exception_fp_ieee_underflow 0
		.amdhsa_exception_fp_ieee_inexact 0
		.amdhsa_exception_int_div_zero 0
	.end_amdhsa_kernel
	.section	.text._ZN7rocprim17ROCPRIM_400000_NS6detail17trampoline_kernelINS0_13select_configILj256ELj13ELNS0_17block_load_methodE3ELS4_3ELS4_3ELNS0_20block_scan_algorithmE0ELj4294967295EEENS1_25partition_config_selectorILNS1_17partition_subalgoE3EjNS0_10empty_typeEbEEZZNS1_14partition_implILS8_3ELb0ES6_jNS0_17counting_iteratorIjlEEPS9_SE_NS0_5tupleIJPjSE_EEENSF_IJSE_SE_EEES9_SG_JZNS1_25segmented_radix_sort_implINS0_14default_configELb1EPKbPbPKlPlN2at6native12_GLOBAL__N_18offset_tEEE10hipError_tPvRmT1_PNSt15iterator_traitsISY_E10value_typeET2_T3_PNSZ_IS14_E10value_typeET4_jRbjT5_S1A_jjP12ihipStream_tbEUljE_EEESV_SW_SX_S14_S18_S1A_T6_T7_T9_mT8_S1C_bDpT10_ENKUlT_T0_E_clISt17integral_constantIbLb0EES1P_EEDaS1K_S1L_EUlS1K_E_NS1_11comp_targetILNS1_3genE5ELNS1_11target_archE942ELNS1_3gpuE9ELNS1_3repE0EEENS1_30default_config_static_selectorELNS0_4arch9wavefront6targetE1EEEvSY_,"axG",@progbits,_ZN7rocprim17ROCPRIM_400000_NS6detail17trampoline_kernelINS0_13select_configILj256ELj13ELNS0_17block_load_methodE3ELS4_3ELS4_3ELNS0_20block_scan_algorithmE0ELj4294967295EEENS1_25partition_config_selectorILNS1_17partition_subalgoE3EjNS0_10empty_typeEbEEZZNS1_14partition_implILS8_3ELb0ES6_jNS0_17counting_iteratorIjlEEPS9_SE_NS0_5tupleIJPjSE_EEENSF_IJSE_SE_EEES9_SG_JZNS1_25segmented_radix_sort_implINS0_14default_configELb1EPKbPbPKlPlN2at6native12_GLOBAL__N_18offset_tEEE10hipError_tPvRmT1_PNSt15iterator_traitsISY_E10value_typeET2_T3_PNSZ_IS14_E10value_typeET4_jRbjT5_S1A_jjP12ihipStream_tbEUljE_EEESV_SW_SX_S14_S18_S1A_T6_T7_T9_mT8_S1C_bDpT10_ENKUlT_T0_E_clISt17integral_constantIbLb0EES1P_EEDaS1K_S1L_EUlS1K_E_NS1_11comp_targetILNS1_3genE5ELNS1_11target_archE942ELNS1_3gpuE9ELNS1_3repE0EEENS1_30default_config_static_selectorELNS0_4arch9wavefront6targetE1EEEvSY_,comdat
.Lfunc_end1499:
	.size	_ZN7rocprim17ROCPRIM_400000_NS6detail17trampoline_kernelINS0_13select_configILj256ELj13ELNS0_17block_load_methodE3ELS4_3ELS4_3ELNS0_20block_scan_algorithmE0ELj4294967295EEENS1_25partition_config_selectorILNS1_17partition_subalgoE3EjNS0_10empty_typeEbEEZZNS1_14partition_implILS8_3ELb0ES6_jNS0_17counting_iteratorIjlEEPS9_SE_NS0_5tupleIJPjSE_EEENSF_IJSE_SE_EEES9_SG_JZNS1_25segmented_radix_sort_implINS0_14default_configELb1EPKbPbPKlPlN2at6native12_GLOBAL__N_18offset_tEEE10hipError_tPvRmT1_PNSt15iterator_traitsISY_E10value_typeET2_T3_PNSZ_IS14_E10value_typeET4_jRbjT5_S1A_jjP12ihipStream_tbEUljE_EEESV_SW_SX_S14_S18_S1A_T6_T7_T9_mT8_S1C_bDpT10_ENKUlT_T0_E_clISt17integral_constantIbLb0EES1P_EEDaS1K_S1L_EUlS1K_E_NS1_11comp_targetILNS1_3genE5ELNS1_11target_archE942ELNS1_3gpuE9ELNS1_3repE0EEENS1_30default_config_static_selectorELNS0_4arch9wavefront6targetE1EEEvSY_, .Lfunc_end1499-_ZN7rocprim17ROCPRIM_400000_NS6detail17trampoline_kernelINS0_13select_configILj256ELj13ELNS0_17block_load_methodE3ELS4_3ELS4_3ELNS0_20block_scan_algorithmE0ELj4294967295EEENS1_25partition_config_selectorILNS1_17partition_subalgoE3EjNS0_10empty_typeEbEEZZNS1_14partition_implILS8_3ELb0ES6_jNS0_17counting_iteratorIjlEEPS9_SE_NS0_5tupleIJPjSE_EEENSF_IJSE_SE_EEES9_SG_JZNS1_25segmented_radix_sort_implINS0_14default_configELb1EPKbPbPKlPlN2at6native12_GLOBAL__N_18offset_tEEE10hipError_tPvRmT1_PNSt15iterator_traitsISY_E10value_typeET2_T3_PNSZ_IS14_E10value_typeET4_jRbjT5_S1A_jjP12ihipStream_tbEUljE_EEESV_SW_SX_S14_S18_S1A_T6_T7_T9_mT8_S1C_bDpT10_ENKUlT_T0_E_clISt17integral_constantIbLb0EES1P_EEDaS1K_S1L_EUlS1K_E_NS1_11comp_targetILNS1_3genE5ELNS1_11target_archE942ELNS1_3gpuE9ELNS1_3repE0EEENS1_30default_config_static_selectorELNS0_4arch9wavefront6targetE1EEEvSY_
                                        ; -- End function
	.section	.AMDGPU.csdata,"",@progbits
; Kernel info:
; codeLenInByte = 0
; NumSgprs: 4
; NumVgprs: 0
; NumAgprs: 0
; TotalNumVgprs: 0
; ScratchSize: 0
; MemoryBound: 0
; FloatMode: 240
; IeeeMode: 1
; LDSByteSize: 0 bytes/workgroup (compile time only)
; SGPRBlocks: 0
; VGPRBlocks: 0
; NumSGPRsForWavesPerEU: 4
; NumVGPRsForWavesPerEU: 1
; AccumOffset: 4
; Occupancy: 8
; WaveLimiterHint : 0
; COMPUTE_PGM_RSRC2:SCRATCH_EN: 0
; COMPUTE_PGM_RSRC2:USER_SGPR: 6
; COMPUTE_PGM_RSRC2:TRAP_HANDLER: 0
; COMPUTE_PGM_RSRC2:TGID_X_EN: 1
; COMPUTE_PGM_RSRC2:TGID_Y_EN: 0
; COMPUTE_PGM_RSRC2:TGID_Z_EN: 0
; COMPUTE_PGM_RSRC2:TIDIG_COMP_CNT: 0
; COMPUTE_PGM_RSRC3_GFX90A:ACCUM_OFFSET: 0
; COMPUTE_PGM_RSRC3_GFX90A:TG_SPLIT: 0
	.section	.text._ZN7rocprim17ROCPRIM_400000_NS6detail17trampoline_kernelINS0_13select_configILj256ELj13ELNS0_17block_load_methodE3ELS4_3ELS4_3ELNS0_20block_scan_algorithmE0ELj4294967295EEENS1_25partition_config_selectorILNS1_17partition_subalgoE3EjNS0_10empty_typeEbEEZZNS1_14partition_implILS8_3ELb0ES6_jNS0_17counting_iteratorIjlEEPS9_SE_NS0_5tupleIJPjSE_EEENSF_IJSE_SE_EEES9_SG_JZNS1_25segmented_radix_sort_implINS0_14default_configELb1EPKbPbPKlPlN2at6native12_GLOBAL__N_18offset_tEEE10hipError_tPvRmT1_PNSt15iterator_traitsISY_E10value_typeET2_T3_PNSZ_IS14_E10value_typeET4_jRbjT5_S1A_jjP12ihipStream_tbEUljE_EEESV_SW_SX_S14_S18_S1A_T6_T7_T9_mT8_S1C_bDpT10_ENKUlT_T0_E_clISt17integral_constantIbLb0EES1P_EEDaS1K_S1L_EUlS1K_E_NS1_11comp_targetILNS1_3genE4ELNS1_11target_archE910ELNS1_3gpuE8ELNS1_3repE0EEENS1_30default_config_static_selectorELNS0_4arch9wavefront6targetE1EEEvSY_,"axG",@progbits,_ZN7rocprim17ROCPRIM_400000_NS6detail17trampoline_kernelINS0_13select_configILj256ELj13ELNS0_17block_load_methodE3ELS4_3ELS4_3ELNS0_20block_scan_algorithmE0ELj4294967295EEENS1_25partition_config_selectorILNS1_17partition_subalgoE3EjNS0_10empty_typeEbEEZZNS1_14partition_implILS8_3ELb0ES6_jNS0_17counting_iteratorIjlEEPS9_SE_NS0_5tupleIJPjSE_EEENSF_IJSE_SE_EEES9_SG_JZNS1_25segmented_radix_sort_implINS0_14default_configELb1EPKbPbPKlPlN2at6native12_GLOBAL__N_18offset_tEEE10hipError_tPvRmT1_PNSt15iterator_traitsISY_E10value_typeET2_T3_PNSZ_IS14_E10value_typeET4_jRbjT5_S1A_jjP12ihipStream_tbEUljE_EEESV_SW_SX_S14_S18_S1A_T6_T7_T9_mT8_S1C_bDpT10_ENKUlT_T0_E_clISt17integral_constantIbLb0EES1P_EEDaS1K_S1L_EUlS1K_E_NS1_11comp_targetILNS1_3genE4ELNS1_11target_archE910ELNS1_3gpuE8ELNS1_3repE0EEENS1_30default_config_static_selectorELNS0_4arch9wavefront6targetE1EEEvSY_,comdat
	.globl	_ZN7rocprim17ROCPRIM_400000_NS6detail17trampoline_kernelINS0_13select_configILj256ELj13ELNS0_17block_load_methodE3ELS4_3ELS4_3ELNS0_20block_scan_algorithmE0ELj4294967295EEENS1_25partition_config_selectorILNS1_17partition_subalgoE3EjNS0_10empty_typeEbEEZZNS1_14partition_implILS8_3ELb0ES6_jNS0_17counting_iteratorIjlEEPS9_SE_NS0_5tupleIJPjSE_EEENSF_IJSE_SE_EEES9_SG_JZNS1_25segmented_radix_sort_implINS0_14default_configELb1EPKbPbPKlPlN2at6native12_GLOBAL__N_18offset_tEEE10hipError_tPvRmT1_PNSt15iterator_traitsISY_E10value_typeET2_T3_PNSZ_IS14_E10value_typeET4_jRbjT5_S1A_jjP12ihipStream_tbEUljE_EEESV_SW_SX_S14_S18_S1A_T6_T7_T9_mT8_S1C_bDpT10_ENKUlT_T0_E_clISt17integral_constantIbLb0EES1P_EEDaS1K_S1L_EUlS1K_E_NS1_11comp_targetILNS1_3genE4ELNS1_11target_archE910ELNS1_3gpuE8ELNS1_3repE0EEENS1_30default_config_static_selectorELNS0_4arch9wavefront6targetE1EEEvSY_ ; -- Begin function _ZN7rocprim17ROCPRIM_400000_NS6detail17trampoline_kernelINS0_13select_configILj256ELj13ELNS0_17block_load_methodE3ELS4_3ELS4_3ELNS0_20block_scan_algorithmE0ELj4294967295EEENS1_25partition_config_selectorILNS1_17partition_subalgoE3EjNS0_10empty_typeEbEEZZNS1_14partition_implILS8_3ELb0ES6_jNS0_17counting_iteratorIjlEEPS9_SE_NS0_5tupleIJPjSE_EEENSF_IJSE_SE_EEES9_SG_JZNS1_25segmented_radix_sort_implINS0_14default_configELb1EPKbPbPKlPlN2at6native12_GLOBAL__N_18offset_tEEE10hipError_tPvRmT1_PNSt15iterator_traitsISY_E10value_typeET2_T3_PNSZ_IS14_E10value_typeET4_jRbjT5_S1A_jjP12ihipStream_tbEUljE_EEESV_SW_SX_S14_S18_S1A_T6_T7_T9_mT8_S1C_bDpT10_ENKUlT_T0_E_clISt17integral_constantIbLb0EES1P_EEDaS1K_S1L_EUlS1K_E_NS1_11comp_targetILNS1_3genE4ELNS1_11target_archE910ELNS1_3gpuE8ELNS1_3repE0EEENS1_30default_config_static_selectorELNS0_4arch9wavefront6targetE1EEEvSY_
	.p2align	8
	.type	_ZN7rocprim17ROCPRIM_400000_NS6detail17trampoline_kernelINS0_13select_configILj256ELj13ELNS0_17block_load_methodE3ELS4_3ELS4_3ELNS0_20block_scan_algorithmE0ELj4294967295EEENS1_25partition_config_selectorILNS1_17partition_subalgoE3EjNS0_10empty_typeEbEEZZNS1_14partition_implILS8_3ELb0ES6_jNS0_17counting_iteratorIjlEEPS9_SE_NS0_5tupleIJPjSE_EEENSF_IJSE_SE_EEES9_SG_JZNS1_25segmented_radix_sort_implINS0_14default_configELb1EPKbPbPKlPlN2at6native12_GLOBAL__N_18offset_tEEE10hipError_tPvRmT1_PNSt15iterator_traitsISY_E10value_typeET2_T3_PNSZ_IS14_E10value_typeET4_jRbjT5_S1A_jjP12ihipStream_tbEUljE_EEESV_SW_SX_S14_S18_S1A_T6_T7_T9_mT8_S1C_bDpT10_ENKUlT_T0_E_clISt17integral_constantIbLb0EES1P_EEDaS1K_S1L_EUlS1K_E_NS1_11comp_targetILNS1_3genE4ELNS1_11target_archE910ELNS1_3gpuE8ELNS1_3repE0EEENS1_30default_config_static_selectorELNS0_4arch9wavefront6targetE1EEEvSY_,@function
_ZN7rocprim17ROCPRIM_400000_NS6detail17trampoline_kernelINS0_13select_configILj256ELj13ELNS0_17block_load_methodE3ELS4_3ELS4_3ELNS0_20block_scan_algorithmE0ELj4294967295EEENS1_25partition_config_selectorILNS1_17partition_subalgoE3EjNS0_10empty_typeEbEEZZNS1_14partition_implILS8_3ELb0ES6_jNS0_17counting_iteratorIjlEEPS9_SE_NS0_5tupleIJPjSE_EEENSF_IJSE_SE_EEES9_SG_JZNS1_25segmented_radix_sort_implINS0_14default_configELb1EPKbPbPKlPlN2at6native12_GLOBAL__N_18offset_tEEE10hipError_tPvRmT1_PNSt15iterator_traitsISY_E10value_typeET2_T3_PNSZ_IS14_E10value_typeET4_jRbjT5_S1A_jjP12ihipStream_tbEUljE_EEESV_SW_SX_S14_S18_S1A_T6_T7_T9_mT8_S1C_bDpT10_ENKUlT_T0_E_clISt17integral_constantIbLb0EES1P_EEDaS1K_S1L_EUlS1K_E_NS1_11comp_targetILNS1_3genE4ELNS1_11target_archE910ELNS1_3gpuE8ELNS1_3repE0EEENS1_30default_config_static_selectorELNS0_4arch9wavefront6targetE1EEEvSY_: ; @_ZN7rocprim17ROCPRIM_400000_NS6detail17trampoline_kernelINS0_13select_configILj256ELj13ELNS0_17block_load_methodE3ELS4_3ELS4_3ELNS0_20block_scan_algorithmE0ELj4294967295EEENS1_25partition_config_selectorILNS1_17partition_subalgoE3EjNS0_10empty_typeEbEEZZNS1_14partition_implILS8_3ELb0ES6_jNS0_17counting_iteratorIjlEEPS9_SE_NS0_5tupleIJPjSE_EEENSF_IJSE_SE_EEES9_SG_JZNS1_25segmented_radix_sort_implINS0_14default_configELb1EPKbPbPKlPlN2at6native12_GLOBAL__N_18offset_tEEE10hipError_tPvRmT1_PNSt15iterator_traitsISY_E10value_typeET2_T3_PNSZ_IS14_E10value_typeET4_jRbjT5_S1A_jjP12ihipStream_tbEUljE_EEESV_SW_SX_S14_S18_S1A_T6_T7_T9_mT8_S1C_bDpT10_ENKUlT_T0_E_clISt17integral_constantIbLb0EES1P_EEDaS1K_S1L_EUlS1K_E_NS1_11comp_targetILNS1_3genE4ELNS1_11target_archE910ELNS1_3gpuE8ELNS1_3repE0EEENS1_30default_config_static_selectorELNS0_4arch9wavefront6targetE1EEEvSY_
; %bb.0:
	s_load_dwordx2 s[26:27], s[4:5], 0x58
	s_load_dwordx4 s[20:23], s[4:5], 0x48
	s_load_dword s13, s[4:5], 0x8
	s_load_dwordx2 s[28:29], s[4:5], 0x10
	s_load_dword s12, s[4:5], 0x70
	s_load_dword s7, s[4:5], 0x88
	s_load_dwordx4 s[8:11], s[4:5], 0x78
	s_waitcnt lgkmcnt(0)
	s_load_dwordx2 s[30:31], s[22:23], 0x0
	v_pk_mov_b32 v[2:3], s[26:27], s[26:27] op_sel:[0,1]
	s_add_i32 s2, s12, -1
	s_mulk_i32 s12, 0xd00
	s_add_u32 s0, s28, s12
	s_addc_u32 s1, s29, 0
	s_cmp_eq_u32 s6, s2
	s_cselect_b64 s[22:23], -1, 0
	s_cmp_lg_u32 s6, s2
	s_mul_i32 s42, s6, 0xd00
	v_cmp_lt_u64_e32 vcc, s[0:1], v[2:3]
	s_cselect_b64 s[0:1], -1, 0
	s_or_b64 s[2:3], s[0:1], vcc
	s_add_i32 s0, s13, s42
	s_add_i32 s0, s0, s28
	v_add_u32_e32 v2, s0, v0
	s_mov_b64 s[0:1], -1
	s_and_b64 vcc, exec, s[2:3]
	v_lshlrev_b32_e32 v1, 2, v0
	s_cbranch_vccz .LBB1500_2
; %bb.1:
	v_add_u32_e32 v3, 0x100, v2
	v_add_u32_e32 v4, 0x200, v2
	;; [unrolled: 1-line block ×12, first 2 shown]
	ds_write2st64_b32 v1, v2, v3 offset1:4
	ds_write2st64_b32 v1, v4, v5 offset0:8 offset1:12
	ds_write2st64_b32 v1, v6, v7 offset0:16 offset1:20
	;; [unrolled: 1-line block ×5, first 2 shown]
	ds_write_b32 v1, v14 offset:12288
	s_waitcnt lgkmcnt(0)
	s_barrier
	s_mov_b64 s[0:1], 0
.LBB1500_2:
	s_andn2_b64 vcc, exec, s[0:1]
	s_add_i32 s12, s12, s28
	s_cbranch_vccnz .LBB1500_4
; %bb.3:
	v_add_u32_e32 v3, 0x100, v2
	v_add_u32_e32 v4, 0x200, v2
	;; [unrolled: 1-line block ×12, first 2 shown]
	ds_write2st64_b32 v1, v2, v3 offset1:4
	ds_write2st64_b32 v1, v4, v5 offset0:8 offset1:12
	ds_write2st64_b32 v1, v6, v7 offset0:16 offset1:20
	;; [unrolled: 1-line block ×5, first 2 shown]
	ds_write_b32 v1, v14 offset:12288
	s_waitcnt lgkmcnt(0)
	s_barrier
.LBB1500_4:
	v_mul_u32_u24_e32 v33, 13, v0
	v_lshlrev_b32_e32 v2, 2, v33
	s_waitcnt lgkmcnt(0)
	ds_read2_b32 v[30:31], v2 offset1:1
	ds_read2_b32 v[28:29], v2 offset0:2 offset1:3
	ds_read2_b32 v[26:27], v2 offset0:4 offset1:5
	;; [unrolled: 1-line block ×5, first 2 shown]
	ds_read_b32 v32, v2 offset:48
	v_cndmask_b32_e64 v2, 0, 1, s[2:3]
	s_sub_i32 s33, s26, s12
	v_cmp_ne_u32_e64 s[0:1], 1, v2
	s_andn2_b64 vcc, exec, s[2:3]
	s_waitcnt lgkmcnt(0)
	s_barrier
	s_cbranch_vccnz .LBB1500_6
; %bb.5:
	v_add_u32_e32 v2, s9, v30
	v_add_u32_e32 v3, s11, v30
	v_mul_lo_u32 v2, v2, s8
	v_mul_lo_u32 v3, v3, s10
	v_sub_u32_e32 v2, v2, v3
	v_add_u32_e32 v3, s9, v31
	v_add_u32_e32 v4, s11, v31
	v_mul_lo_u32 v3, v3, s8
	v_mul_lo_u32 v4, v4, s10
	v_sub_u32_e32 v3, v3, v4
	;; [unrolled: 5-line block ×6, first 2 shown]
	v_add_u32_e32 v8, s9, v24
	v_add_u32_e32 v9, s11, v24
	v_mul_lo_u32 v8, v8, s8
	v_mul_lo_u32 v9, v9, s10
	v_cmp_lt_u32_e32 vcc, s7, v2
	v_sub_u32_e32 v8, v8, v9
	v_add_u32_e32 v9, s9, v25
	v_add_u32_e32 v10, s11, v25
	v_cndmask_b32_e64 v2, 0, 1, vcc
	v_cmp_lt_u32_e32 vcc, s7, v3
	v_mul_lo_u32 v9, v9, s8
	v_mul_lo_u32 v10, v10, s10
	v_cndmask_b32_e64 v3, 0, 1, vcc
	v_cmp_lt_u32_e32 vcc, s7, v4
	v_sub_u32_e32 v9, v9, v10
	v_add_u32_e32 v10, s9, v22
	v_add_u32_e32 v11, s11, v22
	v_cndmask_b32_e64 v4, 0, 1, vcc
	v_cmp_lt_u32_e32 vcc, s7, v5
	v_mul_lo_u32 v10, v10, s8
	v_mul_lo_u32 v11, v11, s10
	v_cndmask_b32_e64 v5, 0, 1, vcc
	;; [unrolled: 9-line block ×4, first 2 shown]
	v_cmp_lt_u32_e32 vcc, s7, v10
	v_sub_u32_e32 v12, v12, v13
	v_add_u32_e32 v13, s9, v21
	v_add_u32_e32 v14, s11, v21
	v_lshlrev_b16_e32 v3, 8, v3
	v_cndmask_b32_e64 v10, 0, 1, vcc
	v_cmp_lt_u32_e32 vcc, s7, v11
	v_mul_lo_u32 v13, v13, s8
	v_mul_lo_u32 v14, v14, s10
	v_or_b32_e32 v2, v2, v3
	v_lshlrev_b16_e32 v3, 8, v5
	v_cndmask_b32_e64 v11, 0, 1, vcc
	v_cmp_lt_u32_e32 vcc, s7, v12
	v_sub_u32_e32 v13, v13, v14
	v_or_b32_sdwa v3, v4, v3 dst_sel:WORD_1 dst_unused:UNUSED_PAD src0_sel:DWORD src1_sel:DWORD
	v_cndmask_b32_e64 v12, 0, 1, vcc
	v_cmp_lt_u32_e32 vcc, s7, v13
	v_add_u32_e32 v14, s9, v32
	v_add_u32_e32 v15, s11, v32
	v_or_b32_sdwa v37, v2, v3 dst_sel:DWORD dst_unused:UNUSED_PAD src0_sel:WORD_0 src1_sel:DWORD
	v_lshlrev_b16_e32 v2, 8, v7
	v_lshlrev_b16_e32 v3, 8, v9
	v_cndmask_b32_e64 v13, 0, 1, vcc
	v_mul_lo_u32 v14, v14, s8
	v_mul_lo_u32 v15, v15, s10
	v_or_b32_e32 v2, v6, v2
	v_or_b32_sdwa v3, v8, v3 dst_sel:WORD_1 dst_unused:UNUSED_PAD src0_sel:DWORD src1_sel:DWORD
	v_sub_u32_e32 v14, v14, v15
	v_or_b32_sdwa v36, v2, v3 dst_sel:DWORD dst_unused:UNUSED_PAD src0_sel:WORD_0 src1_sel:DWORD
	v_lshlrev_b16_e32 v2, 8, v11
	v_lshlrev_b16_e32 v3, 8, v13
	v_cmp_lt_u32_e32 vcc, s7, v14
	v_or_b32_e32 v2, v10, v2
	v_or_b32_sdwa v3, v12, v3 dst_sel:WORD_1 dst_unused:UNUSED_PAD src0_sel:DWORD src1_sel:DWORD
	v_cndmask_b32_e64 v34, 0, 1, vcc
	v_or_b32_sdwa v35, v2, v3 dst_sel:DWORD dst_unused:UNUSED_PAD src0_sel:WORD_0 src1_sel:DWORD
	s_mov_b64 s[2:3], 0
	s_branch .LBB1500_7
.LBB1500_6:
	s_mov_b64 s[2:3], -1
                                        ; implicit-def: $vgpr34
                                        ; implicit-def: $vgpr35
                                        ; implicit-def: $vgpr36
                                        ; implicit-def: $vgpr37
.LBB1500_7:
	s_load_dwordx2 s[24:25], s[4:5], 0x28
	s_load_dwordx2 s[34:35], s[4:5], 0x68
	s_andn2_b64 vcc, exec, s[2:3]
	s_addk_i32 s33, 0xd00
	s_cbranch_vccnz .LBB1500_35
; %bb.8:
	v_cmp_gt_u32_e32 vcc, s33, v33
	v_mov_b32_e32 v3, 0
	v_mov_b32_e32 v2, 0
	s_and_saveexec_b64 s[2:3], vcc
; %bb.9:
	v_add_u32_e32 v2, s9, v30
	v_add_u32_e32 v4, s11, v30
	v_mul_lo_u32 v2, v2, s8
	v_mul_lo_u32 v4, v4, s10
	v_sub_u32_e32 v2, v2, v4
	v_cmp_lt_u32_e32 vcc, s7, v2
	v_cndmask_b32_e64 v2, 0, 1, vcc
; %bb.10:
	s_or_b64 exec, exec, s[2:3]
	v_add_u32_e32 v4, 1, v33
	v_cmp_gt_u32_e32 vcc, s33, v4
	s_and_saveexec_b64 s[2:3], vcc
; %bb.11:
	v_add_u32_e32 v3, s9, v31
	v_add_u32_e32 v4, s11, v31
	v_mul_lo_u32 v3, v3, s8
	v_mul_lo_u32 v4, v4, s10
	v_sub_u32_e32 v3, v3, v4
	v_cmp_lt_u32_e32 vcc, s7, v3
	v_cndmask_b32_e64 v3, 0, 1, vcc
; %bb.12:
	s_or_b64 exec, exec, s[2:3]
	v_add_u32_e32 v4, 2, v33
	v_cmp_gt_u32_e32 vcc, s33, v4
	v_mov_b32_e32 v5, 0
	v_mov_b32_e32 v4, 0
	s_and_saveexec_b64 s[2:3], vcc
; %bb.13:
	v_add_u32_e32 v4, s9, v28
	v_add_u32_e32 v6, s11, v28
	v_mul_lo_u32 v4, v4, s8
	v_mul_lo_u32 v6, v6, s10
	v_sub_u32_e32 v4, v4, v6
	v_cmp_lt_u32_e32 vcc, s7, v4
	v_cndmask_b32_e64 v4, 0, 1, vcc
; %bb.14:
	s_or_b64 exec, exec, s[2:3]
	v_add_u32_e32 v6, 3, v33
	v_cmp_gt_u32_e32 vcc, s33, v6
	s_and_saveexec_b64 s[2:3], vcc
; %bb.15:
	v_add_u32_e32 v5, s9, v29
	v_add_u32_e32 v6, s11, v29
	v_mul_lo_u32 v5, v5, s8
	v_mul_lo_u32 v6, v6, s10
	v_sub_u32_e32 v5, v5, v6
	v_cmp_lt_u32_e32 vcc, s7, v5
	v_cndmask_b32_e64 v5, 0, 1, vcc
; %bb.16:
	s_or_b64 exec, exec, s[2:3]
	v_add_u32_e32 v6, 4, v33
	;; [unrolled: 28-line block ×6, first 2 shown]
	v_cmp_gt_u32_e32 vcc, s33, v14
	v_mov_b32_e32 v34, 0
	s_and_saveexec_b64 s[2:3], vcc
; %bb.33:
	v_add_u32_e32 v14, s9, v32
	v_add_u32_e32 v15, s11, v32
	v_mul_lo_u32 v14, v14, s8
	v_mul_lo_u32 v15, v15, s10
	v_sub_u32_e32 v14, v14, v15
	v_cmp_lt_u32_e32 vcc, s7, v14
	v_cndmask_b32_e64 v34, 0, 1, vcc
; %bb.34:
	s_or_b64 exec, exec, s[2:3]
	v_lshlrev_b16_e32 v3, 8, v3
	v_or_b32_e32 v2, v2, v3
	v_lshlrev_b16_e32 v3, 8, v5
	v_or_b32_sdwa v3, v4, v3 dst_sel:WORD_1 dst_unused:UNUSED_PAD src0_sel:DWORD src1_sel:DWORD
	v_or_b32_sdwa v37, v2, v3 dst_sel:DWORD dst_unused:UNUSED_PAD src0_sel:WORD_0 src1_sel:DWORD
	v_lshlrev_b16_e32 v2, 8, v7
	v_lshlrev_b16_e32 v3, 8, v9
	v_or_b32_e32 v2, v6, v2
	v_or_b32_sdwa v3, v8, v3 dst_sel:WORD_1 dst_unused:UNUSED_PAD src0_sel:DWORD src1_sel:DWORD
	v_or_b32_sdwa v36, v2, v3 dst_sel:DWORD dst_unused:UNUSED_PAD src0_sel:WORD_0 src1_sel:DWORD
	v_lshlrev_b16_e32 v2, 8, v11
	v_lshlrev_b16_e32 v3, 8, v13
	v_or_b32_e32 v2, v10, v2
	v_or_b32_sdwa v3, v12, v3 dst_sel:WORD_1 dst_unused:UNUSED_PAD src0_sel:DWORD src1_sel:DWORD
	v_or_b32_sdwa v35, v2, v3 dst_sel:DWORD dst_unused:UNUSED_PAD src0_sel:WORD_0 src1_sel:DWORD
.LBB1500_35:
	v_and_b32_e32 v41, 0xff, v37
	v_bfe_u32 v42, v37, 8, 8
	v_bfe_u32 v43, v37, 16, 8
	v_lshrrev_b32_e32 v40, 24, v37
	v_and_b32_e32 v44, 0xff, v36
	v_add3_u32 v3, v42, v41, v43
	v_bfe_u32 v45, v36, 8, 8
	v_bfe_u32 v46, v36, 16, 8
	v_add3_u32 v3, v3, v40, v44
	v_lshrrev_b32_e32 v39, 24, v36
	v_and_b32_e32 v47, 0xff, v35
	v_add3_u32 v3, v3, v45, v46
	v_bfe_u32 v48, v35, 8, 8
	v_bfe_u32 v49, v35, 16, 8
	v_add3_u32 v3, v3, v39, v47
	v_lshrrev_b32_e32 v38, 24, v35
	v_and_b32_e32 v2, 0xff, v34
	v_add3_u32 v3, v3, v48, v49
	v_add3_u32 v52, v3, v38, v2
	v_mbcnt_lo_u32_b32 v2, -1, 0
	v_mbcnt_hi_u32_b32 v50, -1, v2
	v_and_b32_e32 v2, 15, v50
	v_cmp_eq_u32_e64 s[14:15], 0, v2
	v_cmp_lt_u32_e64 s[12:13], 1, v2
	v_cmp_lt_u32_e64 s[10:11], 3, v2
	v_cmp_lt_u32_e64 s[8:9], 7, v2
	v_and_b32_e32 v2, 16, v50
	v_cmp_eq_u32_e64 s[18:19], 0, v2
	v_or_b32_e32 v2, 63, v0
	s_cmp_lg_u32 s6, 0
	v_cmp_lt_u32_e64 s[2:3], 31, v50
	v_lshrrev_b32_e32 v51, 6, v0
	v_cmp_eq_u32_e64 s[4:5], v2, v0
	s_cbranch_scc0 .LBB1500_62
; %bb.36:
	v_mov_b32_dpp v2, v52 row_shr:1 row_mask:0xf bank_mask:0xf
	v_cndmask_b32_e64 v2, v2, 0, s[14:15]
	v_add_u32_e32 v2, v2, v52
	s_nop 1
	v_mov_b32_dpp v3, v2 row_shr:2 row_mask:0xf bank_mask:0xf
	v_cndmask_b32_e64 v3, 0, v3, s[12:13]
	v_add_u32_e32 v2, v2, v3
	s_nop 1
	v_mov_b32_dpp v3, v2 row_shr:4 row_mask:0xf bank_mask:0xf
	v_cndmask_b32_e64 v3, 0, v3, s[10:11]
	v_add_u32_e32 v2, v2, v3
	s_nop 1
	v_mov_b32_dpp v3, v2 row_shr:8 row_mask:0xf bank_mask:0xf
	v_cndmask_b32_e64 v3, 0, v3, s[8:9]
	v_add_u32_e32 v2, v2, v3
	s_nop 1
	v_mov_b32_dpp v3, v2 row_bcast:15 row_mask:0xf bank_mask:0xf
	v_cndmask_b32_e64 v3, v3, 0, s[18:19]
	v_add_u32_e32 v2, v2, v3
	s_nop 1
	v_mov_b32_dpp v3, v2 row_bcast:31 row_mask:0xf bank_mask:0xf
	v_cndmask_b32_e64 v3, 0, v3, s[2:3]
	v_add_u32_e32 v2, v2, v3
	s_and_saveexec_b64 s[16:17], s[4:5]
	s_cbranch_execz .LBB1500_38
; %bb.37:
	v_lshlrev_b32_e32 v3, 2, v51
	ds_write_b32 v3, v2
.LBB1500_38:
	s_or_b64 exec, exec, s[16:17]
	v_cmp_gt_u32_e32 vcc, 4, v0
	s_waitcnt lgkmcnt(0)
	s_barrier
	s_and_saveexec_b64 s[16:17], vcc
	s_cbranch_execz .LBB1500_40
; %bb.39:
	ds_read_b32 v3, v1
	v_and_b32_e32 v4, 3, v50
	v_cmp_ne_u32_e32 vcc, 0, v4
	s_waitcnt lgkmcnt(0)
	v_mov_b32_dpp v5, v3 row_shr:1 row_mask:0xf bank_mask:0xf
	v_cndmask_b32_e32 v5, 0, v5, vcc
	v_add_u32_e32 v3, v5, v3
	v_cmp_lt_u32_e32 vcc, 1, v4
	s_nop 0
	v_mov_b32_dpp v5, v3 row_shr:2 row_mask:0xf bank_mask:0xf
	v_cndmask_b32_e32 v4, 0, v5, vcc
	v_add_u32_e32 v3, v3, v4
	ds_write_b32 v1, v3
.LBB1500_40:
	s_or_b64 exec, exec, s[16:17]
	v_cmp_gt_u32_e32 vcc, 64, v0
	v_cmp_lt_u32_e64 s[16:17], 63, v0
	s_waitcnt lgkmcnt(0)
	s_barrier
	s_waitcnt lgkmcnt(0)
                                        ; implicit-def: $vgpr12
	s_and_saveexec_b64 s[36:37], s[16:17]
	s_cbranch_execz .LBB1500_42
; %bb.41:
	v_lshl_add_u32 v3, v51, 2, -4
	ds_read_b32 v12, v3
	s_waitcnt lgkmcnt(0)
	v_add_u32_e32 v2, v12, v2
.LBB1500_42:
	s_or_b64 exec, exec, s[36:37]
	v_add_u32_e32 v3, -1, v50
	v_and_b32_e32 v4, 64, v50
	v_cmp_lt_i32_e64 s[16:17], v3, v4
	v_cndmask_b32_e64 v3, v3, v50, s[16:17]
	v_lshlrev_b32_e32 v3, 2, v3
	ds_bpermute_b32 v13, v3, v2
	v_cmp_eq_u32_e64 s[16:17], 0, v50
	s_and_saveexec_b64 s[36:37], vcc
	s_cbranch_execz .LBB1500_61
; %bb.43:
	v_mov_b32_e32 v9, 0
	ds_read_b32 v2, v9 offset:12
	s_and_saveexec_b64 s[38:39], s[16:17]
	s_cbranch_execz .LBB1500_45
; %bb.44:
	s_add_i32 s40, s6, 64
	s_mov_b32 s41, 0
	s_lshl_b64 s[40:41], s[40:41], 3
	s_add_u32 s40, s34, s40
	v_mov_b32_e32 v3, 1
	s_addc_u32 s41, s35, s41
	s_waitcnt lgkmcnt(0)
	global_store_dwordx2 v9, v[2:3], s[40:41]
.LBB1500_45:
	s_or_b64 exec, exec, s[38:39]
	v_xad_u32 v4, v50, -1, s6
	v_add_u32_e32 v8, 64, v4
	v_lshlrev_b64 v[6:7], 3, v[8:9]
	v_mov_b32_e32 v3, s35
	v_add_co_u32_e32 v10, vcc, s34, v6
	v_addc_co_u32_e32 v11, vcc, v3, v7, vcc
	global_load_dwordx2 v[6:7], v[10:11], off glc
	s_waitcnt vmcnt(0)
	v_cmp_eq_u16_sdwa s[40:41], v7, v9 src0_sel:BYTE_0 src1_sel:DWORD
	s_and_saveexec_b64 s[38:39], s[40:41]
	s_cbranch_execz .LBB1500_49
; %bb.46:
	s_mov_b64 s[40:41], 0
	v_mov_b32_e32 v3, 0
.LBB1500_47:                            ; =>This Inner Loop Header: Depth=1
	global_load_dwordx2 v[6:7], v[10:11], off glc
	s_waitcnt vmcnt(0)
	v_cmp_ne_u16_sdwa s[44:45], v7, v3 src0_sel:BYTE_0 src1_sel:DWORD
	s_or_b64 s[40:41], s[44:45], s[40:41]
	s_andn2_b64 exec, exec, s[40:41]
	s_cbranch_execnz .LBB1500_47
; %bb.48:
	s_or_b64 exec, exec, s[40:41]
.LBB1500_49:
	s_or_b64 exec, exec, s[38:39]
	v_and_b32_e32 v14, 63, v50
	v_mov_b32_e32 v3, 2
	v_cmp_ne_u32_e32 vcc, 63, v14
	v_cmp_eq_u16_sdwa s[38:39], v7, v3 src0_sel:BYTE_0 src1_sel:DWORD
	v_lshlrev_b64 v[8:9], v50, -1
	v_addc_co_u32_e32 v11, vcc, 0, v50, vcc
	v_and_b32_e32 v5, s39, v9
	v_lshlrev_b32_e32 v15, 2, v11
	v_or_b32_e32 v5, 0x80000000, v5
	ds_bpermute_b32 v11, v15, v6
	v_and_b32_e32 v10, s38, v8
	v_ffbl_b32_e32 v5, v5
	v_add_u32_e32 v5, 32, v5
	v_ffbl_b32_e32 v10, v10
	v_min_u32_e32 v5, v10, v5
	v_cmp_lt_u32_e32 vcc, v14, v5
	s_waitcnt lgkmcnt(0)
	v_cndmask_b32_e32 v10, 0, v11, vcc
	v_cmp_gt_u32_e32 vcc, 62, v14
	v_add_u32_e32 v6, v10, v6
	v_cndmask_b32_e64 v10, 0, 1, vcc
	v_lshlrev_b32_e32 v10, 1, v10
	v_add_lshl_u32 v16, v10, v50, 2
	ds_bpermute_b32 v10, v16, v6
	v_add_u32_e32 v17, 2, v14
	v_cmp_le_u32_e32 vcc, v17, v5
	v_add_u32_e32 v19, 4, v14
	v_add_u32_e32 v54, 8, v14
	s_waitcnt lgkmcnt(0)
	v_cndmask_b32_e32 v10, 0, v10, vcc
	v_cmp_gt_u32_e32 vcc, 60, v14
	v_add_u32_e32 v6, v6, v10
	v_cndmask_b32_e64 v10, 0, 1, vcc
	v_lshlrev_b32_e32 v10, 2, v10
	v_add_lshl_u32 v18, v10, v50, 2
	ds_bpermute_b32 v10, v18, v6
	v_cmp_le_u32_e32 vcc, v19, v5
	v_add_u32_e32 v57, 16, v14
	v_add_u32_e32 v59, 32, v14
	s_waitcnt lgkmcnt(0)
	v_cndmask_b32_e32 v10, 0, v10, vcc
	v_cmp_gt_u32_e32 vcc, 56, v14
	v_add_u32_e32 v6, v6, v10
	v_cndmask_b32_e64 v10, 0, 1, vcc
	v_lshlrev_b32_e32 v10, 3, v10
	v_add_lshl_u32 v53, v10, v50, 2
	ds_bpermute_b32 v10, v53, v6
	v_cmp_le_u32_e32 vcc, v54, v5
	s_waitcnt lgkmcnt(0)
	v_cndmask_b32_e32 v10, 0, v10, vcc
	v_cmp_gt_u32_e32 vcc, 48, v14
	v_add_u32_e32 v6, v6, v10
	v_cndmask_b32_e64 v10, 0, 1, vcc
	v_lshlrev_b32_e32 v10, 4, v10
	v_add_lshl_u32 v56, v10, v50, 2
	ds_bpermute_b32 v10, v56, v6
	v_cmp_le_u32_e32 vcc, v57, v5
	;; [unrolled: 9-line block ×3, first 2 shown]
	s_waitcnt lgkmcnt(0)
	v_cndmask_b32_e32 v5, 0, v10, vcc
	v_add_u32_e32 v6, v6, v5
	v_mov_b32_e32 v5, 0
	s_branch .LBB1500_51
.LBB1500_50:                            ;   in Loop: Header=BB1500_51 Depth=1
	s_or_b64 exec, exec, s[38:39]
	v_cmp_eq_u16_sdwa s[38:39], v7, v3 src0_sel:BYTE_0 src1_sel:DWORD
	v_and_b32_e32 v10, s39, v9
	v_or_b32_e32 v10, 0x80000000, v10
	ds_bpermute_b32 v60, v15, v6
	v_and_b32_e32 v11, s38, v8
	v_ffbl_b32_e32 v10, v10
	v_add_u32_e32 v10, 32, v10
	v_ffbl_b32_e32 v11, v11
	v_min_u32_e32 v10, v11, v10
	v_cmp_lt_u32_e32 vcc, v14, v10
	s_waitcnt lgkmcnt(0)
	v_cndmask_b32_e32 v11, 0, v60, vcc
	v_add_u32_e32 v6, v11, v6
	ds_bpermute_b32 v11, v16, v6
	v_cmp_le_u32_e32 vcc, v17, v10
	v_subrev_u32_e32 v4, 64, v4
	s_waitcnt lgkmcnt(0)
	v_cndmask_b32_e32 v11, 0, v11, vcc
	v_add_u32_e32 v6, v6, v11
	ds_bpermute_b32 v11, v18, v6
	v_cmp_le_u32_e32 vcc, v19, v10
	s_waitcnt lgkmcnt(0)
	v_cndmask_b32_e32 v11, 0, v11, vcc
	v_add_u32_e32 v6, v6, v11
	ds_bpermute_b32 v11, v53, v6
	v_cmp_le_u32_e32 vcc, v54, v10
	;; [unrolled: 5-line block ×4, first 2 shown]
	s_waitcnt lgkmcnt(0)
	v_cndmask_b32_e32 v10, 0, v11, vcc
	v_add3_u32 v6, v10, v55, v6
.LBB1500_51:                            ; =>This Loop Header: Depth=1
                                        ;     Child Loop BB1500_54 Depth 2
	v_cmp_ne_u16_sdwa s[38:39], v7, v3 src0_sel:BYTE_0 src1_sel:DWORD
	v_cndmask_b32_e64 v7, 0, 1, s[38:39]
	;;#ASMSTART
	;;#ASMEND
	v_cmp_ne_u32_e32 vcc, 0, v7
	s_cmp_lg_u64 vcc, exec
	v_mov_b32_e32 v55, v6
	s_cbranch_scc1 .LBB1500_56
; %bb.52:                               ;   in Loop: Header=BB1500_51 Depth=1
	v_lshlrev_b64 v[6:7], 3, v[4:5]
	v_mov_b32_e32 v11, s35
	v_add_co_u32_e32 v10, vcc, s34, v6
	v_addc_co_u32_e32 v11, vcc, v11, v7, vcc
	global_load_dwordx2 v[6:7], v[10:11], off glc
	s_waitcnt vmcnt(0)
	v_cmp_eq_u16_sdwa s[40:41], v7, v5 src0_sel:BYTE_0 src1_sel:DWORD
	s_and_saveexec_b64 s[38:39], s[40:41]
	s_cbranch_execz .LBB1500_50
; %bb.53:                               ;   in Loop: Header=BB1500_51 Depth=1
	s_mov_b64 s[40:41], 0
.LBB1500_54:                            ;   Parent Loop BB1500_51 Depth=1
                                        ; =>  This Inner Loop Header: Depth=2
	global_load_dwordx2 v[6:7], v[10:11], off glc
	s_waitcnt vmcnt(0)
	v_cmp_ne_u16_sdwa s[44:45], v7, v5 src0_sel:BYTE_0 src1_sel:DWORD
	s_or_b64 s[40:41], s[44:45], s[40:41]
	s_andn2_b64 exec, exec, s[40:41]
	s_cbranch_execnz .LBB1500_54
; %bb.55:                               ;   in Loop: Header=BB1500_51 Depth=1
	s_or_b64 exec, exec, s[40:41]
	s_branch .LBB1500_50
.LBB1500_56:                            ;   in Loop: Header=BB1500_51 Depth=1
                                        ; implicit-def: $vgpr6
                                        ; implicit-def: $vgpr7
	s_cbranch_execz .LBB1500_51
; %bb.57:
	s_and_saveexec_b64 s[38:39], s[16:17]
	s_cbranch_execz .LBB1500_59
; %bb.58:
	s_add_i32 s6, s6, 64
	s_mov_b32 s7, 0
	s_lshl_b64 s[6:7], s[6:7], 3
	s_add_u32 s6, s34, s6
	v_add_u32_e32 v4, v55, v2
	v_mov_b32_e32 v5, 2
	s_addc_u32 s7, s35, s7
	v_mov_b32_e32 v3, 0
	global_store_dwordx2 v3, v[4:5], s[6:7]
	s_movk_i32 s6, 0x3400
	v_add_u32_e64 v3, s6, 0
	ds_write2_b32 v3, v2, v55 offset1:2
.LBB1500_59:
	s_or_b64 exec, exec, s[38:39]
	v_cmp_eq_u32_e32 vcc, 0, v0
	s_and_b64 exec, exec, vcc
	s_cbranch_execz .LBB1500_61
; %bb.60:
	v_mov_b32_e32 v2, 0
	ds_write_b32 v2, v55 offset:12
.LBB1500_61:
	s_or_b64 exec, exec, s[36:37]
	v_mov_b32_e32 v2, 0
	s_waitcnt lgkmcnt(0)
	s_barrier
	ds_read_b32 v2, v2 offset:12
	v_cndmask_b32_e64 v3, v13, v12, s[16:17]
	v_cmp_ne_u32_e32 vcc, 0, v0
	v_cndmask_b32_e32 v3, 0, v3, vcc
	s_movk_i32 s6, 0x3400
	s_waitcnt lgkmcnt(0)
	v_add_u32_e32 v2, v2, v3
	v_add_u32_e32 v3, v2, v41
	;; [unrolled: 1-line block ×8, first 2 shown]
	v_add_u32_e64 v12, s6, 0
	v_add_u32_e32 v10, v9, v39
	s_barrier
	ds_read2_b32 v[18:19], v12 offset1:2
	v_add_u32_e32 v11, v10, v47
	v_add_u32_e32 v12, v11, v48
	;; [unrolled: 1-line block ×4, first 2 shown]
	s_branch .LBB1500_72
.LBB1500_62:
                                        ; implicit-def: $vgpr19
                                        ; implicit-def: $vgpr2_vgpr3_vgpr4_vgpr5_vgpr6_vgpr7_vgpr8_vgpr9_vgpr10_vgpr11_vgpr12_vgpr13_vgpr14_vgpr15_vgpr16_vgpr17
	s_cbranch_execz .LBB1500_72
; %bb.63:
	s_nop 0
	v_mov_b32_dpp v2, v52 row_shr:1 row_mask:0xf bank_mask:0xf
	v_cndmask_b32_e64 v2, v2, 0, s[14:15]
	v_add_u32_e32 v2, v2, v52
	s_nop 1
	v_mov_b32_dpp v3, v2 row_shr:2 row_mask:0xf bank_mask:0xf
	v_cndmask_b32_e64 v3, 0, v3, s[12:13]
	v_add_u32_e32 v2, v2, v3
	;; [unrolled: 4-line block ×4, first 2 shown]
	s_nop 1
	v_mov_b32_dpp v3, v2 row_bcast:15 row_mask:0xf bank_mask:0xf
	v_cndmask_b32_e64 v3, v3, 0, s[18:19]
	v_add_u32_e32 v2, v2, v3
	s_nop 1
	v_mov_b32_dpp v3, v2 row_bcast:31 row_mask:0xf bank_mask:0xf
	v_cndmask_b32_e64 v3, 0, v3, s[2:3]
	v_add_u32_e32 v2, v2, v3
	s_and_saveexec_b64 s[2:3], s[4:5]
	s_cbranch_execz .LBB1500_65
; %bb.64:
	v_lshlrev_b32_e32 v3, 2, v51
	ds_write_b32 v3, v2
.LBB1500_65:
	s_or_b64 exec, exec, s[2:3]
	v_cmp_gt_u32_e32 vcc, 4, v0
	s_waitcnt lgkmcnt(0)
	s_barrier
	s_and_saveexec_b64 s[2:3], vcc
	s_cbranch_execz .LBB1500_67
; %bb.66:
	ds_read_b32 v3, v1
	v_and_b32_e32 v4, 3, v50
	v_cmp_ne_u32_e32 vcc, 0, v4
	s_waitcnt lgkmcnt(0)
	v_mov_b32_dpp v5, v3 row_shr:1 row_mask:0xf bank_mask:0xf
	v_cndmask_b32_e32 v5, 0, v5, vcc
	v_add_u32_e32 v3, v5, v3
	v_cmp_lt_u32_e32 vcc, 1, v4
	s_nop 0
	v_mov_b32_dpp v5, v3 row_shr:2 row_mask:0xf bank_mask:0xf
	v_cndmask_b32_e32 v4, 0, v5, vcc
	v_add_u32_e32 v3, v3, v4
	ds_write_b32 v1, v3
.LBB1500_67:
	s_or_b64 exec, exec, s[2:3]
	v_cmp_lt_u32_e32 vcc, 63, v0
	v_mov_b32_e32 v4, 0
	v_mov_b32_e32 v3, 0
	s_waitcnt lgkmcnt(0)
	s_barrier
	s_and_saveexec_b64 s[2:3], vcc
	s_cbranch_execz .LBB1500_69
; %bb.68:
	v_lshl_add_u32 v3, v51, 2, -4
	ds_read_b32 v3, v3
.LBB1500_69:
	s_or_b64 exec, exec, s[2:3]
	v_add_u32_e32 v5, -1, v50
	v_and_b32_e32 v6, 64, v50
	v_cmp_lt_i32_e32 vcc, v5, v6
	v_cndmask_b32_e32 v5, v5, v50, vcc
	s_waitcnt lgkmcnt(0)
	v_add_u32_e32 v2, v3, v2
	v_lshlrev_b32_e32 v5, 2, v5
	ds_bpermute_b32 v2, v5, v2
	ds_read_b32 v18, v4 offset:12
	v_cmp_eq_u32_e32 vcc, 0, v0
	s_and_saveexec_b64 s[2:3], vcc
	s_cbranch_execz .LBB1500_71
; %bb.70:
	v_mov_b32_e32 v4, 0
	v_mov_b32_e32 v19, 2
	s_waitcnt lgkmcnt(0)
	global_store_dwordx2 v4, v[18:19], s[34:35] offset:512
.LBB1500_71:
	s_or_b64 exec, exec, s[2:3]
	v_cmp_eq_u32_e64 s[2:3], 0, v50
	s_waitcnt lgkmcnt(1)
	v_cndmask_b32_e64 v2, v2, v3, s[2:3]
	v_cndmask_b32_e64 v2, v2, 0, vcc
	v_add_u32_e32 v3, v2, v41
	v_add_u32_e32 v4, v3, v42
	;; [unrolled: 1-line block ×11, first 2 shown]
	v_mov_b32_e32 v19, 0
	v_add_u32_e32 v14, v13, v38
	s_waitcnt lgkmcnt(0)
	s_barrier
.LBB1500_72:
	s_waitcnt lgkmcnt(0)
	v_add_u32_e32 v33, v18, v33
	v_sub_u32_e32 v2, v2, v19
	v_and_b32_e32 v42, 1, v37
	v_sub_u32_e32 v41, v33, v2
	v_cmp_eq_u32_e32 vcc, 1, v42
	v_cndmask_b32_e32 v2, v41, v2, vcc
	v_lshlrev_b32_e32 v2, 2, v2
	v_lshrrev_b32_e32 v17, 8, v37
	ds_write_b32 v2, v30
	v_sub_u32_e32 v2, v3, v19
	v_sub_u32_e32 v3, v33, v2
	v_and_b32_e32 v17, 1, v17
	v_add_u32_e32 v3, 1, v3
	v_cmp_eq_u32_e32 vcc, 1, v17
	v_cndmask_b32_e32 v2, v3, v2, vcc
	v_lshlrev_b32_e32 v2, 2, v2
	ds_write_b32 v2, v31
	v_sub_u32_e32 v2, v4, v19
	v_mov_b32_e32 v4, 1
	v_sub_u32_e32 v3, v33, v2
	v_and_b32_sdwa v17, v4, v37 dst_sel:DWORD dst_unused:UNUSED_PAD src0_sel:DWORD src1_sel:WORD_1
	v_add_u32_e32 v3, 2, v3
	v_cmp_eq_u32_e32 vcc, 1, v17
	v_cndmask_b32_e32 v2, v3, v2, vcc
	v_lshlrev_b32_e32 v2, 2, v2
	ds_write_b32 v2, v28
	v_sub_u32_e32 v2, v5, v19
	v_sub_u32_e32 v3, v33, v2
	v_and_b32_e32 v5, 1, v40
	v_add_u32_e32 v3, 3, v3
	v_cmp_eq_u32_e32 vcc, 1, v5
	v_cndmask_b32_e32 v2, v3, v2, vcc
	v_lshlrev_b32_e32 v2, 2, v2
	ds_write_b32 v2, v29
	v_sub_u32_e32 v2, v6, v19
	v_sub_u32_e32 v3, v33, v2
	v_and_b32_e32 v5, 1, v36
	v_add_u32_e32 v3, 4, v3
	v_cmp_eq_u32_e32 vcc, 1, v5
	v_cndmask_b32_e32 v2, v3, v2, vcc
	v_lshlrev_b32_e32 v2, 2, v2
	v_lshrrev_b32_e32 v16, 8, v36
	ds_write_b32 v2, v26
	v_sub_u32_e32 v2, v7, v19
	v_sub_u32_e32 v3, v33, v2
	v_and_b32_e32 v5, 1, v16
	v_add_u32_e32 v3, 5, v3
	v_cmp_eq_u32_e32 vcc, 1, v5
	v_cndmask_b32_e32 v2, v3, v2, vcc
	v_lshlrev_b32_e32 v2, 2, v2
	ds_write_b32 v2, v27
	v_sub_u32_e32 v2, v8, v19
	v_sub_u32_e32 v3, v33, v2
	v_and_b32_sdwa v5, v4, v36 dst_sel:DWORD dst_unused:UNUSED_PAD src0_sel:DWORD src1_sel:WORD_1
	v_add_u32_e32 v3, 6, v3
	v_cmp_eq_u32_e32 vcc, 1, v5
	v_cndmask_b32_e32 v2, v3, v2, vcc
	v_lshlrev_b32_e32 v2, 2, v2
	ds_write_b32 v2, v24
	v_sub_u32_e32 v2, v9, v19
	v_sub_u32_e32 v3, v33, v2
	v_and_b32_e32 v5, 1, v39
	v_add_u32_e32 v3, 7, v3
	v_cmp_eq_u32_e32 vcc, 1, v5
	v_cndmask_b32_e32 v2, v3, v2, vcc
	v_lshlrev_b32_e32 v2, 2, v2
	ds_write_b32 v2, v25
	v_sub_u32_e32 v2, v10, v19
	v_sub_u32_e32 v3, v33, v2
	v_and_b32_e32 v5, 1, v35
	v_add_u32_e32 v3, 8, v3
	v_cmp_eq_u32_e32 vcc, 1, v5
	v_cndmask_b32_e32 v2, v3, v2, vcc
	v_lshlrev_b32_e32 v2, 2, v2
	v_lshrrev_b32_e32 v15, 8, v35
	ds_write_b32 v2, v22
	v_sub_u32_e32 v2, v11, v19
	v_sub_u32_e32 v3, v33, v2
	v_and_b32_e32 v5, 1, v15
	v_add_u32_e32 v3, 9, v3
	v_cmp_eq_u32_e32 vcc, 1, v5
	v_cndmask_b32_e32 v2, v3, v2, vcc
	v_lshlrev_b32_e32 v2, 2, v2
	ds_write_b32 v2, v23
	v_sub_u32_e32 v2, v12, v19
	v_sub_u32_e32 v3, v33, v2
	v_and_b32_sdwa v4, v4, v35 dst_sel:DWORD dst_unused:UNUSED_PAD src0_sel:DWORD src1_sel:WORD_1
	v_add_u32_e32 v3, 10, v3
	v_cmp_eq_u32_e32 vcc, 1, v4
	v_cndmask_b32_e32 v2, v3, v2, vcc
	v_lshlrev_b32_e32 v2, 2, v2
	ds_write_b32 v2, v20
	v_sub_u32_e32 v2, v13, v19
	v_sub_u32_e32 v3, v33, v2
	v_and_b32_e32 v4, 1, v38
	v_add_u32_e32 v3, 11, v3
	v_cmp_eq_u32_e32 vcc, 1, v4
	v_cndmask_b32_e32 v2, v3, v2, vcc
	v_lshlrev_b32_e32 v2, 2, v2
	ds_write_b32 v2, v21
	v_sub_u32_e32 v2, v14, v19
	v_sub_u32_e32 v3, v33, v2
	v_and_b32_e32 v4, 1, v34
	v_add_u32_e32 v3, 12, v3
	v_cmp_eq_u32_e32 vcc, 1, v4
	v_cndmask_b32_e32 v2, v3, v2, vcc
	s_add_u32 s2, s28, s42
	v_lshlrev_b32_e32 v2, 2, v2
	s_addc_u32 s3, s29, 0
	ds_write_b32 v2, v32
	s_waitcnt lgkmcnt(0)
	s_barrier
	ds_read2st64_b32 v[12:13], v1 offset1:4
	ds_read2st64_b32 v[10:11], v1 offset0:8 offset1:12
	ds_read2st64_b32 v[8:9], v1 offset0:16 offset1:20
	;; [unrolled: 1-line block ×5, first 2 shown]
	ds_read_b32 v17, v1 offset:12288
	v_mov_b32_e32 v14, s31
	v_add_co_u32_e32 v1, vcc, s30, v19
	s_sub_u32 s2, s26, s2
	v_addc_co_u32_e32 v16, vcc, 0, v14, vcc
	s_subb_u32 s3, s27, s3
	v_mov_b32_e32 v14, s3
	v_add_co_u32_e32 v15, vcc, s2, v18
	v_addc_co_u32_e32 v14, vcc, 0, v14, vcc
	s_and_b64 vcc, exec, s[0:1]
	v_add_co_u32_e64 v19, s[0:1], v15, v1
	v_or_b32_e32 v32, 0x100, v0
	v_or_b32_e32 v31, 0x200, v0
	;; [unrolled: 1-line block ×12, first 2 shown]
	v_addc_co_u32_e64 v21, s[0:1], v14, v16, s[0:1]
	s_cbranch_vccnz .LBB1500_126
; %bb.73:
	v_cmp_ge_u32_e32 vcc, v0, v18
                                        ; implicit-def: $vgpr14_vgpr15
	s_and_saveexec_b64 s[0:1], vcc
	s_xor_b64 s[0:1], exec, s[0:1]
; %bb.74:
	v_not_b32_e32 v14, v0
	v_ashrrev_i32_e32 v15, 31, v14
	v_add_co_u32_e32 v14, vcc, v19, v14
	v_addc_co_u32_e32 v15, vcc, v21, v15, vcc
; %bb.75:
	s_andn2_saveexec_b64 s[0:1], s[0:1]
; %bb.76:
	v_add_co_u32_e32 v14, vcc, v1, v0
	v_addc_co_u32_e32 v15, vcc, 0, v16, vcc
; %bb.77:
	s_or_b64 exec, exec, s[0:1]
	v_lshlrev_b64 v[14:15], 2, v[14:15]
	v_mov_b32_e32 v33, s25
	v_add_co_u32_e32 v14, vcc, s24, v14
	v_addc_co_u32_e32 v15, vcc, v33, v15, vcc
	v_cmp_ge_u32_e32 vcc, v32, v18
	s_waitcnt lgkmcnt(6)
	global_store_dword v[14:15], v12, off
                                        ; implicit-def: $vgpr14_vgpr15
	s_and_saveexec_b64 s[0:1], vcc
	s_xor_b64 s[0:1], exec, s[0:1]
; %bb.78:
	v_xor_b32_e32 v14, 0xfffffeff, v0
	v_ashrrev_i32_e32 v15, 31, v14
	v_add_co_u32_e32 v14, vcc, v19, v14
	v_addc_co_u32_e32 v15, vcc, v21, v15, vcc
; %bb.79:
	s_andn2_saveexec_b64 s[0:1], s[0:1]
; %bb.80:
	v_add_co_u32_e32 v14, vcc, v1, v32
	v_addc_co_u32_e32 v15, vcc, 0, v16, vcc
; %bb.81:
	s_or_b64 exec, exec, s[0:1]
	v_lshlrev_b64 v[14:15], 2, v[14:15]
	v_mov_b32_e32 v33, s25
	v_add_co_u32_e32 v14, vcc, s24, v14
	v_addc_co_u32_e32 v15, vcc, v33, v15, vcc
	v_cmp_ge_u32_e32 vcc, v31, v18
	global_store_dword v[14:15], v13, off
                                        ; implicit-def: $vgpr14_vgpr15
	s_and_saveexec_b64 s[0:1], vcc
	s_xor_b64 s[0:1], exec, s[0:1]
; %bb.82:
	v_xor_b32_e32 v14, 0xfffffdff, v0
	v_ashrrev_i32_e32 v15, 31, v14
	v_add_co_u32_e32 v14, vcc, v19, v14
	v_addc_co_u32_e32 v15, vcc, v21, v15, vcc
; %bb.83:
	s_andn2_saveexec_b64 s[0:1], s[0:1]
; %bb.84:
	v_add_co_u32_e32 v14, vcc, v1, v31
	v_addc_co_u32_e32 v15, vcc, 0, v16, vcc
; %bb.85:
	s_or_b64 exec, exec, s[0:1]
	v_lshlrev_b64 v[14:15], 2, v[14:15]
	v_mov_b32_e32 v33, s25
	v_add_co_u32_e32 v14, vcc, s24, v14
	v_addc_co_u32_e32 v15, vcc, v33, v15, vcc
	v_cmp_ge_u32_e32 vcc, v30, v18
	s_waitcnt lgkmcnt(5)
	global_store_dword v[14:15], v10, off
                                        ; implicit-def: $vgpr14_vgpr15
	s_and_saveexec_b64 s[0:1], vcc
	s_xor_b64 s[0:1], exec, s[0:1]
; %bb.86:
	v_xor_b32_e32 v14, 0xfffffcff, v0
	v_ashrrev_i32_e32 v15, 31, v14
	v_add_co_u32_e32 v14, vcc, v19, v14
	v_addc_co_u32_e32 v15, vcc, v21, v15, vcc
; %bb.87:
	s_andn2_saveexec_b64 s[0:1], s[0:1]
; %bb.88:
	v_add_co_u32_e32 v14, vcc, v1, v30
	v_addc_co_u32_e32 v15, vcc, 0, v16, vcc
; %bb.89:
	s_or_b64 exec, exec, s[0:1]
	v_lshlrev_b64 v[14:15], 2, v[14:15]
	v_mov_b32_e32 v33, s25
	v_add_co_u32_e32 v14, vcc, s24, v14
	v_addc_co_u32_e32 v15, vcc, v33, v15, vcc
	v_cmp_ge_u32_e32 vcc, v29, v18
	global_store_dword v[14:15], v11, off
                                        ; implicit-def: $vgpr14_vgpr15
	s_and_saveexec_b64 s[0:1], vcc
	s_xor_b64 s[0:1], exec, s[0:1]
; %bb.90:
	v_xor_b32_e32 v14, 0xfffffbff, v0
	;; [unrolled: 43-line block ×6, first 2 shown]
	v_ashrrev_i32_e32 v15, 31, v14
	v_add_co_u32_e32 v14, vcc, v19, v14
	v_addc_co_u32_e32 v15, vcc, v21, v15, vcc
; %bb.123:
	s_andn2_saveexec_b64 s[0:1], s[0:1]
; %bb.124:
	v_add_co_u32_e32 v14, vcc, v1, v20
	v_addc_co_u32_e32 v15, vcc, 0, v16, vcc
; %bb.125:
	s_or_b64 exec, exec, s[0:1]
	s_mov_b64 s[0:1], -1
	s_branch .LBB1500_206
.LBB1500_126:
	s_mov_b64 s[0:1], 0
                                        ; implicit-def: $vgpr14_vgpr15
	s_cbranch_execz .LBB1500_206
; %bb.127:
	v_cmp_gt_u32_e32 vcc, s33, v0
	s_and_saveexec_b64 s[2:3], vcc
	s_cbranch_execz .LBB1500_163
; %bb.128:
	v_cmp_ge_u32_e32 vcc, v0, v18
                                        ; implicit-def: $vgpr14_vgpr15
	s_and_saveexec_b64 s[4:5], vcc
	s_xor_b64 s[4:5], exec, s[4:5]
; %bb.129:
	v_not_b32_e32 v14, v0
	v_ashrrev_i32_e32 v15, 31, v14
	v_add_co_u32_e32 v14, vcc, v19, v14
	v_addc_co_u32_e32 v15, vcc, v21, v15, vcc
; %bb.130:
	s_andn2_saveexec_b64 s[4:5], s[4:5]
; %bb.131:
	v_add_co_u32_e32 v14, vcc, v1, v0
	v_addc_co_u32_e32 v15, vcc, 0, v16, vcc
; %bb.132:
	s_or_b64 exec, exec, s[4:5]
	v_lshlrev_b64 v[14:15], 2, v[14:15]
	v_mov_b32_e32 v33, s25
	v_add_co_u32_e32 v14, vcc, s24, v14
	v_addc_co_u32_e32 v15, vcc, v33, v15, vcc
	s_waitcnt lgkmcnt(6)
	global_store_dword v[14:15], v12, off
	s_or_b64 exec, exec, s[2:3]
	v_cmp_gt_u32_e32 vcc, s33, v32
	s_and_saveexec_b64 s[2:3], vcc
	s_cbranch_execnz .LBB1500_164
.LBB1500_133:
	s_or_b64 exec, exec, s[2:3]
	v_cmp_gt_u32_e32 vcc, s33, v31
	s_and_saveexec_b64 s[2:3], vcc
	s_cbranch_execz .LBB1500_169
.LBB1500_134:
	v_cmp_ge_u32_e32 vcc, v31, v18
                                        ; implicit-def: $vgpr12_vgpr13
	s_and_saveexec_b64 s[4:5], vcc
	s_xor_b64 s[4:5], exec, s[4:5]
	s_cbranch_execz .LBB1500_136
; %bb.135:
	s_waitcnt lgkmcnt(6)
	v_xor_b32_e32 v12, 0xfffffdff, v0
	v_ashrrev_i32_e32 v13, 31, v12
	v_add_co_u32_e32 v12, vcc, v19, v12
	v_addc_co_u32_e32 v13, vcc, v21, v13, vcc
                                        ; implicit-def: $vgpr31
.LBB1500_136:
	s_andn2_saveexec_b64 s[4:5], s[4:5]
	s_cbranch_execz .LBB1500_138
; %bb.137:
	s_waitcnt lgkmcnt(6)
	v_add_co_u32_e32 v12, vcc, v1, v31
	v_addc_co_u32_e32 v13, vcc, 0, v16, vcc
.LBB1500_138:
	s_or_b64 exec, exec, s[4:5]
	s_waitcnt lgkmcnt(6)
	v_lshlrev_b64 v[12:13], 2, v[12:13]
	v_mov_b32_e32 v14, s25
	v_add_co_u32_e32 v12, vcc, s24, v12
	v_addc_co_u32_e32 v13, vcc, v14, v13, vcc
	s_waitcnt lgkmcnt(5)
	global_store_dword v[12:13], v10, off
	s_or_b64 exec, exec, s[2:3]
	v_cmp_gt_u32_e32 vcc, s33, v30
	s_and_saveexec_b64 s[2:3], vcc
	s_cbranch_execnz .LBB1500_170
.LBB1500_139:
	s_or_b64 exec, exec, s[2:3]
	v_cmp_gt_u32_e32 vcc, s33, v29
	s_and_saveexec_b64 s[2:3], vcc
	s_cbranch_execz .LBB1500_175
.LBB1500_140:
	v_cmp_ge_u32_e32 vcc, v29, v18
                                        ; implicit-def: $vgpr10_vgpr11
	s_and_saveexec_b64 s[4:5], vcc
	s_xor_b64 s[4:5], exec, s[4:5]
	s_cbranch_execz .LBB1500_142
; %bb.141:
	s_waitcnt lgkmcnt(5)
	v_xor_b32_e32 v10, 0xfffffbff, v0
	v_ashrrev_i32_e32 v11, 31, v10
	v_add_co_u32_e32 v10, vcc, v19, v10
	v_addc_co_u32_e32 v11, vcc, v21, v11, vcc
                                        ; implicit-def: $vgpr29
.LBB1500_142:
	s_andn2_saveexec_b64 s[4:5], s[4:5]
	s_cbranch_execz .LBB1500_144
; %bb.143:
	s_waitcnt lgkmcnt(5)
	v_add_co_u32_e32 v10, vcc, v1, v29
	v_addc_co_u32_e32 v11, vcc, 0, v16, vcc
.LBB1500_144:
	s_or_b64 exec, exec, s[4:5]
	s_waitcnt lgkmcnt(5)
	v_lshlrev_b64 v[10:11], 2, v[10:11]
	v_mov_b32_e32 v12, s25
	v_add_co_u32_e32 v10, vcc, s24, v10
	v_addc_co_u32_e32 v11, vcc, v12, v11, vcc
	s_waitcnt lgkmcnt(4)
	global_store_dword v[10:11], v8, off
	s_or_b64 exec, exec, s[2:3]
	v_cmp_gt_u32_e32 vcc, s33, v28
	s_and_saveexec_b64 s[2:3], vcc
	s_cbranch_execnz .LBB1500_176
.LBB1500_145:
	s_or_b64 exec, exec, s[2:3]
	v_cmp_gt_u32_e32 vcc, s33, v27
	s_and_saveexec_b64 s[2:3], vcc
	s_cbranch_execz .LBB1500_181
.LBB1500_146:
	v_cmp_ge_u32_e32 vcc, v27, v18
                                        ; implicit-def: $vgpr8_vgpr9
	s_and_saveexec_b64 s[4:5], vcc
	s_xor_b64 s[4:5], exec, s[4:5]
	s_cbranch_execz .LBB1500_148
; %bb.147:
	s_waitcnt lgkmcnt(4)
	v_xor_b32_e32 v8, 0xfffff9ff, v0
	v_ashrrev_i32_e32 v9, 31, v8
	v_add_co_u32_e32 v8, vcc, v19, v8
	v_addc_co_u32_e32 v9, vcc, v21, v9, vcc
                                        ; implicit-def: $vgpr27
.LBB1500_148:
	s_andn2_saveexec_b64 s[4:5], s[4:5]
	s_cbranch_execz .LBB1500_150
; %bb.149:
	s_waitcnt lgkmcnt(4)
	v_add_co_u32_e32 v8, vcc, v1, v27
	v_addc_co_u32_e32 v9, vcc, 0, v16, vcc
.LBB1500_150:
	s_or_b64 exec, exec, s[4:5]
	s_waitcnt lgkmcnt(4)
	v_lshlrev_b64 v[8:9], 2, v[8:9]
	v_mov_b32_e32 v10, s25
	v_add_co_u32_e32 v8, vcc, s24, v8
	v_addc_co_u32_e32 v9, vcc, v10, v9, vcc
	s_waitcnt lgkmcnt(3)
	global_store_dword v[8:9], v6, off
	s_or_b64 exec, exec, s[2:3]
	v_cmp_gt_u32_e32 vcc, s33, v26
	s_and_saveexec_b64 s[2:3], vcc
	s_cbranch_execnz .LBB1500_182
.LBB1500_151:
	s_or_b64 exec, exec, s[2:3]
	v_cmp_gt_u32_e32 vcc, s33, v25
	s_and_saveexec_b64 s[2:3], vcc
	s_cbranch_execz .LBB1500_187
.LBB1500_152:
	v_cmp_ge_u32_e32 vcc, v25, v18
                                        ; implicit-def: $vgpr6_vgpr7
	s_and_saveexec_b64 s[4:5], vcc
	s_xor_b64 s[4:5], exec, s[4:5]
	s_cbranch_execz .LBB1500_154
; %bb.153:
	s_waitcnt lgkmcnt(3)
	v_xor_b32_e32 v6, 0xfffff7ff, v0
	v_ashrrev_i32_e32 v7, 31, v6
	v_add_co_u32_e32 v6, vcc, v19, v6
	v_addc_co_u32_e32 v7, vcc, v21, v7, vcc
                                        ; implicit-def: $vgpr25
.LBB1500_154:
	s_andn2_saveexec_b64 s[4:5], s[4:5]
	s_cbranch_execz .LBB1500_156
; %bb.155:
	s_waitcnt lgkmcnt(3)
	v_add_co_u32_e32 v6, vcc, v1, v25
	v_addc_co_u32_e32 v7, vcc, 0, v16, vcc
.LBB1500_156:
	s_or_b64 exec, exec, s[4:5]
	s_waitcnt lgkmcnt(3)
	v_lshlrev_b64 v[6:7], 2, v[6:7]
	v_mov_b32_e32 v8, s25
	v_add_co_u32_e32 v6, vcc, s24, v6
	v_addc_co_u32_e32 v7, vcc, v8, v7, vcc
	s_waitcnt lgkmcnt(2)
	global_store_dword v[6:7], v4, off
	s_or_b64 exec, exec, s[2:3]
	v_cmp_gt_u32_e32 vcc, s33, v24
	s_and_saveexec_b64 s[2:3], vcc
	s_cbranch_execnz .LBB1500_188
.LBB1500_157:
	s_or_b64 exec, exec, s[2:3]
	v_cmp_gt_u32_e32 vcc, s33, v23
	s_and_saveexec_b64 s[2:3], vcc
	s_cbranch_execz .LBB1500_193
.LBB1500_158:
	v_cmp_ge_u32_e32 vcc, v23, v18
                                        ; implicit-def: $vgpr4_vgpr5
	s_and_saveexec_b64 s[4:5], vcc
	s_xor_b64 s[4:5], exec, s[4:5]
	s_cbranch_execz .LBB1500_160
; %bb.159:
	s_waitcnt lgkmcnt(2)
	v_xor_b32_e32 v4, 0xfffff5ff, v0
	v_ashrrev_i32_e32 v5, 31, v4
	v_add_co_u32_e32 v4, vcc, v19, v4
	v_addc_co_u32_e32 v5, vcc, v21, v5, vcc
                                        ; implicit-def: $vgpr23
.LBB1500_160:
	s_andn2_saveexec_b64 s[4:5], s[4:5]
	s_cbranch_execz .LBB1500_162
; %bb.161:
	s_waitcnt lgkmcnt(2)
	v_add_co_u32_e32 v4, vcc, v1, v23
	v_addc_co_u32_e32 v5, vcc, 0, v16, vcc
.LBB1500_162:
	s_or_b64 exec, exec, s[4:5]
	s_waitcnt lgkmcnt(2)
	v_lshlrev_b64 v[4:5], 2, v[4:5]
	v_mov_b32_e32 v6, s25
	v_add_co_u32_e32 v4, vcc, s24, v4
	v_addc_co_u32_e32 v5, vcc, v6, v5, vcc
	s_waitcnt lgkmcnt(1)
	global_store_dword v[4:5], v2, off
	s_or_b64 exec, exec, s[2:3]
	v_cmp_gt_u32_e32 vcc, s33, v22
	s_and_saveexec_b64 s[2:3], vcc
	s_cbranch_execz .LBB1500_199
	s_branch .LBB1500_194
.LBB1500_163:
	s_or_b64 exec, exec, s[2:3]
	v_cmp_gt_u32_e32 vcc, s33, v32
	s_and_saveexec_b64 s[2:3], vcc
	s_cbranch_execz .LBB1500_133
.LBB1500_164:
	v_cmp_ge_u32_e32 vcc, v32, v18
                                        ; implicit-def: $vgpr14_vgpr15
	s_and_saveexec_b64 s[4:5], vcc
	s_xor_b64 s[4:5], exec, s[4:5]
	s_cbranch_execz .LBB1500_166
; %bb.165:
	s_waitcnt lgkmcnt(6)
	v_xor_b32_e32 v12, 0xfffffeff, v0
	v_ashrrev_i32_e32 v15, 31, v12
	v_add_co_u32_e32 v14, vcc, v19, v12
	v_addc_co_u32_e32 v15, vcc, v21, v15, vcc
                                        ; implicit-def: $vgpr32
.LBB1500_166:
	s_andn2_saveexec_b64 s[4:5], s[4:5]
; %bb.167:
	v_add_co_u32_e32 v14, vcc, v1, v32
	v_addc_co_u32_e32 v15, vcc, 0, v16, vcc
; %bb.168:
	s_or_b64 exec, exec, s[4:5]
	v_lshlrev_b64 v[14:15], 2, v[14:15]
	s_waitcnt lgkmcnt(6)
	v_mov_b32_e32 v12, s25
	v_add_co_u32_e32 v14, vcc, s24, v14
	v_addc_co_u32_e32 v15, vcc, v12, v15, vcc
	global_store_dword v[14:15], v13, off
	s_or_b64 exec, exec, s[2:3]
	v_cmp_gt_u32_e32 vcc, s33, v31
	s_and_saveexec_b64 s[2:3], vcc
	s_cbranch_execnz .LBB1500_134
.LBB1500_169:
	s_or_b64 exec, exec, s[2:3]
	v_cmp_gt_u32_e32 vcc, s33, v30
	s_and_saveexec_b64 s[2:3], vcc
	s_cbranch_execz .LBB1500_139
.LBB1500_170:
	v_cmp_ge_u32_e32 vcc, v30, v18
                                        ; implicit-def: $vgpr12_vgpr13
	s_and_saveexec_b64 s[4:5], vcc
	s_xor_b64 s[4:5], exec, s[4:5]
	s_cbranch_execz .LBB1500_172
; %bb.171:
	s_waitcnt lgkmcnt(5)
	v_xor_b32_e32 v10, 0xfffffcff, v0
	v_ashrrev_i32_e32 v13, 31, v10
	v_add_co_u32_e32 v12, vcc, v19, v10
	v_addc_co_u32_e32 v13, vcc, v21, v13, vcc
                                        ; implicit-def: $vgpr30
.LBB1500_172:
	s_andn2_saveexec_b64 s[4:5], s[4:5]
	s_cbranch_execz .LBB1500_174
; %bb.173:
	s_waitcnt lgkmcnt(6)
	v_add_co_u32_e32 v12, vcc, v1, v30
	v_addc_co_u32_e32 v13, vcc, 0, v16, vcc
.LBB1500_174:
	s_or_b64 exec, exec, s[4:5]
	s_waitcnt lgkmcnt(6)
	v_lshlrev_b64 v[12:13], 2, v[12:13]
	s_waitcnt lgkmcnt(5)
	v_mov_b32_e32 v10, s25
	v_add_co_u32_e32 v12, vcc, s24, v12
	v_addc_co_u32_e32 v13, vcc, v10, v13, vcc
	global_store_dword v[12:13], v11, off
	s_or_b64 exec, exec, s[2:3]
	v_cmp_gt_u32_e32 vcc, s33, v29
	s_and_saveexec_b64 s[2:3], vcc
	s_cbranch_execnz .LBB1500_140
.LBB1500_175:
	s_or_b64 exec, exec, s[2:3]
	v_cmp_gt_u32_e32 vcc, s33, v28
	s_and_saveexec_b64 s[2:3], vcc
	s_cbranch_execz .LBB1500_145
.LBB1500_176:
	v_cmp_ge_u32_e32 vcc, v28, v18
                                        ; implicit-def: $vgpr10_vgpr11
	s_and_saveexec_b64 s[4:5], vcc
	s_xor_b64 s[4:5], exec, s[4:5]
	s_cbranch_execz .LBB1500_178
; %bb.177:
	s_waitcnt lgkmcnt(4)
	v_xor_b32_e32 v8, 0xfffffaff, v0
	v_ashrrev_i32_e32 v11, 31, v8
	v_add_co_u32_e32 v10, vcc, v19, v8
	v_addc_co_u32_e32 v11, vcc, v21, v11, vcc
                                        ; implicit-def: $vgpr28
.LBB1500_178:
	s_andn2_saveexec_b64 s[4:5], s[4:5]
	s_cbranch_execz .LBB1500_180
; %bb.179:
	s_waitcnt lgkmcnt(5)
	v_add_co_u32_e32 v10, vcc, v1, v28
	v_addc_co_u32_e32 v11, vcc, 0, v16, vcc
.LBB1500_180:
	s_or_b64 exec, exec, s[4:5]
	s_waitcnt lgkmcnt(5)
	v_lshlrev_b64 v[10:11], 2, v[10:11]
	s_waitcnt lgkmcnt(4)
	v_mov_b32_e32 v8, s25
	v_add_co_u32_e32 v10, vcc, s24, v10
	v_addc_co_u32_e32 v11, vcc, v8, v11, vcc
	global_store_dword v[10:11], v9, off
	s_or_b64 exec, exec, s[2:3]
	v_cmp_gt_u32_e32 vcc, s33, v27
	s_and_saveexec_b64 s[2:3], vcc
	s_cbranch_execnz .LBB1500_146
.LBB1500_181:
	s_or_b64 exec, exec, s[2:3]
	v_cmp_gt_u32_e32 vcc, s33, v26
	s_and_saveexec_b64 s[2:3], vcc
	s_cbranch_execz .LBB1500_151
.LBB1500_182:
	v_cmp_ge_u32_e32 vcc, v26, v18
                                        ; implicit-def: $vgpr8_vgpr9
	s_and_saveexec_b64 s[4:5], vcc
	s_xor_b64 s[4:5], exec, s[4:5]
	s_cbranch_execz .LBB1500_184
; %bb.183:
	s_waitcnt lgkmcnt(3)
	v_xor_b32_e32 v6, 0xfffff8ff, v0
	v_ashrrev_i32_e32 v9, 31, v6
	v_add_co_u32_e32 v8, vcc, v19, v6
	v_addc_co_u32_e32 v9, vcc, v21, v9, vcc
                                        ; implicit-def: $vgpr26
.LBB1500_184:
	s_andn2_saveexec_b64 s[4:5], s[4:5]
	s_cbranch_execz .LBB1500_186
; %bb.185:
	s_waitcnt lgkmcnt(4)
	v_add_co_u32_e32 v8, vcc, v1, v26
	v_addc_co_u32_e32 v9, vcc, 0, v16, vcc
.LBB1500_186:
	s_or_b64 exec, exec, s[4:5]
	s_waitcnt lgkmcnt(4)
	v_lshlrev_b64 v[8:9], 2, v[8:9]
	s_waitcnt lgkmcnt(3)
	v_mov_b32_e32 v6, s25
	v_add_co_u32_e32 v8, vcc, s24, v8
	v_addc_co_u32_e32 v9, vcc, v6, v9, vcc
	global_store_dword v[8:9], v7, off
	s_or_b64 exec, exec, s[2:3]
	v_cmp_gt_u32_e32 vcc, s33, v25
	s_and_saveexec_b64 s[2:3], vcc
	s_cbranch_execnz .LBB1500_152
.LBB1500_187:
	s_or_b64 exec, exec, s[2:3]
	v_cmp_gt_u32_e32 vcc, s33, v24
	s_and_saveexec_b64 s[2:3], vcc
	s_cbranch_execz .LBB1500_157
.LBB1500_188:
	v_cmp_ge_u32_e32 vcc, v24, v18
                                        ; implicit-def: $vgpr6_vgpr7
	s_and_saveexec_b64 s[4:5], vcc
	s_xor_b64 s[4:5], exec, s[4:5]
	s_cbranch_execz .LBB1500_190
; %bb.189:
	s_waitcnt lgkmcnt(2)
	v_xor_b32_e32 v4, 0xfffff6ff, v0
	v_ashrrev_i32_e32 v7, 31, v4
	v_add_co_u32_e32 v6, vcc, v19, v4
	v_addc_co_u32_e32 v7, vcc, v21, v7, vcc
                                        ; implicit-def: $vgpr24
.LBB1500_190:
	s_andn2_saveexec_b64 s[4:5], s[4:5]
	s_cbranch_execz .LBB1500_192
; %bb.191:
	s_waitcnt lgkmcnt(3)
	v_add_co_u32_e32 v6, vcc, v1, v24
	v_addc_co_u32_e32 v7, vcc, 0, v16, vcc
.LBB1500_192:
	s_or_b64 exec, exec, s[4:5]
	s_waitcnt lgkmcnt(3)
	v_lshlrev_b64 v[6:7], 2, v[6:7]
	s_waitcnt lgkmcnt(2)
	v_mov_b32_e32 v4, s25
	v_add_co_u32_e32 v6, vcc, s24, v6
	v_addc_co_u32_e32 v7, vcc, v4, v7, vcc
	global_store_dword v[6:7], v5, off
	s_or_b64 exec, exec, s[2:3]
	v_cmp_gt_u32_e32 vcc, s33, v23
	s_and_saveexec_b64 s[2:3], vcc
	s_cbranch_execnz .LBB1500_158
.LBB1500_193:
	s_or_b64 exec, exec, s[2:3]
	v_cmp_gt_u32_e32 vcc, s33, v22
	s_and_saveexec_b64 s[2:3], vcc
	s_cbranch_execz .LBB1500_199
.LBB1500_194:
	v_cmp_ge_u32_e32 vcc, v22, v18
                                        ; implicit-def: $vgpr4_vgpr5
	s_and_saveexec_b64 s[4:5], vcc
	s_xor_b64 s[4:5], exec, s[4:5]
	s_cbranch_execz .LBB1500_196
; %bb.195:
	s_waitcnt lgkmcnt(1)
	v_xor_b32_e32 v2, 0xfffff4ff, v0
	v_ashrrev_i32_e32 v5, 31, v2
	v_add_co_u32_e32 v4, vcc, v19, v2
	v_addc_co_u32_e32 v5, vcc, v21, v5, vcc
                                        ; implicit-def: $vgpr22
.LBB1500_196:
	s_andn2_saveexec_b64 s[4:5], s[4:5]
	s_cbranch_execz .LBB1500_198
; %bb.197:
	s_waitcnt lgkmcnt(2)
	v_add_co_u32_e32 v4, vcc, v1, v22
	v_addc_co_u32_e32 v5, vcc, 0, v16, vcc
.LBB1500_198:
	s_or_b64 exec, exec, s[4:5]
	s_waitcnt lgkmcnt(2)
	v_lshlrev_b64 v[4:5], 2, v[4:5]
	s_waitcnt lgkmcnt(1)
	v_mov_b32_e32 v2, s25
	v_add_co_u32_e32 v4, vcc, s24, v4
	v_addc_co_u32_e32 v5, vcc, v2, v5, vcc
	global_store_dword v[4:5], v3, off
.LBB1500_199:
	s_or_b64 exec, exec, s[2:3]
	v_cmp_gt_u32_e32 vcc, s33, v20
                                        ; implicit-def: $vgpr14_vgpr15
	s_and_saveexec_b64 s[2:3], vcc
	s_cbranch_execz .LBB1500_205
; %bb.200:
	v_cmp_ge_u32_e32 vcc, v20, v18
                                        ; implicit-def: $vgpr14_vgpr15
	s_and_saveexec_b64 s[4:5], vcc
	s_xor_b64 s[4:5], exec, s[4:5]
	s_cbranch_execz .LBB1500_202
; %bb.201:
	s_waitcnt lgkmcnt(1)
	v_xor_b32_e32 v2, 0xfffff3ff, v0
	v_ashrrev_i32_e32 v3, 31, v2
	v_add_co_u32_e32 v14, vcc, v19, v2
	v_addc_co_u32_e32 v15, vcc, v21, v3, vcc
                                        ; implicit-def: $vgpr20
.LBB1500_202:
	s_andn2_saveexec_b64 s[4:5], s[4:5]
; %bb.203:
	v_add_co_u32_e32 v14, vcc, v1, v20
	v_addc_co_u32_e32 v15, vcc, 0, v16, vcc
; %bb.204:
	s_or_b64 exec, exec, s[4:5]
	s_or_b64 s[0:1], s[0:1], exec
.LBB1500_205:
	s_or_b64 exec, exec, s[2:3]
.LBB1500_206:
	s_and_saveexec_b64 s[2:3], s[0:1]
	s_cbranch_execz .LBB1500_208
; %bb.207:
	s_waitcnt lgkmcnt(1)
	v_lshlrev_b64 v[2:3], 2, v[14:15]
	v_mov_b32_e32 v4, s25
	v_add_co_u32_e32 v2, vcc, s24, v2
	v_addc_co_u32_e32 v3, vcc, v4, v3, vcc
	s_waitcnt lgkmcnt(0)
	global_store_dword v[2:3], v17, off
.LBB1500_208:
	s_or_b64 exec, exec, s[2:3]
	v_cmp_eq_u32_e32 vcc, 0, v0
	s_and_b64 s[0:1], vcc, s[22:23]
	s_and_saveexec_b64 s[2:3], s[0:1]
	s_cbranch_execz .LBB1500_210
; %bb.209:
	v_add_co_u32_e32 v0, vcc, v1, v18
	s_waitcnt lgkmcnt(1)
	v_mov_b32_e32 v2, 0
	v_addc_co_u32_e32 v1, vcc, 0, v16, vcc
	global_store_dwordx2 v2, v[0:1], s[20:21]
.LBB1500_210:
	s_endpgm
	.section	.rodata,"a",@progbits
	.p2align	6, 0x0
	.amdhsa_kernel _ZN7rocprim17ROCPRIM_400000_NS6detail17trampoline_kernelINS0_13select_configILj256ELj13ELNS0_17block_load_methodE3ELS4_3ELS4_3ELNS0_20block_scan_algorithmE0ELj4294967295EEENS1_25partition_config_selectorILNS1_17partition_subalgoE3EjNS0_10empty_typeEbEEZZNS1_14partition_implILS8_3ELb0ES6_jNS0_17counting_iteratorIjlEEPS9_SE_NS0_5tupleIJPjSE_EEENSF_IJSE_SE_EEES9_SG_JZNS1_25segmented_radix_sort_implINS0_14default_configELb1EPKbPbPKlPlN2at6native12_GLOBAL__N_18offset_tEEE10hipError_tPvRmT1_PNSt15iterator_traitsISY_E10value_typeET2_T3_PNSZ_IS14_E10value_typeET4_jRbjT5_S1A_jjP12ihipStream_tbEUljE_EEESV_SW_SX_S14_S18_S1A_T6_T7_T9_mT8_S1C_bDpT10_ENKUlT_T0_E_clISt17integral_constantIbLb0EES1P_EEDaS1K_S1L_EUlS1K_E_NS1_11comp_targetILNS1_3genE4ELNS1_11target_archE910ELNS1_3gpuE8ELNS1_3repE0EEENS1_30default_config_static_selectorELNS0_4arch9wavefront6targetE1EEEvSY_
		.amdhsa_group_segment_fixed_size 13324
		.amdhsa_private_segment_fixed_size 0
		.amdhsa_kernarg_size 144
		.amdhsa_user_sgpr_count 6
		.amdhsa_user_sgpr_private_segment_buffer 1
		.amdhsa_user_sgpr_dispatch_ptr 0
		.amdhsa_user_sgpr_queue_ptr 0
		.amdhsa_user_sgpr_kernarg_segment_ptr 1
		.amdhsa_user_sgpr_dispatch_id 0
		.amdhsa_user_sgpr_flat_scratch_init 0
		.amdhsa_user_sgpr_kernarg_preload_length 0
		.amdhsa_user_sgpr_kernarg_preload_offset 0
		.amdhsa_user_sgpr_private_segment_size 0
		.amdhsa_uses_dynamic_stack 0
		.amdhsa_system_sgpr_private_segment_wavefront_offset 0
		.amdhsa_system_sgpr_workgroup_id_x 1
		.amdhsa_system_sgpr_workgroup_id_y 0
		.amdhsa_system_sgpr_workgroup_id_z 0
		.amdhsa_system_sgpr_workgroup_info 0
		.amdhsa_system_vgpr_workitem_id 0
		.amdhsa_next_free_vgpr 61
		.amdhsa_next_free_sgpr 46
		.amdhsa_accum_offset 64
		.amdhsa_reserve_vcc 1
		.amdhsa_reserve_flat_scratch 0
		.amdhsa_float_round_mode_32 0
		.amdhsa_float_round_mode_16_64 0
		.amdhsa_float_denorm_mode_32 3
		.amdhsa_float_denorm_mode_16_64 3
		.amdhsa_dx10_clamp 1
		.amdhsa_ieee_mode 1
		.amdhsa_fp16_overflow 0
		.amdhsa_tg_split 0
		.amdhsa_exception_fp_ieee_invalid_op 0
		.amdhsa_exception_fp_denorm_src 0
		.amdhsa_exception_fp_ieee_div_zero 0
		.amdhsa_exception_fp_ieee_overflow 0
		.amdhsa_exception_fp_ieee_underflow 0
		.amdhsa_exception_fp_ieee_inexact 0
		.amdhsa_exception_int_div_zero 0
	.end_amdhsa_kernel
	.section	.text._ZN7rocprim17ROCPRIM_400000_NS6detail17trampoline_kernelINS0_13select_configILj256ELj13ELNS0_17block_load_methodE3ELS4_3ELS4_3ELNS0_20block_scan_algorithmE0ELj4294967295EEENS1_25partition_config_selectorILNS1_17partition_subalgoE3EjNS0_10empty_typeEbEEZZNS1_14partition_implILS8_3ELb0ES6_jNS0_17counting_iteratorIjlEEPS9_SE_NS0_5tupleIJPjSE_EEENSF_IJSE_SE_EEES9_SG_JZNS1_25segmented_radix_sort_implINS0_14default_configELb1EPKbPbPKlPlN2at6native12_GLOBAL__N_18offset_tEEE10hipError_tPvRmT1_PNSt15iterator_traitsISY_E10value_typeET2_T3_PNSZ_IS14_E10value_typeET4_jRbjT5_S1A_jjP12ihipStream_tbEUljE_EEESV_SW_SX_S14_S18_S1A_T6_T7_T9_mT8_S1C_bDpT10_ENKUlT_T0_E_clISt17integral_constantIbLb0EES1P_EEDaS1K_S1L_EUlS1K_E_NS1_11comp_targetILNS1_3genE4ELNS1_11target_archE910ELNS1_3gpuE8ELNS1_3repE0EEENS1_30default_config_static_selectorELNS0_4arch9wavefront6targetE1EEEvSY_,"axG",@progbits,_ZN7rocprim17ROCPRIM_400000_NS6detail17trampoline_kernelINS0_13select_configILj256ELj13ELNS0_17block_load_methodE3ELS4_3ELS4_3ELNS0_20block_scan_algorithmE0ELj4294967295EEENS1_25partition_config_selectorILNS1_17partition_subalgoE3EjNS0_10empty_typeEbEEZZNS1_14partition_implILS8_3ELb0ES6_jNS0_17counting_iteratorIjlEEPS9_SE_NS0_5tupleIJPjSE_EEENSF_IJSE_SE_EEES9_SG_JZNS1_25segmented_radix_sort_implINS0_14default_configELb1EPKbPbPKlPlN2at6native12_GLOBAL__N_18offset_tEEE10hipError_tPvRmT1_PNSt15iterator_traitsISY_E10value_typeET2_T3_PNSZ_IS14_E10value_typeET4_jRbjT5_S1A_jjP12ihipStream_tbEUljE_EEESV_SW_SX_S14_S18_S1A_T6_T7_T9_mT8_S1C_bDpT10_ENKUlT_T0_E_clISt17integral_constantIbLb0EES1P_EEDaS1K_S1L_EUlS1K_E_NS1_11comp_targetILNS1_3genE4ELNS1_11target_archE910ELNS1_3gpuE8ELNS1_3repE0EEENS1_30default_config_static_selectorELNS0_4arch9wavefront6targetE1EEEvSY_,comdat
.Lfunc_end1500:
	.size	_ZN7rocprim17ROCPRIM_400000_NS6detail17trampoline_kernelINS0_13select_configILj256ELj13ELNS0_17block_load_methodE3ELS4_3ELS4_3ELNS0_20block_scan_algorithmE0ELj4294967295EEENS1_25partition_config_selectorILNS1_17partition_subalgoE3EjNS0_10empty_typeEbEEZZNS1_14partition_implILS8_3ELb0ES6_jNS0_17counting_iteratorIjlEEPS9_SE_NS0_5tupleIJPjSE_EEENSF_IJSE_SE_EEES9_SG_JZNS1_25segmented_radix_sort_implINS0_14default_configELb1EPKbPbPKlPlN2at6native12_GLOBAL__N_18offset_tEEE10hipError_tPvRmT1_PNSt15iterator_traitsISY_E10value_typeET2_T3_PNSZ_IS14_E10value_typeET4_jRbjT5_S1A_jjP12ihipStream_tbEUljE_EEESV_SW_SX_S14_S18_S1A_T6_T7_T9_mT8_S1C_bDpT10_ENKUlT_T0_E_clISt17integral_constantIbLb0EES1P_EEDaS1K_S1L_EUlS1K_E_NS1_11comp_targetILNS1_3genE4ELNS1_11target_archE910ELNS1_3gpuE8ELNS1_3repE0EEENS1_30default_config_static_selectorELNS0_4arch9wavefront6targetE1EEEvSY_, .Lfunc_end1500-_ZN7rocprim17ROCPRIM_400000_NS6detail17trampoline_kernelINS0_13select_configILj256ELj13ELNS0_17block_load_methodE3ELS4_3ELS4_3ELNS0_20block_scan_algorithmE0ELj4294967295EEENS1_25partition_config_selectorILNS1_17partition_subalgoE3EjNS0_10empty_typeEbEEZZNS1_14partition_implILS8_3ELb0ES6_jNS0_17counting_iteratorIjlEEPS9_SE_NS0_5tupleIJPjSE_EEENSF_IJSE_SE_EEES9_SG_JZNS1_25segmented_radix_sort_implINS0_14default_configELb1EPKbPbPKlPlN2at6native12_GLOBAL__N_18offset_tEEE10hipError_tPvRmT1_PNSt15iterator_traitsISY_E10value_typeET2_T3_PNSZ_IS14_E10value_typeET4_jRbjT5_S1A_jjP12ihipStream_tbEUljE_EEESV_SW_SX_S14_S18_S1A_T6_T7_T9_mT8_S1C_bDpT10_ENKUlT_T0_E_clISt17integral_constantIbLb0EES1P_EEDaS1K_S1L_EUlS1K_E_NS1_11comp_targetILNS1_3genE4ELNS1_11target_archE910ELNS1_3gpuE8ELNS1_3repE0EEENS1_30default_config_static_selectorELNS0_4arch9wavefront6targetE1EEEvSY_
                                        ; -- End function
	.section	.AMDGPU.csdata,"",@progbits
; Kernel info:
; codeLenInByte = 7676
; NumSgprs: 50
; NumVgprs: 61
; NumAgprs: 0
; TotalNumVgprs: 61
; ScratchSize: 0
; MemoryBound: 0
; FloatMode: 240
; IeeeMode: 1
; LDSByteSize: 13324 bytes/workgroup (compile time only)
; SGPRBlocks: 6
; VGPRBlocks: 7
; NumSGPRsForWavesPerEU: 50
; NumVGPRsForWavesPerEU: 61
; AccumOffset: 64
; Occupancy: 4
; WaveLimiterHint : 0
; COMPUTE_PGM_RSRC2:SCRATCH_EN: 0
; COMPUTE_PGM_RSRC2:USER_SGPR: 6
; COMPUTE_PGM_RSRC2:TRAP_HANDLER: 0
; COMPUTE_PGM_RSRC2:TGID_X_EN: 1
; COMPUTE_PGM_RSRC2:TGID_Y_EN: 0
; COMPUTE_PGM_RSRC2:TGID_Z_EN: 0
; COMPUTE_PGM_RSRC2:TIDIG_COMP_CNT: 0
; COMPUTE_PGM_RSRC3_GFX90A:ACCUM_OFFSET: 15
; COMPUTE_PGM_RSRC3_GFX90A:TG_SPLIT: 0
	.section	.text._ZN7rocprim17ROCPRIM_400000_NS6detail17trampoline_kernelINS0_13select_configILj256ELj13ELNS0_17block_load_methodE3ELS4_3ELS4_3ELNS0_20block_scan_algorithmE0ELj4294967295EEENS1_25partition_config_selectorILNS1_17partition_subalgoE3EjNS0_10empty_typeEbEEZZNS1_14partition_implILS8_3ELb0ES6_jNS0_17counting_iteratorIjlEEPS9_SE_NS0_5tupleIJPjSE_EEENSF_IJSE_SE_EEES9_SG_JZNS1_25segmented_radix_sort_implINS0_14default_configELb1EPKbPbPKlPlN2at6native12_GLOBAL__N_18offset_tEEE10hipError_tPvRmT1_PNSt15iterator_traitsISY_E10value_typeET2_T3_PNSZ_IS14_E10value_typeET4_jRbjT5_S1A_jjP12ihipStream_tbEUljE_EEESV_SW_SX_S14_S18_S1A_T6_T7_T9_mT8_S1C_bDpT10_ENKUlT_T0_E_clISt17integral_constantIbLb0EES1P_EEDaS1K_S1L_EUlS1K_E_NS1_11comp_targetILNS1_3genE3ELNS1_11target_archE908ELNS1_3gpuE7ELNS1_3repE0EEENS1_30default_config_static_selectorELNS0_4arch9wavefront6targetE1EEEvSY_,"axG",@progbits,_ZN7rocprim17ROCPRIM_400000_NS6detail17trampoline_kernelINS0_13select_configILj256ELj13ELNS0_17block_load_methodE3ELS4_3ELS4_3ELNS0_20block_scan_algorithmE0ELj4294967295EEENS1_25partition_config_selectorILNS1_17partition_subalgoE3EjNS0_10empty_typeEbEEZZNS1_14partition_implILS8_3ELb0ES6_jNS0_17counting_iteratorIjlEEPS9_SE_NS0_5tupleIJPjSE_EEENSF_IJSE_SE_EEES9_SG_JZNS1_25segmented_radix_sort_implINS0_14default_configELb1EPKbPbPKlPlN2at6native12_GLOBAL__N_18offset_tEEE10hipError_tPvRmT1_PNSt15iterator_traitsISY_E10value_typeET2_T3_PNSZ_IS14_E10value_typeET4_jRbjT5_S1A_jjP12ihipStream_tbEUljE_EEESV_SW_SX_S14_S18_S1A_T6_T7_T9_mT8_S1C_bDpT10_ENKUlT_T0_E_clISt17integral_constantIbLb0EES1P_EEDaS1K_S1L_EUlS1K_E_NS1_11comp_targetILNS1_3genE3ELNS1_11target_archE908ELNS1_3gpuE7ELNS1_3repE0EEENS1_30default_config_static_selectorELNS0_4arch9wavefront6targetE1EEEvSY_,comdat
	.globl	_ZN7rocprim17ROCPRIM_400000_NS6detail17trampoline_kernelINS0_13select_configILj256ELj13ELNS0_17block_load_methodE3ELS4_3ELS4_3ELNS0_20block_scan_algorithmE0ELj4294967295EEENS1_25partition_config_selectorILNS1_17partition_subalgoE3EjNS0_10empty_typeEbEEZZNS1_14partition_implILS8_3ELb0ES6_jNS0_17counting_iteratorIjlEEPS9_SE_NS0_5tupleIJPjSE_EEENSF_IJSE_SE_EEES9_SG_JZNS1_25segmented_radix_sort_implINS0_14default_configELb1EPKbPbPKlPlN2at6native12_GLOBAL__N_18offset_tEEE10hipError_tPvRmT1_PNSt15iterator_traitsISY_E10value_typeET2_T3_PNSZ_IS14_E10value_typeET4_jRbjT5_S1A_jjP12ihipStream_tbEUljE_EEESV_SW_SX_S14_S18_S1A_T6_T7_T9_mT8_S1C_bDpT10_ENKUlT_T0_E_clISt17integral_constantIbLb0EES1P_EEDaS1K_S1L_EUlS1K_E_NS1_11comp_targetILNS1_3genE3ELNS1_11target_archE908ELNS1_3gpuE7ELNS1_3repE0EEENS1_30default_config_static_selectorELNS0_4arch9wavefront6targetE1EEEvSY_ ; -- Begin function _ZN7rocprim17ROCPRIM_400000_NS6detail17trampoline_kernelINS0_13select_configILj256ELj13ELNS0_17block_load_methodE3ELS4_3ELS4_3ELNS0_20block_scan_algorithmE0ELj4294967295EEENS1_25partition_config_selectorILNS1_17partition_subalgoE3EjNS0_10empty_typeEbEEZZNS1_14partition_implILS8_3ELb0ES6_jNS0_17counting_iteratorIjlEEPS9_SE_NS0_5tupleIJPjSE_EEENSF_IJSE_SE_EEES9_SG_JZNS1_25segmented_radix_sort_implINS0_14default_configELb1EPKbPbPKlPlN2at6native12_GLOBAL__N_18offset_tEEE10hipError_tPvRmT1_PNSt15iterator_traitsISY_E10value_typeET2_T3_PNSZ_IS14_E10value_typeET4_jRbjT5_S1A_jjP12ihipStream_tbEUljE_EEESV_SW_SX_S14_S18_S1A_T6_T7_T9_mT8_S1C_bDpT10_ENKUlT_T0_E_clISt17integral_constantIbLb0EES1P_EEDaS1K_S1L_EUlS1K_E_NS1_11comp_targetILNS1_3genE3ELNS1_11target_archE908ELNS1_3gpuE7ELNS1_3repE0EEENS1_30default_config_static_selectorELNS0_4arch9wavefront6targetE1EEEvSY_
	.p2align	8
	.type	_ZN7rocprim17ROCPRIM_400000_NS6detail17trampoline_kernelINS0_13select_configILj256ELj13ELNS0_17block_load_methodE3ELS4_3ELS4_3ELNS0_20block_scan_algorithmE0ELj4294967295EEENS1_25partition_config_selectorILNS1_17partition_subalgoE3EjNS0_10empty_typeEbEEZZNS1_14partition_implILS8_3ELb0ES6_jNS0_17counting_iteratorIjlEEPS9_SE_NS0_5tupleIJPjSE_EEENSF_IJSE_SE_EEES9_SG_JZNS1_25segmented_radix_sort_implINS0_14default_configELb1EPKbPbPKlPlN2at6native12_GLOBAL__N_18offset_tEEE10hipError_tPvRmT1_PNSt15iterator_traitsISY_E10value_typeET2_T3_PNSZ_IS14_E10value_typeET4_jRbjT5_S1A_jjP12ihipStream_tbEUljE_EEESV_SW_SX_S14_S18_S1A_T6_T7_T9_mT8_S1C_bDpT10_ENKUlT_T0_E_clISt17integral_constantIbLb0EES1P_EEDaS1K_S1L_EUlS1K_E_NS1_11comp_targetILNS1_3genE3ELNS1_11target_archE908ELNS1_3gpuE7ELNS1_3repE0EEENS1_30default_config_static_selectorELNS0_4arch9wavefront6targetE1EEEvSY_,@function
_ZN7rocprim17ROCPRIM_400000_NS6detail17trampoline_kernelINS0_13select_configILj256ELj13ELNS0_17block_load_methodE3ELS4_3ELS4_3ELNS0_20block_scan_algorithmE0ELj4294967295EEENS1_25partition_config_selectorILNS1_17partition_subalgoE3EjNS0_10empty_typeEbEEZZNS1_14partition_implILS8_3ELb0ES6_jNS0_17counting_iteratorIjlEEPS9_SE_NS0_5tupleIJPjSE_EEENSF_IJSE_SE_EEES9_SG_JZNS1_25segmented_radix_sort_implINS0_14default_configELb1EPKbPbPKlPlN2at6native12_GLOBAL__N_18offset_tEEE10hipError_tPvRmT1_PNSt15iterator_traitsISY_E10value_typeET2_T3_PNSZ_IS14_E10value_typeET4_jRbjT5_S1A_jjP12ihipStream_tbEUljE_EEESV_SW_SX_S14_S18_S1A_T6_T7_T9_mT8_S1C_bDpT10_ENKUlT_T0_E_clISt17integral_constantIbLb0EES1P_EEDaS1K_S1L_EUlS1K_E_NS1_11comp_targetILNS1_3genE3ELNS1_11target_archE908ELNS1_3gpuE7ELNS1_3repE0EEENS1_30default_config_static_selectorELNS0_4arch9wavefront6targetE1EEEvSY_: ; @_ZN7rocprim17ROCPRIM_400000_NS6detail17trampoline_kernelINS0_13select_configILj256ELj13ELNS0_17block_load_methodE3ELS4_3ELS4_3ELNS0_20block_scan_algorithmE0ELj4294967295EEENS1_25partition_config_selectorILNS1_17partition_subalgoE3EjNS0_10empty_typeEbEEZZNS1_14partition_implILS8_3ELb0ES6_jNS0_17counting_iteratorIjlEEPS9_SE_NS0_5tupleIJPjSE_EEENSF_IJSE_SE_EEES9_SG_JZNS1_25segmented_radix_sort_implINS0_14default_configELb1EPKbPbPKlPlN2at6native12_GLOBAL__N_18offset_tEEE10hipError_tPvRmT1_PNSt15iterator_traitsISY_E10value_typeET2_T3_PNSZ_IS14_E10value_typeET4_jRbjT5_S1A_jjP12ihipStream_tbEUljE_EEESV_SW_SX_S14_S18_S1A_T6_T7_T9_mT8_S1C_bDpT10_ENKUlT_T0_E_clISt17integral_constantIbLb0EES1P_EEDaS1K_S1L_EUlS1K_E_NS1_11comp_targetILNS1_3genE3ELNS1_11target_archE908ELNS1_3gpuE7ELNS1_3repE0EEENS1_30default_config_static_selectorELNS0_4arch9wavefront6targetE1EEEvSY_
; %bb.0:
	.section	.rodata,"a",@progbits
	.p2align	6, 0x0
	.amdhsa_kernel _ZN7rocprim17ROCPRIM_400000_NS6detail17trampoline_kernelINS0_13select_configILj256ELj13ELNS0_17block_load_methodE3ELS4_3ELS4_3ELNS0_20block_scan_algorithmE0ELj4294967295EEENS1_25partition_config_selectorILNS1_17partition_subalgoE3EjNS0_10empty_typeEbEEZZNS1_14partition_implILS8_3ELb0ES6_jNS0_17counting_iteratorIjlEEPS9_SE_NS0_5tupleIJPjSE_EEENSF_IJSE_SE_EEES9_SG_JZNS1_25segmented_radix_sort_implINS0_14default_configELb1EPKbPbPKlPlN2at6native12_GLOBAL__N_18offset_tEEE10hipError_tPvRmT1_PNSt15iterator_traitsISY_E10value_typeET2_T3_PNSZ_IS14_E10value_typeET4_jRbjT5_S1A_jjP12ihipStream_tbEUljE_EEESV_SW_SX_S14_S18_S1A_T6_T7_T9_mT8_S1C_bDpT10_ENKUlT_T0_E_clISt17integral_constantIbLb0EES1P_EEDaS1K_S1L_EUlS1K_E_NS1_11comp_targetILNS1_3genE3ELNS1_11target_archE908ELNS1_3gpuE7ELNS1_3repE0EEENS1_30default_config_static_selectorELNS0_4arch9wavefront6targetE1EEEvSY_
		.amdhsa_group_segment_fixed_size 0
		.amdhsa_private_segment_fixed_size 0
		.amdhsa_kernarg_size 144
		.amdhsa_user_sgpr_count 6
		.amdhsa_user_sgpr_private_segment_buffer 1
		.amdhsa_user_sgpr_dispatch_ptr 0
		.amdhsa_user_sgpr_queue_ptr 0
		.amdhsa_user_sgpr_kernarg_segment_ptr 1
		.amdhsa_user_sgpr_dispatch_id 0
		.amdhsa_user_sgpr_flat_scratch_init 0
		.amdhsa_user_sgpr_kernarg_preload_length 0
		.amdhsa_user_sgpr_kernarg_preload_offset 0
		.amdhsa_user_sgpr_private_segment_size 0
		.amdhsa_uses_dynamic_stack 0
		.amdhsa_system_sgpr_private_segment_wavefront_offset 0
		.amdhsa_system_sgpr_workgroup_id_x 1
		.amdhsa_system_sgpr_workgroup_id_y 0
		.amdhsa_system_sgpr_workgroup_id_z 0
		.amdhsa_system_sgpr_workgroup_info 0
		.amdhsa_system_vgpr_workitem_id 0
		.amdhsa_next_free_vgpr 1
		.amdhsa_next_free_sgpr 0
		.amdhsa_accum_offset 4
		.amdhsa_reserve_vcc 0
		.amdhsa_reserve_flat_scratch 0
		.amdhsa_float_round_mode_32 0
		.amdhsa_float_round_mode_16_64 0
		.amdhsa_float_denorm_mode_32 3
		.amdhsa_float_denorm_mode_16_64 3
		.amdhsa_dx10_clamp 1
		.amdhsa_ieee_mode 1
		.amdhsa_fp16_overflow 0
		.amdhsa_tg_split 0
		.amdhsa_exception_fp_ieee_invalid_op 0
		.amdhsa_exception_fp_denorm_src 0
		.amdhsa_exception_fp_ieee_div_zero 0
		.amdhsa_exception_fp_ieee_overflow 0
		.amdhsa_exception_fp_ieee_underflow 0
		.amdhsa_exception_fp_ieee_inexact 0
		.amdhsa_exception_int_div_zero 0
	.end_amdhsa_kernel
	.section	.text._ZN7rocprim17ROCPRIM_400000_NS6detail17trampoline_kernelINS0_13select_configILj256ELj13ELNS0_17block_load_methodE3ELS4_3ELS4_3ELNS0_20block_scan_algorithmE0ELj4294967295EEENS1_25partition_config_selectorILNS1_17partition_subalgoE3EjNS0_10empty_typeEbEEZZNS1_14partition_implILS8_3ELb0ES6_jNS0_17counting_iteratorIjlEEPS9_SE_NS0_5tupleIJPjSE_EEENSF_IJSE_SE_EEES9_SG_JZNS1_25segmented_radix_sort_implINS0_14default_configELb1EPKbPbPKlPlN2at6native12_GLOBAL__N_18offset_tEEE10hipError_tPvRmT1_PNSt15iterator_traitsISY_E10value_typeET2_T3_PNSZ_IS14_E10value_typeET4_jRbjT5_S1A_jjP12ihipStream_tbEUljE_EEESV_SW_SX_S14_S18_S1A_T6_T7_T9_mT8_S1C_bDpT10_ENKUlT_T0_E_clISt17integral_constantIbLb0EES1P_EEDaS1K_S1L_EUlS1K_E_NS1_11comp_targetILNS1_3genE3ELNS1_11target_archE908ELNS1_3gpuE7ELNS1_3repE0EEENS1_30default_config_static_selectorELNS0_4arch9wavefront6targetE1EEEvSY_,"axG",@progbits,_ZN7rocprim17ROCPRIM_400000_NS6detail17trampoline_kernelINS0_13select_configILj256ELj13ELNS0_17block_load_methodE3ELS4_3ELS4_3ELNS0_20block_scan_algorithmE0ELj4294967295EEENS1_25partition_config_selectorILNS1_17partition_subalgoE3EjNS0_10empty_typeEbEEZZNS1_14partition_implILS8_3ELb0ES6_jNS0_17counting_iteratorIjlEEPS9_SE_NS0_5tupleIJPjSE_EEENSF_IJSE_SE_EEES9_SG_JZNS1_25segmented_radix_sort_implINS0_14default_configELb1EPKbPbPKlPlN2at6native12_GLOBAL__N_18offset_tEEE10hipError_tPvRmT1_PNSt15iterator_traitsISY_E10value_typeET2_T3_PNSZ_IS14_E10value_typeET4_jRbjT5_S1A_jjP12ihipStream_tbEUljE_EEESV_SW_SX_S14_S18_S1A_T6_T7_T9_mT8_S1C_bDpT10_ENKUlT_T0_E_clISt17integral_constantIbLb0EES1P_EEDaS1K_S1L_EUlS1K_E_NS1_11comp_targetILNS1_3genE3ELNS1_11target_archE908ELNS1_3gpuE7ELNS1_3repE0EEENS1_30default_config_static_selectorELNS0_4arch9wavefront6targetE1EEEvSY_,comdat
.Lfunc_end1501:
	.size	_ZN7rocprim17ROCPRIM_400000_NS6detail17trampoline_kernelINS0_13select_configILj256ELj13ELNS0_17block_load_methodE3ELS4_3ELS4_3ELNS0_20block_scan_algorithmE0ELj4294967295EEENS1_25partition_config_selectorILNS1_17partition_subalgoE3EjNS0_10empty_typeEbEEZZNS1_14partition_implILS8_3ELb0ES6_jNS0_17counting_iteratorIjlEEPS9_SE_NS0_5tupleIJPjSE_EEENSF_IJSE_SE_EEES9_SG_JZNS1_25segmented_radix_sort_implINS0_14default_configELb1EPKbPbPKlPlN2at6native12_GLOBAL__N_18offset_tEEE10hipError_tPvRmT1_PNSt15iterator_traitsISY_E10value_typeET2_T3_PNSZ_IS14_E10value_typeET4_jRbjT5_S1A_jjP12ihipStream_tbEUljE_EEESV_SW_SX_S14_S18_S1A_T6_T7_T9_mT8_S1C_bDpT10_ENKUlT_T0_E_clISt17integral_constantIbLb0EES1P_EEDaS1K_S1L_EUlS1K_E_NS1_11comp_targetILNS1_3genE3ELNS1_11target_archE908ELNS1_3gpuE7ELNS1_3repE0EEENS1_30default_config_static_selectorELNS0_4arch9wavefront6targetE1EEEvSY_, .Lfunc_end1501-_ZN7rocprim17ROCPRIM_400000_NS6detail17trampoline_kernelINS0_13select_configILj256ELj13ELNS0_17block_load_methodE3ELS4_3ELS4_3ELNS0_20block_scan_algorithmE0ELj4294967295EEENS1_25partition_config_selectorILNS1_17partition_subalgoE3EjNS0_10empty_typeEbEEZZNS1_14partition_implILS8_3ELb0ES6_jNS0_17counting_iteratorIjlEEPS9_SE_NS0_5tupleIJPjSE_EEENSF_IJSE_SE_EEES9_SG_JZNS1_25segmented_radix_sort_implINS0_14default_configELb1EPKbPbPKlPlN2at6native12_GLOBAL__N_18offset_tEEE10hipError_tPvRmT1_PNSt15iterator_traitsISY_E10value_typeET2_T3_PNSZ_IS14_E10value_typeET4_jRbjT5_S1A_jjP12ihipStream_tbEUljE_EEESV_SW_SX_S14_S18_S1A_T6_T7_T9_mT8_S1C_bDpT10_ENKUlT_T0_E_clISt17integral_constantIbLb0EES1P_EEDaS1K_S1L_EUlS1K_E_NS1_11comp_targetILNS1_3genE3ELNS1_11target_archE908ELNS1_3gpuE7ELNS1_3repE0EEENS1_30default_config_static_selectorELNS0_4arch9wavefront6targetE1EEEvSY_
                                        ; -- End function
	.section	.AMDGPU.csdata,"",@progbits
; Kernel info:
; codeLenInByte = 0
; NumSgprs: 4
; NumVgprs: 0
; NumAgprs: 0
; TotalNumVgprs: 0
; ScratchSize: 0
; MemoryBound: 0
; FloatMode: 240
; IeeeMode: 1
; LDSByteSize: 0 bytes/workgroup (compile time only)
; SGPRBlocks: 0
; VGPRBlocks: 0
; NumSGPRsForWavesPerEU: 4
; NumVGPRsForWavesPerEU: 1
; AccumOffset: 4
; Occupancy: 8
; WaveLimiterHint : 0
; COMPUTE_PGM_RSRC2:SCRATCH_EN: 0
; COMPUTE_PGM_RSRC2:USER_SGPR: 6
; COMPUTE_PGM_RSRC2:TRAP_HANDLER: 0
; COMPUTE_PGM_RSRC2:TGID_X_EN: 1
; COMPUTE_PGM_RSRC2:TGID_Y_EN: 0
; COMPUTE_PGM_RSRC2:TGID_Z_EN: 0
; COMPUTE_PGM_RSRC2:TIDIG_COMP_CNT: 0
; COMPUTE_PGM_RSRC3_GFX90A:ACCUM_OFFSET: 0
; COMPUTE_PGM_RSRC3_GFX90A:TG_SPLIT: 0
	.section	.text._ZN7rocprim17ROCPRIM_400000_NS6detail17trampoline_kernelINS0_13select_configILj256ELj13ELNS0_17block_load_methodE3ELS4_3ELS4_3ELNS0_20block_scan_algorithmE0ELj4294967295EEENS1_25partition_config_selectorILNS1_17partition_subalgoE3EjNS0_10empty_typeEbEEZZNS1_14partition_implILS8_3ELb0ES6_jNS0_17counting_iteratorIjlEEPS9_SE_NS0_5tupleIJPjSE_EEENSF_IJSE_SE_EEES9_SG_JZNS1_25segmented_radix_sort_implINS0_14default_configELb1EPKbPbPKlPlN2at6native12_GLOBAL__N_18offset_tEEE10hipError_tPvRmT1_PNSt15iterator_traitsISY_E10value_typeET2_T3_PNSZ_IS14_E10value_typeET4_jRbjT5_S1A_jjP12ihipStream_tbEUljE_EEESV_SW_SX_S14_S18_S1A_T6_T7_T9_mT8_S1C_bDpT10_ENKUlT_T0_E_clISt17integral_constantIbLb0EES1P_EEDaS1K_S1L_EUlS1K_E_NS1_11comp_targetILNS1_3genE2ELNS1_11target_archE906ELNS1_3gpuE6ELNS1_3repE0EEENS1_30default_config_static_selectorELNS0_4arch9wavefront6targetE1EEEvSY_,"axG",@progbits,_ZN7rocprim17ROCPRIM_400000_NS6detail17trampoline_kernelINS0_13select_configILj256ELj13ELNS0_17block_load_methodE3ELS4_3ELS4_3ELNS0_20block_scan_algorithmE0ELj4294967295EEENS1_25partition_config_selectorILNS1_17partition_subalgoE3EjNS0_10empty_typeEbEEZZNS1_14partition_implILS8_3ELb0ES6_jNS0_17counting_iteratorIjlEEPS9_SE_NS0_5tupleIJPjSE_EEENSF_IJSE_SE_EEES9_SG_JZNS1_25segmented_radix_sort_implINS0_14default_configELb1EPKbPbPKlPlN2at6native12_GLOBAL__N_18offset_tEEE10hipError_tPvRmT1_PNSt15iterator_traitsISY_E10value_typeET2_T3_PNSZ_IS14_E10value_typeET4_jRbjT5_S1A_jjP12ihipStream_tbEUljE_EEESV_SW_SX_S14_S18_S1A_T6_T7_T9_mT8_S1C_bDpT10_ENKUlT_T0_E_clISt17integral_constantIbLb0EES1P_EEDaS1K_S1L_EUlS1K_E_NS1_11comp_targetILNS1_3genE2ELNS1_11target_archE906ELNS1_3gpuE6ELNS1_3repE0EEENS1_30default_config_static_selectorELNS0_4arch9wavefront6targetE1EEEvSY_,comdat
	.globl	_ZN7rocprim17ROCPRIM_400000_NS6detail17trampoline_kernelINS0_13select_configILj256ELj13ELNS0_17block_load_methodE3ELS4_3ELS4_3ELNS0_20block_scan_algorithmE0ELj4294967295EEENS1_25partition_config_selectorILNS1_17partition_subalgoE3EjNS0_10empty_typeEbEEZZNS1_14partition_implILS8_3ELb0ES6_jNS0_17counting_iteratorIjlEEPS9_SE_NS0_5tupleIJPjSE_EEENSF_IJSE_SE_EEES9_SG_JZNS1_25segmented_radix_sort_implINS0_14default_configELb1EPKbPbPKlPlN2at6native12_GLOBAL__N_18offset_tEEE10hipError_tPvRmT1_PNSt15iterator_traitsISY_E10value_typeET2_T3_PNSZ_IS14_E10value_typeET4_jRbjT5_S1A_jjP12ihipStream_tbEUljE_EEESV_SW_SX_S14_S18_S1A_T6_T7_T9_mT8_S1C_bDpT10_ENKUlT_T0_E_clISt17integral_constantIbLb0EES1P_EEDaS1K_S1L_EUlS1K_E_NS1_11comp_targetILNS1_3genE2ELNS1_11target_archE906ELNS1_3gpuE6ELNS1_3repE0EEENS1_30default_config_static_selectorELNS0_4arch9wavefront6targetE1EEEvSY_ ; -- Begin function _ZN7rocprim17ROCPRIM_400000_NS6detail17trampoline_kernelINS0_13select_configILj256ELj13ELNS0_17block_load_methodE3ELS4_3ELS4_3ELNS0_20block_scan_algorithmE0ELj4294967295EEENS1_25partition_config_selectorILNS1_17partition_subalgoE3EjNS0_10empty_typeEbEEZZNS1_14partition_implILS8_3ELb0ES6_jNS0_17counting_iteratorIjlEEPS9_SE_NS0_5tupleIJPjSE_EEENSF_IJSE_SE_EEES9_SG_JZNS1_25segmented_radix_sort_implINS0_14default_configELb1EPKbPbPKlPlN2at6native12_GLOBAL__N_18offset_tEEE10hipError_tPvRmT1_PNSt15iterator_traitsISY_E10value_typeET2_T3_PNSZ_IS14_E10value_typeET4_jRbjT5_S1A_jjP12ihipStream_tbEUljE_EEESV_SW_SX_S14_S18_S1A_T6_T7_T9_mT8_S1C_bDpT10_ENKUlT_T0_E_clISt17integral_constantIbLb0EES1P_EEDaS1K_S1L_EUlS1K_E_NS1_11comp_targetILNS1_3genE2ELNS1_11target_archE906ELNS1_3gpuE6ELNS1_3repE0EEENS1_30default_config_static_selectorELNS0_4arch9wavefront6targetE1EEEvSY_
	.p2align	8
	.type	_ZN7rocprim17ROCPRIM_400000_NS6detail17trampoline_kernelINS0_13select_configILj256ELj13ELNS0_17block_load_methodE3ELS4_3ELS4_3ELNS0_20block_scan_algorithmE0ELj4294967295EEENS1_25partition_config_selectorILNS1_17partition_subalgoE3EjNS0_10empty_typeEbEEZZNS1_14partition_implILS8_3ELb0ES6_jNS0_17counting_iteratorIjlEEPS9_SE_NS0_5tupleIJPjSE_EEENSF_IJSE_SE_EEES9_SG_JZNS1_25segmented_radix_sort_implINS0_14default_configELb1EPKbPbPKlPlN2at6native12_GLOBAL__N_18offset_tEEE10hipError_tPvRmT1_PNSt15iterator_traitsISY_E10value_typeET2_T3_PNSZ_IS14_E10value_typeET4_jRbjT5_S1A_jjP12ihipStream_tbEUljE_EEESV_SW_SX_S14_S18_S1A_T6_T7_T9_mT8_S1C_bDpT10_ENKUlT_T0_E_clISt17integral_constantIbLb0EES1P_EEDaS1K_S1L_EUlS1K_E_NS1_11comp_targetILNS1_3genE2ELNS1_11target_archE906ELNS1_3gpuE6ELNS1_3repE0EEENS1_30default_config_static_selectorELNS0_4arch9wavefront6targetE1EEEvSY_,@function
_ZN7rocprim17ROCPRIM_400000_NS6detail17trampoline_kernelINS0_13select_configILj256ELj13ELNS0_17block_load_methodE3ELS4_3ELS4_3ELNS0_20block_scan_algorithmE0ELj4294967295EEENS1_25partition_config_selectorILNS1_17partition_subalgoE3EjNS0_10empty_typeEbEEZZNS1_14partition_implILS8_3ELb0ES6_jNS0_17counting_iteratorIjlEEPS9_SE_NS0_5tupleIJPjSE_EEENSF_IJSE_SE_EEES9_SG_JZNS1_25segmented_radix_sort_implINS0_14default_configELb1EPKbPbPKlPlN2at6native12_GLOBAL__N_18offset_tEEE10hipError_tPvRmT1_PNSt15iterator_traitsISY_E10value_typeET2_T3_PNSZ_IS14_E10value_typeET4_jRbjT5_S1A_jjP12ihipStream_tbEUljE_EEESV_SW_SX_S14_S18_S1A_T6_T7_T9_mT8_S1C_bDpT10_ENKUlT_T0_E_clISt17integral_constantIbLb0EES1P_EEDaS1K_S1L_EUlS1K_E_NS1_11comp_targetILNS1_3genE2ELNS1_11target_archE906ELNS1_3gpuE6ELNS1_3repE0EEENS1_30default_config_static_selectorELNS0_4arch9wavefront6targetE1EEEvSY_: ; @_ZN7rocprim17ROCPRIM_400000_NS6detail17trampoline_kernelINS0_13select_configILj256ELj13ELNS0_17block_load_methodE3ELS4_3ELS4_3ELNS0_20block_scan_algorithmE0ELj4294967295EEENS1_25partition_config_selectorILNS1_17partition_subalgoE3EjNS0_10empty_typeEbEEZZNS1_14partition_implILS8_3ELb0ES6_jNS0_17counting_iteratorIjlEEPS9_SE_NS0_5tupleIJPjSE_EEENSF_IJSE_SE_EEES9_SG_JZNS1_25segmented_radix_sort_implINS0_14default_configELb1EPKbPbPKlPlN2at6native12_GLOBAL__N_18offset_tEEE10hipError_tPvRmT1_PNSt15iterator_traitsISY_E10value_typeET2_T3_PNSZ_IS14_E10value_typeET4_jRbjT5_S1A_jjP12ihipStream_tbEUljE_EEESV_SW_SX_S14_S18_S1A_T6_T7_T9_mT8_S1C_bDpT10_ENKUlT_T0_E_clISt17integral_constantIbLb0EES1P_EEDaS1K_S1L_EUlS1K_E_NS1_11comp_targetILNS1_3genE2ELNS1_11target_archE906ELNS1_3gpuE6ELNS1_3repE0EEENS1_30default_config_static_selectorELNS0_4arch9wavefront6targetE1EEEvSY_
; %bb.0:
	.section	.rodata,"a",@progbits
	.p2align	6, 0x0
	.amdhsa_kernel _ZN7rocprim17ROCPRIM_400000_NS6detail17trampoline_kernelINS0_13select_configILj256ELj13ELNS0_17block_load_methodE3ELS4_3ELS4_3ELNS0_20block_scan_algorithmE0ELj4294967295EEENS1_25partition_config_selectorILNS1_17partition_subalgoE3EjNS0_10empty_typeEbEEZZNS1_14partition_implILS8_3ELb0ES6_jNS0_17counting_iteratorIjlEEPS9_SE_NS0_5tupleIJPjSE_EEENSF_IJSE_SE_EEES9_SG_JZNS1_25segmented_radix_sort_implINS0_14default_configELb1EPKbPbPKlPlN2at6native12_GLOBAL__N_18offset_tEEE10hipError_tPvRmT1_PNSt15iterator_traitsISY_E10value_typeET2_T3_PNSZ_IS14_E10value_typeET4_jRbjT5_S1A_jjP12ihipStream_tbEUljE_EEESV_SW_SX_S14_S18_S1A_T6_T7_T9_mT8_S1C_bDpT10_ENKUlT_T0_E_clISt17integral_constantIbLb0EES1P_EEDaS1K_S1L_EUlS1K_E_NS1_11comp_targetILNS1_3genE2ELNS1_11target_archE906ELNS1_3gpuE6ELNS1_3repE0EEENS1_30default_config_static_selectorELNS0_4arch9wavefront6targetE1EEEvSY_
		.amdhsa_group_segment_fixed_size 0
		.amdhsa_private_segment_fixed_size 0
		.amdhsa_kernarg_size 144
		.amdhsa_user_sgpr_count 6
		.amdhsa_user_sgpr_private_segment_buffer 1
		.amdhsa_user_sgpr_dispatch_ptr 0
		.amdhsa_user_sgpr_queue_ptr 0
		.amdhsa_user_sgpr_kernarg_segment_ptr 1
		.amdhsa_user_sgpr_dispatch_id 0
		.amdhsa_user_sgpr_flat_scratch_init 0
		.amdhsa_user_sgpr_kernarg_preload_length 0
		.amdhsa_user_sgpr_kernarg_preload_offset 0
		.amdhsa_user_sgpr_private_segment_size 0
		.amdhsa_uses_dynamic_stack 0
		.amdhsa_system_sgpr_private_segment_wavefront_offset 0
		.amdhsa_system_sgpr_workgroup_id_x 1
		.amdhsa_system_sgpr_workgroup_id_y 0
		.amdhsa_system_sgpr_workgroup_id_z 0
		.amdhsa_system_sgpr_workgroup_info 0
		.amdhsa_system_vgpr_workitem_id 0
		.amdhsa_next_free_vgpr 1
		.amdhsa_next_free_sgpr 0
		.amdhsa_accum_offset 4
		.amdhsa_reserve_vcc 0
		.amdhsa_reserve_flat_scratch 0
		.amdhsa_float_round_mode_32 0
		.amdhsa_float_round_mode_16_64 0
		.amdhsa_float_denorm_mode_32 3
		.amdhsa_float_denorm_mode_16_64 3
		.amdhsa_dx10_clamp 1
		.amdhsa_ieee_mode 1
		.amdhsa_fp16_overflow 0
		.amdhsa_tg_split 0
		.amdhsa_exception_fp_ieee_invalid_op 0
		.amdhsa_exception_fp_denorm_src 0
		.amdhsa_exception_fp_ieee_div_zero 0
		.amdhsa_exception_fp_ieee_overflow 0
		.amdhsa_exception_fp_ieee_underflow 0
		.amdhsa_exception_fp_ieee_inexact 0
		.amdhsa_exception_int_div_zero 0
	.end_amdhsa_kernel
	.section	.text._ZN7rocprim17ROCPRIM_400000_NS6detail17trampoline_kernelINS0_13select_configILj256ELj13ELNS0_17block_load_methodE3ELS4_3ELS4_3ELNS0_20block_scan_algorithmE0ELj4294967295EEENS1_25partition_config_selectorILNS1_17partition_subalgoE3EjNS0_10empty_typeEbEEZZNS1_14partition_implILS8_3ELb0ES6_jNS0_17counting_iteratorIjlEEPS9_SE_NS0_5tupleIJPjSE_EEENSF_IJSE_SE_EEES9_SG_JZNS1_25segmented_radix_sort_implINS0_14default_configELb1EPKbPbPKlPlN2at6native12_GLOBAL__N_18offset_tEEE10hipError_tPvRmT1_PNSt15iterator_traitsISY_E10value_typeET2_T3_PNSZ_IS14_E10value_typeET4_jRbjT5_S1A_jjP12ihipStream_tbEUljE_EEESV_SW_SX_S14_S18_S1A_T6_T7_T9_mT8_S1C_bDpT10_ENKUlT_T0_E_clISt17integral_constantIbLb0EES1P_EEDaS1K_S1L_EUlS1K_E_NS1_11comp_targetILNS1_3genE2ELNS1_11target_archE906ELNS1_3gpuE6ELNS1_3repE0EEENS1_30default_config_static_selectorELNS0_4arch9wavefront6targetE1EEEvSY_,"axG",@progbits,_ZN7rocprim17ROCPRIM_400000_NS6detail17trampoline_kernelINS0_13select_configILj256ELj13ELNS0_17block_load_methodE3ELS4_3ELS4_3ELNS0_20block_scan_algorithmE0ELj4294967295EEENS1_25partition_config_selectorILNS1_17partition_subalgoE3EjNS0_10empty_typeEbEEZZNS1_14partition_implILS8_3ELb0ES6_jNS0_17counting_iteratorIjlEEPS9_SE_NS0_5tupleIJPjSE_EEENSF_IJSE_SE_EEES9_SG_JZNS1_25segmented_radix_sort_implINS0_14default_configELb1EPKbPbPKlPlN2at6native12_GLOBAL__N_18offset_tEEE10hipError_tPvRmT1_PNSt15iterator_traitsISY_E10value_typeET2_T3_PNSZ_IS14_E10value_typeET4_jRbjT5_S1A_jjP12ihipStream_tbEUljE_EEESV_SW_SX_S14_S18_S1A_T6_T7_T9_mT8_S1C_bDpT10_ENKUlT_T0_E_clISt17integral_constantIbLb0EES1P_EEDaS1K_S1L_EUlS1K_E_NS1_11comp_targetILNS1_3genE2ELNS1_11target_archE906ELNS1_3gpuE6ELNS1_3repE0EEENS1_30default_config_static_selectorELNS0_4arch9wavefront6targetE1EEEvSY_,comdat
.Lfunc_end1502:
	.size	_ZN7rocprim17ROCPRIM_400000_NS6detail17trampoline_kernelINS0_13select_configILj256ELj13ELNS0_17block_load_methodE3ELS4_3ELS4_3ELNS0_20block_scan_algorithmE0ELj4294967295EEENS1_25partition_config_selectorILNS1_17partition_subalgoE3EjNS0_10empty_typeEbEEZZNS1_14partition_implILS8_3ELb0ES6_jNS0_17counting_iteratorIjlEEPS9_SE_NS0_5tupleIJPjSE_EEENSF_IJSE_SE_EEES9_SG_JZNS1_25segmented_radix_sort_implINS0_14default_configELb1EPKbPbPKlPlN2at6native12_GLOBAL__N_18offset_tEEE10hipError_tPvRmT1_PNSt15iterator_traitsISY_E10value_typeET2_T3_PNSZ_IS14_E10value_typeET4_jRbjT5_S1A_jjP12ihipStream_tbEUljE_EEESV_SW_SX_S14_S18_S1A_T6_T7_T9_mT8_S1C_bDpT10_ENKUlT_T0_E_clISt17integral_constantIbLb0EES1P_EEDaS1K_S1L_EUlS1K_E_NS1_11comp_targetILNS1_3genE2ELNS1_11target_archE906ELNS1_3gpuE6ELNS1_3repE0EEENS1_30default_config_static_selectorELNS0_4arch9wavefront6targetE1EEEvSY_, .Lfunc_end1502-_ZN7rocprim17ROCPRIM_400000_NS6detail17trampoline_kernelINS0_13select_configILj256ELj13ELNS0_17block_load_methodE3ELS4_3ELS4_3ELNS0_20block_scan_algorithmE0ELj4294967295EEENS1_25partition_config_selectorILNS1_17partition_subalgoE3EjNS0_10empty_typeEbEEZZNS1_14partition_implILS8_3ELb0ES6_jNS0_17counting_iteratorIjlEEPS9_SE_NS0_5tupleIJPjSE_EEENSF_IJSE_SE_EEES9_SG_JZNS1_25segmented_radix_sort_implINS0_14default_configELb1EPKbPbPKlPlN2at6native12_GLOBAL__N_18offset_tEEE10hipError_tPvRmT1_PNSt15iterator_traitsISY_E10value_typeET2_T3_PNSZ_IS14_E10value_typeET4_jRbjT5_S1A_jjP12ihipStream_tbEUljE_EEESV_SW_SX_S14_S18_S1A_T6_T7_T9_mT8_S1C_bDpT10_ENKUlT_T0_E_clISt17integral_constantIbLb0EES1P_EEDaS1K_S1L_EUlS1K_E_NS1_11comp_targetILNS1_3genE2ELNS1_11target_archE906ELNS1_3gpuE6ELNS1_3repE0EEENS1_30default_config_static_selectorELNS0_4arch9wavefront6targetE1EEEvSY_
                                        ; -- End function
	.section	.AMDGPU.csdata,"",@progbits
; Kernel info:
; codeLenInByte = 0
; NumSgprs: 4
; NumVgprs: 0
; NumAgprs: 0
; TotalNumVgprs: 0
; ScratchSize: 0
; MemoryBound: 0
; FloatMode: 240
; IeeeMode: 1
; LDSByteSize: 0 bytes/workgroup (compile time only)
; SGPRBlocks: 0
; VGPRBlocks: 0
; NumSGPRsForWavesPerEU: 4
; NumVGPRsForWavesPerEU: 1
; AccumOffset: 4
; Occupancy: 8
; WaveLimiterHint : 0
; COMPUTE_PGM_RSRC2:SCRATCH_EN: 0
; COMPUTE_PGM_RSRC2:USER_SGPR: 6
; COMPUTE_PGM_RSRC2:TRAP_HANDLER: 0
; COMPUTE_PGM_RSRC2:TGID_X_EN: 1
; COMPUTE_PGM_RSRC2:TGID_Y_EN: 0
; COMPUTE_PGM_RSRC2:TGID_Z_EN: 0
; COMPUTE_PGM_RSRC2:TIDIG_COMP_CNT: 0
; COMPUTE_PGM_RSRC3_GFX90A:ACCUM_OFFSET: 0
; COMPUTE_PGM_RSRC3_GFX90A:TG_SPLIT: 0
	.section	.text._ZN7rocprim17ROCPRIM_400000_NS6detail17trampoline_kernelINS0_13select_configILj256ELj13ELNS0_17block_load_methodE3ELS4_3ELS4_3ELNS0_20block_scan_algorithmE0ELj4294967295EEENS1_25partition_config_selectorILNS1_17partition_subalgoE3EjNS0_10empty_typeEbEEZZNS1_14partition_implILS8_3ELb0ES6_jNS0_17counting_iteratorIjlEEPS9_SE_NS0_5tupleIJPjSE_EEENSF_IJSE_SE_EEES9_SG_JZNS1_25segmented_radix_sort_implINS0_14default_configELb1EPKbPbPKlPlN2at6native12_GLOBAL__N_18offset_tEEE10hipError_tPvRmT1_PNSt15iterator_traitsISY_E10value_typeET2_T3_PNSZ_IS14_E10value_typeET4_jRbjT5_S1A_jjP12ihipStream_tbEUljE_EEESV_SW_SX_S14_S18_S1A_T6_T7_T9_mT8_S1C_bDpT10_ENKUlT_T0_E_clISt17integral_constantIbLb0EES1P_EEDaS1K_S1L_EUlS1K_E_NS1_11comp_targetILNS1_3genE10ELNS1_11target_archE1200ELNS1_3gpuE4ELNS1_3repE0EEENS1_30default_config_static_selectorELNS0_4arch9wavefront6targetE1EEEvSY_,"axG",@progbits,_ZN7rocprim17ROCPRIM_400000_NS6detail17trampoline_kernelINS0_13select_configILj256ELj13ELNS0_17block_load_methodE3ELS4_3ELS4_3ELNS0_20block_scan_algorithmE0ELj4294967295EEENS1_25partition_config_selectorILNS1_17partition_subalgoE3EjNS0_10empty_typeEbEEZZNS1_14partition_implILS8_3ELb0ES6_jNS0_17counting_iteratorIjlEEPS9_SE_NS0_5tupleIJPjSE_EEENSF_IJSE_SE_EEES9_SG_JZNS1_25segmented_radix_sort_implINS0_14default_configELb1EPKbPbPKlPlN2at6native12_GLOBAL__N_18offset_tEEE10hipError_tPvRmT1_PNSt15iterator_traitsISY_E10value_typeET2_T3_PNSZ_IS14_E10value_typeET4_jRbjT5_S1A_jjP12ihipStream_tbEUljE_EEESV_SW_SX_S14_S18_S1A_T6_T7_T9_mT8_S1C_bDpT10_ENKUlT_T0_E_clISt17integral_constantIbLb0EES1P_EEDaS1K_S1L_EUlS1K_E_NS1_11comp_targetILNS1_3genE10ELNS1_11target_archE1200ELNS1_3gpuE4ELNS1_3repE0EEENS1_30default_config_static_selectorELNS0_4arch9wavefront6targetE1EEEvSY_,comdat
	.globl	_ZN7rocprim17ROCPRIM_400000_NS6detail17trampoline_kernelINS0_13select_configILj256ELj13ELNS0_17block_load_methodE3ELS4_3ELS4_3ELNS0_20block_scan_algorithmE0ELj4294967295EEENS1_25partition_config_selectorILNS1_17partition_subalgoE3EjNS0_10empty_typeEbEEZZNS1_14partition_implILS8_3ELb0ES6_jNS0_17counting_iteratorIjlEEPS9_SE_NS0_5tupleIJPjSE_EEENSF_IJSE_SE_EEES9_SG_JZNS1_25segmented_radix_sort_implINS0_14default_configELb1EPKbPbPKlPlN2at6native12_GLOBAL__N_18offset_tEEE10hipError_tPvRmT1_PNSt15iterator_traitsISY_E10value_typeET2_T3_PNSZ_IS14_E10value_typeET4_jRbjT5_S1A_jjP12ihipStream_tbEUljE_EEESV_SW_SX_S14_S18_S1A_T6_T7_T9_mT8_S1C_bDpT10_ENKUlT_T0_E_clISt17integral_constantIbLb0EES1P_EEDaS1K_S1L_EUlS1K_E_NS1_11comp_targetILNS1_3genE10ELNS1_11target_archE1200ELNS1_3gpuE4ELNS1_3repE0EEENS1_30default_config_static_selectorELNS0_4arch9wavefront6targetE1EEEvSY_ ; -- Begin function _ZN7rocprim17ROCPRIM_400000_NS6detail17trampoline_kernelINS0_13select_configILj256ELj13ELNS0_17block_load_methodE3ELS4_3ELS4_3ELNS0_20block_scan_algorithmE0ELj4294967295EEENS1_25partition_config_selectorILNS1_17partition_subalgoE3EjNS0_10empty_typeEbEEZZNS1_14partition_implILS8_3ELb0ES6_jNS0_17counting_iteratorIjlEEPS9_SE_NS0_5tupleIJPjSE_EEENSF_IJSE_SE_EEES9_SG_JZNS1_25segmented_radix_sort_implINS0_14default_configELb1EPKbPbPKlPlN2at6native12_GLOBAL__N_18offset_tEEE10hipError_tPvRmT1_PNSt15iterator_traitsISY_E10value_typeET2_T3_PNSZ_IS14_E10value_typeET4_jRbjT5_S1A_jjP12ihipStream_tbEUljE_EEESV_SW_SX_S14_S18_S1A_T6_T7_T9_mT8_S1C_bDpT10_ENKUlT_T0_E_clISt17integral_constantIbLb0EES1P_EEDaS1K_S1L_EUlS1K_E_NS1_11comp_targetILNS1_3genE10ELNS1_11target_archE1200ELNS1_3gpuE4ELNS1_3repE0EEENS1_30default_config_static_selectorELNS0_4arch9wavefront6targetE1EEEvSY_
	.p2align	8
	.type	_ZN7rocprim17ROCPRIM_400000_NS6detail17trampoline_kernelINS0_13select_configILj256ELj13ELNS0_17block_load_methodE3ELS4_3ELS4_3ELNS0_20block_scan_algorithmE0ELj4294967295EEENS1_25partition_config_selectorILNS1_17partition_subalgoE3EjNS0_10empty_typeEbEEZZNS1_14partition_implILS8_3ELb0ES6_jNS0_17counting_iteratorIjlEEPS9_SE_NS0_5tupleIJPjSE_EEENSF_IJSE_SE_EEES9_SG_JZNS1_25segmented_radix_sort_implINS0_14default_configELb1EPKbPbPKlPlN2at6native12_GLOBAL__N_18offset_tEEE10hipError_tPvRmT1_PNSt15iterator_traitsISY_E10value_typeET2_T3_PNSZ_IS14_E10value_typeET4_jRbjT5_S1A_jjP12ihipStream_tbEUljE_EEESV_SW_SX_S14_S18_S1A_T6_T7_T9_mT8_S1C_bDpT10_ENKUlT_T0_E_clISt17integral_constantIbLb0EES1P_EEDaS1K_S1L_EUlS1K_E_NS1_11comp_targetILNS1_3genE10ELNS1_11target_archE1200ELNS1_3gpuE4ELNS1_3repE0EEENS1_30default_config_static_selectorELNS0_4arch9wavefront6targetE1EEEvSY_,@function
_ZN7rocprim17ROCPRIM_400000_NS6detail17trampoline_kernelINS0_13select_configILj256ELj13ELNS0_17block_load_methodE3ELS4_3ELS4_3ELNS0_20block_scan_algorithmE0ELj4294967295EEENS1_25partition_config_selectorILNS1_17partition_subalgoE3EjNS0_10empty_typeEbEEZZNS1_14partition_implILS8_3ELb0ES6_jNS0_17counting_iteratorIjlEEPS9_SE_NS0_5tupleIJPjSE_EEENSF_IJSE_SE_EEES9_SG_JZNS1_25segmented_radix_sort_implINS0_14default_configELb1EPKbPbPKlPlN2at6native12_GLOBAL__N_18offset_tEEE10hipError_tPvRmT1_PNSt15iterator_traitsISY_E10value_typeET2_T3_PNSZ_IS14_E10value_typeET4_jRbjT5_S1A_jjP12ihipStream_tbEUljE_EEESV_SW_SX_S14_S18_S1A_T6_T7_T9_mT8_S1C_bDpT10_ENKUlT_T0_E_clISt17integral_constantIbLb0EES1P_EEDaS1K_S1L_EUlS1K_E_NS1_11comp_targetILNS1_3genE10ELNS1_11target_archE1200ELNS1_3gpuE4ELNS1_3repE0EEENS1_30default_config_static_selectorELNS0_4arch9wavefront6targetE1EEEvSY_: ; @_ZN7rocprim17ROCPRIM_400000_NS6detail17trampoline_kernelINS0_13select_configILj256ELj13ELNS0_17block_load_methodE3ELS4_3ELS4_3ELNS0_20block_scan_algorithmE0ELj4294967295EEENS1_25partition_config_selectorILNS1_17partition_subalgoE3EjNS0_10empty_typeEbEEZZNS1_14partition_implILS8_3ELb0ES6_jNS0_17counting_iteratorIjlEEPS9_SE_NS0_5tupleIJPjSE_EEENSF_IJSE_SE_EEES9_SG_JZNS1_25segmented_radix_sort_implINS0_14default_configELb1EPKbPbPKlPlN2at6native12_GLOBAL__N_18offset_tEEE10hipError_tPvRmT1_PNSt15iterator_traitsISY_E10value_typeET2_T3_PNSZ_IS14_E10value_typeET4_jRbjT5_S1A_jjP12ihipStream_tbEUljE_EEESV_SW_SX_S14_S18_S1A_T6_T7_T9_mT8_S1C_bDpT10_ENKUlT_T0_E_clISt17integral_constantIbLb0EES1P_EEDaS1K_S1L_EUlS1K_E_NS1_11comp_targetILNS1_3genE10ELNS1_11target_archE1200ELNS1_3gpuE4ELNS1_3repE0EEENS1_30default_config_static_selectorELNS0_4arch9wavefront6targetE1EEEvSY_
; %bb.0:
	.section	.rodata,"a",@progbits
	.p2align	6, 0x0
	.amdhsa_kernel _ZN7rocprim17ROCPRIM_400000_NS6detail17trampoline_kernelINS0_13select_configILj256ELj13ELNS0_17block_load_methodE3ELS4_3ELS4_3ELNS0_20block_scan_algorithmE0ELj4294967295EEENS1_25partition_config_selectorILNS1_17partition_subalgoE3EjNS0_10empty_typeEbEEZZNS1_14partition_implILS8_3ELb0ES6_jNS0_17counting_iteratorIjlEEPS9_SE_NS0_5tupleIJPjSE_EEENSF_IJSE_SE_EEES9_SG_JZNS1_25segmented_radix_sort_implINS0_14default_configELb1EPKbPbPKlPlN2at6native12_GLOBAL__N_18offset_tEEE10hipError_tPvRmT1_PNSt15iterator_traitsISY_E10value_typeET2_T3_PNSZ_IS14_E10value_typeET4_jRbjT5_S1A_jjP12ihipStream_tbEUljE_EEESV_SW_SX_S14_S18_S1A_T6_T7_T9_mT8_S1C_bDpT10_ENKUlT_T0_E_clISt17integral_constantIbLb0EES1P_EEDaS1K_S1L_EUlS1K_E_NS1_11comp_targetILNS1_3genE10ELNS1_11target_archE1200ELNS1_3gpuE4ELNS1_3repE0EEENS1_30default_config_static_selectorELNS0_4arch9wavefront6targetE1EEEvSY_
		.amdhsa_group_segment_fixed_size 0
		.amdhsa_private_segment_fixed_size 0
		.amdhsa_kernarg_size 144
		.amdhsa_user_sgpr_count 6
		.amdhsa_user_sgpr_private_segment_buffer 1
		.amdhsa_user_sgpr_dispatch_ptr 0
		.amdhsa_user_sgpr_queue_ptr 0
		.amdhsa_user_sgpr_kernarg_segment_ptr 1
		.amdhsa_user_sgpr_dispatch_id 0
		.amdhsa_user_sgpr_flat_scratch_init 0
		.amdhsa_user_sgpr_kernarg_preload_length 0
		.amdhsa_user_sgpr_kernarg_preload_offset 0
		.amdhsa_user_sgpr_private_segment_size 0
		.amdhsa_uses_dynamic_stack 0
		.amdhsa_system_sgpr_private_segment_wavefront_offset 0
		.amdhsa_system_sgpr_workgroup_id_x 1
		.amdhsa_system_sgpr_workgroup_id_y 0
		.amdhsa_system_sgpr_workgroup_id_z 0
		.amdhsa_system_sgpr_workgroup_info 0
		.amdhsa_system_vgpr_workitem_id 0
		.amdhsa_next_free_vgpr 1
		.amdhsa_next_free_sgpr 0
		.amdhsa_accum_offset 4
		.amdhsa_reserve_vcc 0
		.amdhsa_reserve_flat_scratch 0
		.amdhsa_float_round_mode_32 0
		.amdhsa_float_round_mode_16_64 0
		.amdhsa_float_denorm_mode_32 3
		.amdhsa_float_denorm_mode_16_64 3
		.amdhsa_dx10_clamp 1
		.amdhsa_ieee_mode 1
		.amdhsa_fp16_overflow 0
		.amdhsa_tg_split 0
		.amdhsa_exception_fp_ieee_invalid_op 0
		.amdhsa_exception_fp_denorm_src 0
		.amdhsa_exception_fp_ieee_div_zero 0
		.amdhsa_exception_fp_ieee_overflow 0
		.amdhsa_exception_fp_ieee_underflow 0
		.amdhsa_exception_fp_ieee_inexact 0
		.amdhsa_exception_int_div_zero 0
	.end_amdhsa_kernel
	.section	.text._ZN7rocprim17ROCPRIM_400000_NS6detail17trampoline_kernelINS0_13select_configILj256ELj13ELNS0_17block_load_methodE3ELS4_3ELS4_3ELNS0_20block_scan_algorithmE0ELj4294967295EEENS1_25partition_config_selectorILNS1_17partition_subalgoE3EjNS0_10empty_typeEbEEZZNS1_14partition_implILS8_3ELb0ES6_jNS0_17counting_iteratorIjlEEPS9_SE_NS0_5tupleIJPjSE_EEENSF_IJSE_SE_EEES9_SG_JZNS1_25segmented_radix_sort_implINS0_14default_configELb1EPKbPbPKlPlN2at6native12_GLOBAL__N_18offset_tEEE10hipError_tPvRmT1_PNSt15iterator_traitsISY_E10value_typeET2_T3_PNSZ_IS14_E10value_typeET4_jRbjT5_S1A_jjP12ihipStream_tbEUljE_EEESV_SW_SX_S14_S18_S1A_T6_T7_T9_mT8_S1C_bDpT10_ENKUlT_T0_E_clISt17integral_constantIbLb0EES1P_EEDaS1K_S1L_EUlS1K_E_NS1_11comp_targetILNS1_3genE10ELNS1_11target_archE1200ELNS1_3gpuE4ELNS1_3repE0EEENS1_30default_config_static_selectorELNS0_4arch9wavefront6targetE1EEEvSY_,"axG",@progbits,_ZN7rocprim17ROCPRIM_400000_NS6detail17trampoline_kernelINS0_13select_configILj256ELj13ELNS0_17block_load_methodE3ELS4_3ELS4_3ELNS0_20block_scan_algorithmE0ELj4294967295EEENS1_25partition_config_selectorILNS1_17partition_subalgoE3EjNS0_10empty_typeEbEEZZNS1_14partition_implILS8_3ELb0ES6_jNS0_17counting_iteratorIjlEEPS9_SE_NS0_5tupleIJPjSE_EEENSF_IJSE_SE_EEES9_SG_JZNS1_25segmented_radix_sort_implINS0_14default_configELb1EPKbPbPKlPlN2at6native12_GLOBAL__N_18offset_tEEE10hipError_tPvRmT1_PNSt15iterator_traitsISY_E10value_typeET2_T3_PNSZ_IS14_E10value_typeET4_jRbjT5_S1A_jjP12ihipStream_tbEUljE_EEESV_SW_SX_S14_S18_S1A_T6_T7_T9_mT8_S1C_bDpT10_ENKUlT_T0_E_clISt17integral_constantIbLb0EES1P_EEDaS1K_S1L_EUlS1K_E_NS1_11comp_targetILNS1_3genE10ELNS1_11target_archE1200ELNS1_3gpuE4ELNS1_3repE0EEENS1_30default_config_static_selectorELNS0_4arch9wavefront6targetE1EEEvSY_,comdat
.Lfunc_end1503:
	.size	_ZN7rocprim17ROCPRIM_400000_NS6detail17trampoline_kernelINS0_13select_configILj256ELj13ELNS0_17block_load_methodE3ELS4_3ELS4_3ELNS0_20block_scan_algorithmE0ELj4294967295EEENS1_25partition_config_selectorILNS1_17partition_subalgoE3EjNS0_10empty_typeEbEEZZNS1_14partition_implILS8_3ELb0ES6_jNS0_17counting_iteratorIjlEEPS9_SE_NS0_5tupleIJPjSE_EEENSF_IJSE_SE_EEES9_SG_JZNS1_25segmented_radix_sort_implINS0_14default_configELb1EPKbPbPKlPlN2at6native12_GLOBAL__N_18offset_tEEE10hipError_tPvRmT1_PNSt15iterator_traitsISY_E10value_typeET2_T3_PNSZ_IS14_E10value_typeET4_jRbjT5_S1A_jjP12ihipStream_tbEUljE_EEESV_SW_SX_S14_S18_S1A_T6_T7_T9_mT8_S1C_bDpT10_ENKUlT_T0_E_clISt17integral_constantIbLb0EES1P_EEDaS1K_S1L_EUlS1K_E_NS1_11comp_targetILNS1_3genE10ELNS1_11target_archE1200ELNS1_3gpuE4ELNS1_3repE0EEENS1_30default_config_static_selectorELNS0_4arch9wavefront6targetE1EEEvSY_, .Lfunc_end1503-_ZN7rocprim17ROCPRIM_400000_NS6detail17trampoline_kernelINS0_13select_configILj256ELj13ELNS0_17block_load_methodE3ELS4_3ELS4_3ELNS0_20block_scan_algorithmE0ELj4294967295EEENS1_25partition_config_selectorILNS1_17partition_subalgoE3EjNS0_10empty_typeEbEEZZNS1_14partition_implILS8_3ELb0ES6_jNS0_17counting_iteratorIjlEEPS9_SE_NS0_5tupleIJPjSE_EEENSF_IJSE_SE_EEES9_SG_JZNS1_25segmented_radix_sort_implINS0_14default_configELb1EPKbPbPKlPlN2at6native12_GLOBAL__N_18offset_tEEE10hipError_tPvRmT1_PNSt15iterator_traitsISY_E10value_typeET2_T3_PNSZ_IS14_E10value_typeET4_jRbjT5_S1A_jjP12ihipStream_tbEUljE_EEESV_SW_SX_S14_S18_S1A_T6_T7_T9_mT8_S1C_bDpT10_ENKUlT_T0_E_clISt17integral_constantIbLb0EES1P_EEDaS1K_S1L_EUlS1K_E_NS1_11comp_targetILNS1_3genE10ELNS1_11target_archE1200ELNS1_3gpuE4ELNS1_3repE0EEENS1_30default_config_static_selectorELNS0_4arch9wavefront6targetE1EEEvSY_
                                        ; -- End function
	.section	.AMDGPU.csdata,"",@progbits
; Kernel info:
; codeLenInByte = 0
; NumSgprs: 4
; NumVgprs: 0
; NumAgprs: 0
; TotalNumVgprs: 0
; ScratchSize: 0
; MemoryBound: 0
; FloatMode: 240
; IeeeMode: 1
; LDSByteSize: 0 bytes/workgroup (compile time only)
; SGPRBlocks: 0
; VGPRBlocks: 0
; NumSGPRsForWavesPerEU: 4
; NumVGPRsForWavesPerEU: 1
; AccumOffset: 4
; Occupancy: 8
; WaveLimiterHint : 0
; COMPUTE_PGM_RSRC2:SCRATCH_EN: 0
; COMPUTE_PGM_RSRC2:USER_SGPR: 6
; COMPUTE_PGM_RSRC2:TRAP_HANDLER: 0
; COMPUTE_PGM_RSRC2:TGID_X_EN: 1
; COMPUTE_PGM_RSRC2:TGID_Y_EN: 0
; COMPUTE_PGM_RSRC2:TGID_Z_EN: 0
; COMPUTE_PGM_RSRC2:TIDIG_COMP_CNT: 0
; COMPUTE_PGM_RSRC3_GFX90A:ACCUM_OFFSET: 0
; COMPUTE_PGM_RSRC3_GFX90A:TG_SPLIT: 0
	.section	.text._ZN7rocprim17ROCPRIM_400000_NS6detail17trampoline_kernelINS0_13select_configILj256ELj13ELNS0_17block_load_methodE3ELS4_3ELS4_3ELNS0_20block_scan_algorithmE0ELj4294967295EEENS1_25partition_config_selectorILNS1_17partition_subalgoE3EjNS0_10empty_typeEbEEZZNS1_14partition_implILS8_3ELb0ES6_jNS0_17counting_iteratorIjlEEPS9_SE_NS0_5tupleIJPjSE_EEENSF_IJSE_SE_EEES9_SG_JZNS1_25segmented_radix_sort_implINS0_14default_configELb1EPKbPbPKlPlN2at6native12_GLOBAL__N_18offset_tEEE10hipError_tPvRmT1_PNSt15iterator_traitsISY_E10value_typeET2_T3_PNSZ_IS14_E10value_typeET4_jRbjT5_S1A_jjP12ihipStream_tbEUljE_EEESV_SW_SX_S14_S18_S1A_T6_T7_T9_mT8_S1C_bDpT10_ENKUlT_T0_E_clISt17integral_constantIbLb0EES1P_EEDaS1K_S1L_EUlS1K_E_NS1_11comp_targetILNS1_3genE9ELNS1_11target_archE1100ELNS1_3gpuE3ELNS1_3repE0EEENS1_30default_config_static_selectorELNS0_4arch9wavefront6targetE1EEEvSY_,"axG",@progbits,_ZN7rocprim17ROCPRIM_400000_NS6detail17trampoline_kernelINS0_13select_configILj256ELj13ELNS0_17block_load_methodE3ELS4_3ELS4_3ELNS0_20block_scan_algorithmE0ELj4294967295EEENS1_25partition_config_selectorILNS1_17partition_subalgoE3EjNS0_10empty_typeEbEEZZNS1_14partition_implILS8_3ELb0ES6_jNS0_17counting_iteratorIjlEEPS9_SE_NS0_5tupleIJPjSE_EEENSF_IJSE_SE_EEES9_SG_JZNS1_25segmented_radix_sort_implINS0_14default_configELb1EPKbPbPKlPlN2at6native12_GLOBAL__N_18offset_tEEE10hipError_tPvRmT1_PNSt15iterator_traitsISY_E10value_typeET2_T3_PNSZ_IS14_E10value_typeET4_jRbjT5_S1A_jjP12ihipStream_tbEUljE_EEESV_SW_SX_S14_S18_S1A_T6_T7_T9_mT8_S1C_bDpT10_ENKUlT_T0_E_clISt17integral_constantIbLb0EES1P_EEDaS1K_S1L_EUlS1K_E_NS1_11comp_targetILNS1_3genE9ELNS1_11target_archE1100ELNS1_3gpuE3ELNS1_3repE0EEENS1_30default_config_static_selectorELNS0_4arch9wavefront6targetE1EEEvSY_,comdat
	.globl	_ZN7rocprim17ROCPRIM_400000_NS6detail17trampoline_kernelINS0_13select_configILj256ELj13ELNS0_17block_load_methodE3ELS4_3ELS4_3ELNS0_20block_scan_algorithmE0ELj4294967295EEENS1_25partition_config_selectorILNS1_17partition_subalgoE3EjNS0_10empty_typeEbEEZZNS1_14partition_implILS8_3ELb0ES6_jNS0_17counting_iteratorIjlEEPS9_SE_NS0_5tupleIJPjSE_EEENSF_IJSE_SE_EEES9_SG_JZNS1_25segmented_radix_sort_implINS0_14default_configELb1EPKbPbPKlPlN2at6native12_GLOBAL__N_18offset_tEEE10hipError_tPvRmT1_PNSt15iterator_traitsISY_E10value_typeET2_T3_PNSZ_IS14_E10value_typeET4_jRbjT5_S1A_jjP12ihipStream_tbEUljE_EEESV_SW_SX_S14_S18_S1A_T6_T7_T9_mT8_S1C_bDpT10_ENKUlT_T0_E_clISt17integral_constantIbLb0EES1P_EEDaS1K_S1L_EUlS1K_E_NS1_11comp_targetILNS1_3genE9ELNS1_11target_archE1100ELNS1_3gpuE3ELNS1_3repE0EEENS1_30default_config_static_selectorELNS0_4arch9wavefront6targetE1EEEvSY_ ; -- Begin function _ZN7rocprim17ROCPRIM_400000_NS6detail17trampoline_kernelINS0_13select_configILj256ELj13ELNS0_17block_load_methodE3ELS4_3ELS4_3ELNS0_20block_scan_algorithmE0ELj4294967295EEENS1_25partition_config_selectorILNS1_17partition_subalgoE3EjNS0_10empty_typeEbEEZZNS1_14partition_implILS8_3ELb0ES6_jNS0_17counting_iteratorIjlEEPS9_SE_NS0_5tupleIJPjSE_EEENSF_IJSE_SE_EEES9_SG_JZNS1_25segmented_radix_sort_implINS0_14default_configELb1EPKbPbPKlPlN2at6native12_GLOBAL__N_18offset_tEEE10hipError_tPvRmT1_PNSt15iterator_traitsISY_E10value_typeET2_T3_PNSZ_IS14_E10value_typeET4_jRbjT5_S1A_jjP12ihipStream_tbEUljE_EEESV_SW_SX_S14_S18_S1A_T6_T7_T9_mT8_S1C_bDpT10_ENKUlT_T0_E_clISt17integral_constantIbLb0EES1P_EEDaS1K_S1L_EUlS1K_E_NS1_11comp_targetILNS1_3genE9ELNS1_11target_archE1100ELNS1_3gpuE3ELNS1_3repE0EEENS1_30default_config_static_selectorELNS0_4arch9wavefront6targetE1EEEvSY_
	.p2align	8
	.type	_ZN7rocprim17ROCPRIM_400000_NS6detail17trampoline_kernelINS0_13select_configILj256ELj13ELNS0_17block_load_methodE3ELS4_3ELS4_3ELNS0_20block_scan_algorithmE0ELj4294967295EEENS1_25partition_config_selectorILNS1_17partition_subalgoE3EjNS0_10empty_typeEbEEZZNS1_14partition_implILS8_3ELb0ES6_jNS0_17counting_iteratorIjlEEPS9_SE_NS0_5tupleIJPjSE_EEENSF_IJSE_SE_EEES9_SG_JZNS1_25segmented_radix_sort_implINS0_14default_configELb1EPKbPbPKlPlN2at6native12_GLOBAL__N_18offset_tEEE10hipError_tPvRmT1_PNSt15iterator_traitsISY_E10value_typeET2_T3_PNSZ_IS14_E10value_typeET4_jRbjT5_S1A_jjP12ihipStream_tbEUljE_EEESV_SW_SX_S14_S18_S1A_T6_T7_T9_mT8_S1C_bDpT10_ENKUlT_T0_E_clISt17integral_constantIbLb0EES1P_EEDaS1K_S1L_EUlS1K_E_NS1_11comp_targetILNS1_3genE9ELNS1_11target_archE1100ELNS1_3gpuE3ELNS1_3repE0EEENS1_30default_config_static_selectorELNS0_4arch9wavefront6targetE1EEEvSY_,@function
_ZN7rocprim17ROCPRIM_400000_NS6detail17trampoline_kernelINS0_13select_configILj256ELj13ELNS0_17block_load_methodE3ELS4_3ELS4_3ELNS0_20block_scan_algorithmE0ELj4294967295EEENS1_25partition_config_selectorILNS1_17partition_subalgoE3EjNS0_10empty_typeEbEEZZNS1_14partition_implILS8_3ELb0ES6_jNS0_17counting_iteratorIjlEEPS9_SE_NS0_5tupleIJPjSE_EEENSF_IJSE_SE_EEES9_SG_JZNS1_25segmented_radix_sort_implINS0_14default_configELb1EPKbPbPKlPlN2at6native12_GLOBAL__N_18offset_tEEE10hipError_tPvRmT1_PNSt15iterator_traitsISY_E10value_typeET2_T3_PNSZ_IS14_E10value_typeET4_jRbjT5_S1A_jjP12ihipStream_tbEUljE_EEESV_SW_SX_S14_S18_S1A_T6_T7_T9_mT8_S1C_bDpT10_ENKUlT_T0_E_clISt17integral_constantIbLb0EES1P_EEDaS1K_S1L_EUlS1K_E_NS1_11comp_targetILNS1_3genE9ELNS1_11target_archE1100ELNS1_3gpuE3ELNS1_3repE0EEENS1_30default_config_static_selectorELNS0_4arch9wavefront6targetE1EEEvSY_: ; @_ZN7rocprim17ROCPRIM_400000_NS6detail17trampoline_kernelINS0_13select_configILj256ELj13ELNS0_17block_load_methodE3ELS4_3ELS4_3ELNS0_20block_scan_algorithmE0ELj4294967295EEENS1_25partition_config_selectorILNS1_17partition_subalgoE3EjNS0_10empty_typeEbEEZZNS1_14partition_implILS8_3ELb0ES6_jNS0_17counting_iteratorIjlEEPS9_SE_NS0_5tupleIJPjSE_EEENSF_IJSE_SE_EEES9_SG_JZNS1_25segmented_radix_sort_implINS0_14default_configELb1EPKbPbPKlPlN2at6native12_GLOBAL__N_18offset_tEEE10hipError_tPvRmT1_PNSt15iterator_traitsISY_E10value_typeET2_T3_PNSZ_IS14_E10value_typeET4_jRbjT5_S1A_jjP12ihipStream_tbEUljE_EEESV_SW_SX_S14_S18_S1A_T6_T7_T9_mT8_S1C_bDpT10_ENKUlT_T0_E_clISt17integral_constantIbLb0EES1P_EEDaS1K_S1L_EUlS1K_E_NS1_11comp_targetILNS1_3genE9ELNS1_11target_archE1100ELNS1_3gpuE3ELNS1_3repE0EEENS1_30default_config_static_selectorELNS0_4arch9wavefront6targetE1EEEvSY_
; %bb.0:
	.section	.rodata,"a",@progbits
	.p2align	6, 0x0
	.amdhsa_kernel _ZN7rocprim17ROCPRIM_400000_NS6detail17trampoline_kernelINS0_13select_configILj256ELj13ELNS0_17block_load_methodE3ELS4_3ELS4_3ELNS0_20block_scan_algorithmE0ELj4294967295EEENS1_25partition_config_selectorILNS1_17partition_subalgoE3EjNS0_10empty_typeEbEEZZNS1_14partition_implILS8_3ELb0ES6_jNS0_17counting_iteratorIjlEEPS9_SE_NS0_5tupleIJPjSE_EEENSF_IJSE_SE_EEES9_SG_JZNS1_25segmented_radix_sort_implINS0_14default_configELb1EPKbPbPKlPlN2at6native12_GLOBAL__N_18offset_tEEE10hipError_tPvRmT1_PNSt15iterator_traitsISY_E10value_typeET2_T3_PNSZ_IS14_E10value_typeET4_jRbjT5_S1A_jjP12ihipStream_tbEUljE_EEESV_SW_SX_S14_S18_S1A_T6_T7_T9_mT8_S1C_bDpT10_ENKUlT_T0_E_clISt17integral_constantIbLb0EES1P_EEDaS1K_S1L_EUlS1K_E_NS1_11comp_targetILNS1_3genE9ELNS1_11target_archE1100ELNS1_3gpuE3ELNS1_3repE0EEENS1_30default_config_static_selectorELNS0_4arch9wavefront6targetE1EEEvSY_
		.amdhsa_group_segment_fixed_size 0
		.amdhsa_private_segment_fixed_size 0
		.amdhsa_kernarg_size 144
		.amdhsa_user_sgpr_count 6
		.amdhsa_user_sgpr_private_segment_buffer 1
		.amdhsa_user_sgpr_dispatch_ptr 0
		.amdhsa_user_sgpr_queue_ptr 0
		.amdhsa_user_sgpr_kernarg_segment_ptr 1
		.amdhsa_user_sgpr_dispatch_id 0
		.amdhsa_user_sgpr_flat_scratch_init 0
		.amdhsa_user_sgpr_kernarg_preload_length 0
		.amdhsa_user_sgpr_kernarg_preload_offset 0
		.amdhsa_user_sgpr_private_segment_size 0
		.amdhsa_uses_dynamic_stack 0
		.amdhsa_system_sgpr_private_segment_wavefront_offset 0
		.amdhsa_system_sgpr_workgroup_id_x 1
		.amdhsa_system_sgpr_workgroup_id_y 0
		.amdhsa_system_sgpr_workgroup_id_z 0
		.amdhsa_system_sgpr_workgroup_info 0
		.amdhsa_system_vgpr_workitem_id 0
		.amdhsa_next_free_vgpr 1
		.amdhsa_next_free_sgpr 0
		.amdhsa_accum_offset 4
		.amdhsa_reserve_vcc 0
		.amdhsa_reserve_flat_scratch 0
		.amdhsa_float_round_mode_32 0
		.amdhsa_float_round_mode_16_64 0
		.amdhsa_float_denorm_mode_32 3
		.amdhsa_float_denorm_mode_16_64 3
		.amdhsa_dx10_clamp 1
		.amdhsa_ieee_mode 1
		.amdhsa_fp16_overflow 0
		.amdhsa_tg_split 0
		.amdhsa_exception_fp_ieee_invalid_op 0
		.amdhsa_exception_fp_denorm_src 0
		.amdhsa_exception_fp_ieee_div_zero 0
		.amdhsa_exception_fp_ieee_overflow 0
		.amdhsa_exception_fp_ieee_underflow 0
		.amdhsa_exception_fp_ieee_inexact 0
		.amdhsa_exception_int_div_zero 0
	.end_amdhsa_kernel
	.section	.text._ZN7rocprim17ROCPRIM_400000_NS6detail17trampoline_kernelINS0_13select_configILj256ELj13ELNS0_17block_load_methodE3ELS4_3ELS4_3ELNS0_20block_scan_algorithmE0ELj4294967295EEENS1_25partition_config_selectorILNS1_17partition_subalgoE3EjNS0_10empty_typeEbEEZZNS1_14partition_implILS8_3ELb0ES6_jNS0_17counting_iteratorIjlEEPS9_SE_NS0_5tupleIJPjSE_EEENSF_IJSE_SE_EEES9_SG_JZNS1_25segmented_radix_sort_implINS0_14default_configELb1EPKbPbPKlPlN2at6native12_GLOBAL__N_18offset_tEEE10hipError_tPvRmT1_PNSt15iterator_traitsISY_E10value_typeET2_T3_PNSZ_IS14_E10value_typeET4_jRbjT5_S1A_jjP12ihipStream_tbEUljE_EEESV_SW_SX_S14_S18_S1A_T6_T7_T9_mT8_S1C_bDpT10_ENKUlT_T0_E_clISt17integral_constantIbLb0EES1P_EEDaS1K_S1L_EUlS1K_E_NS1_11comp_targetILNS1_3genE9ELNS1_11target_archE1100ELNS1_3gpuE3ELNS1_3repE0EEENS1_30default_config_static_selectorELNS0_4arch9wavefront6targetE1EEEvSY_,"axG",@progbits,_ZN7rocprim17ROCPRIM_400000_NS6detail17trampoline_kernelINS0_13select_configILj256ELj13ELNS0_17block_load_methodE3ELS4_3ELS4_3ELNS0_20block_scan_algorithmE0ELj4294967295EEENS1_25partition_config_selectorILNS1_17partition_subalgoE3EjNS0_10empty_typeEbEEZZNS1_14partition_implILS8_3ELb0ES6_jNS0_17counting_iteratorIjlEEPS9_SE_NS0_5tupleIJPjSE_EEENSF_IJSE_SE_EEES9_SG_JZNS1_25segmented_radix_sort_implINS0_14default_configELb1EPKbPbPKlPlN2at6native12_GLOBAL__N_18offset_tEEE10hipError_tPvRmT1_PNSt15iterator_traitsISY_E10value_typeET2_T3_PNSZ_IS14_E10value_typeET4_jRbjT5_S1A_jjP12ihipStream_tbEUljE_EEESV_SW_SX_S14_S18_S1A_T6_T7_T9_mT8_S1C_bDpT10_ENKUlT_T0_E_clISt17integral_constantIbLb0EES1P_EEDaS1K_S1L_EUlS1K_E_NS1_11comp_targetILNS1_3genE9ELNS1_11target_archE1100ELNS1_3gpuE3ELNS1_3repE0EEENS1_30default_config_static_selectorELNS0_4arch9wavefront6targetE1EEEvSY_,comdat
.Lfunc_end1504:
	.size	_ZN7rocprim17ROCPRIM_400000_NS6detail17trampoline_kernelINS0_13select_configILj256ELj13ELNS0_17block_load_methodE3ELS4_3ELS4_3ELNS0_20block_scan_algorithmE0ELj4294967295EEENS1_25partition_config_selectorILNS1_17partition_subalgoE3EjNS0_10empty_typeEbEEZZNS1_14partition_implILS8_3ELb0ES6_jNS0_17counting_iteratorIjlEEPS9_SE_NS0_5tupleIJPjSE_EEENSF_IJSE_SE_EEES9_SG_JZNS1_25segmented_radix_sort_implINS0_14default_configELb1EPKbPbPKlPlN2at6native12_GLOBAL__N_18offset_tEEE10hipError_tPvRmT1_PNSt15iterator_traitsISY_E10value_typeET2_T3_PNSZ_IS14_E10value_typeET4_jRbjT5_S1A_jjP12ihipStream_tbEUljE_EEESV_SW_SX_S14_S18_S1A_T6_T7_T9_mT8_S1C_bDpT10_ENKUlT_T0_E_clISt17integral_constantIbLb0EES1P_EEDaS1K_S1L_EUlS1K_E_NS1_11comp_targetILNS1_3genE9ELNS1_11target_archE1100ELNS1_3gpuE3ELNS1_3repE0EEENS1_30default_config_static_selectorELNS0_4arch9wavefront6targetE1EEEvSY_, .Lfunc_end1504-_ZN7rocprim17ROCPRIM_400000_NS6detail17trampoline_kernelINS0_13select_configILj256ELj13ELNS0_17block_load_methodE3ELS4_3ELS4_3ELNS0_20block_scan_algorithmE0ELj4294967295EEENS1_25partition_config_selectorILNS1_17partition_subalgoE3EjNS0_10empty_typeEbEEZZNS1_14partition_implILS8_3ELb0ES6_jNS0_17counting_iteratorIjlEEPS9_SE_NS0_5tupleIJPjSE_EEENSF_IJSE_SE_EEES9_SG_JZNS1_25segmented_radix_sort_implINS0_14default_configELb1EPKbPbPKlPlN2at6native12_GLOBAL__N_18offset_tEEE10hipError_tPvRmT1_PNSt15iterator_traitsISY_E10value_typeET2_T3_PNSZ_IS14_E10value_typeET4_jRbjT5_S1A_jjP12ihipStream_tbEUljE_EEESV_SW_SX_S14_S18_S1A_T6_T7_T9_mT8_S1C_bDpT10_ENKUlT_T0_E_clISt17integral_constantIbLb0EES1P_EEDaS1K_S1L_EUlS1K_E_NS1_11comp_targetILNS1_3genE9ELNS1_11target_archE1100ELNS1_3gpuE3ELNS1_3repE0EEENS1_30default_config_static_selectorELNS0_4arch9wavefront6targetE1EEEvSY_
                                        ; -- End function
	.section	.AMDGPU.csdata,"",@progbits
; Kernel info:
; codeLenInByte = 0
; NumSgprs: 4
; NumVgprs: 0
; NumAgprs: 0
; TotalNumVgprs: 0
; ScratchSize: 0
; MemoryBound: 0
; FloatMode: 240
; IeeeMode: 1
; LDSByteSize: 0 bytes/workgroup (compile time only)
; SGPRBlocks: 0
; VGPRBlocks: 0
; NumSGPRsForWavesPerEU: 4
; NumVGPRsForWavesPerEU: 1
; AccumOffset: 4
; Occupancy: 8
; WaveLimiterHint : 0
; COMPUTE_PGM_RSRC2:SCRATCH_EN: 0
; COMPUTE_PGM_RSRC2:USER_SGPR: 6
; COMPUTE_PGM_RSRC2:TRAP_HANDLER: 0
; COMPUTE_PGM_RSRC2:TGID_X_EN: 1
; COMPUTE_PGM_RSRC2:TGID_Y_EN: 0
; COMPUTE_PGM_RSRC2:TGID_Z_EN: 0
; COMPUTE_PGM_RSRC2:TIDIG_COMP_CNT: 0
; COMPUTE_PGM_RSRC3_GFX90A:ACCUM_OFFSET: 0
; COMPUTE_PGM_RSRC3_GFX90A:TG_SPLIT: 0
	.section	.text._ZN7rocprim17ROCPRIM_400000_NS6detail17trampoline_kernelINS0_13select_configILj256ELj13ELNS0_17block_load_methodE3ELS4_3ELS4_3ELNS0_20block_scan_algorithmE0ELj4294967295EEENS1_25partition_config_selectorILNS1_17partition_subalgoE3EjNS0_10empty_typeEbEEZZNS1_14partition_implILS8_3ELb0ES6_jNS0_17counting_iteratorIjlEEPS9_SE_NS0_5tupleIJPjSE_EEENSF_IJSE_SE_EEES9_SG_JZNS1_25segmented_radix_sort_implINS0_14default_configELb1EPKbPbPKlPlN2at6native12_GLOBAL__N_18offset_tEEE10hipError_tPvRmT1_PNSt15iterator_traitsISY_E10value_typeET2_T3_PNSZ_IS14_E10value_typeET4_jRbjT5_S1A_jjP12ihipStream_tbEUljE_EEESV_SW_SX_S14_S18_S1A_T6_T7_T9_mT8_S1C_bDpT10_ENKUlT_T0_E_clISt17integral_constantIbLb0EES1P_EEDaS1K_S1L_EUlS1K_E_NS1_11comp_targetILNS1_3genE8ELNS1_11target_archE1030ELNS1_3gpuE2ELNS1_3repE0EEENS1_30default_config_static_selectorELNS0_4arch9wavefront6targetE1EEEvSY_,"axG",@progbits,_ZN7rocprim17ROCPRIM_400000_NS6detail17trampoline_kernelINS0_13select_configILj256ELj13ELNS0_17block_load_methodE3ELS4_3ELS4_3ELNS0_20block_scan_algorithmE0ELj4294967295EEENS1_25partition_config_selectorILNS1_17partition_subalgoE3EjNS0_10empty_typeEbEEZZNS1_14partition_implILS8_3ELb0ES6_jNS0_17counting_iteratorIjlEEPS9_SE_NS0_5tupleIJPjSE_EEENSF_IJSE_SE_EEES9_SG_JZNS1_25segmented_radix_sort_implINS0_14default_configELb1EPKbPbPKlPlN2at6native12_GLOBAL__N_18offset_tEEE10hipError_tPvRmT1_PNSt15iterator_traitsISY_E10value_typeET2_T3_PNSZ_IS14_E10value_typeET4_jRbjT5_S1A_jjP12ihipStream_tbEUljE_EEESV_SW_SX_S14_S18_S1A_T6_T7_T9_mT8_S1C_bDpT10_ENKUlT_T0_E_clISt17integral_constantIbLb0EES1P_EEDaS1K_S1L_EUlS1K_E_NS1_11comp_targetILNS1_3genE8ELNS1_11target_archE1030ELNS1_3gpuE2ELNS1_3repE0EEENS1_30default_config_static_selectorELNS0_4arch9wavefront6targetE1EEEvSY_,comdat
	.globl	_ZN7rocprim17ROCPRIM_400000_NS6detail17trampoline_kernelINS0_13select_configILj256ELj13ELNS0_17block_load_methodE3ELS4_3ELS4_3ELNS0_20block_scan_algorithmE0ELj4294967295EEENS1_25partition_config_selectorILNS1_17partition_subalgoE3EjNS0_10empty_typeEbEEZZNS1_14partition_implILS8_3ELb0ES6_jNS0_17counting_iteratorIjlEEPS9_SE_NS0_5tupleIJPjSE_EEENSF_IJSE_SE_EEES9_SG_JZNS1_25segmented_radix_sort_implINS0_14default_configELb1EPKbPbPKlPlN2at6native12_GLOBAL__N_18offset_tEEE10hipError_tPvRmT1_PNSt15iterator_traitsISY_E10value_typeET2_T3_PNSZ_IS14_E10value_typeET4_jRbjT5_S1A_jjP12ihipStream_tbEUljE_EEESV_SW_SX_S14_S18_S1A_T6_T7_T9_mT8_S1C_bDpT10_ENKUlT_T0_E_clISt17integral_constantIbLb0EES1P_EEDaS1K_S1L_EUlS1K_E_NS1_11comp_targetILNS1_3genE8ELNS1_11target_archE1030ELNS1_3gpuE2ELNS1_3repE0EEENS1_30default_config_static_selectorELNS0_4arch9wavefront6targetE1EEEvSY_ ; -- Begin function _ZN7rocprim17ROCPRIM_400000_NS6detail17trampoline_kernelINS0_13select_configILj256ELj13ELNS0_17block_load_methodE3ELS4_3ELS4_3ELNS0_20block_scan_algorithmE0ELj4294967295EEENS1_25partition_config_selectorILNS1_17partition_subalgoE3EjNS0_10empty_typeEbEEZZNS1_14partition_implILS8_3ELb0ES6_jNS0_17counting_iteratorIjlEEPS9_SE_NS0_5tupleIJPjSE_EEENSF_IJSE_SE_EEES9_SG_JZNS1_25segmented_radix_sort_implINS0_14default_configELb1EPKbPbPKlPlN2at6native12_GLOBAL__N_18offset_tEEE10hipError_tPvRmT1_PNSt15iterator_traitsISY_E10value_typeET2_T3_PNSZ_IS14_E10value_typeET4_jRbjT5_S1A_jjP12ihipStream_tbEUljE_EEESV_SW_SX_S14_S18_S1A_T6_T7_T9_mT8_S1C_bDpT10_ENKUlT_T0_E_clISt17integral_constantIbLb0EES1P_EEDaS1K_S1L_EUlS1K_E_NS1_11comp_targetILNS1_3genE8ELNS1_11target_archE1030ELNS1_3gpuE2ELNS1_3repE0EEENS1_30default_config_static_selectorELNS0_4arch9wavefront6targetE1EEEvSY_
	.p2align	8
	.type	_ZN7rocprim17ROCPRIM_400000_NS6detail17trampoline_kernelINS0_13select_configILj256ELj13ELNS0_17block_load_methodE3ELS4_3ELS4_3ELNS0_20block_scan_algorithmE0ELj4294967295EEENS1_25partition_config_selectorILNS1_17partition_subalgoE3EjNS0_10empty_typeEbEEZZNS1_14partition_implILS8_3ELb0ES6_jNS0_17counting_iteratorIjlEEPS9_SE_NS0_5tupleIJPjSE_EEENSF_IJSE_SE_EEES9_SG_JZNS1_25segmented_radix_sort_implINS0_14default_configELb1EPKbPbPKlPlN2at6native12_GLOBAL__N_18offset_tEEE10hipError_tPvRmT1_PNSt15iterator_traitsISY_E10value_typeET2_T3_PNSZ_IS14_E10value_typeET4_jRbjT5_S1A_jjP12ihipStream_tbEUljE_EEESV_SW_SX_S14_S18_S1A_T6_T7_T9_mT8_S1C_bDpT10_ENKUlT_T0_E_clISt17integral_constantIbLb0EES1P_EEDaS1K_S1L_EUlS1K_E_NS1_11comp_targetILNS1_3genE8ELNS1_11target_archE1030ELNS1_3gpuE2ELNS1_3repE0EEENS1_30default_config_static_selectorELNS0_4arch9wavefront6targetE1EEEvSY_,@function
_ZN7rocprim17ROCPRIM_400000_NS6detail17trampoline_kernelINS0_13select_configILj256ELj13ELNS0_17block_load_methodE3ELS4_3ELS4_3ELNS0_20block_scan_algorithmE0ELj4294967295EEENS1_25partition_config_selectorILNS1_17partition_subalgoE3EjNS0_10empty_typeEbEEZZNS1_14partition_implILS8_3ELb0ES6_jNS0_17counting_iteratorIjlEEPS9_SE_NS0_5tupleIJPjSE_EEENSF_IJSE_SE_EEES9_SG_JZNS1_25segmented_radix_sort_implINS0_14default_configELb1EPKbPbPKlPlN2at6native12_GLOBAL__N_18offset_tEEE10hipError_tPvRmT1_PNSt15iterator_traitsISY_E10value_typeET2_T3_PNSZ_IS14_E10value_typeET4_jRbjT5_S1A_jjP12ihipStream_tbEUljE_EEESV_SW_SX_S14_S18_S1A_T6_T7_T9_mT8_S1C_bDpT10_ENKUlT_T0_E_clISt17integral_constantIbLb0EES1P_EEDaS1K_S1L_EUlS1K_E_NS1_11comp_targetILNS1_3genE8ELNS1_11target_archE1030ELNS1_3gpuE2ELNS1_3repE0EEENS1_30default_config_static_selectorELNS0_4arch9wavefront6targetE1EEEvSY_: ; @_ZN7rocprim17ROCPRIM_400000_NS6detail17trampoline_kernelINS0_13select_configILj256ELj13ELNS0_17block_load_methodE3ELS4_3ELS4_3ELNS0_20block_scan_algorithmE0ELj4294967295EEENS1_25partition_config_selectorILNS1_17partition_subalgoE3EjNS0_10empty_typeEbEEZZNS1_14partition_implILS8_3ELb0ES6_jNS0_17counting_iteratorIjlEEPS9_SE_NS0_5tupleIJPjSE_EEENSF_IJSE_SE_EEES9_SG_JZNS1_25segmented_radix_sort_implINS0_14default_configELb1EPKbPbPKlPlN2at6native12_GLOBAL__N_18offset_tEEE10hipError_tPvRmT1_PNSt15iterator_traitsISY_E10value_typeET2_T3_PNSZ_IS14_E10value_typeET4_jRbjT5_S1A_jjP12ihipStream_tbEUljE_EEESV_SW_SX_S14_S18_S1A_T6_T7_T9_mT8_S1C_bDpT10_ENKUlT_T0_E_clISt17integral_constantIbLb0EES1P_EEDaS1K_S1L_EUlS1K_E_NS1_11comp_targetILNS1_3genE8ELNS1_11target_archE1030ELNS1_3gpuE2ELNS1_3repE0EEENS1_30default_config_static_selectorELNS0_4arch9wavefront6targetE1EEEvSY_
; %bb.0:
	.section	.rodata,"a",@progbits
	.p2align	6, 0x0
	.amdhsa_kernel _ZN7rocprim17ROCPRIM_400000_NS6detail17trampoline_kernelINS0_13select_configILj256ELj13ELNS0_17block_load_methodE3ELS4_3ELS4_3ELNS0_20block_scan_algorithmE0ELj4294967295EEENS1_25partition_config_selectorILNS1_17partition_subalgoE3EjNS0_10empty_typeEbEEZZNS1_14partition_implILS8_3ELb0ES6_jNS0_17counting_iteratorIjlEEPS9_SE_NS0_5tupleIJPjSE_EEENSF_IJSE_SE_EEES9_SG_JZNS1_25segmented_radix_sort_implINS0_14default_configELb1EPKbPbPKlPlN2at6native12_GLOBAL__N_18offset_tEEE10hipError_tPvRmT1_PNSt15iterator_traitsISY_E10value_typeET2_T3_PNSZ_IS14_E10value_typeET4_jRbjT5_S1A_jjP12ihipStream_tbEUljE_EEESV_SW_SX_S14_S18_S1A_T6_T7_T9_mT8_S1C_bDpT10_ENKUlT_T0_E_clISt17integral_constantIbLb0EES1P_EEDaS1K_S1L_EUlS1K_E_NS1_11comp_targetILNS1_3genE8ELNS1_11target_archE1030ELNS1_3gpuE2ELNS1_3repE0EEENS1_30default_config_static_selectorELNS0_4arch9wavefront6targetE1EEEvSY_
		.amdhsa_group_segment_fixed_size 0
		.amdhsa_private_segment_fixed_size 0
		.amdhsa_kernarg_size 144
		.amdhsa_user_sgpr_count 6
		.amdhsa_user_sgpr_private_segment_buffer 1
		.amdhsa_user_sgpr_dispatch_ptr 0
		.amdhsa_user_sgpr_queue_ptr 0
		.amdhsa_user_sgpr_kernarg_segment_ptr 1
		.amdhsa_user_sgpr_dispatch_id 0
		.amdhsa_user_sgpr_flat_scratch_init 0
		.amdhsa_user_sgpr_kernarg_preload_length 0
		.amdhsa_user_sgpr_kernarg_preload_offset 0
		.amdhsa_user_sgpr_private_segment_size 0
		.amdhsa_uses_dynamic_stack 0
		.amdhsa_system_sgpr_private_segment_wavefront_offset 0
		.amdhsa_system_sgpr_workgroup_id_x 1
		.amdhsa_system_sgpr_workgroup_id_y 0
		.amdhsa_system_sgpr_workgroup_id_z 0
		.amdhsa_system_sgpr_workgroup_info 0
		.amdhsa_system_vgpr_workitem_id 0
		.amdhsa_next_free_vgpr 1
		.amdhsa_next_free_sgpr 0
		.amdhsa_accum_offset 4
		.amdhsa_reserve_vcc 0
		.amdhsa_reserve_flat_scratch 0
		.amdhsa_float_round_mode_32 0
		.amdhsa_float_round_mode_16_64 0
		.amdhsa_float_denorm_mode_32 3
		.amdhsa_float_denorm_mode_16_64 3
		.amdhsa_dx10_clamp 1
		.amdhsa_ieee_mode 1
		.amdhsa_fp16_overflow 0
		.amdhsa_tg_split 0
		.amdhsa_exception_fp_ieee_invalid_op 0
		.amdhsa_exception_fp_denorm_src 0
		.amdhsa_exception_fp_ieee_div_zero 0
		.amdhsa_exception_fp_ieee_overflow 0
		.amdhsa_exception_fp_ieee_underflow 0
		.amdhsa_exception_fp_ieee_inexact 0
		.amdhsa_exception_int_div_zero 0
	.end_amdhsa_kernel
	.section	.text._ZN7rocprim17ROCPRIM_400000_NS6detail17trampoline_kernelINS0_13select_configILj256ELj13ELNS0_17block_load_methodE3ELS4_3ELS4_3ELNS0_20block_scan_algorithmE0ELj4294967295EEENS1_25partition_config_selectorILNS1_17partition_subalgoE3EjNS0_10empty_typeEbEEZZNS1_14partition_implILS8_3ELb0ES6_jNS0_17counting_iteratorIjlEEPS9_SE_NS0_5tupleIJPjSE_EEENSF_IJSE_SE_EEES9_SG_JZNS1_25segmented_radix_sort_implINS0_14default_configELb1EPKbPbPKlPlN2at6native12_GLOBAL__N_18offset_tEEE10hipError_tPvRmT1_PNSt15iterator_traitsISY_E10value_typeET2_T3_PNSZ_IS14_E10value_typeET4_jRbjT5_S1A_jjP12ihipStream_tbEUljE_EEESV_SW_SX_S14_S18_S1A_T6_T7_T9_mT8_S1C_bDpT10_ENKUlT_T0_E_clISt17integral_constantIbLb0EES1P_EEDaS1K_S1L_EUlS1K_E_NS1_11comp_targetILNS1_3genE8ELNS1_11target_archE1030ELNS1_3gpuE2ELNS1_3repE0EEENS1_30default_config_static_selectorELNS0_4arch9wavefront6targetE1EEEvSY_,"axG",@progbits,_ZN7rocprim17ROCPRIM_400000_NS6detail17trampoline_kernelINS0_13select_configILj256ELj13ELNS0_17block_load_methodE3ELS4_3ELS4_3ELNS0_20block_scan_algorithmE0ELj4294967295EEENS1_25partition_config_selectorILNS1_17partition_subalgoE3EjNS0_10empty_typeEbEEZZNS1_14partition_implILS8_3ELb0ES6_jNS0_17counting_iteratorIjlEEPS9_SE_NS0_5tupleIJPjSE_EEENSF_IJSE_SE_EEES9_SG_JZNS1_25segmented_radix_sort_implINS0_14default_configELb1EPKbPbPKlPlN2at6native12_GLOBAL__N_18offset_tEEE10hipError_tPvRmT1_PNSt15iterator_traitsISY_E10value_typeET2_T3_PNSZ_IS14_E10value_typeET4_jRbjT5_S1A_jjP12ihipStream_tbEUljE_EEESV_SW_SX_S14_S18_S1A_T6_T7_T9_mT8_S1C_bDpT10_ENKUlT_T0_E_clISt17integral_constantIbLb0EES1P_EEDaS1K_S1L_EUlS1K_E_NS1_11comp_targetILNS1_3genE8ELNS1_11target_archE1030ELNS1_3gpuE2ELNS1_3repE0EEENS1_30default_config_static_selectorELNS0_4arch9wavefront6targetE1EEEvSY_,comdat
.Lfunc_end1505:
	.size	_ZN7rocprim17ROCPRIM_400000_NS6detail17trampoline_kernelINS0_13select_configILj256ELj13ELNS0_17block_load_methodE3ELS4_3ELS4_3ELNS0_20block_scan_algorithmE0ELj4294967295EEENS1_25partition_config_selectorILNS1_17partition_subalgoE3EjNS0_10empty_typeEbEEZZNS1_14partition_implILS8_3ELb0ES6_jNS0_17counting_iteratorIjlEEPS9_SE_NS0_5tupleIJPjSE_EEENSF_IJSE_SE_EEES9_SG_JZNS1_25segmented_radix_sort_implINS0_14default_configELb1EPKbPbPKlPlN2at6native12_GLOBAL__N_18offset_tEEE10hipError_tPvRmT1_PNSt15iterator_traitsISY_E10value_typeET2_T3_PNSZ_IS14_E10value_typeET4_jRbjT5_S1A_jjP12ihipStream_tbEUljE_EEESV_SW_SX_S14_S18_S1A_T6_T7_T9_mT8_S1C_bDpT10_ENKUlT_T0_E_clISt17integral_constantIbLb0EES1P_EEDaS1K_S1L_EUlS1K_E_NS1_11comp_targetILNS1_3genE8ELNS1_11target_archE1030ELNS1_3gpuE2ELNS1_3repE0EEENS1_30default_config_static_selectorELNS0_4arch9wavefront6targetE1EEEvSY_, .Lfunc_end1505-_ZN7rocprim17ROCPRIM_400000_NS6detail17trampoline_kernelINS0_13select_configILj256ELj13ELNS0_17block_load_methodE3ELS4_3ELS4_3ELNS0_20block_scan_algorithmE0ELj4294967295EEENS1_25partition_config_selectorILNS1_17partition_subalgoE3EjNS0_10empty_typeEbEEZZNS1_14partition_implILS8_3ELb0ES6_jNS0_17counting_iteratorIjlEEPS9_SE_NS0_5tupleIJPjSE_EEENSF_IJSE_SE_EEES9_SG_JZNS1_25segmented_radix_sort_implINS0_14default_configELb1EPKbPbPKlPlN2at6native12_GLOBAL__N_18offset_tEEE10hipError_tPvRmT1_PNSt15iterator_traitsISY_E10value_typeET2_T3_PNSZ_IS14_E10value_typeET4_jRbjT5_S1A_jjP12ihipStream_tbEUljE_EEESV_SW_SX_S14_S18_S1A_T6_T7_T9_mT8_S1C_bDpT10_ENKUlT_T0_E_clISt17integral_constantIbLb0EES1P_EEDaS1K_S1L_EUlS1K_E_NS1_11comp_targetILNS1_3genE8ELNS1_11target_archE1030ELNS1_3gpuE2ELNS1_3repE0EEENS1_30default_config_static_selectorELNS0_4arch9wavefront6targetE1EEEvSY_
                                        ; -- End function
	.section	.AMDGPU.csdata,"",@progbits
; Kernel info:
; codeLenInByte = 0
; NumSgprs: 4
; NumVgprs: 0
; NumAgprs: 0
; TotalNumVgprs: 0
; ScratchSize: 0
; MemoryBound: 0
; FloatMode: 240
; IeeeMode: 1
; LDSByteSize: 0 bytes/workgroup (compile time only)
; SGPRBlocks: 0
; VGPRBlocks: 0
; NumSGPRsForWavesPerEU: 4
; NumVGPRsForWavesPerEU: 1
; AccumOffset: 4
; Occupancy: 8
; WaveLimiterHint : 0
; COMPUTE_PGM_RSRC2:SCRATCH_EN: 0
; COMPUTE_PGM_RSRC2:USER_SGPR: 6
; COMPUTE_PGM_RSRC2:TRAP_HANDLER: 0
; COMPUTE_PGM_RSRC2:TGID_X_EN: 1
; COMPUTE_PGM_RSRC2:TGID_Y_EN: 0
; COMPUTE_PGM_RSRC2:TGID_Z_EN: 0
; COMPUTE_PGM_RSRC2:TIDIG_COMP_CNT: 0
; COMPUTE_PGM_RSRC3_GFX90A:ACCUM_OFFSET: 0
; COMPUTE_PGM_RSRC3_GFX90A:TG_SPLIT: 0
	.section	.text._ZN7rocprim17ROCPRIM_400000_NS6detail17trampoline_kernelINS0_13select_configILj256ELj13ELNS0_17block_load_methodE3ELS4_3ELS4_3ELNS0_20block_scan_algorithmE0ELj4294967295EEENS1_25partition_config_selectorILNS1_17partition_subalgoE3EjNS0_10empty_typeEbEEZZNS1_14partition_implILS8_3ELb0ES6_jNS0_17counting_iteratorIjlEEPS9_SE_NS0_5tupleIJPjSE_EEENSF_IJSE_SE_EEES9_SG_JZNS1_25segmented_radix_sort_implINS0_14default_configELb1EPKbPbPKlPlN2at6native12_GLOBAL__N_18offset_tEEE10hipError_tPvRmT1_PNSt15iterator_traitsISY_E10value_typeET2_T3_PNSZ_IS14_E10value_typeET4_jRbjT5_S1A_jjP12ihipStream_tbEUljE_EEESV_SW_SX_S14_S18_S1A_T6_T7_T9_mT8_S1C_bDpT10_ENKUlT_T0_E_clISt17integral_constantIbLb1EES1P_EEDaS1K_S1L_EUlS1K_E_NS1_11comp_targetILNS1_3genE0ELNS1_11target_archE4294967295ELNS1_3gpuE0ELNS1_3repE0EEENS1_30default_config_static_selectorELNS0_4arch9wavefront6targetE1EEEvSY_,"axG",@progbits,_ZN7rocprim17ROCPRIM_400000_NS6detail17trampoline_kernelINS0_13select_configILj256ELj13ELNS0_17block_load_methodE3ELS4_3ELS4_3ELNS0_20block_scan_algorithmE0ELj4294967295EEENS1_25partition_config_selectorILNS1_17partition_subalgoE3EjNS0_10empty_typeEbEEZZNS1_14partition_implILS8_3ELb0ES6_jNS0_17counting_iteratorIjlEEPS9_SE_NS0_5tupleIJPjSE_EEENSF_IJSE_SE_EEES9_SG_JZNS1_25segmented_radix_sort_implINS0_14default_configELb1EPKbPbPKlPlN2at6native12_GLOBAL__N_18offset_tEEE10hipError_tPvRmT1_PNSt15iterator_traitsISY_E10value_typeET2_T3_PNSZ_IS14_E10value_typeET4_jRbjT5_S1A_jjP12ihipStream_tbEUljE_EEESV_SW_SX_S14_S18_S1A_T6_T7_T9_mT8_S1C_bDpT10_ENKUlT_T0_E_clISt17integral_constantIbLb1EES1P_EEDaS1K_S1L_EUlS1K_E_NS1_11comp_targetILNS1_3genE0ELNS1_11target_archE4294967295ELNS1_3gpuE0ELNS1_3repE0EEENS1_30default_config_static_selectorELNS0_4arch9wavefront6targetE1EEEvSY_,comdat
	.globl	_ZN7rocprim17ROCPRIM_400000_NS6detail17trampoline_kernelINS0_13select_configILj256ELj13ELNS0_17block_load_methodE3ELS4_3ELS4_3ELNS0_20block_scan_algorithmE0ELj4294967295EEENS1_25partition_config_selectorILNS1_17partition_subalgoE3EjNS0_10empty_typeEbEEZZNS1_14partition_implILS8_3ELb0ES6_jNS0_17counting_iteratorIjlEEPS9_SE_NS0_5tupleIJPjSE_EEENSF_IJSE_SE_EEES9_SG_JZNS1_25segmented_radix_sort_implINS0_14default_configELb1EPKbPbPKlPlN2at6native12_GLOBAL__N_18offset_tEEE10hipError_tPvRmT1_PNSt15iterator_traitsISY_E10value_typeET2_T3_PNSZ_IS14_E10value_typeET4_jRbjT5_S1A_jjP12ihipStream_tbEUljE_EEESV_SW_SX_S14_S18_S1A_T6_T7_T9_mT8_S1C_bDpT10_ENKUlT_T0_E_clISt17integral_constantIbLb1EES1P_EEDaS1K_S1L_EUlS1K_E_NS1_11comp_targetILNS1_3genE0ELNS1_11target_archE4294967295ELNS1_3gpuE0ELNS1_3repE0EEENS1_30default_config_static_selectorELNS0_4arch9wavefront6targetE1EEEvSY_ ; -- Begin function _ZN7rocprim17ROCPRIM_400000_NS6detail17trampoline_kernelINS0_13select_configILj256ELj13ELNS0_17block_load_methodE3ELS4_3ELS4_3ELNS0_20block_scan_algorithmE0ELj4294967295EEENS1_25partition_config_selectorILNS1_17partition_subalgoE3EjNS0_10empty_typeEbEEZZNS1_14partition_implILS8_3ELb0ES6_jNS0_17counting_iteratorIjlEEPS9_SE_NS0_5tupleIJPjSE_EEENSF_IJSE_SE_EEES9_SG_JZNS1_25segmented_radix_sort_implINS0_14default_configELb1EPKbPbPKlPlN2at6native12_GLOBAL__N_18offset_tEEE10hipError_tPvRmT1_PNSt15iterator_traitsISY_E10value_typeET2_T3_PNSZ_IS14_E10value_typeET4_jRbjT5_S1A_jjP12ihipStream_tbEUljE_EEESV_SW_SX_S14_S18_S1A_T6_T7_T9_mT8_S1C_bDpT10_ENKUlT_T0_E_clISt17integral_constantIbLb1EES1P_EEDaS1K_S1L_EUlS1K_E_NS1_11comp_targetILNS1_3genE0ELNS1_11target_archE4294967295ELNS1_3gpuE0ELNS1_3repE0EEENS1_30default_config_static_selectorELNS0_4arch9wavefront6targetE1EEEvSY_
	.p2align	8
	.type	_ZN7rocprim17ROCPRIM_400000_NS6detail17trampoline_kernelINS0_13select_configILj256ELj13ELNS0_17block_load_methodE3ELS4_3ELS4_3ELNS0_20block_scan_algorithmE0ELj4294967295EEENS1_25partition_config_selectorILNS1_17partition_subalgoE3EjNS0_10empty_typeEbEEZZNS1_14partition_implILS8_3ELb0ES6_jNS0_17counting_iteratorIjlEEPS9_SE_NS0_5tupleIJPjSE_EEENSF_IJSE_SE_EEES9_SG_JZNS1_25segmented_radix_sort_implINS0_14default_configELb1EPKbPbPKlPlN2at6native12_GLOBAL__N_18offset_tEEE10hipError_tPvRmT1_PNSt15iterator_traitsISY_E10value_typeET2_T3_PNSZ_IS14_E10value_typeET4_jRbjT5_S1A_jjP12ihipStream_tbEUljE_EEESV_SW_SX_S14_S18_S1A_T6_T7_T9_mT8_S1C_bDpT10_ENKUlT_T0_E_clISt17integral_constantIbLb1EES1P_EEDaS1K_S1L_EUlS1K_E_NS1_11comp_targetILNS1_3genE0ELNS1_11target_archE4294967295ELNS1_3gpuE0ELNS1_3repE0EEENS1_30default_config_static_selectorELNS0_4arch9wavefront6targetE1EEEvSY_,@function
_ZN7rocprim17ROCPRIM_400000_NS6detail17trampoline_kernelINS0_13select_configILj256ELj13ELNS0_17block_load_methodE3ELS4_3ELS4_3ELNS0_20block_scan_algorithmE0ELj4294967295EEENS1_25partition_config_selectorILNS1_17partition_subalgoE3EjNS0_10empty_typeEbEEZZNS1_14partition_implILS8_3ELb0ES6_jNS0_17counting_iteratorIjlEEPS9_SE_NS0_5tupleIJPjSE_EEENSF_IJSE_SE_EEES9_SG_JZNS1_25segmented_radix_sort_implINS0_14default_configELb1EPKbPbPKlPlN2at6native12_GLOBAL__N_18offset_tEEE10hipError_tPvRmT1_PNSt15iterator_traitsISY_E10value_typeET2_T3_PNSZ_IS14_E10value_typeET4_jRbjT5_S1A_jjP12ihipStream_tbEUljE_EEESV_SW_SX_S14_S18_S1A_T6_T7_T9_mT8_S1C_bDpT10_ENKUlT_T0_E_clISt17integral_constantIbLb1EES1P_EEDaS1K_S1L_EUlS1K_E_NS1_11comp_targetILNS1_3genE0ELNS1_11target_archE4294967295ELNS1_3gpuE0ELNS1_3repE0EEENS1_30default_config_static_selectorELNS0_4arch9wavefront6targetE1EEEvSY_: ; @_ZN7rocprim17ROCPRIM_400000_NS6detail17trampoline_kernelINS0_13select_configILj256ELj13ELNS0_17block_load_methodE3ELS4_3ELS4_3ELNS0_20block_scan_algorithmE0ELj4294967295EEENS1_25partition_config_selectorILNS1_17partition_subalgoE3EjNS0_10empty_typeEbEEZZNS1_14partition_implILS8_3ELb0ES6_jNS0_17counting_iteratorIjlEEPS9_SE_NS0_5tupleIJPjSE_EEENSF_IJSE_SE_EEES9_SG_JZNS1_25segmented_radix_sort_implINS0_14default_configELb1EPKbPbPKlPlN2at6native12_GLOBAL__N_18offset_tEEE10hipError_tPvRmT1_PNSt15iterator_traitsISY_E10value_typeET2_T3_PNSZ_IS14_E10value_typeET4_jRbjT5_S1A_jjP12ihipStream_tbEUljE_EEESV_SW_SX_S14_S18_S1A_T6_T7_T9_mT8_S1C_bDpT10_ENKUlT_T0_E_clISt17integral_constantIbLb1EES1P_EEDaS1K_S1L_EUlS1K_E_NS1_11comp_targetILNS1_3genE0ELNS1_11target_archE4294967295ELNS1_3gpuE0ELNS1_3repE0EEENS1_30default_config_static_selectorELNS0_4arch9wavefront6targetE1EEEvSY_
; %bb.0:
	.section	.rodata,"a",@progbits
	.p2align	6, 0x0
	.amdhsa_kernel _ZN7rocprim17ROCPRIM_400000_NS6detail17trampoline_kernelINS0_13select_configILj256ELj13ELNS0_17block_load_methodE3ELS4_3ELS4_3ELNS0_20block_scan_algorithmE0ELj4294967295EEENS1_25partition_config_selectorILNS1_17partition_subalgoE3EjNS0_10empty_typeEbEEZZNS1_14partition_implILS8_3ELb0ES6_jNS0_17counting_iteratorIjlEEPS9_SE_NS0_5tupleIJPjSE_EEENSF_IJSE_SE_EEES9_SG_JZNS1_25segmented_radix_sort_implINS0_14default_configELb1EPKbPbPKlPlN2at6native12_GLOBAL__N_18offset_tEEE10hipError_tPvRmT1_PNSt15iterator_traitsISY_E10value_typeET2_T3_PNSZ_IS14_E10value_typeET4_jRbjT5_S1A_jjP12ihipStream_tbEUljE_EEESV_SW_SX_S14_S18_S1A_T6_T7_T9_mT8_S1C_bDpT10_ENKUlT_T0_E_clISt17integral_constantIbLb1EES1P_EEDaS1K_S1L_EUlS1K_E_NS1_11comp_targetILNS1_3genE0ELNS1_11target_archE4294967295ELNS1_3gpuE0ELNS1_3repE0EEENS1_30default_config_static_selectorELNS0_4arch9wavefront6targetE1EEEvSY_
		.amdhsa_group_segment_fixed_size 0
		.amdhsa_private_segment_fixed_size 0
		.amdhsa_kernarg_size 152
		.amdhsa_user_sgpr_count 6
		.amdhsa_user_sgpr_private_segment_buffer 1
		.amdhsa_user_sgpr_dispatch_ptr 0
		.amdhsa_user_sgpr_queue_ptr 0
		.amdhsa_user_sgpr_kernarg_segment_ptr 1
		.amdhsa_user_sgpr_dispatch_id 0
		.amdhsa_user_sgpr_flat_scratch_init 0
		.amdhsa_user_sgpr_kernarg_preload_length 0
		.amdhsa_user_sgpr_kernarg_preload_offset 0
		.amdhsa_user_sgpr_private_segment_size 0
		.amdhsa_uses_dynamic_stack 0
		.amdhsa_system_sgpr_private_segment_wavefront_offset 0
		.amdhsa_system_sgpr_workgroup_id_x 1
		.amdhsa_system_sgpr_workgroup_id_y 0
		.amdhsa_system_sgpr_workgroup_id_z 0
		.amdhsa_system_sgpr_workgroup_info 0
		.amdhsa_system_vgpr_workitem_id 0
		.amdhsa_next_free_vgpr 1
		.amdhsa_next_free_sgpr 0
		.amdhsa_accum_offset 4
		.amdhsa_reserve_vcc 0
		.amdhsa_reserve_flat_scratch 0
		.amdhsa_float_round_mode_32 0
		.amdhsa_float_round_mode_16_64 0
		.amdhsa_float_denorm_mode_32 3
		.amdhsa_float_denorm_mode_16_64 3
		.amdhsa_dx10_clamp 1
		.amdhsa_ieee_mode 1
		.amdhsa_fp16_overflow 0
		.amdhsa_tg_split 0
		.amdhsa_exception_fp_ieee_invalid_op 0
		.amdhsa_exception_fp_denorm_src 0
		.amdhsa_exception_fp_ieee_div_zero 0
		.amdhsa_exception_fp_ieee_overflow 0
		.amdhsa_exception_fp_ieee_underflow 0
		.amdhsa_exception_fp_ieee_inexact 0
		.amdhsa_exception_int_div_zero 0
	.end_amdhsa_kernel
	.section	.text._ZN7rocprim17ROCPRIM_400000_NS6detail17trampoline_kernelINS0_13select_configILj256ELj13ELNS0_17block_load_methodE3ELS4_3ELS4_3ELNS0_20block_scan_algorithmE0ELj4294967295EEENS1_25partition_config_selectorILNS1_17partition_subalgoE3EjNS0_10empty_typeEbEEZZNS1_14partition_implILS8_3ELb0ES6_jNS0_17counting_iteratorIjlEEPS9_SE_NS0_5tupleIJPjSE_EEENSF_IJSE_SE_EEES9_SG_JZNS1_25segmented_radix_sort_implINS0_14default_configELb1EPKbPbPKlPlN2at6native12_GLOBAL__N_18offset_tEEE10hipError_tPvRmT1_PNSt15iterator_traitsISY_E10value_typeET2_T3_PNSZ_IS14_E10value_typeET4_jRbjT5_S1A_jjP12ihipStream_tbEUljE_EEESV_SW_SX_S14_S18_S1A_T6_T7_T9_mT8_S1C_bDpT10_ENKUlT_T0_E_clISt17integral_constantIbLb1EES1P_EEDaS1K_S1L_EUlS1K_E_NS1_11comp_targetILNS1_3genE0ELNS1_11target_archE4294967295ELNS1_3gpuE0ELNS1_3repE0EEENS1_30default_config_static_selectorELNS0_4arch9wavefront6targetE1EEEvSY_,"axG",@progbits,_ZN7rocprim17ROCPRIM_400000_NS6detail17trampoline_kernelINS0_13select_configILj256ELj13ELNS0_17block_load_methodE3ELS4_3ELS4_3ELNS0_20block_scan_algorithmE0ELj4294967295EEENS1_25partition_config_selectorILNS1_17partition_subalgoE3EjNS0_10empty_typeEbEEZZNS1_14partition_implILS8_3ELb0ES6_jNS0_17counting_iteratorIjlEEPS9_SE_NS0_5tupleIJPjSE_EEENSF_IJSE_SE_EEES9_SG_JZNS1_25segmented_radix_sort_implINS0_14default_configELb1EPKbPbPKlPlN2at6native12_GLOBAL__N_18offset_tEEE10hipError_tPvRmT1_PNSt15iterator_traitsISY_E10value_typeET2_T3_PNSZ_IS14_E10value_typeET4_jRbjT5_S1A_jjP12ihipStream_tbEUljE_EEESV_SW_SX_S14_S18_S1A_T6_T7_T9_mT8_S1C_bDpT10_ENKUlT_T0_E_clISt17integral_constantIbLb1EES1P_EEDaS1K_S1L_EUlS1K_E_NS1_11comp_targetILNS1_3genE0ELNS1_11target_archE4294967295ELNS1_3gpuE0ELNS1_3repE0EEENS1_30default_config_static_selectorELNS0_4arch9wavefront6targetE1EEEvSY_,comdat
.Lfunc_end1506:
	.size	_ZN7rocprim17ROCPRIM_400000_NS6detail17trampoline_kernelINS0_13select_configILj256ELj13ELNS0_17block_load_methodE3ELS4_3ELS4_3ELNS0_20block_scan_algorithmE0ELj4294967295EEENS1_25partition_config_selectorILNS1_17partition_subalgoE3EjNS0_10empty_typeEbEEZZNS1_14partition_implILS8_3ELb0ES6_jNS0_17counting_iteratorIjlEEPS9_SE_NS0_5tupleIJPjSE_EEENSF_IJSE_SE_EEES9_SG_JZNS1_25segmented_radix_sort_implINS0_14default_configELb1EPKbPbPKlPlN2at6native12_GLOBAL__N_18offset_tEEE10hipError_tPvRmT1_PNSt15iterator_traitsISY_E10value_typeET2_T3_PNSZ_IS14_E10value_typeET4_jRbjT5_S1A_jjP12ihipStream_tbEUljE_EEESV_SW_SX_S14_S18_S1A_T6_T7_T9_mT8_S1C_bDpT10_ENKUlT_T0_E_clISt17integral_constantIbLb1EES1P_EEDaS1K_S1L_EUlS1K_E_NS1_11comp_targetILNS1_3genE0ELNS1_11target_archE4294967295ELNS1_3gpuE0ELNS1_3repE0EEENS1_30default_config_static_selectorELNS0_4arch9wavefront6targetE1EEEvSY_, .Lfunc_end1506-_ZN7rocprim17ROCPRIM_400000_NS6detail17trampoline_kernelINS0_13select_configILj256ELj13ELNS0_17block_load_methodE3ELS4_3ELS4_3ELNS0_20block_scan_algorithmE0ELj4294967295EEENS1_25partition_config_selectorILNS1_17partition_subalgoE3EjNS0_10empty_typeEbEEZZNS1_14partition_implILS8_3ELb0ES6_jNS0_17counting_iteratorIjlEEPS9_SE_NS0_5tupleIJPjSE_EEENSF_IJSE_SE_EEES9_SG_JZNS1_25segmented_radix_sort_implINS0_14default_configELb1EPKbPbPKlPlN2at6native12_GLOBAL__N_18offset_tEEE10hipError_tPvRmT1_PNSt15iterator_traitsISY_E10value_typeET2_T3_PNSZ_IS14_E10value_typeET4_jRbjT5_S1A_jjP12ihipStream_tbEUljE_EEESV_SW_SX_S14_S18_S1A_T6_T7_T9_mT8_S1C_bDpT10_ENKUlT_T0_E_clISt17integral_constantIbLb1EES1P_EEDaS1K_S1L_EUlS1K_E_NS1_11comp_targetILNS1_3genE0ELNS1_11target_archE4294967295ELNS1_3gpuE0ELNS1_3repE0EEENS1_30default_config_static_selectorELNS0_4arch9wavefront6targetE1EEEvSY_
                                        ; -- End function
	.section	.AMDGPU.csdata,"",@progbits
; Kernel info:
; codeLenInByte = 0
; NumSgprs: 4
; NumVgprs: 0
; NumAgprs: 0
; TotalNumVgprs: 0
; ScratchSize: 0
; MemoryBound: 0
; FloatMode: 240
; IeeeMode: 1
; LDSByteSize: 0 bytes/workgroup (compile time only)
; SGPRBlocks: 0
; VGPRBlocks: 0
; NumSGPRsForWavesPerEU: 4
; NumVGPRsForWavesPerEU: 1
; AccumOffset: 4
; Occupancy: 8
; WaveLimiterHint : 0
; COMPUTE_PGM_RSRC2:SCRATCH_EN: 0
; COMPUTE_PGM_RSRC2:USER_SGPR: 6
; COMPUTE_PGM_RSRC2:TRAP_HANDLER: 0
; COMPUTE_PGM_RSRC2:TGID_X_EN: 1
; COMPUTE_PGM_RSRC2:TGID_Y_EN: 0
; COMPUTE_PGM_RSRC2:TGID_Z_EN: 0
; COMPUTE_PGM_RSRC2:TIDIG_COMP_CNT: 0
; COMPUTE_PGM_RSRC3_GFX90A:ACCUM_OFFSET: 0
; COMPUTE_PGM_RSRC3_GFX90A:TG_SPLIT: 0
	.section	.text._ZN7rocprim17ROCPRIM_400000_NS6detail17trampoline_kernelINS0_13select_configILj256ELj13ELNS0_17block_load_methodE3ELS4_3ELS4_3ELNS0_20block_scan_algorithmE0ELj4294967295EEENS1_25partition_config_selectorILNS1_17partition_subalgoE3EjNS0_10empty_typeEbEEZZNS1_14partition_implILS8_3ELb0ES6_jNS0_17counting_iteratorIjlEEPS9_SE_NS0_5tupleIJPjSE_EEENSF_IJSE_SE_EEES9_SG_JZNS1_25segmented_radix_sort_implINS0_14default_configELb1EPKbPbPKlPlN2at6native12_GLOBAL__N_18offset_tEEE10hipError_tPvRmT1_PNSt15iterator_traitsISY_E10value_typeET2_T3_PNSZ_IS14_E10value_typeET4_jRbjT5_S1A_jjP12ihipStream_tbEUljE_EEESV_SW_SX_S14_S18_S1A_T6_T7_T9_mT8_S1C_bDpT10_ENKUlT_T0_E_clISt17integral_constantIbLb1EES1P_EEDaS1K_S1L_EUlS1K_E_NS1_11comp_targetILNS1_3genE5ELNS1_11target_archE942ELNS1_3gpuE9ELNS1_3repE0EEENS1_30default_config_static_selectorELNS0_4arch9wavefront6targetE1EEEvSY_,"axG",@progbits,_ZN7rocprim17ROCPRIM_400000_NS6detail17trampoline_kernelINS0_13select_configILj256ELj13ELNS0_17block_load_methodE3ELS4_3ELS4_3ELNS0_20block_scan_algorithmE0ELj4294967295EEENS1_25partition_config_selectorILNS1_17partition_subalgoE3EjNS0_10empty_typeEbEEZZNS1_14partition_implILS8_3ELb0ES6_jNS0_17counting_iteratorIjlEEPS9_SE_NS0_5tupleIJPjSE_EEENSF_IJSE_SE_EEES9_SG_JZNS1_25segmented_radix_sort_implINS0_14default_configELb1EPKbPbPKlPlN2at6native12_GLOBAL__N_18offset_tEEE10hipError_tPvRmT1_PNSt15iterator_traitsISY_E10value_typeET2_T3_PNSZ_IS14_E10value_typeET4_jRbjT5_S1A_jjP12ihipStream_tbEUljE_EEESV_SW_SX_S14_S18_S1A_T6_T7_T9_mT8_S1C_bDpT10_ENKUlT_T0_E_clISt17integral_constantIbLb1EES1P_EEDaS1K_S1L_EUlS1K_E_NS1_11comp_targetILNS1_3genE5ELNS1_11target_archE942ELNS1_3gpuE9ELNS1_3repE0EEENS1_30default_config_static_selectorELNS0_4arch9wavefront6targetE1EEEvSY_,comdat
	.globl	_ZN7rocprim17ROCPRIM_400000_NS6detail17trampoline_kernelINS0_13select_configILj256ELj13ELNS0_17block_load_methodE3ELS4_3ELS4_3ELNS0_20block_scan_algorithmE0ELj4294967295EEENS1_25partition_config_selectorILNS1_17partition_subalgoE3EjNS0_10empty_typeEbEEZZNS1_14partition_implILS8_3ELb0ES6_jNS0_17counting_iteratorIjlEEPS9_SE_NS0_5tupleIJPjSE_EEENSF_IJSE_SE_EEES9_SG_JZNS1_25segmented_radix_sort_implINS0_14default_configELb1EPKbPbPKlPlN2at6native12_GLOBAL__N_18offset_tEEE10hipError_tPvRmT1_PNSt15iterator_traitsISY_E10value_typeET2_T3_PNSZ_IS14_E10value_typeET4_jRbjT5_S1A_jjP12ihipStream_tbEUljE_EEESV_SW_SX_S14_S18_S1A_T6_T7_T9_mT8_S1C_bDpT10_ENKUlT_T0_E_clISt17integral_constantIbLb1EES1P_EEDaS1K_S1L_EUlS1K_E_NS1_11comp_targetILNS1_3genE5ELNS1_11target_archE942ELNS1_3gpuE9ELNS1_3repE0EEENS1_30default_config_static_selectorELNS0_4arch9wavefront6targetE1EEEvSY_ ; -- Begin function _ZN7rocprim17ROCPRIM_400000_NS6detail17trampoline_kernelINS0_13select_configILj256ELj13ELNS0_17block_load_methodE3ELS4_3ELS4_3ELNS0_20block_scan_algorithmE0ELj4294967295EEENS1_25partition_config_selectorILNS1_17partition_subalgoE3EjNS0_10empty_typeEbEEZZNS1_14partition_implILS8_3ELb0ES6_jNS0_17counting_iteratorIjlEEPS9_SE_NS0_5tupleIJPjSE_EEENSF_IJSE_SE_EEES9_SG_JZNS1_25segmented_radix_sort_implINS0_14default_configELb1EPKbPbPKlPlN2at6native12_GLOBAL__N_18offset_tEEE10hipError_tPvRmT1_PNSt15iterator_traitsISY_E10value_typeET2_T3_PNSZ_IS14_E10value_typeET4_jRbjT5_S1A_jjP12ihipStream_tbEUljE_EEESV_SW_SX_S14_S18_S1A_T6_T7_T9_mT8_S1C_bDpT10_ENKUlT_T0_E_clISt17integral_constantIbLb1EES1P_EEDaS1K_S1L_EUlS1K_E_NS1_11comp_targetILNS1_3genE5ELNS1_11target_archE942ELNS1_3gpuE9ELNS1_3repE0EEENS1_30default_config_static_selectorELNS0_4arch9wavefront6targetE1EEEvSY_
	.p2align	8
	.type	_ZN7rocprim17ROCPRIM_400000_NS6detail17trampoline_kernelINS0_13select_configILj256ELj13ELNS0_17block_load_methodE3ELS4_3ELS4_3ELNS0_20block_scan_algorithmE0ELj4294967295EEENS1_25partition_config_selectorILNS1_17partition_subalgoE3EjNS0_10empty_typeEbEEZZNS1_14partition_implILS8_3ELb0ES6_jNS0_17counting_iteratorIjlEEPS9_SE_NS0_5tupleIJPjSE_EEENSF_IJSE_SE_EEES9_SG_JZNS1_25segmented_radix_sort_implINS0_14default_configELb1EPKbPbPKlPlN2at6native12_GLOBAL__N_18offset_tEEE10hipError_tPvRmT1_PNSt15iterator_traitsISY_E10value_typeET2_T3_PNSZ_IS14_E10value_typeET4_jRbjT5_S1A_jjP12ihipStream_tbEUljE_EEESV_SW_SX_S14_S18_S1A_T6_T7_T9_mT8_S1C_bDpT10_ENKUlT_T0_E_clISt17integral_constantIbLb1EES1P_EEDaS1K_S1L_EUlS1K_E_NS1_11comp_targetILNS1_3genE5ELNS1_11target_archE942ELNS1_3gpuE9ELNS1_3repE0EEENS1_30default_config_static_selectorELNS0_4arch9wavefront6targetE1EEEvSY_,@function
_ZN7rocprim17ROCPRIM_400000_NS6detail17trampoline_kernelINS0_13select_configILj256ELj13ELNS0_17block_load_methodE3ELS4_3ELS4_3ELNS0_20block_scan_algorithmE0ELj4294967295EEENS1_25partition_config_selectorILNS1_17partition_subalgoE3EjNS0_10empty_typeEbEEZZNS1_14partition_implILS8_3ELb0ES6_jNS0_17counting_iteratorIjlEEPS9_SE_NS0_5tupleIJPjSE_EEENSF_IJSE_SE_EEES9_SG_JZNS1_25segmented_radix_sort_implINS0_14default_configELb1EPKbPbPKlPlN2at6native12_GLOBAL__N_18offset_tEEE10hipError_tPvRmT1_PNSt15iterator_traitsISY_E10value_typeET2_T3_PNSZ_IS14_E10value_typeET4_jRbjT5_S1A_jjP12ihipStream_tbEUljE_EEESV_SW_SX_S14_S18_S1A_T6_T7_T9_mT8_S1C_bDpT10_ENKUlT_T0_E_clISt17integral_constantIbLb1EES1P_EEDaS1K_S1L_EUlS1K_E_NS1_11comp_targetILNS1_3genE5ELNS1_11target_archE942ELNS1_3gpuE9ELNS1_3repE0EEENS1_30default_config_static_selectorELNS0_4arch9wavefront6targetE1EEEvSY_: ; @_ZN7rocprim17ROCPRIM_400000_NS6detail17trampoline_kernelINS0_13select_configILj256ELj13ELNS0_17block_load_methodE3ELS4_3ELS4_3ELNS0_20block_scan_algorithmE0ELj4294967295EEENS1_25partition_config_selectorILNS1_17partition_subalgoE3EjNS0_10empty_typeEbEEZZNS1_14partition_implILS8_3ELb0ES6_jNS0_17counting_iteratorIjlEEPS9_SE_NS0_5tupleIJPjSE_EEENSF_IJSE_SE_EEES9_SG_JZNS1_25segmented_radix_sort_implINS0_14default_configELb1EPKbPbPKlPlN2at6native12_GLOBAL__N_18offset_tEEE10hipError_tPvRmT1_PNSt15iterator_traitsISY_E10value_typeET2_T3_PNSZ_IS14_E10value_typeET4_jRbjT5_S1A_jjP12ihipStream_tbEUljE_EEESV_SW_SX_S14_S18_S1A_T6_T7_T9_mT8_S1C_bDpT10_ENKUlT_T0_E_clISt17integral_constantIbLb1EES1P_EEDaS1K_S1L_EUlS1K_E_NS1_11comp_targetILNS1_3genE5ELNS1_11target_archE942ELNS1_3gpuE9ELNS1_3repE0EEENS1_30default_config_static_selectorELNS0_4arch9wavefront6targetE1EEEvSY_
; %bb.0:
	.section	.rodata,"a",@progbits
	.p2align	6, 0x0
	.amdhsa_kernel _ZN7rocprim17ROCPRIM_400000_NS6detail17trampoline_kernelINS0_13select_configILj256ELj13ELNS0_17block_load_methodE3ELS4_3ELS4_3ELNS0_20block_scan_algorithmE0ELj4294967295EEENS1_25partition_config_selectorILNS1_17partition_subalgoE3EjNS0_10empty_typeEbEEZZNS1_14partition_implILS8_3ELb0ES6_jNS0_17counting_iteratorIjlEEPS9_SE_NS0_5tupleIJPjSE_EEENSF_IJSE_SE_EEES9_SG_JZNS1_25segmented_radix_sort_implINS0_14default_configELb1EPKbPbPKlPlN2at6native12_GLOBAL__N_18offset_tEEE10hipError_tPvRmT1_PNSt15iterator_traitsISY_E10value_typeET2_T3_PNSZ_IS14_E10value_typeET4_jRbjT5_S1A_jjP12ihipStream_tbEUljE_EEESV_SW_SX_S14_S18_S1A_T6_T7_T9_mT8_S1C_bDpT10_ENKUlT_T0_E_clISt17integral_constantIbLb1EES1P_EEDaS1K_S1L_EUlS1K_E_NS1_11comp_targetILNS1_3genE5ELNS1_11target_archE942ELNS1_3gpuE9ELNS1_3repE0EEENS1_30default_config_static_selectorELNS0_4arch9wavefront6targetE1EEEvSY_
		.amdhsa_group_segment_fixed_size 0
		.amdhsa_private_segment_fixed_size 0
		.amdhsa_kernarg_size 152
		.amdhsa_user_sgpr_count 6
		.amdhsa_user_sgpr_private_segment_buffer 1
		.amdhsa_user_sgpr_dispatch_ptr 0
		.amdhsa_user_sgpr_queue_ptr 0
		.amdhsa_user_sgpr_kernarg_segment_ptr 1
		.amdhsa_user_sgpr_dispatch_id 0
		.amdhsa_user_sgpr_flat_scratch_init 0
		.amdhsa_user_sgpr_kernarg_preload_length 0
		.amdhsa_user_sgpr_kernarg_preload_offset 0
		.amdhsa_user_sgpr_private_segment_size 0
		.amdhsa_uses_dynamic_stack 0
		.amdhsa_system_sgpr_private_segment_wavefront_offset 0
		.amdhsa_system_sgpr_workgroup_id_x 1
		.amdhsa_system_sgpr_workgroup_id_y 0
		.amdhsa_system_sgpr_workgroup_id_z 0
		.amdhsa_system_sgpr_workgroup_info 0
		.amdhsa_system_vgpr_workitem_id 0
		.amdhsa_next_free_vgpr 1
		.amdhsa_next_free_sgpr 0
		.amdhsa_accum_offset 4
		.amdhsa_reserve_vcc 0
		.amdhsa_reserve_flat_scratch 0
		.amdhsa_float_round_mode_32 0
		.amdhsa_float_round_mode_16_64 0
		.amdhsa_float_denorm_mode_32 3
		.amdhsa_float_denorm_mode_16_64 3
		.amdhsa_dx10_clamp 1
		.amdhsa_ieee_mode 1
		.amdhsa_fp16_overflow 0
		.amdhsa_tg_split 0
		.amdhsa_exception_fp_ieee_invalid_op 0
		.amdhsa_exception_fp_denorm_src 0
		.amdhsa_exception_fp_ieee_div_zero 0
		.amdhsa_exception_fp_ieee_overflow 0
		.amdhsa_exception_fp_ieee_underflow 0
		.amdhsa_exception_fp_ieee_inexact 0
		.amdhsa_exception_int_div_zero 0
	.end_amdhsa_kernel
	.section	.text._ZN7rocprim17ROCPRIM_400000_NS6detail17trampoline_kernelINS0_13select_configILj256ELj13ELNS0_17block_load_methodE3ELS4_3ELS4_3ELNS0_20block_scan_algorithmE0ELj4294967295EEENS1_25partition_config_selectorILNS1_17partition_subalgoE3EjNS0_10empty_typeEbEEZZNS1_14partition_implILS8_3ELb0ES6_jNS0_17counting_iteratorIjlEEPS9_SE_NS0_5tupleIJPjSE_EEENSF_IJSE_SE_EEES9_SG_JZNS1_25segmented_radix_sort_implINS0_14default_configELb1EPKbPbPKlPlN2at6native12_GLOBAL__N_18offset_tEEE10hipError_tPvRmT1_PNSt15iterator_traitsISY_E10value_typeET2_T3_PNSZ_IS14_E10value_typeET4_jRbjT5_S1A_jjP12ihipStream_tbEUljE_EEESV_SW_SX_S14_S18_S1A_T6_T7_T9_mT8_S1C_bDpT10_ENKUlT_T0_E_clISt17integral_constantIbLb1EES1P_EEDaS1K_S1L_EUlS1K_E_NS1_11comp_targetILNS1_3genE5ELNS1_11target_archE942ELNS1_3gpuE9ELNS1_3repE0EEENS1_30default_config_static_selectorELNS0_4arch9wavefront6targetE1EEEvSY_,"axG",@progbits,_ZN7rocprim17ROCPRIM_400000_NS6detail17trampoline_kernelINS0_13select_configILj256ELj13ELNS0_17block_load_methodE3ELS4_3ELS4_3ELNS0_20block_scan_algorithmE0ELj4294967295EEENS1_25partition_config_selectorILNS1_17partition_subalgoE3EjNS0_10empty_typeEbEEZZNS1_14partition_implILS8_3ELb0ES6_jNS0_17counting_iteratorIjlEEPS9_SE_NS0_5tupleIJPjSE_EEENSF_IJSE_SE_EEES9_SG_JZNS1_25segmented_radix_sort_implINS0_14default_configELb1EPKbPbPKlPlN2at6native12_GLOBAL__N_18offset_tEEE10hipError_tPvRmT1_PNSt15iterator_traitsISY_E10value_typeET2_T3_PNSZ_IS14_E10value_typeET4_jRbjT5_S1A_jjP12ihipStream_tbEUljE_EEESV_SW_SX_S14_S18_S1A_T6_T7_T9_mT8_S1C_bDpT10_ENKUlT_T0_E_clISt17integral_constantIbLb1EES1P_EEDaS1K_S1L_EUlS1K_E_NS1_11comp_targetILNS1_3genE5ELNS1_11target_archE942ELNS1_3gpuE9ELNS1_3repE0EEENS1_30default_config_static_selectorELNS0_4arch9wavefront6targetE1EEEvSY_,comdat
.Lfunc_end1507:
	.size	_ZN7rocprim17ROCPRIM_400000_NS6detail17trampoline_kernelINS0_13select_configILj256ELj13ELNS0_17block_load_methodE3ELS4_3ELS4_3ELNS0_20block_scan_algorithmE0ELj4294967295EEENS1_25partition_config_selectorILNS1_17partition_subalgoE3EjNS0_10empty_typeEbEEZZNS1_14partition_implILS8_3ELb0ES6_jNS0_17counting_iteratorIjlEEPS9_SE_NS0_5tupleIJPjSE_EEENSF_IJSE_SE_EEES9_SG_JZNS1_25segmented_radix_sort_implINS0_14default_configELb1EPKbPbPKlPlN2at6native12_GLOBAL__N_18offset_tEEE10hipError_tPvRmT1_PNSt15iterator_traitsISY_E10value_typeET2_T3_PNSZ_IS14_E10value_typeET4_jRbjT5_S1A_jjP12ihipStream_tbEUljE_EEESV_SW_SX_S14_S18_S1A_T6_T7_T9_mT8_S1C_bDpT10_ENKUlT_T0_E_clISt17integral_constantIbLb1EES1P_EEDaS1K_S1L_EUlS1K_E_NS1_11comp_targetILNS1_3genE5ELNS1_11target_archE942ELNS1_3gpuE9ELNS1_3repE0EEENS1_30default_config_static_selectorELNS0_4arch9wavefront6targetE1EEEvSY_, .Lfunc_end1507-_ZN7rocprim17ROCPRIM_400000_NS6detail17trampoline_kernelINS0_13select_configILj256ELj13ELNS0_17block_load_methodE3ELS4_3ELS4_3ELNS0_20block_scan_algorithmE0ELj4294967295EEENS1_25partition_config_selectorILNS1_17partition_subalgoE3EjNS0_10empty_typeEbEEZZNS1_14partition_implILS8_3ELb0ES6_jNS0_17counting_iteratorIjlEEPS9_SE_NS0_5tupleIJPjSE_EEENSF_IJSE_SE_EEES9_SG_JZNS1_25segmented_radix_sort_implINS0_14default_configELb1EPKbPbPKlPlN2at6native12_GLOBAL__N_18offset_tEEE10hipError_tPvRmT1_PNSt15iterator_traitsISY_E10value_typeET2_T3_PNSZ_IS14_E10value_typeET4_jRbjT5_S1A_jjP12ihipStream_tbEUljE_EEESV_SW_SX_S14_S18_S1A_T6_T7_T9_mT8_S1C_bDpT10_ENKUlT_T0_E_clISt17integral_constantIbLb1EES1P_EEDaS1K_S1L_EUlS1K_E_NS1_11comp_targetILNS1_3genE5ELNS1_11target_archE942ELNS1_3gpuE9ELNS1_3repE0EEENS1_30default_config_static_selectorELNS0_4arch9wavefront6targetE1EEEvSY_
                                        ; -- End function
	.section	.AMDGPU.csdata,"",@progbits
; Kernel info:
; codeLenInByte = 0
; NumSgprs: 4
; NumVgprs: 0
; NumAgprs: 0
; TotalNumVgprs: 0
; ScratchSize: 0
; MemoryBound: 0
; FloatMode: 240
; IeeeMode: 1
; LDSByteSize: 0 bytes/workgroup (compile time only)
; SGPRBlocks: 0
; VGPRBlocks: 0
; NumSGPRsForWavesPerEU: 4
; NumVGPRsForWavesPerEU: 1
; AccumOffset: 4
; Occupancy: 8
; WaveLimiterHint : 0
; COMPUTE_PGM_RSRC2:SCRATCH_EN: 0
; COMPUTE_PGM_RSRC2:USER_SGPR: 6
; COMPUTE_PGM_RSRC2:TRAP_HANDLER: 0
; COMPUTE_PGM_RSRC2:TGID_X_EN: 1
; COMPUTE_PGM_RSRC2:TGID_Y_EN: 0
; COMPUTE_PGM_RSRC2:TGID_Z_EN: 0
; COMPUTE_PGM_RSRC2:TIDIG_COMP_CNT: 0
; COMPUTE_PGM_RSRC3_GFX90A:ACCUM_OFFSET: 0
; COMPUTE_PGM_RSRC3_GFX90A:TG_SPLIT: 0
	.section	.text._ZN7rocprim17ROCPRIM_400000_NS6detail17trampoline_kernelINS0_13select_configILj256ELj13ELNS0_17block_load_methodE3ELS4_3ELS4_3ELNS0_20block_scan_algorithmE0ELj4294967295EEENS1_25partition_config_selectorILNS1_17partition_subalgoE3EjNS0_10empty_typeEbEEZZNS1_14partition_implILS8_3ELb0ES6_jNS0_17counting_iteratorIjlEEPS9_SE_NS0_5tupleIJPjSE_EEENSF_IJSE_SE_EEES9_SG_JZNS1_25segmented_radix_sort_implINS0_14default_configELb1EPKbPbPKlPlN2at6native12_GLOBAL__N_18offset_tEEE10hipError_tPvRmT1_PNSt15iterator_traitsISY_E10value_typeET2_T3_PNSZ_IS14_E10value_typeET4_jRbjT5_S1A_jjP12ihipStream_tbEUljE_EEESV_SW_SX_S14_S18_S1A_T6_T7_T9_mT8_S1C_bDpT10_ENKUlT_T0_E_clISt17integral_constantIbLb1EES1P_EEDaS1K_S1L_EUlS1K_E_NS1_11comp_targetILNS1_3genE4ELNS1_11target_archE910ELNS1_3gpuE8ELNS1_3repE0EEENS1_30default_config_static_selectorELNS0_4arch9wavefront6targetE1EEEvSY_,"axG",@progbits,_ZN7rocprim17ROCPRIM_400000_NS6detail17trampoline_kernelINS0_13select_configILj256ELj13ELNS0_17block_load_methodE3ELS4_3ELS4_3ELNS0_20block_scan_algorithmE0ELj4294967295EEENS1_25partition_config_selectorILNS1_17partition_subalgoE3EjNS0_10empty_typeEbEEZZNS1_14partition_implILS8_3ELb0ES6_jNS0_17counting_iteratorIjlEEPS9_SE_NS0_5tupleIJPjSE_EEENSF_IJSE_SE_EEES9_SG_JZNS1_25segmented_radix_sort_implINS0_14default_configELb1EPKbPbPKlPlN2at6native12_GLOBAL__N_18offset_tEEE10hipError_tPvRmT1_PNSt15iterator_traitsISY_E10value_typeET2_T3_PNSZ_IS14_E10value_typeET4_jRbjT5_S1A_jjP12ihipStream_tbEUljE_EEESV_SW_SX_S14_S18_S1A_T6_T7_T9_mT8_S1C_bDpT10_ENKUlT_T0_E_clISt17integral_constantIbLb1EES1P_EEDaS1K_S1L_EUlS1K_E_NS1_11comp_targetILNS1_3genE4ELNS1_11target_archE910ELNS1_3gpuE8ELNS1_3repE0EEENS1_30default_config_static_selectorELNS0_4arch9wavefront6targetE1EEEvSY_,comdat
	.globl	_ZN7rocprim17ROCPRIM_400000_NS6detail17trampoline_kernelINS0_13select_configILj256ELj13ELNS0_17block_load_methodE3ELS4_3ELS4_3ELNS0_20block_scan_algorithmE0ELj4294967295EEENS1_25partition_config_selectorILNS1_17partition_subalgoE3EjNS0_10empty_typeEbEEZZNS1_14partition_implILS8_3ELb0ES6_jNS0_17counting_iteratorIjlEEPS9_SE_NS0_5tupleIJPjSE_EEENSF_IJSE_SE_EEES9_SG_JZNS1_25segmented_radix_sort_implINS0_14default_configELb1EPKbPbPKlPlN2at6native12_GLOBAL__N_18offset_tEEE10hipError_tPvRmT1_PNSt15iterator_traitsISY_E10value_typeET2_T3_PNSZ_IS14_E10value_typeET4_jRbjT5_S1A_jjP12ihipStream_tbEUljE_EEESV_SW_SX_S14_S18_S1A_T6_T7_T9_mT8_S1C_bDpT10_ENKUlT_T0_E_clISt17integral_constantIbLb1EES1P_EEDaS1K_S1L_EUlS1K_E_NS1_11comp_targetILNS1_3genE4ELNS1_11target_archE910ELNS1_3gpuE8ELNS1_3repE0EEENS1_30default_config_static_selectorELNS0_4arch9wavefront6targetE1EEEvSY_ ; -- Begin function _ZN7rocprim17ROCPRIM_400000_NS6detail17trampoline_kernelINS0_13select_configILj256ELj13ELNS0_17block_load_methodE3ELS4_3ELS4_3ELNS0_20block_scan_algorithmE0ELj4294967295EEENS1_25partition_config_selectorILNS1_17partition_subalgoE3EjNS0_10empty_typeEbEEZZNS1_14partition_implILS8_3ELb0ES6_jNS0_17counting_iteratorIjlEEPS9_SE_NS0_5tupleIJPjSE_EEENSF_IJSE_SE_EEES9_SG_JZNS1_25segmented_radix_sort_implINS0_14default_configELb1EPKbPbPKlPlN2at6native12_GLOBAL__N_18offset_tEEE10hipError_tPvRmT1_PNSt15iterator_traitsISY_E10value_typeET2_T3_PNSZ_IS14_E10value_typeET4_jRbjT5_S1A_jjP12ihipStream_tbEUljE_EEESV_SW_SX_S14_S18_S1A_T6_T7_T9_mT8_S1C_bDpT10_ENKUlT_T0_E_clISt17integral_constantIbLb1EES1P_EEDaS1K_S1L_EUlS1K_E_NS1_11comp_targetILNS1_3genE4ELNS1_11target_archE910ELNS1_3gpuE8ELNS1_3repE0EEENS1_30default_config_static_selectorELNS0_4arch9wavefront6targetE1EEEvSY_
	.p2align	8
	.type	_ZN7rocprim17ROCPRIM_400000_NS6detail17trampoline_kernelINS0_13select_configILj256ELj13ELNS0_17block_load_methodE3ELS4_3ELS4_3ELNS0_20block_scan_algorithmE0ELj4294967295EEENS1_25partition_config_selectorILNS1_17partition_subalgoE3EjNS0_10empty_typeEbEEZZNS1_14partition_implILS8_3ELb0ES6_jNS0_17counting_iteratorIjlEEPS9_SE_NS0_5tupleIJPjSE_EEENSF_IJSE_SE_EEES9_SG_JZNS1_25segmented_radix_sort_implINS0_14default_configELb1EPKbPbPKlPlN2at6native12_GLOBAL__N_18offset_tEEE10hipError_tPvRmT1_PNSt15iterator_traitsISY_E10value_typeET2_T3_PNSZ_IS14_E10value_typeET4_jRbjT5_S1A_jjP12ihipStream_tbEUljE_EEESV_SW_SX_S14_S18_S1A_T6_T7_T9_mT8_S1C_bDpT10_ENKUlT_T0_E_clISt17integral_constantIbLb1EES1P_EEDaS1K_S1L_EUlS1K_E_NS1_11comp_targetILNS1_3genE4ELNS1_11target_archE910ELNS1_3gpuE8ELNS1_3repE0EEENS1_30default_config_static_selectorELNS0_4arch9wavefront6targetE1EEEvSY_,@function
_ZN7rocprim17ROCPRIM_400000_NS6detail17trampoline_kernelINS0_13select_configILj256ELj13ELNS0_17block_load_methodE3ELS4_3ELS4_3ELNS0_20block_scan_algorithmE0ELj4294967295EEENS1_25partition_config_selectorILNS1_17partition_subalgoE3EjNS0_10empty_typeEbEEZZNS1_14partition_implILS8_3ELb0ES6_jNS0_17counting_iteratorIjlEEPS9_SE_NS0_5tupleIJPjSE_EEENSF_IJSE_SE_EEES9_SG_JZNS1_25segmented_radix_sort_implINS0_14default_configELb1EPKbPbPKlPlN2at6native12_GLOBAL__N_18offset_tEEE10hipError_tPvRmT1_PNSt15iterator_traitsISY_E10value_typeET2_T3_PNSZ_IS14_E10value_typeET4_jRbjT5_S1A_jjP12ihipStream_tbEUljE_EEESV_SW_SX_S14_S18_S1A_T6_T7_T9_mT8_S1C_bDpT10_ENKUlT_T0_E_clISt17integral_constantIbLb1EES1P_EEDaS1K_S1L_EUlS1K_E_NS1_11comp_targetILNS1_3genE4ELNS1_11target_archE910ELNS1_3gpuE8ELNS1_3repE0EEENS1_30default_config_static_selectorELNS0_4arch9wavefront6targetE1EEEvSY_: ; @_ZN7rocprim17ROCPRIM_400000_NS6detail17trampoline_kernelINS0_13select_configILj256ELj13ELNS0_17block_load_methodE3ELS4_3ELS4_3ELNS0_20block_scan_algorithmE0ELj4294967295EEENS1_25partition_config_selectorILNS1_17partition_subalgoE3EjNS0_10empty_typeEbEEZZNS1_14partition_implILS8_3ELb0ES6_jNS0_17counting_iteratorIjlEEPS9_SE_NS0_5tupleIJPjSE_EEENSF_IJSE_SE_EEES9_SG_JZNS1_25segmented_radix_sort_implINS0_14default_configELb1EPKbPbPKlPlN2at6native12_GLOBAL__N_18offset_tEEE10hipError_tPvRmT1_PNSt15iterator_traitsISY_E10value_typeET2_T3_PNSZ_IS14_E10value_typeET4_jRbjT5_S1A_jjP12ihipStream_tbEUljE_EEESV_SW_SX_S14_S18_S1A_T6_T7_T9_mT8_S1C_bDpT10_ENKUlT_T0_E_clISt17integral_constantIbLb1EES1P_EEDaS1K_S1L_EUlS1K_E_NS1_11comp_targetILNS1_3genE4ELNS1_11target_archE910ELNS1_3gpuE8ELNS1_3repE0EEENS1_30default_config_static_selectorELNS0_4arch9wavefront6targetE1EEEvSY_
; %bb.0:
	s_load_dwordx2 s[28:29], s[4:5], 0x10
	s_load_dwordx2 s[24:25], s[4:5], 0x28
	;; [unrolled: 1-line block ×3, first 2 shown]
	s_load_dwordx4 s[20:23], s[4:5], 0x48
	s_load_dword s14, s[4:5], 0x90
	s_load_dwordx2 s[30:31], s[4:5], 0x68
	s_load_dwordx4 s[8:11], s[4:5], 0x80
	v_cmp_eq_u32_e64 s[0:1], 0, v0
	s_and_saveexec_b64 s[2:3], s[0:1]
	s_cbranch_execz .LBB1508_4
; %bb.1:
	s_mov_b64 s[12:13], exec
	v_mbcnt_lo_u32_b32 v1, s12, 0
	v_mbcnt_hi_u32_b32 v1, s13, v1
	v_cmp_eq_u32_e32 vcc, 0, v1
                                        ; implicit-def: $vgpr2
	s_and_saveexec_b64 s[6:7], vcc
	s_cbranch_execz .LBB1508_3
; %bb.2:
	s_load_dwordx2 s[16:17], s[4:5], 0x78
	s_bcnt1_i32_b64 s12, s[12:13]
	v_mov_b32_e32 v2, 0
	v_mov_b32_e32 v3, s12
	s_waitcnt lgkmcnt(0)
	global_atomic_add v2, v2, v3, s[16:17] glc
.LBB1508_3:
	s_or_b64 exec, exec, s[6:7]
	s_waitcnt vmcnt(0)
	v_readfirstlane_b32 s6, v2
	v_add_u32_e32 v1, s6, v1
	v_mov_b32_e32 v2, 0
	ds_write_b32 v2, v1
.LBB1508_4:
	s_or_b64 exec, exec, s[2:3]
	v_mov_b32_e32 v1, 0
	s_load_dword s2, s[4:5], 0x8
	s_load_dword s6, s[4:5], 0x70
	s_waitcnt lgkmcnt(0)
	s_barrier
	ds_read_b32 v2, v1
	s_waitcnt lgkmcnt(0)
	s_barrier
	global_load_dwordx2 v[20:21], v1, s[22:23]
	s_add_i32 s7, s2, s28
	s_movk_i32 s2, 0xd00
	s_add_i32 s4, s6, -1
	s_mulk_i32 s6, 0xd00
	v_mul_lo_u32 v1, v2, s2
	s_add_u32 s2, s28, s6
	v_readfirstlane_b32 s40, v2
	s_addc_u32 s3, s29, 0
	s_cmp_eq_u32 s40, s4
	v_pk_mov_b32 v[2:3], s[26:27], s[26:27] op_sel:[0,1]
	s_cselect_b64 s[22:23], -1, 0
	s_cmp_lg_u32 s40, s4
	v_cmp_lt_u64_e32 vcc, s[2:3], v[2:3]
	s_cselect_b64 s[2:3], -1, 0
	s_or_b64 s[4:5], vcc, s[2:3]
	v_add_u32_e32 v2, s7, v1
	s_mov_b64 s[2:3], -1
	s_and_b64 vcc, exec, s[4:5]
	v_add_u32_e32 v2, v2, v0
	v_lshlrev_b32_e32 v34, 2, v0
	s_cbranch_vccz .LBB1508_6
; %bb.5:
	v_add_u32_e32 v3, 0x100, v2
	v_add_u32_e32 v4, 0x200, v2
	;; [unrolled: 1-line block ×12, first 2 shown]
	ds_write2st64_b32 v34, v2, v3 offset1:4
	ds_write2st64_b32 v34, v4, v5 offset0:8 offset1:12
	ds_write2st64_b32 v34, v6, v7 offset0:16 offset1:20
	;; [unrolled: 1-line block ×5, first 2 shown]
	ds_write_b32 v34, v14 offset:12288
	s_waitcnt lgkmcnt(0)
	s_barrier
	s_mov_b64 s[2:3], 0
.LBB1508_6:
	s_andn2_b64 vcc, exec, s[2:3]
	s_add_i32 s6, s6, s28
	s_cbranch_vccnz .LBB1508_8
; %bb.7:
	v_add_u32_e32 v3, 0x100, v2
	v_add_u32_e32 v4, 0x200, v2
	v_add_u32_e32 v5, 0x300, v2
	v_add_u32_e32 v6, 0x400, v2
	v_add_u32_e32 v7, 0x500, v2
	v_add_u32_e32 v8, 0x600, v2
	v_add_u32_e32 v9, 0x700, v2
	v_add_u32_e32 v10, 0x800, v2
	v_add_u32_e32 v11, 0x900, v2
	v_add_u32_e32 v12, 0xa00, v2
	v_add_u32_e32 v13, 0xb00, v2
	v_add_u32_e32 v14, 0xc00, v2
	ds_write2st64_b32 v34, v2, v3 offset1:4
	ds_write2st64_b32 v34, v4, v5 offset0:8 offset1:12
	ds_write2st64_b32 v34, v6, v7 offset0:16 offset1:20
	;; [unrolled: 1-line block ×5, first 2 shown]
	ds_write_b32 v34, v14 offset:12288
	s_waitcnt lgkmcnt(0)
	s_barrier
.LBB1508_8:
	v_mul_u32_u24_e32 v36, 13, v0
	v_lshlrev_b32_e32 v2, 2, v36
	ds_read2_b32 v[32:33], v2 offset1:1
	ds_read2_b32 v[30:31], v2 offset0:2 offset1:3
	ds_read2_b32 v[28:29], v2 offset0:4 offset1:5
	;; [unrolled: 1-line block ×5, first 2 shown]
	ds_read_b32 v35, v2 offset:48
	v_cndmask_b32_e64 v2, 0, 1, s[4:5]
	s_sub_i32 s33, s26, s6
	v_cmp_ne_u32_e64 s[2:3], 1, v2
	s_andn2_b64 vcc, exec, s[4:5]
	s_waitcnt lgkmcnt(0)
	s_barrier
	s_cbranch_vccnz .LBB1508_10
; %bb.9:
	v_add_u32_e32 v2, s9, v32
	v_add_u32_e32 v3, s11, v32
	v_mul_lo_u32 v2, v2, s8
	v_mul_lo_u32 v3, v3, s10
	v_sub_u32_e32 v2, v2, v3
	v_add_u32_e32 v3, s9, v33
	v_add_u32_e32 v4, s11, v33
	v_mul_lo_u32 v3, v3, s8
	v_mul_lo_u32 v4, v4, s10
	v_sub_u32_e32 v3, v3, v4
	;; [unrolled: 5-line block ×6, first 2 shown]
	v_add_u32_e32 v8, s9, v26
	v_add_u32_e32 v9, s11, v26
	v_mul_lo_u32 v8, v8, s8
	v_mul_lo_u32 v9, v9, s10
	v_cmp_lt_u32_e32 vcc, s14, v2
	v_sub_u32_e32 v8, v8, v9
	v_add_u32_e32 v9, s9, v27
	v_add_u32_e32 v10, s11, v27
	v_cndmask_b32_e64 v2, 0, 1, vcc
	v_cmp_lt_u32_e32 vcc, s14, v3
	v_mul_lo_u32 v9, v9, s8
	v_mul_lo_u32 v10, v10, s10
	v_cndmask_b32_e64 v3, 0, 1, vcc
	v_cmp_lt_u32_e32 vcc, s14, v4
	v_sub_u32_e32 v9, v9, v10
	v_add_u32_e32 v10, s9, v24
	v_add_u32_e32 v11, s11, v24
	v_cndmask_b32_e64 v4, 0, 1, vcc
	v_cmp_lt_u32_e32 vcc, s14, v5
	v_mul_lo_u32 v10, v10, s8
	v_mul_lo_u32 v11, v11, s10
	v_cndmask_b32_e64 v5, 0, 1, vcc
	;; [unrolled: 9-line block ×4, first 2 shown]
	v_cmp_lt_u32_e32 vcc, s14, v10
	v_sub_u32_e32 v12, v12, v13
	v_add_u32_e32 v13, s9, v23
	v_add_u32_e32 v14, s11, v23
	v_lshlrev_b16_e32 v3, 8, v3
	v_cndmask_b32_e64 v10, 0, 1, vcc
	v_cmp_lt_u32_e32 vcc, s14, v11
	v_mul_lo_u32 v13, v13, s8
	v_mul_lo_u32 v14, v14, s10
	v_or_b32_e32 v2, v2, v3
	v_lshlrev_b16_e32 v3, 8, v5
	v_cndmask_b32_e64 v11, 0, 1, vcc
	v_cmp_lt_u32_e32 vcc, s14, v12
	v_sub_u32_e32 v13, v13, v14
	v_or_b32_sdwa v3, v4, v3 dst_sel:WORD_1 dst_unused:UNUSED_PAD src0_sel:DWORD src1_sel:DWORD
	v_cndmask_b32_e64 v12, 0, 1, vcc
	v_cmp_lt_u32_e32 vcc, s14, v13
	v_add_u32_e32 v14, s9, v35
	v_add_u32_e32 v15, s11, v35
	v_or_b32_sdwa v40, v2, v3 dst_sel:DWORD dst_unused:UNUSED_PAD src0_sel:WORD_0 src1_sel:DWORD
	v_lshlrev_b16_e32 v2, 8, v7
	v_lshlrev_b16_e32 v3, 8, v9
	v_cndmask_b32_e64 v13, 0, 1, vcc
	v_mul_lo_u32 v14, v14, s8
	v_mul_lo_u32 v15, v15, s10
	v_or_b32_e32 v2, v6, v2
	v_or_b32_sdwa v3, v8, v3 dst_sel:WORD_1 dst_unused:UNUSED_PAD src0_sel:DWORD src1_sel:DWORD
	v_sub_u32_e32 v14, v14, v15
	v_or_b32_sdwa v39, v2, v3 dst_sel:DWORD dst_unused:UNUSED_PAD src0_sel:WORD_0 src1_sel:DWORD
	v_lshlrev_b16_e32 v2, 8, v11
	v_lshlrev_b16_e32 v3, 8, v13
	v_cmp_lt_u32_e32 vcc, s14, v14
	v_or_b32_e32 v2, v10, v2
	v_or_b32_sdwa v3, v12, v3 dst_sel:WORD_1 dst_unused:UNUSED_PAD src0_sel:DWORD src1_sel:DWORD
	v_cndmask_b32_e64 v37, 0, 1, vcc
	v_or_b32_sdwa v38, v2, v3 dst_sel:DWORD dst_unused:UNUSED_PAD src0_sel:WORD_0 src1_sel:DWORD
	s_addk_i32 s33, 0xd00
	s_cbranch_execz .LBB1508_11
	s_branch .LBB1508_38
.LBB1508_10:
                                        ; implicit-def: $vgpr37
                                        ; implicit-def: $vgpr38
                                        ; implicit-def: $vgpr39
                                        ; implicit-def: $vgpr40
	s_addk_i32 s33, 0xd00
.LBB1508_11:
	v_cmp_gt_u32_e32 vcc, s33, v36
	v_mov_b32_e32 v3, 0
	v_mov_b32_e32 v2, 0
	s_and_saveexec_b64 s[4:5], vcc
; %bb.12:
	v_add_u32_e32 v2, s9, v32
	v_add_u32_e32 v4, s11, v32
	v_mul_lo_u32 v2, v2, s8
	v_mul_lo_u32 v4, v4, s10
	v_sub_u32_e32 v2, v2, v4
	v_cmp_lt_u32_e32 vcc, s14, v2
	v_cndmask_b32_e64 v2, 0, 1, vcc
; %bb.13:
	s_or_b64 exec, exec, s[4:5]
	v_add_u32_e32 v4, 1, v36
	v_cmp_gt_u32_e32 vcc, s33, v4
	s_and_saveexec_b64 s[4:5], vcc
; %bb.14:
	v_add_u32_e32 v3, s9, v33
	v_add_u32_e32 v4, s11, v33
	v_mul_lo_u32 v3, v3, s8
	v_mul_lo_u32 v4, v4, s10
	v_sub_u32_e32 v3, v3, v4
	v_cmp_lt_u32_e32 vcc, s14, v3
	v_cndmask_b32_e64 v3, 0, 1, vcc
; %bb.15:
	s_or_b64 exec, exec, s[4:5]
	v_add_u32_e32 v4, 2, v36
	v_cmp_gt_u32_e32 vcc, s33, v4
	v_mov_b32_e32 v5, 0
	v_mov_b32_e32 v4, 0
	s_and_saveexec_b64 s[4:5], vcc
; %bb.16:
	v_add_u32_e32 v4, s9, v30
	v_add_u32_e32 v6, s11, v30
	v_mul_lo_u32 v4, v4, s8
	v_mul_lo_u32 v6, v6, s10
	v_sub_u32_e32 v4, v4, v6
	v_cmp_lt_u32_e32 vcc, s14, v4
	v_cndmask_b32_e64 v4, 0, 1, vcc
; %bb.17:
	s_or_b64 exec, exec, s[4:5]
	v_add_u32_e32 v6, 3, v36
	v_cmp_gt_u32_e32 vcc, s33, v6
	s_and_saveexec_b64 s[4:5], vcc
; %bb.18:
	v_add_u32_e32 v5, s9, v31
	v_add_u32_e32 v6, s11, v31
	v_mul_lo_u32 v5, v5, s8
	v_mul_lo_u32 v6, v6, s10
	v_sub_u32_e32 v5, v5, v6
	v_cmp_lt_u32_e32 vcc, s14, v5
	v_cndmask_b32_e64 v5, 0, 1, vcc
; %bb.19:
	s_or_b64 exec, exec, s[4:5]
	v_add_u32_e32 v6, 4, v36
	;; [unrolled: 28-line block ×6, first 2 shown]
	v_cmp_gt_u32_e32 vcc, s33, v14
	v_mov_b32_e32 v37, 0
	s_and_saveexec_b64 s[4:5], vcc
; %bb.36:
	v_add_u32_e32 v14, s9, v35
	v_add_u32_e32 v15, s11, v35
	v_mul_lo_u32 v14, v14, s8
	v_mul_lo_u32 v15, v15, s10
	v_sub_u32_e32 v14, v14, v15
	v_cmp_lt_u32_e32 vcc, s14, v14
	v_cndmask_b32_e64 v37, 0, 1, vcc
; %bb.37:
	s_or_b64 exec, exec, s[4:5]
	v_lshlrev_b16_e32 v3, 8, v3
	v_or_b32_e32 v2, v2, v3
	v_lshlrev_b16_e32 v3, 8, v5
	v_or_b32_sdwa v3, v4, v3 dst_sel:WORD_1 dst_unused:UNUSED_PAD src0_sel:DWORD src1_sel:DWORD
	v_or_b32_sdwa v40, v2, v3 dst_sel:DWORD dst_unused:UNUSED_PAD src0_sel:WORD_0 src1_sel:DWORD
	v_lshlrev_b16_e32 v2, 8, v7
	v_lshlrev_b16_e32 v3, 8, v9
	v_or_b32_e32 v2, v6, v2
	v_or_b32_sdwa v3, v8, v3 dst_sel:WORD_1 dst_unused:UNUSED_PAD src0_sel:DWORD src1_sel:DWORD
	v_or_b32_sdwa v39, v2, v3 dst_sel:DWORD dst_unused:UNUSED_PAD src0_sel:WORD_0 src1_sel:DWORD
	v_lshlrev_b16_e32 v2, 8, v11
	v_lshlrev_b16_e32 v3, 8, v13
	v_or_b32_e32 v2, v10, v2
	v_or_b32_sdwa v3, v12, v3 dst_sel:WORD_1 dst_unused:UNUSED_PAD src0_sel:DWORD src1_sel:DWORD
	v_or_b32_sdwa v38, v2, v3 dst_sel:DWORD dst_unused:UNUSED_PAD src0_sel:WORD_0 src1_sel:DWORD
.LBB1508_38:
	v_and_b32_e32 v44, 0xff, v40
	v_bfe_u32 v45, v40, 8, 8
	v_bfe_u32 v46, v40, 16, 8
	v_lshrrev_b32_e32 v43, 24, v40
	v_and_b32_e32 v47, 0xff, v39
	v_add3_u32 v3, v45, v44, v46
	v_bfe_u32 v48, v39, 8, 8
	v_bfe_u32 v49, v39, 16, 8
	v_add3_u32 v3, v3, v43, v47
	v_lshrrev_b32_e32 v42, 24, v39
	v_and_b32_e32 v50, 0xff, v38
	v_add3_u32 v3, v3, v48, v49
	v_bfe_u32 v51, v38, 8, 8
	v_bfe_u32 v52, v38, 16, 8
	v_add3_u32 v3, v3, v42, v50
	v_lshrrev_b32_e32 v41, 24, v38
	v_and_b32_e32 v2, 0xff, v37
	v_add3_u32 v3, v3, v51, v52
	v_add3_u32 v55, v3, v41, v2
	v_mbcnt_lo_u32_b32 v2, -1, 0
	v_mbcnt_hi_u32_b32 v53, -1, v2
	v_and_b32_e32 v2, 15, v53
	v_cmp_eq_u32_e64 s[16:17], 0, v2
	v_cmp_lt_u32_e64 s[14:15], 1, v2
	v_cmp_lt_u32_e64 s[12:13], 3, v2
	;; [unrolled: 1-line block ×3, first 2 shown]
	v_and_b32_e32 v2, 16, v53
	v_cmp_eq_u32_e64 s[8:9], 0, v2
	v_or_b32_e32 v2, 63, v0
	s_cmp_lg_u32 s40, 0
	v_cmp_lt_u32_e64 s[4:5], 31, v53
	v_lshrrev_b32_e32 v54, 6, v0
	v_cmp_eq_u32_e64 s[6:7], v2, v0
	s_cbranch_scc0 .LBB1508_69
; %bb.39:
	v_mov_b32_dpp v2, v55 row_shr:1 row_mask:0xf bank_mask:0xf
	v_cndmask_b32_e64 v2, v2, 0, s[16:17]
	v_add_u32_e32 v2, v2, v55
	s_nop 1
	v_mov_b32_dpp v3, v2 row_shr:2 row_mask:0xf bank_mask:0xf
	v_cndmask_b32_e64 v3, 0, v3, s[14:15]
	v_add_u32_e32 v2, v2, v3
	s_nop 1
	;; [unrolled: 4-line block ×4, first 2 shown]
	v_mov_b32_dpp v3, v2 row_bcast:15 row_mask:0xf bank_mask:0xf
	v_cndmask_b32_e64 v3, v3, 0, s[8:9]
	v_add_u32_e32 v2, v2, v3
	s_nop 1
	v_mov_b32_dpp v3, v2 row_bcast:31 row_mask:0xf bank_mask:0xf
	v_cndmask_b32_e64 v3, 0, v3, s[4:5]
	v_add_u32_e32 v2, v2, v3
	s_and_saveexec_b64 s[18:19], s[6:7]
	s_cbranch_execz .LBB1508_41
; %bb.40:
	v_lshlrev_b32_e32 v3, 2, v54
	ds_write_b32 v3, v2
.LBB1508_41:
	s_or_b64 exec, exec, s[18:19]
	v_cmp_gt_u32_e32 vcc, 4, v0
	s_waitcnt lgkmcnt(0)
	s_barrier
	s_and_saveexec_b64 s[18:19], vcc
	s_cbranch_execz .LBB1508_43
; %bb.42:
	ds_read_b32 v3, v34
	v_and_b32_e32 v4, 3, v53
	v_cmp_ne_u32_e32 vcc, 0, v4
	s_waitcnt lgkmcnt(0)
	v_mov_b32_dpp v5, v3 row_shr:1 row_mask:0xf bank_mask:0xf
	v_cndmask_b32_e32 v5, 0, v5, vcc
	v_add_u32_e32 v3, v5, v3
	v_cmp_lt_u32_e32 vcc, 1, v4
	s_nop 0
	v_mov_b32_dpp v5, v3 row_shr:2 row_mask:0xf bank_mask:0xf
	v_cndmask_b32_e32 v4, 0, v5, vcc
	v_add_u32_e32 v3, v3, v4
	ds_write_b32 v34, v3
.LBB1508_43:
	s_or_b64 exec, exec, s[18:19]
	v_cmp_gt_u32_e32 vcc, 64, v0
	v_cmp_lt_u32_e64 s[18:19], 63, v0
	s_waitcnt lgkmcnt(0)
	s_barrier
	s_waitcnt lgkmcnt(0)
                                        ; implicit-def: $vgpr12
	s_and_saveexec_b64 s[34:35], s[18:19]
	s_cbranch_execz .LBB1508_45
; %bb.44:
	v_lshl_add_u32 v3, v54, 2, -4
	ds_read_b32 v12, v3
	s_waitcnt lgkmcnt(0)
	v_add_u32_e32 v2, v12, v2
.LBB1508_45:
	s_or_b64 exec, exec, s[34:35]
	v_add_u32_e32 v3, -1, v53
	v_and_b32_e32 v4, 64, v53
	v_cmp_lt_i32_e64 s[18:19], v3, v4
	v_cndmask_b32_e64 v3, v3, v53, s[18:19]
	v_lshlrev_b32_e32 v3, 2, v3
	ds_bpermute_b32 v13, v3, v2
	v_cmp_eq_u32_e64 s[18:19], 0, v53
	s_and_saveexec_b64 s[34:35], vcc
	s_cbranch_execz .LBB1508_68
; %bb.46:
	v_mov_b32_e32 v11, 0
	ds_read_b32 v2, v11 offset:12
	s_and_saveexec_b64 s[36:37], s[18:19]
	s_cbranch_execz .LBB1508_48
; %bb.47:
	s_add_i32 s38, s40, 64
	s_mov_b32 s39, 0
	s_lshl_b64 s[38:39], s[38:39], 3
	s_add_u32 s38, s30, s38
	v_mov_b32_e32 v3, 1
	s_addc_u32 s39, s31, s39
	s_waitcnt lgkmcnt(0)
	global_store_dwordx2 v11, v[2:3], s[38:39]
.LBB1508_48:
	s_or_b64 exec, exec, s[36:37]
	v_xad_u32 v4, v53, -1, s40
	v_add_u32_e32 v10, 64, v4
	v_lshlrev_b64 v[6:7], 3, v[10:11]
	v_mov_b32_e32 v3, s31
	v_add_co_u32_e32 v6, vcc, s30, v6
	v_addc_co_u32_e32 v7, vcc, v3, v7, vcc
	global_load_dwordx2 v[8:9], v[6:7], off glc
	s_waitcnt vmcnt(0)
	v_cmp_eq_u16_sdwa s[38:39], v9, v11 src0_sel:BYTE_0 src1_sel:DWORD
	s_and_saveexec_b64 s[36:37], s[38:39]
	s_cbranch_execz .LBB1508_54
; %bb.49:
	s_mov_b32 s41, 1
	s_mov_b64 s[38:39], 0
	v_mov_b32_e32 v3, 0
.LBB1508_50:                            ; =>This Loop Header: Depth=1
                                        ;     Child Loop BB1508_51 Depth 2
	s_max_u32 s42, s41, 1
.LBB1508_51:                            ;   Parent Loop BB1508_50 Depth=1
                                        ; =>  This Inner Loop Header: Depth=2
	s_add_i32 s42, s42, -1
	s_cmp_eq_u32 s42, 0
	s_sleep 1
	s_cbranch_scc0 .LBB1508_51
; %bb.52:                               ;   in Loop: Header=BB1508_50 Depth=1
	global_load_dwordx2 v[8:9], v[6:7], off glc
	s_cmp_lt_u32 s41, 32
	s_cselect_b64 s[42:43], -1, 0
	s_cmp_lg_u64 s[42:43], 0
	s_addc_u32 s41, s41, 0
	s_waitcnt vmcnt(0)
	v_cmp_ne_u16_sdwa s[42:43], v9, v3 src0_sel:BYTE_0 src1_sel:DWORD
	s_or_b64 s[38:39], s[42:43], s[38:39]
	s_andn2_b64 exec, exec, s[38:39]
	s_cbranch_execnz .LBB1508_50
; %bb.53:
	s_or_b64 exec, exec, s[38:39]
.LBB1508_54:
	s_or_b64 exec, exec, s[36:37]
	v_and_b32_e32 v14, 63, v53
	v_mov_b32_e32 v3, 2
	v_cmp_ne_u32_e32 vcc, 63, v14
	v_cmp_eq_u16_sdwa s[36:37], v9, v3 src0_sel:BYTE_0 src1_sel:DWORD
	v_lshlrev_b64 v[6:7], v53, -1
	v_addc_co_u32_e32 v11, vcc, 0, v53, vcc
	v_and_b32_e32 v5, s37, v7
	v_lshlrev_b32_e32 v15, 2, v11
	v_or_b32_e32 v5, 0x80000000, v5
	ds_bpermute_b32 v11, v15, v8
	v_and_b32_e32 v10, s36, v6
	v_ffbl_b32_e32 v5, v5
	v_add_u32_e32 v5, 32, v5
	v_ffbl_b32_e32 v10, v10
	v_min_u32_e32 v5, v10, v5
	v_cmp_lt_u32_e32 vcc, v14, v5
	s_waitcnt lgkmcnt(0)
	v_cndmask_b32_e32 v10, 0, v11, vcc
	v_cmp_gt_u32_e32 vcc, 62, v14
	v_add_u32_e32 v8, v10, v8
	v_cndmask_b32_e64 v10, 0, 1, vcc
	v_lshlrev_b32_e32 v10, 1, v10
	v_add_lshl_u32 v16, v10, v53, 2
	ds_bpermute_b32 v10, v16, v8
	v_add_u32_e32 v17, 2, v14
	v_cmp_le_u32_e32 vcc, v17, v5
	v_add_u32_e32 v19, 4, v14
	v_add_u32_e32 v57, 8, v14
	s_waitcnt lgkmcnt(0)
	v_cndmask_b32_e32 v10, 0, v10, vcc
	v_cmp_gt_u32_e32 vcc, 60, v14
	v_add_u32_e32 v8, v8, v10
	v_cndmask_b32_e64 v10, 0, 1, vcc
	v_lshlrev_b32_e32 v10, 2, v10
	v_add_lshl_u32 v18, v10, v53, 2
	ds_bpermute_b32 v10, v18, v8
	v_cmp_le_u32_e32 vcc, v19, v5
	v_add_u32_e32 v60, 16, v14
	v_add_u32_e32 v62, 32, v14
	s_waitcnt lgkmcnt(0)
	v_cndmask_b32_e32 v10, 0, v10, vcc
	v_cmp_gt_u32_e32 vcc, 56, v14
	v_add_u32_e32 v8, v8, v10
	v_cndmask_b32_e64 v10, 0, 1, vcc
	v_lshlrev_b32_e32 v10, 3, v10
	v_add_lshl_u32 v56, v10, v53, 2
	ds_bpermute_b32 v10, v56, v8
	v_cmp_le_u32_e32 vcc, v57, v5
	s_waitcnt lgkmcnt(0)
	v_cndmask_b32_e32 v10, 0, v10, vcc
	v_cmp_gt_u32_e32 vcc, 48, v14
	v_add_u32_e32 v8, v8, v10
	v_cndmask_b32_e64 v10, 0, 1, vcc
	v_lshlrev_b32_e32 v10, 4, v10
	v_add_lshl_u32 v59, v10, v53, 2
	ds_bpermute_b32 v10, v59, v8
	v_cmp_le_u32_e32 vcc, v60, v5
	;; [unrolled: 9-line block ×3, first 2 shown]
	s_waitcnt lgkmcnt(0)
	v_cndmask_b32_e32 v5, 0, v10, vcc
	v_add_u32_e32 v8, v8, v5
	v_mov_b32_e32 v5, 0
	s_branch .LBB1508_56
.LBB1508_55:                            ;   in Loop: Header=BB1508_56 Depth=1
	s_or_b64 exec, exec, s[36:37]
	v_cmp_eq_u16_sdwa s[36:37], v9, v3 src0_sel:BYTE_0 src1_sel:DWORD
	v_and_b32_e32 v10, s37, v7
	v_or_b32_e32 v10, 0x80000000, v10
	ds_bpermute_b32 v63, v15, v8
	v_and_b32_e32 v11, s36, v6
	v_ffbl_b32_e32 v10, v10
	v_add_u32_e32 v10, 32, v10
	v_ffbl_b32_e32 v11, v11
	v_min_u32_e32 v10, v11, v10
	v_cmp_lt_u32_e32 vcc, v14, v10
	s_waitcnt lgkmcnt(0)
	v_cndmask_b32_e32 v11, 0, v63, vcc
	v_add_u32_e32 v8, v11, v8
	ds_bpermute_b32 v11, v16, v8
	v_cmp_le_u32_e32 vcc, v17, v10
	v_subrev_u32_e32 v4, 64, v4
	s_waitcnt lgkmcnt(0)
	v_cndmask_b32_e32 v11, 0, v11, vcc
	v_add_u32_e32 v8, v8, v11
	ds_bpermute_b32 v11, v18, v8
	v_cmp_le_u32_e32 vcc, v19, v10
	s_waitcnt lgkmcnt(0)
	v_cndmask_b32_e32 v11, 0, v11, vcc
	v_add_u32_e32 v8, v8, v11
	ds_bpermute_b32 v11, v56, v8
	v_cmp_le_u32_e32 vcc, v57, v10
	;; [unrolled: 5-line block ×4, first 2 shown]
	s_waitcnt lgkmcnt(0)
	v_cndmask_b32_e32 v10, 0, v11, vcc
	v_add3_u32 v8, v10, v58, v8
.LBB1508_56:                            ; =>This Loop Header: Depth=1
                                        ;     Child Loop BB1508_59 Depth 2
                                        ;       Child Loop BB1508_60 Depth 3
	v_cmp_ne_u16_sdwa s[36:37], v9, v3 src0_sel:BYTE_0 src1_sel:DWORD
	v_cndmask_b32_e64 v9, 0, 1, s[36:37]
	;;#ASMSTART
	;;#ASMEND
	v_cmp_ne_u32_e32 vcc, 0, v9
	s_cmp_lg_u64 vcc, exec
	v_mov_b32_e32 v58, v8
	s_cbranch_scc1 .LBB1508_63
; %bb.57:                               ;   in Loop: Header=BB1508_56 Depth=1
	v_lshlrev_b64 v[8:9], 3, v[4:5]
	v_mov_b32_e32 v11, s31
	v_add_co_u32_e32 v10, vcc, s30, v8
	v_addc_co_u32_e32 v11, vcc, v11, v9, vcc
	global_load_dwordx2 v[8:9], v[10:11], off glc
	s_waitcnt vmcnt(0)
	v_cmp_eq_u16_sdwa s[38:39], v9, v5 src0_sel:BYTE_0 src1_sel:DWORD
	s_and_saveexec_b64 s[36:37], s[38:39]
	s_cbranch_execz .LBB1508_55
; %bb.58:                               ;   in Loop: Header=BB1508_56 Depth=1
	s_mov_b32 s41, 1
	s_mov_b64 s[38:39], 0
.LBB1508_59:                            ;   Parent Loop BB1508_56 Depth=1
                                        ; =>  This Loop Header: Depth=2
                                        ;       Child Loop BB1508_60 Depth 3
	s_max_u32 s42, s41, 1
.LBB1508_60:                            ;   Parent Loop BB1508_56 Depth=1
                                        ;     Parent Loop BB1508_59 Depth=2
                                        ; =>    This Inner Loop Header: Depth=3
	s_add_i32 s42, s42, -1
	s_cmp_eq_u32 s42, 0
	s_sleep 1
	s_cbranch_scc0 .LBB1508_60
; %bb.61:                               ;   in Loop: Header=BB1508_59 Depth=2
	global_load_dwordx2 v[8:9], v[10:11], off glc
	s_cmp_lt_u32 s41, 32
	s_cselect_b64 s[42:43], -1, 0
	s_cmp_lg_u64 s[42:43], 0
	s_addc_u32 s41, s41, 0
	s_waitcnt vmcnt(0)
	v_cmp_ne_u16_sdwa s[42:43], v9, v5 src0_sel:BYTE_0 src1_sel:DWORD
	s_or_b64 s[38:39], s[42:43], s[38:39]
	s_andn2_b64 exec, exec, s[38:39]
	s_cbranch_execnz .LBB1508_59
; %bb.62:                               ;   in Loop: Header=BB1508_56 Depth=1
	s_or_b64 exec, exec, s[38:39]
	s_branch .LBB1508_55
.LBB1508_63:                            ;   in Loop: Header=BB1508_56 Depth=1
                                        ; implicit-def: $vgpr8
                                        ; implicit-def: $vgpr9
	s_cbranch_execz .LBB1508_56
; %bb.64:
	s_and_saveexec_b64 s[36:37], s[18:19]
	s_cbranch_execz .LBB1508_66
; %bb.65:
	s_add_i32 s38, s40, 64
	s_mov_b32 s39, 0
	s_lshl_b64 s[38:39], s[38:39], 3
	s_add_u32 s38, s30, s38
	v_add_u32_e32 v4, v58, v2
	v_mov_b32_e32 v5, 2
	s_addc_u32 s39, s31, s39
	v_mov_b32_e32 v3, 0
	global_store_dwordx2 v3, v[4:5], s[38:39]
	s_movk_i32 s38, 0x3400
	v_add_u32_e64 v3, s38, 0
	ds_write2_b32 v3, v2, v58 offset1:2
.LBB1508_66:
	s_or_b64 exec, exec, s[36:37]
	s_and_b64 exec, exec, s[0:1]
	s_cbranch_execz .LBB1508_68
; %bb.67:
	v_mov_b32_e32 v2, 0
	ds_write_b32 v2, v58 offset:12
.LBB1508_68:
	s_or_b64 exec, exec, s[34:35]
	v_mov_b32_e32 v2, 0
	s_waitcnt lgkmcnt(0)
	s_barrier
	ds_read_b32 v2, v2 offset:12
	v_cndmask_b32_e64 v3, v13, v12, s[18:19]
	v_cndmask_b32_e64 v3, v3, 0, s[0:1]
	s_movk_i32 s18, 0x3400
	v_add_u32_e64 v12, s18, 0
	s_waitcnt lgkmcnt(0)
	v_add_u32_e32 v2, v2, v3
	v_add_u32_e32 v3, v2, v44
	v_add_u32_e32 v4, v3, v45
	v_add_u32_e32 v5, v4, v46
	v_add_u32_e32 v6, v5, v43
	v_add_u32_e32 v7, v6, v47
	v_add_u32_e32 v8, v7, v48
	v_add_u32_e32 v9, v8, v49
	v_add_u32_e32 v10, v9, v42
	s_barrier
	ds_read2_b32 v[18:19], v12 offset1:2
	v_add_u32_e32 v11, v10, v50
	v_add_u32_e32 v12, v11, v51
	;; [unrolled: 1-line block ×4, first 2 shown]
	s_branch .LBB1508_79
.LBB1508_69:
                                        ; implicit-def: $vgpr19
                                        ; implicit-def: $vgpr2_vgpr3_vgpr4_vgpr5_vgpr6_vgpr7_vgpr8_vgpr9_vgpr10_vgpr11_vgpr12_vgpr13_vgpr14_vgpr15_vgpr16_vgpr17
	s_cbranch_execz .LBB1508_79
; %bb.70:
	s_nop 0
	v_mov_b32_dpp v2, v55 row_shr:1 row_mask:0xf bank_mask:0xf
	v_cndmask_b32_e64 v2, v2, 0, s[16:17]
	v_add_u32_e32 v2, v2, v55
	s_nop 1
	v_mov_b32_dpp v3, v2 row_shr:2 row_mask:0xf bank_mask:0xf
	v_cndmask_b32_e64 v3, 0, v3, s[14:15]
	v_add_u32_e32 v2, v2, v3
	s_nop 1
	v_mov_b32_dpp v3, v2 row_shr:4 row_mask:0xf bank_mask:0xf
	v_cndmask_b32_e64 v3, 0, v3, s[12:13]
	v_add_u32_e32 v2, v2, v3
	s_nop 1
	v_mov_b32_dpp v3, v2 row_shr:8 row_mask:0xf bank_mask:0xf
	v_cndmask_b32_e64 v3, 0, v3, s[10:11]
	v_add_u32_e32 v2, v2, v3
	s_nop 1
	v_mov_b32_dpp v3, v2 row_bcast:15 row_mask:0xf bank_mask:0xf
	v_cndmask_b32_e64 v3, v3, 0, s[8:9]
	v_add_u32_e32 v2, v2, v3
	s_nop 1
	v_mov_b32_dpp v3, v2 row_bcast:31 row_mask:0xf bank_mask:0xf
	v_cndmask_b32_e64 v3, 0, v3, s[4:5]
	v_add_u32_e32 v2, v2, v3
	s_and_saveexec_b64 s[4:5], s[6:7]
	s_cbranch_execz .LBB1508_72
; %bb.71:
	v_lshlrev_b32_e32 v3, 2, v54
	ds_write_b32 v3, v2
.LBB1508_72:
	s_or_b64 exec, exec, s[4:5]
	v_cmp_gt_u32_e32 vcc, 4, v0
	s_waitcnt lgkmcnt(0)
	s_barrier
	s_and_saveexec_b64 s[4:5], vcc
	s_cbranch_execz .LBB1508_74
; %bb.73:
	ds_read_b32 v3, v34
	v_and_b32_e32 v4, 3, v53
	v_cmp_ne_u32_e32 vcc, 0, v4
	s_waitcnt lgkmcnt(0)
	v_mov_b32_dpp v5, v3 row_shr:1 row_mask:0xf bank_mask:0xf
	v_cndmask_b32_e32 v5, 0, v5, vcc
	v_add_u32_e32 v3, v5, v3
	v_cmp_lt_u32_e32 vcc, 1, v4
	s_nop 0
	v_mov_b32_dpp v5, v3 row_shr:2 row_mask:0xf bank_mask:0xf
	v_cndmask_b32_e32 v4, 0, v5, vcc
	v_add_u32_e32 v3, v3, v4
	ds_write_b32 v34, v3
.LBB1508_74:
	s_or_b64 exec, exec, s[4:5]
	v_cmp_lt_u32_e32 vcc, 63, v0
	v_mov_b32_e32 v4, 0
	v_mov_b32_e32 v3, 0
	s_waitcnt lgkmcnt(0)
	s_barrier
	s_and_saveexec_b64 s[4:5], vcc
	s_cbranch_execz .LBB1508_76
; %bb.75:
	v_lshl_add_u32 v3, v54, 2, -4
	ds_read_b32 v3, v3
.LBB1508_76:
	s_or_b64 exec, exec, s[4:5]
	v_add_u32_e32 v5, -1, v53
	v_and_b32_e32 v6, 64, v53
	v_cmp_lt_i32_e32 vcc, v5, v6
	v_cndmask_b32_e32 v5, v5, v53, vcc
	s_waitcnt lgkmcnt(0)
	v_add_u32_e32 v2, v3, v2
	v_lshlrev_b32_e32 v5, 2, v5
	ds_bpermute_b32 v2, v5, v2
	ds_read_b32 v18, v4 offset:12
	s_and_saveexec_b64 s[4:5], s[0:1]
	s_cbranch_execz .LBB1508_78
; %bb.77:
	v_mov_b32_e32 v4, 0
	v_mov_b32_e32 v19, 2
	s_waitcnt lgkmcnt(0)
	global_store_dwordx2 v4, v[18:19], s[30:31] offset:512
.LBB1508_78:
	s_or_b64 exec, exec, s[4:5]
	v_cmp_eq_u32_e32 vcc, 0, v53
	s_waitcnt lgkmcnt(1)
	v_cndmask_b32_e32 v2, v2, v3, vcc
	v_cndmask_b32_e64 v2, v2, 0, s[0:1]
	v_add_u32_e32 v3, v2, v44
	v_add_u32_e32 v4, v3, v45
	;; [unrolled: 1-line block ×11, first 2 shown]
	v_mov_b32_e32 v19, 0
	v_add_u32_e32 v14, v13, v41
	s_waitcnt lgkmcnt(0)
	s_barrier
.LBB1508_79:
	s_waitcnt lgkmcnt(0)
	v_add_u32_e32 v36, v18, v36
	v_sub_u32_e32 v2, v2, v19
	v_and_b32_e32 v45, 1, v40
	v_sub_u32_e32 v44, v36, v2
	v_cmp_eq_u32_e32 vcc, 1, v45
	v_cndmask_b32_e32 v2, v44, v2, vcc
	v_lshlrev_b32_e32 v2, 2, v2
	v_lshrrev_b32_e32 v17, 8, v40
	ds_write_b32 v2, v32
	v_sub_u32_e32 v2, v3, v19
	v_sub_u32_e32 v3, v36, v2
	v_and_b32_e32 v17, 1, v17
	v_add_u32_e32 v3, 1, v3
	v_cmp_eq_u32_e32 vcc, 1, v17
	v_cndmask_b32_e32 v2, v3, v2, vcc
	v_lshlrev_b32_e32 v2, 2, v2
	ds_write_b32 v2, v33
	v_sub_u32_e32 v2, v4, v19
	v_mov_b32_e32 v4, 1
	v_sub_u32_e32 v3, v36, v2
	v_and_b32_sdwa v17, v4, v40 dst_sel:DWORD dst_unused:UNUSED_PAD src0_sel:DWORD src1_sel:WORD_1
	v_add_u32_e32 v3, 2, v3
	v_cmp_eq_u32_e32 vcc, 1, v17
	v_cndmask_b32_e32 v2, v3, v2, vcc
	v_lshlrev_b32_e32 v2, 2, v2
	ds_write_b32 v2, v30
	v_sub_u32_e32 v2, v5, v19
	v_sub_u32_e32 v3, v36, v2
	v_and_b32_e32 v5, 1, v43
	v_add_u32_e32 v3, 3, v3
	v_cmp_eq_u32_e32 vcc, 1, v5
	v_cndmask_b32_e32 v2, v3, v2, vcc
	v_lshlrev_b32_e32 v2, 2, v2
	ds_write_b32 v2, v31
	v_sub_u32_e32 v2, v6, v19
	v_sub_u32_e32 v3, v36, v2
	v_and_b32_e32 v5, 1, v39
	v_add_u32_e32 v3, 4, v3
	v_cmp_eq_u32_e32 vcc, 1, v5
	v_cndmask_b32_e32 v2, v3, v2, vcc
	v_lshlrev_b32_e32 v2, 2, v2
	v_lshrrev_b32_e32 v16, 8, v39
	ds_write_b32 v2, v28
	v_sub_u32_e32 v2, v7, v19
	v_sub_u32_e32 v3, v36, v2
	v_and_b32_e32 v5, 1, v16
	v_add_u32_e32 v3, 5, v3
	v_cmp_eq_u32_e32 vcc, 1, v5
	v_cndmask_b32_e32 v2, v3, v2, vcc
	v_lshlrev_b32_e32 v2, 2, v2
	ds_write_b32 v2, v29
	v_sub_u32_e32 v2, v8, v19
	v_sub_u32_e32 v3, v36, v2
	v_and_b32_sdwa v5, v4, v39 dst_sel:DWORD dst_unused:UNUSED_PAD src0_sel:DWORD src1_sel:WORD_1
	v_add_u32_e32 v3, 6, v3
	v_cmp_eq_u32_e32 vcc, 1, v5
	v_cndmask_b32_e32 v2, v3, v2, vcc
	v_lshlrev_b32_e32 v2, 2, v2
	ds_write_b32 v2, v26
	v_sub_u32_e32 v2, v9, v19
	v_sub_u32_e32 v3, v36, v2
	v_and_b32_e32 v5, 1, v42
	v_add_u32_e32 v3, 7, v3
	v_cmp_eq_u32_e32 vcc, 1, v5
	v_cndmask_b32_e32 v2, v3, v2, vcc
	v_lshlrev_b32_e32 v2, 2, v2
	ds_write_b32 v2, v27
	v_sub_u32_e32 v2, v10, v19
	v_sub_u32_e32 v3, v36, v2
	v_and_b32_e32 v5, 1, v38
	v_add_u32_e32 v3, 8, v3
	v_cmp_eq_u32_e32 vcc, 1, v5
	v_cndmask_b32_e32 v2, v3, v2, vcc
	v_lshlrev_b32_e32 v2, 2, v2
	v_lshrrev_b32_e32 v15, 8, v38
	ds_write_b32 v2, v24
	v_sub_u32_e32 v2, v11, v19
	v_sub_u32_e32 v3, v36, v2
	v_and_b32_e32 v5, 1, v15
	v_add_u32_e32 v3, 9, v3
	v_cmp_eq_u32_e32 vcc, 1, v5
	v_cndmask_b32_e32 v2, v3, v2, vcc
	v_lshlrev_b32_e32 v2, 2, v2
	ds_write_b32 v2, v25
	v_sub_u32_e32 v2, v12, v19
	v_sub_u32_e32 v3, v36, v2
	v_and_b32_sdwa v4, v4, v38 dst_sel:DWORD dst_unused:UNUSED_PAD src0_sel:DWORD src1_sel:WORD_1
	v_add_u32_e32 v3, 10, v3
	v_cmp_eq_u32_e32 vcc, 1, v4
	v_cndmask_b32_e32 v2, v3, v2, vcc
	v_lshlrev_b32_e32 v2, 2, v2
	ds_write_b32 v2, v22
	v_sub_u32_e32 v2, v13, v19
	v_sub_u32_e32 v3, v36, v2
	v_and_b32_e32 v4, 1, v41
	v_add_u32_e32 v3, 11, v3
	v_cmp_eq_u32_e32 vcc, 1, v4
	v_cndmask_b32_e32 v2, v3, v2, vcc
	v_lshlrev_b32_e32 v2, 2, v2
	ds_write_b32 v2, v23
	v_sub_u32_e32 v2, v14, v19
	v_sub_u32_e32 v3, v36, v2
	v_and_b32_e32 v4, 1, v37
	v_add_u32_e32 v3, 12, v3
	v_cmp_eq_u32_e32 vcc, 1, v4
	v_cndmask_b32_e32 v2, v3, v2, vcc
	s_waitcnt vmcnt(0)
	v_add_co_u32_e32 v16, vcc, v20, v19
	v_addc_co_u32_e32 v17, vcc, 0, v21, vcc
	v_mov_b32_e32 v14, s29
	v_add_co_u32_e32 v1, vcc, s28, v1
	v_addc_co_u32_e32 v14, vcc, 0, v14, vcc
	v_lshlrev_b32_e32 v2, 2, v2
	v_mov_b32_e32 v15, s27
	v_sub_co_u32_e32 v1, vcc, s26, v1
	ds_write_b32 v2, v35
	s_waitcnt lgkmcnt(0)
	s_barrier
	ds_read2st64_b32 v[12:13], v34 offset1:4
	ds_read2st64_b32 v[10:11], v34 offset0:8 offset1:12
	ds_read2st64_b32 v[8:9], v34 offset0:16 offset1:20
	;; [unrolled: 1-line block ×5, first 2 shown]
	ds_read_b32 v22, v34 offset:12288
	v_subb_co_u32_e32 v14, vcc, v15, v14, vcc
	v_add_co_u32_e32 v1, vcc, v1, v18
	v_addc_co_u32_e32 v14, vcc, 0, v14, vcc
	s_and_b64 vcc, exec, s[2:3]
	v_add_co_u32_e64 v1, s[2:3], v1, v16
	v_or_b32_e32 v35, 0x100, v0
	v_or_b32_e32 v33, 0x200, v0
	;; [unrolled: 1-line block ×12, first 2 shown]
	v_addc_co_u32_e64 v19, s[2:3], v14, v17, s[2:3]
	s_cbranch_vccnz .LBB1508_136
; %bb.80:
	v_cmp_ge_u32_e32 vcc, v0, v18
                                        ; implicit-def: $vgpr14_vgpr15
	s_and_saveexec_b64 s[2:3], vcc
	s_xor_b64 s[2:3], exec, s[2:3]
; %bb.81:
	v_not_b32_e32 v14, v0
	v_ashrrev_i32_e32 v15, 31, v14
	v_add_co_u32_e32 v14, vcc, v1, v14
	v_addc_co_u32_e32 v15, vcc, v19, v15, vcc
; %bb.82:
	s_andn2_saveexec_b64 s[2:3], s[2:3]
; %bb.83:
	v_add_co_u32_e32 v14, vcc, v16, v0
	v_addc_co_u32_e32 v15, vcc, 0, v17, vcc
; %bb.84:
	s_or_b64 exec, exec, s[2:3]
	v_lshlrev_b64 v[14:15], 2, v[14:15]
	v_mov_b32_e32 v20, s25
	v_add_co_u32_e32 v14, vcc, s24, v14
	v_addc_co_u32_e32 v15, vcc, v20, v15, vcc
	v_cmp_ge_u32_e32 vcc, v35, v18
	s_waitcnt lgkmcnt(6)
	global_store_dword v[14:15], v12, off
                                        ; implicit-def: $vgpr14_vgpr15
	s_and_saveexec_b64 s[2:3], vcc
	s_xor_b64 s[2:3], exec, s[2:3]
; %bb.85:
	v_xor_b32_e32 v14, 0xfffffeff, v0
	v_ashrrev_i32_e32 v15, 31, v14
	v_add_co_u32_e32 v14, vcc, v1, v14
	v_addc_co_u32_e32 v15, vcc, v19, v15, vcc
; %bb.86:
	s_andn2_saveexec_b64 s[2:3], s[2:3]
; %bb.87:
	v_add_co_u32_e32 v14, vcc, v16, v35
	v_addc_co_u32_e32 v15, vcc, 0, v17, vcc
; %bb.88:
	s_or_b64 exec, exec, s[2:3]
	v_lshlrev_b64 v[14:15], 2, v[14:15]
	v_mov_b32_e32 v20, s25
	v_add_co_u32_e32 v14, vcc, s24, v14
	v_addc_co_u32_e32 v15, vcc, v20, v15, vcc
	v_cmp_ge_u32_e32 vcc, v33, v18
	global_store_dword v[14:15], v13, off
                                        ; implicit-def: $vgpr14_vgpr15
	s_and_saveexec_b64 s[2:3], vcc
	s_xor_b64 s[2:3], exec, s[2:3]
; %bb.89:
	v_xor_b32_e32 v14, 0xfffffdff, v0
	v_ashrrev_i32_e32 v15, 31, v14
	v_add_co_u32_e32 v14, vcc, v1, v14
	v_addc_co_u32_e32 v15, vcc, v19, v15, vcc
; %bb.90:
	s_andn2_saveexec_b64 s[2:3], s[2:3]
; %bb.91:
	v_add_co_u32_e32 v14, vcc, v16, v33
	v_addc_co_u32_e32 v15, vcc, 0, v17, vcc
; %bb.92:
	s_or_b64 exec, exec, s[2:3]
	v_lshlrev_b64 v[14:15], 2, v[14:15]
	v_mov_b32_e32 v20, s25
	v_add_co_u32_e32 v14, vcc, s24, v14
	v_addc_co_u32_e32 v15, vcc, v20, v15, vcc
	v_cmp_ge_u32_e32 vcc, v32, v18
	s_waitcnt lgkmcnt(5)
	global_store_dword v[14:15], v10, off
                                        ; implicit-def: $vgpr14_vgpr15
	s_and_saveexec_b64 s[2:3], vcc
	s_xor_b64 s[2:3], exec, s[2:3]
; %bb.93:
	v_xor_b32_e32 v14, 0xfffffcff, v0
	v_ashrrev_i32_e32 v15, 31, v14
	v_add_co_u32_e32 v14, vcc, v1, v14
	v_addc_co_u32_e32 v15, vcc, v19, v15, vcc
; %bb.94:
	s_andn2_saveexec_b64 s[2:3], s[2:3]
; %bb.95:
	v_add_co_u32_e32 v14, vcc, v16, v32
	v_addc_co_u32_e32 v15, vcc, 0, v17, vcc
; %bb.96:
	s_or_b64 exec, exec, s[2:3]
	v_lshlrev_b64 v[14:15], 2, v[14:15]
	v_mov_b32_e32 v20, s25
	v_add_co_u32_e32 v14, vcc, s24, v14
	v_addc_co_u32_e32 v15, vcc, v20, v15, vcc
	v_cmp_ge_u32_e32 vcc, v31, v18
	global_store_dword v[14:15], v11, off
                                        ; implicit-def: $vgpr14_vgpr15
	s_and_saveexec_b64 s[2:3], vcc
	s_xor_b64 s[2:3], exec, s[2:3]
; %bb.97:
	v_xor_b32_e32 v14, 0xfffffbff, v0
	;; [unrolled: 43-line block ×6, first 2 shown]
	v_ashrrev_i32_e32 v15, 31, v14
	v_add_co_u32_e32 v14, vcc, v1, v14
	v_addc_co_u32_e32 v15, vcc, v19, v15, vcc
; %bb.130:
	s_andn2_saveexec_b64 s[2:3], s[2:3]
; %bb.131:
	v_add_co_u32_e32 v14, vcc, v16, v23
	v_addc_co_u32_e32 v15, vcc, 0, v17, vcc
; %bb.132:
	s_or_b64 exec, exec, s[2:3]
	s_mov_b64 s[2:3], -1
.LBB1508_133:
	s_and_saveexec_b64 s[4:5], s[2:3]
	s_cbranch_execz .LBB1508_216
.LBB1508_134:
	v_lshlrev_b64 v[0:1], 2, v[14:15]
	s_waitcnt lgkmcnt(1)
	v_mov_b32_e32 v2, s25
	v_add_co_u32_e32 v0, vcc, s24, v0
	v_addc_co_u32_e32 v1, vcc, v2, v1, vcc
	s_waitcnt lgkmcnt(0)
	global_store_dword v[0:1], v22, off
	s_or_b64 exec, exec, s[4:5]
	s_and_b64 s[0:1], s[0:1], s[22:23]
	s_and_saveexec_b64 s[2:3], s[0:1]
	s_cbranch_execnz .LBB1508_217
.LBB1508_135:
	s_endpgm
.LBB1508_136:
	s_mov_b64 s[2:3], 0
                                        ; implicit-def: $vgpr14_vgpr15
	s_cbranch_execz .LBB1508_133
; %bb.137:
	v_cmp_gt_u32_e32 vcc, s33, v0
	s_and_saveexec_b64 s[4:5], vcc
	s_cbranch_execz .LBB1508_173
; %bb.138:
	v_cmp_ge_u32_e32 vcc, v0, v18
                                        ; implicit-def: $vgpr14_vgpr15
	s_and_saveexec_b64 s[6:7], vcc
	s_xor_b64 s[6:7], exec, s[6:7]
; %bb.139:
	v_not_b32_e32 v14, v0
	v_ashrrev_i32_e32 v15, 31, v14
	v_add_co_u32_e32 v14, vcc, v1, v14
	v_addc_co_u32_e32 v15, vcc, v19, v15, vcc
; %bb.140:
	s_andn2_saveexec_b64 s[6:7], s[6:7]
; %bb.141:
	v_add_co_u32_e32 v14, vcc, v16, v0
	v_addc_co_u32_e32 v15, vcc, 0, v17, vcc
; %bb.142:
	s_or_b64 exec, exec, s[6:7]
	v_lshlrev_b64 v[14:15], 2, v[14:15]
	v_mov_b32_e32 v20, s25
	v_add_co_u32_e32 v14, vcc, s24, v14
	v_addc_co_u32_e32 v15, vcc, v20, v15, vcc
	s_waitcnt lgkmcnt(6)
	global_store_dword v[14:15], v12, off
	s_or_b64 exec, exec, s[4:5]
	v_cmp_gt_u32_e32 vcc, s33, v35
	s_and_saveexec_b64 s[4:5], vcc
	s_cbranch_execnz .LBB1508_174
.LBB1508_143:
	s_or_b64 exec, exec, s[4:5]
	v_cmp_gt_u32_e32 vcc, s33, v33
	s_and_saveexec_b64 s[4:5], vcc
	s_cbranch_execz .LBB1508_179
.LBB1508_144:
	v_cmp_ge_u32_e32 vcc, v33, v18
                                        ; implicit-def: $vgpr12_vgpr13
	s_and_saveexec_b64 s[6:7], vcc
	s_xor_b64 s[6:7], exec, s[6:7]
	s_cbranch_execz .LBB1508_146
; %bb.145:
	s_waitcnt lgkmcnt(6)
	v_xor_b32_e32 v12, 0xfffffdff, v0
	v_ashrrev_i32_e32 v13, 31, v12
	v_add_co_u32_e32 v12, vcc, v1, v12
	v_addc_co_u32_e32 v13, vcc, v19, v13, vcc
                                        ; implicit-def: $vgpr33
.LBB1508_146:
	s_andn2_saveexec_b64 s[6:7], s[6:7]
	s_cbranch_execz .LBB1508_148
; %bb.147:
	s_waitcnt lgkmcnt(6)
	v_add_co_u32_e32 v12, vcc, v16, v33
	v_addc_co_u32_e32 v13, vcc, 0, v17, vcc
.LBB1508_148:
	s_or_b64 exec, exec, s[6:7]
	s_waitcnt lgkmcnt(6)
	v_lshlrev_b64 v[12:13], 2, v[12:13]
	v_mov_b32_e32 v14, s25
	v_add_co_u32_e32 v12, vcc, s24, v12
	v_addc_co_u32_e32 v13, vcc, v14, v13, vcc
	s_waitcnt lgkmcnt(5)
	global_store_dword v[12:13], v10, off
	s_or_b64 exec, exec, s[4:5]
	v_cmp_gt_u32_e32 vcc, s33, v32
	s_and_saveexec_b64 s[4:5], vcc
	s_cbranch_execnz .LBB1508_180
.LBB1508_149:
	s_or_b64 exec, exec, s[4:5]
	v_cmp_gt_u32_e32 vcc, s33, v31
	s_and_saveexec_b64 s[4:5], vcc
	s_cbranch_execz .LBB1508_185
.LBB1508_150:
	v_cmp_ge_u32_e32 vcc, v31, v18
                                        ; implicit-def: $vgpr10_vgpr11
	s_and_saveexec_b64 s[6:7], vcc
	s_xor_b64 s[6:7], exec, s[6:7]
	s_cbranch_execz .LBB1508_152
; %bb.151:
	s_waitcnt lgkmcnt(5)
	v_xor_b32_e32 v10, 0xfffffbff, v0
	v_ashrrev_i32_e32 v11, 31, v10
	v_add_co_u32_e32 v10, vcc, v1, v10
	v_addc_co_u32_e32 v11, vcc, v19, v11, vcc
                                        ; implicit-def: $vgpr31
.LBB1508_152:
	s_andn2_saveexec_b64 s[6:7], s[6:7]
	s_cbranch_execz .LBB1508_154
; %bb.153:
	s_waitcnt lgkmcnt(5)
	v_add_co_u32_e32 v10, vcc, v16, v31
	v_addc_co_u32_e32 v11, vcc, 0, v17, vcc
.LBB1508_154:
	s_or_b64 exec, exec, s[6:7]
	s_waitcnt lgkmcnt(5)
	v_lshlrev_b64 v[10:11], 2, v[10:11]
	v_mov_b32_e32 v12, s25
	v_add_co_u32_e32 v10, vcc, s24, v10
	v_addc_co_u32_e32 v11, vcc, v12, v11, vcc
	s_waitcnt lgkmcnt(4)
	global_store_dword v[10:11], v8, off
	s_or_b64 exec, exec, s[4:5]
	v_cmp_gt_u32_e32 vcc, s33, v30
	s_and_saveexec_b64 s[4:5], vcc
	s_cbranch_execnz .LBB1508_186
.LBB1508_155:
	s_or_b64 exec, exec, s[4:5]
	v_cmp_gt_u32_e32 vcc, s33, v29
	s_and_saveexec_b64 s[4:5], vcc
	s_cbranch_execz .LBB1508_191
.LBB1508_156:
	v_cmp_ge_u32_e32 vcc, v29, v18
                                        ; implicit-def: $vgpr8_vgpr9
	s_and_saveexec_b64 s[6:7], vcc
	s_xor_b64 s[6:7], exec, s[6:7]
	s_cbranch_execz .LBB1508_158
; %bb.157:
	s_waitcnt lgkmcnt(4)
	v_xor_b32_e32 v8, 0xfffff9ff, v0
	v_ashrrev_i32_e32 v9, 31, v8
	v_add_co_u32_e32 v8, vcc, v1, v8
	v_addc_co_u32_e32 v9, vcc, v19, v9, vcc
                                        ; implicit-def: $vgpr29
.LBB1508_158:
	s_andn2_saveexec_b64 s[6:7], s[6:7]
	s_cbranch_execz .LBB1508_160
; %bb.159:
	s_waitcnt lgkmcnt(4)
	v_add_co_u32_e32 v8, vcc, v16, v29
	v_addc_co_u32_e32 v9, vcc, 0, v17, vcc
.LBB1508_160:
	s_or_b64 exec, exec, s[6:7]
	s_waitcnt lgkmcnt(4)
	v_lshlrev_b64 v[8:9], 2, v[8:9]
	v_mov_b32_e32 v10, s25
	v_add_co_u32_e32 v8, vcc, s24, v8
	v_addc_co_u32_e32 v9, vcc, v10, v9, vcc
	s_waitcnt lgkmcnt(3)
	global_store_dword v[8:9], v6, off
	s_or_b64 exec, exec, s[4:5]
	v_cmp_gt_u32_e32 vcc, s33, v28
	s_and_saveexec_b64 s[4:5], vcc
	s_cbranch_execnz .LBB1508_192
.LBB1508_161:
	s_or_b64 exec, exec, s[4:5]
	v_cmp_gt_u32_e32 vcc, s33, v27
	s_and_saveexec_b64 s[4:5], vcc
	s_cbranch_execz .LBB1508_197
.LBB1508_162:
	v_cmp_ge_u32_e32 vcc, v27, v18
                                        ; implicit-def: $vgpr6_vgpr7
	s_and_saveexec_b64 s[6:7], vcc
	s_xor_b64 s[6:7], exec, s[6:7]
	s_cbranch_execz .LBB1508_164
; %bb.163:
	s_waitcnt lgkmcnt(3)
	v_xor_b32_e32 v6, 0xfffff7ff, v0
	v_ashrrev_i32_e32 v7, 31, v6
	v_add_co_u32_e32 v6, vcc, v1, v6
	v_addc_co_u32_e32 v7, vcc, v19, v7, vcc
                                        ; implicit-def: $vgpr27
.LBB1508_164:
	s_andn2_saveexec_b64 s[6:7], s[6:7]
	s_cbranch_execz .LBB1508_166
; %bb.165:
	s_waitcnt lgkmcnt(3)
	v_add_co_u32_e32 v6, vcc, v16, v27
	v_addc_co_u32_e32 v7, vcc, 0, v17, vcc
.LBB1508_166:
	s_or_b64 exec, exec, s[6:7]
	s_waitcnt lgkmcnt(3)
	v_lshlrev_b64 v[6:7], 2, v[6:7]
	v_mov_b32_e32 v8, s25
	v_add_co_u32_e32 v6, vcc, s24, v6
	v_addc_co_u32_e32 v7, vcc, v8, v7, vcc
	s_waitcnt lgkmcnt(2)
	global_store_dword v[6:7], v4, off
	s_or_b64 exec, exec, s[4:5]
	v_cmp_gt_u32_e32 vcc, s33, v26
	s_and_saveexec_b64 s[4:5], vcc
	s_cbranch_execnz .LBB1508_198
.LBB1508_167:
	s_or_b64 exec, exec, s[4:5]
	v_cmp_gt_u32_e32 vcc, s33, v25
	s_and_saveexec_b64 s[4:5], vcc
	s_cbranch_execz .LBB1508_203
.LBB1508_168:
	v_cmp_ge_u32_e32 vcc, v25, v18
                                        ; implicit-def: $vgpr4_vgpr5
	s_and_saveexec_b64 s[6:7], vcc
	s_xor_b64 s[6:7], exec, s[6:7]
	s_cbranch_execz .LBB1508_170
; %bb.169:
	s_waitcnt lgkmcnt(2)
	v_xor_b32_e32 v4, 0xfffff5ff, v0
	v_ashrrev_i32_e32 v5, 31, v4
	v_add_co_u32_e32 v4, vcc, v1, v4
	v_addc_co_u32_e32 v5, vcc, v19, v5, vcc
                                        ; implicit-def: $vgpr25
.LBB1508_170:
	s_andn2_saveexec_b64 s[6:7], s[6:7]
	s_cbranch_execz .LBB1508_172
; %bb.171:
	s_waitcnt lgkmcnt(2)
	v_add_co_u32_e32 v4, vcc, v16, v25
	v_addc_co_u32_e32 v5, vcc, 0, v17, vcc
.LBB1508_172:
	s_or_b64 exec, exec, s[6:7]
	s_waitcnt lgkmcnt(2)
	v_lshlrev_b64 v[4:5], 2, v[4:5]
	v_mov_b32_e32 v6, s25
	v_add_co_u32_e32 v4, vcc, s24, v4
	v_addc_co_u32_e32 v5, vcc, v6, v5, vcc
	s_waitcnt lgkmcnt(1)
	global_store_dword v[4:5], v2, off
	s_or_b64 exec, exec, s[4:5]
	v_cmp_gt_u32_e32 vcc, s33, v24
	s_and_saveexec_b64 s[4:5], vcc
	s_cbranch_execz .LBB1508_209
	s_branch .LBB1508_204
.LBB1508_173:
	s_or_b64 exec, exec, s[4:5]
	v_cmp_gt_u32_e32 vcc, s33, v35
	s_and_saveexec_b64 s[4:5], vcc
	s_cbranch_execz .LBB1508_143
.LBB1508_174:
	v_cmp_ge_u32_e32 vcc, v35, v18
                                        ; implicit-def: $vgpr14_vgpr15
	s_and_saveexec_b64 s[6:7], vcc
	s_xor_b64 s[6:7], exec, s[6:7]
	s_cbranch_execz .LBB1508_176
; %bb.175:
	s_waitcnt lgkmcnt(6)
	v_xor_b32_e32 v12, 0xfffffeff, v0
	v_ashrrev_i32_e32 v15, 31, v12
	v_add_co_u32_e32 v14, vcc, v1, v12
	v_addc_co_u32_e32 v15, vcc, v19, v15, vcc
                                        ; implicit-def: $vgpr35
.LBB1508_176:
	s_andn2_saveexec_b64 s[6:7], s[6:7]
; %bb.177:
	v_add_co_u32_e32 v14, vcc, v16, v35
	v_addc_co_u32_e32 v15, vcc, 0, v17, vcc
; %bb.178:
	s_or_b64 exec, exec, s[6:7]
	v_lshlrev_b64 v[14:15], 2, v[14:15]
	s_waitcnt lgkmcnt(6)
	v_mov_b32_e32 v12, s25
	v_add_co_u32_e32 v14, vcc, s24, v14
	v_addc_co_u32_e32 v15, vcc, v12, v15, vcc
	global_store_dword v[14:15], v13, off
	s_or_b64 exec, exec, s[4:5]
	v_cmp_gt_u32_e32 vcc, s33, v33
	s_and_saveexec_b64 s[4:5], vcc
	s_cbranch_execnz .LBB1508_144
.LBB1508_179:
	s_or_b64 exec, exec, s[4:5]
	v_cmp_gt_u32_e32 vcc, s33, v32
	s_and_saveexec_b64 s[4:5], vcc
	s_cbranch_execz .LBB1508_149
.LBB1508_180:
	v_cmp_ge_u32_e32 vcc, v32, v18
                                        ; implicit-def: $vgpr12_vgpr13
	s_and_saveexec_b64 s[6:7], vcc
	s_xor_b64 s[6:7], exec, s[6:7]
	s_cbranch_execz .LBB1508_182
; %bb.181:
	s_waitcnt lgkmcnt(5)
	v_xor_b32_e32 v10, 0xfffffcff, v0
	v_ashrrev_i32_e32 v13, 31, v10
	v_add_co_u32_e32 v12, vcc, v1, v10
	v_addc_co_u32_e32 v13, vcc, v19, v13, vcc
                                        ; implicit-def: $vgpr32
.LBB1508_182:
	s_andn2_saveexec_b64 s[6:7], s[6:7]
	s_cbranch_execz .LBB1508_184
; %bb.183:
	s_waitcnt lgkmcnt(6)
	v_add_co_u32_e32 v12, vcc, v16, v32
	v_addc_co_u32_e32 v13, vcc, 0, v17, vcc
.LBB1508_184:
	s_or_b64 exec, exec, s[6:7]
	s_waitcnt lgkmcnt(6)
	v_lshlrev_b64 v[12:13], 2, v[12:13]
	s_waitcnt lgkmcnt(5)
	v_mov_b32_e32 v10, s25
	v_add_co_u32_e32 v12, vcc, s24, v12
	v_addc_co_u32_e32 v13, vcc, v10, v13, vcc
	global_store_dword v[12:13], v11, off
	s_or_b64 exec, exec, s[4:5]
	v_cmp_gt_u32_e32 vcc, s33, v31
	s_and_saveexec_b64 s[4:5], vcc
	s_cbranch_execnz .LBB1508_150
.LBB1508_185:
	s_or_b64 exec, exec, s[4:5]
	v_cmp_gt_u32_e32 vcc, s33, v30
	s_and_saveexec_b64 s[4:5], vcc
	s_cbranch_execz .LBB1508_155
.LBB1508_186:
	v_cmp_ge_u32_e32 vcc, v30, v18
                                        ; implicit-def: $vgpr10_vgpr11
	s_and_saveexec_b64 s[6:7], vcc
	s_xor_b64 s[6:7], exec, s[6:7]
	s_cbranch_execz .LBB1508_188
; %bb.187:
	s_waitcnt lgkmcnt(4)
	v_xor_b32_e32 v8, 0xfffffaff, v0
	v_ashrrev_i32_e32 v11, 31, v8
	v_add_co_u32_e32 v10, vcc, v1, v8
	v_addc_co_u32_e32 v11, vcc, v19, v11, vcc
                                        ; implicit-def: $vgpr30
.LBB1508_188:
	s_andn2_saveexec_b64 s[6:7], s[6:7]
	s_cbranch_execz .LBB1508_190
; %bb.189:
	s_waitcnt lgkmcnt(5)
	v_add_co_u32_e32 v10, vcc, v16, v30
	v_addc_co_u32_e32 v11, vcc, 0, v17, vcc
.LBB1508_190:
	s_or_b64 exec, exec, s[6:7]
	s_waitcnt lgkmcnt(5)
	v_lshlrev_b64 v[10:11], 2, v[10:11]
	s_waitcnt lgkmcnt(4)
	v_mov_b32_e32 v8, s25
	v_add_co_u32_e32 v10, vcc, s24, v10
	v_addc_co_u32_e32 v11, vcc, v8, v11, vcc
	global_store_dword v[10:11], v9, off
	s_or_b64 exec, exec, s[4:5]
	v_cmp_gt_u32_e32 vcc, s33, v29
	s_and_saveexec_b64 s[4:5], vcc
	s_cbranch_execnz .LBB1508_156
.LBB1508_191:
	s_or_b64 exec, exec, s[4:5]
	v_cmp_gt_u32_e32 vcc, s33, v28
	s_and_saveexec_b64 s[4:5], vcc
	s_cbranch_execz .LBB1508_161
.LBB1508_192:
	v_cmp_ge_u32_e32 vcc, v28, v18
                                        ; implicit-def: $vgpr8_vgpr9
	s_and_saveexec_b64 s[6:7], vcc
	s_xor_b64 s[6:7], exec, s[6:7]
	s_cbranch_execz .LBB1508_194
; %bb.193:
	s_waitcnt lgkmcnt(3)
	v_xor_b32_e32 v6, 0xfffff8ff, v0
	v_ashrrev_i32_e32 v9, 31, v6
	v_add_co_u32_e32 v8, vcc, v1, v6
	v_addc_co_u32_e32 v9, vcc, v19, v9, vcc
                                        ; implicit-def: $vgpr28
.LBB1508_194:
	s_andn2_saveexec_b64 s[6:7], s[6:7]
	s_cbranch_execz .LBB1508_196
; %bb.195:
	s_waitcnt lgkmcnt(4)
	v_add_co_u32_e32 v8, vcc, v16, v28
	v_addc_co_u32_e32 v9, vcc, 0, v17, vcc
.LBB1508_196:
	s_or_b64 exec, exec, s[6:7]
	s_waitcnt lgkmcnt(4)
	v_lshlrev_b64 v[8:9], 2, v[8:9]
	s_waitcnt lgkmcnt(3)
	v_mov_b32_e32 v6, s25
	v_add_co_u32_e32 v8, vcc, s24, v8
	v_addc_co_u32_e32 v9, vcc, v6, v9, vcc
	global_store_dword v[8:9], v7, off
	s_or_b64 exec, exec, s[4:5]
	v_cmp_gt_u32_e32 vcc, s33, v27
	s_and_saveexec_b64 s[4:5], vcc
	s_cbranch_execnz .LBB1508_162
.LBB1508_197:
	s_or_b64 exec, exec, s[4:5]
	v_cmp_gt_u32_e32 vcc, s33, v26
	s_and_saveexec_b64 s[4:5], vcc
	s_cbranch_execz .LBB1508_167
.LBB1508_198:
	v_cmp_ge_u32_e32 vcc, v26, v18
                                        ; implicit-def: $vgpr6_vgpr7
	s_and_saveexec_b64 s[6:7], vcc
	s_xor_b64 s[6:7], exec, s[6:7]
	s_cbranch_execz .LBB1508_200
; %bb.199:
	s_waitcnt lgkmcnt(2)
	v_xor_b32_e32 v4, 0xfffff6ff, v0
	v_ashrrev_i32_e32 v7, 31, v4
	v_add_co_u32_e32 v6, vcc, v1, v4
	v_addc_co_u32_e32 v7, vcc, v19, v7, vcc
                                        ; implicit-def: $vgpr26
.LBB1508_200:
	s_andn2_saveexec_b64 s[6:7], s[6:7]
	s_cbranch_execz .LBB1508_202
; %bb.201:
	s_waitcnt lgkmcnt(3)
	v_add_co_u32_e32 v6, vcc, v16, v26
	v_addc_co_u32_e32 v7, vcc, 0, v17, vcc
.LBB1508_202:
	s_or_b64 exec, exec, s[6:7]
	s_waitcnt lgkmcnt(3)
	v_lshlrev_b64 v[6:7], 2, v[6:7]
	s_waitcnt lgkmcnt(2)
	v_mov_b32_e32 v4, s25
	v_add_co_u32_e32 v6, vcc, s24, v6
	v_addc_co_u32_e32 v7, vcc, v4, v7, vcc
	global_store_dword v[6:7], v5, off
	s_or_b64 exec, exec, s[4:5]
	v_cmp_gt_u32_e32 vcc, s33, v25
	s_and_saveexec_b64 s[4:5], vcc
	s_cbranch_execnz .LBB1508_168
.LBB1508_203:
	s_or_b64 exec, exec, s[4:5]
	v_cmp_gt_u32_e32 vcc, s33, v24
	s_and_saveexec_b64 s[4:5], vcc
	s_cbranch_execz .LBB1508_209
.LBB1508_204:
	v_cmp_ge_u32_e32 vcc, v24, v18
                                        ; implicit-def: $vgpr4_vgpr5
	s_and_saveexec_b64 s[6:7], vcc
	s_xor_b64 s[6:7], exec, s[6:7]
	s_cbranch_execz .LBB1508_206
; %bb.205:
	s_waitcnt lgkmcnt(1)
	v_xor_b32_e32 v2, 0xfffff4ff, v0
	v_ashrrev_i32_e32 v5, 31, v2
	v_add_co_u32_e32 v4, vcc, v1, v2
	v_addc_co_u32_e32 v5, vcc, v19, v5, vcc
                                        ; implicit-def: $vgpr24
.LBB1508_206:
	s_andn2_saveexec_b64 s[6:7], s[6:7]
	s_cbranch_execz .LBB1508_208
; %bb.207:
	s_waitcnt lgkmcnt(2)
	v_add_co_u32_e32 v4, vcc, v16, v24
	v_addc_co_u32_e32 v5, vcc, 0, v17, vcc
.LBB1508_208:
	s_or_b64 exec, exec, s[6:7]
	s_waitcnt lgkmcnt(2)
	v_lshlrev_b64 v[4:5], 2, v[4:5]
	s_waitcnt lgkmcnt(1)
	v_mov_b32_e32 v2, s25
	v_add_co_u32_e32 v4, vcc, s24, v4
	v_addc_co_u32_e32 v5, vcc, v2, v5, vcc
	global_store_dword v[4:5], v3, off
.LBB1508_209:
	s_or_b64 exec, exec, s[4:5]
	v_cmp_gt_u32_e32 vcc, s33, v23
                                        ; implicit-def: $vgpr14_vgpr15
	s_and_saveexec_b64 s[4:5], vcc
	s_cbranch_execz .LBB1508_215
; %bb.210:
	v_cmp_ge_u32_e32 vcc, v23, v18
                                        ; implicit-def: $vgpr14_vgpr15
	s_and_saveexec_b64 s[6:7], vcc
	s_xor_b64 s[6:7], exec, s[6:7]
	s_cbranch_execz .LBB1508_212
; %bb.211:
	v_xor_b32_e32 v0, 0xfffff3ff, v0
	s_waitcnt lgkmcnt(1)
	v_ashrrev_i32_e32 v2, 31, v0
	v_add_co_u32_e32 v14, vcc, v1, v0
	v_addc_co_u32_e32 v15, vcc, v19, v2, vcc
                                        ; implicit-def: $vgpr23
.LBB1508_212:
	s_andn2_saveexec_b64 s[6:7], s[6:7]
; %bb.213:
	v_add_co_u32_e32 v14, vcc, v16, v23
	v_addc_co_u32_e32 v15, vcc, 0, v17, vcc
; %bb.214:
	s_or_b64 exec, exec, s[6:7]
	s_or_b64 s[2:3], s[2:3], exec
.LBB1508_215:
	s_or_b64 exec, exec, s[4:5]
	s_and_saveexec_b64 s[4:5], s[2:3]
	s_cbranch_execnz .LBB1508_134
.LBB1508_216:
	s_or_b64 exec, exec, s[4:5]
	s_and_b64 s[0:1], s[0:1], s[22:23]
	s_and_saveexec_b64 s[2:3], s[0:1]
	s_cbranch_execz .LBB1508_135
.LBB1508_217:
	v_add_co_u32_e32 v0, vcc, v16, v18
	s_waitcnt lgkmcnt(1)
	v_mov_b32_e32 v2, 0
	v_addc_co_u32_e32 v1, vcc, 0, v17, vcc
	global_store_dwordx2 v2, v[0:1], s[20:21]
	s_endpgm
	.section	.rodata,"a",@progbits
	.p2align	6, 0x0
	.amdhsa_kernel _ZN7rocprim17ROCPRIM_400000_NS6detail17trampoline_kernelINS0_13select_configILj256ELj13ELNS0_17block_load_methodE3ELS4_3ELS4_3ELNS0_20block_scan_algorithmE0ELj4294967295EEENS1_25partition_config_selectorILNS1_17partition_subalgoE3EjNS0_10empty_typeEbEEZZNS1_14partition_implILS8_3ELb0ES6_jNS0_17counting_iteratorIjlEEPS9_SE_NS0_5tupleIJPjSE_EEENSF_IJSE_SE_EEES9_SG_JZNS1_25segmented_radix_sort_implINS0_14default_configELb1EPKbPbPKlPlN2at6native12_GLOBAL__N_18offset_tEEE10hipError_tPvRmT1_PNSt15iterator_traitsISY_E10value_typeET2_T3_PNSZ_IS14_E10value_typeET4_jRbjT5_S1A_jjP12ihipStream_tbEUljE_EEESV_SW_SX_S14_S18_S1A_T6_T7_T9_mT8_S1C_bDpT10_ENKUlT_T0_E_clISt17integral_constantIbLb1EES1P_EEDaS1K_S1L_EUlS1K_E_NS1_11comp_targetILNS1_3genE4ELNS1_11target_archE910ELNS1_3gpuE8ELNS1_3repE0EEENS1_30default_config_static_selectorELNS0_4arch9wavefront6targetE1EEEvSY_
		.amdhsa_group_segment_fixed_size 13324
		.amdhsa_private_segment_fixed_size 0
		.amdhsa_kernarg_size 152
		.amdhsa_user_sgpr_count 6
		.amdhsa_user_sgpr_private_segment_buffer 1
		.amdhsa_user_sgpr_dispatch_ptr 0
		.amdhsa_user_sgpr_queue_ptr 0
		.amdhsa_user_sgpr_kernarg_segment_ptr 1
		.amdhsa_user_sgpr_dispatch_id 0
		.amdhsa_user_sgpr_flat_scratch_init 0
		.amdhsa_user_sgpr_kernarg_preload_length 0
		.amdhsa_user_sgpr_kernarg_preload_offset 0
		.amdhsa_user_sgpr_private_segment_size 0
		.amdhsa_uses_dynamic_stack 0
		.amdhsa_system_sgpr_private_segment_wavefront_offset 0
		.amdhsa_system_sgpr_workgroup_id_x 1
		.amdhsa_system_sgpr_workgroup_id_y 0
		.amdhsa_system_sgpr_workgroup_id_z 0
		.amdhsa_system_sgpr_workgroup_info 0
		.amdhsa_system_vgpr_workitem_id 0
		.amdhsa_next_free_vgpr 64
		.amdhsa_next_free_sgpr 44
		.amdhsa_accum_offset 64
		.amdhsa_reserve_vcc 1
		.amdhsa_reserve_flat_scratch 0
		.amdhsa_float_round_mode_32 0
		.amdhsa_float_round_mode_16_64 0
		.amdhsa_float_denorm_mode_32 3
		.amdhsa_float_denorm_mode_16_64 3
		.amdhsa_dx10_clamp 1
		.amdhsa_ieee_mode 1
		.amdhsa_fp16_overflow 0
		.amdhsa_tg_split 0
		.amdhsa_exception_fp_ieee_invalid_op 0
		.amdhsa_exception_fp_denorm_src 0
		.amdhsa_exception_fp_ieee_div_zero 0
		.amdhsa_exception_fp_ieee_overflow 0
		.amdhsa_exception_fp_ieee_underflow 0
		.amdhsa_exception_fp_ieee_inexact 0
		.amdhsa_exception_int_div_zero 0
	.end_amdhsa_kernel
	.section	.text._ZN7rocprim17ROCPRIM_400000_NS6detail17trampoline_kernelINS0_13select_configILj256ELj13ELNS0_17block_load_methodE3ELS4_3ELS4_3ELNS0_20block_scan_algorithmE0ELj4294967295EEENS1_25partition_config_selectorILNS1_17partition_subalgoE3EjNS0_10empty_typeEbEEZZNS1_14partition_implILS8_3ELb0ES6_jNS0_17counting_iteratorIjlEEPS9_SE_NS0_5tupleIJPjSE_EEENSF_IJSE_SE_EEES9_SG_JZNS1_25segmented_radix_sort_implINS0_14default_configELb1EPKbPbPKlPlN2at6native12_GLOBAL__N_18offset_tEEE10hipError_tPvRmT1_PNSt15iterator_traitsISY_E10value_typeET2_T3_PNSZ_IS14_E10value_typeET4_jRbjT5_S1A_jjP12ihipStream_tbEUljE_EEESV_SW_SX_S14_S18_S1A_T6_T7_T9_mT8_S1C_bDpT10_ENKUlT_T0_E_clISt17integral_constantIbLb1EES1P_EEDaS1K_S1L_EUlS1K_E_NS1_11comp_targetILNS1_3genE4ELNS1_11target_archE910ELNS1_3gpuE8ELNS1_3repE0EEENS1_30default_config_static_selectorELNS0_4arch9wavefront6targetE1EEEvSY_,"axG",@progbits,_ZN7rocprim17ROCPRIM_400000_NS6detail17trampoline_kernelINS0_13select_configILj256ELj13ELNS0_17block_load_methodE3ELS4_3ELS4_3ELNS0_20block_scan_algorithmE0ELj4294967295EEENS1_25partition_config_selectorILNS1_17partition_subalgoE3EjNS0_10empty_typeEbEEZZNS1_14partition_implILS8_3ELb0ES6_jNS0_17counting_iteratorIjlEEPS9_SE_NS0_5tupleIJPjSE_EEENSF_IJSE_SE_EEES9_SG_JZNS1_25segmented_radix_sort_implINS0_14default_configELb1EPKbPbPKlPlN2at6native12_GLOBAL__N_18offset_tEEE10hipError_tPvRmT1_PNSt15iterator_traitsISY_E10value_typeET2_T3_PNSZ_IS14_E10value_typeET4_jRbjT5_S1A_jjP12ihipStream_tbEUljE_EEESV_SW_SX_S14_S18_S1A_T6_T7_T9_mT8_S1C_bDpT10_ENKUlT_T0_E_clISt17integral_constantIbLb1EES1P_EEDaS1K_S1L_EUlS1K_E_NS1_11comp_targetILNS1_3genE4ELNS1_11target_archE910ELNS1_3gpuE8ELNS1_3repE0EEENS1_30default_config_static_selectorELNS0_4arch9wavefront6targetE1EEEvSY_,comdat
.Lfunc_end1508:
	.size	_ZN7rocprim17ROCPRIM_400000_NS6detail17trampoline_kernelINS0_13select_configILj256ELj13ELNS0_17block_load_methodE3ELS4_3ELS4_3ELNS0_20block_scan_algorithmE0ELj4294967295EEENS1_25partition_config_selectorILNS1_17partition_subalgoE3EjNS0_10empty_typeEbEEZZNS1_14partition_implILS8_3ELb0ES6_jNS0_17counting_iteratorIjlEEPS9_SE_NS0_5tupleIJPjSE_EEENSF_IJSE_SE_EEES9_SG_JZNS1_25segmented_radix_sort_implINS0_14default_configELb1EPKbPbPKlPlN2at6native12_GLOBAL__N_18offset_tEEE10hipError_tPvRmT1_PNSt15iterator_traitsISY_E10value_typeET2_T3_PNSZ_IS14_E10value_typeET4_jRbjT5_S1A_jjP12ihipStream_tbEUljE_EEESV_SW_SX_S14_S18_S1A_T6_T7_T9_mT8_S1C_bDpT10_ENKUlT_T0_E_clISt17integral_constantIbLb1EES1P_EEDaS1K_S1L_EUlS1K_E_NS1_11comp_targetILNS1_3genE4ELNS1_11target_archE910ELNS1_3gpuE8ELNS1_3repE0EEENS1_30default_config_static_selectorELNS0_4arch9wavefront6targetE1EEEvSY_, .Lfunc_end1508-_ZN7rocprim17ROCPRIM_400000_NS6detail17trampoline_kernelINS0_13select_configILj256ELj13ELNS0_17block_load_methodE3ELS4_3ELS4_3ELNS0_20block_scan_algorithmE0ELj4294967295EEENS1_25partition_config_selectorILNS1_17partition_subalgoE3EjNS0_10empty_typeEbEEZZNS1_14partition_implILS8_3ELb0ES6_jNS0_17counting_iteratorIjlEEPS9_SE_NS0_5tupleIJPjSE_EEENSF_IJSE_SE_EEES9_SG_JZNS1_25segmented_radix_sort_implINS0_14default_configELb1EPKbPbPKlPlN2at6native12_GLOBAL__N_18offset_tEEE10hipError_tPvRmT1_PNSt15iterator_traitsISY_E10value_typeET2_T3_PNSZ_IS14_E10value_typeET4_jRbjT5_S1A_jjP12ihipStream_tbEUljE_EEESV_SW_SX_S14_S18_S1A_T6_T7_T9_mT8_S1C_bDpT10_ENKUlT_T0_E_clISt17integral_constantIbLb1EES1P_EEDaS1K_S1L_EUlS1K_E_NS1_11comp_targetILNS1_3genE4ELNS1_11target_archE910ELNS1_3gpuE8ELNS1_3repE0EEENS1_30default_config_static_selectorELNS0_4arch9wavefront6targetE1EEEvSY_
                                        ; -- End function
	.section	.AMDGPU.csdata,"",@progbits
; Kernel info:
; codeLenInByte = 7896
; NumSgprs: 48
; NumVgprs: 64
; NumAgprs: 0
; TotalNumVgprs: 64
; ScratchSize: 0
; MemoryBound: 0
; FloatMode: 240
; IeeeMode: 1
; LDSByteSize: 13324 bytes/workgroup (compile time only)
; SGPRBlocks: 5
; VGPRBlocks: 7
; NumSGPRsForWavesPerEU: 48
; NumVGPRsForWavesPerEU: 64
; AccumOffset: 64
; Occupancy: 4
; WaveLimiterHint : 0
; COMPUTE_PGM_RSRC2:SCRATCH_EN: 0
; COMPUTE_PGM_RSRC2:USER_SGPR: 6
; COMPUTE_PGM_RSRC2:TRAP_HANDLER: 0
; COMPUTE_PGM_RSRC2:TGID_X_EN: 1
; COMPUTE_PGM_RSRC2:TGID_Y_EN: 0
; COMPUTE_PGM_RSRC2:TGID_Z_EN: 0
; COMPUTE_PGM_RSRC2:TIDIG_COMP_CNT: 0
; COMPUTE_PGM_RSRC3_GFX90A:ACCUM_OFFSET: 15
; COMPUTE_PGM_RSRC3_GFX90A:TG_SPLIT: 0
	.section	.text._ZN7rocprim17ROCPRIM_400000_NS6detail17trampoline_kernelINS0_13select_configILj256ELj13ELNS0_17block_load_methodE3ELS4_3ELS4_3ELNS0_20block_scan_algorithmE0ELj4294967295EEENS1_25partition_config_selectorILNS1_17partition_subalgoE3EjNS0_10empty_typeEbEEZZNS1_14partition_implILS8_3ELb0ES6_jNS0_17counting_iteratorIjlEEPS9_SE_NS0_5tupleIJPjSE_EEENSF_IJSE_SE_EEES9_SG_JZNS1_25segmented_radix_sort_implINS0_14default_configELb1EPKbPbPKlPlN2at6native12_GLOBAL__N_18offset_tEEE10hipError_tPvRmT1_PNSt15iterator_traitsISY_E10value_typeET2_T3_PNSZ_IS14_E10value_typeET4_jRbjT5_S1A_jjP12ihipStream_tbEUljE_EEESV_SW_SX_S14_S18_S1A_T6_T7_T9_mT8_S1C_bDpT10_ENKUlT_T0_E_clISt17integral_constantIbLb1EES1P_EEDaS1K_S1L_EUlS1K_E_NS1_11comp_targetILNS1_3genE3ELNS1_11target_archE908ELNS1_3gpuE7ELNS1_3repE0EEENS1_30default_config_static_selectorELNS0_4arch9wavefront6targetE1EEEvSY_,"axG",@progbits,_ZN7rocprim17ROCPRIM_400000_NS6detail17trampoline_kernelINS0_13select_configILj256ELj13ELNS0_17block_load_methodE3ELS4_3ELS4_3ELNS0_20block_scan_algorithmE0ELj4294967295EEENS1_25partition_config_selectorILNS1_17partition_subalgoE3EjNS0_10empty_typeEbEEZZNS1_14partition_implILS8_3ELb0ES6_jNS0_17counting_iteratorIjlEEPS9_SE_NS0_5tupleIJPjSE_EEENSF_IJSE_SE_EEES9_SG_JZNS1_25segmented_radix_sort_implINS0_14default_configELb1EPKbPbPKlPlN2at6native12_GLOBAL__N_18offset_tEEE10hipError_tPvRmT1_PNSt15iterator_traitsISY_E10value_typeET2_T3_PNSZ_IS14_E10value_typeET4_jRbjT5_S1A_jjP12ihipStream_tbEUljE_EEESV_SW_SX_S14_S18_S1A_T6_T7_T9_mT8_S1C_bDpT10_ENKUlT_T0_E_clISt17integral_constantIbLb1EES1P_EEDaS1K_S1L_EUlS1K_E_NS1_11comp_targetILNS1_3genE3ELNS1_11target_archE908ELNS1_3gpuE7ELNS1_3repE0EEENS1_30default_config_static_selectorELNS0_4arch9wavefront6targetE1EEEvSY_,comdat
	.globl	_ZN7rocprim17ROCPRIM_400000_NS6detail17trampoline_kernelINS0_13select_configILj256ELj13ELNS0_17block_load_methodE3ELS4_3ELS4_3ELNS0_20block_scan_algorithmE0ELj4294967295EEENS1_25partition_config_selectorILNS1_17partition_subalgoE3EjNS0_10empty_typeEbEEZZNS1_14partition_implILS8_3ELb0ES6_jNS0_17counting_iteratorIjlEEPS9_SE_NS0_5tupleIJPjSE_EEENSF_IJSE_SE_EEES9_SG_JZNS1_25segmented_radix_sort_implINS0_14default_configELb1EPKbPbPKlPlN2at6native12_GLOBAL__N_18offset_tEEE10hipError_tPvRmT1_PNSt15iterator_traitsISY_E10value_typeET2_T3_PNSZ_IS14_E10value_typeET4_jRbjT5_S1A_jjP12ihipStream_tbEUljE_EEESV_SW_SX_S14_S18_S1A_T6_T7_T9_mT8_S1C_bDpT10_ENKUlT_T0_E_clISt17integral_constantIbLb1EES1P_EEDaS1K_S1L_EUlS1K_E_NS1_11comp_targetILNS1_3genE3ELNS1_11target_archE908ELNS1_3gpuE7ELNS1_3repE0EEENS1_30default_config_static_selectorELNS0_4arch9wavefront6targetE1EEEvSY_ ; -- Begin function _ZN7rocprim17ROCPRIM_400000_NS6detail17trampoline_kernelINS0_13select_configILj256ELj13ELNS0_17block_load_methodE3ELS4_3ELS4_3ELNS0_20block_scan_algorithmE0ELj4294967295EEENS1_25partition_config_selectorILNS1_17partition_subalgoE3EjNS0_10empty_typeEbEEZZNS1_14partition_implILS8_3ELb0ES6_jNS0_17counting_iteratorIjlEEPS9_SE_NS0_5tupleIJPjSE_EEENSF_IJSE_SE_EEES9_SG_JZNS1_25segmented_radix_sort_implINS0_14default_configELb1EPKbPbPKlPlN2at6native12_GLOBAL__N_18offset_tEEE10hipError_tPvRmT1_PNSt15iterator_traitsISY_E10value_typeET2_T3_PNSZ_IS14_E10value_typeET4_jRbjT5_S1A_jjP12ihipStream_tbEUljE_EEESV_SW_SX_S14_S18_S1A_T6_T7_T9_mT8_S1C_bDpT10_ENKUlT_T0_E_clISt17integral_constantIbLb1EES1P_EEDaS1K_S1L_EUlS1K_E_NS1_11comp_targetILNS1_3genE3ELNS1_11target_archE908ELNS1_3gpuE7ELNS1_3repE0EEENS1_30default_config_static_selectorELNS0_4arch9wavefront6targetE1EEEvSY_
	.p2align	8
	.type	_ZN7rocprim17ROCPRIM_400000_NS6detail17trampoline_kernelINS0_13select_configILj256ELj13ELNS0_17block_load_methodE3ELS4_3ELS4_3ELNS0_20block_scan_algorithmE0ELj4294967295EEENS1_25partition_config_selectorILNS1_17partition_subalgoE3EjNS0_10empty_typeEbEEZZNS1_14partition_implILS8_3ELb0ES6_jNS0_17counting_iteratorIjlEEPS9_SE_NS0_5tupleIJPjSE_EEENSF_IJSE_SE_EEES9_SG_JZNS1_25segmented_radix_sort_implINS0_14default_configELb1EPKbPbPKlPlN2at6native12_GLOBAL__N_18offset_tEEE10hipError_tPvRmT1_PNSt15iterator_traitsISY_E10value_typeET2_T3_PNSZ_IS14_E10value_typeET4_jRbjT5_S1A_jjP12ihipStream_tbEUljE_EEESV_SW_SX_S14_S18_S1A_T6_T7_T9_mT8_S1C_bDpT10_ENKUlT_T0_E_clISt17integral_constantIbLb1EES1P_EEDaS1K_S1L_EUlS1K_E_NS1_11comp_targetILNS1_3genE3ELNS1_11target_archE908ELNS1_3gpuE7ELNS1_3repE0EEENS1_30default_config_static_selectorELNS0_4arch9wavefront6targetE1EEEvSY_,@function
_ZN7rocprim17ROCPRIM_400000_NS6detail17trampoline_kernelINS0_13select_configILj256ELj13ELNS0_17block_load_methodE3ELS4_3ELS4_3ELNS0_20block_scan_algorithmE0ELj4294967295EEENS1_25partition_config_selectorILNS1_17partition_subalgoE3EjNS0_10empty_typeEbEEZZNS1_14partition_implILS8_3ELb0ES6_jNS0_17counting_iteratorIjlEEPS9_SE_NS0_5tupleIJPjSE_EEENSF_IJSE_SE_EEES9_SG_JZNS1_25segmented_radix_sort_implINS0_14default_configELb1EPKbPbPKlPlN2at6native12_GLOBAL__N_18offset_tEEE10hipError_tPvRmT1_PNSt15iterator_traitsISY_E10value_typeET2_T3_PNSZ_IS14_E10value_typeET4_jRbjT5_S1A_jjP12ihipStream_tbEUljE_EEESV_SW_SX_S14_S18_S1A_T6_T7_T9_mT8_S1C_bDpT10_ENKUlT_T0_E_clISt17integral_constantIbLb1EES1P_EEDaS1K_S1L_EUlS1K_E_NS1_11comp_targetILNS1_3genE3ELNS1_11target_archE908ELNS1_3gpuE7ELNS1_3repE0EEENS1_30default_config_static_selectorELNS0_4arch9wavefront6targetE1EEEvSY_: ; @_ZN7rocprim17ROCPRIM_400000_NS6detail17trampoline_kernelINS0_13select_configILj256ELj13ELNS0_17block_load_methodE3ELS4_3ELS4_3ELNS0_20block_scan_algorithmE0ELj4294967295EEENS1_25partition_config_selectorILNS1_17partition_subalgoE3EjNS0_10empty_typeEbEEZZNS1_14partition_implILS8_3ELb0ES6_jNS0_17counting_iteratorIjlEEPS9_SE_NS0_5tupleIJPjSE_EEENSF_IJSE_SE_EEES9_SG_JZNS1_25segmented_radix_sort_implINS0_14default_configELb1EPKbPbPKlPlN2at6native12_GLOBAL__N_18offset_tEEE10hipError_tPvRmT1_PNSt15iterator_traitsISY_E10value_typeET2_T3_PNSZ_IS14_E10value_typeET4_jRbjT5_S1A_jjP12ihipStream_tbEUljE_EEESV_SW_SX_S14_S18_S1A_T6_T7_T9_mT8_S1C_bDpT10_ENKUlT_T0_E_clISt17integral_constantIbLb1EES1P_EEDaS1K_S1L_EUlS1K_E_NS1_11comp_targetILNS1_3genE3ELNS1_11target_archE908ELNS1_3gpuE7ELNS1_3repE0EEENS1_30default_config_static_selectorELNS0_4arch9wavefront6targetE1EEEvSY_
; %bb.0:
	.section	.rodata,"a",@progbits
	.p2align	6, 0x0
	.amdhsa_kernel _ZN7rocprim17ROCPRIM_400000_NS6detail17trampoline_kernelINS0_13select_configILj256ELj13ELNS0_17block_load_methodE3ELS4_3ELS4_3ELNS0_20block_scan_algorithmE0ELj4294967295EEENS1_25partition_config_selectorILNS1_17partition_subalgoE3EjNS0_10empty_typeEbEEZZNS1_14partition_implILS8_3ELb0ES6_jNS0_17counting_iteratorIjlEEPS9_SE_NS0_5tupleIJPjSE_EEENSF_IJSE_SE_EEES9_SG_JZNS1_25segmented_radix_sort_implINS0_14default_configELb1EPKbPbPKlPlN2at6native12_GLOBAL__N_18offset_tEEE10hipError_tPvRmT1_PNSt15iterator_traitsISY_E10value_typeET2_T3_PNSZ_IS14_E10value_typeET4_jRbjT5_S1A_jjP12ihipStream_tbEUljE_EEESV_SW_SX_S14_S18_S1A_T6_T7_T9_mT8_S1C_bDpT10_ENKUlT_T0_E_clISt17integral_constantIbLb1EES1P_EEDaS1K_S1L_EUlS1K_E_NS1_11comp_targetILNS1_3genE3ELNS1_11target_archE908ELNS1_3gpuE7ELNS1_3repE0EEENS1_30default_config_static_selectorELNS0_4arch9wavefront6targetE1EEEvSY_
		.amdhsa_group_segment_fixed_size 0
		.amdhsa_private_segment_fixed_size 0
		.amdhsa_kernarg_size 152
		.amdhsa_user_sgpr_count 6
		.amdhsa_user_sgpr_private_segment_buffer 1
		.amdhsa_user_sgpr_dispatch_ptr 0
		.amdhsa_user_sgpr_queue_ptr 0
		.amdhsa_user_sgpr_kernarg_segment_ptr 1
		.amdhsa_user_sgpr_dispatch_id 0
		.amdhsa_user_sgpr_flat_scratch_init 0
		.amdhsa_user_sgpr_kernarg_preload_length 0
		.amdhsa_user_sgpr_kernarg_preload_offset 0
		.amdhsa_user_sgpr_private_segment_size 0
		.amdhsa_uses_dynamic_stack 0
		.amdhsa_system_sgpr_private_segment_wavefront_offset 0
		.amdhsa_system_sgpr_workgroup_id_x 1
		.amdhsa_system_sgpr_workgroup_id_y 0
		.amdhsa_system_sgpr_workgroup_id_z 0
		.amdhsa_system_sgpr_workgroup_info 0
		.amdhsa_system_vgpr_workitem_id 0
		.amdhsa_next_free_vgpr 1
		.amdhsa_next_free_sgpr 0
		.amdhsa_accum_offset 4
		.amdhsa_reserve_vcc 0
		.amdhsa_reserve_flat_scratch 0
		.amdhsa_float_round_mode_32 0
		.amdhsa_float_round_mode_16_64 0
		.amdhsa_float_denorm_mode_32 3
		.amdhsa_float_denorm_mode_16_64 3
		.amdhsa_dx10_clamp 1
		.amdhsa_ieee_mode 1
		.amdhsa_fp16_overflow 0
		.amdhsa_tg_split 0
		.amdhsa_exception_fp_ieee_invalid_op 0
		.amdhsa_exception_fp_denorm_src 0
		.amdhsa_exception_fp_ieee_div_zero 0
		.amdhsa_exception_fp_ieee_overflow 0
		.amdhsa_exception_fp_ieee_underflow 0
		.amdhsa_exception_fp_ieee_inexact 0
		.amdhsa_exception_int_div_zero 0
	.end_amdhsa_kernel
	.section	.text._ZN7rocprim17ROCPRIM_400000_NS6detail17trampoline_kernelINS0_13select_configILj256ELj13ELNS0_17block_load_methodE3ELS4_3ELS4_3ELNS0_20block_scan_algorithmE0ELj4294967295EEENS1_25partition_config_selectorILNS1_17partition_subalgoE3EjNS0_10empty_typeEbEEZZNS1_14partition_implILS8_3ELb0ES6_jNS0_17counting_iteratorIjlEEPS9_SE_NS0_5tupleIJPjSE_EEENSF_IJSE_SE_EEES9_SG_JZNS1_25segmented_radix_sort_implINS0_14default_configELb1EPKbPbPKlPlN2at6native12_GLOBAL__N_18offset_tEEE10hipError_tPvRmT1_PNSt15iterator_traitsISY_E10value_typeET2_T3_PNSZ_IS14_E10value_typeET4_jRbjT5_S1A_jjP12ihipStream_tbEUljE_EEESV_SW_SX_S14_S18_S1A_T6_T7_T9_mT8_S1C_bDpT10_ENKUlT_T0_E_clISt17integral_constantIbLb1EES1P_EEDaS1K_S1L_EUlS1K_E_NS1_11comp_targetILNS1_3genE3ELNS1_11target_archE908ELNS1_3gpuE7ELNS1_3repE0EEENS1_30default_config_static_selectorELNS0_4arch9wavefront6targetE1EEEvSY_,"axG",@progbits,_ZN7rocprim17ROCPRIM_400000_NS6detail17trampoline_kernelINS0_13select_configILj256ELj13ELNS0_17block_load_methodE3ELS4_3ELS4_3ELNS0_20block_scan_algorithmE0ELj4294967295EEENS1_25partition_config_selectorILNS1_17partition_subalgoE3EjNS0_10empty_typeEbEEZZNS1_14partition_implILS8_3ELb0ES6_jNS0_17counting_iteratorIjlEEPS9_SE_NS0_5tupleIJPjSE_EEENSF_IJSE_SE_EEES9_SG_JZNS1_25segmented_radix_sort_implINS0_14default_configELb1EPKbPbPKlPlN2at6native12_GLOBAL__N_18offset_tEEE10hipError_tPvRmT1_PNSt15iterator_traitsISY_E10value_typeET2_T3_PNSZ_IS14_E10value_typeET4_jRbjT5_S1A_jjP12ihipStream_tbEUljE_EEESV_SW_SX_S14_S18_S1A_T6_T7_T9_mT8_S1C_bDpT10_ENKUlT_T0_E_clISt17integral_constantIbLb1EES1P_EEDaS1K_S1L_EUlS1K_E_NS1_11comp_targetILNS1_3genE3ELNS1_11target_archE908ELNS1_3gpuE7ELNS1_3repE0EEENS1_30default_config_static_selectorELNS0_4arch9wavefront6targetE1EEEvSY_,comdat
.Lfunc_end1509:
	.size	_ZN7rocprim17ROCPRIM_400000_NS6detail17trampoline_kernelINS0_13select_configILj256ELj13ELNS0_17block_load_methodE3ELS4_3ELS4_3ELNS0_20block_scan_algorithmE0ELj4294967295EEENS1_25partition_config_selectorILNS1_17partition_subalgoE3EjNS0_10empty_typeEbEEZZNS1_14partition_implILS8_3ELb0ES6_jNS0_17counting_iteratorIjlEEPS9_SE_NS0_5tupleIJPjSE_EEENSF_IJSE_SE_EEES9_SG_JZNS1_25segmented_radix_sort_implINS0_14default_configELb1EPKbPbPKlPlN2at6native12_GLOBAL__N_18offset_tEEE10hipError_tPvRmT1_PNSt15iterator_traitsISY_E10value_typeET2_T3_PNSZ_IS14_E10value_typeET4_jRbjT5_S1A_jjP12ihipStream_tbEUljE_EEESV_SW_SX_S14_S18_S1A_T6_T7_T9_mT8_S1C_bDpT10_ENKUlT_T0_E_clISt17integral_constantIbLb1EES1P_EEDaS1K_S1L_EUlS1K_E_NS1_11comp_targetILNS1_3genE3ELNS1_11target_archE908ELNS1_3gpuE7ELNS1_3repE0EEENS1_30default_config_static_selectorELNS0_4arch9wavefront6targetE1EEEvSY_, .Lfunc_end1509-_ZN7rocprim17ROCPRIM_400000_NS6detail17trampoline_kernelINS0_13select_configILj256ELj13ELNS0_17block_load_methodE3ELS4_3ELS4_3ELNS0_20block_scan_algorithmE0ELj4294967295EEENS1_25partition_config_selectorILNS1_17partition_subalgoE3EjNS0_10empty_typeEbEEZZNS1_14partition_implILS8_3ELb0ES6_jNS0_17counting_iteratorIjlEEPS9_SE_NS0_5tupleIJPjSE_EEENSF_IJSE_SE_EEES9_SG_JZNS1_25segmented_radix_sort_implINS0_14default_configELb1EPKbPbPKlPlN2at6native12_GLOBAL__N_18offset_tEEE10hipError_tPvRmT1_PNSt15iterator_traitsISY_E10value_typeET2_T3_PNSZ_IS14_E10value_typeET4_jRbjT5_S1A_jjP12ihipStream_tbEUljE_EEESV_SW_SX_S14_S18_S1A_T6_T7_T9_mT8_S1C_bDpT10_ENKUlT_T0_E_clISt17integral_constantIbLb1EES1P_EEDaS1K_S1L_EUlS1K_E_NS1_11comp_targetILNS1_3genE3ELNS1_11target_archE908ELNS1_3gpuE7ELNS1_3repE0EEENS1_30default_config_static_selectorELNS0_4arch9wavefront6targetE1EEEvSY_
                                        ; -- End function
	.section	.AMDGPU.csdata,"",@progbits
; Kernel info:
; codeLenInByte = 0
; NumSgprs: 4
; NumVgprs: 0
; NumAgprs: 0
; TotalNumVgprs: 0
; ScratchSize: 0
; MemoryBound: 0
; FloatMode: 240
; IeeeMode: 1
; LDSByteSize: 0 bytes/workgroup (compile time only)
; SGPRBlocks: 0
; VGPRBlocks: 0
; NumSGPRsForWavesPerEU: 4
; NumVGPRsForWavesPerEU: 1
; AccumOffset: 4
; Occupancy: 8
; WaveLimiterHint : 0
; COMPUTE_PGM_RSRC2:SCRATCH_EN: 0
; COMPUTE_PGM_RSRC2:USER_SGPR: 6
; COMPUTE_PGM_RSRC2:TRAP_HANDLER: 0
; COMPUTE_PGM_RSRC2:TGID_X_EN: 1
; COMPUTE_PGM_RSRC2:TGID_Y_EN: 0
; COMPUTE_PGM_RSRC2:TGID_Z_EN: 0
; COMPUTE_PGM_RSRC2:TIDIG_COMP_CNT: 0
; COMPUTE_PGM_RSRC3_GFX90A:ACCUM_OFFSET: 0
; COMPUTE_PGM_RSRC3_GFX90A:TG_SPLIT: 0
	.section	.text._ZN7rocprim17ROCPRIM_400000_NS6detail17trampoline_kernelINS0_13select_configILj256ELj13ELNS0_17block_load_methodE3ELS4_3ELS4_3ELNS0_20block_scan_algorithmE0ELj4294967295EEENS1_25partition_config_selectorILNS1_17partition_subalgoE3EjNS0_10empty_typeEbEEZZNS1_14partition_implILS8_3ELb0ES6_jNS0_17counting_iteratorIjlEEPS9_SE_NS0_5tupleIJPjSE_EEENSF_IJSE_SE_EEES9_SG_JZNS1_25segmented_radix_sort_implINS0_14default_configELb1EPKbPbPKlPlN2at6native12_GLOBAL__N_18offset_tEEE10hipError_tPvRmT1_PNSt15iterator_traitsISY_E10value_typeET2_T3_PNSZ_IS14_E10value_typeET4_jRbjT5_S1A_jjP12ihipStream_tbEUljE_EEESV_SW_SX_S14_S18_S1A_T6_T7_T9_mT8_S1C_bDpT10_ENKUlT_T0_E_clISt17integral_constantIbLb1EES1P_EEDaS1K_S1L_EUlS1K_E_NS1_11comp_targetILNS1_3genE2ELNS1_11target_archE906ELNS1_3gpuE6ELNS1_3repE0EEENS1_30default_config_static_selectorELNS0_4arch9wavefront6targetE1EEEvSY_,"axG",@progbits,_ZN7rocprim17ROCPRIM_400000_NS6detail17trampoline_kernelINS0_13select_configILj256ELj13ELNS0_17block_load_methodE3ELS4_3ELS4_3ELNS0_20block_scan_algorithmE0ELj4294967295EEENS1_25partition_config_selectorILNS1_17partition_subalgoE3EjNS0_10empty_typeEbEEZZNS1_14partition_implILS8_3ELb0ES6_jNS0_17counting_iteratorIjlEEPS9_SE_NS0_5tupleIJPjSE_EEENSF_IJSE_SE_EEES9_SG_JZNS1_25segmented_radix_sort_implINS0_14default_configELb1EPKbPbPKlPlN2at6native12_GLOBAL__N_18offset_tEEE10hipError_tPvRmT1_PNSt15iterator_traitsISY_E10value_typeET2_T3_PNSZ_IS14_E10value_typeET4_jRbjT5_S1A_jjP12ihipStream_tbEUljE_EEESV_SW_SX_S14_S18_S1A_T6_T7_T9_mT8_S1C_bDpT10_ENKUlT_T0_E_clISt17integral_constantIbLb1EES1P_EEDaS1K_S1L_EUlS1K_E_NS1_11comp_targetILNS1_3genE2ELNS1_11target_archE906ELNS1_3gpuE6ELNS1_3repE0EEENS1_30default_config_static_selectorELNS0_4arch9wavefront6targetE1EEEvSY_,comdat
	.globl	_ZN7rocprim17ROCPRIM_400000_NS6detail17trampoline_kernelINS0_13select_configILj256ELj13ELNS0_17block_load_methodE3ELS4_3ELS4_3ELNS0_20block_scan_algorithmE0ELj4294967295EEENS1_25partition_config_selectorILNS1_17partition_subalgoE3EjNS0_10empty_typeEbEEZZNS1_14partition_implILS8_3ELb0ES6_jNS0_17counting_iteratorIjlEEPS9_SE_NS0_5tupleIJPjSE_EEENSF_IJSE_SE_EEES9_SG_JZNS1_25segmented_radix_sort_implINS0_14default_configELb1EPKbPbPKlPlN2at6native12_GLOBAL__N_18offset_tEEE10hipError_tPvRmT1_PNSt15iterator_traitsISY_E10value_typeET2_T3_PNSZ_IS14_E10value_typeET4_jRbjT5_S1A_jjP12ihipStream_tbEUljE_EEESV_SW_SX_S14_S18_S1A_T6_T7_T9_mT8_S1C_bDpT10_ENKUlT_T0_E_clISt17integral_constantIbLb1EES1P_EEDaS1K_S1L_EUlS1K_E_NS1_11comp_targetILNS1_3genE2ELNS1_11target_archE906ELNS1_3gpuE6ELNS1_3repE0EEENS1_30default_config_static_selectorELNS0_4arch9wavefront6targetE1EEEvSY_ ; -- Begin function _ZN7rocprim17ROCPRIM_400000_NS6detail17trampoline_kernelINS0_13select_configILj256ELj13ELNS0_17block_load_methodE3ELS4_3ELS4_3ELNS0_20block_scan_algorithmE0ELj4294967295EEENS1_25partition_config_selectorILNS1_17partition_subalgoE3EjNS0_10empty_typeEbEEZZNS1_14partition_implILS8_3ELb0ES6_jNS0_17counting_iteratorIjlEEPS9_SE_NS0_5tupleIJPjSE_EEENSF_IJSE_SE_EEES9_SG_JZNS1_25segmented_radix_sort_implINS0_14default_configELb1EPKbPbPKlPlN2at6native12_GLOBAL__N_18offset_tEEE10hipError_tPvRmT1_PNSt15iterator_traitsISY_E10value_typeET2_T3_PNSZ_IS14_E10value_typeET4_jRbjT5_S1A_jjP12ihipStream_tbEUljE_EEESV_SW_SX_S14_S18_S1A_T6_T7_T9_mT8_S1C_bDpT10_ENKUlT_T0_E_clISt17integral_constantIbLb1EES1P_EEDaS1K_S1L_EUlS1K_E_NS1_11comp_targetILNS1_3genE2ELNS1_11target_archE906ELNS1_3gpuE6ELNS1_3repE0EEENS1_30default_config_static_selectorELNS0_4arch9wavefront6targetE1EEEvSY_
	.p2align	8
	.type	_ZN7rocprim17ROCPRIM_400000_NS6detail17trampoline_kernelINS0_13select_configILj256ELj13ELNS0_17block_load_methodE3ELS4_3ELS4_3ELNS0_20block_scan_algorithmE0ELj4294967295EEENS1_25partition_config_selectorILNS1_17partition_subalgoE3EjNS0_10empty_typeEbEEZZNS1_14partition_implILS8_3ELb0ES6_jNS0_17counting_iteratorIjlEEPS9_SE_NS0_5tupleIJPjSE_EEENSF_IJSE_SE_EEES9_SG_JZNS1_25segmented_radix_sort_implINS0_14default_configELb1EPKbPbPKlPlN2at6native12_GLOBAL__N_18offset_tEEE10hipError_tPvRmT1_PNSt15iterator_traitsISY_E10value_typeET2_T3_PNSZ_IS14_E10value_typeET4_jRbjT5_S1A_jjP12ihipStream_tbEUljE_EEESV_SW_SX_S14_S18_S1A_T6_T7_T9_mT8_S1C_bDpT10_ENKUlT_T0_E_clISt17integral_constantIbLb1EES1P_EEDaS1K_S1L_EUlS1K_E_NS1_11comp_targetILNS1_3genE2ELNS1_11target_archE906ELNS1_3gpuE6ELNS1_3repE0EEENS1_30default_config_static_selectorELNS0_4arch9wavefront6targetE1EEEvSY_,@function
_ZN7rocprim17ROCPRIM_400000_NS6detail17trampoline_kernelINS0_13select_configILj256ELj13ELNS0_17block_load_methodE3ELS4_3ELS4_3ELNS0_20block_scan_algorithmE0ELj4294967295EEENS1_25partition_config_selectorILNS1_17partition_subalgoE3EjNS0_10empty_typeEbEEZZNS1_14partition_implILS8_3ELb0ES6_jNS0_17counting_iteratorIjlEEPS9_SE_NS0_5tupleIJPjSE_EEENSF_IJSE_SE_EEES9_SG_JZNS1_25segmented_radix_sort_implINS0_14default_configELb1EPKbPbPKlPlN2at6native12_GLOBAL__N_18offset_tEEE10hipError_tPvRmT1_PNSt15iterator_traitsISY_E10value_typeET2_T3_PNSZ_IS14_E10value_typeET4_jRbjT5_S1A_jjP12ihipStream_tbEUljE_EEESV_SW_SX_S14_S18_S1A_T6_T7_T9_mT8_S1C_bDpT10_ENKUlT_T0_E_clISt17integral_constantIbLb1EES1P_EEDaS1K_S1L_EUlS1K_E_NS1_11comp_targetILNS1_3genE2ELNS1_11target_archE906ELNS1_3gpuE6ELNS1_3repE0EEENS1_30default_config_static_selectorELNS0_4arch9wavefront6targetE1EEEvSY_: ; @_ZN7rocprim17ROCPRIM_400000_NS6detail17trampoline_kernelINS0_13select_configILj256ELj13ELNS0_17block_load_methodE3ELS4_3ELS4_3ELNS0_20block_scan_algorithmE0ELj4294967295EEENS1_25partition_config_selectorILNS1_17partition_subalgoE3EjNS0_10empty_typeEbEEZZNS1_14partition_implILS8_3ELb0ES6_jNS0_17counting_iteratorIjlEEPS9_SE_NS0_5tupleIJPjSE_EEENSF_IJSE_SE_EEES9_SG_JZNS1_25segmented_radix_sort_implINS0_14default_configELb1EPKbPbPKlPlN2at6native12_GLOBAL__N_18offset_tEEE10hipError_tPvRmT1_PNSt15iterator_traitsISY_E10value_typeET2_T3_PNSZ_IS14_E10value_typeET4_jRbjT5_S1A_jjP12ihipStream_tbEUljE_EEESV_SW_SX_S14_S18_S1A_T6_T7_T9_mT8_S1C_bDpT10_ENKUlT_T0_E_clISt17integral_constantIbLb1EES1P_EEDaS1K_S1L_EUlS1K_E_NS1_11comp_targetILNS1_3genE2ELNS1_11target_archE906ELNS1_3gpuE6ELNS1_3repE0EEENS1_30default_config_static_selectorELNS0_4arch9wavefront6targetE1EEEvSY_
; %bb.0:
	.section	.rodata,"a",@progbits
	.p2align	6, 0x0
	.amdhsa_kernel _ZN7rocprim17ROCPRIM_400000_NS6detail17trampoline_kernelINS0_13select_configILj256ELj13ELNS0_17block_load_methodE3ELS4_3ELS4_3ELNS0_20block_scan_algorithmE0ELj4294967295EEENS1_25partition_config_selectorILNS1_17partition_subalgoE3EjNS0_10empty_typeEbEEZZNS1_14partition_implILS8_3ELb0ES6_jNS0_17counting_iteratorIjlEEPS9_SE_NS0_5tupleIJPjSE_EEENSF_IJSE_SE_EEES9_SG_JZNS1_25segmented_radix_sort_implINS0_14default_configELb1EPKbPbPKlPlN2at6native12_GLOBAL__N_18offset_tEEE10hipError_tPvRmT1_PNSt15iterator_traitsISY_E10value_typeET2_T3_PNSZ_IS14_E10value_typeET4_jRbjT5_S1A_jjP12ihipStream_tbEUljE_EEESV_SW_SX_S14_S18_S1A_T6_T7_T9_mT8_S1C_bDpT10_ENKUlT_T0_E_clISt17integral_constantIbLb1EES1P_EEDaS1K_S1L_EUlS1K_E_NS1_11comp_targetILNS1_3genE2ELNS1_11target_archE906ELNS1_3gpuE6ELNS1_3repE0EEENS1_30default_config_static_selectorELNS0_4arch9wavefront6targetE1EEEvSY_
		.amdhsa_group_segment_fixed_size 0
		.amdhsa_private_segment_fixed_size 0
		.amdhsa_kernarg_size 152
		.amdhsa_user_sgpr_count 6
		.amdhsa_user_sgpr_private_segment_buffer 1
		.amdhsa_user_sgpr_dispatch_ptr 0
		.amdhsa_user_sgpr_queue_ptr 0
		.amdhsa_user_sgpr_kernarg_segment_ptr 1
		.amdhsa_user_sgpr_dispatch_id 0
		.amdhsa_user_sgpr_flat_scratch_init 0
		.amdhsa_user_sgpr_kernarg_preload_length 0
		.amdhsa_user_sgpr_kernarg_preload_offset 0
		.amdhsa_user_sgpr_private_segment_size 0
		.amdhsa_uses_dynamic_stack 0
		.amdhsa_system_sgpr_private_segment_wavefront_offset 0
		.amdhsa_system_sgpr_workgroup_id_x 1
		.amdhsa_system_sgpr_workgroup_id_y 0
		.amdhsa_system_sgpr_workgroup_id_z 0
		.amdhsa_system_sgpr_workgroup_info 0
		.amdhsa_system_vgpr_workitem_id 0
		.amdhsa_next_free_vgpr 1
		.amdhsa_next_free_sgpr 0
		.amdhsa_accum_offset 4
		.amdhsa_reserve_vcc 0
		.amdhsa_reserve_flat_scratch 0
		.amdhsa_float_round_mode_32 0
		.amdhsa_float_round_mode_16_64 0
		.amdhsa_float_denorm_mode_32 3
		.amdhsa_float_denorm_mode_16_64 3
		.amdhsa_dx10_clamp 1
		.amdhsa_ieee_mode 1
		.amdhsa_fp16_overflow 0
		.amdhsa_tg_split 0
		.amdhsa_exception_fp_ieee_invalid_op 0
		.amdhsa_exception_fp_denorm_src 0
		.amdhsa_exception_fp_ieee_div_zero 0
		.amdhsa_exception_fp_ieee_overflow 0
		.amdhsa_exception_fp_ieee_underflow 0
		.amdhsa_exception_fp_ieee_inexact 0
		.amdhsa_exception_int_div_zero 0
	.end_amdhsa_kernel
	.section	.text._ZN7rocprim17ROCPRIM_400000_NS6detail17trampoline_kernelINS0_13select_configILj256ELj13ELNS0_17block_load_methodE3ELS4_3ELS4_3ELNS0_20block_scan_algorithmE0ELj4294967295EEENS1_25partition_config_selectorILNS1_17partition_subalgoE3EjNS0_10empty_typeEbEEZZNS1_14partition_implILS8_3ELb0ES6_jNS0_17counting_iteratorIjlEEPS9_SE_NS0_5tupleIJPjSE_EEENSF_IJSE_SE_EEES9_SG_JZNS1_25segmented_radix_sort_implINS0_14default_configELb1EPKbPbPKlPlN2at6native12_GLOBAL__N_18offset_tEEE10hipError_tPvRmT1_PNSt15iterator_traitsISY_E10value_typeET2_T3_PNSZ_IS14_E10value_typeET4_jRbjT5_S1A_jjP12ihipStream_tbEUljE_EEESV_SW_SX_S14_S18_S1A_T6_T7_T9_mT8_S1C_bDpT10_ENKUlT_T0_E_clISt17integral_constantIbLb1EES1P_EEDaS1K_S1L_EUlS1K_E_NS1_11comp_targetILNS1_3genE2ELNS1_11target_archE906ELNS1_3gpuE6ELNS1_3repE0EEENS1_30default_config_static_selectorELNS0_4arch9wavefront6targetE1EEEvSY_,"axG",@progbits,_ZN7rocprim17ROCPRIM_400000_NS6detail17trampoline_kernelINS0_13select_configILj256ELj13ELNS0_17block_load_methodE3ELS4_3ELS4_3ELNS0_20block_scan_algorithmE0ELj4294967295EEENS1_25partition_config_selectorILNS1_17partition_subalgoE3EjNS0_10empty_typeEbEEZZNS1_14partition_implILS8_3ELb0ES6_jNS0_17counting_iteratorIjlEEPS9_SE_NS0_5tupleIJPjSE_EEENSF_IJSE_SE_EEES9_SG_JZNS1_25segmented_radix_sort_implINS0_14default_configELb1EPKbPbPKlPlN2at6native12_GLOBAL__N_18offset_tEEE10hipError_tPvRmT1_PNSt15iterator_traitsISY_E10value_typeET2_T3_PNSZ_IS14_E10value_typeET4_jRbjT5_S1A_jjP12ihipStream_tbEUljE_EEESV_SW_SX_S14_S18_S1A_T6_T7_T9_mT8_S1C_bDpT10_ENKUlT_T0_E_clISt17integral_constantIbLb1EES1P_EEDaS1K_S1L_EUlS1K_E_NS1_11comp_targetILNS1_3genE2ELNS1_11target_archE906ELNS1_3gpuE6ELNS1_3repE0EEENS1_30default_config_static_selectorELNS0_4arch9wavefront6targetE1EEEvSY_,comdat
.Lfunc_end1510:
	.size	_ZN7rocprim17ROCPRIM_400000_NS6detail17trampoline_kernelINS0_13select_configILj256ELj13ELNS0_17block_load_methodE3ELS4_3ELS4_3ELNS0_20block_scan_algorithmE0ELj4294967295EEENS1_25partition_config_selectorILNS1_17partition_subalgoE3EjNS0_10empty_typeEbEEZZNS1_14partition_implILS8_3ELb0ES6_jNS0_17counting_iteratorIjlEEPS9_SE_NS0_5tupleIJPjSE_EEENSF_IJSE_SE_EEES9_SG_JZNS1_25segmented_radix_sort_implINS0_14default_configELb1EPKbPbPKlPlN2at6native12_GLOBAL__N_18offset_tEEE10hipError_tPvRmT1_PNSt15iterator_traitsISY_E10value_typeET2_T3_PNSZ_IS14_E10value_typeET4_jRbjT5_S1A_jjP12ihipStream_tbEUljE_EEESV_SW_SX_S14_S18_S1A_T6_T7_T9_mT8_S1C_bDpT10_ENKUlT_T0_E_clISt17integral_constantIbLb1EES1P_EEDaS1K_S1L_EUlS1K_E_NS1_11comp_targetILNS1_3genE2ELNS1_11target_archE906ELNS1_3gpuE6ELNS1_3repE0EEENS1_30default_config_static_selectorELNS0_4arch9wavefront6targetE1EEEvSY_, .Lfunc_end1510-_ZN7rocprim17ROCPRIM_400000_NS6detail17trampoline_kernelINS0_13select_configILj256ELj13ELNS0_17block_load_methodE3ELS4_3ELS4_3ELNS0_20block_scan_algorithmE0ELj4294967295EEENS1_25partition_config_selectorILNS1_17partition_subalgoE3EjNS0_10empty_typeEbEEZZNS1_14partition_implILS8_3ELb0ES6_jNS0_17counting_iteratorIjlEEPS9_SE_NS0_5tupleIJPjSE_EEENSF_IJSE_SE_EEES9_SG_JZNS1_25segmented_radix_sort_implINS0_14default_configELb1EPKbPbPKlPlN2at6native12_GLOBAL__N_18offset_tEEE10hipError_tPvRmT1_PNSt15iterator_traitsISY_E10value_typeET2_T3_PNSZ_IS14_E10value_typeET4_jRbjT5_S1A_jjP12ihipStream_tbEUljE_EEESV_SW_SX_S14_S18_S1A_T6_T7_T9_mT8_S1C_bDpT10_ENKUlT_T0_E_clISt17integral_constantIbLb1EES1P_EEDaS1K_S1L_EUlS1K_E_NS1_11comp_targetILNS1_3genE2ELNS1_11target_archE906ELNS1_3gpuE6ELNS1_3repE0EEENS1_30default_config_static_selectorELNS0_4arch9wavefront6targetE1EEEvSY_
                                        ; -- End function
	.section	.AMDGPU.csdata,"",@progbits
; Kernel info:
; codeLenInByte = 0
; NumSgprs: 4
; NumVgprs: 0
; NumAgprs: 0
; TotalNumVgprs: 0
; ScratchSize: 0
; MemoryBound: 0
; FloatMode: 240
; IeeeMode: 1
; LDSByteSize: 0 bytes/workgroup (compile time only)
; SGPRBlocks: 0
; VGPRBlocks: 0
; NumSGPRsForWavesPerEU: 4
; NumVGPRsForWavesPerEU: 1
; AccumOffset: 4
; Occupancy: 8
; WaveLimiterHint : 0
; COMPUTE_PGM_RSRC2:SCRATCH_EN: 0
; COMPUTE_PGM_RSRC2:USER_SGPR: 6
; COMPUTE_PGM_RSRC2:TRAP_HANDLER: 0
; COMPUTE_PGM_RSRC2:TGID_X_EN: 1
; COMPUTE_PGM_RSRC2:TGID_Y_EN: 0
; COMPUTE_PGM_RSRC2:TGID_Z_EN: 0
; COMPUTE_PGM_RSRC2:TIDIG_COMP_CNT: 0
; COMPUTE_PGM_RSRC3_GFX90A:ACCUM_OFFSET: 0
; COMPUTE_PGM_RSRC3_GFX90A:TG_SPLIT: 0
	.section	.text._ZN7rocprim17ROCPRIM_400000_NS6detail17trampoline_kernelINS0_13select_configILj256ELj13ELNS0_17block_load_methodE3ELS4_3ELS4_3ELNS0_20block_scan_algorithmE0ELj4294967295EEENS1_25partition_config_selectorILNS1_17partition_subalgoE3EjNS0_10empty_typeEbEEZZNS1_14partition_implILS8_3ELb0ES6_jNS0_17counting_iteratorIjlEEPS9_SE_NS0_5tupleIJPjSE_EEENSF_IJSE_SE_EEES9_SG_JZNS1_25segmented_radix_sort_implINS0_14default_configELb1EPKbPbPKlPlN2at6native12_GLOBAL__N_18offset_tEEE10hipError_tPvRmT1_PNSt15iterator_traitsISY_E10value_typeET2_T3_PNSZ_IS14_E10value_typeET4_jRbjT5_S1A_jjP12ihipStream_tbEUljE_EEESV_SW_SX_S14_S18_S1A_T6_T7_T9_mT8_S1C_bDpT10_ENKUlT_T0_E_clISt17integral_constantIbLb1EES1P_EEDaS1K_S1L_EUlS1K_E_NS1_11comp_targetILNS1_3genE10ELNS1_11target_archE1200ELNS1_3gpuE4ELNS1_3repE0EEENS1_30default_config_static_selectorELNS0_4arch9wavefront6targetE1EEEvSY_,"axG",@progbits,_ZN7rocprim17ROCPRIM_400000_NS6detail17trampoline_kernelINS0_13select_configILj256ELj13ELNS0_17block_load_methodE3ELS4_3ELS4_3ELNS0_20block_scan_algorithmE0ELj4294967295EEENS1_25partition_config_selectorILNS1_17partition_subalgoE3EjNS0_10empty_typeEbEEZZNS1_14partition_implILS8_3ELb0ES6_jNS0_17counting_iteratorIjlEEPS9_SE_NS0_5tupleIJPjSE_EEENSF_IJSE_SE_EEES9_SG_JZNS1_25segmented_radix_sort_implINS0_14default_configELb1EPKbPbPKlPlN2at6native12_GLOBAL__N_18offset_tEEE10hipError_tPvRmT1_PNSt15iterator_traitsISY_E10value_typeET2_T3_PNSZ_IS14_E10value_typeET4_jRbjT5_S1A_jjP12ihipStream_tbEUljE_EEESV_SW_SX_S14_S18_S1A_T6_T7_T9_mT8_S1C_bDpT10_ENKUlT_T0_E_clISt17integral_constantIbLb1EES1P_EEDaS1K_S1L_EUlS1K_E_NS1_11comp_targetILNS1_3genE10ELNS1_11target_archE1200ELNS1_3gpuE4ELNS1_3repE0EEENS1_30default_config_static_selectorELNS0_4arch9wavefront6targetE1EEEvSY_,comdat
	.globl	_ZN7rocprim17ROCPRIM_400000_NS6detail17trampoline_kernelINS0_13select_configILj256ELj13ELNS0_17block_load_methodE3ELS4_3ELS4_3ELNS0_20block_scan_algorithmE0ELj4294967295EEENS1_25partition_config_selectorILNS1_17partition_subalgoE3EjNS0_10empty_typeEbEEZZNS1_14partition_implILS8_3ELb0ES6_jNS0_17counting_iteratorIjlEEPS9_SE_NS0_5tupleIJPjSE_EEENSF_IJSE_SE_EEES9_SG_JZNS1_25segmented_radix_sort_implINS0_14default_configELb1EPKbPbPKlPlN2at6native12_GLOBAL__N_18offset_tEEE10hipError_tPvRmT1_PNSt15iterator_traitsISY_E10value_typeET2_T3_PNSZ_IS14_E10value_typeET4_jRbjT5_S1A_jjP12ihipStream_tbEUljE_EEESV_SW_SX_S14_S18_S1A_T6_T7_T9_mT8_S1C_bDpT10_ENKUlT_T0_E_clISt17integral_constantIbLb1EES1P_EEDaS1K_S1L_EUlS1K_E_NS1_11comp_targetILNS1_3genE10ELNS1_11target_archE1200ELNS1_3gpuE4ELNS1_3repE0EEENS1_30default_config_static_selectorELNS0_4arch9wavefront6targetE1EEEvSY_ ; -- Begin function _ZN7rocprim17ROCPRIM_400000_NS6detail17trampoline_kernelINS0_13select_configILj256ELj13ELNS0_17block_load_methodE3ELS4_3ELS4_3ELNS0_20block_scan_algorithmE0ELj4294967295EEENS1_25partition_config_selectorILNS1_17partition_subalgoE3EjNS0_10empty_typeEbEEZZNS1_14partition_implILS8_3ELb0ES6_jNS0_17counting_iteratorIjlEEPS9_SE_NS0_5tupleIJPjSE_EEENSF_IJSE_SE_EEES9_SG_JZNS1_25segmented_radix_sort_implINS0_14default_configELb1EPKbPbPKlPlN2at6native12_GLOBAL__N_18offset_tEEE10hipError_tPvRmT1_PNSt15iterator_traitsISY_E10value_typeET2_T3_PNSZ_IS14_E10value_typeET4_jRbjT5_S1A_jjP12ihipStream_tbEUljE_EEESV_SW_SX_S14_S18_S1A_T6_T7_T9_mT8_S1C_bDpT10_ENKUlT_T0_E_clISt17integral_constantIbLb1EES1P_EEDaS1K_S1L_EUlS1K_E_NS1_11comp_targetILNS1_3genE10ELNS1_11target_archE1200ELNS1_3gpuE4ELNS1_3repE0EEENS1_30default_config_static_selectorELNS0_4arch9wavefront6targetE1EEEvSY_
	.p2align	8
	.type	_ZN7rocprim17ROCPRIM_400000_NS6detail17trampoline_kernelINS0_13select_configILj256ELj13ELNS0_17block_load_methodE3ELS4_3ELS4_3ELNS0_20block_scan_algorithmE0ELj4294967295EEENS1_25partition_config_selectorILNS1_17partition_subalgoE3EjNS0_10empty_typeEbEEZZNS1_14partition_implILS8_3ELb0ES6_jNS0_17counting_iteratorIjlEEPS9_SE_NS0_5tupleIJPjSE_EEENSF_IJSE_SE_EEES9_SG_JZNS1_25segmented_radix_sort_implINS0_14default_configELb1EPKbPbPKlPlN2at6native12_GLOBAL__N_18offset_tEEE10hipError_tPvRmT1_PNSt15iterator_traitsISY_E10value_typeET2_T3_PNSZ_IS14_E10value_typeET4_jRbjT5_S1A_jjP12ihipStream_tbEUljE_EEESV_SW_SX_S14_S18_S1A_T6_T7_T9_mT8_S1C_bDpT10_ENKUlT_T0_E_clISt17integral_constantIbLb1EES1P_EEDaS1K_S1L_EUlS1K_E_NS1_11comp_targetILNS1_3genE10ELNS1_11target_archE1200ELNS1_3gpuE4ELNS1_3repE0EEENS1_30default_config_static_selectorELNS0_4arch9wavefront6targetE1EEEvSY_,@function
_ZN7rocprim17ROCPRIM_400000_NS6detail17trampoline_kernelINS0_13select_configILj256ELj13ELNS0_17block_load_methodE3ELS4_3ELS4_3ELNS0_20block_scan_algorithmE0ELj4294967295EEENS1_25partition_config_selectorILNS1_17partition_subalgoE3EjNS0_10empty_typeEbEEZZNS1_14partition_implILS8_3ELb0ES6_jNS0_17counting_iteratorIjlEEPS9_SE_NS0_5tupleIJPjSE_EEENSF_IJSE_SE_EEES9_SG_JZNS1_25segmented_radix_sort_implINS0_14default_configELb1EPKbPbPKlPlN2at6native12_GLOBAL__N_18offset_tEEE10hipError_tPvRmT1_PNSt15iterator_traitsISY_E10value_typeET2_T3_PNSZ_IS14_E10value_typeET4_jRbjT5_S1A_jjP12ihipStream_tbEUljE_EEESV_SW_SX_S14_S18_S1A_T6_T7_T9_mT8_S1C_bDpT10_ENKUlT_T0_E_clISt17integral_constantIbLb1EES1P_EEDaS1K_S1L_EUlS1K_E_NS1_11comp_targetILNS1_3genE10ELNS1_11target_archE1200ELNS1_3gpuE4ELNS1_3repE0EEENS1_30default_config_static_selectorELNS0_4arch9wavefront6targetE1EEEvSY_: ; @_ZN7rocprim17ROCPRIM_400000_NS6detail17trampoline_kernelINS0_13select_configILj256ELj13ELNS0_17block_load_methodE3ELS4_3ELS4_3ELNS0_20block_scan_algorithmE0ELj4294967295EEENS1_25partition_config_selectorILNS1_17partition_subalgoE3EjNS0_10empty_typeEbEEZZNS1_14partition_implILS8_3ELb0ES6_jNS0_17counting_iteratorIjlEEPS9_SE_NS0_5tupleIJPjSE_EEENSF_IJSE_SE_EEES9_SG_JZNS1_25segmented_radix_sort_implINS0_14default_configELb1EPKbPbPKlPlN2at6native12_GLOBAL__N_18offset_tEEE10hipError_tPvRmT1_PNSt15iterator_traitsISY_E10value_typeET2_T3_PNSZ_IS14_E10value_typeET4_jRbjT5_S1A_jjP12ihipStream_tbEUljE_EEESV_SW_SX_S14_S18_S1A_T6_T7_T9_mT8_S1C_bDpT10_ENKUlT_T0_E_clISt17integral_constantIbLb1EES1P_EEDaS1K_S1L_EUlS1K_E_NS1_11comp_targetILNS1_3genE10ELNS1_11target_archE1200ELNS1_3gpuE4ELNS1_3repE0EEENS1_30default_config_static_selectorELNS0_4arch9wavefront6targetE1EEEvSY_
; %bb.0:
	.section	.rodata,"a",@progbits
	.p2align	6, 0x0
	.amdhsa_kernel _ZN7rocprim17ROCPRIM_400000_NS6detail17trampoline_kernelINS0_13select_configILj256ELj13ELNS0_17block_load_methodE3ELS4_3ELS4_3ELNS0_20block_scan_algorithmE0ELj4294967295EEENS1_25partition_config_selectorILNS1_17partition_subalgoE3EjNS0_10empty_typeEbEEZZNS1_14partition_implILS8_3ELb0ES6_jNS0_17counting_iteratorIjlEEPS9_SE_NS0_5tupleIJPjSE_EEENSF_IJSE_SE_EEES9_SG_JZNS1_25segmented_radix_sort_implINS0_14default_configELb1EPKbPbPKlPlN2at6native12_GLOBAL__N_18offset_tEEE10hipError_tPvRmT1_PNSt15iterator_traitsISY_E10value_typeET2_T3_PNSZ_IS14_E10value_typeET4_jRbjT5_S1A_jjP12ihipStream_tbEUljE_EEESV_SW_SX_S14_S18_S1A_T6_T7_T9_mT8_S1C_bDpT10_ENKUlT_T0_E_clISt17integral_constantIbLb1EES1P_EEDaS1K_S1L_EUlS1K_E_NS1_11comp_targetILNS1_3genE10ELNS1_11target_archE1200ELNS1_3gpuE4ELNS1_3repE0EEENS1_30default_config_static_selectorELNS0_4arch9wavefront6targetE1EEEvSY_
		.amdhsa_group_segment_fixed_size 0
		.amdhsa_private_segment_fixed_size 0
		.amdhsa_kernarg_size 152
		.amdhsa_user_sgpr_count 6
		.amdhsa_user_sgpr_private_segment_buffer 1
		.amdhsa_user_sgpr_dispatch_ptr 0
		.amdhsa_user_sgpr_queue_ptr 0
		.amdhsa_user_sgpr_kernarg_segment_ptr 1
		.amdhsa_user_sgpr_dispatch_id 0
		.amdhsa_user_sgpr_flat_scratch_init 0
		.amdhsa_user_sgpr_kernarg_preload_length 0
		.amdhsa_user_sgpr_kernarg_preload_offset 0
		.amdhsa_user_sgpr_private_segment_size 0
		.amdhsa_uses_dynamic_stack 0
		.amdhsa_system_sgpr_private_segment_wavefront_offset 0
		.amdhsa_system_sgpr_workgroup_id_x 1
		.amdhsa_system_sgpr_workgroup_id_y 0
		.amdhsa_system_sgpr_workgroup_id_z 0
		.amdhsa_system_sgpr_workgroup_info 0
		.amdhsa_system_vgpr_workitem_id 0
		.amdhsa_next_free_vgpr 1
		.amdhsa_next_free_sgpr 0
		.amdhsa_accum_offset 4
		.amdhsa_reserve_vcc 0
		.amdhsa_reserve_flat_scratch 0
		.amdhsa_float_round_mode_32 0
		.amdhsa_float_round_mode_16_64 0
		.amdhsa_float_denorm_mode_32 3
		.amdhsa_float_denorm_mode_16_64 3
		.amdhsa_dx10_clamp 1
		.amdhsa_ieee_mode 1
		.amdhsa_fp16_overflow 0
		.amdhsa_tg_split 0
		.amdhsa_exception_fp_ieee_invalid_op 0
		.amdhsa_exception_fp_denorm_src 0
		.amdhsa_exception_fp_ieee_div_zero 0
		.amdhsa_exception_fp_ieee_overflow 0
		.amdhsa_exception_fp_ieee_underflow 0
		.amdhsa_exception_fp_ieee_inexact 0
		.amdhsa_exception_int_div_zero 0
	.end_amdhsa_kernel
	.section	.text._ZN7rocprim17ROCPRIM_400000_NS6detail17trampoline_kernelINS0_13select_configILj256ELj13ELNS0_17block_load_methodE3ELS4_3ELS4_3ELNS0_20block_scan_algorithmE0ELj4294967295EEENS1_25partition_config_selectorILNS1_17partition_subalgoE3EjNS0_10empty_typeEbEEZZNS1_14partition_implILS8_3ELb0ES6_jNS0_17counting_iteratorIjlEEPS9_SE_NS0_5tupleIJPjSE_EEENSF_IJSE_SE_EEES9_SG_JZNS1_25segmented_radix_sort_implINS0_14default_configELb1EPKbPbPKlPlN2at6native12_GLOBAL__N_18offset_tEEE10hipError_tPvRmT1_PNSt15iterator_traitsISY_E10value_typeET2_T3_PNSZ_IS14_E10value_typeET4_jRbjT5_S1A_jjP12ihipStream_tbEUljE_EEESV_SW_SX_S14_S18_S1A_T6_T7_T9_mT8_S1C_bDpT10_ENKUlT_T0_E_clISt17integral_constantIbLb1EES1P_EEDaS1K_S1L_EUlS1K_E_NS1_11comp_targetILNS1_3genE10ELNS1_11target_archE1200ELNS1_3gpuE4ELNS1_3repE0EEENS1_30default_config_static_selectorELNS0_4arch9wavefront6targetE1EEEvSY_,"axG",@progbits,_ZN7rocprim17ROCPRIM_400000_NS6detail17trampoline_kernelINS0_13select_configILj256ELj13ELNS0_17block_load_methodE3ELS4_3ELS4_3ELNS0_20block_scan_algorithmE0ELj4294967295EEENS1_25partition_config_selectorILNS1_17partition_subalgoE3EjNS0_10empty_typeEbEEZZNS1_14partition_implILS8_3ELb0ES6_jNS0_17counting_iteratorIjlEEPS9_SE_NS0_5tupleIJPjSE_EEENSF_IJSE_SE_EEES9_SG_JZNS1_25segmented_radix_sort_implINS0_14default_configELb1EPKbPbPKlPlN2at6native12_GLOBAL__N_18offset_tEEE10hipError_tPvRmT1_PNSt15iterator_traitsISY_E10value_typeET2_T3_PNSZ_IS14_E10value_typeET4_jRbjT5_S1A_jjP12ihipStream_tbEUljE_EEESV_SW_SX_S14_S18_S1A_T6_T7_T9_mT8_S1C_bDpT10_ENKUlT_T0_E_clISt17integral_constantIbLb1EES1P_EEDaS1K_S1L_EUlS1K_E_NS1_11comp_targetILNS1_3genE10ELNS1_11target_archE1200ELNS1_3gpuE4ELNS1_3repE0EEENS1_30default_config_static_selectorELNS0_4arch9wavefront6targetE1EEEvSY_,comdat
.Lfunc_end1511:
	.size	_ZN7rocprim17ROCPRIM_400000_NS6detail17trampoline_kernelINS0_13select_configILj256ELj13ELNS0_17block_load_methodE3ELS4_3ELS4_3ELNS0_20block_scan_algorithmE0ELj4294967295EEENS1_25partition_config_selectorILNS1_17partition_subalgoE3EjNS0_10empty_typeEbEEZZNS1_14partition_implILS8_3ELb0ES6_jNS0_17counting_iteratorIjlEEPS9_SE_NS0_5tupleIJPjSE_EEENSF_IJSE_SE_EEES9_SG_JZNS1_25segmented_radix_sort_implINS0_14default_configELb1EPKbPbPKlPlN2at6native12_GLOBAL__N_18offset_tEEE10hipError_tPvRmT1_PNSt15iterator_traitsISY_E10value_typeET2_T3_PNSZ_IS14_E10value_typeET4_jRbjT5_S1A_jjP12ihipStream_tbEUljE_EEESV_SW_SX_S14_S18_S1A_T6_T7_T9_mT8_S1C_bDpT10_ENKUlT_T0_E_clISt17integral_constantIbLb1EES1P_EEDaS1K_S1L_EUlS1K_E_NS1_11comp_targetILNS1_3genE10ELNS1_11target_archE1200ELNS1_3gpuE4ELNS1_3repE0EEENS1_30default_config_static_selectorELNS0_4arch9wavefront6targetE1EEEvSY_, .Lfunc_end1511-_ZN7rocprim17ROCPRIM_400000_NS6detail17trampoline_kernelINS0_13select_configILj256ELj13ELNS0_17block_load_methodE3ELS4_3ELS4_3ELNS0_20block_scan_algorithmE0ELj4294967295EEENS1_25partition_config_selectorILNS1_17partition_subalgoE3EjNS0_10empty_typeEbEEZZNS1_14partition_implILS8_3ELb0ES6_jNS0_17counting_iteratorIjlEEPS9_SE_NS0_5tupleIJPjSE_EEENSF_IJSE_SE_EEES9_SG_JZNS1_25segmented_radix_sort_implINS0_14default_configELb1EPKbPbPKlPlN2at6native12_GLOBAL__N_18offset_tEEE10hipError_tPvRmT1_PNSt15iterator_traitsISY_E10value_typeET2_T3_PNSZ_IS14_E10value_typeET4_jRbjT5_S1A_jjP12ihipStream_tbEUljE_EEESV_SW_SX_S14_S18_S1A_T6_T7_T9_mT8_S1C_bDpT10_ENKUlT_T0_E_clISt17integral_constantIbLb1EES1P_EEDaS1K_S1L_EUlS1K_E_NS1_11comp_targetILNS1_3genE10ELNS1_11target_archE1200ELNS1_3gpuE4ELNS1_3repE0EEENS1_30default_config_static_selectorELNS0_4arch9wavefront6targetE1EEEvSY_
                                        ; -- End function
	.section	.AMDGPU.csdata,"",@progbits
; Kernel info:
; codeLenInByte = 0
; NumSgprs: 4
; NumVgprs: 0
; NumAgprs: 0
; TotalNumVgprs: 0
; ScratchSize: 0
; MemoryBound: 0
; FloatMode: 240
; IeeeMode: 1
; LDSByteSize: 0 bytes/workgroup (compile time only)
; SGPRBlocks: 0
; VGPRBlocks: 0
; NumSGPRsForWavesPerEU: 4
; NumVGPRsForWavesPerEU: 1
; AccumOffset: 4
; Occupancy: 8
; WaveLimiterHint : 0
; COMPUTE_PGM_RSRC2:SCRATCH_EN: 0
; COMPUTE_PGM_RSRC2:USER_SGPR: 6
; COMPUTE_PGM_RSRC2:TRAP_HANDLER: 0
; COMPUTE_PGM_RSRC2:TGID_X_EN: 1
; COMPUTE_PGM_RSRC2:TGID_Y_EN: 0
; COMPUTE_PGM_RSRC2:TGID_Z_EN: 0
; COMPUTE_PGM_RSRC2:TIDIG_COMP_CNT: 0
; COMPUTE_PGM_RSRC3_GFX90A:ACCUM_OFFSET: 0
; COMPUTE_PGM_RSRC3_GFX90A:TG_SPLIT: 0
	.section	.text._ZN7rocprim17ROCPRIM_400000_NS6detail17trampoline_kernelINS0_13select_configILj256ELj13ELNS0_17block_load_methodE3ELS4_3ELS4_3ELNS0_20block_scan_algorithmE0ELj4294967295EEENS1_25partition_config_selectorILNS1_17partition_subalgoE3EjNS0_10empty_typeEbEEZZNS1_14partition_implILS8_3ELb0ES6_jNS0_17counting_iteratorIjlEEPS9_SE_NS0_5tupleIJPjSE_EEENSF_IJSE_SE_EEES9_SG_JZNS1_25segmented_radix_sort_implINS0_14default_configELb1EPKbPbPKlPlN2at6native12_GLOBAL__N_18offset_tEEE10hipError_tPvRmT1_PNSt15iterator_traitsISY_E10value_typeET2_T3_PNSZ_IS14_E10value_typeET4_jRbjT5_S1A_jjP12ihipStream_tbEUljE_EEESV_SW_SX_S14_S18_S1A_T6_T7_T9_mT8_S1C_bDpT10_ENKUlT_T0_E_clISt17integral_constantIbLb1EES1P_EEDaS1K_S1L_EUlS1K_E_NS1_11comp_targetILNS1_3genE9ELNS1_11target_archE1100ELNS1_3gpuE3ELNS1_3repE0EEENS1_30default_config_static_selectorELNS0_4arch9wavefront6targetE1EEEvSY_,"axG",@progbits,_ZN7rocprim17ROCPRIM_400000_NS6detail17trampoline_kernelINS0_13select_configILj256ELj13ELNS0_17block_load_methodE3ELS4_3ELS4_3ELNS0_20block_scan_algorithmE0ELj4294967295EEENS1_25partition_config_selectorILNS1_17partition_subalgoE3EjNS0_10empty_typeEbEEZZNS1_14partition_implILS8_3ELb0ES6_jNS0_17counting_iteratorIjlEEPS9_SE_NS0_5tupleIJPjSE_EEENSF_IJSE_SE_EEES9_SG_JZNS1_25segmented_radix_sort_implINS0_14default_configELb1EPKbPbPKlPlN2at6native12_GLOBAL__N_18offset_tEEE10hipError_tPvRmT1_PNSt15iterator_traitsISY_E10value_typeET2_T3_PNSZ_IS14_E10value_typeET4_jRbjT5_S1A_jjP12ihipStream_tbEUljE_EEESV_SW_SX_S14_S18_S1A_T6_T7_T9_mT8_S1C_bDpT10_ENKUlT_T0_E_clISt17integral_constantIbLb1EES1P_EEDaS1K_S1L_EUlS1K_E_NS1_11comp_targetILNS1_3genE9ELNS1_11target_archE1100ELNS1_3gpuE3ELNS1_3repE0EEENS1_30default_config_static_selectorELNS0_4arch9wavefront6targetE1EEEvSY_,comdat
	.globl	_ZN7rocprim17ROCPRIM_400000_NS6detail17trampoline_kernelINS0_13select_configILj256ELj13ELNS0_17block_load_methodE3ELS4_3ELS4_3ELNS0_20block_scan_algorithmE0ELj4294967295EEENS1_25partition_config_selectorILNS1_17partition_subalgoE3EjNS0_10empty_typeEbEEZZNS1_14partition_implILS8_3ELb0ES6_jNS0_17counting_iteratorIjlEEPS9_SE_NS0_5tupleIJPjSE_EEENSF_IJSE_SE_EEES9_SG_JZNS1_25segmented_radix_sort_implINS0_14default_configELb1EPKbPbPKlPlN2at6native12_GLOBAL__N_18offset_tEEE10hipError_tPvRmT1_PNSt15iterator_traitsISY_E10value_typeET2_T3_PNSZ_IS14_E10value_typeET4_jRbjT5_S1A_jjP12ihipStream_tbEUljE_EEESV_SW_SX_S14_S18_S1A_T6_T7_T9_mT8_S1C_bDpT10_ENKUlT_T0_E_clISt17integral_constantIbLb1EES1P_EEDaS1K_S1L_EUlS1K_E_NS1_11comp_targetILNS1_3genE9ELNS1_11target_archE1100ELNS1_3gpuE3ELNS1_3repE0EEENS1_30default_config_static_selectorELNS0_4arch9wavefront6targetE1EEEvSY_ ; -- Begin function _ZN7rocprim17ROCPRIM_400000_NS6detail17trampoline_kernelINS0_13select_configILj256ELj13ELNS0_17block_load_methodE3ELS4_3ELS4_3ELNS0_20block_scan_algorithmE0ELj4294967295EEENS1_25partition_config_selectorILNS1_17partition_subalgoE3EjNS0_10empty_typeEbEEZZNS1_14partition_implILS8_3ELb0ES6_jNS0_17counting_iteratorIjlEEPS9_SE_NS0_5tupleIJPjSE_EEENSF_IJSE_SE_EEES9_SG_JZNS1_25segmented_radix_sort_implINS0_14default_configELb1EPKbPbPKlPlN2at6native12_GLOBAL__N_18offset_tEEE10hipError_tPvRmT1_PNSt15iterator_traitsISY_E10value_typeET2_T3_PNSZ_IS14_E10value_typeET4_jRbjT5_S1A_jjP12ihipStream_tbEUljE_EEESV_SW_SX_S14_S18_S1A_T6_T7_T9_mT8_S1C_bDpT10_ENKUlT_T0_E_clISt17integral_constantIbLb1EES1P_EEDaS1K_S1L_EUlS1K_E_NS1_11comp_targetILNS1_3genE9ELNS1_11target_archE1100ELNS1_3gpuE3ELNS1_3repE0EEENS1_30default_config_static_selectorELNS0_4arch9wavefront6targetE1EEEvSY_
	.p2align	8
	.type	_ZN7rocprim17ROCPRIM_400000_NS6detail17trampoline_kernelINS0_13select_configILj256ELj13ELNS0_17block_load_methodE3ELS4_3ELS4_3ELNS0_20block_scan_algorithmE0ELj4294967295EEENS1_25partition_config_selectorILNS1_17partition_subalgoE3EjNS0_10empty_typeEbEEZZNS1_14partition_implILS8_3ELb0ES6_jNS0_17counting_iteratorIjlEEPS9_SE_NS0_5tupleIJPjSE_EEENSF_IJSE_SE_EEES9_SG_JZNS1_25segmented_radix_sort_implINS0_14default_configELb1EPKbPbPKlPlN2at6native12_GLOBAL__N_18offset_tEEE10hipError_tPvRmT1_PNSt15iterator_traitsISY_E10value_typeET2_T3_PNSZ_IS14_E10value_typeET4_jRbjT5_S1A_jjP12ihipStream_tbEUljE_EEESV_SW_SX_S14_S18_S1A_T6_T7_T9_mT8_S1C_bDpT10_ENKUlT_T0_E_clISt17integral_constantIbLb1EES1P_EEDaS1K_S1L_EUlS1K_E_NS1_11comp_targetILNS1_3genE9ELNS1_11target_archE1100ELNS1_3gpuE3ELNS1_3repE0EEENS1_30default_config_static_selectorELNS0_4arch9wavefront6targetE1EEEvSY_,@function
_ZN7rocprim17ROCPRIM_400000_NS6detail17trampoline_kernelINS0_13select_configILj256ELj13ELNS0_17block_load_methodE3ELS4_3ELS4_3ELNS0_20block_scan_algorithmE0ELj4294967295EEENS1_25partition_config_selectorILNS1_17partition_subalgoE3EjNS0_10empty_typeEbEEZZNS1_14partition_implILS8_3ELb0ES6_jNS0_17counting_iteratorIjlEEPS9_SE_NS0_5tupleIJPjSE_EEENSF_IJSE_SE_EEES9_SG_JZNS1_25segmented_radix_sort_implINS0_14default_configELb1EPKbPbPKlPlN2at6native12_GLOBAL__N_18offset_tEEE10hipError_tPvRmT1_PNSt15iterator_traitsISY_E10value_typeET2_T3_PNSZ_IS14_E10value_typeET4_jRbjT5_S1A_jjP12ihipStream_tbEUljE_EEESV_SW_SX_S14_S18_S1A_T6_T7_T9_mT8_S1C_bDpT10_ENKUlT_T0_E_clISt17integral_constantIbLb1EES1P_EEDaS1K_S1L_EUlS1K_E_NS1_11comp_targetILNS1_3genE9ELNS1_11target_archE1100ELNS1_3gpuE3ELNS1_3repE0EEENS1_30default_config_static_selectorELNS0_4arch9wavefront6targetE1EEEvSY_: ; @_ZN7rocprim17ROCPRIM_400000_NS6detail17trampoline_kernelINS0_13select_configILj256ELj13ELNS0_17block_load_methodE3ELS4_3ELS4_3ELNS0_20block_scan_algorithmE0ELj4294967295EEENS1_25partition_config_selectorILNS1_17partition_subalgoE3EjNS0_10empty_typeEbEEZZNS1_14partition_implILS8_3ELb0ES6_jNS0_17counting_iteratorIjlEEPS9_SE_NS0_5tupleIJPjSE_EEENSF_IJSE_SE_EEES9_SG_JZNS1_25segmented_radix_sort_implINS0_14default_configELb1EPKbPbPKlPlN2at6native12_GLOBAL__N_18offset_tEEE10hipError_tPvRmT1_PNSt15iterator_traitsISY_E10value_typeET2_T3_PNSZ_IS14_E10value_typeET4_jRbjT5_S1A_jjP12ihipStream_tbEUljE_EEESV_SW_SX_S14_S18_S1A_T6_T7_T9_mT8_S1C_bDpT10_ENKUlT_T0_E_clISt17integral_constantIbLb1EES1P_EEDaS1K_S1L_EUlS1K_E_NS1_11comp_targetILNS1_3genE9ELNS1_11target_archE1100ELNS1_3gpuE3ELNS1_3repE0EEENS1_30default_config_static_selectorELNS0_4arch9wavefront6targetE1EEEvSY_
; %bb.0:
	.section	.rodata,"a",@progbits
	.p2align	6, 0x0
	.amdhsa_kernel _ZN7rocprim17ROCPRIM_400000_NS6detail17trampoline_kernelINS0_13select_configILj256ELj13ELNS0_17block_load_methodE3ELS4_3ELS4_3ELNS0_20block_scan_algorithmE0ELj4294967295EEENS1_25partition_config_selectorILNS1_17partition_subalgoE3EjNS0_10empty_typeEbEEZZNS1_14partition_implILS8_3ELb0ES6_jNS0_17counting_iteratorIjlEEPS9_SE_NS0_5tupleIJPjSE_EEENSF_IJSE_SE_EEES9_SG_JZNS1_25segmented_radix_sort_implINS0_14default_configELb1EPKbPbPKlPlN2at6native12_GLOBAL__N_18offset_tEEE10hipError_tPvRmT1_PNSt15iterator_traitsISY_E10value_typeET2_T3_PNSZ_IS14_E10value_typeET4_jRbjT5_S1A_jjP12ihipStream_tbEUljE_EEESV_SW_SX_S14_S18_S1A_T6_T7_T9_mT8_S1C_bDpT10_ENKUlT_T0_E_clISt17integral_constantIbLb1EES1P_EEDaS1K_S1L_EUlS1K_E_NS1_11comp_targetILNS1_3genE9ELNS1_11target_archE1100ELNS1_3gpuE3ELNS1_3repE0EEENS1_30default_config_static_selectorELNS0_4arch9wavefront6targetE1EEEvSY_
		.amdhsa_group_segment_fixed_size 0
		.amdhsa_private_segment_fixed_size 0
		.amdhsa_kernarg_size 152
		.amdhsa_user_sgpr_count 6
		.amdhsa_user_sgpr_private_segment_buffer 1
		.amdhsa_user_sgpr_dispatch_ptr 0
		.amdhsa_user_sgpr_queue_ptr 0
		.amdhsa_user_sgpr_kernarg_segment_ptr 1
		.amdhsa_user_sgpr_dispatch_id 0
		.amdhsa_user_sgpr_flat_scratch_init 0
		.amdhsa_user_sgpr_kernarg_preload_length 0
		.amdhsa_user_sgpr_kernarg_preload_offset 0
		.amdhsa_user_sgpr_private_segment_size 0
		.amdhsa_uses_dynamic_stack 0
		.amdhsa_system_sgpr_private_segment_wavefront_offset 0
		.amdhsa_system_sgpr_workgroup_id_x 1
		.amdhsa_system_sgpr_workgroup_id_y 0
		.amdhsa_system_sgpr_workgroup_id_z 0
		.amdhsa_system_sgpr_workgroup_info 0
		.amdhsa_system_vgpr_workitem_id 0
		.amdhsa_next_free_vgpr 1
		.amdhsa_next_free_sgpr 0
		.amdhsa_accum_offset 4
		.amdhsa_reserve_vcc 0
		.amdhsa_reserve_flat_scratch 0
		.amdhsa_float_round_mode_32 0
		.amdhsa_float_round_mode_16_64 0
		.amdhsa_float_denorm_mode_32 3
		.amdhsa_float_denorm_mode_16_64 3
		.amdhsa_dx10_clamp 1
		.amdhsa_ieee_mode 1
		.amdhsa_fp16_overflow 0
		.amdhsa_tg_split 0
		.amdhsa_exception_fp_ieee_invalid_op 0
		.amdhsa_exception_fp_denorm_src 0
		.amdhsa_exception_fp_ieee_div_zero 0
		.amdhsa_exception_fp_ieee_overflow 0
		.amdhsa_exception_fp_ieee_underflow 0
		.amdhsa_exception_fp_ieee_inexact 0
		.amdhsa_exception_int_div_zero 0
	.end_amdhsa_kernel
	.section	.text._ZN7rocprim17ROCPRIM_400000_NS6detail17trampoline_kernelINS0_13select_configILj256ELj13ELNS0_17block_load_methodE3ELS4_3ELS4_3ELNS0_20block_scan_algorithmE0ELj4294967295EEENS1_25partition_config_selectorILNS1_17partition_subalgoE3EjNS0_10empty_typeEbEEZZNS1_14partition_implILS8_3ELb0ES6_jNS0_17counting_iteratorIjlEEPS9_SE_NS0_5tupleIJPjSE_EEENSF_IJSE_SE_EEES9_SG_JZNS1_25segmented_radix_sort_implINS0_14default_configELb1EPKbPbPKlPlN2at6native12_GLOBAL__N_18offset_tEEE10hipError_tPvRmT1_PNSt15iterator_traitsISY_E10value_typeET2_T3_PNSZ_IS14_E10value_typeET4_jRbjT5_S1A_jjP12ihipStream_tbEUljE_EEESV_SW_SX_S14_S18_S1A_T6_T7_T9_mT8_S1C_bDpT10_ENKUlT_T0_E_clISt17integral_constantIbLb1EES1P_EEDaS1K_S1L_EUlS1K_E_NS1_11comp_targetILNS1_3genE9ELNS1_11target_archE1100ELNS1_3gpuE3ELNS1_3repE0EEENS1_30default_config_static_selectorELNS0_4arch9wavefront6targetE1EEEvSY_,"axG",@progbits,_ZN7rocprim17ROCPRIM_400000_NS6detail17trampoline_kernelINS0_13select_configILj256ELj13ELNS0_17block_load_methodE3ELS4_3ELS4_3ELNS0_20block_scan_algorithmE0ELj4294967295EEENS1_25partition_config_selectorILNS1_17partition_subalgoE3EjNS0_10empty_typeEbEEZZNS1_14partition_implILS8_3ELb0ES6_jNS0_17counting_iteratorIjlEEPS9_SE_NS0_5tupleIJPjSE_EEENSF_IJSE_SE_EEES9_SG_JZNS1_25segmented_radix_sort_implINS0_14default_configELb1EPKbPbPKlPlN2at6native12_GLOBAL__N_18offset_tEEE10hipError_tPvRmT1_PNSt15iterator_traitsISY_E10value_typeET2_T3_PNSZ_IS14_E10value_typeET4_jRbjT5_S1A_jjP12ihipStream_tbEUljE_EEESV_SW_SX_S14_S18_S1A_T6_T7_T9_mT8_S1C_bDpT10_ENKUlT_T0_E_clISt17integral_constantIbLb1EES1P_EEDaS1K_S1L_EUlS1K_E_NS1_11comp_targetILNS1_3genE9ELNS1_11target_archE1100ELNS1_3gpuE3ELNS1_3repE0EEENS1_30default_config_static_selectorELNS0_4arch9wavefront6targetE1EEEvSY_,comdat
.Lfunc_end1512:
	.size	_ZN7rocprim17ROCPRIM_400000_NS6detail17trampoline_kernelINS0_13select_configILj256ELj13ELNS0_17block_load_methodE3ELS4_3ELS4_3ELNS0_20block_scan_algorithmE0ELj4294967295EEENS1_25partition_config_selectorILNS1_17partition_subalgoE3EjNS0_10empty_typeEbEEZZNS1_14partition_implILS8_3ELb0ES6_jNS0_17counting_iteratorIjlEEPS9_SE_NS0_5tupleIJPjSE_EEENSF_IJSE_SE_EEES9_SG_JZNS1_25segmented_radix_sort_implINS0_14default_configELb1EPKbPbPKlPlN2at6native12_GLOBAL__N_18offset_tEEE10hipError_tPvRmT1_PNSt15iterator_traitsISY_E10value_typeET2_T3_PNSZ_IS14_E10value_typeET4_jRbjT5_S1A_jjP12ihipStream_tbEUljE_EEESV_SW_SX_S14_S18_S1A_T6_T7_T9_mT8_S1C_bDpT10_ENKUlT_T0_E_clISt17integral_constantIbLb1EES1P_EEDaS1K_S1L_EUlS1K_E_NS1_11comp_targetILNS1_3genE9ELNS1_11target_archE1100ELNS1_3gpuE3ELNS1_3repE0EEENS1_30default_config_static_selectorELNS0_4arch9wavefront6targetE1EEEvSY_, .Lfunc_end1512-_ZN7rocprim17ROCPRIM_400000_NS6detail17trampoline_kernelINS0_13select_configILj256ELj13ELNS0_17block_load_methodE3ELS4_3ELS4_3ELNS0_20block_scan_algorithmE0ELj4294967295EEENS1_25partition_config_selectorILNS1_17partition_subalgoE3EjNS0_10empty_typeEbEEZZNS1_14partition_implILS8_3ELb0ES6_jNS0_17counting_iteratorIjlEEPS9_SE_NS0_5tupleIJPjSE_EEENSF_IJSE_SE_EEES9_SG_JZNS1_25segmented_radix_sort_implINS0_14default_configELb1EPKbPbPKlPlN2at6native12_GLOBAL__N_18offset_tEEE10hipError_tPvRmT1_PNSt15iterator_traitsISY_E10value_typeET2_T3_PNSZ_IS14_E10value_typeET4_jRbjT5_S1A_jjP12ihipStream_tbEUljE_EEESV_SW_SX_S14_S18_S1A_T6_T7_T9_mT8_S1C_bDpT10_ENKUlT_T0_E_clISt17integral_constantIbLb1EES1P_EEDaS1K_S1L_EUlS1K_E_NS1_11comp_targetILNS1_3genE9ELNS1_11target_archE1100ELNS1_3gpuE3ELNS1_3repE0EEENS1_30default_config_static_selectorELNS0_4arch9wavefront6targetE1EEEvSY_
                                        ; -- End function
	.section	.AMDGPU.csdata,"",@progbits
; Kernel info:
; codeLenInByte = 0
; NumSgprs: 4
; NumVgprs: 0
; NumAgprs: 0
; TotalNumVgprs: 0
; ScratchSize: 0
; MemoryBound: 0
; FloatMode: 240
; IeeeMode: 1
; LDSByteSize: 0 bytes/workgroup (compile time only)
; SGPRBlocks: 0
; VGPRBlocks: 0
; NumSGPRsForWavesPerEU: 4
; NumVGPRsForWavesPerEU: 1
; AccumOffset: 4
; Occupancy: 8
; WaveLimiterHint : 0
; COMPUTE_PGM_RSRC2:SCRATCH_EN: 0
; COMPUTE_PGM_RSRC2:USER_SGPR: 6
; COMPUTE_PGM_RSRC2:TRAP_HANDLER: 0
; COMPUTE_PGM_RSRC2:TGID_X_EN: 1
; COMPUTE_PGM_RSRC2:TGID_Y_EN: 0
; COMPUTE_PGM_RSRC2:TGID_Z_EN: 0
; COMPUTE_PGM_RSRC2:TIDIG_COMP_CNT: 0
; COMPUTE_PGM_RSRC3_GFX90A:ACCUM_OFFSET: 0
; COMPUTE_PGM_RSRC3_GFX90A:TG_SPLIT: 0
	.section	.text._ZN7rocprim17ROCPRIM_400000_NS6detail17trampoline_kernelINS0_13select_configILj256ELj13ELNS0_17block_load_methodE3ELS4_3ELS4_3ELNS0_20block_scan_algorithmE0ELj4294967295EEENS1_25partition_config_selectorILNS1_17partition_subalgoE3EjNS0_10empty_typeEbEEZZNS1_14partition_implILS8_3ELb0ES6_jNS0_17counting_iteratorIjlEEPS9_SE_NS0_5tupleIJPjSE_EEENSF_IJSE_SE_EEES9_SG_JZNS1_25segmented_radix_sort_implINS0_14default_configELb1EPKbPbPKlPlN2at6native12_GLOBAL__N_18offset_tEEE10hipError_tPvRmT1_PNSt15iterator_traitsISY_E10value_typeET2_T3_PNSZ_IS14_E10value_typeET4_jRbjT5_S1A_jjP12ihipStream_tbEUljE_EEESV_SW_SX_S14_S18_S1A_T6_T7_T9_mT8_S1C_bDpT10_ENKUlT_T0_E_clISt17integral_constantIbLb1EES1P_EEDaS1K_S1L_EUlS1K_E_NS1_11comp_targetILNS1_3genE8ELNS1_11target_archE1030ELNS1_3gpuE2ELNS1_3repE0EEENS1_30default_config_static_selectorELNS0_4arch9wavefront6targetE1EEEvSY_,"axG",@progbits,_ZN7rocprim17ROCPRIM_400000_NS6detail17trampoline_kernelINS0_13select_configILj256ELj13ELNS0_17block_load_methodE3ELS4_3ELS4_3ELNS0_20block_scan_algorithmE0ELj4294967295EEENS1_25partition_config_selectorILNS1_17partition_subalgoE3EjNS0_10empty_typeEbEEZZNS1_14partition_implILS8_3ELb0ES6_jNS0_17counting_iteratorIjlEEPS9_SE_NS0_5tupleIJPjSE_EEENSF_IJSE_SE_EEES9_SG_JZNS1_25segmented_radix_sort_implINS0_14default_configELb1EPKbPbPKlPlN2at6native12_GLOBAL__N_18offset_tEEE10hipError_tPvRmT1_PNSt15iterator_traitsISY_E10value_typeET2_T3_PNSZ_IS14_E10value_typeET4_jRbjT5_S1A_jjP12ihipStream_tbEUljE_EEESV_SW_SX_S14_S18_S1A_T6_T7_T9_mT8_S1C_bDpT10_ENKUlT_T0_E_clISt17integral_constantIbLb1EES1P_EEDaS1K_S1L_EUlS1K_E_NS1_11comp_targetILNS1_3genE8ELNS1_11target_archE1030ELNS1_3gpuE2ELNS1_3repE0EEENS1_30default_config_static_selectorELNS0_4arch9wavefront6targetE1EEEvSY_,comdat
	.globl	_ZN7rocprim17ROCPRIM_400000_NS6detail17trampoline_kernelINS0_13select_configILj256ELj13ELNS0_17block_load_methodE3ELS4_3ELS4_3ELNS0_20block_scan_algorithmE0ELj4294967295EEENS1_25partition_config_selectorILNS1_17partition_subalgoE3EjNS0_10empty_typeEbEEZZNS1_14partition_implILS8_3ELb0ES6_jNS0_17counting_iteratorIjlEEPS9_SE_NS0_5tupleIJPjSE_EEENSF_IJSE_SE_EEES9_SG_JZNS1_25segmented_radix_sort_implINS0_14default_configELb1EPKbPbPKlPlN2at6native12_GLOBAL__N_18offset_tEEE10hipError_tPvRmT1_PNSt15iterator_traitsISY_E10value_typeET2_T3_PNSZ_IS14_E10value_typeET4_jRbjT5_S1A_jjP12ihipStream_tbEUljE_EEESV_SW_SX_S14_S18_S1A_T6_T7_T9_mT8_S1C_bDpT10_ENKUlT_T0_E_clISt17integral_constantIbLb1EES1P_EEDaS1K_S1L_EUlS1K_E_NS1_11comp_targetILNS1_3genE8ELNS1_11target_archE1030ELNS1_3gpuE2ELNS1_3repE0EEENS1_30default_config_static_selectorELNS0_4arch9wavefront6targetE1EEEvSY_ ; -- Begin function _ZN7rocprim17ROCPRIM_400000_NS6detail17trampoline_kernelINS0_13select_configILj256ELj13ELNS0_17block_load_methodE3ELS4_3ELS4_3ELNS0_20block_scan_algorithmE0ELj4294967295EEENS1_25partition_config_selectorILNS1_17partition_subalgoE3EjNS0_10empty_typeEbEEZZNS1_14partition_implILS8_3ELb0ES6_jNS0_17counting_iteratorIjlEEPS9_SE_NS0_5tupleIJPjSE_EEENSF_IJSE_SE_EEES9_SG_JZNS1_25segmented_radix_sort_implINS0_14default_configELb1EPKbPbPKlPlN2at6native12_GLOBAL__N_18offset_tEEE10hipError_tPvRmT1_PNSt15iterator_traitsISY_E10value_typeET2_T3_PNSZ_IS14_E10value_typeET4_jRbjT5_S1A_jjP12ihipStream_tbEUljE_EEESV_SW_SX_S14_S18_S1A_T6_T7_T9_mT8_S1C_bDpT10_ENKUlT_T0_E_clISt17integral_constantIbLb1EES1P_EEDaS1K_S1L_EUlS1K_E_NS1_11comp_targetILNS1_3genE8ELNS1_11target_archE1030ELNS1_3gpuE2ELNS1_3repE0EEENS1_30default_config_static_selectorELNS0_4arch9wavefront6targetE1EEEvSY_
	.p2align	8
	.type	_ZN7rocprim17ROCPRIM_400000_NS6detail17trampoline_kernelINS0_13select_configILj256ELj13ELNS0_17block_load_methodE3ELS4_3ELS4_3ELNS0_20block_scan_algorithmE0ELj4294967295EEENS1_25partition_config_selectorILNS1_17partition_subalgoE3EjNS0_10empty_typeEbEEZZNS1_14partition_implILS8_3ELb0ES6_jNS0_17counting_iteratorIjlEEPS9_SE_NS0_5tupleIJPjSE_EEENSF_IJSE_SE_EEES9_SG_JZNS1_25segmented_radix_sort_implINS0_14default_configELb1EPKbPbPKlPlN2at6native12_GLOBAL__N_18offset_tEEE10hipError_tPvRmT1_PNSt15iterator_traitsISY_E10value_typeET2_T3_PNSZ_IS14_E10value_typeET4_jRbjT5_S1A_jjP12ihipStream_tbEUljE_EEESV_SW_SX_S14_S18_S1A_T6_T7_T9_mT8_S1C_bDpT10_ENKUlT_T0_E_clISt17integral_constantIbLb1EES1P_EEDaS1K_S1L_EUlS1K_E_NS1_11comp_targetILNS1_3genE8ELNS1_11target_archE1030ELNS1_3gpuE2ELNS1_3repE0EEENS1_30default_config_static_selectorELNS0_4arch9wavefront6targetE1EEEvSY_,@function
_ZN7rocprim17ROCPRIM_400000_NS6detail17trampoline_kernelINS0_13select_configILj256ELj13ELNS0_17block_load_methodE3ELS4_3ELS4_3ELNS0_20block_scan_algorithmE0ELj4294967295EEENS1_25partition_config_selectorILNS1_17partition_subalgoE3EjNS0_10empty_typeEbEEZZNS1_14partition_implILS8_3ELb0ES6_jNS0_17counting_iteratorIjlEEPS9_SE_NS0_5tupleIJPjSE_EEENSF_IJSE_SE_EEES9_SG_JZNS1_25segmented_radix_sort_implINS0_14default_configELb1EPKbPbPKlPlN2at6native12_GLOBAL__N_18offset_tEEE10hipError_tPvRmT1_PNSt15iterator_traitsISY_E10value_typeET2_T3_PNSZ_IS14_E10value_typeET4_jRbjT5_S1A_jjP12ihipStream_tbEUljE_EEESV_SW_SX_S14_S18_S1A_T6_T7_T9_mT8_S1C_bDpT10_ENKUlT_T0_E_clISt17integral_constantIbLb1EES1P_EEDaS1K_S1L_EUlS1K_E_NS1_11comp_targetILNS1_3genE8ELNS1_11target_archE1030ELNS1_3gpuE2ELNS1_3repE0EEENS1_30default_config_static_selectorELNS0_4arch9wavefront6targetE1EEEvSY_: ; @_ZN7rocprim17ROCPRIM_400000_NS6detail17trampoline_kernelINS0_13select_configILj256ELj13ELNS0_17block_load_methodE3ELS4_3ELS4_3ELNS0_20block_scan_algorithmE0ELj4294967295EEENS1_25partition_config_selectorILNS1_17partition_subalgoE3EjNS0_10empty_typeEbEEZZNS1_14partition_implILS8_3ELb0ES6_jNS0_17counting_iteratorIjlEEPS9_SE_NS0_5tupleIJPjSE_EEENSF_IJSE_SE_EEES9_SG_JZNS1_25segmented_radix_sort_implINS0_14default_configELb1EPKbPbPKlPlN2at6native12_GLOBAL__N_18offset_tEEE10hipError_tPvRmT1_PNSt15iterator_traitsISY_E10value_typeET2_T3_PNSZ_IS14_E10value_typeET4_jRbjT5_S1A_jjP12ihipStream_tbEUljE_EEESV_SW_SX_S14_S18_S1A_T6_T7_T9_mT8_S1C_bDpT10_ENKUlT_T0_E_clISt17integral_constantIbLb1EES1P_EEDaS1K_S1L_EUlS1K_E_NS1_11comp_targetILNS1_3genE8ELNS1_11target_archE1030ELNS1_3gpuE2ELNS1_3repE0EEENS1_30default_config_static_selectorELNS0_4arch9wavefront6targetE1EEEvSY_
; %bb.0:
	.section	.rodata,"a",@progbits
	.p2align	6, 0x0
	.amdhsa_kernel _ZN7rocprim17ROCPRIM_400000_NS6detail17trampoline_kernelINS0_13select_configILj256ELj13ELNS0_17block_load_methodE3ELS4_3ELS4_3ELNS0_20block_scan_algorithmE0ELj4294967295EEENS1_25partition_config_selectorILNS1_17partition_subalgoE3EjNS0_10empty_typeEbEEZZNS1_14partition_implILS8_3ELb0ES6_jNS0_17counting_iteratorIjlEEPS9_SE_NS0_5tupleIJPjSE_EEENSF_IJSE_SE_EEES9_SG_JZNS1_25segmented_radix_sort_implINS0_14default_configELb1EPKbPbPKlPlN2at6native12_GLOBAL__N_18offset_tEEE10hipError_tPvRmT1_PNSt15iterator_traitsISY_E10value_typeET2_T3_PNSZ_IS14_E10value_typeET4_jRbjT5_S1A_jjP12ihipStream_tbEUljE_EEESV_SW_SX_S14_S18_S1A_T6_T7_T9_mT8_S1C_bDpT10_ENKUlT_T0_E_clISt17integral_constantIbLb1EES1P_EEDaS1K_S1L_EUlS1K_E_NS1_11comp_targetILNS1_3genE8ELNS1_11target_archE1030ELNS1_3gpuE2ELNS1_3repE0EEENS1_30default_config_static_selectorELNS0_4arch9wavefront6targetE1EEEvSY_
		.amdhsa_group_segment_fixed_size 0
		.amdhsa_private_segment_fixed_size 0
		.amdhsa_kernarg_size 152
		.amdhsa_user_sgpr_count 6
		.amdhsa_user_sgpr_private_segment_buffer 1
		.amdhsa_user_sgpr_dispatch_ptr 0
		.amdhsa_user_sgpr_queue_ptr 0
		.amdhsa_user_sgpr_kernarg_segment_ptr 1
		.amdhsa_user_sgpr_dispatch_id 0
		.amdhsa_user_sgpr_flat_scratch_init 0
		.amdhsa_user_sgpr_kernarg_preload_length 0
		.amdhsa_user_sgpr_kernarg_preload_offset 0
		.amdhsa_user_sgpr_private_segment_size 0
		.amdhsa_uses_dynamic_stack 0
		.amdhsa_system_sgpr_private_segment_wavefront_offset 0
		.amdhsa_system_sgpr_workgroup_id_x 1
		.amdhsa_system_sgpr_workgroup_id_y 0
		.amdhsa_system_sgpr_workgroup_id_z 0
		.amdhsa_system_sgpr_workgroup_info 0
		.amdhsa_system_vgpr_workitem_id 0
		.amdhsa_next_free_vgpr 1
		.amdhsa_next_free_sgpr 0
		.amdhsa_accum_offset 4
		.amdhsa_reserve_vcc 0
		.amdhsa_reserve_flat_scratch 0
		.amdhsa_float_round_mode_32 0
		.amdhsa_float_round_mode_16_64 0
		.amdhsa_float_denorm_mode_32 3
		.amdhsa_float_denorm_mode_16_64 3
		.amdhsa_dx10_clamp 1
		.amdhsa_ieee_mode 1
		.amdhsa_fp16_overflow 0
		.amdhsa_tg_split 0
		.amdhsa_exception_fp_ieee_invalid_op 0
		.amdhsa_exception_fp_denorm_src 0
		.amdhsa_exception_fp_ieee_div_zero 0
		.amdhsa_exception_fp_ieee_overflow 0
		.amdhsa_exception_fp_ieee_underflow 0
		.amdhsa_exception_fp_ieee_inexact 0
		.amdhsa_exception_int_div_zero 0
	.end_amdhsa_kernel
	.section	.text._ZN7rocprim17ROCPRIM_400000_NS6detail17trampoline_kernelINS0_13select_configILj256ELj13ELNS0_17block_load_methodE3ELS4_3ELS4_3ELNS0_20block_scan_algorithmE0ELj4294967295EEENS1_25partition_config_selectorILNS1_17partition_subalgoE3EjNS0_10empty_typeEbEEZZNS1_14partition_implILS8_3ELb0ES6_jNS0_17counting_iteratorIjlEEPS9_SE_NS0_5tupleIJPjSE_EEENSF_IJSE_SE_EEES9_SG_JZNS1_25segmented_radix_sort_implINS0_14default_configELb1EPKbPbPKlPlN2at6native12_GLOBAL__N_18offset_tEEE10hipError_tPvRmT1_PNSt15iterator_traitsISY_E10value_typeET2_T3_PNSZ_IS14_E10value_typeET4_jRbjT5_S1A_jjP12ihipStream_tbEUljE_EEESV_SW_SX_S14_S18_S1A_T6_T7_T9_mT8_S1C_bDpT10_ENKUlT_T0_E_clISt17integral_constantIbLb1EES1P_EEDaS1K_S1L_EUlS1K_E_NS1_11comp_targetILNS1_3genE8ELNS1_11target_archE1030ELNS1_3gpuE2ELNS1_3repE0EEENS1_30default_config_static_selectorELNS0_4arch9wavefront6targetE1EEEvSY_,"axG",@progbits,_ZN7rocprim17ROCPRIM_400000_NS6detail17trampoline_kernelINS0_13select_configILj256ELj13ELNS0_17block_load_methodE3ELS4_3ELS4_3ELNS0_20block_scan_algorithmE0ELj4294967295EEENS1_25partition_config_selectorILNS1_17partition_subalgoE3EjNS0_10empty_typeEbEEZZNS1_14partition_implILS8_3ELb0ES6_jNS0_17counting_iteratorIjlEEPS9_SE_NS0_5tupleIJPjSE_EEENSF_IJSE_SE_EEES9_SG_JZNS1_25segmented_radix_sort_implINS0_14default_configELb1EPKbPbPKlPlN2at6native12_GLOBAL__N_18offset_tEEE10hipError_tPvRmT1_PNSt15iterator_traitsISY_E10value_typeET2_T3_PNSZ_IS14_E10value_typeET4_jRbjT5_S1A_jjP12ihipStream_tbEUljE_EEESV_SW_SX_S14_S18_S1A_T6_T7_T9_mT8_S1C_bDpT10_ENKUlT_T0_E_clISt17integral_constantIbLb1EES1P_EEDaS1K_S1L_EUlS1K_E_NS1_11comp_targetILNS1_3genE8ELNS1_11target_archE1030ELNS1_3gpuE2ELNS1_3repE0EEENS1_30default_config_static_selectorELNS0_4arch9wavefront6targetE1EEEvSY_,comdat
.Lfunc_end1513:
	.size	_ZN7rocprim17ROCPRIM_400000_NS6detail17trampoline_kernelINS0_13select_configILj256ELj13ELNS0_17block_load_methodE3ELS4_3ELS4_3ELNS0_20block_scan_algorithmE0ELj4294967295EEENS1_25partition_config_selectorILNS1_17partition_subalgoE3EjNS0_10empty_typeEbEEZZNS1_14partition_implILS8_3ELb0ES6_jNS0_17counting_iteratorIjlEEPS9_SE_NS0_5tupleIJPjSE_EEENSF_IJSE_SE_EEES9_SG_JZNS1_25segmented_radix_sort_implINS0_14default_configELb1EPKbPbPKlPlN2at6native12_GLOBAL__N_18offset_tEEE10hipError_tPvRmT1_PNSt15iterator_traitsISY_E10value_typeET2_T3_PNSZ_IS14_E10value_typeET4_jRbjT5_S1A_jjP12ihipStream_tbEUljE_EEESV_SW_SX_S14_S18_S1A_T6_T7_T9_mT8_S1C_bDpT10_ENKUlT_T0_E_clISt17integral_constantIbLb1EES1P_EEDaS1K_S1L_EUlS1K_E_NS1_11comp_targetILNS1_3genE8ELNS1_11target_archE1030ELNS1_3gpuE2ELNS1_3repE0EEENS1_30default_config_static_selectorELNS0_4arch9wavefront6targetE1EEEvSY_, .Lfunc_end1513-_ZN7rocprim17ROCPRIM_400000_NS6detail17trampoline_kernelINS0_13select_configILj256ELj13ELNS0_17block_load_methodE3ELS4_3ELS4_3ELNS0_20block_scan_algorithmE0ELj4294967295EEENS1_25partition_config_selectorILNS1_17partition_subalgoE3EjNS0_10empty_typeEbEEZZNS1_14partition_implILS8_3ELb0ES6_jNS0_17counting_iteratorIjlEEPS9_SE_NS0_5tupleIJPjSE_EEENSF_IJSE_SE_EEES9_SG_JZNS1_25segmented_radix_sort_implINS0_14default_configELb1EPKbPbPKlPlN2at6native12_GLOBAL__N_18offset_tEEE10hipError_tPvRmT1_PNSt15iterator_traitsISY_E10value_typeET2_T3_PNSZ_IS14_E10value_typeET4_jRbjT5_S1A_jjP12ihipStream_tbEUljE_EEESV_SW_SX_S14_S18_S1A_T6_T7_T9_mT8_S1C_bDpT10_ENKUlT_T0_E_clISt17integral_constantIbLb1EES1P_EEDaS1K_S1L_EUlS1K_E_NS1_11comp_targetILNS1_3genE8ELNS1_11target_archE1030ELNS1_3gpuE2ELNS1_3repE0EEENS1_30default_config_static_selectorELNS0_4arch9wavefront6targetE1EEEvSY_
                                        ; -- End function
	.section	.AMDGPU.csdata,"",@progbits
; Kernel info:
; codeLenInByte = 0
; NumSgprs: 4
; NumVgprs: 0
; NumAgprs: 0
; TotalNumVgprs: 0
; ScratchSize: 0
; MemoryBound: 0
; FloatMode: 240
; IeeeMode: 1
; LDSByteSize: 0 bytes/workgroup (compile time only)
; SGPRBlocks: 0
; VGPRBlocks: 0
; NumSGPRsForWavesPerEU: 4
; NumVGPRsForWavesPerEU: 1
; AccumOffset: 4
; Occupancy: 8
; WaveLimiterHint : 0
; COMPUTE_PGM_RSRC2:SCRATCH_EN: 0
; COMPUTE_PGM_RSRC2:USER_SGPR: 6
; COMPUTE_PGM_RSRC2:TRAP_HANDLER: 0
; COMPUTE_PGM_RSRC2:TGID_X_EN: 1
; COMPUTE_PGM_RSRC2:TGID_Y_EN: 0
; COMPUTE_PGM_RSRC2:TGID_Z_EN: 0
; COMPUTE_PGM_RSRC2:TIDIG_COMP_CNT: 0
; COMPUTE_PGM_RSRC3_GFX90A:ACCUM_OFFSET: 0
; COMPUTE_PGM_RSRC3_GFX90A:TG_SPLIT: 0
	.section	.text._ZN7rocprim17ROCPRIM_400000_NS6detail17trampoline_kernelINS0_13select_configILj256ELj13ELNS0_17block_load_methodE3ELS4_3ELS4_3ELNS0_20block_scan_algorithmE0ELj4294967295EEENS1_25partition_config_selectorILNS1_17partition_subalgoE3EjNS0_10empty_typeEbEEZZNS1_14partition_implILS8_3ELb0ES6_jNS0_17counting_iteratorIjlEEPS9_SE_NS0_5tupleIJPjSE_EEENSF_IJSE_SE_EEES9_SG_JZNS1_25segmented_radix_sort_implINS0_14default_configELb1EPKbPbPKlPlN2at6native12_GLOBAL__N_18offset_tEEE10hipError_tPvRmT1_PNSt15iterator_traitsISY_E10value_typeET2_T3_PNSZ_IS14_E10value_typeET4_jRbjT5_S1A_jjP12ihipStream_tbEUljE_EEESV_SW_SX_S14_S18_S1A_T6_T7_T9_mT8_S1C_bDpT10_ENKUlT_T0_E_clISt17integral_constantIbLb1EES1O_IbLb0EEEEDaS1K_S1L_EUlS1K_E_NS1_11comp_targetILNS1_3genE0ELNS1_11target_archE4294967295ELNS1_3gpuE0ELNS1_3repE0EEENS1_30default_config_static_selectorELNS0_4arch9wavefront6targetE1EEEvSY_,"axG",@progbits,_ZN7rocprim17ROCPRIM_400000_NS6detail17trampoline_kernelINS0_13select_configILj256ELj13ELNS0_17block_load_methodE3ELS4_3ELS4_3ELNS0_20block_scan_algorithmE0ELj4294967295EEENS1_25partition_config_selectorILNS1_17partition_subalgoE3EjNS0_10empty_typeEbEEZZNS1_14partition_implILS8_3ELb0ES6_jNS0_17counting_iteratorIjlEEPS9_SE_NS0_5tupleIJPjSE_EEENSF_IJSE_SE_EEES9_SG_JZNS1_25segmented_radix_sort_implINS0_14default_configELb1EPKbPbPKlPlN2at6native12_GLOBAL__N_18offset_tEEE10hipError_tPvRmT1_PNSt15iterator_traitsISY_E10value_typeET2_T3_PNSZ_IS14_E10value_typeET4_jRbjT5_S1A_jjP12ihipStream_tbEUljE_EEESV_SW_SX_S14_S18_S1A_T6_T7_T9_mT8_S1C_bDpT10_ENKUlT_T0_E_clISt17integral_constantIbLb1EES1O_IbLb0EEEEDaS1K_S1L_EUlS1K_E_NS1_11comp_targetILNS1_3genE0ELNS1_11target_archE4294967295ELNS1_3gpuE0ELNS1_3repE0EEENS1_30default_config_static_selectorELNS0_4arch9wavefront6targetE1EEEvSY_,comdat
	.globl	_ZN7rocprim17ROCPRIM_400000_NS6detail17trampoline_kernelINS0_13select_configILj256ELj13ELNS0_17block_load_methodE3ELS4_3ELS4_3ELNS0_20block_scan_algorithmE0ELj4294967295EEENS1_25partition_config_selectorILNS1_17partition_subalgoE3EjNS0_10empty_typeEbEEZZNS1_14partition_implILS8_3ELb0ES6_jNS0_17counting_iteratorIjlEEPS9_SE_NS0_5tupleIJPjSE_EEENSF_IJSE_SE_EEES9_SG_JZNS1_25segmented_radix_sort_implINS0_14default_configELb1EPKbPbPKlPlN2at6native12_GLOBAL__N_18offset_tEEE10hipError_tPvRmT1_PNSt15iterator_traitsISY_E10value_typeET2_T3_PNSZ_IS14_E10value_typeET4_jRbjT5_S1A_jjP12ihipStream_tbEUljE_EEESV_SW_SX_S14_S18_S1A_T6_T7_T9_mT8_S1C_bDpT10_ENKUlT_T0_E_clISt17integral_constantIbLb1EES1O_IbLb0EEEEDaS1K_S1L_EUlS1K_E_NS1_11comp_targetILNS1_3genE0ELNS1_11target_archE4294967295ELNS1_3gpuE0ELNS1_3repE0EEENS1_30default_config_static_selectorELNS0_4arch9wavefront6targetE1EEEvSY_ ; -- Begin function _ZN7rocprim17ROCPRIM_400000_NS6detail17trampoline_kernelINS0_13select_configILj256ELj13ELNS0_17block_load_methodE3ELS4_3ELS4_3ELNS0_20block_scan_algorithmE0ELj4294967295EEENS1_25partition_config_selectorILNS1_17partition_subalgoE3EjNS0_10empty_typeEbEEZZNS1_14partition_implILS8_3ELb0ES6_jNS0_17counting_iteratorIjlEEPS9_SE_NS0_5tupleIJPjSE_EEENSF_IJSE_SE_EEES9_SG_JZNS1_25segmented_radix_sort_implINS0_14default_configELb1EPKbPbPKlPlN2at6native12_GLOBAL__N_18offset_tEEE10hipError_tPvRmT1_PNSt15iterator_traitsISY_E10value_typeET2_T3_PNSZ_IS14_E10value_typeET4_jRbjT5_S1A_jjP12ihipStream_tbEUljE_EEESV_SW_SX_S14_S18_S1A_T6_T7_T9_mT8_S1C_bDpT10_ENKUlT_T0_E_clISt17integral_constantIbLb1EES1O_IbLb0EEEEDaS1K_S1L_EUlS1K_E_NS1_11comp_targetILNS1_3genE0ELNS1_11target_archE4294967295ELNS1_3gpuE0ELNS1_3repE0EEENS1_30default_config_static_selectorELNS0_4arch9wavefront6targetE1EEEvSY_
	.p2align	8
	.type	_ZN7rocprim17ROCPRIM_400000_NS6detail17trampoline_kernelINS0_13select_configILj256ELj13ELNS0_17block_load_methodE3ELS4_3ELS4_3ELNS0_20block_scan_algorithmE0ELj4294967295EEENS1_25partition_config_selectorILNS1_17partition_subalgoE3EjNS0_10empty_typeEbEEZZNS1_14partition_implILS8_3ELb0ES6_jNS0_17counting_iteratorIjlEEPS9_SE_NS0_5tupleIJPjSE_EEENSF_IJSE_SE_EEES9_SG_JZNS1_25segmented_radix_sort_implINS0_14default_configELb1EPKbPbPKlPlN2at6native12_GLOBAL__N_18offset_tEEE10hipError_tPvRmT1_PNSt15iterator_traitsISY_E10value_typeET2_T3_PNSZ_IS14_E10value_typeET4_jRbjT5_S1A_jjP12ihipStream_tbEUljE_EEESV_SW_SX_S14_S18_S1A_T6_T7_T9_mT8_S1C_bDpT10_ENKUlT_T0_E_clISt17integral_constantIbLb1EES1O_IbLb0EEEEDaS1K_S1L_EUlS1K_E_NS1_11comp_targetILNS1_3genE0ELNS1_11target_archE4294967295ELNS1_3gpuE0ELNS1_3repE0EEENS1_30default_config_static_selectorELNS0_4arch9wavefront6targetE1EEEvSY_,@function
_ZN7rocprim17ROCPRIM_400000_NS6detail17trampoline_kernelINS0_13select_configILj256ELj13ELNS0_17block_load_methodE3ELS4_3ELS4_3ELNS0_20block_scan_algorithmE0ELj4294967295EEENS1_25partition_config_selectorILNS1_17partition_subalgoE3EjNS0_10empty_typeEbEEZZNS1_14partition_implILS8_3ELb0ES6_jNS0_17counting_iteratorIjlEEPS9_SE_NS0_5tupleIJPjSE_EEENSF_IJSE_SE_EEES9_SG_JZNS1_25segmented_radix_sort_implINS0_14default_configELb1EPKbPbPKlPlN2at6native12_GLOBAL__N_18offset_tEEE10hipError_tPvRmT1_PNSt15iterator_traitsISY_E10value_typeET2_T3_PNSZ_IS14_E10value_typeET4_jRbjT5_S1A_jjP12ihipStream_tbEUljE_EEESV_SW_SX_S14_S18_S1A_T6_T7_T9_mT8_S1C_bDpT10_ENKUlT_T0_E_clISt17integral_constantIbLb1EES1O_IbLb0EEEEDaS1K_S1L_EUlS1K_E_NS1_11comp_targetILNS1_3genE0ELNS1_11target_archE4294967295ELNS1_3gpuE0ELNS1_3repE0EEENS1_30default_config_static_selectorELNS0_4arch9wavefront6targetE1EEEvSY_: ; @_ZN7rocprim17ROCPRIM_400000_NS6detail17trampoline_kernelINS0_13select_configILj256ELj13ELNS0_17block_load_methodE3ELS4_3ELS4_3ELNS0_20block_scan_algorithmE0ELj4294967295EEENS1_25partition_config_selectorILNS1_17partition_subalgoE3EjNS0_10empty_typeEbEEZZNS1_14partition_implILS8_3ELb0ES6_jNS0_17counting_iteratorIjlEEPS9_SE_NS0_5tupleIJPjSE_EEENSF_IJSE_SE_EEES9_SG_JZNS1_25segmented_radix_sort_implINS0_14default_configELb1EPKbPbPKlPlN2at6native12_GLOBAL__N_18offset_tEEE10hipError_tPvRmT1_PNSt15iterator_traitsISY_E10value_typeET2_T3_PNSZ_IS14_E10value_typeET4_jRbjT5_S1A_jjP12ihipStream_tbEUljE_EEESV_SW_SX_S14_S18_S1A_T6_T7_T9_mT8_S1C_bDpT10_ENKUlT_T0_E_clISt17integral_constantIbLb1EES1O_IbLb0EEEEDaS1K_S1L_EUlS1K_E_NS1_11comp_targetILNS1_3genE0ELNS1_11target_archE4294967295ELNS1_3gpuE0ELNS1_3repE0EEENS1_30default_config_static_selectorELNS0_4arch9wavefront6targetE1EEEvSY_
; %bb.0:
	.section	.rodata,"a",@progbits
	.p2align	6, 0x0
	.amdhsa_kernel _ZN7rocprim17ROCPRIM_400000_NS6detail17trampoline_kernelINS0_13select_configILj256ELj13ELNS0_17block_load_methodE3ELS4_3ELS4_3ELNS0_20block_scan_algorithmE0ELj4294967295EEENS1_25partition_config_selectorILNS1_17partition_subalgoE3EjNS0_10empty_typeEbEEZZNS1_14partition_implILS8_3ELb0ES6_jNS0_17counting_iteratorIjlEEPS9_SE_NS0_5tupleIJPjSE_EEENSF_IJSE_SE_EEES9_SG_JZNS1_25segmented_radix_sort_implINS0_14default_configELb1EPKbPbPKlPlN2at6native12_GLOBAL__N_18offset_tEEE10hipError_tPvRmT1_PNSt15iterator_traitsISY_E10value_typeET2_T3_PNSZ_IS14_E10value_typeET4_jRbjT5_S1A_jjP12ihipStream_tbEUljE_EEESV_SW_SX_S14_S18_S1A_T6_T7_T9_mT8_S1C_bDpT10_ENKUlT_T0_E_clISt17integral_constantIbLb1EES1O_IbLb0EEEEDaS1K_S1L_EUlS1K_E_NS1_11comp_targetILNS1_3genE0ELNS1_11target_archE4294967295ELNS1_3gpuE0ELNS1_3repE0EEENS1_30default_config_static_selectorELNS0_4arch9wavefront6targetE1EEEvSY_
		.amdhsa_group_segment_fixed_size 0
		.amdhsa_private_segment_fixed_size 0
		.amdhsa_kernarg_size 144
		.amdhsa_user_sgpr_count 6
		.amdhsa_user_sgpr_private_segment_buffer 1
		.amdhsa_user_sgpr_dispatch_ptr 0
		.amdhsa_user_sgpr_queue_ptr 0
		.amdhsa_user_sgpr_kernarg_segment_ptr 1
		.amdhsa_user_sgpr_dispatch_id 0
		.amdhsa_user_sgpr_flat_scratch_init 0
		.amdhsa_user_sgpr_kernarg_preload_length 0
		.amdhsa_user_sgpr_kernarg_preload_offset 0
		.amdhsa_user_sgpr_private_segment_size 0
		.amdhsa_uses_dynamic_stack 0
		.amdhsa_system_sgpr_private_segment_wavefront_offset 0
		.amdhsa_system_sgpr_workgroup_id_x 1
		.amdhsa_system_sgpr_workgroup_id_y 0
		.amdhsa_system_sgpr_workgroup_id_z 0
		.amdhsa_system_sgpr_workgroup_info 0
		.amdhsa_system_vgpr_workitem_id 0
		.amdhsa_next_free_vgpr 1
		.amdhsa_next_free_sgpr 0
		.amdhsa_accum_offset 4
		.amdhsa_reserve_vcc 0
		.amdhsa_reserve_flat_scratch 0
		.amdhsa_float_round_mode_32 0
		.amdhsa_float_round_mode_16_64 0
		.amdhsa_float_denorm_mode_32 3
		.amdhsa_float_denorm_mode_16_64 3
		.amdhsa_dx10_clamp 1
		.amdhsa_ieee_mode 1
		.amdhsa_fp16_overflow 0
		.amdhsa_tg_split 0
		.amdhsa_exception_fp_ieee_invalid_op 0
		.amdhsa_exception_fp_denorm_src 0
		.amdhsa_exception_fp_ieee_div_zero 0
		.amdhsa_exception_fp_ieee_overflow 0
		.amdhsa_exception_fp_ieee_underflow 0
		.amdhsa_exception_fp_ieee_inexact 0
		.amdhsa_exception_int_div_zero 0
	.end_amdhsa_kernel
	.section	.text._ZN7rocprim17ROCPRIM_400000_NS6detail17trampoline_kernelINS0_13select_configILj256ELj13ELNS0_17block_load_methodE3ELS4_3ELS4_3ELNS0_20block_scan_algorithmE0ELj4294967295EEENS1_25partition_config_selectorILNS1_17partition_subalgoE3EjNS0_10empty_typeEbEEZZNS1_14partition_implILS8_3ELb0ES6_jNS0_17counting_iteratorIjlEEPS9_SE_NS0_5tupleIJPjSE_EEENSF_IJSE_SE_EEES9_SG_JZNS1_25segmented_radix_sort_implINS0_14default_configELb1EPKbPbPKlPlN2at6native12_GLOBAL__N_18offset_tEEE10hipError_tPvRmT1_PNSt15iterator_traitsISY_E10value_typeET2_T3_PNSZ_IS14_E10value_typeET4_jRbjT5_S1A_jjP12ihipStream_tbEUljE_EEESV_SW_SX_S14_S18_S1A_T6_T7_T9_mT8_S1C_bDpT10_ENKUlT_T0_E_clISt17integral_constantIbLb1EES1O_IbLb0EEEEDaS1K_S1L_EUlS1K_E_NS1_11comp_targetILNS1_3genE0ELNS1_11target_archE4294967295ELNS1_3gpuE0ELNS1_3repE0EEENS1_30default_config_static_selectorELNS0_4arch9wavefront6targetE1EEEvSY_,"axG",@progbits,_ZN7rocprim17ROCPRIM_400000_NS6detail17trampoline_kernelINS0_13select_configILj256ELj13ELNS0_17block_load_methodE3ELS4_3ELS4_3ELNS0_20block_scan_algorithmE0ELj4294967295EEENS1_25partition_config_selectorILNS1_17partition_subalgoE3EjNS0_10empty_typeEbEEZZNS1_14partition_implILS8_3ELb0ES6_jNS0_17counting_iteratorIjlEEPS9_SE_NS0_5tupleIJPjSE_EEENSF_IJSE_SE_EEES9_SG_JZNS1_25segmented_radix_sort_implINS0_14default_configELb1EPKbPbPKlPlN2at6native12_GLOBAL__N_18offset_tEEE10hipError_tPvRmT1_PNSt15iterator_traitsISY_E10value_typeET2_T3_PNSZ_IS14_E10value_typeET4_jRbjT5_S1A_jjP12ihipStream_tbEUljE_EEESV_SW_SX_S14_S18_S1A_T6_T7_T9_mT8_S1C_bDpT10_ENKUlT_T0_E_clISt17integral_constantIbLb1EES1O_IbLb0EEEEDaS1K_S1L_EUlS1K_E_NS1_11comp_targetILNS1_3genE0ELNS1_11target_archE4294967295ELNS1_3gpuE0ELNS1_3repE0EEENS1_30default_config_static_selectorELNS0_4arch9wavefront6targetE1EEEvSY_,comdat
.Lfunc_end1514:
	.size	_ZN7rocprim17ROCPRIM_400000_NS6detail17trampoline_kernelINS0_13select_configILj256ELj13ELNS0_17block_load_methodE3ELS4_3ELS4_3ELNS0_20block_scan_algorithmE0ELj4294967295EEENS1_25partition_config_selectorILNS1_17partition_subalgoE3EjNS0_10empty_typeEbEEZZNS1_14partition_implILS8_3ELb0ES6_jNS0_17counting_iteratorIjlEEPS9_SE_NS0_5tupleIJPjSE_EEENSF_IJSE_SE_EEES9_SG_JZNS1_25segmented_radix_sort_implINS0_14default_configELb1EPKbPbPKlPlN2at6native12_GLOBAL__N_18offset_tEEE10hipError_tPvRmT1_PNSt15iterator_traitsISY_E10value_typeET2_T3_PNSZ_IS14_E10value_typeET4_jRbjT5_S1A_jjP12ihipStream_tbEUljE_EEESV_SW_SX_S14_S18_S1A_T6_T7_T9_mT8_S1C_bDpT10_ENKUlT_T0_E_clISt17integral_constantIbLb1EES1O_IbLb0EEEEDaS1K_S1L_EUlS1K_E_NS1_11comp_targetILNS1_3genE0ELNS1_11target_archE4294967295ELNS1_3gpuE0ELNS1_3repE0EEENS1_30default_config_static_selectorELNS0_4arch9wavefront6targetE1EEEvSY_, .Lfunc_end1514-_ZN7rocprim17ROCPRIM_400000_NS6detail17trampoline_kernelINS0_13select_configILj256ELj13ELNS0_17block_load_methodE3ELS4_3ELS4_3ELNS0_20block_scan_algorithmE0ELj4294967295EEENS1_25partition_config_selectorILNS1_17partition_subalgoE3EjNS0_10empty_typeEbEEZZNS1_14partition_implILS8_3ELb0ES6_jNS0_17counting_iteratorIjlEEPS9_SE_NS0_5tupleIJPjSE_EEENSF_IJSE_SE_EEES9_SG_JZNS1_25segmented_radix_sort_implINS0_14default_configELb1EPKbPbPKlPlN2at6native12_GLOBAL__N_18offset_tEEE10hipError_tPvRmT1_PNSt15iterator_traitsISY_E10value_typeET2_T3_PNSZ_IS14_E10value_typeET4_jRbjT5_S1A_jjP12ihipStream_tbEUljE_EEESV_SW_SX_S14_S18_S1A_T6_T7_T9_mT8_S1C_bDpT10_ENKUlT_T0_E_clISt17integral_constantIbLb1EES1O_IbLb0EEEEDaS1K_S1L_EUlS1K_E_NS1_11comp_targetILNS1_3genE0ELNS1_11target_archE4294967295ELNS1_3gpuE0ELNS1_3repE0EEENS1_30default_config_static_selectorELNS0_4arch9wavefront6targetE1EEEvSY_
                                        ; -- End function
	.section	.AMDGPU.csdata,"",@progbits
; Kernel info:
; codeLenInByte = 0
; NumSgprs: 4
; NumVgprs: 0
; NumAgprs: 0
; TotalNumVgprs: 0
; ScratchSize: 0
; MemoryBound: 0
; FloatMode: 240
; IeeeMode: 1
; LDSByteSize: 0 bytes/workgroup (compile time only)
; SGPRBlocks: 0
; VGPRBlocks: 0
; NumSGPRsForWavesPerEU: 4
; NumVGPRsForWavesPerEU: 1
; AccumOffset: 4
; Occupancy: 8
; WaveLimiterHint : 0
; COMPUTE_PGM_RSRC2:SCRATCH_EN: 0
; COMPUTE_PGM_RSRC2:USER_SGPR: 6
; COMPUTE_PGM_RSRC2:TRAP_HANDLER: 0
; COMPUTE_PGM_RSRC2:TGID_X_EN: 1
; COMPUTE_PGM_RSRC2:TGID_Y_EN: 0
; COMPUTE_PGM_RSRC2:TGID_Z_EN: 0
; COMPUTE_PGM_RSRC2:TIDIG_COMP_CNT: 0
; COMPUTE_PGM_RSRC3_GFX90A:ACCUM_OFFSET: 0
; COMPUTE_PGM_RSRC3_GFX90A:TG_SPLIT: 0
	.section	.text._ZN7rocprim17ROCPRIM_400000_NS6detail17trampoline_kernelINS0_13select_configILj256ELj13ELNS0_17block_load_methodE3ELS4_3ELS4_3ELNS0_20block_scan_algorithmE0ELj4294967295EEENS1_25partition_config_selectorILNS1_17partition_subalgoE3EjNS0_10empty_typeEbEEZZNS1_14partition_implILS8_3ELb0ES6_jNS0_17counting_iteratorIjlEEPS9_SE_NS0_5tupleIJPjSE_EEENSF_IJSE_SE_EEES9_SG_JZNS1_25segmented_radix_sort_implINS0_14default_configELb1EPKbPbPKlPlN2at6native12_GLOBAL__N_18offset_tEEE10hipError_tPvRmT1_PNSt15iterator_traitsISY_E10value_typeET2_T3_PNSZ_IS14_E10value_typeET4_jRbjT5_S1A_jjP12ihipStream_tbEUljE_EEESV_SW_SX_S14_S18_S1A_T6_T7_T9_mT8_S1C_bDpT10_ENKUlT_T0_E_clISt17integral_constantIbLb1EES1O_IbLb0EEEEDaS1K_S1L_EUlS1K_E_NS1_11comp_targetILNS1_3genE5ELNS1_11target_archE942ELNS1_3gpuE9ELNS1_3repE0EEENS1_30default_config_static_selectorELNS0_4arch9wavefront6targetE1EEEvSY_,"axG",@progbits,_ZN7rocprim17ROCPRIM_400000_NS6detail17trampoline_kernelINS0_13select_configILj256ELj13ELNS0_17block_load_methodE3ELS4_3ELS4_3ELNS0_20block_scan_algorithmE0ELj4294967295EEENS1_25partition_config_selectorILNS1_17partition_subalgoE3EjNS0_10empty_typeEbEEZZNS1_14partition_implILS8_3ELb0ES6_jNS0_17counting_iteratorIjlEEPS9_SE_NS0_5tupleIJPjSE_EEENSF_IJSE_SE_EEES9_SG_JZNS1_25segmented_radix_sort_implINS0_14default_configELb1EPKbPbPKlPlN2at6native12_GLOBAL__N_18offset_tEEE10hipError_tPvRmT1_PNSt15iterator_traitsISY_E10value_typeET2_T3_PNSZ_IS14_E10value_typeET4_jRbjT5_S1A_jjP12ihipStream_tbEUljE_EEESV_SW_SX_S14_S18_S1A_T6_T7_T9_mT8_S1C_bDpT10_ENKUlT_T0_E_clISt17integral_constantIbLb1EES1O_IbLb0EEEEDaS1K_S1L_EUlS1K_E_NS1_11comp_targetILNS1_3genE5ELNS1_11target_archE942ELNS1_3gpuE9ELNS1_3repE0EEENS1_30default_config_static_selectorELNS0_4arch9wavefront6targetE1EEEvSY_,comdat
	.globl	_ZN7rocprim17ROCPRIM_400000_NS6detail17trampoline_kernelINS0_13select_configILj256ELj13ELNS0_17block_load_methodE3ELS4_3ELS4_3ELNS0_20block_scan_algorithmE0ELj4294967295EEENS1_25partition_config_selectorILNS1_17partition_subalgoE3EjNS0_10empty_typeEbEEZZNS1_14partition_implILS8_3ELb0ES6_jNS0_17counting_iteratorIjlEEPS9_SE_NS0_5tupleIJPjSE_EEENSF_IJSE_SE_EEES9_SG_JZNS1_25segmented_radix_sort_implINS0_14default_configELb1EPKbPbPKlPlN2at6native12_GLOBAL__N_18offset_tEEE10hipError_tPvRmT1_PNSt15iterator_traitsISY_E10value_typeET2_T3_PNSZ_IS14_E10value_typeET4_jRbjT5_S1A_jjP12ihipStream_tbEUljE_EEESV_SW_SX_S14_S18_S1A_T6_T7_T9_mT8_S1C_bDpT10_ENKUlT_T0_E_clISt17integral_constantIbLb1EES1O_IbLb0EEEEDaS1K_S1L_EUlS1K_E_NS1_11comp_targetILNS1_3genE5ELNS1_11target_archE942ELNS1_3gpuE9ELNS1_3repE0EEENS1_30default_config_static_selectorELNS0_4arch9wavefront6targetE1EEEvSY_ ; -- Begin function _ZN7rocprim17ROCPRIM_400000_NS6detail17trampoline_kernelINS0_13select_configILj256ELj13ELNS0_17block_load_methodE3ELS4_3ELS4_3ELNS0_20block_scan_algorithmE0ELj4294967295EEENS1_25partition_config_selectorILNS1_17partition_subalgoE3EjNS0_10empty_typeEbEEZZNS1_14partition_implILS8_3ELb0ES6_jNS0_17counting_iteratorIjlEEPS9_SE_NS0_5tupleIJPjSE_EEENSF_IJSE_SE_EEES9_SG_JZNS1_25segmented_radix_sort_implINS0_14default_configELb1EPKbPbPKlPlN2at6native12_GLOBAL__N_18offset_tEEE10hipError_tPvRmT1_PNSt15iterator_traitsISY_E10value_typeET2_T3_PNSZ_IS14_E10value_typeET4_jRbjT5_S1A_jjP12ihipStream_tbEUljE_EEESV_SW_SX_S14_S18_S1A_T6_T7_T9_mT8_S1C_bDpT10_ENKUlT_T0_E_clISt17integral_constantIbLb1EES1O_IbLb0EEEEDaS1K_S1L_EUlS1K_E_NS1_11comp_targetILNS1_3genE5ELNS1_11target_archE942ELNS1_3gpuE9ELNS1_3repE0EEENS1_30default_config_static_selectorELNS0_4arch9wavefront6targetE1EEEvSY_
	.p2align	8
	.type	_ZN7rocprim17ROCPRIM_400000_NS6detail17trampoline_kernelINS0_13select_configILj256ELj13ELNS0_17block_load_methodE3ELS4_3ELS4_3ELNS0_20block_scan_algorithmE0ELj4294967295EEENS1_25partition_config_selectorILNS1_17partition_subalgoE3EjNS0_10empty_typeEbEEZZNS1_14partition_implILS8_3ELb0ES6_jNS0_17counting_iteratorIjlEEPS9_SE_NS0_5tupleIJPjSE_EEENSF_IJSE_SE_EEES9_SG_JZNS1_25segmented_radix_sort_implINS0_14default_configELb1EPKbPbPKlPlN2at6native12_GLOBAL__N_18offset_tEEE10hipError_tPvRmT1_PNSt15iterator_traitsISY_E10value_typeET2_T3_PNSZ_IS14_E10value_typeET4_jRbjT5_S1A_jjP12ihipStream_tbEUljE_EEESV_SW_SX_S14_S18_S1A_T6_T7_T9_mT8_S1C_bDpT10_ENKUlT_T0_E_clISt17integral_constantIbLb1EES1O_IbLb0EEEEDaS1K_S1L_EUlS1K_E_NS1_11comp_targetILNS1_3genE5ELNS1_11target_archE942ELNS1_3gpuE9ELNS1_3repE0EEENS1_30default_config_static_selectorELNS0_4arch9wavefront6targetE1EEEvSY_,@function
_ZN7rocprim17ROCPRIM_400000_NS6detail17trampoline_kernelINS0_13select_configILj256ELj13ELNS0_17block_load_methodE3ELS4_3ELS4_3ELNS0_20block_scan_algorithmE0ELj4294967295EEENS1_25partition_config_selectorILNS1_17partition_subalgoE3EjNS0_10empty_typeEbEEZZNS1_14partition_implILS8_3ELb0ES6_jNS0_17counting_iteratorIjlEEPS9_SE_NS0_5tupleIJPjSE_EEENSF_IJSE_SE_EEES9_SG_JZNS1_25segmented_radix_sort_implINS0_14default_configELb1EPKbPbPKlPlN2at6native12_GLOBAL__N_18offset_tEEE10hipError_tPvRmT1_PNSt15iterator_traitsISY_E10value_typeET2_T3_PNSZ_IS14_E10value_typeET4_jRbjT5_S1A_jjP12ihipStream_tbEUljE_EEESV_SW_SX_S14_S18_S1A_T6_T7_T9_mT8_S1C_bDpT10_ENKUlT_T0_E_clISt17integral_constantIbLb1EES1O_IbLb0EEEEDaS1K_S1L_EUlS1K_E_NS1_11comp_targetILNS1_3genE5ELNS1_11target_archE942ELNS1_3gpuE9ELNS1_3repE0EEENS1_30default_config_static_selectorELNS0_4arch9wavefront6targetE1EEEvSY_: ; @_ZN7rocprim17ROCPRIM_400000_NS6detail17trampoline_kernelINS0_13select_configILj256ELj13ELNS0_17block_load_methodE3ELS4_3ELS4_3ELNS0_20block_scan_algorithmE0ELj4294967295EEENS1_25partition_config_selectorILNS1_17partition_subalgoE3EjNS0_10empty_typeEbEEZZNS1_14partition_implILS8_3ELb0ES6_jNS0_17counting_iteratorIjlEEPS9_SE_NS0_5tupleIJPjSE_EEENSF_IJSE_SE_EEES9_SG_JZNS1_25segmented_radix_sort_implINS0_14default_configELb1EPKbPbPKlPlN2at6native12_GLOBAL__N_18offset_tEEE10hipError_tPvRmT1_PNSt15iterator_traitsISY_E10value_typeET2_T3_PNSZ_IS14_E10value_typeET4_jRbjT5_S1A_jjP12ihipStream_tbEUljE_EEESV_SW_SX_S14_S18_S1A_T6_T7_T9_mT8_S1C_bDpT10_ENKUlT_T0_E_clISt17integral_constantIbLb1EES1O_IbLb0EEEEDaS1K_S1L_EUlS1K_E_NS1_11comp_targetILNS1_3genE5ELNS1_11target_archE942ELNS1_3gpuE9ELNS1_3repE0EEENS1_30default_config_static_selectorELNS0_4arch9wavefront6targetE1EEEvSY_
; %bb.0:
	.section	.rodata,"a",@progbits
	.p2align	6, 0x0
	.amdhsa_kernel _ZN7rocprim17ROCPRIM_400000_NS6detail17trampoline_kernelINS0_13select_configILj256ELj13ELNS0_17block_load_methodE3ELS4_3ELS4_3ELNS0_20block_scan_algorithmE0ELj4294967295EEENS1_25partition_config_selectorILNS1_17partition_subalgoE3EjNS0_10empty_typeEbEEZZNS1_14partition_implILS8_3ELb0ES6_jNS0_17counting_iteratorIjlEEPS9_SE_NS0_5tupleIJPjSE_EEENSF_IJSE_SE_EEES9_SG_JZNS1_25segmented_radix_sort_implINS0_14default_configELb1EPKbPbPKlPlN2at6native12_GLOBAL__N_18offset_tEEE10hipError_tPvRmT1_PNSt15iterator_traitsISY_E10value_typeET2_T3_PNSZ_IS14_E10value_typeET4_jRbjT5_S1A_jjP12ihipStream_tbEUljE_EEESV_SW_SX_S14_S18_S1A_T6_T7_T9_mT8_S1C_bDpT10_ENKUlT_T0_E_clISt17integral_constantIbLb1EES1O_IbLb0EEEEDaS1K_S1L_EUlS1K_E_NS1_11comp_targetILNS1_3genE5ELNS1_11target_archE942ELNS1_3gpuE9ELNS1_3repE0EEENS1_30default_config_static_selectorELNS0_4arch9wavefront6targetE1EEEvSY_
		.amdhsa_group_segment_fixed_size 0
		.amdhsa_private_segment_fixed_size 0
		.amdhsa_kernarg_size 144
		.amdhsa_user_sgpr_count 6
		.amdhsa_user_sgpr_private_segment_buffer 1
		.amdhsa_user_sgpr_dispatch_ptr 0
		.amdhsa_user_sgpr_queue_ptr 0
		.amdhsa_user_sgpr_kernarg_segment_ptr 1
		.amdhsa_user_sgpr_dispatch_id 0
		.amdhsa_user_sgpr_flat_scratch_init 0
		.amdhsa_user_sgpr_kernarg_preload_length 0
		.amdhsa_user_sgpr_kernarg_preload_offset 0
		.amdhsa_user_sgpr_private_segment_size 0
		.amdhsa_uses_dynamic_stack 0
		.amdhsa_system_sgpr_private_segment_wavefront_offset 0
		.amdhsa_system_sgpr_workgroup_id_x 1
		.amdhsa_system_sgpr_workgroup_id_y 0
		.amdhsa_system_sgpr_workgroup_id_z 0
		.amdhsa_system_sgpr_workgroup_info 0
		.amdhsa_system_vgpr_workitem_id 0
		.amdhsa_next_free_vgpr 1
		.amdhsa_next_free_sgpr 0
		.amdhsa_accum_offset 4
		.amdhsa_reserve_vcc 0
		.amdhsa_reserve_flat_scratch 0
		.amdhsa_float_round_mode_32 0
		.amdhsa_float_round_mode_16_64 0
		.amdhsa_float_denorm_mode_32 3
		.amdhsa_float_denorm_mode_16_64 3
		.amdhsa_dx10_clamp 1
		.amdhsa_ieee_mode 1
		.amdhsa_fp16_overflow 0
		.amdhsa_tg_split 0
		.amdhsa_exception_fp_ieee_invalid_op 0
		.amdhsa_exception_fp_denorm_src 0
		.amdhsa_exception_fp_ieee_div_zero 0
		.amdhsa_exception_fp_ieee_overflow 0
		.amdhsa_exception_fp_ieee_underflow 0
		.amdhsa_exception_fp_ieee_inexact 0
		.amdhsa_exception_int_div_zero 0
	.end_amdhsa_kernel
	.section	.text._ZN7rocprim17ROCPRIM_400000_NS6detail17trampoline_kernelINS0_13select_configILj256ELj13ELNS0_17block_load_methodE3ELS4_3ELS4_3ELNS0_20block_scan_algorithmE0ELj4294967295EEENS1_25partition_config_selectorILNS1_17partition_subalgoE3EjNS0_10empty_typeEbEEZZNS1_14partition_implILS8_3ELb0ES6_jNS0_17counting_iteratorIjlEEPS9_SE_NS0_5tupleIJPjSE_EEENSF_IJSE_SE_EEES9_SG_JZNS1_25segmented_radix_sort_implINS0_14default_configELb1EPKbPbPKlPlN2at6native12_GLOBAL__N_18offset_tEEE10hipError_tPvRmT1_PNSt15iterator_traitsISY_E10value_typeET2_T3_PNSZ_IS14_E10value_typeET4_jRbjT5_S1A_jjP12ihipStream_tbEUljE_EEESV_SW_SX_S14_S18_S1A_T6_T7_T9_mT8_S1C_bDpT10_ENKUlT_T0_E_clISt17integral_constantIbLb1EES1O_IbLb0EEEEDaS1K_S1L_EUlS1K_E_NS1_11comp_targetILNS1_3genE5ELNS1_11target_archE942ELNS1_3gpuE9ELNS1_3repE0EEENS1_30default_config_static_selectorELNS0_4arch9wavefront6targetE1EEEvSY_,"axG",@progbits,_ZN7rocprim17ROCPRIM_400000_NS6detail17trampoline_kernelINS0_13select_configILj256ELj13ELNS0_17block_load_methodE3ELS4_3ELS4_3ELNS0_20block_scan_algorithmE0ELj4294967295EEENS1_25partition_config_selectorILNS1_17partition_subalgoE3EjNS0_10empty_typeEbEEZZNS1_14partition_implILS8_3ELb0ES6_jNS0_17counting_iteratorIjlEEPS9_SE_NS0_5tupleIJPjSE_EEENSF_IJSE_SE_EEES9_SG_JZNS1_25segmented_radix_sort_implINS0_14default_configELb1EPKbPbPKlPlN2at6native12_GLOBAL__N_18offset_tEEE10hipError_tPvRmT1_PNSt15iterator_traitsISY_E10value_typeET2_T3_PNSZ_IS14_E10value_typeET4_jRbjT5_S1A_jjP12ihipStream_tbEUljE_EEESV_SW_SX_S14_S18_S1A_T6_T7_T9_mT8_S1C_bDpT10_ENKUlT_T0_E_clISt17integral_constantIbLb1EES1O_IbLb0EEEEDaS1K_S1L_EUlS1K_E_NS1_11comp_targetILNS1_3genE5ELNS1_11target_archE942ELNS1_3gpuE9ELNS1_3repE0EEENS1_30default_config_static_selectorELNS0_4arch9wavefront6targetE1EEEvSY_,comdat
.Lfunc_end1515:
	.size	_ZN7rocprim17ROCPRIM_400000_NS6detail17trampoline_kernelINS0_13select_configILj256ELj13ELNS0_17block_load_methodE3ELS4_3ELS4_3ELNS0_20block_scan_algorithmE0ELj4294967295EEENS1_25partition_config_selectorILNS1_17partition_subalgoE3EjNS0_10empty_typeEbEEZZNS1_14partition_implILS8_3ELb0ES6_jNS0_17counting_iteratorIjlEEPS9_SE_NS0_5tupleIJPjSE_EEENSF_IJSE_SE_EEES9_SG_JZNS1_25segmented_radix_sort_implINS0_14default_configELb1EPKbPbPKlPlN2at6native12_GLOBAL__N_18offset_tEEE10hipError_tPvRmT1_PNSt15iterator_traitsISY_E10value_typeET2_T3_PNSZ_IS14_E10value_typeET4_jRbjT5_S1A_jjP12ihipStream_tbEUljE_EEESV_SW_SX_S14_S18_S1A_T6_T7_T9_mT8_S1C_bDpT10_ENKUlT_T0_E_clISt17integral_constantIbLb1EES1O_IbLb0EEEEDaS1K_S1L_EUlS1K_E_NS1_11comp_targetILNS1_3genE5ELNS1_11target_archE942ELNS1_3gpuE9ELNS1_3repE0EEENS1_30default_config_static_selectorELNS0_4arch9wavefront6targetE1EEEvSY_, .Lfunc_end1515-_ZN7rocprim17ROCPRIM_400000_NS6detail17trampoline_kernelINS0_13select_configILj256ELj13ELNS0_17block_load_methodE3ELS4_3ELS4_3ELNS0_20block_scan_algorithmE0ELj4294967295EEENS1_25partition_config_selectorILNS1_17partition_subalgoE3EjNS0_10empty_typeEbEEZZNS1_14partition_implILS8_3ELb0ES6_jNS0_17counting_iteratorIjlEEPS9_SE_NS0_5tupleIJPjSE_EEENSF_IJSE_SE_EEES9_SG_JZNS1_25segmented_radix_sort_implINS0_14default_configELb1EPKbPbPKlPlN2at6native12_GLOBAL__N_18offset_tEEE10hipError_tPvRmT1_PNSt15iterator_traitsISY_E10value_typeET2_T3_PNSZ_IS14_E10value_typeET4_jRbjT5_S1A_jjP12ihipStream_tbEUljE_EEESV_SW_SX_S14_S18_S1A_T6_T7_T9_mT8_S1C_bDpT10_ENKUlT_T0_E_clISt17integral_constantIbLb1EES1O_IbLb0EEEEDaS1K_S1L_EUlS1K_E_NS1_11comp_targetILNS1_3genE5ELNS1_11target_archE942ELNS1_3gpuE9ELNS1_3repE0EEENS1_30default_config_static_selectorELNS0_4arch9wavefront6targetE1EEEvSY_
                                        ; -- End function
	.section	.AMDGPU.csdata,"",@progbits
; Kernel info:
; codeLenInByte = 0
; NumSgprs: 4
; NumVgprs: 0
; NumAgprs: 0
; TotalNumVgprs: 0
; ScratchSize: 0
; MemoryBound: 0
; FloatMode: 240
; IeeeMode: 1
; LDSByteSize: 0 bytes/workgroup (compile time only)
; SGPRBlocks: 0
; VGPRBlocks: 0
; NumSGPRsForWavesPerEU: 4
; NumVGPRsForWavesPerEU: 1
; AccumOffset: 4
; Occupancy: 8
; WaveLimiterHint : 0
; COMPUTE_PGM_RSRC2:SCRATCH_EN: 0
; COMPUTE_PGM_RSRC2:USER_SGPR: 6
; COMPUTE_PGM_RSRC2:TRAP_HANDLER: 0
; COMPUTE_PGM_RSRC2:TGID_X_EN: 1
; COMPUTE_PGM_RSRC2:TGID_Y_EN: 0
; COMPUTE_PGM_RSRC2:TGID_Z_EN: 0
; COMPUTE_PGM_RSRC2:TIDIG_COMP_CNT: 0
; COMPUTE_PGM_RSRC3_GFX90A:ACCUM_OFFSET: 0
; COMPUTE_PGM_RSRC3_GFX90A:TG_SPLIT: 0
	.section	.text._ZN7rocprim17ROCPRIM_400000_NS6detail17trampoline_kernelINS0_13select_configILj256ELj13ELNS0_17block_load_methodE3ELS4_3ELS4_3ELNS0_20block_scan_algorithmE0ELj4294967295EEENS1_25partition_config_selectorILNS1_17partition_subalgoE3EjNS0_10empty_typeEbEEZZNS1_14partition_implILS8_3ELb0ES6_jNS0_17counting_iteratorIjlEEPS9_SE_NS0_5tupleIJPjSE_EEENSF_IJSE_SE_EEES9_SG_JZNS1_25segmented_radix_sort_implINS0_14default_configELb1EPKbPbPKlPlN2at6native12_GLOBAL__N_18offset_tEEE10hipError_tPvRmT1_PNSt15iterator_traitsISY_E10value_typeET2_T3_PNSZ_IS14_E10value_typeET4_jRbjT5_S1A_jjP12ihipStream_tbEUljE_EEESV_SW_SX_S14_S18_S1A_T6_T7_T9_mT8_S1C_bDpT10_ENKUlT_T0_E_clISt17integral_constantIbLb1EES1O_IbLb0EEEEDaS1K_S1L_EUlS1K_E_NS1_11comp_targetILNS1_3genE4ELNS1_11target_archE910ELNS1_3gpuE8ELNS1_3repE0EEENS1_30default_config_static_selectorELNS0_4arch9wavefront6targetE1EEEvSY_,"axG",@progbits,_ZN7rocprim17ROCPRIM_400000_NS6detail17trampoline_kernelINS0_13select_configILj256ELj13ELNS0_17block_load_methodE3ELS4_3ELS4_3ELNS0_20block_scan_algorithmE0ELj4294967295EEENS1_25partition_config_selectorILNS1_17partition_subalgoE3EjNS0_10empty_typeEbEEZZNS1_14partition_implILS8_3ELb0ES6_jNS0_17counting_iteratorIjlEEPS9_SE_NS0_5tupleIJPjSE_EEENSF_IJSE_SE_EEES9_SG_JZNS1_25segmented_radix_sort_implINS0_14default_configELb1EPKbPbPKlPlN2at6native12_GLOBAL__N_18offset_tEEE10hipError_tPvRmT1_PNSt15iterator_traitsISY_E10value_typeET2_T3_PNSZ_IS14_E10value_typeET4_jRbjT5_S1A_jjP12ihipStream_tbEUljE_EEESV_SW_SX_S14_S18_S1A_T6_T7_T9_mT8_S1C_bDpT10_ENKUlT_T0_E_clISt17integral_constantIbLb1EES1O_IbLb0EEEEDaS1K_S1L_EUlS1K_E_NS1_11comp_targetILNS1_3genE4ELNS1_11target_archE910ELNS1_3gpuE8ELNS1_3repE0EEENS1_30default_config_static_selectorELNS0_4arch9wavefront6targetE1EEEvSY_,comdat
	.globl	_ZN7rocprim17ROCPRIM_400000_NS6detail17trampoline_kernelINS0_13select_configILj256ELj13ELNS0_17block_load_methodE3ELS4_3ELS4_3ELNS0_20block_scan_algorithmE0ELj4294967295EEENS1_25partition_config_selectorILNS1_17partition_subalgoE3EjNS0_10empty_typeEbEEZZNS1_14partition_implILS8_3ELb0ES6_jNS0_17counting_iteratorIjlEEPS9_SE_NS0_5tupleIJPjSE_EEENSF_IJSE_SE_EEES9_SG_JZNS1_25segmented_radix_sort_implINS0_14default_configELb1EPKbPbPKlPlN2at6native12_GLOBAL__N_18offset_tEEE10hipError_tPvRmT1_PNSt15iterator_traitsISY_E10value_typeET2_T3_PNSZ_IS14_E10value_typeET4_jRbjT5_S1A_jjP12ihipStream_tbEUljE_EEESV_SW_SX_S14_S18_S1A_T6_T7_T9_mT8_S1C_bDpT10_ENKUlT_T0_E_clISt17integral_constantIbLb1EES1O_IbLb0EEEEDaS1K_S1L_EUlS1K_E_NS1_11comp_targetILNS1_3genE4ELNS1_11target_archE910ELNS1_3gpuE8ELNS1_3repE0EEENS1_30default_config_static_selectorELNS0_4arch9wavefront6targetE1EEEvSY_ ; -- Begin function _ZN7rocprim17ROCPRIM_400000_NS6detail17trampoline_kernelINS0_13select_configILj256ELj13ELNS0_17block_load_methodE3ELS4_3ELS4_3ELNS0_20block_scan_algorithmE0ELj4294967295EEENS1_25partition_config_selectorILNS1_17partition_subalgoE3EjNS0_10empty_typeEbEEZZNS1_14partition_implILS8_3ELb0ES6_jNS0_17counting_iteratorIjlEEPS9_SE_NS0_5tupleIJPjSE_EEENSF_IJSE_SE_EEES9_SG_JZNS1_25segmented_radix_sort_implINS0_14default_configELb1EPKbPbPKlPlN2at6native12_GLOBAL__N_18offset_tEEE10hipError_tPvRmT1_PNSt15iterator_traitsISY_E10value_typeET2_T3_PNSZ_IS14_E10value_typeET4_jRbjT5_S1A_jjP12ihipStream_tbEUljE_EEESV_SW_SX_S14_S18_S1A_T6_T7_T9_mT8_S1C_bDpT10_ENKUlT_T0_E_clISt17integral_constantIbLb1EES1O_IbLb0EEEEDaS1K_S1L_EUlS1K_E_NS1_11comp_targetILNS1_3genE4ELNS1_11target_archE910ELNS1_3gpuE8ELNS1_3repE0EEENS1_30default_config_static_selectorELNS0_4arch9wavefront6targetE1EEEvSY_
	.p2align	8
	.type	_ZN7rocprim17ROCPRIM_400000_NS6detail17trampoline_kernelINS0_13select_configILj256ELj13ELNS0_17block_load_methodE3ELS4_3ELS4_3ELNS0_20block_scan_algorithmE0ELj4294967295EEENS1_25partition_config_selectorILNS1_17partition_subalgoE3EjNS0_10empty_typeEbEEZZNS1_14partition_implILS8_3ELb0ES6_jNS0_17counting_iteratorIjlEEPS9_SE_NS0_5tupleIJPjSE_EEENSF_IJSE_SE_EEES9_SG_JZNS1_25segmented_radix_sort_implINS0_14default_configELb1EPKbPbPKlPlN2at6native12_GLOBAL__N_18offset_tEEE10hipError_tPvRmT1_PNSt15iterator_traitsISY_E10value_typeET2_T3_PNSZ_IS14_E10value_typeET4_jRbjT5_S1A_jjP12ihipStream_tbEUljE_EEESV_SW_SX_S14_S18_S1A_T6_T7_T9_mT8_S1C_bDpT10_ENKUlT_T0_E_clISt17integral_constantIbLb1EES1O_IbLb0EEEEDaS1K_S1L_EUlS1K_E_NS1_11comp_targetILNS1_3genE4ELNS1_11target_archE910ELNS1_3gpuE8ELNS1_3repE0EEENS1_30default_config_static_selectorELNS0_4arch9wavefront6targetE1EEEvSY_,@function
_ZN7rocprim17ROCPRIM_400000_NS6detail17trampoline_kernelINS0_13select_configILj256ELj13ELNS0_17block_load_methodE3ELS4_3ELS4_3ELNS0_20block_scan_algorithmE0ELj4294967295EEENS1_25partition_config_selectorILNS1_17partition_subalgoE3EjNS0_10empty_typeEbEEZZNS1_14partition_implILS8_3ELb0ES6_jNS0_17counting_iteratorIjlEEPS9_SE_NS0_5tupleIJPjSE_EEENSF_IJSE_SE_EEES9_SG_JZNS1_25segmented_radix_sort_implINS0_14default_configELb1EPKbPbPKlPlN2at6native12_GLOBAL__N_18offset_tEEE10hipError_tPvRmT1_PNSt15iterator_traitsISY_E10value_typeET2_T3_PNSZ_IS14_E10value_typeET4_jRbjT5_S1A_jjP12ihipStream_tbEUljE_EEESV_SW_SX_S14_S18_S1A_T6_T7_T9_mT8_S1C_bDpT10_ENKUlT_T0_E_clISt17integral_constantIbLb1EES1O_IbLb0EEEEDaS1K_S1L_EUlS1K_E_NS1_11comp_targetILNS1_3genE4ELNS1_11target_archE910ELNS1_3gpuE8ELNS1_3repE0EEENS1_30default_config_static_selectorELNS0_4arch9wavefront6targetE1EEEvSY_: ; @_ZN7rocprim17ROCPRIM_400000_NS6detail17trampoline_kernelINS0_13select_configILj256ELj13ELNS0_17block_load_methodE3ELS4_3ELS4_3ELNS0_20block_scan_algorithmE0ELj4294967295EEENS1_25partition_config_selectorILNS1_17partition_subalgoE3EjNS0_10empty_typeEbEEZZNS1_14partition_implILS8_3ELb0ES6_jNS0_17counting_iteratorIjlEEPS9_SE_NS0_5tupleIJPjSE_EEENSF_IJSE_SE_EEES9_SG_JZNS1_25segmented_radix_sort_implINS0_14default_configELb1EPKbPbPKlPlN2at6native12_GLOBAL__N_18offset_tEEE10hipError_tPvRmT1_PNSt15iterator_traitsISY_E10value_typeET2_T3_PNSZ_IS14_E10value_typeET4_jRbjT5_S1A_jjP12ihipStream_tbEUljE_EEESV_SW_SX_S14_S18_S1A_T6_T7_T9_mT8_S1C_bDpT10_ENKUlT_T0_E_clISt17integral_constantIbLb1EES1O_IbLb0EEEEDaS1K_S1L_EUlS1K_E_NS1_11comp_targetILNS1_3genE4ELNS1_11target_archE910ELNS1_3gpuE8ELNS1_3repE0EEENS1_30default_config_static_selectorELNS0_4arch9wavefront6targetE1EEEvSY_
; %bb.0:
	s_load_dwordx2 s[26:27], s[4:5], 0x58
	s_load_dwordx4 s[20:23], s[4:5], 0x48
	s_load_dword s13, s[4:5], 0x8
	s_load_dwordx2 s[28:29], s[4:5], 0x10
	s_load_dword s12, s[4:5], 0x70
	s_load_dword s7, s[4:5], 0x88
	s_load_dwordx4 s[8:11], s[4:5], 0x78
	s_waitcnt lgkmcnt(0)
	s_load_dwordx2 s[30:31], s[22:23], 0x0
	v_pk_mov_b32 v[2:3], s[26:27], s[26:27] op_sel:[0,1]
	s_add_i32 s2, s12, -1
	s_mulk_i32 s12, 0xd00
	s_add_u32 s0, s28, s12
	s_addc_u32 s1, s29, 0
	s_cmp_eq_u32 s6, s2
	s_cselect_b64 s[22:23], -1, 0
	s_cmp_lg_u32 s6, s2
	s_mul_i32 s42, s6, 0xd00
	v_cmp_lt_u64_e32 vcc, s[0:1], v[2:3]
	s_cselect_b64 s[0:1], -1, 0
	s_or_b64 s[2:3], s[0:1], vcc
	s_add_i32 s0, s13, s42
	s_add_i32 s0, s0, s28
	v_add_u32_e32 v2, s0, v0
	s_mov_b64 s[0:1], -1
	s_and_b64 vcc, exec, s[2:3]
	v_lshlrev_b32_e32 v1, 2, v0
	s_cbranch_vccz .LBB1516_2
; %bb.1:
	v_add_u32_e32 v3, 0x100, v2
	v_add_u32_e32 v4, 0x200, v2
	;; [unrolled: 1-line block ×12, first 2 shown]
	ds_write2st64_b32 v1, v2, v3 offset1:4
	ds_write2st64_b32 v1, v4, v5 offset0:8 offset1:12
	ds_write2st64_b32 v1, v6, v7 offset0:16 offset1:20
	;; [unrolled: 1-line block ×5, first 2 shown]
	ds_write_b32 v1, v14 offset:12288
	s_waitcnt lgkmcnt(0)
	s_barrier
	s_mov_b64 s[0:1], 0
.LBB1516_2:
	s_andn2_b64 vcc, exec, s[0:1]
	s_add_i32 s12, s12, s28
	s_cbranch_vccnz .LBB1516_4
; %bb.3:
	v_add_u32_e32 v3, 0x100, v2
	v_add_u32_e32 v4, 0x200, v2
	v_add_u32_e32 v5, 0x300, v2
	v_add_u32_e32 v6, 0x400, v2
	v_add_u32_e32 v7, 0x500, v2
	v_add_u32_e32 v8, 0x600, v2
	v_add_u32_e32 v9, 0x700, v2
	v_add_u32_e32 v10, 0x800, v2
	v_add_u32_e32 v11, 0x900, v2
	v_add_u32_e32 v12, 0xa00, v2
	v_add_u32_e32 v13, 0xb00, v2
	v_add_u32_e32 v14, 0xc00, v2
	ds_write2st64_b32 v1, v2, v3 offset1:4
	ds_write2st64_b32 v1, v4, v5 offset0:8 offset1:12
	ds_write2st64_b32 v1, v6, v7 offset0:16 offset1:20
	;; [unrolled: 1-line block ×5, first 2 shown]
	ds_write_b32 v1, v14 offset:12288
	s_waitcnt lgkmcnt(0)
	s_barrier
.LBB1516_4:
	v_mul_u32_u24_e32 v33, 13, v0
	v_lshlrev_b32_e32 v2, 2, v33
	s_waitcnt lgkmcnt(0)
	ds_read2_b32 v[30:31], v2 offset1:1
	ds_read2_b32 v[28:29], v2 offset0:2 offset1:3
	ds_read2_b32 v[26:27], v2 offset0:4 offset1:5
	;; [unrolled: 1-line block ×5, first 2 shown]
	ds_read_b32 v32, v2 offset:48
	v_cndmask_b32_e64 v2, 0, 1, s[2:3]
	s_sub_i32 s33, s26, s12
	v_cmp_ne_u32_e64 s[0:1], 1, v2
	s_andn2_b64 vcc, exec, s[2:3]
	s_waitcnt lgkmcnt(0)
	s_barrier
	s_cbranch_vccnz .LBB1516_6
; %bb.5:
	v_add_u32_e32 v2, s9, v30
	v_add_u32_e32 v3, s11, v30
	v_mul_lo_u32 v2, v2, s8
	v_mul_lo_u32 v3, v3, s10
	v_sub_u32_e32 v2, v2, v3
	v_add_u32_e32 v3, s9, v31
	v_add_u32_e32 v4, s11, v31
	v_mul_lo_u32 v3, v3, s8
	v_mul_lo_u32 v4, v4, s10
	v_sub_u32_e32 v3, v3, v4
	;; [unrolled: 5-line block ×6, first 2 shown]
	v_add_u32_e32 v8, s9, v24
	v_add_u32_e32 v9, s11, v24
	v_mul_lo_u32 v8, v8, s8
	v_mul_lo_u32 v9, v9, s10
	v_cmp_lt_u32_e32 vcc, s7, v2
	v_sub_u32_e32 v8, v8, v9
	v_add_u32_e32 v9, s9, v25
	v_add_u32_e32 v10, s11, v25
	v_cndmask_b32_e64 v2, 0, 1, vcc
	v_cmp_lt_u32_e32 vcc, s7, v3
	v_mul_lo_u32 v9, v9, s8
	v_mul_lo_u32 v10, v10, s10
	v_cndmask_b32_e64 v3, 0, 1, vcc
	v_cmp_lt_u32_e32 vcc, s7, v4
	v_sub_u32_e32 v9, v9, v10
	v_add_u32_e32 v10, s9, v22
	v_add_u32_e32 v11, s11, v22
	v_cndmask_b32_e64 v4, 0, 1, vcc
	v_cmp_lt_u32_e32 vcc, s7, v5
	v_mul_lo_u32 v10, v10, s8
	v_mul_lo_u32 v11, v11, s10
	v_cndmask_b32_e64 v5, 0, 1, vcc
	;; [unrolled: 9-line block ×4, first 2 shown]
	v_cmp_lt_u32_e32 vcc, s7, v10
	v_sub_u32_e32 v12, v12, v13
	v_add_u32_e32 v13, s9, v21
	v_add_u32_e32 v14, s11, v21
	v_lshlrev_b16_e32 v3, 8, v3
	v_cndmask_b32_e64 v10, 0, 1, vcc
	v_cmp_lt_u32_e32 vcc, s7, v11
	v_mul_lo_u32 v13, v13, s8
	v_mul_lo_u32 v14, v14, s10
	v_or_b32_e32 v2, v2, v3
	v_lshlrev_b16_e32 v3, 8, v5
	v_cndmask_b32_e64 v11, 0, 1, vcc
	v_cmp_lt_u32_e32 vcc, s7, v12
	v_sub_u32_e32 v13, v13, v14
	v_or_b32_sdwa v3, v4, v3 dst_sel:WORD_1 dst_unused:UNUSED_PAD src0_sel:DWORD src1_sel:DWORD
	v_cndmask_b32_e64 v12, 0, 1, vcc
	v_cmp_lt_u32_e32 vcc, s7, v13
	v_add_u32_e32 v14, s9, v32
	v_add_u32_e32 v15, s11, v32
	v_or_b32_sdwa v37, v2, v3 dst_sel:DWORD dst_unused:UNUSED_PAD src0_sel:WORD_0 src1_sel:DWORD
	v_lshlrev_b16_e32 v2, 8, v7
	v_lshlrev_b16_e32 v3, 8, v9
	v_cndmask_b32_e64 v13, 0, 1, vcc
	v_mul_lo_u32 v14, v14, s8
	v_mul_lo_u32 v15, v15, s10
	v_or_b32_e32 v2, v6, v2
	v_or_b32_sdwa v3, v8, v3 dst_sel:WORD_1 dst_unused:UNUSED_PAD src0_sel:DWORD src1_sel:DWORD
	v_sub_u32_e32 v14, v14, v15
	v_or_b32_sdwa v36, v2, v3 dst_sel:DWORD dst_unused:UNUSED_PAD src0_sel:WORD_0 src1_sel:DWORD
	v_lshlrev_b16_e32 v2, 8, v11
	v_lshlrev_b16_e32 v3, 8, v13
	v_cmp_lt_u32_e32 vcc, s7, v14
	v_or_b32_e32 v2, v10, v2
	v_or_b32_sdwa v3, v12, v3 dst_sel:WORD_1 dst_unused:UNUSED_PAD src0_sel:DWORD src1_sel:DWORD
	v_cndmask_b32_e64 v34, 0, 1, vcc
	v_or_b32_sdwa v35, v2, v3 dst_sel:DWORD dst_unused:UNUSED_PAD src0_sel:WORD_0 src1_sel:DWORD
	s_mov_b64 s[2:3], 0
	s_branch .LBB1516_7
.LBB1516_6:
	s_mov_b64 s[2:3], -1
                                        ; implicit-def: $vgpr34
                                        ; implicit-def: $vgpr35
                                        ; implicit-def: $vgpr36
                                        ; implicit-def: $vgpr37
.LBB1516_7:
	s_load_dwordx2 s[24:25], s[4:5], 0x28
	s_load_dwordx2 s[34:35], s[4:5], 0x68
	s_andn2_b64 vcc, exec, s[2:3]
	s_addk_i32 s33, 0xd00
	s_cbranch_vccnz .LBB1516_35
; %bb.8:
	v_cmp_gt_u32_e32 vcc, s33, v33
	v_mov_b32_e32 v3, 0
	v_mov_b32_e32 v2, 0
	s_and_saveexec_b64 s[2:3], vcc
; %bb.9:
	v_add_u32_e32 v2, s9, v30
	v_add_u32_e32 v4, s11, v30
	v_mul_lo_u32 v2, v2, s8
	v_mul_lo_u32 v4, v4, s10
	v_sub_u32_e32 v2, v2, v4
	v_cmp_lt_u32_e32 vcc, s7, v2
	v_cndmask_b32_e64 v2, 0, 1, vcc
; %bb.10:
	s_or_b64 exec, exec, s[2:3]
	v_add_u32_e32 v4, 1, v33
	v_cmp_gt_u32_e32 vcc, s33, v4
	s_and_saveexec_b64 s[2:3], vcc
; %bb.11:
	v_add_u32_e32 v3, s9, v31
	v_add_u32_e32 v4, s11, v31
	v_mul_lo_u32 v3, v3, s8
	v_mul_lo_u32 v4, v4, s10
	v_sub_u32_e32 v3, v3, v4
	v_cmp_lt_u32_e32 vcc, s7, v3
	v_cndmask_b32_e64 v3, 0, 1, vcc
; %bb.12:
	s_or_b64 exec, exec, s[2:3]
	v_add_u32_e32 v4, 2, v33
	v_cmp_gt_u32_e32 vcc, s33, v4
	v_mov_b32_e32 v5, 0
	v_mov_b32_e32 v4, 0
	s_and_saveexec_b64 s[2:3], vcc
; %bb.13:
	v_add_u32_e32 v4, s9, v28
	v_add_u32_e32 v6, s11, v28
	v_mul_lo_u32 v4, v4, s8
	v_mul_lo_u32 v6, v6, s10
	v_sub_u32_e32 v4, v4, v6
	v_cmp_lt_u32_e32 vcc, s7, v4
	v_cndmask_b32_e64 v4, 0, 1, vcc
; %bb.14:
	s_or_b64 exec, exec, s[2:3]
	v_add_u32_e32 v6, 3, v33
	v_cmp_gt_u32_e32 vcc, s33, v6
	s_and_saveexec_b64 s[2:3], vcc
; %bb.15:
	v_add_u32_e32 v5, s9, v29
	v_add_u32_e32 v6, s11, v29
	v_mul_lo_u32 v5, v5, s8
	v_mul_lo_u32 v6, v6, s10
	v_sub_u32_e32 v5, v5, v6
	v_cmp_lt_u32_e32 vcc, s7, v5
	v_cndmask_b32_e64 v5, 0, 1, vcc
; %bb.16:
	s_or_b64 exec, exec, s[2:3]
	v_add_u32_e32 v6, 4, v33
	;; [unrolled: 28-line block ×6, first 2 shown]
	v_cmp_gt_u32_e32 vcc, s33, v14
	v_mov_b32_e32 v34, 0
	s_and_saveexec_b64 s[2:3], vcc
; %bb.33:
	v_add_u32_e32 v14, s9, v32
	v_add_u32_e32 v15, s11, v32
	v_mul_lo_u32 v14, v14, s8
	v_mul_lo_u32 v15, v15, s10
	v_sub_u32_e32 v14, v14, v15
	v_cmp_lt_u32_e32 vcc, s7, v14
	v_cndmask_b32_e64 v34, 0, 1, vcc
; %bb.34:
	s_or_b64 exec, exec, s[2:3]
	v_lshlrev_b16_e32 v3, 8, v3
	v_or_b32_e32 v2, v2, v3
	v_lshlrev_b16_e32 v3, 8, v5
	v_or_b32_sdwa v3, v4, v3 dst_sel:WORD_1 dst_unused:UNUSED_PAD src0_sel:DWORD src1_sel:DWORD
	v_or_b32_sdwa v37, v2, v3 dst_sel:DWORD dst_unused:UNUSED_PAD src0_sel:WORD_0 src1_sel:DWORD
	v_lshlrev_b16_e32 v2, 8, v7
	v_lshlrev_b16_e32 v3, 8, v9
	v_or_b32_e32 v2, v6, v2
	v_or_b32_sdwa v3, v8, v3 dst_sel:WORD_1 dst_unused:UNUSED_PAD src0_sel:DWORD src1_sel:DWORD
	v_or_b32_sdwa v36, v2, v3 dst_sel:DWORD dst_unused:UNUSED_PAD src0_sel:WORD_0 src1_sel:DWORD
	v_lshlrev_b16_e32 v2, 8, v11
	v_lshlrev_b16_e32 v3, 8, v13
	v_or_b32_e32 v2, v10, v2
	v_or_b32_sdwa v3, v12, v3 dst_sel:WORD_1 dst_unused:UNUSED_PAD src0_sel:DWORD src1_sel:DWORD
	v_or_b32_sdwa v35, v2, v3 dst_sel:DWORD dst_unused:UNUSED_PAD src0_sel:WORD_0 src1_sel:DWORD
.LBB1516_35:
	v_and_b32_e32 v41, 0xff, v37
	v_bfe_u32 v42, v37, 8, 8
	v_bfe_u32 v43, v37, 16, 8
	v_lshrrev_b32_e32 v40, 24, v37
	v_and_b32_e32 v44, 0xff, v36
	v_add3_u32 v3, v42, v41, v43
	v_bfe_u32 v45, v36, 8, 8
	v_bfe_u32 v46, v36, 16, 8
	v_add3_u32 v3, v3, v40, v44
	v_lshrrev_b32_e32 v39, 24, v36
	v_and_b32_e32 v47, 0xff, v35
	v_add3_u32 v3, v3, v45, v46
	v_bfe_u32 v48, v35, 8, 8
	v_bfe_u32 v49, v35, 16, 8
	v_add3_u32 v3, v3, v39, v47
	v_lshrrev_b32_e32 v38, 24, v35
	v_and_b32_e32 v2, 0xff, v34
	v_add3_u32 v3, v3, v48, v49
	v_add3_u32 v52, v3, v38, v2
	v_mbcnt_lo_u32_b32 v2, -1, 0
	v_mbcnt_hi_u32_b32 v50, -1, v2
	v_and_b32_e32 v2, 15, v50
	v_cmp_eq_u32_e64 s[14:15], 0, v2
	v_cmp_lt_u32_e64 s[12:13], 1, v2
	v_cmp_lt_u32_e64 s[10:11], 3, v2
	;; [unrolled: 1-line block ×3, first 2 shown]
	v_and_b32_e32 v2, 16, v50
	v_cmp_eq_u32_e64 s[18:19], 0, v2
	v_or_b32_e32 v2, 63, v0
	s_cmp_lg_u32 s6, 0
	v_cmp_lt_u32_e64 s[2:3], 31, v50
	v_lshrrev_b32_e32 v51, 6, v0
	v_cmp_eq_u32_e64 s[4:5], v2, v0
	s_cbranch_scc0 .LBB1516_66
; %bb.36:
	v_mov_b32_dpp v2, v52 row_shr:1 row_mask:0xf bank_mask:0xf
	v_cndmask_b32_e64 v2, v2, 0, s[14:15]
	v_add_u32_e32 v2, v2, v52
	s_nop 1
	v_mov_b32_dpp v3, v2 row_shr:2 row_mask:0xf bank_mask:0xf
	v_cndmask_b32_e64 v3, 0, v3, s[12:13]
	v_add_u32_e32 v2, v2, v3
	s_nop 1
	;; [unrolled: 4-line block ×4, first 2 shown]
	v_mov_b32_dpp v3, v2 row_bcast:15 row_mask:0xf bank_mask:0xf
	v_cndmask_b32_e64 v3, v3, 0, s[18:19]
	v_add_u32_e32 v2, v2, v3
	s_nop 1
	v_mov_b32_dpp v3, v2 row_bcast:31 row_mask:0xf bank_mask:0xf
	v_cndmask_b32_e64 v3, 0, v3, s[2:3]
	v_add_u32_e32 v2, v2, v3
	s_and_saveexec_b64 s[16:17], s[4:5]
	s_cbranch_execz .LBB1516_38
; %bb.37:
	v_lshlrev_b32_e32 v3, 2, v51
	ds_write_b32 v3, v2
.LBB1516_38:
	s_or_b64 exec, exec, s[16:17]
	v_cmp_gt_u32_e32 vcc, 4, v0
	s_waitcnt lgkmcnt(0)
	s_barrier
	s_and_saveexec_b64 s[16:17], vcc
	s_cbranch_execz .LBB1516_40
; %bb.39:
	ds_read_b32 v3, v1
	v_and_b32_e32 v4, 3, v50
	v_cmp_ne_u32_e32 vcc, 0, v4
	s_waitcnt lgkmcnt(0)
	v_mov_b32_dpp v5, v3 row_shr:1 row_mask:0xf bank_mask:0xf
	v_cndmask_b32_e32 v5, 0, v5, vcc
	v_add_u32_e32 v3, v5, v3
	v_cmp_lt_u32_e32 vcc, 1, v4
	s_nop 0
	v_mov_b32_dpp v5, v3 row_shr:2 row_mask:0xf bank_mask:0xf
	v_cndmask_b32_e32 v4, 0, v5, vcc
	v_add_u32_e32 v3, v3, v4
	ds_write_b32 v1, v3
.LBB1516_40:
	s_or_b64 exec, exec, s[16:17]
	v_cmp_gt_u32_e32 vcc, 64, v0
	v_cmp_lt_u32_e64 s[16:17], 63, v0
	s_waitcnt lgkmcnt(0)
	s_barrier
	s_waitcnt lgkmcnt(0)
                                        ; implicit-def: $vgpr12
	s_and_saveexec_b64 s[36:37], s[16:17]
	s_cbranch_execz .LBB1516_42
; %bb.41:
	v_lshl_add_u32 v3, v51, 2, -4
	ds_read_b32 v12, v3
	s_waitcnt lgkmcnt(0)
	v_add_u32_e32 v2, v12, v2
.LBB1516_42:
	s_or_b64 exec, exec, s[36:37]
	v_add_u32_e32 v3, -1, v50
	v_and_b32_e32 v4, 64, v50
	v_cmp_lt_i32_e64 s[16:17], v3, v4
	v_cndmask_b32_e64 v3, v3, v50, s[16:17]
	v_lshlrev_b32_e32 v3, 2, v3
	ds_bpermute_b32 v13, v3, v2
	v_cmp_eq_u32_e64 s[16:17], 0, v50
	s_and_saveexec_b64 s[36:37], vcc
	s_cbranch_execz .LBB1516_65
; %bb.43:
	v_mov_b32_e32 v11, 0
	ds_read_b32 v2, v11 offset:12
	s_and_saveexec_b64 s[38:39], s[16:17]
	s_cbranch_execz .LBB1516_45
; %bb.44:
	s_add_i32 s40, s6, 64
	s_mov_b32 s41, 0
	s_lshl_b64 s[40:41], s[40:41], 3
	s_add_u32 s40, s34, s40
	v_mov_b32_e32 v3, 1
	s_addc_u32 s41, s35, s41
	s_waitcnt lgkmcnt(0)
	global_store_dwordx2 v11, v[2:3], s[40:41]
.LBB1516_45:
	s_or_b64 exec, exec, s[38:39]
	v_xad_u32 v4, v50, -1, s6
	v_add_u32_e32 v10, 64, v4
	v_lshlrev_b64 v[6:7], 3, v[10:11]
	v_mov_b32_e32 v3, s35
	v_add_co_u32_e32 v6, vcc, s34, v6
	v_addc_co_u32_e32 v7, vcc, v3, v7, vcc
	global_load_dwordx2 v[8:9], v[6:7], off glc
	s_waitcnt vmcnt(0)
	v_cmp_eq_u16_sdwa s[40:41], v9, v11 src0_sel:BYTE_0 src1_sel:DWORD
	s_and_saveexec_b64 s[38:39], s[40:41]
	s_cbranch_execz .LBB1516_51
; %bb.46:
	s_mov_b32 s7, 1
	s_mov_b64 s[40:41], 0
	v_mov_b32_e32 v3, 0
.LBB1516_47:                            ; =>This Loop Header: Depth=1
                                        ;     Child Loop BB1516_48 Depth 2
	s_max_u32 s43, s7, 1
.LBB1516_48:                            ;   Parent Loop BB1516_47 Depth=1
                                        ; =>  This Inner Loop Header: Depth=2
	s_add_i32 s43, s43, -1
	s_cmp_eq_u32 s43, 0
	s_sleep 1
	s_cbranch_scc0 .LBB1516_48
; %bb.49:                               ;   in Loop: Header=BB1516_47 Depth=1
	global_load_dwordx2 v[8:9], v[6:7], off glc
	s_cmp_lt_u32 s7, 32
	s_cselect_b64 s[44:45], -1, 0
	s_cmp_lg_u64 s[44:45], 0
	s_addc_u32 s7, s7, 0
	s_waitcnt vmcnt(0)
	v_cmp_ne_u16_sdwa s[44:45], v9, v3 src0_sel:BYTE_0 src1_sel:DWORD
	s_or_b64 s[40:41], s[44:45], s[40:41]
	s_andn2_b64 exec, exec, s[40:41]
	s_cbranch_execnz .LBB1516_47
; %bb.50:
	s_or_b64 exec, exec, s[40:41]
.LBB1516_51:
	s_or_b64 exec, exec, s[38:39]
	v_and_b32_e32 v14, 63, v50
	v_mov_b32_e32 v3, 2
	v_cmp_ne_u32_e32 vcc, 63, v14
	v_cmp_eq_u16_sdwa s[38:39], v9, v3 src0_sel:BYTE_0 src1_sel:DWORD
	v_lshlrev_b64 v[6:7], v50, -1
	v_addc_co_u32_e32 v11, vcc, 0, v50, vcc
	v_and_b32_e32 v5, s39, v7
	v_lshlrev_b32_e32 v15, 2, v11
	v_or_b32_e32 v5, 0x80000000, v5
	ds_bpermute_b32 v11, v15, v8
	v_and_b32_e32 v10, s38, v6
	v_ffbl_b32_e32 v5, v5
	v_add_u32_e32 v5, 32, v5
	v_ffbl_b32_e32 v10, v10
	v_min_u32_e32 v5, v10, v5
	v_cmp_lt_u32_e32 vcc, v14, v5
	s_waitcnt lgkmcnt(0)
	v_cndmask_b32_e32 v10, 0, v11, vcc
	v_cmp_gt_u32_e32 vcc, 62, v14
	v_add_u32_e32 v8, v10, v8
	v_cndmask_b32_e64 v10, 0, 1, vcc
	v_lshlrev_b32_e32 v10, 1, v10
	v_add_lshl_u32 v16, v10, v50, 2
	ds_bpermute_b32 v10, v16, v8
	v_add_u32_e32 v17, 2, v14
	v_cmp_le_u32_e32 vcc, v17, v5
	v_add_u32_e32 v19, 4, v14
	v_add_u32_e32 v54, 8, v14
	s_waitcnt lgkmcnt(0)
	v_cndmask_b32_e32 v10, 0, v10, vcc
	v_cmp_gt_u32_e32 vcc, 60, v14
	v_add_u32_e32 v8, v8, v10
	v_cndmask_b32_e64 v10, 0, 1, vcc
	v_lshlrev_b32_e32 v10, 2, v10
	v_add_lshl_u32 v18, v10, v50, 2
	ds_bpermute_b32 v10, v18, v8
	v_cmp_le_u32_e32 vcc, v19, v5
	v_add_u32_e32 v57, 16, v14
	v_add_u32_e32 v59, 32, v14
	s_waitcnt lgkmcnt(0)
	v_cndmask_b32_e32 v10, 0, v10, vcc
	v_cmp_gt_u32_e32 vcc, 56, v14
	v_add_u32_e32 v8, v8, v10
	v_cndmask_b32_e64 v10, 0, 1, vcc
	v_lshlrev_b32_e32 v10, 3, v10
	v_add_lshl_u32 v53, v10, v50, 2
	ds_bpermute_b32 v10, v53, v8
	v_cmp_le_u32_e32 vcc, v54, v5
	s_waitcnt lgkmcnt(0)
	v_cndmask_b32_e32 v10, 0, v10, vcc
	v_cmp_gt_u32_e32 vcc, 48, v14
	v_add_u32_e32 v8, v8, v10
	v_cndmask_b32_e64 v10, 0, 1, vcc
	v_lshlrev_b32_e32 v10, 4, v10
	v_add_lshl_u32 v56, v10, v50, 2
	ds_bpermute_b32 v10, v56, v8
	v_cmp_le_u32_e32 vcc, v57, v5
	;; [unrolled: 9-line block ×3, first 2 shown]
	s_waitcnt lgkmcnt(0)
	v_cndmask_b32_e32 v5, 0, v10, vcc
	v_add_u32_e32 v8, v8, v5
	v_mov_b32_e32 v5, 0
	s_branch .LBB1516_53
.LBB1516_52:                            ;   in Loop: Header=BB1516_53 Depth=1
	s_or_b64 exec, exec, s[38:39]
	v_cmp_eq_u16_sdwa s[38:39], v9, v3 src0_sel:BYTE_0 src1_sel:DWORD
	v_and_b32_e32 v10, s39, v7
	v_or_b32_e32 v10, 0x80000000, v10
	ds_bpermute_b32 v60, v15, v8
	v_and_b32_e32 v11, s38, v6
	v_ffbl_b32_e32 v10, v10
	v_add_u32_e32 v10, 32, v10
	v_ffbl_b32_e32 v11, v11
	v_min_u32_e32 v10, v11, v10
	v_cmp_lt_u32_e32 vcc, v14, v10
	s_waitcnt lgkmcnt(0)
	v_cndmask_b32_e32 v11, 0, v60, vcc
	v_add_u32_e32 v8, v11, v8
	ds_bpermute_b32 v11, v16, v8
	v_cmp_le_u32_e32 vcc, v17, v10
	v_subrev_u32_e32 v4, 64, v4
	s_waitcnt lgkmcnt(0)
	v_cndmask_b32_e32 v11, 0, v11, vcc
	v_add_u32_e32 v8, v8, v11
	ds_bpermute_b32 v11, v18, v8
	v_cmp_le_u32_e32 vcc, v19, v10
	s_waitcnt lgkmcnt(0)
	v_cndmask_b32_e32 v11, 0, v11, vcc
	v_add_u32_e32 v8, v8, v11
	ds_bpermute_b32 v11, v53, v8
	v_cmp_le_u32_e32 vcc, v54, v10
	;; [unrolled: 5-line block ×4, first 2 shown]
	s_waitcnt lgkmcnt(0)
	v_cndmask_b32_e32 v10, 0, v11, vcc
	v_add3_u32 v8, v10, v55, v8
.LBB1516_53:                            ; =>This Loop Header: Depth=1
                                        ;     Child Loop BB1516_56 Depth 2
                                        ;       Child Loop BB1516_57 Depth 3
	v_cmp_ne_u16_sdwa s[38:39], v9, v3 src0_sel:BYTE_0 src1_sel:DWORD
	v_cndmask_b32_e64 v9, 0, 1, s[38:39]
	;;#ASMSTART
	;;#ASMEND
	v_cmp_ne_u32_e32 vcc, 0, v9
	s_cmp_lg_u64 vcc, exec
	v_mov_b32_e32 v55, v8
	s_cbranch_scc1 .LBB1516_60
; %bb.54:                               ;   in Loop: Header=BB1516_53 Depth=1
	v_lshlrev_b64 v[8:9], 3, v[4:5]
	v_mov_b32_e32 v11, s35
	v_add_co_u32_e32 v10, vcc, s34, v8
	v_addc_co_u32_e32 v11, vcc, v11, v9, vcc
	global_load_dwordx2 v[8:9], v[10:11], off glc
	s_waitcnt vmcnt(0)
	v_cmp_eq_u16_sdwa s[40:41], v9, v5 src0_sel:BYTE_0 src1_sel:DWORD
	s_and_saveexec_b64 s[38:39], s[40:41]
	s_cbranch_execz .LBB1516_52
; %bb.55:                               ;   in Loop: Header=BB1516_53 Depth=1
	s_mov_b32 s7, 1
	s_mov_b64 s[40:41], 0
.LBB1516_56:                            ;   Parent Loop BB1516_53 Depth=1
                                        ; =>  This Loop Header: Depth=2
                                        ;       Child Loop BB1516_57 Depth 3
	s_max_u32 s43, s7, 1
.LBB1516_57:                            ;   Parent Loop BB1516_53 Depth=1
                                        ;     Parent Loop BB1516_56 Depth=2
                                        ; =>    This Inner Loop Header: Depth=3
	s_add_i32 s43, s43, -1
	s_cmp_eq_u32 s43, 0
	s_sleep 1
	s_cbranch_scc0 .LBB1516_57
; %bb.58:                               ;   in Loop: Header=BB1516_56 Depth=2
	global_load_dwordx2 v[8:9], v[10:11], off glc
	s_cmp_lt_u32 s7, 32
	s_cselect_b64 s[44:45], -1, 0
	s_cmp_lg_u64 s[44:45], 0
	s_addc_u32 s7, s7, 0
	s_waitcnt vmcnt(0)
	v_cmp_ne_u16_sdwa s[44:45], v9, v5 src0_sel:BYTE_0 src1_sel:DWORD
	s_or_b64 s[40:41], s[44:45], s[40:41]
	s_andn2_b64 exec, exec, s[40:41]
	s_cbranch_execnz .LBB1516_56
; %bb.59:                               ;   in Loop: Header=BB1516_53 Depth=1
	s_or_b64 exec, exec, s[40:41]
	s_branch .LBB1516_52
.LBB1516_60:                            ;   in Loop: Header=BB1516_53 Depth=1
                                        ; implicit-def: $vgpr8
                                        ; implicit-def: $vgpr9
	s_cbranch_execz .LBB1516_53
; %bb.61:
	s_and_saveexec_b64 s[38:39], s[16:17]
	s_cbranch_execz .LBB1516_63
; %bb.62:
	s_add_i32 s6, s6, 64
	s_mov_b32 s7, 0
	s_lshl_b64 s[6:7], s[6:7], 3
	s_add_u32 s6, s34, s6
	v_add_u32_e32 v4, v55, v2
	v_mov_b32_e32 v5, 2
	s_addc_u32 s7, s35, s7
	v_mov_b32_e32 v3, 0
	global_store_dwordx2 v3, v[4:5], s[6:7]
	s_movk_i32 s6, 0x3400
	v_add_u32_e64 v3, s6, 0
	ds_write2_b32 v3, v2, v55 offset1:2
.LBB1516_63:
	s_or_b64 exec, exec, s[38:39]
	v_cmp_eq_u32_e32 vcc, 0, v0
	s_and_b64 exec, exec, vcc
	s_cbranch_execz .LBB1516_65
; %bb.64:
	v_mov_b32_e32 v2, 0
	ds_write_b32 v2, v55 offset:12
.LBB1516_65:
	s_or_b64 exec, exec, s[36:37]
	v_mov_b32_e32 v2, 0
	s_waitcnt lgkmcnt(0)
	s_barrier
	ds_read_b32 v2, v2 offset:12
	v_cndmask_b32_e64 v3, v13, v12, s[16:17]
	v_cmp_ne_u32_e32 vcc, 0, v0
	v_cndmask_b32_e32 v3, 0, v3, vcc
	s_movk_i32 s6, 0x3400
	s_waitcnt lgkmcnt(0)
	v_add_u32_e32 v2, v2, v3
	v_add_u32_e32 v3, v2, v41
	;; [unrolled: 1-line block ×8, first 2 shown]
	v_add_u32_e64 v12, s6, 0
	v_add_u32_e32 v10, v9, v39
	s_barrier
	ds_read2_b32 v[18:19], v12 offset1:2
	v_add_u32_e32 v11, v10, v47
	v_add_u32_e32 v12, v11, v48
	;; [unrolled: 1-line block ×4, first 2 shown]
	s_branch .LBB1516_76
.LBB1516_66:
                                        ; implicit-def: $vgpr19
                                        ; implicit-def: $vgpr2_vgpr3_vgpr4_vgpr5_vgpr6_vgpr7_vgpr8_vgpr9_vgpr10_vgpr11_vgpr12_vgpr13_vgpr14_vgpr15_vgpr16_vgpr17
	s_cbranch_execz .LBB1516_76
; %bb.67:
	s_nop 0
	v_mov_b32_dpp v2, v52 row_shr:1 row_mask:0xf bank_mask:0xf
	v_cndmask_b32_e64 v2, v2, 0, s[14:15]
	v_add_u32_e32 v2, v2, v52
	s_nop 1
	v_mov_b32_dpp v3, v2 row_shr:2 row_mask:0xf bank_mask:0xf
	v_cndmask_b32_e64 v3, 0, v3, s[12:13]
	v_add_u32_e32 v2, v2, v3
	;; [unrolled: 4-line block ×4, first 2 shown]
	s_nop 1
	v_mov_b32_dpp v3, v2 row_bcast:15 row_mask:0xf bank_mask:0xf
	v_cndmask_b32_e64 v3, v3, 0, s[18:19]
	v_add_u32_e32 v2, v2, v3
	s_nop 1
	v_mov_b32_dpp v3, v2 row_bcast:31 row_mask:0xf bank_mask:0xf
	v_cndmask_b32_e64 v3, 0, v3, s[2:3]
	v_add_u32_e32 v2, v2, v3
	s_and_saveexec_b64 s[2:3], s[4:5]
	s_cbranch_execz .LBB1516_69
; %bb.68:
	v_lshlrev_b32_e32 v3, 2, v51
	ds_write_b32 v3, v2
.LBB1516_69:
	s_or_b64 exec, exec, s[2:3]
	v_cmp_gt_u32_e32 vcc, 4, v0
	s_waitcnt lgkmcnt(0)
	s_barrier
	s_and_saveexec_b64 s[2:3], vcc
	s_cbranch_execz .LBB1516_71
; %bb.70:
	ds_read_b32 v3, v1
	v_and_b32_e32 v4, 3, v50
	v_cmp_ne_u32_e32 vcc, 0, v4
	s_waitcnt lgkmcnt(0)
	v_mov_b32_dpp v5, v3 row_shr:1 row_mask:0xf bank_mask:0xf
	v_cndmask_b32_e32 v5, 0, v5, vcc
	v_add_u32_e32 v3, v5, v3
	v_cmp_lt_u32_e32 vcc, 1, v4
	s_nop 0
	v_mov_b32_dpp v5, v3 row_shr:2 row_mask:0xf bank_mask:0xf
	v_cndmask_b32_e32 v4, 0, v5, vcc
	v_add_u32_e32 v3, v3, v4
	ds_write_b32 v1, v3
.LBB1516_71:
	s_or_b64 exec, exec, s[2:3]
	v_cmp_lt_u32_e32 vcc, 63, v0
	v_mov_b32_e32 v4, 0
	v_mov_b32_e32 v3, 0
	s_waitcnt lgkmcnt(0)
	s_barrier
	s_and_saveexec_b64 s[2:3], vcc
	s_cbranch_execz .LBB1516_73
; %bb.72:
	v_lshl_add_u32 v3, v51, 2, -4
	ds_read_b32 v3, v3
.LBB1516_73:
	s_or_b64 exec, exec, s[2:3]
	v_add_u32_e32 v5, -1, v50
	v_and_b32_e32 v6, 64, v50
	v_cmp_lt_i32_e32 vcc, v5, v6
	v_cndmask_b32_e32 v5, v5, v50, vcc
	s_waitcnt lgkmcnt(0)
	v_add_u32_e32 v2, v3, v2
	v_lshlrev_b32_e32 v5, 2, v5
	ds_bpermute_b32 v2, v5, v2
	ds_read_b32 v18, v4 offset:12
	v_cmp_eq_u32_e32 vcc, 0, v0
	s_and_saveexec_b64 s[2:3], vcc
	s_cbranch_execz .LBB1516_75
; %bb.74:
	v_mov_b32_e32 v4, 0
	v_mov_b32_e32 v19, 2
	s_waitcnt lgkmcnt(0)
	global_store_dwordx2 v4, v[18:19], s[34:35] offset:512
.LBB1516_75:
	s_or_b64 exec, exec, s[2:3]
	v_cmp_eq_u32_e64 s[2:3], 0, v50
	s_waitcnt lgkmcnt(1)
	v_cndmask_b32_e64 v2, v2, v3, s[2:3]
	v_cndmask_b32_e64 v2, v2, 0, vcc
	v_add_u32_e32 v3, v2, v41
	v_add_u32_e32 v4, v3, v42
	;; [unrolled: 1-line block ×11, first 2 shown]
	v_mov_b32_e32 v19, 0
	v_add_u32_e32 v14, v13, v38
	s_waitcnt lgkmcnt(0)
	s_barrier
.LBB1516_76:
	s_waitcnt lgkmcnt(0)
	v_add_u32_e32 v33, v18, v33
	v_sub_u32_e32 v2, v2, v19
	v_and_b32_e32 v42, 1, v37
	v_sub_u32_e32 v41, v33, v2
	v_cmp_eq_u32_e32 vcc, 1, v42
	v_cndmask_b32_e32 v2, v41, v2, vcc
	v_lshlrev_b32_e32 v2, 2, v2
	v_lshrrev_b32_e32 v17, 8, v37
	ds_write_b32 v2, v30
	v_sub_u32_e32 v2, v3, v19
	v_sub_u32_e32 v3, v33, v2
	v_and_b32_e32 v17, 1, v17
	v_add_u32_e32 v3, 1, v3
	v_cmp_eq_u32_e32 vcc, 1, v17
	v_cndmask_b32_e32 v2, v3, v2, vcc
	v_lshlrev_b32_e32 v2, 2, v2
	ds_write_b32 v2, v31
	v_sub_u32_e32 v2, v4, v19
	v_mov_b32_e32 v4, 1
	v_sub_u32_e32 v3, v33, v2
	v_and_b32_sdwa v17, v4, v37 dst_sel:DWORD dst_unused:UNUSED_PAD src0_sel:DWORD src1_sel:WORD_1
	v_add_u32_e32 v3, 2, v3
	v_cmp_eq_u32_e32 vcc, 1, v17
	v_cndmask_b32_e32 v2, v3, v2, vcc
	v_lshlrev_b32_e32 v2, 2, v2
	ds_write_b32 v2, v28
	v_sub_u32_e32 v2, v5, v19
	v_sub_u32_e32 v3, v33, v2
	v_and_b32_e32 v5, 1, v40
	v_add_u32_e32 v3, 3, v3
	v_cmp_eq_u32_e32 vcc, 1, v5
	v_cndmask_b32_e32 v2, v3, v2, vcc
	v_lshlrev_b32_e32 v2, 2, v2
	ds_write_b32 v2, v29
	v_sub_u32_e32 v2, v6, v19
	v_sub_u32_e32 v3, v33, v2
	v_and_b32_e32 v5, 1, v36
	v_add_u32_e32 v3, 4, v3
	v_cmp_eq_u32_e32 vcc, 1, v5
	v_cndmask_b32_e32 v2, v3, v2, vcc
	v_lshlrev_b32_e32 v2, 2, v2
	v_lshrrev_b32_e32 v16, 8, v36
	ds_write_b32 v2, v26
	v_sub_u32_e32 v2, v7, v19
	v_sub_u32_e32 v3, v33, v2
	v_and_b32_e32 v5, 1, v16
	v_add_u32_e32 v3, 5, v3
	v_cmp_eq_u32_e32 vcc, 1, v5
	v_cndmask_b32_e32 v2, v3, v2, vcc
	v_lshlrev_b32_e32 v2, 2, v2
	ds_write_b32 v2, v27
	v_sub_u32_e32 v2, v8, v19
	v_sub_u32_e32 v3, v33, v2
	v_and_b32_sdwa v5, v4, v36 dst_sel:DWORD dst_unused:UNUSED_PAD src0_sel:DWORD src1_sel:WORD_1
	v_add_u32_e32 v3, 6, v3
	v_cmp_eq_u32_e32 vcc, 1, v5
	v_cndmask_b32_e32 v2, v3, v2, vcc
	v_lshlrev_b32_e32 v2, 2, v2
	ds_write_b32 v2, v24
	v_sub_u32_e32 v2, v9, v19
	v_sub_u32_e32 v3, v33, v2
	v_and_b32_e32 v5, 1, v39
	v_add_u32_e32 v3, 7, v3
	v_cmp_eq_u32_e32 vcc, 1, v5
	v_cndmask_b32_e32 v2, v3, v2, vcc
	v_lshlrev_b32_e32 v2, 2, v2
	ds_write_b32 v2, v25
	v_sub_u32_e32 v2, v10, v19
	v_sub_u32_e32 v3, v33, v2
	v_and_b32_e32 v5, 1, v35
	v_add_u32_e32 v3, 8, v3
	v_cmp_eq_u32_e32 vcc, 1, v5
	v_cndmask_b32_e32 v2, v3, v2, vcc
	v_lshlrev_b32_e32 v2, 2, v2
	v_lshrrev_b32_e32 v15, 8, v35
	ds_write_b32 v2, v22
	v_sub_u32_e32 v2, v11, v19
	v_sub_u32_e32 v3, v33, v2
	v_and_b32_e32 v5, 1, v15
	v_add_u32_e32 v3, 9, v3
	v_cmp_eq_u32_e32 vcc, 1, v5
	v_cndmask_b32_e32 v2, v3, v2, vcc
	v_lshlrev_b32_e32 v2, 2, v2
	ds_write_b32 v2, v23
	v_sub_u32_e32 v2, v12, v19
	v_sub_u32_e32 v3, v33, v2
	v_and_b32_sdwa v4, v4, v35 dst_sel:DWORD dst_unused:UNUSED_PAD src0_sel:DWORD src1_sel:WORD_1
	v_add_u32_e32 v3, 10, v3
	v_cmp_eq_u32_e32 vcc, 1, v4
	v_cndmask_b32_e32 v2, v3, v2, vcc
	v_lshlrev_b32_e32 v2, 2, v2
	ds_write_b32 v2, v20
	v_sub_u32_e32 v2, v13, v19
	v_sub_u32_e32 v3, v33, v2
	v_and_b32_e32 v4, 1, v38
	v_add_u32_e32 v3, 11, v3
	v_cmp_eq_u32_e32 vcc, 1, v4
	v_cndmask_b32_e32 v2, v3, v2, vcc
	v_lshlrev_b32_e32 v2, 2, v2
	ds_write_b32 v2, v21
	v_sub_u32_e32 v2, v14, v19
	v_sub_u32_e32 v3, v33, v2
	v_and_b32_e32 v4, 1, v34
	v_add_u32_e32 v3, 12, v3
	v_cmp_eq_u32_e32 vcc, 1, v4
	v_cndmask_b32_e32 v2, v3, v2, vcc
	s_add_u32 s2, s28, s42
	v_lshlrev_b32_e32 v2, 2, v2
	s_addc_u32 s3, s29, 0
	ds_write_b32 v2, v32
	s_waitcnt lgkmcnt(0)
	s_barrier
	ds_read2st64_b32 v[12:13], v1 offset1:4
	ds_read2st64_b32 v[10:11], v1 offset0:8 offset1:12
	ds_read2st64_b32 v[8:9], v1 offset0:16 offset1:20
	;; [unrolled: 1-line block ×5, first 2 shown]
	ds_read_b32 v17, v1 offset:12288
	v_mov_b32_e32 v14, s31
	v_add_co_u32_e32 v1, vcc, s30, v19
	s_sub_u32 s2, s26, s2
	v_addc_co_u32_e32 v16, vcc, 0, v14, vcc
	s_subb_u32 s3, s27, s3
	v_mov_b32_e32 v14, s3
	v_add_co_u32_e32 v15, vcc, s2, v18
	v_addc_co_u32_e32 v14, vcc, 0, v14, vcc
	s_and_b64 vcc, exec, s[0:1]
	v_add_co_u32_e64 v19, s[0:1], v15, v1
	v_or_b32_e32 v32, 0x100, v0
	v_or_b32_e32 v31, 0x200, v0
	v_or_b32_e32 v30, 0x300, v0
	v_or_b32_e32 v29, 0x400, v0
	v_or_b32_e32 v28, 0x500, v0
	v_or_b32_e32 v27, 0x600, v0
	v_or_b32_e32 v26, 0x700, v0
	v_or_b32_e32 v25, 0x800, v0
	v_or_b32_e32 v24, 0x900, v0
	v_or_b32_e32 v23, 0xa00, v0
	v_or_b32_e32 v22, 0xb00, v0
	v_or_b32_e32 v20, 0xc00, v0
	v_addc_co_u32_e64 v21, s[0:1], v14, v16, s[0:1]
	s_cbranch_vccnz .LBB1516_130
; %bb.77:
	v_cmp_ge_u32_e32 vcc, v0, v18
                                        ; implicit-def: $vgpr14_vgpr15
	s_and_saveexec_b64 s[0:1], vcc
	s_xor_b64 s[0:1], exec, s[0:1]
; %bb.78:
	v_not_b32_e32 v14, v0
	v_ashrrev_i32_e32 v15, 31, v14
	v_add_co_u32_e32 v14, vcc, v19, v14
	v_addc_co_u32_e32 v15, vcc, v21, v15, vcc
; %bb.79:
	s_andn2_saveexec_b64 s[0:1], s[0:1]
; %bb.80:
	v_add_co_u32_e32 v14, vcc, v1, v0
	v_addc_co_u32_e32 v15, vcc, 0, v16, vcc
; %bb.81:
	s_or_b64 exec, exec, s[0:1]
	v_lshlrev_b64 v[14:15], 2, v[14:15]
	v_mov_b32_e32 v33, s25
	v_add_co_u32_e32 v14, vcc, s24, v14
	v_addc_co_u32_e32 v15, vcc, v33, v15, vcc
	v_cmp_ge_u32_e32 vcc, v32, v18
	s_waitcnt lgkmcnt(6)
	global_store_dword v[14:15], v12, off
                                        ; implicit-def: $vgpr14_vgpr15
	s_and_saveexec_b64 s[0:1], vcc
	s_xor_b64 s[0:1], exec, s[0:1]
; %bb.82:
	v_xor_b32_e32 v14, 0xfffffeff, v0
	v_ashrrev_i32_e32 v15, 31, v14
	v_add_co_u32_e32 v14, vcc, v19, v14
	v_addc_co_u32_e32 v15, vcc, v21, v15, vcc
; %bb.83:
	s_andn2_saveexec_b64 s[0:1], s[0:1]
; %bb.84:
	v_add_co_u32_e32 v14, vcc, v1, v32
	v_addc_co_u32_e32 v15, vcc, 0, v16, vcc
; %bb.85:
	s_or_b64 exec, exec, s[0:1]
	v_lshlrev_b64 v[14:15], 2, v[14:15]
	v_mov_b32_e32 v33, s25
	v_add_co_u32_e32 v14, vcc, s24, v14
	v_addc_co_u32_e32 v15, vcc, v33, v15, vcc
	v_cmp_ge_u32_e32 vcc, v31, v18
	global_store_dword v[14:15], v13, off
                                        ; implicit-def: $vgpr14_vgpr15
	s_and_saveexec_b64 s[0:1], vcc
	s_xor_b64 s[0:1], exec, s[0:1]
; %bb.86:
	v_xor_b32_e32 v14, 0xfffffdff, v0
	v_ashrrev_i32_e32 v15, 31, v14
	v_add_co_u32_e32 v14, vcc, v19, v14
	v_addc_co_u32_e32 v15, vcc, v21, v15, vcc
; %bb.87:
	s_andn2_saveexec_b64 s[0:1], s[0:1]
; %bb.88:
	v_add_co_u32_e32 v14, vcc, v1, v31
	v_addc_co_u32_e32 v15, vcc, 0, v16, vcc
; %bb.89:
	s_or_b64 exec, exec, s[0:1]
	v_lshlrev_b64 v[14:15], 2, v[14:15]
	v_mov_b32_e32 v33, s25
	v_add_co_u32_e32 v14, vcc, s24, v14
	v_addc_co_u32_e32 v15, vcc, v33, v15, vcc
	v_cmp_ge_u32_e32 vcc, v30, v18
	s_waitcnt lgkmcnt(5)
	global_store_dword v[14:15], v10, off
                                        ; implicit-def: $vgpr14_vgpr15
	s_and_saveexec_b64 s[0:1], vcc
	s_xor_b64 s[0:1], exec, s[0:1]
; %bb.90:
	v_xor_b32_e32 v14, 0xfffffcff, v0
	v_ashrrev_i32_e32 v15, 31, v14
	v_add_co_u32_e32 v14, vcc, v19, v14
	v_addc_co_u32_e32 v15, vcc, v21, v15, vcc
; %bb.91:
	s_andn2_saveexec_b64 s[0:1], s[0:1]
; %bb.92:
	v_add_co_u32_e32 v14, vcc, v1, v30
	v_addc_co_u32_e32 v15, vcc, 0, v16, vcc
; %bb.93:
	s_or_b64 exec, exec, s[0:1]
	v_lshlrev_b64 v[14:15], 2, v[14:15]
	v_mov_b32_e32 v33, s25
	v_add_co_u32_e32 v14, vcc, s24, v14
	v_addc_co_u32_e32 v15, vcc, v33, v15, vcc
	v_cmp_ge_u32_e32 vcc, v29, v18
	global_store_dword v[14:15], v11, off
                                        ; implicit-def: $vgpr14_vgpr15
	s_and_saveexec_b64 s[0:1], vcc
	s_xor_b64 s[0:1], exec, s[0:1]
; %bb.94:
	v_xor_b32_e32 v14, 0xfffffbff, v0
	;; [unrolled: 43-line block ×6, first 2 shown]
	v_ashrrev_i32_e32 v15, 31, v14
	v_add_co_u32_e32 v14, vcc, v19, v14
	v_addc_co_u32_e32 v15, vcc, v21, v15, vcc
; %bb.127:
	s_andn2_saveexec_b64 s[0:1], s[0:1]
; %bb.128:
	v_add_co_u32_e32 v14, vcc, v1, v20
	v_addc_co_u32_e32 v15, vcc, 0, v16, vcc
; %bb.129:
	s_or_b64 exec, exec, s[0:1]
	s_mov_b64 s[0:1], -1
	s_branch .LBB1516_210
.LBB1516_130:
	s_mov_b64 s[0:1], 0
                                        ; implicit-def: $vgpr14_vgpr15
	s_cbranch_execz .LBB1516_210
; %bb.131:
	v_cmp_gt_u32_e32 vcc, s33, v0
	s_and_saveexec_b64 s[2:3], vcc
	s_cbranch_execz .LBB1516_167
; %bb.132:
	v_cmp_ge_u32_e32 vcc, v0, v18
                                        ; implicit-def: $vgpr14_vgpr15
	s_and_saveexec_b64 s[4:5], vcc
	s_xor_b64 s[4:5], exec, s[4:5]
; %bb.133:
	v_not_b32_e32 v14, v0
	v_ashrrev_i32_e32 v15, 31, v14
	v_add_co_u32_e32 v14, vcc, v19, v14
	v_addc_co_u32_e32 v15, vcc, v21, v15, vcc
; %bb.134:
	s_andn2_saveexec_b64 s[4:5], s[4:5]
; %bb.135:
	v_add_co_u32_e32 v14, vcc, v1, v0
	v_addc_co_u32_e32 v15, vcc, 0, v16, vcc
; %bb.136:
	s_or_b64 exec, exec, s[4:5]
	v_lshlrev_b64 v[14:15], 2, v[14:15]
	v_mov_b32_e32 v33, s25
	v_add_co_u32_e32 v14, vcc, s24, v14
	v_addc_co_u32_e32 v15, vcc, v33, v15, vcc
	s_waitcnt lgkmcnt(6)
	global_store_dword v[14:15], v12, off
	s_or_b64 exec, exec, s[2:3]
	v_cmp_gt_u32_e32 vcc, s33, v32
	s_and_saveexec_b64 s[2:3], vcc
	s_cbranch_execnz .LBB1516_168
.LBB1516_137:
	s_or_b64 exec, exec, s[2:3]
	v_cmp_gt_u32_e32 vcc, s33, v31
	s_and_saveexec_b64 s[2:3], vcc
	s_cbranch_execz .LBB1516_173
.LBB1516_138:
	v_cmp_ge_u32_e32 vcc, v31, v18
                                        ; implicit-def: $vgpr12_vgpr13
	s_and_saveexec_b64 s[4:5], vcc
	s_xor_b64 s[4:5], exec, s[4:5]
	s_cbranch_execz .LBB1516_140
; %bb.139:
	s_waitcnt lgkmcnt(6)
	v_xor_b32_e32 v12, 0xfffffdff, v0
	v_ashrrev_i32_e32 v13, 31, v12
	v_add_co_u32_e32 v12, vcc, v19, v12
	v_addc_co_u32_e32 v13, vcc, v21, v13, vcc
                                        ; implicit-def: $vgpr31
.LBB1516_140:
	s_andn2_saveexec_b64 s[4:5], s[4:5]
	s_cbranch_execz .LBB1516_142
; %bb.141:
	s_waitcnt lgkmcnt(6)
	v_add_co_u32_e32 v12, vcc, v1, v31
	v_addc_co_u32_e32 v13, vcc, 0, v16, vcc
.LBB1516_142:
	s_or_b64 exec, exec, s[4:5]
	s_waitcnt lgkmcnt(6)
	v_lshlrev_b64 v[12:13], 2, v[12:13]
	v_mov_b32_e32 v14, s25
	v_add_co_u32_e32 v12, vcc, s24, v12
	v_addc_co_u32_e32 v13, vcc, v14, v13, vcc
	s_waitcnt lgkmcnt(5)
	global_store_dword v[12:13], v10, off
	s_or_b64 exec, exec, s[2:3]
	v_cmp_gt_u32_e32 vcc, s33, v30
	s_and_saveexec_b64 s[2:3], vcc
	s_cbranch_execnz .LBB1516_174
.LBB1516_143:
	s_or_b64 exec, exec, s[2:3]
	v_cmp_gt_u32_e32 vcc, s33, v29
	s_and_saveexec_b64 s[2:3], vcc
	s_cbranch_execz .LBB1516_179
.LBB1516_144:
	v_cmp_ge_u32_e32 vcc, v29, v18
                                        ; implicit-def: $vgpr10_vgpr11
	s_and_saveexec_b64 s[4:5], vcc
	s_xor_b64 s[4:5], exec, s[4:5]
	s_cbranch_execz .LBB1516_146
; %bb.145:
	s_waitcnt lgkmcnt(5)
	v_xor_b32_e32 v10, 0xfffffbff, v0
	v_ashrrev_i32_e32 v11, 31, v10
	v_add_co_u32_e32 v10, vcc, v19, v10
	v_addc_co_u32_e32 v11, vcc, v21, v11, vcc
                                        ; implicit-def: $vgpr29
.LBB1516_146:
	s_andn2_saveexec_b64 s[4:5], s[4:5]
	s_cbranch_execz .LBB1516_148
; %bb.147:
	s_waitcnt lgkmcnt(5)
	v_add_co_u32_e32 v10, vcc, v1, v29
	v_addc_co_u32_e32 v11, vcc, 0, v16, vcc
.LBB1516_148:
	s_or_b64 exec, exec, s[4:5]
	s_waitcnt lgkmcnt(5)
	v_lshlrev_b64 v[10:11], 2, v[10:11]
	v_mov_b32_e32 v12, s25
	v_add_co_u32_e32 v10, vcc, s24, v10
	v_addc_co_u32_e32 v11, vcc, v12, v11, vcc
	s_waitcnt lgkmcnt(4)
	global_store_dword v[10:11], v8, off
	s_or_b64 exec, exec, s[2:3]
	v_cmp_gt_u32_e32 vcc, s33, v28
	s_and_saveexec_b64 s[2:3], vcc
	s_cbranch_execnz .LBB1516_180
.LBB1516_149:
	s_or_b64 exec, exec, s[2:3]
	v_cmp_gt_u32_e32 vcc, s33, v27
	s_and_saveexec_b64 s[2:3], vcc
	s_cbranch_execz .LBB1516_185
.LBB1516_150:
	v_cmp_ge_u32_e32 vcc, v27, v18
                                        ; implicit-def: $vgpr8_vgpr9
	s_and_saveexec_b64 s[4:5], vcc
	s_xor_b64 s[4:5], exec, s[4:5]
	s_cbranch_execz .LBB1516_152
; %bb.151:
	s_waitcnt lgkmcnt(4)
	v_xor_b32_e32 v8, 0xfffff9ff, v0
	v_ashrrev_i32_e32 v9, 31, v8
	v_add_co_u32_e32 v8, vcc, v19, v8
	v_addc_co_u32_e32 v9, vcc, v21, v9, vcc
                                        ; implicit-def: $vgpr27
.LBB1516_152:
	s_andn2_saveexec_b64 s[4:5], s[4:5]
	s_cbranch_execz .LBB1516_154
; %bb.153:
	s_waitcnt lgkmcnt(4)
	v_add_co_u32_e32 v8, vcc, v1, v27
	v_addc_co_u32_e32 v9, vcc, 0, v16, vcc
.LBB1516_154:
	s_or_b64 exec, exec, s[4:5]
	s_waitcnt lgkmcnt(4)
	v_lshlrev_b64 v[8:9], 2, v[8:9]
	v_mov_b32_e32 v10, s25
	v_add_co_u32_e32 v8, vcc, s24, v8
	v_addc_co_u32_e32 v9, vcc, v10, v9, vcc
	s_waitcnt lgkmcnt(3)
	global_store_dword v[8:9], v6, off
	s_or_b64 exec, exec, s[2:3]
	v_cmp_gt_u32_e32 vcc, s33, v26
	s_and_saveexec_b64 s[2:3], vcc
	s_cbranch_execnz .LBB1516_186
.LBB1516_155:
	s_or_b64 exec, exec, s[2:3]
	v_cmp_gt_u32_e32 vcc, s33, v25
	s_and_saveexec_b64 s[2:3], vcc
	s_cbranch_execz .LBB1516_191
.LBB1516_156:
	v_cmp_ge_u32_e32 vcc, v25, v18
                                        ; implicit-def: $vgpr6_vgpr7
	s_and_saveexec_b64 s[4:5], vcc
	s_xor_b64 s[4:5], exec, s[4:5]
	s_cbranch_execz .LBB1516_158
; %bb.157:
	s_waitcnt lgkmcnt(3)
	v_xor_b32_e32 v6, 0xfffff7ff, v0
	v_ashrrev_i32_e32 v7, 31, v6
	v_add_co_u32_e32 v6, vcc, v19, v6
	v_addc_co_u32_e32 v7, vcc, v21, v7, vcc
                                        ; implicit-def: $vgpr25
.LBB1516_158:
	s_andn2_saveexec_b64 s[4:5], s[4:5]
	s_cbranch_execz .LBB1516_160
; %bb.159:
	s_waitcnt lgkmcnt(3)
	v_add_co_u32_e32 v6, vcc, v1, v25
	v_addc_co_u32_e32 v7, vcc, 0, v16, vcc
.LBB1516_160:
	s_or_b64 exec, exec, s[4:5]
	s_waitcnt lgkmcnt(3)
	v_lshlrev_b64 v[6:7], 2, v[6:7]
	v_mov_b32_e32 v8, s25
	v_add_co_u32_e32 v6, vcc, s24, v6
	v_addc_co_u32_e32 v7, vcc, v8, v7, vcc
	s_waitcnt lgkmcnt(2)
	global_store_dword v[6:7], v4, off
	s_or_b64 exec, exec, s[2:3]
	v_cmp_gt_u32_e32 vcc, s33, v24
	s_and_saveexec_b64 s[2:3], vcc
	s_cbranch_execnz .LBB1516_192
.LBB1516_161:
	s_or_b64 exec, exec, s[2:3]
	v_cmp_gt_u32_e32 vcc, s33, v23
	s_and_saveexec_b64 s[2:3], vcc
	s_cbranch_execz .LBB1516_197
.LBB1516_162:
	v_cmp_ge_u32_e32 vcc, v23, v18
                                        ; implicit-def: $vgpr4_vgpr5
	s_and_saveexec_b64 s[4:5], vcc
	s_xor_b64 s[4:5], exec, s[4:5]
	s_cbranch_execz .LBB1516_164
; %bb.163:
	s_waitcnt lgkmcnt(2)
	v_xor_b32_e32 v4, 0xfffff5ff, v0
	v_ashrrev_i32_e32 v5, 31, v4
	v_add_co_u32_e32 v4, vcc, v19, v4
	v_addc_co_u32_e32 v5, vcc, v21, v5, vcc
                                        ; implicit-def: $vgpr23
.LBB1516_164:
	s_andn2_saveexec_b64 s[4:5], s[4:5]
	s_cbranch_execz .LBB1516_166
; %bb.165:
	s_waitcnt lgkmcnt(2)
	v_add_co_u32_e32 v4, vcc, v1, v23
	v_addc_co_u32_e32 v5, vcc, 0, v16, vcc
.LBB1516_166:
	s_or_b64 exec, exec, s[4:5]
	s_waitcnt lgkmcnt(2)
	v_lshlrev_b64 v[4:5], 2, v[4:5]
	v_mov_b32_e32 v6, s25
	v_add_co_u32_e32 v4, vcc, s24, v4
	v_addc_co_u32_e32 v5, vcc, v6, v5, vcc
	s_waitcnt lgkmcnt(1)
	global_store_dword v[4:5], v2, off
	s_or_b64 exec, exec, s[2:3]
	v_cmp_gt_u32_e32 vcc, s33, v22
	s_and_saveexec_b64 s[2:3], vcc
	s_cbranch_execz .LBB1516_203
	s_branch .LBB1516_198
.LBB1516_167:
	s_or_b64 exec, exec, s[2:3]
	v_cmp_gt_u32_e32 vcc, s33, v32
	s_and_saveexec_b64 s[2:3], vcc
	s_cbranch_execz .LBB1516_137
.LBB1516_168:
	v_cmp_ge_u32_e32 vcc, v32, v18
                                        ; implicit-def: $vgpr14_vgpr15
	s_and_saveexec_b64 s[4:5], vcc
	s_xor_b64 s[4:5], exec, s[4:5]
	s_cbranch_execz .LBB1516_170
; %bb.169:
	s_waitcnt lgkmcnt(6)
	v_xor_b32_e32 v12, 0xfffffeff, v0
	v_ashrrev_i32_e32 v15, 31, v12
	v_add_co_u32_e32 v14, vcc, v19, v12
	v_addc_co_u32_e32 v15, vcc, v21, v15, vcc
                                        ; implicit-def: $vgpr32
.LBB1516_170:
	s_andn2_saveexec_b64 s[4:5], s[4:5]
; %bb.171:
	v_add_co_u32_e32 v14, vcc, v1, v32
	v_addc_co_u32_e32 v15, vcc, 0, v16, vcc
; %bb.172:
	s_or_b64 exec, exec, s[4:5]
	v_lshlrev_b64 v[14:15], 2, v[14:15]
	s_waitcnt lgkmcnt(6)
	v_mov_b32_e32 v12, s25
	v_add_co_u32_e32 v14, vcc, s24, v14
	v_addc_co_u32_e32 v15, vcc, v12, v15, vcc
	global_store_dword v[14:15], v13, off
	s_or_b64 exec, exec, s[2:3]
	v_cmp_gt_u32_e32 vcc, s33, v31
	s_and_saveexec_b64 s[2:3], vcc
	s_cbranch_execnz .LBB1516_138
.LBB1516_173:
	s_or_b64 exec, exec, s[2:3]
	v_cmp_gt_u32_e32 vcc, s33, v30
	s_and_saveexec_b64 s[2:3], vcc
	s_cbranch_execz .LBB1516_143
.LBB1516_174:
	v_cmp_ge_u32_e32 vcc, v30, v18
                                        ; implicit-def: $vgpr12_vgpr13
	s_and_saveexec_b64 s[4:5], vcc
	s_xor_b64 s[4:5], exec, s[4:5]
	s_cbranch_execz .LBB1516_176
; %bb.175:
	s_waitcnt lgkmcnt(5)
	v_xor_b32_e32 v10, 0xfffffcff, v0
	v_ashrrev_i32_e32 v13, 31, v10
	v_add_co_u32_e32 v12, vcc, v19, v10
	v_addc_co_u32_e32 v13, vcc, v21, v13, vcc
                                        ; implicit-def: $vgpr30
.LBB1516_176:
	s_andn2_saveexec_b64 s[4:5], s[4:5]
	s_cbranch_execz .LBB1516_178
; %bb.177:
	s_waitcnt lgkmcnt(6)
	v_add_co_u32_e32 v12, vcc, v1, v30
	v_addc_co_u32_e32 v13, vcc, 0, v16, vcc
.LBB1516_178:
	s_or_b64 exec, exec, s[4:5]
	s_waitcnt lgkmcnt(6)
	v_lshlrev_b64 v[12:13], 2, v[12:13]
	s_waitcnt lgkmcnt(5)
	v_mov_b32_e32 v10, s25
	v_add_co_u32_e32 v12, vcc, s24, v12
	v_addc_co_u32_e32 v13, vcc, v10, v13, vcc
	global_store_dword v[12:13], v11, off
	s_or_b64 exec, exec, s[2:3]
	v_cmp_gt_u32_e32 vcc, s33, v29
	s_and_saveexec_b64 s[2:3], vcc
	s_cbranch_execnz .LBB1516_144
.LBB1516_179:
	s_or_b64 exec, exec, s[2:3]
	v_cmp_gt_u32_e32 vcc, s33, v28
	s_and_saveexec_b64 s[2:3], vcc
	s_cbranch_execz .LBB1516_149
.LBB1516_180:
	v_cmp_ge_u32_e32 vcc, v28, v18
                                        ; implicit-def: $vgpr10_vgpr11
	s_and_saveexec_b64 s[4:5], vcc
	s_xor_b64 s[4:5], exec, s[4:5]
	s_cbranch_execz .LBB1516_182
; %bb.181:
	s_waitcnt lgkmcnt(4)
	v_xor_b32_e32 v8, 0xfffffaff, v0
	v_ashrrev_i32_e32 v11, 31, v8
	v_add_co_u32_e32 v10, vcc, v19, v8
	v_addc_co_u32_e32 v11, vcc, v21, v11, vcc
                                        ; implicit-def: $vgpr28
.LBB1516_182:
	s_andn2_saveexec_b64 s[4:5], s[4:5]
	s_cbranch_execz .LBB1516_184
; %bb.183:
	s_waitcnt lgkmcnt(5)
	v_add_co_u32_e32 v10, vcc, v1, v28
	v_addc_co_u32_e32 v11, vcc, 0, v16, vcc
.LBB1516_184:
	s_or_b64 exec, exec, s[4:5]
	s_waitcnt lgkmcnt(5)
	v_lshlrev_b64 v[10:11], 2, v[10:11]
	s_waitcnt lgkmcnt(4)
	v_mov_b32_e32 v8, s25
	v_add_co_u32_e32 v10, vcc, s24, v10
	v_addc_co_u32_e32 v11, vcc, v8, v11, vcc
	global_store_dword v[10:11], v9, off
	s_or_b64 exec, exec, s[2:3]
	v_cmp_gt_u32_e32 vcc, s33, v27
	s_and_saveexec_b64 s[2:3], vcc
	s_cbranch_execnz .LBB1516_150
.LBB1516_185:
	s_or_b64 exec, exec, s[2:3]
	v_cmp_gt_u32_e32 vcc, s33, v26
	s_and_saveexec_b64 s[2:3], vcc
	s_cbranch_execz .LBB1516_155
.LBB1516_186:
	v_cmp_ge_u32_e32 vcc, v26, v18
                                        ; implicit-def: $vgpr8_vgpr9
	s_and_saveexec_b64 s[4:5], vcc
	s_xor_b64 s[4:5], exec, s[4:5]
	s_cbranch_execz .LBB1516_188
; %bb.187:
	s_waitcnt lgkmcnt(3)
	v_xor_b32_e32 v6, 0xfffff8ff, v0
	v_ashrrev_i32_e32 v9, 31, v6
	v_add_co_u32_e32 v8, vcc, v19, v6
	v_addc_co_u32_e32 v9, vcc, v21, v9, vcc
                                        ; implicit-def: $vgpr26
.LBB1516_188:
	s_andn2_saveexec_b64 s[4:5], s[4:5]
	s_cbranch_execz .LBB1516_190
; %bb.189:
	s_waitcnt lgkmcnt(4)
	v_add_co_u32_e32 v8, vcc, v1, v26
	v_addc_co_u32_e32 v9, vcc, 0, v16, vcc
.LBB1516_190:
	s_or_b64 exec, exec, s[4:5]
	s_waitcnt lgkmcnt(4)
	v_lshlrev_b64 v[8:9], 2, v[8:9]
	s_waitcnt lgkmcnt(3)
	v_mov_b32_e32 v6, s25
	v_add_co_u32_e32 v8, vcc, s24, v8
	v_addc_co_u32_e32 v9, vcc, v6, v9, vcc
	global_store_dword v[8:9], v7, off
	s_or_b64 exec, exec, s[2:3]
	v_cmp_gt_u32_e32 vcc, s33, v25
	s_and_saveexec_b64 s[2:3], vcc
	s_cbranch_execnz .LBB1516_156
.LBB1516_191:
	s_or_b64 exec, exec, s[2:3]
	v_cmp_gt_u32_e32 vcc, s33, v24
	s_and_saveexec_b64 s[2:3], vcc
	s_cbranch_execz .LBB1516_161
.LBB1516_192:
	v_cmp_ge_u32_e32 vcc, v24, v18
                                        ; implicit-def: $vgpr6_vgpr7
	s_and_saveexec_b64 s[4:5], vcc
	s_xor_b64 s[4:5], exec, s[4:5]
	s_cbranch_execz .LBB1516_194
; %bb.193:
	s_waitcnt lgkmcnt(2)
	v_xor_b32_e32 v4, 0xfffff6ff, v0
	v_ashrrev_i32_e32 v7, 31, v4
	v_add_co_u32_e32 v6, vcc, v19, v4
	v_addc_co_u32_e32 v7, vcc, v21, v7, vcc
                                        ; implicit-def: $vgpr24
.LBB1516_194:
	s_andn2_saveexec_b64 s[4:5], s[4:5]
	s_cbranch_execz .LBB1516_196
; %bb.195:
	s_waitcnt lgkmcnt(3)
	v_add_co_u32_e32 v6, vcc, v1, v24
	v_addc_co_u32_e32 v7, vcc, 0, v16, vcc
.LBB1516_196:
	s_or_b64 exec, exec, s[4:5]
	s_waitcnt lgkmcnt(3)
	v_lshlrev_b64 v[6:7], 2, v[6:7]
	s_waitcnt lgkmcnt(2)
	v_mov_b32_e32 v4, s25
	v_add_co_u32_e32 v6, vcc, s24, v6
	v_addc_co_u32_e32 v7, vcc, v4, v7, vcc
	global_store_dword v[6:7], v5, off
	s_or_b64 exec, exec, s[2:3]
	v_cmp_gt_u32_e32 vcc, s33, v23
	s_and_saveexec_b64 s[2:3], vcc
	s_cbranch_execnz .LBB1516_162
.LBB1516_197:
	s_or_b64 exec, exec, s[2:3]
	v_cmp_gt_u32_e32 vcc, s33, v22
	s_and_saveexec_b64 s[2:3], vcc
	s_cbranch_execz .LBB1516_203
.LBB1516_198:
	v_cmp_ge_u32_e32 vcc, v22, v18
                                        ; implicit-def: $vgpr4_vgpr5
	s_and_saveexec_b64 s[4:5], vcc
	s_xor_b64 s[4:5], exec, s[4:5]
	s_cbranch_execz .LBB1516_200
; %bb.199:
	s_waitcnt lgkmcnt(1)
	v_xor_b32_e32 v2, 0xfffff4ff, v0
	v_ashrrev_i32_e32 v5, 31, v2
	v_add_co_u32_e32 v4, vcc, v19, v2
	v_addc_co_u32_e32 v5, vcc, v21, v5, vcc
                                        ; implicit-def: $vgpr22
.LBB1516_200:
	s_andn2_saveexec_b64 s[4:5], s[4:5]
	s_cbranch_execz .LBB1516_202
; %bb.201:
	s_waitcnt lgkmcnt(2)
	v_add_co_u32_e32 v4, vcc, v1, v22
	v_addc_co_u32_e32 v5, vcc, 0, v16, vcc
.LBB1516_202:
	s_or_b64 exec, exec, s[4:5]
	s_waitcnt lgkmcnt(2)
	v_lshlrev_b64 v[4:5], 2, v[4:5]
	s_waitcnt lgkmcnt(1)
	v_mov_b32_e32 v2, s25
	v_add_co_u32_e32 v4, vcc, s24, v4
	v_addc_co_u32_e32 v5, vcc, v2, v5, vcc
	global_store_dword v[4:5], v3, off
.LBB1516_203:
	s_or_b64 exec, exec, s[2:3]
	v_cmp_gt_u32_e32 vcc, s33, v20
                                        ; implicit-def: $vgpr14_vgpr15
	s_and_saveexec_b64 s[2:3], vcc
	s_cbranch_execz .LBB1516_209
; %bb.204:
	v_cmp_ge_u32_e32 vcc, v20, v18
                                        ; implicit-def: $vgpr14_vgpr15
	s_and_saveexec_b64 s[4:5], vcc
	s_xor_b64 s[4:5], exec, s[4:5]
	s_cbranch_execz .LBB1516_206
; %bb.205:
	s_waitcnt lgkmcnt(1)
	v_xor_b32_e32 v2, 0xfffff3ff, v0
	v_ashrrev_i32_e32 v3, 31, v2
	v_add_co_u32_e32 v14, vcc, v19, v2
	v_addc_co_u32_e32 v15, vcc, v21, v3, vcc
                                        ; implicit-def: $vgpr20
.LBB1516_206:
	s_andn2_saveexec_b64 s[4:5], s[4:5]
; %bb.207:
	v_add_co_u32_e32 v14, vcc, v1, v20
	v_addc_co_u32_e32 v15, vcc, 0, v16, vcc
; %bb.208:
	s_or_b64 exec, exec, s[4:5]
	s_or_b64 s[0:1], s[0:1], exec
.LBB1516_209:
	s_or_b64 exec, exec, s[2:3]
.LBB1516_210:
	s_and_saveexec_b64 s[2:3], s[0:1]
	s_cbranch_execz .LBB1516_212
; %bb.211:
	s_waitcnt lgkmcnt(1)
	v_lshlrev_b64 v[2:3], 2, v[14:15]
	v_mov_b32_e32 v4, s25
	v_add_co_u32_e32 v2, vcc, s24, v2
	v_addc_co_u32_e32 v3, vcc, v4, v3, vcc
	s_waitcnt lgkmcnt(0)
	global_store_dword v[2:3], v17, off
.LBB1516_212:
	s_or_b64 exec, exec, s[2:3]
	v_cmp_eq_u32_e32 vcc, 0, v0
	s_and_b64 s[0:1], vcc, s[22:23]
	s_and_saveexec_b64 s[2:3], s[0:1]
	s_cbranch_execz .LBB1516_214
; %bb.213:
	v_add_co_u32_e32 v0, vcc, v1, v18
	s_waitcnt lgkmcnt(1)
	v_mov_b32_e32 v2, 0
	v_addc_co_u32_e32 v1, vcc, 0, v16, vcc
	global_store_dwordx2 v2, v[0:1], s[20:21]
.LBB1516_214:
	s_endpgm
	.section	.rodata,"a",@progbits
	.p2align	6, 0x0
	.amdhsa_kernel _ZN7rocprim17ROCPRIM_400000_NS6detail17trampoline_kernelINS0_13select_configILj256ELj13ELNS0_17block_load_methodE3ELS4_3ELS4_3ELNS0_20block_scan_algorithmE0ELj4294967295EEENS1_25partition_config_selectorILNS1_17partition_subalgoE3EjNS0_10empty_typeEbEEZZNS1_14partition_implILS8_3ELb0ES6_jNS0_17counting_iteratorIjlEEPS9_SE_NS0_5tupleIJPjSE_EEENSF_IJSE_SE_EEES9_SG_JZNS1_25segmented_radix_sort_implINS0_14default_configELb1EPKbPbPKlPlN2at6native12_GLOBAL__N_18offset_tEEE10hipError_tPvRmT1_PNSt15iterator_traitsISY_E10value_typeET2_T3_PNSZ_IS14_E10value_typeET4_jRbjT5_S1A_jjP12ihipStream_tbEUljE_EEESV_SW_SX_S14_S18_S1A_T6_T7_T9_mT8_S1C_bDpT10_ENKUlT_T0_E_clISt17integral_constantIbLb1EES1O_IbLb0EEEEDaS1K_S1L_EUlS1K_E_NS1_11comp_targetILNS1_3genE4ELNS1_11target_archE910ELNS1_3gpuE8ELNS1_3repE0EEENS1_30default_config_static_selectorELNS0_4arch9wavefront6targetE1EEEvSY_
		.amdhsa_group_segment_fixed_size 13324
		.amdhsa_private_segment_fixed_size 0
		.amdhsa_kernarg_size 144
		.amdhsa_user_sgpr_count 6
		.amdhsa_user_sgpr_private_segment_buffer 1
		.amdhsa_user_sgpr_dispatch_ptr 0
		.amdhsa_user_sgpr_queue_ptr 0
		.amdhsa_user_sgpr_kernarg_segment_ptr 1
		.amdhsa_user_sgpr_dispatch_id 0
		.amdhsa_user_sgpr_flat_scratch_init 0
		.amdhsa_user_sgpr_kernarg_preload_length 0
		.amdhsa_user_sgpr_kernarg_preload_offset 0
		.amdhsa_user_sgpr_private_segment_size 0
		.amdhsa_uses_dynamic_stack 0
		.amdhsa_system_sgpr_private_segment_wavefront_offset 0
		.amdhsa_system_sgpr_workgroup_id_x 1
		.amdhsa_system_sgpr_workgroup_id_y 0
		.amdhsa_system_sgpr_workgroup_id_z 0
		.amdhsa_system_sgpr_workgroup_info 0
		.amdhsa_system_vgpr_workitem_id 0
		.amdhsa_next_free_vgpr 61
		.amdhsa_next_free_sgpr 46
		.amdhsa_accum_offset 64
		.amdhsa_reserve_vcc 1
		.amdhsa_reserve_flat_scratch 0
		.amdhsa_float_round_mode_32 0
		.amdhsa_float_round_mode_16_64 0
		.amdhsa_float_denorm_mode_32 3
		.amdhsa_float_denorm_mode_16_64 3
		.amdhsa_dx10_clamp 1
		.amdhsa_ieee_mode 1
		.amdhsa_fp16_overflow 0
		.amdhsa_tg_split 0
		.amdhsa_exception_fp_ieee_invalid_op 0
		.amdhsa_exception_fp_denorm_src 0
		.amdhsa_exception_fp_ieee_div_zero 0
		.amdhsa_exception_fp_ieee_overflow 0
		.amdhsa_exception_fp_ieee_underflow 0
		.amdhsa_exception_fp_ieee_inexact 0
		.amdhsa_exception_int_div_zero 0
	.end_amdhsa_kernel
	.section	.text._ZN7rocprim17ROCPRIM_400000_NS6detail17trampoline_kernelINS0_13select_configILj256ELj13ELNS0_17block_load_methodE3ELS4_3ELS4_3ELNS0_20block_scan_algorithmE0ELj4294967295EEENS1_25partition_config_selectorILNS1_17partition_subalgoE3EjNS0_10empty_typeEbEEZZNS1_14partition_implILS8_3ELb0ES6_jNS0_17counting_iteratorIjlEEPS9_SE_NS0_5tupleIJPjSE_EEENSF_IJSE_SE_EEES9_SG_JZNS1_25segmented_radix_sort_implINS0_14default_configELb1EPKbPbPKlPlN2at6native12_GLOBAL__N_18offset_tEEE10hipError_tPvRmT1_PNSt15iterator_traitsISY_E10value_typeET2_T3_PNSZ_IS14_E10value_typeET4_jRbjT5_S1A_jjP12ihipStream_tbEUljE_EEESV_SW_SX_S14_S18_S1A_T6_T7_T9_mT8_S1C_bDpT10_ENKUlT_T0_E_clISt17integral_constantIbLb1EES1O_IbLb0EEEEDaS1K_S1L_EUlS1K_E_NS1_11comp_targetILNS1_3genE4ELNS1_11target_archE910ELNS1_3gpuE8ELNS1_3repE0EEENS1_30default_config_static_selectorELNS0_4arch9wavefront6targetE1EEEvSY_,"axG",@progbits,_ZN7rocprim17ROCPRIM_400000_NS6detail17trampoline_kernelINS0_13select_configILj256ELj13ELNS0_17block_load_methodE3ELS4_3ELS4_3ELNS0_20block_scan_algorithmE0ELj4294967295EEENS1_25partition_config_selectorILNS1_17partition_subalgoE3EjNS0_10empty_typeEbEEZZNS1_14partition_implILS8_3ELb0ES6_jNS0_17counting_iteratorIjlEEPS9_SE_NS0_5tupleIJPjSE_EEENSF_IJSE_SE_EEES9_SG_JZNS1_25segmented_radix_sort_implINS0_14default_configELb1EPKbPbPKlPlN2at6native12_GLOBAL__N_18offset_tEEE10hipError_tPvRmT1_PNSt15iterator_traitsISY_E10value_typeET2_T3_PNSZ_IS14_E10value_typeET4_jRbjT5_S1A_jjP12ihipStream_tbEUljE_EEESV_SW_SX_S14_S18_S1A_T6_T7_T9_mT8_S1C_bDpT10_ENKUlT_T0_E_clISt17integral_constantIbLb1EES1O_IbLb0EEEEDaS1K_S1L_EUlS1K_E_NS1_11comp_targetILNS1_3genE4ELNS1_11target_archE910ELNS1_3gpuE8ELNS1_3repE0EEENS1_30default_config_static_selectorELNS0_4arch9wavefront6targetE1EEEvSY_,comdat
.Lfunc_end1516:
	.size	_ZN7rocprim17ROCPRIM_400000_NS6detail17trampoline_kernelINS0_13select_configILj256ELj13ELNS0_17block_load_methodE3ELS4_3ELS4_3ELNS0_20block_scan_algorithmE0ELj4294967295EEENS1_25partition_config_selectorILNS1_17partition_subalgoE3EjNS0_10empty_typeEbEEZZNS1_14partition_implILS8_3ELb0ES6_jNS0_17counting_iteratorIjlEEPS9_SE_NS0_5tupleIJPjSE_EEENSF_IJSE_SE_EEES9_SG_JZNS1_25segmented_radix_sort_implINS0_14default_configELb1EPKbPbPKlPlN2at6native12_GLOBAL__N_18offset_tEEE10hipError_tPvRmT1_PNSt15iterator_traitsISY_E10value_typeET2_T3_PNSZ_IS14_E10value_typeET4_jRbjT5_S1A_jjP12ihipStream_tbEUljE_EEESV_SW_SX_S14_S18_S1A_T6_T7_T9_mT8_S1C_bDpT10_ENKUlT_T0_E_clISt17integral_constantIbLb1EES1O_IbLb0EEEEDaS1K_S1L_EUlS1K_E_NS1_11comp_targetILNS1_3genE4ELNS1_11target_archE910ELNS1_3gpuE8ELNS1_3repE0EEENS1_30default_config_static_selectorELNS0_4arch9wavefront6targetE1EEEvSY_, .Lfunc_end1516-_ZN7rocprim17ROCPRIM_400000_NS6detail17trampoline_kernelINS0_13select_configILj256ELj13ELNS0_17block_load_methodE3ELS4_3ELS4_3ELNS0_20block_scan_algorithmE0ELj4294967295EEENS1_25partition_config_selectorILNS1_17partition_subalgoE3EjNS0_10empty_typeEbEEZZNS1_14partition_implILS8_3ELb0ES6_jNS0_17counting_iteratorIjlEEPS9_SE_NS0_5tupleIJPjSE_EEENSF_IJSE_SE_EEES9_SG_JZNS1_25segmented_radix_sort_implINS0_14default_configELb1EPKbPbPKlPlN2at6native12_GLOBAL__N_18offset_tEEE10hipError_tPvRmT1_PNSt15iterator_traitsISY_E10value_typeET2_T3_PNSZ_IS14_E10value_typeET4_jRbjT5_S1A_jjP12ihipStream_tbEUljE_EEESV_SW_SX_S14_S18_S1A_T6_T7_T9_mT8_S1C_bDpT10_ENKUlT_T0_E_clISt17integral_constantIbLb1EES1O_IbLb0EEEEDaS1K_S1L_EUlS1K_E_NS1_11comp_targetILNS1_3genE4ELNS1_11target_archE910ELNS1_3gpuE8ELNS1_3repE0EEENS1_30default_config_static_selectorELNS0_4arch9wavefront6targetE1EEEvSY_
                                        ; -- End function
	.section	.AMDGPU.csdata,"",@progbits
; Kernel info:
; codeLenInByte = 7756
; NumSgprs: 50
; NumVgprs: 61
; NumAgprs: 0
; TotalNumVgprs: 61
; ScratchSize: 0
; MemoryBound: 0
; FloatMode: 240
; IeeeMode: 1
; LDSByteSize: 13324 bytes/workgroup (compile time only)
; SGPRBlocks: 6
; VGPRBlocks: 7
; NumSGPRsForWavesPerEU: 50
; NumVGPRsForWavesPerEU: 61
; AccumOffset: 64
; Occupancy: 4
; WaveLimiterHint : 0
; COMPUTE_PGM_RSRC2:SCRATCH_EN: 0
; COMPUTE_PGM_RSRC2:USER_SGPR: 6
; COMPUTE_PGM_RSRC2:TRAP_HANDLER: 0
; COMPUTE_PGM_RSRC2:TGID_X_EN: 1
; COMPUTE_PGM_RSRC2:TGID_Y_EN: 0
; COMPUTE_PGM_RSRC2:TGID_Z_EN: 0
; COMPUTE_PGM_RSRC2:TIDIG_COMP_CNT: 0
; COMPUTE_PGM_RSRC3_GFX90A:ACCUM_OFFSET: 15
; COMPUTE_PGM_RSRC3_GFX90A:TG_SPLIT: 0
	.section	.text._ZN7rocprim17ROCPRIM_400000_NS6detail17trampoline_kernelINS0_13select_configILj256ELj13ELNS0_17block_load_methodE3ELS4_3ELS4_3ELNS0_20block_scan_algorithmE0ELj4294967295EEENS1_25partition_config_selectorILNS1_17partition_subalgoE3EjNS0_10empty_typeEbEEZZNS1_14partition_implILS8_3ELb0ES6_jNS0_17counting_iteratorIjlEEPS9_SE_NS0_5tupleIJPjSE_EEENSF_IJSE_SE_EEES9_SG_JZNS1_25segmented_radix_sort_implINS0_14default_configELb1EPKbPbPKlPlN2at6native12_GLOBAL__N_18offset_tEEE10hipError_tPvRmT1_PNSt15iterator_traitsISY_E10value_typeET2_T3_PNSZ_IS14_E10value_typeET4_jRbjT5_S1A_jjP12ihipStream_tbEUljE_EEESV_SW_SX_S14_S18_S1A_T6_T7_T9_mT8_S1C_bDpT10_ENKUlT_T0_E_clISt17integral_constantIbLb1EES1O_IbLb0EEEEDaS1K_S1L_EUlS1K_E_NS1_11comp_targetILNS1_3genE3ELNS1_11target_archE908ELNS1_3gpuE7ELNS1_3repE0EEENS1_30default_config_static_selectorELNS0_4arch9wavefront6targetE1EEEvSY_,"axG",@progbits,_ZN7rocprim17ROCPRIM_400000_NS6detail17trampoline_kernelINS0_13select_configILj256ELj13ELNS0_17block_load_methodE3ELS4_3ELS4_3ELNS0_20block_scan_algorithmE0ELj4294967295EEENS1_25partition_config_selectorILNS1_17partition_subalgoE3EjNS0_10empty_typeEbEEZZNS1_14partition_implILS8_3ELb0ES6_jNS0_17counting_iteratorIjlEEPS9_SE_NS0_5tupleIJPjSE_EEENSF_IJSE_SE_EEES9_SG_JZNS1_25segmented_radix_sort_implINS0_14default_configELb1EPKbPbPKlPlN2at6native12_GLOBAL__N_18offset_tEEE10hipError_tPvRmT1_PNSt15iterator_traitsISY_E10value_typeET2_T3_PNSZ_IS14_E10value_typeET4_jRbjT5_S1A_jjP12ihipStream_tbEUljE_EEESV_SW_SX_S14_S18_S1A_T6_T7_T9_mT8_S1C_bDpT10_ENKUlT_T0_E_clISt17integral_constantIbLb1EES1O_IbLb0EEEEDaS1K_S1L_EUlS1K_E_NS1_11comp_targetILNS1_3genE3ELNS1_11target_archE908ELNS1_3gpuE7ELNS1_3repE0EEENS1_30default_config_static_selectorELNS0_4arch9wavefront6targetE1EEEvSY_,comdat
	.globl	_ZN7rocprim17ROCPRIM_400000_NS6detail17trampoline_kernelINS0_13select_configILj256ELj13ELNS0_17block_load_methodE3ELS4_3ELS4_3ELNS0_20block_scan_algorithmE0ELj4294967295EEENS1_25partition_config_selectorILNS1_17partition_subalgoE3EjNS0_10empty_typeEbEEZZNS1_14partition_implILS8_3ELb0ES6_jNS0_17counting_iteratorIjlEEPS9_SE_NS0_5tupleIJPjSE_EEENSF_IJSE_SE_EEES9_SG_JZNS1_25segmented_radix_sort_implINS0_14default_configELb1EPKbPbPKlPlN2at6native12_GLOBAL__N_18offset_tEEE10hipError_tPvRmT1_PNSt15iterator_traitsISY_E10value_typeET2_T3_PNSZ_IS14_E10value_typeET4_jRbjT5_S1A_jjP12ihipStream_tbEUljE_EEESV_SW_SX_S14_S18_S1A_T6_T7_T9_mT8_S1C_bDpT10_ENKUlT_T0_E_clISt17integral_constantIbLb1EES1O_IbLb0EEEEDaS1K_S1L_EUlS1K_E_NS1_11comp_targetILNS1_3genE3ELNS1_11target_archE908ELNS1_3gpuE7ELNS1_3repE0EEENS1_30default_config_static_selectorELNS0_4arch9wavefront6targetE1EEEvSY_ ; -- Begin function _ZN7rocprim17ROCPRIM_400000_NS6detail17trampoline_kernelINS0_13select_configILj256ELj13ELNS0_17block_load_methodE3ELS4_3ELS4_3ELNS0_20block_scan_algorithmE0ELj4294967295EEENS1_25partition_config_selectorILNS1_17partition_subalgoE3EjNS0_10empty_typeEbEEZZNS1_14partition_implILS8_3ELb0ES6_jNS0_17counting_iteratorIjlEEPS9_SE_NS0_5tupleIJPjSE_EEENSF_IJSE_SE_EEES9_SG_JZNS1_25segmented_radix_sort_implINS0_14default_configELb1EPKbPbPKlPlN2at6native12_GLOBAL__N_18offset_tEEE10hipError_tPvRmT1_PNSt15iterator_traitsISY_E10value_typeET2_T3_PNSZ_IS14_E10value_typeET4_jRbjT5_S1A_jjP12ihipStream_tbEUljE_EEESV_SW_SX_S14_S18_S1A_T6_T7_T9_mT8_S1C_bDpT10_ENKUlT_T0_E_clISt17integral_constantIbLb1EES1O_IbLb0EEEEDaS1K_S1L_EUlS1K_E_NS1_11comp_targetILNS1_3genE3ELNS1_11target_archE908ELNS1_3gpuE7ELNS1_3repE0EEENS1_30default_config_static_selectorELNS0_4arch9wavefront6targetE1EEEvSY_
	.p2align	8
	.type	_ZN7rocprim17ROCPRIM_400000_NS6detail17trampoline_kernelINS0_13select_configILj256ELj13ELNS0_17block_load_methodE3ELS4_3ELS4_3ELNS0_20block_scan_algorithmE0ELj4294967295EEENS1_25partition_config_selectorILNS1_17partition_subalgoE3EjNS0_10empty_typeEbEEZZNS1_14partition_implILS8_3ELb0ES6_jNS0_17counting_iteratorIjlEEPS9_SE_NS0_5tupleIJPjSE_EEENSF_IJSE_SE_EEES9_SG_JZNS1_25segmented_radix_sort_implINS0_14default_configELb1EPKbPbPKlPlN2at6native12_GLOBAL__N_18offset_tEEE10hipError_tPvRmT1_PNSt15iterator_traitsISY_E10value_typeET2_T3_PNSZ_IS14_E10value_typeET4_jRbjT5_S1A_jjP12ihipStream_tbEUljE_EEESV_SW_SX_S14_S18_S1A_T6_T7_T9_mT8_S1C_bDpT10_ENKUlT_T0_E_clISt17integral_constantIbLb1EES1O_IbLb0EEEEDaS1K_S1L_EUlS1K_E_NS1_11comp_targetILNS1_3genE3ELNS1_11target_archE908ELNS1_3gpuE7ELNS1_3repE0EEENS1_30default_config_static_selectorELNS0_4arch9wavefront6targetE1EEEvSY_,@function
_ZN7rocprim17ROCPRIM_400000_NS6detail17trampoline_kernelINS0_13select_configILj256ELj13ELNS0_17block_load_methodE3ELS4_3ELS4_3ELNS0_20block_scan_algorithmE0ELj4294967295EEENS1_25partition_config_selectorILNS1_17partition_subalgoE3EjNS0_10empty_typeEbEEZZNS1_14partition_implILS8_3ELb0ES6_jNS0_17counting_iteratorIjlEEPS9_SE_NS0_5tupleIJPjSE_EEENSF_IJSE_SE_EEES9_SG_JZNS1_25segmented_radix_sort_implINS0_14default_configELb1EPKbPbPKlPlN2at6native12_GLOBAL__N_18offset_tEEE10hipError_tPvRmT1_PNSt15iterator_traitsISY_E10value_typeET2_T3_PNSZ_IS14_E10value_typeET4_jRbjT5_S1A_jjP12ihipStream_tbEUljE_EEESV_SW_SX_S14_S18_S1A_T6_T7_T9_mT8_S1C_bDpT10_ENKUlT_T0_E_clISt17integral_constantIbLb1EES1O_IbLb0EEEEDaS1K_S1L_EUlS1K_E_NS1_11comp_targetILNS1_3genE3ELNS1_11target_archE908ELNS1_3gpuE7ELNS1_3repE0EEENS1_30default_config_static_selectorELNS0_4arch9wavefront6targetE1EEEvSY_: ; @_ZN7rocprim17ROCPRIM_400000_NS6detail17trampoline_kernelINS0_13select_configILj256ELj13ELNS0_17block_load_methodE3ELS4_3ELS4_3ELNS0_20block_scan_algorithmE0ELj4294967295EEENS1_25partition_config_selectorILNS1_17partition_subalgoE3EjNS0_10empty_typeEbEEZZNS1_14partition_implILS8_3ELb0ES6_jNS0_17counting_iteratorIjlEEPS9_SE_NS0_5tupleIJPjSE_EEENSF_IJSE_SE_EEES9_SG_JZNS1_25segmented_radix_sort_implINS0_14default_configELb1EPKbPbPKlPlN2at6native12_GLOBAL__N_18offset_tEEE10hipError_tPvRmT1_PNSt15iterator_traitsISY_E10value_typeET2_T3_PNSZ_IS14_E10value_typeET4_jRbjT5_S1A_jjP12ihipStream_tbEUljE_EEESV_SW_SX_S14_S18_S1A_T6_T7_T9_mT8_S1C_bDpT10_ENKUlT_T0_E_clISt17integral_constantIbLb1EES1O_IbLb0EEEEDaS1K_S1L_EUlS1K_E_NS1_11comp_targetILNS1_3genE3ELNS1_11target_archE908ELNS1_3gpuE7ELNS1_3repE0EEENS1_30default_config_static_selectorELNS0_4arch9wavefront6targetE1EEEvSY_
; %bb.0:
	.section	.rodata,"a",@progbits
	.p2align	6, 0x0
	.amdhsa_kernel _ZN7rocprim17ROCPRIM_400000_NS6detail17trampoline_kernelINS0_13select_configILj256ELj13ELNS0_17block_load_methodE3ELS4_3ELS4_3ELNS0_20block_scan_algorithmE0ELj4294967295EEENS1_25partition_config_selectorILNS1_17partition_subalgoE3EjNS0_10empty_typeEbEEZZNS1_14partition_implILS8_3ELb0ES6_jNS0_17counting_iteratorIjlEEPS9_SE_NS0_5tupleIJPjSE_EEENSF_IJSE_SE_EEES9_SG_JZNS1_25segmented_radix_sort_implINS0_14default_configELb1EPKbPbPKlPlN2at6native12_GLOBAL__N_18offset_tEEE10hipError_tPvRmT1_PNSt15iterator_traitsISY_E10value_typeET2_T3_PNSZ_IS14_E10value_typeET4_jRbjT5_S1A_jjP12ihipStream_tbEUljE_EEESV_SW_SX_S14_S18_S1A_T6_T7_T9_mT8_S1C_bDpT10_ENKUlT_T0_E_clISt17integral_constantIbLb1EES1O_IbLb0EEEEDaS1K_S1L_EUlS1K_E_NS1_11comp_targetILNS1_3genE3ELNS1_11target_archE908ELNS1_3gpuE7ELNS1_3repE0EEENS1_30default_config_static_selectorELNS0_4arch9wavefront6targetE1EEEvSY_
		.amdhsa_group_segment_fixed_size 0
		.amdhsa_private_segment_fixed_size 0
		.amdhsa_kernarg_size 144
		.amdhsa_user_sgpr_count 6
		.amdhsa_user_sgpr_private_segment_buffer 1
		.amdhsa_user_sgpr_dispatch_ptr 0
		.amdhsa_user_sgpr_queue_ptr 0
		.amdhsa_user_sgpr_kernarg_segment_ptr 1
		.amdhsa_user_sgpr_dispatch_id 0
		.amdhsa_user_sgpr_flat_scratch_init 0
		.amdhsa_user_sgpr_kernarg_preload_length 0
		.amdhsa_user_sgpr_kernarg_preload_offset 0
		.amdhsa_user_sgpr_private_segment_size 0
		.amdhsa_uses_dynamic_stack 0
		.amdhsa_system_sgpr_private_segment_wavefront_offset 0
		.amdhsa_system_sgpr_workgroup_id_x 1
		.amdhsa_system_sgpr_workgroup_id_y 0
		.amdhsa_system_sgpr_workgroup_id_z 0
		.amdhsa_system_sgpr_workgroup_info 0
		.amdhsa_system_vgpr_workitem_id 0
		.amdhsa_next_free_vgpr 1
		.amdhsa_next_free_sgpr 0
		.amdhsa_accum_offset 4
		.amdhsa_reserve_vcc 0
		.amdhsa_reserve_flat_scratch 0
		.amdhsa_float_round_mode_32 0
		.amdhsa_float_round_mode_16_64 0
		.amdhsa_float_denorm_mode_32 3
		.amdhsa_float_denorm_mode_16_64 3
		.amdhsa_dx10_clamp 1
		.amdhsa_ieee_mode 1
		.amdhsa_fp16_overflow 0
		.amdhsa_tg_split 0
		.amdhsa_exception_fp_ieee_invalid_op 0
		.amdhsa_exception_fp_denorm_src 0
		.amdhsa_exception_fp_ieee_div_zero 0
		.amdhsa_exception_fp_ieee_overflow 0
		.amdhsa_exception_fp_ieee_underflow 0
		.amdhsa_exception_fp_ieee_inexact 0
		.amdhsa_exception_int_div_zero 0
	.end_amdhsa_kernel
	.section	.text._ZN7rocprim17ROCPRIM_400000_NS6detail17trampoline_kernelINS0_13select_configILj256ELj13ELNS0_17block_load_methodE3ELS4_3ELS4_3ELNS0_20block_scan_algorithmE0ELj4294967295EEENS1_25partition_config_selectorILNS1_17partition_subalgoE3EjNS0_10empty_typeEbEEZZNS1_14partition_implILS8_3ELb0ES6_jNS0_17counting_iteratorIjlEEPS9_SE_NS0_5tupleIJPjSE_EEENSF_IJSE_SE_EEES9_SG_JZNS1_25segmented_radix_sort_implINS0_14default_configELb1EPKbPbPKlPlN2at6native12_GLOBAL__N_18offset_tEEE10hipError_tPvRmT1_PNSt15iterator_traitsISY_E10value_typeET2_T3_PNSZ_IS14_E10value_typeET4_jRbjT5_S1A_jjP12ihipStream_tbEUljE_EEESV_SW_SX_S14_S18_S1A_T6_T7_T9_mT8_S1C_bDpT10_ENKUlT_T0_E_clISt17integral_constantIbLb1EES1O_IbLb0EEEEDaS1K_S1L_EUlS1K_E_NS1_11comp_targetILNS1_3genE3ELNS1_11target_archE908ELNS1_3gpuE7ELNS1_3repE0EEENS1_30default_config_static_selectorELNS0_4arch9wavefront6targetE1EEEvSY_,"axG",@progbits,_ZN7rocprim17ROCPRIM_400000_NS6detail17trampoline_kernelINS0_13select_configILj256ELj13ELNS0_17block_load_methodE3ELS4_3ELS4_3ELNS0_20block_scan_algorithmE0ELj4294967295EEENS1_25partition_config_selectorILNS1_17partition_subalgoE3EjNS0_10empty_typeEbEEZZNS1_14partition_implILS8_3ELb0ES6_jNS0_17counting_iteratorIjlEEPS9_SE_NS0_5tupleIJPjSE_EEENSF_IJSE_SE_EEES9_SG_JZNS1_25segmented_radix_sort_implINS0_14default_configELb1EPKbPbPKlPlN2at6native12_GLOBAL__N_18offset_tEEE10hipError_tPvRmT1_PNSt15iterator_traitsISY_E10value_typeET2_T3_PNSZ_IS14_E10value_typeET4_jRbjT5_S1A_jjP12ihipStream_tbEUljE_EEESV_SW_SX_S14_S18_S1A_T6_T7_T9_mT8_S1C_bDpT10_ENKUlT_T0_E_clISt17integral_constantIbLb1EES1O_IbLb0EEEEDaS1K_S1L_EUlS1K_E_NS1_11comp_targetILNS1_3genE3ELNS1_11target_archE908ELNS1_3gpuE7ELNS1_3repE0EEENS1_30default_config_static_selectorELNS0_4arch9wavefront6targetE1EEEvSY_,comdat
.Lfunc_end1517:
	.size	_ZN7rocprim17ROCPRIM_400000_NS6detail17trampoline_kernelINS0_13select_configILj256ELj13ELNS0_17block_load_methodE3ELS4_3ELS4_3ELNS0_20block_scan_algorithmE0ELj4294967295EEENS1_25partition_config_selectorILNS1_17partition_subalgoE3EjNS0_10empty_typeEbEEZZNS1_14partition_implILS8_3ELb0ES6_jNS0_17counting_iteratorIjlEEPS9_SE_NS0_5tupleIJPjSE_EEENSF_IJSE_SE_EEES9_SG_JZNS1_25segmented_radix_sort_implINS0_14default_configELb1EPKbPbPKlPlN2at6native12_GLOBAL__N_18offset_tEEE10hipError_tPvRmT1_PNSt15iterator_traitsISY_E10value_typeET2_T3_PNSZ_IS14_E10value_typeET4_jRbjT5_S1A_jjP12ihipStream_tbEUljE_EEESV_SW_SX_S14_S18_S1A_T6_T7_T9_mT8_S1C_bDpT10_ENKUlT_T0_E_clISt17integral_constantIbLb1EES1O_IbLb0EEEEDaS1K_S1L_EUlS1K_E_NS1_11comp_targetILNS1_3genE3ELNS1_11target_archE908ELNS1_3gpuE7ELNS1_3repE0EEENS1_30default_config_static_selectorELNS0_4arch9wavefront6targetE1EEEvSY_, .Lfunc_end1517-_ZN7rocprim17ROCPRIM_400000_NS6detail17trampoline_kernelINS0_13select_configILj256ELj13ELNS0_17block_load_methodE3ELS4_3ELS4_3ELNS0_20block_scan_algorithmE0ELj4294967295EEENS1_25partition_config_selectorILNS1_17partition_subalgoE3EjNS0_10empty_typeEbEEZZNS1_14partition_implILS8_3ELb0ES6_jNS0_17counting_iteratorIjlEEPS9_SE_NS0_5tupleIJPjSE_EEENSF_IJSE_SE_EEES9_SG_JZNS1_25segmented_radix_sort_implINS0_14default_configELb1EPKbPbPKlPlN2at6native12_GLOBAL__N_18offset_tEEE10hipError_tPvRmT1_PNSt15iterator_traitsISY_E10value_typeET2_T3_PNSZ_IS14_E10value_typeET4_jRbjT5_S1A_jjP12ihipStream_tbEUljE_EEESV_SW_SX_S14_S18_S1A_T6_T7_T9_mT8_S1C_bDpT10_ENKUlT_T0_E_clISt17integral_constantIbLb1EES1O_IbLb0EEEEDaS1K_S1L_EUlS1K_E_NS1_11comp_targetILNS1_3genE3ELNS1_11target_archE908ELNS1_3gpuE7ELNS1_3repE0EEENS1_30default_config_static_selectorELNS0_4arch9wavefront6targetE1EEEvSY_
                                        ; -- End function
	.section	.AMDGPU.csdata,"",@progbits
; Kernel info:
; codeLenInByte = 0
; NumSgprs: 4
; NumVgprs: 0
; NumAgprs: 0
; TotalNumVgprs: 0
; ScratchSize: 0
; MemoryBound: 0
; FloatMode: 240
; IeeeMode: 1
; LDSByteSize: 0 bytes/workgroup (compile time only)
; SGPRBlocks: 0
; VGPRBlocks: 0
; NumSGPRsForWavesPerEU: 4
; NumVGPRsForWavesPerEU: 1
; AccumOffset: 4
; Occupancy: 8
; WaveLimiterHint : 0
; COMPUTE_PGM_RSRC2:SCRATCH_EN: 0
; COMPUTE_PGM_RSRC2:USER_SGPR: 6
; COMPUTE_PGM_RSRC2:TRAP_HANDLER: 0
; COMPUTE_PGM_RSRC2:TGID_X_EN: 1
; COMPUTE_PGM_RSRC2:TGID_Y_EN: 0
; COMPUTE_PGM_RSRC2:TGID_Z_EN: 0
; COMPUTE_PGM_RSRC2:TIDIG_COMP_CNT: 0
; COMPUTE_PGM_RSRC3_GFX90A:ACCUM_OFFSET: 0
; COMPUTE_PGM_RSRC3_GFX90A:TG_SPLIT: 0
	.section	.text._ZN7rocprim17ROCPRIM_400000_NS6detail17trampoline_kernelINS0_13select_configILj256ELj13ELNS0_17block_load_methodE3ELS4_3ELS4_3ELNS0_20block_scan_algorithmE0ELj4294967295EEENS1_25partition_config_selectorILNS1_17partition_subalgoE3EjNS0_10empty_typeEbEEZZNS1_14partition_implILS8_3ELb0ES6_jNS0_17counting_iteratorIjlEEPS9_SE_NS0_5tupleIJPjSE_EEENSF_IJSE_SE_EEES9_SG_JZNS1_25segmented_radix_sort_implINS0_14default_configELb1EPKbPbPKlPlN2at6native12_GLOBAL__N_18offset_tEEE10hipError_tPvRmT1_PNSt15iterator_traitsISY_E10value_typeET2_T3_PNSZ_IS14_E10value_typeET4_jRbjT5_S1A_jjP12ihipStream_tbEUljE_EEESV_SW_SX_S14_S18_S1A_T6_T7_T9_mT8_S1C_bDpT10_ENKUlT_T0_E_clISt17integral_constantIbLb1EES1O_IbLb0EEEEDaS1K_S1L_EUlS1K_E_NS1_11comp_targetILNS1_3genE2ELNS1_11target_archE906ELNS1_3gpuE6ELNS1_3repE0EEENS1_30default_config_static_selectorELNS0_4arch9wavefront6targetE1EEEvSY_,"axG",@progbits,_ZN7rocprim17ROCPRIM_400000_NS6detail17trampoline_kernelINS0_13select_configILj256ELj13ELNS0_17block_load_methodE3ELS4_3ELS4_3ELNS0_20block_scan_algorithmE0ELj4294967295EEENS1_25partition_config_selectorILNS1_17partition_subalgoE3EjNS0_10empty_typeEbEEZZNS1_14partition_implILS8_3ELb0ES6_jNS0_17counting_iteratorIjlEEPS9_SE_NS0_5tupleIJPjSE_EEENSF_IJSE_SE_EEES9_SG_JZNS1_25segmented_radix_sort_implINS0_14default_configELb1EPKbPbPKlPlN2at6native12_GLOBAL__N_18offset_tEEE10hipError_tPvRmT1_PNSt15iterator_traitsISY_E10value_typeET2_T3_PNSZ_IS14_E10value_typeET4_jRbjT5_S1A_jjP12ihipStream_tbEUljE_EEESV_SW_SX_S14_S18_S1A_T6_T7_T9_mT8_S1C_bDpT10_ENKUlT_T0_E_clISt17integral_constantIbLb1EES1O_IbLb0EEEEDaS1K_S1L_EUlS1K_E_NS1_11comp_targetILNS1_3genE2ELNS1_11target_archE906ELNS1_3gpuE6ELNS1_3repE0EEENS1_30default_config_static_selectorELNS0_4arch9wavefront6targetE1EEEvSY_,comdat
	.globl	_ZN7rocprim17ROCPRIM_400000_NS6detail17trampoline_kernelINS0_13select_configILj256ELj13ELNS0_17block_load_methodE3ELS4_3ELS4_3ELNS0_20block_scan_algorithmE0ELj4294967295EEENS1_25partition_config_selectorILNS1_17partition_subalgoE3EjNS0_10empty_typeEbEEZZNS1_14partition_implILS8_3ELb0ES6_jNS0_17counting_iteratorIjlEEPS9_SE_NS0_5tupleIJPjSE_EEENSF_IJSE_SE_EEES9_SG_JZNS1_25segmented_radix_sort_implINS0_14default_configELb1EPKbPbPKlPlN2at6native12_GLOBAL__N_18offset_tEEE10hipError_tPvRmT1_PNSt15iterator_traitsISY_E10value_typeET2_T3_PNSZ_IS14_E10value_typeET4_jRbjT5_S1A_jjP12ihipStream_tbEUljE_EEESV_SW_SX_S14_S18_S1A_T6_T7_T9_mT8_S1C_bDpT10_ENKUlT_T0_E_clISt17integral_constantIbLb1EES1O_IbLb0EEEEDaS1K_S1L_EUlS1K_E_NS1_11comp_targetILNS1_3genE2ELNS1_11target_archE906ELNS1_3gpuE6ELNS1_3repE0EEENS1_30default_config_static_selectorELNS0_4arch9wavefront6targetE1EEEvSY_ ; -- Begin function _ZN7rocprim17ROCPRIM_400000_NS6detail17trampoline_kernelINS0_13select_configILj256ELj13ELNS0_17block_load_methodE3ELS4_3ELS4_3ELNS0_20block_scan_algorithmE0ELj4294967295EEENS1_25partition_config_selectorILNS1_17partition_subalgoE3EjNS0_10empty_typeEbEEZZNS1_14partition_implILS8_3ELb0ES6_jNS0_17counting_iteratorIjlEEPS9_SE_NS0_5tupleIJPjSE_EEENSF_IJSE_SE_EEES9_SG_JZNS1_25segmented_radix_sort_implINS0_14default_configELb1EPKbPbPKlPlN2at6native12_GLOBAL__N_18offset_tEEE10hipError_tPvRmT1_PNSt15iterator_traitsISY_E10value_typeET2_T3_PNSZ_IS14_E10value_typeET4_jRbjT5_S1A_jjP12ihipStream_tbEUljE_EEESV_SW_SX_S14_S18_S1A_T6_T7_T9_mT8_S1C_bDpT10_ENKUlT_T0_E_clISt17integral_constantIbLb1EES1O_IbLb0EEEEDaS1K_S1L_EUlS1K_E_NS1_11comp_targetILNS1_3genE2ELNS1_11target_archE906ELNS1_3gpuE6ELNS1_3repE0EEENS1_30default_config_static_selectorELNS0_4arch9wavefront6targetE1EEEvSY_
	.p2align	8
	.type	_ZN7rocprim17ROCPRIM_400000_NS6detail17trampoline_kernelINS0_13select_configILj256ELj13ELNS0_17block_load_methodE3ELS4_3ELS4_3ELNS0_20block_scan_algorithmE0ELj4294967295EEENS1_25partition_config_selectorILNS1_17partition_subalgoE3EjNS0_10empty_typeEbEEZZNS1_14partition_implILS8_3ELb0ES6_jNS0_17counting_iteratorIjlEEPS9_SE_NS0_5tupleIJPjSE_EEENSF_IJSE_SE_EEES9_SG_JZNS1_25segmented_radix_sort_implINS0_14default_configELb1EPKbPbPKlPlN2at6native12_GLOBAL__N_18offset_tEEE10hipError_tPvRmT1_PNSt15iterator_traitsISY_E10value_typeET2_T3_PNSZ_IS14_E10value_typeET4_jRbjT5_S1A_jjP12ihipStream_tbEUljE_EEESV_SW_SX_S14_S18_S1A_T6_T7_T9_mT8_S1C_bDpT10_ENKUlT_T0_E_clISt17integral_constantIbLb1EES1O_IbLb0EEEEDaS1K_S1L_EUlS1K_E_NS1_11comp_targetILNS1_3genE2ELNS1_11target_archE906ELNS1_3gpuE6ELNS1_3repE0EEENS1_30default_config_static_selectorELNS0_4arch9wavefront6targetE1EEEvSY_,@function
_ZN7rocprim17ROCPRIM_400000_NS6detail17trampoline_kernelINS0_13select_configILj256ELj13ELNS0_17block_load_methodE3ELS4_3ELS4_3ELNS0_20block_scan_algorithmE0ELj4294967295EEENS1_25partition_config_selectorILNS1_17partition_subalgoE3EjNS0_10empty_typeEbEEZZNS1_14partition_implILS8_3ELb0ES6_jNS0_17counting_iteratorIjlEEPS9_SE_NS0_5tupleIJPjSE_EEENSF_IJSE_SE_EEES9_SG_JZNS1_25segmented_radix_sort_implINS0_14default_configELb1EPKbPbPKlPlN2at6native12_GLOBAL__N_18offset_tEEE10hipError_tPvRmT1_PNSt15iterator_traitsISY_E10value_typeET2_T3_PNSZ_IS14_E10value_typeET4_jRbjT5_S1A_jjP12ihipStream_tbEUljE_EEESV_SW_SX_S14_S18_S1A_T6_T7_T9_mT8_S1C_bDpT10_ENKUlT_T0_E_clISt17integral_constantIbLb1EES1O_IbLb0EEEEDaS1K_S1L_EUlS1K_E_NS1_11comp_targetILNS1_3genE2ELNS1_11target_archE906ELNS1_3gpuE6ELNS1_3repE0EEENS1_30default_config_static_selectorELNS0_4arch9wavefront6targetE1EEEvSY_: ; @_ZN7rocprim17ROCPRIM_400000_NS6detail17trampoline_kernelINS0_13select_configILj256ELj13ELNS0_17block_load_methodE3ELS4_3ELS4_3ELNS0_20block_scan_algorithmE0ELj4294967295EEENS1_25partition_config_selectorILNS1_17partition_subalgoE3EjNS0_10empty_typeEbEEZZNS1_14partition_implILS8_3ELb0ES6_jNS0_17counting_iteratorIjlEEPS9_SE_NS0_5tupleIJPjSE_EEENSF_IJSE_SE_EEES9_SG_JZNS1_25segmented_radix_sort_implINS0_14default_configELb1EPKbPbPKlPlN2at6native12_GLOBAL__N_18offset_tEEE10hipError_tPvRmT1_PNSt15iterator_traitsISY_E10value_typeET2_T3_PNSZ_IS14_E10value_typeET4_jRbjT5_S1A_jjP12ihipStream_tbEUljE_EEESV_SW_SX_S14_S18_S1A_T6_T7_T9_mT8_S1C_bDpT10_ENKUlT_T0_E_clISt17integral_constantIbLb1EES1O_IbLb0EEEEDaS1K_S1L_EUlS1K_E_NS1_11comp_targetILNS1_3genE2ELNS1_11target_archE906ELNS1_3gpuE6ELNS1_3repE0EEENS1_30default_config_static_selectorELNS0_4arch9wavefront6targetE1EEEvSY_
; %bb.0:
	.section	.rodata,"a",@progbits
	.p2align	6, 0x0
	.amdhsa_kernel _ZN7rocprim17ROCPRIM_400000_NS6detail17trampoline_kernelINS0_13select_configILj256ELj13ELNS0_17block_load_methodE3ELS4_3ELS4_3ELNS0_20block_scan_algorithmE0ELj4294967295EEENS1_25partition_config_selectorILNS1_17partition_subalgoE3EjNS0_10empty_typeEbEEZZNS1_14partition_implILS8_3ELb0ES6_jNS0_17counting_iteratorIjlEEPS9_SE_NS0_5tupleIJPjSE_EEENSF_IJSE_SE_EEES9_SG_JZNS1_25segmented_radix_sort_implINS0_14default_configELb1EPKbPbPKlPlN2at6native12_GLOBAL__N_18offset_tEEE10hipError_tPvRmT1_PNSt15iterator_traitsISY_E10value_typeET2_T3_PNSZ_IS14_E10value_typeET4_jRbjT5_S1A_jjP12ihipStream_tbEUljE_EEESV_SW_SX_S14_S18_S1A_T6_T7_T9_mT8_S1C_bDpT10_ENKUlT_T0_E_clISt17integral_constantIbLb1EES1O_IbLb0EEEEDaS1K_S1L_EUlS1K_E_NS1_11comp_targetILNS1_3genE2ELNS1_11target_archE906ELNS1_3gpuE6ELNS1_3repE0EEENS1_30default_config_static_selectorELNS0_4arch9wavefront6targetE1EEEvSY_
		.amdhsa_group_segment_fixed_size 0
		.amdhsa_private_segment_fixed_size 0
		.amdhsa_kernarg_size 144
		.amdhsa_user_sgpr_count 6
		.amdhsa_user_sgpr_private_segment_buffer 1
		.amdhsa_user_sgpr_dispatch_ptr 0
		.amdhsa_user_sgpr_queue_ptr 0
		.amdhsa_user_sgpr_kernarg_segment_ptr 1
		.amdhsa_user_sgpr_dispatch_id 0
		.amdhsa_user_sgpr_flat_scratch_init 0
		.amdhsa_user_sgpr_kernarg_preload_length 0
		.amdhsa_user_sgpr_kernarg_preload_offset 0
		.amdhsa_user_sgpr_private_segment_size 0
		.amdhsa_uses_dynamic_stack 0
		.amdhsa_system_sgpr_private_segment_wavefront_offset 0
		.amdhsa_system_sgpr_workgroup_id_x 1
		.amdhsa_system_sgpr_workgroup_id_y 0
		.amdhsa_system_sgpr_workgroup_id_z 0
		.amdhsa_system_sgpr_workgroup_info 0
		.amdhsa_system_vgpr_workitem_id 0
		.amdhsa_next_free_vgpr 1
		.amdhsa_next_free_sgpr 0
		.amdhsa_accum_offset 4
		.amdhsa_reserve_vcc 0
		.amdhsa_reserve_flat_scratch 0
		.amdhsa_float_round_mode_32 0
		.amdhsa_float_round_mode_16_64 0
		.amdhsa_float_denorm_mode_32 3
		.amdhsa_float_denorm_mode_16_64 3
		.amdhsa_dx10_clamp 1
		.amdhsa_ieee_mode 1
		.amdhsa_fp16_overflow 0
		.amdhsa_tg_split 0
		.amdhsa_exception_fp_ieee_invalid_op 0
		.amdhsa_exception_fp_denorm_src 0
		.amdhsa_exception_fp_ieee_div_zero 0
		.amdhsa_exception_fp_ieee_overflow 0
		.amdhsa_exception_fp_ieee_underflow 0
		.amdhsa_exception_fp_ieee_inexact 0
		.amdhsa_exception_int_div_zero 0
	.end_amdhsa_kernel
	.section	.text._ZN7rocprim17ROCPRIM_400000_NS6detail17trampoline_kernelINS0_13select_configILj256ELj13ELNS0_17block_load_methodE3ELS4_3ELS4_3ELNS0_20block_scan_algorithmE0ELj4294967295EEENS1_25partition_config_selectorILNS1_17partition_subalgoE3EjNS0_10empty_typeEbEEZZNS1_14partition_implILS8_3ELb0ES6_jNS0_17counting_iteratorIjlEEPS9_SE_NS0_5tupleIJPjSE_EEENSF_IJSE_SE_EEES9_SG_JZNS1_25segmented_radix_sort_implINS0_14default_configELb1EPKbPbPKlPlN2at6native12_GLOBAL__N_18offset_tEEE10hipError_tPvRmT1_PNSt15iterator_traitsISY_E10value_typeET2_T3_PNSZ_IS14_E10value_typeET4_jRbjT5_S1A_jjP12ihipStream_tbEUljE_EEESV_SW_SX_S14_S18_S1A_T6_T7_T9_mT8_S1C_bDpT10_ENKUlT_T0_E_clISt17integral_constantIbLb1EES1O_IbLb0EEEEDaS1K_S1L_EUlS1K_E_NS1_11comp_targetILNS1_3genE2ELNS1_11target_archE906ELNS1_3gpuE6ELNS1_3repE0EEENS1_30default_config_static_selectorELNS0_4arch9wavefront6targetE1EEEvSY_,"axG",@progbits,_ZN7rocprim17ROCPRIM_400000_NS6detail17trampoline_kernelINS0_13select_configILj256ELj13ELNS0_17block_load_methodE3ELS4_3ELS4_3ELNS0_20block_scan_algorithmE0ELj4294967295EEENS1_25partition_config_selectorILNS1_17partition_subalgoE3EjNS0_10empty_typeEbEEZZNS1_14partition_implILS8_3ELb0ES6_jNS0_17counting_iteratorIjlEEPS9_SE_NS0_5tupleIJPjSE_EEENSF_IJSE_SE_EEES9_SG_JZNS1_25segmented_radix_sort_implINS0_14default_configELb1EPKbPbPKlPlN2at6native12_GLOBAL__N_18offset_tEEE10hipError_tPvRmT1_PNSt15iterator_traitsISY_E10value_typeET2_T3_PNSZ_IS14_E10value_typeET4_jRbjT5_S1A_jjP12ihipStream_tbEUljE_EEESV_SW_SX_S14_S18_S1A_T6_T7_T9_mT8_S1C_bDpT10_ENKUlT_T0_E_clISt17integral_constantIbLb1EES1O_IbLb0EEEEDaS1K_S1L_EUlS1K_E_NS1_11comp_targetILNS1_3genE2ELNS1_11target_archE906ELNS1_3gpuE6ELNS1_3repE0EEENS1_30default_config_static_selectorELNS0_4arch9wavefront6targetE1EEEvSY_,comdat
.Lfunc_end1518:
	.size	_ZN7rocprim17ROCPRIM_400000_NS6detail17trampoline_kernelINS0_13select_configILj256ELj13ELNS0_17block_load_methodE3ELS4_3ELS4_3ELNS0_20block_scan_algorithmE0ELj4294967295EEENS1_25partition_config_selectorILNS1_17partition_subalgoE3EjNS0_10empty_typeEbEEZZNS1_14partition_implILS8_3ELb0ES6_jNS0_17counting_iteratorIjlEEPS9_SE_NS0_5tupleIJPjSE_EEENSF_IJSE_SE_EEES9_SG_JZNS1_25segmented_radix_sort_implINS0_14default_configELb1EPKbPbPKlPlN2at6native12_GLOBAL__N_18offset_tEEE10hipError_tPvRmT1_PNSt15iterator_traitsISY_E10value_typeET2_T3_PNSZ_IS14_E10value_typeET4_jRbjT5_S1A_jjP12ihipStream_tbEUljE_EEESV_SW_SX_S14_S18_S1A_T6_T7_T9_mT8_S1C_bDpT10_ENKUlT_T0_E_clISt17integral_constantIbLb1EES1O_IbLb0EEEEDaS1K_S1L_EUlS1K_E_NS1_11comp_targetILNS1_3genE2ELNS1_11target_archE906ELNS1_3gpuE6ELNS1_3repE0EEENS1_30default_config_static_selectorELNS0_4arch9wavefront6targetE1EEEvSY_, .Lfunc_end1518-_ZN7rocprim17ROCPRIM_400000_NS6detail17trampoline_kernelINS0_13select_configILj256ELj13ELNS0_17block_load_methodE3ELS4_3ELS4_3ELNS0_20block_scan_algorithmE0ELj4294967295EEENS1_25partition_config_selectorILNS1_17partition_subalgoE3EjNS0_10empty_typeEbEEZZNS1_14partition_implILS8_3ELb0ES6_jNS0_17counting_iteratorIjlEEPS9_SE_NS0_5tupleIJPjSE_EEENSF_IJSE_SE_EEES9_SG_JZNS1_25segmented_radix_sort_implINS0_14default_configELb1EPKbPbPKlPlN2at6native12_GLOBAL__N_18offset_tEEE10hipError_tPvRmT1_PNSt15iterator_traitsISY_E10value_typeET2_T3_PNSZ_IS14_E10value_typeET4_jRbjT5_S1A_jjP12ihipStream_tbEUljE_EEESV_SW_SX_S14_S18_S1A_T6_T7_T9_mT8_S1C_bDpT10_ENKUlT_T0_E_clISt17integral_constantIbLb1EES1O_IbLb0EEEEDaS1K_S1L_EUlS1K_E_NS1_11comp_targetILNS1_3genE2ELNS1_11target_archE906ELNS1_3gpuE6ELNS1_3repE0EEENS1_30default_config_static_selectorELNS0_4arch9wavefront6targetE1EEEvSY_
                                        ; -- End function
	.section	.AMDGPU.csdata,"",@progbits
; Kernel info:
; codeLenInByte = 0
; NumSgprs: 4
; NumVgprs: 0
; NumAgprs: 0
; TotalNumVgprs: 0
; ScratchSize: 0
; MemoryBound: 0
; FloatMode: 240
; IeeeMode: 1
; LDSByteSize: 0 bytes/workgroup (compile time only)
; SGPRBlocks: 0
; VGPRBlocks: 0
; NumSGPRsForWavesPerEU: 4
; NumVGPRsForWavesPerEU: 1
; AccumOffset: 4
; Occupancy: 8
; WaveLimiterHint : 0
; COMPUTE_PGM_RSRC2:SCRATCH_EN: 0
; COMPUTE_PGM_RSRC2:USER_SGPR: 6
; COMPUTE_PGM_RSRC2:TRAP_HANDLER: 0
; COMPUTE_PGM_RSRC2:TGID_X_EN: 1
; COMPUTE_PGM_RSRC2:TGID_Y_EN: 0
; COMPUTE_PGM_RSRC2:TGID_Z_EN: 0
; COMPUTE_PGM_RSRC2:TIDIG_COMP_CNT: 0
; COMPUTE_PGM_RSRC3_GFX90A:ACCUM_OFFSET: 0
; COMPUTE_PGM_RSRC3_GFX90A:TG_SPLIT: 0
	.section	.text._ZN7rocprim17ROCPRIM_400000_NS6detail17trampoline_kernelINS0_13select_configILj256ELj13ELNS0_17block_load_methodE3ELS4_3ELS4_3ELNS0_20block_scan_algorithmE0ELj4294967295EEENS1_25partition_config_selectorILNS1_17partition_subalgoE3EjNS0_10empty_typeEbEEZZNS1_14partition_implILS8_3ELb0ES6_jNS0_17counting_iteratorIjlEEPS9_SE_NS0_5tupleIJPjSE_EEENSF_IJSE_SE_EEES9_SG_JZNS1_25segmented_radix_sort_implINS0_14default_configELb1EPKbPbPKlPlN2at6native12_GLOBAL__N_18offset_tEEE10hipError_tPvRmT1_PNSt15iterator_traitsISY_E10value_typeET2_T3_PNSZ_IS14_E10value_typeET4_jRbjT5_S1A_jjP12ihipStream_tbEUljE_EEESV_SW_SX_S14_S18_S1A_T6_T7_T9_mT8_S1C_bDpT10_ENKUlT_T0_E_clISt17integral_constantIbLb1EES1O_IbLb0EEEEDaS1K_S1L_EUlS1K_E_NS1_11comp_targetILNS1_3genE10ELNS1_11target_archE1200ELNS1_3gpuE4ELNS1_3repE0EEENS1_30default_config_static_selectorELNS0_4arch9wavefront6targetE1EEEvSY_,"axG",@progbits,_ZN7rocprim17ROCPRIM_400000_NS6detail17trampoline_kernelINS0_13select_configILj256ELj13ELNS0_17block_load_methodE3ELS4_3ELS4_3ELNS0_20block_scan_algorithmE0ELj4294967295EEENS1_25partition_config_selectorILNS1_17partition_subalgoE3EjNS0_10empty_typeEbEEZZNS1_14partition_implILS8_3ELb0ES6_jNS0_17counting_iteratorIjlEEPS9_SE_NS0_5tupleIJPjSE_EEENSF_IJSE_SE_EEES9_SG_JZNS1_25segmented_radix_sort_implINS0_14default_configELb1EPKbPbPKlPlN2at6native12_GLOBAL__N_18offset_tEEE10hipError_tPvRmT1_PNSt15iterator_traitsISY_E10value_typeET2_T3_PNSZ_IS14_E10value_typeET4_jRbjT5_S1A_jjP12ihipStream_tbEUljE_EEESV_SW_SX_S14_S18_S1A_T6_T7_T9_mT8_S1C_bDpT10_ENKUlT_T0_E_clISt17integral_constantIbLb1EES1O_IbLb0EEEEDaS1K_S1L_EUlS1K_E_NS1_11comp_targetILNS1_3genE10ELNS1_11target_archE1200ELNS1_3gpuE4ELNS1_3repE0EEENS1_30default_config_static_selectorELNS0_4arch9wavefront6targetE1EEEvSY_,comdat
	.globl	_ZN7rocprim17ROCPRIM_400000_NS6detail17trampoline_kernelINS0_13select_configILj256ELj13ELNS0_17block_load_methodE3ELS4_3ELS4_3ELNS0_20block_scan_algorithmE0ELj4294967295EEENS1_25partition_config_selectorILNS1_17partition_subalgoE3EjNS0_10empty_typeEbEEZZNS1_14partition_implILS8_3ELb0ES6_jNS0_17counting_iteratorIjlEEPS9_SE_NS0_5tupleIJPjSE_EEENSF_IJSE_SE_EEES9_SG_JZNS1_25segmented_radix_sort_implINS0_14default_configELb1EPKbPbPKlPlN2at6native12_GLOBAL__N_18offset_tEEE10hipError_tPvRmT1_PNSt15iterator_traitsISY_E10value_typeET2_T3_PNSZ_IS14_E10value_typeET4_jRbjT5_S1A_jjP12ihipStream_tbEUljE_EEESV_SW_SX_S14_S18_S1A_T6_T7_T9_mT8_S1C_bDpT10_ENKUlT_T0_E_clISt17integral_constantIbLb1EES1O_IbLb0EEEEDaS1K_S1L_EUlS1K_E_NS1_11comp_targetILNS1_3genE10ELNS1_11target_archE1200ELNS1_3gpuE4ELNS1_3repE0EEENS1_30default_config_static_selectorELNS0_4arch9wavefront6targetE1EEEvSY_ ; -- Begin function _ZN7rocprim17ROCPRIM_400000_NS6detail17trampoline_kernelINS0_13select_configILj256ELj13ELNS0_17block_load_methodE3ELS4_3ELS4_3ELNS0_20block_scan_algorithmE0ELj4294967295EEENS1_25partition_config_selectorILNS1_17partition_subalgoE3EjNS0_10empty_typeEbEEZZNS1_14partition_implILS8_3ELb0ES6_jNS0_17counting_iteratorIjlEEPS9_SE_NS0_5tupleIJPjSE_EEENSF_IJSE_SE_EEES9_SG_JZNS1_25segmented_radix_sort_implINS0_14default_configELb1EPKbPbPKlPlN2at6native12_GLOBAL__N_18offset_tEEE10hipError_tPvRmT1_PNSt15iterator_traitsISY_E10value_typeET2_T3_PNSZ_IS14_E10value_typeET4_jRbjT5_S1A_jjP12ihipStream_tbEUljE_EEESV_SW_SX_S14_S18_S1A_T6_T7_T9_mT8_S1C_bDpT10_ENKUlT_T0_E_clISt17integral_constantIbLb1EES1O_IbLb0EEEEDaS1K_S1L_EUlS1K_E_NS1_11comp_targetILNS1_3genE10ELNS1_11target_archE1200ELNS1_3gpuE4ELNS1_3repE0EEENS1_30default_config_static_selectorELNS0_4arch9wavefront6targetE1EEEvSY_
	.p2align	8
	.type	_ZN7rocprim17ROCPRIM_400000_NS6detail17trampoline_kernelINS0_13select_configILj256ELj13ELNS0_17block_load_methodE3ELS4_3ELS4_3ELNS0_20block_scan_algorithmE0ELj4294967295EEENS1_25partition_config_selectorILNS1_17partition_subalgoE3EjNS0_10empty_typeEbEEZZNS1_14partition_implILS8_3ELb0ES6_jNS0_17counting_iteratorIjlEEPS9_SE_NS0_5tupleIJPjSE_EEENSF_IJSE_SE_EEES9_SG_JZNS1_25segmented_radix_sort_implINS0_14default_configELb1EPKbPbPKlPlN2at6native12_GLOBAL__N_18offset_tEEE10hipError_tPvRmT1_PNSt15iterator_traitsISY_E10value_typeET2_T3_PNSZ_IS14_E10value_typeET4_jRbjT5_S1A_jjP12ihipStream_tbEUljE_EEESV_SW_SX_S14_S18_S1A_T6_T7_T9_mT8_S1C_bDpT10_ENKUlT_T0_E_clISt17integral_constantIbLb1EES1O_IbLb0EEEEDaS1K_S1L_EUlS1K_E_NS1_11comp_targetILNS1_3genE10ELNS1_11target_archE1200ELNS1_3gpuE4ELNS1_3repE0EEENS1_30default_config_static_selectorELNS0_4arch9wavefront6targetE1EEEvSY_,@function
_ZN7rocprim17ROCPRIM_400000_NS6detail17trampoline_kernelINS0_13select_configILj256ELj13ELNS0_17block_load_methodE3ELS4_3ELS4_3ELNS0_20block_scan_algorithmE0ELj4294967295EEENS1_25partition_config_selectorILNS1_17partition_subalgoE3EjNS0_10empty_typeEbEEZZNS1_14partition_implILS8_3ELb0ES6_jNS0_17counting_iteratorIjlEEPS9_SE_NS0_5tupleIJPjSE_EEENSF_IJSE_SE_EEES9_SG_JZNS1_25segmented_radix_sort_implINS0_14default_configELb1EPKbPbPKlPlN2at6native12_GLOBAL__N_18offset_tEEE10hipError_tPvRmT1_PNSt15iterator_traitsISY_E10value_typeET2_T3_PNSZ_IS14_E10value_typeET4_jRbjT5_S1A_jjP12ihipStream_tbEUljE_EEESV_SW_SX_S14_S18_S1A_T6_T7_T9_mT8_S1C_bDpT10_ENKUlT_T0_E_clISt17integral_constantIbLb1EES1O_IbLb0EEEEDaS1K_S1L_EUlS1K_E_NS1_11comp_targetILNS1_3genE10ELNS1_11target_archE1200ELNS1_3gpuE4ELNS1_3repE0EEENS1_30default_config_static_selectorELNS0_4arch9wavefront6targetE1EEEvSY_: ; @_ZN7rocprim17ROCPRIM_400000_NS6detail17trampoline_kernelINS0_13select_configILj256ELj13ELNS0_17block_load_methodE3ELS4_3ELS4_3ELNS0_20block_scan_algorithmE0ELj4294967295EEENS1_25partition_config_selectorILNS1_17partition_subalgoE3EjNS0_10empty_typeEbEEZZNS1_14partition_implILS8_3ELb0ES6_jNS0_17counting_iteratorIjlEEPS9_SE_NS0_5tupleIJPjSE_EEENSF_IJSE_SE_EEES9_SG_JZNS1_25segmented_radix_sort_implINS0_14default_configELb1EPKbPbPKlPlN2at6native12_GLOBAL__N_18offset_tEEE10hipError_tPvRmT1_PNSt15iterator_traitsISY_E10value_typeET2_T3_PNSZ_IS14_E10value_typeET4_jRbjT5_S1A_jjP12ihipStream_tbEUljE_EEESV_SW_SX_S14_S18_S1A_T6_T7_T9_mT8_S1C_bDpT10_ENKUlT_T0_E_clISt17integral_constantIbLb1EES1O_IbLb0EEEEDaS1K_S1L_EUlS1K_E_NS1_11comp_targetILNS1_3genE10ELNS1_11target_archE1200ELNS1_3gpuE4ELNS1_3repE0EEENS1_30default_config_static_selectorELNS0_4arch9wavefront6targetE1EEEvSY_
; %bb.0:
	.section	.rodata,"a",@progbits
	.p2align	6, 0x0
	.amdhsa_kernel _ZN7rocprim17ROCPRIM_400000_NS6detail17trampoline_kernelINS0_13select_configILj256ELj13ELNS0_17block_load_methodE3ELS4_3ELS4_3ELNS0_20block_scan_algorithmE0ELj4294967295EEENS1_25partition_config_selectorILNS1_17partition_subalgoE3EjNS0_10empty_typeEbEEZZNS1_14partition_implILS8_3ELb0ES6_jNS0_17counting_iteratorIjlEEPS9_SE_NS0_5tupleIJPjSE_EEENSF_IJSE_SE_EEES9_SG_JZNS1_25segmented_radix_sort_implINS0_14default_configELb1EPKbPbPKlPlN2at6native12_GLOBAL__N_18offset_tEEE10hipError_tPvRmT1_PNSt15iterator_traitsISY_E10value_typeET2_T3_PNSZ_IS14_E10value_typeET4_jRbjT5_S1A_jjP12ihipStream_tbEUljE_EEESV_SW_SX_S14_S18_S1A_T6_T7_T9_mT8_S1C_bDpT10_ENKUlT_T0_E_clISt17integral_constantIbLb1EES1O_IbLb0EEEEDaS1K_S1L_EUlS1K_E_NS1_11comp_targetILNS1_3genE10ELNS1_11target_archE1200ELNS1_3gpuE4ELNS1_3repE0EEENS1_30default_config_static_selectorELNS0_4arch9wavefront6targetE1EEEvSY_
		.amdhsa_group_segment_fixed_size 0
		.amdhsa_private_segment_fixed_size 0
		.amdhsa_kernarg_size 144
		.amdhsa_user_sgpr_count 6
		.amdhsa_user_sgpr_private_segment_buffer 1
		.amdhsa_user_sgpr_dispatch_ptr 0
		.amdhsa_user_sgpr_queue_ptr 0
		.amdhsa_user_sgpr_kernarg_segment_ptr 1
		.amdhsa_user_sgpr_dispatch_id 0
		.amdhsa_user_sgpr_flat_scratch_init 0
		.amdhsa_user_sgpr_kernarg_preload_length 0
		.amdhsa_user_sgpr_kernarg_preload_offset 0
		.amdhsa_user_sgpr_private_segment_size 0
		.amdhsa_uses_dynamic_stack 0
		.amdhsa_system_sgpr_private_segment_wavefront_offset 0
		.amdhsa_system_sgpr_workgroup_id_x 1
		.amdhsa_system_sgpr_workgroup_id_y 0
		.amdhsa_system_sgpr_workgroup_id_z 0
		.amdhsa_system_sgpr_workgroup_info 0
		.amdhsa_system_vgpr_workitem_id 0
		.amdhsa_next_free_vgpr 1
		.amdhsa_next_free_sgpr 0
		.amdhsa_accum_offset 4
		.amdhsa_reserve_vcc 0
		.amdhsa_reserve_flat_scratch 0
		.amdhsa_float_round_mode_32 0
		.amdhsa_float_round_mode_16_64 0
		.amdhsa_float_denorm_mode_32 3
		.amdhsa_float_denorm_mode_16_64 3
		.amdhsa_dx10_clamp 1
		.amdhsa_ieee_mode 1
		.amdhsa_fp16_overflow 0
		.amdhsa_tg_split 0
		.amdhsa_exception_fp_ieee_invalid_op 0
		.amdhsa_exception_fp_denorm_src 0
		.amdhsa_exception_fp_ieee_div_zero 0
		.amdhsa_exception_fp_ieee_overflow 0
		.amdhsa_exception_fp_ieee_underflow 0
		.amdhsa_exception_fp_ieee_inexact 0
		.amdhsa_exception_int_div_zero 0
	.end_amdhsa_kernel
	.section	.text._ZN7rocprim17ROCPRIM_400000_NS6detail17trampoline_kernelINS0_13select_configILj256ELj13ELNS0_17block_load_methodE3ELS4_3ELS4_3ELNS0_20block_scan_algorithmE0ELj4294967295EEENS1_25partition_config_selectorILNS1_17partition_subalgoE3EjNS0_10empty_typeEbEEZZNS1_14partition_implILS8_3ELb0ES6_jNS0_17counting_iteratorIjlEEPS9_SE_NS0_5tupleIJPjSE_EEENSF_IJSE_SE_EEES9_SG_JZNS1_25segmented_radix_sort_implINS0_14default_configELb1EPKbPbPKlPlN2at6native12_GLOBAL__N_18offset_tEEE10hipError_tPvRmT1_PNSt15iterator_traitsISY_E10value_typeET2_T3_PNSZ_IS14_E10value_typeET4_jRbjT5_S1A_jjP12ihipStream_tbEUljE_EEESV_SW_SX_S14_S18_S1A_T6_T7_T9_mT8_S1C_bDpT10_ENKUlT_T0_E_clISt17integral_constantIbLb1EES1O_IbLb0EEEEDaS1K_S1L_EUlS1K_E_NS1_11comp_targetILNS1_3genE10ELNS1_11target_archE1200ELNS1_3gpuE4ELNS1_3repE0EEENS1_30default_config_static_selectorELNS0_4arch9wavefront6targetE1EEEvSY_,"axG",@progbits,_ZN7rocprim17ROCPRIM_400000_NS6detail17trampoline_kernelINS0_13select_configILj256ELj13ELNS0_17block_load_methodE3ELS4_3ELS4_3ELNS0_20block_scan_algorithmE0ELj4294967295EEENS1_25partition_config_selectorILNS1_17partition_subalgoE3EjNS0_10empty_typeEbEEZZNS1_14partition_implILS8_3ELb0ES6_jNS0_17counting_iteratorIjlEEPS9_SE_NS0_5tupleIJPjSE_EEENSF_IJSE_SE_EEES9_SG_JZNS1_25segmented_radix_sort_implINS0_14default_configELb1EPKbPbPKlPlN2at6native12_GLOBAL__N_18offset_tEEE10hipError_tPvRmT1_PNSt15iterator_traitsISY_E10value_typeET2_T3_PNSZ_IS14_E10value_typeET4_jRbjT5_S1A_jjP12ihipStream_tbEUljE_EEESV_SW_SX_S14_S18_S1A_T6_T7_T9_mT8_S1C_bDpT10_ENKUlT_T0_E_clISt17integral_constantIbLb1EES1O_IbLb0EEEEDaS1K_S1L_EUlS1K_E_NS1_11comp_targetILNS1_3genE10ELNS1_11target_archE1200ELNS1_3gpuE4ELNS1_3repE0EEENS1_30default_config_static_selectorELNS0_4arch9wavefront6targetE1EEEvSY_,comdat
.Lfunc_end1519:
	.size	_ZN7rocprim17ROCPRIM_400000_NS6detail17trampoline_kernelINS0_13select_configILj256ELj13ELNS0_17block_load_methodE3ELS4_3ELS4_3ELNS0_20block_scan_algorithmE0ELj4294967295EEENS1_25partition_config_selectorILNS1_17partition_subalgoE3EjNS0_10empty_typeEbEEZZNS1_14partition_implILS8_3ELb0ES6_jNS0_17counting_iteratorIjlEEPS9_SE_NS0_5tupleIJPjSE_EEENSF_IJSE_SE_EEES9_SG_JZNS1_25segmented_radix_sort_implINS0_14default_configELb1EPKbPbPKlPlN2at6native12_GLOBAL__N_18offset_tEEE10hipError_tPvRmT1_PNSt15iterator_traitsISY_E10value_typeET2_T3_PNSZ_IS14_E10value_typeET4_jRbjT5_S1A_jjP12ihipStream_tbEUljE_EEESV_SW_SX_S14_S18_S1A_T6_T7_T9_mT8_S1C_bDpT10_ENKUlT_T0_E_clISt17integral_constantIbLb1EES1O_IbLb0EEEEDaS1K_S1L_EUlS1K_E_NS1_11comp_targetILNS1_3genE10ELNS1_11target_archE1200ELNS1_3gpuE4ELNS1_3repE0EEENS1_30default_config_static_selectorELNS0_4arch9wavefront6targetE1EEEvSY_, .Lfunc_end1519-_ZN7rocprim17ROCPRIM_400000_NS6detail17trampoline_kernelINS0_13select_configILj256ELj13ELNS0_17block_load_methodE3ELS4_3ELS4_3ELNS0_20block_scan_algorithmE0ELj4294967295EEENS1_25partition_config_selectorILNS1_17partition_subalgoE3EjNS0_10empty_typeEbEEZZNS1_14partition_implILS8_3ELb0ES6_jNS0_17counting_iteratorIjlEEPS9_SE_NS0_5tupleIJPjSE_EEENSF_IJSE_SE_EEES9_SG_JZNS1_25segmented_radix_sort_implINS0_14default_configELb1EPKbPbPKlPlN2at6native12_GLOBAL__N_18offset_tEEE10hipError_tPvRmT1_PNSt15iterator_traitsISY_E10value_typeET2_T3_PNSZ_IS14_E10value_typeET4_jRbjT5_S1A_jjP12ihipStream_tbEUljE_EEESV_SW_SX_S14_S18_S1A_T6_T7_T9_mT8_S1C_bDpT10_ENKUlT_T0_E_clISt17integral_constantIbLb1EES1O_IbLb0EEEEDaS1K_S1L_EUlS1K_E_NS1_11comp_targetILNS1_3genE10ELNS1_11target_archE1200ELNS1_3gpuE4ELNS1_3repE0EEENS1_30default_config_static_selectorELNS0_4arch9wavefront6targetE1EEEvSY_
                                        ; -- End function
	.section	.AMDGPU.csdata,"",@progbits
; Kernel info:
; codeLenInByte = 0
; NumSgprs: 4
; NumVgprs: 0
; NumAgprs: 0
; TotalNumVgprs: 0
; ScratchSize: 0
; MemoryBound: 0
; FloatMode: 240
; IeeeMode: 1
; LDSByteSize: 0 bytes/workgroup (compile time only)
; SGPRBlocks: 0
; VGPRBlocks: 0
; NumSGPRsForWavesPerEU: 4
; NumVGPRsForWavesPerEU: 1
; AccumOffset: 4
; Occupancy: 8
; WaveLimiterHint : 0
; COMPUTE_PGM_RSRC2:SCRATCH_EN: 0
; COMPUTE_PGM_RSRC2:USER_SGPR: 6
; COMPUTE_PGM_RSRC2:TRAP_HANDLER: 0
; COMPUTE_PGM_RSRC2:TGID_X_EN: 1
; COMPUTE_PGM_RSRC2:TGID_Y_EN: 0
; COMPUTE_PGM_RSRC2:TGID_Z_EN: 0
; COMPUTE_PGM_RSRC2:TIDIG_COMP_CNT: 0
; COMPUTE_PGM_RSRC3_GFX90A:ACCUM_OFFSET: 0
; COMPUTE_PGM_RSRC3_GFX90A:TG_SPLIT: 0
	.section	.text._ZN7rocprim17ROCPRIM_400000_NS6detail17trampoline_kernelINS0_13select_configILj256ELj13ELNS0_17block_load_methodE3ELS4_3ELS4_3ELNS0_20block_scan_algorithmE0ELj4294967295EEENS1_25partition_config_selectorILNS1_17partition_subalgoE3EjNS0_10empty_typeEbEEZZNS1_14partition_implILS8_3ELb0ES6_jNS0_17counting_iteratorIjlEEPS9_SE_NS0_5tupleIJPjSE_EEENSF_IJSE_SE_EEES9_SG_JZNS1_25segmented_radix_sort_implINS0_14default_configELb1EPKbPbPKlPlN2at6native12_GLOBAL__N_18offset_tEEE10hipError_tPvRmT1_PNSt15iterator_traitsISY_E10value_typeET2_T3_PNSZ_IS14_E10value_typeET4_jRbjT5_S1A_jjP12ihipStream_tbEUljE_EEESV_SW_SX_S14_S18_S1A_T6_T7_T9_mT8_S1C_bDpT10_ENKUlT_T0_E_clISt17integral_constantIbLb1EES1O_IbLb0EEEEDaS1K_S1L_EUlS1K_E_NS1_11comp_targetILNS1_3genE9ELNS1_11target_archE1100ELNS1_3gpuE3ELNS1_3repE0EEENS1_30default_config_static_selectorELNS0_4arch9wavefront6targetE1EEEvSY_,"axG",@progbits,_ZN7rocprim17ROCPRIM_400000_NS6detail17trampoline_kernelINS0_13select_configILj256ELj13ELNS0_17block_load_methodE3ELS4_3ELS4_3ELNS0_20block_scan_algorithmE0ELj4294967295EEENS1_25partition_config_selectorILNS1_17partition_subalgoE3EjNS0_10empty_typeEbEEZZNS1_14partition_implILS8_3ELb0ES6_jNS0_17counting_iteratorIjlEEPS9_SE_NS0_5tupleIJPjSE_EEENSF_IJSE_SE_EEES9_SG_JZNS1_25segmented_radix_sort_implINS0_14default_configELb1EPKbPbPKlPlN2at6native12_GLOBAL__N_18offset_tEEE10hipError_tPvRmT1_PNSt15iterator_traitsISY_E10value_typeET2_T3_PNSZ_IS14_E10value_typeET4_jRbjT5_S1A_jjP12ihipStream_tbEUljE_EEESV_SW_SX_S14_S18_S1A_T6_T7_T9_mT8_S1C_bDpT10_ENKUlT_T0_E_clISt17integral_constantIbLb1EES1O_IbLb0EEEEDaS1K_S1L_EUlS1K_E_NS1_11comp_targetILNS1_3genE9ELNS1_11target_archE1100ELNS1_3gpuE3ELNS1_3repE0EEENS1_30default_config_static_selectorELNS0_4arch9wavefront6targetE1EEEvSY_,comdat
	.globl	_ZN7rocprim17ROCPRIM_400000_NS6detail17trampoline_kernelINS0_13select_configILj256ELj13ELNS0_17block_load_methodE3ELS4_3ELS4_3ELNS0_20block_scan_algorithmE0ELj4294967295EEENS1_25partition_config_selectorILNS1_17partition_subalgoE3EjNS0_10empty_typeEbEEZZNS1_14partition_implILS8_3ELb0ES6_jNS0_17counting_iteratorIjlEEPS9_SE_NS0_5tupleIJPjSE_EEENSF_IJSE_SE_EEES9_SG_JZNS1_25segmented_radix_sort_implINS0_14default_configELb1EPKbPbPKlPlN2at6native12_GLOBAL__N_18offset_tEEE10hipError_tPvRmT1_PNSt15iterator_traitsISY_E10value_typeET2_T3_PNSZ_IS14_E10value_typeET4_jRbjT5_S1A_jjP12ihipStream_tbEUljE_EEESV_SW_SX_S14_S18_S1A_T6_T7_T9_mT8_S1C_bDpT10_ENKUlT_T0_E_clISt17integral_constantIbLb1EES1O_IbLb0EEEEDaS1K_S1L_EUlS1K_E_NS1_11comp_targetILNS1_3genE9ELNS1_11target_archE1100ELNS1_3gpuE3ELNS1_3repE0EEENS1_30default_config_static_selectorELNS0_4arch9wavefront6targetE1EEEvSY_ ; -- Begin function _ZN7rocprim17ROCPRIM_400000_NS6detail17trampoline_kernelINS0_13select_configILj256ELj13ELNS0_17block_load_methodE3ELS4_3ELS4_3ELNS0_20block_scan_algorithmE0ELj4294967295EEENS1_25partition_config_selectorILNS1_17partition_subalgoE3EjNS0_10empty_typeEbEEZZNS1_14partition_implILS8_3ELb0ES6_jNS0_17counting_iteratorIjlEEPS9_SE_NS0_5tupleIJPjSE_EEENSF_IJSE_SE_EEES9_SG_JZNS1_25segmented_radix_sort_implINS0_14default_configELb1EPKbPbPKlPlN2at6native12_GLOBAL__N_18offset_tEEE10hipError_tPvRmT1_PNSt15iterator_traitsISY_E10value_typeET2_T3_PNSZ_IS14_E10value_typeET4_jRbjT5_S1A_jjP12ihipStream_tbEUljE_EEESV_SW_SX_S14_S18_S1A_T6_T7_T9_mT8_S1C_bDpT10_ENKUlT_T0_E_clISt17integral_constantIbLb1EES1O_IbLb0EEEEDaS1K_S1L_EUlS1K_E_NS1_11comp_targetILNS1_3genE9ELNS1_11target_archE1100ELNS1_3gpuE3ELNS1_3repE0EEENS1_30default_config_static_selectorELNS0_4arch9wavefront6targetE1EEEvSY_
	.p2align	8
	.type	_ZN7rocprim17ROCPRIM_400000_NS6detail17trampoline_kernelINS0_13select_configILj256ELj13ELNS0_17block_load_methodE3ELS4_3ELS4_3ELNS0_20block_scan_algorithmE0ELj4294967295EEENS1_25partition_config_selectorILNS1_17partition_subalgoE3EjNS0_10empty_typeEbEEZZNS1_14partition_implILS8_3ELb0ES6_jNS0_17counting_iteratorIjlEEPS9_SE_NS0_5tupleIJPjSE_EEENSF_IJSE_SE_EEES9_SG_JZNS1_25segmented_radix_sort_implINS0_14default_configELb1EPKbPbPKlPlN2at6native12_GLOBAL__N_18offset_tEEE10hipError_tPvRmT1_PNSt15iterator_traitsISY_E10value_typeET2_T3_PNSZ_IS14_E10value_typeET4_jRbjT5_S1A_jjP12ihipStream_tbEUljE_EEESV_SW_SX_S14_S18_S1A_T6_T7_T9_mT8_S1C_bDpT10_ENKUlT_T0_E_clISt17integral_constantIbLb1EES1O_IbLb0EEEEDaS1K_S1L_EUlS1K_E_NS1_11comp_targetILNS1_3genE9ELNS1_11target_archE1100ELNS1_3gpuE3ELNS1_3repE0EEENS1_30default_config_static_selectorELNS0_4arch9wavefront6targetE1EEEvSY_,@function
_ZN7rocprim17ROCPRIM_400000_NS6detail17trampoline_kernelINS0_13select_configILj256ELj13ELNS0_17block_load_methodE3ELS4_3ELS4_3ELNS0_20block_scan_algorithmE0ELj4294967295EEENS1_25partition_config_selectorILNS1_17partition_subalgoE3EjNS0_10empty_typeEbEEZZNS1_14partition_implILS8_3ELb0ES6_jNS0_17counting_iteratorIjlEEPS9_SE_NS0_5tupleIJPjSE_EEENSF_IJSE_SE_EEES9_SG_JZNS1_25segmented_radix_sort_implINS0_14default_configELb1EPKbPbPKlPlN2at6native12_GLOBAL__N_18offset_tEEE10hipError_tPvRmT1_PNSt15iterator_traitsISY_E10value_typeET2_T3_PNSZ_IS14_E10value_typeET4_jRbjT5_S1A_jjP12ihipStream_tbEUljE_EEESV_SW_SX_S14_S18_S1A_T6_T7_T9_mT8_S1C_bDpT10_ENKUlT_T0_E_clISt17integral_constantIbLb1EES1O_IbLb0EEEEDaS1K_S1L_EUlS1K_E_NS1_11comp_targetILNS1_3genE9ELNS1_11target_archE1100ELNS1_3gpuE3ELNS1_3repE0EEENS1_30default_config_static_selectorELNS0_4arch9wavefront6targetE1EEEvSY_: ; @_ZN7rocprim17ROCPRIM_400000_NS6detail17trampoline_kernelINS0_13select_configILj256ELj13ELNS0_17block_load_methodE3ELS4_3ELS4_3ELNS0_20block_scan_algorithmE0ELj4294967295EEENS1_25partition_config_selectorILNS1_17partition_subalgoE3EjNS0_10empty_typeEbEEZZNS1_14partition_implILS8_3ELb0ES6_jNS0_17counting_iteratorIjlEEPS9_SE_NS0_5tupleIJPjSE_EEENSF_IJSE_SE_EEES9_SG_JZNS1_25segmented_radix_sort_implINS0_14default_configELb1EPKbPbPKlPlN2at6native12_GLOBAL__N_18offset_tEEE10hipError_tPvRmT1_PNSt15iterator_traitsISY_E10value_typeET2_T3_PNSZ_IS14_E10value_typeET4_jRbjT5_S1A_jjP12ihipStream_tbEUljE_EEESV_SW_SX_S14_S18_S1A_T6_T7_T9_mT8_S1C_bDpT10_ENKUlT_T0_E_clISt17integral_constantIbLb1EES1O_IbLb0EEEEDaS1K_S1L_EUlS1K_E_NS1_11comp_targetILNS1_3genE9ELNS1_11target_archE1100ELNS1_3gpuE3ELNS1_3repE0EEENS1_30default_config_static_selectorELNS0_4arch9wavefront6targetE1EEEvSY_
; %bb.0:
	.section	.rodata,"a",@progbits
	.p2align	6, 0x0
	.amdhsa_kernel _ZN7rocprim17ROCPRIM_400000_NS6detail17trampoline_kernelINS0_13select_configILj256ELj13ELNS0_17block_load_methodE3ELS4_3ELS4_3ELNS0_20block_scan_algorithmE0ELj4294967295EEENS1_25partition_config_selectorILNS1_17partition_subalgoE3EjNS0_10empty_typeEbEEZZNS1_14partition_implILS8_3ELb0ES6_jNS0_17counting_iteratorIjlEEPS9_SE_NS0_5tupleIJPjSE_EEENSF_IJSE_SE_EEES9_SG_JZNS1_25segmented_radix_sort_implINS0_14default_configELb1EPKbPbPKlPlN2at6native12_GLOBAL__N_18offset_tEEE10hipError_tPvRmT1_PNSt15iterator_traitsISY_E10value_typeET2_T3_PNSZ_IS14_E10value_typeET4_jRbjT5_S1A_jjP12ihipStream_tbEUljE_EEESV_SW_SX_S14_S18_S1A_T6_T7_T9_mT8_S1C_bDpT10_ENKUlT_T0_E_clISt17integral_constantIbLb1EES1O_IbLb0EEEEDaS1K_S1L_EUlS1K_E_NS1_11comp_targetILNS1_3genE9ELNS1_11target_archE1100ELNS1_3gpuE3ELNS1_3repE0EEENS1_30default_config_static_selectorELNS0_4arch9wavefront6targetE1EEEvSY_
		.amdhsa_group_segment_fixed_size 0
		.amdhsa_private_segment_fixed_size 0
		.amdhsa_kernarg_size 144
		.amdhsa_user_sgpr_count 6
		.amdhsa_user_sgpr_private_segment_buffer 1
		.amdhsa_user_sgpr_dispatch_ptr 0
		.amdhsa_user_sgpr_queue_ptr 0
		.amdhsa_user_sgpr_kernarg_segment_ptr 1
		.amdhsa_user_sgpr_dispatch_id 0
		.amdhsa_user_sgpr_flat_scratch_init 0
		.amdhsa_user_sgpr_kernarg_preload_length 0
		.amdhsa_user_sgpr_kernarg_preload_offset 0
		.amdhsa_user_sgpr_private_segment_size 0
		.amdhsa_uses_dynamic_stack 0
		.amdhsa_system_sgpr_private_segment_wavefront_offset 0
		.amdhsa_system_sgpr_workgroup_id_x 1
		.amdhsa_system_sgpr_workgroup_id_y 0
		.amdhsa_system_sgpr_workgroup_id_z 0
		.amdhsa_system_sgpr_workgroup_info 0
		.amdhsa_system_vgpr_workitem_id 0
		.amdhsa_next_free_vgpr 1
		.amdhsa_next_free_sgpr 0
		.amdhsa_accum_offset 4
		.amdhsa_reserve_vcc 0
		.amdhsa_reserve_flat_scratch 0
		.amdhsa_float_round_mode_32 0
		.amdhsa_float_round_mode_16_64 0
		.amdhsa_float_denorm_mode_32 3
		.amdhsa_float_denorm_mode_16_64 3
		.amdhsa_dx10_clamp 1
		.amdhsa_ieee_mode 1
		.amdhsa_fp16_overflow 0
		.amdhsa_tg_split 0
		.amdhsa_exception_fp_ieee_invalid_op 0
		.amdhsa_exception_fp_denorm_src 0
		.amdhsa_exception_fp_ieee_div_zero 0
		.amdhsa_exception_fp_ieee_overflow 0
		.amdhsa_exception_fp_ieee_underflow 0
		.amdhsa_exception_fp_ieee_inexact 0
		.amdhsa_exception_int_div_zero 0
	.end_amdhsa_kernel
	.section	.text._ZN7rocprim17ROCPRIM_400000_NS6detail17trampoline_kernelINS0_13select_configILj256ELj13ELNS0_17block_load_methodE3ELS4_3ELS4_3ELNS0_20block_scan_algorithmE0ELj4294967295EEENS1_25partition_config_selectorILNS1_17partition_subalgoE3EjNS0_10empty_typeEbEEZZNS1_14partition_implILS8_3ELb0ES6_jNS0_17counting_iteratorIjlEEPS9_SE_NS0_5tupleIJPjSE_EEENSF_IJSE_SE_EEES9_SG_JZNS1_25segmented_radix_sort_implINS0_14default_configELb1EPKbPbPKlPlN2at6native12_GLOBAL__N_18offset_tEEE10hipError_tPvRmT1_PNSt15iterator_traitsISY_E10value_typeET2_T3_PNSZ_IS14_E10value_typeET4_jRbjT5_S1A_jjP12ihipStream_tbEUljE_EEESV_SW_SX_S14_S18_S1A_T6_T7_T9_mT8_S1C_bDpT10_ENKUlT_T0_E_clISt17integral_constantIbLb1EES1O_IbLb0EEEEDaS1K_S1L_EUlS1K_E_NS1_11comp_targetILNS1_3genE9ELNS1_11target_archE1100ELNS1_3gpuE3ELNS1_3repE0EEENS1_30default_config_static_selectorELNS0_4arch9wavefront6targetE1EEEvSY_,"axG",@progbits,_ZN7rocprim17ROCPRIM_400000_NS6detail17trampoline_kernelINS0_13select_configILj256ELj13ELNS0_17block_load_methodE3ELS4_3ELS4_3ELNS0_20block_scan_algorithmE0ELj4294967295EEENS1_25partition_config_selectorILNS1_17partition_subalgoE3EjNS0_10empty_typeEbEEZZNS1_14partition_implILS8_3ELb0ES6_jNS0_17counting_iteratorIjlEEPS9_SE_NS0_5tupleIJPjSE_EEENSF_IJSE_SE_EEES9_SG_JZNS1_25segmented_radix_sort_implINS0_14default_configELb1EPKbPbPKlPlN2at6native12_GLOBAL__N_18offset_tEEE10hipError_tPvRmT1_PNSt15iterator_traitsISY_E10value_typeET2_T3_PNSZ_IS14_E10value_typeET4_jRbjT5_S1A_jjP12ihipStream_tbEUljE_EEESV_SW_SX_S14_S18_S1A_T6_T7_T9_mT8_S1C_bDpT10_ENKUlT_T0_E_clISt17integral_constantIbLb1EES1O_IbLb0EEEEDaS1K_S1L_EUlS1K_E_NS1_11comp_targetILNS1_3genE9ELNS1_11target_archE1100ELNS1_3gpuE3ELNS1_3repE0EEENS1_30default_config_static_selectorELNS0_4arch9wavefront6targetE1EEEvSY_,comdat
.Lfunc_end1520:
	.size	_ZN7rocprim17ROCPRIM_400000_NS6detail17trampoline_kernelINS0_13select_configILj256ELj13ELNS0_17block_load_methodE3ELS4_3ELS4_3ELNS0_20block_scan_algorithmE0ELj4294967295EEENS1_25partition_config_selectorILNS1_17partition_subalgoE3EjNS0_10empty_typeEbEEZZNS1_14partition_implILS8_3ELb0ES6_jNS0_17counting_iteratorIjlEEPS9_SE_NS0_5tupleIJPjSE_EEENSF_IJSE_SE_EEES9_SG_JZNS1_25segmented_radix_sort_implINS0_14default_configELb1EPKbPbPKlPlN2at6native12_GLOBAL__N_18offset_tEEE10hipError_tPvRmT1_PNSt15iterator_traitsISY_E10value_typeET2_T3_PNSZ_IS14_E10value_typeET4_jRbjT5_S1A_jjP12ihipStream_tbEUljE_EEESV_SW_SX_S14_S18_S1A_T6_T7_T9_mT8_S1C_bDpT10_ENKUlT_T0_E_clISt17integral_constantIbLb1EES1O_IbLb0EEEEDaS1K_S1L_EUlS1K_E_NS1_11comp_targetILNS1_3genE9ELNS1_11target_archE1100ELNS1_3gpuE3ELNS1_3repE0EEENS1_30default_config_static_selectorELNS0_4arch9wavefront6targetE1EEEvSY_, .Lfunc_end1520-_ZN7rocprim17ROCPRIM_400000_NS6detail17trampoline_kernelINS0_13select_configILj256ELj13ELNS0_17block_load_methodE3ELS4_3ELS4_3ELNS0_20block_scan_algorithmE0ELj4294967295EEENS1_25partition_config_selectorILNS1_17partition_subalgoE3EjNS0_10empty_typeEbEEZZNS1_14partition_implILS8_3ELb0ES6_jNS0_17counting_iteratorIjlEEPS9_SE_NS0_5tupleIJPjSE_EEENSF_IJSE_SE_EEES9_SG_JZNS1_25segmented_radix_sort_implINS0_14default_configELb1EPKbPbPKlPlN2at6native12_GLOBAL__N_18offset_tEEE10hipError_tPvRmT1_PNSt15iterator_traitsISY_E10value_typeET2_T3_PNSZ_IS14_E10value_typeET4_jRbjT5_S1A_jjP12ihipStream_tbEUljE_EEESV_SW_SX_S14_S18_S1A_T6_T7_T9_mT8_S1C_bDpT10_ENKUlT_T0_E_clISt17integral_constantIbLb1EES1O_IbLb0EEEEDaS1K_S1L_EUlS1K_E_NS1_11comp_targetILNS1_3genE9ELNS1_11target_archE1100ELNS1_3gpuE3ELNS1_3repE0EEENS1_30default_config_static_selectorELNS0_4arch9wavefront6targetE1EEEvSY_
                                        ; -- End function
	.section	.AMDGPU.csdata,"",@progbits
; Kernel info:
; codeLenInByte = 0
; NumSgprs: 4
; NumVgprs: 0
; NumAgprs: 0
; TotalNumVgprs: 0
; ScratchSize: 0
; MemoryBound: 0
; FloatMode: 240
; IeeeMode: 1
; LDSByteSize: 0 bytes/workgroup (compile time only)
; SGPRBlocks: 0
; VGPRBlocks: 0
; NumSGPRsForWavesPerEU: 4
; NumVGPRsForWavesPerEU: 1
; AccumOffset: 4
; Occupancy: 8
; WaveLimiterHint : 0
; COMPUTE_PGM_RSRC2:SCRATCH_EN: 0
; COMPUTE_PGM_RSRC2:USER_SGPR: 6
; COMPUTE_PGM_RSRC2:TRAP_HANDLER: 0
; COMPUTE_PGM_RSRC2:TGID_X_EN: 1
; COMPUTE_PGM_RSRC2:TGID_Y_EN: 0
; COMPUTE_PGM_RSRC2:TGID_Z_EN: 0
; COMPUTE_PGM_RSRC2:TIDIG_COMP_CNT: 0
; COMPUTE_PGM_RSRC3_GFX90A:ACCUM_OFFSET: 0
; COMPUTE_PGM_RSRC3_GFX90A:TG_SPLIT: 0
	.section	.text._ZN7rocprim17ROCPRIM_400000_NS6detail17trampoline_kernelINS0_13select_configILj256ELj13ELNS0_17block_load_methodE3ELS4_3ELS4_3ELNS0_20block_scan_algorithmE0ELj4294967295EEENS1_25partition_config_selectorILNS1_17partition_subalgoE3EjNS0_10empty_typeEbEEZZNS1_14partition_implILS8_3ELb0ES6_jNS0_17counting_iteratorIjlEEPS9_SE_NS0_5tupleIJPjSE_EEENSF_IJSE_SE_EEES9_SG_JZNS1_25segmented_radix_sort_implINS0_14default_configELb1EPKbPbPKlPlN2at6native12_GLOBAL__N_18offset_tEEE10hipError_tPvRmT1_PNSt15iterator_traitsISY_E10value_typeET2_T3_PNSZ_IS14_E10value_typeET4_jRbjT5_S1A_jjP12ihipStream_tbEUljE_EEESV_SW_SX_S14_S18_S1A_T6_T7_T9_mT8_S1C_bDpT10_ENKUlT_T0_E_clISt17integral_constantIbLb1EES1O_IbLb0EEEEDaS1K_S1L_EUlS1K_E_NS1_11comp_targetILNS1_3genE8ELNS1_11target_archE1030ELNS1_3gpuE2ELNS1_3repE0EEENS1_30default_config_static_selectorELNS0_4arch9wavefront6targetE1EEEvSY_,"axG",@progbits,_ZN7rocprim17ROCPRIM_400000_NS6detail17trampoline_kernelINS0_13select_configILj256ELj13ELNS0_17block_load_methodE3ELS4_3ELS4_3ELNS0_20block_scan_algorithmE0ELj4294967295EEENS1_25partition_config_selectorILNS1_17partition_subalgoE3EjNS0_10empty_typeEbEEZZNS1_14partition_implILS8_3ELb0ES6_jNS0_17counting_iteratorIjlEEPS9_SE_NS0_5tupleIJPjSE_EEENSF_IJSE_SE_EEES9_SG_JZNS1_25segmented_radix_sort_implINS0_14default_configELb1EPKbPbPKlPlN2at6native12_GLOBAL__N_18offset_tEEE10hipError_tPvRmT1_PNSt15iterator_traitsISY_E10value_typeET2_T3_PNSZ_IS14_E10value_typeET4_jRbjT5_S1A_jjP12ihipStream_tbEUljE_EEESV_SW_SX_S14_S18_S1A_T6_T7_T9_mT8_S1C_bDpT10_ENKUlT_T0_E_clISt17integral_constantIbLb1EES1O_IbLb0EEEEDaS1K_S1L_EUlS1K_E_NS1_11comp_targetILNS1_3genE8ELNS1_11target_archE1030ELNS1_3gpuE2ELNS1_3repE0EEENS1_30default_config_static_selectorELNS0_4arch9wavefront6targetE1EEEvSY_,comdat
	.globl	_ZN7rocprim17ROCPRIM_400000_NS6detail17trampoline_kernelINS0_13select_configILj256ELj13ELNS0_17block_load_methodE3ELS4_3ELS4_3ELNS0_20block_scan_algorithmE0ELj4294967295EEENS1_25partition_config_selectorILNS1_17partition_subalgoE3EjNS0_10empty_typeEbEEZZNS1_14partition_implILS8_3ELb0ES6_jNS0_17counting_iteratorIjlEEPS9_SE_NS0_5tupleIJPjSE_EEENSF_IJSE_SE_EEES9_SG_JZNS1_25segmented_radix_sort_implINS0_14default_configELb1EPKbPbPKlPlN2at6native12_GLOBAL__N_18offset_tEEE10hipError_tPvRmT1_PNSt15iterator_traitsISY_E10value_typeET2_T3_PNSZ_IS14_E10value_typeET4_jRbjT5_S1A_jjP12ihipStream_tbEUljE_EEESV_SW_SX_S14_S18_S1A_T6_T7_T9_mT8_S1C_bDpT10_ENKUlT_T0_E_clISt17integral_constantIbLb1EES1O_IbLb0EEEEDaS1K_S1L_EUlS1K_E_NS1_11comp_targetILNS1_3genE8ELNS1_11target_archE1030ELNS1_3gpuE2ELNS1_3repE0EEENS1_30default_config_static_selectorELNS0_4arch9wavefront6targetE1EEEvSY_ ; -- Begin function _ZN7rocprim17ROCPRIM_400000_NS6detail17trampoline_kernelINS0_13select_configILj256ELj13ELNS0_17block_load_methodE3ELS4_3ELS4_3ELNS0_20block_scan_algorithmE0ELj4294967295EEENS1_25partition_config_selectorILNS1_17partition_subalgoE3EjNS0_10empty_typeEbEEZZNS1_14partition_implILS8_3ELb0ES6_jNS0_17counting_iteratorIjlEEPS9_SE_NS0_5tupleIJPjSE_EEENSF_IJSE_SE_EEES9_SG_JZNS1_25segmented_radix_sort_implINS0_14default_configELb1EPKbPbPKlPlN2at6native12_GLOBAL__N_18offset_tEEE10hipError_tPvRmT1_PNSt15iterator_traitsISY_E10value_typeET2_T3_PNSZ_IS14_E10value_typeET4_jRbjT5_S1A_jjP12ihipStream_tbEUljE_EEESV_SW_SX_S14_S18_S1A_T6_T7_T9_mT8_S1C_bDpT10_ENKUlT_T0_E_clISt17integral_constantIbLb1EES1O_IbLb0EEEEDaS1K_S1L_EUlS1K_E_NS1_11comp_targetILNS1_3genE8ELNS1_11target_archE1030ELNS1_3gpuE2ELNS1_3repE0EEENS1_30default_config_static_selectorELNS0_4arch9wavefront6targetE1EEEvSY_
	.p2align	8
	.type	_ZN7rocprim17ROCPRIM_400000_NS6detail17trampoline_kernelINS0_13select_configILj256ELj13ELNS0_17block_load_methodE3ELS4_3ELS4_3ELNS0_20block_scan_algorithmE0ELj4294967295EEENS1_25partition_config_selectorILNS1_17partition_subalgoE3EjNS0_10empty_typeEbEEZZNS1_14partition_implILS8_3ELb0ES6_jNS0_17counting_iteratorIjlEEPS9_SE_NS0_5tupleIJPjSE_EEENSF_IJSE_SE_EEES9_SG_JZNS1_25segmented_radix_sort_implINS0_14default_configELb1EPKbPbPKlPlN2at6native12_GLOBAL__N_18offset_tEEE10hipError_tPvRmT1_PNSt15iterator_traitsISY_E10value_typeET2_T3_PNSZ_IS14_E10value_typeET4_jRbjT5_S1A_jjP12ihipStream_tbEUljE_EEESV_SW_SX_S14_S18_S1A_T6_T7_T9_mT8_S1C_bDpT10_ENKUlT_T0_E_clISt17integral_constantIbLb1EES1O_IbLb0EEEEDaS1K_S1L_EUlS1K_E_NS1_11comp_targetILNS1_3genE8ELNS1_11target_archE1030ELNS1_3gpuE2ELNS1_3repE0EEENS1_30default_config_static_selectorELNS0_4arch9wavefront6targetE1EEEvSY_,@function
_ZN7rocprim17ROCPRIM_400000_NS6detail17trampoline_kernelINS0_13select_configILj256ELj13ELNS0_17block_load_methodE3ELS4_3ELS4_3ELNS0_20block_scan_algorithmE0ELj4294967295EEENS1_25partition_config_selectorILNS1_17partition_subalgoE3EjNS0_10empty_typeEbEEZZNS1_14partition_implILS8_3ELb0ES6_jNS0_17counting_iteratorIjlEEPS9_SE_NS0_5tupleIJPjSE_EEENSF_IJSE_SE_EEES9_SG_JZNS1_25segmented_radix_sort_implINS0_14default_configELb1EPKbPbPKlPlN2at6native12_GLOBAL__N_18offset_tEEE10hipError_tPvRmT1_PNSt15iterator_traitsISY_E10value_typeET2_T3_PNSZ_IS14_E10value_typeET4_jRbjT5_S1A_jjP12ihipStream_tbEUljE_EEESV_SW_SX_S14_S18_S1A_T6_T7_T9_mT8_S1C_bDpT10_ENKUlT_T0_E_clISt17integral_constantIbLb1EES1O_IbLb0EEEEDaS1K_S1L_EUlS1K_E_NS1_11comp_targetILNS1_3genE8ELNS1_11target_archE1030ELNS1_3gpuE2ELNS1_3repE0EEENS1_30default_config_static_selectorELNS0_4arch9wavefront6targetE1EEEvSY_: ; @_ZN7rocprim17ROCPRIM_400000_NS6detail17trampoline_kernelINS0_13select_configILj256ELj13ELNS0_17block_load_methodE3ELS4_3ELS4_3ELNS0_20block_scan_algorithmE0ELj4294967295EEENS1_25partition_config_selectorILNS1_17partition_subalgoE3EjNS0_10empty_typeEbEEZZNS1_14partition_implILS8_3ELb0ES6_jNS0_17counting_iteratorIjlEEPS9_SE_NS0_5tupleIJPjSE_EEENSF_IJSE_SE_EEES9_SG_JZNS1_25segmented_radix_sort_implINS0_14default_configELb1EPKbPbPKlPlN2at6native12_GLOBAL__N_18offset_tEEE10hipError_tPvRmT1_PNSt15iterator_traitsISY_E10value_typeET2_T3_PNSZ_IS14_E10value_typeET4_jRbjT5_S1A_jjP12ihipStream_tbEUljE_EEESV_SW_SX_S14_S18_S1A_T6_T7_T9_mT8_S1C_bDpT10_ENKUlT_T0_E_clISt17integral_constantIbLb1EES1O_IbLb0EEEEDaS1K_S1L_EUlS1K_E_NS1_11comp_targetILNS1_3genE8ELNS1_11target_archE1030ELNS1_3gpuE2ELNS1_3repE0EEENS1_30default_config_static_selectorELNS0_4arch9wavefront6targetE1EEEvSY_
; %bb.0:
	.section	.rodata,"a",@progbits
	.p2align	6, 0x0
	.amdhsa_kernel _ZN7rocprim17ROCPRIM_400000_NS6detail17trampoline_kernelINS0_13select_configILj256ELj13ELNS0_17block_load_methodE3ELS4_3ELS4_3ELNS0_20block_scan_algorithmE0ELj4294967295EEENS1_25partition_config_selectorILNS1_17partition_subalgoE3EjNS0_10empty_typeEbEEZZNS1_14partition_implILS8_3ELb0ES6_jNS0_17counting_iteratorIjlEEPS9_SE_NS0_5tupleIJPjSE_EEENSF_IJSE_SE_EEES9_SG_JZNS1_25segmented_radix_sort_implINS0_14default_configELb1EPKbPbPKlPlN2at6native12_GLOBAL__N_18offset_tEEE10hipError_tPvRmT1_PNSt15iterator_traitsISY_E10value_typeET2_T3_PNSZ_IS14_E10value_typeET4_jRbjT5_S1A_jjP12ihipStream_tbEUljE_EEESV_SW_SX_S14_S18_S1A_T6_T7_T9_mT8_S1C_bDpT10_ENKUlT_T0_E_clISt17integral_constantIbLb1EES1O_IbLb0EEEEDaS1K_S1L_EUlS1K_E_NS1_11comp_targetILNS1_3genE8ELNS1_11target_archE1030ELNS1_3gpuE2ELNS1_3repE0EEENS1_30default_config_static_selectorELNS0_4arch9wavefront6targetE1EEEvSY_
		.amdhsa_group_segment_fixed_size 0
		.amdhsa_private_segment_fixed_size 0
		.amdhsa_kernarg_size 144
		.amdhsa_user_sgpr_count 6
		.amdhsa_user_sgpr_private_segment_buffer 1
		.amdhsa_user_sgpr_dispatch_ptr 0
		.amdhsa_user_sgpr_queue_ptr 0
		.amdhsa_user_sgpr_kernarg_segment_ptr 1
		.amdhsa_user_sgpr_dispatch_id 0
		.amdhsa_user_sgpr_flat_scratch_init 0
		.amdhsa_user_sgpr_kernarg_preload_length 0
		.amdhsa_user_sgpr_kernarg_preload_offset 0
		.amdhsa_user_sgpr_private_segment_size 0
		.amdhsa_uses_dynamic_stack 0
		.amdhsa_system_sgpr_private_segment_wavefront_offset 0
		.amdhsa_system_sgpr_workgroup_id_x 1
		.amdhsa_system_sgpr_workgroup_id_y 0
		.amdhsa_system_sgpr_workgroup_id_z 0
		.amdhsa_system_sgpr_workgroup_info 0
		.amdhsa_system_vgpr_workitem_id 0
		.amdhsa_next_free_vgpr 1
		.amdhsa_next_free_sgpr 0
		.amdhsa_accum_offset 4
		.amdhsa_reserve_vcc 0
		.amdhsa_reserve_flat_scratch 0
		.amdhsa_float_round_mode_32 0
		.amdhsa_float_round_mode_16_64 0
		.amdhsa_float_denorm_mode_32 3
		.amdhsa_float_denorm_mode_16_64 3
		.amdhsa_dx10_clamp 1
		.amdhsa_ieee_mode 1
		.amdhsa_fp16_overflow 0
		.amdhsa_tg_split 0
		.amdhsa_exception_fp_ieee_invalid_op 0
		.amdhsa_exception_fp_denorm_src 0
		.amdhsa_exception_fp_ieee_div_zero 0
		.amdhsa_exception_fp_ieee_overflow 0
		.amdhsa_exception_fp_ieee_underflow 0
		.amdhsa_exception_fp_ieee_inexact 0
		.amdhsa_exception_int_div_zero 0
	.end_amdhsa_kernel
	.section	.text._ZN7rocprim17ROCPRIM_400000_NS6detail17trampoline_kernelINS0_13select_configILj256ELj13ELNS0_17block_load_methodE3ELS4_3ELS4_3ELNS0_20block_scan_algorithmE0ELj4294967295EEENS1_25partition_config_selectorILNS1_17partition_subalgoE3EjNS0_10empty_typeEbEEZZNS1_14partition_implILS8_3ELb0ES6_jNS0_17counting_iteratorIjlEEPS9_SE_NS0_5tupleIJPjSE_EEENSF_IJSE_SE_EEES9_SG_JZNS1_25segmented_radix_sort_implINS0_14default_configELb1EPKbPbPKlPlN2at6native12_GLOBAL__N_18offset_tEEE10hipError_tPvRmT1_PNSt15iterator_traitsISY_E10value_typeET2_T3_PNSZ_IS14_E10value_typeET4_jRbjT5_S1A_jjP12ihipStream_tbEUljE_EEESV_SW_SX_S14_S18_S1A_T6_T7_T9_mT8_S1C_bDpT10_ENKUlT_T0_E_clISt17integral_constantIbLb1EES1O_IbLb0EEEEDaS1K_S1L_EUlS1K_E_NS1_11comp_targetILNS1_3genE8ELNS1_11target_archE1030ELNS1_3gpuE2ELNS1_3repE0EEENS1_30default_config_static_selectorELNS0_4arch9wavefront6targetE1EEEvSY_,"axG",@progbits,_ZN7rocprim17ROCPRIM_400000_NS6detail17trampoline_kernelINS0_13select_configILj256ELj13ELNS0_17block_load_methodE3ELS4_3ELS4_3ELNS0_20block_scan_algorithmE0ELj4294967295EEENS1_25partition_config_selectorILNS1_17partition_subalgoE3EjNS0_10empty_typeEbEEZZNS1_14partition_implILS8_3ELb0ES6_jNS0_17counting_iteratorIjlEEPS9_SE_NS0_5tupleIJPjSE_EEENSF_IJSE_SE_EEES9_SG_JZNS1_25segmented_radix_sort_implINS0_14default_configELb1EPKbPbPKlPlN2at6native12_GLOBAL__N_18offset_tEEE10hipError_tPvRmT1_PNSt15iterator_traitsISY_E10value_typeET2_T3_PNSZ_IS14_E10value_typeET4_jRbjT5_S1A_jjP12ihipStream_tbEUljE_EEESV_SW_SX_S14_S18_S1A_T6_T7_T9_mT8_S1C_bDpT10_ENKUlT_T0_E_clISt17integral_constantIbLb1EES1O_IbLb0EEEEDaS1K_S1L_EUlS1K_E_NS1_11comp_targetILNS1_3genE8ELNS1_11target_archE1030ELNS1_3gpuE2ELNS1_3repE0EEENS1_30default_config_static_selectorELNS0_4arch9wavefront6targetE1EEEvSY_,comdat
.Lfunc_end1521:
	.size	_ZN7rocprim17ROCPRIM_400000_NS6detail17trampoline_kernelINS0_13select_configILj256ELj13ELNS0_17block_load_methodE3ELS4_3ELS4_3ELNS0_20block_scan_algorithmE0ELj4294967295EEENS1_25partition_config_selectorILNS1_17partition_subalgoE3EjNS0_10empty_typeEbEEZZNS1_14partition_implILS8_3ELb0ES6_jNS0_17counting_iteratorIjlEEPS9_SE_NS0_5tupleIJPjSE_EEENSF_IJSE_SE_EEES9_SG_JZNS1_25segmented_radix_sort_implINS0_14default_configELb1EPKbPbPKlPlN2at6native12_GLOBAL__N_18offset_tEEE10hipError_tPvRmT1_PNSt15iterator_traitsISY_E10value_typeET2_T3_PNSZ_IS14_E10value_typeET4_jRbjT5_S1A_jjP12ihipStream_tbEUljE_EEESV_SW_SX_S14_S18_S1A_T6_T7_T9_mT8_S1C_bDpT10_ENKUlT_T0_E_clISt17integral_constantIbLb1EES1O_IbLb0EEEEDaS1K_S1L_EUlS1K_E_NS1_11comp_targetILNS1_3genE8ELNS1_11target_archE1030ELNS1_3gpuE2ELNS1_3repE0EEENS1_30default_config_static_selectorELNS0_4arch9wavefront6targetE1EEEvSY_, .Lfunc_end1521-_ZN7rocprim17ROCPRIM_400000_NS6detail17trampoline_kernelINS0_13select_configILj256ELj13ELNS0_17block_load_methodE3ELS4_3ELS4_3ELNS0_20block_scan_algorithmE0ELj4294967295EEENS1_25partition_config_selectorILNS1_17partition_subalgoE3EjNS0_10empty_typeEbEEZZNS1_14partition_implILS8_3ELb0ES6_jNS0_17counting_iteratorIjlEEPS9_SE_NS0_5tupleIJPjSE_EEENSF_IJSE_SE_EEES9_SG_JZNS1_25segmented_radix_sort_implINS0_14default_configELb1EPKbPbPKlPlN2at6native12_GLOBAL__N_18offset_tEEE10hipError_tPvRmT1_PNSt15iterator_traitsISY_E10value_typeET2_T3_PNSZ_IS14_E10value_typeET4_jRbjT5_S1A_jjP12ihipStream_tbEUljE_EEESV_SW_SX_S14_S18_S1A_T6_T7_T9_mT8_S1C_bDpT10_ENKUlT_T0_E_clISt17integral_constantIbLb1EES1O_IbLb0EEEEDaS1K_S1L_EUlS1K_E_NS1_11comp_targetILNS1_3genE8ELNS1_11target_archE1030ELNS1_3gpuE2ELNS1_3repE0EEENS1_30default_config_static_selectorELNS0_4arch9wavefront6targetE1EEEvSY_
                                        ; -- End function
	.section	.AMDGPU.csdata,"",@progbits
; Kernel info:
; codeLenInByte = 0
; NumSgprs: 4
; NumVgprs: 0
; NumAgprs: 0
; TotalNumVgprs: 0
; ScratchSize: 0
; MemoryBound: 0
; FloatMode: 240
; IeeeMode: 1
; LDSByteSize: 0 bytes/workgroup (compile time only)
; SGPRBlocks: 0
; VGPRBlocks: 0
; NumSGPRsForWavesPerEU: 4
; NumVGPRsForWavesPerEU: 1
; AccumOffset: 4
; Occupancy: 8
; WaveLimiterHint : 0
; COMPUTE_PGM_RSRC2:SCRATCH_EN: 0
; COMPUTE_PGM_RSRC2:USER_SGPR: 6
; COMPUTE_PGM_RSRC2:TRAP_HANDLER: 0
; COMPUTE_PGM_RSRC2:TGID_X_EN: 1
; COMPUTE_PGM_RSRC2:TGID_Y_EN: 0
; COMPUTE_PGM_RSRC2:TGID_Z_EN: 0
; COMPUTE_PGM_RSRC2:TIDIG_COMP_CNT: 0
; COMPUTE_PGM_RSRC3_GFX90A:ACCUM_OFFSET: 0
; COMPUTE_PGM_RSRC3_GFX90A:TG_SPLIT: 0
	.section	.text._ZN7rocprim17ROCPRIM_400000_NS6detail17trampoline_kernelINS0_13select_configILj256ELj13ELNS0_17block_load_methodE3ELS4_3ELS4_3ELNS0_20block_scan_algorithmE0ELj4294967295EEENS1_25partition_config_selectorILNS1_17partition_subalgoE3EjNS0_10empty_typeEbEEZZNS1_14partition_implILS8_3ELb0ES6_jNS0_17counting_iteratorIjlEEPS9_SE_NS0_5tupleIJPjSE_EEENSF_IJSE_SE_EEES9_SG_JZNS1_25segmented_radix_sort_implINS0_14default_configELb1EPKbPbPKlPlN2at6native12_GLOBAL__N_18offset_tEEE10hipError_tPvRmT1_PNSt15iterator_traitsISY_E10value_typeET2_T3_PNSZ_IS14_E10value_typeET4_jRbjT5_S1A_jjP12ihipStream_tbEUljE_EEESV_SW_SX_S14_S18_S1A_T6_T7_T9_mT8_S1C_bDpT10_ENKUlT_T0_E_clISt17integral_constantIbLb0EES1O_IbLb1EEEEDaS1K_S1L_EUlS1K_E_NS1_11comp_targetILNS1_3genE0ELNS1_11target_archE4294967295ELNS1_3gpuE0ELNS1_3repE0EEENS1_30default_config_static_selectorELNS0_4arch9wavefront6targetE1EEEvSY_,"axG",@progbits,_ZN7rocprim17ROCPRIM_400000_NS6detail17trampoline_kernelINS0_13select_configILj256ELj13ELNS0_17block_load_methodE3ELS4_3ELS4_3ELNS0_20block_scan_algorithmE0ELj4294967295EEENS1_25partition_config_selectorILNS1_17partition_subalgoE3EjNS0_10empty_typeEbEEZZNS1_14partition_implILS8_3ELb0ES6_jNS0_17counting_iteratorIjlEEPS9_SE_NS0_5tupleIJPjSE_EEENSF_IJSE_SE_EEES9_SG_JZNS1_25segmented_radix_sort_implINS0_14default_configELb1EPKbPbPKlPlN2at6native12_GLOBAL__N_18offset_tEEE10hipError_tPvRmT1_PNSt15iterator_traitsISY_E10value_typeET2_T3_PNSZ_IS14_E10value_typeET4_jRbjT5_S1A_jjP12ihipStream_tbEUljE_EEESV_SW_SX_S14_S18_S1A_T6_T7_T9_mT8_S1C_bDpT10_ENKUlT_T0_E_clISt17integral_constantIbLb0EES1O_IbLb1EEEEDaS1K_S1L_EUlS1K_E_NS1_11comp_targetILNS1_3genE0ELNS1_11target_archE4294967295ELNS1_3gpuE0ELNS1_3repE0EEENS1_30default_config_static_selectorELNS0_4arch9wavefront6targetE1EEEvSY_,comdat
	.globl	_ZN7rocprim17ROCPRIM_400000_NS6detail17trampoline_kernelINS0_13select_configILj256ELj13ELNS0_17block_load_methodE3ELS4_3ELS4_3ELNS0_20block_scan_algorithmE0ELj4294967295EEENS1_25partition_config_selectorILNS1_17partition_subalgoE3EjNS0_10empty_typeEbEEZZNS1_14partition_implILS8_3ELb0ES6_jNS0_17counting_iteratorIjlEEPS9_SE_NS0_5tupleIJPjSE_EEENSF_IJSE_SE_EEES9_SG_JZNS1_25segmented_radix_sort_implINS0_14default_configELb1EPKbPbPKlPlN2at6native12_GLOBAL__N_18offset_tEEE10hipError_tPvRmT1_PNSt15iterator_traitsISY_E10value_typeET2_T3_PNSZ_IS14_E10value_typeET4_jRbjT5_S1A_jjP12ihipStream_tbEUljE_EEESV_SW_SX_S14_S18_S1A_T6_T7_T9_mT8_S1C_bDpT10_ENKUlT_T0_E_clISt17integral_constantIbLb0EES1O_IbLb1EEEEDaS1K_S1L_EUlS1K_E_NS1_11comp_targetILNS1_3genE0ELNS1_11target_archE4294967295ELNS1_3gpuE0ELNS1_3repE0EEENS1_30default_config_static_selectorELNS0_4arch9wavefront6targetE1EEEvSY_ ; -- Begin function _ZN7rocprim17ROCPRIM_400000_NS6detail17trampoline_kernelINS0_13select_configILj256ELj13ELNS0_17block_load_methodE3ELS4_3ELS4_3ELNS0_20block_scan_algorithmE0ELj4294967295EEENS1_25partition_config_selectorILNS1_17partition_subalgoE3EjNS0_10empty_typeEbEEZZNS1_14partition_implILS8_3ELb0ES6_jNS0_17counting_iteratorIjlEEPS9_SE_NS0_5tupleIJPjSE_EEENSF_IJSE_SE_EEES9_SG_JZNS1_25segmented_radix_sort_implINS0_14default_configELb1EPKbPbPKlPlN2at6native12_GLOBAL__N_18offset_tEEE10hipError_tPvRmT1_PNSt15iterator_traitsISY_E10value_typeET2_T3_PNSZ_IS14_E10value_typeET4_jRbjT5_S1A_jjP12ihipStream_tbEUljE_EEESV_SW_SX_S14_S18_S1A_T6_T7_T9_mT8_S1C_bDpT10_ENKUlT_T0_E_clISt17integral_constantIbLb0EES1O_IbLb1EEEEDaS1K_S1L_EUlS1K_E_NS1_11comp_targetILNS1_3genE0ELNS1_11target_archE4294967295ELNS1_3gpuE0ELNS1_3repE0EEENS1_30default_config_static_selectorELNS0_4arch9wavefront6targetE1EEEvSY_
	.p2align	8
	.type	_ZN7rocprim17ROCPRIM_400000_NS6detail17trampoline_kernelINS0_13select_configILj256ELj13ELNS0_17block_load_methodE3ELS4_3ELS4_3ELNS0_20block_scan_algorithmE0ELj4294967295EEENS1_25partition_config_selectorILNS1_17partition_subalgoE3EjNS0_10empty_typeEbEEZZNS1_14partition_implILS8_3ELb0ES6_jNS0_17counting_iteratorIjlEEPS9_SE_NS0_5tupleIJPjSE_EEENSF_IJSE_SE_EEES9_SG_JZNS1_25segmented_radix_sort_implINS0_14default_configELb1EPKbPbPKlPlN2at6native12_GLOBAL__N_18offset_tEEE10hipError_tPvRmT1_PNSt15iterator_traitsISY_E10value_typeET2_T3_PNSZ_IS14_E10value_typeET4_jRbjT5_S1A_jjP12ihipStream_tbEUljE_EEESV_SW_SX_S14_S18_S1A_T6_T7_T9_mT8_S1C_bDpT10_ENKUlT_T0_E_clISt17integral_constantIbLb0EES1O_IbLb1EEEEDaS1K_S1L_EUlS1K_E_NS1_11comp_targetILNS1_3genE0ELNS1_11target_archE4294967295ELNS1_3gpuE0ELNS1_3repE0EEENS1_30default_config_static_selectorELNS0_4arch9wavefront6targetE1EEEvSY_,@function
_ZN7rocprim17ROCPRIM_400000_NS6detail17trampoline_kernelINS0_13select_configILj256ELj13ELNS0_17block_load_methodE3ELS4_3ELS4_3ELNS0_20block_scan_algorithmE0ELj4294967295EEENS1_25partition_config_selectorILNS1_17partition_subalgoE3EjNS0_10empty_typeEbEEZZNS1_14partition_implILS8_3ELb0ES6_jNS0_17counting_iteratorIjlEEPS9_SE_NS0_5tupleIJPjSE_EEENSF_IJSE_SE_EEES9_SG_JZNS1_25segmented_radix_sort_implINS0_14default_configELb1EPKbPbPKlPlN2at6native12_GLOBAL__N_18offset_tEEE10hipError_tPvRmT1_PNSt15iterator_traitsISY_E10value_typeET2_T3_PNSZ_IS14_E10value_typeET4_jRbjT5_S1A_jjP12ihipStream_tbEUljE_EEESV_SW_SX_S14_S18_S1A_T6_T7_T9_mT8_S1C_bDpT10_ENKUlT_T0_E_clISt17integral_constantIbLb0EES1O_IbLb1EEEEDaS1K_S1L_EUlS1K_E_NS1_11comp_targetILNS1_3genE0ELNS1_11target_archE4294967295ELNS1_3gpuE0ELNS1_3repE0EEENS1_30default_config_static_selectorELNS0_4arch9wavefront6targetE1EEEvSY_: ; @_ZN7rocprim17ROCPRIM_400000_NS6detail17trampoline_kernelINS0_13select_configILj256ELj13ELNS0_17block_load_methodE3ELS4_3ELS4_3ELNS0_20block_scan_algorithmE0ELj4294967295EEENS1_25partition_config_selectorILNS1_17partition_subalgoE3EjNS0_10empty_typeEbEEZZNS1_14partition_implILS8_3ELb0ES6_jNS0_17counting_iteratorIjlEEPS9_SE_NS0_5tupleIJPjSE_EEENSF_IJSE_SE_EEES9_SG_JZNS1_25segmented_radix_sort_implINS0_14default_configELb1EPKbPbPKlPlN2at6native12_GLOBAL__N_18offset_tEEE10hipError_tPvRmT1_PNSt15iterator_traitsISY_E10value_typeET2_T3_PNSZ_IS14_E10value_typeET4_jRbjT5_S1A_jjP12ihipStream_tbEUljE_EEESV_SW_SX_S14_S18_S1A_T6_T7_T9_mT8_S1C_bDpT10_ENKUlT_T0_E_clISt17integral_constantIbLb0EES1O_IbLb1EEEEDaS1K_S1L_EUlS1K_E_NS1_11comp_targetILNS1_3genE0ELNS1_11target_archE4294967295ELNS1_3gpuE0ELNS1_3repE0EEENS1_30default_config_static_selectorELNS0_4arch9wavefront6targetE1EEEvSY_
; %bb.0:
	.section	.rodata,"a",@progbits
	.p2align	6, 0x0
	.amdhsa_kernel _ZN7rocprim17ROCPRIM_400000_NS6detail17trampoline_kernelINS0_13select_configILj256ELj13ELNS0_17block_load_methodE3ELS4_3ELS4_3ELNS0_20block_scan_algorithmE0ELj4294967295EEENS1_25partition_config_selectorILNS1_17partition_subalgoE3EjNS0_10empty_typeEbEEZZNS1_14partition_implILS8_3ELb0ES6_jNS0_17counting_iteratorIjlEEPS9_SE_NS0_5tupleIJPjSE_EEENSF_IJSE_SE_EEES9_SG_JZNS1_25segmented_radix_sort_implINS0_14default_configELb1EPKbPbPKlPlN2at6native12_GLOBAL__N_18offset_tEEE10hipError_tPvRmT1_PNSt15iterator_traitsISY_E10value_typeET2_T3_PNSZ_IS14_E10value_typeET4_jRbjT5_S1A_jjP12ihipStream_tbEUljE_EEESV_SW_SX_S14_S18_S1A_T6_T7_T9_mT8_S1C_bDpT10_ENKUlT_T0_E_clISt17integral_constantIbLb0EES1O_IbLb1EEEEDaS1K_S1L_EUlS1K_E_NS1_11comp_targetILNS1_3genE0ELNS1_11target_archE4294967295ELNS1_3gpuE0ELNS1_3repE0EEENS1_30default_config_static_selectorELNS0_4arch9wavefront6targetE1EEEvSY_
		.amdhsa_group_segment_fixed_size 0
		.amdhsa_private_segment_fixed_size 0
		.amdhsa_kernarg_size 152
		.amdhsa_user_sgpr_count 6
		.amdhsa_user_sgpr_private_segment_buffer 1
		.amdhsa_user_sgpr_dispatch_ptr 0
		.amdhsa_user_sgpr_queue_ptr 0
		.amdhsa_user_sgpr_kernarg_segment_ptr 1
		.amdhsa_user_sgpr_dispatch_id 0
		.amdhsa_user_sgpr_flat_scratch_init 0
		.amdhsa_user_sgpr_kernarg_preload_length 0
		.amdhsa_user_sgpr_kernarg_preload_offset 0
		.amdhsa_user_sgpr_private_segment_size 0
		.amdhsa_uses_dynamic_stack 0
		.amdhsa_system_sgpr_private_segment_wavefront_offset 0
		.amdhsa_system_sgpr_workgroup_id_x 1
		.amdhsa_system_sgpr_workgroup_id_y 0
		.amdhsa_system_sgpr_workgroup_id_z 0
		.amdhsa_system_sgpr_workgroup_info 0
		.amdhsa_system_vgpr_workitem_id 0
		.amdhsa_next_free_vgpr 1
		.amdhsa_next_free_sgpr 0
		.amdhsa_accum_offset 4
		.amdhsa_reserve_vcc 0
		.amdhsa_reserve_flat_scratch 0
		.amdhsa_float_round_mode_32 0
		.amdhsa_float_round_mode_16_64 0
		.amdhsa_float_denorm_mode_32 3
		.amdhsa_float_denorm_mode_16_64 3
		.amdhsa_dx10_clamp 1
		.amdhsa_ieee_mode 1
		.amdhsa_fp16_overflow 0
		.amdhsa_tg_split 0
		.amdhsa_exception_fp_ieee_invalid_op 0
		.amdhsa_exception_fp_denorm_src 0
		.amdhsa_exception_fp_ieee_div_zero 0
		.amdhsa_exception_fp_ieee_overflow 0
		.amdhsa_exception_fp_ieee_underflow 0
		.amdhsa_exception_fp_ieee_inexact 0
		.amdhsa_exception_int_div_zero 0
	.end_amdhsa_kernel
	.section	.text._ZN7rocprim17ROCPRIM_400000_NS6detail17trampoline_kernelINS0_13select_configILj256ELj13ELNS0_17block_load_methodE3ELS4_3ELS4_3ELNS0_20block_scan_algorithmE0ELj4294967295EEENS1_25partition_config_selectorILNS1_17partition_subalgoE3EjNS0_10empty_typeEbEEZZNS1_14partition_implILS8_3ELb0ES6_jNS0_17counting_iteratorIjlEEPS9_SE_NS0_5tupleIJPjSE_EEENSF_IJSE_SE_EEES9_SG_JZNS1_25segmented_radix_sort_implINS0_14default_configELb1EPKbPbPKlPlN2at6native12_GLOBAL__N_18offset_tEEE10hipError_tPvRmT1_PNSt15iterator_traitsISY_E10value_typeET2_T3_PNSZ_IS14_E10value_typeET4_jRbjT5_S1A_jjP12ihipStream_tbEUljE_EEESV_SW_SX_S14_S18_S1A_T6_T7_T9_mT8_S1C_bDpT10_ENKUlT_T0_E_clISt17integral_constantIbLb0EES1O_IbLb1EEEEDaS1K_S1L_EUlS1K_E_NS1_11comp_targetILNS1_3genE0ELNS1_11target_archE4294967295ELNS1_3gpuE0ELNS1_3repE0EEENS1_30default_config_static_selectorELNS0_4arch9wavefront6targetE1EEEvSY_,"axG",@progbits,_ZN7rocprim17ROCPRIM_400000_NS6detail17trampoline_kernelINS0_13select_configILj256ELj13ELNS0_17block_load_methodE3ELS4_3ELS4_3ELNS0_20block_scan_algorithmE0ELj4294967295EEENS1_25partition_config_selectorILNS1_17partition_subalgoE3EjNS0_10empty_typeEbEEZZNS1_14partition_implILS8_3ELb0ES6_jNS0_17counting_iteratorIjlEEPS9_SE_NS0_5tupleIJPjSE_EEENSF_IJSE_SE_EEES9_SG_JZNS1_25segmented_radix_sort_implINS0_14default_configELb1EPKbPbPKlPlN2at6native12_GLOBAL__N_18offset_tEEE10hipError_tPvRmT1_PNSt15iterator_traitsISY_E10value_typeET2_T3_PNSZ_IS14_E10value_typeET4_jRbjT5_S1A_jjP12ihipStream_tbEUljE_EEESV_SW_SX_S14_S18_S1A_T6_T7_T9_mT8_S1C_bDpT10_ENKUlT_T0_E_clISt17integral_constantIbLb0EES1O_IbLb1EEEEDaS1K_S1L_EUlS1K_E_NS1_11comp_targetILNS1_3genE0ELNS1_11target_archE4294967295ELNS1_3gpuE0ELNS1_3repE0EEENS1_30default_config_static_selectorELNS0_4arch9wavefront6targetE1EEEvSY_,comdat
.Lfunc_end1522:
	.size	_ZN7rocprim17ROCPRIM_400000_NS6detail17trampoline_kernelINS0_13select_configILj256ELj13ELNS0_17block_load_methodE3ELS4_3ELS4_3ELNS0_20block_scan_algorithmE0ELj4294967295EEENS1_25partition_config_selectorILNS1_17partition_subalgoE3EjNS0_10empty_typeEbEEZZNS1_14partition_implILS8_3ELb0ES6_jNS0_17counting_iteratorIjlEEPS9_SE_NS0_5tupleIJPjSE_EEENSF_IJSE_SE_EEES9_SG_JZNS1_25segmented_radix_sort_implINS0_14default_configELb1EPKbPbPKlPlN2at6native12_GLOBAL__N_18offset_tEEE10hipError_tPvRmT1_PNSt15iterator_traitsISY_E10value_typeET2_T3_PNSZ_IS14_E10value_typeET4_jRbjT5_S1A_jjP12ihipStream_tbEUljE_EEESV_SW_SX_S14_S18_S1A_T6_T7_T9_mT8_S1C_bDpT10_ENKUlT_T0_E_clISt17integral_constantIbLb0EES1O_IbLb1EEEEDaS1K_S1L_EUlS1K_E_NS1_11comp_targetILNS1_3genE0ELNS1_11target_archE4294967295ELNS1_3gpuE0ELNS1_3repE0EEENS1_30default_config_static_selectorELNS0_4arch9wavefront6targetE1EEEvSY_, .Lfunc_end1522-_ZN7rocprim17ROCPRIM_400000_NS6detail17trampoline_kernelINS0_13select_configILj256ELj13ELNS0_17block_load_methodE3ELS4_3ELS4_3ELNS0_20block_scan_algorithmE0ELj4294967295EEENS1_25partition_config_selectorILNS1_17partition_subalgoE3EjNS0_10empty_typeEbEEZZNS1_14partition_implILS8_3ELb0ES6_jNS0_17counting_iteratorIjlEEPS9_SE_NS0_5tupleIJPjSE_EEENSF_IJSE_SE_EEES9_SG_JZNS1_25segmented_radix_sort_implINS0_14default_configELb1EPKbPbPKlPlN2at6native12_GLOBAL__N_18offset_tEEE10hipError_tPvRmT1_PNSt15iterator_traitsISY_E10value_typeET2_T3_PNSZ_IS14_E10value_typeET4_jRbjT5_S1A_jjP12ihipStream_tbEUljE_EEESV_SW_SX_S14_S18_S1A_T6_T7_T9_mT8_S1C_bDpT10_ENKUlT_T0_E_clISt17integral_constantIbLb0EES1O_IbLb1EEEEDaS1K_S1L_EUlS1K_E_NS1_11comp_targetILNS1_3genE0ELNS1_11target_archE4294967295ELNS1_3gpuE0ELNS1_3repE0EEENS1_30default_config_static_selectorELNS0_4arch9wavefront6targetE1EEEvSY_
                                        ; -- End function
	.section	.AMDGPU.csdata,"",@progbits
; Kernel info:
; codeLenInByte = 0
; NumSgprs: 4
; NumVgprs: 0
; NumAgprs: 0
; TotalNumVgprs: 0
; ScratchSize: 0
; MemoryBound: 0
; FloatMode: 240
; IeeeMode: 1
; LDSByteSize: 0 bytes/workgroup (compile time only)
; SGPRBlocks: 0
; VGPRBlocks: 0
; NumSGPRsForWavesPerEU: 4
; NumVGPRsForWavesPerEU: 1
; AccumOffset: 4
; Occupancy: 8
; WaveLimiterHint : 0
; COMPUTE_PGM_RSRC2:SCRATCH_EN: 0
; COMPUTE_PGM_RSRC2:USER_SGPR: 6
; COMPUTE_PGM_RSRC2:TRAP_HANDLER: 0
; COMPUTE_PGM_RSRC2:TGID_X_EN: 1
; COMPUTE_PGM_RSRC2:TGID_Y_EN: 0
; COMPUTE_PGM_RSRC2:TGID_Z_EN: 0
; COMPUTE_PGM_RSRC2:TIDIG_COMP_CNT: 0
; COMPUTE_PGM_RSRC3_GFX90A:ACCUM_OFFSET: 0
; COMPUTE_PGM_RSRC3_GFX90A:TG_SPLIT: 0
	.section	.text._ZN7rocprim17ROCPRIM_400000_NS6detail17trampoline_kernelINS0_13select_configILj256ELj13ELNS0_17block_load_methodE3ELS4_3ELS4_3ELNS0_20block_scan_algorithmE0ELj4294967295EEENS1_25partition_config_selectorILNS1_17partition_subalgoE3EjNS0_10empty_typeEbEEZZNS1_14partition_implILS8_3ELb0ES6_jNS0_17counting_iteratorIjlEEPS9_SE_NS0_5tupleIJPjSE_EEENSF_IJSE_SE_EEES9_SG_JZNS1_25segmented_radix_sort_implINS0_14default_configELb1EPKbPbPKlPlN2at6native12_GLOBAL__N_18offset_tEEE10hipError_tPvRmT1_PNSt15iterator_traitsISY_E10value_typeET2_T3_PNSZ_IS14_E10value_typeET4_jRbjT5_S1A_jjP12ihipStream_tbEUljE_EEESV_SW_SX_S14_S18_S1A_T6_T7_T9_mT8_S1C_bDpT10_ENKUlT_T0_E_clISt17integral_constantIbLb0EES1O_IbLb1EEEEDaS1K_S1L_EUlS1K_E_NS1_11comp_targetILNS1_3genE5ELNS1_11target_archE942ELNS1_3gpuE9ELNS1_3repE0EEENS1_30default_config_static_selectorELNS0_4arch9wavefront6targetE1EEEvSY_,"axG",@progbits,_ZN7rocprim17ROCPRIM_400000_NS6detail17trampoline_kernelINS0_13select_configILj256ELj13ELNS0_17block_load_methodE3ELS4_3ELS4_3ELNS0_20block_scan_algorithmE0ELj4294967295EEENS1_25partition_config_selectorILNS1_17partition_subalgoE3EjNS0_10empty_typeEbEEZZNS1_14partition_implILS8_3ELb0ES6_jNS0_17counting_iteratorIjlEEPS9_SE_NS0_5tupleIJPjSE_EEENSF_IJSE_SE_EEES9_SG_JZNS1_25segmented_radix_sort_implINS0_14default_configELb1EPKbPbPKlPlN2at6native12_GLOBAL__N_18offset_tEEE10hipError_tPvRmT1_PNSt15iterator_traitsISY_E10value_typeET2_T3_PNSZ_IS14_E10value_typeET4_jRbjT5_S1A_jjP12ihipStream_tbEUljE_EEESV_SW_SX_S14_S18_S1A_T6_T7_T9_mT8_S1C_bDpT10_ENKUlT_T0_E_clISt17integral_constantIbLb0EES1O_IbLb1EEEEDaS1K_S1L_EUlS1K_E_NS1_11comp_targetILNS1_3genE5ELNS1_11target_archE942ELNS1_3gpuE9ELNS1_3repE0EEENS1_30default_config_static_selectorELNS0_4arch9wavefront6targetE1EEEvSY_,comdat
	.globl	_ZN7rocprim17ROCPRIM_400000_NS6detail17trampoline_kernelINS0_13select_configILj256ELj13ELNS0_17block_load_methodE3ELS4_3ELS4_3ELNS0_20block_scan_algorithmE0ELj4294967295EEENS1_25partition_config_selectorILNS1_17partition_subalgoE3EjNS0_10empty_typeEbEEZZNS1_14partition_implILS8_3ELb0ES6_jNS0_17counting_iteratorIjlEEPS9_SE_NS0_5tupleIJPjSE_EEENSF_IJSE_SE_EEES9_SG_JZNS1_25segmented_radix_sort_implINS0_14default_configELb1EPKbPbPKlPlN2at6native12_GLOBAL__N_18offset_tEEE10hipError_tPvRmT1_PNSt15iterator_traitsISY_E10value_typeET2_T3_PNSZ_IS14_E10value_typeET4_jRbjT5_S1A_jjP12ihipStream_tbEUljE_EEESV_SW_SX_S14_S18_S1A_T6_T7_T9_mT8_S1C_bDpT10_ENKUlT_T0_E_clISt17integral_constantIbLb0EES1O_IbLb1EEEEDaS1K_S1L_EUlS1K_E_NS1_11comp_targetILNS1_3genE5ELNS1_11target_archE942ELNS1_3gpuE9ELNS1_3repE0EEENS1_30default_config_static_selectorELNS0_4arch9wavefront6targetE1EEEvSY_ ; -- Begin function _ZN7rocprim17ROCPRIM_400000_NS6detail17trampoline_kernelINS0_13select_configILj256ELj13ELNS0_17block_load_methodE3ELS4_3ELS4_3ELNS0_20block_scan_algorithmE0ELj4294967295EEENS1_25partition_config_selectorILNS1_17partition_subalgoE3EjNS0_10empty_typeEbEEZZNS1_14partition_implILS8_3ELb0ES6_jNS0_17counting_iteratorIjlEEPS9_SE_NS0_5tupleIJPjSE_EEENSF_IJSE_SE_EEES9_SG_JZNS1_25segmented_radix_sort_implINS0_14default_configELb1EPKbPbPKlPlN2at6native12_GLOBAL__N_18offset_tEEE10hipError_tPvRmT1_PNSt15iterator_traitsISY_E10value_typeET2_T3_PNSZ_IS14_E10value_typeET4_jRbjT5_S1A_jjP12ihipStream_tbEUljE_EEESV_SW_SX_S14_S18_S1A_T6_T7_T9_mT8_S1C_bDpT10_ENKUlT_T0_E_clISt17integral_constantIbLb0EES1O_IbLb1EEEEDaS1K_S1L_EUlS1K_E_NS1_11comp_targetILNS1_3genE5ELNS1_11target_archE942ELNS1_3gpuE9ELNS1_3repE0EEENS1_30default_config_static_selectorELNS0_4arch9wavefront6targetE1EEEvSY_
	.p2align	8
	.type	_ZN7rocprim17ROCPRIM_400000_NS6detail17trampoline_kernelINS0_13select_configILj256ELj13ELNS0_17block_load_methodE3ELS4_3ELS4_3ELNS0_20block_scan_algorithmE0ELj4294967295EEENS1_25partition_config_selectorILNS1_17partition_subalgoE3EjNS0_10empty_typeEbEEZZNS1_14partition_implILS8_3ELb0ES6_jNS0_17counting_iteratorIjlEEPS9_SE_NS0_5tupleIJPjSE_EEENSF_IJSE_SE_EEES9_SG_JZNS1_25segmented_radix_sort_implINS0_14default_configELb1EPKbPbPKlPlN2at6native12_GLOBAL__N_18offset_tEEE10hipError_tPvRmT1_PNSt15iterator_traitsISY_E10value_typeET2_T3_PNSZ_IS14_E10value_typeET4_jRbjT5_S1A_jjP12ihipStream_tbEUljE_EEESV_SW_SX_S14_S18_S1A_T6_T7_T9_mT8_S1C_bDpT10_ENKUlT_T0_E_clISt17integral_constantIbLb0EES1O_IbLb1EEEEDaS1K_S1L_EUlS1K_E_NS1_11comp_targetILNS1_3genE5ELNS1_11target_archE942ELNS1_3gpuE9ELNS1_3repE0EEENS1_30default_config_static_selectorELNS0_4arch9wavefront6targetE1EEEvSY_,@function
_ZN7rocprim17ROCPRIM_400000_NS6detail17trampoline_kernelINS0_13select_configILj256ELj13ELNS0_17block_load_methodE3ELS4_3ELS4_3ELNS0_20block_scan_algorithmE0ELj4294967295EEENS1_25partition_config_selectorILNS1_17partition_subalgoE3EjNS0_10empty_typeEbEEZZNS1_14partition_implILS8_3ELb0ES6_jNS0_17counting_iteratorIjlEEPS9_SE_NS0_5tupleIJPjSE_EEENSF_IJSE_SE_EEES9_SG_JZNS1_25segmented_radix_sort_implINS0_14default_configELb1EPKbPbPKlPlN2at6native12_GLOBAL__N_18offset_tEEE10hipError_tPvRmT1_PNSt15iterator_traitsISY_E10value_typeET2_T3_PNSZ_IS14_E10value_typeET4_jRbjT5_S1A_jjP12ihipStream_tbEUljE_EEESV_SW_SX_S14_S18_S1A_T6_T7_T9_mT8_S1C_bDpT10_ENKUlT_T0_E_clISt17integral_constantIbLb0EES1O_IbLb1EEEEDaS1K_S1L_EUlS1K_E_NS1_11comp_targetILNS1_3genE5ELNS1_11target_archE942ELNS1_3gpuE9ELNS1_3repE0EEENS1_30default_config_static_selectorELNS0_4arch9wavefront6targetE1EEEvSY_: ; @_ZN7rocprim17ROCPRIM_400000_NS6detail17trampoline_kernelINS0_13select_configILj256ELj13ELNS0_17block_load_methodE3ELS4_3ELS4_3ELNS0_20block_scan_algorithmE0ELj4294967295EEENS1_25partition_config_selectorILNS1_17partition_subalgoE3EjNS0_10empty_typeEbEEZZNS1_14partition_implILS8_3ELb0ES6_jNS0_17counting_iteratorIjlEEPS9_SE_NS0_5tupleIJPjSE_EEENSF_IJSE_SE_EEES9_SG_JZNS1_25segmented_radix_sort_implINS0_14default_configELb1EPKbPbPKlPlN2at6native12_GLOBAL__N_18offset_tEEE10hipError_tPvRmT1_PNSt15iterator_traitsISY_E10value_typeET2_T3_PNSZ_IS14_E10value_typeET4_jRbjT5_S1A_jjP12ihipStream_tbEUljE_EEESV_SW_SX_S14_S18_S1A_T6_T7_T9_mT8_S1C_bDpT10_ENKUlT_T0_E_clISt17integral_constantIbLb0EES1O_IbLb1EEEEDaS1K_S1L_EUlS1K_E_NS1_11comp_targetILNS1_3genE5ELNS1_11target_archE942ELNS1_3gpuE9ELNS1_3repE0EEENS1_30default_config_static_selectorELNS0_4arch9wavefront6targetE1EEEvSY_
; %bb.0:
	.section	.rodata,"a",@progbits
	.p2align	6, 0x0
	.amdhsa_kernel _ZN7rocprim17ROCPRIM_400000_NS6detail17trampoline_kernelINS0_13select_configILj256ELj13ELNS0_17block_load_methodE3ELS4_3ELS4_3ELNS0_20block_scan_algorithmE0ELj4294967295EEENS1_25partition_config_selectorILNS1_17partition_subalgoE3EjNS0_10empty_typeEbEEZZNS1_14partition_implILS8_3ELb0ES6_jNS0_17counting_iteratorIjlEEPS9_SE_NS0_5tupleIJPjSE_EEENSF_IJSE_SE_EEES9_SG_JZNS1_25segmented_radix_sort_implINS0_14default_configELb1EPKbPbPKlPlN2at6native12_GLOBAL__N_18offset_tEEE10hipError_tPvRmT1_PNSt15iterator_traitsISY_E10value_typeET2_T3_PNSZ_IS14_E10value_typeET4_jRbjT5_S1A_jjP12ihipStream_tbEUljE_EEESV_SW_SX_S14_S18_S1A_T6_T7_T9_mT8_S1C_bDpT10_ENKUlT_T0_E_clISt17integral_constantIbLb0EES1O_IbLb1EEEEDaS1K_S1L_EUlS1K_E_NS1_11comp_targetILNS1_3genE5ELNS1_11target_archE942ELNS1_3gpuE9ELNS1_3repE0EEENS1_30default_config_static_selectorELNS0_4arch9wavefront6targetE1EEEvSY_
		.amdhsa_group_segment_fixed_size 0
		.amdhsa_private_segment_fixed_size 0
		.amdhsa_kernarg_size 152
		.amdhsa_user_sgpr_count 6
		.amdhsa_user_sgpr_private_segment_buffer 1
		.amdhsa_user_sgpr_dispatch_ptr 0
		.amdhsa_user_sgpr_queue_ptr 0
		.amdhsa_user_sgpr_kernarg_segment_ptr 1
		.amdhsa_user_sgpr_dispatch_id 0
		.amdhsa_user_sgpr_flat_scratch_init 0
		.amdhsa_user_sgpr_kernarg_preload_length 0
		.amdhsa_user_sgpr_kernarg_preload_offset 0
		.amdhsa_user_sgpr_private_segment_size 0
		.amdhsa_uses_dynamic_stack 0
		.amdhsa_system_sgpr_private_segment_wavefront_offset 0
		.amdhsa_system_sgpr_workgroup_id_x 1
		.amdhsa_system_sgpr_workgroup_id_y 0
		.amdhsa_system_sgpr_workgroup_id_z 0
		.amdhsa_system_sgpr_workgroup_info 0
		.amdhsa_system_vgpr_workitem_id 0
		.amdhsa_next_free_vgpr 1
		.amdhsa_next_free_sgpr 0
		.amdhsa_accum_offset 4
		.amdhsa_reserve_vcc 0
		.amdhsa_reserve_flat_scratch 0
		.amdhsa_float_round_mode_32 0
		.amdhsa_float_round_mode_16_64 0
		.amdhsa_float_denorm_mode_32 3
		.amdhsa_float_denorm_mode_16_64 3
		.amdhsa_dx10_clamp 1
		.amdhsa_ieee_mode 1
		.amdhsa_fp16_overflow 0
		.amdhsa_tg_split 0
		.amdhsa_exception_fp_ieee_invalid_op 0
		.amdhsa_exception_fp_denorm_src 0
		.amdhsa_exception_fp_ieee_div_zero 0
		.amdhsa_exception_fp_ieee_overflow 0
		.amdhsa_exception_fp_ieee_underflow 0
		.amdhsa_exception_fp_ieee_inexact 0
		.amdhsa_exception_int_div_zero 0
	.end_amdhsa_kernel
	.section	.text._ZN7rocprim17ROCPRIM_400000_NS6detail17trampoline_kernelINS0_13select_configILj256ELj13ELNS0_17block_load_methodE3ELS4_3ELS4_3ELNS0_20block_scan_algorithmE0ELj4294967295EEENS1_25partition_config_selectorILNS1_17partition_subalgoE3EjNS0_10empty_typeEbEEZZNS1_14partition_implILS8_3ELb0ES6_jNS0_17counting_iteratorIjlEEPS9_SE_NS0_5tupleIJPjSE_EEENSF_IJSE_SE_EEES9_SG_JZNS1_25segmented_radix_sort_implINS0_14default_configELb1EPKbPbPKlPlN2at6native12_GLOBAL__N_18offset_tEEE10hipError_tPvRmT1_PNSt15iterator_traitsISY_E10value_typeET2_T3_PNSZ_IS14_E10value_typeET4_jRbjT5_S1A_jjP12ihipStream_tbEUljE_EEESV_SW_SX_S14_S18_S1A_T6_T7_T9_mT8_S1C_bDpT10_ENKUlT_T0_E_clISt17integral_constantIbLb0EES1O_IbLb1EEEEDaS1K_S1L_EUlS1K_E_NS1_11comp_targetILNS1_3genE5ELNS1_11target_archE942ELNS1_3gpuE9ELNS1_3repE0EEENS1_30default_config_static_selectorELNS0_4arch9wavefront6targetE1EEEvSY_,"axG",@progbits,_ZN7rocprim17ROCPRIM_400000_NS6detail17trampoline_kernelINS0_13select_configILj256ELj13ELNS0_17block_load_methodE3ELS4_3ELS4_3ELNS0_20block_scan_algorithmE0ELj4294967295EEENS1_25partition_config_selectorILNS1_17partition_subalgoE3EjNS0_10empty_typeEbEEZZNS1_14partition_implILS8_3ELb0ES6_jNS0_17counting_iteratorIjlEEPS9_SE_NS0_5tupleIJPjSE_EEENSF_IJSE_SE_EEES9_SG_JZNS1_25segmented_radix_sort_implINS0_14default_configELb1EPKbPbPKlPlN2at6native12_GLOBAL__N_18offset_tEEE10hipError_tPvRmT1_PNSt15iterator_traitsISY_E10value_typeET2_T3_PNSZ_IS14_E10value_typeET4_jRbjT5_S1A_jjP12ihipStream_tbEUljE_EEESV_SW_SX_S14_S18_S1A_T6_T7_T9_mT8_S1C_bDpT10_ENKUlT_T0_E_clISt17integral_constantIbLb0EES1O_IbLb1EEEEDaS1K_S1L_EUlS1K_E_NS1_11comp_targetILNS1_3genE5ELNS1_11target_archE942ELNS1_3gpuE9ELNS1_3repE0EEENS1_30default_config_static_selectorELNS0_4arch9wavefront6targetE1EEEvSY_,comdat
.Lfunc_end1523:
	.size	_ZN7rocprim17ROCPRIM_400000_NS6detail17trampoline_kernelINS0_13select_configILj256ELj13ELNS0_17block_load_methodE3ELS4_3ELS4_3ELNS0_20block_scan_algorithmE0ELj4294967295EEENS1_25partition_config_selectorILNS1_17partition_subalgoE3EjNS0_10empty_typeEbEEZZNS1_14partition_implILS8_3ELb0ES6_jNS0_17counting_iteratorIjlEEPS9_SE_NS0_5tupleIJPjSE_EEENSF_IJSE_SE_EEES9_SG_JZNS1_25segmented_radix_sort_implINS0_14default_configELb1EPKbPbPKlPlN2at6native12_GLOBAL__N_18offset_tEEE10hipError_tPvRmT1_PNSt15iterator_traitsISY_E10value_typeET2_T3_PNSZ_IS14_E10value_typeET4_jRbjT5_S1A_jjP12ihipStream_tbEUljE_EEESV_SW_SX_S14_S18_S1A_T6_T7_T9_mT8_S1C_bDpT10_ENKUlT_T0_E_clISt17integral_constantIbLb0EES1O_IbLb1EEEEDaS1K_S1L_EUlS1K_E_NS1_11comp_targetILNS1_3genE5ELNS1_11target_archE942ELNS1_3gpuE9ELNS1_3repE0EEENS1_30default_config_static_selectorELNS0_4arch9wavefront6targetE1EEEvSY_, .Lfunc_end1523-_ZN7rocprim17ROCPRIM_400000_NS6detail17trampoline_kernelINS0_13select_configILj256ELj13ELNS0_17block_load_methodE3ELS4_3ELS4_3ELNS0_20block_scan_algorithmE0ELj4294967295EEENS1_25partition_config_selectorILNS1_17partition_subalgoE3EjNS0_10empty_typeEbEEZZNS1_14partition_implILS8_3ELb0ES6_jNS0_17counting_iteratorIjlEEPS9_SE_NS0_5tupleIJPjSE_EEENSF_IJSE_SE_EEES9_SG_JZNS1_25segmented_radix_sort_implINS0_14default_configELb1EPKbPbPKlPlN2at6native12_GLOBAL__N_18offset_tEEE10hipError_tPvRmT1_PNSt15iterator_traitsISY_E10value_typeET2_T3_PNSZ_IS14_E10value_typeET4_jRbjT5_S1A_jjP12ihipStream_tbEUljE_EEESV_SW_SX_S14_S18_S1A_T6_T7_T9_mT8_S1C_bDpT10_ENKUlT_T0_E_clISt17integral_constantIbLb0EES1O_IbLb1EEEEDaS1K_S1L_EUlS1K_E_NS1_11comp_targetILNS1_3genE5ELNS1_11target_archE942ELNS1_3gpuE9ELNS1_3repE0EEENS1_30default_config_static_selectorELNS0_4arch9wavefront6targetE1EEEvSY_
                                        ; -- End function
	.section	.AMDGPU.csdata,"",@progbits
; Kernel info:
; codeLenInByte = 0
; NumSgprs: 4
; NumVgprs: 0
; NumAgprs: 0
; TotalNumVgprs: 0
; ScratchSize: 0
; MemoryBound: 0
; FloatMode: 240
; IeeeMode: 1
; LDSByteSize: 0 bytes/workgroup (compile time only)
; SGPRBlocks: 0
; VGPRBlocks: 0
; NumSGPRsForWavesPerEU: 4
; NumVGPRsForWavesPerEU: 1
; AccumOffset: 4
; Occupancy: 8
; WaveLimiterHint : 0
; COMPUTE_PGM_RSRC2:SCRATCH_EN: 0
; COMPUTE_PGM_RSRC2:USER_SGPR: 6
; COMPUTE_PGM_RSRC2:TRAP_HANDLER: 0
; COMPUTE_PGM_RSRC2:TGID_X_EN: 1
; COMPUTE_PGM_RSRC2:TGID_Y_EN: 0
; COMPUTE_PGM_RSRC2:TGID_Z_EN: 0
; COMPUTE_PGM_RSRC2:TIDIG_COMP_CNT: 0
; COMPUTE_PGM_RSRC3_GFX90A:ACCUM_OFFSET: 0
; COMPUTE_PGM_RSRC3_GFX90A:TG_SPLIT: 0
	.section	.text._ZN7rocprim17ROCPRIM_400000_NS6detail17trampoline_kernelINS0_13select_configILj256ELj13ELNS0_17block_load_methodE3ELS4_3ELS4_3ELNS0_20block_scan_algorithmE0ELj4294967295EEENS1_25partition_config_selectorILNS1_17partition_subalgoE3EjNS0_10empty_typeEbEEZZNS1_14partition_implILS8_3ELb0ES6_jNS0_17counting_iteratorIjlEEPS9_SE_NS0_5tupleIJPjSE_EEENSF_IJSE_SE_EEES9_SG_JZNS1_25segmented_radix_sort_implINS0_14default_configELb1EPKbPbPKlPlN2at6native12_GLOBAL__N_18offset_tEEE10hipError_tPvRmT1_PNSt15iterator_traitsISY_E10value_typeET2_T3_PNSZ_IS14_E10value_typeET4_jRbjT5_S1A_jjP12ihipStream_tbEUljE_EEESV_SW_SX_S14_S18_S1A_T6_T7_T9_mT8_S1C_bDpT10_ENKUlT_T0_E_clISt17integral_constantIbLb0EES1O_IbLb1EEEEDaS1K_S1L_EUlS1K_E_NS1_11comp_targetILNS1_3genE4ELNS1_11target_archE910ELNS1_3gpuE8ELNS1_3repE0EEENS1_30default_config_static_selectorELNS0_4arch9wavefront6targetE1EEEvSY_,"axG",@progbits,_ZN7rocprim17ROCPRIM_400000_NS6detail17trampoline_kernelINS0_13select_configILj256ELj13ELNS0_17block_load_methodE3ELS4_3ELS4_3ELNS0_20block_scan_algorithmE0ELj4294967295EEENS1_25partition_config_selectorILNS1_17partition_subalgoE3EjNS0_10empty_typeEbEEZZNS1_14partition_implILS8_3ELb0ES6_jNS0_17counting_iteratorIjlEEPS9_SE_NS0_5tupleIJPjSE_EEENSF_IJSE_SE_EEES9_SG_JZNS1_25segmented_radix_sort_implINS0_14default_configELb1EPKbPbPKlPlN2at6native12_GLOBAL__N_18offset_tEEE10hipError_tPvRmT1_PNSt15iterator_traitsISY_E10value_typeET2_T3_PNSZ_IS14_E10value_typeET4_jRbjT5_S1A_jjP12ihipStream_tbEUljE_EEESV_SW_SX_S14_S18_S1A_T6_T7_T9_mT8_S1C_bDpT10_ENKUlT_T0_E_clISt17integral_constantIbLb0EES1O_IbLb1EEEEDaS1K_S1L_EUlS1K_E_NS1_11comp_targetILNS1_3genE4ELNS1_11target_archE910ELNS1_3gpuE8ELNS1_3repE0EEENS1_30default_config_static_selectorELNS0_4arch9wavefront6targetE1EEEvSY_,comdat
	.globl	_ZN7rocprim17ROCPRIM_400000_NS6detail17trampoline_kernelINS0_13select_configILj256ELj13ELNS0_17block_load_methodE3ELS4_3ELS4_3ELNS0_20block_scan_algorithmE0ELj4294967295EEENS1_25partition_config_selectorILNS1_17partition_subalgoE3EjNS0_10empty_typeEbEEZZNS1_14partition_implILS8_3ELb0ES6_jNS0_17counting_iteratorIjlEEPS9_SE_NS0_5tupleIJPjSE_EEENSF_IJSE_SE_EEES9_SG_JZNS1_25segmented_radix_sort_implINS0_14default_configELb1EPKbPbPKlPlN2at6native12_GLOBAL__N_18offset_tEEE10hipError_tPvRmT1_PNSt15iterator_traitsISY_E10value_typeET2_T3_PNSZ_IS14_E10value_typeET4_jRbjT5_S1A_jjP12ihipStream_tbEUljE_EEESV_SW_SX_S14_S18_S1A_T6_T7_T9_mT8_S1C_bDpT10_ENKUlT_T0_E_clISt17integral_constantIbLb0EES1O_IbLb1EEEEDaS1K_S1L_EUlS1K_E_NS1_11comp_targetILNS1_3genE4ELNS1_11target_archE910ELNS1_3gpuE8ELNS1_3repE0EEENS1_30default_config_static_selectorELNS0_4arch9wavefront6targetE1EEEvSY_ ; -- Begin function _ZN7rocprim17ROCPRIM_400000_NS6detail17trampoline_kernelINS0_13select_configILj256ELj13ELNS0_17block_load_methodE3ELS4_3ELS4_3ELNS0_20block_scan_algorithmE0ELj4294967295EEENS1_25partition_config_selectorILNS1_17partition_subalgoE3EjNS0_10empty_typeEbEEZZNS1_14partition_implILS8_3ELb0ES6_jNS0_17counting_iteratorIjlEEPS9_SE_NS0_5tupleIJPjSE_EEENSF_IJSE_SE_EEES9_SG_JZNS1_25segmented_radix_sort_implINS0_14default_configELb1EPKbPbPKlPlN2at6native12_GLOBAL__N_18offset_tEEE10hipError_tPvRmT1_PNSt15iterator_traitsISY_E10value_typeET2_T3_PNSZ_IS14_E10value_typeET4_jRbjT5_S1A_jjP12ihipStream_tbEUljE_EEESV_SW_SX_S14_S18_S1A_T6_T7_T9_mT8_S1C_bDpT10_ENKUlT_T0_E_clISt17integral_constantIbLb0EES1O_IbLb1EEEEDaS1K_S1L_EUlS1K_E_NS1_11comp_targetILNS1_3genE4ELNS1_11target_archE910ELNS1_3gpuE8ELNS1_3repE0EEENS1_30default_config_static_selectorELNS0_4arch9wavefront6targetE1EEEvSY_
	.p2align	8
	.type	_ZN7rocprim17ROCPRIM_400000_NS6detail17trampoline_kernelINS0_13select_configILj256ELj13ELNS0_17block_load_methodE3ELS4_3ELS4_3ELNS0_20block_scan_algorithmE0ELj4294967295EEENS1_25partition_config_selectorILNS1_17partition_subalgoE3EjNS0_10empty_typeEbEEZZNS1_14partition_implILS8_3ELb0ES6_jNS0_17counting_iteratorIjlEEPS9_SE_NS0_5tupleIJPjSE_EEENSF_IJSE_SE_EEES9_SG_JZNS1_25segmented_radix_sort_implINS0_14default_configELb1EPKbPbPKlPlN2at6native12_GLOBAL__N_18offset_tEEE10hipError_tPvRmT1_PNSt15iterator_traitsISY_E10value_typeET2_T3_PNSZ_IS14_E10value_typeET4_jRbjT5_S1A_jjP12ihipStream_tbEUljE_EEESV_SW_SX_S14_S18_S1A_T6_T7_T9_mT8_S1C_bDpT10_ENKUlT_T0_E_clISt17integral_constantIbLb0EES1O_IbLb1EEEEDaS1K_S1L_EUlS1K_E_NS1_11comp_targetILNS1_3genE4ELNS1_11target_archE910ELNS1_3gpuE8ELNS1_3repE0EEENS1_30default_config_static_selectorELNS0_4arch9wavefront6targetE1EEEvSY_,@function
_ZN7rocprim17ROCPRIM_400000_NS6detail17trampoline_kernelINS0_13select_configILj256ELj13ELNS0_17block_load_methodE3ELS4_3ELS4_3ELNS0_20block_scan_algorithmE0ELj4294967295EEENS1_25partition_config_selectorILNS1_17partition_subalgoE3EjNS0_10empty_typeEbEEZZNS1_14partition_implILS8_3ELb0ES6_jNS0_17counting_iteratorIjlEEPS9_SE_NS0_5tupleIJPjSE_EEENSF_IJSE_SE_EEES9_SG_JZNS1_25segmented_radix_sort_implINS0_14default_configELb1EPKbPbPKlPlN2at6native12_GLOBAL__N_18offset_tEEE10hipError_tPvRmT1_PNSt15iterator_traitsISY_E10value_typeET2_T3_PNSZ_IS14_E10value_typeET4_jRbjT5_S1A_jjP12ihipStream_tbEUljE_EEESV_SW_SX_S14_S18_S1A_T6_T7_T9_mT8_S1C_bDpT10_ENKUlT_T0_E_clISt17integral_constantIbLb0EES1O_IbLb1EEEEDaS1K_S1L_EUlS1K_E_NS1_11comp_targetILNS1_3genE4ELNS1_11target_archE910ELNS1_3gpuE8ELNS1_3repE0EEENS1_30default_config_static_selectorELNS0_4arch9wavefront6targetE1EEEvSY_: ; @_ZN7rocprim17ROCPRIM_400000_NS6detail17trampoline_kernelINS0_13select_configILj256ELj13ELNS0_17block_load_methodE3ELS4_3ELS4_3ELNS0_20block_scan_algorithmE0ELj4294967295EEENS1_25partition_config_selectorILNS1_17partition_subalgoE3EjNS0_10empty_typeEbEEZZNS1_14partition_implILS8_3ELb0ES6_jNS0_17counting_iteratorIjlEEPS9_SE_NS0_5tupleIJPjSE_EEENSF_IJSE_SE_EEES9_SG_JZNS1_25segmented_radix_sort_implINS0_14default_configELb1EPKbPbPKlPlN2at6native12_GLOBAL__N_18offset_tEEE10hipError_tPvRmT1_PNSt15iterator_traitsISY_E10value_typeET2_T3_PNSZ_IS14_E10value_typeET4_jRbjT5_S1A_jjP12ihipStream_tbEUljE_EEESV_SW_SX_S14_S18_S1A_T6_T7_T9_mT8_S1C_bDpT10_ENKUlT_T0_E_clISt17integral_constantIbLb0EES1O_IbLb1EEEEDaS1K_S1L_EUlS1K_E_NS1_11comp_targetILNS1_3genE4ELNS1_11target_archE910ELNS1_3gpuE8ELNS1_3repE0EEENS1_30default_config_static_selectorELNS0_4arch9wavefront6targetE1EEEvSY_
; %bb.0:
	s_load_dwordx2 s[28:29], s[4:5], 0x10
	s_load_dwordx2 s[24:25], s[4:5], 0x28
	;; [unrolled: 1-line block ×3, first 2 shown]
	s_load_dwordx4 s[20:23], s[4:5], 0x48
	s_load_dword s14, s[4:5], 0x90
	s_load_dwordx2 s[30:31], s[4:5], 0x68
	s_load_dwordx4 s[8:11], s[4:5], 0x80
	v_cmp_eq_u32_e64 s[0:1], 0, v0
	s_and_saveexec_b64 s[2:3], s[0:1]
	s_cbranch_execz .LBB1524_4
; %bb.1:
	s_mov_b64 s[12:13], exec
	v_mbcnt_lo_u32_b32 v1, s12, 0
	v_mbcnt_hi_u32_b32 v1, s13, v1
	v_cmp_eq_u32_e32 vcc, 0, v1
                                        ; implicit-def: $vgpr2
	s_and_saveexec_b64 s[6:7], vcc
	s_cbranch_execz .LBB1524_3
; %bb.2:
	s_load_dwordx2 s[16:17], s[4:5], 0x78
	s_bcnt1_i32_b64 s12, s[12:13]
	v_mov_b32_e32 v2, 0
	v_mov_b32_e32 v3, s12
	s_waitcnt lgkmcnt(0)
	global_atomic_add v2, v2, v3, s[16:17] glc
.LBB1524_3:
	s_or_b64 exec, exec, s[6:7]
	s_waitcnt vmcnt(0)
	v_readfirstlane_b32 s6, v2
	v_add_u32_e32 v1, s6, v1
	v_mov_b32_e32 v2, 0
	ds_write_b32 v2, v1
.LBB1524_4:
	s_or_b64 exec, exec, s[2:3]
	v_mov_b32_e32 v1, 0
	s_load_dword s2, s[4:5], 0x8
	s_load_dword s6, s[4:5], 0x70
	s_waitcnt lgkmcnt(0)
	s_barrier
	ds_read_b32 v2, v1
	s_waitcnt lgkmcnt(0)
	s_barrier
	global_load_dwordx2 v[20:21], v1, s[22:23]
	s_add_i32 s7, s2, s28
	s_movk_i32 s2, 0xd00
	s_add_i32 s4, s6, -1
	s_mulk_i32 s6, 0xd00
	v_mul_lo_u32 v34, v2, s2
	s_add_u32 s2, s28, s6
	v_readfirstlane_b32 s40, v2
	s_addc_u32 s3, s29, 0
	s_cmp_eq_u32 s40, s4
	v_pk_mov_b32 v[2:3], s[26:27], s[26:27] op_sel:[0,1]
	s_cselect_b64 s[22:23], -1, 0
	s_cmp_lg_u32 s40, s4
	v_cmp_lt_u64_e32 vcc, s[2:3], v[2:3]
	s_cselect_b64 s[2:3], -1, 0
	s_or_b64 s[4:5], vcc, s[2:3]
	v_add_u32_e32 v1, s7, v34
	s_mov_b64 s[2:3], -1
	s_and_b64 vcc, exec, s[4:5]
	v_add_u32_e32 v2, v1, v0
	v_lshlrev_b32_e32 v1, 2, v0
	s_cbranch_vccz .LBB1524_6
; %bb.5:
	v_add_u32_e32 v3, 0x100, v2
	v_add_u32_e32 v4, 0x200, v2
	;; [unrolled: 1-line block ×12, first 2 shown]
	ds_write2st64_b32 v1, v2, v3 offset1:4
	ds_write2st64_b32 v1, v4, v5 offset0:8 offset1:12
	ds_write2st64_b32 v1, v6, v7 offset0:16 offset1:20
	;; [unrolled: 1-line block ×5, first 2 shown]
	ds_write_b32 v1, v14 offset:12288
	s_waitcnt lgkmcnt(0)
	s_barrier
	s_mov_b64 s[2:3], 0
.LBB1524_6:
	s_andn2_b64 vcc, exec, s[2:3]
	s_add_i32 s6, s6, s28
	s_cbranch_vccnz .LBB1524_8
; %bb.7:
	v_add_u32_e32 v3, 0x100, v2
	v_add_u32_e32 v4, 0x200, v2
	;; [unrolled: 1-line block ×12, first 2 shown]
	ds_write2st64_b32 v1, v2, v3 offset1:4
	ds_write2st64_b32 v1, v4, v5 offset0:8 offset1:12
	ds_write2st64_b32 v1, v6, v7 offset0:16 offset1:20
	;; [unrolled: 1-line block ×5, first 2 shown]
	ds_write_b32 v1, v14 offset:12288
	s_waitcnt lgkmcnt(0)
	s_barrier
.LBB1524_8:
	v_mul_u32_u24_e32 v36, 13, v0
	v_lshlrev_b32_e32 v2, 2, v36
	ds_read2_b32 v[32:33], v2 offset1:1
	ds_read2_b32 v[30:31], v2 offset0:2 offset1:3
	ds_read2_b32 v[28:29], v2 offset0:4 offset1:5
	;; [unrolled: 1-line block ×5, first 2 shown]
	ds_read_b32 v35, v2 offset:48
	v_cndmask_b32_e64 v2, 0, 1, s[4:5]
	s_sub_i32 s33, s26, s6
	v_cmp_ne_u32_e64 s[2:3], 1, v2
	s_andn2_b64 vcc, exec, s[4:5]
	s_waitcnt lgkmcnt(0)
	s_barrier
	s_cbranch_vccnz .LBB1524_10
; %bb.9:
	v_add_u32_e32 v2, s9, v32
	v_add_u32_e32 v3, s11, v32
	v_mul_lo_u32 v2, v2, s8
	v_mul_lo_u32 v3, v3, s10
	v_sub_u32_e32 v2, v2, v3
	v_add_u32_e32 v3, s9, v33
	v_add_u32_e32 v4, s11, v33
	v_mul_lo_u32 v3, v3, s8
	v_mul_lo_u32 v4, v4, s10
	v_sub_u32_e32 v3, v3, v4
	;; [unrolled: 5-line block ×6, first 2 shown]
	v_add_u32_e32 v8, s9, v26
	v_add_u32_e32 v9, s11, v26
	v_mul_lo_u32 v8, v8, s8
	v_mul_lo_u32 v9, v9, s10
	v_cmp_lt_u32_e32 vcc, s14, v2
	v_sub_u32_e32 v8, v8, v9
	v_add_u32_e32 v9, s9, v27
	v_add_u32_e32 v10, s11, v27
	v_cndmask_b32_e64 v2, 0, 1, vcc
	v_cmp_lt_u32_e32 vcc, s14, v3
	v_mul_lo_u32 v9, v9, s8
	v_mul_lo_u32 v10, v10, s10
	v_cndmask_b32_e64 v3, 0, 1, vcc
	v_cmp_lt_u32_e32 vcc, s14, v4
	v_sub_u32_e32 v9, v9, v10
	v_add_u32_e32 v10, s9, v24
	v_add_u32_e32 v11, s11, v24
	v_cndmask_b32_e64 v4, 0, 1, vcc
	v_cmp_lt_u32_e32 vcc, s14, v5
	v_mul_lo_u32 v10, v10, s8
	v_mul_lo_u32 v11, v11, s10
	v_cndmask_b32_e64 v5, 0, 1, vcc
	v_cmp_lt_u32_e32 vcc, s14, v6
	v_sub_u32_e32 v10, v10, v11
	v_add_u32_e32 v11, s9, v25
	v_add_u32_e32 v12, s11, v25
	v_cndmask_b32_e64 v6, 0, 1, vcc
	v_cmp_lt_u32_e32 vcc, s14, v7
	v_mul_lo_u32 v11, v11, s8
	v_mul_lo_u32 v12, v12, s10
	v_cndmask_b32_e64 v7, 0, 1, vcc
	v_cmp_lt_u32_e32 vcc, s14, v8
	v_sub_u32_e32 v11, v11, v12
	v_add_u32_e32 v12, s9, v22
	v_add_u32_e32 v13, s11, v22
	v_cndmask_b32_e64 v8, 0, 1, vcc
	v_cmp_lt_u32_e32 vcc, s14, v9
	v_mul_lo_u32 v12, v12, s8
	v_mul_lo_u32 v13, v13, s10
	v_cndmask_b32_e64 v9, 0, 1, vcc
	v_cmp_lt_u32_e32 vcc, s14, v10
	v_sub_u32_e32 v12, v12, v13
	v_add_u32_e32 v13, s9, v23
	v_add_u32_e32 v14, s11, v23
	v_lshlrev_b16_e32 v3, 8, v3
	v_cndmask_b32_e64 v10, 0, 1, vcc
	v_cmp_lt_u32_e32 vcc, s14, v11
	v_mul_lo_u32 v13, v13, s8
	v_mul_lo_u32 v14, v14, s10
	v_or_b32_e32 v2, v2, v3
	v_lshlrev_b16_e32 v3, 8, v5
	v_cndmask_b32_e64 v11, 0, 1, vcc
	v_cmp_lt_u32_e32 vcc, s14, v12
	v_sub_u32_e32 v13, v13, v14
	v_or_b32_sdwa v3, v4, v3 dst_sel:WORD_1 dst_unused:UNUSED_PAD src0_sel:DWORD src1_sel:DWORD
	v_cndmask_b32_e64 v12, 0, 1, vcc
	v_cmp_lt_u32_e32 vcc, s14, v13
	v_add_u32_e32 v14, s9, v35
	v_add_u32_e32 v15, s11, v35
	v_or_b32_sdwa v40, v2, v3 dst_sel:DWORD dst_unused:UNUSED_PAD src0_sel:WORD_0 src1_sel:DWORD
	v_lshlrev_b16_e32 v2, 8, v7
	v_lshlrev_b16_e32 v3, 8, v9
	v_cndmask_b32_e64 v13, 0, 1, vcc
	v_mul_lo_u32 v14, v14, s8
	v_mul_lo_u32 v15, v15, s10
	v_or_b32_e32 v2, v6, v2
	v_or_b32_sdwa v3, v8, v3 dst_sel:WORD_1 dst_unused:UNUSED_PAD src0_sel:DWORD src1_sel:DWORD
	v_sub_u32_e32 v14, v14, v15
	v_or_b32_sdwa v39, v2, v3 dst_sel:DWORD dst_unused:UNUSED_PAD src0_sel:WORD_0 src1_sel:DWORD
	v_lshlrev_b16_e32 v2, 8, v11
	v_lshlrev_b16_e32 v3, 8, v13
	v_cmp_lt_u32_e32 vcc, s14, v14
	v_or_b32_e32 v2, v10, v2
	v_or_b32_sdwa v3, v12, v3 dst_sel:WORD_1 dst_unused:UNUSED_PAD src0_sel:DWORD src1_sel:DWORD
	v_cndmask_b32_e64 v37, 0, 1, vcc
	v_or_b32_sdwa v38, v2, v3 dst_sel:DWORD dst_unused:UNUSED_PAD src0_sel:WORD_0 src1_sel:DWORD
	s_addk_i32 s33, 0xd00
	s_cbranch_execz .LBB1524_11
	s_branch .LBB1524_38
.LBB1524_10:
                                        ; implicit-def: $vgpr37
                                        ; implicit-def: $vgpr38
                                        ; implicit-def: $vgpr39
                                        ; implicit-def: $vgpr40
	s_addk_i32 s33, 0xd00
.LBB1524_11:
	v_cmp_gt_u32_e32 vcc, s33, v36
	v_mov_b32_e32 v3, 0
	v_mov_b32_e32 v2, 0
	s_and_saveexec_b64 s[4:5], vcc
; %bb.12:
	v_add_u32_e32 v2, s9, v32
	v_add_u32_e32 v4, s11, v32
	v_mul_lo_u32 v2, v2, s8
	v_mul_lo_u32 v4, v4, s10
	v_sub_u32_e32 v2, v2, v4
	v_cmp_lt_u32_e32 vcc, s14, v2
	v_cndmask_b32_e64 v2, 0, 1, vcc
; %bb.13:
	s_or_b64 exec, exec, s[4:5]
	v_add_u32_e32 v4, 1, v36
	v_cmp_gt_u32_e32 vcc, s33, v4
	s_and_saveexec_b64 s[4:5], vcc
; %bb.14:
	v_add_u32_e32 v3, s9, v33
	v_add_u32_e32 v4, s11, v33
	v_mul_lo_u32 v3, v3, s8
	v_mul_lo_u32 v4, v4, s10
	v_sub_u32_e32 v3, v3, v4
	v_cmp_lt_u32_e32 vcc, s14, v3
	v_cndmask_b32_e64 v3, 0, 1, vcc
; %bb.15:
	s_or_b64 exec, exec, s[4:5]
	v_add_u32_e32 v4, 2, v36
	v_cmp_gt_u32_e32 vcc, s33, v4
	v_mov_b32_e32 v5, 0
	v_mov_b32_e32 v4, 0
	s_and_saveexec_b64 s[4:5], vcc
; %bb.16:
	v_add_u32_e32 v4, s9, v30
	v_add_u32_e32 v6, s11, v30
	v_mul_lo_u32 v4, v4, s8
	v_mul_lo_u32 v6, v6, s10
	v_sub_u32_e32 v4, v4, v6
	v_cmp_lt_u32_e32 vcc, s14, v4
	v_cndmask_b32_e64 v4, 0, 1, vcc
; %bb.17:
	s_or_b64 exec, exec, s[4:5]
	v_add_u32_e32 v6, 3, v36
	v_cmp_gt_u32_e32 vcc, s33, v6
	s_and_saveexec_b64 s[4:5], vcc
; %bb.18:
	v_add_u32_e32 v5, s9, v31
	v_add_u32_e32 v6, s11, v31
	v_mul_lo_u32 v5, v5, s8
	v_mul_lo_u32 v6, v6, s10
	v_sub_u32_e32 v5, v5, v6
	v_cmp_lt_u32_e32 vcc, s14, v5
	v_cndmask_b32_e64 v5, 0, 1, vcc
; %bb.19:
	s_or_b64 exec, exec, s[4:5]
	v_add_u32_e32 v6, 4, v36
	;; [unrolled: 28-line block ×6, first 2 shown]
	v_cmp_gt_u32_e32 vcc, s33, v14
	v_mov_b32_e32 v37, 0
	s_and_saveexec_b64 s[4:5], vcc
; %bb.36:
	v_add_u32_e32 v14, s9, v35
	v_add_u32_e32 v15, s11, v35
	v_mul_lo_u32 v14, v14, s8
	v_mul_lo_u32 v15, v15, s10
	v_sub_u32_e32 v14, v14, v15
	v_cmp_lt_u32_e32 vcc, s14, v14
	v_cndmask_b32_e64 v37, 0, 1, vcc
; %bb.37:
	s_or_b64 exec, exec, s[4:5]
	v_lshlrev_b16_e32 v3, 8, v3
	v_or_b32_e32 v2, v2, v3
	v_lshlrev_b16_e32 v3, 8, v5
	v_or_b32_sdwa v3, v4, v3 dst_sel:WORD_1 dst_unused:UNUSED_PAD src0_sel:DWORD src1_sel:DWORD
	v_or_b32_sdwa v40, v2, v3 dst_sel:DWORD dst_unused:UNUSED_PAD src0_sel:WORD_0 src1_sel:DWORD
	v_lshlrev_b16_e32 v2, 8, v7
	v_lshlrev_b16_e32 v3, 8, v9
	v_or_b32_e32 v2, v6, v2
	v_or_b32_sdwa v3, v8, v3 dst_sel:WORD_1 dst_unused:UNUSED_PAD src0_sel:DWORD src1_sel:DWORD
	v_or_b32_sdwa v39, v2, v3 dst_sel:DWORD dst_unused:UNUSED_PAD src0_sel:WORD_0 src1_sel:DWORD
	v_lshlrev_b16_e32 v2, 8, v11
	v_lshlrev_b16_e32 v3, 8, v13
	v_or_b32_e32 v2, v10, v2
	v_or_b32_sdwa v3, v12, v3 dst_sel:WORD_1 dst_unused:UNUSED_PAD src0_sel:DWORD src1_sel:DWORD
	v_or_b32_sdwa v38, v2, v3 dst_sel:DWORD dst_unused:UNUSED_PAD src0_sel:WORD_0 src1_sel:DWORD
.LBB1524_38:
	v_and_b32_e32 v44, 0xff, v40
	v_bfe_u32 v45, v40, 8, 8
	v_bfe_u32 v46, v40, 16, 8
	v_lshrrev_b32_e32 v43, 24, v40
	v_and_b32_e32 v47, 0xff, v39
	v_add3_u32 v3, v45, v44, v46
	v_bfe_u32 v48, v39, 8, 8
	v_bfe_u32 v49, v39, 16, 8
	v_add3_u32 v3, v3, v43, v47
	v_lshrrev_b32_e32 v42, 24, v39
	v_and_b32_e32 v50, 0xff, v38
	v_add3_u32 v3, v3, v48, v49
	v_bfe_u32 v51, v38, 8, 8
	v_bfe_u32 v52, v38, 16, 8
	v_add3_u32 v3, v3, v42, v50
	v_lshrrev_b32_e32 v41, 24, v38
	v_and_b32_e32 v2, 0xff, v37
	v_add3_u32 v3, v3, v51, v52
	v_add3_u32 v55, v3, v41, v2
	v_mbcnt_lo_u32_b32 v2, -1, 0
	v_mbcnt_hi_u32_b32 v53, -1, v2
	v_and_b32_e32 v2, 15, v53
	v_cmp_eq_u32_e64 s[16:17], 0, v2
	v_cmp_lt_u32_e64 s[14:15], 1, v2
	v_cmp_lt_u32_e64 s[12:13], 3, v2
	;; [unrolled: 1-line block ×3, first 2 shown]
	v_and_b32_e32 v2, 16, v53
	v_cmp_eq_u32_e64 s[8:9], 0, v2
	v_or_b32_e32 v2, 63, v0
	s_cmp_lg_u32 s40, 0
	v_cmp_lt_u32_e64 s[4:5], 31, v53
	v_lshrrev_b32_e32 v54, 6, v0
	v_cmp_eq_u32_e64 s[6:7], v2, v0
	s_cbranch_scc0 .LBB1524_65
; %bb.39:
	v_mov_b32_dpp v2, v55 row_shr:1 row_mask:0xf bank_mask:0xf
	v_cndmask_b32_e64 v2, v2, 0, s[16:17]
	v_add_u32_e32 v2, v2, v55
	s_nop 1
	v_mov_b32_dpp v3, v2 row_shr:2 row_mask:0xf bank_mask:0xf
	v_cndmask_b32_e64 v3, 0, v3, s[14:15]
	v_add_u32_e32 v2, v2, v3
	s_nop 1
	;; [unrolled: 4-line block ×4, first 2 shown]
	v_mov_b32_dpp v3, v2 row_bcast:15 row_mask:0xf bank_mask:0xf
	v_cndmask_b32_e64 v3, v3, 0, s[8:9]
	v_add_u32_e32 v2, v2, v3
	s_nop 1
	v_mov_b32_dpp v3, v2 row_bcast:31 row_mask:0xf bank_mask:0xf
	v_cndmask_b32_e64 v3, 0, v3, s[4:5]
	v_add_u32_e32 v2, v2, v3
	s_and_saveexec_b64 s[18:19], s[6:7]
	s_cbranch_execz .LBB1524_41
; %bb.40:
	v_lshlrev_b32_e32 v3, 2, v54
	ds_write_b32 v3, v2
.LBB1524_41:
	s_or_b64 exec, exec, s[18:19]
	v_cmp_gt_u32_e32 vcc, 4, v0
	s_waitcnt lgkmcnt(0)
	s_barrier
	s_and_saveexec_b64 s[18:19], vcc
	s_cbranch_execz .LBB1524_43
; %bb.42:
	ds_read_b32 v3, v1
	v_and_b32_e32 v4, 3, v53
	v_cmp_ne_u32_e32 vcc, 0, v4
	s_waitcnt lgkmcnt(0)
	v_mov_b32_dpp v5, v3 row_shr:1 row_mask:0xf bank_mask:0xf
	v_cndmask_b32_e32 v5, 0, v5, vcc
	v_add_u32_e32 v3, v5, v3
	v_cmp_lt_u32_e32 vcc, 1, v4
	s_nop 0
	v_mov_b32_dpp v5, v3 row_shr:2 row_mask:0xf bank_mask:0xf
	v_cndmask_b32_e32 v4, 0, v5, vcc
	v_add_u32_e32 v3, v3, v4
	ds_write_b32 v1, v3
.LBB1524_43:
	s_or_b64 exec, exec, s[18:19]
	v_cmp_gt_u32_e32 vcc, 64, v0
	v_cmp_lt_u32_e64 s[18:19], 63, v0
	s_waitcnt lgkmcnt(0)
	s_barrier
	s_waitcnt lgkmcnt(0)
                                        ; implicit-def: $vgpr12
	s_and_saveexec_b64 s[34:35], s[18:19]
	s_cbranch_execz .LBB1524_45
; %bb.44:
	v_lshl_add_u32 v3, v54, 2, -4
	ds_read_b32 v12, v3
	s_waitcnt lgkmcnt(0)
	v_add_u32_e32 v2, v12, v2
.LBB1524_45:
	s_or_b64 exec, exec, s[34:35]
	v_add_u32_e32 v3, -1, v53
	v_and_b32_e32 v4, 64, v53
	v_cmp_lt_i32_e64 s[18:19], v3, v4
	v_cndmask_b32_e64 v3, v3, v53, s[18:19]
	v_lshlrev_b32_e32 v3, 2, v3
	ds_bpermute_b32 v13, v3, v2
	v_cmp_eq_u32_e64 s[18:19], 0, v53
	s_and_saveexec_b64 s[34:35], vcc
	s_cbranch_execz .LBB1524_64
; %bb.46:
	v_mov_b32_e32 v9, 0
	ds_read_b32 v2, v9 offset:12
	s_and_saveexec_b64 s[36:37], s[18:19]
	s_cbranch_execz .LBB1524_48
; %bb.47:
	s_add_i32 s38, s40, 64
	s_mov_b32 s39, 0
	s_lshl_b64 s[38:39], s[38:39], 3
	s_add_u32 s38, s30, s38
	v_mov_b32_e32 v3, 1
	s_addc_u32 s39, s31, s39
	s_waitcnt lgkmcnt(0)
	global_store_dwordx2 v9, v[2:3], s[38:39]
.LBB1524_48:
	s_or_b64 exec, exec, s[36:37]
	v_xad_u32 v4, v53, -1, s40
	v_add_u32_e32 v8, 64, v4
	v_lshlrev_b64 v[6:7], 3, v[8:9]
	v_mov_b32_e32 v3, s31
	v_add_co_u32_e32 v10, vcc, s30, v6
	v_addc_co_u32_e32 v11, vcc, v3, v7, vcc
	global_load_dwordx2 v[6:7], v[10:11], off glc
	s_waitcnt vmcnt(0)
	v_cmp_eq_u16_sdwa s[38:39], v7, v9 src0_sel:BYTE_0 src1_sel:DWORD
	s_and_saveexec_b64 s[36:37], s[38:39]
	s_cbranch_execz .LBB1524_52
; %bb.49:
	s_mov_b64 s[38:39], 0
	v_mov_b32_e32 v3, 0
.LBB1524_50:                            ; =>This Inner Loop Header: Depth=1
	global_load_dwordx2 v[6:7], v[10:11], off glc
	s_waitcnt vmcnt(0)
	v_cmp_ne_u16_sdwa s[42:43], v7, v3 src0_sel:BYTE_0 src1_sel:DWORD
	s_or_b64 s[38:39], s[42:43], s[38:39]
	s_andn2_b64 exec, exec, s[38:39]
	s_cbranch_execnz .LBB1524_50
; %bb.51:
	s_or_b64 exec, exec, s[38:39]
.LBB1524_52:
	s_or_b64 exec, exec, s[36:37]
	v_and_b32_e32 v14, 63, v53
	v_mov_b32_e32 v3, 2
	v_cmp_ne_u32_e32 vcc, 63, v14
	v_cmp_eq_u16_sdwa s[36:37], v7, v3 src0_sel:BYTE_0 src1_sel:DWORD
	v_lshlrev_b64 v[8:9], v53, -1
	v_addc_co_u32_e32 v11, vcc, 0, v53, vcc
	v_and_b32_e32 v5, s37, v9
	v_lshlrev_b32_e32 v15, 2, v11
	v_or_b32_e32 v5, 0x80000000, v5
	ds_bpermute_b32 v11, v15, v6
	v_and_b32_e32 v10, s36, v8
	v_ffbl_b32_e32 v5, v5
	v_add_u32_e32 v5, 32, v5
	v_ffbl_b32_e32 v10, v10
	v_min_u32_e32 v5, v10, v5
	v_cmp_lt_u32_e32 vcc, v14, v5
	s_waitcnt lgkmcnt(0)
	v_cndmask_b32_e32 v10, 0, v11, vcc
	v_cmp_gt_u32_e32 vcc, 62, v14
	v_add_u32_e32 v6, v10, v6
	v_cndmask_b32_e64 v10, 0, 1, vcc
	v_lshlrev_b32_e32 v10, 1, v10
	v_add_lshl_u32 v16, v10, v53, 2
	ds_bpermute_b32 v10, v16, v6
	v_add_u32_e32 v17, 2, v14
	v_cmp_le_u32_e32 vcc, v17, v5
	v_add_u32_e32 v19, 4, v14
	v_add_u32_e32 v57, 8, v14
	s_waitcnt lgkmcnt(0)
	v_cndmask_b32_e32 v10, 0, v10, vcc
	v_cmp_gt_u32_e32 vcc, 60, v14
	v_add_u32_e32 v6, v6, v10
	v_cndmask_b32_e64 v10, 0, 1, vcc
	v_lshlrev_b32_e32 v10, 2, v10
	v_add_lshl_u32 v18, v10, v53, 2
	ds_bpermute_b32 v10, v18, v6
	v_cmp_le_u32_e32 vcc, v19, v5
	v_add_u32_e32 v60, 16, v14
	v_add_u32_e32 v62, 32, v14
	s_waitcnt lgkmcnt(0)
	v_cndmask_b32_e32 v10, 0, v10, vcc
	v_cmp_gt_u32_e32 vcc, 56, v14
	v_add_u32_e32 v6, v6, v10
	v_cndmask_b32_e64 v10, 0, 1, vcc
	v_lshlrev_b32_e32 v10, 3, v10
	v_add_lshl_u32 v56, v10, v53, 2
	ds_bpermute_b32 v10, v56, v6
	v_cmp_le_u32_e32 vcc, v57, v5
	s_waitcnt lgkmcnt(0)
	v_cndmask_b32_e32 v10, 0, v10, vcc
	v_cmp_gt_u32_e32 vcc, 48, v14
	v_add_u32_e32 v6, v6, v10
	v_cndmask_b32_e64 v10, 0, 1, vcc
	v_lshlrev_b32_e32 v10, 4, v10
	v_add_lshl_u32 v59, v10, v53, 2
	ds_bpermute_b32 v10, v59, v6
	v_cmp_le_u32_e32 vcc, v60, v5
	;; [unrolled: 9-line block ×3, first 2 shown]
	s_waitcnt lgkmcnt(0)
	v_cndmask_b32_e32 v5, 0, v10, vcc
	v_add_u32_e32 v6, v6, v5
	v_mov_b32_e32 v5, 0
	s_branch .LBB1524_54
.LBB1524_53:                            ;   in Loop: Header=BB1524_54 Depth=1
	s_or_b64 exec, exec, s[36:37]
	v_cmp_eq_u16_sdwa s[36:37], v7, v3 src0_sel:BYTE_0 src1_sel:DWORD
	v_and_b32_e32 v10, s37, v9
	v_or_b32_e32 v10, 0x80000000, v10
	ds_bpermute_b32 v63, v15, v6
	v_and_b32_e32 v11, s36, v8
	v_ffbl_b32_e32 v10, v10
	v_add_u32_e32 v10, 32, v10
	v_ffbl_b32_e32 v11, v11
	v_min_u32_e32 v10, v11, v10
	v_cmp_lt_u32_e32 vcc, v14, v10
	s_waitcnt lgkmcnt(0)
	v_cndmask_b32_e32 v11, 0, v63, vcc
	v_add_u32_e32 v6, v11, v6
	ds_bpermute_b32 v11, v16, v6
	v_cmp_le_u32_e32 vcc, v17, v10
	v_subrev_u32_e32 v4, 64, v4
	s_waitcnt lgkmcnt(0)
	v_cndmask_b32_e32 v11, 0, v11, vcc
	v_add_u32_e32 v6, v6, v11
	ds_bpermute_b32 v11, v18, v6
	v_cmp_le_u32_e32 vcc, v19, v10
	s_waitcnt lgkmcnt(0)
	v_cndmask_b32_e32 v11, 0, v11, vcc
	v_add_u32_e32 v6, v6, v11
	ds_bpermute_b32 v11, v56, v6
	v_cmp_le_u32_e32 vcc, v57, v10
	;; [unrolled: 5-line block ×4, first 2 shown]
	s_waitcnt lgkmcnt(0)
	v_cndmask_b32_e32 v10, 0, v11, vcc
	v_add3_u32 v6, v10, v58, v6
.LBB1524_54:                            ; =>This Loop Header: Depth=1
                                        ;     Child Loop BB1524_57 Depth 2
	v_cmp_ne_u16_sdwa s[36:37], v7, v3 src0_sel:BYTE_0 src1_sel:DWORD
	v_cndmask_b32_e64 v7, 0, 1, s[36:37]
	;;#ASMSTART
	;;#ASMEND
	v_cmp_ne_u32_e32 vcc, 0, v7
	s_cmp_lg_u64 vcc, exec
	v_mov_b32_e32 v58, v6
	s_cbranch_scc1 .LBB1524_59
; %bb.55:                               ;   in Loop: Header=BB1524_54 Depth=1
	v_lshlrev_b64 v[6:7], 3, v[4:5]
	v_mov_b32_e32 v11, s31
	v_add_co_u32_e32 v10, vcc, s30, v6
	v_addc_co_u32_e32 v11, vcc, v11, v7, vcc
	global_load_dwordx2 v[6:7], v[10:11], off glc
	s_waitcnt vmcnt(0)
	v_cmp_eq_u16_sdwa s[38:39], v7, v5 src0_sel:BYTE_0 src1_sel:DWORD
	s_and_saveexec_b64 s[36:37], s[38:39]
	s_cbranch_execz .LBB1524_53
; %bb.56:                               ;   in Loop: Header=BB1524_54 Depth=1
	s_mov_b64 s[38:39], 0
.LBB1524_57:                            ;   Parent Loop BB1524_54 Depth=1
                                        ; =>  This Inner Loop Header: Depth=2
	global_load_dwordx2 v[6:7], v[10:11], off glc
	s_waitcnt vmcnt(0)
	v_cmp_ne_u16_sdwa s[42:43], v7, v5 src0_sel:BYTE_0 src1_sel:DWORD
	s_or_b64 s[38:39], s[42:43], s[38:39]
	s_andn2_b64 exec, exec, s[38:39]
	s_cbranch_execnz .LBB1524_57
; %bb.58:                               ;   in Loop: Header=BB1524_54 Depth=1
	s_or_b64 exec, exec, s[38:39]
	s_branch .LBB1524_53
.LBB1524_59:                            ;   in Loop: Header=BB1524_54 Depth=1
                                        ; implicit-def: $vgpr6
                                        ; implicit-def: $vgpr7
	s_cbranch_execz .LBB1524_54
; %bb.60:
	s_and_saveexec_b64 s[36:37], s[18:19]
	s_cbranch_execz .LBB1524_62
; %bb.61:
	s_add_i32 s38, s40, 64
	s_mov_b32 s39, 0
	s_lshl_b64 s[38:39], s[38:39], 3
	s_add_u32 s38, s30, s38
	v_add_u32_e32 v4, v58, v2
	v_mov_b32_e32 v5, 2
	s_addc_u32 s39, s31, s39
	v_mov_b32_e32 v3, 0
	global_store_dwordx2 v3, v[4:5], s[38:39]
	s_movk_i32 s38, 0x3400
	v_add_u32_e64 v3, s38, 0
	ds_write2_b32 v3, v2, v58 offset1:2
.LBB1524_62:
	s_or_b64 exec, exec, s[36:37]
	s_and_b64 exec, exec, s[0:1]
	s_cbranch_execz .LBB1524_64
; %bb.63:
	v_mov_b32_e32 v2, 0
	ds_write_b32 v2, v58 offset:12
.LBB1524_64:
	s_or_b64 exec, exec, s[34:35]
	v_mov_b32_e32 v2, 0
	s_waitcnt lgkmcnt(0)
	s_barrier
	ds_read_b32 v2, v2 offset:12
	v_cndmask_b32_e64 v3, v13, v12, s[18:19]
	v_cndmask_b32_e64 v3, v3, 0, s[0:1]
	s_movk_i32 s18, 0x3400
	v_add_u32_e64 v12, s18, 0
	s_waitcnt lgkmcnt(0)
	v_add_u32_e32 v2, v2, v3
	v_add_u32_e32 v3, v2, v44
	;; [unrolled: 1-line block ×9, first 2 shown]
	s_barrier
	ds_read2_b32 v[18:19], v12 offset1:2
	v_add_u32_e32 v11, v10, v50
	v_add_u32_e32 v12, v11, v51
	;; [unrolled: 1-line block ×4, first 2 shown]
	s_branch .LBB1524_75
.LBB1524_65:
                                        ; implicit-def: $vgpr19
                                        ; implicit-def: $vgpr2_vgpr3_vgpr4_vgpr5_vgpr6_vgpr7_vgpr8_vgpr9_vgpr10_vgpr11_vgpr12_vgpr13_vgpr14_vgpr15_vgpr16_vgpr17
	s_cbranch_execz .LBB1524_75
; %bb.66:
	s_nop 0
	v_mov_b32_dpp v2, v55 row_shr:1 row_mask:0xf bank_mask:0xf
	v_cndmask_b32_e64 v2, v2, 0, s[16:17]
	v_add_u32_e32 v2, v2, v55
	s_nop 1
	v_mov_b32_dpp v3, v2 row_shr:2 row_mask:0xf bank_mask:0xf
	v_cndmask_b32_e64 v3, 0, v3, s[14:15]
	v_add_u32_e32 v2, v2, v3
	;; [unrolled: 4-line block ×4, first 2 shown]
	s_nop 1
	v_mov_b32_dpp v3, v2 row_bcast:15 row_mask:0xf bank_mask:0xf
	v_cndmask_b32_e64 v3, v3, 0, s[8:9]
	v_add_u32_e32 v2, v2, v3
	s_nop 1
	v_mov_b32_dpp v3, v2 row_bcast:31 row_mask:0xf bank_mask:0xf
	v_cndmask_b32_e64 v3, 0, v3, s[4:5]
	v_add_u32_e32 v2, v2, v3
	s_and_saveexec_b64 s[4:5], s[6:7]
	s_cbranch_execz .LBB1524_68
; %bb.67:
	v_lshlrev_b32_e32 v3, 2, v54
	ds_write_b32 v3, v2
.LBB1524_68:
	s_or_b64 exec, exec, s[4:5]
	v_cmp_gt_u32_e32 vcc, 4, v0
	s_waitcnt lgkmcnt(0)
	s_barrier
	s_and_saveexec_b64 s[4:5], vcc
	s_cbranch_execz .LBB1524_70
; %bb.69:
	ds_read_b32 v3, v1
	v_and_b32_e32 v4, 3, v53
	v_cmp_ne_u32_e32 vcc, 0, v4
	s_waitcnt lgkmcnt(0)
	v_mov_b32_dpp v5, v3 row_shr:1 row_mask:0xf bank_mask:0xf
	v_cndmask_b32_e32 v5, 0, v5, vcc
	v_add_u32_e32 v3, v5, v3
	v_cmp_lt_u32_e32 vcc, 1, v4
	s_nop 0
	v_mov_b32_dpp v5, v3 row_shr:2 row_mask:0xf bank_mask:0xf
	v_cndmask_b32_e32 v4, 0, v5, vcc
	v_add_u32_e32 v3, v3, v4
	ds_write_b32 v1, v3
.LBB1524_70:
	s_or_b64 exec, exec, s[4:5]
	v_cmp_lt_u32_e32 vcc, 63, v0
	v_mov_b32_e32 v4, 0
	v_mov_b32_e32 v3, 0
	s_waitcnt lgkmcnt(0)
	s_barrier
	s_and_saveexec_b64 s[4:5], vcc
	s_cbranch_execz .LBB1524_72
; %bb.71:
	v_lshl_add_u32 v3, v54, 2, -4
	ds_read_b32 v3, v3
.LBB1524_72:
	s_or_b64 exec, exec, s[4:5]
	v_add_u32_e32 v5, -1, v53
	v_and_b32_e32 v6, 64, v53
	v_cmp_lt_i32_e32 vcc, v5, v6
	v_cndmask_b32_e32 v5, v5, v53, vcc
	s_waitcnt lgkmcnt(0)
	v_add_u32_e32 v2, v3, v2
	v_lshlrev_b32_e32 v5, 2, v5
	ds_bpermute_b32 v2, v5, v2
	ds_read_b32 v18, v4 offset:12
	s_and_saveexec_b64 s[4:5], s[0:1]
	s_cbranch_execz .LBB1524_74
; %bb.73:
	v_mov_b32_e32 v4, 0
	v_mov_b32_e32 v19, 2
	s_waitcnt lgkmcnt(0)
	global_store_dwordx2 v4, v[18:19], s[30:31] offset:512
.LBB1524_74:
	s_or_b64 exec, exec, s[4:5]
	v_cmp_eq_u32_e32 vcc, 0, v53
	s_waitcnt lgkmcnt(1)
	v_cndmask_b32_e32 v2, v2, v3, vcc
	v_cndmask_b32_e64 v2, v2, 0, s[0:1]
	v_add_u32_e32 v3, v2, v44
	v_add_u32_e32 v4, v3, v45
	;; [unrolled: 1-line block ×11, first 2 shown]
	v_mov_b32_e32 v19, 0
	v_add_u32_e32 v14, v13, v41
	s_waitcnt lgkmcnt(0)
	s_barrier
.LBB1524_75:
	s_waitcnt lgkmcnt(0)
	v_add_u32_e32 v36, v18, v36
	v_sub_u32_e32 v2, v2, v19
	v_and_b32_e32 v45, 1, v40
	v_sub_u32_e32 v44, v36, v2
	v_cmp_eq_u32_e32 vcc, 1, v45
	v_cndmask_b32_e32 v2, v44, v2, vcc
	v_lshlrev_b32_e32 v2, 2, v2
	v_lshrrev_b32_e32 v17, 8, v40
	ds_write_b32 v2, v32
	v_sub_u32_e32 v2, v3, v19
	v_sub_u32_e32 v3, v36, v2
	v_and_b32_e32 v17, 1, v17
	v_add_u32_e32 v3, 1, v3
	v_cmp_eq_u32_e32 vcc, 1, v17
	v_cndmask_b32_e32 v2, v3, v2, vcc
	v_lshlrev_b32_e32 v2, 2, v2
	ds_write_b32 v2, v33
	v_sub_u32_e32 v2, v4, v19
	v_mov_b32_e32 v4, 1
	v_sub_u32_e32 v3, v36, v2
	v_and_b32_sdwa v17, v4, v40 dst_sel:DWORD dst_unused:UNUSED_PAD src0_sel:DWORD src1_sel:WORD_1
	v_add_u32_e32 v3, 2, v3
	v_cmp_eq_u32_e32 vcc, 1, v17
	v_cndmask_b32_e32 v2, v3, v2, vcc
	v_lshlrev_b32_e32 v2, 2, v2
	ds_write_b32 v2, v30
	v_sub_u32_e32 v2, v5, v19
	v_sub_u32_e32 v3, v36, v2
	v_and_b32_e32 v5, 1, v43
	v_add_u32_e32 v3, 3, v3
	v_cmp_eq_u32_e32 vcc, 1, v5
	v_cndmask_b32_e32 v2, v3, v2, vcc
	v_lshlrev_b32_e32 v2, 2, v2
	ds_write_b32 v2, v31
	v_sub_u32_e32 v2, v6, v19
	v_sub_u32_e32 v3, v36, v2
	v_and_b32_e32 v5, 1, v39
	v_add_u32_e32 v3, 4, v3
	v_cmp_eq_u32_e32 vcc, 1, v5
	v_cndmask_b32_e32 v2, v3, v2, vcc
	v_lshlrev_b32_e32 v2, 2, v2
	v_lshrrev_b32_e32 v16, 8, v39
	ds_write_b32 v2, v28
	v_sub_u32_e32 v2, v7, v19
	v_sub_u32_e32 v3, v36, v2
	v_and_b32_e32 v5, 1, v16
	v_add_u32_e32 v3, 5, v3
	v_cmp_eq_u32_e32 vcc, 1, v5
	v_cndmask_b32_e32 v2, v3, v2, vcc
	v_lshlrev_b32_e32 v2, 2, v2
	ds_write_b32 v2, v29
	v_sub_u32_e32 v2, v8, v19
	v_sub_u32_e32 v3, v36, v2
	v_and_b32_sdwa v5, v4, v39 dst_sel:DWORD dst_unused:UNUSED_PAD src0_sel:DWORD src1_sel:WORD_1
	v_add_u32_e32 v3, 6, v3
	v_cmp_eq_u32_e32 vcc, 1, v5
	v_cndmask_b32_e32 v2, v3, v2, vcc
	v_lshlrev_b32_e32 v2, 2, v2
	ds_write_b32 v2, v26
	v_sub_u32_e32 v2, v9, v19
	v_sub_u32_e32 v3, v36, v2
	v_and_b32_e32 v5, 1, v42
	v_add_u32_e32 v3, 7, v3
	v_cmp_eq_u32_e32 vcc, 1, v5
	v_cndmask_b32_e32 v2, v3, v2, vcc
	v_lshlrev_b32_e32 v2, 2, v2
	ds_write_b32 v2, v27
	v_sub_u32_e32 v2, v10, v19
	v_sub_u32_e32 v3, v36, v2
	v_and_b32_e32 v5, 1, v38
	v_add_u32_e32 v3, 8, v3
	v_cmp_eq_u32_e32 vcc, 1, v5
	v_cndmask_b32_e32 v2, v3, v2, vcc
	v_lshlrev_b32_e32 v2, 2, v2
	v_lshrrev_b32_e32 v15, 8, v38
	ds_write_b32 v2, v24
	v_sub_u32_e32 v2, v11, v19
	v_sub_u32_e32 v3, v36, v2
	v_and_b32_e32 v5, 1, v15
	v_add_u32_e32 v3, 9, v3
	v_cmp_eq_u32_e32 vcc, 1, v5
	v_cndmask_b32_e32 v2, v3, v2, vcc
	v_lshlrev_b32_e32 v2, 2, v2
	ds_write_b32 v2, v25
	v_sub_u32_e32 v2, v12, v19
	v_sub_u32_e32 v3, v36, v2
	v_and_b32_sdwa v4, v4, v38 dst_sel:DWORD dst_unused:UNUSED_PAD src0_sel:DWORD src1_sel:WORD_1
	v_add_u32_e32 v3, 10, v3
	v_cmp_eq_u32_e32 vcc, 1, v4
	v_cndmask_b32_e32 v2, v3, v2, vcc
	v_lshlrev_b32_e32 v2, 2, v2
	ds_write_b32 v2, v22
	v_sub_u32_e32 v2, v13, v19
	v_sub_u32_e32 v3, v36, v2
	v_and_b32_e32 v4, 1, v41
	v_add_u32_e32 v3, 11, v3
	v_cmp_eq_u32_e32 vcc, 1, v4
	v_cndmask_b32_e32 v2, v3, v2, vcc
	v_lshlrev_b32_e32 v2, 2, v2
	ds_write_b32 v2, v23
	v_sub_u32_e32 v2, v14, v19
	v_sub_u32_e32 v3, v36, v2
	v_and_b32_e32 v4, 1, v37
	v_add_u32_e32 v3, 12, v3
	v_cmp_eq_u32_e32 vcc, 1, v4
	v_cndmask_b32_e32 v2, v3, v2, vcc
	v_lshlrev_b32_e32 v2, 2, v2
	ds_write_b32 v2, v35
	s_waitcnt lgkmcnt(0)
	s_barrier
	ds_read2st64_b32 v[12:13], v1 offset1:4
	ds_read2st64_b32 v[10:11], v1 offset0:8 offset1:12
	ds_read2st64_b32 v[8:9], v1 offset0:16 offset1:20
	;; [unrolled: 1-line block ×5, first 2 shown]
	ds_read_b32 v17, v1 offset:12288
	s_waitcnt vmcnt(0)
	v_add_co_u32_e32 v1, vcc, v20, v19
	v_addc_co_u32_e32 v16, vcc, 0, v21, vcc
	v_mov_b32_e32 v14, s29
	v_add_co_u32_e32 v15, vcc, s28, v34
	v_addc_co_u32_e32 v14, vcc, 0, v14, vcc
	v_mov_b32_e32 v19, s27
	v_sub_co_u32_e32 v15, vcc, s26, v15
	v_subb_co_u32_e32 v14, vcc, v19, v14, vcc
	v_add_co_u32_e32 v15, vcc, v15, v18
	v_addc_co_u32_e32 v14, vcc, 0, v14, vcc
	s_and_b64 vcc, exec, s[2:3]
	v_add_co_u32_e64 v19, s[2:3], v15, v1
	v_or_b32_e32 v33, 0x100, v0
	v_or_b32_e32 v32, 0x200, v0
	;; [unrolled: 1-line block ×12, first 2 shown]
	v_addc_co_u32_e64 v20, s[2:3], v14, v16, s[2:3]
	s_cbranch_vccnz .LBB1524_132
; %bb.76:
	v_cmp_ge_u32_e32 vcc, v0, v18
                                        ; implicit-def: $vgpr14_vgpr15
	s_and_saveexec_b64 s[2:3], vcc
	s_xor_b64 s[2:3], exec, s[2:3]
; %bb.77:
	v_not_b32_e32 v14, v0
	v_ashrrev_i32_e32 v15, 31, v14
	v_add_co_u32_e32 v14, vcc, v19, v14
	v_addc_co_u32_e32 v15, vcc, v20, v15, vcc
; %bb.78:
	s_andn2_saveexec_b64 s[2:3], s[2:3]
; %bb.79:
	v_add_co_u32_e32 v14, vcc, v1, v0
	v_addc_co_u32_e32 v15, vcc, 0, v16, vcc
; %bb.80:
	s_or_b64 exec, exec, s[2:3]
	v_lshlrev_b64 v[14:15], 2, v[14:15]
	v_mov_b32_e32 v21, s25
	v_add_co_u32_e32 v14, vcc, s24, v14
	v_addc_co_u32_e32 v15, vcc, v21, v15, vcc
	v_cmp_ge_u32_e32 vcc, v33, v18
	s_waitcnt lgkmcnt(6)
	global_store_dword v[14:15], v12, off
                                        ; implicit-def: $vgpr14_vgpr15
	s_and_saveexec_b64 s[2:3], vcc
	s_xor_b64 s[2:3], exec, s[2:3]
; %bb.81:
	v_xor_b32_e32 v14, 0xfffffeff, v0
	v_ashrrev_i32_e32 v15, 31, v14
	v_add_co_u32_e32 v14, vcc, v19, v14
	v_addc_co_u32_e32 v15, vcc, v20, v15, vcc
; %bb.82:
	s_andn2_saveexec_b64 s[2:3], s[2:3]
; %bb.83:
	v_add_co_u32_e32 v14, vcc, v1, v33
	v_addc_co_u32_e32 v15, vcc, 0, v16, vcc
; %bb.84:
	s_or_b64 exec, exec, s[2:3]
	v_lshlrev_b64 v[14:15], 2, v[14:15]
	v_mov_b32_e32 v21, s25
	v_add_co_u32_e32 v14, vcc, s24, v14
	v_addc_co_u32_e32 v15, vcc, v21, v15, vcc
	v_cmp_ge_u32_e32 vcc, v32, v18
	global_store_dword v[14:15], v13, off
                                        ; implicit-def: $vgpr14_vgpr15
	s_and_saveexec_b64 s[2:3], vcc
	s_xor_b64 s[2:3], exec, s[2:3]
; %bb.85:
	v_xor_b32_e32 v14, 0xfffffdff, v0
	v_ashrrev_i32_e32 v15, 31, v14
	v_add_co_u32_e32 v14, vcc, v19, v14
	v_addc_co_u32_e32 v15, vcc, v20, v15, vcc
; %bb.86:
	s_andn2_saveexec_b64 s[2:3], s[2:3]
; %bb.87:
	v_add_co_u32_e32 v14, vcc, v1, v32
	v_addc_co_u32_e32 v15, vcc, 0, v16, vcc
; %bb.88:
	s_or_b64 exec, exec, s[2:3]
	v_lshlrev_b64 v[14:15], 2, v[14:15]
	v_mov_b32_e32 v21, s25
	v_add_co_u32_e32 v14, vcc, s24, v14
	v_addc_co_u32_e32 v15, vcc, v21, v15, vcc
	v_cmp_ge_u32_e32 vcc, v31, v18
	s_waitcnt lgkmcnt(5)
	global_store_dword v[14:15], v10, off
                                        ; implicit-def: $vgpr14_vgpr15
	s_and_saveexec_b64 s[2:3], vcc
	s_xor_b64 s[2:3], exec, s[2:3]
; %bb.89:
	v_xor_b32_e32 v14, 0xfffffcff, v0
	v_ashrrev_i32_e32 v15, 31, v14
	v_add_co_u32_e32 v14, vcc, v19, v14
	v_addc_co_u32_e32 v15, vcc, v20, v15, vcc
; %bb.90:
	s_andn2_saveexec_b64 s[2:3], s[2:3]
; %bb.91:
	v_add_co_u32_e32 v14, vcc, v1, v31
	v_addc_co_u32_e32 v15, vcc, 0, v16, vcc
; %bb.92:
	s_or_b64 exec, exec, s[2:3]
	v_lshlrev_b64 v[14:15], 2, v[14:15]
	v_mov_b32_e32 v21, s25
	v_add_co_u32_e32 v14, vcc, s24, v14
	v_addc_co_u32_e32 v15, vcc, v21, v15, vcc
	v_cmp_ge_u32_e32 vcc, v30, v18
	global_store_dword v[14:15], v11, off
                                        ; implicit-def: $vgpr14_vgpr15
	s_and_saveexec_b64 s[2:3], vcc
	s_xor_b64 s[2:3], exec, s[2:3]
; %bb.93:
	v_xor_b32_e32 v14, 0xfffffbff, v0
	v_ashrrev_i32_e32 v15, 31, v14
	v_add_co_u32_e32 v14, vcc, v19, v14
	v_addc_co_u32_e32 v15, vcc, v20, v15, vcc
; %bb.94:
	s_andn2_saveexec_b64 s[2:3], s[2:3]
; %bb.95:
	v_add_co_u32_e32 v14, vcc, v1, v30
	v_addc_co_u32_e32 v15, vcc, 0, v16, vcc
; %bb.96:
	s_or_b64 exec, exec, s[2:3]
	v_lshlrev_b64 v[14:15], 2, v[14:15]
	v_mov_b32_e32 v21, s25
	v_add_co_u32_e32 v14, vcc, s24, v14
	v_addc_co_u32_e32 v15, vcc, v21, v15, vcc
	v_cmp_ge_u32_e32 vcc, v29, v18
	s_waitcnt lgkmcnt(4)
	global_store_dword v[14:15], v8, off
                                        ; implicit-def: $vgpr14_vgpr15
	s_and_saveexec_b64 s[2:3], vcc
	s_xor_b64 s[2:3], exec, s[2:3]
; %bb.97:
	v_xor_b32_e32 v14, 0xfffffaff, v0
	v_ashrrev_i32_e32 v15, 31, v14
	v_add_co_u32_e32 v14, vcc, v19, v14
	v_addc_co_u32_e32 v15, vcc, v20, v15, vcc
; %bb.98:
	s_andn2_saveexec_b64 s[2:3], s[2:3]
; %bb.99:
	v_add_co_u32_e32 v14, vcc, v1, v29
	v_addc_co_u32_e32 v15, vcc, 0, v16, vcc
; %bb.100:
	s_or_b64 exec, exec, s[2:3]
	v_lshlrev_b64 v[14:15], 2, v[14:15]
	v_mov_b32_e32 v21, s25
	v_add_co_u32_e32 v14, vcc, s24, v14
	v_addc_co_u32_e32 v15, vcc, v21, v15, vcc
	v_cmp_ge_u32_e32 vcc, v28, v18
	global_store_dword v[14:15], v9, off
                                        ; implicit-def: $vgpr14_vgpr15
	s_and_saveexec_b64 s[2:3], vcc
	s_xor_b64 s[2:3], exec, s[2:3]
; %bb.101:
	v_xor_b32_e32 v14, 0xfffff9ff, v0
	v_ashrrev_i32_e32 v15, 31, v14
	v_add_co_u32_e32 v14, vcc, v19, v14
	v_addc_co_u32_e32 v15, vcc, v20, v15, vcc
; %bb.102:
	s_andn2_saveexec_b64 s[2:3], s[2:3]
; %bb.103:
	v_add_co_u32_e32 v14, vcc, v1, v28
	v_addc_co_u32_e32 v15, vcc, 0, v16, vcc
; %bb.104:
	s_or_b64 exec, exec, s[2:3]
	v_lshlrev_b64 v[14:15], 2, v[14:15]
	v_mov_b32_e32 v21, s25
	v_add_co_u32_e32 v14, vcc, s24, v14
	v_addc_co_u32_e32 v15, vcc, v21, v15, vcc
	v_cmp_ge_u32_e32 vcc, v27, v18
	s_waitcnt lgkmcnt(3)
	global_store_dword v[14:15], v6, off
                                        ; implicit-def: $vgpr14_vgpr15
	s_and_saveexec_b64 s[2:3], vcc
	s_xor_b64 s[2:3], exec, s[2:3]
; %bb.105:
	v_xor_b32_e32 v14, 0xfffff8ff, v0
	v_ashrrev_i32_e32 v15, 31, v14
	v_add_co_u32_e32 v14, vcc, v19, v14
	v_addc_co_u32_e32 v15, vcc, v20, v15, vcc
; %bb.106:
	s_andn2_saveexec_b64 s[2:3], s[2:3]
; %bb.107:
	v_add_co_u32_e32 v14, vcc, v1, v27
	v_addc_co_u32_e32 v15, vcc, 0, v16, vcc
; %bb.108:
	s_or_b64 exec, exec, s[2:3]
	v_lshlrev_b64 v[14:15], 2, v[14:15]
	v_mov_b32_e32 v21, s25
	v_add_co_u32_e32 v14, vcc, s24, v14
	v_addc_co_u32_e32 v15, vcc, v21, v15, vcc
	v_cmp_ge_u32_e32 vcc, v26, v18
	global_store_dword v[14:15], v7, off
                                        ; implicit-def: $vgpr14_vgpr15
	s_and_saveexec_b64 s[2:3], vcc
	s_xor_b64 s[2:3], exec, s[2:3]
; %bb.109:
	v_xor_b32_e32 v14, 0xfffff7ff, v0
	v_ashrrev_i32_e32 v15, 31, v14
	v_add_co_u32_e32 v14, vcc, v19, v14
	v_addc_co_u32_e32 v15, vcc, v20, v15, vcc
; %bb.110:
	s_andn2_saveexec_b64 s[2:3], s[2:3]
; %bb.111:
	v_add_co_u32_e32 v14, vcc, v1, v26
	v_addc_co_u32_e32 v15, vcc, 0, v16, vcc
; %bb.112:
	s_or_b64 exec, exec, s[2:3]
	v_lshlrev_b64 v[14:15], 2, v[14:15]
	v_mov_b32_e32 v21, s25
	v_add_co_u32_e32 v14, vcc, s24, v14
	v_addc_co_u32_e32 v15, vcc, v21, v15, vcc
	v_cmp_ge_u32_e32 vcc, v25, v18
	s_waitcnt lgkmcnt(2)
	global_store_dword v[14:15], v4, off
                                        ; implicit-def: $vgpr14_vgpr15
	s_and_saveexec_b64 s[2:3], vcc
	s_xor_b64 s[2:3], exec, s[2:3]
; %bb.113:
	v_xor_b32_e32 v14, 0xfffff6ff, v0
	v_ashrrev_i32_e32 v15, 31, v14
	v_add_co_u32_e32 v14, vcc, v19, v14
	v_addc_co_u32_e32 v15, vcc, v20, v15, vcc
; %bb.114:
	s_andn2_saveexec_b64 s[2:3], s[2:3]
; %bb.115:
	v_add_co_u32_e32 v14, vcc, v1, v25
	v_addc_co_u32_e32 v15, vcc, 0, v16, vcc
; %bb.116:
	s_or_b64 exec, exec, s[2:3]
	v_lshlrev_b64 v[14:15], 2, v[14:15]
	v_mov_b32_e32 v21, s25
	v_add_co_u32_e32 v14, vcc, s24, v14
	v_addc_co_u32_e32 v15, vcc, v21, v15, vcc
	v_cmp_ge_u32_e32 vcc, v24, v18
	global_store_dword v[14:15], v5, off
                                        ; implicit-def: $vgpr14_vgpr15
	s_and_saveexec_b64 s[2:3], vcc
	s_xor_b64 s[2:3], exec, s[2:3]
; %bb.117:
	v_xor_b32_e32 v14, 0xfffff5ff, v0
	v_ashrrev_i32_e32 v15, 31, v14
	v_add_co_u32_e32 v14, vcc, v19, v14
	v_addc_co_u32_e32 v15, vcc, v20, v15, vcc
; %bb.118:
	s_andn2_saveexec_b64 s[2:3], s[2:3]
; %bb.119:
	v_add_co_u32_e32 v14, vcc, v1, v24
	v_addc_co_u32_e32 v15, vcc, 0, v16, vcc
; %bb.120:
	s_or_b64 exec, exec, s[2:3]
	v_lshlrev_b64 v[14:15], 2, v[14:15]
	v_mov_b32_e32 v21, s25
	v_add_co_u32_e32 v14, vcc, s24, v14
	v_addc_co_u32_e32 v15, vcc, v21, v15, vcc
	v_cmp_ge_u32_e32 vcc, v23, v18
	s_waitcnt lgkmcnt(1)
	global_store_dword v[14:15], v2, off
                                        ; implicit-def: $vgpr14_vgpr15
	s_and_saveexec_b64 s[2:3], vcc
	s_xor_b64 s[2:3], exec, s[2:3]
; %bb.121:
	v_xor_b32_e32 v14, 0xfffff4ff, v0
	v_ashrrev_i32_e32 v15, 31, v14
	v_add_co_u32_e32 v14, vcc, v19, v14
	v_addc_co_u32_e32 v15, vcc, v20, v15, vcc
; %bb.122:
	s_andn2_saveexec_b64 s[2:3], s[2:3]
; %bb.123:
	v_add_co_u32_e32 v14, vcc, v1, v23
	v_addc_co_u32_e32 v15, vcc, 0, v16, vcc
; %bb.124:
	s_or_b64 exec, exec, s[2:3]
	v_lshlrev_b64 v[14:15], 2, v[14:15]
	v_mov_b32_e32 v21, s25
	v_add_co_u32_e32 v14, vcc, s24, v14
	v_addc_co_u32_e32 v15, vcc, v21, v15, vcc
	v_cmp_ge_u32_e32 vcc, v22, v18
	global_store_dword v[14:15], v3, off
                                        ; implicit-def: $vgpr14_vgpr15
	s_and_saveexec_b64 s[2:3], vcc
	s_xor_b64 s[2:3], exec, s[2:3]
; %bb.125:
	v_xor_b32_e32 v14, 0xfffff3ff, v0
	v_ashrrev_i32_e32 v15, 31, v14
	v_add_co_u32_e32 v14, vcc, v19, v14
	v_addc_co_u32_e32 v15, vcc, v20, v15, vcc
; %bb.126:
	s_andn2_saveexec_b64 s[2:3], s[2:3]
; %bb.127:
	v_add_co_u32_e32 v14, vcc, v1, v22
	v_addc_co_u32_e32 v15, vcc, 0, v16, vcc
; %bb.128:
	s_or_b64 exec, exec, s[2:3]
	s_mov_b64 s[2:3], -1
.LBB1524_129:
	s_and_saveexec_b64 s[4:5], s[2:3]
	s_cbranch_execz .LBB1524_212
.LBB1524_130:
	s_waitcnt lgkmcnt(1)
	v_lshlrev_b64 v[2:3], 2, v[14:15]
	v_mov_b32_e32 v0, s25
	v_add_co_u32_e32 v2, vcc, s24, v2
	v_addc_co_u32_e32 v3, vcc, v0, v3, vcc
	s_waitcnt lgkmcnt(0)
	global_store_dword v[2:3], v17, off
	s_or_b64 exec, exec, s[4:5]
	s_and_b64 s[0:1], s[0:1], s[22:23]
	s_and_saveexec_b64 s[2:3], s[0:1]
	s_cbranch_execnz .LBB1524_213
.LBB1524_131:
	s_endpgm
.LBB1524_132:
	s_mov_b64 s[2:3], 0
                                        ; implicit-def: $vgpr14_vgpr15
	s_cbranch_execz .LBB1524_129
; %bb.133:
	v_cmp_gt_u32_e32 vcc, s33, v0
	s_and_saveexec_b64 s[4:5], vcc
	s_cbranch_execz .LBB1524_169
; %bb.134:
	v_cmp_ge_u32_e32 vcc, v0, v18
                                        ; implicit-def: $vgpr14_vgpr15
	s_and_saveexec_b64 s[6:7], vcc
	s_xor_b64 s[6:7], exec, s[6:7]
; %bb.135:
	v_not_b32_e32 v14, v0
	v_ashrrev_i32_e32 v15, 31, v14
	v_add_co_u32_e32 v14, vcc, v19, v14
	v_addc_co_u32_e32 v15, vcc, v20, v15, vcc
; %bb.136:
	s_andn2_saveexec_b64 s[6:7], s[6:7]
; %bb.137:
	v_add_co_u32_e32 v14, vcc, v1, v0
	v_addc_co_u32_e32 v15, vcc, 0, v16, vcc
; %bb.138:
	s_or_b64 exec, exec, s[6:7]
	v_lshlrev_b64 v[14:15], 2, v[14:15]
	v_mov_b32_e32 v21, s25
	v_add_co_u32_e32 v14, vcc, s24, v14
	v_addc_co_u32_e32 v15, vcc, v21, v15, vcc
	s_waitcnt lgkmcnt(6)
	global_store_dword v[14:15], v12, off
	s_or_b64 exec, exec, s[4:5]
	v_cmp_gt_u32_e32 vcc, s33, v33
	s_and_saveexec_b64 s[4:5], vcc
	s_cbranch_execnz .LBB1524_170
.LBB1524_139:
	s_or_b64 exec, exec, s[4:5]
	v_cmp_gt_u32_e32 vcc, s33, v32
	s_and_saveexec_b64 s[4:5], vcc
	s_cbranch_execz .LBB1524_175
.LBB1524_140:
	v_cmp_ge_u32_e32 vcc, v32, v18
                                        ; implicit-def: $vgpr12_vgpr13
	s_and_saveexec_b64 s[6:7], vcc
	s_xor_b64 s[6:7], exec, s[6:7]
	s_cbranch_execz .LBB1524_142
; %bb.141:
	s_waitcnt lgkmcnt(6)
	v_xor_b32_e32 v12, 0xfffffdff, v0
	v_ashrrev_i32_e32 v13, 31, v12
	v_add_co_u32_e32 v12, vcc, v19, v12
	v_addc_co_u32_e32 v13, vcc, v20, v13, vcc
                                        ; implicit-def: $vgpr32
.LBB1524_142:
	s_andn2_saveexec_b64 s[6:7], s[6:7]
	s_cbranch_execz .LBB1524_144
; %bb.143:
	s_waitcnt lgkmcnt(6)
	v_add_co_u32_e32 v12, vcc, v1, v32
	v_addc_co_u32_e32 v13, vcc, 0, v16, vcc
.LBB1524_144:
	s_or_b64 exec, exec, s[6:7]
	s_waitcnt lgkmcnt(6)
	v_lshlrev_b64 v[12:13], 2, v[12:13]
	v_mov_b32_e32 v14, s25
	v_add_co_u32_e32 v12, vcc, s24, v12
	v_addc_co_u32_e32 v13, vcc, v14, v13, vcc
	s_waitcnt lgkmcnt(5)
	global_store_dword v[12:13], v10, off
	s_or_b64 exec, exec, s[4:5]
	v_cmp_gt_u32_e32 vcc, s33, v31
	s_and_saveexec_b64 s[4:5], vcc
	s_cbranch_execnz .LBB1524_176
.LBB1524_145:
	s_or_b64 exec, exec, s[4:5]
	v_cmp_gt_u32_e32 vcc, s33, v30
	s_and_saveexec_b64 s[4:5], vcc
	s_cbranch_execz .LBB1524_181
.LBB1524_146:
	v_cmp_ge_u32_e32 vcc, v30, v18
                                        ; implicit-def: $vgpr10_vgpr11
	s_and_saveexec_b64 s[6:7], vcc
	s_xor_b64 s[6:7], exec, s[6:7]
	s_cbranch_execz .LBB1524_148
; %bb.147:
	s_waitcnt lgkmcnt(5)
	v_xor_b32_e32 v10, 0xfffffbff, v0
	v_ashrrev_i32_e32 v11, 31, v10
	v_add_co_u32_e32 v10, vcc, v19, v10
	v_addc_co_u32_e32 v11, vcc, v20, v11, vcc
                                        ; implicit-def: $vgpr30
.LBB1524_148:
	s_andn2_saveexec_b64 s[6:7], s[6:7]
	s_cbranch_execz .LBB1524_150
; %bb.149:
	s_waitcnt lgkmcnt(5)
	v_add_co_u32_e32 v10, vcc, v1, v30
	v_addc_co_u32_e32 v11, vcc, 0, v16, vcc
.LBB1524_150:
	s_or_b64 exec, exec, s[6:7]
	s_waitcnt lgkmcnt(5)
	v_lshlrev_b64 v[10:11], 2, v[10:11]
	v_mov_b32_e32 v12, s25
	v_add_co_u32_e32 v10, vcc, s24, v10
	v_addc_co_u32_e32 v11, vcc, v12, v11, vcc
	s_waitcnt lgkmcnt(4)
	global_store_dword v[10:11], v8, off
	s_or_b64 exec, exec, s[4:5]
	v_cmp_gt_u32_e32 vcc, s33, v29
	s_and_saveexec_b64 s[4:5], vcc
	s_cbranch_execnz .LBB1524_182
.LBB1524_151:
	s_or_b64 exec, exec, s[4:5]
	v_cmp_gt_u32_e32 vcc, s33, v28
	s_and_saveexec_b64 s[4:5], vcc
	s_cbranch_execz .LBB1524_187
.LBB1524_152:
	v_cmp_ge_u32_e32 vcc, v28, v18
                                        ; implicit-def: $vgpr8_vgpr9
	s_and_saveexec_b64 s[6:7], vcc
	s_xor_b64 s[6:7], exec, s[6:7]
	s_cbranch_execz .LBB1524_154
; %bb.153:
	s_waitcnt lgkmcnt(4)
	v_xor_b32_e32 v8, 0xfffff9ff, v0
	v_ashrrev_i32_e32 v9, 31, v8
	v_add_co_u32_e32 v8, vcc, v19, v8
	v_addc_co_u32_e32 v9, vcc, v20, v9, vcc
                                        ; implicit-def: $vgpr28
.LBB1524_154:
	s_andn2_saveexec_b64 s[6:7], s[6:7]
	s_cbranch_execz .LBB1524_156
; %bb.155:
	s_waitcnt lgkmcnt(4)
	v_add_co_u32_e32 v8, vcc, v1, v28
	v_addc_co_u32_e32 v9, vcc, 0, v16, vcc
.LBB1524_156:
	s_or_b64 exec, exec, s[6:7]
	s_waitcnt lgkmcnt(4)
	v_lshlrev_b64 v[8:9], 2, v[8:9]
	v_mov_b32_e32 v10, s25
	v_add_co_u32_e32 v8, vcc, s24, v8
	v_addc_co_u32_e32 v9, vcc, v10, v9, vcc
	s_waitcnt lgkmcnt(3)
	global_store_dword v[8:9], v6, off
	s_or_b64 exec, exec, s[4:5]
	v_cmp_gt_u32_e32 vcc, s33, v27
	s_and_saveexec_b64 s[4:5], vcc
	s_cbranch_execnz .LBB1524_188
.LBB1524_157:
	s_or_b64 exec, exec, s[4:5]
	v_cmp_gt_u32_e32 vcc, s33, v26
	s_and_saveexec_b64 s[4:5], vcc
	s_cbranch_execz .LBB1524_193
.LBB1524_158:
	v_cmp_ge_u32_e32 vcc, v26, v18
                                        ; implicit-def: $vgpr6_vgpr7
	s_and_saveexec_b64 s[6:7], vcc
	s_xor_b64 s[6:7], exec, s[6:7]
	s_cbranch_execz .LBB1524_160
; %bb.159:
	s_waitcnt lgkmcnt(3)
	v_xor_b32_e32 v6, 0xfffff7ff, v0
	v_ashrrev_i32_e32 v7, 31, v6
	v_add_co_u32_e32 v6, vcc, v19, v6
	v_addc_co_u32_e32 v7, vcc, v20, v7, vcc
                                        ; implicit-def: $vgpr26
.LBB1524_160:
	s_andn2_saveexec_b64 s[6:7], s[6:7]
	s_cbranch_execz .LBB1524_162
; %bb.161:
	s_waitcnt lgkmcnt(3)
	v_add_co_u32_e32 v6, vcc, v1, v26
	v_addc_co_u32_e32 v7, vcc, 0, v16, vcc
.LBB1524_162:
	s_or_b64 exec, exec, s[6:7]
	s_waitcnt lgkmcnt(3)
	v_lshlrev_b64 v[6:7], 2, v[6:7]
	v_mov_b32_e32 v8, s25
	v_add_co_u32_e32 v6, vcc, s24, v6
	v_addc_co_u32_e32 v7, vcc, v8, v7, vcc
	s_waitcnt lgkmcnt(2)
	global_store_dword v[6:7], v4, off
	s_or_b64 exec, exec, s[4:5]
	v_cmp_gt_u32_e32 vcc, s33, v25
	s_and_saveexec_b64 s[4:5], vcc
	s_cbranch_execnz .LBB1524_194
.LBB1524_163:
	s_or_b64 exec, exec, s[4:5]
	v_cmp_gt_u32_e32 vcc, s33, v24
	s_and_saveexec_b64 s[4:5], vcc
	s_cbranch_execz .LBB1524_199
.LBB1524_164:
	v_cmp_ge_u32_e32 vcc, v24, v18
                                        ; implicit-def: $vgpr4_vgpr5
	s_and_saveexec_b64 s[6:7], vcc
	s_xor_b64 s[6:7], exec, s[6:7]
	s_cbranch_execz .LBB1524_166
; %bb.165:
	s_waitcnt lgkmcnt(2)
	v_xor_b32_e32 v4, 0xfffff5ff, v0
	v_ashrrev_i32_e32 v5, 31, v4
	v_add_co_u32_e32 v4, vcc, v19, v4
	v_addc_co_u32_e32 v5, vcc, v20, v5, vcc
                                        ; implicit-def: $vgpr24
.LBB1524_166:
	s_andn2_saveexec_b64 s[6:7], s[6:7]
	s_cbranch_execz .LBB1524_168
; %bb.167:
	s_waitcnt lgkmcnt(2)
	v_add_co_u32_e32 v4, vcc, v1, v24
	v_addc_co_u32_e32 v5, vcc, 0, v16, vcc
.LBB1524_168:
	s_or_b64 exec, exec, s[6:7]
	s_waitcnt lgkmcnt(2)
	v_lshlrev_b64 v[4:5], 2, v[4:5]
	v_mov_b32_e32 v6, s25
	v_add_co_u32_e32 v4, vcc, s24, v4
	v_addc_co_u32_e32 v5, vcc, v6, v5, vcc
	s_waitcnt lgkmcnt(1)
	global_store_dword v[4:5], v2, off
	s_or_b64 exec, exec, s[4:5]
	v_cmp_gt_u32_e32 vcc, s33, v23
	s_and_saveexec_b64 s[4:5], vcc
	s_cbranch_execz .LBB1524_205
	s_branch .LBB1524_200
.LBB1524_169:
	s_or_b64 exec, exec, s[4:5]
	v_cmp_gt_u32_e32 vcc, s33, v33
	s_and_saveexec_b64 s[4:5], vcc
	s_cbranch_execz .LBB1524_139
.LBB1524_170:
	v_cmp_ge_u32_e32 vcc, v33, v18
                                        ; implicit-def: $vgpr14_vgpr15
	s_and_saveexec_b64 s[6:7], vcc
	s_xor_b64 s[6:7], exec, s[6:7]
	s_cbranch_execz .LBB1524_172
; %bb.171:
	s_waitcnt lgkmcnt(6)
	v_xor_b32_e32 v12, 0xfffffeff, v0
	v_ashrrev_i32_e32 v15, 31, v12
	v_add_co_u32_e32 v14, vcc, v19, v12
	v_addc_co_u32_e32 v15, vcc, v20, v15, vcc
                                        ; implicit-def: $vgpr33
.LBB1524_172:
	s_andn2_saveexec_b64 s[6:7], s[6:7]
; %bb.173:
	v_add_co_u32_e32 v14, vcc, v1, v33
	v_addc_co_u32_e32 v15, vcc, 0, v16, vcc
; %bb.174:
	s_or_b64 exec, exec, s[6:7]
	v_lshlrev_b64 v[14:15], 2, v[14:15]
	s_waitcnt lgkmcnt(6)
	v_mov_b32_e32 v12, s25
	v_add_co_u32_e32 v14, vcc, s24, v14
	v_addc_co_u32_e32 v15, vcc, v12, v15, vcc
	global_store_dword v[14:15], v13, off
	s_or_b64 exec, exec, s[4:5]
	v_cmp_gt_u32_e32 vcc, s33, v32
	s_and_saveexec_b64 s[4:5], vcc
	s_cbranch_execnz .LBB1524_140
.LBB1524_175:
	s_or_b64 exec, exec, s[4:5]
	v_cmp_gt_u32_e32 vcc, s33, v31
	s_and_saveexec_b64 s[4:5], vcc
	s_cbranch_execz .LBB1524_145
.LBB1524_176:
	v_cmp_ge_u32_e32 vcc, v31, v18
                                        ; implicit-def: $vgpr12_vgpr13
	s_and_saveexec_b64 s[6:7], vcc
	s_xor_b64 s[6:7], exec, s[6:7]
	s_cbranch_execz .LBB1524_178
; %bb.177:
	s_waitcnt lgkmcnt(5)
	v_xor_b32_e32 v10, 0xfffffcff, v0
	v_ashrrev_i32_e32 v13, 31, v10
	v_add_co_u32_e32 v12, vcc, v19, v10
	v_addc_co_u32_e32 v13, vcc, v20, v13, vcc
                                        ; implicit-def: $vgpr31
.LBB1524_178:
	s_andn2_saveexec_b64 s[6:7], s[6:7]
	s_cbranch_execz .LBB1524_180
; %bb.179:
	s_waitcnt lgkmcnt(6)
	v_add_co_u32_e32 v12, vcc, v1, v31
	v_addc_co_u32_e32 v13, vcc, 0, v16, vcc
.LBB1524_180:
	s_or_b64 exec, exec, s[6:7]
	s_waitcnt lgkmcnt(6)
	v_lshlrev_b64 v[12:13], 2, v[12:13]
	s_waitcnt lgkmcnt(5)
	v_mov_b32_e32 v10, s25
	v_add_co_u32_e32 v12, vcc, s24, v12
	v_addc_co_u32_e32 v13, vcc, v10, v13, vcc
	global_store_dword v[12:13], v11, off
	s_or_b64 exec, exec, s[4:5]
	v_cmp_gt_u32_e32 vcc, s33, v30
	s_and_saveexec_b64 s[4:5], vcc
	s_cbranch_execnz .LBB1524_146
.LBB1524_181:
	s_or_b64 exec, exec, s[4:5]
	v_cmp_gt_u32_e32 vcc, s33, v29
	s_and_saveexec_b64 s[4:5], vcc
	s_cbranch_execz .LBB1524_151
.LBB1524_182:
	v_cmp_ge_u32_e32 vcc, v29, v18
                                        ; implicit-def: $vgpr10_vgpr11
	s_and_saveexec_b64 s[6:7], vcc
	s_xor_b64 s[6:7], exec, s[6:7]
	s_cbranch_execz .LBB1524_184
; %bb.183:
	s_waitcnt lgkmcnt(4)
	v_xor_b32_e32 v8, 0xfffffaff, v0
	v_ashrrev_i32_e32 v11, 31, v8
	v_add_co_u32_e32 v10, vcc, v19, v8
	v_addc_co_u32_e32 v11, vcc, v20, v11, vcc
                                        ; implicit-def: $vgpr29
.LBB1524_184:
	s_andn2_saveexec_b64 s[6:7], s[6:7]
	s_cbranch_execz .LBB1524_186
; %bb.185:
	s_waitcnt lgkmcnt(5)
	v_add_co_u32_e32 v10, vcc, v1, v29
	v_addc_co_u32_e32 v11, vcc, 0, v16, vcc
.LBB1524_186:
	s_or_b64 exec, exec, s[6:7]
	s_waitcnt lgkmcnt(5)
	v_lshlrev_b64 v[10:11], 2, v[10:11]
	s_waitcnt lgkmcnt(4)
	v_mov_b32_e32 v8, s25
	v_add_co_u32_e32 v10, vcc, s24, v10
	v_addc_co_u32_e32 v11, vcc, v8, v11, vcc
	global_store_dword v[10:11], v9, off
	s_or_b64 exec, exec, s[4:5]
	v_cmp_gt_u32_e32 vcc, s33, v28
	s_and_saveexec_b64 s[4:5], vcc
	s_cbranch_execnz .LBB1524_152
.LBB1524_187:
	s_or_b64 exec, exec, s[4:5]
	v_cmp_gt_u32_e32 vcc, s33, v27
	s_and_saveexec_b64 s[4:5], vcc
	s_cbranch_execz .LBB1524_157
.LBB1524_188:
	v_cmp_ge_u32_e32 vcc, v27, v18
                                        ; implicit-def: $vgpr8_vgpr9
	s_and_saveexec_b64 s[6:7], vcc
	s_xor_b64 s[6:7], exec, s[6:7]
	s_cbranch_execz .LBB1524_190
; %bb.189:
	s_waitcnt lgkmcnt(3)
	v_xor_b32_e32 v6, 0xfffff8ff, v0
	v_ashrrev_i32_e32 v9, 31, v6
	v_add_co_u32_e32 v8, vcc, v19, v6
	v_addc_co_u32_e32 v9, vcc, v20, v9, vcc
                                        ; implicit-def: $vgpr27
.LBB1524_190:
	s_andn2_saveexec_b64 s[6:7], s[6:7]
	s_cbranch_execz .LBB1524_192
; %bb.191:
	s_waitcnt lgkmcnt(4)
	v_add_co_u32_e32 v8, vcc, v1, v27
	v_addc_co_u32_e32 v9, vcc, 0, v16, vcc
.LBB1524_192:
	s_or_b64 exec, exec, s[6:7]
	s_waitcnt lgkmcnt(4)
	v_lshlrev_b64 v[8:9], 2, v[8:9]
	s_waitcnt lgkmcnt(3)
	v_mov_b32_e32 v6, s25
	v_add_co_u32_e32 v8, vcc, s24, v8
	v_addc_co_u32_e32 v9, vcc, v6, v9, vcc
	global_store_dword v[8:9], v7, off
	s_or_b64 exec, exec, s[4:5]
	v_cmp_gt_u32_e32 vcc, s33, v26
	s_and_saveexec_b64 s[4:5], vcc
	s_cbranch_execnz .LBB1524_158
.LBB1524_193:
	s_or_b64 exec, exec, s[4:5]
	v_cmp_gt_u32_e32 vcc, s33, v25
	s_and_saveexec_b64 s[4:5], vcc
	s_cbranch_execz .LBB1524_163
.LBB1524_194:
	v_cmp_ge_u32_e32 vcc, v25, v18
                                        ; implicit-def: $vgpr6_vgpr7
	s_and_saveexec_b64 s[6:7], vcc
	s_xor_b64 s[6:7], exec, s[6:7]
	s_cbranch_execz .LBB1524_196
; %bb.195:
	s_waitcnt lgkmcnt(2)
	v_xor_b32_e32 v4, 0xfffff6ff, v0
	v_ashrrev_i32_e32 v7, 31, v4
	v_add_co_u32_e32 v6, vcc, v19, v4
	v_addc_co_u32_e32 v7, vcc, v20, v7, vcc
                                        ; implicit-def: $vgpr25
.LBB1524_196:
	s_andn2_saveexec_b64 s[6:7], s[6:7]
	s_cbranch_execz .LBB1524_198
; %bb.197:
	s_waitcnt lgkmcnt(3)
	v_add_co_u32_e32 v6, vcc, v1, v25
	v_addc_co_u32_e32 v7, vcc, 0, v16, vcc
.LBB1524_198:
	s_or_b64 exec, exec, s[6:7]
	s_waitcnt lgkmcnt(3)
	v_lshlrev_b64 v[6:7], 2, v[6:7]
	s_waitcnt lgkmcnt(2)
	v_mov_b32_e32 v4, s25
	v_add_co_u32_e32 v6, vcc, s24, v6
	v_addc_co_u32_e32 v7, vcc, v4, v7, vcc
	global_store_dword v[6:7], v5, off
	s_or_b64 exec, exec, s[4:5]
	v_cmp_gt_u32_e32 vcc, s33, v24
	s_and_saveexec_b64 s[4:5], vcc
	s_cbranch_execnz .LBB1524_164
.LBB1524_199:
	s_or_b64 exec, exec, s[4:5]
	v_cmp_gt_u32_e32 vcc, s33, v23
	s_and_saveexec_b64 s[4:5], vcc
	s_cbranch_execz .LBB1524_205
.LBB1524_200:
	v_cmp_ge_u32_e32 vcc, v23, v18
                                        ; implicit-def: $vgpr4_vgpr5
	s_and_saveexec_b64 s[6:7], vcc
	s_xor_b64 s[6:7], exec, s[6:7]
	s_cbranch_execz .LBB1524_202
; %bb.201:
	s_waitcnt lgkmcnt(1)
	v_xor_b32_e32 v2, 0xfffff4ff, v0
	v_ashrrev_i32_e32 v5, 31, v2
	v_add_co_u32_e32 v4, vcc, v19, v2
	v_addc_co_u32_e32 v5, vcc, v20, v5, vcc
                                        ; implicit-def: $vgpr23
.LBB1524_202:
	s_andn2_saveexec_b64 s[6:7], s[6:7]
	s_cbranch_execz .LBB1524_204
; %bb.203:
	s_waitcnt lgkmcnt(2)
	v_add_co_u32_e32 v4, vcc, v1, v23
	v_addc_co_u32_e32 v5, vcc, 0, v16, vcc
.LBB1524_204:
	s_or_b64 exec, exec, s[6:7]
	s_waitcnt lgkmcnt(2)
	v_lshlrev_b64 v[4:5], 2, v[4:5]
	s_waitcnt lgkmcnt(1)
	v_mov_b32_e32 v2, s25
	v_add_co_u32_e32 v4, vcc, s24, v4
	v_addc_co_u32_e32 v5, vcc, v2, v5, vcc
	global_store_dword v[4:5], v3, off
.LBB1524_205:
	s_or_b64 exec, exec, s[4:5]
	v_cmp_gt_u32_e32 vcc, s33, v22
                                        ; implicit-def: $vgpr14_vgpr15
	s_and_saveexec_b64 s[4:5], vcc
	s_cbranch_execz .LBB1524_211
; %bb.206:
	v_cmp_ge_u32_e32 vcc, v22, v18
                                        ; implicit-def: $vgpr14_vgpr15
	s_and_saveexec_b64 s[6:7], vcc
	s_xor_b64 s[6:7], exec, s[6:7]
	s_cbranch_execz .LBB1524_208
; %bb.207:
	v_xor_b32_e32 v0, 0xfffff3ff, v0
	s_waitcnt lgkmcnt(1)
	v_ashrrev_i32_e32 v2, 31, v0
	v_add_co_u32_e32 v14, vcc, v19, v0
	v_addc_co_u32_e32 v15, vcc, v20, v2, vcc
                                        ; implicit-def: $vgpr22
.LBB1524_208:
	s_andn2_saveexec_b64 s[6:7], s[6:7]
; %bb.209:
	v_add_co_u32_e32 v14, vcc, v1, v22
	v_addc_co_u32_e32 v15, vcc, 0, v16, vcc
; %bb.210:
	s_or_b64 exec, exec, s[6:7]
	s_or_b64 s[2:3], s[2:3], exec
.LBB1524_211:
	s_or_b64 exec, exec, s[4:5]
	s_and_saveexec_b64 s[4:5], s[2:3]
	s_cbranch_execnz .LBB1524_130
.LBB1524_212:
	s_or_b64 exec, exec, s[4:5]
	s_and_b64 s[0:1], s[0:1], s[22:23]
	s_and_saveexec_b64 s[2:3], s[0:1]
	s_cbranch_execz .LBB1524_131
.LBB1524_213:
	v_add_co_u32_e32 v0, vcc, v1, v18
	s_waitcnt lgkmcnt(1)
	v_mov_b32_e32 v2, 0
	v_addc_co_u32_e32 v1, vcc, 0, v16, vcc
	global_store_dwordx2 v2, v[0:1], s[20:21]
	s_endpgm
	.section	.rodata,"a",@progbits
	.p2align	6, 0x0
	.amdhsa_kernel _ZN7rocprim17ROCPRIM_400000_NS6detail17trampoline_kernelINS0_13select_configILj256ELj13ELNS0_17block_load_methodE3ELS4_3ELS4_3ELNS0_20block_scan_algorithmE0ELj4294967295EEENS1_25partition_config_selectorILNS1_17partition_subalgoE3EjNS0_10empty_typeEbEEZZNS1_14partition_implILS8_3ELb0ES6_jNS0_17counting_iteratorIjlEEPS9_SE_NS0_5tupleIJPjSE_EEENSF_IJSE_SE_EEES9_SG_JZNS1_25segmented_radix_sort_implINS0_14default_configELb1EPKbPbPKlPlN2at6native12_GLOBAL__N_18offset_tEEE10hipError_tPvRmT1_PNSt15iterator_traitsISY_E10value_typeET2_T3_PNSZ_IS14_E10value_typeET4_jRbjT5_S1A_jjP12ihipStream_tbEUljE_EEESV_SW_SX_S14_S18_S1A_T6_T7_T9_mT8_S1C_bDpT10_ENKUlT_T0_E_clISt17integral_constantIbLb0EES1O_IbLb1EEEEDaS1K_S1L_EUlS1K_E_NS1_11comp_targetILNS1_3genE4ELNS1_11target_archE910ELNS1_3gpuE8ELNS1_3repE0EEENS1_30default_config_static_selectorELNS0_4arch9wavefront6targetE1EEEvSY_
		.amdhsa_group_segment_fixed_size 13324
		.amdhsa_private_segment_fixed_size 0
		.amdhsa_kernarg_size 152
		.amdhsa_user_sgpr_count 6
		.amdhsa_user_sgpr_private_segment_buffer 1
		.amdhsa_user_sgpr_dispatch_ptr 0
		.amdhsa_user_sgpr_queue_ptr 0
		.amdhsa_user_sgpr_kernarg_segment_ptr 1
		.amdhsa_user_sgpr_dispatch_id 0
		.amdhsa_user_sgpr_flat_scratch_init 0
		.amdhsa_user_sgpr_kernarg_preload_length 0
		.amdhsa_user_sgpr_kernarg_preload_offset 0
		.amdhsa_user_sgpr_private_segment_size 0
		.amdhsa_uses_dynamic_stack 0
		.amdhsa_system_sgpr_private_segment_wavefront_offset 0
		.amdhsa_system_sgpr_workgroup_id_x 1
		.amdhsa_system_sgpr_workgroup_id_y 0
		.amdhsa_system_sgpr_workgroup_id_z 0
		.amdhsa_system_sgpr_workgroup_info 0
		.amdhsa_system_vgpr_workitem_id 0
		.amdhsa_next_free_vgpr 64
		.amdhsa_next_free_sgpr 44
		.amdhsa_accum_offset 64
		.amdhsa_reserve_vcc 1
		.amdhsa_reserve_flat_scratch 0
		.amdhsa_float_round_mode_32 0
		.amdhsa_float_round_mode_16_64 0
		.amdhsa_float_denorm_mode_32 3
		.amdhsa_float_denorm_mode_16_64 3
		.amdhsa_dx10_clamp 1
		.amdhsa_ieee_mode 1
		.amdhsa_fp16_overflow 0
		.amdhsa_tg_split 0
		.amdhsa_exception_fp_ieee_invalid_op 0
		.amdhsa_exception_fp_denorm_src 0
		.amdhsa_exception_fp_ieee_div_zero 0
		.amdhsa_exception_fp_ieee_overflow 0
		.amdhsa_exception_fp_ieee_underflow 0
		.amdhsa_exception_fp_ieee_inexact 0
		.amdhsa_exception_int_div_zero 0
	.end_amdhsa_kernel
	.section	.text._ZN7rocprim17ROCPRIM_400000_NS6detail17trampoline_kernelINS0_13select_configILj256ELj13ELNS0_17block_load_methodE3ELS4_3ELS4_3ELNS0_20block_scan_algorithmE0ELj4294967295EEENS1_25partition_config_selectorILNS1_17partition_subalgoE3EjNS0_10empty_typeEbEEZZNS1_14partition_implILS8_3ELb0ES6_jNS0_17counting_iteratorIjlEEPS9_SE_NS0_5tupleIJPjSE_EEENSF_IJSE_SE_EEES9_SG_JZNS1_25segmented_radix_sort_implINS0_14default_configELb1EPKbPbPKlPlN2at6native12_GLOBAL__N_18offset_tEEE10hipError_tPvRmT1_PNSt15iterator_traitsISY_E10value_typeET2_T3_PNSZ_IS14_E10value_typeET4_jRbjT5_S1A_jjP12ihipStream_tbEUljE_EEESV_SW_SX_S14_S18_S1A_T6_T7_T9_mT8_S1C_bDpT10_ENKUlT_T0_E_clISt17integral_constantIbLb0EES1O_IbLb1EEEEDaS1K_S1L_EUlS1K_E_NS1_11comp_targetILNS1_3genE4ELNS1_11target_archE910ELNS1_3gpuE8ELNS1_3repE0EEENS1_30default_config_static_selectorELNS0_4arch9wavefront6targetE1EEEvSY_,"axG",@progbits,_ZN7rocprim17ROCPRIM_400000_NS6detail17trampoline_kernelINS0_13select_configILj256ELj13ELNS0_17block_load_methodE3ELS4_3ELS4_3ELNS0_20block_scan_algorithmE0ELj4294967295EEENS1_25partition_config_selectorILNS1_17partition_subalgoE3EjNS0_10empty_typeEbEEZZNS1_14partition_implILS8_3ELb0ES6_jNS0_17counting_iteratorIjlEEPS9_SE_NS0_5tupleIJPjSE_EEENSF_IJSE_SE_EEES9_SG_JZNS1_25segmented_radix_sort_implINS0_14default_configELb1EPKbPbPKlPlN2at6native12_GLOBAL__N_18offset_tEEE10hipError_tPvRmT1_PNSt15iterator_traitsISY_E10value_typeET2_T3_PNSZ_IS14_E10value_typeET4_jRbjT5_S1A_jjP12ihipStream_tbEUljE_EEESV_SW_SX_S14_S18_S1A_T6_T7_T9_mT8_S1C_bDpT10_ENKUlT_T0_E_clISt17integral_constantIbLb0EES1O_IbLb1EEEEDaS1K_S1L_EUlS1K_E_NS1_11comp_targetILNS1_3genE4ELNS1_11target_archE910ELNS1_3gpuE8ELNS1_3repE0EEENS1_30default_config_static_selectorELNS0_4arch9wavefront6targetE1EEEvSY_,comdat
.Lfunc_end1524:
	.size	_ZN7rocprim17ROCPRIM_400000_NS6detail17trampoline_kernelINS0_13select_configILj256ELj13ELNS0_17block_load_methodE3ELS4_3ELS4_3ELNS0_20block_scan_algorithmE0ELj4294967295EEENS1_25partition_config_selectorILNS1_17partition_subalgoE3EjNS0_10empty_typeEbEEZZNS1_14partition_implILS8_3ELb0ES6_jNS0_17counting_iteratorIjlEEPS9_SE_NS0_5tupleIJPjSE_EEENSF_IJSE_SE_EEES9_SG_JZNS1_25segmented_radix_sort_implINS0_14default_configELb1EPKbPbPKlPlN2at6native12_GLOBAL__N_18offset_tEEE10hipError_tPvRmT1_PNSt15iterator_traitsISY_E10value_typeET2_T3_PNSZ_IS14_E10value_typeET4_jRbjT5_S1A_jjP12ihipStream_tbEUljE_EEESV_SW_SX_S14_S18_S1A_T6_T7_T9_mT8_S1C_bDpT10_ENKUlT_T0_E_clISt17integral_constantIbLb0EES1O_IbLb1EEEEDaS1K_S1L_EUlS1K_E_NS1_11comp_targetILNS1_3genE4ELNS1_11target_archE910ELNS1_3gpuE8ELNS1_3repE0EEENS1_30default_config_static_selectorELNS0_4arch9wavefront6targetE1EEEvSY_, .Lfunc_end1524-_ZN7rocprim17ROCPRIM_400000_NS6detail17trampoline_kernelINS0_13select_configILj256ELj13ELNS0_17block_load_methodE3ELS4_3ELS4_3ELNS0_20block_scan_algorithmE0ELj4294967295EEENS1_25partition_config_selectorILNS1_17partition_subalgoE3EjNS0_10empty_typeEbEEZZNS1_14partition_implILS8_3ELb0ES6_jNS0_17counting_iteratorIjlEEPS9_SE_NS0_5tupleIJPjSE_EEENSF_IJSE_SE_EEES9_SG_JZNS1_25segmented_radix_sort_implINS0_14default_configELb1EPKbPbPKlPlN2at6native12_GLOBAL__N_18offset_tEEE10hipError_tPvRmT1_PNSt15iterator_traitsISY_E10value_typeET2_T3_PNSZ_IS14_E10value_typeET4_jRbjT5_S1A_jjP12ihipStream_tbEUljE_EEESV_SW_SX_S14_S18_S1A_T6_T7_T9_mT8_S1C_bDpT10_ENKUlT_T0_E_clISt17integral_constantIbLb0EES1O_IbLb1EEEEDaS1K_S1L_EUlS1K_E_NS1_11comp_targetILNS1_3genE4ELNS1_11target_archE910ELNS1_3gpuE8ELNS1_3repE0EEENS1_30default_config_static_selectorELNS0_4arch9wavefront6targetE1EEEvSY_
                                        ; -- End function
	.section	.AMDGPU.csdata,"",@progbits
; Kernel info:
; codeLenInByte = 7816
; NumSgprs: 48
; NumVgprs: 64
; NumAgprs: 0
; TotalNumVgprs: 64
; ScratchSize: 0
; MemoryBound: 0
; FloatMode: 240
; IeeeMode: 1
; LDSByteSize: 13324 bytes/workgroup (compile time only)
; SGPRBlocks: 5
; VGPRBlocks: 7
; NumSGPRsForWavesPerEU: 48
; NumVGPRsForWavesPerEU: 64
; AccumOffset: 64
; Occupancy: 4
; WaveLimiterHint : 0
; COMPUTE_PGM_RSRC2:SCRATCH_EN: 0
; COMPUTE_PGM_RSRC2:USER_SGPR: 6
; COMPUTE_PGM_RSRC2:TRAP_HANDLER: 0
; COMPUTE_PGM_RSRC2:TGID_X_EN: 1
; COMPUTE_PGM_RSRC2:TGID_Y_EN: 0
; COMPUTE_PGM_RSRC2:TGID_Z_EN: 0
; COMPUTE_PGM_RSRC2:TIDIG_COMP_CNT: 0
; COMPUTE_PGM_RSRC3_GFX90A:ACCUM_OFFSET: 15
; COMPUTE_PGM_RSRC3_GFX90A:TG_SPLIT: 0
	.section	.text._ZN7rocprim17ROCPRIM_400000_NS6detail17trampoline_kernelINS0_13select_configILj256ELj13ELNS0_17block_load_methodE3ELS4_3ELS4_3ELNS0_20block_scan_algorithmE0ELj4294967295EEENS1_25partition_config_selectorILNS1_17partition_subalgoE3EjNS0_10empty_typeEbEEZZNS1_14partition_implILS8_3ELb0ES6_jNS0_17counting_iteratorIjlEEPS9_SE_NS0_5tupleIJPjSE_EEENSF_IJSE_SE_EEES9_SG_JZNS1_25segmented_radix_sort_implINS0_14default_configELb1EPKbPbPKlPlN2at6native12_GLOBAL__N_18offset_tEEE10hipError_tPvRmT1_PNSt15iterator_traitsISY_E10value_typeET2_T3_PNSZ_IS14_E10value_typeET4_jRbjT5_S1A_jjP12ihipStream_tbEUljE_EEESV_SW_SX_S14_S18_S1A_T6_T7_T9_mT8_S1C_bDpT10_ENKUlT_T0_E_clISt17integral_constantIbLb0EES1O_IbLb1EEEEDaS1K_S1L_EUlS1K_E_NS1_11comp_targetILNS1_3genE3ELNS1_11target_archE908ELNS1_3gpuE7ELNS1_3repE0EEENS1_30default_config_static_selectorELNS0_4arch9wavefront6targetE1EEEvSY_,"axG",@progbits,_ZN7rocprim17ROCPRIM_400000_NS6detail17trampoline_kernelINS0_13select_configILj256ELj13ELNS0_17block_load_methodE3ELS4_3ELS4_3ELNS0_20block_scan_algorithmE0ELj4294967295EEENS1_25partition_config_selectorILNS1_17partition_subalgoE3EjNS0_10empty_typeEbEEZZNS1_14partition_implILS8_3ELb0ES6_jNS0_17counting_iteratorIjlEEPS9_SE_NS0_5tupleIJPjSE_EEENSF_IJSE_SE_EEES9_SG_JZNS1_25segmented_radix_sort_implINS0_14default_configELb1EPKbPbPKlPlN2at6native12_GLOBAL__N_18offset_tEEE10hipError_tPvRmT1_PNSt15iterator_traitsISY_E10value_typeET2_T3_PNSZ_IS14_E10value_typeET4_jRbjT5_S1A_jjP12ihipStream_tbEUljE_EEESV_SW_SX_S14_S18_S1A_T6_T7_T9_mT8_S1C_bDpT10_ENKUlT_T0_E_clISt17integral_constantIbLb0EES1O_IbLb1EEEEDaS1K_S1L_EUlS1K_E_NS1_11comp_targetILNS1_3genE3ELNS1_11target_archE908ELNS1_3gpuE7ELNS1_3repE0EEENS1_30default_config_static_selectorELNS0_4arch9wavefront6targetE1EEEvSY_,comdat
	.globl	_ZN7rocprim17ROCPRIM_400000_NS6detail17trampoline_kernelINS0_13select_configILj256ELj13ELNS0_17block_load_methodE3ELS4_3ELS4_3ELNS0_20block_scan_algorithmE0ELj4294967295EEENS1_25partition_config_selectorILNS1_17partition_subalgoE3EjNS0_10empty_typeEbEEZZNS1_14partition_implILS8_3ELb0ES6_jNS0_17counting_iteratorIjlEEPS9_SE_NS0_5tupleIJPjSE_EEENSF_IJSE_SE_EEES9_SG_JZNS1_25segmented_radix_sort_implINS0_14default_configELb1EPKbPbPKlPlN2at6native12_GLOBAL__N_18offset_tEEE10hipError_tPvRmT1_PNSt15iterator_traitsISY_E10value_typeET2_T3_PNSZ_IS14_E10value_typeET4_jRbjT5_S1A_jjP12ihipStream_tbEUljE_EEESV_SW_SX_S14_S18_S1A_T6_T7_T9_mT8_S1C_bDpT10_ENKUlT_T0_E_clISt17integral_constantIbLb0EES1O_IbLb1EEEEDaS1K_S1L_EUlS1K_E_NS1_11comp_targetILNS1_3genE3ELNS1_11target_archE908ELNS1_3gpuE7ELNS1_3repE0EEENS1_30default_config_static_selectorELNS0_4arch9wavefront6targetE1EEEvSY_ ; -- Begin function _ZN7rocprim17ROCPRIM_400000_NS6detail17trampoline_kernelINS0_13select_configILj256ELj13ELNS0_17block_load_methodE3ELS4_3ELS4_3ELNS0_20block_scan_algorithmE0ELj4294967295EEENS1_25partition_config_selectorILNS1_17partition_subalgoE3EjNS0_10empty_typeEbEEZZNS1_14partition_implILS8_3ELb0ES6_jNS0_17counting_iteratorIjlEEPS9_SE_NS0_5tupleIJPjSE_EEENSF_IJSE_SE_EEES9_SG_JZNS1_25segmented_radix_sort_implINS0_14default_configELb1EPKbPbPKlPlN2at6native12_GLOBAL__N_18offset_tEEE10hipError_tPvRmT1_PNSt15iterator_traitsISY_E10value_typeET2_T3_PNSZ_IS14_E10value_typeET4_jRbjT5_S1A_jjP12ihipStream_tbEUljE_EEESV_SW_SX_S14_S18_S1A_T6_T7_T9_mT8_S1C_bDpT10_ENKUlT_T0_E_clISt17integral_constantIbLb0EES1O_IbLb1EEEEDaS1K_S1L_EUlS1K_E_NS1_11comp_targetILNS1_3genE3ELNS1_11target_archE908ELNS1_3gpuE7ELNS1_3repE0EEENS1_30default_config_static_selectorELNS0_4arch9wavefront6targetE1EEEvSY_
	.p2align	8
	.type	_ZN7rocprim17ROCPRIM_400000_NS6detail17trampoline_kernelINS0_13select_configILj256ELj13ELNS0_17block_load_methodE3ELS4_3ELS4_3ELNS0_20block_scan_algorithmE0ELj4294967295EEENS1_25partition_config_selectorILNS1_17partition_subalgoE3EjNS0_10empty_typeEbEEZZNS1_14partition_implILS8_3ELb0ES6_jNS0_17counting_iteratorIjlEEPS9_SE_NS0_5tupleIJPjSE_EEENSF_IJSE_SE_EEES9_SG_JZNS1_25segmented_radix_sort_implINS0_14default_configELb1EPKbPbPKlPlN2at6native12_GLOBAL__N_18offset_tEEE10hipError_tPvRmT1_PNSt15iterator_traitsISY_E10value_typeET2_T3_PNSZ_IS14_E10value_typeET4_jRbjT5_S1A_jjP12ihipStream_tbEUljE_EEESV_SW_SX_S14_S18_S1A_T6_T7_T9_mT8_S1C_bDpT10_ENKUlT_T0_E_clISt17integral_constantIbLb0EES1O_IbLb1EEEEDaS1K_S1L_EUlS1K_E_NS1_11comp_targetILNS1_3genE3ELNS1_11target_archE908ELNS1_3gpuE7ELNS1_3repE0EEENS1_30default_config_static_selectorELNS0_4arch9wavefront6targetE1EEEvSY_,@function
_ZN7rocprim17ROCPRIM_400000_NS6detail17trampoline_kernelINS0_13select_configILj256ELj13ELNS0_17block_load_methodE3ELS4_3ELS4_3ELNS0_20block_scan_algorithmE0ELj4294967295EEENS1_25partition_config_selectorILNS1_17partition_subalgoE3EjNS0_10empty_typeEbEEZZNS1_14partition_implILS8_3ELb0ES6_jNS0_17counting_iteratorIjlEEPS9_SE_NS0_5tupleIJPjSE_EEENSF_IJSE_SE_EEES9_SG_JZNS1_25segmented_radix_sort_implINS0_14default_configELb1EPKbPbPKlPlN2at6native12_GLOBAL__N_18offset_tEEE10hipError_tPvRmT1_PNSt15iterator_traitsISY_E10value_typeET2_T3_PNSZ_IS14_E10value_typeET4_jRbjT5_S1A_jjP12ihipStream_tbEUljE_EEESV_SW_SX_S14_S18_S1A_T6_T7_T9_mT8_S1C_bDpT10_ENKUlT_T0_E_clISt17integral_constantIbLb0EES1O_IbLb1EEEEDaS1K_S1L_EUlS1K_E_NS1_11comp_targetILNS1_3genE3ELNS1_11target_archE908ELNS1_3gpuE7ELNS1_3repE0EEENS1_30default_config_static_selectorELNS0_4arch9wavefront6targetE1EEEvSY_: ; @_ZN7rocprim17ROCPRIM_400000_NS6detail17trampoline_kernelINS0_13select_configILj256ELj13ELNS0_17block_load_methodE3ELS4_3ELS4_3ELNS0_20block_scan_algorithmE0ELj4294967295EEENS1_25partition_config_selectorILNS1_17partition_subalgoE3EjNS0_10empty_typeEbEEZZNS1_14partition_implILS8_3ELb0ES6_jNS0_17counting_iteratorIjlEEPS9_SE_NS0_5tupleIJPjSE_EEENSF_IJSE_SE_EEES9_SG_JZNS1_25segmented_radix_sort_implINS0_14default_configELb1EPKbPbPKlPlN2at6native12_GLOBAL__N_18offset_tEEE10hipError_tPvRmT1_PNSt15iterator_traitsISY_E10value_typeET2_T3_PNSZ_IS14_E10value_typeET4_jRbjT5_S1A_jjP12ihipStream_tbEUljE_EEESV_SW_SX_S14_S18_S1A_T6_T7_T9_mT8_S1C_bDpT10_ENKUlT_T0_E_clISt17integral_constantIbLb0EES1O_IbLb1EEEEDaS1K_S1L_EUlS1K_E_NS1_11comp_targetILNS1_3genE3ELNS1_11target_archE908ELNS1_3gpuE7ELNS1_3repE0EEENS1_30default_config_static_selectorELNS0_4arch9wavefront6targetE1EEEvSY_
; %bb.0:
	.section	.rodata,"a",@progbits
	.p2align	6, 0x0
	.amdhsa_kernel _ZN7rocprim17ROCPRIM_400000_NS6detail17trampoline_kernelINS0_13select_configILj256ELj13ELNS0_17block_load_methodE3ELS4_3ELS4_3ELNS0_20block_scan_algorithmE0ELj4294967295EEENS1_25partition_config_selectorILNS1_17partition_subalgoE3EjNS0_10empty_typeEbEEZZNS1_14partition_implILS8_3ELb0ES6_jNS0_17counting_iteratorIjlEEPS9_SE_NS0_5tupleIJPjSE_EEENSF_IJSE_SE_EEES9_SG_JZNS1_25segmented_radix_sort_implINS0_14default_configELb1EPKbPbPKlPlN2at6native12_GLOBAL__N_18offset_tEEE10hipError_tPvRmT1_PNSt15iterator_traitsISY_E10value_typeET2_T3_PNSZ_IS14_E10value_typeET4_jRbjT5_S1A_jjP12ihipStream_tbEUljE_EEESV_SW_SX_S14_S18_S1A_T6_T7_T9_mT8_S1C_bDpT10_ENKUlT_T0_E_clISt17integral_constantIbLb0EES1O_IbLb1EEEEDaS1K_S1L_EUlS1K_E_NS1_11comp_targetILNS1_3genE3ELNS1_11target_archE908ELNS1_3gpuE7ELNS1_3repE0EEENS1_30default_config_static_selectorELNS0_4arch9wavefront6targetE1EEEvSY_
		.amdhsa_group_segment_fixed_size 0
		.amdhsa_private_segment_fixed_size 0
		.amdhsa_kernarg_size 152
		.amdhsa_user_sgpr_count 6
		.amdhsa_user_sgpr_private_segment_buffer 1
		.amdhsa_user_sgpr_dispatch_ptr 0
		.amdhsa_user_sgpr_queue_ptr 0
		.amdhsa_user_sgpr_kernarg_segment_ptr 1
		.amdhsa_user_sgpr_dispatch_id 0
		.amdhsa_user_sgpr_flat_scratch_init 0
		.amdhsa_user_sgpr_kernarg_preload_length 0
		.amdhsa_user_sgpr_kernarg_preload_offset 0
		.amdhsa_user_sgpr_private_segment_size 0
		.amdhsa_uses_dynamic_stack 0
		.amdhsa_system_sgpr_private_segment_wavefront_offset 0
		.amdhsa_system_sgpr_workgroup_id_x 1
		.amdhsa_system_sgpr_workgroup_id_y 0
		.amdhsa_system_sgpr_workgroup_id_z 0
		.amdhsa_system_sgpr_workgroup_info 0
		.amdhsa_system_vgpr_workitem_id 0
		.amdhsa_next_free_vgpr 1
		.amdhsa_next_free_sgpr 0
		.amdhsa_accum_offset 4
		.amdhsa_reserve_vcc 0
		.amdhsa_reserve_flat_scratch 0
		.amdhsa_float_round_mode_32 0
		.amdhsa_float_round_mode_16_64 0
		.amdhsa_float_denorm_mode_32 3
		.amdhsa_float_denorm_mode_16_64 3
		.amdhsa_dx10_clamp 1
		.amdhsa_ieee_mode 1
		.amdhsa_fp16_overflow 0
		.amdhsa_tg_split 0
		.amdhsa_exception_fp_ieee_invalid_op 0
		.amdhsa_exception_fp_denorm_src 0
		.amdhsa_exception_fp_ieee_div_zero 0
		.amdhsa_exception_fp_ieee_overflow 0
		.amdhsa_exception_fp_ieee_underflow 0
		.amdhsa_exception_fp_ieee_inexact 0
		.amdhsa_exception_int_div_zero 0
	.end_amdhsa_kernel
	.section	.text._ZN7rocprim17ROCPRIM_400000_NS6detail17trampoline_kernelINS0_13select_configILj256ELj13ELNS0_17block_load_methodE3ELS4_3ELS4_3ELNS0_20block_scan_algorithmE0ELj4294967295EEENS1_25partition_config_selectorILNS1_17partition_subalgoE3EjNS0_10empty_typeEbEEZZNS1_14partition_implILS8_3ELb0ES6_jNS0_17counting_iteratorIjlEEPS9_SE_NS0_5tupleIJPjSE_EEENSF_IJSE_SE_EEES9_SG_JZNS1_25segmented_radix_sort_implINS0_14default_configELb1EPKbPbPKlPlN2at6native12_GLOBAL__N_18offset_tEEE10hipError_tPvRmT1_PNSt15iterator_traitsISY_E10value_typeET2_T3_PNSZ_IS14_E10value_typeET4_jRbjT5_S1A_jjP12ihipStream_tbEUljE_EEESV_SW_SX_S14_S18_S1A_T6_T7_T9_mT8_S1C_bDpT10_ENKUlT_T0_E_clISt17integral_constantIbLb0EES1O_IbLb1EEEEDaS1K_S1L_EUlS1K_E_NS1_11comp_targetILNS1_3genE3ELNS1_11target_archE908ELNS1_3gpuE7ELNS1_3repE0EEENS1_30default_config_static_selectorELNS0_4arch9wavefront6targetE1EEEvSY_,"axG",@progbits,_ZN7rocprim17ROCPRIM_400000_NS6detail17trampoline_kernelINS0_13select_configILj256ELj13ELNS0_17block_load_methodE3ELS4_3ELS4_3ELNS0_20block_scan_algorithmE0ELj4294967295EEENS1_25partition_config_selectorILNS1_17partition_subalgoE3EjNS0_10empty_typeEbEEZZNS1_14partition_implILS8_3ELb0ES6_jNS0_17counting_iteratorIjlEEPS9_SE_NS0_5tupleIJPjSE_EEENSF_IJSE_SE_EEES9_SG_JZNS1_25segmented_radix_sort_implINS0_14default_configELb1EPKbPbPKlPlN2at6native12_GLOBAL__N_18offset_tEEE10hipError_tPvRmT1_PNSt15iterator_traitsISY_E10value_typeET2_T3_PNSZ_IS14_E10value_typeET4_jRbjT5_S1A_jjP12ihipStream_tbEUljE_EEESV_SW_SX_S14_S18_S1A_T6_T7_T9_mT8_S1C_bDpT10_ENKUlT_T0_E_clISt17integral_constantIbLb0EES1O_IbLb1EEEEDaS1K_S1L_EUlS1K_E_NS1_11comp_targetILNS1_3genE3ELNS1_11target_archE908ELNS1_3gpuE7ELNS1_3repE0EEENS1_30default_config_static_selectorELNS0_4arch9wavefront6targetE1EEEvSY_,comdat
.Lfunc_end1525:
	.size	_ZN7rocprim17ROCPRIM_400000_NS6detail17trampoline_kernelINS0_13select_configILj256ELj13ELNS0_17block_load_methodE3ELS4_3ELS4_3ELNS0_20block_scan_algorithmE0ELj4294967295EEENS1_25partition_config_selectorILNS1_17partition_subalgoE3EjNS0_10empty_typeEbEEZZNS1_14partition_implILS8_3ELb0ES6_jNS0_17counting_iteratorIjlEEPS9_SE_NS0_5tupleIJPjSE_EEENSF_IJSE_SE_EEES9_SG_JZNS1_25segmented_radix_sort_implINS0_14default_configELb1EPKbPbPKlPlN2at6native12_GLOBAL__N_18offset_tEEE10hipError_tPvRmT1_PNSt15iterator_traitsISY_E10value_typeET2_T3_PNSZ_IS14_E10value_typeET4_jRbjT5_S1A_jjP12ihipStream_tbEUljE_EEESV_SW_SX_S14_S18_S1A_T6_T7_T9_mT8_S1C_bDpT10_ENKUlT_T0_E_clISt17integral_constantIbLb0EES1O_IbLb1EEEEDaS1K_S1L_EUlS1K_E_NS1_11comp_targetILNS1_3genE3ELNS1_11target_archE908ELNS1_3gpuE7ELNS1_3repE0EEENS1_30default_config_static_selectorELNS0_4arch9wavefront6targetE1EEEvSY_, .Lfunc_end1525-_ZN7rocprim17ROCPRIM_400000_NS6detail17trampoline_kernelINS0_13select_configILj256ELj13ELNS0_17block_load_methodE3ELS4_3ELS4_3ELNS0_20block_scan_algorithmE0ELj4294967295EEENS1_25partition_config_selectorILNS1_17partition_subalgoE3EjNS0_10empty_typeEbEEZZNS1_14partition_implILS8_3ELb0ES6_jNS0_17counting_iteratorIjlEEPS9_SE_NS0_5tupleIJPjSE_EEENSF_IJSE_SE_EEES9_SG_JZNS1_25segmented_radix_sort_implINS0_14default_configELb1EPKbPbPKlPlN2at6native12_GLOBAL__N_18offset_tEEE10hipError_tPvRmT1_PNSt15iterator_traitsISY_E10value_typeET2_T3_PNSZ_IS14_E10value_typeET4_jRbjT5_S1A_jjP12ihipStream_tbEUljE_EEESV_SW_SX_S14_S18_S1A_T6_T7_T9_mT8_S1C_bDpT10_ENKUlT_T0_E_clISt17integral_constantIbLb0EES1O_IbLb1EEEEDaS1K_S1L_EUlS1K_E_NS1_11comp_targetILNS1_3genE3ELNS1_11target_archE908ELNS1_3gpuE7ELNS1_3repE0EEENS1_30default_config_static_selectorELNS0_4arch9wavefront6targetE1EEEvSY_
                                        ; -- End function
	.section	.AMDGPU.csdata,"",@progbits
; Kernel info:
; codeLenInByte = 0
; NumSgprs: 4
; NumVgprs: 0
; NumAgprs: 0
; TotalNumVgprs: 0
; ScratchSize: 0
; MemoryBound: 0
; FloatMode: 240
; IeeeMode: 1
; LDSByteSize: 0 bytes/workgroup (compile time only)
; SGPRBlocks: 0
; VGPRBlocks: 0
; NumSGPRsForWavesPerEU: 4
; NumVGPRsForWavesPerEU: 1
; AccumOffset: 4
; Occupancy: 8
; WaveLimiterHint : 0
; COMPUTE_PGM_RSRC2:SCRATCH_EN: 0
; COMPUTE_PGM_RSRC2:USER_SGPR: 6
; COMPUTE_PGM_RSRC2:TRAP_HANDLER: 0
; COMPUTE_PGM_RSRC2:TGID_X_EN: 1
; COMPUTE_PGM_RSRC2:TGID_Y_EN: 0
; COMPUTE_PGM_RSRC2:TGID_Z_EN: 0
; COMPUTE_PGM_RSRC2:TIDIG_COMP_CNT: 0
; COMPUTE_PGM_RSRC3_GFX90A:ACCUM_OFFSET: 0
; COMPUTE_PGM_RSRC3_GFX90A:TG_SPLIT: 0
	.section	.text._ZN7rocprim17ROCPRIM_400000_NS6detail17trampoline_kernelINS0_13select_configILj256ELj13ELNS0_17block_load_methodE3ELS4_3ELS4_3ELNS0_20block_scan_algorithmE0ELj4294967295EEENS1_25partition_config_selectorILNS1_17partition_subalgoE3EjNS0_10empty_typeEbEEZZNS1_14partition_implILS8_3ELb0ES6_jNS0_17counting_iteratorIjlEEPS9_SE_NS0_5tupleIJPjSE_EEENSF_IJSE_SE_EEES9_SG_JZNS1_25segmented_radix_sort_implINS0_14default_configELb1EPKbPbPKlPlN2at6native12_GLOBAL__N_18offset_tEEE10hipError_tPvRmT1_PNSt15iterator_traitsISY_E10value_typeET2_T3_PNSZ_IS14_E10value_typeET4_jRbjT5_S1A_jjP12ihipStream_tbEUljE_EEESV_SW_SX_S14_S18_S1A_T6_T7_T9_mT8_S1C_bDpT10_ENKUlT_T0_E_clISt17integral_constantIbLb0EES1O_IbLb1EEEEDaS1K_S1L_EUlS1K_E_NS1_11comp_targetILNS1_3genE2ELNS1_11target_archE906ELNS1_3gpuE6ELNS1_3repE0EEENS1_30default_config_static_selectorELNS0_4arch9wavefront6targetE1EEEvSY_,"axG",@progbits,_ZN7rocprim17ROCPRIM_400000_NS6detail17trampoline_kernelINS0_13select_configILj256ELj13ELNS0_17block_load_methodE3ELS4_3ELS4_3ELNS0_20block_scan_algorithmE0ELj4294967295EEENS1_25partition_config_selectorILNS1_17partition_subalgoE3EjNS0_10empty_typeEbEEZZNS1_14partition_implILS8_3ELb0ES6_jNS0_17counting_iteratorIjlEEPS9_SE_NS0_5tupleIJPjSE_EEENSF_IJSE_SE_EEES9_SG_JZNS1_25segmented_radix_sort_implINS0_14default_configELb1EPKbPbPKlPlN2at6native12_GLOBAL__N_18offset_tEEE10hipError_tPvRmT1_PNSt15iterator_traitsISY_E10value_typeET2_T3_PNSZ_IS14_E10value_typeET4_jRbjT5_S1A_jjP12ihipStream_tbEUljE_EEESV_SW_SX_S14_S18_S1A_T6_T7_T9_mT8_S1C_bDpT10_ENKUlT_T0_E_clISt17integral_constantIbLb0EES1O_IbLb1EEEEDaS1K_S1L_EUlS1K_E_NS1_11comp_targetILNS1_3genE2ELNS1_11target_archE906ELNS1_3gpuE6ELNS1_3repE0EEENS1_30default_config_static_selectorELNS0_4arch9wavefront6targetE1EEEvSY_,comdat
	.globl	_ZN7rocprim17ROCPRIM_400000_NS6detail17trampoline_kernelINS0_13select_configILj256ELj13ELNS0_17block_load_methodE3ELS4_3ELS4_3ELNS0_20block_scan_algorithmE0ELj4294967295EEENS1_25partition_config_selectorILNS1_17partition_subalgoE3EjNS0_10empty_typeEbEEZZNS1_14partition_implILS8_3ELb0ES6_jNS0_17counting_iteratorIjlEEPS9_SE_NS0_5tupleIJPjSE_EEENSF_IJSE_SE_EEES9_SG_JZNS1_25segmented_radix_sort_implINS0_14default_configELb1EPKbPbPKlPlN2at6native12_GLOBAL__N_18offset_tEEE10hipError_tPvRmT1_PNSt15iterator_traitsISY_E10value_typeET2_T3_PNSZ_IS14_E10value_typeET4_jRbjT5_S1A_jjP12ihipStream_tbEUljE_EEESV_SW_SX_S14_S18_S1A_T6_T7_T9_mT8_S1C_bDpT10_ENKUlT_T0_E_clISt17integral_constantIbLb0EES1O_IbLb1EEEEDaS1K_S1L_EUlS1K_E_NS1_11comp_targetILNS1_3genE2ELNS1_11target_archE906ELNS1_3gpuE6ELNS1_3repE0EEENS1_30default_config_static_selectorELNS0_4arch9wavefront6targetE1EEEvSY_ ; -- Begin function _ZN7rocprim17ROCPRIM_400000_NS6detail17trampoline_kernelINS0_13select_configILj256ELj13ELNS0_17block_load_methodE3ELS4_3ELS4_3ELNS0_20block_scan_algorithmE0ELj4294967295EEENS1_25partition_config_selectorILNS1_17partition_subalgoE3EjNS0_10empty_typeEbEEZZNS1_14partition_implILS8_3ELb0ES6_jNS0_17counting_iteratorIjlEEPS9_SE_NS0_5tupleIJPjSE_EEENSF_IJSE_SE_EEES9_SG_JZNS1_25segmented_radix_sort_implINS0_14default_configELb1EPKbPbPKlPlN2at6native12_GLOBAL__N_18offset_tEEE10hipError_tPvRmT1_PNSt15iterator_traitsISY_E10value_typeET2_T3_PNSZ_IS14_E10value_typeET4_jRbjT5_S1A_jjP12ihipStream_tbEUljE_EEESV_SW_SX_S14_S18_S1A_T6_T7_T9_mT8_S1C_bDpT10_ENKUlT_T0_E_clISt17integral_constantIbLb0EES1O_IbLb1EEEEDaS1K_S1L_EUlS1K_E_NS1_11comp_targetILNS1_3genE2ELNS1_11target_archE906ELNS1_3gpuE6ELNS1_3repE0EEENS1_30default_config_static_selectorELNS0_4arch9wavefront6targetE1EEEvSY_
	.p2align	8
	.type	_ZN7rocprim17ROCPRIM_400000_NS6detail17trampoline_kernelINS0_13select_configILj256ELj13ELNS0_17block_load_methodE3ELS4_3ELS4_3ELNS0_20block_scan_algorithmE0ELj4294967295EEENS1_25partition_config_selectorILNS1_17partition_subalgoE3EjNS0_10empty_typeEbEEZZNS1_14partition_implILS8_3ELb0ES6_jNS0_17counting_iteratorIjlEEPS9_SE_NS0_5tupleIJPjSE_EEENSF_IJSE_SE_EEES9_SG_JZNS1_25segmented_radix_sort_implINS0_14default_configELb1EPKbPbPKlPlN2at6native12_GLOBAL__N_18offset_tEEE10hipError_tPvRmT1_PNSt15iterator_traitsISY_E10value_typeET2_T3_PNSZ_IS14_E10value_typeET4_jRbjT5_S1A_jjP12ihipStream_tbEUljE_EEESV_SW_SX_S14_S18_S1A_T6_T7_T9_mT8_S1C_bDpT10_ENKUlT_T0_E_clISt17integral_constantIbLb0EES1O_IbLb1EEEEDaS1K_S1L_EUlS1K_E_NS1_11comp_targetILNS1_3genE2ELNS1_11target_archE906ELNS1_3gpuE6ELNS1_3repE0EEENS1_30default_config_static_selectorELNS0_4arch9wavefront6targetE1EEEvSY_,@function
_ZN7rocprim17ROCPRIM_400000_NS6detail17trampoline_kernelINS0_13select_configILj256ELj13ELNS0_17block_load_methodE3ELS4_3ELS4_3ELNS0_20block_scan_algorithmE0ELj4294967295EEENS1_25partition_config_selectorILNS1_17partition_subalgoE3EjNS0_10empty_typeEbEEZZNS1_14partition_implILS8_3ELb0ES6_jNS0_17counting_iteratorIjlEEPS9_SE_NS0_5tupleIJPjSE_EEENSF_IJSE_SE_EEES9_SG_JZNS1_25segmented_radix_sort_implINS0_14default_configELb1EPKbPbPKlPlN2at6native12_GLOBAL__N_18offset_tEEE10hipError_tPvRmT1_PNSt15iterator_traitsISY_E10value_typeET2_T3_PNSZ_IS14_E10value_typeET4_jRbjT5_S1A_jjP12ihipStream_tbEUljE_EEESV_SW_SX_S14_S18_S1A_T6_T7_T9_mT8_S1C_bDpT10_ENKUlT_T0_E_clISt17integral_constantIbLb0EES1O_IbLb1EEEEDaS1K_S1L_EUlS1K_E_NS1_11comp_targetILNS1_3genE2ELNS1_11target_archE906ELNS1_3gpuE6ELNS1_3repE0EEENS1_30default_config_static_selectorELNS0_4arch9wavefront6targetE1EEEvSY_: ; @_ZN7rocprim17ROCPRIM_400000_NS6detail17trampoline_kernelINS0_13select_configILj256ELj13ELNS0_17block_load_methodE3ELS4_3ELS4_3ELNS0_20block_scan_algorithmE0ELj4294967295EEENS1_25partition_config_selectorILNS1_17partition_subalgoE3EjNS0_10empty_typeEbEEZZNS1_14partition_implILS8_3ELb0ES6_jNS0_17counting_iteratorIjlEEPS9_SE_NS0_5tupleIJPjSE_EEENSF_IJSE_SE_EEES9_SG_JZNS1_25segmented_radix_sort_implINS0_14default_configELb1EPKbPbPKlPlN2at6native12_GLOBAL__N_18offset_tEEE10hipError_tPvRmT1_PNSt15iterator_traitsISY_E10value_typeET2_T3_PNSZ_IS14_E10value_typeET4_jRbjT5_S1A_jjP12ihipStream_tbEUljE_EEESV_SW_SX_S14_S18_S1A_T6_T7_T9_mT8_S1C_bDpT10_ENKUlT_T0_E_clISt17integral_constantIbLb0EES1O_IbLb1EEEEDaS1K_S1L_EUlS1K_E_NS1_11comp_targetILNS1_3genE2ELNS1_11target_archE906ELNS1_3gpuE6ELNS1_3repE0EEENS1_30default_config_static_selectorELNS0_4arch9wavefront6targetE1EEEvSY_
; %bb.0:
	.section	.rodata,"a",@progbits
	.p2align	6, 0x0
	.amdhsa_kernel _ZN7rocprim17ROCPRIM_400000_NS6detail17trampoline_kernelINS0_13select_configILj256ELj13ELNS0_17block_load_methodE3ELS4_3ELS4_3ELNS0_20block_scan_algorithmE0ELj4294967295EEENS1_25partition_config_selectorILNS1_17partition_subalgoE3EjNS0_10empty_typeEbEEZZNS1_14partition_implILS8_3ELb0ES6_jNS0_17counting_iteratorIjlEEPS9_SE_NS0_5tupleIJPjSE_EEENSF_IJSE_SE_EEES9_SG_JZNS1_25segmented_radix_sort_implINS0_14default_configELb1EPKbPbPKlPlN2at6native12_GLOBAL__N_18offset_tEEE10hipError_tPvRmT1_PNSt15iterator_traitsISY_E10value_typeET2_T3_PNSZ_IS14_E10value_typeET4_jRbjT5_S1A_jjP12ihipStream_tbEUljE_EEESV_SW_SX_S14_S18_S1A_T6_T7_T9_mT8_S1C_bDpT10_ENKUlT_T0_E_clISt17integral_constantIbLb0EES1O_IbLb1EEEEDaS1K_S1L_EUlS1K_E_NS1_11comp_targetILNS1_3genE2ELNS1_11target_archE906ELNS1_3gpuE6ELNS1_3repE0EEENS1_30default_config_static_selectorELNS0_4arch9wavefront6targetE1EEEvSY_
		.amdhsa_group_segment_fixed_size 0
		.amdhsa_private_segment_fixed_size 0
		.amdhsa_kernarg_size 152
		.amdhsa_user_sgpr_count 6
		.amdhsa_user_sgpr_private_segment_buffer 1
		.amdhsa_user_sgpr_dispatch_ptr 0
		.amdhsa_user_sgpr_queue_ptr 0
		.amdhsa_user_sgpr_kernarg_segment_ptr 1
		.amdhsa_user_sgpr_dispatch_id 0
		.amdhsa_user_sgpr_flat_scratch_init 0
		.amdhsa_user_sgpr_kernarg_preload_length 0
		.amdhsa_user_sgpr_kernarg_preload_offset 0
		.amdhsa_user_sgpr_private_segment_size 0
		.amdhsa_uses_dynamic_stack 0
		.amdhsa_system_sgpr_private_segment_wavefront_offset 0
		.amdhsa_system_sgpr_workgroup_id_x 1
		.amdhsa_system_sgpr_workgroup_id_y 0
		.amdhsa_system_sgpr_workgroup_id_z 0
		.amdhsa_system_sgpr_workgroup_info 0
		.amdhsa_system_vgpr_workitem_id 0
		.amdhsa_next_free_vgpr 1
		.amdhsa_next_free_sgpr 0
		.amdhsa_accum_offset 4
		.amdhsa_reserve_vcc 0
		.amdhsa_reserve_flat_scratch 0
		.amdhsa_float_round_mode_32 0
		.amdhsa_float_round_mode_16_64 0
		.amdhsa_float_denorm_mode_32 3
		.amdhsa_float_denorm_mode_16_64 3
		.amdhsa_dx10_clamp 1
		.amdhsa_ieee_mode 1
		.amdhsa_fp16_overflow 0
		.amdhsa_tg_split 0
		.amdhsa_exception_fp_ieee_invalid_op 0
		.amdhsa_exception_fp_denorm_src 0
		.amdhsa_exception_fp_ieee_div_zero 0
		.amdhsa_exception_fp_ieee_overflow 0
		.amdhsa_exception_fp_ieee_underflow 0
		.amdhsa_exception_fp_ieee_inexact 0
		.amdhsa_exception_int_div_zero 0
	.end_amdhsa_kernel
	.section	.text._ZN7rocprim17ROCPRIM_400000_NS6detail17trampoline_kernelINS0_13select_configILj256ELj13ELNS0_17block_load_methodE3ELS4_3ELS4_3ELNS0_20block_scan_algorithmE0ELj4294967295EEENS1_25partition_config_selectorILNS1_17partition_subalgoE3EjNS0_10empty_typeEbEEZZNS1_14partition_implILS8_3ELb0ES6_jNS0_17counting_iteratorIjlEEPS9_SE_NS0_5tupleIJPjSE_EEENSF_IJSE_SE_EEES9_SG_JZNS1_25segmented_radix_sort_implINS0_14default_configELb1EPKbPbPKlPlN2at6native12_GLOBAL__N_18offset_tEEE10hipError_tPvRmT1_PNSt15iterator_traitsISY_E10value_typeET2_T3_PNSZ_IS14_E10value_typeET4_jRbjT5_S1A_jjP12ihipStream_tbEUljE_EEESV_SW_SX_S14_S18_S1A_T6_T7_T9_mT8_S1C_bDpT10_ENKUlT_T0_E_clISt17integral_constantIbLb0EES1O_IbLb1EEEEDaS1K_S1L_EUlS1K_E_NS1_11comp_targetILNS1_3genE2ELNS1_11target_archE906ELNS1_3gpuE6ELNS1_3repE0EEENS1_30default_config_static_selectorELNS0_4arch9wavefront6targetE1EEEvSY_,"axG",@progbits,_ZN7rocprim17ROCPRIM_400000_NS6detail17trampoline_kernelINS0_13select_configILj256ELj13ELNS0_17block_load_methodE3ELS4_3ELS4_3ELNS0_20block_scan_algorithmE0ELj4294967295EEENS1_25partition_config_selectorILNS1_17partition_subalgoE3EjNS0_10empty_typeEbEEZZNS1_14partition_implILS8_3ELb0ES6_jNS0_17counting_iteratorIjlEEPS9_SE_NS0_5tupleIJPjSE_EEENSF_IJSE_SE_EEES9_SG_JZNS1_25segmented_radix_sort_implINS0_14default_configELb1EPKbPbPKlPlN2at6native12_GLOBAL__N_18offset_tEEE10hipError_tPvRmT1_PNSt15iterator_traitsISY_E10value_typeET2_T3_PNSZ_IS14_E10value_typeET4_jRbjT5_S1A_jjP12ihipStream_tbEUljE_EEESV_SW_SX_S14_S18_S1A_T6_T7_T9_mT8_S1C_bDpT10_ENKUlT_T0_E_clISt17integral_constantIbLb0EES1O_IbLb1EEEEDaS1K_S1L_EUlS1K_E_NS1_11comp_targetILNS1_3genE2ELNS1_11target_archE906ELNS1_3gpuE6ELNS1_3repE0EEENS1_30default_config_static_selectorELNS0_4arch9wavefront6targetE1EEEvSY_,comdat
.Lfunc_end1526:
	.size	_ZN7rocprim17ROCPRIM_400000_NS6detail17trampoline_kernelINS0_13select_configILj256ELj13ELNS0_17block_load_methodE3ELS4_3ELS4_3ELNS0_20block_scan_algorithmE0ELj4294967295EEENS1_25partition_config_selectorILNS1_17partition_subalgoE3EjNS0_10empty_typeEbEEZZNS1_14partition_implILS8_3ELb0ES6_jNS0_17counting_iteratorIjlEEPS9_SE_NS0_5tupleIJPjSE_EEENSF_IJSE_SE_EEES9_SG_JZNS1_25segmented_radix_sort_implINS0_14default_configELb1EPKbPbPKlPlN2at6native12_GLOBAL__N_18offset_tEEE10hipError_tPvRmT1_PNSt15iterator_traitsISY_E10value_typeET2_T3_PNSZ_IS14_E10value_typeET4_jRbjT5_S1A_jjP12ihipStream_tbEUljE_EEESV_SW_SX_S14_S18_S1A_T6_T7_T9_mT8_S1C_bDpT10_ENKUlT_T0_E_clISt17integral_constantIbLb0EES1O_IbLb1EEEEDaS1K_S1L_EUlS1K_E_NS1_11comp_targetILNS1_3genE2ELNS1_11target_archE906ELNS1_3gpuE6ELNS1_3repE0EEENS1_30default_config_static_selectorELNS0_4arch9wavefront6targetE1EEEvSY_, .Lfunc_end1526-_ZN7rocprim17ROCPRIM_400000_NS6detail17trampoline_kernelINS0_13select_configILj256ELj13ELNS0_17block_load_methodE3ELS4_3ELS4_3ELNS0_20block_scan_algorithmE0ELj4294967295EEENS1_25partition_config_selectorILNS1_17partition_subalgoE3EjNS0_10empty_typeEbEEZZNS1_14partition_implILS8_3ELb0ES6_jNS0_17counting_iteratorIjlEEPS9_SE_NS0_5tupleIJPjSE_EEENSF_IJSE_SE_EEES9_SG_JZNS1_25segmented_radix_sort_implINS0_14default_configELb1EPKbPbPKlPlN2at6native12_GLOBAL__N_18offset_tEEE10hipError_tPvRmT1_PNSt15iterator_traitsISY_E10value_typeET2_T3_PNSZ_IS14_E10value_typeET4_jRbjT5_S1A_jjP12ihipStream_tbEUljE_EEESV_SW_SX_S14_S18_S1A_T6_T7_T9_mT8_S1C_bDpT10_ENKUlT_T0_E_clISt17integral_constantIbLb0EES1O_IbLb1EEEEDaS1K_S1L_EUlS1K_E_NS1_11comp_targetILNS1_3genE2ELNS1_11target_archE906ELNS1_3gpuE6ELNS1_3repE0EEENS1_30default_config_static_selectorELNS0_4arch9wavefront6targetE1EEEvSY_
                                        ; -- End function
	.section	.AMDGPU.csdata,"",@progbits
; Kernel info:
; codeLenInByte = 0
; NumSgprs: 4
; NumVgprs: 0
; NumAgprs: 0
; TotalNumVgprs: 0
; ScratchSize: 0
; MemoryBound: 0
; FloatMode: 240
; IeeeMode: 1
; LDSByteSize: 0 bytes/workgroup (compile time only)
; SGPRBlocks: 0
; VGPRBlocks: 0
; NumSGPRsForWavesPerEU: 4
; NumVGPRsForWavesPerEU: 1
; AccumOffset: 4
; Occupancy: 8
; WaveLimiterHint : 0
; COMPUTE_PGM_RSRC2:SCRATCH_EN: 0
; COMPUTE_PGM_RSRC2:USER_SGPR: 6
; COMPUTE_PGM_RSRC2:TRAP_HANDLER: 0
; COMPUTE_PGM_RSRC2:TGID_X_EN: 1
; COMPUTE_PGM_RSRC2:TGID_Y_EN: 0
; COMPUTE_PGM_RSRC2:TGID_Z_EN: 0
; COMPUTE_PGM_RSRC2:TIDIG_COMP_CNT: 0
; COMPUTE_PGM_RSRC3_GFX90A:ACCUM_OFFSET: 0
; COMPUTE_PGM_RSRC3_GFX90A:TG_SPLIT: 0
	.section	.text._ZN7rocprim17ROCPRIM_400000_NS6detail17trampoline_kernelINS0_13select_configILj256ELj13ELNS0_17block_load_methodE3ELS4_3ELS4_3ELNS0_20block_scan_algorithmE0ELj4294967295EEENS1_25partition_config_selectorILNS1_17partition_subalgoE3EjNS0_10empty_typeEbEEZZNS1_14partition_implILS8_3ELb0ES6_jNS0_17counting_iteratorIjlEEPS9_SE_NS0_5tupleIJPjSE_EEENSF_IJSE_SE_EEES9_SG_JZNS1_25segmented_radix_sort_implINS0_14default_configELb1EPKbPbPKlPlN2at6native12_GLOBAL__N_18offset_tEEE10hipError_tPvRmT1_PNSt15iterator_traitsISY_E10value_typeET2_T3_PNSZ_IS14_E10value_typeET4_jRbjT5_S1A_jjP12ihipStream_tbEUljE_EEESV_SW_SX_S14_S18_S1A_T6_T7_T9_mT8_S1C_bDpT10_ENKUlT_T0_E_clISt17integral_constantIbLb0EES1O_IbLb1EEEEDaS1K_S1L_EUlS1K_E_NS1_11comp_targetILNS1_3genE10ELNS1_11target_archE1200ELNS1_3gpuE4ELNS1_3repE0EEENS1_30default_config_static_selectorELNS0_4arch9wavefront6targetE1EEEvSY_,"axG",@progbits,_ZN7rocprim17ROCPRIM_400000_NS6detail17trampoline_kernelINS0_13select_configILj256ELj13ELNS0_17block_load_methodE3ELS4_3ELS4_3ELNS0_20block_scan_algorithmE0ELj4294967295EEENS1_25partition_config_selectorILNS1_17partition_subalgoE3EjNS0_10empty_typeEbEEZZNS1_14partition_implILS8_3ELb0ES6_jNS0_17counting_iteratorIjlEEPS9_SE_NS0_5tupleIJPjSE_EEENSF_IJSE_SE_EEES9_SG_JZNS1_25segmented_radix_sort_implINS0_14default_configELb1EPKbPbPKlPlN2at6native12_GLOBAL__N_18offset_tEEE10hipError_tPvRmT1_PNSt15iterator_traitsISY_E10value_typeET2_T3_PNSZ_IS14_E10value_typeET4_jRbjT5_S1A_jjP12ihipStream_tbEUljE_EEESV_SW_SX_S14_S18_S1A_T6_T7_T9_mT8_S1C_bDpT10_ENKUlT_T0_E_clISt17integral_constantIbLb0EES1O_IbLb1EEEEDaS1K_S1L_EUlS1K_E_NS1_11comp_targetILNS1_3genE10ELNS1_11target_archE1200ELNS1_3gpuE4ELNS1_3repE0EEENS1_30default_config_static_selectorELNS0_4arch9wavefront6targetE1EEEvSY_,comdat
	.globl	_ZN7rocprim17ROCPRIM_400000_NS6detail17trampoline_kernelINS0_13select_configILj256ELj13ELNS0_17block_load_methodE3ELS4_3ELS4_3ELNS0_20block_scan_algorithmE0ELj4294967295EEENS1_25partition_config_selectorILNS1_17partition_subalgoE3EjNS0_10empty_typeEbEEZZNS1_14partition_implILS8_3ELb0ES6_jNS0_17counting_iteratorIjlEEPS9_SE_NS0_5tupleIJPjSE_EEENSF_IJSE_SE_EEES9_SG_JZNS1_25segmented_radix_sort_implINS0_14default_configELb1EPKbPbPKlPlN2at6native12_GLOBAL__N_18offset_tEEE10hipError_tPvRmT1_PNSt15iterator_traitsISY_E10value_typeET2_T3_PNSZ_IS14_E10value_typeET4_jRbjT5_S1A_jjP12ihipStream_tbEUljE_EEESV_SW_SX_S14_S18_S1A_T6_T7_T9_mT8_S1C_bDpT10_ENKUlT_T0_E_clISt17integral_constantIbLb0EES1O_IbLb1EEEEDaS1K_S1L_EUlS1K_E_NS1_11comp_targetILNS1_3genE10ELNS1_11target_archE1200ELNS1_3gpuE4ELNS1_3repE0EEENS1_30default_config_static_selectorELNS0_4arch9wavefront6targetE1EEEvSY_ ; -- Begin function _ZN7rocprim17ROCPRIM_400000_NS6detail17trampoline_kernelINS0_13select_configILj256ELj13ELNS0_17block_load_methodE3ELS4_3ELS4_3ELNS0_20block_scan_algorithmE0ELj4294967295EEENS1_25partition_config_selectorILNS1_17partition_subalgoE3EjNS0_10empty_typeEbEEZZNS1_14partition_implILS8_3ELb0ES6_jNS0_17counting_iteratorIjlEEPS9_SE_NS0_5tupleIJPjSE_EEENSF_IJSE_SE_EEES9_SG_JZNS1_25segmented_radix_sort_implINS0_14default_configELb1EPKbPbPKlPlN2at6native12_GLOBAL__N_18offset_tEEE10hipError_tPvRmT1_PNSt15iterator_traitsISY_E10value_typeET2_T3_PNSZ_IS14_E10value_typeET4_jRbjT5_S1A_jjP12ihipStream_tbEUljE_EEESV_SW_SX_S14_S18_S1A_T6_T7_T9_mT8_S1C_bDpT10_ENKUlT_T0_E_clISt17integral_constantIbLb0EES1O_IbLb1EEEEDaS1K_S1L_EUlS1K_E_NS1_11comp_targetILNS1_3genE10ELNS1_11target_archE1200ELNS1_3gpuE4ELNS1_3repE0EEENS1_30default_config_static_selectorELNS0_4arch9wavefront6targetE1EEEvSY_
	.p2align	8
	.type	_ZN7rocprim17ROCPRIM_400000_NS6detail17trampoline_kernelINS0_13select_configILj256ELj13ELNS0_17block_load_methodE3ELS4_3ELS4_3ELNS0_20block_scan_algorithmE0ELj4294967295EEENS1_25partition_config_selectorILNS1_17partition_subalgoE3EjNS0_10empty_typeEbEEZZNS1_14partition_implILS8_3ELb0ES6_jNS0_17counting_iteratorIjlEEPS9_SE_NS0_5tupleIJPjSE_EEENSF_IJSE_SE_EEES9_SG_JZNS1_25segmented_radix_sort_implINS0_14default_configELb1EPKbPbPKlPlN2at6native12_GLOBAL__N_18offset_tEEE10hipError_tPvRmT1_PNSt15iterator_traitsISY_E10value_typeET2_T3_PNSZ_IS14_E10value_typeET4_jRbjT5_S1A_jjP12ihipStream_tbEUljE_EEESV_SW_SX_S14_S18_S1A_T6_T7_T9_mT8_S1C_bDpT10_ENKUlT_T0_E_clISt17integral_constantIbLb0EES1O_IbLb1EEEEDaS1K_S1L_EUlS1K_E_NS1_11comp_targetILNS1_3genE10ELNS1_11target_archE1200ELNS1_3gpuE4ELNS1_3repE0EEENS1_30default_config_static_selectorELNS0_4arch9wavefront6targetE1EEEvSY_,@function
_ZN7rocprim17ROCPRIM_400000_NS6detail17trampoline_kernelINS0_13select_configILj256ELj13ELNS0_17block_load_methodE3ELS4_3ELS4_3ELNS0_20block_scan_algorithmE0ELj4294967295EEENS1_25partition_config_selectorILNS1_17partition_subalgoE3EjNS0_10empty_typeEbEEZZNS1_14partition_implILS8_3ELb0ES6_jNS0_17counting_iteratorIjlEEPS9_SE_NS0_5tupleIJPjSE_EEENSF_IJSE_SE_EEES9_SG_JZNS1_25segmented_radix_sort_implINS0_14default_configELb1EPKbPbPKlPlN2at6native12_GLOBAL__N_18offset_tEEE10hipError_tPvRmT1_PNSt15iterator_traitsISY_E10value_typeET2_T3_PNSZ_IS14_E10value_typeET4_jRbjT5_S1A_jjP12ihipStream_tbEUljE_EEESV_SW_SX_S14_S18_S1A_T6_T7_T9_mT8_S1C_bDpT10_ENKUlT_T0_E_clISt17integral_constantIbLb0EES1O_IbLb1EEEEDaS1K_S1L_EUlS1K_E_NS1_11comp_targetILNS1_3genE10ELNS1_11target_archE1200ELNS1_3gpuE4ELNS1_3repE0EEENS1_30default_config_static_selectorELNS0_4arch9wavefront6targetE1EEEvSY_: ; @_ZN7rocprim17ROCPRIM_400000_NS6detail17trampoline_kernelINS0_13select_configILj256ELj13ELNS0_17block_load_methodE3ELS4_3ELS4_3ELNS0_20block_scan_algorithmE0ELj4294967295EEENS1_25partition_config_selectorILNS1_17partition_subalgoE3EjNS0_10empty_typeEbEEZZNS1_14partition_implILS8_3ELb0ES6_jNS0_17counting_iteratorIjlEEPS9_SE_NS0_5tupleIJPjSE_EEENSF_IJSE_SE_EEES9_SG_JZNS1_25segmented_radix_sort_implINS0_14default_configELb1EPKbPbPKlPlN2at6native12_GLOBAL__N_18offset_tEEE10hipError_tPvRmT1_PNSt15iterator_traitsISY_E10value_typeET2_T3_PNSZ_IS14_E10value_typeET4_jRbjT5_S1A_jjP12ihipStream_tbEUljE_EEESV_SW_SX_S14_S18_S1A_T6_T7_T9_mT8_S1C_bDpT10_ENKUlT_T0_E_clISt17integral_constantIbLb0EES1O_IbLb1EEEEDaS1K_S1L_EUlS1K_E_NS1_11comp_targetILNS1_3genE10ELNS1_11target_archE1200ELNS1_3gpuE4ELNS1_3repE0EEENS1_30default_config_static_selectorELNS0_4arch9wavefront6targetE1EEEvSY_
; %bb.0:
	.section	.rodata,"a",@progbits
	.p2align	6, 0x0
	.amdhsa_kernel _ZN7rocprim17ROCPRIM_400000_NS6detail17trampoline_kernelINS0_13select_configILj256ELj13ELNS0_17block_load_methodE3ELS4_3ELS4_3ELNS0_20block_scan_algorithmE0ELj4294967295EEENS1_25partition_config_selectorILNS1_17partition_subalgoE3EjNS0_10empty_typeEbEEZZNS1_14partition_implILS8_3ELb0ES6_jNS0_17counting_iteratorIjlEEPS9_SE_NS0_5tupleIJPjSE_EEENSF_IJSE_SE_EEES9_SG_JZNS1_25segmented_radix_sort_implINS0_14default_configELb1EPKbPbPKlPlN2at6native12_GLOBAL__N_18offset_tEEE10hipError_tPvRmT1_PNSt15iterator_traitsISY_E10value_typeET2_T3_PNSZ_IS14_E10value_typeET4_jRbjT5_S1A_jjP12ihipStream_tbEUljE_EEESV_SW_SX_S14_S18_S1A_T6_T7_T9_mT8_S1C_bDpT10_ENKUlT_T0_E_clISt17integral_constantIbLb0EES1O_IbLb1EEEEDaS1K_S1L_EUlS1K_E_NS1_11comp_targetILNS1_3genE10ELNS1_11target_archE1200ELNS1_3gpuE4ELNS1_3repE0EEENS1_30default_config_static_selectorELNS0_4arch9wavefront6targetE1EEEvSY_
		.amdhsa_group_segment_fixed_size 0
		.amdhsa_private_segment_fixed_size 0
		.amdhsa_kernarg_size 152
		.amdhsa_user_sgpr_count 6
		.amdhsa_user_sgpr_private_segment_buffer 1
		.amdhsa_user_sgpr_dispatch_ptr 0
		.amdhsa_user_sgpr_queue_ptr 0
		.amdhsa_user_sgpr_kernarg_segment_ptr 1
		.amdhsa_user_sgpr_dispatch_id 0
		.amdhsa_user_sgpr_flat_scratch_init 0
		.amdhsa_user_sgpr_kernarg_preload_length 0
		.amdhsa_user_sgpr_kernarg_preload_offset 0
		.amdhsa_user_sgpr_private_segment_size 0
		.amdhsa_uses_dynamic_stack 0
		.amdhsa_system_sgpr_private_segment_wavefront_offset 0
		.amdhsa_system_sgpr_workgroup_id_x 1
		.amdhsa_system_sgpr_workgroup_id_y 0
		.amdhsa_system_sgpr_workgroup_id_z 0
		.amdhsa_system_sgpr_workgroup_info 0
		.amdhsa_system_vgpr_workitem_id 0
		.amdhsa_next_free_vgpr 1
		.amdhsa_next_free_sgpr 0
		.amdhsa_accum_offset 4
		.amdhsa_reserve_vcc 0
		.amdhsa_reserve_flat_scratch 0
		.amdhsa_float_round_mode_32 0
		.amdhsa_float_round_mode_16_64 0
		.amdhsa_float_denorm_mode_32 3
		.amdhsa_float_denorm_mode_16_64 3
		.amdhsa_dx10_clamp 1
		.amdhsa_ieee_mode 1
		.amdhsa_fp16_overflow 0
		.amdhsa_tg_split 0
		.amdhsa_exception_fp_ieee_invalid_op 0
		.amdhsa_exception_fp_denorm_src 0
		.amdhsa_exception_fp_ieee_div_zero 0
		.amdhsa_exception_fp_ieee_overflow 0
		.amdhsa_exception_fp_ieee_underflow 0
		.amdhsa_exception_fp_ieee_inexact 0
		.amdhsa_exception_int_div_zero 0
	.end_amdhsa_kernel
	.section	.text._ZN7rocprim17ROCPRIM_400000_NS6detail17trampoline_kernelINS0_13select_configILj256ELj13ELNS0_17block_load_methodE3ELS4_3ELS4_3ELNS0_20block_scan_algorithmE0ELj4294967295EEENS1_25partition_config_selectorILNS1_17partition_subalgoE3EjNS0_10empty_typeEbEEZZNS1_14partition_implILS8_3ELb0ES6_jNS0_17counting_iteratorIjlEEPS9_SE_NS0_5tupleIJPjSE_EEENSF_IJSE_SE_EEES9_SG_JZNS1_25segmented_radix_sort_implINS0_14default_configELb1EPKbPbPKlPlN2at6native12_GLOBAL__N_18offset_tEEE10hipError_tPvRmT1_PNSt15iterator_traitsISY_E10value_typeET2_T3_PNSZ_IS14_E10value_typeET4_jRbjT5_S1A_jjP12ihipStream_tbEUljE_EEESV_SW_SX_S14_S18_S1A_T6_T7_T9_mT8_S1C_bDpT10_ENKUlT_T0_E_clISt17integral_constantIbLb0EES1O_IbLb1EEEEDaS1K_S1L_EUlS1K_E_NS1_11comp_targetILNS1_3genE10ELNS1_11target_archE1200ELNS1_3gpuE4ELNS1_3repE0EEENS1_30default_config_static_selectorELNS0_4arch9wavefront6targetE1EEEvSY_,"axG",@progbits,_ZN7rocprim17ROCPRIM_400000_NS6detail17trampoline_kernelINS0_13select_configILj256ELj13ELNS0_17block_load_methodE3ELS4_3ELS4_3ELNS0_20block_scan_algorithmE0ELj4294967295EEENS1_25partition_config_selectorILNS1_17partition_subalgoE3EjNS0_10empty_typeEbEEZZNS1_14partition_implILS8_3ELb0ES6_jNS0_17counting_iteratorIjlEEPS9_SE_NS0_5tupleIJPjSE_EEENSF_IJSE_SE_EEES9_SG_JZNS1_25segmented_radix_sort_implINS0_14default_configELb1EPKbPbPKlPlN2at6native12_GLOBAL__N_18offset_tEEE10hipError_tPvRmT1_PNSt15iterator_traitsISY_E10value_typeET2_T3_PNSZ_IS14_E10value_typeET4_jRbjT5_S1A_jjP12ihipStream_tbEUljE_EEESV_SW_SX_S14_S18_S1A_T6_T7_T9_mT8_S1C_bDpT10_ENKUlT_T0_E_clISt17integral_constantIbLb0EES1O_IbLb1EEEEDaS1K_S1L_EUlS1K_E_NS1_11comp_targetILNS1_3genE10ELNS1_11target_archE1200ELNS1_3gpuE4ELNS1_3repE0EEENS1_30default_config_static_selectorELNS0_4arch9wavefront6targetE1EEEvSY_,comdat
.Lfunc_end1527:
	.size	_ZN7rocprim17ROCPRIM_400000_NS6detail17trampoline_kernelINS0_13select_configILj256ELj13ELNS0_17block_load_methodE3ELS4_3ELS4_3ELNS0_20block_scan_algorithmE0ELj4294967295EEENS1_25partition_config_selectorILNS1_17partition_subalgoE3EjNS0_10empty_typeEbEEZZNS1_14partition_implILS8_3ELb0ES6_jNS0_17counting_iteratorIjlEEPS9_SE_NS0_5tupleIJPjSE_EEENSF_IJSE_SE_EEES9_SG_JZNS1_25segmented_radix_sort_implINS0_14default_configELb1EPKbPbPKlPlN2at6native12_GLOBAL__N_18offset_tEEE10hipError_tPvRmT1_PNSt15iterator_traitsISY_E10value_typeET2_T3_PNSZ_IS14_E10value_typeET4_jRbjT5_S1A_jjP12ihipStream_tbEUljE_EEESV_SW_SX_S14_S18_S1A_T6_T7_T9_mT8_S1C_bDpT10_ENKUlT_T0_E_clISt17integral_constantIbLb0EES1O_IbLb1EEEEDaS1K_S1L_EUlS1K_E_NS1_11comp_targetILNS1_3genE10ELNS1_11target_archE1200ELNS1_3gpuE4ELNS1_3repE0EEENS1_30default_config_static_selectorELNS0_4arch9wavefront6targetE1EEEvSY_, .Lfunc_end1527-_ZN7rocprim17ROCPRIM_400000_NS6detail17trampoline_kernelINS0_13select_configILj256ELj13ELNS0_17block_load_methodE3ELS4_3ELS4_3ELNS0_20block_scan_algorithmE0ELj4294967295EEENS1_25partition_config_selectorILNS1_17partition_subalgoE3EjNS0_10empty_typeEbEEZZNS1_14partition_implILS8_3ELb0ES6_jNS0_17counting_iteratorIjlEEPS9_SE_NS0_5tupleIJPjSE_EEENSF_IJSE_SE_EEES9_SG_JZNS1_25segmented_radix_sort_implINS0_14default_configELb1EPKbPbPKlPlN2at6native12_GLOBAL__N_18offset_tEEE10hipError_tPvRmT1_PNSt15iterator_traitsISY_E10value_typeET2_T3_PNSZ_IS14_E10value_typeET4_jRbjT5_S1A_jjP12ihipStream_tbEUljE_EEESV_SW_SX_S14_S18_S1A_T6_T7_T9_mT8_S1C_bDpT10_ENKUlT_T0_E_clISt17integral_constantIbLb0EES1O_IbLb1EEEEDaS1K_S1L_EUlS1K_E_NS1_11comp_targetILNS1_3genE10ELNS1_11target_archE1200ELNS1_3gpuE4ELNS1_3repE0EEENS1_30default_config_static_selectorELNS0_4arch9wavefront6targetE1EEEvSY_
                                        ; -- End function
	.section	.AMDGPU.csdata,"",@progbits
; Kernel info:
; codeLenInByte = 0
; NumSgprs: 4
; NumVgprs: 0
; NumAgprs: 0
; TotalNumVgprs: 0
; ScratchSize: 0
; MemoryBound: 0
; FloatMode: 240
; IeeeMode: 1
; LDSByteSize: 0 bytes/workgroup (compile time only)
; SGPRBlocks: 0
; VGPRBlocks: 0
; NumSGPRsForWavesPerEU: 4
; NumVGPRsForWavesPerEU: 1
; AccumOffset: 4
; Occupancy: 8
; WaveLimiterHint : 0
; COMPUTE_PGM_RSRC2:SCRATCH_EN: 0
; COMPUTE_PGM_RSRC2:USER_SGPR: 6
; COMPUTE_PGM_RSRC2:TRAP_HANDLER: 0
; COMPUTE_PGM_RSRC2:TGID_X_EN: 1
; COMPUTE_PGM_RSRC2:TGID_Y_EN: 0
; COMPUTE_PGM_RSRC2:TGID_Z_EN: 0
; COMPUTE_PGM_RSRC2:TIDIG_COMP_CNT: 0
; COMPUTE_PGM_RSRC3_GFX90A:ACCUM_OFFSET: 0
; COMPUTE_PGM_RSRC3_GFX90A:TG_SPLIT: 0
	.section	.text._ZN7rocprim17ROCPRIM_400000_NS6detail17trampoline_kernelINS0_13select_configILj256ELj13ELNS0_17block_load_methodE3ELS4_3ELS4_3ELNS0_20block_scan_algorithmE0ELj4294967295EEENS1_25partition_config_selectorILNS1_17partition_subalgoE3EjNS0_10empty_typeEbEEZZNS1_14partition_implILS8_3ELb0ES6_jNS0_17counting_iteratorIjlEEPS9_SE_NS0_5tupleIJPjSE_EEENSF_IJSE_SE_EEES9_SG_JZNS1_25segmented_radix_sort_implINS0_14default_configELb1EPKbPbPKlPlN2at6native12_GLOBAL__N_18offset_tEEE10hipError_tPvRmT1_PNSt15iterator_traitsISY_E10value_typeET2_T3_PNSZ_IS14_E10value_typeET4_jRbjT5_S1A_jjP12ihipStream_tbEUljE_EEESV_SW_SX_S14_S18_S1A_T6_T7_T9_mT8_S1C_bDpT10_ENKUlT_T0_E_clISt17integral_constantIbLb0EES1O_IbLb1EEEEDaS1K_S1L_EUlS1K_E_NS1_11comp_targetILNS1_3genE9ELNS1_11target_archE1100ELNS1_3gpuE3ELNS1_3repE0EEENS1_30default_config_static_selectorELNS0_4arch9wavefront6targetE1EEEvSY_,"axG",@progbits,_ZN7rocprim17ROCPRIM_400000_NS6detail17trampoline_kernelINS0_13select_configILj256ELj13ELNS0_17block_load_methodE3ELS4_3ELS4_3ELNS0_20block_scan_algorithmE0ELj4294967295EEENS1_25partition_config_selectorILNS1_17partition_subalgoE3EjNS0_10empty_typeEbEEZZNS1_14partition_implILS8_3ELb0ES6_jNS0_17counting_iteratorIjlEEPS9_SE_NS0_5tupleIJPjSE_EEENSF_IJSE_SE_EEES9_SG_JZNS1_25segmented_radix_sort_implINS0_14default_configELb1EPKbPbPKlPlN2at6native12_GLOBAL__N_18offset_tEEE10hipError_tPvRmT1_PNSt15iterator_traitsISY_E10value_typeET2_T3_PNSZ_IS14_E10value_typeET4_jRbjT5_S1A_jjP12ihipStream_tbEUljE_EEESV_SW_SX_S14_S18_S1A_T6_T7_T9_mT8_S1C_bDpT10_ENKUlT_T0_E_clISt17integral_constantIbLb0EES1O_IbLb1EEEEDaS1K_S1L_EUlS1K_E_NS1_11comp_targetILNS1_3genE9ELNS1_11target_archE1100ELNS1_3gpuE3ELNS1_3repE0EEENS1_30default_config_static_selectorELNS0_4arch9wavefront6targetE1EEEvSY_,comdat
	.globl	_ZN7rocprim17ROCPRIM_400000_NS6detail17trampoline_kernelINS0_13select_configILj256ELj13ELNS0_17block_load_methodE3ELS4_3ELS4_3ELNS0_20block_scan_algorithmE0ELj4294967295EEENS1_25partition_config_selectorILNS1_17partition_subalgoE3EjNS0_10empty_typeEbEEZZNS1_14partition_implILS8_3ELb0ES6_jNS0_17counting_iteratorIjlEEPS9_SE_NS0_5tupleIJPjSE_EEENSF_IJSE_SE_EEES9_SG_JZNS1_25segmented_radix_sort_implINS0_14default_configELb1EPKbPbPKlPlN2at6native12_GLOBAL__N_18offset_tEEE10hipError_tPvRmT1_PNSt15iterator_traitsISY_E10value_typeET2_T3_PNSZ_IS14_E10value_typeET4_jRbjT5_S1A_jjP12ihipStream_tbEUljE_EEESV_SW_SX_S14_S18_S1A_T6_T7_T9_mT8_S1C_bDpT10_ENKUlT_T0_E_clISt17integral_constantIbLb0EES1O_IbLb1EEEEDaS1K_S1L_EUlS1K_E_NS1_11comp_targetILNS1_3genE9ELNS1_11target_archE1100ELNS1_3gpuE3ELNS1_3repE0EEENS1_30default_config_static_selectorELNS0_4arch9wavefront6targetE1EEEvSY_ ; -- Begin function _ZN7rocprim17ROCPRIM_400000_NS6detail17trampoline_kernelINS0_13select_configILj256ELj13ELNS0_17block_load_methodE3ELS4_3ELS4_3ELNS0_20block_scan_algorithmE0ELj4294967295EEENS1_25partition_config_selectorILNS1_17partition_subalgoE3EjNS0_10empty_typeEbEEZZNS1_14partition_implILS8_3ELb0ES6_jNS0_17counting_iteratorIjlEEPS9_SE_NS0_5tupleIJPjSE_EEENSF_IJSE_SE_EEES9_SG_JZNS1_25segmented_radix_sort_implINS0_14default_configELb1EPKbPbPKlPlN2at6native12_GLOBAL__N_18offset_tEEE10hipError_tPvRmT1_PNSt15iterator_traitsISY_E10value_typeET2_T3_PNSZ_IS14_E10value_typeET4_jRbjT5_S1A_jjP12ihipStream_tbEUljE_EEESV_SW_SX_S14_S18_S1A_T6_T7_T9_mT8_S1C_bDpT10_ENKUlT_T0_E_clISt17integral_constantIbLb0EES1O_IbLb1EEEEDaS1K_S1L_EUlS1K_E_NS1_11comp_targetILNS1_3genE9ELNS1_11target_archE1100ELNS1_3gpuE3ELNS1_3repE0EEENS1_30default_config_static_selectorELNS0_4arch9wavefront6targetE1EEEvSY_
	.p2align	8
	.type	_ZN7rocprim17ROCPRIM_400000_NS6detail17trampoline_kernelINS0_13select_configILj256ELj13ELNS0_17block_load_methodE3ELS4_3ELS4_3ELNS0_20block_scan_algorithmE0ELj4294967295EEENS1_25partition_config_selectorILNS1_17partition_subalgoE3EjNS0_10empty_typeEbEEZZNS1_14partition_implILS8_3ELb0ES6_jNS0_17counting_iteratorIjlEEPS9_SE_NS0_5tupleIJPjSE_EEENSF_IJSE_SE_EEES9_SG_JZNS1_25segmented_radix_sort_implINS0_14default_configELb1EPKbPbPKlPlN2at6native12_GLOBAL__N_18offset_tEEE10hipError_tPvRmT1_PNSt15iterator_traitsISY_E10value_typeET2_T3_PNSZ_IS14_E10value_typeET4_jRbjT5_S1A_jjP12ihipStream_tbEUljE_EEESV_SW_SX_S14_S18_S1A_T6_T7_T9_mT8_S1C_bDpT10_ENKUlT_T0_E_clISt17integral_constantIbLb0EES1O_IbLb1EEEEDaS1K_S1L_EUlS1K_E_NS1_11comp_targetILNS1_3genE9ELNS1_11target_archE1100ELNS1_3gpuE3ELNS1_3repE0EEENS1_30default_config_static_selectorELNS0_4arch9wavefront6targetE1EEEvSY_,@function
_ZN7rocprim17ROCPRIM_400000_NS6detail17trampoline_kernelINS0_13select_configILj256ELj13ELNS0_17block_load_methodE3ELS4_3ELS4_3ELNS0_20block_scan_algorithmE0ELj4294967295EEENS1_25partition_config_selectorILNS1_17partition_subalgoE3EjNS0_10empty_typeEbEEZZNS1_14partition_implILS8_3ELb0ES6_jNS0_17counting_iteratorIjlEEPS9_SE_NS0_5tupleIJPjSE_EEENSF_IJSE_SE_EEES9_SG_JZNS1_25segmented_radix_sort_implINS0_14default_configELb1EPKbPbPKlPlN2at6native12_GLOBAL__N_18offset_tEEE10hipError_tPvRmT1_PNSt15iterator_traitsISY_E10value_typeET2_T3_PNSZ_IS14_E10value_typeET4_jRbjT5_S1A_jjP12ihipStream_tbEUljE_EEESV_SW_SX_S14_S18_S1A_T6_T7_T9_mT8_S1C_bDpT10_ENKUlT_T0_E_clISt17integral_constantIbLb0EES1O_IbLb1EEEEDaS1K_S1L_EUlS1K_E_NS1_11comp_targetILNS1_3genE9ELNS1_11target_archE1100ELNS1_3gpuE3ELNS1_3repE0EEENS1_30default_config_static_selectorELNS0_4arch9wavefront6targetE1EEEvSY_: ; @_ZN7rocprim17ROCPRIM_400000_NS6detail17trampoline_kernelINS0_13select_configILj256ELj13ELNS0_17block_load_methodE3ELS4_3ELS4_3ELNS0_20block_scan_algorithmE0ELj4294967295EEENS1_25partition_config_selectorILNS1_17partition_subalgoE3EjNS0_10empty_typeEbEEZZNS1_14partition_implILS8_3ELb0ES6_jNS0_17counting_iteratorIjlEEPS9_SE_NS0_5tupleIJPjSE_EEENSF_IJSE_SE_EEES9_SG_JZNS1_25segmented_radix_sort_implINS0_14default_configELb1EPKbPbPKlPlN2at6native12_GLOBAL__N_18offset_tEEE10hipError_tPvRmT1_PNSt15iterator_traitsISY_E10value_typeET2_T3_PNSZ_IS14_E10value_typeET4_jRbjT5_S1A_jjP12ihipStream_tbEUljE_EEESV_SW_SX_S14_S18_S1A_T6_T7_T9_mT8_S1C_bDpT10_ENKUlT_T0_E_clISt17integral_constantIbLb0EES1O_IbLb1EEEEDaS1K_S1L_EUlS1K_E_NS1_11comp_targetILNS1_3genE9ELNS1_11target_archE1100ELNS1_3gpuE3ELNS1_3repE0EEENS1_30default_config_static_selectorELNS0_4arch9wavefront6targetE1EEEvSY_
; %bb.0:
	.section	.rodata,"a",@progbits
	.p2align	6, 0x0
	.amdhsa_kernel _ZN7rocprim17ROCPRIM_400000_NS6detail17trampoline_kernelINS0_13select_configILj256ELj13ELNS0_17block_load_methodE3ELS4_3ELS4_3ELNS0_20block_scan_algorithmE0ELj4294967295EEENS1_25partition_config_selectorILNS1_17partition_subalgoE3EjNS0_10empty_typeEbEEZZNS1_14partition_implILS8_3ELb0ES6_jNS0_17counting_iteratorIjlEEPS9_SE_NS0_5tupleIJPjSE_EEENSF_IJSE_SE_EEES9_SG_JZNS1_25segmented_radix_sort_implINS0_14default_configELb1EPKbPbPKlPlN2at6native12_GLOBAL__N_18offset_tEEE10hipError_tPvRmT1_PNSt15iterator_traitsISY_E10value_typeET2_T3_PNSZ_IS14_E10value_typeET4_jRbjT5_S1A_jjP12ihipStream_tbEUljE_EEESV_SW_SX_S14_S18_S1A_T6_T7_T9_mT8_S1C_bDpT10_ENKUlT_T0_E_clISt17integral_constantIbLb0EES1O_IbLb1EEEEDaS1K_S1L_EUlS1K_E_NS1_11comp_targetILNS1_3genE9ELNS1_11target_archE1100ELNS1_3gpuE3ELNS1_3repE0EEENS1_30default_config_static_selectorELNS0_4arch9wavefront6targetE1EEEvSY_
		.amdhsa_group_segment_fixed_size 0
		.amdhsa_private_segment_fixed_size 0
		.amdhsa_kernarg_size 152
		.amdhsa_user_sgpr_count 6
		.amdhsa_user_sgpr_private_segment_buffer 1
		.amdhsa_user_sgpr_dispatch_ptr 0
		.amdhsa_user_sgpr_queue_ptr 0
		.amdhsa_user_sgpr_kernarg_segment_ptr 1
		.amdhsa_user_sgpr_dispatch_id 0
		.amdhsa_user_sgpr_flat_scratch_init 0
		.amdhsa_user_sgpr_kernarg_preload_length 0
		.amdhsa_user_sgpr_kernarg_preload_offset 0
		.amdhsa_user_sgpr_private_segment_size 0
		.amdhsa_uses_dynamic_stack 0
		.amdhsa_system_sgpr_private_segment_wavefront_offset 0
		.amdhsa_system_sgpr_workgroup_id_x 1
		.amdhsa_system_sgpr_workgroup_id_y 0
		.amdhsa_system_sgpr_workgroup_id_z 0
		.amdhsa_system_sgpr_workgroup_info 0
		.amdhsa_system_vgpr_workitem_id 0
		.amdhsa_next_free_vgpr 1
		.amdhsa_next_free_sgpr 0
		.amdhsa_accum_offset 4
		.amdhsa_reserve_vcc 0
		.amdhsa_reserve_flat_scratch 0
		.amdhsa_float_round_mode_32 0
		.amdhsa_float_round_mode_16_64 0
		.amdhsa_float_denorm_mode_32 3
		.amdhsa_float_denorm_mode_16_64 3
		.amdhsa_dx10_clamp 1
		.amdhsa_ieee_mode 1
		.amdhsa_fp16_overflow 0
		.amdhsa_tg_split 0
		.amdhsa_exception_fp_ieee_invalid_op 0
		.amdhsa_exception_fp_denorm_src 0
		.amdhsa_exception_fp_ieee_div_zero 0
		.amdhsa_exception_fp_ieee_overflow 0
		.amdhsa_exception_fp_ieee_underflow 0
		.amdhsa_exception_fp_ieee_inexact 0
		.amdhsa_exception_int_div_zero 0
	.end_amdhsa_kernel
	.section	.text._ZN7rocprim17ROCPRIM_400000_NS6detail17trampoline_kernelINS0_13select_configILj256ELj13ELNS0_17block_load_methodE3ELS4_3ELS4_3ELNS0_20block_scan_algorithmE0ELj4294967295EEENS1_25partition_config_selectorILNS1_17partition_subalgoE3EjNS0_10empty_typeEbEEZZNS1_14partition_implILS8_3ELb0ES6_jNS0_17counting_iteratorIjlEEPS9_SE_NS0_5tupleIJPjSE_EEENSF_IJSE_SE_EEES9_SG_JZNS1_25segmented_radix_sort_implINS0_14default_configELb1EPKbPbPKlPlN2at6native12_GLOBAL__N_18offset_tEEE10hipError_tPvRmT1_PNSt15iterator_traitsISY_E10value_typeET2_T3_PNSZ_IS14_E10value_typeET4_jRbjT5_S1A_jjP12ihipStream_tbEUljE_EEESV_SW_SX_S14_S18_S1A_T6_T7_T9_mT8_S1C_bDpT10_ENKUlT_T0_E_clISt17integral_constantIbLb0EES1O_IbLb1EEEEDaS1K_S1L_EUlS1K_E_NS1_11comp_targetILNS1_3genE9ELNS1_11target_archE1100ELNS1_3gpuE3ELNS1_3repE0EEENS1_30default_config_static_selectorELNS0_4arch9wavefront6targetE1EEEvSY_,"axG",@progbits,_ZN7rocprim17ROCPRIM_400000_NS6detail17trampoline_kernelINS0_13select_configILj256ELj13ELNS0_17block_load_methodE3ELS4_3ELS4_3ELNS0_20block_scan_algorithmE0ELj4294967295EEENS1_25partition_config_selectorILNS1_17partition_subalgoE3EjNS0_10empty_typeEbEEZZNS1_14partition_implILS8_3ELb0ES6_jNS0_17counting_iteratorIjlEEPS9_SE_NS0_5tupleIJPjSE_EEENSF_IJSE_SE_EEES9_SG_JZNS1_25segmented_radix_sort_implINS0_14default_configELb1EPKbPbPKlPlN2at6native12_GLOBAL__N_18offset_tEEE10hipError_tPvRmT1_PNSt15iterator_traitsISY_E10value_typeET2_T3_PNSZ_IS14_E10value_typeET4_jRbjT5_S1A_jjP12ihipStream_tbEUljE_EEESV_SW_SX_S14_S18_S1A_T6_T7_T9_mT8_S1C_bDpT10_ENKUlT_T0_E_clISt17integral_constantIbLb0EES1O_IbLb1EEEEDaS1K_S1L_EUlS1K_E_NS1_11comp_targetILNS1_3genE9ELNS1_11target_archE1100ELNS1_3gpuE3ELNS1_3repE0EEENS1_30default_config_static_selectorELNS0_4arch9wavefront6targetE1EEEvSY_,comdat
.Lfunc_end1528:
	.size	_ZN7rocprim17ROCPRIM_400000_NS6detail17trampoline_kernelINS0_13select_configILj256ELj13ELNS0_17block_load_methodE3ELS4_3ELS4_3ELNS0_20block_scan_algorithmE0ELj4294967295EEENS1_25partition_config_selectorILNS1_17partition_subalgoE3EjNS0_10empty_typeEbEEZZNS1_14partition_implILS8_3ELb0ES6_jNS0_17counting_iteratorIjlEEPS9_SE_NS0_5tupleIJPjSE_EEENSF_IJSE_SE_EEES9_SG_JZNS1_25segmented_radix_sort_implINS0_14default_configELb1EPKbPbPKlPlN2at6native12_GLOBAL__N_18offset_tEEE10hipError_tPvRmT1_PNSt15iterator_traitsISY_E10value_typeET2_T3_PNSZ_IS14_E10value_typeET4_jRbjT5_S1A_jjP12ihipStream_tbEUljE_EEESV_SW_SX_S14_S18_S1A_T6_T7_T9_mT8_S1C_bDpT10_ENKUlT_T0_E_clISt17integral_constantIbLb0EES1O_IbLb1EEEEDaS1K_S1L_EUlS1K_E_NS1_11comp_targetILNS1_3genE9ELNS1_11target_archE1100ELNS1_3gpuE3ELNS1_3repE0EEENS1_30default_config_static_selectorELNS0_4arch9wavefront6targetE1EEEvSY_, .Lfunc_end1528-_ZN7rocprim17ROCPRIM_400000_NS6detail17trampoline_kernelINS0_13select_configILj256ELj13ELNS0_17block_load_methodE3ELS4_3ELS4_3ELNS0_20block_scan_algorithmE0ELj4294967295EEENS1_25partition_config_selectorILNS1_17partition_subalgoE3EjNS0_10empty_typeEbEEZZNS1_14partition_implILS8_3ELb0ES6_jNS0_17counting_iteratorIjlEEPS9_SE_NS0_5tupleIJPjSE_EEENSF_IJSE_SE_EEES9_SG_JZNS1_25segmented_radix_sort_implINS0_14default_configELb1EPKbPbPKlPlN2at6native12_GLOBAL__N_18offset_tEEE10hipError_tPvRmT1_PNSt15iterator_traitsISY_E10value_typeET2_T3_PNSZ_IS14_E10value_typeET4_jRbjT5_S1A_jjP12ihipStream_tbEUljE_EEESV_SW_SX_S14_S18_S1A_T6_T7_T9_mT8_S1C_bDpT10_ENKUlT_T0_E_clISt17integral_constantIbLb0EES1O_IbLb1EEEEDaS1K_S1L_EUlS1K_E_NS1_11comp_targetILNS1_3genE9ELNS1_11target_archE1100ELNS1_3gpuE3ELNS1_3repE0EEENS1_30default_config_static_selectorELNS0_4arch9wavefront6targetE1EEEvSY_
                                        ; -- End function
	.section	.AMDGPU.csdata,"",@progbits
; Kernel info:
; codeLenInByte = 0
; NumSgprs: 4
; NumVgprs: 0
; NumAgprs: 0
; TotalNumVgprs: 0
; ScratchSize: 0
; MemoryBound: 0
; FloatMode: 240
; IeeeMode: 1
; LDSByteSize: 0 bytes/workgroup (compile time only)
; SGPRBlocks: 0
; VGPRBlocks: 0
; NumSGPRsForWavesPerEU: 4
; NumVGPRsForWavesPerEU: 1
; AccumOffset: 4
; Occupancy: 8
; WaveLimiterHint : 0
; COMPUTE_PGM_RSRC2:SCRATCH_EN: 0
; COMPUTE_PGM_RSRC2:USER_SGPR: 6
; COMPUTE_PGM_RSRC2:TRAP_HANDLER: 0
; COMPUTE_PGM_RSRC2:TGID_X_EN: 1
; COMPUTE_PGM_RSRC2:TGID_Y_EN: 0
; COMPUTE_PGM_RSRC2:TGID_Z_EN: 0
; COMPUTE_PGM_RSRC2:TIDIG_COMP_CNT: 0
; COMPUTE_PGM_RSRC3_GFX90A:ACCUM_OFFSET: 0
; COMPUTE_PGM_RSRC3_GFX90A:TG_SPLIT: 0
	.section	.text._ZN7rocprim17ROCPRIM_400000_NS6detail17trampoline_kernelINS0_13select_configILj256ELj13ELNS0_17block_load_methodE3ELS4_3ELS4_3ELNS0_20block_scan_algorithmE0ELj4294967295EEENS1_25partition_config_selectorILNS1_17partition_subalgoE3EjNS0_10empty_typeEbEEZZNS1_14partition_implILS8_3ELb0ES6_jNS0_17counting_iteratorIjlEEPS9_SE_NS0_5tupleIJPjSE_EEENSF_IJSE_SE_EEES9_SG_JZNS1_25segmented_radix_sort_implINS0_14default_configELb1EPKbPbPKlPlN2at6native12_GLOBAL__N_18offset_tEEE10hipError_tPvRmT1_PNSt15iterator_traitsISY_E10value_typeET2_T3_PNSZ_IS14_E10value_typeET4_jRbjT5_S1A_jjP12ihipStream_tbEUljE_EEESV_SW_SX_S14_S18_S1A_T6_T7_T9_mT8_S1C_bDpT10_ENKUlT_T0_E_clISt17integral_constantIbLb0EES1O_IbLb1EEEEDaS1K_S1L_EUlS1K_E_NS1_11comp_targetILNS1_3genE8ELNS1_11target_archE1030ELNS1_3gpuE2ELNS1_3repE0EEENS1_30default_config_static_selectorELNS0_4arch9wavefront6targetE1EEEvSY_,"axG",@progbits,_ZN7rocprim17ROCPRIM_400000_NS6detail17trampoline_kernelINS0_13select_configILj256ELj13ELNS0_17block_load_methodE3ELS4_3ELS4_3ELNS0_20block_scan_algorithmE0ELj4294967295EEENS1_25partition_config_selectorILNS1_17partition_subalgoE3EjNS0_10empty_typeEbEEZZNS1_14partition_implILS8_3ELb0ES6_jNS0_17counting_iteratorIjlEEPS9_SE_NS0_5tupleIJPjSE_EEENSF_IJSE_SE_EEES9_SG_JZNS1_25segmented_radix_sort_implINS0_14default_configELb1EPKbPbPKlPlN2at6native12_GLOBAL__N_18offset_tEEE10hipError_tPvRmT1_PNSt15iterator_traitsISY_E10value_typeET2_T3_PNSZ_IS14_E10value_typeET4_jRbjT5_S1A_jjP12ihipStream_tbEUljE_EEESV_SW_SX_S14_S18_S1A_T6_T7_T9_mT8_S1C_bDpT10_ENKUlT_T0_E_clISt17integral_constantIbLb0EES1O_IbLb1EEEEDaS1K_S1L_EUlS1K_E_NS1_11comp_targetILNS1_3genE8ELNS1_11target_archE1030ELNS1_3gpuE2ELNS1_3repE0EEENS1_30default_config_static_selectorELNS0_4arch9wavefront6targetE1EEEvSY_,comdat
	.globl	_ZN7rocprim17ROCPRIM_400000_NS6detail17trampoline_kernelINS0_13select_configILj256ELj13ELNS0_17block_load_methodE3ELS4_3ELS4_3ELNS0_20block_scan_algorithmE0ELj4294967295EEENS1_25partition_config_selectorILNS1_17partition_subalgoE3EjNS0_10empty_typeEbEEZZNS1_14partition_implILS8_3ELb0ES6_jNS0_17counting_iteratorIjlEEPS9_SE_NS0_5tupleIJPjSE_EEENSF_IJSE_SE_EEES9_SG_JZNS1_25segmented_radix_sort_implINS0_14default_configELb1EPKbPbPKlPlN2at6native12_GLOBAL__N_18offset_tEEE10hipError_tPvRmT1_PNSt15iterator_traitsISY_E10value_typeET2_T3_PNSZ_IS14_E10value_typeET4_jRbjT5_S1A_jjP12ihipStream_tbEUljE_EEESV_SW_SX_S14_S18_S1A_T6_T7_T9_mT8_S1C_bDpT10_ENKUlT_T0_E_clISt17integral_constantIbLb0EES1O_IbLb1EEEEDaS1K_S1L_EUlS1K_E_NS1_11comp_targetILNS1_3genE8ELNS1_11target_archE1030ELNS1_3gpuE2ELNS1_3repE0EEENS1_30default_config_static_selectorELNS0_4arch9wavefront6targetE1EEEvSY_ ; -- Begin function _ZN7rocprim17ROCPRIM_400000_NS6detail17trampoline_kernelINS0_13select_configILj256ELj13ELNS0_17block_load_methodE3ELS4_3ELS4_3ELNS0_20block_scan_algorithmE0ELj4294967295EEENS1_25partition_config_selectorILNS1_17partition_subalgoE3EjNS0_10empty_typeEbEEZZNS1_14partition_implILS8_3ELb0ES6_jNS0_17counting_iteratorIjlEEPS9_SE_NS0_5tupleIJPjSE_EEENSF_IJSE_SE_EEES9_SG_JZNS1_25segmented_radix_sort_implINS0_14default_configELb1EPKbPbPKlPlN2at6native12_GLOBAL__N_18offset_tEEE10hipError_tPvRmT1_PNSt15iterator_traitsISY_E10value_typeET2_T3_PNSZ_IS14_E10value_typeET4_jRbjT5_S1A_jjP12ihipStream_tbEUljE_EEESV_SW_SX_S14_S18_S1A_T6_T7_T9_mT8_S1C_bDpT10_ENKUlT_T0_E_clISt17integral_constantIbLb0EES1O_IbLb1EEEEDaS1K_S1L_EUlS1K_E_NS1_11comp_targetILNS1_3genE8ELNS1_11target_archE1030ELNS1_3gpuE2ELNS1_3repE0EEENS1_30default_config_static_selectorELNS0_4arch9wavefront6targetE1EEEvSY_
	.p2align	8
	.type	_ZN7rocprim17ROCPRIM_400000_NS6detail17trampoline_kernelINS0_13select_configILj256ELj13ELNS0_17block_load_methodE3ELS4_3ELS4_3ELNS0_20block_scan_algorithmE0ELj4294967295EEENS1_25partition_config_selectorILNS1_17partition_subalgoE3EjNS0_10empty_typeEbEEZZNS1_14partition_implILS8_3ELb0ES6_jNS0_17counting_iteratorIjlEEPS9_SE_NS0_5tupleIJPjSE_EEENSF_IJSE_SE_EEES9_SG_JZNS1_25segmented_radix_sort_implINS0_14default_configELb1EPKbPbPKlPlN2at6native12_GLOBAL__N_18offset_tEEE10hipError_tPvRmT1_PNSt15iterator_traitsISY_E10value_typeET2_T3_PNSZ_IS14_E10value_typeET4_jRbjT5_S1A_jjP12ihipStream_tbEUljE_EEESV_SW_SX_S14_S18_S1A_T6_T7_T9_mT8_S1C_bDpT10_ENKUlT_T0_E_clISt17integral_constantIbLb0EES1O_IbLb1EEEEDaS1K_S1L_EUlS1K_E_NS1_11comp_targetILNS1_3genE8ELNS1_11target_archE1030ELNS1_3gpuE2ELNS1_3repE0EEENS1_30default_config_static_selectorELNS0_4arch9wavefront6targetE1EEEvSY_,@function
_ZN7rocprim17ROCPRIM_400000_NS6detail17trampoline_kernelINS0_13select_configILj256ELj13ELNS0_17block_load_methodE3ELS4_3ELS4_3ELNS0_20block_scan_algorithmE0ELj4294967295EEENS1_25partition_config_selectorILNS1_17partition_subalgoE3EjNS0_10empty_typeEbEEZZNS1_14partition_implILS8_3ELb0ES6_jNS0_17counting_iteratorIjlEEPS9_SE_NS0_5tupleIJPjSE_EEENSF_IJSE_SE_EEES9_SG_JZNS1_25segmented_radix_sort_implINS0_14default_configELb1EPKbPbPKlPlN2at6native12_GLOBAL__N_18offset_tEEE10hipError_tPvRmT1_PNSt15iterator_traitsISY_E10value_typeET2_T3_PNSZ_IS14_E10value_typeET4_jRbjT5_S1A_jjP12ihipStream_tbEUljE_EEESV_SW_SX_S14_S18_S1A_T6_T7_T9_mT8_S1C_bDpT10_ENKUlT_T0_E_clISt17integral_constantIbLb0EES1O_IbLb1EEEEDaS1K_S1L_EUlS1K_E_NS1_11comp_targetILNS1_3genE8ELNS1_11target_archE1030ELNS1_3gpuE2ELNS1_3repE0EEENS1_30default_config_static_selectorELNS0_4arch9wavefront6targetE1EEEvSY_: ; @_ZN7rocprim17ROCPRIM_400000_NS6detail17trampoline_kernelINS0_13select_configILj256ELj13ELNS0_17block_load_methodE3ELS4_3ELS4_3ELNS0_20block_scan_algorithmE0ELj4294967295EEENS1_25partition_config_selectorILNS1_17partition_subalgoE3EjNS0_10empty_typeEbEEZZNS1_14partition_implILS8_3ELb0ES6_jNS0_17counting_iteratorIjlEEPS9_SE_NS0_5tupleIJPjSE_EEENSF_IJSE_SE_EEES9_SG_JZNS1_25segmented_radix_sort_implINS0_14default_configELb1EPKbPbPKlPlN2at6native12_GLOBAL__N_18offset_tEEE10hipError_tPvRmT1_PNSt15iterator_traitsISY_E10value_typeET2_T3_PNSZ_IS14_E10value_typeET4_jRbjT5_S1A_jjP12ihipStream_tbEUljE_EEESV_SW_SX_S14_S18_S1A_T6_T7_T9_mT8_S1C_bDpT10_ENKUlT_T0_E_clISt17integral_constantIbLb0EES1O_IbLb1EEEEDaS1K_S1L_EUlS1K_E_NS1_11comp_targetILNS1_3genE8ELNS1_11target_archE1030ELNS1_3gpuE2ELNS1_3repE0EEENS1_30default_config_static_selectorELNS0_4arch9wavefront6targetE1EEEvSY_
; %bb.0:
	.section	.rodata,"a",@progbits
	.p2align	6, 0x0
	.amdhsa_kernel _ZN7rocprim17ROCPRIM_400000_NS6detail17trampoline_kernelINS0_13select_configILj256ELj13ELNS0_17block_load_methodE3ELS4_3ELS4_3ELNS0_20block_scan_algorithmE0ELj4294967295EEENS1_25partition_config_selectorILNS1_17partition_subalgoE3EjNS0_10empty_typeEbEEZZNS1_14partition_implILS8_3ELb0ES6_jNS0_17counting_iteratorIjlEEPS9_SE_NS0_5tupleIJPjSE_EEENSF_IJSE_SE_EEES9_SG_JZNS1_25segmented_radix_sort_implINS0_14default_configELb1EPKbPbPKlPlN2at6native12_GLOBAL__N_18offset_tEEE10hipError_tPvRmT1_PNSt15iterator_traitsISY_E10value_typeET2_T3_PNSZ_IS14_E10value_typeET4_jRbjT5_S1A_jjP12ihipStream_tbEUljE_EEESV_SW_SX_S14_S18_S1A_T6_T7_T9_mT8_S1C_bDpT10_ENKUlT_T0_E_clISt17integral_constantIbLb0EES1O_IbLb1EEEEDaS1K_S1L_EUlS1K_E_NS1_11comp_targetILNS1_3genE8ELNS1_11target_archE1030ELNS1_3gpuE2ELNS1_3repE0EEENS1_30default_config_static_selectorELNS0_4arch9wavefront6targetE1EEEvSY_
		.amdhsa_group_segment_fixed_size 0
		.amdhsa_private_segment_fixed_size 0
		.amdhsa_kernarg_size 152
		.amdhsa_user_sgpr_count 6
		.amdhsa_user_sgpr_private_segment_buffer 1
		.amdhsa_user_sgpr_dispatch_ptr 0
		.amdhsa_user_sgpr_queue_ptr 0
		.amdhsa_user_sgpr_kernarg_segment_ptr 1
		.amdhsa_user_sgpr_dispatch_id 0
		.amdhsa_user_sgpr_flat_scratch_init 0
		.amdhsa_user_sgpr_kernarg_preload_length 0
		.amdhsa_user_sgpr_kernarg_preload_offset 0
		.amdhsa_user_sgpr_private_segment_size 0
		.amdhsa_uses_dynamic_stack 0
		.amdhsa_system_sgpr_private_segment_wavefront_offset 0
		.amdhsa_system_sgpr_workgroup_id_x 1
		.amdhsa_system_sgpr_workgroup_id_y 0
		.amdhsa_system_sgpr_workgroup_id_z 0
		.amdhsa_system_sgpr_workgroup_info 0
		.amdhsa_system_vgpr_workitem_id 0
		.amdhsa_next_free_vgpr 1
		.amdhsa_next_free_sgpr 0
		.amdhsa_accum_offset 4
		.amdhsa_reserve_vcc 0
		.amdhsa_reserve_flat_scratch 0
		.amdhsa_float_round_mode_32 0
		.amdhsa_float_round_mode_16_64 0
		.amdhsa_float_denorm_mode_32 3
		.amdhsa_float_denorm_mode_16_64 3
		.amdhsa_dx10_clamp 1
		.amdhsa_ieee_mode 1
		.amdhsa_fp16_overflow 0
		.amdhsa_tg_split 0
		.amdhsa_exception_fp_ieee_invalid_op 0
		.amdhsa_exception_fp_denorm_src 0
		.amdhsa_exception_fp_ieee_div_zero 0
		.amdhsa_exception_fp_ieee_overflow 0
		.amdhsa_exception_fp_ieee_underflow 0
		.amdhsa_exception_fp_ieee_inexact 0
		.amdhsa_exception_int_div_zero 0
	.end_amdhsa_kernel
	.section	.text._ZN7rocprim17ROCPRIM_400000_NS6detail17trampoline_kernelINS0_13select_configILj256ELj13ELNS0_17block_load_methodE3ELS4_3ELS4_3ELNS0_20block_scan_algorithmE0ELj4294967295EEENS1_25partition_config_selectorILNS1_17partition_subalgoE3EjNS0_10empty_typeEbEEZZNS1_14partition_implILS8_3ELb0ES6_jNS0_17counting_iteratorIjlEEPS9_SE_NS0_5tupleIJPjSE_EEENSF_IJSE_SE_EEES9_SG_JZNS1_25segmented_radix_sort_implINS0_14default_configELb1EPKbPbPKlPlN2at6native12_GLOBAL__N_18offset_tEEE10hipError_tPvRmT1_PNSt15iterator_traitsISY_E10value_typeET2_T3_PNSZ_IS14_E10value_typeET4_jRbjT5_S1A_jjP12ihipStream_tbEUljE_EEESV_SW_SX_S14_S18_S1A_T6_T7_T9_mT8_S1C_bDpT10_ENKUlT_T0_E_clISt17integral_constantIbLb0EES1O_IbLb1EEEEDaS1K_S1L_EUlS1K_E_NS1_11comp_targetILNS1_3genE8ELNS1_11target_archE1030ELNS1_3gpuE2ELNS1_3repE0EEENS1_30default_config_static_selectorELNS0_4arch9wavefront6targetE1EEEvSY_,"axG",@progbits,_ZN7rocprim17ROCPRIM_400000_NS6detail17trampoline_kernelINS0_13select_configILj256ELj13ELNS0_17block_load_methodE3ELS4_3ELS4_3ELNS0_20block_scan_algorithmE0ELj4294967295EEENS1_25partition_config_selectorILNS1_17partition_subalgoE3EjNS0_10empty_typeEbEEZZNS1_14partition_implILS8_3ELb0ES6_jNS0_17counting_iteratorIjlEEPS9_SE_NS0_5tupleIJPjSE_EEENSF_IJSE_SE_EEES9_SG_JZNS1_25segmented_radix_sort_implINS0_14default_configELb1EPKbPbPKlPlN2at6native12_GLOBAL__N_18offset_tEEE10hipError_tPvRmT1_PNSt15iterator_traitsISY_E10value_typeET2_T3_PNSZ_IS14_E10value_typeET4_jRbjT5_S1A_jjP12ihipStream_tbEUljE_EEESV_SW_SX_S14_S18_S1A_T6_T7_T9_mT8_S1C_bDpT10_ENKUlT_T0_E_clISt17integral_constantIbLb0EES1O_IbLb1EEEEDaS1K_S1L_EUlS1K_E_NS1_11comp_targetILNS1_3genE8ELNS1_11target_archE1030ELNS1_3gpuE2ELNS1_3repE0EEENS1_30default_config_static_selectorELNS0_4arch9wavefront6targetE1EEEvSY_,comdat
.Lfunc_end1529:
	.size	_ZN7rocprim17ROCPRIM_400000_NS6detail17trampoline_kernelINS0_13select_configILj256ELj13ELNS0_17block_load_methodE3ELS4_3ELS4_3ELNS0_20block_scan_algorithmE0ELj4294967295EEENS1_25partition_config_selectorILNS1_17partition_subalgoE3EjNS0_10empty_typeEbEEZZNS1_14partition_implILS8_3ELb0ES6_jNS0_17counting_iteratorIjlEEPS9_SE_NS0_5tupleIJPjSE_EEENSF_IJSE_SE_EEES9_SG_JZNS1_25segmented_radix_sort_implINS0_14default_configELb1EPKbPbPKlPlN2at6native12_GLOBAL__N_18offset_tEEE10hipError_tPvRmT1_PNSt15iterator_traitsISY_E10value_typeET2_T3_PNSZ_IS14_E10value_typeET4_jRbjT5_S1A_jjP12ihipStream_tbEUljE_EEESV_SW_SX_S14_S18_S1A_T6_T7_T9_mT8_S1C_bDpT10_ENKUlT_T0_E_clISt17integral_constantIbLb0EES1O_IbLb1EEEEDaS1K_S1L_EUlS1K_E_NS1_11comp_targetILNS1_3genE8ELNS1_11target_archE1030ELNS1_3gpuE2ELNS1_3repE0EEENS1_30default_config_static_selectorELNS0_4arch9wavefront6targetE1EEEvSY_, .Lfunc_end1529-_ZN7rocprim17ROCPRIM_400000_NS6detail17trampoline_kernelINS0_13select_configILj256ELj13ELNS0_17block_load_methodE3ELS4_3ELS4_3ELNS0_20block_scan_algorithmE0ELj4294967295EEENS1_25partition_config_selectorILNS1_17partition_subalgoE3EjNS0_10empty_typeEbEEZZNS1_14partition_implILS8_3ELb0ES6_jNS0_17counting_iteratorIjlEEPS9_SE_NS0_5tupleIJPjSE_EEENSF_IJSE_SE_EEES9_SG_JZNS1_25segmented_radix_sort_implINS0_14default_configELb1EPKbPbPKlPlN2at6native12_GLOBAL__N_18offset_tEEE10hipError_tPvRmT1_PNSt15iterator_traitsISY_E10value_typeET2_T3_PNSZ_IS14_E10value_typeET4_jRbjT5_S1A_jjP12ihipStream_tbEUljE_EEESV_SW_SX_S14_S18_S1A_T6_T7_T9_mT8_S1C_bDpT10_ENKUlT_T0_E_clISt17integral_constantIbLb0EES1O_IbLb1EEEEDaS1K_S1L_EUlS1K_E_NS1_11comp_targetILNS1_3genE8ELNS1_11target_archE1030ELNS1_3gpuE2ELNS1_3repE0EEENS1_30default_config_static_selectorELNS0_4arch9wavefront6targetE1EEEvSY_
                                        ; -- End function
	.section	.AMDGPU.csdata,"",@progbits
; Kernel info:
; codeLenInByte = 0
; NumSgprs: 4
; NumVgprs: 0
; NumAgprs: 0
; TotalNumVgprs: 0
; ScratchSize: 0
; MemoryBound: 0
; FloatMode: 240
; IeeeMode: 1
; LDSByteSize: 0 bytes/workgroup (compile time only)
; SGPRBlocks: 0
; VGPRBlocks: 0
; NumSGPRsForWavesPerEU: 4
; NumVGPRsForWavesPerEU: 1
; AccumOffset: 4
; Occupancy: 8
; WaveLimiterHint : 0
; COMPUTE_PGM_RSRC2:SCRATCH_EN: 0
; COMPUTE_PGM_RSRC2:USER_SGPR: 6
; COMPUTE_PGM_RSRC2:TRAP_HANDLER: 0
; COMPUTE_PGM_RSRC2:TGID_X_EN: 1
; COMPUTE_PGM_RSRC2:TGID_Y_EN: 0
; COMPUTE_PGM_RSRC2:TGID_Z_EN: 0
; COMPUTE_PGM_RSRC2:TIDIG_COMP_CNT: 0
; COMPUTE_PGM_RSRC3_GFX90A:ACCUM_OFFSET: 0
; COMPUTE_PGM_RSRC3_GFX90A:TG_SPLIT: 0
	.section	.text._ZN7rocprim17ROCPRIM_400000_NS6detail17trampoline_kernelINS0_14default_configENS1_36segmented_radix_sort_config_selectorIblEEZNS1_25segmented_radix_sort_implIS3_Lb1EPKbPbPKlPlN2at6native12_GLOBAL__N_18offset_tEEE10hipError_tPvRmT1_PNSt15iterator_traitsISK_E10value_typeET2_T3_PNSL_ISQ_E10value_typeET4_jRbjT5_SW_jjP12ihipStream_tbEUlT_E_NS1_11comp_targetILNS1_3genE0ELNS1_11target_archE4294967295ELNS1_3gpuE0ELNS1_3repE0EEENS1_30default_config_static_selectorELNS0_4arch9wavefront6targetE1EEEvSK_,"axG",@progbits,_ZN7rocprim17ROCPRIM_400000_NS6detail17trampoline_kernelINS0_14default_configENS1_36segmented_radix_sort_config_selectorIblEEZNS1_25segmented_radix_sort_implIS3_Lb1EPKbPbPKlPlN2at6native12_GLOBAL__N_18offset_tEEE10hipError_tPvRmT1_PNSt15iterator_traitsISK_E10value_typeET2_T3_PNSL_ISQ_E10value_typeET4_jRbjT5_SW_jjP12ihipStream_tbEUlT_E_NS1_11comp_targetILNS1_3genE0ELNS1_11target_archE4294967295ELNS1_3gpuE0ELNS1_3repE0EEENS1_30default_config_static_selectorELNS0_4arch9wavefront6targetE1EEEvSK_,comdat
	.globl	_ZN7rocprim17ROCPRIM_400000_NS6detail17trampoline_kernelINS0_14default_configENS1_36segmented_radix_sort_config_selectorIblEEZNS1_25segmented_radix_sort_implIS3_Lb1EPKbPbPKlPlN2at6native12_GLOBAL__N_18offset_tEEE10hipError_tPvRmT1_PNSt15iterator_traitsISK_E10value_typeET2_T3_PNSL_ISQ_E10value_typeET4_jRbjT5_SW_jjP12ihipStream_tbEUlT_E_NS1_11comp_targetILNS1_3genE0ELNS1_11target_archE4294967295ELNS1_3gpuE0ELNS1_3repE0EEENS1_30default_config_static_selectorELNS0_4arch9wavefront6targetE1EEEvSK_ ; -- Begin function _ZN7rocprim17ROCPRIM_400000_NS6detail17trampoline_kernelINS0_14default_configENS1_36segmented_radix_sort_config_selectorIblEEZNS1_25segmented_radix_sort_implIS3_Lb1EPKbPbPKlPlN2at6native12_GLOBAL__N_18offset_tEEE10hipError_tPvRmT1_PNSt15iterator_traitsISK_E10value_typeET2_T3_PNSL_ISQ_E10value_typeET4_jRbjT5_SW_jjP12ihipStream_tbEUlT_E_NS1_11comp_targetILNS1_3genE0ELNS1_11target_archE4294967295ELNS1_3gpuE0ELNS1_3repE0EEENS1_30default_config_static_selectorELNS0_4arch9wavefront6targetE1EEEvSK_
	.p2align	8
	.type	_ZN7rocprim17ROCPRIM_400000_NS6detail17trampoline_kernelINS0_14default_configENS1_36segmented_radix_sort_config_selectorIblEEZNS1_25segmented_radix_sort_implIS3_Lb1EPKbPbPKlPlN2at6native12_GLOBAL__N_18offset_tEEE10hipError_tPvRmT1_PNSt15iterator_traitsISK_E10value_typeET2_T3_PNSL_ISQ_E10value_typeET4_jRbjT5_SW_jjP12ihipStream_tbEUlT_E_NS1_11comp_targetILNS1_3genE0ELNS1_11target_archE4294967295ELNS1_3gpuE0ELNS1_3repE0EEENS1_30default_config_static_selectorELNS0_4arch9wavefront6targetE1EEEvSK_,@function
_ZN7rocprim17ROCPRIM_400000_NS6detail17trampoline_kernelINS0_14default_configENS1_36segmented_radix_sort_config_selectorIblEEZNS1_25segmented_radix_sort_implIS3_Lb1EPKbPbPKlPlN2at6native12_GLOBAL__N_18offset_tEEE10hipError_tPvRmT1_PNSt15iterator_traitsISK_E10value_typeET2_T3_PNSL_ISQ_E10value_typeET4_jRbjT5_SW_jjP12ihipStream_tbEUlT_E_NS1_11comp_targetILNS1_3genE0ELNS1_11target_archE4294967295ELNS1_3gpuE0ELNS1_3repE0EEENS1_30default_config_static_selectorELNS0_4arch9wavefront6targetE1EEEvSK_: ; @_ZN7rocprim17ROCPRIM_400000_NS6detail17trampoline_kernelINS0_14default_configENS1_36segmented_radix_sort_config_selectorIblEEZNS1_25segmented_radix_sort_implIS3_Lb1EPKbPbPKlPlN2at6native12_GLOBAL__N_18offset_tEEE10hipError_tPvRmT1_PNSt15iterator_traitsISK_E10value_typeET2_T3_PNSL_ISQ_E10value_typeET4_jRbjT5_SW_jjP12ihipStream_tbEUlT_E_NS1_11comp_targetILNS1_3genE0ELNS1_11target_archE4294967295ELNS1_3gpuE0ELNS1_3repE0EEENS1_30default_config_static_selectorELNS0_4arch9wavefront6targetE1EEEvSK_
; %bb.0:
	.section	.rodata,"a",@progbits
	.p2align	6, 0x0
	.amdhsa_kernel _ZN7rocprim17ROCPRIM_400000_NS6detail17trampoline_kernelINS0_14default_configENS1_36segmented_radix_sort_config_selectorIblEEZNS1_25segmented_radix_sort_implIS3_Lb1EPKbPbPKlPlN2at6native12_GLOBAL__N_18offset_tEEE10hipError_tPvRmT1_PNSt15iterator_traitsISK_E10value_typeET2_T3_PNSL_ISQ_E10value_typeET4_jRbjT5_SW_jjP12ihipStream_tbEUlT_E_NS1_11comp_targetILNS1_3genE0ELNS1_11target_archE4294967295ELNS1_3gpuE0ELNS1_3repE0EEENS1_30default_config_static_selectorELNS0_4arch9wavefront6targetE1EEEvSK_
		.amdhsa_group_segment_fixed_size 0
		.amdhsa_private_segment_fixed_size 0
		.amdhsa_kernarg_size 96
		.amdhsa_user_sgpr_count 6
		.amdhsa_user_sgpr_private_segment_buffer 1
		.amdhsa_user_sgpr_dispatch_ptr 0
		.amdhsa_user_sgpr_queue_ptr 0
		.amdhsa_user_sgpr_kernarg_segment_ptr 1
		.amdhsa_user_sgpr_dispatch_id 0
		.amdhsa_user_sgpr_flat_scratch_init 0
		.amdhsa_user_sgpr_kernarg_preload_length 0
		.amdhsa_user_sgpr_kernarg_preload_offset 0
		.amdhsa_user_sgpr_private_segment_size 0
		.amdhsa_uses_dynamic_stack 0
		.amdhsa_system_sgpr_private_segment_wavefront_offset 0
		.amdhsa_system_sgpr_workgroup_id_x 1
		.amdhsa_system_sgpr_workgroup_id_y 0
		.amdhsa_system_sgpr_workgroup_id_z 0
		.amdhsa_system_sgpr_workgroup_info 0
		.amdhsa_system_vgpr_workitem_id 0
		.amdhsa_next_free_vgpr 1
		.amdhsa_next_free_sgpr 0
		.amdhsa_accum_offset 4
		.amdhsa_reserve_vcc 0
		.amdhsa_reserve_flat_scratch 0
		.amdhsa_float_round_mode_32 0
		.amdhsa_float_round_mode_16_64 0
		.amdhsa_float_denorm_mode_32 3
		.amdhsa_float_denorm_mode_16_64 3
		.amdhsa_dx10_clamp 1
		.amdhsa_ieee_mode 1
		.amdhsa_fp16_overflow 0
		.amdhsa_tg_split 0
		.amdhsa_exception_fp_ieee_invalid_op 0
		.amdhsa_exception_fp_denorm_src 0
		.amdhsa_exception_fp_ieee_div_zero 0
		.amdhsa_exception_fp_ieee_overflow 0
		.amdhsa_exception_fp_ieee_underflow 0
		.amdhsa_exception_fp_ieee_inexact 0
		.amdhsa_exception_int_div_zero 0
	.end_amdhsa_kernel
	.section	.text._ZN7rocprim17ROCPRIM_400000_NS6detail17trampoline_kernelINS0_14default_configENS1_36segmented_radix_sort_config_selectorIblEEZNS1_25segmented_radix_sort_implIS3_Lb1EPKbPbPKlPlN2at6native12_GLOBAL__N_18offset_tEEE10hipError_tPvRmT1_PNSt15iterator_traitsISK_E10value_typeET2_T3_PNSL_ISQ_E10value_typeET4_jRbjT5_SW_jjP12ihipStream_tbEUlT_E_NS1_11comp_targetILNS1_3genE0ELNS1_11target_archE4294967295ELNS1_3gpuE0ELNS1_3repE0EEENS1_30default_config_static_selectorELNS0_4arch9wavefront6targetE1EEEvSK_,"axG",@progbits,_ZN7rocprim17ROCPRIM_400000_NS6detail17trampoline_kernelINS0_14default_configENS1_36segmented_radix_sort_config_selectorIblEEZNS1_25segmented_radix_sort_implIS3_Lb1EPKbPbPKlPlN2at6native12_GLOBAL__N_18offset_tEEE10hipError_tPvRmT1_PNSt15iterator_traitsISK_E10value_typeET2_T3_PNSL_ISQ_E10value_typeET4_jRbjT5_SW_jjP12ihipStream_tbEUlT_E_NS1_11comp_targetILNS1_3genE0ELNS1_11target_archE4294967295ELNS1_3gpuE0ELNS1_3repE0EEENS1_30default_config_static_selectorELNS0_4arch9wavefront6targetE1EEEvSK_,comdat
.Lfunc_end1530:
	.size	_ZN7rocprim17ROCPRIM_400000_NS6detail17trampoline_kernelINS0_14default_configENS1_36segmented_radix_sort_config_selectorIblEEZNS1_25segmented_radix_sort_implIS3_Lb1EPKbPbPKlPlN2at6native12_GLOBAL__N_18offset_tEEE10hipError_tPvRmT1_PNSt15iterator_traitsISK_E10value_typeET2_T3_PNSL_ISQ_E10value_typeET4_jRbjT5_SW_jjP12ihipStream_tbEUlT_E_NS1_11comp_targetILNS1_3genE0ELNS1_11target_archE4294967295ELNS1_3gpuE0ELNS1_3repE0EEENS1_30default_config_static_selectorELNS0_4arch9wavefront6targetE1EEEvSK_, .Lfunc_end1530-_ZN7rocprim17ROCPRIM_400000_NS6detail17trampoline_kernelINS0_14default_configENS1_36segmented_radix_sort_config_selectorIblEEZNS1_25segmented_radix_sort_implIS3_Lb1EPKbPbPKlPlN2at6native12_GLOBAL__N_18offset_tEEE10hipError_tPvRmT1_PNSt15iterator_traitsISK_E10value_typeET2_T3_PNSL_ISQ_E10value_typeET4_jRbjT5_SW_jjP12ihipStream_tbEUlT_E_NS1_11comp_targetILNS1_3genE0ELNS1_11target_archE4294967295ELNS1_3gpuE0ELNS1_3repE0EEENS1_30default_config_static_selectorELNS0_4arch9wavefront6targetE1EEEvSK_
                                        ; -- End function
	.section	.AMDGPU.csdata,"",@progbits
; Kernel info:
; codeLenInByte = 0
; NumSgprs: 4
; NumVgprs: 0
; NumAgprs: 0
; TotalNumVgprs: 0
; ScratchSize: 0
; MemoryBound: 0
; FloatMode: 240
; IeeeMode: 1
; LDSByteSize: 0 bytes/workgroup (compile time only)
; SGPRBlocks: 0
; VGPRBlocks: 0
; NumSGPRsForWavesPerEU: 4
; NumVGPRsForWavesPerEU: 1
; AccumOffset: 4
; Occupancy: 8
; WaveLimiterHint : 0
; COMPUTE_PGM_RSRC2:SCRATCH_EN: 0
; COMPUTE_PGM_RSRC2:USER_SGPR: 6
; COMPUTE_PGM_RSRC2:TRAP_HANDLER: 0
; COMPUTE_PGM_RSRC2:TGID_X_EN: 1
; COMPUTE_PGM_RSRC2:TGID_Y_EN: 0
; COMPUTE_PGM_RSRC2:TGID_Z_EN: 0
; COMPUTE_PGM_RSRC2:TIDIG_COMP_CNT: 0
; COMPUTE_PGM_RSRC3_GFX90A:ACCUM_OFFSET: 0
; COMPUTE_PGM_RSRC3_GFX90A:TG_SPLIT: 0
	.section	.text._ZN7rocprim17ROCPRIM_400000_NS6detail17trampoline_kernelINS0_14default_configENS1_36segmented_radix_sort_config_selectorIblEEZNS1_25segmented_radix_sort_implIS3_Lb1EPKbPbPKlPlN2at6native12_GLOBAL__N_18offset_tEEE10hipError_tPvRmT1_PNSt15iterator_traitsISK_E10value_typeET2_T3_PNSL_ISQ_E10value_typeET4_jRbjT5_SW_jjP12ihipStream_tbEUlT_E_NS1_11comp_targetILNS1_3genE5ELNS1_11target_archE942ELNS1_3gpuE9ELNS1_3repE0EEENS1_30default_config_static_selectorELNS0_4arch9wavefront6targetE1EEEvSK_,"axG",@progbits,_ZN7rocprim17ROCPRIM_400000_NS6detail17trampoline_kernelINS0_14default_configENS1_36segmented_radix_sort_config_selectorIblEEZNS1_25segmented_radix_sort_implIS3_Lb1EPKbPbPKlPlN2at6native12_GLOBAL__N_18offset_tEEE10hipError_tPvRmT1_PNSt15iterator_traitsISK_E10value_typeET2_T3_PNSL_ISQ_E10value_typeET4_jRbjT5_SW_jjP12ihipStream_tbEUlT_E_NS1_11comp_targetILNS1_3genE5ELNS1_11target_archE942ELNS1_3gpuE9ELNS1_3repE0EEENS1_30default_config_static_selectorELNS0_4arch9wavefront6targetE1EEEvSK_,comdat
	.globl	_ZN7rocprim17ROCPRIM_400000_NS6detail17trampoline_kernelINS0_14default_configENS1_36segmented_radix_sort_config_selectorIblEEZNS1_25segmented_radix_sort_implIS3_Lb1EPKbPbPKlPlN2at6native12_GLOBAL__N_18offset_tEEE10hipError_tPvRmT1_PNSt15iterator_traitsISK_E10value_typeET2_T3_PNSL_ISQ_E10value_typeET4_jRbjT5_SW_jjP12ihipStream_tbEUlT_E_NS1_11comp_targetILNS1_3genE5ELNS1_11target_archE942ELNS1_3gpuE9ELNS1_3repE0EEENS1_30default_config_static_selectorELNS0_4arch9wavefront6targetE1EEEvSK_ ; -- Begin function _ZN7rocprim17ROCPRIM_400000_NS6detail17trampoline_kernelINS0_14default_configENS1_36segmented_radix_sort_config_selectorIblEEZNS1_25segmented_radix_sort_implIS3_Lb1EPKbPbPKlPlN2at6native12_GLOBAL__N_18offset_tEEE10hipError_tPvRmT1_PNSt15iterator_traitsISK_E10value_typeET2_T3_PNSL_ISQ_E10value_typeET4_jRbjT5_SW_jjP12ihipStream_tbEUlT_E_NS1_11comp_targetILNS1_3genE5ELNS1_11target_archE942ELNS1_3gpuE9ELNS1_3repE0EEENS1_30default_config_static_selectorELNS0_4arch9wavefront6targetE1EEEvSK_
	.p2align	8
	.type	_ZN7rocprim17ROCPRIM_400000_NS6detail17trampoline_kernelINS0_14default_configENS1_36segmented_radix_sort_config_selectorIblEEZNS1_25segmented_radix_sort_implIS3_Lb1EPKbPbPKlPlN2at6native12_GLOBAL__N_18offset_tEEE10hipError_tPvRmT1_PNSt15iterator_traitsISK_E10value_typeET2_T3_PNSL_ISQ_E10value_typeET4_jRbjT5_SW_jjP12ihipStream_tbEUlT_E_NS1_11comp_targetILNS1_3genE5ELNS1_11target_archE942ELNS1_3gpuE9ELNS1_3repE0EEENS1_30default_config_static_selectorELNS0_4arch9wavefront6targetE1EEEvSK_,@function
_ZN7rocprim17ROCPRIM_400000_NS6detail17trampoline_kernelINS0_14default_configENS1_36segmented_radix_sort_config_selectorIblEEZNS1_25segmented_radix_sort_implIS3_Lb1EPKbPbPKlPlN2at6native12_GLOBAL__N_18offset_tEEE10hipError_tPvRmT1_PNSt15iterator_traitsISK_E10value_typeET2_T3_PNSL_ISQ_E10value_typeET4_jRbjT5_SW_jjP12ihipStream_tbEUlT_E_NS1_11comp_targetILNS1_3genE5ELNS1_11target_archE942ELNS1_3gpuE9ELNS1_3repE0EEENS1_30default_config_static_selectorELNS0_4arch9wavefront6targetE1EEEvSK_: ; @_ZN7rocprim17ROCPRIM_400000_NS6detail17trampoline_kernelINS0_14default_configENS1_36segmented_radix_sort_config_selectorIblEEZNS1_25segmented_radix_sort_implIS3_Lb1EPKbPbPKlPlN2at6native12_GLOBAL__N_18offset_tEEE10hipError_tPvRmT1_PNSt15iterator_traitsISK_E10value_typeET2_T3_PNSL_ISQ_E10value_typeET4_jRbjT5_SW_jjP12ihipStream_tbEUlT_E_NS1_11comp_targetILNS1_3genE5ELNS1_11target_archE942ELNS1_3gpuE9ELNS1_3repE0EEENS1_30default_config_static_selectorELNS0_4arch9wavefront6targetE1EEEvSK_
; %bb.0:
	.section	.rodata,"a",@progbits
	.p2align	6, 0x0
	.amdhsa_kernel _ZN7rocprim17ROCPRIM_400000_NS6detail17trampoline_kernelINS0_14default_configENS1_36segmented_radix_sort_config_selectorIblEEZNS1_25segmented_radix_sort_implIS3_Lb1EPKbPbPKlPlN2at6native12_GLOBAL__N_18offset_tEEE10hipError_tPvRmT1_PNSt15iterator_traitsISK_E10value_typeET2_T3_PNSL_ISQ_E10value_typeET4_jRbjT5_SW_jjP12ihipStream_tbEUlT_E_NS1_11comp_targetILNS1_3genE5ELNS1_11target_archE942ELNS1_3gpuE9ELNS1_3repE0EEENS1_30default_config_static_selectorELNS0_4arch9wavefront6targetE1EEEvSK_
		.amdhsa_group_segment_fixed_size 0
		.amdhsa_private_segment_fixed_size 0
		.amdhsa_kernarg_size 96
		.amdhsa_user_sgpr_count 6
		.amdhsa_user_sgpr_private_segment_buffer 1
		.amdhsa_user_sgpr_dispatch_ptr 0
		.amdhsa_user_sgpr_queue_ptr 0
		.amdhsa_user_sgpr_kernarg_segment_ptr 1
		.amdhsa_user_sgpr_dispatch_id 0
		.amdhsa_user_sgpr_flat_scratch_init 0
		.amdhsa_user_sgpr_kernarg_preload_length 0
		.amdhsa_user_sgpr_kernarg_preload_offset 0
		.amdhsa_user_sgpr_private_segment_size 0
		.amdhsa_uses_dynamic_stack 0
		.amdhsa_system_sgpr_private_segment_wavefront_offset 0
		.amdhsa_system_sgpr_workgroup_id_x 1
		.amdhsa_system_sgpr_workgroup_id_y 0
		.amdhsa_system_sgpr_workgroup_id_z 0
		.amdhsa_system_sgpr_workgroup_info 0
		.amdhsa_system_vgpr_workitem_id 0
		.amdhsa_next_free_vgpr 1
		.amdhsa_next_free_sgpr 0
		.amdhsa_accum_offset 4
		.amdhsa_reserve_vcc 0
		.amdhsa_reserve_flat_scratch 0
		.amdhsa_float_round_mode_32 0
		.amdhsa_float_round_mode_16_64 0
		.amdhsa_float_denorm_mode_32 3
		.amdhsa_float_denorm_mode_16_64 3
		.amdhsa_dx10_clamp 1
		.amdhsa_ieee_mode 1
		.amdhsa_fp16_overflow 0
		.amdhsa_tg_split 0
		.amdhsa_exception_fp_ieee_invalid_op 0
		.amdhsa_exception_fp_denorm_src 0
		.amdhsa_exception_fp_ieee_div_zero 0
		.amdhsa_exception_fp_ieee_overflow 0
		.amdhsa_exception_fp_ieee_underflow 0
		.amdhsa_exception_fp_ieee_inexact 0
		.amdhsa_exception_int_div_zero 0
	.end_amdhsa_kernel
	.section	.text._ZN7rocprim17ROCPRIM_400000_NS6detail17trampoline_kernelINS0_14default_configENS1_36segmented_radix_sort_config_selectorIblEEZNS1_25segmented_radix_sort_implIS3_Lb1EPKbPbPKlPlN2at6native12_GLOBAL__N_18offset_tEEE10hipError_tPvRmT1_PNSt15iterator_traitsISK_E10value_typeET2_T3_PNSL_ISQ_E10value_typeET4_jRbjT5_SW_jjP12ihipStream_tbEUlT_E_NS1_11comp_targetILNS1_3genE5ELNS1_11target_archE942ELNS1_3gpuE9ELNS1_3repE0EEENS1_30default_config_static_selectorELNS0_4arch9wavefront6targetE1EEEvSK_,"axG",@progbits,_ZN7rocprim17ROCPRIM_400000_NS6detail17trampoline_kernelINS0_14default_configENS1_36segmented_radix_sort_config_selectorIblEEZNS1_25segmented_radix_sort_implIS3_Lb1EPKbPbPKlPlN2at6native12_GLOBAL__N_18offset_tEEE10hipError_tPvRmT1_PNSt15iterator_traitsISK_E10value_typeET2_T3_PNSL_ISQ_E10value_typeET4_jRbjT5_SW_jjP12ihipStream_tbEUlT_E_NS1_11comp_targetILNS1_3genE5ELNS1_11target_archE942ELNS1_3gpuE9ELNS1_3repE0EEENS1_30default_config_static_selectorELNS0_4arch9wavefront6targetE1EEEvSK_,comdat
.Lfunc_end1531:
	.size	_ZN7rocprim17ROCPRIM_400000_NS6detail17trampoline_kernelINS0_14default_configENS1_36segmented_radix_sort_config_selectorIblEEZNS1_25segmented_radix_sort_implIS3_Lb1EPKbPbPKlPlN2at6native12_GLOBAL__N_18offset_tEEE10hipError_tPvRmT1_PNSt15iterator_traitsISK_E10value_typeET2_T3_PNSL_ISQ_E10value_typeET4_jRbjT5_SW_jjP12ihipStream_tbEUlT_E_NS1_11comp_targetILNS1_3genE5ELNS1_11target_archE942ELNS1_3gpuE9ELNS1_3repE0EEENS1_30default_config_static_selectorELNS0_4arch9wavefront6targetE1EEEvSK_, .Lfunc_end1531-_ZN7rocprim17ROCPRIM_400000_NS6detail17trampoline_kernelINS0_14default_configENS1_36segmented_radix_sort_config_selectorIblEEZNS1_25segmented_radix_sort_implIS3_Lb1EPKbPbPKlPlN2at6native12_GLOBAL__N_18offset_tEEE10hipError_tPvRmT1_PNSt15iterator_traitsISK_E10value_typeET2_T3_PNSL_ISQ_E10value_typeET4_jRbjT5_SW_jjP12ihipStream_tbEUlT_E_NS1_11comp_targetILNS1_3genE5ELNS1_11target_archE942ELNS1_3gpuE9ELNS1_3repE0EEENS1_30default_config_static_selectorELNS0_4arch9wavefront6targetE1EEEvSK_
                                        ; -- End function
	.section	.AMDGPU.csdata,"",@progbits
; Kernel info:
; codeLenInByte = 0
; NumSgprs: 4
; NumVgprs: 0
; NumAgprs: 0
; TotalNumVgprs: 0
; ScratchSize: 0
; MemoryBound: 0
; FloatMode: 240
; IeeeMode: 1
; LDSByteSize: 0 bytes/workgroup (compile time only)
; SGPRBlocks: 0
; VGPRBlocks: 0
; NumSGPRsForWavesPerEU: 4
; NumVGPRsForWavesPerEU: 1
; AccumOffset: 4
; Occupancy: 8
; WaveLimiterHint : 0
; COMPUTE_PGM_RSRC2:SCRATCH_EN: 0
; COMPUTE_PGM_RSRC2:USER_SGPR: 6
; COMPUTE_PGM_RSRC2:TRAP_HANDLER: 0
; COMPUTE_PGM_RSRC2:TGID_X_EN: 1
; COMPUTE_PGM_RSRC2:TGID_Y_EN: 0
; COMPUTE_PGM_RSRC2:TGID_Z_EN: 0
; COMPUTE_PGM_RSRC2:TIDIG_COMP_CNT: 0
; COMPUTE_PGM_RSRC3_GFX90A:ACCUM_OFFSET: 0
; COMPUTE_PGM_RSRC3_GFX90A:TG_SPLIT: 0
	.text
	.p2align	2                               ; -- Begin function _ZN7rocprim17ROCPRIM_400000_NS6detail40segmented_radix_sort_single_block_helperIblLj256ELj8ELb1EE4sortIPKbPbPKlPlEEbT_T0_T1_T2_jjjjRNS3_12storage_typeE
	.type	_ZN7rocprim17ROCPRIM_400000_NS6detail40segmented_radix_sort_single_block_helperIblLj256ELj8ELb1EE4sortIPKbPbPKlPlEEbT_T0_T1_T2_jjjjRNS3_12storage_typeE,@function
_ZN7rocprim17ROCPRIM_400000_NS6detail40segmented_radix_sort_single_block_helperIblLj256ELj8ELb1EE4sortIPKbPbPKlPlEEbT_T0_T1_T2_jjjjRNS3_12storage_typeE: ; @_ZN7rocprim17ROCPRIM_400000_NS6detail40segmented_radix_sort_single_block_helperIblLj256ELj8ELb1EE4sortIPKbPbPKlPlEEbT_T0_T1_T2_jjjjRNS3_12storage_typeE
; %bb.0:
	s_waitcnt vmcnt(0) expcnt(0) lgkmcnt(0)
	s_or_saveexec_b64 s[4:5], -1
	buffer_store_dword v40, off, s[0:3], s32 ; 4-byte Folded Spill
	s_mov_b64 exec, s[4:5]
	v_writelane_b32 v40, s34, 0
	v_writelane_b32 v40, s35, 1
	;; [unrolled: 1-line block ×15, first 2 shown]
	v_sub_u32_e32 v103, v9, v8
	s_movk_i32 s4, 0x801
	v_cmp_gt_u32_e32 vcc, s4, v103
	s_and_saveexec_b64 s[38:39], vcc
	s_cbranch_execz .LBB1532_199
; %bb.1:
	s_movk_i32 s4, 0x400
	v_cmp_lt_u32_e32 vcc, s4, v103
	v_bfe_u32 v18, v31, 10, 10
	v_bfe_u32 v21, v31, 20, 10
	v_mbcnt_lo_u32_b32 v14, -1, 0
	s_and_saveexec_b64 s[4:5], vcc
	s_xor_b64 s[40:41], exec, s[4:5]
	s_cbranch_execz .LBB1532_79
; %bb.2:
	s_load_dwordx2 s[4:5], s[8:9], 0x0
	v_mov_b32_e32 v9, 0
	v_add_co_u32_e32 v0, vcc, v0, v8
	v_mbcnt_hi_u32_b32 v17, -1, v14
	s_waitcnt lgkmcnt(0)
	s_cmp_lt_u32 s12, s4
	s_cselect_b32 s6, 12, 18
	s_cmp_lt_u32 s13, s5
	s_cselect_b32 s4, 14, 20
	s_add_u32 s4, s8, s4
	s_addc_u32 s5, s9, 0
	s_add_u32 s6, s8, s6
	global_load_ushort v15, v9, s[4:5]
	s_addc_u32 s7, s9, 0
	global_load_ushort v22, v9, s[6:7]
	v_addc_co_u32_e32 v1, vcc, 0, v1, vcc
	v_and_b32_e32 v16, 63, v17
	v_and_b32_e32 v20, 0x3ff, v31
	v_add_co_u32_e32 v14, vcc, v0, v16
	v_addc_co_u32_e32 v23, vcc, 0, v1, vcc
	s_mov_b32 s4, 0
	s_mov_b32 s5, s4
	v_mov_b32_e32 v19, v9
	s_waitcnt vmcnt(1)
	v_mad_u32_u24 v0, v21, v15, v18
	s_waitcnt vmcnt(0)
	v_mad_u64_u32 v[0:1], s[6:7], v0, v22, v[20:21]
	v_lshlrev_b32_e32 v1, 3, v0
	v_and_b32_e32 v18, 0xfffffe00, v1
	v_add_co_u32_e32 v22, vcc, v14, v18
	v_addc_co_u32_e32 v23, vcc, 0, v23, vcc
	v_or_b32_e32 v1, v18, v16
	v_cmp_lt_u32_e32 vcc, v1, v103
	v_pk_mov_b32 v[14:15], s[4:5], s[4:5] op_sel:[0,1]
	s_and_saveexec_b64 s[6:7], vcc
	s_cbranch_execz .LBB1532_4
; %bb.3:
	flat_load_ubyte v14, v[22:23]
	v_mov_b32_e32 v15, s4
	s_waitcnt vmcnt(0) lgkmcnt(0)
	v_and_b32_e32 v14, 0xffff, v14
.LBB1532_4:
	s_or_b64 exec, exec, s[6:7]
	v_or_b32_e32 v21, 64, v1
	v_cmp_lt_u32_e64 s[4:5], v21, v103
	s_and_saveexec_b64 s[6:7], s[4:5]
	s_cbranch_execz .LBB1532_6
; %bb.5:
	flat_load_ubyte v21, v[22:23] offset:64
	s_mov_b32 s10, 0x7060004
	s_waitcnt vmcnt(0) lgkmcnt(0)
	v_perm_b32 v14, v14, v21, s10
.LBB1532_6:
	s_or_b64 exec, exec, s[6:7]
	v_or_b32_e32 v21, 0x80, v1
	v_cmp_lt_u32_e64 s[6:7], v21, v103
	s_and_saveexec_b64 s[10:11], s[6:7]
	s_cbranch_execz .LBB1532_8
; %bb.7:
	flat_load_ubyte v21, v[22:23] offset:128
	s_movk_i32 s14, 0xff00
	v_and_b32_sdwa v24, v14, s14 dst_sel:DWORD dst_unused:UNUSED_PAD src0_sel:WORD_1 src1_sel:DWORD
	s_mov_b32 s14, 0xffff
	s_waitcnt vmcnt(0) lgkmcnt(0)
	v_or_b32_sdwa v21, v21, v24 dst_sel:WORD_1 dst_unused:UNUSED_PAD src0_sel:DWORD src1_sel:DWORD
	v_and_or_b32 v14, v14, s14, v21
.LBB1532_8:
	s_or_b64 exec, exec, s[10:11]
	v_or_b32_e32 v21, 0xc0, v1
	v_cmp_lt_u32_e64 s[10:11], v21, v103
	s_and_saveexec_b64 s[14:15], s[10:11]
	s_cbranch_execz .LBB1532_10
; %bb.9:
	flat_load_ubyte v21, v[22:23] offset:192
	s_movk_i32 s16, 0xff
	v_and_b32_sdwa v24, v14, s16 dst_sel:DWORD dst_unused:UNUSED_PAD src0_sel:WORD_1 src1_sel:DWORD
	s_mov_b32 s16, 0xffff
	s_waitcnt vmcnt(0) lgkmcnt(0)
	v_lshlrev_b16_e32 v21, 8, v21
	v_or_b32_sdwa v21, v24, v21 dst_sel:WORD_1 dst_unused:UNUSED_PAD src0_sel:DWORD src1_sel:DWORD
	v_and_or_b32 v14, v14, s16, v21
.LBB1532_10:
	s_or_b64 exec, exec, s[14:15]
	v_or_b32_e32 v21, 0x100, v1
	v_cmp_lt_u32_e64 s[20:21], v21, v103
	s_and_saveexec_b64 s[14:15], s[20:21]
	s_cbranch_execz .LBB1532_12
; %bb.11:
	flat_load_ubyte v21, v[22:23] offset:256
	s_mov_b32 s16, 0x3020104
	s_waitcnt vmcnt(0) lgkmcnt(0)
	v_perm_b32 v15, v21, v15, s16
.LBB1532_12:
	s_or_b64 exec, exec, s[14:15]
	v_or_b32_e32 v21, 0x140, v1
	v_cmp_lt_u32_e64 s[14:15], v21, v103
	s_and_saveexec_b64 s[16:17], s[14:15]
	s_cbranch_execz .LBB1532_14
; %bb.13:
	flat_load_ubyte v21, v[22:23] offset:320
	s_mov_b32 s18, 0x7060004
	s_waitcnt vmcnt(0) lgkmcnt(0)
	v_perm_b32 v15, v15, v21, s18
.LBB1532_14:
	s_or_b64 exec, exec, s[16:17]
	v_or_b32_e32 v21, 0x180, v1
	v_cmp_lt_u32_e64 s[16:17], v21, v103
	s_and_saveexec_b64 s[18:19], s[16:17]
	s_cbranch_execz .LBB1532_16
; %bb.15:
	flat_load_ubyte v21, v[22:23] offset:384
	s_mov_b32 s22, 0x7000504
	s_waitcnt vmcnt(0) lgkmcnt(0)
	v_perm_b32 v15, v15, v21, s22
.LBB1532_16:
	s_or_b64 exec, exec, s[18:19]
	v_or_b32_e32 v1, 0x1c0, v1
	v_cmp_lt_u32_e64 s[18:19], v1, v103
	s_and_saveexec_b64 s[22:23], s[18:19]
	s_cbranch_execz .LBB1532_18
; %bb.17:
	flat_load_ubyte v1, v[22:23] offset:448
	s_mov_b32 s24, 0x60504
	s_waitcnt vmcnt(0) lgkmcnt(0)
	v_perm_b32 v15, v15, v1, s24
.LBB1532_18:
	s_or_b64 exec, exec, s[22:23]
	v_lshlrev_b64 v[22:23], 3, v[8:9]
	v_add_co_u32_e64 v1, s[22:23], v4, v22
	v_addc_co_u32_e64 v4, s[22:23], v5, v23, s[22:23]
	v_lshlrev_b32_e32 v5, 3, v16
	v_add_co_u32_e64 v1, s[22:23], v1, v5
	v_addc_co_u32_e64 v9, s[22:23], 0, v4, s[22:23]
	v_lshlrev_b64 v[4:5], 3, v[18:19]
	v_add_co_u32_e64 v4, s[22:23], v1, v4
	v_addc_co_u32_e64 v5, s[22:23], v9, v5, s[22:23]
                                        ; implicit-def: $vgpr18_vgpr19
	s_and_saveexec_b64 s[22:23], vcc
	s_cbranch_execnz .LBB1532_112
; %bb.19:
	s_or_b64 exec, exec, s[22:23]
                                        ; implicit-def: $vgpr70_vgpr71
	s_and_saveexec_b64 s[22:23], s[4:5]
	s_cbranch_execnz .LBB1532_113
.LBB1532_20:
	s_or_b64 exec, exec, s[22:23]
                                        ; implicit-def: $vgpr80_vgpr81
	s_and_saveexec_b64 s[4:5], s[6:7]
	s_cbranch_execnz .LBB1532_114
.LBB1532_21:
	s_or_b64 exec, exec, s[4:5]
                                        ; implicit-def: $vgpr82_vgpr83
	s_and_saveexec_b64 s[4:5], s[10:11]
	s_cbranch_execnz .LBB1532_115
.LBB1532_22:
	s_or_b64 exec, exec, s[4:5]
                                        ; implicit-def: $vgpr84_vgpr85
	s_and_saveexec_b64 s[4:5], s[20:21]
	s_cbranch_execnz .LBB1532_116
.LBB1532_23:
	s_or_b64 exec, exec, s[4:5]
                                        ; implicit-def: $vgpr86_vgpr87
	s_and_saveexec_b64 s[4:5], s[14:15]
	s_cbranch_execnz .LBB1532_117
.LBB1532_24:
	s_or_b64 exec, exec, s[4:5]
                                        ; implicit-def: $vgpr96_vgpr97
	s_and_saveexec_b64 s[4:5], s[16:17]
	s_cbranch_execnz .LBB1532_118
.LBB1532_25:
	s_or_b64 exec, exec, s[4:5]
                                        ; implicit-def: $vgpr100_vgpr101
	s_and_saveexec_b64 s[4:5], s[18:19]
	s_cbranch_execz .LBB1532_27
.LBB1532_26:
	flat_load_dwordx2 v[100:101], v[4:5] offset:3584
.LBB1532_27:
	s_or_b64 exec, exec, s[4:5]
	v_mov_b32_e32 v1, 1
	v_and_b32_sdwa v4, v1, v15 dst_sel:DWORD dst_unused:UNUSED_PAD src0_sel:DWORD src1_sel:BYTE_1
	v_and_b32_sdwa v1, v1, v14 dst_sel:DWORD dst_unused:UNUSED_PAD src0_sel:DWORD src1_sel:BYTE_1
	v_cmp_eq_u32_e64 s[4:5], 1, v1
	v_and_b32_e32 v1, 0x1000000, v15
	v_cmp_ne_u32_e64 s[6:7], 0, v1
	v_and_b32_e32 v1, 0x10000, v15
	v_cmp_ne_u32_e64 s[10:11], 0, v1
	v_and_b32_e32 v1, 1, v15
	v_cmp_eq_u32_e64 s[14:15], 1, v1
	v_and_b32_e32 v1, 0x1000000, v14
	v_cmp_ne_u32_e64 s[16:17], 0, v1
	v_and_b32_e32 v1, 0x10000, v14
	v_cmp_ne_u32_e64 s[18:19], 0, v1
	s_xor_b64 s[4:5], s[4:5], -1
	v_cndmask_b32_e64 v30, 0, 1, s[4:5]
	s_xor_b64 s[4:5], s[18:19], -1
	v_cndmask_b32_e64 v31, 0, 1, s[4:5]
	s_xor_b64 s[4:5], s[16:17], -1
	v_cmp_eq_u32_e32 vcc, 1, v4
	v_and_b32_e32 v1, 1, v14
	v_cndmask_b32_e64 v32, 0, 1, s[4:5]
	s_xor_b64 s[4:5], s[14:15], -1
	v_cmp_eq_u32_e64 s[20:21], 1, v1
	v_cndmask_b32_e64 v33, 0, 1, s[4:5]
	s_xor_b64 s[4:5], vcc, -1
	v_add_co_u32_e32 v1, vcc, 16, v12
	v_cndmask_b32_e64 v34, 0, 1, s[4:5]
	s_xor_b64 s[4:5], s[10:11], -1
	v_addc_co_u32_e32 v9, vcc, 0, v13, vcc
	v_lshlrev_b32_e32 v4, 4, v20
	s_xor_b64 s[20:21], s[20:21], -1
	v_cndmask_b32_e64 v35, 0, 1, s[4:5]
	s_xor_b64 s[4:5], s[6:7], -1
	v_add_co_u32_e32 v4, vcc, v12, v4
	v_cndmask_b32_e64 v36, 0, 1, s[4:5]
	s_getpc_b64 s[4:5]
	s_add_u32 s4, s4, _ZN7rocprim17ROCPRIM_400000_NS16block_radix_sortIbLj256ELj8ElLj1ELj1ELj8ELNS0_26block_radix_rank_algorithmE2ELNS0_18block_padding_hintE2ELNS0_4arch9wavefront6targetE1EE19radix_bits_per_passE@rel32@lo+4
	s_addc_u32 s5, s5, _ZN7rocprim17ROCPRIM_400000_NS16block_radix_sortIbLj256ELj8ElLj1ELj1ELj8ELNS0_26block_radix_rank_algorithmE2ELNS0_18block_padding_hintE2ELNS0_4arch9wavefront6targetE1EE19radix_bits_per_passE@rel32@hi+12
	v_addc_co_u32_e32 v5, vcc, 0, v13, vcc
	v_and_b32_e32 v24, 15, v17
	s_load_dword s46, s[4:5], 0x0
	v_cmp_eq_u32_e32 vcc, 0, v24
	v_cmp_lt_u32_e64 s[4:5], 1, v24
	v_cmp_lt_u32_e64 s[6:7], 3, v24
	;; [unrolled: 1-line block ×3, first 2 shown]
	v_and_b32_e32 v24, 16, v17
	v_cmp_eq_u32_e64 s[30:31], 0, v24
	v_and_b32_e32 v24, 0x3c0, v20
	v_min_u32_e32 v24, 0xc0, v24
	v_or_b32_e32 v24, 63, v24
	v_cmp_eq_u32_e64 s[16:17], v24, v20
	v_add_u32_e32 v24, -1, v17
	v_and_b32_e32 v25, 64, v17
	v_cmp_lt_i32_e64 s[22:23], v24, v25
	v_lshrrev_b32_e32 v28, 6, v20
	v_cndmask_b32_e64 v24, v24, v17, s[22:23]
	v_mov_b32_e32 v14, 0
	v_lshlrev_b32_e32 v113, 2, v24
	v_lshlrev_b32_e32 v24, 2, v28
	v_add_co_u32_e64 v24, s[26:27], v12, v24
	v_add_u32_e32 v28, -1, v28
	v_mov_b32_e32 v29, v14
	v_lshlrev_b32_e32 v26, 2, v20
	v_addc_co_u32_e64 v25, s[26:27], 0, v13, s[26:27]
	v_lshlrev_b64 v[28:29], 2, v[28:29]
	v_add_co_u32_e64 v26, s[26:27], v12, v26
	v_add_co_u32_e64 v28, s[34:35], v12, v28
	v_cmp_lt_u32_e64 s[14:15], 31, v17
	v_cmp_eq_u32_e64 s[22:23], 0, v17
	v_addc_co_u32_e64 v27, s[26:27], 0, v13, s[26:27]
	v_and_b32_e32 v17, 3, v17
	v_addc_co_u32_e64 v29, s[34:35], v13, v29, s[34:35]
	v_cmp_eq_u32_e64 s[26:27], 0, v17
	v_cmp_lt_u32_e64 s[28:29], 1, v17
	v_lshlrev_b32_e32 v17, 3, v20
	s_movk_i32 s34, 0x1e00
	v_and_or_b32 v16, v17, s34, v16
	v_add_co_u32_e64 v48, s[34:35], v12, v16
	v_addc_co_u32_e64 v49, s[34:35], 0, v13, s[34:35]
	v_cndmask_b32_e64 v15, 0, 1, s[20:21]
	v_mad_u64_u32 v[64:65], s[34:35], v16, 7, v[48:49]
	v_lshlrev_b16_e32 v16, 8, v30
	v_or_b32_e32 v15, v15, v16
	v_lshlrev_b16_e32 v16, 8, v32
	v_or_b32_sdwa v16, v31, v16 dst_sel:WORD_1 dst_unused:UNUSED_PAD src0_sel:DWORD src1_sel:DWORD
	v_or_b32_sdwa v66, v15, v16 dst_sel:DWORD dst_unused:UNUSED_PAD src0_sel:WORD_0 src1_sel:DWORD
	v_lshlrev_b16_e32 v15, 8, v34
	v_lshlrev_b16_e32 v16, 8, v36
	v_or_b32_e32 v15, v33, v15
	v_or_b32_sdwa v16, v35, v16 dst_sel:WORD_1 dst_unused:UNUSED_PAD src0_sel:DWORD src1_sel:DWORD
	v_lshrrev_b32_e32 v21, 6, v0
	v_cmp_gt_u32_e64 s[18:19], 4, v20
	v_cmp_lt_u32_e64 s[20:21], 63, v20
	v_cmp_eq_u32_e64 s[24:25], 0, v20
	v_or_b32_sdwa v67, v15, v16 dst_sel:DWORD dst_unused:UNUSED_PAD src0_sel:WORD_0 src1_sel:DWORD
	v_sub_u32_e32 v115, v11, v10
	s_mov_b64 s[42:43], 0
	s_waitcnt lgkmcnt(0)
	s_barrier
	s_branch .LBB1532_29
.LBB1532_28:                            ;   in Loop: Header=BB1532_29 Depth=1
	s_or_b64 exec, exec, s[36:37]
	s_and_b64 s[34:35], exec, s[44:45]
	s_or_b64 s[42:43], s[34:35], s[42:43]
	s_andn2_b64 exec, exec, s[42:43]
	s_cbranch_execz .LBB1532_53
.LBB1532_29:                            ; =>This Inner Loop Header: Depth=1
	s_waitcnt vmcnt(0)
	v_pk_mov_b32 v[54:55], v[18:19], v[18:19] op_sel:[0,1]
	v_min_u32_e32 v18, s46, v115
	v_mov_b32_e32 v15, v14
	v_mov_b32_e32 v16, v14
	;; [unrolled: 1-line block ×3, first 2 shown]
	flat_store_dwordx4 v[4:5], v[14:17] offset:16
	v_pk_mov_b32 v[52:53], v[70:71], v[70:71] op_sel:[0,1]
	v_lshlrev_b32_e64 v15, v18, -1
	v_not_b32_e32 v18, v15
	v_lshrrev_b32_sdwa v15, v10, v66 dst_sel:DWORD dst_unused:UNUSED_PAD src0_sel:DWORD src1_sel:BYTE_0
	v_and_b32_e32 v15, v15, v18
	v_lshlrev_b32_e32 v16, 2, v15
	v_add_lshl_u32 v16, v16, v21, 2
	v_add_co_u32_e64 v70, s[34:35], v1, v16
	v_addc_co_u32_e64 v71, s[34:35], 0, v9, s[34:35]
	v_cmp_ne_u32_e64 s[34:35], 0, v15
	v_add_co_u32_e64 v15, s[36:37], -1, v15
	v_addc_co_u32_e64 v16, s[36:37], 0, -1, s[36:37]
	v_xor_b32_e32 v16, s35, v16
	v_xor_b32_e32 v15, s34, v15
	v_and_b32_e32 v17, exec_hi, v16
	v_and_b32_e32 v16, exec_lo, v15
	v_mbcnt_lo_u32_b32 v15, v16, 0
	v_mbcnt_hi_u32_b32 v15, v17, v15
	v_cmp_eq_u32_e64 s[34:35], 0, v15
	v_cmp_ne_u64_e64 s[36:37], 0, v[16:17]
	v_pk_mov_b32 v[50:51], v[80:81], v[80:81] op_sel:[0,1]
	v_pk_mov_b32 v[38:39], v[82:83], v[82:83] op_sel:[0,1]
	;; [unrolled: 1-line block ×6, first 2 shown]
	s_and_b64 s[36:37], s[36:37], s[34:35]
	s_waitcnt lgkmcnt(0)
	s_barrier
	s_waitcnt lgkmcnt(0)
	; wave barrier
	s_and_saveexec_b64 s[34:35], s[36:37]
	s_cbranch_execz .LBB1532_31
; %bb.30:                               ;   in Loop: Header=BB1532_29 Depth=1
	v_bcnt_u32_b32 v16, v16, 0
	v_bcnt_u32_b32 v16, v17, v16
	flat_store_dword v[70:71], v16
.LBB1532_31:                            ;   in Loop: Header=BB1532_29 Depth=1
	s_or_b64 exec, exec, s[34:35]
	v_lshrrev_b32_sdwa v16, v10, v66 dst_sel:DWORD dst_unused:UNUSED_PAD src0_sel:DWORD src1_sel:BYTE_1
	v_and_b32_e32 v16, v16, v18
	v_lshlrev_b32_e32 v17, 2, v16
	v_add_lshl_u32 v17, v17, v21, 2
	v_add_co_u32_e64 v80, s[34:35], v1, v17
	v_addc_co_u32_e64 v81, s[34:35], 0, v9, s[34:35]
	; wave barrier
	flat_load_dword v102, v[80:81]
	v_cmp_ne_u32_e64 s[34:35], 0, v16
	v_add_co_u32_e64 v16, s[36:37], -1, v16
	v_addc_co_u32_e64 v17, s[36:37], 0, -1, s[36:37]
	v_xor_b32_e32 v16, s34, v16
	v_xor_b32_e32 v17, s35, v17
	v_and_b32_e32 v16, exec_lo, v16
	v_pk_mov_b32 v[68:69], v[66:67], v[66:67] op_sel:[0,1]
	v_and_b32_e32 v17, exec_hi, v17
	v_mbcnt_lo_u32_b32 v19, v16, 0
	v_mbcnt_hi_u32_b32 v68, v17, v19
	v_cmp_eq_u32_e64 s[34:35], 0, v68
	v_cmp_ne_u64_e64 s[36:37], 0, v[16:17]
	s_and_b64 s[36:37], s[36:37], s[34:35]
	; wave barrier
	s_and_saveexec_b64 s[34:35], s[36:37]
	s_cbranch_execz .LBB1532_33
; %bb.32:                               ;   in Loop: Header=BB1532_29 Depth=1
	v_bcnt_u32_b32 v16, v16, 0
	v_bcnt_u32_b32 v16, v17, v16
	s_waitcnt vmcnt(0) lgkmcnt(0)
	v_add_u32_e32 v16, v102, v16
	flat_store_dword v[80:81], v16
.LBB1532_33:                            ;   in Loop: Header=BB1532_29 Depth=1
	s_or_b64 exec, exec, s[34:35]
	v_lshrrev_b32_sdwa v16, v10, v66 dst_sel:DWORD dst_unused:UNUSED_PAD src0_sel:DWORD src1_sel:BYTE_2
	v_and_b32_e32 v16, v16, v18
	v_lshlrev_b32_e32 v17, 2, v16
	v_add_lshl_u32 v17, v17, v21, 2
	v_add_co_u32_e64 v82, s[34:35], v1, v17
	v_addc_co_u32_e64 v83, s[34:35], 0, v9, s[34:35]
	; wave barrier
	flat_load_dword v112, v[82:83]
	v_cmp_ne_u32_e64 s[34:35], 0, v16
	v_add_co_u32_e64 v16, s[36:37], -1, v16
	v_addc_co_u32_e64 v17, s[36:37], 0, -1, s[36:37]
	v_xor_b32_e32 v16, s34, v16
	v_xor_b32_e32 v17, s35, v17
	v_and_b32_e32 v16, exec_lo, v16
	v_and_b32_e32 v17, exec_hi, v17
	v_mbcnt_lo_u32_b32 v19, v16, 0
	v_mbcnt_hi_u32_b32 v114, v17, v19
	v_cmp_eq_u32_e64 s[34:35], 0, v114
	v_cmp_ne_u64_e64 s[36:37], 0, v[16:17]
	s_and_b64 s[36:37], s[36:37], s[34:35]
	; wave barrier
	s_and_saveexec_b64 s[34:35], s[36:37]
	s_cbranch_execz .LBB1532_35
; %bb.34:                               ;   in Loop: Header=BB1532_29 Depth=1
	v_bcnt_u32_b32 v16, v16, 0
	v_bcnt_u32_b32 v16, v17, v16
	s_waitcnt vmcnt(0) lgkmcnt(0)
	v_add_u32_e32 v16, v112, v16
	flat_store_dword v[82:83], v16
.LBB1532_35:                            ;   in Loop: Header=BB1532_29 Depth=1
	s_or_b64 exec, exec, s[34:35]
	v_alignbit_b32 v16, v67, v66, 24
	v_lshrrev_b32_sdwa v16, v10, v16 dst_sel:DWORD dst_unused:UNUSED_PAD src0_sel:DWORD src1_sel:BYTE_0
	v_and_b32_e32 v16, v16, v18
	v_lshlrev_b32_e32 v17, 2, v16
	v_add_lshl_u32 v17, v17, v21, 2
	v_add_co_u32_e64 v84, s[34:35], v1, v17
	v_addc_co_u32_e64 v85, s[34:35], 0, v9, s[34:35]
	; wave barrier
	flat_load_dword v119, v[84:85]
	v_cmp_ne_u32_e64 s[34:35], 0, v16
	v_add_co_u32_e64 v16, s[36:37], -1, v16
	v_addc_co_u32_e64 v17, s[36:37], 0, -1, s[36:37]
	v_xor_b32_e32 v16, s34, v16
	v_xor_b32_e32 v17, s35, v17
	v_and_b32_e32 v16, exec_lo, v16
	v_and_b32_e32 v17, exec_hi, v17
	v_mbcnt_lo_u32_b32 v19, v16, 0
	v_mbcnt_hi_u32_b32 v128, v17, v19
	v_cmp_eq_u32_e64 s[34:35], 0, v128
	v_cmp_ne_u64_e64 s[36:37], 0, v[16:17]
	s_and_b64 s[36:37], s[36:37], s[34:35]
	; wave barrier
	s_and_saveexec_b64 s[34:35], s[36:37]
	s_cbranch_execz .LBB1532_37
; %bb.36:                               ;   in Loop: Header=BB1532_29 Depth=1
	v_bcnt_u32_b32 v16, v16, 0
	v_bcnt_u32_b32 v16, v17, v16
	s_waitcnt vmcnt(0) lgkmcnt(0)
	v_add_u32_e32 v16, v119, v16
	flat_store_dword v[84:85], v16
.LBB1532_37:                            ;   in Loop: Header=BB1532_29 Depth=1
	s_or_b64 exec, exec, s[34:35]
	v_lshrrev_b32_sdwa v16, v10, v67 dst_sel:DWORD dst_unused:UNUSED_PAD src0_sel:DWORD src1_sel:BYTE_0
	v_and_b32_e32 v16, v16, v18
	v_lshlrev_b32_e32 v17, 2, v16
	v_add_lshl_u32 v17, v17, v21, 2
	v_add_co_u32_e64 v86, s[34:35], v1, v17
	v_addc_co_u32_e64 v87, s[34:35], 0, v9, s[34:35]
	; wave barrier
	flat_load_dword v129, v[86:87]
	v_cmp_ne_u32_e64 s[34:35], 0, v16
	v_add_co_u32_e64 v16, s[36:37], -1, v16
	v_addc_co_u32_e64 v17, s[36:37], 0, -1, s[36:37]
	v_xor_b32_e32 v16, s34, v16
	v_xor_b32_e32 v17, s35, v17
	v_and_b32_e32 v16, exec_lo, v16
	v_and_b32_e32 v17, exec_hi, v17
	v_mbcnt_lo_u32_b32 v19, v16, 0
	v_mbcnt_hi_u32_b32 v130, v17, v19
	v_cmp_eq_u32_e64 s[34:35], 0, v130
	v_cmp_ne_u64_e64 s[36:37], 0, v[16:17]
	s_and_b64 s[36:37], s[36:37], s[34:35]
	; wave barrier
	s_and_saveexec_b64 s[34:35], s[36:37]
	s_cbranch_execz .LBB1532_39
; %bb.38:                               ;   in Loop: Header=BB1532_29 Depth=1
	v_bcnt_u32_b32 v16, v16, 0
	v_bcnt_u32_b32 v16, v17, v16
	s_waitcnt vmcnt(0) lgkmcnt(0)
	v_add_u32_e32 v16, v129, v16
	flat_store_dword v[86:87], v16
.LBB1532_39:                            ;   in Loop: Header=BB1532_29 Depth=1
	s_or_b64 exec, exec, s[34:35]
	v_lshrrev_b32_sdwa v16, v10, v67 dst_sel:DWORD dst_unused:UNUSED_PAD src0_sel:DWORD src1_sel:BYTE_1
	v_and_b32_e32 v16, v16, v18
	v_lshlrev_b32_e32 v17, 2, v16
	v_add_lshl_u32 v17, v17, v21, 2
	v_add_co_u32_e64 v96, s[34:35], v1, v17
	v_addc_co_u32_e64 v97, s[34:35], 0, v9, s[34:35]
	; wave barrier
	flat_load_dword v131, v[96:97]
	v_cmp_ne_u32_e64 s[34:35], 0, v16
	v_add_co_u32_e64 v16, s[36:37], -1, v16
	v_addc_co_u32_e64 v17, s[36:37], 0, -1, s[36:37]
	v_xor_b32_e32 v16, s34, v16
	v_xor_b32_e32 v17, s35, v17
	v_and_b32_e32 v16, exec_lo, v16
	v_and_b32_e32 v17, exec_hi, v17
	v_mbcnt_lo_u32_b32 v19, v16, 0
	v_mbcnt_hi_u32_b32 v132, v17, v19
	v_cmp_eq_u32_e64 s[34:35], 0, v132
	v_cmp_ne_u64_e64 s[36:37], 0, v[16:17]
	s_and_b64 s[36:37], s[36:37], s[34:35]
	; wave barrier
	s_and_saveexec_b64 s[34:35], s[36:37]
	s_cbranch_execz .LBB1532_41
; %bb.40:                               ;   in Loop: Header=BB1532_29 Depth=1
	v_bcnt_u32_b32 v16, v16, 0
	v_bcnt_u32_b32 v16, v17, v16
	s_waitcnt vmcnt(0) lgkmcnt(0)
	v_add_u32_e32 v16, v131, v16
	flat_store_dword v[96:97], v16
.LBB1532_41:                            ;   in Loop: Header=BB1532_29 Depth=1
	s_or_b64 exec, exec, s[34:35]
	v_lshrrev_b32_sdwa v16, v10, v67 dst_sel:DWORD dst_unused:UNUSED_PAD src0_sel:DWORD src1_sel:BYTE_2
	v_and_b32_e32 v16, v16, v18
	v_lshlrev_b32_e32 v17, 2, v16
	v_add_lshl_u32 v17, v17, v21, 2
	v_add_co_u32_e64 v98, s[34:35], v1, v17
	v_addc_co_u32_e64 v99, s[34:35], 0, v9, s[34:35]
	; wave barrier
	flat_load_dword v133, v[98:99]
	v_cmp_ne_u32_e64 s[34:35], 0, v16
	v_add_co_u32_e64 v16, s[36:37], -1, v16
	v_addc_co_u32_e64 v17, s[36:37], 0, -1, s[36:37]
	v_xor_b32_e32 v16, s34, v16
	v_xor_b32_e32 v17, s35, v17
	v_and_b32_e32 v16, exec_lo, v16
	v_and_b32_e32 v17, exec_hi, v17
	v_mbcnt_lo_u32_b32 v19, v16, 0
	v_mbcnt_hi_u32_b32 v144, v17, v19
	v_cmp_eq_u32_e64 s[34:35], 0, v144
	v_cmp_ne_u64_e64 s[36:37], 0, v[16:17]
	s_and_b64 s[36:37], s[36:37], s[34:35]
	; wave barrier
	s_and_saveexec_b64 s[34:35], s[36:37]
	s_cbranch_execz .LBB1532_43
; %bb.42:                               ;   in Loop: Header=BB1532_29 Depth=1
	v_bcnt_u32_b32 v16, v16, 0
	v_bcnt_u32_b32 v16, v17, v16
	s_waitcnt vmcnt(0) lgkmcnt(0)
	v_add_u32_e32 v16, v133, v16
	flat_store_dword v[98:99], v16
.LBB1532_43:                            ;   in Loop: Header=BB1532_29 Depth=1
	s_or_b64 exec, exec, s[34:35]
	v_lshrrev_b32_e32 v117, 24, v67
	v_lshrrev_b32_e32 v16, v10, v117
	v_and_b32_e32 v16, v16, v18
	v_lshlrev_b32_e32 v17, 2, v16
	v_add_lshl_u32 v17, v17, v21, 2
	v_add_co_u32_e64 v100, s[34:35], v1, v17
	v_addc_co_u32_e64 v101, s[34:35], 0, v9, s[34:35]
	; wave barrier
	flat_load_dword v145, v[100:101]
	v_cmp_ne_u32_e64 s[34:35], 0, v16
	v_add_co_u32_e64 v16, s[36:37], -1, v16
	v_addc_co_u32_e64 v17, s[36:37], 0, -1, s[36:37]
	v_xor_b32_e32 v16, s34, v16
	v_xor_b32_e32 v17, s35, v17
	v_and_b32_e32 v16, exec_lo, v16
	v_and_b32_e32 v17, exec_hi, v17
	v_mbcnt_lo_u32_b32 v18, v16, 0
	v_mbcnt_hi_u32_b32 v146, v17, v18
	v_cmp_eq_u32_e64 s[34:35], 0, v146
	v_cmp_ne_u64_e64 s[36:37], 0, v[16:17]
	s_and_b64 s[36:37], s[36:37], s[34:35]
	; wave barrier
	s_and_saveexec_b64 s[34:35], s[36:37]
	s_cbranch_execz .LBB1532_45
; %bb.44:                               ;   in Loop: Header=BB1532_29 Depth=1
	v_bcnt_u32_b32 v16, v16, 0
	v_bcnt_u32_b32 v16, v17, v16
	s_waitcnt vmcnt(0) lgkmcnt(0)
	v_add_u32_e32 v16, v145, v16
	flat_store_dword v[100:101], v16
.LBB1532_45:                            ;   in Loop: Header=BB1532_29 Depth=1
	s_or_b64 exec, exec, s[34:35]
	; wave barrier
	s_waitcnt lgkmcnt(0)
	s_barrier
	flat_load_dwordx4 v[16:19], v[4:5] offset:16
	s_waitcnt vmcnt(0) lgkmcnt(0)
	v_add_u32_e32 v116, v17, v16
	v_add3_u32 v19, v116, v18, v19
	s_nop 1
	v_mov_b32_dpp v116, v19 row_shr:1 row_mask:0xf bank_mask:0xf
	v_cndmask_b32_e64 v116, v116, 0, vcc
	v_add_u32_e32 v19, v116, v19
	s_nop 1
	v_mov_b32_dpp v116, v19 row_shr:2 row_mask:0xf bank_mask:0xf
	v_cndmask_b32_e64 v116, 0, v116, s[4:5]
	v_add_u32_e32 v19, v19, v116
	s_nop 1
	v_mov_b32_dpp v116, v19 row_shr:4 row_mask:0xf bank_mask:0xf
	v_cndmask_b32_e64 v116, 0, v116, s[6:7]
	;; [unrolled: 4-line block ×3, first 2 shown]
	v_add_u32_e32 v19, v19, v116
	s_nop 1
	v_mov_b32_dpp v116, v19 row_bcast:15 row_mask:0xf bank_mask:0xf
	v_cndmask_b32_e64 v116, v116, 0, s[30:31]
	v_add_u32_e32 v19, v19, v116
	s_nop 1
	v_mov_b32_dpp v116, v19 row_bcast:31 row_mask:0xf bank_mask:0xf
	v_cndmask_b32_e64 v116, 0, v116, s[14:15]
	v_add_u32_e32 v19, v19, v116
	s_and_saveexec_b64 s[34:35], s[16:17]
	s_cbranch_execz .LBB1532_47
; %bb.46:                               ;   in Loop: Header=BB1532_29 Depth=1
	flat_store_dword v[24:25], v19
.LBB1532_47:                            ;   in Loop: Header=BB1532_29 Depth=1
	s_or_b64 exec, exec, s[34:35]
	s_waitcnt lgkmcnt(0)
	s_barrier
	s_and_saveexec_b64 s[34:35], s[18:19]
	s_cbranch_execz .LBB1532_49
; %bb.48:                               ;   in Loop: Header=BB1532_29 Depth=1
	flat_load_dword v116, v[26:27]
	s_waitcnt vmcnt(0) lgkmcnt(0)
	s_nop 0
	v_mov_b32_dpp v118, v116 row_shr:1 row_mask:0xf bank_mask:0xf
	v_cndmask_b32_e64 v118, v118, 0, s[26:27]
	v_add_u32_e32 v116, v118, v116
	s_nop 1
	v_mov_b32_dpp v118, v116 row_shr:2 row_mask:0xf bank_mask:0xf
	v_cndmask_b32_e64 v118, 0, v118, s[28:29]
	v_add_u32_e32 v116, v116, v118
	flat_store_dword v[26:27], v116
.LBB1532_49:                            ;   in Loop: Header=BB1532_29 Depth=1
	s_or_b64 exec, exec, s[34:35]
	v_mov_b32_e32 v116, 0
	s_waitcnt lgkmcnt(0)
	s_barrier
	s_and_saveexec_b64 s[34:35], s[20:21]
	s_cbranch_execz .LBB1532_51
; %bb.50:                               ;   in Loop: Header=BB1532_29 Depth=1
	flat_load_dword v116, v[28:29]
.LBB1532_51:                            ;   in Loop: Header=BB1532_29 Depth=1
	s_or_b64 exec, exec, s[34:35]
	s_waitcnt vmcnt(0) lgkmcnt(0)
	v_add_u32_e32 v19, v116, v19
	ds_bpermute_b32 v19, v113, v19
	v_add_u32_e32 v10, 8, v10
	v_mov_b32_e32 v162, v66
	v_lshrrev_b32_e32 v163, 8, v66
	v_lshrrev_b32_e32 v164, 16, v66
	s_waitcnt lgkmcnt(0)
	v_cndmask_b32_e64 v19, v19, v116, s[22:23]
	v_cndmask_b32_e64 v148, v19, 0, s[24:25]
	v_add_u32_e32 v149, v148, v16
	v_add_u32_e32 v150, v149, v17
	;; [unrolled: 1-line block ×3, first 2 shown]
	flat_store_dwordx4 v[4:5], v[148:151] offset:16
	s_waitcnt lgkmcnt(0)
	s_barrier
	flat_load_dword v16, v[70:71]
	flat_load_dword v18, v[80:81]
	;; [unrolled: 1-line block ×8, first 2 shown]
	v_lshrrev_b64 v[134:135], 24, v[66:67]
	v_lshrrev_b32_e32 v17, 8, v67
	v_lshrrev_b32_e32 v99, 16, v67
	v_cmp_lt_u32_e64 s[34:35], v10, v11
	s_mov_b64 s[44:45], -1
	s_waitcnt lgkmcnt(0)
                                        ; implicit-def: $vgpr70_vgpr71
                                        ; implicit-def: $vgpr80_vgpr81
                                        ; implicit-def: $vgpr82_vgpr83
                                        ; implicit-def: $vgpr84_vgpr85
                                        ; implicit-def: $vgpr86_vgpr87
                                        ; implicit-def: $vgpr96_vgpr97
                                        ; implicit-def: $vgpr100_vgpr101
	s_waitcnt vmcnt(0) lgkmcnt(0)
	v_add_u32_e32 v118, v16, v15
	v_add3_u32 v116, v68, v102, v18
	v_add3_u32 v114, v114, v112, v19
	;; [unrolled: 1-line block ×3, first 2 shown]
	v_add_co_u32_e64 v128, s[36:37], v12, v118
	v_add3_u32 v102, v130, v129, v148
	v_addc_co_u32_e64 v129, s[36:37], 0, v13, s[36:37]
	v_add_co_u32_e64 v130, s[36:37], v12, v116
	v_add3_u32 v98, v132, v131, v149
	v_addc_co_u32_e64 v131, s[36:37], 0, v13, s[36:37]
	;; [unrolled: 3-line block ×4, first 2 shown]
	v_add_co_u32_e64 v146, s[36:37], v12, v102
	v_addc_co_u32_e64 v147, s[36:37], 0, v13, s[36:37]
	v_add_co_u32_e64 v148, s[36:37], v12, v98
	v_addc_co_u32_e64 v149, s[36:37], 0, v13, s[36:37]
	v_add_co_u32_e64 v150, s[36:37], v12, v68
	v_addc_co_u32_e64 v151, s[36:37], 0, v13, s[36:37]
	v_add_co_u32_e64 v160, s[36:37], v12, v16
	v_addc_co_u32_e64 v161, s[36:37], 0, v13, s[36:37]
                                        ; implicit-def: $vgpr18_vgpr19
	s_and_saveexec_b64 s[36:37], s[34:35]
	s_cbranch_execz .LBB1532_28
; %bb.52:                               ;   in Loop: Header=BB1532_29 Depth=1
	v_mad_u64_u32 v[18:19], s[34:35], v118, 7, v[128:129]
	s_barrier
	flat_store_byte v[128:129], v66
	flat_store_byte v[130:131], v163
	;; [unrolled: 1-line block ×8, first 2 shown]
	s_waitcnt lgkmcnt(0)
	s_barrier
	flat_load_ubyte v15, v[48:49]
	flat_load_ubyte v66, v[48:49] offset:64
	flat_load_ubyte v67, v[48:49] offset:128
	flat_load_ubyte v119, v[48:49] offset:192
	flat_load_ubyte v135, v[48:49] offset:256
	flat_load_ubyte v165, v[48:49] offset:320
	flat_load_ubyte v166, v[48:49] offset:384
	flat_load_ubyte v167, v[48:49] offset:448
	s_waitcnt lgkmcnt(0)
	s_barrier
	flat_store_dwordx2 v[18:19], v[54:55]
	v_mad_u64_u32 v[18:19], s[34:35], v116, 7, v[130:131]
	flat_store_dwordx2 v[18:19], v[52:53]
	v_mad_u64_u32 v[18:19], s[34:35], v114, 7, v[132:133]
	;; [unrolled: 2-line block ×7, first 2 shown]
	flat_store_dwordx2 v[18:19], v[30:31]
	s_waitcnt lgkmcnt(0)
	s_barrier
	flat_load_dwordx2 v[18:19], v[64:65]
	flat_load_dwordx2 v[70:71], v[64:65] offset:512
	flat_load_dwordx2 v[80:81], v[64:65] offset:1024
	;; [unrolled: 1-line block ×7, first 2 shown]
	v_add_u32_e32 v115, -8, v115
	s_xor_b64 s[44:45], exec, -1
	s_waitcnt lgkmcnt(0)
	s_barrier
	s_waitcnt vmcnt(0)
	v_lshlrev_b16_e32 v66, 8, v66
	v_or_b32_e32 v15, v15, v66
	v_lshlrev_b16_e32 v119, 8, v119
	v_or_b32_sdwa v66, v67, v119 dst_sel:WORD_1 dst_unused:UNUSED_PAD src0_sel:DWORD src1_sel:DWORD
	v_lshlrev_b16_e32 v165, 8, v165
	v_or_b32_e32 v67, v135, v165
	v_lshlrev_b16_e32 v167, 8, v167
	v_or_b32_sdwa v119, v166, v167 dst_sel:WORD_1 dst_unused:UNUSED_PAD src0_sel:DWORD src1_sel:DWORD
	v_or_b32_sdwa v66, v15, v66 dst_sel:DWORD dst_unused:UNUSED_PAD src0_sel:WORD_0 src1_sel:DWORD
	v_or_b32_sdwa v67, v67, v119 dst_sel:DWORD dst_unused:UNUSED_PAD src0_sel:WORD_0 src1_sel:DWORD
	s_branch .LBB1532_28
.LBB1532_53:
	s_or_b64 exec, exec, s[42:43]
	v_add_co_u32_e32 v4, vcc, v12, v20
	v_addc_co_u32_e32 v5, vcc, 0, v13, vcc
	v_mad_u64_u32 v[10:11], s[4:5], v118, 7, v[128:129]
	s_barrier
	flat_store_byte v[128:129], v162
	flat_store_byte v[130:131], v163
	;; [unrolled: 1-line block ×8, first 2 shown]
	s_waitcnt lgkmcnt(0)
	s_barrier
	flat_load_ubyte v65, v[4:5]
	flat_load_ubyte v64, v[4:5] offset:256
	flat_load_ubyte v49, v[4:5] offset:512
	;; [unrolled: 1-line block ×7, first 2 shown]
	s_waitcnt lgkmcnt(0)
	s_barrier
	flat_store_dwordx2 v[10:11], v[54:55]
	v_mad_u64_u32 v[10:11], s[4:5], v116, 7, v[130:131]
	flat_store_dwordx2 v[10:11], v[52:53]
	v_mad_u64_u32 v[10:11], s[4:5], v114, 7, v[132:133]
	;; [unrolled: 2-line block ×7, first 2 shown]
	v_mad_u64_u32 v[4:5], s[4:5], v20, 7, v[4:5]
	s_movk_i32 s4, 0x1000
	flat_store_dwordx2 v[10:11], v[30:31]
	v_add_co_u32_e32 v10, vcc, s4, v4
	v_mov_b32_e32 v1, 0x2000
	v_addc_co_u32_e32 v11, vcc, 0, v5, vcc
	v_lshl_or_b32 v1, v20, 3, v1
	v_add_co_u32_e32 v30, vcc, v12, v1
	s_movk_i32 s4, 0x2000
	v_addc_co_u32_e32 v31, vcc, 0, v13, vcc
	v_add_co_u32_e32 v32, vcc, s4, v4
	v_addc_co_u32_e32 v33, vcc, 0, v5, vcc
	s_movk_i32 s4, 0x3000
	v_add_co_u32_e32 v34, vcc, s4, v4
	s_waitcnt lgkmcnt(0)
	s_barrier
	flat_load_dwordx2 v[26:27], v[4:5]
	flat_load_dwordx2 v[24:25], v[4:5] offset:2048
	flat_load_dwordx2 v[18:19], v[10:11]
	flat_load_dwordx2 v[14:15], v[10:11] offset:2048
	v_addc_co_u32_e32 v35, vcc, 0, v5, vcc
	flat_load_dwordx2 v[16:17], v[30:31]
	flat_load_dwordx2 v[12:13], v[32:33] offset:2048
	flat_load_dwordx2 v[10:11], v[34:35]
	flat_load_dwordx2 v[4:5], v[34:35] offset:2048
	v_add_co_u32_e32 v2, vcc, v2, v8
	v_addc_co_u32_e32 v3, vcc, 0, v3, vcc
	v_add_co_u32_e32 v2, vcc, v2, v0
	v_addc_co_u32_e32 v3, vcc, 0, v3, vcc
	v_mov_b32_e32 v1, 0
	v_cmp_lt_u32_e32 vcc, v0, v103
	s_waitcnt lgkmcnt(0)
	s_barrier
	s_and_saveexec_b64 s[4:5], vcc
	s_cbranch_execz .LBB1532_55
; %bb.54:
	s_waitcnt vmcnt(0)
	v_xor_b32_e32 v8, 1, v65
	flat_store_byte v[2:3], v8
.LBB1532_55:
	s_or_b64 exec, exec, s[4:5]
	v_add_u32_e32 v8, 0x100, v0
	v_cmp_lt_u32_e64 s[14:15], v8, v103
	s_and_saveexec_b64 s[4:5], s[14:15]
	s_cbranch_execz .LBB1532_57
; %bb.56:
	s_waitcnt vmcnt(0)
	v_xor_b32_e32 v8, 1, v64
	flat_store_byte v[2:3], v8 offset:256
.LBB1532_57:
	s_or_b64 exec, exec, s[4:5]
	v_add_u32_e32 v8, 0x200, v0
	v_cmp_lt_u32_e64 s[18:19], v8, v103
	s_and_saveexec_b64 s[4:5], s[18:19]
	s_cbranch_execz .LBB1532_59
; %bb.58:
	s_waitcnt vmcnt(0)
	v_xor_b32_e32 v8, 1, v49
	flat_store_byte v[2:3], v8 offset:512
.LBB1532_59:
	;; [unrolled: 10-line block ×7, first 2 shown]
	s_or_b64 exec, exec, s[22:23]
	v_add_co_u32_e64 v2, s[22:23], v6, v22
	v_addc_co_u32_e64 v3, s[22:23], v7, v23, s[22:23]
	v_lshlrev_b64 v[0:1], 3, v[0:1]
	v_add_co_u32_e64 v0, s[22:23], v2, v0
	v_addc_co_u32_e64 v1, s[22:23], v3, v1, s[22:23]
	s_and_saveexec_b64 s[22:23], vcc
	s_cbranch_execnz .LBB1532_119
; %bb.70:
	s_or_b64 exec, exec, s[22:23]
	s_and_saveexec_b64 s[22:23], s[14:15]
	s_cbranch_execnz .LBB1532_120
.LBB1532_71:
	s_or_b64 exec, exec, s[22:23]
	s_and_saveexec_b64 s[14:15], s[18:19]
	s_cbranch_execnz .LBB1532_121
.LBB1532_72:
	s_or_b64 exec, exec, s[14:15]
	s_and_saveexec_b64 s[14:15], s[16:17]
	s_cbranch_execnz .LBB1532_122
.LBB1532_73:
	s_or_b64 exec, exec, s[14:15]
	s_and_saveexec_b64 s[14:15], s[20:21]
	s_cbranch_execnz .LBB1532_123
.LBB1532_74:
	s_or_b64 exec, exec, s[14:15]
	s_and_saveexec_b64 s[14:15], s[10:11]
	s_cbranch_execnz .LBB1532_124
.LBB1532_75:
	s_or_b64 exec, exec, s[14:15]
	s_and_saveexec_b64 s[10:11], s[6:7]
	s_cbranch_execnz .LBB1532_125
.LBB1532_76:
	s_or_b64 exec, exec, s[10:11]
	s_and_saveexec_b64 s[6:7], s[4:5]
	s_cbranch_execz .LBB1532_78
.LBB1532_77:
	v_add_co_u32_e32 v0, vcc, 0x3000, v0
	v_addc_co_u32_e32 v1, vcc, 0, v1, vcc
	s_waitcnt vmcnt(0)
	flat_store_dwordx2 v[0:1], v[4:5] offset:2048
.LBB1532_78:
	s_or_b64 exec, exec, s[6:7]
                                        ; implicit-def: $vgpr103
                                        ; implicit-def: $vgpr0
                                        ; implicit-def: $vgpr1
                                        ; implicit-def: $vgpr2
                                        ; implicit-def: $vgpr3
                                        ; implicit-def: $vgpr4
                                        ; implicit-def: $vgpr5
                                        ; implicit-def: $vgpr6
                                        ; implicit-def: $vgpr7
                                        ; implicit-def: $vgpr8
                                        ; implicit-def: $vgpr10
                                        ; implicit-def: $vgpr11
                                        ; implicit-def: $vgpr12
                                        ; implicit-def: $vgpr13
                                        ; implicit-def: $vgpr31
                                        ; implicit-def: $vgpr18
                                        ; implicit-def: $vgpr21
                                        ; implicit-def: $vgpr14
.LBB1532_79:
	s_andn2_saveexec_b64 s[4:5], s[40:41]
	s_cbranch_execz .LBB1532_199
; %bb.80:
	s_movk_i32 s4, 0x200
	v_cmp_lt_u32_e32 vcc, s4, v103
	s_and_saveexec_b64 s[4:5], vcc
	s_xor_b64 s[40:41], exec, s[4:5]
	s_cbranch_execz .LBB1532_140
; %bb.81:
	s_load_dwordx2 s[4:5], s[8:9], 0x0
	s_waitcnt vmcnt(0)
	v_mov_b32_e32 v9, 0
	v_add_co_u32_e32 v0, vcc, v0, v8
	v_mbcnt_hi_u32_b32 v17, -1, v14
	s_waitcnt lgkmcnt(0)
	s_cmp_lt_u32 s12, s4
	s_cselect_b32 s6, 12, 18
	s_cmp_lt_u32 s13, s5
	s_cselect_b32 s4, 14, 20
	s_add_u32 s4, s8, s4
	s_addc_u32 s5, s9, 0
	s_add_u32 s6, s8, s6
	global_load_ushort v19, v9, s[4:5]
	s_addc_u32 s7, s9, 0
	global_load_ushort v20, v9, s[6:7]
	v_addc_co_u32_e32 v1, vcc, 0, v1, vcc
	v_and_b32_e32 v16, 63, v17
	v_and_b32_e32 v22, 0x3ff, v31
	v_add_co_u32_e32 v23, vcc, v0, v16
	v_addc_co_u32_e32 v24, vcc, 0, v1, vcc
	v_mov_b32_e32 v15, v9
	s_waitcnt vmcnt(1)
	v_mad_u32_u24 v0, v21, v19, v18
	s_waitcnt vmcnt(0)
	v_mad_u64_u32 v[0:1], s[4:5], v0, v20, v[22:23]
	v_lshlrev_b32_e32 v1, 2, v0
	v_and_b32_e32 v14, 0xffffff00, v1
	v_add_co_u32_e32 v18, vcc, v23, v14
	v_addc_co_u32_e32 v19, vcc, 0, v24, vcc
	v_or_b32_e32 v20, v14, v16
	v_cmp_lt_u32_e32 vcc, v20, v103
	v_mov_b32_e32 v1, v9
	s_and_saveexec_b64 s[4:5], vcc
	s_cbranch_execz .LBB1532_83
; %bb.82:
	flat_load_ubyte v1, v[18:19]
.LBB1532_83:
	s_or_b64 exec, exec, s[4:5]
	v_or_b32_e32 v21, 64, v20
	v_cmp_lt_u32_e64 s[4:5], v21, v103
	s_and_saveexec_b64 s[6:7], s[4:5]
	s_cbranch_execz .LBB1532_85
; %bb.84:
	flat_load_ubyte v21, v[18:19] offset:64
	s_waitcnt vmcnt(0) lgkmcnt(0)
	v_lshlrev_b16_e32 v21, 8, v21
	v_or_b32_e32 v1, v1, v21
	v_and_b32_e32 v1, 0xffff, v1
.LBB1532_85:
	s_or_b64 exec, exec, s[6:7]
	v_or_b32_e32 v21, 0x80, v20
	v_cmp_lt_u32_e64 s[6:7], v21, v103
	s_and_saveexec_b64 s[10:11], s[6:7]
	s_cbranch_execz .LBB1532_87
; %bb.86:
	flat_load_ubyte v21, v[18:19] offset:128
	s_waitcnt vmcnt(0) lgkmcnt(0)
	v_lshl_or_b32 v1, v21, 16, v1
.LBB1532_87:
	s_or_b64 exec, exec, s[10:11]
	v_or_b32_e32 v20, 0xc0, v20
	v_cmp_lt_u32_e64 s[10:11], v20, v103
	s_and_saveexec_b64 s[14:15], s[10:11]
	s_cbranch_execz .LBB1532_89
; %bb.88:
	flat_load_ubyte v18, v[18:19] offset:192
	s_mov_b32 s16, 0xffff
	s_waitcnt vmcnt(0) lgkmcnt(0)
	v_lshlrev_b16_e32 v18, 8, v18
	v_or_b32_sdwa v18, v1, v18 dst_sel:WORD_1 dst_unused:UNUSED_PAD src0_sel:WORD_1 src1_sel:DWORD
	v_and_or_b32 v1, v1, s16, v18
.LBB1532_89:
	s_or_b64 exec, exec, s[14:15]
	v_lshlrev_b64 v[24:25], 3, v[8:9]
	v_add_co_u32_e64 v4, s[14:15], v4, v24
	v_addc_co_u32_e64 v5, s[14:15], v5, v25, s[14:15]
	v_lshlrev_b32_e32 v9, 3, v16
	v_add_co_u32_e64 v9, s[14:15], v4, v9
	v_addc_co_u32_e64 v18, s[14:15], 0, v5, s[14:15]
	v_lshlrev_b64 v[4:5], 3, v[14:15]
	v_add_co_u32_e64 v4, s[14:15], v9, v4
	v_addc_co_u32_e64 v5, s[14:15], v18, v5, s[14:15]
                                        ; implicit-def: $vgpr18_vgpr19
	s_and_saveexec_b64 s[14:15], vcc
	s_cbranch_execnz .LBB1532_164
; %bb.90:
	s_or_b64 exec, exec, s[14:15]
                                        ; implicit-def: $vgpr20_vgpr21
	s_and_saveexec_b64 s[14:15], s[4:5]
	s_cbranch_execnz .LBB1532_165
.LBB1532_91:
	s_or_b64 exec, exec, s[14:15]
                                        ; implicit-def: $vgpr52_vgpr53
	s_and_saveexec_b64 s[4:5], s[6:7]
	s_cbranch_execnz .LBB1532_166
.LBB1532_92:
	s_or_b64 exec, exec, s[4:5]
                                        ; implicit-def: $vgpr54_vgpr55
	s_and_saveexec_b64 s[4:5], s[10:11]
	s_cbranch_execz .LBB1532_94
.LBB1532_93:
	flat_load_dwordx2 v[54:55], v[4:5] offset:1536
.LBB1532_94:
	s_or_b64 exec, exec, s[4:5]
	v_mov_b32_e32 v4, 1
	s_waitcnt vmcnt(0) lgkmcnt(0)
	v_and_b32_sdwa v4, v4, v1 dst_sel:DWORD dst_unused:UNUSED_PAD src0_sel:DWORD src1_sel:BYTE_1
	v_cmp_eq_u32_e32 vcc, 1, v4
	v_and_b32_e32 v4, 0x1000000, v1
	v_cmp_ne_u32_e64 s[4:5], 0, v4
	v_and_b32_e32 v4, 0x10000, v1
	v_and_b32_e32 v1, 1, v1
	v_cmp_eq_u32_e64 s[10:11], 1, v1
	s_xor_b64 s[10:11], s[10:11], -1
	v_cndmask_b32_e64 v1, 0, 1, s[10:11]
	s_xor_b64 s[10:11], vcc, -1
	v_cmp_ne_u32_e64 s[6:7], 0, v4
	v_cndmask_b32_e64 v4, 0, 1, s[10:11]
	s_xor_b64 s[4:5], s[4:5], -1
	s_xor_b64 s[6:7], s[6:7], -1
	v_cndmask_b32_e64 v9, 0, 1, s[4:5]
	v_lshlrev_b16_e32 v4, 8, v4
	v_cndmask_b32_e64 v5, 0, 1, s[6:7]
	v_or_b32_e32 v1, v1, v4
	v_lshlrev_b16_e32 v4, 8, v9
	v_or_b32_sdwa v4, v5, v4 dst_sel:WORD_1 dst_unused:UNUSED_PAD src0_sel:DWORD src1_sel:DWORD
	v_or_b32_sdwa v71, v1, v4 dst_sel:DWORD dst_unused:UNUSED_PAD src0_sel:WORD_0 src1_sel:DWORD
	v_add_co_u32_e32 v1, vcc, 16, v12
	v_and_b32_e32 v26, 0x3c0, v22
	v_addc_co_u32_e32 v9, vcc, 0, v13, vcc
	v_lshlrev_b32_e32 v4, 4, v22
	v_min_u32_e32 v26, 0xc0, v26
	v_add_co_u32_e32 v4, vcc, v12, v4
	v_or_b32_e32 v26, 63, v26
	s_getpc_b64 s[4:5]
	s_add_u32 s4, s4, _ZN7rocprim17ROCPRIM_400000_NS16block_radix_sortIbLj256ELj4ElLj1ELj1ELj8ELNS0_26block_radix_rank_algorithmE2ELNS0_18block_padding_hintE2ELNS0_4arch9wavefront6targetE1EE19radix_bits_per_passE@rel32@lo+4
	s_addc_u32 s5, s5, _ZN7rocprim17ROCPRIM_400000_NS16block_radix_sortIbLj256ELj4ElLj1ELj1ELj8ELNS0_26block_radix_rank_algorithmE2ELNS0_18block_padding_hintE2ELNS0_4arch9wavefront6targetE1EE19radix_bits_per_passE@rel32@hi+12
	v_addc_co_u32_e32 v5, vcc, 0, v13, vcc
	v_and_b32_e32 v14, 15, v17
	v_cmp_eq_u32_e64 s[16:17], v26, v22
	v_add_u32_e32 v26, -1, v17
	v_and_b32_e32 v27, 64, v17
	s_load_dword s46, s[4:5], 0x0
	v_cmp_eq_u32_e32 vcc, 0, v14
	v_cmp_lt_u32_e64 s[4:5], 1, v14
	v_cmp_lt_u32_e64 s[6:7], 3, v14
	;; [unrolled: 1-line block ×3, first 2 shown]
	v_and_b32_e32 v14, 16, v17
	v_cmp_lt_i32_e64 s[22:23], v26, v27
	v_cmp_eq_u32_e64 s[30:31], 0, v14
	v_lshrrev_b32_e32 v14, 6, v22
	v_cndmask_b32_e64 v26, v26, v17, s[22:23]
	v_mov_b32_e32 v15, 0
	v_lshlrev_b32_e32 v69, 2, v26
	v_lshlrev_b32_e32 v26, 2, v14
	v_add_u32_e32 v14, -1, v14
	v_lshlrev_b64 v[30:31], 2, v[14:15]
	v_add_co_u32_e64 v30, s[34:35], v12, v30
	v_addc_co_u32_e64 v31, s[34:35], v13, v31, s[34:35]
	v_lshlrev_b32_e32 v32, 2, v22
	v_add_co_u32_e64 v26, s[26:27], v12, v26
	s_movk_i32 s34, 0xf00
	v_addc_co_u32_e64 v27, s[26:27], 0, v13, s[26:27]
	v_and_or_b32 v14, v32, s34, v16
	v_add_co_u32_e64 v28, s[26:27], v12, v32
	v_add_co_u32_e64 v48, s[34:35], v12, v14
	v_cmp_lt_u32_e64 s[14:15], 31, v17
	v_cmp_eq_u32_e64 s[22:23], 0, v17
	v_addc_co_u32_e64 v29, s[26:27], 0, v13, s[26:27]
	v_and_b32_e32 v17, 3, v17
	v_addc_co_u32_e64 v49, s[34:35], 0, v13, s[34:35]
	v_lshrrev_b32_e32 v23, 6, v0
	v_cmp_gt_u32_e64 s[18:19], 4, v22
	v_cmp_lt_u32_e64 s[20:21], 63, v22
	v_cmp_eq_u32_e64 s[24:25], 0, v22
	v_cmp_eq_u32_e64 s[26:27], 0, v17
	v_cmp_lt_u32_e64 s[28:29], 1, v17
	v_mad_u64_u32 v[50:51], s[34:35], v14, 7, v[48:49]
	v_sub_u32_e32 v96, v11, v10
	s_mov_b64 s[42:43], 0
	v_mov_b32_e32 v14, v15
	v_mov_b32_e32 v16, v15
	v_mov_b32_e32 v17, v15
	s_waitcnt lgkmcnt(0)
	s_barrier
	s_branch .LBB1532_96
.LBB1532_95:                            ;   in Loop: Header=BB1532_96 Depth=1
	s_or_b64 exec, exec, s[36:37]
	s_and_b64 s[34:35], exec, s[44:45]
	s_or_b64 s[42:43], s[34:35], s[42:43]
	s_andn2_b64 exec, exec, s[42:43]
	s_cbranch_execz .LBB1532_126
.LBB1532_96:                            ; =>This Inner Loop Header: Depth=1
	v_pk_mov_b32 v[38:39], v[18:19], v[18:19] op_sel:[0,1]
	v_min_u32_e32 v18, s46, v96
	v_lshlrev_b32_e64 v18, v18, -1
	v_pk_mov_b32 v[36:37], v[20:21], v[20:21] op_sel:[0,1]
	v_not_b32_e32 v20, v18
	v_lshrrev_b32_sdwa v18, v10, v71 dst_sel:DWORD dst_unused:UNUSED_PAD src0_sel:DWORD src1_sel:BYTE_0
	v_and_b32_e32 v18, v18, v20
	v_lshlrev_b32_e32 v19, 2, v18
	v_add_lshl_u32 v19, v19, v23, 2
	v_pk_mov_b32 v[34:35], v[52:53], v[52:53] op_sel:[0,1]
	v_add_co_u32_e64 v52, s[34:35], v1, v19
	v_addc_co_u32_e64 v53, s[34:35], 0, v9, s[34:35]
	v_cmp_ne_u32_e64 s[34:35], 0, v18
	v_add_co_u32_e64 v18, s[36:37], -1, v18
	v_addc_co_u32_e64 v19, s[36:37], 0, -1, s[36:37]
	v_xor_b32_e32 v18, s34, v18
	v_xor_b32_e32 v19, s35, v19
	v_and_b32_e32 v18, exec_lo, v18
	v_and_b32_e32 v19, exec_hi, v19
	v_mbcnt_lo_u32_b32 v21, v18, 0
	v_mbcnt_hi_u32_b32 v68, v19, v21
	v_cmp_eq_u32_e64 s[34:35], 0, v68
	v_cmp_ne_u64_e64 s[36:37], 0, v[18:19]
	v_pk_mov_b32 v[32:33], v[54:55], v[54:55] op_sel:[0,1]
	s_and_b64 s[36:37], s[36:37], s[34:35]
	flat_store_dwordx4 v[4:5], v[14:17] offset:16
	s_waitcnt lgkmcnt(0)
	s_barrier
	s_waitcnt lgkmcnt(0)
	; wave barrier
	s_and_saveexec_b64 s[34:35], s[36:37]
	s_cbranch_execz .LBB1532_98
; %bb.97:                               ;   in Loop: Header=BB1532_96 Depth=1
	v_bcnt_u32_b32 v18, v18, 0
	v_bcnt_u32_b32 v18, v19, v18
	flat_store_dword v[52:53], v18
.LBB1532_98:                            ;   in Loop: Header=BB1532_96 Depth=1
	s_or_b64 exec, exec, s[34:35]
	v_lshrrev_b32_sdwa v18, v10, v71 dst_sel:DWORD dst_unused:UNUSED_PAD src0_sel:DWORD src1_sel:BYTE_1
	v_and_b32_e32 v18, v18, v20
	v_lshlrev_b32_e32 v19, 2, v18
	v_add_lshl_u32 v19, v19, v23, 2
	v_add_co_u32_e64 v54, s[34:35], v1, v19
	v_addc_co_u32_e64 v55, s[34:35], 0, v9, s[34:35]
	; wave barrier
	flat_load_dword v80, v[54:55]
	v_cmp_ne_u32_e64 s[34:35], 0, v18
	v_add_co_u32_e64 v18, s[36:37], -1, v18
	v_addc_co_u32_e64 v19, s[36:37], 0, -1, s[36:37]
	v_xor_b32_e32 v18, s34, v18
	v_xor_b32_e32 v19, s35, v19
	v_and_b32_e32 v18, exec_lo, v18
	v_and_b32_e32 v19, exec_hi, v19
	v_mbcnt_lo_u32_b32 v21, v18, 0
	v_mbcnt_hi_u32_b32 v81, v19, v21
	v_cmp_eq_u32_e64 s[34:35], 0, v81
	v_cmp_ne_u64_e64 s[36:37], 0, v[18:19]
	s_and_b64 s[36:37], s[36:37], s[34:35]
	; wave barrier
	s_and_saveexec_b64 s[34:35], s[36:37]
	s_cbranch_execz .LBB1532_100
; %bb.99:                               ;   in Loop: Header=BB1532_96 Depth=1
	v_bcnt_u32_b32 v18, v18, 0
	v_bcnt_u32_b32 v18, v19, v18
	s_waitcnt vmcnt(0) lgkmcnt(0)
	v_add_u32_e32 v18, v80, v18
	flat_store_dword v[54:55], v18
.LBB1532_100:                           ;   in Loop: Header=BB1532_96 Depth=1
	s_or_b64 exec, exec, s[34:35]
	v_lshrrev_b32_sdwa v18, v10, v71 dst_sel:DWORD dst_unused:UNUSED_PAD src0_sel:DWORD src1_sel:BYTE_2
	v_and_b32_e32 v18, v18, v20
	v_lshlrev_b32_e32 v19, 2, v18
	v_add_lshl_u32 v19, v19, v23, 2
	v_add_co_u32_e64 v64, s[34:35], v1, v19
	v_addc_co_u32_e64 v65, s[34:35], 0, v9, s[34:35]
	; wave barrier
	flat_load_dword v82, v[64:65]
	v_cmp_ne_u32_e64 s[34:35], 0, v18
	v_add_co_u32_e64 v18, s[36:37], -1, v18
	v_addc_co_u32_e64 v19, s[36:37], 0, -1, s[36:37]
	v_xor_b32_e32 v18, s34, v18
	v_xor_b32_e32 v19, s35, v19
	v_and_b32_e32 v18, exec_lo, v18
	v_and_b32_e32 v19, exec_hi, v19
	v_mbcnt_lo_u32_b32 v21, v18, 0
	v_mbcnt_hi_u32_b32 v83, v19, v21
	v_cmp_eq_u32_e64 s[34:35], 0, v83
	v_cmp_ne_u64_e64 s[36:37], 0, v[18:19]
	s_and_b64 s[36:37], s[36:37], s[34:35]
	; wave barrier
	s_and_saveexec_b64 s[34:35], s[36:37]
	s_cbranch_execz .LBB1532_102
; %bb.101:                              ;   in Loop: Header=BB1532_96 Depth=1
	v_bcnt_u32_b32 v18, v18, 0
	v_bcnt_u32_b32 v18, v19, v18
	s_waitcnt vmcnt(0) lgkmcnt(0)
	v_add_u32_e32 v18, v82, v18
	flat_store_dword v[64:65], v18
.LBB1532_102:                           ;   in Loop: Header=BB1532_96 Depth=1
	s_or_b64 exec, exec, s[34:35]
	v_lshrrev_b32_e32 v97, 24, v71
	v_lshrrev_b32_e32 v18, v10, v97
	v_and_b32_e32 v18, v18, v20
	v_lshlrev_b32_e32 v19, 2, v18
	v_add_lshl_u32 v19, v19, v23, 2
	v_add_co_u32_e64 v66, s[34:35], v1, v19
	v_addc_co_u32_e64 v67, s[34:35], 0, v9, s[34:35]
	; wave barrier
	flat_load_dword v84, v[66:67]
	v_cmp_ne_u32_e64 s[34:35], 0, v18
	v_add_co_u32_e64 v18, s[36:37], -1, v18
	v_addc_co_u32_e64 v19, s[36:37], 0, -1, s[36:37]
	v_xor_b32_e32 v18, s34, v18
	v_xor_b32_e32 v19, s35, v19
	v_and_b32_e32 v18, exec_lo, v18
	v_and_b32_e32 v19, exec_hi, v19
	v_mbcnt_lo_u32_b32 v20, v18, 0
	v_mbcnt_hi_u32_b32 v85, v19, v20
	v_cmp_eq_u32_e64 s[34:35], 0, v85
	v_cmp_ne_u64_e64 s[36:37], 0, v[18:19]
	s_and_b64 s[36:37], s[36:37], s[34:35]
	; wave barrier
	s_and_saveexec_b64 s[34:35], s[36:37]
	s_cbranch_execz .LBB1532_104
; %bb.103:                              ;   in Loop: Header=BB1532_96 Depth=1
	v_bcnt_u32_b32 v18, v18, 0
	v_bcnt_u32_b32 v18, v19, v18
	s_waitcnt vmcnt(0) lgkmcnt(0)
	v_add_u32_e32 v18, v84, v18
	flat_store_dword v[66:67], v18
.LBB1532_104:                           ;   in Loop: Header=BB1532_96 Depth=1
	s_or_b64 exec, exec, s[34:35]
	; wave barrier
	s_waitcnt lgkmcnt(0)
	s_barrier
	flat_load_dwordx4 v[18:21], v[4:5] offset:16
	s_waitcnt vmcnt(0) lgkmcnt(0)
	v_add_u32_e32 v70, v19, v18
	v_add3_u32 v21, v70, v20, v21
	s_nop 1
	v_mov_b32_dpp v70, v21 row_shr:1 row_mask:0xf bank_mask:0xf
	v_cndmask_b32_e64 v70, v70, 0, vcc
	v_add_u32_e32 v21, v70, v21
	s_nop 1
	v_mov_b32_dpp v70, v21 row_shr:2 row_mask:0xf bank_mask:0xf
	v_cndmask_b32_e64 v70, 0, v70, s[4:5]
	v_add_u32_e32 v21, v21, v70
	s_nop 1
	v_mov_b32_dpp v70, v21 row_shr:4 row_mask:0xf bank_mask:0xf
	v_cndmask_b32_e64 v70, 0, v70, s[6:7]
	;; [unrolled: 4-line block ×3, first 2 shown]
	v_add_u32_e32 v21, v21, v70
	s_nop 1
	v_mov_b32_dpp v70, v21 row_bcast:15 row_mask:0xf bank_mask:0xf
	v_cndmask_b32_e64 v70, v70, 0, s[30:31]
	v_add_u32_e32 v21, v21, v70
	s_nop 1
	v_mov_b32_dpp v70, v21 row_bcast:31 row_mask:0xf bank_mask:0xf
	v_cndmask_b32_e64 v70, 0, v70, s[14:15]
	v_add_u32_e32 v21, v21, v70
	s_and_saveexec_b64 s[34:35], s[16:17]
	s_cbranch_execz .LBB1532_106
; %bb.105:                              ;   in Loop: Header=BB1532_96 Depth=1
	flat_store_dword v[26:27], v21
.LBB1532_106:                           ;   in Loop: Header=BB1532_96 Depth=1
	s_or_b64 exec, exec, s[34:35]
	s_waitcnt lgkmcnt(0)
	s_barrier
	s_and_saveexec_b64 s[34:35], s[18:19]
	s_cbranch_execz .LBB1532_108
; %bb.107:                              ;   in Loop: Header=BB1532_96 Depth=1
	flat_load_dword v70, v[28:29]
	s_waitcnt vmcnt(0) lgkmcnt(0)
	s_nop 0
	v_mov_b32_dpp v86, v70 row_shr:1 row_mask:0xf bank_mask:0xf
	v_cndmask_b32_e64 v86, v86, 0, s[26:27]
	v_add_u32_e32 v70, v86, v70
	s_nop 1
	v_mov_b32_dpp v86, v70 row_shr:2 row_mask:0xf bank_mask:0xf
	v_cndmask_b32_e64 v86, 0, v86, s[28:29]
	v_add_u32_e32 v70, v70, v86
	flat_store_dword v[28:29], v70
.LBB1532_108:                           ;   in Loop: Header=BB1532_96 Depth=1
	s_or_b64 exec, exec, s[34:35]
	v_mov_b32_e32 v70, 0
	s_waitcnt lgkmcnt(0)
	s_barrier
	s_and_saveexec_b64 s[34:35], s[20:21]
	s_cbranch_execz .LBB1532_110
; %bb.109:                              ;   in Loop: Header=BB1532_96 Depth=1
	flat_load_dword v70, v[30:31]
.LBB1532_110:                           ;   in Loop: Header=BB1532_96 Depth=1
	s_or_b64 exec, exec, s[34:35]
	s_waitcnt vmcnt(0) lgkmcnt(0)
	v_add_u32_e32 v21, v70, v21
	ds_bpermute_b32 v21, v69, v21
	v_add_u32_e32 v10, 8, v10
	v_cmp_lt_u32_e64 s[34:35], v10, v11
	s_mov_b64 s[44:45], -1
	s_waitcnt lgkmcnt(0)
	v_cndmask_b32_e64 v21, v21, v70, s[22:23]
	v_cndmask_b32_e64 v98, v21, 0, s[24:25]
	v_add_u32_e32 v99, v98, v18
	v_add_u32_e32 v100, v99, v19
	;; [unrolled: 1-line block ×3, first 2 shown]
	flat_store_dwordx4 v[4:5], v[98:101] offset:16
	s_waitcnt lgkmcnt(0)
	s_barrier
	flat_load_dword v18, v[52:53]
	flat_load_dword v19, v[54:55]
	;; [unrolled: 1-line block ×4, first 2 shown]
	v_mov_b32_e32 v65, v71
	v_lshrrev_b32_e32 v67, 8, v71
	v_lshrrev_b32_e32 v98, 16, v71
	s_waitcnt lgkmcnt(0)
                                        ; implicit-def: $vgpr52_vgpr53
                                        ; implicit-def: $vgpr54_vgpr55
	s_waitcnt vmcnt(0) lgkmcnt(0)
	v_add_u32_e32 v70, v18, v68
	v_add3_u32 v68, v81, v80, v19
	v_add_co_u32_e64 v80, s[36:37], v12, v70
	v_addc_co_u32_e64 v81, s[36:37], 0, v13, s[36:37]
	v_add3_u32 v66, v83, v82, v20
	v_add_co_u32_e64 v82, s[36:37], v12, v68
	v_addc_co_u32_e64 v83, s[36:37], 0, v13, s[36:37]
	;; [unrolled: 3-line block ×3, first 2 shown]
	v_add_co_u32_e64 v86, s[36:37], v12, v64
	v_addc_co_u32_e64 v87, s[36:37], 0, v13, s[36:37]
                                        ; implicit-def: $vgpr18_vgpr19
                                        ; implicit-def: $vgpr20_vgpr21
	s_and_saveexec_b64 s[36:37], s[34:35]
	s_cbranch_execz .LBB1532_95
; %bb.111:                              ;   in Loop: Header=BB1532_96 Depth=1
	v_mad_u64_u32 v[18:19], s[34:35], v70, 7, v[80:81]
	s_barrier
	flat_store_byte v[80:81], v71
	flat_store_byte v[82:83], v67
	;; [unrolled: 1-line block ×4, first 2 shown]
	s_waitcnt lgkmcnt(0)
	s_barrier
	flat_load_ubyte v71, v[48:49]
	flat_load_ubyte v99, v[48:49] offset:64
	flat_load_ubyte v100, v[48:49] offset:128
	;; [unrolled: 1-line block ×3, first 2 shown]
	s_waitcnt lgkmcnt(0)
	s_barrier
	flat_store_dwordx2 v[18:19], v[38:39]
	v_mad_u64_u32 v[18:19], s[34:35], v68, 7, v[82:83]
	flat_store_dwordx2 v[18:19], v[36:37]
	v_mad_u64_u32 v[18:19], s[34:35], v66, 7, v[84:85]
	;; [unrolled: 2-line block ×3, first 2 shown]
	flat_store_dwordx2 v[18:19], v[32:33]
	s_waitcnt lgkmcnt(0)
	s_barrier
	flat_load_dwordx2 v[18:19], v[50:51]
	flat_load_dwordx2 v[20:21], v[50:51] offset:512
	flat_load_dwordx2 v[52:53], v[50:51] offset:1024
	;; [unrolled: 1-line block ×3, first 2 shown]
	v_add_u32_e32 v96, -8, v96
	s_xor_b64 s[44:45], exec, -1
	s_waitcnt lgkmcnt(0)
	s_barrier
	s_waitcnt vmcnt(0)
	v_lshlrev_b16_e32 v99, 8, v99
	v_or_b32_e32 v71, v71, v99
	v_lshlrev_b16_e32 v101, 8, v101
	v_or_b32_sdwa v99, v100, v101 dst_sel:WORD_1 dst_unused:UNUSED_PAD src0_sel:DWORD src1_sel:DWORD
	v_or_b32_sdwa v71, v71, v99 dst_sel:DWORD dst_unused:UNUSED_PAD src0_sel:WORD_0 src1_sel:DWORD
	s_branch .LBB1532_95
.LBB1532_112:
	flat_load_dwordx2 v[18:19], v[4:5]
	s_or_b64 exec, exec, s[22:23]
                                        ; implicit-def: $vgpr70_vgpr71
	s_and_saveexec_b64 s[22:23], s[4:5]
	s_cbranch_execz .LBB1532_20
.LBB1532_113:
	flat_load_dwordx2 v[70:71], v[4:5] offset:512
	s_or_b64 exec, exec, s[22:23]
                                        ; implicit-def: $vgpr80_vgpr81
	s_and_saveexec_b64 s[4:5], s[6:7]
	s_cbranch_execz .LBB1532_21
.LBB1532_114:
	flat_load_dwordx2 v[80:81], v[4:5] offset:1024
	s_or_b64 exec, exec, s[4:5]
                                        ; implicit-def: $vgpr82_vgpr83
	s_and_saveexec_b64 s[4:5], s[10:11]
	s_cbranch_execz .LBB1532_22
.LBB1532_115:
	flat_load_dwordx2 v[82:83], v[4:5] offset:1536
	s_or_b64 exec, exec, s[4:5]
                                        ; implicit-def: $vgpr84_vgpr85
	s_and_saveexec_b64 s[4:5], s[20:21]
	s_cbranch_execz .LBB1532_23
.LBB1532_116:
	flat_load_dwordx2 v[84:85], v[4:5] offset:2048
	s_or_b64 exec, exec, s[4:5]
                                        ; implicit-def: $vgpr86_vgpr87
	s_and_saveexec_b64 s[4:5], s[14:15]
	s_cbranch_execz .LBB1532_24
.LBB1532_117:
	flat_load_dwordx2 v[86:87], v[4:5] offset:2560
	s_or_b64 exec, exec, s[4:5]
                                        ; implicit-def: $vgpr96_vgpr97
	s_and_saveexec_b64 s[4:5], s[16:17]
	s_cbranch_execz .LBB1532_25
.LBB1532_118:
	flat_load_dwordx2 v[96:97], v[4:5] offset:3072
	s_or_b64 exec, exec, s[4:5]
                                        ; implicit-def: $vgpr100_vgpr101
	s_and_saveexec_b64 s[4:5], s[18:19]
	s_cbranch_execnz .LBB1532_26
	s_branch .LBB1532_27
.LBB1532_119:
	s_waitcnt vmcnt(0)
	flat_store_dwordx2 v[0:1], v[26:27]
	s_or_b64 exec, exec, s[22:23]
	s_and_saveexec_b64 s[22:23], s[14:15]
	s_cbranch_execz .LBB1532_71
.LBB1532_120:
	s_waitcnt vmcnt(0)
	flat_store_dwordx2 v[0:1], v[24:25] offset:2048
	s_or_b64 exec, exec, s[22:23]
	s_and_saveexec_b64 s[14:15], s[18:19]
	s_cbranch_execz .LBB1532_72
.LBB1532_121:
	v_add_co_u32_e32 v2, vcc, 0x1000, v0
	v_addc_co_u32_e32 v3, vcc, 0, v1, vcc
	s_waitcnt vmcnt(0)
	flat_store_dwordx2 v[2:3], v[18:19]
	s_or_b64 exec, exec, s[14:15]
	s_and_saveexec_b64 s[14:15], s[16:17]
	s_cbranch_execz .LBB1532_73
.LBB1532_122:
	v_add_co_u32_e32 v2, vcc, 0x1000, v0
	v_addc_co_u32_e32 v3, vcc, 0, v1, vcc
	s_waitcnt vmcnt(0)
	flat_store_dwordx2 v[2:3], v[14:15] offset:2048
	s_or_b64 exec, exec, s[14:15]
	s_and_saveexec_b64 s[14:15], s[20:21]
	s_cbranch_execz .LBB1532_74
.LBB1532_123:
	v_add_co_u32_e32 v2, vcc, 0x2000, v0
	v_addc_co_u32_e32 v3, vcc, 0, v1, vcc
	s_waitcnt vmcnt(0)
	flat_store_dwordx2 v[2:3], v[16:17]
	s_or_b64 exec, exec, s[14:15]
	s_and_saveexec_b64 s[14:15], s[10:11]
	s_cbranch_execz .LBB1532_75
.LBB1532_124:
	v_add_co_u32_e32 v2, vcc, 0x2000, v0
	v_addc_co_u32_e32 v3, vcc, 0, v1, vcc
	s_waitcnt vmcnt(0)
	flat_store_dwordx2 v[2:3], v[12:13] offset:2048
	s_or_b64 exec, exec, s[14:15]
	s_and_saveexec_b64 s[10:11], s[6:7]
	s_cbranch_execz .LBB1532_76
.LBB1532_125:
	v_add_co_u32_e32 v2, vcc, 0x3000, v0
	v_addc_co_u32_e32 v3, vcc, 0, v1, vcc
	s_waitcnt vmcnt(0)
	flat_store_dwordx2 v[2:3], v[10:11]
	s_or_b64 exec, exec, s[10:11]
	s_and_saveexec_b64 s[6:7], s[4:5]
	s_cbranch_execnz .LBB1532_77
	s_branch .LBB1532_78
.LBB1532_126:
	s_or_b64 exec, exec, s[42:43]
	v_add_co_u32_e32 v4, vcc, v12, v22
	v_addc_co_u32_e32 v5, vcc, 0, v13, vcc
	v_mad_u64_u32 v[10:11], s[4:5], v70, 7, v[80:81]
	s_barrier
	flat_store_byte v[80:81], v65
	flat_store_byte v[82:83], v67
	;; [unrolled: 1-line block ×4, first 2 shown]
	s_waitcnt lgkmcnt(0)
	s_barrier
	flat_load_ubyte v18, v[4:5]
	flat_load_ubyte v17, v[4:5] offset:256
	flat_load_ubyte v16, v[4:5] offset:512
	;; [unrolled: 1-line block ×3, first 2 shown]
	s_waitcnt lgkmcnt(0)
	s_barrier
	flat_store_dwordx2 v[10:11], v[38:39]
	v_mad_u64_u32 v[10:11], s[4:5], v68, 7, v[82:83]
	flat_store_dwordx2 v[10:11], v[36:37]
	v_mad_u64_u32 v[10:11], s[4:5], v66, 7, v[84:85]
	;; [unrolled: 2-line block ×3, first 2 shown]
	v_mad_u64_u32 v[20:21], s[4:5], v22, 7, v[4:5]
	s_movk_i32 s4, 0x1000
	v_add_co_u32_e32 v22, vcc, s4, v20
	flat_store_dwordx2 v[10:11], v[32:33]
	s_waitcnt lgkmcnt(0)
	s_barrier
	v_addc_co_u32_e32 v23, vcc, 0, v21, vcc
	flat_load_dwordx2 v[14:15], v[20:21]
	flat_load_dwordx2 v[12:13], v[20:21] offset:2048
	flat_load_dwordx2 v[10:11], v[22:23]
	flat_load_dwordx2 v[4:5], v[22:23] offset:2048
	v_add_co_u32_e32 v2, vcc, v2, v8
	v_addc_co_u32_e32 v3, vcc, 0, v3, vcc
	v_add_co_u32_e32 v2, vcc, v2, v0
	v_addc_co_u32_e32 v3, vcc, 0, v3, vcc
	v_mov_b32_e32 v1, 0
	v_cmp_lt_u32_e32 vcc, v0, v103
	s_waitcnt lgkmcnt(0)
	s_barrier
	s_and_saveexec_b64 s[4:5], vcc
	s_cbranch_execz .LBB1532_128
; %bb.127:
	s_waitcnt vmcnt(0)
	v_xor_b32_e32 v8, 1, v18
	flat_store_byte v[2:3], v8
.LBB1532_128:
	s_or_b64 exec, exec, s[4:5]
	v_add_u32_e32 v8, 0x100, v0
	v_cmp_lt_u32_e64 s[4:5], v8, v103
	s_and_saveexec_b64 s[6:7], s[4:5]
	s_cbranch_execz .LBB1532_130
; %bb.129:
	s_waitcnt vmcnt(0)
	v_xor_b32_e32 v8, 1, v17
	flat_store_byte v[2:3], v8 offset:256
.LBB1532_130:
	s_or_b64 exec, exec, s[6:7]
	v_add_u32_e32 v8, 0x200, v0
	v_cmp_lt_u32_e64 s[10:11], v8, v103
	s_and_saveexec_b64 s[6:7], s[10:11]
	s_cbranch_execz .LBB1532_132
; %bb.131:
	s_waitcnt vmcnt(0)
	v_xor_b32_e32 v8, 1, v16
	flat_store_byte v[2:3], v8 offset:512
.LBB1532_132:
	;; [unrolled: 10-line block ×3, first 2 shown]
	s_or_b64 exec, exec, s[14:15]
	v_add_co_u32_e64 v2, s[14:15], v6, v24
	v_addc_co_u32_e64 v3, s[14:15], v7, v25, s[14:15]
	v_lshlrev_b64 v[0:1], 3, v[0:1]
	v_add_co_u32_e64 v0, s[14:15], v2, v0
	v_addc_co_u32_e64 v1, s[14:15], v3, v1, s[14:15]
	s_and_saveexec_b64 s[14:15], vcc
	s_cbranch_execnz .LBB1532_167
; %bb.135:
	s_or_b64 exec, exec, s[14:15]
	s_and_saveexec_b64 s[14:15], s[4:5]
	s_cbranch_execnz .LBB1532_168
.LBB1532_136:
	s_or_b64 exec, exec, s[14:15]
	s_and_saveexec_b64 s[4:5], s[10:11]
	s_cbranch_execnz .LBB1532_169
.LBB1532_137:
	s_or_b64 exec, exec, s[4:5]
	s_and_saveexec_b64 s[4:5], s[6:7]
	s_cbranch_execz .LBB1532_139
.LBB1532_138:
	v_add_co_u32_e32 v0, vcc, 0x1000, v0
	v_addc_co_u32_e32 v1, vcc, 0, v1, vcc
	s_waitcnt vmcnt(0)
	flat_store_dwordx2 v[0:1], v[4:5] offset:2048
.LBB1532_139:
	s_or_b64 exec, exec, s[4:5]
                                        ; implicit-def: $vgpr103
                                        ; implicit-def: $vgpr0
                                        ; implicit-def: $vgpr1
                                        ; implicit-def: $vgpr2
                                        ; implicit-def: $vgpr3
                                        ; implicit-def: $vgpr4
                                        ; implicit-def: $vgpr5
                                        ; implicit-def: $vgpr6
                                        ; implicit-def: $vgpr7
                                        ; implicit-def: $vgpr8
                                        ; implicit-def: $vgpr10
                                        ; implicit-def: $vgpr11
                                        ; implicit-def: $vgpr12
                                        ; implicit-def: $vgpr13
                                        ; implicit-def: $vgpr31
                                        ; implicit-def: $vgpr18
                                        ; implicit-def: $vgpr21
                                        ; implicit-def: $vgpr14
.LBB1532_140:
	s_andn2_saveexec_b64 s[4:5], s[40:41]
	s_cbranch_execz .LBB1532_199
; %bb.141:
	s_load_dwordx2 s[4:5], s[8:9], 0x0
	s_waitcnt vmcnt(0)
	v_mov_b32_e32 v9, 0
	v_and_b32_e32 v24, 0x3ff, v31
	s_waitcnt lgkmcnt(0)
	s_cmp_lt_u32 s12, s4
	s_cselect_b32 s6, 12, 18
	s_cmp_lt_u32 s13, s5
	s_cselect_b32 s4, 14, 20
	s_add_u32 s4, s8, s4
	s_addc_u32 s5, s9, 0
	global_load_ushort v15, v9, s[4:5]
	s_add_u32 s4, s8, s6
	s_addc_u32 s5, s9, 0
	global_load_ushort v16, v9, s[4:5]
	s_movk_i32 s4, 0x100
	v_cmp_lt_u32_e32 vcc, s4, v103
	s_waitcnt vmcnt(1)
	v_mad_u32_u24 v15, v21, v15, v18
	s_waitcnt vmcnt(0)
	v_mad_u64_u32 v[22:23], s[4:5], v15, v16, v[24:25]
	s_and_saveexec_b64 s[4:5], vcc
	s_xor_b64 s[34:35], exec, s[4:5]
	s_cbranch_execz .LBB1532_179
; %bb.142:
	v_add_co_u32_e32 v0, vcc, v0, v8
	v_mbcnt_hi_u32_b32 v17, -1, v14
	v_addc_co_u32_e32 v1, vcc, 0, v1, vcc
	v_and_b32_e32 v16, 63, v17
	v_lshlrev_b32_e32 v14, 1, v22
	v_add_co_u32_e32 v0, vcc, v0, v16
	v_and_b32_e32 v14, 0xffffff80, v14
	v_addc_co_u32_e32 v1, vcc, 0, v1, vcc
	v_add_co_u32_e32 v0, vcc, v0, v14
	v_addc_co_u32_e32 v1, vcc, 0, v1, vcc
	v_or_b32_e32 v18, v16, v14
	v_mov_b32_e32 v15, 0
	v_cmp_lt_u32_e32 vcc, v18, v103
	v_mov_b32_e32 v23, v9
	s_and_saveexec_b64 s[4:5], vcc
	s_cbranch_execz .LBB1532_144
; %bb.143:
	flat_load_ubyte v23, v[0:1]
.LBB1532_144:
	s_or_b64 exec, exec, s[4:5]
	v_or_b32_e32 v18, 64, v18
	v_cmp_lt_u32_e64 s[4:5], v18, v103
	s_and_saveexec_b64 s[6:7], s[4:5]
	s_cbranch_execz .LBB1532_146
; %bb.145:
	flat_load_ubyte v0, v[0:1] offset:64
	s_waitcnt vmcnt(0) lgkmcnt(0)
	v_lshlrev_b16_e32 v0, 8, v0
	v_or_b32_e32 v0, v23, v0
	v_and_b32_e32 v23, 0xffff, v0
.LBB1532_146:
	s_or_b64 exec, exec, s[6:7]
	v_lshlrev_b64 v[0:1], 3, v[8:9]
	v_add_co_u32_e64 v4, s[6:7], v4, v0
	v_addc_co_u32_e64 v5, s[6:7], v5, v1, s[6:7]
	v_lshlrev_b32_e32 v9, 3, v16
	v_add_co_u32_e64 v9, s[6:7], v4, v9
	v_addc_co_u32_e64 v18, s[6:7], 0, v5, s[6:7]
	v_lshlrev_b64 v[4:5], 3, v[14:15]
	v_add_co_u32_e64 v4, s[6:7], v9, v4
	v_addc_co_u32_e64 v5, s[6:7], v18, v5, s[6:7]
                                        ; implicit-def: $vgpr18_vgpr19
	s_and_saveexec_b64 s[6:7], vcc
	s_cbranch_execz .LBB1532_148
; %bb.147:
	flat_load_dwordx2 v[18:19], v[4:5]
.LBB1532_148:
	s_or_b64 exec, exec, s[6:7]
                                        ; implicit-def: $vgpr20_vgpr21
	s_and_saveexec_b64 s[6:7], s[4:5]
	s_cbranch_execz .LBB1532_150
; %bb.149:
	flat_load_dwordx2 v[20:21], v[4:5] offset:512
.LBB1532_150:
	s_or_b64 exec, exec, s[6:7]
	v_mov_b32_e32 v4, 1
	s_waitcnt vmcnt(0) lgkmcnt(0)
	v_and_b32_sdwa v4, v4, v23 dst_sel:DWORD dst_unused:UNUSED_PAD src0_sel:DWORD src1_sel:BYTE_1
	v_cmp_eq_u32_e32 vcc, 1, v4
	v_and_b32_e32 v4, 1, v23
	v_cmp_eq_u32_e64 s[4:5], 1, v4
	s_xor_b64 s[4:5], s[4:5], -1
	v_cndmask_b32_e64 v4, 0, 1, s[4:5]
	s_xor_b64 s[4:5], vcc, -1
	v_cndmask_b32_e64 v5, 0, 1, s[4:5]
	v_lshlrev_b16_e32 v5, 8, v5
	v_or_b32_e32 v4, v4, v5
	v_add_co_u32_e32 v9, vcc, 16, v12
	v_and_b32_e32 v64, 0xffff, v4
	v_addc_co_u32_e32 v23, vcc, 0, v13, vcc
	v_lshlrev_b32_e32 v4, 4, v24
	v_add_co_u32_e32 v4, vcc, v12, v4
	s_getpc_b64 s[4:5]
	s_add_u32 s4, s4, _ZN7rocprim17ROCPRIM_400000_NS16block_radix_sortIbLj256ELj2ElLj1ELj1ELj8ELNS0_26block_radix_rank_algorithmE2ELNS0_18block_padding_hintE2ELNS0_4arch9wavefront6targetE1EE19radix_bits_per_passE@rel32@lo+4
	s_addc_u32 s5, s5, _ZN7rocprim17ROCPRIM_400000_NS16block_radix_sortIbLj256ELj2ElLj1ELj1ELj8ELNS0_26block_radix_rank_algorithmE2ELNS0_18block_padding_hintE2ELNS0_4arch9wavefront6targetE1EE19radix_bits_per_passE@rel32@hi+12
	v_addc_co_u32_e32 v5, vcc, 0, v13, vcc
	v_and_b32_e32 v26, 15, v17
	s_load_dword s42, s[4:5], 0x0
	v_cmp_eq_u32_e32 vcc, 0, v26
	v_cmp_lt_u32_e64 s[4:5], 1, v26
	v_cmp_lt_u32_e64 s[6:7], 3, v26
	;; [unrolled: 1-line block ×3, first 2 shown]
	v_and_b32_e32 v26, 16, v17
	v_cmp_eq_u32_e64 s[10:11], 0, v26
	v_and_b32_e32 v26, 0x3c0, v24
	v_min_u32_e32 v26, 0xc0, v26
	v_or_b32_e32 v26, 63, v26
	v_cmp_eq_u32_e64 s[14:15], v26, v24
	v_add_u32_e32 v26, -1, v17
	v_and_b32_e32 v27, 64, v17
	v_cmp_lt_i32_e64 s[20:21], v26, v27
	v_lshrrev_b32_e32 v30, 6, v24
	v_cndmask_b32_e64 v26, v26, v17, s[20:21]
	v_lshlrev_b32_e32 v65, 2, v26
	v_lshlrev_b32_e32 v26, 2, v30
	v_add_co_u32_e64 v26, s[24:25], v12, v26
	v_lshlrev_b32_e32 v14, 2, v24
	v_addc_co_u32_e64 v27, s[24:25], 0, v13, s[24:25]
	v_add_co_u32_e64 v28, s[24:25], v12, v14
	v_addc_co_u32_e64 v29, s[24:25], 0, v13, s[24:25]
	v_and_b32_e32 v14, 3, v17
	v_mov_b32_e32 v15, 0
	v_cmp_eq_u32_e64 s[24:25], 0, v14
	v_cmp_lt_u32_e64 s[26:27], 1, v14
	v_add_u32_e32 v14, -1, v30
	v_lshlrev_b64 v[30:31], 2, v[14:15]
	v_add_co_u32_e64 v30, s[28:29], v12, v30
	v_addc_co_u32_e64 v31, s[28:29], v13, v31, s[28:29]
	v_lshlrev_b32_e32 v14, 1, v24
	s_movk_i32 s28, 0x780
	v_and_or_b32 v14, v14, s28, v16
	v_add_co_u32_e64 v36, s[28:29], v12, v14
	v_addc_co_u32_e64 v37, s[28:29], 0, v13, s[28:29]
	v_lshrrev_b32_e32 v25, 6, v22
	v_cmp_lt_u32_e64 s[12:13], 31, v17
	v_cmp_gt_u32_e64 s[16:17], 4, v24
	v_cmp_lt_u32_e64 s[18:19], 63, v24
	v_cmp_eq_u32_e64 s[20:21], 0, v17
	v_cmp_eq_u32_e64 s[22:23], 0, v24
	v_mad_u64_u32 v[38:39], s[28:29], v14, 7, v[36:37]
	v_sub_u32_e32 v66, v11, v10
	s_mov_b64 s[36:37], 0
	v_mov_b32_e32 v14, v15
	v_mov_b32_e32 v16, v15
	;; [unrolled: 1-line block ×3, first 2 shown]
	s_waitcnt lgkmcnt(0)
	s_barrier
	s_branch .LBB1532_152
.LBB1532_151:                           ;   in Loop: Header=BB1532_152 Depth=1
	s_or_b64 exec, exec, s[30:31]
	s_and_b64 s[28:29], exec, s[40:41]
	s_or_b64 s[36:37], s[28:29], s[36:37]
	s_andn2_b64 exec, exec, s[36:37]
	s_cbranch_execz .LBB1532_170
.LBB1532_152:                           ; =>This Inner Loop Header: Depth=1
	v_pk_mov_b32 v[34:35], v[18:19], v[18:19] op_sel:[0,1]
	v_min_u32_e32 v18, s42, v66
	v_lshlrev_b32_e64 v18, v18, -1
	v_pk_mov_b32 v[32:33], v[20:21], v[20:21] op_sel:[0,1]
	v_not_b32_e32 v20, v18
	v_lshrrev_b32_sdwa v18, v10, v64 dst_sel:DWORD dst_unused:UNUSED_PAD src0_sel:DWORD src1_sel:BYTE_0
	v_and_b32_e32 v18, v18, v20
	v_lshlrev_b32_e32 v19, 2, v18
	v_add_lshl_u32 v19, v19, v25, 2
	v_add_co_u32_e64 v48, s[28:29], v9, v19
	v_addc_co_u32_e64 v49, s[28:29], 0, v23, s[28:29]
	v_cmp_ne_u32_e64 s[28:29], 0, v18
	v_add_co_u32_e64 v18, s[30:31], -1, v18
	v_addc_co_u32_e64 v19, s[30:31], 0, -1, s[30:31]
	v_xor_b32_e32 v18, s28, v18
	v_xor_b32_e32 v19, s29, v19
	v_and_b32_e32 v18, exec_lo, v18
	v_and_b32_e32 v19, exec_hi, v19
	v_mbcnt_lo_u32_b32 v21, v18, 0
	v_mbcnt_hi_u32_b32 v52, v19, v21
	v_cmp_eq_u32_e64 s[28:29], 0, v52
	v_cmp_ne_u64_e64 s[30:31], 0, v[18:19]
	s_and_b64 s[30:31], s[30:31], s[28:29]
	flat_store_dwordx4 v[4:5], v[14:17] offset:16
	s_waitcnt lgkmcnt(0)
	s_barrier
	s_waitcnt lgkmcnt(0)
	; wave barrier
	s_and_saveexec_b64 s[28:29], s[30:31]
	s_cbranch_execz .LBB1532_154
; %bb.153:                              ;   in Loop: Header=BB1532_152 Depth=1
	v_bcnt_u32_b32 v18, v18, 0
	v_bcnt_u32_b32 v18, v19, v18
	flat_store_dword v[48:49], v18
.LBB1532_154:                           ;   in Loop: Header=BB1532_152 Depth=1
	s_or_b64 exec, exec, s[28:29]
	v_lshrrev_b16_e32 v67, 8, v64
	v_lshrrev_b32_e32 v18, v10, v67
	v_and_b32_e32 v18, v18, v20
	v_lshlrev_b32_e32 v19, 2, v18
	v_add_lshl_u32 v19, v19, v25, 2
	v_add_co_u32_e64 v50, s[28:29], v9, v19
	v_addc_co_u32_e64 v51, s[28:29], 0, v23, s[28:29]
	; wave barrier
	flat_load_dword v53, v[50:51]
	v_cmp_ne_u32_e64 s[28:29], 0, v18
	v_add_co_u32_e64 v18, s[30:31], -1, v18
	v_addc_co_u32_e64 v19, s[30:31], 0, -1, s[30:31]
	v_xor_b32_e32 v18, s28, v18
	v_xor_b32_e32 v19, s29, v19
	v_and_b32_e32 v18, exec_lo, v18
	v_and_b32_e32 v19, exec_hi, v19
	v_mbcnt_lo_u32_b32 v20, v18, 0
	v_mbcnt_hi_u32_b32 v54, v19, v20
	v_cmp_eq_u32_e64 s[28:29], 0, v54
	v_cmp_ne_u64_e64 s[30:31], 0, v[18:19]
	s_and_b64 s[30:31], s[30:31], s[28:29]
	; wave barrier
	s_and_saveexec_b64 s[28:29], s[30:31]
	s_cbranch_execz .LBB1532_156
; %bb.155:                              ;   in Loop: Header=BB1532_152 Depth=1
	v_bcnt_u32_b32 v18, v18, 0
	v_bcnt_u32_b32 v18, v19, v18
	s_waitcnt vmcnt(0) lgkmcnt(0)
	v_add_u32_e32 v18, v53, v18
	flat_store_dword v[50:51], v18
.LBB1532_156:                           ;   in Loop: Header=BB1532_152 Depth=1
	s_or_b64 exec, exec, s[28:29]
	; wave barrier
	s_waitcnt lgkmcnt(0)
	s_barrier
	flat_load_dwordx4 v[18:21], v[4:5] offset:16
	s_waitcnt vmcnt(0) lgkmcnt(0)
	v_add_u32_e32 v55, v19, v18
	v_add3_u32 v21, v55, v20, v21
	s_nop 1
	v_mov_b32_dpp v55, v21 row_shr:1 row_mask:0xf bank_mask:0xf
	v_cndmask_b32_e64 v55, v55, 0, vcc
	v_add_u32_e32 v21, v55, v21
	s_nop 1
	v_mov_b32_dpp v55, v21 row_shr:2 row_mask:0xf bank_mask:0xf
	v_cndmask_b32_e64 v55, 0, v55, s[4:5]
	v_add_u32_e32 v21, v21, v55
	s_nop 1
	v_mov_b32_dpp v55, v21 row_shr:4 row_mask:0xf bank_mask:0xf
	v_cndmask_b32_e64 v55, 0, v55, s[6:7]
	;; [unrolled: 4-line block ×3, first 2 shown]
	v_add_u32_e32 v21, v21, v55
	s_nop 1
	v_mov_b32_dpp v55, v21 row_bcast:15 row_mask:0xf bank_mask:0xf
	v_cndmask_b32_e64 v55, v55, 0, s[10:11]
	v_add_u32_e32 v21, v21, v55
	s_nop 1
	v_mov_b32_dpp v55, v21 row_bcast:31 row_mask:0xf bank_mask:0xf
	v_cndmask_b32_e64 v55, 0, v55, s[12:13]
	v_add_u32_e32 v21, v21, v55
	s_and_saveexec_b64 s[28:29], s[14:15]
	s_cbranch_execz .LBB1532_158
; %bb.157:                              ;   in Loop: Header=BB1532_152 Depth=1
	flat_store_dword v[26:27], v21
.LBB1532_158:                           ;   in Loop: Header=BB1532_152 Depth=1
	s_or_b64 exec, exec, s[28:29]
	s_waitcnt lgkmcnt(0)
	s_barrier
	s_and_saveexec_b64 s[28:29], s[16:17]
	s_cbranch_execz .LBB1532_160
; %bb.159:                              ;   in Loop: Header=BB1532_152 Depth=1
	flat_load_dword v55, v[28:29]
	s_waitcnt vmcnt(0) lgkmcnt(0)
	s_nop 0
	v_mov_b32_dpp v68, v55 row_shr:1 row_mask:0xf bank_mask:0xf
	v_cndmask_b32_e64 v68, v68, 0, s[24:25]
	v_add_u32_e32 v55, v68, v55
	s_nop 1
	v_mov_b32_dpp v68, v55 row_shr:2 row_mask:0xf bank_mask:0xf
	v_cndmask_b32_e64 v68, 0, v68, s[26:27]
	v_add_u32_e32 v55, v55, v68
	flat_store_dword v[28:29], v55
.LBB1532_160:                           ;   in Loop: Header=BB1532_152 Depth=1
	s_or_b64 exec, exec, s[28:29]
	v_mov_b32_e32 v55, 0
	s_waitcnt lgkmcnt(0)
	s_barrier
	s_and_saveexec_b64 s[28:29], s[18:19]
	s_cbranch_execz .LBB1532_162
; %bb.161:                              ;   in Loop: Header=BB1532_152 Depth=1
	flat_load_dword v55, v[30:31]
.LBB1532_162:                           ;   in Loop: Header=BB1532_152 Depth=1
	s_or_b64 exec, exec, s[28:29]
	s_waitcnt vmcnt(0) lgkmcnt(0)
	v_add_u32_e32 v21, v55, v21
	ds_bpermute_b32 v21, v65, v21
	v_add_u32_e32 v10, 8, v10
	v_cmp_lt_u32_e64 s[28:29], v10, v11
	s_mov_b64 s[40:41], -1
	s_waitcnt lgkmcnt(0)
	v_cndmask_b32_e64 v21, v21, v55, s[20:21]
	v_cndmask_b32_e64 v68, v21, 0, s[22:23]
	v_add_u32_e32 v69, v68, v18
	v_add_u32_e32 v70, v69, v19
	;; [unrolled: 1-line block ×3, first 2 shown]
	flat_store_dwordx4 v[4:5], v[68:71] offset:16
	s_waitcnt lgkmcnt(0)
	s_barrier
	flat_load_dword v18, v[48:49]
	flat_load_dword v19, v[50:51]
	v_mov_b32_e32 v49, v64
	s_waitcnt lgkmcnt(0)
                                        ; implicit-def: $vgpr20_vgpr21
	s_waitcnt vmcnt(0) lgkmcnt(0)
	v_add_u32_e32 v50, v18, v52
	v_add_co_u32_e64 v52, s[30:31], v12, v50
	v_add3_u32 v48, v54, v53, v19
	v_addc_co_u32_e64 v53, s[30:31], 0, v13, s[30:31]
	v_add_co_u32_e64 v54, s[30:31], v12, v48
	v_addc_co_u32_e64 v55, s[30:31], 0, v13, s[30:31]
                                        ; implicit-def: $vgpr18_vgpr19
	s_and_saveexec_b64 s[30:31], s[28:29]
	s_cbranch_execz .LBB1532_151
; %bb.163:                              ;   in Loop: Header=BB1532_152 Depth=1
	s_barrier
	flat_store_byte v[52:53], v64
	flat_store_byte v[54:55], v67
	s_waitcnt lgkmcnt(0)
	s_barrier
	flat_load_ubyte v51, v[36:37]
	flat_load_ubyte v64, v[36:37] offset:64
	v_mad_u64_u32 v[18:19], s[28:29], v50, 7, v[52:53]
	s_waitcnt lgkmcnt(0)
	s_barrier
	flat_store_dwordx2 v[18:19], v[34:35]
	v_mad_u64_u32 v[18:19], s[28:29], v48, 7, v[54:55]
	flat_store_dwordx2 v[18:19], v[32:33]
	s_waitcnt lgkmcnt(0)
	s_barrier
	flat_load_dwordx2 v[18:19], v[38:39]
	flat_load_dwordx2 v[20:21], v[38:39] offset:512
	v_add_u32_e32 v66, -8, v66
	s_xor_b64 s[40:41], exec, -1
	s_waitcnt lgkmcnt(0)
	s_barrier
	s_waitcnt vmcnt(0)
	v_lshlrev_b16_e32 v64, 8, v64
	v_or_b32_e32 v51, v51, v64
	v_and_b32_e32 v64, 0xffff, v51
	s_branch .LBB1532_151
.LBB1532_164:
	flat_load_dwordx2 v[18:19], v[4:5]
	s_or_b64 exec, exec, s[14:15]
                                        ; implicit-def: $vgpr20_vgpr21
	s_and_saveexec_b64 s[14:15], s[4:5]
	s_cbranch_execz .LBB1532_91
.LBB1532_165:
	flat_load_dwordx2 v[20:21], v[4:5] offset:512
	s_or_b64 exec, exec, s[14:15]
                                        ; implicit-def: $vgpr52_vgpr53
	s_and_saveexec_b64 s[4:5], s[6:7]
	s_cbranch_execz .LBB1532_92
.LBB1532_166:
	flat_load_dwordx2 v[52:53], v[4:5] offset:1024
	s_or_b64 exec, exec, s[4:5]
                                        ; implicit-def: $vgpr54_vgpr55
	s_and_saveexec_b64 s[4:5], s[10:11]
	s_cbranch_execnz .LBB1532_93
	s_branch .LBB1532_94
.LBB1532_167:
	s_waitcnt vmcnt(0)
	flat_store_dwordx2 v[0:1], v[14:15]
	s_or_b64 exec, exec, s[14:15]
	s_and_saveexec_b64 s[14:15], s[4:5]
	s_cbranch_execz .LBB1532_136
.LBB1532_168:
	s_waitcnt vmcnt(0)
	flat_store_dwordx2 v[0:1], v[12:13] offset:2048
	s_or_b64 exec, exec, s[14:15]
	s_and_saveexec_b64 s[4:5], s[10:11]
	s_cbranch_execz .LBB1532_137
.LBB1532_169:
	v_add_co_u32_e32 v2, vcc, 0x1000, v0
	v_addc_co_u32_e32 v3, vcc, 0, v1, vcc
	s_waitcnt vmcnt(0)
	flat_store_dwordx2 v[2:3], v[10:11]
	s_or_b64 exec, exec, s[4:5]
	s_and_saveexec_b64 s[4:5], s[6:7]
	s_cbranch_execnz .LBB1532_138
	s_branch .LBB1532_139
.LBB1532_170:
	s_or_b64 exec, exec, s[36:37]
	v_add_co_u32_e32 v4, vcc, v12, v24
	v_addc_co_u32_e32 v5, vcc, 0, v13, vcc
	v_mad_u64_u32 v[10:11], s[4:5], v50, 7, v[52:53]
	s_barrier
	flat_store_byte v[52:53], v49
	flat_store_byte v[54:55], v67
	s_waitcnt lgkmcnt(0)
	s_barrier
	flat_load_ubyte v12, v[4:5]
	flat_load_ubyte v9, v[4:5] offset:256
	s_waitcnt lgkmcnt(0)
	s_barrier
	flat_store_dwordx2 v[10:11], v[34:35]
	v_mad_u64_u32 v[10:11], s[4:5], v48, 7, v[54:55]
	v_mad_u64_u32 v[14:15], s[4:5], v24, 7, v[4:5]
	flat_store_dwordx2 v[10:11], v[32:33]
	s_waitcnt lgkmcnt(0)
	s_barrier
	flat_load_dwordx2 v[10:11], v[14:15]
	flat_load_dwordx2 v[4:5], v[14:15] offset:2048
	v_add_co_u32_e32 v2, vcc, v2, v8
	v_addc_co_u32_e32 v3, vcc, 0, v3, vcc
	v_add_co_u32_e32 v2, vcc, v2, v22
	v_addc_co_u32_e32 v3, vcc, 0, v3, vcc
	v_mov_b32_e32 v23, 0
	v_cmp_lt_u32_e32 vcc, v22, v103
	s_waitcnt lgkmcnt(0)
	s_barrier
	s_and_saveexec_b64 s[4:5], vcc
	s_cbranch_execz .LBB1532_172
; %bb.171:
	s_waitcnt vmcnt(0)
	v_xor_b32_e32 v8, 1, v12
	flat_store_byte v[2:3], v8
.LBB1532_172:
	s_or_b64 exec, exec, s[4:5]
	v_add_u32_e32 v8, 0x100, v22
	v_cmp_lt_u32_e64 s[4:5], v8, v103
	s_and_saveexec_b64 s[6:7], s[4:5]
	s_cbranch_execz .LBB1532_174
; %bb.173:
	s_waitcnt vmcnt(0)
	v_xor_b32_e32 v8, 1, v9
	flat_store_byte v[2:3], v8 offset:256
.LBB1532_174:
	s_or_b64 exec, exec, s[6:7]
	v_add_co_u32_e64 v2, s[6:7], v6, v0
	v_addc_co_u32_e64 v3, s[6:7], v7, v1, s[6:7]
	v_lshlrev_b64 v[0:1], 3, v[22:23]
	v_add_co_u32_e64 v0, s[6:7], v2, v0
	v_addc_co_u32_e64 v1, s[6:7], v3, v1, s[6:7]
	s_and_saveexec_b64 s[6:7], vcc
	s_cbranch_execz .LBB1532_176
; %bb.175:
	s_waitcnt vmcnt(0)
	flat_store_dwordx2 v[0:1], v[10:11]
.LBB1532_176:
	s_or_b64 exec, exec, s[6:7]
	s_and_saveexec_b64 s[6:7], s[4:5]
	s_cbranch_execz .LBB1532_178
; %bb.177:
	s_waitcnt vmcnt(0)
	flat_store_dwordx2 v[0:1], v[4:5] offset:2048
.LBB1532_178:
	s_or_b64 exec, exec, s[6:7]
                                        ; implicit-def: $vgpr24
                                        ; implicit-def: $vgpr22_vgpr23
                                        ; implicit-def: $vgpr8_vgpr9
                                        ; implicit-def: $vgpr103
                                        ; implicit-def: $vgpr0
                                        ; implicit-def: $vgpr1
                                        ; implicit-def: $vgpr2
                                        ; implicit-def: $vgpr3
                                        ; implicit-def: $vgpr4
                                        ; implicit-def: $vgpr5
                                        ; implicit-def: $vgpr6
                                        ; implicit-def: $vgpr7
                                        ; implicit-def: $vgpr10
                                        ; implicit-def: $vgpr11
                                        ; implicit-def: $vgpr12
                                        ; implicit-def: $vgpr13
                                        ; implicit-def: $vgpr14
.LBB1532_179:
	s_andn2_saveexec_b64 s[4:5], s[34:35]
	s_cbranch_execz .LBB1532_199
; %bb.180:
	v_mbcnt_hi_u32_b32 v17, -1, v14
	v_bfi_b32 v15, 63, v17, v22
	v_and_b32_e32 v16, 63, v17
	v_and_b32_e32 v14, 0xffffffc0, v22
	v_cmp_lt_u32_e32 vcc, v15, v103
	s_mov_b64 s[4:5], -1
	s_and_saveexec_b64 s[6:7], vcc
	s_cbranch_execz .LBB1532_182
; %bb.181:
	v_add_co_u32_e64 v0, s[4:5], v0, v8
	v_addc_co_u32_e64 v1, s[4:5], 0, v1, s[4:5]
	v_add_co_u32_e64 v0, s[4:5], v0, v16
	v_addc_co_u32_e64 v1, s[4:5], 0, v1, s[4:5]
	;; [unrolled: 2-line block ×3, first 2 shown]
	flat_load_ubyte v0, v[0:1]
	s_waitcnt vmcnt(0) lgkmcnt(0)
	v_and_b32_e32 v0, 1, v0
	v_cmp_eq_u32_e64 s[4:5], 1, v0
	s_xor_b64 s[4:5], s[4:5], -1
	s_orn2_b64 s[4:5], s[4:5], exec
.LBB1532_182:
	s_or_b64 exec, exec, s[6:7]
	s_waitcnt vmcnt(0)
	v_lshlrev_b64 v[0:1], 3, v[8:9]
                                        ; implicit-def: $vgpr18_vgpr19
	s_and_saveexec_b64 s[6:7], vcc
	s_cbranch_execz .LBB1532_184
; %bb.183:
	v_add_co_u32_e32 v4, vcc, v4, v0
	v_addc_co_u32_e32 v5, vcc, v5, v1, vcc
	v_lshlrev_b32_e32 v9, 3, v16
	v_mov_b32_e32 v15, 0
	v_add_co_u32_e32 v9, vcc, v4, v9
	v_addc_co_u32_e32 v18, vcc, 0, v5, vcc
	v_lshlrev_b64 v[4:5], 3, v[14:15]
	v_add_co_u32_e32 v4, vcc, v9, v4
	v_addc_co_u32_e32 v5, vcc, v18, v5, vcc
	flat_load_dwordx2 v[18:19], v[4:5]
.LBB1532_184:
	s_or_b64 exec, exec, s[6:7]
	v_add_co_u32_e32 v9, vcc, 16, v12
	v_and_b32_e32 v32, 0x3c0, v24
	v_addc_co_u32_e32 v23, vcc, 0, v13, vcc
	v_lshlrev_b32_e32 v4, 4, v24
	v_min_u32_e32 v26, 0xc0, v32
	v_add_co_u32_e32 v4, vcc, v12, v4
	v_or_b32_e32 v26, 63, v26
	v_cndmask_b32_e64 v21, 0, 1, s[4:5]
	s_getpc_b64 s[4:5]
	s_add_u32 s4, s4, _ZN7rocprim17ROCPRIM_400000_NS16block_radix_sortIbLj256ELj1ElLj1ELj1ELj8ELNS0_26block_radix_rank_algorithmE2ELNS0_18block_padding_hintE2ELNS0_4arch9wavefront6targetE1EE19radix_bits_per_passE@rel32@lo+4
	s_addc_u32 s5, s5, _ZN7rocprim17ROCPRIM_400000_NS16block_radix_sortIbLj256ELj1ElLj1ELj1ELj8ELNS0_26block_radix_rank_algorithmE2ELNS0_18block_padding_hintE2ELNS0_4arch9wavefront6targetE1EE19radix_bits_per_passE@rel32@hi+12
	v_addc_co_u32_e32 v5, vcc, 0, v13, vcc
	v_and_b32_e32 v20, 15, v17
	v_cmp_eq_u32_e64 s[14:15], v26, v24
	v_add_u32_e32 v26, -1, v17
	v_and_b32_e32 v27, 64, v17
	s_load_dword s40, s[4:5], 0x0
	v_cmp_eq_u32_e32 vcc, 0, v20
	v_cmp_lt_u32_e64 s[4:5], 1, v20
	v_cmp_lt_u32_e64 s[6:7], 3, v20
	v_cmp_lt_u32_e64 s[8:9], 7, v20
	v_and_b32_e32 v20, 16, v17
	v_cmp_lt_i32_e64 s[20:21], v26, v27
	v_cmp_eq_u32_e64 s[10:11], 0, v20
	v_lshrrev_b32_e32 v20, 6, v24
	v_cndmask_b32_e64 v26, v26, v17, s[20:21]
	v_lshlrev_b32_e32 v48, 2, v26
	v_lshlrev_b32_e32 v26, 2, v20
	v_add_co_u32_e64 v26, s[24:25], v12, v26
	v_lshlrev_b32_e32 v14, 2, v24
	v_addc_co_u32_e64 v27, s[24:25], 0, v13, s[24:25]
	v_add_co_u32_e64 v28, s[24:25], v12, v14
	v_addc_co_u32_e64 v29, s[24:25], 0, v13, s[24:25]
	v_and_b32_e32 v14, 3, v17
	v_mov_b32_e32 v15, 0
	v_cmp_eq_u32_e64 s[24:25], 0, v14
	v_cmp_lt_u32_e64 s[26:27], 1, v14
	v_add_u32_e32 v14, -1, v20
	v_lshlrev_b64 v[30:31], 2, v[14:15]
	v_add_co_u32_e64 v30, s[28:29], v12, v30
	v_addc_co_u32_e64 v31, s[28:29], v13, v31, s[28:29]
	v_or_b32_e32 v14, v16, v32
	v_add_co_u32_e64 v34, s[28:29], v12, v14
	v_addc_co_u32_e64 v35, s[28:29], 0, v13, s[28:29]
	v_lshrrev_b32_e32 v25, 6, v22
	v_cmp_lt_u32_e64 s[12:13], 31, v17
	v_cmp_gt_u32_e64 s[16:17], 4, v24
	v_cmp_lt_u32_e64 s[18:19], 63, v24
	v_cmp_eq_u32_e64 s[20:21], 0, v17
	v_cmp_eq_u32_e64 s[22:23], 0, v24
	v_mad_u64_u32 v[36:37], s[28:29], v14, 7, v[34:35]
	v_sub_u32_e32 v49, v11, v10
	s_mov_b64 s[34:35], 0
	v_mov_b32_e32 v14, v15
	v_mov_b32_e32 v16, v15
	;; [unrolled: 1-line block ×3, first 2 shown]
	s_waitcnt lgkmcnt(0)
	s_barrier
	s_branch .LBB1532_186
.LBB1532_185:                           ;   in Loop: Header=BB1532_186 Depth=1
	s_or_b64 exec, exec, s[30:31]
	s_and_b64 s[28:29], exec, s[36:37]
	s_or_b64 s[34:35], s[28:29], s[34:35]
	s_andn2_b64 exec, exec, s[34:35]
	s_cbranch_execz .LBB1532_196
.LBB1532_186:                           ; =>This Inner Loop Header: Depth=1
	s_waitcnt vmcnt(0)
	v_mov_b32_e32 v50, v21
	s_waitcnt vmcnt(0)
	v_pk_mov_b32 v[32:33], v[18:19], v[18:19] op_sel:[0,1]
	v_min_u32_e32 v18, s40, v49
	v_lshrrev_b32_sdwa v19, v10, v50 dst_sel:DWORD dst_unused:UNUSED_PAD src0_sel:DWORD src1_sel:BYTE_0
	v_bfe_u32 v18, v19, 0, v18
	v_lshlrev_b32_e32 v19, 2, v18
	v_add_lshl_u32 v19, v19, v25, 2
	v_add_co_u32_e64 v38, s[28:29], v9, v19
	v_addc_co_u32_e64 v39, s[28:29], 0, v23, s[28:29]
	v_cmp_ne_u32_e64 s[28:29], 0, v18
	v_add_co_u32_e64 v18, s[30:31], -1, v18
	v_addc_co_u32_e64 v19, s[30:31], 0, -1, s[30:31]
	v_xor_b32_e32 v18, s28, v18
	v_xor_b32_e32 v19, s29, v19
	v_and_b32_e32 v18, exec_lo, v18
	v_and_b32_e32 v19, exec_hi, v19
	v_mbcnt_lo_u32_b32 v20, v18, 0
	v_mbcnt_hi_u32_b32 v51, v19, v20
	v_cmp_eq_u32_e64 s[28:29], 0, v51
	v_cmp_ne_u64_e64 s[30:31], 0, v[18:19]
	s_and_b64 s[30:31], s[30:31], s[28:29]
	flat_store_dwordx4 v[4:5], v[14:17] offset:16
	s_waitcnt lgkmcnt(0)
	s_barrier
	s_waitcnt lgkmcnt(0)
	; wave barrier
	s_and_saveexec_b64 s[28:29], s[30:31]
	s_cbranch_execz .LBB1532_188
; %bb.187:                              ;   in Loop: Header=BB1532_186 Depth=1
	v_bcnt_u32_b32 v18, v18, 0
	v_bcnt_u32_b32 v18, v19, v18
	flat_store_dword v[38:39], v18
.LBB1532_188:                           ;   in Loop: Header=BB1532_186 Depth=1
	s_or_b64 exec, exec, s[28:29]
	; wave barrier
	s_waitcnt lgkmcnt(0)
	s_barrier
	flat_load_dwordx4 v[18:21], v[4:5] offset:16
	s_waitcnt vmcnt(0) lgkmcnt(0)
	v_add_u32_e32 v52, v19, v18
	v_add3_u32 v21, v52, v20, v21
	s_nop 1
	v_mov_b32_dpp v52, v21 row_shr:1 row_mask:0xf bank_mask:0xf
	v_cndmask_b32_e64 v52, v52, 0, vcc
	v_add_u32_e32 v21, v52, v21
	s_nop 1
	v_mov_b32_dpp v52, v21 row_shr:2 row_mask:0xf bank_mask:0xf
	v_cndmask_b32_e64 v52, 0, v52, s[4:5]
	v_add_u32_e32 v21, v21, v52
	s_nop 1
	v_mov_b32_dpp v52, v21 row_shr:4 row_mask:0xf bank_mask:0xf
	v_cndmask_b32_e64 v52, 0, v52, s[6:7]
	;; [unrolled: 4-line block ×3, first 2 shown]
	v_add_u32_e32 v21, v21, v52
	s_nop 1
	v_mov_b32_dpp v52, v21 row_bcast:15 row_mask:0xf bank_mask:0xf
	v_cndmask_b32_e64 v52, v52, 0, s[10:11]
	v_add_u32_e32 v21, v21, v52
	s_nop 1
	v_mov_b32_dpp v52, v21 row_bcast:31 row_mask:0xf bank_mask:0xf
	v_cndmask_b32_e64 v52, 0, v52, s[12:13]
	v_add_u32_e32 v21, v21, v52
	s_and_saveexec_b64 s[28:29], s[14:15]
	s_cbranch_execz .LBB1532_190
; %bb.189:                              ;   in Loop: Header=BB1532_186 Depth=1
	flat_store_dword v[26:27], v21
.LBB1532_190:                           ;   in Loop: Header=BB1532_186 Depth=1
	s_or_b64 exec, exec, s[28:29]
	s_waitcnt lgkmcnt(0)
	s_barrier
	s_and_saveexec_b64 s[28:29], s[16:17]
	s_cbranch_execz .LBB1532_192
; %bb.191:                              ;   in Loop: Header=BB1532_186 Depth=1
	flat_load_dword v52, v[28:29]
	s_waitcnt vmcnt(0) lgkmcnt(0)
	s_nop 0
	v_mov_b32_dpp v53, v52 row_shr:1 row_mask:0xf bank_mask:0xf
	v_cndmask_b32_e64 v53, v53, 0, s[24:25]
	v_add_u32_e32 v52, v53, v52
	s_nop 1
	v_mov_b32_dpp v53, v52 row_shr:2 row_mask:0xf bank_mask:0xf
	v_cndmask_b32_e64 v53, 0, v53, s[26:27]
	v_add_u32_e32 v52, v52, v53
	flat_store_dword v[28:29], v52
.LBB1532_192:                           ;   in Loop: Header=BB1532_186 Depth=1
	s_or_b64 exec, exec, s[28:29]
	v_mov_b32_e32 v52, 0
	s_waitcnt lgkmcnt(0)
	s_barrier
	s_and_saveexec_b64 s[28:29], s[18:19]
	s_cbranch_execz .LBB1532_194
; %bb.193:                              ;   in Loop: Header=BB1532_186 Depth=1
	flat_load_dword v52, v[30:31]
.LBB1532_194:                           ;   in Loop: Header=BB1532_186 Depth=1
	s_or_b64 exec, exec, s[28:29]
	s_waitcnt vmcnt(0) lgkmcnt(0)
	v_add_u32_e32 v21, v52, v21
	ds_bpermute_b32 v21, v48, v21
	v_add_u32_e32 v10, 8, v10
	v_cmp_lt_u32_e64 s[28:29], v10, v11
	s_mov_b64 s[36:37], -1
	s_waitcnt lgkmcnt(0)
	v_cndmask_b32_e64 v21, v21, v52, s[20:21]
	v_cndmask_b32_e64 v52, v21, 0, s[22:23]
	v_add_u32_e32 v53, v52, v18
	v_add_u32_e32 v54, v53, v19
	v_add_u32_e32 v55, v54, v20
	flat_store_dwordx4 v[4:5], v[52:55] offset:16
	s_waitcnt lgkmcnt(0)
	s_barrier
	flat_load_dword v18, v[38:39]
	s_waitcnt lgkmcnt(0)
                                        ; implicit-def: $vgpr21
	s_waitcnt vmcnt(0) lgkmcnt(0)
	v_add_u32_e32 v20, v18, v51
	v_add_co_u32_e64 v38, s[30:31], v12, v20
	v_addc_co_u32_e64 v39, s[30:31], 0, v13, s[30:31]
                                        ; implicit-def: $vgpr18_vgpr19
	s_and_saveexec_b64 s[30:31], s[28:29]
	s_cbranch_execz .LBB1532_185
; %bb.195:                              ;   in Loop: Header=BB1532_186 Depth=1
	v_mad_u64_u32 v[18:19], s[28:29], v20, 7, v[38:39]
	s_barrier
	flat_store_byte v[38:39], v50
	s_waitcnt lgkmcnt(0)
	s_barrier
	flat_load_ubyte v21, v[34:35]
	s_waitcnt lgkmcnt(0)
	s_barrier
	flat_store_dwordx2 v[18:19], v[32:33]
	s_waitcnt lgkmcnt(0)
	s_barrier
	flat_load_dwordx2 v[18:19], v[36:37]
	v_add_u32_e32 v49, -8, v49
	s_xor_b64 s[36:37], exec, -1
	s_waitcnt lgkmcnt(0)
	s_barrier
	s_branch .LBB1532_185
.LBB1532_196:
	s_or_b64 exec, exec, s[34:35]
	v_add_co_u32_e32 v4, vcc, v12, v24
	v_addc_co_u32_e32 v5, vcc, 0, v13, vcc
	s_barrier
	flat_store_byte v[38:39], v50
	s_waitcnt lgkmcnt(0)
	s_barrier
	flat_load_ubyte v9, v[4:5]
	v_mad_u64_u32 v[10:11], s[4:5], v20, 7, v[38:39]
	v_mad_u64_u32 v[4:5], s[4:5], v24, 7, v[4:5]
	s_waitcnt lgkmcnt(0)
	s_barrier
	flat_store_dwordx2 v[10:11], v[32:33]
	s_waitcnt lgkmcnt(0)
	s_barrier
	flat_load_dwordx2 v[4:5], v[4:5]
	v_cmp_lt_u32_e32 vcc, v22, v103
	s_waitcnt lgkmcnt(0)
	s_barrier
	s_and_saveexec_b64 s[4:5], vcc
	s_cbranch_execz .LBB1532_198
; %bb.197:
	v_add_co_u32_e32 v6, vcc, v6, v0
	v_mov_b32_e32 v23, 0
	v_addc_co_u32_e32 v7, vcc, v7, v1, vcc
	v_lshlrev_b64 v[0:1], 3, v[22:23]
	v_add_co_u32_e32 v0, vcc, v6, v0
	v_addc_co_u32_e32 v1, vcc, v7, v1, vcc
	v_add_co_u32_e32 v2, vcc, v2, v8
	v_addc_co_u32_e32 v3, vcc, 0, v3, vcc
	v_add_co_u32_e32 v2, vcc, v2, v22
	s_waitcnt vmcnt(0)
	v_xor_b32_e32 v6, 1, v9
	v_addc_co_u32_e32 v3, vcc, 0, v3, vcc
	flat_store_byte v[2:3], v6
	flat_store_dwordx2 v[0:1], v[4:5]
.LBB1532_198:
	s_or_b64 exec, exec, s[4:5]
.LBB1532_199:
	s_or_b64 exec, exec, s[38:39]
	v_readlane_b32 s30, v40, 13
	v_readlane_b32 s31, v40, 14
	;; [unrolled: 1-line block ×15, first 2 shown]
	s_or_saveexec_b64 s[4:5], -1
	buffer_load_dword v40, off, s[0:3], s32 ; 4-byte Folded Reload
	s_mov_b64 exec, s[4:5]
	s_waitcnt vmcnt(0) lgkmcnt(0)
	s_setpc_b64 s[30:31]
.Lfunc_end1532:
	.size	_ZN7rocprim17ROCPRIM_400000_NS6detail40segmented_radix_sort_single_block_helperIblLj256ELj8ELb1EE4sortIPKbPbPKlPlEEbT_T0_T1_T2_jjjjRNS3_12storage_typeE, .Lfunc_end1532-_ZN7rocprim17ROCPRIM_400000_NS6detail40segmented_radix_sort_single_block_helperIblLj256ELj8ELb1EE4sortIPKbPbPKlPlEEbT_T0_T1_T2_jjjjRNS3_12storage_typeE
                                        ; -- End function
	.section	.AMDGPU.csdata,"",@progbits
; Function info:
; codeLenInByte = 12560
; NumSgprs: 51
; NumVgprs: 168
; NumAgprs: 0
; TotalNumVgprs: 168
; ScratchSize: 8
; MemoryBound: 1
	.section	.text._ZN7rocprim17ROCPRIM_400000_NS6detail17trampoline_kernelINS0_14default_configENS1_36segmented_radix_sort_config_selectorIblEEZNS1_25segmented_radix_sort_implIS3_Lb1EPKbPbPKlPlN2at6native12_GLOBAL__N_18offset_tEEE10hipError_tPvRmT1_PNSt15iterator_traitsISK_E10value_typeET2_T3_PNSL_ISQ_E10value_typeET4_jRbjT5_SW_jjP12ihipStream_tbEUlT_E_NS1_11comp_targetILNS1_3genE4ELNS1_11target_archE910ELNS1_3gpuE8ELNS1_3repE0EEENS1_30default_config_static_selectorELNS0_4arch9wavefront6targetE1EEEvSK_,"axG",@progbits,_ZN7rocprim17ROCPRIM_400000_NS6detail17trampoline_kernelINS0_14default_configENS1_36segmented_radix_sort_config_selectorIblEEZNS1_25segmented_radix_sort_implIS3_Lb1EPKbPbPKlPlN2at6native12_GLOBAL__N_18offset_tEEE10hipError_tPvRmT1_PNSt15iterator_traitsISK_E10value_typeET2_T3_PNSL_ISQ_E10value_typeET4_jRbjT5_SW_jjP12ihipStream_tbEUlT_E_NS1_11comp_targetILNS1_3genE4ELNS1_11target_archE910ELNS1_3gpuE8ELNS1_3repE0EEENS1_30default_config_static_selectorELNS0_4arch9wavefront6targetE1EEEvSK_,comdat
	.globl	_ZN7rocprim17ROCPRIM_400000_NS6detail17trampoline_kernelINS0_14default_configENS1_36segmented_radix_sort_config_selectorIblEEZNS1_25segmented_radix_sort_implIS3_Lb1EPKbPbPKlPlN2at6native12_GLOBAL__N_18offset_tEEE10hipError_tPvRmT1_PNSt15iterator_traitsISK_E10value_typeET2_T3_PNSL_ISQ_E10value_typeET4_jRbjT5_SW_jjP12ihipStream_tbEUlT_E_NS1_11comp_targetILNS1_3genE4ELNS1_11target_archE910ELNS1_3gpuE8ELNS1_3repE0EEENS1_30default_config_static_selectorELNS0_4arch9wavefront6targetE1EEEvSK_ ; -- Begin function _ZN7rocprim17ROCPRIM_400000_NS6detail17trampoline_kernelINS0_14default_configENS1_36segmented_radix_sort_config_selectorIblEEZNS1_25segmented_radix_sort_implIS3_Lb1EPKbPbPKlPlN2at6native12_GLOBAL__N_18offset_tEEE10hipError_tPvRmT1_PNSt15iterator_traitsISK_E10value_typeET2_T3_PNSL_ISQ_E10value_typeET4_jRbjT5_SW_jjP12ihipStream_tbEUlT_E_NS1_11comp_targetILNS1_3genE4ELNS1_11target_archE910ELNS1_3gpuE8ELNS1_3repE0EEENS1_30default_config_static_selectorELNS0_4arch9wavefront6targetE1EEEvSK_
	.p2align	8
	.type	_ZN7rocprim17ROCPRIM_400000_NS6detail17trampoline_kernelINS0_14default_configENS1_36segmented_radix_sort_config_selectorIblEEZNS1_25segmented_radix_sort_implIS3_Lb1EPKbPbPKlPlN2at6native12_GLOBAL__N_18offset_tEEE10hipError_tPvRmT1_PNSt15iterator_traitsISK_E10value_typeET2_T3_PNSL_ISQ_E10value_typeET4_jRbjT5_SW_jjP12ihipStream_tbEUlT_E_NS1_11comp_targetILNS1_3genE4ELNS1_11target_archE910ELNS1_3gpuE8ELNS1_3repE0EEENS1_30default_config_static_selectorELNS0_4arch9wavefront6targetE1EEEvSK_,@function
_ZN7rocprim17ROCPRIM_400000_NS6detail17trampoline_kernelINS0_14default_configENS1_36segmented_radix_sort_config_selectorIblEEZNS1_25segmented_radix_sort_implIS3_Lb1EPKbPbPKlPlN2at6native12_GLOBAL__N_18offset_tEEE10hipError_tPvRmT1_PNSt15iterator_traitsISK_E10value_typeET2_T3_PNSL_ISQ_E10value_typeET4_jRbjT5_SW_jjP12ihipStream_tbEUlT_E_NS1_11comp_targetILNS1_3genE4ELNS1_11target_archE910ELNS1_3gpuE8ELNS1_3repE0EEENS1_30default_config_static_selectorELNS0_4arch9wavefront6targetE1EEEvSK_: ; @_ZN7rocprim17ROCPRIM_400000_NS6detail17trampoline_kernelINS0_14default_configENS1_36segmented_radix_sort_config_selectorIblEEZNS1_25segmented_radix_sort_implIS3_Lb1EPKbPbPKlPlN2at6native12_GLOBAL__N_18offset_tEEE10hipError_tPvRmT1_PNSt15iterator_traitsISK_E10value_typeET2_T3_PNSL_ISQ_E10value_typeET4_jRbjT5_SW_jjP12ihipStream_tbEUlT_E_NS1_11comp_targetILNS1_3genE4ELNS1_11target_archE910ELNS1_3gpuE8ELNS1_3repE0EEENS1_30default_config_static_selectorELNS0_4arch9wavefront6targetE1EEEvSK_
; %bb.0:
	s_add_u32 flat_scratch_lo, s6, s10
	s_addc_u32 flat_scratch_hi, s7, 0
	s_mov_b32 s33, s9
	s_mov_b64 s[48:49], s[4:5]
	s_mov_b32 s50, s8
	s_load_dwordx2 s[8:9], s[4:5], 0x38
	s_nop 0
	s_load_dwordx4 s[4:7], s[4:5], 0x40
	s_add_u32 s0, s0, s10
	s_mov_b32 s11, 0
	s_mov_b32 s10, s50
	s_addc_u32 s1, s1, 0
	s_lshl_b64 s[10:11], s[10:11], 2
	s_waitcnt lgkmcnt(0)
	s_add_u32 s8, s8, s10
	s_addc_u32 s9, s9, s11
	s_load_dword s8, s[8:9], 0x0
	s_mov_b32 s32, 0
	s_waitcnt lgkmcnt(0)
	s_add_i32 s51, s8, s5
	s_add_i32 s76, s8, s7
	s_mul_i32 s51, s51, s4
	s_mul_i32 s76, s76, s6
	s_cmp_le_u32 s76, s51
	s_cbranch_scc1 .LBB1533_678
; %bb.1:
	s_load_dword s4, s[48:49], 0x30
	s_load_dwordx4 s[64:67], s[48:49], 0x20
	s_load_dwordx4 s[68:71], s[48:49], 0x50
	s_load_dwordx8 s[56:63], s[48:49], 0x0
	s_waitcnt lgkmcnt(0)
	s_bitcmp1_b32 s4, 0
	s_cselect_b64 s[54:55], -1, 0
	s_sub_i32 s71, s76, s51
	s_cmpk_lt_u32 s71, 0x801
	s_mov_b64 s[4:5], -1
	s_cbranch_scc0 .LBB1533_7
; %bb.2:
	s_and_b32 s4, s68, 1
	v_cndmask_b32_e64 v1, 0, 1, s[54:55]
	v_cmp_ne_u32_e32 vcc, s4, v1
	s_mov_b64 s[4:5], -1
	s_cbranch_vccnz .LBB1533_4
; %bb.3:
	s_add_u32 s8, s48, 0x60
	s_mov_b64 s[4:5], src_shared_base
	s_addc_u32 s9, s49, 0
	s_mov_b32 s12, s50
	s_mov_b32 s13, s33
	v_mov_b32_e32 v31, v0
	v_mov_b32_e32 v41, v0
	;; [unrolled: 1-line block ×16, first 2 shown]
	s_getpc_b64 s[6:7]
	s_add_u32 s6, s6, _ZN7rocprim17ROCPRIM_400000_NS6detail40segmented_radix_sort_single_block_helperIblLj256ELj8ELb1EE4sortIPKbPbPKlPlEEbT_T0_T1_T2_jjjjRNS3_12storage_typeE@rel32@lo+4
	s_addc_u32 s7, s7, _ZN7rocprim17ROCPRIM_400000_NS6detail40segmented_radix_sort_single_block_helperIblLj256ELj8ELb1EE4sortIPKbPbPKlPlEEbT_T0_T1_T2_jjjjRNS3_12storage_typeE@rel32@hi+12
	s_swappc_b64 s[30:31], s[6:7]
	v_mov_b32_e32 v0, v41
	s_mov_b64 s[4:5], 0
.LBB1533_4:
	s_andn2_b64 vcc, exec, s[4:5]
	s_cbranch_vccnz .LBB1533_6
; %bb.5:
	s_add_u32 s8, s48, 0x60
	s_mov_b64 s[4:5], src_shared_base
	s_addc_u32 s9, s49, 0
	s_mov_b32 s12, s50
	s_mov_b32 s13, s33
	v_mov_b32_e32 v31, v0
	v_mov_b32_e32 v41, v0
	;; [unrolled: 1-line block ×16, first 2 shown]
	s_getpc_b64 s[6:7]
	s_add_u32 s6, s6, _ZN7rocprim17ROCPRIM_400000_NS6detail40segmented_radix_sort_single_block_helperIblLj256ELj8ELb1EE4sortIPKbPbPKlPlEEbT_T0_T1_T2_jjjjRNS3_12storage_typeE@rel32@lo+4
	s_addc_u32 s7, s7, _ZN7rocprim17ROCPRIM_400000_NS6detail40segmented_radix_sort_single_block_helperIblLj256ELj8ELb1EE4sortIPKbPbPKlPlEEbT_T0_T1_T2_jjjjRNS3_12storage_typeE@rel32@hi+12
	s_swappc_b64 s[30:31], s[6:7]
	v_mov_b32_e32 v0, v41
.LBB1533_6:
	s_mov_b64 s[4:5], 0
.LBB1533_7:
	s_andn2_b64 vcc, exec, s[4:5]
	s_cbranch_vccnz .LBB1533_678
; %bb.8:
	s_cmp_ge_u32 s69, s70
	s_cbranch_scc1 .LBB1533_678
; %bb.9:
	v_and_b32_e32 v2, 0x3ff, v0
	v_mov_b32_e32 v4, s61
	v_add_co_u32_e32 v28, vcc, s60, v2
	v_addc_co_u32_e32 v29, vcc, 0, v4, vcc
	v_or_b32_e32 v4, 63, v2
	v_cmp_eq_u32_e64 s[6:7], v4, v2
	v_lshrrev_b32_e32 v4, 4, v2
	v_and_b32_e32 v35, 12, v4
	v_lshlrev_b32_e32 v4, 3, v2
	v_bfe_u32 v40, v0, 20, 10
	v_bfe_u32 v41, v0, 10, 10
	v_mul_u32_u24_e32 v0, 5, v2
	v_mov_b32_e32 v43, 0x410
	v_and_b32_e32 v39, 0x600, v4
	v_lshl_add_u32 v44, v0, 2, v43
	v_lshlrev_b32_e32 v0, 4, v2
	v_sub_u32_e32 v45, 0, v0
	v_lshlrev_b32_e32 v0, 3, v39
	v_mov_b32_e32 v4, s67
	v_add_co_u32_e32 v46, vcc, s66, v0
	v_addc_co_u32_e32 v47, vcc, 0, v4, vcc
	v_mov_b32_e32 v4, s61
	v_add_co_u32_e32 v48, vcc, s60, v39
	v_addc_co_u32_e32 v49, vcc, 0, v4, vcc
	;; [unrolled: 3-line block ×7, first 2 shown]
	v_lshlrev_b32_e32 v3, 2, v2
	v_mov_b32_e32 v0, s57
	v_add_co_u32_e32 v61, vcc, s56, v39
	s_movk_i32 s4, 0x100
	v_mad_u32_u24 v34, v2, 12, v3
	s_add_u32 s74, s48, 0x60
	s_movk_i32 s68, 0xff
	v_addc_co_u32_e32 v62, vcc, 0, v0, vcc
	v_mbcnt_lo_u32_b32 v0, -1, 0
	s_mov_b32 s73, 0
	v_mov_b32_e32 v1, 0
	v_or_b32_e32 v24, 0x100, v2
	v_or_b32_e32 v25, 0x200, v2
	;; [unrolled: 1-line block ×3, first 2 shown]
	v_and_b32_e32 v27, 3, v2
	v_or_b32_e32 v30, 0x400, v2
	v_or_b32_e32 v31, 0x500, v2
	;; [unrolled: 1-line block ×4, first 2 shown]
	v_cmp_gt_u32_e64 s[4:5], s4, v2
	v_or_b32_e32 v36, 0x4400, v35
	v_cmp_gt_u32_e64 s[8:9], 4, v2
	v_add_u32_e32 v37, 0x4400, v3
	v_cmp_lt_u32_e64 s[10:11], 63, v2
	v_add_u32_e32 v38, 0x43fc, v35
	s_addc_u32 s75, s49, 0
	v_add_u32_e32 v42, v34, v3
	v_cmp_eq_u32_e64 s[12:13], 0, v2
	v_cmp_ne_u32_e64 s[14:15], s68, v2
	v_mul_u32_u24_e32 v50, 7, v2
	s_mov_b32 s77, 0xffff
	v_mov_b32_e32 v63, 1
	s_mov_b32 s78, 0x7060004
	s_movk_i32 s79, 0xff00
	s_mov_b32 s80, 0x3020104
	s_mov_b32 s81, 0x7000504
	;; [unrolled: 1-line block ×3, first 2 shown]
	v_mbcnt_hi_u32_b32 v64, -1, v0
	s_mov_b32 s83, s69
	s_branch .LBB1533_12
.LBB1533_10:                            ;   in Loop: Header=BB1533_12 Depth=1
	s_waitcnt lgkmcnt(0)
	s_barrier
.LBB1533_11:                            ;   in Loop: Header=BB1533_12 Depth=1
	s_add_i32 s83, s83, 8
	s_cmp_ge_u32 s83, s70
	s_cbranch_scc1 .LBB1533_678
.LBB1533_12:                            ; =>This Loop Header: Depth=1
                                        ;     Child Loop BB1533_16 Depth 2
                                        ;     Child Loop BB1533_66 Depth 2
	;; [unrolled: 1-line block ×8, first 2 shown]
	s_sub_i32 s16, s70, s83
	s_min_u32 s16, s16, 8
	s_lshl_b32 s16, -1, s16
	s_xor_b64 s[54:55], s[54:55], -1
	s_not_b32 s84, s16
	s_cmp_lg_u32 s83, s69
	s_mov_b64 s[16:17], -1
	ds_write2st64_b32 v3, v1, v1 offset1:4
	ds_write2st64_b32 v3, v1, v1 offset0:8 offset1:12
	s_waitcnt lgkmcnt(0)
	s_cbranch_scc0 .LBB1533_346
; %bb.13:                               ;   in Loop: Header=BB1533_12 Depth=1
	s_and_b64 vcc, exec, s[54:55]
	s_cbranch_vccz .LBB1533_179
; %bb.14:                               ;   in Loop: Header=BB1533_12 Depth=1
	s_mov_b32 s20, s71
	s_mov_b32 s22, s51
	s_barrier
	s_waitcnt lgkmcnt(0)
                                        ; implicit-def: $vgpr0
                                        ; implicit-def: $vgpr6
                                        ; implicit-def: $vgpr7
                                        ; implicit-def: $vgpr8
                                        ; implicit-def: $vgpr9
                                        ; implicit-def: $vgpr10
                                        ; implicit-def: $vgpr11
                                        ; implicit-def: $vgpr12
	s_branch .LBB1533_16
.LBB1533_15:                            ;   in Loop: Header=BB1533_16 Depth=2
	s_or_b64 exec, exec, s[16:17]
	s_addk_i32 s20, 0xf800
	s_cmp_ge_u32 s21, s76
	s_mov_b32 s22, s21
	s_cbranch_scc1 .LBB1533_54
.LBB1533_16:                            ;   Parent Loop BB1533_12 Depth=1
                                        ; =>  This Inner Loop Header: Depth=2
	s_add_i32 s21, s22, 0x800
	s_cmp_gt_u32 s21, s76
	s_cbranch_scc1 .LBB1533_19
; %bb.17:                               ;   in Loop: Header=BB1533_16 Depth=2
	v_add_co_u32_e32 v4, vcc, s22, v28
	v_addc_co_u32_e32 v5, vcc, 0, v29, vcc
	global_load_ubyte v20, v[4:5], off offset:1536
	global_load_ubyte v19, v[4:5], off offset:1280
	;; [unrolled: 1-line block ×6, first 2 shown]
	global_load_ubyte v14, v[4:5], off
	v_add_co_u32_e32 v4, vcc, 0x700, v4
	v_addc_co_u32_e32 v5, vcc, 0, v5, vcc
	s_mov_b64 s[16:17], -1
	s_movk_i32 s25, 0x800
	s_cbranch_execz .LBB1533_20
; %bb.18:                               ;   in Loop: Header=BB1533_16 Depth=2
                                        ; implicit-def: $vgpr0
                                        ; implicit-def: $vgpr6
                                        ; implicit-def: $vgpr7
                                        ; implicit-def: $vgpr8
                                        ; implicit-def: $vgpr9
                                        ; implicit-def: $vgpr10
                                        ; implicit-def: $vgpr11
                                        ; implicit-def: $vgpr12
	v_mov_b32_e32 v13, s20
	s_and_saveexec_b64 s[18:19], s[16:17]
	s_cbranch_execnz .LBB1533_31
	s_branch .LBB1533_32
.LBB1533_19:                            ;   in Loop: Header=BB1533_16 Depth=2
	s_mov_b64 s[16:17], 0
                                        ; implicit-def: $sgpr25
                                        ; implicit-def: $vgpr14
                                        ; implicit-def: $vgpr15
                                        ; implicit-def: $vgpr16
                                        ; implicit-def: $vgpr17
                                        ; implicit-def: $vgpr18
                                        ; implicit-def: $vgpr19
                                        ; implicit-def: $vgpr20
                                        ; implicit-def: $vgpr4_vgpr5
.LBB1533_20:                            ;   in Loop: Header=BB1533_16 Depth=2
	s_add_u32 s23, s60, s22
	s_addc_u32 s24, s61, 0
	v_cmp_gt_u32_e32 vcc, s20, v2
	s_and_saveexec_b64 s[18:19], vcc
	s_cbranch_execz .LBB1533_48
; %bb.21:                               ;   in Loop: Header=BB1533_16 Depth=2
	v_mov_b32_e32 v0, s24
	v_add_co_u32_e32 v4, vcc, s23, v2
	v_addc_co_u32_e32 v5, vcc, 0, v0, vcc
	global_load_ubyte v0, v[4:5], off
	s_or_b64 exec, exec, s[18:19]
	v_cmp_gt_u32_e32 vcc, s20, v24
	s_and_saveexec_b64 s[18:19], vcc
	s_cbranch_execnz .LBB1533_49
.LBB1533_22:                            ;   in Loop: Header=BB1533_16 Depth=2
	s_or_b64 exec, exec, s[18:19]
	v_cmp_gt_u32_e32 vcc, s20, v25
	s_and_saveexec_b64 s[18:19], vcc
	s_cbranch_execz .LBB1533_50
.LBB1533_23:                            ;   in Loop: Header=BB1533_16 Depth=2
	v_mov_b32_e32 v5, s24
	v_add_co_u32_e32 v4, vcc, s23, v2
	v_addc_co_u32_e32 v5, vcc, 0, v5, vcc
	global_load_ubyte v7, v[4:5], off offset:512
	s_or_b64 exec, exec, s[18:19]
	v_cmp_gt_u32_e32 vcc, s20, v26
	s_and_saveexec_b64 s[18:19], vcc
	s_cbranch_execnz .LBB1533_51
.LBB1533_24:                            ;   in Loop: Header=BB1533_16 Depth=2
	s_or_b64 exec, exec, s[18:19]
	v_cmp_gt_u32_e32 vcc, s20, v30
	s_and_saveexec_b64 s[18:19], vcc
	s_cbranch_execz .LBB1533_52
.LBB1533_25:                            ;   in Loop: Header=BB1533_16 Depth=2
	v_mov_b32_e32 v5, s24
	v_add_co_u32_e32 v4, vcc, s23, v2
	v_addc_co_u32_e32 v5, vcc, 0, v5, vcc
	global_load_ubyte v9, v[4:5], off offset:1024
	s_or_b64 exec, exec, s[18:19]
	v_cmp_gt_u32_e32 vcc, s20, v31
	s_and_saveexec_b64 s[18:19], vcc
	s_cbranch_execnz .LBB1533_53
.LBB1533_26:                            ;   in Loop: Header=BB1533_16 Depth=2
	s_or_b64 exec, exec, s[18:19]
	v_cmp_gt_u32_e32 vcc, s20, v32
	s_and_saveexec_b64 s[18:19], vcc
	s_cbranch_execz .LBB1533_28
.LBB1533_27:                            ;   in Loop: Header=BB1533_16 Depth=2
	v_mov_b32_e32 v5, s24
	v_add_co_u32_e32 v4, vcc, s23, v2
	v_addc_co_u32_e32 v5, vcc, 0, v5, vcc
	global_load_ubyte v11, v[4:5], off offset:1536
.LBB1533_28:                            ;   in Loop: Header=BB1533_16 Depth=2
	s_or_b64 exec, exec, s[18:19]
	v_cmp_gt_u32_e32 vcc, s20, v33
                                        ; implicit-def: $sgpr25
                                        ; implicit-def: $vgpr4_vgpr5
	s_and_saveexec_b64 s[18:19], vcc
	s_cbranch_execz .LBB1533_30
; %bb.29:                               ;   in Loop: Header=BB1533_16 Depth=2
	v_mov_b32_e32 v4, s24
	v_add_co_u32_e32 v5, vcc, s23, v2
	s_waitcnt vmcnt(0)
	v_addc_co_u32_e32 v12, vcc, 0, v4, vcc
	v_add_co_u32_e32 v4, vcc, 0x700, v5
	s_sub_i32 s25, s76, s22
	v_addc_co_u32_e32 v5, vcc, 0, v12, vcc
	s_or_b64 s[16:17], s[16:17], exec
                                        ; implicit-def: $vgpr12
.LBB1533_30:                            ;   in Loop: Header=BB1533_16 Depth=2
	s_or_b64 exec, exec, s[18:19]
	s_waitcnt vmcnt(0)
	v_mov_b32_e32 v14, v0
	v_mov_b32_e32 v15, v6
	;; [unrolled: 1-line block ×8, first 2 shown]
	s_and_saveexec_b64 s[18:19], s[16:17]
	s_cbranch_execz .LBB1533_32
.LBB1533_31:                            ;   in Loop: Header=BB1533_16 Depth=2
	global_load_ubyte v12, v[4:5], off
	v_mov_b32_e32 v13, s25
	s_waitcnt vmcnt(1)
	v_mov_b32_e32 v0, v14
	v_mov_b32_e32 v6, v15
	;; [unrolled: 1-line block ×7, first 2 shown]
.LBB1533_32:                            ;   in Loop: Header=BB1533_16 Depth=2
	s_or_b64 exec, exec, s[18:19]
	v_cmp_lt_u32_e32 vcc, v2, v13
	s_and_saveexec_b64 s[16:17], vcc
	s_cbranch_execz .LBB1533_40
; %bb.33:                               ;   in Loop: Header=BB1533_16 Depth=2
	v_xor_b32_e32 v4, -1, v0
	v_and_b32_e32 v4, 1, v4
	v_lshrrev_b32_sdwa v4, s83, v4 dst_sel:DWORD dst_unused:UNUSED_PAD src0_sel:DWORD src1_sel:WORD_0
	v_and_b32_e32 v4, s84, v4
	v_lshlrev_b32_e32 v5, 2, v27
	v_lshl_or_b32 v4, v4, 4, v5
	ds_add_u32 v4, v63
	s_or_b64 exec, exec, s[16:17]
	v_cmp_lt_u32_e32 vcc, v24, v13
	s_and_saveexec_b64 s[16:17], vcc
	s_cbranch_execnz .LBB1533_41
.LBB1533_34:                            ;   in Loop: Header=BB1533_16 Depth=2
	s_or_b64 exec, exec, s[16:17]
	v_cmp_lt_u32_e32 vcc, v25, v13
	s_and_saveexec_b64 s[16:17], vcc
	s_cbranch_execz .LBB1533_42
.LBB1533_35:                            ;   in Loop: Header=BB1533_16 Depth=2
	v_xor_b32_e32 v4, -1, v7
	v_and_b32_e32 v4, 1, v4
	v_lshrrev_b32_sdwa v4, s83, v4 dst_sel:DWORD dst_unused:UNUSED_PAD src0_sel:DWORD src1_sel:WORD_0
	v_and_b32_e32 v4, s84, v4
	v_lshlrev_b32_e32 v5, 2, v27
	v_lshl_or_b32 v4, v4, 4, v5
	ds_add_u32 v4, v63
	s_or_b64 exec, exec, s[16:17]
	v_cmp_lt_u32_e32 vcc, v26, v13
	s_and_saveexec_b64 s[16:17], vcc
	s_cbranch_execnz .LBB1533_43
.LBB1533_36:                            ;   in Loop: Header=BB1533_16 Depth=2
	s_or_b64 exec, exec, s[16:17]
	v_cmp_lt_u32_e32 vcc, v30, v13
	s_and_saveexec_b64 s[16:17], vcc
	s_cbranch_execz .LBB1533_44
.LBB1533_37:                            ;   in Loop: Header=BB1533_16 Depth=2
	v_xor_b32_e32 v4, -1, v9
	v_and_b32_e32 v4, 1, v4
	v_lshrrev_b32_sdwa v4, s83, v4 dst_sel:DWORD dst_unused:UNUSED_PAD src0_sel:DWORD src1_sel:WORD_0
	v_and_b32_e32 v4, s84, v4
	v_lshlrev_b32_e32 v5, 2, v27
	v_lshl_or_b32 v4, v4, 4, v5
	ds_add_u32 v4, v63
	s_or_b64 exec, exec, s[16:17]
	v_cmp_lt_u32_e32 vcc, v31, v13
	s_and_saveexec_b64 s[16:17], vcc
	s_cbranch_execnz .LBB1533_45
.LBB1533_38:                            ;   in Loop: Header=BB1533_16 Depth=2
	s_or_b64 exec, exec, s[16:17]
	v_cmp_lt_u32_e32 vcc, v32, v13
	s_and_saveexec_b64 s[16:17], vcc
	s_cbranch_execz .LBB1533_46
.LBB1533_39:                            ;   in Loop: Header=BB1533_16 Depth=2
	v_xor_b32_e32 v4, -1, v11
	v_and_b32_e32 v4, 1, v4
	v_lshrrev_b32_sdwa v4, s83, v4 dst_sel:DWORD dst_unused:UNUSED_PAD src0_sel:DWORD src1_sel:WORD_0
	v_and_b32_e32 v4, s84, v4
	v_lshlrev_b32_e32 v5, 2, v27
	v_lshl_or_b32 v4, v4, 4, v5
	ds_add_u32 v4, v63
	s_or_b64 exec, exec, s[16:17]
	v_cmp_lt_u32_e32 vcc, v33, v13
	s_and_saveexec_b64 s[16:17], vcc
	s_cbranch_execz .LBB1533_15
	s_branch .LBB1533_47
.LBB1533_40:                            ;   in Loop: Header=BB1533_16 Depth=2
	s_or_b64 exec, exec, s[16:17]
	v_cmp_lt_u32_e32 vcc, v24, v13
	s_and_saveexec_b64 s[16:17], vcc
	s_cbranch_execz .LBB1533_34
.LBB1533_41:                            ;   in Loop: Header=BB1533_16 Depth=2
	v_xor_b32_e32 v4, -1, v6
	v_and_b32_e32 v4, 1, v4
	v_lshrrev_b32_sdwa v4, s83, v4 dst_sel:DWORD dst_unused:UNUSED_PAD src0_sel:DWORD src1_sel:WORD_0
	v_and_b32_e32 v4, s84, v4
	v_lshlrev_b32_e32 v5, 2, v27
	v_lshl_or_b32 v4, v4, 4, v5
	ds_add_u32 v4, v63
	s_or_b64 exec, exec, s[16:17]
	v_cmp_lt_u32_e32 vcc, v25, v13
	s_and_saveexec_b64 s[16:17], vcc
	s_cbranch_execnz .LBB1533_35
.LBB1533_42:                            ;   in Loop: Header=BB1533_16 Depth=2
	s_or_b64 exec, exec, s[16:17]
	v_cmp_lt_u32_e32 vcc, v26, v13
	s_and_saveexec_b64 s[16:17], vcc
	s_cbranch_execz .LBB1533_36
.LBB1533_43:                            ;   in Loop: Header=BB1533_16 Depth=2
	v_xor_b32_e32 v4, -1, v8
	v_and_b32_e32 v4, 1, v4
	v_lshrrev_b32_sdwa v4, s83, v4 dst_sel:DWORD dst_unused:UNUSED_PAD src0_sel:DWORD src1_sel:WORD_0
	v_and_b32_e32 v4, s84, v4
	v_lshlrev_b32_e32 v5, 2, v27
	v_lshl_or_b32 v4, v4, 4, v5
	ds_add_u32 v4, v63
	s_or_b64 exec, exec, s[16:17]
	v_cmp_lt_u32_e32 vcc, v30, v13
	s_and_saveexec_b64 s[16:17], vcc
	s_cbranch_execnz .LBB1533_37
.LBB1533_44:                            ;   in Loop: Header=BB1533_16 Depth=2
	s_or_b64 exec, exec, s[16:17]
	v_cmp_lt_u32_e32 vcc, v31, v13
	s_and_saveexec_b64 s[16:17], vcc
	s_cbranch_execz .LBB1533_38
.LBB1533_45:                            ;   in Loop: Header=BB1533_16 Depth=2
	v_xor_b32_e32 v4, -1, v10
	v_and_b32_e32 v4, 1, v4
	v_lshrrev_b32_sdwa v4, s83, v4 dst_sel:DWORD dst_unused:UNUSED_PAD src0_sel:DWORD src1_sel:WORD_0
	v_and_b32_e32 v4, s84, v4
	v_lshlrev_b32_e32 v5, 2, v27
	v_lshl_or_b32 v4, v4, 4, v5
	ds_add_u32 v4, v63
	s_or_b64 exec, exec, s[16:17]
	v_cmp_lt_u32_e32 vcc, v32, v13
	s_and_saveexec_b64 s[16:17], vcc
	s_cbranch_execnz .LBB1533_39
.LBB1533_46:                            ;   in Loop: Header=BB1533_16 Depth=2
	s_or_b64 exec, exec, s[16:17]
	v_cmp_lt_u32_e32 vcc, v33, v13
	s_and_saveexec_b64 s[16:17], vcc
	s_cbranch_execz .LBB1533_15
.LBB1533_47:                            ;   in Loop: Header=BB1533_16 Depth=2
	s_waitcnt vmcnt(0)
	v_xor_b32_e32 v4, -1, v12
	v_and_b32_e32 v4, 1, v4
	v_lshrrev_b32_sdwa v4, s83, v4 dst_sel:DWORD dst_unused:UNUSED_PAD src0_sel:DWORD src1_sel:WORD_0
	v_and_b32_e32 v4, s84, v4
	v_lshlrev_b32_e32 v5, 2, v27
	v_lshl_or_b32 v4, v4, 4, v5
	ds_add_u32 v4, v63
	s_branch .LBB1533_15
.LBB1533_48:                            ;   in Loop: Header=BB1533_16 Depth=2
	s_or_b64 exec, exec, s[18:19]
	v_cmp_gt_u32_e32 vcc, s20, v24
	s_and_saveexec_b64 s[18:19], vcc
	s_cbranch_execz .LBB1533_22
.LBB1533_49:                            ;   in Loop: Header=BB1533_16 Depth=2
	v_mov_b32_e32 v5, s24
	v_add_co_u32_e32 v4, vcc, s23, v2
	v_addc_co_u32_e32 v5, vcc, 0, v5, vcc
	global_load_ubyte v6, v[4:5], off offset:256
	s_or_b64 exec, exec, s[18:19]
	v_cmp_gt_u32_e32 vcc, s20, v25
	s_and_saveexec_b64 s[18:19], vcc
	s_cbranch_execnz .LBB1533_23
.LBB1533_50:                            ;   in Loop: Header=BB1533_16 Depth=2
	s_or_b64 exec, exec, s[18:19]
	v_cmp_gt_u32_e32 vcc, s20, v26
	s_and_saveexec_b64 s[18:19], vcc
	s_cbranch_execz .LBB1533_24
.LBB1533_51:                            ;   in Loop: Header=BB1533_16 Depth=2
	v_mov_b32_e32 v5, s24
	v_add_co_u32_e32 v4, vcc, s23, v2
	v_addc_co_u32_e32 v5, vcc, 0, v5, vcc
	global_load_ubyte v8, v[4:5], off offset:768
	s_or_b64 exec, exec, s[18:19]
	v_cmp_gt_u32_e32 vcc, s20, v30
	s_and_saveexec_b64 s[18:19], vcc
	s_cbranch_execnz .LBB1533_25
.LBB1533_52:                            ;   in Loop: Header=BB1533_16 Depth=2
	s_or_b64 exec, exec, s[18:19]
	v_cmp_gt_u32_e32 vcc, s20, v31
	s_and_saveexec_b64 s[18:19], vcc
	s_cbranch_execz .LBB1533_26
.LBB1533_53:                            ;   in Loop: Header=BB1533_16 Depth=2
	v_mov_b32_e32 v5, s24
	v_add_co_u32_e32 v4, vcc, s23, v2
	v_addc_co_u32_e32 v5, vcc, 0, v5, vcc
	global_load_ubyte v10, v[4:5], off offset:1280
	s_or_b64 exec, exec, s[18:19]
	v_cmp_gt_u32_e32 vcc, s20, v32
	s_and_saveexec_b64 s[18:19], vcc
	s_cbranch_execz .LBB1533_28
	s_branch .LBB1533_27
.LBB1533_54:                            ;   in Loop: Header=BB1533_12 Depth=1
	v_mov_b32_e32 v0, 0
	s_waitcnt lgkmcnt(0)
	s_barrier
	s_and_saveexec_b64 s[16:17], s[4:5]
	s_cbranch_execz .LBB1533_56
; %bb.55:                               ;   in Loop: Header=BB1533_12 Depth=1
	ds_read2_b64 v[4:7], v34 offset1:1
	s_waitcnt lgkmcnt(0)
	v_add_u32_e32 v0, v5, v4
	v_add3_u32 v0, v0, v6, v7
.LBB1533_56:                            ;   in Loop: Header=BB1533_12 Depth=1
	s_or_b64 exec, exec, s[16:17]
	v_and_b32_e32 v4, 15, v64
	v_mov_b32_dpp v5, v0 row_shr:1 row_mask:0xf bank_mask:0xf
	v_cmp_eq_u32_e64 s[16:17], 0, v4
	v_cndmask_b32_e64 v5, v5, 0, s[16:17]
	v_add_u32_e32 v0, v5, v0
	v_cmp_lt_u32_e64 s[18:19], 1, v4
	v_cmp_lt_u32_e64 s[20:21], 3, v4
	v_mov_b32_dpp v5, v0 row_shr:2 row_mask:0xf bank_mask:0xf
	v_cndmask_b32_e64 v5, 0, v5, s[18:19]
	v_add_u32_e32 v0, v0, v5
	v_cmp_lt_u32_e64 s[22:23], 7, v4
	v_cmp_lt_u32_e64 s[26:27], 31, v64
	v_mov_b32_dpp v5, v0 row_shr:4 row_mask:0xf bank_mask:0xf
	v_cndmask_b32_e64 v5, 0, v5, s[20:21]
	v_add_u32_e32 v0, v0, v5
	v_and_b32_e32 v6, 16, v64
	v_cmp_eq_u32_e64 s[24:25], 0, v6
	v_mov_b32_dpp v5, v0 row_shr:8 row_mask:0xf bank_mask:0xf
	v_cndmask_b32_e64 v4, 0, v5, s[22:23]
	v_add_u32_e32 v0, v0, v4
	v_bfe_i32 v5, v64, 4, 1
	s_nop 0
	v_mov_b32_dpp v4, v0 row_bcast:15 row_mask:0xf bank_mask:0xf
	v_and_b32_e32 v4, v5, v4
	v_add_u32_e32 v0, v0, v4
	s_nop 1
	v_mov_b32_dpp v4, v0 row_bcast:31 row_mask:0xf bank_mask:0xf
	v_cndmask_b32_e64 v4, 0, v4, s[26:27]
	v_add_u32_e32 v4, v0, v4
	s_and_saveexec_b64 s[28:29], s[6:7]
	s_cbranch_execz .LBB1533_58
; %bb.57:                               ;   in Loop: Header=BB1533_12 Depth=1
	ds_write_b32 v36, v4
.LBB1533_58:                            ;   in Loop: Header=BB1533_12 Depth=1
	s_or_b64 exec, exec, s[28:29]
	v_and_b32_e32 v0, 3, v64
	s_waitcnt lgkmcnt(0)
	s_barrier
	s_and_saveexec_b64 s[28:29], s[8:9]
	s_cbranch_execz .LBB1533_60
; %bb.59:                               ;   in Loop: Header=BB1533_12 Depth=1
	ds_read_b32 v5, v37
	v_cmp_ne_u32_e32 vcc, 0, v0
	s_waitcnt lgkmcnt(0)
	v_mov_b32_dpp v6, v5 row_shr:1 row_mask:0xf bank_mask:0xf
	v_cndmask_b32_e32 v6, 0, v6, vcc
	v_add_u32_e32 v5, v6, v5
	v_cmp_lt_u32_e32 vcc, 1, v0
	s_nop 0
	v_mov_b32_dpp v6, v5 row_shr:2 row_mask:0xf bank_mask:0xf
	v_cndmask_b32_e32 v6, 0, v6, vcc
	v_add_u32_e32 v5, v5, v6
	ds_write_b32 v37, v5
.LBB1533_60:                            ;   in Loop: Header=BB1533_12 Depth=1
	s_or_b64 exec, exec, s[28:29]
	v_mov_b32_e32 v5, 0
	s_waitcnt lgkmcnt(0)
	s_barrier
	s_and_saveexec_b64 s[28:29], s[10:11]
	s_cbranch_execz .LBB1533_62
; %bb.61:                               ;   in Loop: Header=BB1533_12 Depth=1
	ds_read_b32 v5, v38
.LBB1533_62:                            ;   in Loop: Header=BB1533_12 Depth=1
	s_or_b64 exec, exec, s[28:29]
	v_add_u32_e32 v6, -1, v64
	v_and_b32_e32 v7, 64, v64
	v_cmp_lt_i32_e32 vcc, v6, v7
	v_cndmask_b32_e32 v6, v6, v64, vcc
	s_waitcnt lgkmcnt(0)
	v_add_u32_e32 v4, v5, v4
	v_lshlrev_b32_e32 v65, 2, v6
	ds_bpermute_b32 v4, v65, v4
	v_cmp_eq_u32_e64 s[28:29], 0, v64
	s_waitcnt lgkmcnt(0)
	s_barrier
	s_and_saveexec_b64 s[30:31], s[4:5]
	s_cbranch_execz .LBB1533_64
; %bb.63:                               ;   in Loop: Header=BB1533_12 Depth=1
	v_cndmask_b32_e64 v4, v4, v5, s[28:29]
	v_add_u32_e32 v4, s51, v4
	ds_write_b32 v3, v4
.LBB1533_64:                            ;   in Loop: Header=BB1533_12 Depth=1
	s_or_b64 exec, exec, s[30:31]
	s_load_dword s30, s[74:75], 0x4
	s_load_dword s36, s[74:75], 0xc
	v_cmp_lt_u32_e64 s[34:35], 1, v0
	s_mov_b32 s85, s71
	s_mov_b32 s72, s51
	s_waitcnt lgkmcnt(0)
	s_cmp_lt_u32 s33, s30
	s_cselect_b32 s30, 14, 20
	s_add_u32 s30, s74, s30
	s_addc_u32 s31, s75, 0
	global_load_ushort v20, v1, s[30:31]
	v_cmp_eq_u32_e64 s[30:31], 0, v0
	v_and_b32_e32 v0, 63, v64
	v_add_co_u32_e32 v74, vcc, v48, v0
	v_lshlrev_b32_e32 v21, 3, v0
	v_addc_co_u32_e32 v76, vcc, 0, v49, vcc
	v_add_co_u32_e32 v77, vcc, v46, v21
	v_or_b32_e32 v72, v0, v39
	v_addc_co_u32_e32 v78, vcc, 0, v47, vcc
	s_and_b32 s36, s36, 0xffff
	v_add_co_u32_e32 v86, vcc, 0x1c0, v74
	v_or_b32_e32 v79, 64, v72
	v_or_b32_e32 v80, 0x80, v72
	;; [unrolled: 1-line block ×7, first 2 shown]
	v_addc_co_u32_e32 v87, vcc, 0, v76, vcc
                                        ; implicit-def: $vgpr4_vgpr5
                                        ; implicit-def: $vgpr6_vgpr7
                                        ; implicit-def: $vgpr8_vgpr9
                                        ; implicit-def: $vgpr10_vgpr11
                                        ; implicit-def: $vgpr12_vgpr13
                                        ; implicit-def: $vgpr14_vgpr15
                                        ; implicit-def: $vgpr16_vgpr17
                                        ; implicit-def: $vgpr18_vgpr19
                                        ; implicit-def: $vgpr66
                                        ; implicit-def: $vgpr67
                                        ; implicit-def: $vgpr68
                                        ; implicit-def: $vgpr69
                                        ; implicit-def: $vgpr70
                                        ; implicit-def: $vgpr71
                                        ; implicit-def: $vgpr73
                                        ; implicit-def: $vgpr75
	s_waitcnt vmcnt(0)
	v_mad_u32_u24 v0, v40, v20, v41
	v_mad_u64_u32 v[20:21], s[36:37], v0, s36, v[2:3]
	v_lshrrev_b32_e32 v88, 6, v20
	s_branch .LBB1533_66
.LBB1533_65:                            ;   in Loop: Header=BB1533_66 Depth=2
	s_or_b64 exec, exec, s[36:37]
	s_addk_i32 s85, 0xf800
	s_cmp_lt_u32 s86, s76
	s_mov_b32 s72, s86
	s_cbranch_scc0 .LBB1533_178
.LBB1533_66:                            ;   Parent Loop BB1533_12 Depth=1
                                        ; =>  This Inner Loop Header: Depth=2
	s_add_i32 s86, s72, 0x800
	s_cmp_gt_u32 s86, s76
	s_cbranch_scc1 .LBB1533_68
; %bb.67:                               ;   in Loop: Header=BB1533_66 Depth=2
	v_add_co_u32_e32 v20, vcc, s72, v74
	v_addc_co_u32_e32 v21, vcc, 0, v76, vcc
	global_load_ubyte v0, v[20:21], off offset:64
	global_load_ubyte v22, v[20:21], off offset:192
	;; [unrolled: 1-line block ×3, first 2 shown]
	global_load_ubyte v89, v[20:21], off
	global_load_ubyte v90, v[20:21], off offset:128
	global_load_ubyte v91, v[20:21], off offset:256
	s_nop 0
	global_load_ubyte v21, v[20:21], off offset:384
	s_mov_b64 s[36:37], -1
	s_movk_i32 s40, 0x800
	s_waitcnt vmcnt(6)
	v_lshlrev_b16_e32 v0, 8, v0
	s_waitcnt vmcnt(5)
	v_lshlrev_b16_e32 v20, 8, v22
	;; [unrolled: 2-line block ×3, first 2 shown]
	s_waitcnt vmcnt(3)
	v_or_b32_e32 v0, v89, v0
	s_waitcnt vmcnt(2)
	v_or_b32_sdwa v20, v90, v20 dst_sel:WORD_1 dst_unused:UNUSED_PAD src0_sel:DWORD src1_sel:DWORD
	s_waitcnt vmcnt(1)
	v_or_b32_e32 v22, v91, v22
	v_or_b32_sdwa v20, v0, v20 dst_sel:DWORD dst_unused:UNUSED_PAD src0_sel:WORD_0 src1_sel:DWORD
	v_and_b32_e32 v0, 0xffff, v22
	s_waitcnt vmcnt(0)
	v_lshl_or_b32 v21, v21, 16, v0
	s_cbranch_execz .LBB1533_69
	s_branch .LBB1533_78
.LBB1533_68:                            ;   in Loop: Header=BB1533_66 Depth=2
	s_mov_b64 s[36:37], 0
                                        ; implicit-def: $sgpr40
                                        ; implicit-def: $vgpr20_vgpr21
.LBB1533_69:                            ;   in Loop: Header=BB1533_66 Depth=2
	v_add_co_u32_e32 v22, vcc, s72, v74
	v_addc_co_u32_e32 v23, vcc, 0, v76, vcc
	s_mov_b32 s36, s73
	s_mov_b32 s37, s73
	v_cmp_gt_u32_e32 vcc, s85, v72
	v_pk_mov_b32 v[20:21], s[36:37], s[36:37] op_sel:[0,1]
	s_and_saveexec_b64 s[36:37], vcc
	s_cbranch_execz .LBB1533_172
; %bb.70:                               ;   in Loop: Header=BB1533_66 Depth=2
	global_load_ubyte v0, v[22:23], off
	v_mov_b32_e32 v21, s73
	s_waitcnt vmcnt(0)
	v_and_b32_e32 v20, 0xffff, v0
	s_or_b64 exec, exec, s[36:37]
	v_cmp_gt_u32_e32 vcc, s85, v79
	s_and_saveexec_b64 s[36:37], vcc
	s_cbranch_execnz .LBB1533_173
.LBB1533_71:                            ;   in Loop: Header=BB1533_66 Depth=2
	s_or_b64 exec, exec, s[36:37]
	v_cmp_gt_u32_e32 vcc, s85, v80
	s_and_saveexec_b64 s[36:37], vcc
	s_cbranch_execz .LBB1533_174
.LBB1533_72:                            ;   in Loop: Header=BB1533_66 Depth=2
	global_load_ubyte v0, v[22:23], off offset:128
	v_and_b32_sdwa v89, v20, s79 dst_sel:DWORD dst_unused:UNUSED_PAD src0_sel:WORD_1 src1_sel:DWORD
	s_waitcnt vmcnt(0)
	v_or_b32_sdwa v0, v0, v89 dst_sel:WORD_1 dst_unused:UNUSED_PAD src0_sel:DWORD src1_sel:DWORD
	v_and_or_b32 v20, v20, s77, v0
	s_or_b64 exec, exec, s[36:37]
	v_cmp_gt_u32_e32 vcc, s85, v81
	s_and_saveexec_b64 s[36:37], vcc
	s_cbranch_execnz .LBB1533_175
.LBB1533_73:                            ;   in Loop: Header=BB1533_66 Depth=2
	s_or_b64 exec, exec, s[36:37]
	v_cmp_gt_u32_e32 vcc, s85, v82
	s_and_saveexec_b64 s[36:37], vcc
	s_cbranch_execz .LBB1533_176
.LBB1533_74:                            ;   in Loop: Header=BB1533_66 Depth=2
	global_load_ubyte v0, v[22:23], off offset:256
	s_waitcnt vmcnt(0)
	v_perm_b32 v21, v0, v21, s80
	s_or_b64 exec, exec, s[36:37]
	v_cmp_gt_u32_e32 vcc, s85, v83
	s_and_saveexec_b64 s[36:37], vcc
	s_cbranch_execnz .LBB1533_177
.LBB1533_75:                            ;   in Loop: Header=BB1533_66 Depth=2
	s_or_b64 exec, exec, s[36:37]
	v_cmp_gt_u32_e32 vcc, s85, v84
	s_and_saveexec_b64 s[36:37], vcc
	s_cbranch_execz .LBB1533_77
.LBB1533_76:                            ;   in Loop: Header=BB1533_66 Depth=2
	global_load_ubyte v0, v[22:23], off offset:384
	s_waitcnt vmcnt(0)
	v_perm_b32 v21, v21, v0, s81
.LBB1533_77:                            ;   in Loop: Header=BB1533_66 Depth=2
	s_or_b64 exec, exec, s[36:37]
	s_sub_i32 s40, s76, s72
	v_cmp_gt_u32_e64 s[36:37], s85, v85
.LBB1533_78:                            ;   in Loop: Header=BB1533_66 Depth=2
	v_mov_b32_e32 v0, s85
	s_and_saveexec_b64 s[38:39], s[36:37]
	s_cbranch_execz .LBB1533_80
; %bb.79:                               ;   in Loop: Header=BB1533_66 Depth=2
	v_mov_b32_e32 v0, s73
	v_add_co_u32_e32 v22, vcc, s72, v86
	v_addc_co_u32_e32 v23, vcc, v87, v0, vcc
	global_load_ubyte v0, v[22:23], off
	s_waitcnt vmcnt(0)
	v_perm_b32 v21, v21, v0, s82
	v_mov_b32_e32 v0, s40
.LBB1533_80:                            ;   in Loop: Header=BB1533_66 Depth=2
	s_or_b64 exec, exec, s[38:39]
	v_and_b32_sdwa v22, v63, v20 dst_sel:DWORD dst_unused:UNUSED_PAD src0_sel:DWORD src1_sel:BYTE_1
	v_cmp_eq_u32_e64 s[46:47], 1, v22
	v_and_b32_sdwa v22, v63, v21 dst_sel:DWORD dst_unused:UNUSED_PAD src0_sel:DWORD src1_sel:BYTE_1
	v_cmp_eq_u32_e64 s[38:39], 1, v22
	v_and_b32_e32 v22, 0x1000000, v21
	v_cmp_ne_u32_e32 vcc, 0, v22
	v_and_b32_e32 v22, 0x10000, v21
	v_and_b32_e32 v21, 1, v21
	v_cmp_eq_u32_e64 s[40:41], 1, v21
	v_and_b32_e32 v21, 0x1000000, v20
	v_cmp_ne_u32_e64 s[42:43], 0, v21
	v_and_b32_e32 v21, 0x10000, v20
	v_and_b32_e32 v20, 1, v20
	v_cmp_eq_u32_e64 s[48:49], 1, v20
	s_xor_b64 s[48:49], s[48:49], -1
	v_add_u32_e32 v20, 0x410, v42
	v_cndmask_b32_e64 v89, 0, 1, s[48:49]
	ds_write2_b32 v20, v1, v1 offset1:1
	ds_write2_b32 v44, v1, v1 offset0:2 offset1:3
	ds_write_b32 v44, v1 offset:16
	v_lshrrev_b32_e32 v20, s83, v89
	v_and_b32_e32 v20, s84, v20
	v_cmp_ne_u32_e64 s[44:45], 0, v21
	v_mad_u32_u24 v21, v20, 5, v88
	v_cmp_ne_u32_e64 s[48:49], 0, v20
	v_add_co_u32_e64 v20, s[52:53], -1, v20
	v_lshl_add_u32 v92, v21, 2, v43
	v_addc_co_u32_e64 v21, s[52:53], 0, -1, s[52:53]
	v_xor_b32_e32 v20, s48, v20
	v_xor_b32_e32 v21, s49, v21
	v_and_b32_e32 v20, exec_lo, v20
	v_cmp_ne_u32_e64 s[36:37], 0, v22
	v_and_b32_e32 v21, exec_hi, v21
	v_mbcnt_lo_u32_b32 v22, v20, 0
	v_mbcnt_hi_u32_b32 v90, v21, v22
	v_cmp_eq_u32_e64 s[48:49], 0, v90
	v_cmp_ne_u64_e64 s[52:53], 0, v[20:21]
	s_and_b64 s[52:53], s[52:53], s[48:49]
	s_waitcnt lgkmcnt(0)
	s_barrier
	s_waitcnt lgkmcnt(0)
	; wave barrier
	s_and_saveexec_b64 s[48:49], s[52:53]
	s_cbranch_execz .LBB1533_82
; %bb.81:                               ;   in Loop: Header=BB1533_66 Depth=2
	v_bcnt_u32_b32 v20, v20, 0
	v_bcnt_u32_b32 v20, v21, v20
	ds_write_b32 v92, v20
.LBB1533_82:                            ;   in Loop: Header=BB1533_66 Depth=2
	s_or_b64 exec, exec, s[48:49]
	s_xor_b64 s[46:47], s[46:47], -1
	v_cndmask_b32_e64 v91, 0, 1, s[46:47]
	v_lshrrev_b32_e32 v20, s83, v91
	v_and_b32_e32 v20, s84, v20
	v_mul_u32_u24_e32 v21, 5, v20
	v_add_lshl_u32 v21, v21, v88, 2
	v_cmp_ne_u32_e64 s[46:47], 0, v20
	v_add_co_u32_e64 v20, s[48:49], -1, v20
	; wave barrier
	v_add_u32_e32 v95, 0x410, v21
	ds_read_b32 v93, v21 offset:1040
	v_addc_co_u32_e64 v21, s[48:49], 0, -1, s[48:49]
	v_xor_b32_e32 v20, s46, v20
	v_xor_b32_e32 v21, s47, v21
	v_and_b32_e32 v20, exec_lo, v20
	v_and_b32_e32 v21, exec_hi, v21
	v_mbcnt_lo_u32_b32 v22, v20, 0
	v_mbcnt_hi_u32_b32 v94, v21, v22
	v_cmp_eq_u32_e64 s[46:47], 0, v94
	v_cmp_ne_u64_e64 s[48:49], 0, v[20:21]
	s_and_b64 s[48:49], s[48:49], s[46:47]
	; wave barrier
	s_and_saveexec_b64 s[46:47], s[48:49]
	s_cbranch_execz .LBB1533_84
; %bb.83:                               ;   in Loop: Header=BB1533_66 Depth=2
	v_bcnt_u32_b32 v20, v20, 0
	v_bcnt_u32_b32 v20, v21, v20
	s_waitcnt lgkmcnt(0)
	v_add_u32_e32 v20, v93, v20
	ds_write_b32 v95, v20
.LBB1533_84:                            ;   in Loop: Header=BB1533_66 Depth=2
	s_or_b64 exec, exec, s[46:47]
	s_xor_b64 s[44:45], s[44:45], -1
	v_cndmask_b32_e64 v98, 0, 1, s[44:45]
	v_lshrrev_b32_e32 v20, s83, v98
	v_and_b32_e32 v20, s84, v20
	v_mul_u32_u24_e32 v21, 5, v20
	v_add_lshl_u32 v21, v21, v88, 2
	v_cmp_ne_u32_e64 s[44:45], 0, v20
	v_add_co_u32_e64 v20, s[46:47], -1, v20
	; wave barrier
	v_add_u32_e32 v96, 0x410, v21
	ds_read_b32 v99, v21 offset:1040
	v_addc_co_u32_e64 v21, s[46:47], 0, -1, s[46:47]
	v_xor_b32_e32 v20, s44, v20
	v_xor_b32_e32 v21, s45, v21
	v_and_b32_e32 v20, exec_lo, v20
	v_and_b32_e32 v21, exec_hi, v21
	v_mbcnt_lo_u32_b32 v22, v20, 0
	v_mbcnt_hi_u32_b32 v100, v21, v22
	v_cmp_eq_u32_e64 s[44:45], 0, v100
	v_cmp_ne_u64_e64 s[46:47], 0, v[20:21]
	s_and_b64 s[46:47], s[46:47], s[44:45]
	; wave barrier
	s_and_saveexec_b64 s[44:45], s[46:47]
	s_cbranch_execz .LBB1533_86
; %bb.85:                               ;   in Loop: Header=BB1533_66 Depth=2
	v_bcnt_u32_b32 v20, v20, 0
	v_bcnt_u32_b32 v20, v21, v20
	s_waitcnt lgkmcnt(0)
	v_add_u32_e32 v20, v99, v20
	ds_write_b32 v96, v20
.LBB1533_86:                            ;   in Loop: Header=BB1533_66 Depth=2
	;; [unrolled: 32-line block ×6, first 2 shown]
	s_or_b64 exec, exec, s[36:37]
	s_xor_b64 s[36:37], vcc, -1
	v_cndmask_b32_e64 v115, 0, 1, s[36:37]
	v_lshrrev_b32_e32 v20, s83, v115
	v_and_b32_e32 v20, s84, v20
	v_mul_u32_u24_e32 v21, 5, v20
	v_add_lshl_u32 v21, v21, v88, 2
	v_cmp_ne_u32_e32 vcc, 0, v20
	v_add_co_u32_e64 v20, s[36:37], -1, v20
	; wave barrier
	v_add_u32_e32 v119, 0x410, v21
	ds_read_b32 v117, v21 offset:1040
	v_addc_co_u32_e64 v21, s[36:37], 0, -1, s[36:37]
	v_xor_b32_e32 v20, vcc_lo, v20
	v_xor_b32_e32 v21, vcc_hi, v21
	v_and_b32_e32 v20, exec_lo, v20
	v_and_b32_e32 v21, exec_hi, v21
	v_mbcnt_lo_u32_b32 v22, v20, 0
	v_mbcnt_hi_u32_b32 v118, v21, v22
	v_cmp_eq_u32_e32 vcc, 0, v118
	v_cmp_ne_u64_e64 s[36:37], 0, v[20:21]
	s_and_b64 s[38:39], s[36:37], vcc
	; wave barrier
	s_and_saveexec_b64 s[36:37], s[38:39]
	s_cbranch_execz .LBB1533_96
; %bb.95:                               ;   in Loop: Header=BB1533_66 Depth=2
	v_bcnt_u32_b32 v20, v20, 0
	v_bcnt_u32_b32 v20, v21, v20
	s_waitcnt lgkmcnt(0)
	v_add_u32_e32 v20, v117, v20
	ds_write_b32 v119, v20
.LBB1533_96:                            ;   in Loop: Header=BB1533_66 Depth=2
	s_or_b64 exec, exec, s[36:37]
	; wave barrier
	s_waitcnt lgkmcnt(0)
	s_barrier
	ds_read_b32 v120, v42 offset:1040
	ds_read2_b32 v[22:23], v44 offset0:1 offset1:2
	ds_read2_b32 v[20:21], v44 offset0:3 offset1:4
	s_waitcnt lgkmcnt(1)
	v_add3_u32 v121, v22, v120, v23
	s_waitcnt lgkmcnt(0)
	v_add3_u32 v21, v121, v20, v21
	s_nop 1
	v_mov_b32_dpp v121, v21 row_shr:1 row_mask:0xf bank_mask:0xf
	v_cndmask_b32_e64 v121, v121, 0, s[16:17]
	v_add_u32_e32 v21, v121, v21
	s_nop 1
	v_mov_b32_dpp v121, v21 row_shr:2 row_mask:0xf bank_mask:0xf
	v_cndmask_b32_e64 v121, 0, v121, s[18:19]
	v_add_u32_e32 v21, v21, v121
	;; [unrolled: 4-line block ×4, first 2 shown]
	s_nop 1
	v_mov_b32_dpp v121, v21 row_bcast:15 row_mask:0xf bank_mask:0xf
	v_cndmask_b32_e64 v121, v121, 0, s[24:25]
	v_add_u32_e32 v21, v21, v121
	s_nop 1
	v_mov_b32_dpp v121, v21 row_bcast:31 row_mask:0xf bank_mask:0xf
	v_cndmask_b32_e64 v121, 0, v121, s[26:27]
	v_add_u32_e32 v21, v21, v121
	s_and_saveexec_b64 s[36:37], s[6:7]
	s_cbranch_execz .LBB1533_98
; %bb.97:                               ;   in Loop: Header=BB1533_66 Depth=2
	ds_write_b32 v35, v21 offset:1024
.LBB1533_98:                            ;   in Loop: Header=BB1533_66 Depth=2
	s_or_b64 exec, exec, s[36:37]
	s_waitcnt lgkmcnt(0)
	s_barrier
	s_and_saveexec_b64 s[36:37], s[8:9]
	s_cbranch_execz .LBB1533_100
; %bb.99:                               ;   in Loop: Header=BB1533_66 Depth=2
	v_add_u32_e32 v121, v42, v45
	ds_read_b32 v122, v121 offset:1024
	s_waitcnt lgkmcnt(0)
	s_nop 0
	v_mov_b32_dpp v123, v122 row_shr:1 row_mask:0xf bank_mask:0xf
	v_cndmask_b32_e64 v123, v123, 0, s[30:31]
	v_add_u32_e32 v122, v123, v122
	s_nop 1
	v_mov_b32_dpp v123, v122 row_shr:2 row_mask:0xf bank_mask:0xf
	v_cndmask_b32_e64 v123, 0, v123, s[34:35]
	v_add_u32_e32 v122, v122, v123
	ds_write_b32 v121, v122 offset:1024
.LBB1533_100:                           ;   in Loop: Header=BB1533_66 Depth=2
	s_or_b64 exec, exec, s[36:37]
	v_mov_b32_e32 v121, 0
	s_waitcnt lgkmcnt(0)
	s_barrier
	s_and_saveexec_b64 s[36:37], s[10:11]
	s_cbranch_execz .LBB1533_102
; %bb.101:                              ;   in Loop: Header=BB1533_66 Depth=2
	ds_read_b32 v121, v35 offset:1020
.LBB1533_102:                           ;   in Loop: Header=BB1533_66 Depth=2
	s_or_b64 exec, exec, s[36:37]
	s_waitcnt lgkmcnt(0)
	v_add_u32_e32 v21, v121, v21
	ds_bpermute_b32 v21, v65, v21
	s_waitcnt lgkmcnt(0)
	v_cndmask_b32_e64 v21, v21, v121, s[28:29]
	v_cndmask_b32_e64 v21, v21, 0, s[12:13]
	v_add_u32_e32 v120, v21, v120
	ds_write_b32 v42, v21 offset:1040
	v_add_u32_e32 v21, v120, v22
	v_add_u32_e32 v22, v21, v23
	;; [unrolled: 1-line block ×3, first 2 shown]
	ds_write2_b32 v44, v120, v21 offset0:1 offset1:2
	ds_write2_b32 v44, v22, v20 offset0:3 offset1:4
	s_waitcnt lgkmcnt(0)
	s_barrier
	ds_read_b32 v20, v95
	ds_read_b32 v21, v96
	;; [unrolled: 1-line block ×8, first 2 shown]
	ds_read_b32 v95, v42 offset:1040
	v_mov_b32_e32 v22, 0x800
	s_and_saveexec_b64 s[36:37], s[14:15]
	s_cbranch_execz .LBB1533_104
; %bb.103:                              ;   in Loop: Header=BB1533_66 Depth=2
	ds_read_b32 v22, v42 offset:1060
.LBB1533_104:                           ;   in Loop: Header=BB1533_66 Depth=2
	s_or_b64 exec, exec, s[36:37]
	s_waitcnt lgkmcnt(0)
	s_barrier
	s_and_saveexec_b64 s[36:37], s[4:5]
	s_cbranch_execz .LBB1533_106
; %bb.105:                              ;   in Loop: Header=BB1533_66 Depth=2
	ds_read_b32 v96, v3
	s_waitcnt lgkmcnt(0)
	v_sub_u32_e32 v95, v96, v95
	ds_write_b32 v3, v95
.LBB1533_106:                           ;   in Loop: Header=BB1533_66 Depth=2
	s_or_b64 exec, exec, s[36:37]
	v_add_u32_e32 v97, v92, v90
	v_add3_u32 v96, v94, v93, v20
	v_add3_u32 v95, v100, v99, v21
	;; [unrolled: 1-line block ×7, first 2 shown]
	v_cmp_lt_u32_e64 s[48:49], v2, v0
	ds_write_b8 v97, v89 offset:1024
	ds_write_b8 v96, v91 offset:1024
	;; [unrolled: 1-line block ×8, first 2 shown]
	s_waitcnt lgkmcnt(0)
	s_barrier
	s_and_saveexec_b64 s[36:37], s[48:49]
	s_cbranch_execz .LBB1533_114
; %bb.107:                              ;   in Loop: Header=BB1533_66 Depth=2
	ds_read_u8 v20, v2 offset:1024
	s_waitcnt lgkmcnt(0)
	v_and_b32_e32 v21, 1, v20
	v_lshrrev_b32_e32 v21, s83, v21
	v_and_b32_e32 v21, s84, v21
	v_lshlrev_b32_e32 v21, 2, v21
	ds_read_b32 v21, v21
	v_xor_b32_e32 v20, 1, v20
	s_waitcnt lgkmcnt(0)
	v_add_u32_e32 v21, v21, v2
	global_store_byte v21, v20, s[58:59]
	s_or_b64 exec, exec, s[36:37]
	v_cmp_lt_u32_e64 s[46:47], v24, v0
	s_and_saveexec_b64 s[36:37], s[46:47]
	s_cbranch_execnz .LBB1533_115
.LBB1533_108:                           ;   in Loop: Header=BB1533_66 Depth=2
	s_or_b64 exec, exec, s[36:37]
	v_cmp_lt_u32_e64 s[44:45], v25, v0
	s_and_saveexec_b64 s[36:37], s[44:45]
	s_cbranch_execz .LBB1533_116
.LBB1533_109:                           ;   in Loop: Header=BB1533_66 Depth=2
	ds_read_u8 v20, v30 offset:512
	s_waitcnt lgkmcnt(0)
	v_and_b32_e32 v21, 1, v20
	v_lshrrev_b32_e32 v21, s83, v21
	v_and_b32_e32 v21, s84, v21
	v_lshlrev_b32_e32 v21, 2, v21
	ds_read_b32 v21, v21
	v_xor_b32_e32 v20, 1, v20
	s_waitcnt lgkmcnt(0)
	v_add_u32_e32 v21, v21, v25
	global_store_byte v21, v20, s[58:59]
	s_or_b64 exec, exec, s[36:37]
	v_cmp_lt_u32_e64 s[42:43], v26, v0
	s_and_saveexec_b64 s[36:37], s[42:43]
	s_cbranch_execnz .LBB1533_117
.LBB1533_110:                           ;   in Loop: Header=BB1533_66 Depth=2
	s_or_b64 exec, exec, s[36:37]
	v_cmp_lt_u32_e64 s[40:41], v30, v0
	s_and_saveexec_b64 s[36:37], s[40:41]
	s_cbranch_execz .LBB1533_118
.LBB1533_111:                           ;   in Loop: Header=BB1533_66 Depth=2
	ds_read_u8 v20, v30 offset:1024
	s_waitcnt lgkmcnt(0)
	v_and_b32_e32 v21, 1, v20
	v_lshrrev_b32_e32 v21, s83, v21
	v_and_b32_e32 v21, s84, v21
	v_lshlrev_b32_e32 v21, 2, v21
	ds_read_b32 v21, v21
	v_xor_b32_e32 v20, 1, v20
	s_waitcnt lgkmcnt(0)
	v_add_u32_e32 v21, v21, v30
	global_store_byte v21, v20, s[58:59]
	s_or_b64 exec, exec, s[36:37]
	v_cmp_lt_u32_e64 s[38:39], v31, v0
	s_and_saveexec_b64 s[36:37], s[38:39]
	s_cbranch_execnz .LBB1533_119
.LBB1533_112:                           ;   in Loop: Header=BB1533_66 Depth=2
	s_or_b64 exec, exec, s[36:37]
	v_cmp_lt_u32_e64 s[36:37], v32, v0
	s_and_saveexec_b64 s[52:53], s[36:37]
	s_cbranch_execz .LBB1533_120
.LBB1533_113:                           ;   in Loop: Header=BB1533_66 Depth=2
	ds_read_u8 v20, v30 offset:1536
	s_waitcnt lgkmcnt(0)
	v_and_b32_e32 v21, 1, v20
	v_lshrrev_b32_e32 v21, s83, v21
	v_and_b32_e32 v21, s84, v21
	v_lshlrev_b32_e32 v21, 2, v21
	ds_read_b32 v21, v21
	v_xor_b32_e32 v20, 1, v20
	s_waitcnt lgkmcnt(0)
	v_add_u32_e32 v21, v21, v32
	global_store_byte v21, v20, s[58:59]
	s_or_b64 exec, exec, s[52:53]
	v_cmp_lt_u32_e32 vcc, v33, v0
	s_and_saveexec_b64 s[52:53], vcc
	s_cbranch_execnz .LBB1533_121
	s_branch .LBB1533_122
.LBB1533_114:                           ;   in Loop: Header=BB1533_66 Depth=2
	s_or_b64 exec, exec, s[36:37]
	v_cmp_lt_u32_e64 s[46:47], v24, v0
	s_and_saveexec_b64 s[36:37], s[46:47]
	s_cbranch_execz .LBB1533_108
.LBB1533_115:                           ;   in Loop: Header=BB1533_66 Depth=2
	ds_read_u8 v20, v30 offset:256
	s_waitcnt lgkmcnt(0)
	v_and_b32_e32 v21, 1, v20
	v_lshrrev_b32_e32 v21, s83, v21
	v_and_b32_e32 v21, s84, v21
	v_lshlrev_b32_e32 v21, 2, v21
	ds_read_b32 v21, v21
	v_xor_b32_e32 v20, 1, v20
	s_waitcnt lgkmcnt(0)
	v_add_u32_e32 v21, v21, v24
	global_store_byte v21, v20, s[58:59]
	s_or_b64 exec, exec, s[36:37]
	v_cmp_lt_u32_e64 s[44:45], v25, v0
	s_and_saveexec_b64 s[36:37], s[44:45]
	s_cbranch_execnz .LBB1533_109
.LBB1533_116:                           ;   in Loop: Header=BB1533_66 Depth=2
	s_or_b64 exec, exec, s[36:37]
	v_cmp_lt_u32_e64 s[42:43], v26, v0
	s_and_saveexec_b64 s[36:37], s[42:43]
	s_cbranch_execz .LBB1533_110
.LBB1533_117:                           ;   in Loop: Header=BB1533_66 Depth=2
	ds_read_u8 v20, v30 offset:768
	s_waitcnt lgkmcnt(0)
	v_and_b32_e32 v21, 1, v20
	v_lshrrev_b32_e32 v21, s83, v21
	v_and_b32_e32 v21, s84, v21
	v_lshlrev_b32_e32 v21, 2, v21
	ds_read_b32 v21, v21
	v_xor_b32_e32 v20, 1, v20
	s_waitcnt lgkmcnt(0)
	v_add_u32_e32 v21, v21, v26
	global_store_byte v21, v20, s[58:59]
	s_or_b64 exec, exec, s[36:37]
	v_cmp_lt_u32_e64 s[40:41], v30, v0
	s_and_saveexec_b64 s[36:37], s[40:41]
	s_cbranch_execnz .LBB1533_111
.LBB1533_118:                           ;   in Loop: Header=BB1533_66 Depth=2
	s_or_b64 exec, exec, s[36:37]
	v_cmp_lt_u32_e64 s[38:39], v31, v0
	s_and_saveexec_b64 s[36:37], s[38:39]
	s_cbranch_execz .LBB1533_112
.LBB1533_119:                           ;   in Loop: Header=BB1533_66 Depth=2
	ds_read_u8 v20, v30 offset:1280
	s_waitcnt lgkmcnt(0)
	v_and_b32_e32 v21, 1, v20
	v_lshrrev_b32_e32 v21, s83, v21
	v_and_b32_e32 v21, s84, v21
	v_lshlrev_b32_e32 v21, 2, v21
	ds_read_b32 v21, v21
	v_xor_b32_e32 v20, 1, v20
	s_waitcnt lgkmcnt(0)
	v_add_u32_e32 v21, v21, v31
	global_store_byte v21, v20, s[58:59]
	s_or_b64 exec, exec, s[36:37]
	v_cmp_lt_u32_e64 s[36:37], v32, v0
	s_and_saveexec_b64 s[52:53], s[36:37]
	s_cbranch_execnz .LBB1533_113
.LBB1533_120:                           ;   in Loop: Header=BB1533_66 Depth=2
	s_or_b64 exec, exec, s[52:53]
	v_cmp_lt_u32_e32 vcc, v33, v0
	s_and_saveexec_b64 s[52:53], vcc
	s_cbranch_execz .LBB1533_122
.LBB1533_121:                           ;   in Loop: Header=BB1533_66 Depth=2
	ds_read_u8 v20, v30 offset:1792
	s_waitcnt lgkmcnt(0)
	v_and_b32_e32 v21, 1, v20
	v_lshrrev_b32_e32 v21, s83, v21
	v_and_b32_e32 v21, s84, v21
	v_lshlrev_b32_e32 v21, 2, v21
	ds_read_b32 v21, v21
	v_xor_b32_e32 v20, 1, v20
	s_waitcnt lgkmcnt(0)
	v_add_u32_e32 v21, v21, v33
	global_store_byte v21, v20, s[58:59]
.LBB1533_122:                           ;   in Loop: Header=BB1533_66 Depth=2
	s_or_b64 exec, exec, s[52:53]
	s_lshl_b64 s[52:53], s[72:73], 3
	v_mov_b32_e32 v21, s53
	v_add_co_u32_e64 v20, s[52:53], s52, v77
	v_addc_co_u32_e64 v21, s[52:53], v78, v21, s[52:53]
	v_cmp_lt_u32_e64 s[52:53], v72, v0
	s_and_saveexec_b64 s[62:63], s[52:53]
	s_xor_b64 s[52:53], exec, s[62:63]
	s_cbranch_execz .LBB1533_138
; %bb.123:                              ;   in Loop: Header=BB1533_66 Depth=2
	global_load_dwordx2 v[18:19], v[20:21], off
	s_or_b64 exec, exec, s[52:53]
	v_cmp_lt_u32_e64 s[52:53], v79, v0
	s_and_saveexec_b64 s[62:63], s[52:53]
	s_cbranch_execnz .LBB1533_139
.LBB1533_124:                           ;   in Loop: Header=BB1533_66 Depth=2
	s_or_b64 exec, exec, s[62:63]
	v_cmp_lt_u32_e64 s[52:53], v80, v0
	s_and_saveexec_b64 s[62:63], s[52:53]
	s_cbranch_execz .LBB1533_140
.LBB1533_125:                           ;   in Loop: Header=BB1533_66 Depth=2
	global_load_dwordx2 v[14:15], v[20:21], off offset:1024
	s_or_b64 exec, exec, s[62:63]
	v_cmp_lt_u32_e64 s[52:53], v81, v0
	s_and_saveexec_b64 s[62:63], s[52:53]
	s_cbranch_execnz .LBB1533_141
.LBB1533_126:                           ;   in Loop: Header=BB1533_66 Depth=2
	s_or_b64 exec, exec, s[62:63]
	v_cmp_lt_u32_e64 s[52:53], v82, v0
	s_and_saveexec_b64 s[62:63], s[52:53]
	s_cbranch_execz .LBB1533_142
.LBB1533_127:                           ;   in Loop: Header=BB1533_66 Depth=2
	global_load_dwordx2 v[10:11], v[20:21], off offset:2048
	s_or_b64 exec, exec, s[62:63]
	v_cmp_lt_u32_e64 s[52:53], v83, v0
	s_and_saveexec_b64 s[62:63], s[52:53]
	s_cbranch_execnz .LBB1533_143
.LBB1533_128:                           ;   in Loop: Header=BB1533_66 Depth=2
	s_or_b64 exec, exec, s[62:63]
	v_cmp_lt_u32_e64 s[52:53], v84, v0
	s_and_saveexec_b64 s[62:63], s[52:53]
	s_cbranch_execz .LBB1533_144
.LBB1533_129:                           ;   in Loop: Header=BB1533_66 Depth=2
	global_load_dwordx2 v[6:7], v[20:21], off offset:3072
	s_or_b64 exec, exec, s[62:63]
	v_cmp_lt_u32_e64 s[52:53], v85, v0
	s_and_saveexec_b64 s[62:63], s[52:53]
	s_cbranch_execnz .LBB1533_145
.LBB1533_130:                           ;   in Loop: Header=BB1533_66 Depth=2
	s_or_b64 exec, exec, s[62:63]
	s_and_saveexec_b64 s[52:53], s[48:49]
	s_cbranch_execz .LBB1533_146
.LBB1533_131:                           ;   in Loop: Header=BB1533_66 Depth=2
	ds_read_u8 v0, v2 offset:1024
	s_waitcnt lgkmcnt(0)
	v_lshrrev_b32_e32 v0, s83, v0
	v_and_b32_e32 v75, s84, v0
	s_or_b64 exec, exec, s[52:53]
	s_and_saveexec_b64 s[52:53], s[46:47]
	s_cbranch_execnz .LBB1533_147
.LBB1533_132:                           ;   in Loop: Header=BB1533_66 Depth=2
	s_or_b64 exec, exec, s[52:53]
	s_and_saveexec_b64 s[52:53], s[44:45]
	s_cbranch_execz .LBB1533_148
.LBB1533_133:                           ;   in Loop: Header=BB1533_66 Depth=2
	ds_read_u8 v0, v30 offset:512
	s_waitcnt lgkmcnt(0)
	v_lshrrev_b32_e32 v0, s83, v0
	v_and_b32_e32 v71, s84, v0
	s_or_b64 exec, exec, s[52:53]
	s_and_saveexec_b64 s[52:53], s[42:43]
	s_cbranch_execnz .LBB1533_149
.LBB1533_134:                           ;   in Loop: Header=BB1533_66 Depth=2
	s_or_b64 exec, exec, s[52:53]
	s_and_saveexec_b64 s[52:53], s[40:41]
	s_cbranch_execz .LBB1533_150
.LBB1533_135:                           ;   in Loop: Header=BB1533_66 Depth=2
	ds_read_u8 v0, v30 offset:1024
	s_waitcnt lgkmcnt(0)
	v_lshrrev_b32_e32 v0, s83, v0
	v_and_b32_e32 v69, s84, v0
	s_or_b64 exec, exec, s[52:53]
	s_and_saveexec_b64 s[52:53], s[38:39]
	s_cbranch_execnz .LBB1533_151
.LBB1533_136:                           ;   in Loop: Header=BB1533_66 Depth=2
	s_or_b64 exec, exec, s[52:53]
	s_and_saveexec_b64 s[52:53], s[36:37]
	s_cbranch_execz .LBB1533_152
.LBB1533_137:                           ;   in Loop: Header=BB1533_66 Depth=2
	ds_read_u8 v0, v30 offset:1536
	s_waitcnt lgkmcnt(0)
	v_lshrrev_b32_e32 v0, s83, v0
	v_and_b32_e32 v67, s84, v0
	s_or_b64 exec, exec, s[52:53]
	s_and_saveexec_b64 s[52:53], vcc
	s_cbranch_execnz .LBB1533_153
	s_branch .LBB1533_154
.LBB1533_138:                           ;   in Loop: Header=BB1533_66 Depth=2
	s_or_b64 exec, exec, s[52:53]
	v_cmp_lt_u32_e64 s[52:53], v79, v0
	s_and_saveexec_b64 s[62:63], s[52:53]
	s_cbranch_execz .LBB1533_124
.LBB1533_139:                           ;   in Loop: Header=BB1533_66 Depth=2
	global_load_dwordx2 v[16:17], v[20:21], off offset:512
	s_or_b64 exec, exec, s[62:63]
	v_cmp_lt_u32_e64 s[52:53], v80, v0
	s_and_saveexec_b64 s[62:63], s[52:53]
	s_cbranch_execnz .LBB1533_125
.LBB1533_140:                           ;   in Loop: Header=BB1533_66 Depth=2
	s_or_b64 exec, exec, s[62:63]
	v_cmp_lt_u32_e64 s[52:53], v81, v0
	s_and_saveexec_b64 s[62:63], s[52:53]
	s_cbranch_execz .LBB1533_126
.LBB1533_141:                           ;   in Loop: Header=BB1533_66 Depth=2
	global_load_dwordx2 v[12:13], v[20:21], off offset:1536
	s_or_b64 exec, exec, s[62:63]
	v_cmp_lt_u32_e64 s[52:53], v82, v0
	s_and_saveexec_b64 s[62:63], s[52:53]
	s_cbranch_execnz .LBB1533_127
.LBB1533_142:                           ;   in Loop: Header=BB1533_66 Depth=2
	s_or_b64 exec, exec, s[62:63]
	v_cmp_lt_u32_e64 s[52:53], v83, v0
	s_and_saveexec_b64 s[62:63], s[52:53]
	s_cbranch_execz .LBB1533_128
.LBB1533_143:                           ;   in Loop: Header=BB1533_66 Depth=2
	global_load_dwordx2 v[8:9], v[20:21], off offset:2560
	s_or_b64 exec, exec, s[62:63]
	v_cmp_lt_u32_e64 s[52:53], v84, v0
	s_and_saveexec_b64 s[62:63], s[52:53]
	s_cbranch_execnz .LBB1533_129
.LBB1533_144:                           ;   in Loop: Header=BB1533_66 Depth=2
	s_or_b64 exec, exec, s[62:63]
	v_cmp_lt_u32_e64 s[52:53], v85, v0
	s_and_saveexec_b64 s[62:63], s[52:53]
	s_cbranch_execz .LBB1533_130
.LBB1533_145:                           ;   in Loop: Header=BB1533_66 Depth=2
	global_load_dwordx2 v[4:5], v[20:21], off offset:3584
	s_or_b64 exec, exec, s[62:63]
	s_and_saveexec_b64 s[52:53], s[48:49]
	s_cbranch_execnz .LBB1533_131
.LBB1533_146:                           ;   in Loop: Header=BB1533_66 Depth=2
	s_or_b64 exec, exec, s[52:53]
	s_and_saveexec_b64 s[52:53], s[46:47]
	s_cbranch_execz .LBB1533_132
.LBB1533_147:                           ;   in Loop: Header=BB1533_66 Depth=2
	ds_read_u8 v0, v30 offset:256
	s_waitcnt lgkmcnt(0)
	v_lshrrev_b32_e32 v0, s83, v0
	v_and_b32_e32 v73, s84, v0
	s_or_b64 exec, exec, s[52:53]
	s_and_saveexec_b64 s[52:53], s[44:45]
	s_cbranch_execnz .LBB1533_133
.LBB1533_148:                           ;   in Loop: Header=BB1533_66 Depth=2
	s_or_b64 exec, exec, s[52:53]
	s_and_saveexec_b64 s[52:53], s[42:43]
	s_cbranch_execz .LBB1533_134
.LBB1533_149:                           ;   in Loop: Header=BB1533_66 Depth=2
	ds_read_u8 v0, v30 offset:768
	s_waitcnt lgkmcnt(0)
	v_lshrrev_b32_e32 v0, s83, v0
	v_and_b32_e32 v70, s84, v0
	s_or_b64 exec, exec, s[52:53]
	s_and_saveexec_b64 s[52:53], s[40:41]
	s_cbranch_execnz .LBB1533_135
.LBB1533_150:                           ;   in Loop: Header=BB1533_66 Depth=2
	s_or_b64 exec, exec, s[52:53]
	s_and_saveexec_b64 s[52:53], s[38:39]
	s_cbranch_execz .LBB1533_136
.LBB1533_151:                           ;   in Loop: Header=BB1533_66 Depth=2
	ds_read_u8 v0, v30 offset:1280
	s_waitcnt lgkmcnt(0)
	v_lshrrev_b32_e32 v0, s83, v0
	v_and_b32_e32 v68, s84, v0
	s_or_b64 exec, exec, s[52:53]
	s_and_saveexec_b64 s[52:53], s[36:37]
	s_cbranch_execnz .LBB1533_137
.LBB1533_152:                           ;   in Loop: Header=BB1533_66 Depth=2
	s_or_b64 exec, exec, s[52:53]
	s_and_saveexec_b64 s[52:53], vcc
	s_cbranch_execz .LBB1533_154
.LBB1533_153:                           ;   in Loop: Header=BB1533_66 Depth=2
	ds_read_u8 v0, v30 offset:1792
	s_waitcnt lgkmcnt(0)
	v_lshrrev_b32_e32 v0, s83, v0
	v_and_b32_e32 v66, s84, v0
.LBB1533_154:                           ;   in Loop: Header=BB1533_66 Depth=2
	s_or_b64 exec, exec, s[52:53]
	v_lshlrev_b32_e32 v0, 3, v97
	s_barrier
	s_waitcnt vmcnt(0)
	ds_write_b64 v0, v[18:19] offset:1024
	v_lshlrev_b32_e32 v0, 3, v96
	ds_write_b64 v0, v[16:17] offset:1024
	v_lshlrev_b32_e32 v0, 3, v95
	;; [unrolled: 2-line block ×7, first 2 shown]
	ds_write_b64 v0, v[4:5] offset:1024
	s_waitcnt lgkmcnt(0)
	s_barrier
	s_and_saveexec_b64 s[52:53], s[48:49]
	s_cbranch_execz .LBB1533_162
; %bb.155:                              ;   in Loop: Header=BB1533_66 Depth=2
	v_lshlrev_b32_e32 v0, 2, v75
	ds_read_b32 v0, v0
	v_add_u32_e32 v20, v2, v50
	ds_read_b64 v[20:21], v20 offset:1024
	v_mov_b32_e32 v23, s65
	s_waitcnt lgkmcnt(1)
	v_add_u32_e32 v0, v0, v2
	v_lshlrev_b64 v[90:91], 3, v[0:1]
	v_add_co_u32_e64 v90, s[48:49], s64, v90
	v_addc_co_u32_e64 v91, s[48:49], v23, v91, s[48:49]
	s_waitcnt lgkmcnt(0)
	global_store_dwordx2 v[90:91], v[20:21], off
	s_or_b64 exec, exec, s[52:53]
	s_and_saveexec_b64 s[48:49], s[46:47]
	s_cbranch_execnz .LBB1533_163
.LBB1533_156:                           ;   in Loop: Header=BB1533_66 Depth=2
	s_or_b64 exec, exec, s[48:49]
	s_and_saveexec_b64 s[46:47], s[44:45]
	s_cbranch_execz .LBB1533_164
.LBB1533_157:                           ;   in Loop: Header=BB1533_66 Depth=2
	v_lshlrev_b32_e32 v0, 2, v71
	ds_read_b32 v0, v0
	v_add_u32_e32 v20, v30, v50
	ds_read_b64 v[20:21], v20 offset:4096
	v_mov_b32_e32 v23, s65
	s_waitcnt lgkmcnt(1)
	v_add_u32_e32 v0, v0, v25
	v_lshlrev_b64 v[90:91], 3, v[0:1]
	v_add_co_u32_e64 v90, s[44:45], s64, v90
	v_addc_co_u32_e64 v91, s[44:45], v23, v91, s[44:45]
	s_waitcnt lgkmcnt(0)
	global_store_dwordx2 v[90:91], v[20:21], off
	s_or_b64 exec, exec, s[46:47]
	s_and_saveexec_b64 s[44:45], s[42:43]
	s_cbranch_execnz .LBB1533_165
.LBB1533_158:                           ;   in Loop: Header=BB1533_66 Depth=2
	s_or_b64 exec, exec, s[44:45]
	s_and_saveexec_b64 s[42:43], s[40:41]
	s_cbranch_execz .LBB1533_166
.LBB1533_159:                           ;   in Loop: Header=BB1533_66 Depth=2
	v_lshlrev_b32_e32 v0, 2, v69
	ds_read_b32 v0, v0
	v_add_u32_e32 v20, v30, v50
	ds_read_b64 v[20:21], v20 offset:8192
	v_mov_b32_e32 v23, s65
	s_waitcnt lgkmcnt(1)
	v_add_u32_e32 v0, v0, v30
	v_lshlrev_b64 v[90:91], 3, v[0:1]
	v_add_co_u32_e64 v90, s[40:41], s64, v90
	v_addc_co_u32_e64 v91, s[40:41], v23, v91, s[40:41]
	s_waitcnt lgkmcnt(0)
	global_store_dwordx2 v[90:91], v[20:21], off
	s_or_b64 exec, exec, s[42:43]
	s_and_saveexec_b64 s[40:41], s[38:39]
	s_cbranch_execnz .LBB1533_167
.LBB1533_160:                           ;   in Loop: Header=BB1533_66 Depth=2
	s_or_b64 exec, exec, s[40:41]
	s_and_saveexec_b64 s[38:39], s[36:37]
	s_cbranch_execz .LBB1533_168
.LBB1533_161:                           ;   in Loop: Header=BB1533_66 Depth=2
	v_lshlrev_b32_e32 v0, 2, v67
	ds_read_b32 v0, v0
	v_add_u32_e32 v20, v30, v50
	ds_read_b64 v[20:21], v20 offset:12288
	v_mov_b32_e32 v23, s65
	s_waitcnt lgkmcnt(1)
	v_add_u32_e32 v0, v0, v32
	v_lshlrev_b64 v[90:91], 3, v[0:1]
	v_add_co_u32_e64 v90, s[36:37], s64, v90
	v_addc_co_u32_e64 v91, s[36:37], v23, v91, s[36:37]
	s_waitcnt lgkmcnt(0)
	global_store_dwordx2 v[90:91], v[20:21], off
	s_or_b64 exec, exec, s[38:39]
	s_and_saveexec_b64 s[36:37], vcc
	s_cbranch_execnz .LBB1533_169
	s_branch .LBB1533_170
.LBB1533_162:                           ;   in Loop: Header=BB1533_66 Depth=2
	s_or_b64 exec, exec, s[52:53]
	s_and_saveexec_b64 s[48:49], s[46:47]
	s_cbranch_execz .LBB1533_156
.LBB1533_163:                           ;   in Loop: Header=BB1533_66 Depth=2
	v_lshlrev_b32_e32 v0, 2, v73
	ds_read_b32 v0, v0
	v_add_u32_e32 v20, v30, v50
	ds_read_b64 v[20:21], v20 offset:2048
	v_mov_b32_e32 v23, s65
	s_waitcnt lgkmcnt(1)
	v_add_u32_e32 v0, v0, v24
	v_lshlrev_b64 v[90:91], 3, v[0:1]
	v_add_co_u32_e64 v90, s[46:47], s64, v90
	v_addc_co_u32_e64 v91, s[46:47], v23, v91, s[46:47]
	s_waitcnt lgkmcnt(0)
	global_store_dwordx2 v[90:91], v[20:21], off
	s_or_b64 exec, exec, s[48:49]
	s_and_saveexec_b64 s[46:47], s[44:45]
	s_cbranch_execnz .LBB1533_157
.LBB1533_164:                           ;   in Loop: Header=BB1533_66 Depth=2
	s_or_b64 exec, exec, s[46:47]
	s_and_saveexec_b64 s[44:45], s[42:43]
	s_cbranch_execz .LBB1533_158
.LBB1533_165:                           ;   in Loop: Header=BB1533_66 Depth=2
	v_lshlrev_b32_e32 v0, 2, v70
	ds_read_b32 v0, v0
	v_add_u32_e32 v20, v30, v50
	ds_read_b64 v[20:21], v20 offset:6144
	v_mov_b32_e32 v23, s65
	s_waitcnt lgkmcnt(1)
	v_add_u32_e32 v0, v0, v26
	v_lshlrev_b64 v[90:91], 3, v[0:1]
	v_add_co_u32_e64 v90, s[42:43], s64, v90
	v_addc_co_u32_e64 v91, s[42:43], v23, v91, s[42:43]
	s_waitcnt lgkmcnt(0)
	global_store_dwordx2 v[90:91], v[20:21], off
	s_or_b64 exec, exec, s[44:45]
	s_and_saveexec_b64 s[42:43], s[40:41]
	s_cbranch_execnz .LBB1533_159
.LBB1533_166:                           ;   in Loop: Header=BB1533_66 Depth=2
	s_or_b64 exec, exec, s[42:43]
	s_and_saveexec_b64 s[40:41], s[38:39]
	s_cbranch_execz .LBB1533_160
.LBB1533_167:                           ;   in Loop: Header=BB1533_66 Depth=2
	v_lshlrev_b32_e32 v0, 2, v68
	ds_read_b32 v0, v0
	v_add_u32_e32 v20, v30, v50
	ds_read_b64 v[20:21], v20 offset:10240
	v_mov_b32_e32 v23, s65
	s_waitcnt lgkmcnt(1)
	v_add_u32_e32 v0, v0, v31
	v_lshlrev_b64 v[90:91], 3, v[0:1]
	v_add_co_u32_e64 v90, s[38:39], s64, v90
	v_addc_co_u32_e64 v91, s[38:39], v23, v91, s[38:39]
	s_waitcnt lgkmcnt(0)
	global_store_dwordx2 v[90:91], v[20:21], off
	s_or_b64 exec, exec, s[40:41]
	s_and_saveexec_b64 s[38:39], s[36:37]
	s_cbranch_execnz .LBB1533_161
.LBB1533_168:                           ;   in Loop: Header=BB1533_66 Depth=2
	s_or_b64 exec, exec, s[38:39]
	s_and_saveexec_b64 s[36:37], vcc
	s_cbranch_execz .LBB1533_170
.LBB1533_169:                           ;   in Loop: Header=BB1533_66 Depth=2
	v_lshlrev_b32_e32 v0, 2, v66
	ds_read_b32 v0, v0
	v_add_u32_e32 v20, v30, v50
	ds_read_b64 v[20:21], v20 offset:14336
	v_mov_b32_e32 v23, s65
	s_waitcnt lgkmcnt(1)
	v_add_u32_e32 v0, v0, v33
	v_lshlrev_b64 v[90:91], 3, v[0:1]
	v_add_co_u32_e32 v90, vcc, s64, v90
	v_addc_co_u32_e32 v91, vcc, v23, v91, vcc
	s_waitcnt lgkmcnt(0)
	global_store_dwordx2 v[90:91], v[20:21], off
.LBB1533_170:                           ;   in Loop: Header=BB1533_66 Depth=2
	s_or_b64 exec, exec, s[36:37]
	s_barrier
	s_and_saveexec_b64 s[36:37], s[4:5]
	s_cbranch_execz .LBB1533_65
; %bb.171:                              ;   in Loop: Header=BB1533_66 Depth=2
	ds_read_b32 v0, v3
	s_waitcnt lgkmcnt(0)
	v_add_u32_e32 v0, v0, v22
	ds_write_b32 v3, v0
	s_branch .LBB1533_65
.LBB1533_172:                           ;   in Loop: Header=BB1533_66 Depth=2
	s_or_b64 exec, exec, s[36:37]
	v_cmp_gt_u32_e32 vcc, s85, v79
	s_and_saveexec_b64 s[36:37], vcc
	s_cbranch_execz .LBB1533_71
.LBB1533_173:                           ;   in Loop: Header=BB1533_66 Depth=2
	global_load_ubyte v0, v[22:23], off offset:64
	s_waitcnt vmcnt(0)
	v_perm_b32 v20, v20, v0, s78
	s_or_b64 exec, exec, s[36:37]
	v_cmp_gt_u32_e32 vcc, s85, v80
	s_and_saveexec_b64 s[36:37], vcc
	s_cbranch_execnz .LBB1533_72
.LBB1533_174:                           ;   in Loop: Header=BB1533_66 Depth=2
	s_or_b64 exec, exec, s[36:37]
	v_cmp_gt_u32_e32 vcc, s85, v81
	s_and_saveexec_b64 s[36:37], vcc
	s_cbranch_execz .LBB1533_73
.LBB1533_175:                           ;   in Loop: Header=BB1533_66 Depth=2
	global_load_ubyte v0, v[22:23], off offset:192
	v_and_b32_sdwa v89, v20, s68 dst_sel:DWORD dst_unused:UNUSED_PAD src0_sel:WORD_1 src1_sel:DWORD
	s_waitcnt vmcnt(0)
	v_lshlrev_b16_e32 v0, 8, v0
	v_or_b32_sdwa v0, v89, v0 dst_sel:WORD_1 dst_unused:UNUSED_PAD src0_sel:DWORD src1_sel:DWORD
	v_and_or_b32 v20, v20, s77, v0
	s_or_b64 exec, exec, s[36:37]
	v_cmp_gt_u32_e32 vcc, s85, v82
	s_and_saveexec_b64 s[36:37], vcc
	s_cbranch_execnz .LBB1533_74
.LBB1533_176:                           ;   in Loop: Header=BB1533_66 Depth=2
	s_or_b64 exec, exec, s[36:37]
	v_cmp_gt_u32_e32 vcc, s85, v83
	s_and_saveexec_b64 s[36:37], vcc
	s_cbranch_execz .LBB1533_75
.LBB1533_177:                           ;   in Loop: Header=BB1533_66 Depth=2
	global_load_ubyte v0, v[22:23], off offset:320
	s_waitcnt vmcnt(0)
	v_perm_b32 v21, v21, v0, s78
	s_or_b64 exec, exec, s[36:37]
	v_cmp_gt_u32_e32 vcc, s85, v84
	s_and_saveexec_b64 s[36:37], vcc
	s_cbranch_execnz .LBB1533_76
	s_branch .LBB1533_77
.LBB1533_178:                           ;   in Loop: Header=BB1533_12 Depth=1
	s_waitcnt lgkmcnt(0)
	s_barrier
	s_mov_b64 s[16:17], 0
.LBB1533_179:                           ;   in Loop: Header=BB1533_12 Depth=1
	s_and_b64 vcc, exec, s[16:17]
	s_cbranch_vccz .LBB1533_345
; %bb.180:                              ;   in Loop: Header=BB1533_12 Depth=1
	s_mov_b32 s20, s71
	s_mov_b32 s22, s51
	s_barrier
	s_waitcnt lgkmcnt(0)
                                        ; implicit-def: $vgpr0
                                        ; implicit-def: $vgpr6
                                        ; implicit-def: $vgpr7
                                        ; implicit-def: $vgpr8
                                        ; implicit-def: $vgpr9
                                        ; implicit-def: $vgpr10
                                        ; implicit-def: $vgpr11
                                        ; implicit-def: $vgpr12
	s_branch .LBB1533_182
.LBB1533_181:                           ;   in Loop: Header=BB1533_182 Depth=2
	s_or_b64 exec, exec, s[16:17]
	s_addk_i32 s20, 0xf800
	s_cmp_ge_u32 s21, s76
	s_mov_b32 s22, s21
	s_cbranch_scc1 .LBB1533_220
.LBB1533_182:                           ;   Parent Loop BB1533_12 Depth=1
                                        ; =>  This Inner Loop Header: Depth=2
	s_add_i32 s21, s22, 0x800
	s_cmp_gt_u32 s21, s76
	s_cbranch_scc1 .LBB1533_185
; %bb.183:                              ;   in Loop: Header=BB1533_182 Depth=2
	v_add_co_u32_e32 v4, vcc, s22, v51
	v_addc_co_u32_e32 v5, vcc, 0, v52, vcc
	global_load_ubyte v20, v[4:5], off offset:1536
	global_load_ubyte v19, v[4:5], off offset:1280
	;; [unrolled: 1-line block ×6, first 2 shown]
	global_load_ubyte v14, v[4:5], off
	v_add_co_u32_e32 v4, vcc, 0x700, v4
	v_addc_co_u32_e32 v5, vcc, 0, v5, vcc
	s_mov_b64 s[16:17], -1
	s_movk_i32 s25, 0x800
	s_cbranch_execz .LBB1533_186
; %bb.184:                              ;   in Loop: Header=BB1533_182 Depth=2
                                        ; implicit-def: $vgpr0
                                        ; implicit-def: $vgpr6
                                        ; implicit-def: $vgpr7
                                        ; implicit-def: $vgpr8
                                        ; implicit-def: $vgpr9
                                        ; implicit-def: $vgpr10
                                        ; implicit-def: $vgpr11
                                        ; implicit-def: $vgpr12
	v_mov_b32_e32 v13, s20
	s_and_saveexec_b64 s[18:19], s[16:17]
	s_cbranch_execnz .LBB1533_197
	s_branch .LBB1533_198
.LBB1533_185:                           ;   in Loop: Header=BB1533_182 Depth=2
	s_mov_b64 s[16:17], 0
                                        ; implicit-def: $sgpr25
                                        ; implicit-def: $vgpr14
                                        ; implicit-def: $vgpr15
                                        ; implicit-def: $vgpr16
                                        ; implicit-def: $vgpr17
                                        ; implicit-def: $vgpr18
                                        ; implicit-def: $vgpr19
                                        ; implicit-def: $vgpr20
                                        ; implicit-def: $vgpr4_vgpr5
.LBB1533_186:                           ;   in Loop: Header=BB1533_182 Depth=2
	s_add_u32 s23, s58, s22
	s_addc_u32 s24, s59, 0
	v_cmp_gt_u32_e32 vcc, s20, v2
	s_and_saveexec_b64 s[18:19], vcc
	s_cbranch_execz .LBB1533_214
; %bb.187:                              ;   in Loop: Header=BB1533_182 Depth=2
	v_mov_b32_e32 v0, s24
	v_add_co_u32_e32 v4, vcc, s23, v2
	v_addc_co_u32_e32 v5, vcc, 0, v0, vcc
	global_load_ubyte v0, v[4:5], off
	s_or_b64 exec, exec, s[18:19]
	v_cmp_gt_u32_e32 vcc, s20, v24
	s_and_saveexec_b64 s[18:19], vcc
	s_cbranch_execnz .LBB1533_215
.LBB1533_188:                           ;   in Loop: Header=BB1533_182 Depth=2
	s_or_b64 exec, exec, s[18:19]
	v_cmp_gt_u32_e32 vcc, s20, v25
	s_and_saveexec_b64 s[18:19], vcc
	s_cbranch_execz .LBB1533_216
.LBB1533_189:                           ;   in Loop: Header=BB1533_182 Depth=2
	v_mov_b32_e32 v5, s24
	v_add_co_u32_e32 v4, vcc, s23, v2
	v_addc_co_u32_e32 v5, vcc, 0, v5, vcc
	global_load_ubyte v7, v[4:5], off offset:512
	s_or_b64 exec, exec, s[18:19]
	v_cmp_gt_u32_e32 vcc, s20, v26
	s_and_saveexec_b64 s[18:19], vcc
	s_cbranch_execnz .LBB1533_217
.LBB1533_190:                           ;   in Loop: Header=BB1533_182 Depth=2
	s_or_b64 exec, exec, s[18:19]
	v_cmp_gt_u32_e32 vcc, s20, v30
	s_and_saveexec_b64 s[18:19], vcc
	s_cbranch_execz .LBB1533_218
.LBB1533_191:                           ;   in Loop: Header=BB1533_182 Depth=2
	v_mov_b32_e32 v5, s24
	v_add_co_u32_e32 v4, vcc, s23, v2
	v_addc_co_u32_e32 v5, vcc, 0, v5, vcc
	global_load_ubyte v9, v[4:5], off offset:1024
	s_or_b64 exec, exec, s[18:19]
	v_cmp_gt_u32_e32 vcc, s20, v31
	s_and_saveexec_b64 s[18:19], vcc
	s_cbranch_execnz .LBB1533_219
.LBB1533_192:                           ;   in Loop: Header=BB1533_182 Depth=2
	s_or_b64 exec, exec, s[18:19]
	v_cmp_gt_u32_e32 vcc, s20, v32
	s_and_saveexec_b64 s[18:19], vcc
	s_cbranch_execz .LBB1533_194
.LBB1533_193:                           ;   in Loop: Header=BB1533_182 Depth=2
	v_mov_b32_e32 v5, s24
	v_add_co_u32_e32 v4, vcc, s23, v2
	v_addc_co_u32_e32 v5, vcc, 0, v5, vcc
	global_load_ubyte v11, v[4:5], off offset:1536
.LBB1533_194:                           ;   in Loop: Header=BB1533_182 Depth=2
	s_or_b64 exec, exec, s[18:19]
	v_cmp_gt_u32_e32 vcc, s20, v33
                                        ; implicit-def: $sgpr25
                                        ; implicit-def: $vgpr4_vgpr5
	s_and_saveexec_b64 s[18:19], vcc
	s_cbranch_execz .LBB1533_196
; %bb.195:                              ;   in Loop: Header=BB1533_182 Depth=2
	v_mov_b32_e32 v4, s24
	v_add_co_u32_e32 v5, vcc, s23, v2
	s_waitcnt vmcnt(0)
	v_addc_co_u32_e32 v12, vcc, 0, v4, vcc
	v_add_co_u32_e32 v4, vcc, 0x700, v5
	s_sub_i32 s25, s76, s22
	v_addc_co_u32_e32 v5, vcc, 0, v12, vcc
	s_or_b64 s[16:17], s[16:17], exec
                                        ; implicit-def: $vgpr12
.LBB1533_196:                           ;   in Loop: Header=BB1533_182 Depth=2
	s_or_b64 exec, exec, s[18:19]
	s_waitcnt vmcnt(0)
	v_mov_b32_e32 v14, v0
	v_mov_b32_e32 v15, v6
	;; [unrolled: 1-line block ×8, first 2 shown]
	s_and_saveexec_b64 s[18:19], s[16:17]
	s_cbranch_execz .LBB1533_198
.LBB1533_197:                           ;   in Loop: Header=BB1533_182 Depth=2
	global_load_ubyte v12, v[4:5], off
	v_mov_b32_e32 v13, s25
	s_waitcnt vmcnt(1)
	v_mov_b32_e32 v0, v14
	v_mov_b32_e32 v6, v15
	;; [unrolled: 1-line block ×7, first 2 shown]
.LBB1533_198:                           ;   in Loop: Header=BB1533_182 Depth=2
	s_or_b64 exec, exec, s[18:19]
	v_cmp_lt_u32_e32 vcc, v2, v13
	s_and_saveexec_b64 s[16:17], vcc
	s_cbranch_execz .LBB1533_206
; %bb.199:                              ;   in Loop: Header=BB1533_182 Depth=2
	v_xor_b32_e32 v4, -1, v0
	v_and_b32_e32 v4, 1, v4
	v_lshrrev_b32_sdwa v4, s83, v4 dst_sel:DWORD dst_unused:UNUSED_PAD src0_sel:DWORD src1_sel:WORD_0
	v_and_b32_e32 v4, s84, v4
	v_lshlrev_b32_e32 v5, 2, v27
	v_lshl_or_b32 v4, v4, 4, v5
	ds_add_u32 v4, v63
	s_or_b64 exec, exec, s[16:17]
	v_cmp_lt_u32_e32 vcc, v24, v13
	s_and_saveexec_b64 s[16:17], vcc
	s_cbranch_execnz .LBB1533_207
.LBB1533_200:                           ;   in Loop: Header=BB1533_182 Depth=2
	s_or_b64 exec, exec, s[16:17]
	v_cmp_lt_u32_e32 vcc, v25, v13
	s_and_saveexec_b64 s[16:17], vcc
	s_cbranch_execz .LBB1533_208
.LBB1533_201:                           ;   in Loop: Header=BB1533_182 Depth=2
	v_xor_b32_e32 v4, -1, v7
	v_and_b32_e32 v4, 1, v4
	v_lshrrev_b32_sdwa v4, s83, v4 dst_sel:DWORD dst_unused:UNUSED_PAD src0_sel:DWORD src1_sel:WORD_0
	v_and_b32_e32 v4, s84, v4
	v_lshlrev_b32_e32 v5, 2, v27
	v_lshl_or_b32 v4, v4, 4, v5
	ds_add_u32 v4, v63
	s_or_b64 exec, exec, s[16:17]
	v_cmp_lt_u32_e32 vcc, v26, v13
	s_and_saveexec_b64 s[16:17], vcc
	s_cbranch_execnz .LBB1533_209
.LBB1533_202:                           ;   in Loop: Header=BB1533_182 Depth=2
	s_or_b64 exec, exec, s[16:17]
	v_cmp_lt_u32_e32 vcc, v30, v13
	s_and_saveexec_b64 s[16:17], vcc
	s_cbranch_execz .LBB1533_210
.LBB1533_203:                           ;   in Loop: Header=BB1533_182 Depth=2
	v_xor_b32_e32 v4, -1, v9
	v_and_b32_e32 v4, 1, v4
	v_lshrrev_b32_sdwa v4, s83, v4 dst_sel:DWORD dst_unused:UNUSED_PAD src0_sel:DWORD src1_sel:WORD_0
	v_and_b32_e32 v4, s84, v4
	v_lshlrev_b32_e32 v5, 2, v27
	v_lshl_or_b32 v4, v4, 4, v5
	ds_add_u32 v4, v63
	s_or_b64 exec, exec, s[16:17]
	v_cmp_lt_u32_e32 vcc, v31, v13
	s_and_saveexec_b64 s[16:17], vcc
	s_cbranch_execnz .LBB1533_211
.LBB1533_204:                           ;   in Loop: Header=BB1533_182 Depth=2
	s_or_b64 exec, exec, s[16:17]
	v_cmp_lt_u32_e32 vcc, v32, v13
	s_and_saveexec_b64 s[16:17], vcc
	s_cbranch_execz .LBB1533_212
.LBB1533_205:                           ;   in Loop: Header=BB1533_182 Depth=2
	v_xor_b32_e32 v4, -1, v11
	v_and_b32_e32 v4, 1, v4
	v_lshrrev_b32_sdwa v4, s83, v4 dst_sel:DWORD dst_unused:UNUSED_PAD src0_sel:DWORD src1_sel:WORD_0
	v_and_b32_e32 v4, s84, v4
	v_lshlrev_b32_e32 v5, 2, v27
	v_lshl_or_b32 v4, v4, 4, v5
	ds_add_u32 v4, v63
	s_or_b64 exec, exec, s[16:17]
	v_cmp_lt_u32_e32 vcc, v33, v13
	s_and_saveexec_b64 s[16:17], vcc
	s_cbranch_execz .LBB1533_181
	s_branch .LBB1533_213
.LBB1533_206:                           ;   in Loop: Header=BB1533_182 Depth=2
	s_or_b64 exec, exec, s[16:17]
	v_cmp_lt_u32_e32 vcc, v24, v13
	s_and_saveexec_b64 s[16:17], vcc
	s_cbranch_execz .LBB1533_200
.LBB1533_207:                           ;   in Loop: Header=BB1533_182 Depth=2
	v_xor_b32_e32 v4, -1, v6
	v_and_b32_e32 v4, 1, v4
	v_lshrrev_b32_sdwa v4, s83, v4 dst_sel:DWORD dst_unused:UNUSED_PAD src0_sel:DWORD src1_sel:WORD_0
	v_and_b32_e32 v4, s84, v4
	v_lshlrev_b32_e32 v5, 2, v27
	v_lshl_or_b32 v4, v4, 4, v5
	ds_add_u32 v4, v63
	s_or_b64 exec, exec, s[16:17]
	v_cmp_lt_u32_e32 vcc, v25, v13
	s_and_saveexec_b64 s[16:17], vcc
	s_cbranch_execnz .LBB1533_201
.LBB1533_208:                           ;   in Loop: Header=BB1533_182 Depth=2
	s_or_b64 exec, exec, s[16:17]
	v_cmp_lt_u32_e32 vcc, v26, v13
	s_and_saveexec_b64 s[16:17], vcc
	s_cbranch_execz .LBB1533_202
.LBB1533_209:                           ;   in Loop: Header=BB1533_182 Depth=2
	v_xor_b32_e32 v4, -1, v8
	v_and_b32_e32 v4, 1, v4
	v_lshrrev_b32_sdwa v4, s83, v4 dst_sel:DWORD dst_unused:UNUSED_PAD src0_sel:DWORD src1_sel:WORD_0
	v_and_b32_e32 v4, s84, v4
	v_lshlrev_b32_e32 v5, 2, v27
	v_lshl_or_b32 v4, v4, 4, v5
	ds_add_u32 v4, v63
	s_or_b64 exec, exec, s[16:17]
	v_cmp_lt_u32_e32 vcc, v30, v13
	s_and_saveexec_b64 s[16:17], vcc
	s_cbranch_execnz .LBB1533_203
.LBB1533_210:                           ;   in Loop: Header=BB1533_182 Depth=2
	s_or_b64 exec, exec, s[16:17]
	v_cmp_lt_u32_e32 vcc, v31, v13
	s_and_saveexec_b64 s[16:17], vcc
	s_cbranch_execz .LBB1533_204
.LBB1533_211:                           ;   in Loop: Header=BB1533_182 Depth=2
	v_xor_b32_e32 v4, -1, v10
	v_and_b32_e32 v4, 1, v4
	v_lshrrev_b32_sdwa v4, s83, v4 dst_sel:DWORD dst_unused:UNUSED_PAD src0_sel:DWORD src1_sel:WORD_0
	v_and_b32_e32 v4, s84, v4
	v_lshlrev_b32_e32 v5, 2, v27
	v_lshl_or_b32 v4, v4, 4, v5
	ds_add_u32 v4, v63
	s_or_b64 exec, exec, s[16:17]
	v_cmp_lt_u32_e32 vcc, v32, v13
	s_and_saveexec_b64 s[16:17], vcc
	s_cbranch_execnz .LBB1533_205
.LBB1533_212:                           ;   in Loop: Header=BB1533_182 Depth=2
	s_or_b64 exec, exec, s[16:17]
	v_cmp_lt_u32_e32 vcc, v33, v13
	s_and_saveexec_b64 s[16:17], vcc
	s_cbranch_execz .LBB1533_181
.LBB1533_213:                           ;   in Loop: Header=BB1533_182 Depth=2
	s_waitcnt vmcnt(0)
	v_xor_b32_e32 v4, -1, v12
	v_and_b32_e32 v4, 1, v4
	v_lshrrev_b32_sdwa v4, s83, v4 dst_sel:DWORD dst_unused:UNUSED_PAD src0_sel:DWORD src1_sel:WORD_0
	v_and_b32_e32 v4, s84, v4
	v_lshlrev_b32_e32 v5, 2, v27
	v_lshl_or_b32 v4, v4, 4, v5
	ds_add_u32 v4, v63
	s_branch .LBB1533_181
.LBB1533_214:                           ;   in Loop: Header=BB1533_182 Depth=2
	s_or_b64 exec, exec, s[18:19]
	v_cmp_gt_u32_e32 vcc, s20, v24
	s_and_saveexec_b64 s[18:19], vcc
	s_cbranch_execz .LBB1533_188
.LBB1533_215:                           ;   in Loop: Header=BB1533_182 Depth=2
	v_mov_b32_e32 v5, s24
	v_add_co_u32_e32 v4, vcc, s23, v2
	v_addc_co_u32_e32 v5, vcc, 0, v5, vcc
	global_load_ubyte v6, v[4:5], off offset:256
	s_or_b64 exec, exec, s[18:19]
	v_cmp_gt_u32_e32 vcc, s20, v25
	s_and_saveexec_b64 s[18:19], vcc
	s_cbranch_execnz .LBB1533_189
.LBB1533_216:                           ;   in Loop: Header=BB1533_182 Depth=2
	s_or_b64 exec, exec, s[18:19]
	v_cmp_gt_u32_e32 vcc, s20, v26
	s_and_saveexec_b64 s[18:19], vcc
	s_cbranch_execz .LBB1533_190
.LBB1533_217:                           ;   in Loop: Header=BB1533_182 Depth=2
	v_mov_b32_e32 v5, s24
	v_add_co_u32_e32 v4, vcc, s23, v2
	v_addc_co_u32_e32 v5, vcc, 0, v5, vcc
	global_load_ubyte v8, v[4:5], off offset:768
	s_or_b64 exec, exec, s[18:19]
	v_cmp_gt_u32_e32 vcc, s20, v30
	s_and_saveexec_b64 s[18:19], vcc
	s_cbranch_execnz .LBB1533_191
.LBB1533_218:                           ;   in Loop: Header=BB1533_182 Depth=2
	s_or_b64 exec, exec, s[18:19]
	v_cmp_gt_u32_e32 vcc, s20, v31
	s_and_saveexec_b64 s[18:19], vcc
	s_cbranch_execz .LBB1533_192
.LBB1533_219:                           ;   in Loop: Header=BB1533_182 Depth=2
	v_mov_b32_e32 v5, s24
	v_add_co_u32_e32 v4, vcc, s23, v2
	v_addc_co_u32_e32 v5, vcc, 0, v5, vcc
	global_load_ubyte v10, v[4:5], off offset:1280
	s_or_b64 exec, exec, s[18:19]
	v_cmp_gt_u32_e32 vcc, s20, v32
	s_and_saveexec_b64 s[18:19], vcc
	s_cbranch_execz .LBB1533_194
	s_branch .LBB1533_193
.LBB1533_220:                           ;   in Loop: Header=BB1533_12 Depth=1
	v_mov_b32_e32 v0, 0
	s_waitcnt lgkmcnt(0)
	s_barrier
	s_and_saveexec_b64 s[16:17], s[4:5]
	s_cbranch_execz .LBB1533_222
; %bb.221:                              ;   in Loop: Header=BB1533_12 Depth=1
	ds_read2_b64 v[4:7], v34 offset1:1
	s_waitcnt lgkmcnt(0)
	v_add_u32_e32 v0, v5, v4
	v_add3_u32 v0, v0, v6, v7
.LBB1533_222:                           ;   in Loop: Header=BB1533_12 Depth=1
	s_or_b64 exec, exec, s[16:17]
	v_and_b32_e32 v4, 15, v64
	v_mov_b32_dpp v5, v0 row_shr:1 row_mask:0xf bank_mask:0xf
	v_cmp_eq_u32_e64 s[16:17], 0, v4
	v_cndmask_b32_e64 v5, v5, 0, s[16:17]
	v_add_u32_e32 v0, v5, v0
	v_cmp_lt_u32_e64 s[18:19], 1, v4
	v_cmp_lt_u32_e64 s[20:21], 3, v4
	v_mov_b32_dpp v5, v0 row_shr:2 row_mask:0xf bank_mask:0xf
	v_cndmask_b32_e64 v5, 0, v5, s[18:19]
	v_add_u32_e32 v0, v0, v5
	v_cmp_lt_u32_e64 s[22:23], 7, v4
	v_cmp_lt_u32_e64 s[26:27], 31, v64
	v_mov_b32_dpp v5, v0 row_shr:4 row_mask:0xf bank_mask:0xf
	v_cndmask_b32_e64 v5, 0, v5, s[20:21]
	v_add_u32_e32 v0, v0, v5
	v_and_b32_e32 v6, 16, v64
	v_cmp_eq_u32_e64 s[24:25], 0, v6
	v_mov_b32_dpp v5, v0 row_shr:8 row_mask:0xf bank_mask:0xf
	v_cndmask_b32_e64 v4, 0, v5, s[22:23]
	v_add_u32_e32 v0, v0, v4
	v_bfe_i32 v5, v64, 4, 1
	s_nop 0
	v_mov_b32_dpp v4, v0 row_bcast:15 row_mask:0xf bank_mask:0xf
	v_and_b32_e32 v4, v5, v4
	v_add_u32_e32 v0, v0, v4
	s_nop 1
	v_mov_b32_dpp v4, v0 row_bcast:31 row_mask:0xf bank_mask:0xf
	v_cndmask_b32_e64 v4, 0, v4, s[26:27]
	v_add_u32_e32 v4, v0, v4
	s_and_saveexec_b64 s[28:29], s[6:7]
	s_cbranch_execz .LBB1533_224
; %bb.223:                              ;   in Loop: Header=BB1533_12 Depth=1
	ds_write_b32 v36, v4
.LBB1533_224:                           ;   in Loop: Header=BB1533_12 Depth=1
	s_or_b64 exec, exec, s[28:29]
	v_and_b32_e32 v0, 3, v64
	s_waitcnt lgkmcnt(0)
	s_barrier
	s_and_saveexec_b64 s[28:29], s[8:9]
	s_cbranch_execz .LBB1533_226
; %bb.225:                              ;   in Loop: Header=BB1533_12 Depth=1
	ds_read_b32 v5, v37
	v_cmp_ne_u32_e32 vcc, 0, v0
	s_waitcnt lgkmcnt(0)
	v_mov_b32_dpp v6, v5 row_shr:1 row_mask:0xf bank_mask:0xf
	v_cndmask_b32_e32 v6, 0, v6, vcc
	v_add_u32_e32 v5, v6, v5
	v_cmp_lt_u32_e32 vcc, 1, v0
	s_nop 0
	v_mov_b32_dpp v6, v5 row_shr:2 row_mask:0xf bank_mask:0xf
	v_cndmask_b32_e32 v6, 0, v6, vcc
	v_add_u32_e32 v5, v5, v6
	ds_write_b32 v37, v5
.LBB1533_226:                           ;   in Loop: Header=BB1533_12 Depth=1
	s_or_b64 exec, exec, s[28:29]
	v_mov_b32_e32 v5, 0
	s_waitcnt lgkmcnt(0)
	s_barrier
	s_and_saveexec_b64 s[28:29], s[10:11]
	s_cbranch_execz .LBB1533_228
; %bb.227:                              ;   in Loop: Header=BB1533_12 Depth=1
	ds_read_b32 v5, v38
.LBB1533_228:                           ;   in Loop: Header=BB1533_12 Depth=1
	s_or_b64 exec, exec, s[28:29]
	v_add_u32_e32 v6, -1, v64
	v_and_b32_e32 v7, 64, v64
	v_cmp_lt_i32_e32 vcc, v6, v7
	v_cndmask_b32_e32 v6, v6, v64, vcc
	s_waitcnt lgkmcnt(0)
	v_add_u32_e32 v4, v5, v4
	v_lshlrev_b32_e32 v65, 2, v6
	ds_bpermute_b32 v4, v65, v4
	v_cmp_eq_u32_e64 s[28:29], 0, v64
	s_waitcnt lgkmcnt(0)
	s_barrier
	s_and_saveexec_b64 s[30:31], s[4:5]
	s_cbranch_execz .LBB1533_230
; %bb.229:                              ;   in Loop: Header=BB1533_12 Depth=1
	v_cndmask_b32_e64 v4, v4, v5, s[28:29]
	v_add_u32_e32 v4, s51, v4
	ds_write_b32 v3, v4
.LBB1533_230:                           ;   in Loop: Header=BB1533_12 Depth=1
	s_or_b64 exec, exec, s[30:31]
	s_load_dwordx2 s[30:31], s[74:75], 0x0
	s_mov_b32 s85, s71
	s_mov_b32 s72, s51
                                        ; implicit-def: $vgpr4_vgpr5
                                        ; implicit-def: $vgpr6_vgpr7
                                        ; implicit-def: $vgpr8_vgpr9
                                        ; implicit-def: $vgpr10_vgpr11
                                        ; implicit-def: $vgpr12_vgpr13
                                        ; implicit-def: $vgpr14_vgpr15
                                        ; implicit-def: $vgpr16_vgpr17
                                        ; implicit-def: $vgpr18_vgpr19
                                        ; implicit-def: $vgpr66
                                        ; implicit-def: $vgpr67
                                        ; implicit-def: $vgpr68
                                        ; implicit-def: $vgpr69
                                        ; implicit-def: $vgpr70
                                        ; implicit-def: $vgpr71
                                        ; implicit-def: $vgpr73
                                        ; implicit-def: $vgpr75
	s_waitcnt lgkmcnt(0)
	s_cmp_lt_u32 s50, s30
	s_cselect_b32 s34, 12, 18
	s_cmp_lt_u32 s33, s31
	s_cselect_b32 s30, 14, 20
	s_add_u32 s30, s74, s30
	s_addc_u32 s31, s75, 0
	s_add_u32 s34, s74, s34
	global_load_ushort v20, v1, s[30:31]
	s_addc_u32 s35, s75, 0
	global_load_ushort v21, v1, s[34:35]
	v_cmp_eq_u32_e64 s[30:31], 0, v0
	v_cmp_lt_u32_e64 s[34:35], 1, v0
	v_and_b32_e32 v0, 63, v64
	v_add_co_u32_e32 v74, vcc, v55, v0
	v_lshlrev_b32_e32 v22, 3, v0
	v_addc_co_u32_e32 v76, vcc, 0, v56, vcc
	v_add_co_u32_e32 v77, vcc, v53, v22
	v_or_b32_e32 v72, v0, v39
	v_addc_co_u32_e32 v78, vcc, 0, v54, vcc
	v_add_co_u32_e32 v86, vcc, 0x1c0, v74
	v_or_b32_e32 v79, 64, v72
	v_or_b32_e32 v80, 0x80, v72
	;; [unrolled: 1-line block ×7, first 2 shown]
	v_addc_co_u32_e32 v87, vcc, 0, v76, vcc
	s_waitcnt vmcnt(1)
	v_mad_u32_u24 v0, v40, v20, v41
	s_waitcnt vmcnt(0)
	v_mad_u64_u32 v[20:21], s[36:37], v0, v21, v[2:3]
	v_lshrrev_b32_e32 v88, 6, v20
	s_branch .LBB1533_232
.LBB1533_231:                           ;   in Loop: Header=BB1533_232 Depth=2
	s_or_b64 exec, exec, s[36:37]
	s_addk_i32 s85, 0xf800
	s_cmp_lt_u32 s86, s76
	s_mov_b32 s72, s86
	s_cbranch_scc0 .LBB1533_344
.LBB1533_232:                           ;   Parent Loop BB1533_12 Depth=1
                                        ; =>  This Inner Loop Header: Depth=2
	s_add_i32 s86, s72, 0x800
	s_cmp_gt_u32 s86, s76
	s_cbranch_scc1 .LBB1533_234
; %bb.233:                              ;   in Loop: Header=BB1533_232 Depth=2
	v_add_co_u32_e32 v20, vcc, s72, v74
	v_addc_co_u32_e32 v21, vcc, 0, v76, vcc
	global_load_ubyte v0, v[20:21], off offset:64
	global_load_ubyte v22, v[20:21], off offset:192
	;; [unrolled: 1-line block ×3, first 2 shown]
	global_load_ubyte v89, v[20:21], off
	global_load_ubyte v90, v[20:21], off offset:128
	global_load_ubyte v91, v[20:21], off offset:256
	s_nop 0
	global_load_ubyte v21, v[20:21], off offset:384
	s_mov_b64 s[36:37], -1
	s_movk_i32 s40, 0x800
	s_waitcnt vmcnt(6)
	v_lshlrev_b16_e32 v0, 8, v0
	s_waitcnt vmcnt(5)
	v_lshlrev_b16_e32 v20, 8, v22
	;; [unrolled: 2-line block ×3, first 2 shown]
	s_waitcnt vmcnt(3)
	v_or_b32_e32 v0, v89, v0
	s_waitcnt vmcnt(2)
	v_or_b32_sdwa v20, v90, v20 dst_sel:WORD_1 dst_unused:UNUSED_PAD src0_sel:DWORD src1_sel:DWORD
	s_waitcnt vmcnt(1)
	v_or_b32_e32 v22, v91, v22
	v_or_b32_sdwa v20, v0, v20 dst_sel:DWORD dst_unused:UNUSED_PAD src0_sel:WORD_0 src1_sel:DWORD
	v_and_b32_e32 v0, 0xffff, v22
	s_waitcnt vmcnt(0)
	v_lshl_or_b32 v21, v21, 16, v0
	s_cbranch_execz .LBB1533_235
	s_branch .LBB1533_244
.LBB1533_234:                           ;   in Loop: Header=BB1533_232 Depth=2
	s_mov_b64 s[36:37], 0
                                        ; implicit-def: $sgpr40
                                        ; implicit-def: $vgpr20_vgpr21
.LBB1533_235:                           ;   in Loop: Header=BB1533_232 Depth=2
	v_add_co_u32_e32 v22, vcc, s72, v74
	v_addc_co_u32_e32 v23, vcc, 0, v76, vcc
	s_mov_b32 s36, s73
	s_mov_b32 s37, s73
	v_cmp_gt_u32_e32 vcc, s85, v72
	v_pk_mov_b32 v[20:21], s[36:37], s[36:37] op_sel:[0,1]
	s_and_saveexec_b64 s[36:37], vcc
	s_cbranch_execz .LBB1533_338
; %bb.236:                              ;   in Loop: Header=BB1533_232 Depth=2
	global_load_ubyte v0, v[22:23], off
	v_mov_b32_e32 v21, s73
	s_waitcnt vmcnt(0)
	v_and_b32_e32 v20, 0xffff, v0
	s_or_b64 exec, exec, s[36:37]
	v_cmp_gt_u32_e32 vcc, s85, v79
	s_and_saveexec_b64 s[36:37], vcc
	s_cbranch_execnz .LBB1533_339
.LBB1533_237:                           ;   in Loop: Header=BB1533_232 Depth=2
	s_or_b64 exec, exec, s[36:37]
	v_cmp_gt_u32_e32 vcc, s85, v80
	s_and_saveexec_b64 s[36:37], vcc
	s_cbranch_execz .LBB1533_340
.LBB1533_238:                           ;   in Loop: Header=BB1533_232 Depth=2
	global_load_ubyte v0, v[22:23], off offset:128
	v_and_b32_sdwa v89, v20, s79 dst_sel:DWORD dst_unused:UNUSED_PAD src0_sel:WORD_1 src1_sel:DWORD
	s_waitcnt vmcnt(0)
	v_or_b32_sdwa v0, v0, v89 dst_sel:WORD_1 dst_unused:UNUSED_PAD src0_sel:DWORD src1_sel:DWORD
	v_and_or_b32 v20, v20, s77, v0
	s_or_b64 exec, exec, s[36:37]
	v_cmp_gt_u32_e32 vcc, s85, v81
	s_and_saveexec_b64 s[36:37], vcc
	s_cbranch_execnz .LBB1533_341
.LBB1533_239:                           ;   in Loop: Header=BB1533_232 Depth=2
	s_or_b64 exec, exec, s[36:37]
	v_cmp_gt_u32_e32 vcc, s85, v82
	s_and_saveexec_b64 s[36:37], vcc
	s_cbranch_execz .LBB1533_342
.LBB1533_240:                           ;   in Loop: Header=BB1533_232 Depth=2
	global_load_ubyte v0, v[22:23], off offset:256
	s_waitcnt vmcnt(0)
	v_perm_b32 v21, v0, v21, s80
	s_or_b64 exec, exec, s[36:37]
	v_cmp_gt_u32_e32 vcc, s85, v83
	s_and_saveexec_b64 s[36:37], vcc
	s_cbranch_execnz .LBB1533_343
.LBB1533_241:                           ;   in Loop: Header=BB1533_232 Depth=2
	s_or_b64 exec, exec, s[36:37]
	v_cmp_gt_u32_e32 vcc, s85, v84
	s_and_saveexec_b64 s[36:37], vcc
	s_cbranch_execz .LBB1533_243
.LBB1533_242:                           ;   in Loop: Header=BB1533_232 Depth=2
	global_load_ubyte v0, v[22:23], off offset:384
	s_waitcnt vmcnt(0)
	v_perm_b32 v21, v21, v0, s81
.LBB1533_243:                           ;   in Loop: Header=BB1533_232 Depth=2
	s_or_b64 exec, exec, s[36:37]
	s_sub_i32 s40, s76, s72
	v_cmp_gt_u32_e64 s[36:37], s85, v85
.LBB1533_244:                           ;   in Loop: Header=BB1533_232 Depth=2
	v_mov_b32_e32 v0, s85
	s_and_saveexec_b64 s[38:39], s[36:37]
	s_cbranch_execz .LBB1533_246
; %bb.245:                              ;   in Loop: Header=BB1533_232 Depth=2
	v_mov_b32_e32 v0, s73
	v_add_co_u32_e32 v22, vcc, s72, v86
	v_addc_co_u32_e32 v23, vcc, v87, v0, vcc
	global_load_ubyte v0, v[22:23], off
	s_waitcnt vmcnt(0)
	v_perm_b32 v21, v21, v0, s82
	v_mov_b32_e32 v0, s40
.LBB1533_246:                           ;   in Loop: Header=BB1533_232 Depth=2
	s_or_b64 exec, exec, s[38:39]
	v_and_b32_sdwa v22, v63, v20 dst_sel:DWORD dst_unused:UNUSED_PAD src0_sel:DWORD src1_sel:BYTE_1
	v_cmp_eq_u32_e64 s[46:47], 1, v22
	v_and_b32_sdwa v22, v63, v21 dst_sel:DWORD dst_unused:UNUSED_PAD src0_sel:DWORD src1_sel:BYTE_1
	v_cmp_eq_u32_e64 s[38:39], 1, v22
	v_and_b32_e32 v22, 0x1000000, v21
	v_cmp_ne_u32_e32 vcc, 0, v22
	v_and_b32_e32 v22, 0x10000, v21
	v_and_b32_e32 v21, 1, v21
	v_cmp_eq_u32_e64 s[40:41], 1, v21
	v_and_b32_e32 v21, 0x1000000, v20
	v_cmp_ne_u32_e64 s[42:43], 0, v21
	v_and_b32_e32 v21, 0x10000, v20
	v_and_b32_e32 v20, 1, v20
	v_cmp_eq_u32_e64 s[48:49], 1, v20
	s_xor_b64 s[48:49], s[48:49], -1
	v_add_u32_e32 v20, 0x410, v42
	v_cndmask_b32_e64 v89, 0, 1, s[48:49]
	ds_write2_b32 v20, v1, v1 offset1:1
	ds_write2_b32 v44, v1, v1 offset0:2 offset1:3
	ds_write_b32 v44, v1 offset:16
	v_lshrrev_b32_e32 v20, s83, v89
	v_and_b32_e32 v20, s84, v20
	v_cmp_ne_u32_e64 s[44:45], 0, v21
	v_mad_u32_u24 v21, v20, 5, v88
	v_cmp_ne_u32_e64 s[48:49], 0, v20
	v_add_co_u32_e64 v20, s[52:53], -1, v20
	v_lshl_add_u32 v92, v21, 2, v43
	v_addc_co_u32_e64 v21, s[52:53], 0, -1, s[52:53]
	v_xor_b32_e32 v20, s48, v20
	v_xor_b32_e32 v21, s49, v21
	v_and_b32_e32 v20, exec_lo, v20
	v_cmp_ne_u32_e64 s[36:37], 0, v22
	v_and_b32_e32 v21, exec_hi, v21
	v_mbcnt_lo_u32_b32 v22, v20, 0
	v_mbcnt_hi_u32_b32 v90, v21, v22
	v_cmp_eq_u32_e64 s[48:49], 0, v90
	v_cmp_ne_u64_e64 s[52:53], 0, v[20:21]
	s_and_b64 s[52:53], s[52:53], s[48:49]
	s_waitcnt lgkmcnt(0)
	s_barrier
	s_waitcnt lgkmcnt(0)
	; wave barrier
	s_and_saveexec_b64 s[48:49], s[52:53]
	s_cbranch_execz .LBB1533_248
; %bb.247:                              ;   in Loop: Header=BB1533_232 Depth=2
	v_bcnt_u32_b32 v20, v20, 0
	v_bcnt_u32_b32 v20, v21, v20
	ds_write_b32 v92, v20
.LBB1533_248:                           ;   in Loop: Header=BB1533_232 Depth=2
	s_or_b64 exec, exec, s[48:49]
	s_xor_b64 s[46:47], s[46:47], -1
	v_cndmask_b32_e64 v91, 0, 1, s[46:47]
	v_lshrrev_b32_e32 v20, s83, v91
	v_and_b32_e32 v20, s84, v20
	v_mul_u32_u24_e32 v21, 5, v20
	v_add_lshl_u32 v21, v21, v88, 2
	v_cmp_ne_u32_e64 s[46:47], 0, v20
	v_add_co_u32_e64 v20, s[48:49], -1, v20
	; wave barrier
	v_add_u32_e32 v95, 0x410, v21
	ds_read_b32 v93, v21 offset:1040
	v_addc_co_u32_e64 v21, s[48:49], 0, -1, s[48:49]
	v_xor_b32_e32 v20, s46, v20
	v_xor_b32_e32 v21, s47, v21
	v_and_b32_e32 v20, exec_lo, v20
	v_and_b32_e32 v21, exec_hi, v21
	v_mbcnt_lo_u32_b32 v22, v20, 0
	v_mbcnt_hi_u32_b32 v94, v21, v22
	v_cmp_eq_u32_e64 s[46:47], 0, v94
	v_cmp_ne_u64_e64 s[48:49], 0, v[20:21]
	s_and_b64 s[48:49], s[48:49], s[46:47]
	; wave barrier
	s_and_saveexec_b64 s[46:47], s[48:49]
	s_cbranch_execz .LBB1533_250
; %bb.249:                              ;   in Loop: Header=BB1533_232 Depth=2
	v_bcnt_u32_b32 v20, v20, 0
	v_bcnt_u32_b32 v20, v21, v20
	s_waitcnt lgkmcnt(0)
	v_add_u32_e32 v20, v93, v20
	ds_write_b32 v95, v20
.LBB1533_250:                           ;   in Loop: Header=BB1533_232 Depth=2
	s_or_b64 exec, exec, s[46:47]
	s_xor_b64 s[44:45], s[44:45], -1
	v_cndmask_b32_e64 v98, 0, 1, s[44:45]
	v_lshrrev_b32_e32 v20, s83, v98
	v_and_b32_e32 v20, s84, v20
	v_mul_u32_u24_e32 v21, 5, v20
	v_add_lshl_u32 v21, v21, v88, 2
	v_cmp_ne_u32_e64 s[44:45], 0, v20
	v_add_co_u32_e64 v20, s[46:47], -1, v20
	; wave barrier
	v_add_u32_e32 v96, 0x410, v21
	ds_read_b32 v99, v21 offset:1040
	v_addc_co_u32_e64 v21, s[46:47], 0, -1, s[46:47]
	v_xor_b32_e32 v20, s44, v20
	v_xor_b32_e32 v21, s45, v21
	v_and_b32_e32 v20, exec_lo, v20
	v_and_b32_e32 v21, exec_hi, v21
	v_mbcnt_lo_u32_b32 v22, v20, 0
	v_mbcnt_hi_u32_b32 v100, v21, v22
	v_cmp_eq_u32_e64 s[44:45], 0, v100
	v_cmp_ne_u64_e64 s[46:47], 0, v[20:21]
	s_and_b64 s[46:47], s[46:47], s[44:45]
	; wave barrier
	s_and_saveexec_b64 s[44:45], s[46:47]
	s_cbranch_execz .LBB1533_252
; %bb.251:                              ;   in Loop: Header=BB1533_232 Depth=2
	v_bcnt_u32_b32 v20, v20, 0
	v_bcnt_u32_b32 v20, v21, v20
	s_waitcnt lgkmcnt(0)
	v_add_u32_e32 v20, v99, v20
	ds_write_b32 v96, v20
.LBB1533_252:                           ;   in Loop: Header=BB1533_232 Depth=2
	;; [unrolled: 32-line block ×6, first 2 shown]
	s_or_b64 exec, exec, s[36:37]
	s_xor_b64 s[36:37], vcc, -1
	v_cndmask_b32_e64 v115, 0, 1, s[36:37]
	v_lshrrev_b32_e32 v20, s83, v115
	v_and_b32_e32 v20, s84, v20
	v_mul_u32_u24_e32 v21, 5, v20
	v_add_lshl_u32 v21, v21, v88, 2
	v_cmp_ne_u32_e32 vcc, 0, v20
	v_add_co_u32_e64 v20, s[36:37], -1, v20
	; wave barrier
	v_add_u32_e32 v119, 0x410, v21
	ds_read_b32 v117, v21 offset:1040
	v_addc_co_u32_e64 v21, s[36:37], 0, -1, s[36:37]
	v_xor_b32_e32 v20, vcc_lo, v20
	v_xor_b32_e32 v21, vcc_hi, v21
	v_and_b32_e32 v20, exec_lo, v20
	v_and_b32_e32 v21, exec_hi, v21
	v_mbcnt_lo_u32_b32 v22, v20, 0
	v_mbcnt_hi_u32_b32 v118, v21, v22
	v_cmp_eq_u32_e32 vcc, 0, v118
	v_cmp_ne_u64_e64 s[36:37], 0, v[20:21]
	s_and_b64 s[38:39], s[36:37], vcc
	; wave barrier
	s_and_saveexec_b64 s[36:37], s[38:39]
	s_cbranch_execz .LBB1533_262
; %bb.261:                              ;   in Loop: Header=BB1533_232 Depth=2
	v_bcnt_u32_b32 v20, v20, 0
	v_bcnt_u32_b32 v20, v21, v20
	s_waitcnt lgkmcnt(0)
	v_add_u32_e32 v20, v117, v20
	ds_write_b32 v119, v20
.LBB1533_262:                           ;   in Loop: Header=BB1533_232 Depth=2
	s_or_b64 exec, exec, s[36:37]
	; wave barrier
	s_waitcnt lgkmcnt(0)
	s_barrier
	ds_read_b32 v120, v42 offset:1040
	ds_read2_b32 v[22:23], v44 offset0:1 offset1:2
	ds_read2_b32 v[20:21], v44 offset0:3 offset1:4
	s_waitcnt lgkmcnt(1)
	v_add3_u32 v121, v22, v120, v23
	s_waitcnt lgkmcnt(0)
	v_add3_u32 v21, v121, v20, v21
	s_nop 1
	v_mov_b32_dpp v121, v21 row_shr:1 row_mask:0xf bank_mask:0xf
	v_cndmask_b32_e64 v121, v121, 0, s[16:17]
	v_add_u32_e32 v21, v121, v21
	s_nop 1
	v_mov_b32_dpp v121, v21 row_shr:2 row_mask:0xf bank_mask:0xf
	v_cndmask_b32_e64 v121, 0, v121, s[18:19]
	v_add_u32_e32 v21, v21, v121
	;; [unrolled: 4-line block ×4, first 2 shown]
	s_nop 1
	v_mov_b32_dpp v121, v21 row_bcast:15 row_mask:0xf bank_mask:0xf
	v_cndmask_b32_e64 v121, v121, 0, s[24:25]
	v_add_u32_e32 v21, v21, v121
	s_nop 1
	v_mov_b32_dpp v121, v21 row_bcast:31 row_mask:0xf bank_mask:0xf
	v_cndmask_b32_e64 v121, 0, v121, s[26:27]
	v_add_u32_e32 v21, v21, v121
	s_and_saveexec_b64 s[36:37], s[6:7]
	s_cbranch_execz .LBB1533_264
; %bb.263:                              ;   in Loop: Header=BB1533_232 Depth=2
	ds_write_b32 v35, v21 offset:1024
.LBB1533_264:                           ;   in Loop: Header=BB1533_232 Depth=2
	s_or_b64 exec, exec, s[36:37]
	s_waitcnt lgkmcnt(0)
	s_barrier
	s_and_saveexec_b64 s[36:37], s[8:9]
	s_cbranch_execz .LBB1533_266
; %bb.265:                              ;   in Loop: Header=BB1533_232 Depth=2
	v_add_u32_e32 v121, v42, v45
	ds_read_b32 v122, v121 offset:1024
	s_waitcnt lgkmcnt(0)
	s_nop 0
	v_mov_b32_dpp v123, v122 row_shr:1 row_mask:0xf bank_mask:0xf
	v_cndmask_b32_e64 v123, v123, 0, s[30:31]
	v_add_u32_e32 v122, v123, v122
	s_nop 1
	v_mov_b32_dpp v123, v122 row_shr:2 row_mask:0xf bank_mask:0xf
	v_cndmask_b32_e64 v123, 0, v123, s[34:35]
	v_add_u32_e32 v122, v122, v123
	ds_write_b32 v121, v122 offset:1024
.LBB1533_266:                           ;   in Loop: Header=BB1533_232 Depth=2
	s_or_b64 exec, exec, s[36:37]
	v_mov_b32_e32 v121, 0
	s_waitcnt lgkmcnt(0)
	s_barrier
	s_and_saveexec_b64 s[36:37], s[10:11]
	s_cbranch_execz .LBB1533_268
; %bb.267:                              ;   in Loop: Header=BB1533_232 Depth=2
	ds_read_b32 v121, v35 offset:1020
.LBB1533_268:                           ;   in Loop: Header=BB1533_232 Depth=2
	s_or_b64 exec, exec, s[36:37]
	s_waitcnt lgkmcnt(0)
	v_add_u32_e32 v21, v121, v21
	ds_bpermute_b32 v21, v65, v21
	s_waitcnt lgkmcnt(0)
	v_cndmask_b32_e64 v21, v21, v121, s[28:29]
	v_cndmask_b32_e64 v21, v21, 0, s[12:13]
	v_add_u32_e32 v120, v21, v120
	ds_write_b32 v42, v21 offset:1040
	v_add_u32_e32 v21, v120, v22
	v_add_u32_e32 v22, v21, v23
	;; [unrolled: 1-line block ×3, first 2 shown]
	ds_write2_b32 v44, v120, v21 offset0:1 offset1:2
	ds_write2_b32 v44, v22, v20 offset0:3 offset1:4
	s_waitcnt lgkmcnt(0)
	s_barrier
	ds_read_b32 v20, v95
	ds_read_b32 v21, v96
	;; [unrolled: 1-line block ×8, first 2 shown]
	ds_read_b32 v95, v42 offset:1040
	v_mov_b32_e32 v22, 0x800
	s_and_saveexec_b64 s[36:37], s[14:15]
	s_cbranch_execz .LBB1533_270
; %bb.269:                              ;   in Loop: Header=BB1533_232 Depth=2
	ds_read_b32 v22, v42 offset:1060
.LBB1533_270:                           ;   in Loop: Header=BB1533_232 Depth=2
	s_or_b64 exec, exec, s[36:37]
	s_waitcnt lgkmcnt(0)
	s_barrier
	s_and_saveexec_b64 s[36:37], s[4:5]
	s_cbranch_execz .LBB1533_272
; %bb.271:                              ;   in Loop: Header=BB1533_232 Depth=2
	ds_read_b32 v96, v3
	s_waitcnt lgkmcnt(0)
	v_sub_u32_e32 v95, v96, v95
	ds_write_b32 v3, v95
.LBB1533_272:                           ;   in Loop: Header=BB1533_232 Depth=2
	s_or_b64 exec, exec, s[36:37]
	v_add_u32_e32 v97, v92, v90
	v_add3_u32 v96, v94, v93, v20
	v_add3_u32 v95, v100, v99, v21
	;; [unrolled: 1-line block ×7, first 2 shown]
	v_cmp_lt_u32_e64 s[48:49], v2, v0
	ds_write_b8 v97, v89 offset:1024
	ds_write_b8 v96, v91 offset:1024
	;; [unrolled: 1-line block ×8, first 2 shown]
	s_waitcnt lgkmcnt(0)
	s_barrier
	s_and_saveexec_b64 s[36:37], s[48:49]
	s_cbranch_execz .LBB1533_280
; %bb.273:                              ;   in Loop: Header=BB1533_232 Depth=2
	ds_read_u8 v20, v2 offset:1024
	s_waitcnt lgkmcnt(0)
	v_and_b32_e32 v21, 1, v20
	v_lshrrev_b32_e32 v21, s83, v21
	v_and_b32_e32 v21, s84, v21
	v_lshlrev_b32_e32 v21, 2, v21
	ds_read_b32 v21, v21
	v_xor_b32_e32 v20, 1, v20
	s_waitcnt lgkmcnt(0)
	v_add_u32_e32 v21, v21, v2
	global_store_byte v21, v20, s[60:61]
	s_or_b64 exec, exec, s[36:37]
	v_cmp_lt_u32_e64 s[46:47], v24, v0
	s_and_saveexec_b64 s[36:37], s[46:47]
	s_cbranch_execnz .LBB1533_281
.LBB1533_274:                           ;   in Loop: Header=BB1533_232 Depth=2
	s_or_b64 exec, exec, s[36:37]
	v_cmp_lt_u32_e64 s[44:45], v25, v0
	s_and_saveexec_b64 s[36:37], s[44:45]
	s_cbranch_execz .LBB1533_282
.LBB1533_275:                           ;   in Loop: Header=BB1533_232 Depth=2
	ds_read_u8 v20, v30 offset:512
	s_waitcnt lgkmcnt(0)
	v_and_b32_e32 v21, 1, v20
	v_lshrrev_b32_e32 v21, s83, v21
	v_and_b32_e32 v21, s84, v21
	v_lshlrev_b32_e32 v21, 2, v21
	ds_read_b32 v21, v21
	v_xor_b32_e32 v20, 1, v20
	s_waitcnt lgkmcnt(0)
	v_add_u32_e32 v21, v21, v25
	global_store_byte v21, v20, s[60:61]
	s_or_b64 exec, exec, s[36:37]
	v_cmp_lt_u32_e64 s[42:43], v26, v0
	s_and_saveexec_b64 s[36:37], s[42:43]
	s_cbranch_execnz .LBB1533_283
.LBB1533_276:                           ;   in Loop: Header=BB1533_232 Depth=2
	s_or_b64 exec, exec, s[36:37]
	v_cmp_lt_u32_e64 s[40:41], v30, v0
	s_and_saveexec_b64 s[36:37], s[40:41]
	s_cbranch_execz .LBB1533_284
.LBB1533_277:                           ;   in Loop: Header=BB1533_232 Depth=2
	ds_read_u8 v20, v30 offset:1024
	s_waitcnt lgkmcnt(0)
	v_and_b32_e32 v21, 1, v20
	v_lshrrev_b32_e32 v21, s83, v21
	v_and_b32_e32 v21, s84, v21
	v_lshlrev_b32_e32 v21, 2, v21
	ds_read_b32 v21, v21
	v_xor_b32_e32 v20, 1, v20
	s_waitcnt lgkmcnt(0)
	v_add_u32_e32 v21, v21, v30
	global_store_byte v21, v20, s[60:61]
	s_or_b64 exec, exec, s[36:37]
	v_cmp_lt_u32_e64 s[38:39], v31, v0
	s_and_saveexec_b64 s[36:37], s[38:39]
	s_cbranch_execnz .LBB1533_285
.LBB1533_278:                           ;   in Loop: Header=BB1533_232 Depth=2
	s_or_b64 exec, exec, s[36:37]
	v_cmp_lt_u32_e64 s[36:37], v32, v0
	s_and_saveexec_b64 s[52:53], s[36:37]
	s_cbranch_execz .LBB1533_286
.LBB1533_279:                           ;   in Loop: Header=BB1533_232 Depth=2
	ds_read_u8 v20, v30 offset:1536
	s_waitcnt lgkmcnt(0)
	v_and_b32_e32 v21, 1, v20
	v_lshrrev_b32_e32 v21, s83, v21
	v_and_b32_e32 v21, s84, v21
	v_lshlrev_b32_e32 v21, 2, v21
	ds_read_b32 v21, v21
	v_xor_b32_e32 v20, 1, v20
	s_waitcnt lgkmcnt(0)
	v_add_u32_e32 v21, v21, v32
	global_store_byte v21, v20, s[60:61]
	s_or_b64 exec, exec, s[52:53]
	v_cmp_lt_u32_e32 vcc, v33, v0
	s_and_saveexec_b64 s[52:53], vcc
	s_cbranch_execnz .LBB1533_287
	s_branch .LBB1533_288
.LBB1533_280:                           ;   in Loop: Header=BB1533_232 Depth=2
	s_or_b64 exec, exec, s[36:37]
	v_cmp_lt_u32_e64 s[46:47], v24, v0
	s_and_saveexec_b64 s[36:37], s[46:47]
	s_cbranch_execz .LBB1533_274
.LBB1533_281:                           ;   in Loop: Header=BB1533_232 Depth=2
	ds_read_u8 v20, v30 offset:256
	s_waitcnt lgkmcnt(0)
	v_and_b32_e32 v21, 1, v20
	v_lshrrev_b32_e32 v21, s83, v21
	v_and_b32_e32 v21, s84, v21
	v_lshlrev_b32_e32 v21, 2, v21
	ds_read_b32 v21, v21
	v_xor_b32_e32 v20, 1, v20
	s_waitcnt lgkmcnt(0)
	v_add_u32_e32 v21, v21, v24
	global_store_byte v21, v20, s[60:61]
	s_or_b64 exec, exec, s[36:37]
	v_cmp_lt_u32_e64 s[44:45], v25, v0
	s_and_saveexec_b64 s[36:37], s[44:45]
	s_cbranch_execnz .LBB1533_275
.LBB1533_282:                           ;   in Loop: Header=BB1533_232 Depth=2
	s_or_b64 exec, exec, s[36:37]
	v_cmp_lt_u32_e64 s[42:43], v26, v0
	s_and_saveexec_b64 s[36:37], s[42:43]
	s_cbranch_execz .LBB1533_276
.LBB1533_283:                           ;   in Loop: Header=BB1533_232 Depth=2
	ds_read_u8 v20, v30 offset:768
	s_waitcnt lgkmcnt(0)
	v_and_b32_e32 v21, 1, v20
	v_lshrrev_b32_e32 v21, s83, v21
	v_and_b32_e32 v21, s84, v21
	v_lshlrev_b32_e32 v21, 2, v21
	ds_read_b32 v21, v21
	v_xor_b32_e32 v20, 1, v20
	s_waitcnt lgkmcnt(0)
	v_add_u32_e32 v21, v21, v26
	global_store_byte v21, v20, s[60:61]
	s_or_b64 exec, exec, s[36:37]
	v_cmp_lt_u32_e64 s[40:41], v30, v0
	s_and_saveexec_b64 s[36:37], s[40:41]
	s_cbranch_execnz .LBB1533_277
.LBB1533_284:                           ;   in Loop: Header=BB1533_232 Depth=2
	s_or_b64 exec, exec, s[36:37]
	v_cmp_lt_u32_e64 s[38:39], v31, v0
	s_and_saveexec_b64 s[36:37], s[38:39]
	s_cbranch_execz .LBB1533_278
.LBB1533_285:                           ;   in Loop: Header=BB1533_232 Depth=2
	ds_read_u8 v20, v30 offset:1280
	s_waitcnt lgkmcnt(0)
	v_and_b32_e32 v21, 1, v20
	v_lshrrev_b32_e32 v21, s83, v21
	v_and_b32_e32 v21, s84, v21
	v_lshlrev_b32_e32 v21, 2, v21
	ds_read_b32 v21, v21
	v_xor_b32_e32 v20, 1, v20
	s_waitcnt lgkmcnt(0)
	v_add_u32_e32 v21, v21, v31
	global_store_byte v21, v20, s[60:61]
	s_or_b64 exec, exec, s[36:37]
	v_cmp_lt_u32_e64 s[36:37], v32, v0
	s_and_saveexec_b64 s[52:53], s[36:37]
	s_cbranch_execnz .LBB1533_279
.LBB1533_286:                           ;   in Loop: Header=BB1533_232 Depth=2
	s_or_b64 exec, exec, s[52:53]
	v_cmp_lt_u32_e32 vcc, v33, v0
	s_and_saveexec_b64 s[52:53], vcc
	s_cbranch_execz .LBB1533_288
.LBB1533_287:                           ;   in Loop: Header=BB1533_232 Depth=2
	ds_read_u8 v20, v30 offset:1792
	s_waitcnt lgkmcnt(0)
	v_and_b32_e32 v21, 1, v20
	v_lshrrev_b32_e32 v21, s83, v21
	v_and_b32_e32 v21, s84, v21
	v_lshlrev_b32_e32 v21, 2, v21
	ds_read_b32 v21, v21
	v_xor_b32_e32 v20, 1, v20
	s_waitcnt lgkmcnt(0)
	v_add_u32_e32 v21, v21, v33
	global_store_byte v21, v20, s[60:61]
.LBB1533_288:                           ;   in Loop: Header=BB1533_232 Depth=2
	s_or_b64 exec, exec, s[52:53]
	s_lshl_b64 s[52:53], s[72:73], 3
	v_mov_b32_e32 v21, s53
	v_add_co_u32_e64 v20, s[52:53], s52, v77
	v_addc_co_u32_e64 v21, s[52:53], v78, v21, s[52:53]
	v_cmp_lt_u32_e64 s[52:53], v72, v0
	s_and_saveexec_b64 s[62:63], s[52:53]
	s_xor_b64 s[52:53], exec, s[62:63]
	s_cbranch_execz .LBB1533_304
; %bb.289:                              ;   in Loop: Header=BB1533_232 Depth=2
	global_load_dwordx2 v[18:19], v[20:21], off
	s_or_b64 exec, exec, s[52:53]
	v_cmp_lt_u32_e64 s[52:53], v79, v0
	s_and_saveexec_b64 s[62:63], s[52:53]
	s_cbranch_execnz .LBB1533_305
.LBB1533_290:                           ;   in Loop: Header=BB1533_232 Depth=2
	s_or_b64 exec, exec, s[62:63]
	v_cmp_lt_u32_e64 s[52:53], v80, v0
	s_and_saveexec_b64 s[62:63], s[52:53]
	s_cbranch_execz .LBB1533_306
.LBB1533_291:                           ;   in Loop: Header=BB1533_232 Depth=2
	global_load_dwordx2 v[14:15], v[20:21], off offset:1024
	s_or_b64 exec, exec, s[62:63]
	v_cmp_lt_u32_e64 s[52:53], v81, v0
	s_and_saveexec_b64 s[62:63], s[52:53]
	s_cbranch_execnz .LBB1533_307
.LBB1533_292:                           ;   in Loop: Header=BB1533_232 Depth=2
	s_or_b64 exec, exec, s[62:63]
	v_cmp_lt_u32_e64 s[52:53], v82, v0
	s_and_saveexec_b64 s[62:63], s[52:53]
	s_cbranch_execz .LBB1533_308
.LBB1533_293:                           ;   in Loop: Header=BB1533_232 Depth=2
	global_load_dwordx2 v[10:11], v[20:21], off offset:2048
	s_or_b64 exec, exec, s[62:63]
	v_cmp_lt_u32_e64 s[52:53], v83, v0
	s_and_saveexec_b64 s[62:63], s[52:53]
	s_cbranch_execnz .LBB1533_309
.LBB1533_294:                           ;   in Loop: Header=BB1533_232 Depth=2
	s_or_b64 exec, exec, s[62:63]
	v_cmp_lt_u32_e64 s[52:53], v84, v0
	s_and_saveexec_b64 s[62:63], s[52:53]
	s_cbranch_execz .LBB1533_310
.LBB1533_295:                           ;   in Loop: Header=BB1533_232 Depth=2
	global_load_dwordx2 v[6:7], v[20:21], off offset:3072
	s_or_b64 exec, exec, s[62:63]
	v_cmp_lt_u32_e64 s[52:53], v85, v0
	s_and_saveexec_b64 s[62:63], s[52:53]
	s_cbranch_execnz .LBB1533_311
.LBB1533_296:                           ;   in Loop: Header=BB1533_232 Depth=2
	s_or_b64 exec, exec, s[62:63]
	s_and_saveexec_b64 s[52:53], s[48:49]
	s_cbranch_execz .LBB1533_312
.LBB1533_297:                           ;   in Loop: Header=BB1533_232 Depth=2
	ds_read_u8 v0, v2 offset:1024
	s_waitcnt lgkmcnt(0)
	v_lshrrev_b32_e32 v0, s83, v0
	v_and_b32_e32 v75, s84, v0
	s_or_b64 exec, exec, s[52:53]
	s_and_saveexec_b64 s[52:53], s[46:47]
	s_cbranch_execnz .LBB1533_313
.LBB1533_298:                           ;   in Loop: Header=BB1533_232 Depth=2
	s_or_b64 exec, exec, s[52:53]
	s_and_saveexec_b64 s[52:53], s[44:45]
	s_cbranch_execz .LBB1533_314
.LBB1533_299:                           ;   in Loop: Header=BB1533_232 Depth=2
	ds_read_u8 v0, v30 offset:512
	s_waitcnt lgkmcnt(0)
	v_lshrrev_b32_e32 v0, s83, v0
	v_and_b32_e32 v71, s84, v0
	s_or_b64 exec, exec, s[52:53]
	s_and_saveexec_b64 s[52:53], s[42:43]
	s_cbranch_execnz .LBB1533_315
.LBB1533_300:                           ;   in Loop: Header=BB1533_232 Depth=2
	s_or_b64 exec, exec, s[52:53]
	s_and_saveexec_b64 s[52:53], s[40:41]
	s_cbranch_execz .LBB1533_316
.LBB1533_301:                           ;   in Loop: Header=BB1533_232 Depth=2
	ds_read_u8 v0, v30 offset:1024
	s_waitcnt lgkmcnt(0)
	v_lshrrev_b32_e32 v0, s83, v0
	v_and_b32_e32 v69, s84, v0
	s_or_b64 exec, exec, s[52:53]
	s_and_saveexec_b64 s[52:53], s[38:39]
	s_cbranch_execnz .LBB1533_317
.LBB1533_302:                           ;   in Loop: Header=BB1533_232 Depth=2
	s_or_b64 exec, exec, s[52:53]
	s_and_saveexec_b64 s[52:53], s[36:37]
	s_cbranch_execz .LBB1533_318
.LBB1533_303:                           ;   in Loop: Header=BB1533_232 Depth=2
	ds_read_u8 v0, v30 offset:1536
	s_waitcnt lgkmcnt(0)
	v_lshrrev_b32_e32 v0, s83, v0
	v_and_b32_e32 v67, s84, v0
	s_or_b64 exec, exec, s[52:53]
	s_and_saveexec_b64 s[52:53], vcc
	s_cbranch_execnz .LBB1533_319
	s_branch .LBB1533_320
.LBB1533_304:                           ;   in Loop: Header=BB1533_232 Depth=2
	s_or_b64 exec, exec, s[52:53]
	v_cmp_lt_u32_e64 s[52:53], v79, v0
	s_and_saveexec_b64 s[62:63], s[52:53]
	s_cbranch_execz .LBB1533_290
.LBB1533_305:                           ;   in Loop: Header=BB1533_232 Depth=2
	global_load_dwordx2 v[16:17], v[20:21], off offset:512
	s_or_b64 exec, exec, s[62:63]
	v_cmp_lt_u32_e64 s[52:53], v80, v0
	s_and_saveexec_b64 s[62:63], s[52:53]
	s_cbranch_execnz .LBB1533_291
.LBB1533_306:                           ;   in Loop: Header=BB1533_232 Depth=2
	s_or_b64 exec, exec, s[62:63]
	v_cmp_lt_u32_e64 s[52:53], v81, v0
	s_and_saveexec_b64 s[62:63], s[52:53]
	s_cbranch_execz .LBB1533_292
.LBB1533_307:                           ;   in Loop: Header=BB1533_232 Depth=2
	global_load_dwordx2 v[12:13], v[20:21], off offset:1536
	s_or_b64 exec, exec, s[62:63]
	v_cmp_lt_u32_e64 s[52:53], v82, v0
	s_and_saveexec_b64 s[62:63], s[52:53]
	s_cbranch_execnz .LBB1533_293
.LBB1533_308:                           ;   in Loop: Header=BB1533_232 Depth=2
	s_or_b64 exec, exec, s[62:63]
	v_cmp_lt_u32_e64 s[52:53], v83, v0
	s_and_saveexec_b64 s[62:63], s[52:53]
	s_cbranch_execz .LBB1533_294
.LBB1533_309:                           ;   in Loop: Header=BB1533_232 Depth=2
	global_load_dwordx2 v[8:9], v[20:21], off offset:2560
	s_or_b64 exec, exec, s[62:63]
	v_cmp_lt_u32_e64 s[52:53], v84, v0
	s_and_saveexec_b64 s[62:63], s[52:53]
	s_cbranch_execnz .LBB1533_295
.LBB1533_310:                           ;   in Loop: Header=BB1533_232 Depth=2
	s_or_b64 exec, exec, s[62:63]
	v_cmp_lt_u32_e64 s[52:53], v85, v0
	s_and_saveexec_b64 s[62:63], s[52:53]
	s_cbranch_execz .LBB1533_296
.LBB1533_311:                           ;   in Loop: Header=BB1533_232 Depth=2
	global_load_dwordx2 v[4:5], v[20:21], off offset:3584
	s_or_b64 exec, exec, s[62:63]
	s_and_saveexec_b64 s[52:53], s[48:49]
	s_cbranch_execnz .LBB1533_297
.LBB1533_312:                           ;   in Loop: Header=BB1533_232 Depth=2
	s_or_b64 exec, exec, s[52:53]
	s_and_saveexec_b64 s[52:53], s[46:47]
	s_cbranch_execz .LBB1533_298
.LBB1533_313:                           ;   in Loop: Header=BB1533_232 Depth=2
	ds_read_u8 v0, v30 offset:256
	s_waitcnt lgkmcnt(0)
	v_lshrrev_b32_e32 v0, s83, v0
	v_and_b32_e32 v73, s84, v0
	s_or_b64 exec, exec, s[52:53]
	s_and_saveexec_b64 s[52:53], s[44:45]
	s_cbranch_execnz .LBB1533_299
.LBB1533_314:                           ;   in Loop: Header=BB1533_232 Depth=2
	s_or_b64 exec, exec, s[52:53]
	s_and_saveexec_b64 s[52:53], s[42:43]
	s_cbranch_execz .LBB1533_300
.LBB1533_315:                           ;   in Loop: Header=BB1533_232 Depth=2
	ds_read_u8 v0, v30 offset:768
	s_waitcnt lgkmcnt(0)
	v_lshrrev_b32_e32 v0, s83, v0
	v_and_b32_e32 v70, s84, v0
	s_or_b64 exec, exec, s[52:53]
	s_and_saveexec_b64 s[52:53], s[40:41]
	s_cbranch_execnz .LBB1533_301
.LBB1533_316:                           ;   in Loop: Header=BB1533_232 Depth=2
	s_or_b64 exec, exec, s[52:53]
	s_and_saveexec_b64 s[52:53], s[38:39]
	s_cbranch_execz .LBB1533_302
.LBB1533_317:                           ;   in Loop: Header=BB1533_232 Depth=2
	ds_read_u8 v0, v30 offset:1280
	s_waitcnt lgkmcnt(0)
	v_lshrrev_b32_e32 v0, s83, v0
	v_and_b32_e32 v68, s84, v0
	s_or_b64 exec, exec, s[52:53]
	s_and_saveexec_b64 s[52:53], s[36:37]
	s_cbranch_execnz .LBB1533_303
.LBB1533_318:                           ;   in Loop: Header=BB1533_232 Depth=2
	s_or_b64 exec, exec, s[52:53]
	s_and_saveexec_b64 s[52:53], vcc
	s_cbranch_execz .LBB1533_320
.LBB1533_319:                           ;   in Loop: Header=BB1533_232 Depth=2
	ds_read_u8 v0, v30 offset:1792
	s_waitcnt lgkmcnt(0)
	v_lshrrev_b32_e32 v0, s83, v0
	v_and_b32_e32 v66, s84, v0
.LBB1533_320:                           ;   in Loop: Header=BB1533_232 Depth=2
	s_or_b64 exec, exec, s[52:53]
	v_lshlrev_b32_e32 v0, 3, v97
	s_barrier
	s_waitcnt vmcnt(0)
	ds_write_b64 v0, v[18:19] offset:1024
	v_lshlrev_b32_e32 v0, 3, v96
	ds_write_b64 v0, v[16:17] offset:1024
	v_lshlrev_b32_e32 v0, 3, v95
	;; [unrolled: 2-line block ×7, first 2 shown]
	ds_write_b64 v0, v[4:5] offset:1024
	s_waitcnt lgkmcnt(0)
	s_barrier
	s_and_saveexec_b64 s[52:53], s[48:49]
	s_cbranch_execz .LBB1533_328
; %bb.321:                              ;   in Loop: Header=BB1533_232 Depth=2
	v_lshlrev_b32_e32 v0, 2, v75
	ds_read_b32 v0, v0
	v_add_u32_e32 v20, v2, v50
	ds_read_b64 v[20:21], v20 offset:1024
	v_mov_b32_e32 v23, s67
	s_waitcnt lgkmcnt(1)
	v_add_u32_e32 v0, v0, v2
	v_lshlrev_b64 v[90:91], 3, v[0:1]
	v_add_co_u32_e64 v90, s[48:49], s66, v90
	v_addc_co_u32_e64 v91, s[48:49], v23, v91, s[48:49]
	s_waitcnt lgkmcnt(0)
	global_store_dwordx2 v[90:91], v[20:21], off
	s_or_b64 exec, exec, s[52:53]
	s_and_saveexec_b64 s[48:49], s[46:47]
	s_cbranch_execnz .LBB1533_329
.LBB1533_322:                           ;   in Loop: Header=BB1533_232 Depth=2
	s_or_b64 exec, exec, s[48:49]
	s_and_saveexec_b64 s[46:47], s[44:45]
	s_cbranch_execz .LBB1533_330
.LBB1533_323:                           ;   in Loop: Header=BB1533_232 Depth=2
	v_lshlrev_b32_e32 v0, 2, v71
	ds_read_b32 v0, v0
	v_add_u32_e32 v20, v30, v50
	ds_read_b64 v[20:21], v20 offset:4096
	v_mov_b32_e32 v23, s67
	s_waitcnt lgkmcnt(1)
	v_add_u32_e32 v0, v0, v25
	v_lshlrev_b64 v[90:91], 3, v[0:1]
	v_add_co_u32_e64 v90, s[44:45], s66, v90
	v_addc_co_u32_e64 v91, s[44:45], v23, v91, s[44:45]
	s_waitcnt lgkmcnt(0)
	global_store_dwordx2 v[90:91], v[20:21], off
	s_or_b64 exec, exec, s[46:47]
	s_and_saveexec_b64 s[44:45], s[42:43]
	s_cbranch_execnz .LBB1533_331
.LBB1533_324:                           ;   in Loop: Header=BB1533_232 Depth=2
	s_or_b64 exec, exec, s[44:45]
	s_and_saveexec_b64 s[42:43], s[40:41]
	s_cbranch_execz .LBB1533_332
.LBB1533_325:                           ;   in Loop: Header=BB1533_232 Depth=2
	v_lshlrev_b32_e32 v0, 2, v69
	ds_read_b32 v0, v0
	v_add_u32_e32 v20, v30, v50
	ds_read_b64 v[20:21], v20 offset:8192
	v_mov_b32_e32 v23, s67
	s_waitcnt lgkmcnt(1)
	v_add_u32_e32 v0, v0, v30
	v_lshlrev_b64 v[90:91], 3, v[0:1]
	v_add_co_u32_e64 v90, s[40:41], s66, v90
	v_addc_co_u32_e64 v91, s[40:41], v23, v91, s[40:41]
	s_waitcnt lgkmcnt(0)
	global_store_dwordx2 v[90:91], v[20:21], off
	s_or_b64 exec, exec, s[42:43]
	s_and_saveexec_b64 s[40:41], s[38:39]
	s_cbranch_execnz .LBB1533_333
.LBB1533_326:                           ;   in Loop: Header=BB1533_232 Depth=2
	s_or_b64 exec, exec, s[40:41]
	s_and_saveexec_b64 s[38:39], s[36:37]
	s_cbranch_execz .LBB1533_334
.LBB1533_327:                           ;   in Loop: Header=BB1533_232 Depth=2
	v_lshlrev_b32_e32 v0, 2, v67
	ds_read_b32 v0, v0
	v_add_u32_e32 v20, v30, v50
	ds_read_b64 v[20:21], v20 offset:12288
	v_mov_b32_e32 v23, s67
	s_waitcnt lgkmcnt(1)
	v_add_u32_e32 v0, v0, v32
	v_lshlrev_b64 v[90:91], 3, v[0:1]
	v_add_co_u32_e64 v90, s[36:37], s66, v90
	v_addc_co_u32_e64 v91, s[36:37], v23, v91, s[36:37]
	s_waitcnt lgkmcnt(0)
	global_store_dwordx2 v[90:91], v[20:21], off
	s_or_b64 exec, exec, s[38:39]
	s_and_saveexec_b64 s[36:37], vcc
	s_cbranch_execnz .LBB1533_335
	s_branch .LBB1533_336
.LBB1533_328:                           ;   in Loop: Header=BB1533_232 Depth=2
	s_or_b64 exec, exec, s[52:53]
	s_and_saveexec_b64 s[48:49], s[46:47]
	s_cbranch_execz .LBB1533_322
.LBB1533_329:                           ;   in Loop: Header=BB1533_232 Depth=2
	v_lshlrev_b32_e32 v0, 2, v73
	ds_read_b32 v0, v0
	v_add_u32_e32 v20, v30, v50
	ds_read_b64 v[20:21], v20 offset:2048
	v_mov_b32_e32 v23, s67
	s_waitcnt lgkmcnt(1)
	v_add_u32_e32 v0, v0, v24
	v_lshlrev_b64 v[90:91], 3, v[0:1]
	v_add_co_u32_e64 v90, s[46:47], s66, v90
	v_addc_co_u32_e64 v91, s[46:47], v23, v91, s[46:47]
	s_waitcnt lgkmcnt(0)
	global_store_dwordx2 v[90:91], v[20:21], off
	s_or_b64 exec, exec, s[48:49]
	s_and_saveexec_b64 s[46:47], s[44:45]
	s_cbranch_execnz .LBB1533_323
.LBB1533_330:                           ;   in Loop: Header=BB1533_232 Depth=2
	s_or_b64 exec, exec, s[46:47]
	s_and_saveexec_b64 s[44:45], s[42:43]
	s_cbranch_execz .LBB1533_324
.LBB1533_331:                           ;   in Loop: Header=BB1533_232 Depth=2
	v_lshlrev_b32_e32 v0, 2, v70
	ds_read_b32 v0, v0
	v_add_u32_e32 v20, v30, v50
	ds_read_b64 v[20:21], v20 offset:6144
	v_mov_b32_e32 v23, s67
	s_waitcnt lgkmcnt(1)
	v_add_u32_e32 v0, v0, v26
	v_lshlrev_b64 v[90:91], 3, v[0:1]
	v_add_co_u32_e64 v90, s[42:43], s66, v90
	v_addc_co_u32_e64 v91, s[42:43], v23, v91, s[42:43]
	s_waitcnt lgkmcnt(0)
	global_store_dwordx2 v[90:91], v[20:21], off
	s_or_b64 exec, exec, s[44:45]
	s_and_saveexec_b64 s[42:43], s[40:41]
	s_cbranch_execnz .LBB1533_325
.LBB1533_332:                           ;   in Loop: Header=BB1533_232 Depth=2
	s_or_b64 exec, exec, s[42:43]
	s_and_saveexec_b64 s[40:41], s[38:39]
	s_cbranch_execz .LBB1533_326
.LBB1533_333:                           ;   in Loop: Header=BB1533_232 Depth=2
	v_lshlrev_b32_e32 v0, 2, v68
	ds_read_b32 v0, v0
	v_add_u32_e32 v20, v30, v50
	ds_read_b64 v[20:21], v20 offset:10240
	v_mov_b32_e32 v23, s67
	s_waitcnt lgkmcnt(1)
	v_add_u32_e32 v0, v0, v31
	v_lshlrev_b64 v[90:91], 3, v[0:1]
	v_add_co_u32_e64 v90, s[38:39], s66, v90
	v_addc_co_u32_e64 v91, s[38:39], v23, v91, s[38:39]
	s_waitcnt lgkmcnt(0)
	global_store_dwordx2 v[90:91], v[20:21], off
	s_or_b64 exec, exec, s[40:41]
	s_and_saveexec_b64 s[38:39], s[36:37]
	s_cbranch_execnz .LBB1533_327
.LBB1533_334:                           ;   in Loop: Header=BB1533_232 Depth=2
	s_or_b64 exec, exec, s[38:39]
	s_and_saveexec_b64 s[36:37], vcc
	s_cbranch_execz .LBB1533_336
.LBB1533_335:                           ;   in Loop: Header=BB1533_232 Depth=2
	v_lshlrev_b32_e32 v0, 2, v66
	ds_read_b32 v0, v0
	v_add_u32_e32 v20, v30, v50
	ds_read_b64 v[20:21], v20 offset:14336
	v_mov_b32_e32 v23, s67
	s_waitcnt lgkmcnt(1)
	v_add_u32_e32 v0, v0, v33
	v_lshlrev_b64 v[90:91], 3, v[0:1]
	v_add_co_u32_e32 v90, vcc, s66, v90
	v_addc_co_u32_e32 v91, vcc, v23, v91, vcc
	s_waitcnt lgkmcnt(0)
	global_store_dwordx2 v[90:91], v[20:21], off
.LBB1533_336:                           ;   in Loop: Header=BB1533_232 Depth=2
	s_or_b64 exec, exec, s[36:37]
	s_barrier
	s_and_saveexec_b64 s[36:37], s[4:5]
	s_cbranch_execz .LBB1533_231
; %bb.337:                              ;   in Loop: Header=BB1533_232 Depth=2
	ds_read_b32 v0, v3
	s_waitcnt lgkmcnt(0)
	v_add_u32_e32 v0, v0, v22
	ds_write_b32 v3, v0
	s_branch .LBB1533_231
.LBB1533_338:                           ;   in Loop: Header=BB1533_232 Depth=2
	s_or_b64 exec, exec, s[36:37]
	v_cmp_gt_u32_e32 vcc, s85, v79
	s_and_saveexec_b64 s[36:37], vcc
	s_cbranch_execz .LBB1533_237
.LBB1533_339:                           ;   in Loop: Header=BB1533_232 Depth=2
	global_load_ubyte v0, v[22:23], off offset:64
	s_waitcnt vmcnt(0)
	v_perm_b32 v20, v20, v0, s78
	s_or_b64 exec, exec, s[36:37]
	v_cmp_gt_u32_e32 vcc, s85, v80
	s_and_saveexec_b64 s[36:37], vcc
	s_cbranch_execnz .LBB1533_238
.LBB1533_340:                           ;   in Loop: Header=BB1533_232 Depth=2
	s_or_b64 exec, exec, s[36:37]
	v_cmp_gt_u32_e32 vcc, s85, v81
	s_and_saveexec_b64 s[36:37], vcc
	s_cbranch_execz .LBB1533_239
.LBB1533_341:                           ;   in Loop: Header=BB1533_232 Depth=2
	global_load_ubyte v0, v[22:23], off offset:192
	v_and_b32_sdwa v89, v20, s68 dst_sel:DWORD dst_unused:UNUSED_PAD src0_sel:WORD_1 src1_sel:DWORD
	s_waitcnt vmcnt(0)
	v_lshlrev_b16_e32 v0, 8, v0
	v_or_b32_sdwa v0, v89, v0 dst_sel:WORD_1 dst_unused:UNUSED_PAD src0_sel:DWORD src1_sel:DWORD
	v_and_or_b32 v20, v20, s77, v0
	s_or_b64 exec, exec, s[36:37]
	v_cmp_gt_u32_e32 vcc, s85, v82
	s_and_saveexec_b64 s[36:37], vcc
	s_cbranch_execnz .LBB1533_240
.LBB1533_342:                           ;   in Loop: Header=BB1533_232 Depth=2
	s_or_b64 exec, exec, s[36:37]
	v_cmp_gt_u32_e32 vcc, s85, v83
	s_and_saveexec_b64 s[36:37], vcc
	s_cbranch_execz .LBB1533_241
.LBB1533_343:                           ;   in Loop: Header=BB1533_232 Depth=2
	global_load_ubyte v0, v[22:23], off offset:320
	s_waitcnt vmcnt(0)
	v_perm_b32 v21, v21, v0, s78
	s_or_b64 exec, exec, s[36:37]
	v_cmp_gt_u32_e32 vcc, s85, v84
	s_and_saveexec_b64 s[36:37], vcc
	s_cbranch_execnz .LBB1533_242
	s_branch .LBB1533_243
.LBB1533_344:                           ;   in Loop: Header=BB1533_12 Depth=1
	s_waitcnt lgkmcnt(0)
	s_barrier
.LBB1533_345:                           ;   in Loop: Header=BB1533_12 Depth=1
	s_mov_b64 s[16:17], 0
.LBB1533_346:                           ;   in Loop: Header=BB1533_12 Depth=1
	s_andn2_b64 vcc, exec, s[16:17]
	s_cbranch_vccnz .LBB1533_11
; %bb.347:                              ;   in Loop: Header=BB1533_12 Depth=1
	s_mov_b64 s[16:17], -1
	s_and_b64 vcc, exec, s[54:55]
	s_cbranch_vccz .LBB1533_513
; %bb.348:                              ;   in Loop: Header=BB1533_12 Depth=1
	s_mov_b32 s20, s71
	s_mov_b32 s22, s51
	s_barrier
	s_waitcnt lgkmcnt(0)
                                        ; implicit-def: $vgpr0
                                        ; implicit-def: $vgpr6
                                        ; implicit-def: $vgpr7
                                        ; implicit-def: $vgpr8
                                        ; implicit-def: $vgpr9
                                        ; implicit-def: $vgpr10
                                        ; implicit-def: $vgpr11
                                        ; implicit-def: $vgpr12
	s_branch .LBB1533_350
.LBB1533_349:                           ;   in Loop: Header=BB1533_350 Depth=2
	s_or_b64 exec, exec, s[16:17]
	s_addk_i32 s20, 0xf800
	s_cmp_ge_u32 s21, s76
	s_mov_b32 s22, s21
	s_cbranch_scc1 .LBB1533_388
.LBB1533_350:                           ;   Parent Loop BB1533_12 Depth=1
                                        ; =>  This Inner Loop Header: Depth=2
	s_add_i32 s21, s22, 0x800
	s_cmp_gt_u32 s21, s76
	s_cbranch_scc1 .LBB1533_353
; %bb.351:                              ;   in Loop: Header=BB1533_350 Depth=2
	v_add_co_u32_e32 v4, vcc, s22, v57
	v_addc_co_u32_e32 v5, vcc, 0, v58, vcc
	global_load_ubyte v20, v[4:5], off offset:1536
	global_load_ubyte v19, v[4:5], off offset:1280
	;; [unrolled: 1-line block ×6, first 2 shown]
	global_load_ubyte v14, v[4:5], off
	v_add_co_u32_e32 v4, vcc, 0x700, v4
	v_addc_co_u32_e32 v5, vcc, 0, v5, vcc
	s_mov_b64 s[16:17], -1
	s_movk_i32 s25, 0x800
	s_cbranch_execz .LBB1533_354
; %bb.352:                              ;   in Loop: Header=BB1533_350 Depth=2
                                        ; implicit-def: $vgpr0
                                        ; implicit-def: $vgpr6
                                        ; implicit-def: $vgpr7
                                        ; implicit-def: $vgpr8
                                        ; implicit-def: $vgpr9
                                        ; implicit-def: $vgpr10
                                        ; implicit-def: $vgpr11
                                        ; implicit-def: $vgpr12
	v_mov_b32_e32 v13, s20
	s_and_saveexec_b64 s[18:19], s[16:17]
	s_cbranch_execnz .LBB1533_365
	s_branch .LBB1533_366
.LBB1533_353:                           ;   in Loop: Header=BB1533_350 Depth=2
	s_mov_b64 s[16:17], 0
                                        ; implicit-def: $sgpr25
                                        ; implicit-def: $vgpr14
                                        ; implicit-def: $vgpr15
                                        ; implicit-def: $vgpr16
                                        ; implicit-def: $vgpr17
                                        ; implicit-def: $vgpr18
                                        ; implicit-def: $vgpr19
                                        ; implicit-def: $vgpr20
                                        ; implicit-def: $vgpr4_vgpr5
.LBB1533_354:                           ;   in Loop: Header=BB1533_350 Depth=2
	s_add_u32 s23, s56, s22
	s_addc_u32 s24, s57, 0
	v_cmp_gt_u32_e32 vcc, s20, v2
	s_and_saveexec_b64 s[18:19], vcc
	s_cbranch_execz .LBB1533_382
; %bb.355:                              ;   in Loop: Header=BB1533_350 Depth=2
	v_mov_b32_e32 v0, s24
	v_add_co_u32_e32 v4, vcc, s23, v2
	v_addc_co_u32_e32 v5, vcc, 0, v0, vcc
	global_load_ubyte v0, v[4:5], off
	s_or_b64 exec, exec, s[18:19]
	v_cmp_gt_u32_e32 vcc, s20, v24
	s_and_saveexec_b64 s[18:19], vcc
	s_cbranch_execnz .LBB1533_383
.LBB1533_356:                           ;   in Loop: Header=BB1533_350 Depth=2
	s_or_b64 exec, exec, s[18:19]
	v_cmp_gt_u32_e32 vcc, s20, v25
	s_and_saveexec_b64 s[18:19], vcc
	s_cbranch_execz .LBB1533_384
.LBB1533_357:                           ;   in Loop: Header=BB1533_350 Depth=2
	v_mov_b32_e32 v5, s24
	v_add_co_u32_e32 v4, vcc, s23, v2
	v_addc_co_u32_e32 v5, vcc, 0, v5, vcc
	global_load_ubyte v7, v[4:5], off offset:512
	s_or_b64 exec, exec, s[18:19]
	v_cmp_gt_u32_e32 vcc, s20, v26
	s_and_saveexec_b64 s[18:19], vcc
	s_cbranch_execnz .LBB1533_385
.LBB1533_358:                           ;   in Loop: Header=BB1533_350 Depth=2
	s_or_b64 exec, exec, s[18:19]
	v_cmp_gt_u32_e32 vcc, s20, v30
	s_and_saveexec_b64 s[18:19], vcc
	s_cbranch_execz .LBB1533_386
.LBB1533_359:                           ;   in Loop: Header=BB1533_350 Depth=2
	v_mov_b32_e32 v5, s24
	v_add_co_u32_e32 v4, vcc, s23, v2
	v_addc_co_u32_e32 v5, vcc, 0, v5, vcc
	global_load_ubyte v9, v[4:5], off offset:1024
	s_or_b64 exec, exec, s[18:19]
	v_cmp_gt_u32_e32 vcc, s20, v31
	s_and_saveexec_b64 s[18:19], vcc
	s_cbranch_execnz .LBB1533_387
.LBB1533_360:                           ;   in Loop: Header=BB1533_350 Depth=2
	s_or_b64 exec, exec, s[18:19]
	v_cmp_gt_u32_e32 vcc, s20, v32
	s_and_saveexec_b64 s[18:19], vcc
	s_cbranch_execz .LBB1533_362
.LBB1533_361:                           ;   in Loop: Header=BB1533_350 Depth=2
	v_mov_b32_e32 v5, s24
	v_add_co_u32_e32 v4, vcc, s23, v2
	v_addc_co_u32_e32 v5, vcc, 0, v5, vcc
	global_load_ubyte v11, v[4:5], off offset:1536
.LBB1533_362:                           ;   in Loop: Header=BB1533_350 Depth=2
	s_or_b64 exec, exec, s[18:19]
	v_cmp_gt_u32_e32 vcc, s20, v33
                                        ; implicit-def: $sgpr25
                                        ; implicit-def: $vgpr4_vgpr5
	s_and_saveexec_b64 s[18:19], vcc
	s_cbranch_execz .LBB1533_364
; %bb.363:                              ;   in Loop: Header=BB1533_350 Depth=2
	v_mov_b32_e32 v4, s24
	v_add_co_u32_e32 v5, vcc, s23, v2
	s_waitcnt vmcnt(0)
	v_addc_co_u32_e32 v12, vcc, 0, v4, vcc
	v_add_co_u32_e32 v4, vcc, 0x700, v5
	s_sub_i32 s25, s76, s22
	v_addc_co_u32_e32 v5, vcc, 0, v12, vcc
	s_or_b64 s[16:17], s[16:17], exec
                                        ; implicit-def: $vgpr12
.LBB1533_364:                           ;   in Loop: Header=BB1533_350 Depth=2
	s_or_b64 exec, exec, s[18:19]
	s_waitcnt vmcnt(0)
	v_mov_b32_e32 v14, v0
	v_mov_b32_e32 v15, v6
	;; [unrolled: 1-line block ×8, first 2 shown]
	s_and_saveexec_b64 s[18:19], s[16:17]
	s_cbranch_execz .LBB1533_366
.LBB1533_365:                           ;   in Loop: Header=BB1533_350 Depth=2
	global_load_ubyte v12, v[4:5], off
	v_mov_b32_e32 v13, s25
	s_waitcnt vmcnt(1)
	v_mov_b32_e32 v0, v14
	v_mov_b32_e32 v6, v15
	;; [unrolled: 1-line block ×7, first 2 shown]
.LBB1533_366:                           ;   in Loop: Header=BB1533_350 Depth=2
	s_or_b64 exec, exec, s[18:19]
	v_cmp_lt_u32_e32 vcc, v2, v13
	s_and_saveexec_b64 s[16:17], vcc
	s_cbranch_execz .LBB1533_374
; %bb.367:                              ;   in Loop: Header=BB1533_350 Depth=2
	v_xor_b32_e32 v4, -1, v0
	v_and_b32_e32 v4, 1, v4
	v_lshrrev_b32_sdwa v4, s69, v4 dst_sel:DWORD dst_unused:UNUSED_PAD src0_sel:DWORD src1_sel:WORD_0
	v_and_b32_e32 v4, s84, v4
	v_lshlrev_b32_e32 v5, 2, v27
	v_lshl_or_b32 v4, v4, 4, v5
	ds_add_u32 v4, v63
	s_or_b64 exec, exec, s[16:17]
	v_cmp_lt_u32_e32 vcc, v24, v13
	s_and_saveexec_b64 s[16:17], vcc
	s_cbranch_execnz .LBB1533_375
.LBB1533_368:                           ;   in Loop: Header=BB1533_350 Depth=2
	s_or_b64 exec, exec, s[16:17]
	v_cmp_lt_u32_e32 vcc, v25, v13
	s_and_saveexec_b64 s[16:17], vcc
	s_cbranch_execz .LBB1533_376
.LBB1533_369:                           ;   in Loop: Header=BB1533_350 Depth=2
	v_xor_b32_e32 v4, -1, v7
	v_and_b32_e32 v4, 1, v4
	v_lshrrev_b32_sdwa v4, s69, v4 dst_sel:DWORD dst_unused:UNUSED_PAD src0_sel:DWORD src1_sel:WORD_0
	v_and_b32_e32 v4, s84, v4
	v_lshlrev_b32_e32 v5, 2, v27
	v_lshl_or_b32 v4, v4, 4, v5
	ds_add_u32 v4, v63
	s_or_b64 exec, exec, s[16:17]
	v_cmp_lt_u32_e32 vcc, v26, v13
	s_and_saveexec_b64 s[16:17], vcc
	s_cbranch_execnz .LBB1533_377
.LBB1533_370:                           ;   in Loop: Header=BB1533_350 Depth=2
	s_or_b64 exec, exec, s[16:17]
	v_cmp_lt_u32_e32 vcc, v30, v13
	s_and_saveexec_b64 s[16:17], vcc
	s_cbranch_execz .LBB1533_378
.LBB1533_371:                           ;   in Loop: Header=BB1533_350 Depth=2
	v_xor_b32_e32 v4, -1, v9
	v_and_b32_e32 v4, 1, v4
	v_lshrrev_b32_sdwa v4, s69, v4 dst_sel:DWORD dst_unused:UNUSED_PAD src0_sel:DWORD src1_sel:WORD_0
	v_and_b32_e32 v4, s84, v4
	v_lshlrev_b32_e32 v5, 2, v27
	v_lshl_or_b32 v4, v4, 4, v5
	ds_add_u32 v4, v63
	s_or_b64 exec, exec, s[16:17]
	v_cmp_lt_u32_e32 vcc, v31, v13
	s_and_saveexec_b64 s[16:17], vcc
	s_cbranch_execnz .LBB1533_379
.LBB1533_372:                           ;   in Loop: Header=BB1533_350 Depth=2
	s_or_b64 exec, exec, s[16:17]
	v_cmp_lt_u32_e32 vcc, v32, v13
	s_and_saveexec_b64 s[16:17], vcc
	s_cbranch_execz .LBB1533_380
.LBB1533_373:                           ;   in Loop: Header=BB1533_350 Depth=2
	v_xor_b32_e32 v4, -1, v11
	v_and_b32_e32 v4, 1, v4
	v_lshrrev_b32_sdwa v4, s69, v4 dst_sel:DWORD dst_unused:UNUSED_PAD src0_sel:DWORD src1_sel:WORD_0
	v_and_b32_e32 v4, s84, v4
	v_lshlrev_b32_e32 v5, 2, v27
	v_lshl_or_b32 v4, v4, 4, v5
	ds_add_u32 v4, v63
	s_or_b64 exec, exec, s[16:17]
	v_cmp_lt_u32_e32 vcc, v33, v13
	s_and_saveexec_b64 s[16:17], vcc
	s_cbranch_execz .LBB1533_349
	s_branch .LBB1533_381
.LBB1533_374:                           ;   in Loop: Header=BB1533_350 Depth=2
	s_or_b64 exec, exec, s[16:17]
	v_cmp_lt_u32_e32 vcc, v24, v13
	s_and_saveexec_b64 s[16:17], vcc
	s_cbranch_execz .LBB1533_368
.LBB1533_375:                           ;   in Loop: Header=BB1533_350 Depth=2
	v_xor_b32_e32 v4, -1, v6
	v_and_b32_e32 v4, 1, v4
	v_lshrrev_b32_sdwa v4, s69, v4 dst_sel:DWORD dst_unused:UNUSED_PAD src0_sel:DWORD src1_sel:WORD_0
	v_and_b32_e32 v4, s84, v4
	v_lshlrev_b32_e32 v5, 2, v27
	v_lshl_or_b32 v4, v4, 4, v5
	ds_add_u32 v4, v63
	s_or_b64 exec, exec, s[16:17]
	v_cmp_lt_u32_e32 vcc, v25, v13
	s_and_saveexec_b64 s[16:17], vcc
	s_cbranch_execnz .LBB1533_369
.LBB1533_376:                           ;   in Loop: Header=BB1533_350 Depth=2
	s_or_b64 exec, exec, s[16:17]
	v_cmp_lt_u32_e32 vcc, v26, v13
	s_and_saveexec_b64 s[16:17], vcc
	s_cbranch_execz .LBB1533_370
.LBB1533_377:                           ;   in Loop: Header=BB1533_350 Depth=2
	v_xor_b32_e32 v4, -1, v8
	v_and_b32_e32 v4, 1, v4
	v_lshrrev_b32_sdwa v4, s69, v4 dst_sel:DWORD dst_unused:UNUSED_PAD src0_sel:DWORD src1_sel:WORD_0
	v_and_b32_e32 v4, s84, v4
	v_lshlrev_b32_e32 v5, 2, v27
	v_lshl_or_b32 v4, v4, 4, v5
	ds_add_u32 v4, v63
	s_or_b64 exec, exec, s[16:17]
	v_cmp_lt_u32_e32 vcc, v30, v13
	s_and_saveexec_b64 s[16:17], vcc
	s_cbranch_execnz .LBB1533_371
.LBB1533_378:                           ;   in Loop: Header=BB1533_350 Depth=2
	s_or_b64 exec, exec, s[16:17]
	v_cmp_lt_u32_e32 vcc, v31, v13
	s_and_saveexec_b64 s[16:17], vcc
	s_cbranch_execz .LBB1533_372
.LBB1533_379:                           ;   in Loop: Header=BB1533_350 Depth=2
	v_xor_b32_e32 v4, -1, v10
	v_and_b32_e32 v4, 1, v4
	v_lshrrev_b32_sdwa v4, s69, v4 dst_sel:DWORD dst_unused:UNUSED_PAD src0_sel:DWORD src1_sel:WORD_0
	v_and_b32_e32 v4, s84, v4
	v_lshlrev_b32_e32 v5, 2, v27
	v_lshl_or_b32 v4, v4, 4, v5
	ds_add_u32 v4, v63
	s_or_b64 exec, exec, s[16:17]
	v_cmp_lt_u32_e32 vcc, v32, v13
	s_and_saveexec_b64 s[16:17], vcc
	s_cbranch_execnz .LBB1533_373
.LBB1533_380:                           ;   in Loop: Header=BB1533_350 Depth=2
	s_or_b64 exec, exec, s[16:17]
	v_cmp_lt_u32_e32 vcc, v33, v13
	s_and_saveexec_b64 s[16:17], vcc
	s_cbranch_execz .LBB1533_349
.LBB1533_381:                           ;   in Loop: Header=BB1533_350 Depth=2
	s_waitcnt vmcnt(0)
	v_xor_b32_e32 v4, -1, v12
	v_and_b32_e32 v4, 1, v4
	v_lshrrev_b32_sdwa v4, s69, v4 dst_sel:DWORD dst_unused:UNUSED_PAD src0_sel:DWORD src1_sel:WORD_0
	v_and_b32_e32 v4, s84, v4
	v_lshlrev_b32_e32 v5, 2, v27
	v_lshl_or_b32 v4, v4, 4, v5
	ds_add_u32 v4, v63
	s_branch .LBB1533_349
.LBB1533_382:                           ;   in Loop: Header=BB1533_350 Depth=2
	s_or_b64 exec, exec, s[18:19]
	v_cmp_gt_u32_e32 vcc, s20, v24
	s_and_saveexec_b64 s[18:19], vcc
	s_cbranch_execz .LBB1533_356
.LBB1533_383:                           ;   in Loop: Header=BB1533_350 Depth=2
	v_mov_b32_e32 v5, s24
	v_add_co_u32_e32 v4, vcc, s23, v2
	v_addc_co_u32_e32 v5, vcc, 0, v5, vcc
	global_load_ubyte v6, v[4:5], off offset:256
	s_or_b64 exec, exec, s[18:19]
	v_cmp_gt_u32_e32 vcc, s20, v25
	s_and_saveexec_b64 s[18:19], vcc
	s_cbranch_execnz .LBB1533_357
.LBB1533_384:                           ;   in Loop: Header=BB1533_350 Depth=2
	s_or_b64 exec, exec, s[18:19]
	v_cmp_gt_u32_e32 vcc, s20, v26
	s_and_saveexec_b64 s[18:19], vcc
	s_cbranch_execz .LBB1533_358
.LBB1533_385:                           ;   in Loop: Header=BB1533_350 Depth=2
	v_mov_b32_e32 v5, s24
	v_add_co_u32_e32 v4, vcc, s23, v2
	v_addc_co_u32_e32 v5, vcc, 0, v5, vcc
	global_load_ubyte v8, v[4:5], off offset:768
	s_or_b64 exec, exec, s[18:19]
	v_cmp_gt_u32_e32 vcc, s20, v30
	s_and_saveexec_b64 s[18:19], vcc
	s_cbranch_execnz .LBB1533_359
.LBB1533_386:                           ;   in Loop: Header=BB1533_350 Depth=2
	s_or_b64 exec, exec, s[18:19]
	v_cmp_gt_u32_e32 vcc, s20, v31
	s_and_saveexec_b64 s[18:19], vcc
	s_cbranch_execz .LBB1533_360
.LBB1533_387:                           ;   in Loop: Header=BB1533_350 Depth=2
	v_mov_b32_e32 v5, s24
	v_add_co_u32_e32 v4, vcc, s23, v2
	v_addc_co_u32_e32 v5, vcc, 0, v5, vcc
	global_load_ubyte v10, v[4:5], off offset:1280
	s_or_b64 exec, exec, s[18:19]
	v_cmp_gt_u32_e32 vcc, s20, v32
	s_and_saveexec_b64 s[18:19], vcc
	s_cbranch_execz .LBB1533_362
	s_branch .LBB1533_361
.LBB1533_388:                           ;   in Loop: Header=BB1533_12 Depth=1
	v_mov_b32_e32 v0, 0
	s_waitcnt lgkmcnt(0)
	s_barrier
	s_and_saveexec_b64 s[16:17], s[4:5]
	s_cbranch_execz .LBB1533_390
; %bb.389:                              ;   in Loop: Header=BB1533_12 Depth=1
	ds_read2_b64 v[4:7], v34 offset1:1
	s_waitcnt lgkmcnt(0)
	v_add_u32_e32 v0, v5, v4
	v_add3_u32 v0, v0, v6, v7
.LBB1533_390:                           ;   in Loop: Header=BB1533_12 Depth=1
	s_or_b64 exec, exec, s[16:17]
	v_and_b32_e32 v4, 15, v64
	v_mov_b32_dpp v5, v0 row_shr:1 row_mask:0xf bank_mask:0xf
	v_cmp_eq_u32_e64 s[16:17], 0, v4
	v_cndmask_b32_e64 v5, v5, 0, s[16:17]
	v_add_u32_e32 v0, v5, v0
	v_cmp_lt_u32_e64 s[18:19], 1, v4
	v_cmp_lt_u32_e64 s[20:21], 3, v4
	v_mov_b32_dpp v5, v0 row_shr:2 row_mask:0xf bank_mask:0xf
	v_cndmask_b32_e64 v5, 0, v5, s[18:19]
	v_add_u32_e32 v0, v0, v5
	v_cmp_lt_u32_e64 s[22:23], 7, v4
	v_cmp_lt_u32_e64 s[26:27], 31, v64
	v_mov_b32_dpp v5, v0 row_shr:4 row_mask:0xf bank_mask:0xf
	v_cndmask_b32_e64 v5, 0, v5, s[20:21]
	v_add_u32_e32 v0, v0, v5
	v_and_b32_e32 v6, 16, v64
	v_cmp_eq_u32_e64 s[24:25], 0, v6
	v_mov_b32_dpp v5, v0 row_shr:8 row_mask:0xf bank_mask:0xf
	v_cndmask_b32_e64 v4, 0, v5, s[22:23]
	v_add_u32_e32 v0, v0, v4
	v_bfe_i32 v5, v64, 4, 1
	s_nop 0
	v_mov_b32_dpp v4, v0 row_bcast:15 row_mask:0xf bank_mask:0xf
	v_and_b32_e32 v4, v5, v4
	v_add_u32_e32 v0, v0, v4
	s_nop 1
	v_mov_b32_dpp v4, v0 row_bcast:31 row_mask:0xf bank_mask:0xf
	v_cndmask_b32_e64 v4, 0, v4, s[26:27]
	v_add_u32_e32 v4, v0, v4
	s_and_saveexec_b64 s[28:29], s[6:7]
	s_cbranch_execz .LBB1533_392
; %bb.391:                              ;   in Loop: Header=BB1533_12 Depth=1
	ds_write_b32 v36, v4
.LBB1533_392:                           ;   in Loop: Header=BB1533_12 Depth=1
	s_or_b64 exec, exec, s[28:29]
	v_and_b32_e32 v0, 3, v64
	s_waitcnt lgkmcnt(0)
	s_barrier
	s_and_saveexec_b64 s[28:29], s[8:9]
	s_cbranch_execz .LBB1533_394
; %bb.393:                              ;   in Loop: Header=BB1533_12 Depth=1
	ds_read_b32 v5, v37
	v_cmp_ne_u32_e32 vcc, 0, v0
	s_waitcnt lgkmcnt(0)
	v_mov_b32_dpp v6, v5 row_shr:1 row_mask:0xf bank_mask:0xf
	v_cndmask_b32_e32 v6, 0, v6, vcc
	v_add_u32_e32 v5, v6, v5
	v_cmp_lt_u32_e32 vcc, 1, v0
	s_nop 0
	v_mov_b32_dpp v6, v5 row_shr:2 row_mask:0xf bank_mask:0xf
	v_cndmask_b32_e32 v6, 0, v6, vcc
	v_add_u32_e32 v5, v5, v6
	ds_write_b32 v37, v5
.LBB1533_394:                           ;   in Loop: Header=BB1533_12 Depth=1
	s_or_b64 exec, exec, s[28:29]
	v_mov_b32_e32 v5, 0
	s_waitcnt lgkmcnt(0)
	s_barrier
	s_and_saveexec_b64 s[28:29], s[10:11]
	s_cbranch_execz .LBB1533_396
; %bb.395:                              ;   in Loop: Header=BB1533_12 Depth=1
	ds_read_b32 v5, v38
.LBB1533_396:                           ;   in Loop: Header=BB1533_12 Depth=1
	s_or_b64 exec, exec, s[28:29]
	v_add_u32_e32 v6, -1, v64
	v_and_b32_e32 v7, 64, v64
	v_cmp_lt_i32_e32 vcc, v6, v7
	v_cndmask_b32_e32 v6, v6, v64, vcc
	s_waitcnt lgkmcnt(0)
	v_add_u32_e32 v4, v5, v4
	v_lshlrev_b32_e32 v65, 2, v6
	ds_bpermute_b32 v4, v65, v4
	v_cmp_eq_u32_e64 s[28:29], 0, v64
	s_waitcnt lgkmcnt(0)
	s_barrier
	s_and_saveexec_b64 s[30:31], s[4:5]
	s_cbranch_execz .LBB1533_398
; %bb.397:                              ;   in Loop: Header=BB1533_12 Depth=1
	v_cndmask_b32_e64 v4, v4, v5, s[28:29]
	v_add_u32_e32 v4, s51, v4
	ds_write_b32 v3, v4
.LBB1533_398:                           ;   in Loop: Header=BB1533_12 Depth=1
	s_or_b64 exec, exec, s[30:31]
	s_load_dwordx2 s[30:31], s[74:75], 0x0
	s_mov_b32 s85, s71
	s_mov_b32 s72, s51
                                        ; implicit-def: $vgpr4_vgpr5
                                        ; implicit-def: $vgpr6_vgpr7
                                        ; implicit-def: $vgpr8_vgpr9
                                        ; implicit-def: $vgpr10_vgpr11
                                        ; implicit-def: $vgpr12_vgpr13
                                        ; implicit-def: $vgpr14_vgpr15
                                        ; implicit-def: $vgpr16_vgpr17
                                        ; implicit-def: $vgpr18_vgpr19
                                        ; implicit-def: $vgpr66
                                        ; implicit-def: $vgpr67
                                        ; implicit-def: $vgpr68
                                        ; implicit-def: $vgpr69
                                        ; implicit-def: $vgpr70
                                        ; implicit-def: $vgpr71
                                        ; implicit-def: $vgpr73
                                        ; implicit-def: $vgpr75
	s_waitcnt lgkmcnt(0)
	s_cmp_lt_u32 s50, s30
	s_cselect_b32 s34, 12, 18
	s_cmp_lt_u32 s33, s31
	s_cselect_b32 s30, 14, 20
	s_add_u32 s30, s74, s30
	s_addc_u32 s31, s75, 0
	s_add_u32 s34, s74, s34
	global_load_ushort v20, v1, s[30:31]
	s_addc_u32 s35, s75, 0
	global_load_ushort v21, v1, s[34:35]
	v_cmp_eq_u32_e64 s[30:31], 0, v0
	v_cmp_lt_u32_e64 s[34:35], 1, v0
	v_and_b32_e32 v0, 63, v64
	v_add_co_u32_e32 v74, vcc, v61, v0
	v_lshlrev_b32_e32 v22, 3, v0
	v_addc_co_u32_e32 v76, vcc, 0, v62, vcc
	v_add_co_u32_e32 v77, vcc, v59, v22
	v_or_b32_e32 v72, v0, v39
	v_addc_co_u32_e32 v78, vcc, 0, v60, vcc
	v_add_co_u32_e32 v86, vcc, 0x1c0, v74
	v_or_b32_e32 v79, 64, v72
	v_or_b32_e32 v80, 0x80, v72
	;; [unrolled: 1-line block ×7, first 2 shown]
	v_addc_co_u32_e32 v87, vcc, 0, v76, vcc
	s_waitcnt vmcnt(1)
	v_mad_u32_u24 v0, v40, v20, v41
	s_waitcnt vmcnt(0)
	v_mad_u64_u32 v[20:21], s[36:37], v0, v21, v[2:3]
	v_lshrrev_b32_e32 v88, 6, v20
	s_branch .LBB1533_400
.LBB1533_399:                           ;   in Loop: Header=BB1533_400 Depth=2
	s_or_b64 exec, exec, s[36:37]
	s_addk_i32 s85, 0xf800
	s_cmp_lt_u32 s86, s76
	s_mov_b32 s72, s86
	s_cbranch_scc0 .LBB1533_512
.LBB1533_400:                           ;   Parent Loop BB1533_12 Depth=1
                                        ; =>  This Inner Loop Header: Depth=2
	s_add_i32 s86, s72, 0x800
	s_cmp_gt_u32 s86, s76
	s_cbranch_scc1 .LBB1533_402
; %bb.401:                              ;   in Loop: Header=BB1533_400 Depth=2
	v_add_co_u32_e32 v20, vcc, s72, v74
	v_addc_co_u32_e32 v21, vcc, 0, v76, vcc
	global_load_ubyte v0, v[20:21], off offset:64
	global_load_ubyte v22, v[20:21], off offset:192
	;; [unrolled: 1-line block ×3, first 2 shown]
	global_load_ubyte v89, v[20:21], off
	global_load_ubyte v90, v[20:21], off offset:128
	global_load_ubyte v91, v[20:21], off offset:256
	s_nop 0
	global_load_ubyte v21, v[20:21], off offset:384
	s_mov_b64 s[36:37], -1
	s_movk_i32 s40, 0x800
	s_waitcnt vmcnt(6)
	v_lshlrev_b16_e32 v0, 8, v0
	s_waitcnt vmcnt(5)
	v_lshlrev_b16_e32 v20, 8, v22
	;; [unrolled: 2-line block ×3, first 2 shown]
	s_waitcnt vmcnt(3)
	v_or_b32_e32 v0, v89, v0
	s_waitcnt vmcnt(2)
	v_or_b32_sdwa v20, v90, v20 dst_sel:WORD_1 dst_unused:UNUSED_PAD src0_sel:DWORD src1_sel:DWORD
	s_waitcnt vmcnt(1)
	v_or_b32_e32 v22, v91, v22
	v_or_b32_sdwa v20, v0, v20 dst_sel:DWORD dst_unused:UNUSED_PAD src0_sel:WORD_0 src1_sel:DWORD
	v_and_b32_e32 v0, 0xffff, v22
	s_waitcnt vmcnt(0)
	v_lshl_or_b32 v21, v21, 16, v0
	s_cbranch_execz .LBB1533_403
	s_branch .LBB1533_412
.LBB1533_402:                           ;   in Loop: Header=BB1533_400 Depth=2
	s_mov_b64 s[36:37], 0
                                        ; implicit-def: $sgpr40
                                        ; implicit-def: $vgpr20_vgpr21
.LBB1533_403:                           ;   in Loop: Header=BB1533_400 Depth=2
	v_add_co_u32_e32 v22, vcc, s72, v74
	v_addc_co_u32_e32 v23, vcc, 0, v76, vcc
	s_mov_b32 s36, s73
	s_mov_b32 s37, s73
	v_cmp_gt_u32_e32 vcc, s85, v72
	v_pk_mov_b32 v[20:21], s[36:37], s[36:37] op_sel:[0,1]
	s_and_saveexec_b64 s[36:37], vcc
	s_cbranch_execz .LBB1533_506
; %bb.404:                              ;   in Loop: Header=BB1533_400 Depth=2
	global_load_ubyte v0, v[22:23], off
	v_mov_b32_e32 v21, s73
	s_waitcnt vmcnt(0)
	v_and_b32_e32 v20, 0xffff, v0
	s_or_b64 exec, exec, s[36:37]
	v_cmp_gt_u32_e32 vcc, s85, v79
	s_and_saveexec_b64 s[36:37], vcc
	s_cbranch_execnz .LBB1533_507
.LBB1533_405:                           ;   in Loop: Header=BB1533_400 Depth=2
	s_or_b64 exec, exec, s[36:37]
	v_cmp_gt_u32_e32 vcc, s85, v80
	s_and_saveexec_b64 s[36:37], vcc
	s_cbranch_execz .LBB1533_508
.LBB1533_406:                           ;   in Loop: Header=BB1533_400 Depth=2
	global_load_ubyte v0, v[22:23], off offset:128
	v_and_b32_sdwa v89, v20, s79 dst_sel:DWORD dst_unused:UNUSED_PAD src0_sel:WORD_1 src1_sel:DWORD
	s_waitcnt vmcnt(0)
	v_or_b32_sdwa v0, v0, v89 dst_sel:WORD_1 dst_unused:UNUSED_PAD src0_sel:DWORD src1_sel:DWORD
	v_and_or_b32 v20, v20, s77, v0
	s_or_b64 exec, exec, s[36:37]
	v_cmp_gt_u32_e32 vcc, s85, v81
	s_and_saveexec_b64 s[36:37], vcc
	s_cbranch_execnz .LBB1533_509
.LBB1533_407:                           ;   in Loop: Header=BB1533_400 Depth=2
	s_or_b64 exec, exec, s[36:37]
	v_cmp_gt_u32_e32 vcc, s85, v82
	s_and_saveexec_b64 s[36:37], vcc
	s_cbranch_execz .LBB1533_510
.LBB1533_408:                           ;   in Loop: Header=BB1533_400 Depth=2
	global_load_ubyte v0, v[22:23], off offset:256
	s_waitcnt vmcnt(0)
	v_perm_b32 v21, v0, v21, s80
	s_or_b64 exec, exec, s[36:37]
	v_cmp_gt_u32_e32 vcc, s85, v83
	s_and_saveexec_b64 s[36:37], vcc
	s_cbranch_execnz .LBB1533_511
.LBB1533_409:                           ;   in Loop: Header=BB1533_400 Depth=2
	s_or_b64 exec, exec, s[36:37]
	v_cmp_gt_u32_e32 vcc, s85, v84
	s_and_saveexec_b64 s[36:37], vcc
	s_cbranch_execz .LBB1533_411
.LBB1533_410:                           ;   in Loop: Header=BB1533_400 Depth=2
	global_load_ubyte v0, v[22:23], off offset:384
	s_waitcnt vmcnt(0)
	v_perm_b32 v21, v21, v0, s81
.LBB1533_411:                           ;   in Loop: Header=BB1533_400 Depth=2
	s_or_b64 exec, exec, s[36:37]
	s_sub_i32 s40, s76, s72
	v_cmp_gt_u32_e64 s[36:37], s85, v85
.LBB1533_412:                           ;   in Loop: Header=BB1533_400 Depth=2
	v_mov_b32_e32 v0, s85
	s_and_saveexec_b64 s[38:39], s[36:37]
	s_cbranch_execz .LBB1533_414
; %bb.413:                              ;   in Loop: Header=BB1533_400 Depth=2
	v_mov_b32_e32 v0, s73
	v_add_co_u32_e32 v22, vcc, s72, v86
	v_addc_co_u32_e32 v23, vcc, v87, v0, vcc
	global_load_ubyte v0, v[22:23], off
	s_waitcnt vmcnt(0)
	v_perm_b32 v21, v21, v0, s82
	v_mov_b32_e32 v0, s40
.LBB1533_414:                           ;   in Loop: Header=BB1533_400 Depth=2
	s_or_b64 exec, exec, s[38:39]
	v_and_b32_sdwa v22, v63, v20 dst_sel:DWORD dst_unused:UNUSED_PAD src0_sel:DWORD src1_sel:BYTE_1
	v_cmp_eq_u32_e64 s[46:47], 1, v22
	v_and_b32_sdwa v22, v63, v21 dst_sel:DWORD dst_unused:UNUSED_PAD src0_sel:DWORD src1_sel:BYTE_1
	v_cmp_eq_u32_e64 s[38:39], 1, v22
	v_and_b32_e32 v22, 0x1000000, v21
	v_cmp_ne_u32_e32 vcc, 0, v22
	v_and_b32_e32 v22, 0x10000, v21
	v_and_b32_e32 v21, 1, v21
	v_cmp_eq_u32_e64 s[40:41], 1, v21
	v_and_b32_e32 v21, 0x1000000, v20
	v_cmp_ne_u32_e64 s[42:43], 0, v21
	v_and_b32_e32 v21, 0x10000, v20
	v_and_b32_e32 v20, 1, v20
	v_cmp_eq_u32_e64 s[48:49], 1, v20
	s_xor_b64 s[48:49], s[48:49], -1
	v_add_u32_e32 v20, 0x410, v42
	v_cndmask_b32_e64 v89, 0, 1, s[48:49]
	ds_write2_b32 v20, v1, v1 offset1:1
	ds_write2_b32 v44, v1, v1 offset0:2 offset1:3
	ds_write_b32 v44, v1 offset:16
	v_lshrrev_b32_e32 v20, s69, v89
	v_and_b32_e32 v20, s84, v20
	v_cmp_ne_u32_e64 s[44:45], 0, v21
	v_mad_u32_u24 v21, v20, 5, v88
	v_cmp_ne_u32_e64 s[48:49], 0, v20
	v_add_co_u32_e64 v20, s[52:53], -1, v20
	v_lshl_add_u32 v92, v21, 2, v43
	v_addc_co_u32_e64 v21, s[52:53], 0, -1, s[52:53]
	v_xor_b32_e32 v20, s48, v20
	v_xor_b32_e32 v21, s49, v21
	v_and_b32_e32 v20, exec_lo, v20
	v_cmp_ne_u32_e64 s[36:37], 0, v22
	v_and_b32_e32 v21, exec_hi, v21
	v_mbcnt_lo_u32_b32 v22, v20, 0
	v_mbcnt_hi_u32_b32 v90, v21, v22
	v_cmp_eq_u32_e64 s[48:49], 0, v90
	v_cmp_ne_u64_e64 s[52:53], 0, v[20:21]
	s_and_b64 s[52:53], s[52:53], s[48:49]
	s_waitcnt lgkmcnt(0)
	s_barrier
	s_waitcnt lgkmcnt(0)
	; wave barrier
	s_and_saveexec_b64 s[48:49], s[52:53]
	s_cbranch_execz .LBB1533_416
; %bb.415:                              ;   in Loop: Header=BB1533_400 Depth=2
	v_bcnt_u32_b32 v20, v20, 0
	v_bcnt_u32_b32 v20, v21, v20
	ds_write_b32 v92, v20
.LBB1533_416:                           ;   in Loop: Header=BB1533_400 Depth=2
	s_or_b64 exec, exec, s[48:49]
	s_xor_b64 s[46:47], s[46:47], -1
	v_cndmask_b32_e64 v91, 0, 1, s[46:47]
	v_lshrrev_b32_e32 v20, s69, v91
	v_and_b32_e32 v20, s84, v20
	v_mul_u32_u24_e32 v21, 5, v20
	v_add_lshl_u32 v21, v21, v88, 2
	v_cmp_ne_u32_e64 s[46:47], 0, v20
	v_add_co_u32_e64 v20, s[48:49], -1, v20
	; wave barrier
	v_add_u32_e32 v95, 0x410, v21
	ds_read_b32 v93, v21 offset:1040
	v_addc_co_u32_e64 v21, s[48:49], 0, -1, s[48:49]
	v_xor_b32_e32 v20, s46, v20
	v_xor_b32_e32 v21, s47, v21
	v_and_b32_e32 v20, exec_lo, v20
	v_and_b32_e32 v21, exec_hi, v21
	v_mbcnt_lo_u32_b32 v22, v20, 0
	v_mbcnt_hi_u32_b32 v94, v21, v22
	v_cmp_eq_u32_e64 s[46:47], 0, v94
	v_cmp_ne_u64_e64 s[48:49], 0, v[20:21]
	s_and_b64 s[48:49], s[48:49], s[46:47]
	; wave barrier
	s_and_saveexec_b64 s[46:47], s[48:49]
	s_cbranch_execz .LBB1533_418
; %bb.417:                              ;   in Loop: Header=BB1533_400 Depth=2
	v_bcnt_u32_b32 v20, v20, 0
	v_bcnt_u32_b32 v20, v21, v20
	s_waitcnt lgkmcnt(0)
	v_add_u32_e32 v20, v93, v20
	ds_write_b32 v95, v20
.LBB1533_418:                           ;   in Loop: Header=BB1533_400 Depth=2
	s_or_b64 exec, exec, s[46:47]
	s_xor_b64 s[44:45], s[44:45], -1
	v_cndmask_b32_e64 v98, 0, 1, s[44:45]
	v_lshrrev_b32_e32 v20, s69, v98
	v_and_b32_e32 v20, s84, v20
	v_mul_u32_u24_e32 v21, 5, v20
	v_add_lshl_u32 v21, v21, v88, 2
	v_cmp_ne_u32_e64 s[44:45], 0, v20
	v_add_co_u32_e64 v20, s[46:47], -1, v20
	; wave barrier
	v_add_u32_e32 v96, 0x410, v21
	ds_read_b32 v99, v21 offset:1040
	v_addc_co_u32_e64 v21, s[46:47], 0, -1, s[46:47]
	v_xor_b32_e32 v20, s44, v20
	v_xor_b32_e32 v21, s45, v21
	v_and_b32_e32 v20, exec_lo, v20
	v_and_b32_e32 v21, exec_hi, v21
	v_mbcnt_lo_u32_b32 v22, v20, 0
	v_mbcnt_hi_u32_b32 v100, v21, v22
	v_cmp_eq_u32_e64 s[44:45], 0, v100
	v_cmp_ne_u64_e64 s[46:47], 0, v[20:21]
	s_and_b64 s[46:47], s[46:47], s[44:45]
	; wave barrier
	s_and_saveexec_b64 s[44:45], s[46:47]
	s_cbranch_execz .LBB1533_420
; %bb.419:                              ;   in Loop: Header=BB1533_400 Depth=2
	v_bcnt_u32_b32 v20, v20, 0
	v_bcnt_u32_b32 v20, v21, v20
	s_waitcnt lgkmcnt(0)
	v_add_u32_e32 v20, v99, v20
	ds_write_b32 v96, v20
.LBB1533_420:                           ;   in Loop: Header=BB1533_400 Depth=2
	;; [unrolled: 32-line block ×6, first 2 shown]
	s_or_b64 exec, exec, s[36:37]
	s_xor_b64 s[36:37], vcc, -1
	v_cndmask_b32_e64 v115, 0, 1, s[36:37]
	v_lshrrev_b32_e32 v20, s69, v115
	v_and_b32_e32 v20, s84, v20
	v_mul_u32_u24_e32 v21, 5, v20
	v_add_lshl_u32 v21, v21, v88, 2
	v_cmp_ne_u32_e32 vcc, 0, v20
	v_add_co_u32_e64 v20, s[36:37], -1, v20
	; wave barrier
	v_add_u32_e32 v119, 0x410, v21
	ds_read_b32 v117, v21 offset:1040
	v_addc_co_u32_e64 v21, s[36:37], 0, -1, s[36:37]
	v_xor_b32_e32 v20, vcc_lo, v20
	v_xor_b32_e32 v21, vcc_hi, v21
	v_and_b32_e32 v20, exec_lo, v20
	v_and_b32_e32 v21, exec_hi, v21
	v_mbcnt_lo_u32_b32 v22, v20, 0
	v_mbcnt_hi_u32_b32 v118, v21, v22
	v_cmp_eq_u32_e32 vcc, 0, v118
	v_cmp_ne_u64_e64 s[36:37], 0, v[20:21]
	s_and_b64 s[38:39], s[36:37], vcc
	; wave barrier
	s_and_saveexec_b64 s[36:37], s[38:39]
	s_cbranch_execz .LBB1533_430
; %bb.429:                              ;   in Loop: Header=BB1533_400 Depth=2
	v_bcnt_u32_b32 v20, v20, 0
	v_bcnt_u32_b32 v20, v21, v20
	s_waitcnt lgkmcnt(0)
	v_add_u32_e32 v20, v117, v20
	ds_write_b32 v119, v20
.LBB1533_430:                           ;   in Loop: Header=BB1533_400 Depth=2
	s_or_b64 exec, exec, s[36:37]
	; wave barrier
	s_waitcnt lgkmcnt(0)
	s_barrier
	ds_read_b32 v120, v42 offset:1040
	ds_read2_b32 v[22:23], v44 offset0:1 offset1:2
	ds_read2_b32 v[20:21], v44 offset0:3 offset1:4
	s_waitcnt lgkmcnt(1)
	v_add3_u32 v121, v22, v120, v23
	s_waitcnt lgkmcnt(0)
	v_add3_u32 v21, v121, v20, v21
	s_nop 1
	v_mov_b32_dpp v121, v21 row_shr:1 row_mask:0xf bank_mask:0xf
	v_cndmask_b32_e64 v121, v121, 0, s[16:17]
	v_add_u32_e32 v21, v121, v21
	s_nop 1
	v_mov_b32_dpp v121, v21 row_shr:2 row_mask:0xf bank_mask:0xf
	v_cndmask_b32_e64 v121, 0, v121, s[18:19]
	v_add_u32_e32 v21, v21, v121
	;; [unrolled: 4-line block ×4, first 2 shown]
	s_nop 1
	v_mov_b32_dpp v121, v21 row_bcast:15 row_mask:0xf bank_mask:0xf
	v_cndmask_b32_e64 v121, v121, 0, s[24:25]
	v_add_u32_e32 v21, v21, v121
	s_nop 1
	v_mov_b32_dpp v121, v21 row_bcast:31 row_mask:0xf bank_mask:0xf
	v_cndmask_b32_e64 v121, 0, v121, s[26:27]
	v_add_u32_e32 v21, v21, v121
	s_and_saveexec_b64 s[36:37], s[6:7]
	s_cbranch_execz .LBB1533_432
; %bb.431:                              ;   in Loop: Header=BB1533_400 Depth=2
	ds_write_b32 v35, v21 offset:1024
.LBB1533_432:                           ;   in Loop: Header=BB1533_400 Depth=2
	s_or_b64 exec, exec, s[36:37]
	s_waitcnt lgkmcnt(0)
	s_barrier
	s_and_saveexec_b64 s[36:37], s[8:9]
	s_cbranch_execz .LBB1533_434
; %bb.433:                              ;   in Loop: Header=BB1533_400 Depth=2
	v_add_u32_e32 v121, v42, v45
	ds_read_b32 v122, v121 offset:1024
	s_waitcnt lgkmcnt(0)
	s_nop 0
	v_mov_b32_dpp v123, v122 row_shr:1 row_mask:0xf bank_mask:0xf
	v_cndmask_b32_e64 v123, v123, 0, s[30:31]
	v_add_u32_e32 v122, v123, v122
	s_nop 1
	v_mov_b32_dpp v123, v122 row_shr:2 row_mask:0xf bank_mask:0xf
	v_cndmask_b32_e64 v123, 0, v123, s[34:35]
	v_add_u32_e32 v122, v122, v123
	ds_write_b32 v121, v122 offset:1024
.LBB1533_434:                           ;   in Loop: Header=BB1533_400 Depth=2
	s_or_b64 exec, exec, s[36:37]
	v_mov_b32_e32 v121, 0
	s_waitcnt lgkmcnt(0)
	s_barrier
	s_and_saveexec_b64 s[36:37], s[10:11]
	s_cbranch_execz .LBB1533_436
; %bb.435:                              ;   in Loop: Header=BB1533_400 Depth=2
	ds_read_b32 v121, v35 offset:1020
.LBB1533_436:                           ;   in Loop: Header=BB1533_400 Depth=2
	s_or_b64 exec, exec, s[36:37]
	s_waitcnt lgkmcnt(0)
	v_add_u32_e32 v21, v121, v21
	ds_bpermute_b32 v21, v65, v21
	s_waitcnt lgkmcnt(0)
	v_cndmask_b32_e64 v21, v21, v121, s[28:29]
	v_cndmask_b32_e64 v21, v21, 0, s[12:13]
	v_add_u32_e32 v120, v21, v120
	ds_write_b32 v42, v21 offset:1040
	v_add_u32_e32 v21, v120, v22
	v_add_u32_e32 v22, v21, v23
	;; [unrolled: 1-line block ×3, first 2 shown]
	ds_write2_b32 v44, v120, v21 offset0:1 offset1:2
	ds_write2_b32 v44, v22, v20 offset0:3 offset1:4
	s_waitcnt lgkmcnt(0)
	s_barrier
	ds_read_b32 v20, v95
	ds_read_b32 v21, v96
	;; [unrolled: 1-line block ×8, first 2 shown]
	ds_read_b32 v95, v42 offset:1040
	v_mov_b32_e32 v22, 0x800
	s_and_saveexec_b64 s[36:37], s[14:15]
	s_cbranch_execz .LBB1533_438
; %bb.437:                              ;   in Loop: Header=BB1533_400 Depth=2
	ds_read_b32 v22, v42 offset:1060
.LBB1533_438:                           ;   in Loop: Header=BB1533_400 Depth=2
	s_or_b64 exec, exec, s[36:37]
	s_waitcnt lgkmcnt(0)
	s_barrier
	s_and_saveexec_b64 s[36:37], s[4:5]
	s_cbranch_execz .LBB1533_440
; %bb.439:                              ;   in Loop: Header=BB1533_400 Depth=2
	ds_read_b32 v96, v3
	s_waitcnt lgkmcnt(0)
	v_sub_u32_e32 v95, v96, v95
	ds_write_b32 v3, v95
.LBB1533_440:                           ;   in Loop: Header=BB1533_400 Depth=2
	s_or_b64 exec, exec, s[36:37]
	v_add_u32_e32 v97, v92, v90
	v_add3_u32 v96, v94, v93, v20
	v_add3_u32 v95, v100, v99, v21
	v_add3_u32 v94, v103, v102, v23
	v_add3_u32 v93, v106, v105, v108
	v_add3_u32 v92, v110, v109, v112
	v_add3_u32 v90, v114, v113, v116
	v_add3_u32 v23, v118, v117, v119
	v_cmp_lt_u32_e64 s[48:49], v2, v0
	ds_write_b8 v97, v89 offset:1024
	ds_write_b8 v96, v91 offset:1024
	;; [unrolled: 1-line block ×8, first 2 shown]
	s_waitcnt lgkmcnt(0)
	s_barrier
	s_and_saveexec_b64 s[36:37], s[48:49]
	s_cbranch_execz .LBB1533_448
; %bb.441:                              ;   in Loop: Header=BB1533_400 Depth=2
	ds_read_u8 v20, v2 offset:1024
	s_waitcnt lgkmcnt(0)
	v_and_b32_e32 v21, 1, v20
	v_lshrrev_b32_e32 v21, s69, v21
	v_and_b32_e32 v21, s84, v21
	v_lshlrev_b32_e32 v21, 2, v21
	ds_read_b32 v21, v21
	v_xor_b32_e32 v20, 1, v20
	s_waitcnt lgkmcnt(0)
	v_add_u32_e32 v21, v21, v2
	global_store_byte v21, v20, s[58:59]
	s_or_b64 exec, exec, s[36:37]
	v_cmp_lt_u32_e64 s[46:47], v24, v0
	s_and_saveexec_b64 s[36:37], s[46:47]
	s_cbranch_execnz .LBB1533_449
.LBB1533_442:                           ;   in Loop: Header=BB1533_400 Depth=2
	s_or_b64 exec, exec, s[36:37]
	v_cmp_lt_u32_e64 s[44:45], v25, v0
	s_and_saveexec_b64 s[36:37], s[44:45]
	s_cbranch_execz .LBB1533_450
.LBB1533_443:                           ;   in Loop: Header=BB1533_400 Depth=2
	ds_read_u8 v20, v30 offset:512
	s_waitcnt lgkmcnt(0)
	v_and_b32_e32 v21, 1, v20
	v_lshrrev_b32_e32 v21, s69, v21
	v_and_b32_e32 v21, s84, v21
	v_lshlrev_b32_e32 v21, 2, v21
	ds_read_b32 v21, v21
	v_xor_b32_e32 v20, 1, v20
	s_waitcnt lgkmcnt(0)
	v_add_u32_e32 v21, v21, v25
	global_store_byte v21, v20, s[58:59]
	s_or_b64 exec, exec, s[36:37]
	v_cmp_lt_u32_e64 s[42:43], v26, v0
	s_and_saveexec_b64 s[36:37], s[42:43]
	s_cbranch_execnz .LBB1533_451
.LBB1533_444:                           ;   in Loop: Header=BB1533_400 Depth=2
	s_or_b64 exec, exec, s[36:37]
	v_cmp_lt_u32_e64 s[40:41], v30, v0
	s_and_saveexec_b64 s[36:37], s[40:41]
	s_cbranch_execz .LBB1533_452
.LBB1533_445:                           ;   in Loop: Header=BB1533_400 Depth=2
	ds_read_u8 v20, v30 offset:1024
	s_waitcnt lgkmcnt(0)
	v_and_b32_e32 v21, 1, v20
	v_lshrrev_b32_e32 v21, s69, v21
	v_and_b32_e32 v21, s84, v21
	v_lshlrev_b32_e32 v21, 2, v21
	ds_read_b32 v21, v21
	v_xor_b32_e32 v20, 1, v20
	s_waitcnt lgkmcnt(0)
	v_add_u32_e32 v21, v21, v30
	global_store_byte v21, v20, s[58:59]
	s_or_b64 exec, exec, s[36:37]
	v_cmp_lt_u32_e64 s[38:39], v31, v0
	s_and_saveexec_b64 s[36:37], s[38:39]
	s_cbranch_execnz .LBB1533_453
.LBB1533_446:                           ;   in Loop: Header=BB1533_400 Depth=2
	s_or_b64 exec, exec, s[36:37]
	v_cmp_lt_u32_e64 s[36:37], v32, v0
	s_and_saveexec_b64 s[52:53], s[36:37]
	s_cbranch_execz .LBB1533_454
.LBB1533_447:                           ;   in Loop: Header=BB1533_400 Depth=2
	ds_read_u8 v20, v30 offset:1536
	s_waitcnt lgkmcnt(0)
	v_and_b32_e32 v21, 1, v20
	v_lshrrev_b32_e32 v21, s69, v21
	v_and_b32_e32 v21, s84, v21
	v_lshlrev_b32_e32 v21, 2, v21
	ds_read_b32 v21, v21
	v_xor_b32_e32 v20, 1, v20
	s_waitcnt lgkmcnt(0)
	v_add_u32_e32 v21, v21, v32
	global_store_byte v21, v20, s[58:59]
	s_or_b64 exec, exec, s[52:53]
	v_cmp_lt_u32_e32 vcc, v33, v0
	s_and_saveexec_b64 s[52:53], vcc
	s_cbranch_execnz .LBB1533_455
	s_branch .LBB1533_456
.LBB1533_448:                           ;   in Loop: Header=BB1533_400 Depth=2
	s_or_b64 exec, exec, s[36:37]
	v_cmp_lt_u32_e64 s[46:47], v24, v0
	s_and_saveexec_b64 s[36:37], s[46:47]
	s_cbranch_execz .LBB1533_442
.LBB1533_449:                           ;   in Loop: Header=BB1533_400 Depth=2
	ds_read_u8 v20, v30 offset:256
	s_waitcnt lgkmcnt(0)
	v_and_b32_e32 v21, 1, v20
	v_lshrrev_b32_e32 v21, s69, v21
	v_and_b32_e32 v21, s84, v21
	v_lshlrev_b32_e32 v21, 2, v21
	ds_read_b32 v21, v21
	v_xor_b32_e32 v20, 1, v20
	s_waitcnt lgkmcnt(0)
	v_add_u32_e32 v21, v21, v24
	global_store_byte v21, v20, s[58:59]
	s_or_b64 exec, exec, s[36:37]
	v_cmp_lt_u32_e64 s[44:45], v25, v0
	s_and_saveexec_b64 s[36:37], s[44:45]
	s_cbranch_execnz .LBB1533_443
.LBB1533_450:                           ;   in Loop: Header=BB1533_400 Depth=2
	s_or_b64 exec, exec, s[36:37]
	v_cmp_lt_u32_e64 s[42:43], v26, v0
	s_and_saveexec_b64 s[36:37], s[42:43]
	s_cbranch_execz .LBB1533_444
.LBB1533_451:                           ;   in Loop: Header=BB1533_400 Depth=2
	ds_read_u8 v20, v30 offset:768
	s_waitcnt lgkmcnt(0)
	v_and_b32_e32 v21, 1, v20
	v_lshrrev_b32_e32 v21, s69, v21
	v_and_b32_e32 v21, s84, v21
	v_lshlrev_b32_e32 v21, 2, v21
	ds_read_b32 v21, v21
	v_xor_b32_e32 v20, 1, v20
	s_waitcnt lgkmcnt(0)
	v_add_u32_e32 v21, v21, v26
	global_store_byte v21, v20, s[58:59]
	s_or_b64 exec, exec, s[36:37]
	v_cmp_lt_u32_e64 s[40:41], v30, v0
	s_and_saveexec_b64 s[36:37], s[40:41]
	s_cbranch_execnz .LBB1533_445
.LBB1533_452:                           ;   in Loop: Header=BB1533_400 Depth=2
	s_or_b64 exec, exec, s[36:37]
	v_cmp_lt_u32_e64 s[38:39], v31, v0
	s_and_saveexec_b64 s[36:37], s[38:39]
	s_cbranch_execz .LBB1533_446
.LBB1533_453:                           ;   in Loop: Header=BB1533_400 Depth=2
	ds_read_u8 v20, v30 offset:1280
	s_waitcnt lgkmcnt(0)
	v_and_b32_e32 v21, 1, v20
	v_lshrrev_b32_e32 v21, s69, v21
	v_and_b32_e32 v21, s84, v21
	v_lshlrev_b32_e32 v21, 2, v21
	ds_read_b32 v21, v21
	v_xor_b32_e32 v20, 1, v20
	s_waitcnt lgkmcnt(0)
	v_add_u32_e32 v21, v21, v31
	global_store_byte v21, v20, s[58:59]
	s_or_b64 exec, exec, s[36:37]
	v_cmp_lt_u32_e64 s[36:37], v32, v0
	s_and_saveexec_b64 s[52:53], s[36:37]
	s_cbranch_execnz .LBB1533_447
.LBB1533_454:                           ;   in Loop: Header=BB1533_400 Depth=2
	s_or_b64 exec, exec, s[52:53]
	v_cmp_lt_u32_e32 vcc, v33, v0
	s_and_saveexec_b64 s[52:53], vcc
	s_cbranch_execz .LBB1533_456
.LBB1533_455:                           ;   in Loop: Header=BB1533_400 Depth=2
	ds_read_u8 v20, v30 offset:1792
	s_waitcnt lgkmcnt(0)
	v_and_b32_e32 v21, 1, v20
	v_lshrrev_b32_e32 v21, s69, v21
	v_and_b32_e32 v21, s84, v21
	v_lshlrev_b32_e32 v21, 2, v21
	ds_read_b32 v21, v21
	v_xor_b32_e32 v20, 1, v20
	s_waitcnt lgkmcnt(0)
	v_add_u32_e32 v21, v21, v33
	global_store_byte v21, v20, s[58:59]
.LBB1533_456:                           ;   in Loop: Header=BB1533_400 Depth=2
	s_or_b64 exec, exec, s[52:53]
	s_lshl_b64 s[52:53], s[72:73], 3
	v_mov_b32_e32 v21, s53
	v_add_co_u32_e64 v20, s[52:53], s52, v77
	v_addc_co_u32_e64 v21, s[52:53], v78, v21, s[52:53]
	v_cmp_lt_u32_e64 s[52:53], v72, v0
	s_and_saveexec_b64 s[62:63], s[52:53]
	s_xor_b64 s[52:53], exec, s[62:63]
	s_cbranch_execz .LBB1533_472
; %bb.457:                              ;   in Loop: Header=BB1533_400 Depth=2
	global_load_dwordx2 v[18:19], v[20:21], off
	s_or_b64 exec, exec, s[52:53]
	v_cmp_lt_u32_e64 s[52:53], v79, v0
	s_and_saveexec_b64 s[62:63], s[52:53]
	s_cbranch_execnz .LBB1533_473
.LBB1533_458:                           ;   in Loop: Header=BB1533_400 Depth=2
	s_or_b64 exec, exec, s[62:63]
	v_cmp_lt_u32_e64 s[52:53], v80, v0
	s_and_saveexec_b64 s[62:63], s[52:53]
	s_cbranch_execz .LBB1533_474
.LBB1533_459:                           ;   in Loop: Header=BB1533_400 Depth=2
	global_load_dwordx2 v[14:15], v[20:21], off offset:1024
	s_or_b64 exec, exec, s[62:63]
	v_cmp_lt_u32_e64 s[52:53], v81, v0
	s_and_saveexec_b64 s[62:63], s[52:53]
	s_cbranch_execnz .LBB1533_475
.LBB1533_460:                           ;   in Loop: Header=BB1533_400 Depth=2
	s_or_b64 exec, exec, s[62:63]
	v_cmp_lt_u32_e64 s[52:53], v82, v0
	s_and_saveexec_b64 s[62:63], s[52:53]
	s_cbranch_execz .LBB1533_476
.LBB1533_461:                           ;   in Loop: Header=BB1533_400 Depth=2
	global_load_dwordx2 v[10:11], v[20:21], off offset:2048
	s_or_b64 exec, exec, s[62:63]
	v_cmp_lt_u32_e64 s[52:53], v83, v0
	s_and_saveexec_b64 s[62:63], s[52:53]
	s_cbranch_execnz .LBB1533_477
.LBB1533_462:                           ;   in Loop: Header=BB1533_400 Depth=2
	s_or_b64 exec, exec, s[62:63]
	v_cmp_lt_u32_e64 s[52:53], v84, v0
	s_and_saveexec_b64 s[62:63], s[52:53]
	s_cbranch_execz .LBB1533_478
.LBB1533_463:                           ;   in Loop: Header=BB1533_400 Depth=2
	global_load_dwordx2 v[6:7], v[20:21], off offset:3072
	s_or_b64 exec, exec, s[62:63]
	v_cmp_lt_u32_e64 s[52:53], v85, v0
	s_and_saveexec_b64 s[62:63], s[52:53]
	s_cbranch_execnz .LBB1533_479
.LBB1533_464:                           ;   in Loop: Header=BB1533_400 Depth=2
	s_or_b64 exec, exec, s[62:63]
	s_and_saveexec_b64 s[52:53], s[48:49]
	s_cbranch_execz .LBB1533_480
.LBB1533_465:                           ;   in Loop: Header=BB1533_400 Depth=2
	ds_read_u8 v0, v2 offset:1024
	s_waitcnt lgkmcnt(0)
	v_lshrrev_b32_e32 v0, s69, v0
	v_and_b32_e32 v75, s84, v0
	s_or_b64 exec, exec, s[52:53]
	s_and_saveexec_b64 s[52:53], s[46:47]
	s_cbranch_execnz .LBB1533_481
.LBB1533_466:                           ;   in Loop: Header=BB1533_400 Depth=2
	s_or_b64 exec, exec, s[52:53]
	s_and_saveexec_b64 s[52:53], s[44:45]
	s_cbranch_execz .LBB1533_482
.LBB1533_467:                           ;   in Loop: Header=BB1533_400 Depth=2
	ds_read_u8 v0, v30 offset:512
	s_waitcnt lgkmcnt(0)
	v_lshrrev_b32_e32 v0, s69, v0
	v_and_b32_e32 v71, s84, v0
	s_or_b64 exec, exec, s[52:53]
	s_and_saveexec_b64 s[52:53], s[42:43]
	s_cbranch_execnz .LBB1533_483
.LBB1533_468:                           ;   in Loop: Header=BB1533_400 Depth=2
	s_or_b64 exec, exec, s[52:53]
	s_and_saveexec_b64 s[52:53], s[40:41]
	s_cbranch_execz .LBB1533_484
.LBB1533_469:                           ;   in Loop: Header=BB1533_400 Depth=2
	ds_read_u8 v0, v30 offset:1024
	s_waitcnt lgkmcnt(0)
	v_lshrrev_b32_e32 v0, s69, v0
	v_and_b32_e32 v69, s84, v0
	s_or_b64 exec, exec, s[52:53]
	s_and_saveexec_b64 s[52:53], s[38:39]
	s_cbranch_execnz .LBB1533_485
.LBB1533_470:                           ;   in Loop: Header=BB1533_400 Depth=2
	s_or_b64 exec, exec, s[52:53]
	s_and_saveexec_b64 s[52:53], s[36:37]
	s_cbranch_execz .LBB1533_486
.LBB1533_471:                           ;   in Loop: Header=BB1533_400 Depth=2
	ds_read_u8 v0, v30 offset:1536
	s_waitcnt lgkmcnt(0)
	v_lshrrev_b32_e32 v0, s69, v0
	v_and_b32_e32 v67, s84, v0
	s_or_b64 exec, exec, s[52:53]
	s_and_saveexec_b64 s[52:53], vcc
	s_cbranch_execnz .LBB1533_487
	s_branch .LBB1533_488
.LBB1533_472:                           ;   in Loop: Header=BB1533_400 Depth=2
	s_or_b64 exec, exec, s[52:53]
	v_cmp_lt_u32_e64 s[52:53], v79, v0
	s_and_saveexec_b64 s[62:63], s[52:53]
	s_cbranch_execz .LBB1533_458
.LBB1533_473:                           ;   in Loop: Header=BB1533_400 Depth=2
	global_load_dwordx2 v[16:17], v[20:21], off offset:512
	s_or_b64 exec, exec, s[62:63]
	v_cmp_lt_u32_e64 s[52:53], v80, v0
	s_and_saveexec_b64 s[62:63], s[52:53]
	s_cbranch_execnz .LBB1533_459
.LBB1533_474:                           ;   in Loop: Header=BB1533_400 Depth=2
	s_or_b64 exec, exec, s[62:63]
	v_cmp_lt_u32_e64 s[52:53], v81, v0
	s_and_saveexec_b64 s[62:63], s[52:53]
	s_cbranch_execz .LBB1533_460
.LBB1533_475:                           ;   in Loop: Header=BB1533_400 Depth=2
	global_load_dwordx2 v[12:13], v[20:21], off offset:1536
	s_or_b64 exec, exec, s[62:63]
	v_cmp_lt_u32_e64 s[52:53], v82, v0
	s_and_saveexec_b64 s[62:63], s[52:53]
	s_cbranch_execnz .LBB1533_461
.LBB1533_476:                           ;   in Loop: Header=BB1533_400 Depth=2
	s_or_b64 exec, exec, s[62:63]
	v_cmp_lt_u32_e64 s[52:53], v83, v0
	s_and_saveexec_b64 s[62:63], s[52:53]
	s_cbranch_execz .LBB1533_462
.LBB1533_477:                           ;   in Loop: Header=BB1533_400 Depth=2
	global_load_dwordx2 v[8:9], v[20:21], off offset:2560
	s_or_b64 exec, exec, s[62:63]
	v_cmp_lt_u32_e64 s[52:53], v84, v0
	s_and_saveexec_b64 s[62:63], s[52:53]
	s_cbranch_execnz .LBB1533_463
.LBB1533_478:                           ;   in Loop: Header=BB1533_400 Depth=2
	s_or_b64 exec, exec, s[62:63]
	v_cmp_lt_u32_e64 s[52:53], v85, v0
	s_and_saveexec_b64 s[62:63], s[52:53]
	s_cbranch_execz .LBB1533_464
.LBB1533_479:                           ;   in Loop: Header=BB1533_400 Depth=2
	global_load_dwordx2 v[4:5], v[20:21], off offset:3584
	s_or_b64 exec, exec, s[62:63]
	s_and_saveexec_b64 s[52:53], s[48:49]
	s_cbranch_execnz .LBB1533_465
.LBB1533_480:                           ;   in Loop: Header=BB1533_400 Depth=2
	s_or_b64 exec, exec, s[52:53]
	s_and_saveexec_b64 s[52:53], s[46:47]
	s_cbranch_execz .LBB1533_466
.LBB1533_481:                           ;   in Loop: Header=BB1533_400 Depth=2
	ds_read_u8 v0, v30 offset:256
	s_waitcnt lgkmcnt(0)
	v_lshrrev_b32_e32 v0, s69, v0
	v_and_b32_e32 v73, s84, v0
	s_or_b64 exec, exec, s[52:53]
	s_and_saveexec_b64 s[52:53], s[44:45]
	s_cbranch_execnz .LBB1533_467
.LBB1533_482:                           ;   in Loop: Header=BB1533_400 Depth=2
	s_or_b64 exec, exec, s[52:53]
	s_and_saveexec_b64 s[52:53], s[42:43]
	s_cbranch_execz .LBB1533_468
.LBB1533_483:                           ;   in Loop: Header=BB1533_400 Depth=2
	ds_read_u8 v0, v30 offset:768
	s_waitcnt lgkmcnt(0)
	v_lshrrev_b32_e32 v0, s69, v0
	v_and_b32_e32 v70, s84, v0
	s_or_b64 exec, exec, s[52:53]
	s_and_saveexec_b64 s[52:53], s[40:41]
	s_cbranch_execnz .LBB1533_469
.LBB1533_484:                           ;   in Loop: Header=BB1533_400 Depth=2
	s_or_b64 exec, exec, s[52:53]
	s_and_saveexec_b64 s[52:53], s[38:39]
	s_cbranch_execz .LBB1533_470
.LBB1533_485:                           ;   in Loop: Header=BB1533_400 Depth=2
	ds_read_u8 v0, v30 offset:1280
	s_waitcnt lgkmcnt(0)
	v_lshrrev_b32_e32 v0, s69, v0
	v_and_b32_e32 v68, s84, v0
	s_or_b64 exec, exec, s[52:53]
	s_and_saveexec_b64 s[52:53], s[36:37]
	s_cbranch_execnz .LBB1533_471
.LBB1533_486:                           ;   in Loop: Header=BB1533_400 Depth=2
	s_or_b64 exec, exec, s[52:53]
	s_and_saveexec_b64 s[52:53], vcc
	s_cbranch_execz .LBB1533_488
.LBB1533_487:                           ;   in Loop: Header=BB1533_400 Depth=2
	ds_read_u8 v0, v30 offset:1792
	s_waitcnt lgkmcnt(0)
	v_lshrrev_b32_e32 v0, s69, v0
	v_and_b32_e32 v66, s84, v0
.LBB1533_488:                           ;   in Loop: Header=BB1533_400 Depth=2
	s_or_b64 exec, exec, s[52:53]
	v_lshlrev_b32_e32 v0, 3, v97
	s_barrier
	s_waitcnt vmcnt(0)
	ds_write_b64 v0, v[18:19] offset:1024
	v_lshlrev_b32_e32 v0, 3, v96
	ds_write_b64 v0, v[16:17] offset:1024
	v_lshlrev_b32_e32 v0, 3, v95
	;; [unrolled: 2-line block ×7, first 2 shown]
	ds_write_b64 v0, v[4:5] offset:1024
	s_waitcnt lgkmcnt(0)
	s_barrier
	s_and_saveexec_b64 s[52:53], s[48:49]
	s_cbranch_execz .LBB1533_496
; %bb.489:                              ;   in Loop: Header=BB1533_400 Depth=2
	v_lshlrev_b32_e32 v0, 2, v75
	ds_read_b32 v0, v0
	v_add_u32_e32 v20, v2, v50
	ds_read_b64 v[20:21], v20 offset:1024
	v_mov_b32_e32 v23, s65
	s_waitcnt lgkmcnt(1)
	v_add_u32_e32 v0, v0, v2
	v_lshlrev_b64 v[90:91], 3, v[0:1]
	v_add_co_u32_e64 v90, s[48:49], s64, v90
	v_addc_co_u32_e64 v91, s[48:49], v23, v91, s[48:49]
	s_waitcnt lgkmcnt(0)
	global_store_dwordx2 v[90:91], v[20:21], off
	s_or_b64 exec, exec, s[52:53]
	s_and_saveexec_b64 s[48:49], s[46:47]
	s_cbranch_execnz .LBB1533_497
.LBB1533_490:                           ;   in Loop: Header=BB1533_400 Depth=2
	s_or_b64 exec, exec, s[48:49]
	s_and_saveexec_b64 s[46:47], s[44:45]
	s_cbranch_execz .LBB1533_498
.LBB1533_491:                           ;   in Loop: Header=BB1533_400 Depth=2
	v_lshlrev_b32_e32 v0, 2, v71
	ds_read_b32 v0, v0
	v_add_u32_e32 v20, v30, v50
	ds_read_b64 v[20:21], v20 offset:4096
	v_mov_b32_e32 v23, s65
	s_waitcnt lgkmcnt(1)
	v_add_u32_e32 v0, v0, v25
	v_lshlrev_b64 v[90:91], 3, v[0:1]
	v_add_co_u32_e64 v90, s[44:45], s64, v90
	v_addc_co_u32_e64 v91, s[44:45], v23, v91, s[44:45]
	s_waitcnt lgkmcnt(0)
	global_store_dwordx2 v[90:91], v[20:21], off
	s_or_b64 exec, exec, s[46:47]
	s_and_saveexec_b64 s[44:45], s[42:43]
	s_cbranch_execnz .LBB1533_499
.LBB1533_492:                           ;   in Loop: Header=BB1533_400 Depth=2
	s_or_b64 exec, exec, s[44:45]
	s_and_saveexec_b64 s[42:43], s[40:41]
	s_cbranch_execz .LBB1533_500
.LBB1533_493:                           ;   in Loop: Header=BB1533_400 Depth=2
	v_lshlrev_b32_e32 v0, 2, v69
	ds_read_b32 v0, v0
	v_add_u32_e32 v20, v30, v50
	ds_read_b64 v[20:21], v20 offset:8192
	v_mov_b32_e32 v23, s65
	s_waitcnt lgkmcnt(1)
	v_add_u32_e32 v0, v0, v30
	v_lshlrev_b64 v[90:91], 3, v[0:1]
	v_add_co_u32_e64 v90, s[40:41], s64, v90
	v_addc_co_u32_e64 v91, s[40:41], v23, v91, s[40:41]
	s_waitcnt lgkmcnt(0)
	global_store_dwordx2 v[90:91], v[20:21], off
	s_or_b64 exec, exec, s[42:43]
	s_and_saveexec_b64 s[40:41], s[38:39]
	s_cbranch_execnz .LBB1533_501
.LBB1533_494:                           ;   in Loop: Header=BB1533_400 Depth=2
	s_or_b64 exec, exec, s[40:41]
	s_and_saveexec_b64 s[38:39], s[36:37]
	s_cbranch_execz .LBB1533_502
.LBB1533_495:                           ;   in Loop: Header=BB1533_400 Depth=2
	v_lshlrev_b32_e32 v0, 2, v67
	ds_read_b32 v0, v0
	v_add_u32_e32 v20, v30, v50
	ds_read_b64 v[20:21], v20 offset:12288
	v_mov_b32_e32 v23, s65
	s_waitcnt lgkmcnt(1)
	v_add_u32_e32 v0, v0, v32
	v_lshlrev_b64 v[90:91], 3, v[0:1]
	v_add_co_u32_e64 v90, s[36:37], s64, v90
	v_addc_co_u32_e64 v91, s[36:37], v23, v91, s[36:37]
	s_waitcnt lgkmcnt(0)
	global_store_dwordx2 v[90:91], v[20:21], off
	s_or_b64 exec, exec, s[38:39]
	s_and_saveexec_b64 s[36:37], vcc
	s_cbranch_execnz .LBB1533_503
	s_branch .LBB1533_504
.LBB1533_496:                           ;   in Loop: Header=BB1533_400 Depth=2
	s_or_b64 exec, exec, s[52:53]
	s_and_saveexec_b64 s[48:49], s[46:47]
	s_cbranch_execz .LBB1533_490
.LBB1533_497:                           ;   in Loop: Header=BB1533_400 Depth=2
	v_lshlrev_b32_e32 v0, 2, v73
	ds_read_b32 v0, v0
	v_add_u32_e32 v20, v30, v50
	ds_read_b64 v[20:21], v20 offset:2048
	v_mov_b32_e32 v23, s65
	s_waitcnt lgkmcnt(1)
	v_add_u32_e32 v0, v0, v24
	v_lshlrev_b64 v[90:91], 3, v[0:1]
	v_add_co_u32_e64 v90, s[46:47], s64, v90
	v_addc_co_u32_e64 v91, s[46:47], v23, v91, s[46:47]
	s_waitcnt lgkmcnt(0)
	global_store_dwordx2 v[90:91], v[20:21], off
	s_or_b64 exec, exec, s[48:49]
	s_and_saveexec_b64 s[46:47], s[44:45]
	s_cbranch_execnz .LBB1533_491
.LBB1533_498:                           ;   in Loop: Header=BB1533_400 Depth=2
	s_or_b64 exec, exec, s[46:47]
	s_and_saveexec_b64 s[44:45], s[42:43]
	s_cbranch_execz .LBB1533_492
.LBB1533_499:                           ;   in Loop: Header=BB1533_400 Depth=2
	v_lshlrev_b32_e32 v0, 2, v70
	ds_read_b32 v0, v0
	v_add_u32_e32 v20, v30, v50
	ds_read_b64 v[20:21], v20 offset:6144
	v_mov_b32_e32 v23, s65
	s_waitcnt lgkmcnt(1)
	v_add_u32_e32 v0, v0, v26
	v_lshlrev_b64 v[90:91], 3, v[0:1]
	v_add_co_u32_e64 v90, s[42:43], s64, v90
	v_addc_co_u32_e64 v91, s[42:43], v23, v91, s[42:43]
	s_waitcnt lgkmcnt(0)
	global_store_dwordx2 v[90:91], v[20:21], off
	s_or_b64 exec, exec, s[44:45]
	s_and_saveexec_b64 s[42:43], s[40:41]
	s_cbranch_execnz .LBB1533_493
.LBB1533_500:                           ;   in Loop: Header=BB1533_400 Depth=2
	s_or_b64 exec, exec, s[42:43]
	s_and_saveexec_b64 s[40:41], s[38:39]
	s_cbranch_execz .LBB1533_494
.LBB1533_501:                           ;   in Loop: Header=BB1533_400 Depth=2
	v_lshlrev_b32_e32 v0, 2, v68
	ds_read_b32 v0, v0
	v_add_u32_e32 v20, v30, v50
	ds_read_b64 v[20:21], v20 offset:10240
	v_mov_b32_e32 v23, s65
	s_waitcnt lgkmcnt(1)
	v_add_u32_e32 v0, v0, v31
	v_lshlrev_b64 v[90:91], 3, v[0:1]
	v_add_co_u32_e64 v90, s[38:39], s64, v90
	v_addc_co_u32_e64 v91, s[38:39], v23, v91, s[38:39]
	s_waitcnt lgkmcnt(0)
	global_store_dwordx2 v[90:91], v[20:21], off
	s_or_b64 exec, exec, s[40:41]
	s_and_saveexec_b64 s[38:39], s[36:37]
	s_cbranch_execnz .LBB1533_495
.LBB1533_502:                           ;   in Loop: Header=BB1533_400 Depth=2
	s_or_b64 exec, exec, s[38:39]
	s_and_saveexec_b64 s[36:37], vcc
	s_cbranch_execz .LBB1533_504
.LBB1533_503:                           ;   in Loop: Header=BB1533_400 Depth=2
	v_lshlrev_b32_e32 v0, 2, v66
	ds_read_b32 v0, v0
	v_add_u32_e32 v20, v30, v50
	ds_read_b64 v[20:21], v20 offset:14336
	v_mov_b32_e32 v23, s65
	s_waitcnt lgkmcnt(1)
	v_add_u32_e32 v0, v0, v33
	v_lshlrev_b64 v[90:91], 3, v[0:1]
	v_add_co_u32_e32 v90, vcc, s64, v90
	v_addc_co_u32_e32 v91, vcc, v23, v91, vcc
	s_waitcnt lgkmcnt(0)
	global_store_dwordx2 v[90:91], v[20:21], off
.LBB1533_504:                           ;   in Loop: Header=BB1533_400 Depth=2
	s_or_b64 exec, exec, s[36:37]
	s_barrier
	s_and_saveexec_b64 s[36:37], s[4:5]
	s_cbranch_execz .LBB1533_399
; %bb.505:                              ;   in Loop: Header=BB1533_400 Depth=2
	ds_read_b32 v0, v3
	s_waitcnt lgkmcnt(0)
	v_add_u32_e32 v0, v0, v22
	ds_write_b32 v3, v0
	s_branch .LBB1533_399
.LBB1533_506:                           ;   in Loop: Header=BB1533_400 Depth=2
	s_or_b64 exec, exec, s[36:37]
	v_cmp_gt_u32_e32 vcc, s85, v79
	s_and_saveexec_b64 s[36:37], vcc
	s_cbranch_execz .LBB1533_405
.LBB1533_507:                           ;   in Loop: Header=BB1533_400 Depth=2
	global_load_ubyte v0, v[22:23], off offset:64
	s_waitcnt vmcnt(0)
	v_perm_b32 v20, v20, v0, s78
	s_or_b64 exec, exec, s[36:37]
	v_cmp_gt_u32_e32 vcc, s85, v80
	s_and_saveexec_b64 s[36:37], vcc
	s_cbranch_execnz .LBB1533_406
.LBB1533_508:                           ;   in Loop: Header=BB1533_400 Depth=2
	s_or_b64 exec, exec, s[36:37]
	v_cmp_gt_u32_e32 vcc, s85, v81
	s_and_saveexec_b64 s[36:37], vcc
	s_cbranch_execz .LBB1533_407
.LBB1533_509:                           ;   in Loop: Header=BB1533_400 Depth=2
	global_load_ubyte v0, v[22:23], off offset:192
	v_and_b32_sdwa v89, v20, s68 dst_sel:DWORD dst_unused:UNUSED_PAD src0_sel:WORD_1 src1_sel:DWORD
	s_waitcnt vmcnt(0)
	v_lshlrev_b16_e32 v0, 8, v0
	v_or_b32_sdwa v0, v89, v0 dst_sel:WORD_1 dst_unused:UNUSED_PAD src0_sel:DWORD src1_sel:DWORD
	v_and_or_b32 v20, v20, s77, v0
	s_or_b64 exec, exec, s[36:37]
	v_cmp_gt_u32_e32 vcc, s85, v82
	s_and_saveexec_b64 s[36:37], vcc
	s_cbranch_execnz .LBB1533_408
.LBB1533_510:                           ;   in Loop: Header=BB1533_400 Depth=2
	s_or_b64 exec, exec, s[36:37]
	v_cmp_gt_u32_e32 vcc, s85, v83
	s_and_saveexec_b64 s[36:37], vcc
	s_cbranch_execz .LBB1533_409
.LBB1533_511:                           ;   in Loop: Header=BB1533_400 Depth=2
	global_load_ubyte v0, v[22:23], off offset:320
	s_waitcnt vmcnt(0)
	v_perm_b32 v21, v21, v0, s78
	s_or_b64 exec, exec, s[36:37]
	v_cmp_gt_u32_e32 vcc, s85, v84
	s_and_saveexec_b64 s[36:37], vcc
	s_cbranch_execnz .LBB1533_410
	s_branch .LBB1533_411
.LBB1533_512:                           ;   in Loop: Header=BB1533_12 Depth=1
	s_waitcnt lgkmcnt(0)
	s_barrier
	s_mov_b64 s[16:17], 0
.LBB1533_513:                           ;   in Loop: Header=BB1533_12 Depth=1
	s_and_b64 vcc, exec, s[16:17]
	s_cbranch_vccz .LBB1533_11
; %bb.514:                              ;   in Loop: Header=BB1533_12 Depth=1
	s_mov_b32 s20, s71
	s_mov_b32 s22, s51
	s_barrier
	s_waitcnt lgkmcnt(0)
                                        ; implicit-def: $vgpr0
                                        ; implicit-def: $vgpr6
                                        ; implicit-def: $vgpr7
                                        ; implicit-def: $vgpr8
                                        ; implicit-def: $vgpr9
                                        ; implicit-def: $vgpr10
                                        ; implicit-def: $vgpr11
                                        ; implicit-def: $vgpr12
	s_branch .LBB1533_516
.LBB1533_515:                           ;   in Loop: Header=BB1533_516 Depth=2
	s_or_b64 exec, exec, s[16:17]
	s_addk_i32 s20, 0xf800
	s_cmp_ge_u32 s21, s76
	s_mov_b32 s22, s21
	s_cbranch_scc1 .LBB1533_554
.LBB1533_516:                           ;   Parent Loop BB1533_12 Depth=1
                                        ; =>  This Inner Loop Header: Depth=2
	s_add_i32 s21, s22, 0x800
	s_cmp_gt_u32 s21, s76
	s_cbranch_scc1 .LBB1533_519
; %bb.517:                              ;   in Loop: Header=BB1533_516 Depth=2
	v_add_co_u32_e32 v4, vcc, s22, v57
	v_addc_co_u32_e32 v5, vcc, 0, v58, vcc
	global_load_ubyte v20, v[4:5], off offset:1536
	global_load_ubyte v19, v[4:5], off offset:1280
	;; [unrolled: 1-line block ×6, first 2 shown]
	global_load_ubyte v14, v[4:5], off
	v_add_co_u32_e32 v4, vcc, 0x700, v4
	v_addc_co_u32_e32 v5, vcc, 0, v5, vcc
	s_mov_b64 s[16:17], -1
	s_movk_i32 s25, 0x800
	s_cbranch_execz .LBB1533_520
; %bb.518:                              ;   in Loop: Header=BB1533_516 Depth=2
                                        ; implicit-def: $vgpr0
                                        ; implicit-def: $vgpr6
                                        ; implicit-def: $vgpr7
                                        ; implicit-def: $vgpr8
                                        ; implicit-def: $vgpr9
                                        ; implicit-def: $vgpr10
                                        ; implicit-def: $vgpr11
                                        ; implicit-def: $vgpr12
	v_mov_b32_e32 v13, s20
	s_and_saveexec_b64 s[18:19], s[16:17]
	s_cbranch_execnz .LBB1533_531
	s_branch .LBB1533_532
.LBB1533_519:                           ;   in Loop: Header=BB1533_516 Depth=2
	s_mov_b64 s[16:17], 0
                                        ; implicit-def: $sgpr25
                                        ; implicit-def: $vgpr14
                                        ; implicit-def: $vgpr15
                                        ; implicit-def: $vgpr16
                                        ; implicit-def: $vgpr17
                                        ; implicit-def: $vgpr18
                                        ; implicit-def: $vgpr19
                                        ; implicit-def: $vgpr20
                                        ; implicit-def: $vgpr4_vgpr5
.LBB1533_520:                           ;   in Loop: Header=BB1533_516 Depth=2
	s_add_u32 s23, s56, s22
	s_addc_u32 s24, s57, 0
	v_cmp_gt_u32_e32 vcc, s20, v2
	s_and_saveexec_b64 s[18:19], vcc
	s_cbranch_execz .LBB1533_548
; %bb.521:                              ;   in Loop: Header=BB1533_516 Depth=2
	v_mov_b32_e32 v0, s24
	v_add_co_u32_e32 v4, vcc, s23, v2
	v_addc_co_u32_e32 v5, vcc, 0, v0, vcc
	global_load_ubyte v0, v[4:5], off
	s_or_b64 exec, exec, s[18:19]
	v_cmp_gt_u32_e32 vcc, s20, v24
	s_and_saveexec_b64 s[18:19], vcc
	s_cbranch_execnz .LBB1533_549
.LBB1533_522:                           ;   in Loop: Header=BB1533_516 Depth=2
	s_or_b64 exec, exec, s[18:19]
	v_cmp_gt_u32_e32 vcc, s20, v25
	s_and_saveexec_b64 s[18:19], vcc
	s_cbranch_execz .LBB1533_550
.LBB1533_523:                           ;   in Loop: Header=BB1533_516 Depth=2
	v_mov_b32_e32 v5, s24
	v_add_co_u32_e32 v4, vcc, s23, v2
	v_addc_co_u32_e32 v5, vcc, 0, v5, vcc
	global_load_ubyte v7, v[4:5], off offset:512
	s_or_b64 exec, exec, s[18:19]
	v_cmp_gt_u32_e32 vcc, s20, v26
	s_and_saveexec_b64 s[18:19], vcc
	s_cbranch_execnz .LBB1533_551
.LBB1533_524:                           ;   in Loop: Header=BB1533_516 Depth=2
	s_or_b64 exec, exec, s[18:19]
	v_cmp_gt_u32_e32 vcc, s20, v30
	s_and_saveexec_b64 s[18:19], vcc
	s_cbranch_execz .LBB1533_552
.LBB1533_525:                           ;   in Loop: Header=BB1533_516 Depth=2
	v_mov_b32_e32 v5, s24
	v_add_co_u32_e32 v4, vcc, s23, v2
	v_addc_co_u32_e32 v5, vcc, 0, v5, vcc
	global_load_ubyte v9, v[4:5], off offset:1024
	s_or_b64 exec, exec, s[18:19]
	v_cmp_gt_u32_e32 vcc, s20, v31
	s_and_saveexec_b64 s[18:19], vcc
	s_cbranch_execnz .LBB1533_553
.LBB1533_526:                           ;   in Loop: Header=BB1533_516 Depth=2
	s_or_b64 exec, exec, s[18:19]
	v_cmp_gt_u32_e32 vcc, s20, v32
	s_and_saveexec_b64 s[18:19], vcc
	s_cbranch_execz .LBB1533_528
.LBB1533_527:                           ;   in Loop: Header=BB1533_516 Depth=2
	v_mov_b32_e32 v5, s24
	v_add_co_u32_e32 v4, vcc, s23, v2
	v_addc_co_u32_e32 v5, vcc, 0, v5, vcc
	global_load_ubyte v11, v[4:5], off offset:1536
.LBB1533_528:                           ;   in Loop: Header=BB1533_516 Depth=2
	s_or_b64 exec, exec, s[18:19]
	v_cmp_gt_u32_e32 vcc, s20, v33
                                        ; implicit-def: $sgpr25
                                        ; implicit-def: $vgpr4_vgpr5
	s_and_saveexec_b64 s[18:19], vcc
	s_cbranch_execz .LBB1533_530
; %bb.529:                              ;   in Loop: Header=BB1533_516 Depth=2
	v_mov_b32_e32 v4, s24
	v_add_co_u32_e32 v5, vcc, s23, v2
	s_waitcnt vmcnt(0)
	v_addc_co_u32_e32 v12, vcc, 0, v4, vcc
	v_add_co_u32_e32 v4, vcc, 0x700, v5
	s_sub_i32 s25, s76, s22
	v_addc_co_u32_e32 v5, vcc, 0, v12, vcc
	s_or_b64 s[16:17], s[16:17], exec
                                        ; implicit-def: $vgpr12
.LBB1533_530:                           ;   in Loop: Header=BB1533_516 Depth=2
	s_or_b64 exec, exec, s[18:19]
	s_waitcnt vmcnt(0)
	v_mov_b32_e32 v14, v0
	v_mov_b32_e32 v15, v6
	;; [unrolled: 1-line block ×8, first 2 shown]
	s_and_saveexec_b64 s[18:19], s[16:17]
	s_cbranch_execz .LBB1533_532
.LBB1533_531:                           ;   in Loop: Header=BB1533_516 Depth=2
	global_load_ubyte v12, v[4:5], off
	v_mov_b32_e32 v13, s25
	s_waitcnt vmcnt(1)
	v_mov_b32_e32 v0, v14
	v_mov_b32_e32 v6, v15
	;; [unrolled: 1-line block ×7, first 2 shown]
.LBB1533_532:                           ;   in Loop: Header=BB1533_516 Depth=2
	s_or_b64 exec, exec, s[18:19]
	v_cmp_lt_u32_e32 vcc, v2, v13
	v_lshlrev_b32_e32 v4, 2, v27
	s_and_saveexec_b64 s[16:17], vcc
	s_cbranch_execz .LBB1533_540
; %bb.533:                              ;   in Loop: Header=BB1533_516 Depth=2
	v_xor_b32_e32 v5, -1, v0
	v_and_b32_e32 v5, 1, v5
	v_lshrrev_b32_sdwa v5, s69, v5 dst_sel:DWORD dst_unused:UNUSED_PAD src0_sel:DWORD src1_sel:WORD_0
	v_and_b32_e32 v5, s84, v5
	v_lshl_or_b32 v5, v5, 4, v4
	ds_add_u32 v5, v63
	s_or_b64 exec, exec, s[16:17]
	v_cmp_lt_u32_e32 vcc, v24, v13
	s_and_saveexec_b64 s[16:17], vcc
	s_cbranch_execnz .LBB1533_541
.LBB1533_534:                           ;   in Loop: Header=BB1533_516 Depth=2
	s_or_b64 exec, exec, s[16:17]
	v_cmp_lt_u32_e32 vcc, v25, v13
	s_and_saveexec_b64 s[16:17], vcc
	s_cbranch_execz .LBB1533_542
.LBB1533_535:                           ;   in Loop: Header=BB1533_516 Depth=2
	v_xor_b32_e32 v5, -1, v7
	v_and_b32_e32 v5, 1, v5
	v_lshrrev_b32_sdwa v5, s69, v5 dst_sel:DWORD dst_unused:UNUSED_PAD src0_sel:DWORD src1_sel:WORD_0
	v_and_b32_e32 v5, s84, v5
	v_lshl_or_b32 v5, v5, 4, v4
	ds_add_u32 v5, v63
	s_or_b64 exec, exec, s[16:17]
	v_cmp_lt_u32_e32 vcc, v26, v13
	s_and_saveexec_b64 s[16:17], vcc
	s_cbranch_execnz .LBB1533_543
.LBB1533_536:                           ;   in Loop: Header=BB1533_516 Depth=2
	s_or_b64 exec, exec, s[16:17]
	v_cmp_lt_u32_e32 vcc, v30, v13
	s_and_saveexec_b64 s[16:17], vcc
	s_cbranch_execz .LBB1533_544
.LBB1533_537:                           ;   in Loop: Header=BB1533_516 Depth=2
	v_xor_b32_e32 v5, -1, v9
	v_and_b32_e32 v5, 1, v5
	v_lshrrev_b32_sdwa v5, s69, v5 dst_sel:DWORD dst_unused:UNUSED_PAD src0_sel:DWORD src1_sel:WORD_0
	v_and_b32_e32 v5, s84, v5
	v_lshl_or_b32 v5, v5, 4, v4
	ds_add_u32 v5, v63
	s_or_b64 exec, exec, s[16:17]
	v_cmp_lt_u32_e32 vcc, v31, v13
	s_and_saveexec_b64 s[16:17], vcc
	s_cbranch_execnz .LBB1533_545
.LBB1533_538:                           ;   in Loop: Header=BB1533_516 Depth=2
	s_or_b64 exec, exec, s[16:17]
	v_cmp_lt_u32_e32 vcc, v32, v13
	s_and_saveexec_b64 s[16:17], vcc
	s_cbranch_execz .LBB1533_546
.LBB1533_539:                           ;   in Loop: Header=BB1533_516 Depth=2
	v_xor_b32_e32 v5, -1, v11
	v_and_b32_e32 v5, 1, v5
	v_lshrrev_b32_sdwa v5, s69, v5 dst_sel:DWORD dst_unused:UNUSED_PAD src0_sel:DWORD src1_sel:WORD_0
	v_and_b32_e32 v5, s84, v5
	v_lshl_or_b32 v5, v5, 4, v4
	ds_add_u32 v5, v63
	s_or_b64 exec, exec, s[16:17]
	v_cmp_lt_u32_e32 vcc, v33, v13
	s_and_saveexec_b64 s[16:17], vcc
	s_cbranch_execz .LBB1533_515
	s_branch .LBB1533_547
.LBB1533_540:                           ;   in Loop: Header=BB1533_516 Depth=2
	s_or_b64 exec, exec, s[16:17]
	v_cmp_lt_u32_e32 vcc, v24, v13
	s_and_saveexec_b64 s[16:17], vcc
	s_cbranch_execz .LBB1533_534
.LBB1533_541:                           ;   in Loop: Header=BB1533_516 Depth=2
	v_xor_b32_e32 v5, -1, v6
	v_and_b32_e32 v5, 1, v5
	v_lshrrev_b32_sdwa v5, s69, v5 dst_sel:DWORD dst_unused:UNUSED_PAD src0_sel:DWORD src1_sel:WORD_0
	v_and_b32_e32 v5, s84, v5
	v_lshl_or_b32 v5, v5, 4, v4
	ds_add_u32 v5, v63
	s_or_b64 exec, exec, s[16:17]
	v_cmp_lt_u32_e32 vcc, v25, v13
	s_and_saveexec_b64 s[16:17], vcc
	s_cbranch_execnz .LBB1533_535
.LBB1533_542:                           ;   in Loop: Header=BB1533_516 Depth=2
	s_or_b64 exec, exec, s[16:17]
	v_cmp_lt_u32_e32 vcc, v26, v13
	s_and_saveexec_b64 s[16:17], vcc
	s_cbranch_execz .LBB1533_536
.LBB1533_543:                           ;   in Loop: Header=BB1533_516 Depth=2
	v_xor_b32_e32 v5, -1, v8
	v_and_b32_e32 v5, 1, v5
	v_lshrrev_b32_sdwa v5, s69, v5 dst_sel:DWORD dst_unused:UNUSED_PAD src0_sel:DWORD src1_sel:WORD_0
	v_and_b32_e32 v5, s84, v5
	v_lshl_or_b32 v5, v5, 4, v4
	ds_add_u32 v5, v63
	s_or_b64 exec, exec, s[16:17]
	v_cmp_lt_u32_e32 vcc, v30, v13
	s_and_saveexec_b64 s[16:17], vcc
	s_cbranch_execnz .LBB1533_537
.LBB1533_544:                           ;   in Loop: Header=BB1533_516 Depth=2
	s_or_b64 exec, exec, s[16:17]
	v_cmp_lt_u32_e32 vcc, v31, v13
	s_and_saveexec_b64 s[16:17], vcc
	s_cbranch_execz .LBB1533_538
.LBB1533_545:                           ;   in Loop: Header=BB1533_516 Depth=2
	v_xor_b32_e32 v5, -1, v10
	v_and_b32_e32 v5, 1, v5
	v_lshrrev_b32_sdwa v5, s69, v5 dst_sel:DWORD dst_unused:UNUSED_PAD src0_sel:DWORD src1_sel:WORD_0
	v_and_b32_e32 v5, s84, v5
	v_lshl_or_b32 v5, v5, 4, v4
	ds_add_u32 v5, v63
	s_or_b64 exec, exec, s[16:17]
	v_cmp_lt_u32_e32 vcc, v32, v13
	s_and_saveexec_b64 s[16:17], vcc
	s_cbranch_execnz .LBB1533_539
.LBB1533_546:                           ;   in Loop: Header=BB1533_516 Depth=2
	s_or_b64 exec, exec, s[16:17]
	v_cmp_lt_u32_e32 vcc, v33, v13
	s_and_saveexec_b64 s[16:17], vcc
	s_cbranch_execz .LBB1533_515
.LBB1533_547:                           ;   in Loop: Header=BB1533_516 Depth=2
	s_waitcnt vmcnt(0)
	v_xor_b32_e32 v5, -1, v12
	v_and_b32_e32 v5, 1, v5
	v_lshrrev_b32_sdwa v5, s69, v5 dst_sel:DWORD dst_unused:UNUSED_PAD src0_sel:DWORD src1_sel:WORD_0
	v_and_b32_e32 v5, s84, v5
	v_lshl_or_b32 v4, v5, 4, v4
	ds_add_u32 v4, v63
	s_branch .LBB1533_515
.LBB1533_548:                           ;   in Loop: Header=BB1533_516 Depth=2
	s_or_b64 exec, exec, s[18:19]
	v_cmp_gt_u32_e32 vcc, s20, v24
	s_and_saveexec_b64 s[18:19], vcc
	s_cbranch_execz .LBB1533_522
.LBB1533_549:                           ;   in Loop: Header=BB1533_516 Depth=2
	v_mov_b32_e32 v5, s24
	v_add_co_u32_e32 v4, vcc, s23, v2
	v_addc_co_u32_e32 v5, vcc, 0, v5, vcc
	global_load_ubyte v6, v[4:5], off offset:256
	s_or_b64 exec, exec, s[18:19]
	v_cmp_gt_u32_e32 vcc, s20, v25
	s_and_saveexec_b64 s[18:19], vcc
	s_cbranch_execnz .LBB1533_523
.LBB1533_550:                           ;   in Loop: Header=BB1533_516 Depth=2
	s_or_b64 exec, exec, s[18:19]
	v_cmp_gt_u32_e32 vcc, s20, v26
	s_and_saveexec_b64 s[18:19], vcc
	s_cbranch_execz .LBB1533_524
.LBB1533_551:                           ;   in Loop: Header=BB1533_516 Depth=2
	v_mov_b32_e32 v5, s24
	v_add_co_u32_e32 v4, vcc, s23, v2
	v_addc_co_u32_e32 v5, vcc, 0, v5, vcc
	global_load_ubyte v8, v[4:5], off offset:768
	s_or_b64 exec, exec, s[18:19]
	v_cmp_gt_u32_e32 vcc, s20, v30
	s_and_saveexec_b64 s[18:19], vcc
	s_cbranch_execnz .LBB1533_525
.LBB1533_552:                           ;   in Loop: Header=BB1533_516 Depth=2
	s_or_b64 exec, exec, s[18:19]
	v_cmp_gt_u32_e32 vcc, s20, v31
	s_and_saveexec_b64 s[18:19], vcc
	s_cbranch_execz .LBB1533_526
.LBB1533_553:                           ;   in Loop: Header=BB1533_516 Depth=2
	v_mov_b32_e32 v5, s24
	v_add_co_u32_e32 v4, vcc, s23, v2
	v_addc_co_u32_e32 v5, vcc, 0, v5, vcc
	global_load_ubyte v10, v[4:5], off offset:1280
	s_or_b64 exec, exec, s[18:19]
	v_cmp_gt_u32_e32 vcc, s20, v32
	s_and_saveexec_b64 s[18:19], vcc
	s_cbranch_execz .LBB1533_528
	s_branch .LBB1533_527
.LBB1533_554:                           ;   in Loop: Header=BB1533_12 Depth=1
	v_mov_b32_e32 v0, 0
	s_waitcnt lgkmcnt(0)
	s_barrier
	s_and_saveexec_b64 s[16:17], s[4:5]
	s_cbranch_execz .LBB1533_556
; %bb.555:                              ;   in Loop: Header=BB1533_12 Depth=1
	ds_read2_b64 v[4:7], v34 offset1:1
	s_waitcnt lgkmcnt(0)
	v_add_u32_e32 v0, v5, v4
	v_add3_u32 v0, v0, v6, v7
.LBB1533_556:                           ;   in Loop: Header=BB1533_12 Depth=1
	s_or_b64 exec, exec, s[16:17]
	v_and_b32_e32 v4, 15, v64
	v_mov_b32_dpp v5, v0 row_shr:1 row_mask:0xf bank_mask:0xf
	v_cmp_eq_u32_e64 s[16:17], 0, v4
	v_cndmask_b32_e64 v5, v5, 0, s[16:17]
	v_add_u32_e32 v0, v5, v0
	v_cmp_lt_u32_e64 s[18:19], 1, v4
	v_cmp_lt_u32_e64 s[20:21], 3, v4
	v_mov_b32_dpp v5, v0 row_shr:2 row_mask:0xf bank_mask:0xf
	v_cndmask_b32_e64 v5, 0, v5, s[18:19]
	v_add_u32_e32 v0, v0, v5
	v_cmp_lt_u32_e64 s[22:23], 7, v4
	v_cmp_lt_u32_e64 s[26:27], 31, v64
	v_mov_b32_dpp v5, v0 row_shr:4 row_mask:0xf bank_mask:0xf
	v_cndmask_b32_e64 v5, 0, v5, s[20:21]
	v_add_u32_e32 v0, v0, v5
	v_and_b32_e32 v6, 16, v64
	v_cmp_eq_u32_e64 s[24:25], 0, v6
	v_mov_b32_dpp v5, v0 row_shr:8 row_mask:0xf bank_mask:0xf
	v_cndmask_b32_e64 v4, 0, v5, s[22:23]
	v_add_u32_e32 v0, v0, v4
	v_bfe_i32 v5, v64, 4, 1
	s_nop 0
	v_mov_b32_dpp v4, v0 row_bcast:15 row_mask:0xf bank_mask:0xf
	v_and_b32_e32 v4, v5, v4
	v_add_u32_e32 v0, v0, v4
	s_nop 1
	v_mov_b32_dpp v4, v0 row_bcast:31 row_mask:0xf bank_mask:0xf
	v_cndmask_b32_e64 v4, 0, v4, s[26:27]
	v_add_u32_e32 v4, v0, v4
	s_and_saveexec_b64 s[28:29], s[6:7]
	s_cbranch_execz .LBB1533_558
; %bb.557:                              ;   in Loop: Header=BB1533_12 Depth=1
	ds_write_b32 v36, v4
.LBB1533_558:                           ;   in Loop: Header=BB1533_12 Depth=1
	s_or_b64 exec, exec, s[28:29]
	v_and_b32_e32 v0, 3, v64
	s_waitcnt lgkmcnt(0)
	s_barrier
	s_and_saveexec_b64 s[28:29], s[8:9]
	s_cbranch_execz .LBB1533_560
; %bb.559:                              ;   in Loop: Header=BB1533_12 Depth=1
	ds_read_b32 v5, v37
	v_cmp_ne_u32_e32 vcc, 0, v0
	s_waitcnt lgkmcnt(0)
	v_mov_b32_dpp v6, v5 row_shr:1 row_mask:0xf bank_mask:0xf
	v_cndmask_b32_e32 v6, 0, v6, vcc
	v_add_u32_e32 v5, v6, v5
	v_cmp_lt_u32_e32 vcc, 1, v0
	s_nop 0
	v_mov_b32_dpp v6, v5 row_shr:2 row_mask:0xf bank_mask:0xf
	v_cndmask_b32_e32 v6, 0, v6, vcc
	v_add_u32_e32 v5, v5, v6
	ds_write_b32 v37, v5
.LBB1533_560:                           ;   in Loop: Header=BB1533_12 Depth=1
	s_or_b64 exec, exec, s[28:29]
	v_mov_b32_e32 v5, 0
	s_waitcnt lgkmcnt(0)
	s_barrier
	s_and_saveexec_b64 s[28:29], s[10:11]
	s_cbranch_execz .LBB1533_562
; %bb.561:                              ;   in Loop: Header=BB1533_12 Depth=1
	ds_read_b32 v5, v38
.LBB1533_562:                           ;   in Loop: Header=BB1533_12 Depth=1
	s_or_b64 exec, exec, s[28:29]
	v_add_u32_e32 v6, -1, v64
	v_and_b32_e32 v7, 64, v64
	v_cmp_lt_i32_e32 vcc, v6, v7
	v_cndmask_b32_e32 v6, v6, v64, vcc
	s_waitcnt lgkmcnt(0)
	v_add_u32_e32 v4, v5, v4
	v_lshlrev_b32_e32 v65, 2, v6
	ds_bpermute_b32 v4, v65, v4
	v_cmp_eq_u32_e64 s[28:29], 0, v64
	s_waitcnt lgkmcnt(0)
	s_barrier
	s_and_saveexec_b64 s[30:31], s[4:5]
	s_cbranch_execz .LBB1533_564
; %bb.563:                              ;   in Loop: Header=BB1533_12 Depth=1
	v_cndmask_b32_e64 v4, v4, v5, s[28:29]
	v_add_u32_e32 v4, s51, v4
	ds_write_b32 v3, v4
.LBB1533_564:                           ;   in Loop: Header=BB1533_12 Depth=1
	s_or_b64 exec, exec, s[30:31]
	s_load_dwordx2 s[30:31], s[74:75], 0x0
	s_mov_b32 s85, s71
	s_mov_b32 s72, s51
                                        ; implicit-def: $vgpr4_vgpr5
                                        ; implicit-def: $vgpr6_vgpr7
                                        ; implicit-def: $vgpr8_vgpr9
                                        ; implicit-def: $vgpr10_vgpr11
                                        ; implicit-def: $vgpr12_vgpr13
                                        ; implicit-def: $vgpr14_vgpr15
                                        ; implicit-def: $vgpr16_vgpr17
                                        ; implicit-def: $vgpr18_vgpr19
                                        ; implicit-def: $vgpr66
                                        ; implicit-def: $vgpr67
                                        ; implicit-def: $vgpr68
                                        ; implicit-def: $vgpr69
                                        ; implicit-def: $vgpr70
                                        ; implicit-def: $vgpr71
                                        ; implicit-def: $vgpr73
                                        ; implicit-def: $vgpr75
	s_waitcnt lgkmcnt(0)
	s_cmp_lt_u32 s50, s30
	s_cselect_b32 s34, 12, 18
	s_cmp_lt_u32 s33, s31
	s_cselect_b32 s30, 14, 20
	s_add_u32 s30, s74, s30
	s_addc_u32 s31, s75, 0
	s_add_u32 s34, s74, s34
	global_load_ushort v20, v1, s[30:31]
	s_addc_u32 s35, s75, 0
	global_load_ushort v21, v1, s[34:35]
	v_cmp_eq_u32_e64 s[30:31], 0, v0
	v_cmp_lt_u32_e64 s[34:35], 1, v0
	v_and_b32_e32 v0, 63, v64
	v_add_co_u32_e32 v74, vcc, v61, v0
	v_lshlrev_b32_e32 v22, 3, v0
	v_addc_co_u32_e32 v76, vcc, 0, v62, vcc
	v_add_co_u32_e32 v77, vcc, v59, v22
	v_or_b32_e32 v72, v0, v39
	v_addc_co_u32_e32 v78, vcc, 0, v60, vcc
	v_add_co_u32_e32 v86, vcc, 0x1c0, v74
	v_or_b32_e32 v79, 64, v72
	v_or_b32_e32 v80, 0x80, v72
	;; [unrolled: 1-line block ×7, first 2 shown]
	v_addc_co_u32_e32 v87, vcc, 0, v76, vcc
	s_waitcnt vmcnt(1)
	v_mad_u32_u24 v0, v40, v20, v41
	s_waitcnt vmcnt(0)
	v_mad_u64_u32 v[20:21], s[36:37], v0, v21, v[2:3]
	v_lshrrev_b32_e32 v88, 6, v20
	s_branch .LBB1533_566
.LBB1533_565:                           ;   in Loop: Header=BB1533_566 Depth=2
	s_or_b64 exec, exec, s[36:37]
	s_addk_i32 s85, 0xf800
	s_cmp_lt_u32 s86, s76
	s_mov_b32 s72, s86
	s_cbranch_scc0 .LBB1533_10
.LBB1533_566:                           ;   Parent Loop BB1533_12 Depth=1
                                        ; =>  This Inner Loop Header: Depth=2
	s_add_i32 s86, s72, 0x800
	s_cmp_gt_u32 s86, s76
	s_cbranch_scc1 .LBB1533_568
; %bb.567:                              ;   in Loop: Header=BB1533_566 Depth=2
	v_add_co_u32_e32 v20, vcc, s72, v74
	v_addc_co_u32_e32 v21, vcc, 0, v76, vcc
	global_load_ubyte v0, v[20:21], off offset:64
	global_load_ubyte v22, v[20:21], off offset:192
	global_load_ubyte v23, v[20:21], off offset:320
	global_load_ubyte v89, v[20:21], off
	global_load_ubyte v90, v[20:21], off offset:128
	global_load_ubyte v91, v[20:21], off offset:256
	s_nop 0
	global_load_ubyte v21, v[20:21], off offset:384
	s_mov_b64 s[36:37], -1
	s_movk_i32 s40, 0x800
	s_waitcnt vmcnt(6)
	v_lshlrev_b16_e32 v0, 8, v0
	s_waitcnt vmcnt(5)
	v_lshlrev_b16_e32 v20, 8, v22
	;; [unrolled: 2-line block ×3, first 2 shown]
	s_waitcnt vmcnt(3)
	v_or_b32_e32 v0, v89, v0
	s_waitcnt vmcnt(2)
	v_or_b32_sdwa v20, v90, v20 dst_sel:WORD_1 dst_unused:UNUSED_PAD src0_sel:DWORD src1_sel:DWORD
	s_waitcnt vmcnt(1)
	v_or_b32_e32 v22, v91, v22
	v_or_b32_sdwa v20, v0, v20 dst_sel:DWORD dst_unused:UNUSED_PAD src0_sel:WORD_0 src1_sel:DWORD
	v_and_b32_e32 v0, 0xffff, v22
	s_waitcnt vmcnt(0)
	v_lshl_or_b32 v21, v21, 16, v0
	s_cbranch_execz .LBB1533_569
	s_branch .LBB1533_578
.LBB1533_568:                           ;   in Loop: Header=BB1533_566 Depth=2
	s_mov_b64 s[36:37], 0
                                        ; implicit-def: $sgpr40
                                        ; implicit-def: $vgpr20_vgpr21
.LBB1533_569:                           ;   in Loop: Header=BB1533_566 Depth=2
	v_add_co_u32_e32 v22, vcc, s72, v74
	v_addc_co_u32_e32 v23, vcc, 0, v76, vcc
	s_mov_b32 s36, s73
	s_mov_b32 s37, s73
	v_cmp_gt_u32_e32 vcc, s85, v72
	v_pk_mov_b32 v[20:21], s[36:37], s[36:37] op_sel:[0,1]
	s_and_saveexec_b64 s[36:37], vcc
	s_cbranch_execz .LBB1533_672
; %bb.570:                              ;   in Loop: Header=BB1533_566 Depth=2
	global_load_ubyte v0, v[22:23], off
	v_mov_b32_e32 v21, s73
	s_waitcnt vmcnt(0)
	v_and_b32_e32 v20, 0xffff, v0
	s_or_b64 exec, exec, s[36:37]
	v_cmp_gt_u32_e32 vcc, s85, v79
	s_and_saveexec_b64 s[36:37], vcc
	s_cbranch_execnz .LBB1533_673
.LBB1533_571:                           ;   in Loop: Header=BB1533_566 Depth=2
	s_or_b64 exec, exec, s[36:37]
	v_cmp_gt_u32_e32 vcc, s85, v80
	s_and_saveexec_b64 s[36:37], vcc
	s_cbranch_execz .LBB1533_674
.LBB1533_572:                           ;   in Loop: Header=BB1533_566 Depth=2
	global_load_ubyte v0, v[22:23], off offset:128
	v_and_b32_sdwa v89, v20, s79 dst_sel:DWORD dst_unused:UNUSED_PAD src0_sel:WORD_1 src1_sel:DWORD
	s_waitcnt vmcnt(0)
	v_or_b32_sdwa v0, v0, v89 dst_sel:WORD_1 dst_unused:UNUSED_PAD src0_sel:DWORD src1_sel:DWORD
	v_and_or_b32 v20, v20, s77, v0
	s_or_b64 exec, exec, s[36:37]
	v_cmp_gt_u32_e32 vcc, s85, v81
	s_and_saveexec_b64 s[36:37], vcc
	s_cbranch_execnz .LBB1533_675
.LBB1533_573:                           ;   in Loop: Header=BB1533_566 Depth=2
	s_or_b64 exec, exec, s[36:37]
	v_cmp_gt_u32_e32 vcc, s85, v82
	s_and_saveexec_b64 s[36:37], vcc
	s_cbranch_execz .LBB1533_676
.LBB1533_574:                           ;   in Loop: Header=BB1533_566 Depth=2
	global_load_ubyte v0, v[22:23], off offset:256
	s_waitcnt vmcnt(0)
	v_perm_b32 v21, v0, v21, s80
	s_or_b64 exec, exec, s[36:37]
	v_cmp_gt_u32_e32 vcc, s85, v83
	s_and_saveexec_b64 s[36:37], vcc
	s_cbranch_execnz .LBB1533_677
.LBB1533_575:                           ;   in Loop: Header=BB1533_566 Depth=2
	s_or_b64 exec, exec, s[36:37]
	v_cmp_gt_u32_e32 vcc, s85, v84
	s_and_saveexec_b64 s[36:37], vcc
	s_cbranch_execz .LBB1533_577
.LBB1533_576:                           ;   in Loop: Header=BB1533_566 Depth=2
	global_load_ubyte v0, v[22:23], off offset:384
	s_waitcnt vmcnt(0)
	v_perm_b32 v21, v21, v0, s81
.LBB1533_577:                           ;   in Loop: Header=BB1533_566 Depth=2
	s_or_b64 exec, exec, s[36:37]
	s_sub_i32 s40, s76, s72
	v_cmp_gt_u32_e64 s[36:37], s85, v85
.LBB1533_578:                           ;   in Loop: Header=BB1533_566 Depth=2
	v_mov_b32_e32 v0, s85
	s_and_saveexec_b64 s[38:39], s[36:37]
	s_cbranch_execz .LBB1533_580
; %bb.579:                              ;   in Loop: Header=BB1533_566 Depth=2
	v_mov_b32_e32 v0, s73
	v_add_co_u32_e32 v22, vcc, s72, v86
	v_addc_co_u32_e32 v23, vcc, v87, v0, vcc
	global_load_ubyte v0, v[22:23], off
	s_waitcnt vmcnt(0)
	v_perm_b32 v21, v21, v0, s82
	v_mov_b32_e32 v0, s40
.LBB1533_580:                           ;   in Loop: Header=BB1533_566 Depth=2
	s_or_b64 exec, exec, s[38:39]
	v_and_b32_sdwa v22, v63, v20 dst_sel:DWORD dst_unused:UNUSED_PAD src0_sel:DWORD src1_sel:BYTE_1
	v_cmp_eq_u32_e64 s[46:47], 1, v22
	v_and_b32_sdwa v22, v63, v21 dst_sel:DWORD dst_unused:UNUSED_PAD src0_sel:DWORD src1_sel:BYTE_1
	v_cmp_eq_u32_e64 s[38:39], 1, v22
	v_and_b32_e32 v22, 0x1000000, v21
	v_cmp_ne_u32_e32 vcc, 0, v22
	v_and_b32_e32 v22, 0x10000, v21
	v_and_b32_e32 v21, 1, v21
	v_cmp_eq_u32_e64 s[40:41], 1, v21
	v_and_b32_e32 v21, 0x1000000, v20
	v_cmp_ne_u32_e64 s[42:43], 0, v21
	v_and_b32_e32 v21, 0x10000, v20
	v_and_b32_e32 v20, 1, v20
	v_cmp_eq_u32_e64 s[48:49], 1, v20
	s_xor_b64 s[48:49], s[48:49], -1
	v_add_u32_e32 v20, 0x410, v42
	v_cndmask_b32_e64 v89, 0, 1, s[48:49]
	ds_write2_b32 v20, v1, v1 offset1:1
	ds_write2_b32 v44, v1, v1 offset0:2 offset1:3
	ds_write_b32 v44, v1 offset:16
	v_lshrrev_b32_e32 v20, s69, v89
	v_and_b32_e32 v20, s84, v20
	v_cmp_ne_u32_e64 s[44:45], 0, v21
	v_mad_u32_u24 v21, v20, 5, v88
	v_cmp_ne_u32_e64 s[48:49], 0, v20
	v_add_co_u32_e64 v20, s[52:53], -1, v20
	v_lshl_add_u32 v92, v21, 2, v43
	v_addc_co_u32_e64 v21, s[52:53], 0, -1, s[52:53]
	v_xor_b32_e32 v20, s48, v20
	v_xor_b32_e32 v21, s49, v21
	v_and_b32_e32 v20, exec_lo, v20
	v_cmp_ne_u32_e64 s[36:37], 0, v22
	v_and_b32_e32 v21, exec_hi, v21
	v_mbcnt_lo_u32_b32 v22, v20, 0
	v_mbcnt_hi_u32_b32 v90, v21, v22
	v_cmp_eq_u32_e64 s[48:49], 0, v90
	v_cmp_ne_u64_e64 s[52:53], 0, v[20:21]
	s_and_b64 s[52:53], s[52:53], s[48:49]
	s_waitcnt lgkmcnt(0)
	s_barrier
	s_waitcnt lgkmcnt(0)
	; wave barrier
	s_and_saveexec_b64 s[48:49], s[52:53]
	s_cbranch_execz .LBB1533_582
; %bb.581:                              ;   in Loop: Header=BB1533_566 Depth=2
	v_bcnt_u32_b32 v20, v20, 0
	v_bcnt_u32_b32 v20, v21, v20
	ds_write_b32 v92, v20
.LBB1533_582:                           ;   in Loop: Header=BB1533_566 Depth=2
	s_or_b64 exec, exec, s[48:49]
	s_xor_b64 s[46:47], s[46:47], -1
	v_cndmask_b32_e64 v91, 0, 1, s[46:47]
	v_lshrrev_b32_e32 v20, s69, v91
	v_and_b32_e32 v20, s84, v20
	v_mul_u32_u24_e32 v21, 5, v20
	v_add_lshl_u32 v21, v21, v88, 2
	v_cmp_ne_u32_e64 s[46:47], 0, v20
	v_add_co_u32_e64 v20, s[48:49], -1, v20
	; wave barrier
	v_add_u32_e32 v95, 0x410, v21
	ds_read_b32 v93, v21 offset:1040
	v_addc_co_u32_e64 v21, s[48:49], 0, -1, s[48:49]
	v_xor_b32_e32 v20, s46, v20
	v_xor_b32_e32 v21, s47, v21
	v_and_b32_e32 v20, exec_lo, v20
	v_and_b32_e32 v21, exec_hi, v21
	v_mbcnt_lo_u32_b32 v22, v20, 0
	v_mbcnt_hi_u32_b32 v94, v21, v22
	v_cmp_eq_u32_e64 s[46:47], 0, v94
	v_cmp_ne_u64_e64 s[48:49], 0, v[20:21]
	s_and_b64 s[48:49], s[48:49], s[46:47]
	; wave barrier
	s_and_saveexec_b64 s[46:47], s[48:49]
	s_cbranch_execz .LBB1533_584
; %bb.583:                              ;   in Loop: Header=BB1533_566 Depth=2
	v_bcnt_u32_b32 v20, v20, 0
	v_bcnt_u32_b32 v20, v21, v20
	s_waitcnt lgkmcnt(0)
	v_add_u32_e32 v20, v93, v20
	ds_write_b32 v95, v20
.LBB1533_584:                           ;   in Loop: Header=BB1533_566 Depth=2
	s_or_b64 exec, exec, s[46:47]
	s_xor_b64 s[44:45], s[44:45], -1
	v_cndmask_b32_e64 v98, 0, 1, s[44:45]
	v_lshrrev_b32_e32 v20, s69, v98
	v_and_b32_e32 v20, s84, v20
	v_mul_u32_u24_e32 v21, 5, v20
	v_add_lshl_u32 v21, v21, v88, 2
	v_cmp_ne_u32_e64 s[44:45], 0, v20
	v_add_co_u32_e64 v20, s[46:47], -1, v20
	; wave barrier
	v_add_u32_e32 v96, 0x410, v21
	ds_read_b32 v99, v21 offset:1040
	v_addc_co_u32_e64 v21, s[46:47], 0, -1, s[46:47]
	v_xor_b32_e32 v20, s44, v20
	v_xor_b32_e32 v21, s45, v21
	v_and_b32_e32 v20, exec_lo, v20
	v_and_b32_e32 v21, exec_hi, v21
	v_mbcnt_lo_u32_b32 v22, v20, 0
	v_mbcnt_hi_u32_b32 v100, v21, v22
	v_cmp_eq_u32_e64 s[44:45], 0, v100
	v_cmp_ne_u64_e64 s[46:47], 0, v[20:21]
	s_and_b64 s[46:47], s[46:47], s[44:45]
	; wave barrier
	s_and_saveexec_b64 s[44:45], s[46:47]
	s_cbranch_execz .LBB1533_586
; %bb.585:                              ;   in Loop: Header=BB1533_566 Depth=2
	v_bcnt_u32_b32 v20, v20, 0
	v_bcnt_u32_b32 v20, v21, v20
	s_waitcnt lgkmcnt(0)
	v_add_u32_e32 v20, v99, v20
	ds_write_b32 v96, v20
.LBB1533_586:                           ;   in Loop: Header=BB1533_566 Depth=2
	;; [unrolled: 32-line block ×6, first 2 shown]
	s_or_b64 exec, exec, s[36:37]
	s_xor_b64 s[36:37], vcc, -1
	v_cndmask_b32_e64 v115, 0, 1, s[36:37]
	v_lshrrev_b32_e32 v20, s69, v115
	v_and_b32_e32 v20, s84, v20
	v_mul_u32_u24_e32 v21, 5, v20
	v_add_lshl_u32 v21, v21, v88, 2
	v_cmp_ne_u32_e32 vcc, 0, v20
	v_add_co_u32_e64 v20, s[36:37], -1, v20
	; wave barrier
	v_add_u32_e32 v119, 0x410, v21
	ds_read_b32 v117, v21 offset:1040
	v_addc_co_u32_e64 v21, s[36:37], 0, -1, s[36:37]
	v_xor_b32_e32 v20, vcc_lo, v20
	v_xor_b32_e32 v21, vcc_hi, v21
	v_and_b32_e32 v20, exec_lo, v20
	v_and_b32_e32 v21, exec_hi, v21
	v_mbcnt_lo_u32_b32 v22, v20, 0
	v_mbcnt_hi_u32_b32 v118, v21, v22
	v_cmp_eq_u32_e32 vcc, 0, v118
	v_cmp_ne_u64_e64 s[36:37], 0, v[20:21]
	s_and_b64 s[38:39], s[36:37], vcc
	; wave barrier
	s_and_saveexec_b64 s[36:37], s[38:39]
	s_cbranch_execz .LBB1533_596
; %bb.595:                              ;   in Loop: Header=BB1533_566 Depth=2
	v_bcnt_u32_b32 v20, v20, 0
	v_bcnt_u32_b32 v20, v21, v20
	s_waitcnt lgkmcnt(0)
	v_add_u32_e32 v20, v117, v20
	ds_write_b32 v119, v20
.LBB1533_596:                           ;   in Loop: Header=BB1533_566 Depth=2
	s_or_b64 exec, exec, s[36:37]
	; wave barrier
	s_waitcnt lgkmcnt(0)
	s_barrier
	ds_read_b32 v120, v42 offset:1040
	ds_read2_b32 v[22:23], v44 offset0:1 offset1:2
	ds_read2_b32 v[20:21], v44 offset0:3 offset1:4
	s_waitcnt lgkmcnt(1)
	v_add3_u32 v121, v22, v120, v23
	s_waitcnt lgkmcnt(0)
	v_add3_u32 v21, v121, v20, v21
	s_nop 1
	v_mov_b32_dpp v121, v21 row_shr:1 row_mask:0xf bank_mask:0xf
	v_cndmask_b32_e64 v121, v121, 0, s[16:17]
	v_add_u32_e32 v21, v121, v21
	s_nop 1
	v_mov_b32_dpp v121, v21 row_shr:2 row_mask:0xf bank_mask:0xf
	v_cndmask_b32_e64 v121, 0, v121, s[18:19]
	v_add_u32_e32 v21, v21, v121
	;; [unrolled: 4-line block ×4, first 2 shown]
	s_nop 1
	v_mov_b32_dpp v121, v21 row_bcast:15 row_mask:0xf bank_mask:0xf
	v_cndmask_b32_e64 v121, v121, 0, s[24:25]
	v_add_u32_e32 v21, v21, v121
	s_nop 1
	v_mov_b32_dpp v121, v21 row_bcast:31 row_mask:0xf bank_mask:0xf
	v_cndmask_b32_e64 v121, 0, v121, s[26:27]
	v_add_u32_e32 v21, v21, v121
	s_and_saveexec_b64 s[36:37], s[6:7]
	s_cbranch_execz .LBB1533_598
; %bb.597:                              ;   in Loop: Header=BB1533_566 Depth=2
	ds_write_b32 v35, v21 offset:1024
.LBB1533_598:                           ;   in Loop: Header=BB1533_566 Depth=2
	s_or_b64 exec, exec, s[36:37]
	s_waitcnt lgkmcnt(0)
	s_barrier
	s_and_saveexec_b64 s[36:37], s[8:9]
	s_cbranch_execz .LBB1533_600
; %bb.599:                              ;   in Loop: Header=BB1533_566 Depth=2
	v_add_u32_e32 v121, v42, v45
	ds_read_b32 v122, v121 offset:1024
	s_waitcnt lgkmcnt(0)
	s_nop 0
	v_mov_b32_dpp v123, v122 row_shr:1 row_mask:0xf bank_mask:0xf
	v_cndmask_b32_e64 v123, v123, 0, s[30:31]
	v_add_u32_e32 v122, v123, v122
	s_nop 1
	v_mov_b32_dpp v123, v122 row_shr:2 row_mask:0xf bank_mask:0xf
	v_cndmask_b32_e64 v123, 0, v123, s[34:35]
	v_add_u32_e32 v122, v122, v123
	ds_write_b32 v121, v122 offset:1024
.LBB1533_600:                           ;   in Loop: Header=BB1533_566 Depth=2
	s_or_b64 exec, exec, s[36:37]
	v_mov_b32_e32 v121, 0
	s_waitcnt lgkmcnt(0)
	s_barrier
	s_and_saveexec_b64 s[36:37], s[10:11]
	s_cbranch_execz .LBB1533_602
; %bb.601:                              ;   in Loop: Header=BB1533_566 Depth=2
	ds_read_b32 v121, v35 offset:1020
.LBB1533_602:                           ;   in Loop: Header=BB1533_566 Depth=2
	s_or_b64 exec, exec, s[36:37]
	s_waitcnt lgkmcnt(0)
	v_add_u32_e32 v21, v121, v21
	ds_bpermute_b32 v21, v65, v21
	s_waitcnt lgkmcnt(0)
	v_cndmask_b32_e64 v21, v21, v121, s[28:29]
	v_cndmask_b32_e64 v21, v21, 0, s[12:13]
	v_add_u32_e32 v120, v21, v120
	ds_write_b32 v42, v21 offset:1040
	v_add_u32_e32 v21, v120, v22
	v_add_u32_e32 v22, v21, v23
	v_add_u32_e32 v20, v22, v20
	ds_write2_b32 v44, v120, v21 offset0:1 offset1:2
	ds_write2_b32 v44, v22, v20 offset0:3 offset1:4
	s_waitcnt lgkmcnt(0)
	s_barrier
	ds_read_b32 v20, v95
	ds_read_b32 v21, v96
	;; [unrolled: 1-line block ×8, first 2 shown]
	ds_read_b32 v95, v42 offset:1040
	v_mov_b32_e32 v22, 0x800
	s_and_saveexec_b64 s[36:37], s[14:15]
	s_cbranch_execz .LBB1533_604
; %bb.603:                              ;   in Loop: Header=BB1533_566 Depth=2
	ds_read_b32 v22, v42 offset:1060
.LBB1533_604:                           ;   in Loop: Header=BB1533_566 Depth=2
	s_or_b64 exec, exec, s[36:37]
	s_waitcnt lgkmcnt(0)
	s_barrier
	s_and_saveexec_b64 s[36:37], s[4:5]
	s_cbranch_execz .LBB1533_606
; %bb.605:                              ;   in Loop: Header=BB1533_566 Depth=2
	ds_read_b32 v96, v3
	s_waitcnt lgkmcnt(0)
	v_sub_u32_e32 v95, v96, v95
	ds_write_b32 v3, v95
.LBB1533_606:                           ;   in Loop: Header=BB1533_566 Depth=2
	s_or_b64 exec, exec, s[36:37]
	v_add_u32_e32 v97, v92, v90
	v_add3_u32 v96, v94, v93, v20
	v_add3_u32 v95, v100, v99, v21
	v_add3_u32 v94, v103, v102, v23
	v_add3_u32 v93, v106, v105, v108
	v_add3_u32 v92, v110, v109, v112
	v_add3_u32 v90, v114, v113, v116
	v_add3_u32 v23, v118, v117, v119
	v_cmp_lt_u32_e64 s[48:49], v2, v0
	ds_write_b8 v97, v89 offset:1024
	ds_write_b8 v96, v91 offset:1024
	;; [unrolled: 1-line block ×8, first 2 shown]
	s_waitcnt lgkmcnt(0)
	s_barrier
	s_and_saveexec_b64 s[36:37], s[48:49]
	s_cbranch_execz .LBB1533_614
; %bb.607:                              ;   in Loop: Header=BB1533_566 Depth=2
	ds_read_u8 v20, v2 offset:1024
	s_waitcnt lgkmcnt(0)
	v_and_b32_e32 v21, 1, v20
	v_lshrrev_b32_e32 v21, s69, v21
	v_and_b32_e32 v21, s84, v21
	v_lshlrev_b32_e32 v21, 2, v21
	ds_read_b32 v21, v21
	v_xor_b32_e32 v20, 1, v20
	s_waitcnt lgkmcnt(0)
	v_add_u32_e32 v21, v21, v2
	global_store_byte v21, v20, s[60:61]
	s_or_b64 exec, exec, s[36:37]
	v_cmp_lt_u32_e64 s[46:47], v24, v0
	s_and_saveexec_b64 s[36:37], s[46:47]
	s_cbranch_execnz .LBB1533_615
.LBB1533_608:                           ;   in Loop: Header=BB1533_566 Depth=2
	s_or_b64 exec, exec, s[36:37]
	v_cmp_lt_u32_e64 s[44:45], v25, v0
	s_and_saveexec_b64 s[36:37], s[44:45]
	s_cbranch_execz .LBB1533_616
.LBB1533_609:                           ;   in Loop: Header=BB1533_566 Depth=2
	ds_read_u8 v20, v30 offset:512
	s_waitcnt lgkmcnt(0)
	v_and_b32_e32 v21, 1, v20
	v_lshrrev_b32_e32 v21, s69, v21
	v_and_b32_e32 v21, s84, v21
	v_lshlrev_b32_e32 v21, 2, v21
	ds_read_b32 v21, v21
	v_xor_b32_e32 v20, 1, v20
	s_waitcnt lgkmcnt(0)
	v_add_u32_e32 v21, v21, v25
	global_store_byte v21, v20, s[60:61]
	s_or_b64 exec, exec, s[36:37]
	v_cmp_lt_u32_e64 s[42:43], v26, v0
	s_and_saveexec_b64 s[36:37], s[42:43]
	s_cbranch_execnz .LBB1533_617
.LBB1533_610:                           ;   in Loop: Header=BB1533_566 Depth=2
	s_or_b64 exec, exec, s[36:37]
	v_cmp_lt_u32_e64 s[40:41], v30, v0
	s_and_saveexec_b64 s[36:37], s[40:41]
	s_cbranch_execz .LBB1533_618
.LBB1533_611:                           ;   in Loop: Header=BB1533_566 Depth=2
	ds_read_u8 v20, v30 offset:1024
	s_waitcnt lgkmcnt(0)
	v_and_b32_e32 v21, 1, v20
	v_lshrrev_b32_e32 v21, s69, v21
	v_and_b32_e32 v21, s84, v21
	v_lshlrev_b32_e32 v21, 2, v21
	ds_read_b32 v21, v21
	v_xor_b32_e32 v20, 1, v20
	s_waitcnt lgkmcnt(0)
	v_add_u32_e32 v21, v21, v30
	global_store_byte v21, v20, s[60:61]
	s_or_b64 exec, exec, s[36:37]
	v_cmp_lt_u32_e64 s[38:39], v31, v0
	s_and_saveexec_b64 s[36:37], s[38:39]
	s_cbranch_execnz .LBB1533_619
.LBB1533_612:                           ;   in Loop: Header=BB1533_566 Depth=2
	s_or_b64 exec, exec, s[36:37]
	v_cmp_lt_u32_e64 s[36:37], v32, v0
	s_and_saveexec_b64 s[52:53], s[36:37]
	s_cbranch_execz .LBB1533_620
.LBB1533_613:                           ;   in Loop: Header=BB1533_566 Depth=2
	ds_read_u8 v20, v30 offset:1536
	s_waitcnt lgkmcnt(0)
	v_and_b32_e32 v21, 1, v20
	v_lshrrev_b32_e32 v21, s69, v21
	v_and_b32_e32 v21, s84, v21
	v_lshlrev_b32_e32 v21, 2, v21
	ds_read_b32 v21, v21
	v_xor_b32_e32 v20, 1, v20
	s_waitcnt lgkmcnt(0)
	v_add_u32_e32 v21, v21, v32
	global_store_byte v21, v20, s[60:61]
	s_or_b64 exec, exec, s[52:53]
	v_cmp_lt_u32_e32 vcc, v33, v0
	s_and_saveexec_b64 s[52:53], vcc
	s_cbranch_execnz .LBB1533_621
	s_branch .LBB1533_622
.LBB1533_614:                           ;   in Loop: Header=BB1533_566 Depth=2
	s_or_b64 exec, exec, s[36:37]
	v_cmp_lt_u32_e64 s[46:47], v24, v0
	s_and_saveexec_b64 s[36:37], s[46:47]
	s_cbranch_execz .LBB1533_608
.LBB1533_615:                           ;   in Loop: Header=BB1533_566 Depth=2
	ds_read_u8 v20, v30 offset:256
	s_waitcnt lgkmcnt(0)
	v_and_b32_e32 v21, 1, v20
	v_lshrrev_b32_e32 v21, s69, v21
	v_and_b32_e32 v21, s84, v21
	v_lshlrev_b32_e32 v21, 2, v21
	ds_read_b32 v21, v21
	v_xor_b32_e32 v20, 1, v20
	s_waitcnt lgkmcnt(0)
	v_add_u32_e32 v21, v21, v24
	global_store_byte v21, v20, s[60:61]
	s_or_b64 exec, exec, s[36:37]
	v_cmp_lt_u32_e64 s[44:45], v25, v0
	s_and_saveexec_b64 s[36:37], s[44:45]
	s_cbranch_execnz .LBB1533_609
.LBB1533_616:                           ;   in Loop: Header=BB1533_566 Depth=2
	s_or_b64 exec, exec, s[36:37]
	v_cmp_lt_u32_e64 s[42:43], v26, v0
	s_and_saveexec_b64 s[36:37], s[42:43]
	s_cbranch_execz .LBB1533_610
.LBB1533_617:                           ;   in Loop: Header=BB1533_566 Depth=2
	ds_read_u8 v20, v30 offset:768
	s_waitcnt lgkmcnt(0)
	v_and_b32_e32 v21, 1, v20
	v_lshrrev_b32_e32 v21, s69, v21
	v_and_b32_e32 v21, s84, v21
	v_lshlrev_b32_e32 v21, 2, v21
	ds_read_b32 v21, v21
	v_xor_b32_e32 v20, 1, v20
	s_waitcnt lgkmcnt(0)
	v_add_u32_e32 v21, v21, v26
	global_store_byte v21, v20, s[60:61]
	s_or_b64 exec, exec, s[36:37]
	v_cmp_lt_u32_e64 s[40:41], v30, v0
	s_and_saveexec_b64 s[36:37], s[40:41]
	s_cbranch_execnz .LBB1533_611
.LBB1533_618:                           ;   in Loop: Header=BB1533_566 Depth=2
	s_or_b64 exec, exec, s[36:37]
	v_cmp_lt_u32_e64 s[38:39], v31, v0
	s_and_saveexec_b64 s[36:37], s[38:39]
	s_cbranch_execz .LBB1533_612
.LBB1533_619:                           ;   in Loop: Header=BB1533_566 Depth=2
	ds_read_u8 v20, v30 offset:1280
	s_waitcnt lgkmcnt(0)
	v_and_b32_e32 v21, 1, v20
	v_lshrrev_b32_e32 v21, s69, v21
	v_and_b32_e32 v21, s84, v21
	v_lshlrev_b32_e32 v21, 2, v21
	ds_read_b32 v21, v21
	v_xor_b32_e32 v20, 1, v20
	s_waitcnt lgkmcnt(0)
	v_add_u32_e32 v21, v21, v31
	global_store_byte v21, v20, s[60:61]
	s_or_b64 exec, exec, s[36:37]
	v_cmp_lt_u32_e64 s[36:37], v32, v0
	s_and_saveexec_b64 s[52:53], s[36:37]
	s_cbranch_execnz .LBB1533_613
.LBB1533_620:                           ;   in Loop: Header=BB1533_566 Depth=2
	s_or_b64 exec, exec, s[52:53]
	v_cmp_lt_u32_e32 vcc, v33, v0
	s_and_saveexec_b64 s[52:53], vcc
	s_cbranch_execz .LBB1533_622
.LBB1533_621:                           ;   in Loop: Header=BB1533_566 Depth=2
	ds_read_u8 v20, v30 offset:1792
	s_waitcnt lgkmcnt(0)
	v_and_b32_e32 v21, 1, v20
	v_lshrrev_b32_e32 v21, s69, v21
	v_and_b32_e32 v21, s84, v21
	v_lshlrev_b32_e32 v21, 2, v21
	ds_read_b32 v21, v21
	v_xor_b32_e32 v20, 1, v20
	s_waitcnt lgkmcnt(0)
	v_add_u32_e32 v21, v21, v33
	global_store_byte v21, v20, s[60:61]
.LBB1533_622:                           ;   in Loop: Header=BB1533_566 Depth=2
	s_or_b64 exec, exec, s[52:53]
	s_lshl_b64 s[52:53], s[72:73], 3
	v_mov_b32_e32 v21, s53
	v_add_co_u32_e64 v20, s[52:53], s52, v77
	v_addc_co_u32_e64 v21, s[52:53], v78, v21, s[52:53]
	v_cmp_lt_u32_e64 s[52:53], v72, v0
	s_and_saveexec_b64 s[62:63], s[52:53]
	s_xor_b64 s[52:53], exec, s[62:63]
	s_cbranch_execz .LBB1533_638
; %bb.623:                              ;   in Loop: Header=BB1533_566 Depth=2
	global_load_dwordx2 v[18:19], v[20:21], off
	s_or_b64 exec, exec, s[52:53]
	v_cmp_lt_u32_e64 s[52:53], v79, v0
	s_and_saveexec_b64 s[62:63], s[52:53]
	s_cbranch_execnz .LBB1533_639
.LBB1533_624:                           ;   in Loop: Header=BB1533_566 Depth=2
	s_or_b64 exec, exec, s[62:63]
	v_cmp_lt_u32_e64 s[52:53], v80, v0
	s_and_saveexec_b64 s[62:63], s[52:53]
	s_cbranch_execz .LBB1533_640
.LBB1533_625:                           ;   in Loop: Header=BB1533_566 Depth=2
	global_load_dwordx2 v[14:15], v[20:21], off offset:1024
	s_or_b64 exec, exec, s[62:63]
	v_cmp_lt_u32_e64 s[52:53], v81, v0
	s_and_saveexec_b64 s[62:63], s[52:53]
	s_cbranch_execnz .LBB1533_641
.LBB1533_626:                           ;   in Loop: Header=BB1533_566 Depth=2
	s_or_b64 exec, exec, s[62:63]
	v_cmp_lt_u32_e64 s[52:53], v82, v0
	s_and_saveexec_b64 s[62:63], s[52:53]
	s_cbranch_execz .LBB1533_642
.LBB1533_627:                           ;   in Loop: Header=BB1533_566 Depth=2
	global_load_dwordx2 v[10:11], v[20:21], off offset:2048
	s_or_b64 exec, exec, s[62:63]
	v_cmp_lt_u32_e64 s[52:53], v83, v0
	s_and_saveexec_b64 s[62:63], s[52:53]
	s_cbranch_execnz .LBB1533_643
.LBB1533_628:                           ;   in Loop: Header=BB1533_566 Depth=2
	s_or_b64 exec, exec, s[62:63]
	v_cmp_lt_u32_e64 s[52:53], v84, v0
	s_and_saveexec_b64 s[62:63], s[52:53]
	s_cbranch_execz .LBB1533_644
.LBB1533_629:                           ;   in Loop: Header=BB1533_566 Depth=2
	global_load_dwordx2 v[6:7], v[20:21], off offset:3072
	s_or_b64 exec, exec, s[62:63]
	v_cmp_lt_u32_e64 s[52:53], v85, v0
	s_and_saveexec_b64 s[62:63], s[52:53]
	s_cbranch_execnz .LBB1533_645
.LBB1533_630:                           ;   in Loop: Header=BB1533_566 Depth=2
	s_or_b64 exec, exec, s[62:63]
	s_and_saveexec_b64 s[52:53], s[48:49]
	s_cbranch_execz .LBB1533_646
.LBB1533_631:                           ;   in Loop: Header=BB1533_566 Depth=2
	ds_read_u8 v0, v2 offset:1024
	s_waitcnt lgkmcnt(0)
	v_lshrrev_b32_e32 v0, s69, v0
	v_and_b32_e32 v75, s84, v0
	s_or_b64 exec, exec, s[52:53]
	s_and_saveexec_b64 s[52:53], s[46:47]
	s_cbranch_execnz .LBB1533_647
.LBB1533_632:                           ;   in Loop: Header=BB1533_566 Depth=2
	s_or_b64 exec, exec, s[52:53]
	s_and_saveexec_b64 s[52:53], s[44:45]
	s_cbranch_execz .LBB1533_648
.LBB1533_633:                           ;   in Loop: Header=BB1533_566 Depth=2
	ds_read_u8 v0, v30 offset:512
	s_waitcnt lgkmcnt(0)
	v_lshrrev_b32_e32 v0, s69, v0
	v_and_b32_e32 v71, s84, v0
	s_or_b64 exec, exec, s[52:53]
	s_and_saveexec_b64 s[52:53], s[42:43]
	s_cbranch_execnz .LBB1533_649
.LBB1533_634:                           ;   in Loop: Header=BB1533_566 Depth=2
	s_or_b64 exec, exec, s[52:53]
	s_and_saveexec_b64 s[52:53], s[40:41]
	s_cbranch_execz .LBB1533_650
.LBB1533_635:                           ;   in Loop: Header=BB1533_566 Depth=2
	ds_read_u8 v0, v30 offset:1024
	s_waitcnt lgkmcnt(0)
	v_lshrrev_b32_e32 v0, s69, v0
	v_and_b32_e32 v69, s84, v0
	s_or_b64 exec, exec, s[52:53]
	s_and_saveexec_b64 s[52:53], s[38:39]
	s_cbranch_execnz .LBB1533_651
.LBB1533_636:                           ;   in Loop: Header=BB1533_566 Depth=2
	s_or_b64 exec, exec, s[52:53]
	s_and_saveexec_b64 s[52:53], s[36:37]
	s_cbranch_execz .LBB1533_652
.LBB1533_637:                           ;   in Loop: Header=BB1533_566 Depth=2
	ds_read_u8 v0, v30 offset:1536
	s_waitcnt lgkmcnt(0)
	v_lshrrev_b32_e32 v0, s69, v0
	v_and_b32_e32 v67, s84, v0
	s_or_b64 exec, exec, s[52:53]
	s_and_saveexec_b64 s[52:53], vcc
	s_cbranch_execnz .LBB1533_653
	s_branch .LBB1533_654
.LBB1533_638:                           ;   in Loop: Header=BB1533_566 Depth=2
	s_or_b64 exec, exec, s[52:53]
	v_cmp_lt_u32_e64 s[52:53], v79, v0
	s_and_saveexec_b64 s[62:63], s[52:53]
	s_cbranch_execz .LBB1533_624
.LBB1533_639:                           ;   in Loop: Header=BB1533_566 Depth=2
	global_load_dwordx2 v[16:17], v[20:21], off offset:512
	s_or_b64 exec, exec, s[62:63]
	v_cmp_lt_u32_e64 s[52:53], v80, v0
	s_and_saveexec_b64 s[62:63], s[52:53]
	s_cbranch_execnz .LBB1533_625
.LBB1533_640:                           ;   in Loop: Header=BB1533_566 Depth=2
	s_or_b64 exec, exec, s[62:63]
	v_cmp_lt_u32_e64 s[52:53], v81, v0
	s_and_saveexec_b64 s[62:63], s[52:53]
	s_cbranch_execz .LBB1533_626
.LBB1533_641:                           ;   in Loop: Header=BB1533_566 Depth=2
	global_load_dwordx2 v[12:13], v[20:21], off offset:1536
	s_or_b64 exec, exec, s[62:63]
	v_cmp_lt_u32_e64 s[52:53], v82, v0
	s_and_saveexec_b64 s[62:63], s[52:53]
	s_cbranch_execnz .LBB1533_627
.LBB1533_642:                           ;   in Loop: Header=BB1533_566 Depth=2
	s_or_b64 exec, exec, s[62:63]
	v_cmp_lt_u32_e64 s[52:53], v83, v0
	s_and_saveexec_b64 s[62:63], s[52:53]
	s_cbranch_execz .LBB1533_628
.LBB1533_643:                           ;   in Loop: Header=BB1533_566 Depth=2
	global_load_dwordx2 v[8:9], v[20:21], off offset:2560
	s_or_b64 exec, exec, s[62:63]
	v_cmp_lt_u32_e64 s[52:53], v84, v0
	s_and_saveexec_b64 s[62:63], s[52:53]
	s_cbranch_execnz .LBB1533_629
.LBB1533_644:                           ;   in Loop: Header=BB1533_566 Depth=2
	s_or_b64 exec, exec, s[62:63]
	v_cmp_lt_u32_e64 s[52:53], v85, v0
	s_and_saveexec_b64 s[62:63], s[52:53]
	s_cbranch_execz .LBB1533_630
.LBB1533_645:                           ;   in Loop: Header=BB1533_566 Depth=2
	global_load_dwordx2 v[4:5], v[20:21], off offset:3584
	s_or_b64 exec, exec, s[62:63]
	s_and_saveexec_b64 s[52:53], s[48:49]
	s_cbranch_execnz .LBB1533_631
.LBB1533_646:                           ;   in Loop: Header=BB1533_566 Depth=2
	s_or_b64 exec, exec, s[52:53]
	s_and_saveexec_b64 s[52:53], s[46:47]
	s_cbranch_execz .LBB1533_632
.LBB1533_647:                           ;   in Loop: Header=BB1533_566 Depth=2
	ds_read_u8 v0, v30 offset:256
	s_waitcnt lgkmcnt(0)
	v_lshrrev_b32_e32 v0, s69, v0
	v_and_b32_e32 v73, s84, v0
	s_or_b64 exec, exec, s[52:53]
	s_and_saveexec_b64 s[52:53], s[44:45]
	s_cbranch_execnz .LBB1533_633
.LBB1533_648:                           ;   in Loop: Header=BB1533_566 Depth=2
	s_or_b64 exec, exec, s[52:53]
	s_and_saveexec_b64 s[52:53], s[42:43]
	s_cbranch_execz .LBB1533_634
.LBB1533_649:                           ;   in Loop: Header=BB1533_566 Depth=2
	ds_read_u8 v0, v30 offset:768
	s_waitcnt lgkmcnt(0)
	v_lshrrev_b32_e32 v0, s69, v0
	v_and_b32_e32 v70, s84, v0
	s_or_b64 exec, exec, s[52:53]
	s_and_saveexec_b64 s[52:53], s[40:41]
	s_cbranch_execnz .LBB1533_635
.LBB1533_650:                           ;   in Loop: Header=BB1533_566 Depth=2
	s_or_b64 exec, exec, s[52:53]
	s_and_saveexec_b64 s[52:53], s[38:39]
	s_cbranch_execz .LBB1533_636
.LBB1533_651:                           ;   in Loop: Header=BB1533_566 Depth=2
	ds_read_u8 v0, v30 offset:1280
	s_waitcnt lgkmcnt(0)
	v_lshrrev_b32_e32 v0, s69, v0
	v_and_b32_e32 v68, s84, v0
	s_or_b64 exec, exec, s[52:53]
	s_and_saveexec_b64 s[52:53], s[36:37]
	s_cbranch_execnz .LBB1533_637
.LBB1533_652:                           ;   in Loop: Header=BB1533_566 Depth=2
	s_or_b64 exec, exec, s[52:53]
	s_and_saveexec_b64 s[52:53], vcc
	s_cbranch_execz .LBB1533_654
.LBB1533_653:                           ;   in Loop: Header=BB1533_566 Depth=2
	ds_read_u8 v0, v30 offset:1792
	s_waitcnt lgkmcnt(0)
	v_lshrrev_b32_e32 v0, s69, v0
	v_and_b32_e32 v66, s84, v0
.LBB1533_654:                           ;   in Loop: Header=BB1533_566 Depth=2
	s_or_b64 exec, exec, s[52:53]
	v_lshlrev_b32_e32 v0, 3, v97
	s_barrier
	s_waitcnt vmcnt(0)
	ds_write_b64 v0, v[18:19] offset:1024
	v_lshlrev_b32_e32 v0, 3, v96
	ds_write_b64 v0, v[16:17] offset:1024
	v_lshlrev_b32_e32 v0, 3, v95
	ds_write_b64 v0, v[14:15] offset:1024
	v_lshlrev_b32_e32 v0, 3, v94
	ds_write_b64 v0, v[12:13] offset:1024
	v_lshlrev_b32_e32 v0, 3, v93
	ds_write_b64 v0, v[10:11] offset:1024
	v_lshlrev_b32_e32 v0, 3, v92
	ds_write_b64 v0, v[8:9] offset:1024
	v_lshlrev_b32_e32 v0, 3, v90
	ds_write_b64 v0, v[6:7] offset:1024
	v_lshlrev_b32_e32 v0, 3, v23
	ds_write_b64 v0, v[4:5] offset:1024
	s_waitcnt lgkmcnt(0)
	s_barrier
	s_and_saveexec_b64 s[52:53], s[48:49]
	s_cbranch_execz .LBB1533_662
; %bb.655:                              ;   in Loop: Header=BB1533_566 Depth=2
	v_lshlrev_b32_e32 v0, 2, v75
	ds_read_b32 v0, v0
	v_add_u32_e32 v20, v2, v50
	ds_read_b64 v[20:21], v20 offset:1024
	v_mov_b32_e32 v23, s67
	s_waitcnt lgkmcnt(1)
	v_add_u32_e32 v0, v0, v2
	v_lshlrev_b64 v[90:91], 3, v[0:1]
	v_add_co_u32_e64 v90, s[48:49], s66, v90
	v_addc_co_u32_e64 v91, s[48:49], v23, v91, s[48:49]
	s_waitcnt lgkmcnt(0)
	global_store_dwordx2 v[90:91], v[20:21], off
	s_or_b64 exec, exec, s[52:53]
	v_add_u32_e32 v20, v30, v50
	s_and_saveexec_b64 s[48:49], s[46:47]
	s_cbranch_execnz .LBB1533_663
.LBB1533_656:                           ;   in Loop: Header=BB1533_566 Depth=2
	s_or_b64 exec, exec, s[48:49]
	s_and_saveexec_b64 s[46:47], s[44:45]
	s_cbranch_execz .LBB1533_664
.LBB1533_657:                           ;   in Loop: Header=BB1533_566 Depth=2
	v_lshlrev_b32_e32 v0, 2, v71
	ds_read_b32 v0, v0
	ds_read_b64 v[90:91], v20 offset:4096
	v_mov_b32_e32 v21, s67
	s_waitcnt lgkmcnt(1)
	v_add_u32_e32 v0, v0, v25
	v_lshlrev_b64 v[92:93], 3, v[0:1]
	v_add_co_u32_e64 v92, s[44:45], s66, v92
	v_addc_co_u32_e64 v93, s[44:45], v21, v93, s[44:45]
	s_waitcnt lgkmcnt(0)
	global_store_dwordx2 v[92:93], v[90:91], off
	s_or_b64 exec, exec, s[46:47]
	s_and_saveexec_b64 s[44:45], s[42:43]
	s_cbranch_execnz .LBB1533_665
.LBB1533_658:                           ;   in Loop: Header=BB1533_566 Depth=2
	s_or_b64 exec, exec, s[44:45]
	s_and_saveexec_b64 s[42:43], s[40:41]
	s_cbranch_execz .LBB1533_666
.LBB1533_659:                           ;   in Loop: Header=BB1533_566 Depth=2
	v_lshlrev_b32_e32 v0, 2, v69
	ds_read_b32 v0, v0
	ds_read_b64 v[90:91], v20 offset:8192
	v_mov_b32_e32 v21, s67
	s_waitcnt lgkmcnt(1)
	v_add_u32_e32 v0, v0, v30
	v_lshlrev_b64 v[92:93], 3, v[0:1]
	v_add_co_u32_e64 v92, s[40:41], s66, v92
	v_addc_co_u32_e64 v93, s[40:41], v21, v93, s[40:41]
	s_waitcnt lgkmcnt(0)
	global_store_dwordx2 v[92:93], v[90:91], off
	s_or_b64 exec, exec, s[42:43]
	s_and_saveexec_b64 s[40:41], s[38:39]
	s_cbranch_execnz .LBB1533_667
.LBB1533_660:                           ;   in Loop: Header=BB1533_566 Depth=2
	s_or_b64 exec, exec, s[40:41]
	s_and_saveexec_b64 s[38:39], s[36:37]
	s_cbranch_execz .LBB1533_668
.LBB1533_661:                           ;   in Loop: Header=BB1533_566 Depth=2
	v_lshlrev_b32_e32 v0, 2, v67
	ds_read_b32 v0, v0
	ds_read_b64 v[90:91], v20 offset:12288
	v_mov_b32_e32 v21, s67
	s_waitcnt lgkmcnt(1)
	v_add_u32_e32 v0, v0, v32
	v_lshlrev_b64 v[92:93], 3, v[0:1]
	v_add_co_u32_e64 v92, s[36:37], s66, v92
	v_addc_co_u32_e64 v93, s[36:37], v21, v93, s[36:37]
	s_waitcnt lgkmcnt(0)
	global_store_dwordx2 v[92:93], v[90:91], off
	s_or_b64 exec, exec, s[38:39]
	s_and_saveexec_b64 s[36:37], vcc
	s_cbranch_execnz .LBB1533_669
	s_branch .LBB1533_670
.LBB1533_662:                           ;   in Loop: Header=BB1533_566 Depth=2
	s_or_b64 exec, exec, s[52:53]
	v_add_u32_e32 v20, v30, v50
	s_and_saveexec_b64 s[48:49], s[46:47]
	s_cbranch_execz .LBB1533_656
.LBB1533_663:                           ;   in Loop: Header=BB1533_566 Depth=2
	v_lshlrev_b32_e32 v0, 2, v73
	ds_read_b32 v0, v0
	ds_read_b64 v[90:91], v20 offset:2048
	v_mov_b32_e32 v21, s67
	s_waitcnt lgkmcnt(1)
	v_add_u32_e32 v0, v0, v24
	v_lshlrev_b64 v[92:93], 3, v[0:1]
	v_add_co_u32_e64 v92, s[46:47], s66, v92
	v_addc_co_u32_e64 v93, s[46:47], v21, v93, s[46:47]
	s_waitcnt lgkmcnt(0)
	global_store_dwordx2 v[92:93], v[90:91], off
	s_or_b64 exec, exec, s[48:49]
	s_and_saveexec_b64 s[46:47], s[44:45]
	s_cbranch_execnz .LBB1533_657
.LBB1533_664:                           ;   in Loop: Header=BB1533_566 Depth=2
	s_or_b64 exec, exec, s[46:47]
	s_and_saveexec_b64 s[44:45], s[42:43]
	s_cbranch_execz .LBB1533_658
.LBB1533_665:                           ;   in Loop: Header=BB1533_566 Depth=2
	v_lshlrev_b32_e32 v0, 2, v70
	ds_read_b32 v0, v0
	ds_read_b64 v[90:91], v20 offset:6144
	v_mov_b32_e32 v21, s67
	s_waitcnt lgkmcnt(1)
	v_add_u32_e32 v0, v0, v26
	v_lshlrev_b64 v[92:93], 3, v[0:1]
	v_add_co_u32_e64 v92, s[42:43], s66, v92
	v_addc_co_u32_e64 v93, s[42:43], v21, v93, s[42:43]
	s_waitcnt lgkmcnt(0)
	global_store_dwordx2 v[92:93], v[90:91], off
	s_or_b64 exec, exec, s[44:45]
	s_and_saveexec_b64 s[42:43], s[40:41]
	s_cbranch_execnz .LBB1533_659
.LBB1533_666:                           ;   in Loop: Header=BB1533_566 Depth=2
	s_or_b64 exec, exec, s[42:43]
	s_and_saveexec_b64 s[40:41], s[38:39]
	s_cbranch_execz .LBB1533_660
.LBB1533_667:                           ;   in Loop: Header=BB1533_566 Depth=2
	v_lshlrev_b32_e32 v0, 2, v68
	ds_read_b32 v0, v0
	ds_read_b64 v[90:91], v20 offset:10240
	v_mov_b32_e32 v21, s67
	s_waitcnt lgkmcnt(1)
	v_add_u32_e32 v0, v0, v31
	v_lshlrev_b64 v[92:93], 3, v[0:1]
	v_add_co_u32_e64 v92, s[38:39], s66, v92
	v_addc_co_u32_e64 v93, s[38:39], v21, v93, s[38:39]
	s_waitcnt lgkmcnt(0)
	global_store_dwordx2 v[92:93], v[90:91], off
	s_or_b64 exec, exec, s[40:41]
	s_and_saveexec_b64 s[38:39], s[36:37]
	s_cbranch_execnz .LBB1533_661
.LBB1533_668:                           ;   in Loop: Header=BB1533_566 Depth=2
	s_or_b64 exec, exec, s[38:39]
	s_and_saveexec_b64 s[36:37], vcc
	s_cbranch_execz .LBB1533_670
.LBB1533_669:                           ;   in Loop: Header=BB1533_566 Depth=2
	v_lshlrev_b32_e32 v0, 2, v66
	ds_read_b32 v0, v0
	ds_read_b64 v[20:21], v20 offset:14336
	v_mov_b32_e32 v23, s67
	s_waitcnt lgkmcnt(1)
	v_add_u32_e32 v0, v0, v33
	v_lshlrev_b64 v[90:91], 3, v[0:1]
	v_add_co_u32_e32 v90, vcc, s66, v90
	v_addc_co_u32_e32 v91, vcc, v23, v91, vcc
	s_waitcnt lgkmcnt(0)
	global_store_dwordx2 v[90:91], v[20:21], off
.LBB1533_670:                           ;   in Loop: Header=BB1533_566 Depth=2
	s_or_b64 exec, exec, s[36:37]
	s_barrier
	s_and_saveexec_b64 s[36:37], s[4:5]
	s_cbranch_execz .LBB1533_565
; %bb.671:                              ;   in Loop: Header=BB1533_566 Depth=2
	ds_read_b32 v0, v3
	s_waitcnt lgkmcnt(0)
	v_add_u32_e32 v0, v0, v22
	ds_write_b32 v3, v0
	s_branch .LBB1533_565
.LBB1533_672:                           ;   in Loop: Header=BB1533_566 Depth=2
	s_or_b64 exec, exec, s[36:37]
	v_cmp_gt_u32_e32 vcc, s85, v79
	s_and_saveexec_b64 s[36:37], vcc
	s_cbranch_execz .LBB1533_571
.LBB1533_673:                           ;   in Loop: Header=BB1533_566 Depth=2
	global_load_ubyte v0, v[22:23], off offset:64
	s_waitcnt vmcnt(0)
	v_perm_b32 v20, v20, v0, s78
	s_or_b64 exec, exec, s[36:37]
	v_cmp_gt_u32_e32 vcc, s85, v80
	s_and_saveexec_b64 s[36:37], vcc
	s_cbranch_execnz .LBB1533_572
.LBB1533_674:                           ;   in Loop: Header=BB1533_566 Depth=2
	s_or_b64 exec, exec, s[36:37]
	v_cmp_gt_u32_e32 vcc, s85, v81
	s_and_saveexec_b64 s[36:37], vcc
	s_cbranch_execz .LBB1533_573
.LBB1533_675:                           ;   in Loop: Header=BB1533_566 Depth=2
	global_load_ubyte v0, v[22:23], off offset:192
	v_and_b32_sdwa v89, v20, s68 dst_sel:DWORD dst_unused:UNUSED_PAD src0_sel:WORD_1 src1_sel:DWORD
	s_waitcnt vmcnt(0)
	v_lshlrev_b16_e32 v0, 8, v0
	v_or_b32_sdwa v0, v89, v0 dst_sel:WORD_1 dst_unused:UNUSED_PAD src0_sel:DWORD src1_sel:DWORD
	v_and_or_b32 v20, v20, s77, v0
	s_or_b64 exec, exec, s[36:37]
	v_cmp_gt_u32_e32 vcc, s85, v82
	s_and_saveexec_b64 s[36:37], vcc
	s_cbranch_execnz .LBB1533_574
.LBB1533_676:                           ;   in Loop: Header=BB1533_566 Depth=2
	s_or_b64 exec, exec, s[36:37]
	v_cmp_gt_u32_e32 vcc, s85, v83
	s_and_saveexec_b64 s[36:37], vcc
	s_cbranch_execz .LBB1533_575
.LBB1533_677:                           ;   in Loop: Header=BB1533_566 Depth=2
	global_load_ubyte v0, v[22:23], off offset:320
	s_waitcnt vmcnt(0)
	v_perm_b32 v21, v21, v0, s78
	s_or_b64 exec, exec, s[36:37]
	v_cmp_gt_u32_e32 vcc, s85, v84
	s_and_saveexec_b64 s[36:37], vcc
	s_cbranch_execnz .LBB1533_576
	s_branch .LBB1533_577
.LBB1533_678:
	s_endpgm
	.section	.rodata,"a",@progbits
	.p2align	6, 0x0
	.amdhsa_kernel _ZN7rocprim17ROCPRIM_400000_NS6detail17trampoline_kernelINS0_14default_configENS1_36segmented_radix_sort_config_selectorIblEEZNS1_25segmented_radix_sort_implIS3_Lb1EPKbPbPKlPlN2at6native12_GLOBAL__N_18offset_tEEE10hipError_tPvRmT1_PNSt15iterator_traitsISK_E10value_typeET2_T3_PNSL_ISQ_E10value_typeET4_jRbjT5_SW_jjP12ihipStream_tbEUlT_E_NS1_11comp_targetILNS1_3genE4ELNS1_11target_archE910ELNS1_3gpuE8ELNS1_3repE0EEENS1_30default_config_static_selectorELNS0_4arch9wavefront6targetE1EEEvSK_
		.amdhsa_group_segment_fixed_size 17424
		.amdhsa_private_segment_fixed_size 8
		.amdhsa_kernarg_size 352
		.amdhsa_user_sgpr_count 8
		.amdhsa_user_sgpr_private_segment_buffer 1
		.amdhsa_user_sgpr_dispatch_ptr 0
		.amdhsa_user_sgpr_queue_ptr 0
		.amdhsa_user_sgpr_kernarg_segment_ptr 1
		.amdhsa_user_sgpr_dispatch_id 0
		.amdhsa_user_sgpr_flat_scratch_init 1
		.amdhsa_user_sgpr_kernarg_preload_length 0
		.amdhsa_user_sgpr_kernarg_preload_offset 0
		.amdhsa_user_sgpr_private_segment_size 0
		.amdhsa_uses_dynamic_stack 0
		.amdhsa_system_sgpr_private_segment_wavefront_offset 1
		.amdhsa_system_sgpr_workgroup_id_x 1
		.amdhsa_system_sgpr_workgroup_id_y 1
		.amdhsa_system_sgpr_workgroup_id_z 0
		.amdhsa_system_sgpr_workgroup_info 0
		.amdhsa_system_vgpr_workitem_id 2
		.amdhsa_next_free_vgpr 168
		.amdhsa_next_free_sgpr 87
		.amdhsa_accum_offset 168
		.amdhsa_reserve_vcc 1
		.amdhsa_reserve_flat_scratch 1
		.amdhsa_float_round_mode_32 0
		.amdhsa_float_round_mode_16_64 0
		.amdhsa_float_denorm_mode_32 3
		.amdhsa_float_denorm_mode_16_64 3
		.amdhsa_dx10_clamp 1
		.amdhsa_ieee_mode 1
		.amdhsa_fp16_overflow 0
		.amdhsa_tg_split 0
		.amdhsa_exception_fp_ieee_invalid_op 0
		.amdhsa_exception_fp_denorm_src 0
		.amdhsa_exception_fp_ieee_div_zero 0
		.amdhsa_exception_fp_ieee_overflow 0
		.amdhsa_exception_fp_ieee_underflow 0
		.amdhsa_exception_fp_ieee_inexact 0
		.amdhsa_exception_int_div_zero 0
	.end_amdhsa_kernel
	.section	.text._ZN7rocprim17ROCPRIM_400000_NS6detail17trampoline_kernelINS0_14default_configENS1_36segmented_radix_sort_config_selectorIblEEZNS1_25segmented_radix_sort_implIS3_Lb1EPKbPbPKlPlN2at6native12_GLOBAL__N_18offset_tEEE10hipError_tPvRmT1_PNSt15iterator_traitsISK_E10value_typeET2_T3_PNSL_ISQ_E10value_typeET4_jRbjT5_SW_jjP12ihipStream_tbEUlT_E_NS1_11comp_targetILNS1_3genE4ELNS1_11target_archE910ELNS1_3gpuE8ELNS1_3repE0EEENS1_30default_config_static_selectorELNS0_4arch9wavefront6targetE1EEEvSK_,"axG",@progbits,_ZN7rocprim17ROCPRIM_400000_NS6detail17trampoline_kernelINS0_14default_configENS1_36segmented_radix_sort_config_selectorIblEEZNS1_25segmented_radix_sort_implIS3_Lb1EPKbPbPKlPlN2at6native12_GLOBAL__N_18offset_tEEE10hipError_tPvRmT1_PNSt15iterator_traitsISK_E10value_typeET2_T3_PNSL_ISQ_E10value_typeET4_jRbjT5_SW_jjP12ihipStream_tbEUlT_E_NS1_11comp_targetILNS1_3genE4ELNS1_11target_archE910ELNS1_3gpuE8ELNS1_3repE0EEENS1_30default_config_static_selectorELNS0_4arch9wavefront6targetE1EEEvSK_,comdat
.Lfunc_end1533:
	.size	_ZN7rocprim17ROCPRIM_400000_NS6detail17trampoline_kernelINS0_14default_configENS1_36segmented_radix_sort_config_selectorIblEEZNS1_25segmented_radix_sort_implIS3_Lb1EPKbPbPKlPlN2at6native12_GLOBAL__N_18offset_tEEE10hipError_tPvRmT1_PNSt15iterator_traitsISK_E10value_typeET2_T3_PNSL_ISQ_E10value_typeET4_jRbjT5_SW_jjP12ihipStream_tbEUlT_E_NS1_11comp_targetILNS1_3genE4ELNS1_11target_archE910ELNS1_3gpuE8ELNS1_3repE0EEENS1_30default_config_static_selectorELNS0_4arch9wavefront6targetE1EEEvSK_, .Lfunc_end1533-_ZN7rocprim17ROCPRIM_400000_NS6detail17trampoline_kernelINS0_14default_configENS1_36segmented_radix_sort_config_selectorIblEEZNS1_25segmented_radix_sort_implIS3_Lb1EPKbPbPKlPlN2at6native12_GLOBAL__N_18offset_tEEE10hipError_tPvRmT1_PNSt15iterator_traitsISK_E10value_typeET2_T3_PNSL_ISQ_E10value_typeET4_jRbjT5_SW_jjP12ihipStream_tbEUlT_E_NS1_11comp_targetILNS1_3genE4ELNS1_11target_archE910ELNS1_3gpuE8ELNS1_3repE0EEENS1_30default_config_static_selectorELNS0_4arch9wavefront6targetE1EEEvSK_
                                        ; -- End function
	.section	.AMDGPU.csdata,"",@progbits
; Kernel info:
; codeLenInByte = 29652
; NumSgprs: 93
; NumVgprs: 168
; NumAgprs: 0
; TotalNumVgprs: 168
; ScratchSize: 8
; MemoryBound: 0
; FloatMode: 240
; IeeeMode: 1
; LDSByteSize: 17424 bytes/workgroup (compile time only)
; SGPRBlocks: 11
; VGPRBlocks: 20
; NumSGPRsForWavesPerEU: 93
; NumVGPRsForWavesPerEU: 168
; AccumOffset: 168
; Occupancy: 3
; WaveLimiterHint : 1
; COMPUTE_PGM_RSRC2:SCRATCH_EN: 1
; COMPUTE_PGM_RSRC2:USER_SGPR: 8
; COMPUTE_PGM_RSRC2:TRAP_HANDLER: 0
; COMPUTE_PGM_RSRC2:TGID_X_EN: 1
; COMPUTE_PGM_RSRC2:TGID_Y_EN: 1
; COMPUTE_PGM_RSRC2:TGID_Z_EN: 0
; COMPUTE_PGM_RSRC2:TIDIG_COMP_CNT: 2
; COMPUTE_PGM_RSRC3_GFX90A:ACCUM_OFFSET: 41
; COMPUTE_PGM_RSRC3_GFX90A:TG_SPLIT: 0
	.section	.text._ZN7rocprim17ROCPRIM_400000_NS6detail17trampoline_kernelINS0_14default_configENS1_36segmented_radix_sort_config_selectorIblEEZNS1_25segmented_radix_sort_implIS3_Lb1EPKbPbPKlPlN2at6native12_GLOBAL__N_18offset_tEEE10hipError_tPvRmT1_PNSt15iterator_traitsISK_E10value_typeET2_T3_PNSL_ISQ_E10value_typeET4_jRbjT5_SW_jjP12ihipStream_tbEUlT_E_NS1_11comp_targetILNS1_3genE3ELNS1_11target_archE908ELNS1_3gpuE7ELNS1_3repE0EEENS1_30default_config_static_selectorELNS0_4arch9wavefront6targetE1EEEvSK_,"axG",@progbits,_ZN7rocprim17ROCPRIM_400000_NS6detail17trampoline_kernelINS0_14default_configENS1_36segmented_radix_sort_config_selectorIblEEZNS1_25segmented_radix_sort_implIS3_Lb1EPKbPbPKlPlN2at6native12_GLOBAL__N_18offset_tEEE10hipError_tPvRmT1_PNSt15iterator_traitsISK_E10value_typeET2_T3_PNSL_ISQ_E10value_typeET4_jRbjT5_SW_jjP12ihipStream_tbEUlT_E_NS1_11comp_targetILNS1_3genE3ELNS1_11target_archE908ELNS1_3gpuE7ELNS1_3repE0EEENS1_30default_config_static_selectorELNS0_4arch9wavefront6targetE1EEEvSK_,comdat
	.globl	_ZN7rocprim17ROCPRIM_400000_NS6detail17trampoline_kernelINS0_14default_configENS1_36segmented_radix_sort_config_selectorIblEEZNS1_25segmented_radix_sort_implIS3_Lb1EPKbPbPKlPlN2at6native12_GLOBAL__N_18offset_tEEE10hipError_tPvRmT1_PNSt15iterator_traitsISK_E10value_typeET2_T3_PNSL_ISQ_E10value_typeET4_jRbjT5_SW_jjP12ihipStream_tbEUlT_E_NS1_11comp_targetILNS1_3genE3ELNS1_11target_archE908ELNS1_3gpuE7ELNS1_3repE0EEENS1_30default_config_static_selectorELNS0_4arch9wavefront6targetE1EEEvSK_ ; -- Begin function _ZN7rocprim17ROCPRIM_400000_NS6detail17trampoline_kernelINS0_14default_configENS1_36segmented_radix_sort_config_selectorIblEEZNS1_25segmented_radix_sort_implIS3_Lb1EPKbPbPKlPlN2at6native12_GLOBAL__N_18offset_tEEE10hipError_tPvRmT1_PNSt15iterator_traitsISK_E10value_typeET2_T3_PNSL_ISQ_E10value_typeET4_jRbjT5_SW_jjP12ihipStream_tbEUlT_E_NS1_11comp_targetILNS1_3genE3ELNS1_11target_archE908ELNS1_3gpuE7ELNS1_3repE0EEENS1_30default_config_static_selectorELNS0_4arch9wavefront6targetE1EEEvSK_
	.p2align	8
	.type	_ZN7rocprim17ROCPRIM_400000_NS6detail17trampoline_kernelINS0_14default_configENS1_36segmented_radix_sort_config_selectorIblEEZNS1_25segmented_radix_sort_implIS3_Lb1EPKbPbPKlPlN2at6native12_GLOBAL__N_18offset_tEEE10hipError_tPvRmT1_PNSt15iterator_traitsISK_E10value_typeET2_T3_PNSL_ISQ_E10value_typeET4_jRbjT5_SW_jjP12ihipStream_tbEUlT_E_NS1_11comp_targetILNS1_3genE3ELNS1_11target_archE908ELNS1_3gpuE7ELNS1_3repE0EEENS1_30default_config_static_selectorELNS0_4arch9wavefront6targetE1EEEvSK_,@function
_ZN7rocprim17ROCPRIM_400000_NS6detail17trampoline_kernelINS0_14default_configENS1_36segmented_radix_sort_config_selectorIblEEZNS1_25segmented_radix_sort_implIS3_Lb1EPKbPbPKlPlN2at6native12_GLOBAL__N_18offset_tEEE10hipError_tPvRmT1_PNSt15iterator_traitsISK_E10value_typeET2_T3_PNSL_ISQ_E10value_typeET4_jRbjT5_SW_jjP12ihipStream_tbEUlT_E_NS1_11comp_targetILNS1_3genE3ELNS1_11target_archE908ELNS1_3gpuE7ELNS1_3repE0EEENS1_30default_config_static_selectorELNS0_4arch9wavefront6targetE1EEEvSK_: ; @_ZN7rocprim17ROCPRIM_400000_NS6detail17trampoline_kernelINS0_14default_configENS1_36segmented_radix_sort_config_selectorIblEEZNS1_25segmented_radix_sort_implIS3_Lb1EPKbPbPKlPlN2at6native12_GLOBAL__N_18offset_tEEE10hipError_tPvRmT1_PNSt15iterator_traitsISK_E10value_typeET2_T3_PNSL_ISQ_E10value_typeET4_jRbjT5_SW_jjP12ihipStream_tbEUlT_E_NS1_11comp_targetILNS1_3genE3ELNS1_11target_archE908ELNS1_3gpuE7ELNS1_3repE0EEENS1_30default_config_static_selectorELNS0_4arch9wavefront6targetE1EEEvSK_
; %bb.0:
	.section	.rodata,"a",@progbits
	.p2align	6, 0x0
	.amdhsa_kernel _ZN7rocprim17ROCPRIM_400000_NS6detail17trampoline_kernelINS0_14default_configENS1_36segmented_radix_sort_config_selectorIblEEZNS1_25segmented_radix_sort_implIS3_Lb1EPKbPbPKlPlN2at6native12_GLOBAL__N_18offset_tEEE10hipError_tPvRmT1_PNSt15iterator_traitsISK_E10value_typeET2_T3_PNSL_ISQ_E10value_typeET4_jRbjT5_SW_jjP12ihipStream_tbEUlT_E_NS1_11comp_targetILNS1_3genE3ELNS1_11target_archE908ELNS1_3gpuE7ELNS1_3repE0EEENS1_30default_config_static_selectorELNS0_4arch9wavefront6targetE1EEEvSK_
		.amdhsa_group_segment_fixed_size 0
		.amdhsa_private_segment_fixed_size 0
		.amdhsa_kernarg_size 96
		.amdhsa_user_sgpr_count 6
		.amdhsa_user_sgpr_private_segment_buffer 1
		.amdhsa_user_sgpr_dispatch_ptr 0
		.amdhsa_user_sgpr_queue_ptr 0
		.amdhsa_user_sgpr_kernarg_segment_ptr 1
		.amdhsa_user_sgpr_dispatch_id 0
		.amdhsa_user_sgpr_flat_scratch_init 0
		.amdhsa_user_sgpr_kernarg_preload_length 0
		.amdhsa_user_sgpr_kernarg_preload_offset 0
		.amdhsa_user_sgpr_private_segment_size 0
		.amdhsa_uses_dynamic_stack 0
		.amdhsa_system_sgpr_private_segment_wavefront_offset 0
		.amdhsa_system_sgpr_workgroup_id_x 1
		.amdhsa_system_sgpr_workgroup_id_y 0
		.amdhsa_system_sgpr_workgroup_id_z 0
		.amdhsa_system_sgpr_workgroup_info 0
		.amdhsa_system_vgpr_workitem_id 0
		.amdhsa_next_free_vgpr 1
		.amdhsa_next_free_sgpr 0
		.amdhsa_accum_offset 4
		.amdhsa_reserve_vcc 0
		.amdhsa_reserve_flat_scratch 0
		.amdhsa_float_round_mode_32 0
		.amdhsa_float_round_mode_16_64 0
		.amdhsa_float_denorm_mode_32 3
		.amdhsa_float_denorm_mode_16_64 3
		.amdhsa_dx10_clamp 1
		.amdhsa_ieee_mode 1
		.amdhsa_fp16_overflow 0
		.amdhsa_tg_split 0
		.amdhsa_exception_fp_ieee_invalid_op 0
		.amdhsa_exception_fp_denorm_src 0
		.amdhsa_exception_fp_ieee_div_zero 0
		.amdhsa_exception_fp_ieee_overflow 0
		.amdhsa_exception_fp_ieee_underflow 0
		.amdhsa_exception_fp_ieee_inexact 0
		.amdhsa_exception_int_div_zero 0
	.end_amdhsa_kernel
	.section	.text._ZN7rocprim17ROCPRIM_400000_NS6detail17trampoline_kernelINS0_14default_configENS1_36segmented_radix_sort_config_selectorIblEEZNS1_25segmented_radix_sort_implIS3_Lb1EPKbPbPKlPlN2at6native12_GLOBAL__N_18offset_tEEE10hipError_tPvRmT1_PNSt15iterator_traitsISK_E10value_typeET2_T3_PNSL_ISQ_E10value_typeET4_jRbjT5_SW_jjP12ihipStream_tbEUlT_E_NS1_11comp_targetILNS1_3genE3ELNS1_11target_archE908ELNS1_3gpuE7ELNS1_3repE0EEENS1_30default_config_static_selectorELNS0_4arch9wavefront6targetE1EEEvSK_,"axG",@progbits,_ZN7rocprim17ROCPRIM_400000_NS6detail17trampoline_kernelINS0_14default_configENS1_36segmented_radix_sort_config_selectorIblEEZNS1_25segmented_radix_sort_implIS3_Lb1EPKbPbPKlPlN2at6native12_GLOBAL__N_18offset_tEEE10hipError_tPvRmT1_PNSt15iterator_traitsISK_E10value_typeET2_T3_PNSL_ISQ_E10value_typeET4_jRbjT5_SW_jjP12ihipStream_tbEUlT_E_NS1_11comp_targetILNS1_3genE3ELNS1_11target_archE908ELNS1_3gpuE7ELNS1_3repE0EEENS1_30default_config_static_selectorELNS0_4arch9wavefront6targetE1EEEvSK_,comdat
.Lfunc_end1534:
	.size	_ZN7rocprim17ROCPRIM_400000_NS6detail17trampoline_kernelINS0_14default_configENS1_36segmented_radix_sort_config_selectorIblEEZNS1_25segmented_radix_sort_implIS3_Lb1EPKbPbPKlPlN2at6native12_GLOBAL__N_18offset_tEEE10hipError_tPvRmT1_PNSt15iterator_traitsISK_E10value_typeET2_T3_PNSL_ISQ_E10value_typeET4_jRbjT5_SW_jjP12ihipStream_tbEUlT_E_NS1_11comp_targetILNS1_3genE3ELNS1_11target_archE908ELNS1_3gpuE7ELNS1_3repE0EEENS1_30default_config_static_selectorELNS0_4arch9wavefront6targetE1EEEvSK_, .Lfunc_end1534-_ZN7rocprim17ROCPRIM_400000_NS6detail17trampoline_kernelINS0_14default_configENS1_36segmented_radix_sort_config_selectorIblEEZNS1_25segmented_radix_sort_implIS3_Lb1EPKbPbPKlPlN2at6native12_GLOBAL__N_18offset_tEEE10hipError_tPvRmT1_PNSt15iterator_traitsISK_E10value_typeET2_T3_PNSL_ISQ_E10value_typeET4_jRbjT5_SW_jjP12ihipStream_tbEUlT_E_NS1_11comp_targetILNS1_3genE3ELNS1_11target_archE908ELNS1_3gpuE7ELNS1_3repE0EEENS1_30default_config_static_selectorELNS0_4arch9wavefront6targetE1EEEvSK_
                                        ; -- End function
	.section	.AMDGPU.csdata,"",@progbits
; Kernel info:
; codeLenInByte = 0
; NumSgprs: 4
; NumVgprs: 0
; NumAgprs: 0
; TotalNumVgprs: 0
; ScratchSize: 0
; MemoryBound: 0
; FloatMode: 240
; IeeeMode: 1
; LDSByteSize: 0 bytes/workgroup (compile time only)
; SGPRBlocks: 0
; VGPRBlocks: 0
; NumSGPRsForWavesPerEU: 4
; NumVGPRsForWavesPerEU: 1
; AccumOffset: 4
; Occupancy: 8
; WaveLimiterHint : 0
; COMPUTE_PGM_RSRC2:SCRATCH_EN: 0
; COMPUTE_PGM_RSRC2:USER_SGPR: 6
; COMPUTE_PGM_RSRC2:TRAP_HANDLER: 0
; COMPUTE_PGM_RSRC2:TGID_X_EN: 1
; COMPUTE_PGM_RSRC2:TGID_Y_EN: 0
; COMPUTE_PGM_RSRC2:TGID_Z_EN: 0
; COMPUTE_PGM_RSRC2:TIDIG_COMP_CNT: 0
; COMPUTE_PGM_RSRC3_GFX90A:ACCUM_OFFSET: 0
; COMPUTE_PGM_RSRC3_GFX90A:TG_SPLIT: 0
	.section	.text._ZN7rocprim17ROCPRIM_400000_NS6detail17trampoline_kernelINS0_14default_configENS1_36segmented_radix_sort_config_selectorIblEEZNS1_25segmented_radix_sort_implIS3_Lb1EPKbPbPKlPlN2at6native12_GLOBAL__N_18offset_tEEE10hipError_tPvRmT1_PNSt15iterator_traitsISK_E10value_typeET2_T3_PNSL_ISQ_E10value_typeET4_jRbjT5_SW_jjP12ihipStream_tbEUlT_E_NS1_11comp_targetILNS1_3genE2ELNS1_11target_archE906ELNS1_3gpuE6ELNS1_3repE0EEENS1_30default_config_static_selectorELNS0_4arch9wavefront6targetE1EEEvSK_,"axG",@progbits,_ZN7rocprim17ROCPRIM_400000_NS6detail17trampoline_kernelINS0_14default_configENS1_36segmented_radix_sort_config_selectorIblEEZNS1_25segmented_radix_sort_implIS3_Lb1EPKbPbPKlPlN2at6native12_GLOBAL__N_18offset_tEEE10hipError_tPvRmT1_PNSt15iterator_traitsISK_E10value_typeET2_T3_PNSL_ISQ_E10value_typeET4_jRbjT5_SW_jjP12ihipStream_tbEUlT_E_NS1_11comp_targetILNS1_3genE2ELNS1_11target_archE906ELNS1_3gpuE6ELNS1_3repE0EEENS1_30default_config_static_selectorELNS0_4arch9wavefront6targetE1EEEvSK_,comdat
	.globl	_ZN7rocprim17ROCPRIM_400000_NS6detail17trampoline_kernelINS0_14default_configENS1_36segmented_radix_sort_config_selectorIblEEZNS1_25segmented_radix_sort_implIS3_Lb1EPKbPbPKlPlN2at6native12_GLOBAL__N_18offset_tEEE10hipError_tPvRmT1_PNSt15iterator_traitsISK_E10value_typeET2_T3_PNSL_ISQ_E10value_typeET4_jRbjT5_SW_jjP12ihipStream_tbEUlT_E_NS1_11comp_targetILNS1_3genE2ELNS1_11target_archE906ELNS1_3gpuE6ELNS1_3repE0EEENS1_30default_config_static_selectorELNS0_4arch9wavefront6targetE1EEEvSK_ ; -- Begin function _ZN7rocprim17ROCPRIM_400000_NS6detail17trampoline_kernelINS0_14default_configENS1_36segmented_radix_sort_config_selectorIblEEZNS1_25segmented_radix_sort_implIS3_Lb1EPKbPbPKlPlN2at6native12_GLOBAL__N_18offset_tEEE10hipError_tPvRmT1_PNSt15iterator_traitsISK_E10value_typeET2_T3_PNSL_ISQ_E10value_typeET4_jRbjT5_SW_jjP12ihipStream_tbEUlT_E_NS1_11comp_targetILNS1_3genE2ELNS1_11target_archE906ELNS1_3gpuE6ELNS1_3repE0EEENS1_30default_config_static_selectorELNS0_4arch9wavefront6targetE1EEEvSK_
	.p2align	8
	.type	_ZN7rocprim17ROCPRIM_400000_NS6detail17trampoline_kernelINS0_14default_configENS1_36segmented_radix_sort_config_selectorIblEEZNS1_25segmented_radix_sort_implIS3_Lb1EPKbPbPKlPlN2at6native12_GLOBAL__N_18offset_tEEE10hipError_tPvRmT1_PNSt15iterator_traitsISK_E10value_typeET2_T3_PNSL_ISQ_E10value_typeET4_jRbjT5_SW_jjP12ihipStream_tbEUlT_E_NS1_11comp_targetILNS1_3genE2ELNS1_11target_archE906ELNS1_3gpuE6ELNS1_3repE0EEENS1_30default_config_static_selectorELNS0_4arch9wavefront6targetE1EEEvSK_,@function
_ZN7rocprim17ROCPRIM_400000_NS6detail17trampoline_kernelINS0_14default_configENS1_36segmented_radix_sort_config_selectorIblEEZNS1_25segmented_radix_sort_implIS3_Lb1EPKbPbPKlPlN2at6native12_GLOBAL__N_18offset_tEEE10hipError_tPvRmT1_PNSt15iterator_traitsISK_E10value_typeET2_T3_PNSL_ISQ_E10value_typeET4_jRbjT5_SW_jjP12ihipStream_tbEUlT_E_NS1_11comp_targetILNS1_3genE2ELNS1_11target_archE906ELNS1_3gpuE6ELNS1_3repE0EEENS1_30default_config_static_selectorELNS0_4arch9wavefront6targetE1EEEvSK_: ; @_ZN7rocprim17ROCPRIM_400000_NS6detail17trampoline_kernelINS0_14default_configENS1_36segmented_radix_sort_config_selectorIblEEZNS1_25segmented_radix_sort_implIS3_Lb1EPKbPbPKlPlN2at6native12_GLOBAL__N_18offset_tEEE10hipError_tPvRmT1_PNSt15iterator_traitsISK_E10value_typeET2_T3_PNSL_ISQ_E10value_typeET4_jRbjT5_SW_jjP12ihipStream_tbEUlT_E_NS1_11comp_targetILNS1_3genE2ELNS1_11target_archE906ELNS1_3gpuE6ELNS1_3repE0EEENS1_30default_config_static_selectorELNS0_4arch9wavefront6targetE1EEEvSK_
; %bb.0:
	.section	.rodata,"a",@progbits
	.p2align	6, 0x0
	.amdhsa_kernel _ZN7rocprim17ROCPRIM_400000_NS6detail17trampoline_kernelINS0_14default_configENS1_36segmented_radix_sort_config_selectorIblEEZNS1_25segmented_radix_sort_implIS3_Lb1EPKbPbPKlPlN2at6native12_GLOBAL__N_18offset_tEEE10hipError_tPvRmT1_PNSt15iterator_traitsISK_E10value_typeET2_T3_PNSL_ISQ_E10value_typeET4_jRbjT5_SW_jjP12ihipStream_tbEUlT_E_NS1_11comp_targetILNS1_3genE2ELNS1_11target_archE906ELNS1_3gpuE6ELNS1_3repE0EEENS1_30default_config_static_selectorELNS0_4arch9wavefront6targetE1EEEvSK_
		.amdhsa_group_segment_fixed_size 0
		.amdhsa_private_segment_fixed_size 0
		.amdhsa_kernarg_size 96
		.amdhsa_user_sgpr_count 6
		.amdhsa_user_sgpr_private_segment_buffer 1
		.amdhsa_user_sgpr_dispatch_ptr 0
		.amdhsa_user_sgpr_queue_ptr 0
		.amdhsa_user_sgpr_kernarg_segment_ptr 1
		.amdhsa_user_sgpr_dispatch_id 0
		.amdhsa_user_sgpr_flat_scratch_init 0
		.amdhsa_user_sgpr_kernarg_preload_length 0
		.amdhsa_user_sgpr_kernarg_preload_offset 0
		.amdhsa_user_sgpr_private_segment_size 0
		.amdhsa_uses_dynamic_stack 0
		.amdhsa_system_sgpr_private_segment_wavefront_offset 0
		.amdhsa_system_sgpr_workgroup_id_x 1
		.amdhsa_system_sgpr_workgroup_id_y 0
		.amdhsa_system_sgpr_workgroup_id_z 0
		.amdhsa_system_sgpr_workgroup_info 0
		.amdhsa_system_vgpr_workitem_id 0
		.amdhsa_next_free_vgpr 1
		.amdhsa_next_free_sgpr 0
		.amdhsa_accum_offset 4
		.amdhsa_reserve_vcc 0
		.amdhsa_reserve_flat_scratch 0
		.amdhsa_float_round_mode_32 0
		.amdhsa_float_round_mode_16_64 0
		.amdhsa_float_denorm_mode_32 3
		.amdhsa_float_denorm_mode_16_64 3
		.amdhsa_dx10_clamp 1
		.amdhsa_ieee_mode 1
		.amdhsa_fp16_overflow 0
		.amdhsa_tg_split 0
		.amdhsa_exception_fp_ieee_invalid_op 0
		.amdhsa_exception_fp_denorm_src 0
		.amdhsa_exception_fp_ieee_div_zero 0
		.amdhsa_exception_fp_ieee_overflow 0
		.amdhsa_exception_fp_ieee_underflow 0
		.amdhsa_exception_fp_ieee_inexact 0
		.amdhsa_exception_int_div_zero 0
	.end_amdhsa_kernel
	.section	.text._ZN7rocprim17ROCPRIM_400000_NS6detail17trampoline_kernelINS0_14default_configENS1_36segmented_radix_sort_config_selectorIblEEZNS1_25segmented_radix_sort_implIS3_Lb1EPKbPbPKlPlN2at6native12_GLOBAL__N_18offset_tEEE10hipError_tPvRmT1_PNSt15iterator_traitsISK_E10value_typeET2_T3_PNSL_ISQ_E10value_typeET4_jRbjT5_SW_jjP12ihipStream_tbEUlT_E_NS1_11comp_targetILNS1_3genE2ELNS1_11target_archE906ELNS1_3gpuE6ELNS1_3repE0EEENS1_30default_config_static_selectorELNS0_4arch9wavefront6targetE1EEEvSK_,"axG",@progbits,_ZN7rocprim17ROCPRIM_400000_NS6detail17trampoline_kernelINS0_14default_configENS1_36segmented_radix_sort_config_selectorIblEEZNS1_25segmented_radix_sort_implIS3_Lb1EPKbPbPKlPlN2at6native12_GLOBAL__N_18offset_tEEE10hipError_tPvRmT1_PNSt15iterator_traitsISK_E10value_typeET2_T3_PNSL_ISQ_E10value_typeET4_jRbjT5_SW_jjP12ihipStream_tbEUlT_E_NS1_11comp_targetILNS1_3genE2ELNS1_11target_archE906ELNS1_3gpuE6ELNS1_3repE0EEENS1_30default_config_static_selectorELNS0_4arch9wavefront6targetE1EEEvSK_,comdat
.Lfunc_end1535:
	.size	_ZN7rocprim17ROCPRIM_400000_NS6detail17trampoline_kernelINS0_14default_configENS1_36segmented_radix_sort_config_selectorIblEEZNS1_25segmented_radix_sort_implIS3_Lb1EPKbPbPKlPlN2at6native12_GLOBAL__N_18offset_tEEE10hipError_tPvRmT1_PNSt15iterator_traitsISK_E10value_typeET2_T3_PNSL_ISQ_E10value_typeET4_jRbjT5_SW_jjP12ihipStream_tbEUlT_E_NS1_11comp_targetILNS1_3genE2ELNS1_11target_archE906ELNS1_3gpuE6ELNS1_3repE0EEENS1_30default_config_static_selectorELNS0_4arch9wavefront6targetE1EEEvSK_, .Lfunc_end1535-_ZN7rocprim17ROCPRIM_400000_NS6detail17trampoline_kernelINS0_14default_configENS1_36segmented_radix_sort_config_selectorIblEEZNS1_25segmented_radix_sort_implIS3_Lb1EPKbPbPKlPlN2at6native12_GLOBAL__N_18offset_tEEE10hipError_tPvRmT1_PNSt15iterator_traitsISK_E10value_typeET2_T3_PNSL_ISQ_E10value_typeET4_jRbjT5_SW_jjP12ihipStream_tbEUlT_E_NS1_11comp_targetILNS1_3genE2ELNS1_11target_archE906ELNS1_3gpuE6ELNS1_3repE0EEENS1_30default_config_static_selectorELNS0_4arch9wavefront6targetE1EEEvSK_
                                        ; -- End function
	.section	.AMDGPU.csdata,"",@progbits
; Kernel info:
; codeLenInByte = 0
; NumSgprs: 4
; NumVgprs: 0
; NumAgprs: 0
; TotalNumVgprs: 0
; ScratchSize: 0
; MemoryBound: 0
; FloatMode: 240
; IeeeMode: 1
; LDSByteSize: 0 bytes/workgroup (compile time only)
; SGPRBlocks: 0
; VGPRBlocks: 0
; NumSGPRsForWavesPerEU: 4
; NumVGPRsForWavesPerEU: 1
; AccumOffset: 4
; Occupancy: 8
; WaveLimiterHint : 0
; COMPUTE_PGM_RSRC2:SCRATCH_EN: 0
; COMPUTE_PGM_RSRC2:USER_SGPR: 6
; COMPUTE_PGM_RSRC2:TRAP_HANDLER: 0
; COMPUTE_PGM_RSRC2:TGID_X_EN: 1
; COMPUTE_PGM_RSRC2:TGID_Y_EN: 0
; COMPUTE_PGM_RSRC2:TGID_Z_EN: 0
; COMPUTE_PGM_RSRC2:TIDIG_COMP_CNT: 0
; COMPUTE_PGM_RSRC3_GFX90A:ACCUM_OFFSET: 0
; COMPUTE_PGM_RSRC3_GFX90A:TG_SPLIT: 0
	.section	.text._ZN7rocprim17ROCPRIM_400000_NS6detail17trampoline_kernelINS0_14default_configENS1_36segmented_radix_sort_config_selectorIblEEZNS1_25segmented_radix_sort_implIS3_Lb1EPKbPbPKlPlN2at6native12_GLOBAL__N_18offset_tEEE10hipError_tPvRmT1_PNSt15iterator_traitsISK_E10value_typeET2_T3_PNSL_ISQ_E10value_typeET4_jRbjT5_SW_jjP12ihipStream_tbEUlT_E_NS1_11comp_targetILNS1_3genE10ELNS1_11target_archE1201ELNS1_3gpuE5ELNS1_3repE0EEENS1_30default_config_static_selectorELNS0_4arch9wavefront6targetE1EEEvSK_,"axG",@progbits,_ZN7rocprim17ROCPRIM_400000_NS6detail17trampoline_kernelINS0_14default_configENS1_36segmented_radix_sort_config_selectorIblEEZNS1_25segmented_radix_sort_implIS3_Lb1EPKbPbPKlPlN2at6native12_GLOBAL__N_18offset_tEEE10hipError_tPvRmT1_PNSt15iterator_traitsISK_E10value_typeET2_T3_PNSL_ISQ_E10value_typeET4_jRbjT5_SW_jjP12ihipStream_tbEUlT_E_NS1_11comp_targetILNS1_3genE10ELNS1_11target_archE1201ELNS1_3gpuE5ELNS1_3repE0EEENS1_30default_config_static_selectorELNS0_4arch9wavefront6targetE1EEEvSK_,comdat
	.globl	_ZN7rocprim17ROCPRIM_400000_NS6detail17trampoline_kernelINS0_14default_configENS1_36segmented_radix_sort_config_selectorIblEEZNS1_25segmented_radix_sort_implIS3_Lb1EPKbPbPKlPlN2at6native12_GLOBAL__N_18offset_tEEE10hipError_tPvRmT1_PNSt15iterator_traitsISK_E10value_typeET2_T3_PNSL_ISQ_E10value_typeET4_jRbjT5_SW_jjP12ihipStream_tbEUlT_E_NS1_11comp_targetILNS1_3genE10ELNS1_11target_archE1201ELNS1_3gpuE5ELNS1_3repE0EEENS1_30default_config_static_selectorELNS0_4arch9wavefront6targetE1EEEvSK_ ; -- Begin function _ZN7rocprim17ROCPRIM_400000_NS6detail17trampoline_kernelINS0_14default_configENS1_36segmented_radix_sort_config_selectorIblEEZNS1_25segmented_radix_sort_implIS3_Lb1EPKbPbPKlPlN2at6native12_GLOBAL__N_18offset_tEEE10hipError_tPvRmT1_PNSt15iterator_traitsISK_E10value_typeET2_T3_PNSL_ISQ_E10value_typeET4_jRbjT5_SW_jjP12ihipStream_tbEUlT_E_NS1_11comp_targetILNS1_3genE10ELNS1_11target_archE1201ELNS1_3gpuE5ELNS1_3repE0EEENS1_30default_config_static_selectorELNS0_4arch9wavefront6targetE1EEEvSK_
	.p2align	8
	.type	_ZN7rocprim17ROCPRIM_400000_NS6detail17trampoline_kernelINS0_14default_configENS1_36segmented_radix_sort_config_selectorIblEEZNS1_25segmented_radix_sort_implIS3_Lb1EPKbPbPKlPlN2at6native12_GLOBAL__N_18offset_tEEE10hipError_tPvRmT1_PNSt15iterator_traitsISK_E10value_typeET2_T3_PNSL_ISQ_E10value_typeET4_jRbjT5_SW_jjP12ihipStream_tbEUlT_E_NS1_11comp_targetILNS1_3genE10ELNS1_11target_archE1201ELNS1_3gpuE5ELNS1_3repE0EEENS1_30default_config_static_selectorELNS0_4arch9wavefront6targetE1EEEvSK_,@function
_ZN7rocprim17ROCPRIM_400000_NS6detail17trampoline_kernelINS0_14default_configENS1_36segmented_radix_sort_config_selectorIblEEZNS1_25segmented_radix_sort_implIS3_Lb1EPKbPbPKlPlN2at6native12_GLOBAL__N_18offset_tEEE10hipError_tPvRmT1_PNSt15iterator_traitsISK_E10value_typeET2_T3_PNSL_ISQ_E10value_typeET4_jRbjT5_SW_jjP12ihipStream_tbEUlT_E_NS1_11comp_targetILNS1_3genE10ELNS1_11target_archE1201ELNS1_3gpuE5ELNS1_3repE0EEENS1_30default_config_static_selectorELNS0_4arch9wavefront6targetE1EEEvSK_: ; @_ZN7rocprim17ROCPRIM_400000_NS6detail17trampoline_kernelINS0_14default_configENS1_36segmented_radix_sort_config_selectorIblEEZNS1_25segmented_radix_sort_implIS3_Lb1EPKbPbPKlPlN2at6native12_GLOBAL__N_18offset_tEEE10hipError_tPvRmT1_PNSt15iterator_traitsISK_E10value_typeET2_T3_PNSL_ISQ_E10value_typeET4_jRbjT5_SW_jjP12ihipStream_tbEUlT_E_NS1_11comp_targetILNS1_3genE10ELNS1_11target_archE1201ELNS1_3gpuE5ELNS1_3repE0EEENS1_30default_config_static_selectorELNS0_4arch9wavefront6targetE1EEEvSK_
; %bb.0:
	.section	.rodata,"a",@progbits
	.p2align	6, 0x0
	.amdhsa_kernel _ZN7rocprim17ROCPRIM_400000_NS6detail17trampoline_kernelINS0_14default_configENS1_36segmented_radix_sort_config_selectorIblEEZNS1_25segmented_radix_sort_implIS3_Lb1EPKbPbPKlPlN2at6native12_GLOBAL__N_18offset_tEEE10hipError_tPvRmT1_PNSt15iterator_traitsISK_E10value_typeET2_T3_PNSL_ISQ_E10value_typeET4_jRbjT5_SW_jjP12ihipStream_tbEUlT_E_NS1_11comp_targetILNS1_3genE10ELNS1_11target_archE1201ELNS1_3gpuE5ELNS1_3repE0EEENS1_30default_config_static_selectorELNS0_4arch9wavefront6targetE1EEEvSK_
		.amdhsa_group_segment_fixed_size 0
		.amdhsa_private_segment_fixed_size 0
		.amdhsa_kernarg_size 96
		.amdhsa_user_sgpr_count 6
		.amdhsa_user_sgpr_private_segment_buffer 1
		.amdhsa_user_sgpr_dispatch_ptr 0
		.amdhsa_user_sgpr_queue_ptr 0
		.amdhsa_user_sgpr_kernarg_segment_ptr 1
		.amdhsa_user_sgpr_dispatch_id 0
		.amdhsa_user_sgpr_flat_scratch_init 0
		.amdhsa_user_sgpr_kernarg_preload_length 0
		.amdhsa_user_sgpr_kernarg_preload_offset 0
		.amdhsa_user_sgpr_private_segment_size 0
		.amdhsa_uses_dynamic_stack 0
		.amdhsa_system_sgpr_private_segment_wavefront_offset 0
		.amdhsa_system_sgpr_workgroup_id_x 1
		.amdhsa_system_sgpr_workgroup_id_y 0
		.amdhsa_system_sgpr_workgroup_id_z 0
		.amdhsa_system_sgpr_workgroup_info 0
		.amdhsa_system_vgpr_workitem_id 0
		.amdhsa_next_free_vgpr 1
		.amdhsa_next_free_sgpr 0
		.amdhsa_accum_offset 4
		.amdhsa_reserve_vcc 0
		.amdhsa_reserve_flat_scratch 0
		.amdhsa_float_round_mode_32 0
		.amdhsa_float_round_mode_16_64 0
		.amdhsa_float_denorm_mode_32 3
		.amdhsa_float_denorm_mode_16_64 3
		.amdhsa_dx10_clamp 1
		.amdhsa_ieee_mode 1
		.amdhsa_fp16_overflow 0
		.amdhsa_tg_split 0
		.amdhsa_exception_fp_ieee_invalid_op 0
		.amdhsa_exception_fp_denorm_src 0
		.amdhsa_exception_fp_ieee_div_zero 0
		.amdhsa_exception_fp_ieee_overflow 0
		.amdhsa_exception_fp_ieee_underflow 0
		.amdhsa_exception_fp_ieee_inexact 0
		.amdhsa_exception_int_div_zero 0
	.end_amdhsa_kernel
	.section	.text._ZN7rocprim17ROCPRIM_400000_NS6detail17trampoline_kernelINS0_14default_configENS1_36segmented_radix_sort_config_selectorIblEEZNS1_25segmented_radix_sort_implIS3_Lb1EPKbPbPKlPlN2at6native12_GLOBAL__N_18offset_tEEE10hipError_tPvRmT1_PNSt15iterator_traitsISK_E10value_typeET2_T3_PNSL_ISQ_E10value_typeET4_jRbjT5_SW_jjP12ihipStream_tbEUlT_E_NS1_11comp_targetILNS1_3genE10ELNS1_11target_archE1201ELNS1_3gpuE5ELNS1_3repE0EEENS1_30default_config_static_selectorELNS0_4arch9wavefront6targetE1EEEvSK_,"axG",@progbits,_ZN7rocprim17ROCPRIM_400000_NS6detail17trampoline_kernelINS0_14default_configENS1_36segmented_radix_sort_config_selectorIblEEZNS1_25segmented_radix_sort_implIS3_Lb1EPKbPbPKlPlN2at6native12_GLOBAL__N_18offset_tEEE10hipError_tPvRmT1_PNSt15iterator_traitsISK_E10value_typeET2_T3_PNSL_ISQ_E10value_typeET4_jRbjT5_SW_jjP12ihipStream_tbEUlT_E_NS1_11comp_targetILNS1_3genE10ELNS1_11target_archE1201ELNS1_3gpuE5ELNS1_3repE0EEENS1_30default_config_static_selectorELNS0_4arch9wavefront6targetE1EEEvSK_,comdat
.Lfunc_end1536:
	.size	_ZN7rocprim17ROCPRIM_400000_NS6detail17trampoline_kernelINS0_14default_configENS1_36segmented_radix_sort_config_selectorIblEEZNS1_25segmented_radix_sort_implIS3_Lb1EPKbPbPKlPlN2at6native12_GLOBAL__N_18offset_tEEE10hipError_tPvRmT1_PNSt15iterator_traitsISK_E10value_typeET2_T3_PNSL_ISQ_E10value_typeET4_jRbjT5_SW_jjP12ihipStream_tbEUlT_E_NS1_11comp_targetILNS1_3genE10ELNS1_11target_archE1201ELNS1_3gpuE5ELNS1_3repE0EEENS1_30default_config_static_selectorELNS0_4arch9wavefront6targetE1EEEvSK_, .Lfunc_end1536-_ZN7rocprim17ROCPRIM_400000_NS6detail17trampoline_kernelINS0_14default_configENS1_36segmented_radix_sort_config_selectorIblEEZNS1_25segmented_radix_sort_implIS3_Lb1EPKbPbPKlPlN2at6native12_GLOBAL__N_18offset_tEEE10hipError_tPvRmT1_PNSt15iterator_traitsISK_E10value_typeET2_T3_PNSL_ISQ_E10value_typeET4_jRbjT5_SW_jjP12ihipStream_tbEUlT_E_NS1_11comp_targetILNS1_3genE10ELNS1_11target_archE1201ELNS1_3gpuE5ELNS1_3repE0EEENS1_30default_config_static_selectorELNS0_4arch9wavefront6targetE1EEEvSK_
                                        ; -- End function
	.section	.AMDGPU.csdata,"",@progbits
; Kernel info:
; codeLenInByte = 0
; NumSgprs: 4
; NumVgprs: 0
; NumAgprs: 0
; TotalNumVgprs: 0
; ScratchSize: 0
; MemoryBound: 0
; FloatMode: 240
; IeeeMode: 1
; LDSByteSize: 0 bytes/workgroup (compile time only)
; SGPRBlocks: 0
; VGPRBlocks: 0
; NumSGPRsForWavesPerEU: 4
; NumVGPRsForWavesPerEU: 1
; AccumOffset: 4
; Occupancy: 8
; WaveLimiterHint : 0
; COMPUTE_PGM_RSRC2:SCRATCH_EN: 0
; COMPUTE_PGM_RSRC2:USER_SGPR: 6
; COMPUTE_PGM_RSRC2:TRAP_HANDLER: 0
; COMPUTE_PGM_RSRC2:TGID_X_EN: 1
; COMPUTE_PGM_RSRC2:TGID_Y_EN: 0
; COMPUTE_PGM_RSRC2:TGID_Z_EN: 0
; COMPUTE_PGM_RSRC2:TIDIG_COMP_CNT: 0
; COMPUTE_PGM_RSRC3_GFX90A:ACCUM_OFFSET: 0
; COMPUTE_PGM_RSRC3_GFX90A:TG_SPLIT: 0
	.section	.text._ZN7rocprim17ROCPRIM_400000_NS6detail17trampoline_kernelINS0_14default_configENS1_36segmented_radix_sort_config_selectorIblEEZNS1_25segmented_radix_sort_implIS3_Lb1EPKbPbPKlPlN2at6native12_GLOBAL__N_18offset_tEEE10hipError_tPvRmT1_PNSt15iterator_traitsISK_E10value_typeET2_T3_PNSL_ISQ_E10value_typeET4_jRbjT5_SW_jjP12ihipStream_tbEUlT_E_NS1_11comp_targetILNS1_3genE10ELNS1_11target_archE1200ELNS1_3gpuE4ELNS1_3repE0EEENS1_30default_config_static_selectorELNS0_4arch9wavefront6targetE1EEEvSK_,"axG",@progbits,_ZN7rocprim17ROCPRIM_400000_NS6detail17trampoline_kernelINS0_14default_configENS1_36segmented_radix_sort_config_selectorIblEEZNS1_25segmented_radix_sort_implIS3_Lb1EPKbPbPKlPlN2at6native12_GLOBAL__N_18offset_tEEE10hipError_tPvRmT1_PNSt15iterator_traitsISK_E10value_typeET2_T3_PNSL_ISQ_E10value_typeET4_jRbjT5_SW_jjP12ihipStream_tbEUlT_E_NS1_11comp_targetILNS1_3genE10ELNS1_11target_archE1200ELNS1_3gpuE4ELNS1_3repE0EEENS1_30default_config_static_selectorELNS0_4arch9wavefront6targetE1EEEvSK_,comdat
	.globl	_ZN7rocprim17ROCPRIM_400000_NS6detail17trampoline_kernelINS0_14default_configENS1_36segmented_radix_sort_config_selectorIblEEZNS1_25segmented_radix_sort_implIS3_Lb1EPKbPbPKlPlN2at6native12_GLOBAL__N_18offset_tEEE10hipError_tPvRmT1_PNSt15iterator_traitsISK_E10value_typeET2_T3_PNSL_ISQ_E10value_typeET4_jRbjT5_SW_jjP12ihipStream_tbEUlT_E_NS1_11comp_targetILNS1_3genE10ELNS1_11target_archE1200ELNS1_3gpuE4ELNS1_3repE0EEENS1_30default_config_static_selectorELNS0_4arch9wavefront6targetE1EEEvSK_ ; -- Begin function _ZN7rocprim17ROCPRIM_400000_NS6detail17trampoline_kernelINS0_14default_configENS1_36segmented_radix_sort_config_selectorIblEEZNS1_25segmented_radix_sort_implIS3_Lb1EPKbPbPKlPlN2at6native12_GLOBAL__N_18offset_tEEE10hipError_tPvRmT1_PNSt15iterator_traitsISK_E10value_typeET2_T3_PNSL_ISQ_E10value_typeET4_jRbjT5_SW_jjP12ihipStream_tbEUlT_E_NS1_11comp_targetILNS1_3genE10ELNS1_11target_archE1200ELNS1_3gpuE4ELNS1_3repE0EEENS1_30default_config_static_selectorELNS0_4arch9wavefront6targetE1EEEvSK_
	.p2align	8
	.type	_ZN7rocprim17ROCPRIM_400000_NS6detail17trampoline_kernelINS0_14default_configENS1_36segmented_radix_sort_config_selectorIblEEZNS1_25segmented_radix_sort_implIS3_Lb1EPKbPbPKlPlN2at6native12_GLOBAL__N_18offset_tEEE10hipError_tPvRmT1_PNSt15iterator_traitsISK_E10value_typeET2_T3_PNSL_ISQ_E10value_typeET4_jRbjT5_SW_jjP12ihipStream_tbEUlT_E_NS1_11comp_targetILNS1_3genE10ELNS1_11target_archE1200ELNS1_3gpuE4ELNS1_3repE0EEENS1_30default_config_static_selectorELNS0_4arch9wavefront6targetE1EEEvSK_,@function
_ZN7rocprim17ROCPRIM_400000_NS6detail17trampoline_kernelINS0_14default_configENS1_36segmented_radix_sort_config_selectorIblEEZNS1_25segmented_radix_sort_implIS3_Lb1EPKbPbPKlPlN2at6native12_GLOBAL__N_18offset_tEEE10hipError_tPvRmT1_PNSt15iterator_traitsISK_E10value_typeET2_T3_PNSL_ISQ_E10value_typeET4_jRbjT5_SW_jjP12ihipStream_tbEUlT_E_NS1_11comp_targetILNS1_3genE10ELNS1_11target_archE1200ELNS1_3gpuE4ELNS1_3repE0EEENS1_30default_config_static_selectorELNS0_4arch9wavefront6targetE1EEEvSK_: ; @_ZN7rocprim17ROCPRIM_400000_NS6detail17trampoline_kernelINS0_14default_configENS1_36segmented_radix_sort_config_selectorIblEEZNS1_25segmented_radix_sort_implIS3_Lb1EPKbPbPKlPlN2at6native12_GLOBAL__N_18offset_tEEE10hipError_tPvRmT1_PNSt15iterator_traitsISK_E10value_typeET2_T3_PNSL_ISQ_E10value_typeET4_jRbjT5_SW_jjP12ihipStream_tbEUlT_E_NS1_11comp_targetILNS1_3genE10ELNS1_11target_archE1200ELNS1_3gpuE4ELNS1_3repE0EEENS1_30default_config_static_selectorELNS0_4arch9wavefront6targetE1EEEvSK_
; %bb.0:
	.section	.rodata,"a",@progbits
	.p2align	6, 0x0
	.amdhsa_kernel _ZN7rocprim17ROCPRIM_400000_NS6detail17trampoline_kernelINS0_14default_configENS1_36segmented_radix_sort_config_selectorIblEEZNS1_25segmented_radix_sort_implIS3_Lb1EPKbPbPKlPlN2at6native12_GLOBAL__N_18offset_tEEE10hipError_tPvRmT1_PNSt15iterator_traitsISK_E10value_typeET2_T3_PNSL_ISQ_E10value_typeET4_jRbjT5_SW_jjP12ihipStream_tbEUlT_E_NS1_11comp_targetILNS1_3genE10ELNS1_11target_archE1200ELNS1_3gpuE4ELNS1_3repE0EEENS1_30default_config_static_selectorELNS0_4arch9wavefront6targetE1EEEvSK_
		.amdhsa_group_segment_fixed_size 0
		.amdhsa_private_segment_fixed_size 0
		.amdhsa_kernarg_size 96
		.amdhsa_user_sgpr_count 6
		.amdhsa_user_sgpr_private_segment_buffer 1
		.amdhsa_user_sgpr_dispatch_ptr 0
		.amdhsa_user_sgpr_queue_ptr 0
		.amdhsa_user_sgpr_kernarg_segment_ptr 1
		.amdhsa_user_sgpr_dispatch_id 0
		.amdhsa_user_sgpr_flat_scratch_init 0
		.amdhsa_user_sgpr_kernarg_preload_length 0
		.amdhsa_user_sgpr_kernarg_preload_offset 0
		.amdhsa_user_sgpr_private_segment_size 0
		.amdhsa_uses_dynamic_stack 0
		.amdhsa_system_sgpr_private_segment_wavefront_offset 0
		.amdhsa_system_sgpr_workgroup_id_x 1
		.amdhsa_system_sgpr_workgroup_id_y 0
		.amdhsa_system_sgpr_workgroup_id_z 0
		.amdhsa_system_sgpr_workgroup_info 0
		.amdhsa_system_vgpr_workitem_id 0
		.amdhsa_next_free_vgpr 1
		.amdhsa_next_free_sgpr 0
		.amdhsa_accum_offset 4
		.amdhsa_reserve_vcc 0
		.amdhsa_reserve_flat_scratch 0
		.amdhsa_float_round_mode_32 0
		.amdhsa_float_round_mode_16_64 0
		.amdhsa_float_denorm_mode_32 3
		.amdhsa_float_denorm_mode_16_64 3
		.amdhsa_dx10_clamp 1
		.amdhsa_ieee_mode 1
		.amdhsa_fp16_overflow 0
		.amdhsa_tg_split 0
		.amdhsa_exception_fp_ieee_invalid_op 0
		.amdhsa_exception_fp_denorm_src 0
		.amdhsa_exception_fp_ieee_div_zero 0
		.amdhsa_exception_fp_ieee_overflow 0
		.amdhsa_exception_fp_ieee_underflow 0
		.amdhsa_exception_fp_ieee_inexact 0
		.amdhsa_exception_int_div_zero 0
	.end_amdhsa_kernel
	.section	.text._ZN7rocprim17ROCPRIM_400000_NS6detail17trampoline_kernelINS0_14default_configENS1_36segmented_radix_sort_config_selectorIblEEZNS1_25segmented_radix_sort_implIS3_Lb1EPKbPbPKlPlN2at6native12_GLOBAL__N_18offset_tEEE10hipError_tPvRmT1_PNSt15iterator_traitsISK_E10value_typeET2_T3_PNSL_ISQ_E10value_typeET4_jRbjT5_SW_jjP12ihipStream_tbEUlT_E_NS1_11comp_targetILNS1_3genE10ELNS1_11target_archE1200ELNS1_3gpuE4ELNS1_3repE0EEENS1_30default_config_static_selectorELNS0_4arch9wavefront6targetE1EEEvSK_,"axG",@progbits,_ZN7rocprim17ROCPRIM_400000_NS6detail17trampoline_kernelINS0_14default_configENS1_36segmented_radix_sort_config_selectorIblEEZNS1_25segmented_radix_sort_implIS3_Lb1EPKbPbPKlPlN2at6native12_GLOBAL__N_18offset_tEEE10hipError_tPvRmT1_PNSt15iterator_traitsISK_E10value_typeET2_T3_PNSL_ISQ_E10value_typeET4_jRbjT5_SW_jjP12ihipStream_tbEUlT_E_NS1_11comp_targetILNS1_3genE10ELNS1_11target_archE1200ELNS1_3gpuE4ELNS1_3repE0EEENS1_30default_config_static_selectorELNS0_4arch9wavefront6targetE1EEEvSK_,comdat
.Lfunc_end1537:
	.size	_ZN7rocprim17ROCPRIM_400000_NS6detail17trampoline_kernelINS0_14default_configENS1_36segmented_radix_sort_config_selectorIblEEZNS1_25segmented_radix_sort_implIS3_Lb1EPKbPbPKlPlN2at6native12_GLOBAL__N_18offset_tEEE10hipError_tPvRmT1_PNSt15iterator_traitsISK_E10value_typeET2_T3_PNSL_ISQ_E10value_typeET4_jRbjT5_SW_jjP12ihipStream_tbEUlT_E_NS1_11comp_targetILNS1_3genE10ELNS1_11target_archE1200ELNS1_3gpuE4ELNS1_3repE0EEENS1_30default_config_static_selectorELNS0_4arch9wavefront6targetE1EEEvSK_, .Lfunc_end1537-_ZN7rocprim17ROCPRIM_400000_NS6detail17trampoline_kernelINS0_14default_configENS1_36segmented_radix_sort_config_selectorIblEEZNS1_25segmented_radix_sort_implIS3_Lb1EPKbPbPKlPlN2at6native12_GLOBAL__N_18offset_tEEE10hipError_tPvRmT1_PNSt15iterator_traitsISK_E10value_typeET2_T3_PNSL_ISQ_E10value_typeET4_jRbjT5_SW_jjP12ihipStream_tbEUlT_E_NS1_11comp_targetILNS1_3genE10ELNS1_11target_archE1200ELNS1_3gpuE4ELNS1_3repE0EEENS1_30default_config_static_selectorELNS0_4arch9wavefront6targetE1EEEvSK_
                                        ; -- End function
	.section	.AMDGPU.csdata,"",@progbits
; Kernel info:
; codeLenInByte = 0
; NumSgprs: 4
; NumVgprs: 0
; NumAgprs: 0
; TotalNumVgprs: 0
; ScratchSize: 0
; MemoryBound: 0
; FloatMode: 240
; IeeeMode: 1
; LDSByteSize: 0 bytes/workgroup (compile time only)
; SGPRBlocks: 0
; VGPRBlocks: 0
; NumSGPRsForWavesPerEU: 4
; NumVGPRsForWavesPerEU: 1
; AccumOffset: 4
; Occupancy: 8
; WaveLimiterHint : 0
; COMPUTE_PGM_RSRC2:SCRATCH_EN: 0
; COMPUTE_PGM_RSRC2:USER_SGPR: 6
; COMPUTE_PGM_RSRC2:TRAP_HANDLER: 0
; COMPUTE_PGM_RSRC2:TGID_X_EN: 1
; COMPUTE_PGM_RSRC2:TGID_Y_EN: 0
; COMPUTE_PGM_RSRC2:TGID_Z_EN: 0
; COMPUTE_PGM_RSRC2:TIDIG_COMP_CNT: 0
; COMPUTE_PGM_RSRC3_GFX90A:ACCUM_OFFSET: 0
; COMPUTE_PGM_RSRC3_GFX90A:TG_SPLIT: 0
	.section	.text._ZN7rocprim17ROCPRIM_400000_NS6detail17trampoline_kernelINS0_14default_configENS1_36segmented_radix_sort_config_selectorIblEEZNS1_25segmented_radix_sort_implIS3_Lb1EPKbPbPKlPlN2at6native12_GLOBAL__N_18offset_tEEE10hipError_tPvRmT1_PNSt15iterator_traitsISK_E10value_typeET2_T3_PNSL_ISQ_E10value_typeET4_jRbjT5_SW_jjP12ihipStream_tbEUlT_E_NS1_11comp_targetILNS1_3genE9ELNS1_11target_archE1100ELNS1_3gpuE3ELNS1_3repE0EEENS1_30default_config_static_selectorELNS0_4arch9wavefront6targetE1EEEvSK_,"axG",@progbits,_ZN7rocprim17ROCPRIM_400000_NS6detail17trampoline_kernelINS0_14default_configENS1_36segmented_radix_sort_config_selectorIblEEZNS1_25segmented_radix_sort_implIS3_Lb1EPKbPbPKlPlN2at6native12_GLOBAL__N_18offset_tEEE10hipError_tPvRmT1_PNSt15iterator_traitsISK_E10value_typeET2_T3_PNSL_ISQ_E10value_typeET4_jRbjT5_SW_jjP12ihipStream_tbEUlT_E_NS1_11comp_targetILNS1_3genE9ELNS1_11target_archE1100ELNS1_3gpuE3ELNS1_3repE0EEENS1_30default_config_static_selectorELNS0_4arch9wavefront6targetE1EEEvSK_,comdat
	.globl	_ZN7rocprim17ROCPRIM_400000_NS6detail17trampoline_kernelINS0_14default_configENS1_36segmented_radix_sort_config_selectorIblEEZNS1_25segmented_radix_sort_implIS3_Lb1EPKbPbPKlPlN2at6native12_GLOBAL__N_18offset_tEEE10hipError_tPvRmT1_PNSt15iterator_traitsISK_E10value_typeET2_T3_PNSL_ISQ_E10value_typeET4_jRbjT5_SW_jjP12ihipStream_tbEUlT_E_NS1_11comp_targetILNS1_3genE9ELNS1_11target_archE1100ELNS1_3gpuE3ELNS1_3repE0EEENS1_30default_config_static_selectorELNS0_4arch9wavefront6targetE1EEEvSK_ ; -- Begin function _ZN7rocprim17ROCPRIM_400000_NS6detail17trampoline_kernelINS0_14default_configENS1_36segmented_radix_sort_config_selectorIblEEZNS1_25segmented_radix_sort_implIS3_Lb1EPKbPbPKlPlN2at6native12_GLOBAL__N_18offset_tEEE10hipError_tPvRmT1_PNSt15iterator_traitsISK_E10value_typeET2_T3_PNSL_ISQ_E10value_typeET4_jRbjT5_SW_jjP12ihipStream_tbEUlT_E_NS1_11comp_targetILNS1_3genE9ELNS1_11target_archE1100ELNS1_3gpuE3ELNS1_3repE0EEENS1_30default_config_static_selectorELNS0_4arch9wavefront6targetE1EEEvSK_
	.p2align	8
	.type	_ZN7rocprim17ROCPRIM_400000_NS6detail17trampoline_kernelINS0_14default_configENS1_36segmented_radix_sort_config_selectorIblEEZNS1_25segmented_radix_sort_implIS3_Lb1EPKbPbPKlPlN2at6native12_GLOBAL__N_18offset_tEEE10hipError_tPvRmT1_PNSt15iterator_traitsISK_E10value_typeET2_T3_PNSL_ISQ_E10value_typeET4_jRbjT5_SW_jjP12ihipStream_tbEUlT_E_NS1_11comp_targetILNS1_3genE9ELNS1_11target_archE1100ELNS1_3gpuE3ELNS1_3repE0EEENS1_30default_config_static_selectorELNS0_4arch9wavefront6targetE1EEEvSK_,@function
_ZN7rocprim17ROCPRIM_400000_NS6detail17trampoline_kernelINS0_14default_configENS1_36segmented_radix_sort_config_selectorIblEEZNS1_25segmented_radix_sort_implIS3_Lb1EPKbPbPKlPlN2at6native12_GLOBAL__N_18offset_tEEE10hipError_tPvRmT1_PNSt15iterator_traitsISK_E10value_typeET2_T3_PNSL_ISQ_E10value_typeET4_jRbjT5_SW_jjP12ihipStream_tbEUlT_E_NS1_11comp_targetILNS1_3genE9ELNS1_11target_archE1100ELNS1_3gpuE3ELNS1_3repE0EEENS1_30default_config_static_selectorELNS0_4arch9wavefront6targetE1EEEvSK_: ; @_ZN7rocprim17ROCPRIM_400000_NS6detail17trampoline_kernelINS0_14default_configENS1_36segmented_radix_sort_config_selectorIblEEZNS1_25segmented_radix_sort_implIS3_Lb1EPKbPbPKlPlN2at6native12_GLOBAL__N_18offset_tEEE10hipError_tPvRmT1_PNSt15iterator_traitsISK_E10value_typeET2_T3_PNSL_ISQ_E10value_typeET4_jRbjT5_SW_jjP12ihipStream_tbEUlT_E_NS1_11comp_targetILNS1_3genE9ELNS1_11target_archE1100ELNS1_3gpuE3ELNS1_3repE0EEENS1_30default_config_static_selectorELNS0_4arch9wavefront6targetE1EEEvSK_
; %bb.0:
	.section	.rodata,"a",@progbits
	.p2align	6, 0x0
	.amdhsa_kernel _ZN7rocprim17ROCPRIM_400000_NS6detail17trampoline_kernelINS0_14default_configENS1_36segmented_radix_sort_config_selectorIblEEZNS1_25segmented_radix_sort_implIS3_Lb1EPKbPbPKlPlN2at6native12_GLOBAL__N_18offset_tEEE10hipError_tPvRmT1_PNSt15iterator_traitsISK_E10value_typeET2_T3_PNSL_ISQ_E10value_typeET4_jRbjT5_SW_jjP12ihipStream_tbEUlT_E_NS1_11comp_targetILNS1_3genE9ELNS1_11target_archE1100ELNS1_3gpuE3ELNS1_3repE0EEENS1_30default_config_static_selectorELNS0_4arch9wavefront6targetE1EEEvSK_
		.amdhsa_group_segment_fixed_size 0
		.amdhsa_private_segment_fixed_size 0
		.amdhsa_kernarg_size 96
		.amdhsa_user_sgpr_count 6
		.amdhsa_user_sgpr_private_segment_buffer 1
		.amdhsa_user_sgpr_dispatch_ptr 0
		.amdhsa_user_sgpr_queue_ptr 0
		.amdhsa_user_sgpr_kernarg_segment_ptr 1
		.amdhsa_user_sgpr_dispatch_id 0
		.amdhsa_user_sgpr_flat_scratch_init 0
		.amdhsa_user_sgpr_kernarg_preload_length 0
		.amdhsa_user_sgpr_kernarg_preload_offset 0
		.amdhsa_user_sgpr_private_segment_size 0
		.amdhsa_uses_dynamic_stack 0
		.amdhsa_system_sgpr_private_segment_wavefront_offset 0
		.amdhsa_system_sgpr_workgroup_id_x 1
		.amdhsa_system_sgpr_workgroup_id_y 0
		.amdhsa_system_sgpr_workgroup_id_z 0
		.amdhsa_system_sgpr_workgroup_info 0
		.amdhsa_system_vgpr_workitem_id 0
		.amdhsa_next_free_vgpr 1
		.amdhsa_next_free_sgpr 0
		.amdhsa_accum_offset 4
		.amdhsa_reserve_vcc 0
		.amdhsa_reserve_flat_scratch 0
		.amdhsa_float_round_mode_32 0
		.amdhsa_float_round_mode_16_64 0
		.amdhsa_float_denorm_mode_32 3
		.amdhsa_float_denorm_mode_16_64 3
		.amdhsa_dx10_clamp 1
		.amdhsa_ieee_mode 1
		.amdhsa_fp16_overflow 0
		.amdhsa_tg_split 0
		.amdhsa_exception_fp_ieee_invalid_op 0
		.amdhsa_exception_fp_denorm_src 0
		.amdhsa_exception_fp_ieee_div_zero 0
		.amdhsa_exception_fp_ieee_overflow 0
		.amdhsa_exception_fp_ieee_underflow 0
		.amdhsa_exception_fp_ieee_inexact 0
		.amdhsa_exception_int_div_zero 0
	.end_amdhsa_kernel
	.section	.text._ZN7rocprim17ROCPRIM_400000_NS6detail17trampoline_kernelINS0_14default_configENS1_36segmented_radix_sort_config_selectorIblEEZNS1_25segmented_radix_sort_implIS3_Lb1EPKbPbPKlPlN2at6native12_GLOBAL__N_18offset_tEEE10hipError_tPvRmT1_PNSt15iterator_traitsISK_E10value_typeET2_T3_PNSL_ISQ_E10value_typeET4_jRbjT5_SW_jjP12ihipStream_tbEUlT_E_NS1_11comp_targetILNS1_3genE9ELNS1_11target_archE1100ELNS1_3gpuE3ELNS1_3repE0EEENS1_30default_config_static_selectorELNS0_4arch9wavefront6targetE1EEEvSK_,"axG",@progbits,_ZN7rocprim17ROCPRIM_400000_NS6detail17trampoline_kernelINS0_14default_configENS1_36segmented_radix_sort_config_selectorIblEEZNS1_25segmented_radix_sort_implIS3_Lb1EPKbPbPKlPlN2at6native12_GLOBAL__N_18offset_tEEE10hipError_tPvRmT1_PNSt15iterator_traitsISK_E10value_typeET2_T3_PNSL_ISQ_E10value_typeET4_jRbjT5_SW_jjP12ihipStream_tbEUlT_E_NS1_11comp_targetILNS1_3genE9ELNS1_11target_archE1100ELNS1_3gpuE3ELNS1_3repE0EEENS1_30default_config_static_selectorELNS0_4arch9wavefront6targetE1EEEvSK_,comdat
.Lfunc_end1538:
	.size	_ZN7rocprim17ROCPRIM_400000_NS6detail17trampoline_kernelINS0_14default_configENS1_36segmented_radix_sort_config_selectorIblEEZNS1_25segmented_radix_sort_implIS3_Lb1EPKbPbPKlPlN2at6native12_GLOBAL__N_18offset_tEEE10hipError_tPvRmT1_PNSt15iterator_traitsISK_E10value_typeET2_T3_PNSL_ISQ_E10value_typeET4_jRbjT5_SW_jjP12ihipStream_tbEUlT_E_NS1_11comp_targetILNS1_3genE9ELNS1_11target_archE1100ELNS1_3gpuE3ELNS1_3repE0EEENS1_30default_config_static_selectorELNS0_4arch9wavefront6targetE1EEEvSK_, .Lfunc_end1538-_ZN7rocprim17ROCPRIM_400000_NS6detail17trampoline_kernelINS0_14default_configENS1_36segmented_radix_sort_config_selectorIblEEZNS1_25segmented_radix_sort_implIS3_Lb1EPKbPbPKlPlN2at6native12_GLOBAL__N_18offset_tEEE10hipError_tPvRmT1_PNSt15iterator_traitsISK_E10value_typeET2_T3_PNSL_ISQ_E10value_typeET4_jRbjT5_SW_jjP12ihipStream_tbEUlT_E_NS1_11comp_targetILNS1_3genE9ELNS1_11target_archE1100ELNS1_3gpuE3ELNS1_3repE0EEENS1_30default_config_static_selectorELNS0_4arch9wavefront6targetE1EEEvSK_
                                        ; -- End function
	.section	.AMDGPU.csdata,"",@progbits
; Kernel info:
; codeLenInByte = 0
; NumSgprs: 4
; NumVgprs: 0
; NumAgprs: 0
; TotalNumVgprs: 0
; ScratchSize: 0
; MemoryBound: 0
; FloatMode: 240
; IeeeMode: 1
; LDSByteSize: 0 bytes/workgroup (compile time only)
; SGPRBlocks: 0
; VGPRBlocks: 0
; NumSGPRsForWavesPerEU: 4
; NumVGPRsForWavesPerEU: 1
; AccumOffset: 4
; Occupancy: 8
; WaveLimiterHint : 0
; COMPUTE_PGM_RSRC2:SCRATCH_EN: 0
; COMPUTE_PGM_RSRC2:USER_SGPR: 6
; COMPUTE_PGM_RSRC2:TRAP_HANDLER: 0
; COMPUTE_PGM_RSRC2:TGID_X_EN: 1
; COMPUTE_PGM_RSRC2:TGID_Y_EN: 0
; COMPUTE_PGM_RSRC2:TGID_Z_EN: 0
; COMPUTE_PGM_RSRC2:TIDIG_COMP_CNT: 0
; COMPUTE_PGM_RSRC3_GFX90A:ACCUM_OFFSET: 0
; COMPUTE_PGM_RSRC3_GFX90A:TG_SPLIT: 0
	.section	.text._ZN7rocprim17ROCPRIM_400000_NS6detail17trampoline_kernelINS0_14default_configENS1_36segmented_radix_sort_config_selectorIblEEZNS1_25segmented_radix_sort_implIS3_Lb1EPKbPbPKlPlN2at6native12_GLOBAL__N_18offset_tEEE10hipError_tPvRmT1_PNSt15iterator_traitsISK_E10value_typeET2_T3_PNSL_ISQ_E10value_typeET4_jRbjT5_SW_jjP12ihipStream_tbEUlT_E_NS1_11comp_targetILNS1_3genE8ELNS1_11target_archE1030ELNS1_3gpuE2ELNS1_3repE0EEENS1_30default_config_static_selectorELNS0_4arch9wavefront6targetE1EEEvSK_,"axG",@progbits,_ZN7rocprim17ROCPRIM_400000_NS6detail17trampoline_kernelINS0_14default_configENS1_36segmented_radix_sort_config_selectorIblEEZNS1_25segmented_radix_sort_implIS3_Lb1EPKbPbPKlPlN2at6native12_GLOBAL__N_18offset_tEEE10hipError_tPvRmT1_PNSt15iterator_traitsISK_E10value_typeET2_T3_PNSL_ISQ_E10value_typeET4_jRbjT5_SW_jjP12ihipStream_tbEUlT_E_NS1_11comp_targetILNS1_3genE8ELNS1_11target_archE1030ELNS1_3gpuE2ELNS1_3repE0EEENS1_30default_config_static_selectorELNS0_4arch9wavefront6targetE1EEEvSK_,comdat
	.globl	_ZN7rocprim17ROCPRIM_400000_NS6detail17trampoline_kernelINS0_14default_configENS1_36segmented_radix_sort_config_selectorIblEEZNS1_25segmented_radix_sort_implIS3_Lb1EPKbPbPKlPlN2at6native12_GLOBAL__N_18offset_tEEE10hipError_tPvRmT1_PNSt15iterator_traitsISK_E10value_typeET2_T3_PNSL_ISQ_E10value_typeET4_jRbjT5_SW_jjP12ihipStream_tbEUlT_E_NS1_11comp_targetILNS1_3genE8ELNS1_11target_archE1030ELNS1_3gpuE2ELNS1_3repE0EEENS1_30default_config_static_selectorELNS0_4arch9wavefront6targetE1EEEvSK_ ; -- Begin function _ZN7rocprim17ROCPRIM_400000_NS6detail17trampoline_kernelINS0_14default_configENS1_36segmented_radix_sort_config_selectorIblEEZNS1_25segmented_radix_sort_implIS3_Lb1EPKbPbPKlPlN2at6native12_GLOBAL__N_18offset_tEEE10hipError_tPvRmT1_PNSt15iterator_traitsISK_E10value_typeET2_T3_PNSL_ISQ_E10value_typeET4_jRbjT5_SW_jjP12ihipStream_tbEUlT_E_NS1_11comp_targetILNS1_3genE8ELNS1_11target_archE1030ELNS1_3gpuE2ELNS1_3repE0EEENS1_30default_config_static_selectorELNS0_4arch9wavefront6targetE1EEEvSK_
	.p2align	8
	.type	_ZN7rocprim17ROCPRIM_400000_NS6detail17trampoline_kernelINS0_14default_configENS1_36segmented_radix_sort_config_selectorIblEEZNS1_25segmented_radix_sort_implIS3_Lb1EPKbPbPKlPlN2at6native12_GLOBAL__N_18offset_tEEE10hipError_tPvRmT1_PNSt15iterator_traitsISK_E10value_typeET2_T3_PNSL_ISQ_E10value_typeET4_jRbjT5_SW_jjP12ihipStream_tbEUlT_E_NS1_11comp_targetILNS1_3genE8ELNS1_11target_archE1030ELNS1_3gpuE2ELNS1_3repE0EEENS1_30default_config_static_selectorELNS0_4arch9wavefront6targetE1EEEvSK_,@function
_ZN7rocprim17ROCPRIM_400000_NS6detail17trampoline_kernelINS0_14default_configENS1_36segmented_radix_sort_config_selectorIblEEZNS1_25segmented_radix_sort_implIS3_Lb1EPKbPbPKlPlN2at6native12_GLOBAL__N_18offset_tEEE10hipError_tPvRmT1_PNSt15iterator_traitsISK_E10value_typeET2_T3_PNSL_ISQ_E10value_typeET4_jRbjT5_SW_jjP12ihipStream_tbEUlT_E_NS1_11comp_targetILNS1_3genE8ELNS1_11target_archE1030ELNS1_3gpuE2ELNS1_3repE0EEENS1_30default_config_static_selectorELNS0_4arch9wavefront6targetE1EEEvSK_: ; @_ZN7rocprim17ROCPRIM_400000_NS6detail17trampoline_kernelINS0_14default_configENS1_36segmented_radix_sort_config_selectorIblEEZNS1_25segmented_radix_sort_implIS3_Lb1EPKbPbPKlPlN2at6native12_GLOBAL__N_18offset_tEEE10hipError_tPvRmT1_PNSt15iterator_traitsISK_E10value_typeET2_T3_PNSL_ISQ_E10value_typeET4_jRbjT5_SW_jjP12ihipStream_tbEUlT_E_NS1_11comp_targetILNS1_3genE8ELNS1_11target_archE1030ELNS1_3gpuE2ELNS1_3repE0EEENS1_30default_config_static_selectorELNS0_4arch9wavefront6targetE1EEEvSK_
; %bb.0:
	.section	.rodata,"a",@progbits
	.p2align	6, 0x0
	.amdhsa_kernel _ZN7rocprim17ROCPRIM_400000_NS6detail17trampoline_kernelINS0_14default_configENS1_36segmented_radix_sort_config_selectorIblEEZNS1_25segmented_radix_sort_implIS3_Lb1EPKbPbPKlPlN2at6native12_GLOBAL__N_18offset_tEEE10hipError_tPvRmT1_PNSt15iterator_traitsISK_E10value_typeET2_T3_PNSL_ISQ_E10value_typeET4_jRbjT5_SW_jjP12ihipStream_tbEUlT_E_NS1_11comp_targetILNS1_3genE8ELNS1_11target_archE1030ELNS1_3gpuE2ELNS1_3repE0EEENS1_30default_config_static_selectorELNS0_4arch9wavefront6targetE1EEEvSK_
		.amdhsa_group_segment_fixed_size 0
		.amdhsa_private_segment_fixed_size 0
		.amdhsa_kernarg_size 96
		.amdhsa_user_sgpr_count 6
		.amdhsa_user_sgpr_private_segment_buffer 1
		.amdhsa_user_sgpr_dispatch_ptr 0
		.amdhsa_user_sgpr_queue_ptr 0
		.amdhsa_user_sgpr_kernarg_segment_ptr 1
		.amdhsa_user_sgpr_dispatch_id 0
		.amdhsa_user_sgpr_flat_scratch_init 0
		.amdhsa_user_sgpr_kernarg_preload_length 0
		.amdhsa_user_sgpr_kernarg_preload_offset 0
		.amdhsa_user_sgpr_private_segment_size 0
		.amdhsa_uses_dynamic_stack 0
		.amdhsa_system_sgpr_private_segment_wavefront_offset 0
		.amdhsa_system_sgpr_workgroup_id_x 1
		.amdhsa_system_sgpr_workgroup_id_y 0
		.amdhsa_system_sgpr_workgroup_id_z 0
		.amdhsa_system_sgpr_workgroup_info 0
		.amdhsa_system_vgpr_workitem_id 0
		.amdhsa_next_free_vgpr 1
		.amdhsa_next_free_sgpr 0
		.amdhsa_accum_offset 4
		.amdhsa_reserve_vcc 0
		.amdhsa_reserve_flat_scratch 0
		.amdhsa_float_round_mode_32 0
		.amdhsa_float_round_mode_16_64 0
		.amdhsa_float_denorm_mode_32 3
		.amdhsa_float_denorm_mode_16_64 3
		.amdhsa_dx10_clamp 1
		.amdhsa_ieee_mode 1
		.amdhsa_fp16_overflow 0
		.amdhsa_tg_split 0
		.amdhsa_exception_fp_ieee_invalid_op 0
		.amdhsa_exception_fp_denorm_src 0
		.amdhsa_exception_fp_ieee_div_zero 0
		.amdhsa_exception_fp_ieee_overflow 0
		.amdhsa_exception_fp_ieee_underflow 0
		.amdhsa_exception_fp_ieee_inexact 0
		.amdhsa_exception_int_div_zero 0
	.end_amdhsa_kernel
	.section	.text._ZN7rocprim17ROCPRIM_400000_NS6detail17trampoline_kernelINS0_14default_configENS1_36segmented_radix_sort_config_selectorIblEEZNS1_25segmented_radix_sort_implIS3_Lb1EPKbPbPKlPlN2at6native12_GLOBAL__N_18offset_tEEE10hipError_tPvRmT1_PNSt15iterator_traitsISK_E10value_typeET2_T3_PNSL_ISQ_E10value_typeET4_jRbjT5_SW_jjP12ihipStream_tbEUlT_E_NS1_11comp_targetILNS1_3genE8ELNS1_11target_archE1030ELNS1_3gpuE2ELNS1_3repE0EEENS1_30default_config_static_selectorELNS0_4arch9wavefront6targetE1EEEvSK_,"axG",@progbits,_ZN7rocprim17ROCPRIM_400000_NS6detail17trampoline_kernelINS0_14default_configENS1_36segmented_radix_sort_config_selectorIblEEZNS1_25segmented_radix_sort_implIS3_Lb1EPKbPbPKlPlN2at6native12_GLOBAL__N_18offset_tEEE10hipError_tPvRmT1_PNSt15iterator_traitsISK_E10value_typeET2_T3_PNSL_ISQ_E10value_typeET4_jRbjT5_SW_jjP12ihipStream_tbEUlT_E_NS1_11comp_targetILNS1_3genE8ELNS1_11target_archE1030ELNS1_3gpuE2ELNS1_3repE0EEENS1_30default_config_static_selectorELNS0_4arch9wavefront6targetE1EEEvSK_,comdat
.Lfunc_end1539:
	.size	_ZN7rocprim17ROCPRIM_400000_NS6detail17trampoline_kernelINS0_14default_configENS1_36segmented_radix_sort_config_selectorIblEEZNS1_25segmented_radix_sort_implIS3_Lb1EPKbPbPKlPlN2at6native12_GLOBAL__N_18offset_tEEE10hipError_tPvRmT1_PNSt15iterator_traitsISK_E10value_typeET2_T3_PNSL_ISQ_E10value_typeET4_jRbjT5_SW_jjP12ihipStream_tbEUlT_E_NS1_11comp_targetILNS1_3genE8ELNS1_11target_archE1030ELNS1_3gpuE2ELNS1_3repE0EEENS1_30default_config_static_selectorELNS0_4arch9wavefront6targetE1EEEvSK_, .Lfunc_end1539-_ZN7rocprim17ROCPRIM_400000_NS6detail17trampoline_kernelINS0_14default_configENS1_36segmented_radix_sort_config_selectorIblEEZNS1_25segmented_radix_sort_implIS3_Lb1EPKbPbPKlPlN2at6native12_GLOBAL__N_18offset_tEEE10hipError_tPvRmT1_PNSt15iterator_traitsISK_E10value_typeET2_T3_PNSL_ISQ_E10value_typeET4_jRbjT5_SW_jjP12ihipStream_tbEUlT_E_NS1_11comp_targetILNS1_3genE8ELNS1_11target_archE1030ELNS1_3gpuE2ELNS1_3repE0EEENS1_30default_config_static_selectorELNS0_4arch9wavefront6targetE1EEEvSK_
                                        ; -- End function
	.section	.AMDGPU.csdata,"",@progbits
; Kernel info:
; codeLenInByte = 0
; NumSgprs: 4
; NumVgprs: 0
; NumAgprs: 0
; TotalNumVgprs: 0
; ScratchSize: 0
; MemoryBound: 0
; FloatMode: 240
; IeeeMode: 1
; LDSByteSize: 0 bytes/workgroup (compile time only)
; SGPRBlocks: 0
; VGPRBlocks: 0
; NumSGPRsForWavesPerEU: 4
; NumVGPRsForWavesPerEU: 1
; AccumOffset: 4
; Occupancy: 8
; WaveLimiterHint : 0
; COMPUTE_PGM_RSRC2:SCRATCH_EN: 0
; COMPUTE_PGM_RSRC2:USER_SGPR: 6
; COMPUTE_PGM_RSRC2:TRAP_HANDLER: 0
; COMPUTE_PGM_RSRC2:TGID_X_EN: 1
; COMPUTE_PGM_RSRC2:TGID_Y_EN: 0
; COMPUTE_PGM_RSRC2:TGID_Z_EN: 0
; COMPUTE_PGM_RSRC2:TIDIG_COMP_CNT: 0
; COMPUTE_PGM_RSRC3_GFX90A:ACCUM_OFFSET: 0
; COMPUTE_PGM_RSRC3_GFX90A:TG_SPLIT: 0
	.section	.text._ZN7rocprim17ROCPRIM_400000_NS6detail17trampoline_kernelINS0_14default_configENS1_36segmented_radix_sort_config_selectorIblEEZNS1_25segmented_radix_sort_implIS3_Lb1EPKbPbPKlPlN2at6native12_GLOBAL__N_18offset_tEEE10hipError_tPvRmT1_PNSt15iterator_traitsISK_E10value_typeET2_T3_PNSL_ISQ_E10value_typeET4_jRbjT5_SW_jjP12ihipStream_tbEUlT_E0_NS1_11comp_targetILNS1_3genE0ELNS1_11target_archE4294967295ELNS1_3gpuE0ELNS1_3repE0EEENS1_60segmented_radix_sort_warp_sort_medium_config_static_selectorELNS0_4arch9wavefront6targetE1EEEvSK_,"axG",@progbits,_ZN7rocprim17ROCPRIM_400000_NS6detail17trampoline_kernelINS0_14default_configENS1_36segmented_radix_sort_config_selectorIblEEZNS1_25segmented_radix_sort_implIS3_Lb1EPKbPbPKlPlN2at6native12_GLOBAL__N_18offset_tEEE10hipError_tPvRmT1_PNSt15iterator_traitsISK_E10value_typeET2_T3_PNSL_ISQ_E10value_typeET4_jRbjT5_SW_jjP12ihipStream_tbEUlT_E0_NS1_11comp_targetILNS1_3genE0ELNS1_11target_archE4294967295ELNS1_3gpuE0ELNS1_3repE0EEENS1_60segmented_radix_sort_warp_sort_medium_config_static_selectorELNS0_4arch9wavefront6targetE1EEEvSK_,comdat
	.globl	_ZN7rocprim17ROCPRIM_400000_NS6detail17trampoline_kernelINS0_14default_configENS1_36segmented_radix_sort_config_selectorIblEEZNS1_25segmented_radix_sort_implIS3_Lb1EPKbPbPKlPlN2at6native12_GLOBAL__N_18offset_tEEE10hipError_tPvRmT1_PNSt15iterator_traitsISK_E10value_typeET2_T3_PNSL_ISQ_E10value_typeET4_jRbjT5_SW_jjP12ihipStream_tbEUlT_E0_NS1_11comp_targetILNS1_3genE0ELNS1_11target_archE4294967295ELNS1_3gpuE0ELNS1_3repE0EEENS1_60segmented_radix_sort_warp_sort_medium_config_static_selectorELNS0_4arch9wavefront6targetE1EEEvSK_ ; -- Begin function _ZN7rocprim17ROCPRIM_400000_NS6detail17trampoline_kernelINS0_14default_configENS1_36segmented_radix_sort_config_selectorIblEEZNS1_25segmented_radix_sort_implIS3_Lb1EPKbPbPKlPlN2at6native12_GLOBAL__N_18offset_tEEE10hipError_tPvRmT1_PNSt15iterator_traitsISK_E10value_typeET2_T3_PNSL_ISQ_E10value_typeET4_jRbjT5_SW_jjP12ihipStream_tbEUlT_E0_NS1_11comp_targetILNS1_3genE0ELNS1_11target_archE4294967295ELNS1_3gpuE0ELNS1_3repE0EEENS1_60segmented_radix_sort_warp_sort_medium_config_static_selectorELNS0_4arch9wavefront6targetE1EEEvSK_
	.p2align	8
	.type	_ZN7rocprim17ROCPRIM_400000_NS6detail17trampoline_kernelINS0_14default_configENS1_36segmented_radix_sort_config_selectorIblEEZNS1_25segmented_radix_sort_implIS3_Lb1EPKbPbPKlPlN2at6native12_GLOBAL__N_18offset_tEEE10hipError_tPvRmT1_PNSt15iterator_traitsISK_E10value_typeET2_T3_PNSL_ISQ_E10value_typeET4_jRbjT5_SW_jjP12ihipStream_tbEUlT_E0_NS1_11comp_targetILNS1_3genE0ELNS1_11target_archE4294967295ELNS1_3gpuE0ELNS1_3repE0EEENS1_60segmented_radix_sort_warp_sort_medium_config_static_selectorELNS0_4arch9wavefront6targetE1EEEvSK_,@function
_ZN7rocprim17ROCPRIM_400000_NS6detail17trampoline_kernelINS0_14default_configENS1_36segmented_radix_sort_config_selectorIblEEZNS1_25segmented_radix_sort_implIS3_Lb1EPKbPbPKlPlN2at6native12_GLOBAL__N_18offset_tEEE10hipError_tPvRmT1_PNSt15iterator_traitsISK_E10value_typeET2_T3_PNSL_ISQ_E10value_typeET4_jRbjT5_SW_jjP12ihipStream_tbEUlT_E0_NS1_11comp_targetILNS1_3genE0ELNS1_11target_archE4294967295ELNS1_3gpuE0ELNS1_3repE0EEENS1_60segmented_radix_sort_warp_sort_medium_config_static_selectorELNS0_4arch9wavefront6targetE1EEEvSK_: ; @_ZN7rocprim17ROCPRIM_400000_NS6detail17trampoline_kernelINS0_14default_configENS1_36segmented_radix_sort_config_selectorIblEEZNS1_25segmented_radix_sort_implIS3_Lb1EPKbPbPKlPlN2at6native12_GLOBAL__N_18offset_tEEE10hipError_tPvRmT1_PNSt15iterator_traitsISK_E10value_typeET2_T3_PNSL_ISQ_E10value_typeET4_jRbjT5_SW_jjP12ihipStream_tbEUlT_E0_NS1_11comp_targetILNS1_3genE0ELNS1_11target_archE4294967295ELNS1_3gpuE0ELNS1_3repE0EEENS1_60segmented_radix_sort_warp_sort_medium_config_static_selectorELNS0_4arch9wavefront6targetE1EEEvSK_
; %bb.0:
	.section	.rodata,"a",@progbits
	.p2align	6, 0x0
	.amdhsa_kernel _ZN7rocprim17ROCPRIM_400000_NS6detail17trampoline_kernelINS0_14default_configENS1_36segmented_radix_sort_config_selectorIblEEZNS1_25segmented_radix_sort_implIS3_Lb1EPKbPbPKlPlN2at6native12_GLOBAL__N_18offset_tEEE10hipError_tPvRmT1_PNSt15iterator_traitsISK_E10value_typeET2_T3_PNSL_ISQ_E10value_typeET4_jRbjT5_SW_jjP12ihipStream_tbEUlT_E0_NS1_11comp_targetILNS1_3genE0ELNS1_11target_archE4294967295ELNS1_3gpuE0ELNS1_3repE0EEENS1_60segmented_radix_sort_warp_sort_medium_config_static_selectorELNS0_4arch9wavefront6targetE1EEEvSK_
		.amdhsa_group_segment_fixed_size 0
		.amdhsa_private_segment_fixed_size 0
		.amdhsa_kernarg_size 88
		.amdhsa_user_sgpr_count 6
		.amdhsa_user_sgpr_private_segment_buffer 1
		.amdhsa_user_sgpr_dispatch_ptr 0
		.amdhsa_user_sgpr_queue_ptr 0
		.amdhsa_user_sgpr_kernarg_segment_ptr 1
		.amdhsa_user_sgpr_dispatch_id 0
		.amdhsa_user_sgpr_flat_scratch_init 0
		.amdhsa_user_sgpr_kernarg_preload_length 0
		.amdhsa_user_sgpr_kernarg_preload_offset 0
		.amdhsa_user_sgpr_private_segment_size 0
		.amdhsa_uses_dynamic_stack 0
		.amdhsa_system_sgpr_private_segment_wavefront_offset 0
		.amdhsa_system_sgpr_workgroup_id_x 1
		.amdhsa_system_sgpr_workgroup_id_y 0
		.amdhsa_system_sgpr_workgroup_id_z 0
		.amdhsa_system_sgpr_workgroup_info 0
		.amdhsa_system_vgpr_workitem_id 0
		.amdhsa_next_free_vgpr 1
		.amdhsa_next_free_sgpr 0
		.amdhsa_accum_offset 4
		.amdhsa_reserve_vcc 0
		.amdhsa_reserve_flat_scratch 0
		.amdhsa_float_round_mode_32 0
		.amdhsa_float_round_mode_16_64 0
		.amdhsa_float_denorm_mode_32 3
		.amdhsa_float_denorm_mode_16_64 3
		.amdhsa_dx10_clamp 1
		.amdhsa_ieee_mode 1
		.amdhsa_fp16_overflow 0
		.amdhsa_tg_split 0
		.amdhsa_exception_fp_ieee_invalid_op 0
		.amdhsa_exception_fp_denorm_src 0
		.amdhsa_exception_fp_ieee_div_zero 0
		.amdhsa_exception_fp_ieee_overflow 0
		.amdhsa_exception_fp_ieee_underflow 0
		.amdhsa_exception_fp_ieee_inexact 0
		.amdhsa_exception_int_div_zero 0
	.end_amdhsa_kernel
	.section	.text._ZN7rocprim17ROCPRIM_400000_NS6detail17trampoline_kernelINS0_14default_configENS1_36segmented_radix_sort_config_selectorIblEEZNS1_25segmented_radix_sort_implIS3_Lb1EPKbPbPKlPlN2at6native12_GLOBAL__N_18offset_tEEE10hipError_tPvRmT1_PNSt15iterator_traitsISK_E10value_typeET2_T3_PNSL_ISQ_E10value_typeET4_jRbjT5_SW_jjP12ihipStream_tbEUlT_E0_NS1_11comp_targetILNS1_3genE0ELNS1_11target_archE4294967295ELNS1_3gpuE0ELNS1_3repE0EEENS1_60segmented_radix_sort_warp_sort_medium_config_static_selectorELNS0_4arch9wavefront6targetE1EEEvSK_,"axG",@progbits,_ZN7rocprim17ROCPRIM_400000_NS6detail17trampoline_kernelINS0_14default_configENS1_36segmented_radix_sort_config_selectorIblEEZNS1_25segmented_radix_sort_implIS3_Lb1EPKbPbPKlPlN2at6native12_GLOBAL__N_18offset_tEEE10hipError_tPvRmT1_PNSt15iterator_traitsISK_E10value_typeET2_T3_PNSL_ISQ_E10value_typeET4_jRbjT5_SW_jjP12ihipStream_tbEUlT_E0_NS1_11comp_targetILNS1_3genE0ELNS1_11target_archE4294967295ELNS1_3gpuE0ELNS1_3repE0EEENS1_60segmented_radix_sort_warp_sort_medium_config_static_selectorELNS0_4arch9wavefront6targetE1EEEvSK_,comdat
.Lfunc_end1540:
	.size	_ZN7rocprim17ROCPRIM_400000_NS6detail17trampoline_kernelINS0_14default_configENS1_36segmented_radix_sort_config_selectorIblEEZNS1_25segmented_radix_sort_implIS3_Lb1EPKbPbPKlPlN2at6native12_GLOBAL__N_18offset_tEEE10hipError_tPvRmT1_PNSt15iterator_traitsISK_E10value_typeET2_T3_PNSL_ISQ_E10value_typeET4_jRbjT5_SW_jjP12ihipStream_tbEUlT_E0_NS1_11comp_targetILNS1_3genE0ELNS1_11target_archE4294967295ELNS1_3gpuE0ELNS1_3repE0EEENS1_60segmented_radix_sort_warp_sort_medium_config_static_selectorELNS0_4arch9wavefront6targetE1EEEvSK_, .Lfunc_end1540-_ZN7rocprim17ROCPRIM_400000_NS6detail17trampoline_kernelINS0_14default_configENS1_36segmented_radix_sort_config_selectorIblEEZNS1_25segmented_radix_sort_implIS3_Lb1EPKbPbPKlPlN2at6native12_GLOBAL__N_18offset_tEEE10hipError_tPvRmT1_PNSt15iterator_traitsISK_E10value_typeET2_T3_PNSL_ISQ_E10value_typeET4_jRbjT5_SW_jjP12ihipStream_tbEUlT_E0_NS1_11comp_targetILNS1_3genE0ELNS1_11target_archE4294967295ELNS1_3gpuE0ELNS1_3repE0EEENS1_60segmented_radix_sort_warp_sort_medium_config_static_selectorELNS0_4arch9wavefront6targetE1EEEvSK_
                                        ; -- End function
	.section	.AMDGPU.csdata,"",@progbits
; Kernel info:
; codeLenInByte = 0
; NumSgprs: 4
; NumVgprs: 0
; NumAgprs: 0
; TotalNumVgprs: 0
; ScratchSize: 0
; MemoryBound: 0
; FloatMode: 240
; IeeeMode: 1
; LDSByteSize: 0 bytes/workgroup (compile time only)
; SGPRBlocks: 0
; VGPRBlocks: 0
; NumSGPRsForWavesPerEU: 4
; NumVGPRsForWavesPerEU: 1
; AccumOffset: 4
; Occupancy: 8
; WaveLimiterHint : 0
; COMPUTE_PGM_RSRC2:SCRATCH_EN: 0
; COMPUTE_PGM_RSRC2:USER_SGPR: 6
; COMPUTE_PGM_RSRC2:TRAP_HANDLER: 0
; COMPUTE_PGM_RSRC2:TGID_X_EN: 1
; COMPUTE_PGM_RSRC2:TGID_Y_EN: 0
; COMPUTE_PGM_RSRC2:TGID_Z_EN: 0
; COMPUTE_PGM_RSRC2:TIDIG_COMP_CNT: 0
; COMPUTE_PGM_RSRC3_GFX90A:ACCUM_OFFSET: 0
; COMPUTE_PGM_RSRC3_GFX90A:TG_SPLIT: 0
	.section	.text._ZN7rocprim17ROCPRIM_400000_NS6detail17trampoline_kernelINS0_14default_configENS1_36segmented_radix_sort_config_selectorIblEEZNS1_25segmented_radix_sort_implIS3_Lb1EPKbPbPKlPlN2at6native12_GLOBAL__N_18offset_tEEE10hipError_tPvRmT1_PNSt15iterator_traitsISK_E10value_typeET2_T3_PNSL_ISQ_E10value_typeET4_jRbjT5_SW_jjP12ihipStream_tbEUlT_E0_NS1_11comp_targetILNS1_3genE5ELNS1_11target_archE942ELNS1_3gpuE9ELNS1_3repE0EEENS1_60segmented_radix_sort_warp_sort_medium_config_static_selectorELNS0_4arch9wavefront6targetE1EEEvSK_,"axG",@progbits,_ZN7rocprim17ROCPRIM_400000_NS6detail17trampoline_kernelINS0_14default_configENS1_36segmented_radix_sort_config_selectorIblEEZNS1_25segmented_radix_sort_implIS3_Lb1EPKbPbPKlPlN2at6native12_GLOBAL__N_18offset_tEEE10hipError_tPvRmT1_PNSt15iterator_traitsISK_E10value_typeET2_T3_PNSL_ISQ_E10value_typeET4_jRbjT5_SW_jjP12ihipStream_tbEUlT_E0_NS1_11comp_targetILNS1_3genE5ELNS1_11target_archE942ELNS1_3gpuE9ELNS1_3repE0EEENS1_60segmented_radix_sort_warp_sort_medium_config_static_selectorELNS0_4arch9wavefront6targetE1EEEvSK_,comdat
	.globl	_ZN7rocprim17ROCPRIM_400000_NS6detail17trampoline_kernelINS0_14default_configENS1_36segmented_radix_sort_config_selectorIblEEZNS1_25segmented_radix_sort_implIS3_Lb1EPKbPbPKlPlN2at6native12_GLOBAL__N_18offset_tEEE10hipError_tPvRmT1_PNSt15iterator_traitsISK_E10value_typeET2_T3_PNSL_ISQ_E10value_typeET4_jRbjT5_SW_jjP12ihipStream_tbEUlT_E0_NS1_11comp_targetILNS1_3genE5ELNS1_11target_archE942ELNS1_3gpuE9ELNS1_3repE0EEENS1_60segmented_radix_sort_warp_sort_medium_config_static_selectorELNS0_4arch9wavefront6targetE1EEEvSK_ ; -- Begin function _ZN7rocprim17ROCPRIM_400000_NS6detail17trampoline_kernelINS0_14default_configENS1_36segmented_radix_sort_config_selectorIblEEZNS1_25segmented_radix_sort_implIS3_Lb1EPKbPbPKlPlN2at6native12_GLOBAL__N_18offset_tEEE10hipError_tPvRmT1_PNSt15iterator_traitsISK_E10value_typeET2_T3_PNSL_ISQ_E10value_typeET4_jRbjT5_SW_jjP12ihipStream_tbEUlT_E0_NS1_11comp_targetILNS1_3genE5ELNS1_11target_archE942ELNS1_3gpuE9ELNS1_3repE0EEENS1_60segmented_radix_sort_warp_sort_medium_config_static_selectorELNS0_4arch9wavefront6targetE1EEEvSK_
	.p2align	8
	.type	_ZN7rocprim17ROCPRIM_400000_NS6detail17trampoline_kernelINS0_14default_configENS1_36segmented_radix_sort_config_selectorIblEEZNS1_25segmented_radix_sort_implIS3_Lb1EPKbPbPKlPlN2at6native12_GLOBAL__N_18offset_tEEE10hipError_tPvRmT1_PNSt15iterator_traitsISK_E10value_typeET2_T3_PNSL_ISQ_E10value_typeET4_jRbjT5_SW_jjP12ihipStream_tbEUlT_E0_NS1_11comp_targetILNS1_3genE5ELNS1_11target_archE942ELNS1_3gpuE9ELNS1_3repE0EEENS1_60segmented_radix_sort_warp_sort_medium_config_static_selectorELNS0_4arch9wavefront6targetE1EEEvSK_,@function
_ZN7rocprim17ROCPRIM_400000_NS6detail17trampoline_kernelINS0_14default_configENS1_36segmented_radix_sort_config_selectorIblEEZNS1_25segmented_radix_sort_implIS3_Lb1EPKbPbPKlPlN2at6native12_GLOBAL__N_18offset_tEEE10hipError_tPvRmT1_PNSt15iterator_traitsISK_E10value_typeET2_T3_PNSL_ISQ_E10value_typeET4_jRbjT5_SW_jjP12ihipStream_tbEUlT_E0_NS1_11comp_targetILNS1_3genE5ELNS1_11target_archE942ELNS1_3gpuE9ELNS1_3repE0EEENS1_60segmented_radix_sort_warp_sort_medium_config_static_selectorELNS0_4arch9wavefront6targetE1EEEvSK_: ; @_ZN7rocprim17ROCPRIM_400000_NS6detail17trampoline_kernelINS0_14default_configENS1_36segmented_radix_sort_config_selectorIblEEZNS1_25segmented_radix_sort_implIS3_Lb1EPKbPbPKlPlN2at6native12_GLOBAL__N_18offset_tEEE10hipError_tPvRmT1_PNSt15iterator_traitsISK_E10value_typeET2_T3_PNSL_ISQ_E10value_typeET4_jRbjT5_SW_jjP12ihipStream_tbEUlT_E0_NS1_11comp_targetILNS1_3genE5ELNS1_11target_archE942ELNS1_3gpuE9ELNS1_3repE0EEENS1_60segmented_radix_sort_warp_sort_medium_config_static_selectorELNS0_4arch9wavefront6targetE1EEEvSK_
; %bb.0:
	.section	.rodata,"a",@progbits
	.p2align	6, 0x0
	.amdhsa_kernel _ZN7rocprim17ROCPRIM_400000_NS6detail17trampoline_kernelINS0_14default_configENS1_36segmented_radix_sort_config_selectorIblEEZNS1_25segmented_radix_sort_implIS3_Lb1EPKbPbPKlPlN2at6native12_GLOBAL__N_18offset_tEEE10hipError_tPvRmT1_PNSt15iterator_traitsISK_E10value_typeET2_T3_PNSL_ISQ_E10value_typeET4_jRbjT5_SW_jjP12ihipStream_tbEUlT_E0_NS1_11comp_targetILNS1_3genE5ELNS1_11target_archE942ELNS1_3gpuE9ELNS1_3repE0EEENS1_60segmented_radix_sort_warp_sort_medium_config_static_selectorELNS0_4arch9wavefront6targetE1EEEvSK_
		.amdhsa_group_segment_fixed_size 0
		.amdhsa_private_segment_fixed_size 0
		.amdhsa_kernarg_size 88
		.amdhsa_user_sgpr_count 6
		.amdhsa_user_sgpr_private_segment_buffer 1
		.amdhsa_user_sgpr_dispatch_ptr 0
		.amdhsa_user_sgpr_queue_ptr 0
		.amdhsa_user_sgpr_kernarg_segment_ptr 1
		.amdhsa_user_sgpr_dispatch_id 0
		.amdhsa_user_sgpr_flat_scratch_init 0
		.amdhsa_user_sgpr_kernarg_preload_length 0
		.amdhsa_user_sgpr_kernarg_preload_offset 0
		.amdhsa_user_sgpr_private_segment_size 0
		.amdhsa_uses_dynamic_stack 0
		.amdhsa_system_sgpr_private_segment_wavefront_offset 0
		.amdhsa_system_sgpr_workgroup_id_x 1
		.amdhsa_system_sgpr_workgroup_id_y 0
		.amdhsa_system_sgpr_workgroup_id_z 0
		.amdhsa_system_sgpr_workgroup_info 0
		.amdhsa_system_vgpr_workitem_id 0
		.amdhsa_next_free_vgpr 1
		.amdhsa_next_free_sgpr 0
		.amdhsa_accum_offset 4
		.amdhsa_reserve_vcc 0
		.amdhsa_reserve_flat_scratch 0
		.amdhsa_float_round_mode_32 0
		.amdhsa_float_round_mode_16_64 0
		.amdhsa_float_denorm_mode_32 3
		.amdhsa_float_denorm_mode_16_64 3
		.amdhsa_dx10_clamp 1
		.amdhsa_ieee_mode 1
		.amdhsa_fp16_overflow 0
		.amdhsa_tg_split 0
		.amdhsa_exception_fp_ieee_invalid_op 0
		.amdhsa_exception_fp_denorm_src 0
		.amdhsa_exception_fp_ieee_div_zero 0
		.amdhsa_exception_fp_ieee_overflow 0
		.amdhsa_exception_fp_ieee_underflow 0
		.amdhsa_exception_fp_ieee_inexact 0
		.amdhsa_exception_int_div_zero 0
	.end_amdhsa_kernel
	.section	.text._ZN7rocprim17ROCPRIM_400000_NS6detail17trampoline_kernelINS0_14default_configENS1_36segmented_radix_sort_config_selectorIblEEZNS1_25segmented_radix_sort_implIS3_Lb1EPKbPbPKlPlN2at6native12_GLOBAL__N_18offset_tEEE10hipError_tPvRmT1_PNSt15iterator_traitsISK_E10value_typeET2_T3_PNSL_ISQ_E10value_typeET4_jRbjT5_SW_jjP12ihipStream_tbEUlT_E0_NS1_11comp_targetILNS1_3genE5ELNS1_11target_archE942ELNS1_3gpuE9ELNS1_3repE0EEENS1_60segmented_radix_sort_warp_sort_medium_config_static_selectorELNS0_4arch9wavefront6targetE1EEEvSK_,"axG",@progbits,_ZN7rocprim17ROCPRIM_400000_NS6detail17trampoline_kernelINS0_14default_configENS1_36segmented_radix_sort_config_selectorIblEEZNS1_25segmented_radix_sort_implIS3_Lb1EPKbPbPKlPlN2at6native12_GLOBAL__N_18offset_tEEE10hipError_tPvRmT1_PNSt15iterator_traitsISK_E10value_typeET2_T3_PNSL_ISQ_E10value_typeET4_jRbjT5_SW_jjP12ihipStream_tbEUlT_E0_NS1_11comp_targetILNS1_3genE5ELNS1_11target_archE942ELNS1_3gpuE9ELNS1_3repE0EEENS1_60segmented_radix_sort_warp_sort_medium_config_static_selectorELNS0_4arch9wavefront6targetE1EEEvSK_,comdat
.Lfunc_end1541:
	.size	_ZN7rocprim17ROCPRIM_400000_NS6detail17trampoline_kernelINS0_14default_configENS1_36segmented_radix_sort_config_selectorIblEEZNS1_25segmented_radix_sort_implIS3_Lb1EPKbPbPKlPlN2at6native12_GLOBAL__N_18offset_tEEE10hipError_tPvRmT1_PNSt15iterator_traitsISK_E10value_typeET2_T3_PNSL_ISQ_E10value_typeET4_jRbjT5_SW_jjP12ihipStream_tbEUlT_E0_NS1_11comp_targetILNS1_3genE5ELNS1_11target_archE942ELNS1_3gpuE9ELNS1_3repE0EEENS1_60segmented_radix_sort_warp_sort_medium_config_static_selectorELNS0_4arch9wavefront6targetE1EEEvSK_, .Lfunc_end1541-_ZN7rocprim17ROCPRIM_400000_NS6detail17trampoline_kernelINS0_14default_configENS1_36segmented_radix_sort_config_selectorIblEEZNS1_25segmented_radix_sort_implIS3_Lb1EPKbPbPKlPlN2at6native12_GLOBAL__N_18offset_tEEE10hipError_tPvRmT1_PNSt15iterator_traitsISK_E10value_typeET2_T3_PNSL_ISQ_E10value_typeET4_jRbjT5_SW_jjP12ihipStream_tbEUlT_E0_NS1_11comp_targetILNS1_3genE5ELNS1_11target_archE942ELNS1_3gpuE9ELNS1_3repE0EEENS1_60segmented_radix_sort_warp_sort_medium_config_static_selectorELNS0_4arch9wavefront6targetE1EEEvSK_
                                        ; -- End function
	.section	.AMDGPU.csdata,"",@progbits
; Kernel info:
; codeLenInByte = 0
; NumSgprs: 4
; NumVgprs: 0
; NumAgprs: 0
; TotalNumVgprs: 0
; ScratchSize: 0
; MemoryBound: 0
; FloatMode: 240
; IeeeMode: 1
; LDSByteSize: 0 bytes/workgroup (compile time only)
; SGPRBlocks: 0
; VGPRBlocks: 0
; NumSGPRsForWavesPerEU: 4
; NumVGPRsForWavesPerEU: 1
; AccumOffset: 4
; Occupancy: 8
; WaveLimiterHint : 0
; COMPUTE_PGM_RSRC2:SCRATCH_EN: 0
; COMPUTE_PGM_RSRC2:USER_SGPR: 6
; COMPUTE_PGM_RSRC2:TRAP_HANDLER: 0
; COMPUTE_PGM_RSRC2:TGID_X_EN: 1
; COMPUTE_PGM_RSRC2:TGID_Y_EN: 0
; COMPUTE_PGM_RSRC2:TGID_Z_EN: 0
; COMPUTE_PGM_RSRC2:TIDIG_COMP_CNT: 0
; COMPUTE_PGM_RSRC3_GFX90A:ACCUM_OFFSET: 0
; COMPUTE_PGM_RSRC3_GFX90A:TG_SPLIT: 0
	.text
	.p2align	2                               ; -- Begin function _ZN7rocprim17ROCPRIM_400000_NS6detail26segmented_warp_sort_helperINS1_20WarpSortHelperConfigILj16ELj8ELj256EEEblLi256ELb1EvE4sortIPKbPbPKlPlEEvT_T0_T1_T2_jjjjRNS5_12storage_typeE
	.type	_ZN7rocprim17ROCPRIM_400000_NS6detail26segmented_warp_sort_helperINS1_20WarpSortHelperConfigILj16ELj8ELj256EEEblLi256ELb1EvE4sortIPKbPbPKlPlEEvT_T0_T1_T2_jjjjRNS5_12storage_typeE,@function
_ZN7rocprim17ROCPRIM_400000_NS6detail26segmented_warp_sort_helperINS1_20WarpSortHelperConfigILj16ELj8ELj256EEEblLi256ELb1EvE4sortIPKbPbPKlPlEEvT_T0_T1_T2_jjjjRNS5_12storage_typeE: ; @_ZN7rocprim17ROCPRIM_400000_NS6detail26segmented_warp_sort_helperINS1_20WarpSortHelperConfigILj16ELj8ELj256EEEblLi256ELb1EvE4sortIPKbPbPKlPlEEvT_T0_T1_T2_jjjjRNS5_12storage_typeE
; %bb.0:
	s_waitcnt vmcnt(0) expcnt(0) lgkmcnt(0)
	s_or_saveexec_b64 s[4:5], -1
	buffer_store_dword v40, off, s[0:3], s32 ; 4-byte Folded Spill
	s_mov_b64 exec, s[4:5]
	v_writelane_b32 v40, s34, 0
	v_writelane_b32 v40, s35, 1
	;; [unrolled: 1-line block ×12, first 2 shown]
	v_add_co_u32_e32 v12, vcc, v0, v8
	v_mbcnt_lo_u32_b32 v0, -1, 0
	v_mbcnt_hi_u32_b32 v0, -1, v0
	v_addc_co_u32_e32 v13, vcc, 0, v1, vcc
	v_lshlrev_b32_e32 v1, 3, v0
	v_and_b32_e32 v0, 0x78, v1
	s_mov_b32 s4, 0
	v_add_co_u32_e32 v12, vcc, v12, v0
	v_sub_u32_e32 v14, v9, v8
	v_addc_co_u32_e32 v13, vcc, 0, v13, vcc
	s_mov_b32 s5, s4
	v_mov_b32_e32 v9, 0
	v_cmp_lt_u32_e32 vcc, v0, v14
	v_pk_mov_b32 v[32:33], s[4:5], s[4:5] op_sel:[0,1]
	s_and_saveexec_b64 s[6:7], vcc
	s_cbranch_execz .LBB1542_2
; %bb.1:
	flat_load_ubyte v15, v[12:13]
	v_mov_b32_e32 v33, s4
	s_waitcnt vmcnt(0) lgkmcnt(0)
	v_and_b32_e32 v32, 0xffff, v15
.LBB1542_2:
	s_or_b64 exec, exec, s[6:7]
	v_or_b32_e32 v15, 1, v0
	v_cmp_lt_u32_e64 s[4:5], v15, v14
	s_and_saveexec_b64 s[6:7], s[4:5]
	s_cbranch_execz .LBB1542_4
; %bb.3:
	flat_load_ubyte v15, v[12:13] offset:1
	s_mov_b32 s10, 0x7060004
	s_waitcnt vmcnt(0) lgkmcnt(0)
	v_perm_b32 v32, v32, v15, s10
.LBB1542_4:
	s_or_b64 exec, exec, s[6:7]
	v_or_b32_e32 v15, 2, v0
	v_cmp_lt_u32_e64 s[6:7], v15, v14
	s_and_saveexec_b64 s[10:11], s[6:7]
	s_cbranch_execz .LBB1542_6
; %bb.5:
	flat_load_ubyte v15, v[12:13] offset:2
	s_movk_i32 s14, 0xff00
	v_and_b32_sdwa v16, v32, s14 dst_sel:DWORD dst_unused:UNUSED_PAD src0_sel:WORD_1 src1_sel:DWORD
	s_mov_b32 s14, 0xffff
	s_waitcnt vmcnt(0) lgkmcnt(0)
	v_or_b32_sdwa v15, v15, v16 dst_sel:WORD_1 dst_unused:UNUSED_PAD src0_sel:DWORD src1_sel:DWORD
	v_and_or_b32 v32, v32, s14, v15
.LBB1542_6:
	s_or_b64 exec, exec, s[10:11]
	v_or_b32_e32 v15, 3, v0
	v_cmp_lt_u32_e64 s[18:19], v15, v14
	s_and_saveexec_b64 s[10:11], s[18:19]
	s_cbranch_execz .LBB1542_8
; %bb.7:
	flat_load_ubyte v15, v[12:13] offset:3
	s_movk_i32 s14, 0xff
	v_and_b32_sdwa v16, v32, s14 dst_sel:DWORD dst_unused:UNUSED_PAD src0_sel:WORD_1 src1_sel:DWORD
	s_mov_b32 s14, 0xffff
	s_waitcnt vmcnt(0) lgkmcnt(0)
	v_lshlrev_b16_e32 v15, 8, v15
	v_or_b32_sdwa v15, v16, v15 dst_sel:WORD_1 dst_unused:UNUSED_PAD src0_sel:DWORD src1_sel:DWORD
	v_and_or_b32 v32, v32, s14, v15
.LBB1542_8:
	s_or_b64 exec, exec, s[10:11]
	v_or_b32_e32 v15, 4, v0
	v_cmp_lt_u32_e64 s[10:11], v15, v14
	s_and_saveexec_b64 s[14:15], s[10:11]
	s_cbranch_execz .LBB1542_10
; %bb.9:
	flat_load_ubyte v15, v[12:13] offset:4
	s_mov_b32 s16, 0x3020104
	s_waitcnt vmcnt(0) lgkmcnt(0)
	v_perm_b32 v33, v15, v33, s16
.LBB1542_10:
	s_or_b64 exec, exec, s[14:15]
	v_or_b32_e32 v15, 5, v0
	v_cmp_lt_u32_e64 s[24:25], v15, v14
	s_and_saveexec_b64 s[14:15], s[24:25]
	s_cbranch_execz .LBB1542_12
; %bb.11:
	flat_load_ubyte v15, v[12:13] offset:5
	s_mov_b32 s16, 0x7060004
	s_waitcnt vmcnt(0) lgkmcnt(0)
	v_perm_b32 v33, v33, v15, s16
.LBB1542_12:
	;; [unrolled: 11-line block ×4, first 2 shown]
	s_or_b64 exec, exec, s[20:21]
	v_lshlrev_b64 v[24:25], 3, v[8:9]
	v_add_co_u32_e64 v4, s[20:21], v4, v24
	v_addc_co_u32_e64 v5, s[20:21], v5, v25, s[20:21]
	v_lshlrev_b32_e32 v9, 3, v0
	v_add_co_u32_e64 v34, s[20:21], v4, v9
	v_addc_co_u32_e64 v35, s[20:21], 0, v5, s[20:21]
	; wave barrier
                                        ; implicit-def: $vgpr4_vgpr5
	s_and_saveexec_b64 s[20:21], vcc
	s_cbranch_execnz .LBB1542_236
; %bb.17:
	s_or_b64 exec, exec, s[20:21]
	s_and_saveexec_b64 s[20:21], s[4:5]
                                        ; implicit-def: $vgpr16_vgpr17_vgpr18_vgpr19
	s_cbranch_execnz .LBB1542_237
.LBB1542_18:
	s_or_b64 exec, exec, s[20:21]
                                        ; implicit-def: $vgpr26_vgpr27
	s_and_saveexec_b64 s[20:21], s[6:7]
	s_cbranch_execnz .LBB1542_238
.LBB1542_19:
	s_or_b64 exec, exec, s[20:21]
	s_and_saveexec_b64 s[20:21], s[18:19]
                                        ; implicit-def: $vgpr20_vgpr21_vgpr22_vgpr23
	s_cbranch_execnz .LBB1542_239
.LBB1542_20:
	s_or_b64 exec, exec, s[20:21]
                                        ; implicit-def: $vgpr20_vgpr21
	s_and_saveexec_b64 s[20:21], s[10:11]
	s_cbranch_execnz .LBB1542_240
.LBB1542_21:
	s_or_b64 exec, exec, s[20:21]
	s_and_saveexec_b64 s[20:21], s[24:25]
                                        ; implicit-def: $vgpr14_vgpr15_vgpr16_vgpr17
	s_cbranch_execnz .LBB1542_241
.LBB1542_22:
	s_or_b64 exec, exec, s[20:21]
                                        ; implicit-def: $vgpr28_vgpr29
	s_and_saveexec_b64 s[20:21], s[14:15]
	s_cbranch_execnz .LBB1542_242
.LBB1542_23:
	s_or_b64 exec, exec, s[20:21]
	s_and_saveexec_b64 s[20:21], s[16:17]
                                        ; implicit-def: $vgpr12_vgpr13_vgpr14_vgpr15
	s_cbranch_execz .LBB1542_25
.LBB1542_24:
	flat_load_dwordx2 v[14:15], v[34:35] offset:56
.LBB1542_25:
	s_or_b64 exec, exec, s[20:21]
	v_cmp_ne_u32_e64 s[20:21], 0, v10
	v_cmp_ne_u32_e64 s[22:23], 8, v11
	s_or_b64 s[20:21], s[20:21], s[22:23]
	v_bfe_u32 v30, v31, 10, 10
	v_bfe_u32 v34, v31, 20, 10
	; wave barrier
                                        ; implicit-def: $vgpr12_vgpr13
	s_and_saveexec_b64 s[22:23], s[20:21]
	s_xor_b64 s[40:41], exec, s[22:23]
	s_cbranch_execz .LBB1542_121
; %bb.26:
	s_load_dwordx2 s[26:27], s[8:9], 0x0
	v_cmp_ne_u32_e64 s[20:21], 0, v11
	v_cmp_ne_u32_e64 s[22:23], 0, v10
	s_xor_b64 s[20:21], s[22:23], s[20:21]
	v_mov_b32_e32 v10, 0
	s_waitcnt lgkmcnt(0)
	s_cmp_lt_u32 s12, s26
	s_cselect_b32 s26, 12, 18
	s_cmp_lt_u32 s13, s27
	s_cselect_b32 s22, 14, 20
	s_add_u32 s22, s8, s22
	s_addc_u32 s23, s9, 0
	s_add_u32 s26, s8, s26
	s_addc_u32 s27, s9, 0
	global_load_ushort v11, v10, s[22:23]
	global_load_ushort v12, v10, s[26:27]
	v_and_b32_e32 v10, 0x3ff, v31
	s_movk_i32 s22, 0x800
	v_cndmask_b32_e64 v48, 0, 1, s[20:21]
	s_waitcnt vmcnt(0)
	v_mad_u32_u24 v11, v34, v11, v30
	v_mul_lo_u32 v11, v11, v12
	v_add_lshl_u32 v49, v11, v10, 3
	v_cmp_gt_u32_e64 s[20:21], s22, v49
	v_pk_mov_b32 v[12:13], v[32:33], v[32:33] op_sel:[0,1]
	s_and_saveexec_b64 s[22:23], s[20:21]
	s_cbranch_execz .LBB1542_80
; %bb.27:
	v_lshrrev_b32_e32 v50, 8, v32
	v_and_b32_e32 v10, v50, v48
	v_and_b32_e32 v11, v32, v48
	v_cmp_gt_u16_e64 s[20:21], v10, v11
	v_pk_mov_b32 v[34:35], v[18:19], v[18:19] op_sel:[0,1]
	v_pk_mov_b32 v[10:11], v[32:33], v[32:33] op_sel:[0,1]
	v_mov_b32_e32 v36, v32
	s_and_saveexec_b64 s[26:27], s[20:21]
; %bb.28:
	s_mov_b32 s20, 0xc0c0001
	v_perm_b32 v10, 0, v32, s20
	s_mov_b32 s20, 0xffff0000
	v_and_or_b32 v10, v32, s20, v10
	v_mov_b32_e32 v11, v33
	v_mov_b32_e32 v36, 1
	v_pk_mov_b32 v[34:35], v[4:5], v[4:5] op_sel:[0,1]
	v_pk_mov_b32 v[4:5], v[18:19], v[18:19] op_sel:[0,1]
	v_mov_b32_e32 v50, v32
; %bb.29:
	s_or_b64 exec, exec, s[26:27]
	v_lshrrev_b64 v[30:31], 24, v[10:11]
	v_lshrrev_b32_e32 v31, 16, v10
	v_and_b32_e32 v12, v30, v48
	v_and_b32_e32 v13, v31, v48
	v_cmp_gt_u16_e64 s[20:21], v12, v13
	v_pk_mov_b32 v[32:33], v[22:23], v[22:23] op_sel:[0,1]
	s_and_saveexec_b64 s[26:27], s[20:21]
; %bb.30:
	s_mov_b32 s20, 0xc0c0001
	v_perm_b32 v12, 0, v31, s20
	v_lshlrev_b32_e32 v12, 16, v12
	s_mov_b32 s20, 0xffff
	v_and_or_b32 v10, v10, s20, v12
	v_pk_mov_b32 v[32:33], v[26:27], v[26:27] op_sel:[0,1]
	v_pk_mov_b32 v[26:27], v[22:23], v[22:23] op_sel:[0,1]
	v_mov_b32_e32 v30, v31
	v_mov_b32_e32 v31, 1
; %bb.31:
	s_or_b64 exec, exec, s[26:27]
	v_lshrrev_b32_e32 v51, 8, v11
	v_and_b32_e32 v12, v51, v48
	v_and_b32_e32 v13, v11, v48
	v_cmp_gt_u16_e64 s[20:21], v12, v13
	v_pk_mov_b32 v[18:19], v[20:21], v[20:21] op_sel:[0,1]
	v_pk_mov_b32 v[12:13], v[10:11], v[10:11] op_sel:[0,1]
	s_and_saveexec_b64 s[26:27], s[20:21]
; %bb.32:
	s_mov_b32 s20, 0x7060405
	v_perm_b32 v13, v11, v11, s20
	v_mov_b32_e32 v12, v10
	v_pk_mov_b32 v[18:19], v[16:17], v[16:17] op_sel:[0,1]
	v_pk_mov_b32 v[16:17], v[20:21], v[20:21] op_sel:[0,1]
	v_mov_b32_e32 v51, v11
	v_mov_b32_e32 v11, 1
; %bb.33:
	s_or_b64 exec, exec, s[26:27]
	v_lshrrev_b32_e32 v52, 24, v13
	v_lshrrev_b32_e32 v10, 16, v13
	v_and_b32_e32 v20, v52, v48
	v_and_b32_e32 v21, v10, v48
	v_cmp_gt_u16_e64 s[20:21], v20, v21
	v_pk_mov_b32 v[20:21], v[28:29], v[28:29] op_sel:[0,1]
	s_and_saveexec_b64 s[26:27], s[20:21]
; %bb.34:
	s_mov_b32 s20, 0x6070504
	v_perm_b32 v13, v13, v13, s20
	v_pk_mov_b32 v[20:21], v[14:15], v[14:15] op_sel:[0,1]
	v_pk_mov_b32 v[14:15], v[28:29], v[28:29] op_sel:[0,1]
	v_mov_b32_e32 v52, v10
	v_mov_b32_e32 v10, 1
; %bb.35:
	s_or_b64 exec, exec, s[26:27]
	v_and_b32_e32 v22, v31, v48
	v_and_b32_e32 v23, v50, v48
	v_cmp_gt_u16_e64 s[20:21], v22, v23
	v_pk_mov_b32 v[22:23], v[26:27], v[26:27] op_sel:[0,1]
	s_and_saveexec_b64 s[26:27], s[20:21]
	s_xor_b64 s[20:21], exec, s[26:27]
; %bb.36:
	s_movk_i32 s26, 0xff00
	v_and_b32_sdwa v22, v12, s26 dst_sel:DWORD dst_unused:UNUSED_PAD src0_sel:WORD_1 src1_sel:DWORD
	v_lshlrev_b16_e32 v23, 8, v31
	v_or_b32_sdwa v22, v50, v22 dst_sel:WORD_1 dst_unused:UNUSED_PAD src0_sel:BYTE_0 src1_sel:DWORD
	v_or_b32_sdwa v12, v12, v23 dst_sel:DWORD dst_unused:UNUSED_PAD src0_sel:BYTE_0 src1_sel:DWORD
	v_or_b32_sdwa v12, v12, v22 dst_sel:DWORD dst_unused:UNUSED_PAD src0_sel:WORD_0 src1_sel:DWORD
	v_pk_mov_b32 v[22:23], v[34:35], v[34:35] op_sel:[0,1]
	v_pk_mov_b32 v[34:35], v[26:27], v[26:27] op_sel:[0,1]
	v_mov_b32_e32 v31, v50
	v_mov_b32_e32 v50, 1
; %bb.37:
	s_or_b64 exec, exec, s[20:21]
	v_and_b32_e32 v26, v11, v48
	v_and_b32_e32 v27, v30, v48
	v_cmp_gt_u16_e64 s[20:21], v26, v27
	v_pk_mov_b32 v[28:29], v[32:33], v[32:33] op_sel:[0,1]
	s_and_saveexec_b64 s[26:27], s[20:21]
	s_cbranch_execz .LBB1542_39
; %bb.38:
	s_mov_b32 s20, 0x3020104
	v_perm_b32 v13, v30, v13, s20
	s_movk_i32 s20, 0xff
	v_and_b32_sdwa v26, v12, s20 dst_sel:DWORD dst_unused:UNUSED_PAD src0_sel:WORD_1 src1_sel:DWORD
	v_lshlrev_b16_e32 v11, 8, v11
	v_or_b32_sdwa v11, v26, v11 dst_sel:WORD_1 dst_unused:UNUSED_PAD src0_sel:DWORD src1_sel:DWORD
	s_mov_b32 s20, 0xffff
	v_and_or_b32 v12, v12, s20, v11
	v_pk_mov_b32 v[28:29], v[18:19], v[18:19] op_sel:[0,1]
	v_pk_mov_b32 v[18:19], v[32:33], v[32:33] op_sel:[0,1]
	v_mov_b32_e32 v11, v30
	v_mov_b32_e32 v30, 1
.LBB1542_39:
	s_or_b64 exec, exec, s[26:27]
	v_and_b32_e32 v26, v10, v48
	v_and_b32_e32 v27, v51, v48
	v_cmp_gt_u16_e64 s[20:21], v26, v27
	v_pk_mov_b32 v[26:27], v[16:17], v[16:17] op_sel:[0,1]
	s_and_saveexec_b64 s[26:27], s[20:21]
; %bb.40:
	s_movk_i32 s20, 0xff00
	v_and_b32_sdwa v26, v13, s20 dst_sel:DWORD dst_unused:UNUSED_PAD src0_sel:WORD_1 src1_sel:DWORD
	v_lshlrev_b16_e32 v10, 8, v10
	v_or_b32_sdwa v26, v51, v26 dst_sel:WORD_1 dst_unused:UNUSED_PAD src0_sel:BYTE_0 src1_sel:DWORD
	v_or_b32_sdwa v10, v13, v10 dst_sel:DWORD dst_unused:UNUSED_PAD src0_sel:BYTE_0 src1_sel:DWORD
	v_or_b32_sdwa v13, v10, v26 dst_sel:DWORD dst_unused:UNUSED_PAD src0_sel:WORD_0 src1_sel:DWORD
	v_pk_mov_b32 v[26:27], v[20:21], v[20:21] op_sel:[0,1]
	v_pk_mov_b32 v[20:21], v[16:17], v[16:17] op_sel:[0,1]
	v_mov_b32_e32 v10, v51
	v_mov_b32_e32 v51, 1
; %bb.41:
	s_or_b64 exec, exec, s[26:27]
	v_and_b32_e32 v16, v50, v48
	v_and_b32_e32 v17, v36, v48
	v_cmp_gt_u16_e64 s[20:21], v16, v17
	v_pk_mov_b32 v[16:17], v[34:35], v[34:35] op_sel:[0,1]
	v_mov_b32_e32 v37, v36
	s_and_saveexec_b64 s[26:27], s[20:21]
; %bb.42:
	v_lshlrev_b16_e32 v16, 8, v36
	v_or_b32_sdwa v16, v50, v16 dst_sel:DWORD dst_unused:UNUSED_PAD src0_sel:BYTE_0 src1_sel:DWORD
	v_and_b32_e32 v16, 0xffff, v16
	s_mov_b32 s20, 0xffff0000
	v_and_or_b32 v12, v12, s20, v16
	v_mov_b32_e32 v37, 1
	v_pk_mov_b32 v[16:17], v[4:5], v[4:5] op_sel:[0,1]
	v_pk_mov_b32 v[4:5], v[34:35], v[34:35] op_sel:[0,1]
	v_mov_b32_e32 v50, v36
; %bb.43:
	s_or_b64 exec, exec, s[26:27]
	v_and_b32_e32 v32, v30, v48
	v_and_b32_e32 v33, v31, v48
	v_cmp_gt_u16_e64 s[20:21], v32, v33
	v_pk_mov_b32 v[32:33], v[28:29], v[28:29] op_sel:[0,1]
	s_and_saveexec_b64 s[26:27], s[20:21]
; %bb.44:
	v_lshlrev_b16_e32 v32, 8, v31
	v_or_b32_sdwa v30, v30, v32 dst_sel:WORD_1 dst_unused:UNUSED_PAD src0_sel:BYTE_0 src1_sel:DWORD
	s_mov_b32 s20, 0xffff
	v_and_or_b32 v12, v12, s20, v30
	v_pk_mov_b32 v[32:33], v[22:23], v[22:23] op_sel:[0,1]
	v_pk_mov_b32 v[22:23], v[28:29], v[28:29] op_sel:[0,1]
	v_mov_b32_e32 v30, v31
	v_mov_b32_e32 v31, 1
; %bb.45:
	s_or_b64 exec, exec, s[26:27]
	v_and_b32_e32 v28, v51, v48
	v_and_b32_e32 v29, v11, v48
	v_cmp_gt_u16_e64 s[20:21], v28, v29
	v_pk_mov_b32 v[28:29], v[18:19], v[18:19] op_sel:[0,1]
	s_and_saveexec_b64 s[26:27], s[20:21]
; %bb.46:
	v_lshlrev_b16_e32 v28, 8, v11
	v_or_b32_sdwa v28, v51, v28 dst_sel:DWORD dst_unused:UNUSED_PAD src0_sel:BYTE_0 src1_sel:DWORD
	v_and_b32_e32 v28, 0xffff, v28
	s_mov_b32 s20, 0xffff0000
	v_and_or_b32 v13, v13, s20, v28
	v_pk_mov_b32 v[28:29], v[26:27], v[26:27] op_sel:[0,1]
	v_pk_mov_b32 v[26:27], v[18:19], v[18:19] op_sel:[0,1]
	v_mov_b32_e32 v51, v11
	v_mov_b32_e32 v11, 1
; %bb.47:
	s_or_b64 exec, exec, s[26:27]
	v_and_b32_e32 v18, v52, v48
	v_and_b32_e32 v19, v10, v48
	v_cmp_gt_u16_e64 s[20:21], v18, v19
	v_pk_mov_b32 v[18:19], v[20:21], v[20:21] op_sel:[0,1]
	s_and_saveexec_b64 s[26:27], s[20:21]
; %bb.48:
	v_lshlrev_b16_e32 v18, 8, v10
	v_or_b32_sdwa v18, v52, v18 dst_sel:WORD_1 dst_unused:UNUSED_PAD src0_sel:BYTE_0 src1_sel:DWORD
	s_mov_b32 s20, 0xffff
	v_and_or_b32 v13, v13, s20, v18
	v_pk_mov_b32 v[18:19], v[14:15], v[14:15] op_sel:[0,1]
	v_pk_mov_b32 v[14:15], v[20:21], v[20:21] op_sel:[0,1]
	v_mov_b32_e32 v52, v10
	v_mov_b32_e32 v10, 1
; %bb.49:
	s_or_b64 exec, exec, s[26:27]
	v_and_b32_e32 v20, v31, v48
	v_and_b32_e32 v21, v50, v48
	v_cmp_gt_u16_e64 s[20:21], v20, v21
	v_pk_mov_b32 v[20:21], v[22:23], v[22:23] op_sel:[0,1]
	s_and_saveexec_b64 s[26:27], s[20:21]
; %bb.50:
	s_movk_i32 s20, 0xff00
	v_and_b32_sdwa v20, v12, s20 dst_sel:DWORD dst_unused:UNUSED_PAD src0_sel:WORD_1 src1_sel:DWORD
	v_lshlrev_b16_e32 v21, 8, v31
	v_or_b32_sdwa v20, v50, v20 dst_sel:WORD_1 dst_unused:UNUSED_PAD src0_sel:BYTE_0 src1_sel:DWORD
	v_or_b32_sdwa v12, v12, v21 dst_sel:DWORD dst_unused:UNUSED_PAD src0_sel:BYTE_0 src1_sel:DWORD
	v_or_b32_sdwa v12, v12, v20 dst_sel:DWORD dst_unused:UNUSED_PAD src0_sel:WORD_0 src1_sel:DWORD
	v_pk_mov_b32 v[20:21], v[16:17], v[16:17] op_sel:[0,1]
	v_pk_mov_b32 v[16:17], v[22:23], v[22:23] op_sel:[0,1]
	v_mov_b32_e32 v31, v50
	v_mov_b32_e32 v50, 1
; %bb.51:
	s_or_b64 exec, exec, s[26:27]
	v_and_b32_e32 v22, v11, v48
	v_and_b32_e32 v23, v30, v48
	v_cmp_gt_u16_e64 s[20:21], v22, v23
	v_pk_mov_b32 v[34:35], v[32:33], v[32:33] op_sel:[0,1]
	s_and_saveexec_b64 s[26:27], s[20:21]
	s_cbranch_execz .LBB1542_53
; %bb.52:
	s_mov_b32 s20, 0x3020104
	v_perm_b32 v13, v30, v13, s20
	s_movk_i32 s20, 0xff
	v_and_b32_sdwa v22, v12, s20 dst_sel:DWORD dst_unused:UNUSED_PAD src0_sel:WORD_1 src1_sel:DWORD
	v_lshlrev_b16_e32 v11, 8, v11
	v_or_b32_sdwa v11, v22, v11 dst_sel:WORD_1 dst_unused:UNUSED_PAD src0_sel:DWORD src1_sel:DWORD
	s_mov_b32 s20, 0xffff
	v_and_or_b32 v12, v12, s20, v11
	v_pk_mov_b32 v[34:35], v[28:29], v[28:29] op_sel:[0,1]
	v_pk_mov_b32 v[28:29], v[32:33], v[32:33] op_sel:[0,1]
	v_mov_b32_e32 v11, v30
	v_mov_b32_e32 v30, 1
.LBB1542_53:
	s_or_b64 exec, exec, s[26:27]
	v_and_b32_e32 v22, v10, v48
	v_and_b32_e32 v23, v51, v48
	v_cmp_gt_u16_e64 s[20:21], v22, v23
	v_pk_mov_b32 v[22:23], v[26:27], v[26:27] op_sel:[0,1]
	s_and_saveexec_b64 s[26:27], s[20:21]
; %bb.54:
	s_movk_i32 s20, 0xff00
	v_and_b32_sdwa v22, v13, s20 dst_sel:DWORD dst_unused:UNUSED_PAD src0_sel:WORD_1 src1_sel:DWORD
	v_lshlrev_b16_e32 v10, 8, v10
	v_or_b32_sdwa v22, v51, v22 dst_sel:WORD_1 dst_unused:UNUSED_PAD src0_sel:BYTE_0 src1_sel:DWORD
	v_or_b32_sdwa v10, v13, v10 dst_sel:DWORD dst_unused:UNUSED_PAD src0_sel:BYTE_0 src1_sel:DWORD
	v_or_b32_sdwa v13, v10, v22 dst_sel:DWORD dst_unused:UNUSED_PAD src0_sel:WORD_0 src1_sel:DWORD
	v_pk_mov_b32 v[22:23], v[18:19], v[18:19] op_sel:[0,1]
	v_pk_mov_b32 v[18:19], v[26:27], v[26:27] op_sel:[0,1]
	v_mov_b32_e32 v10, v51
	v_mov_b32_e32 v51, 1
; %bb.55:
	s_or_b64 exec, exec, s[26:27]
	v_and_b32_e32 v26, v50, v48
	v_and_b32_e32 v27, v37, v48
	v_cmp_gt_u16_e64 s[20:21], v26, v27
	v_pk_mov_b32 v[26:27], v[16:17], v[16:17] op_sel:[0,1]
	v_mov_b32_e32 v33, v37
	s_and_saveexec_b64 s[26:27], s[20:21]
; %bb.56:
	v_lshlrev_b16_e32 v26, 8, v37
	v_or_b32_sdwa v26, v50, v26 dst_sel:DWORD dst_unused:UNUSED_PAD src0_sel:BYTE_0 src1_sel:DWORD
	v_and_b32_e32 v26, 0xffff, v26
	s_mov_b32 s20, 0xffff0000
	v_and_or_b32 v12, v12, s20, v26
	v_mov_b32_e32 v33, 1
	v_pk_mov_b32 v[26:27], v[4:5], v[4:5] op_sel:[0,1]
	v_pk_mov_b32 v[4:5], v[16:17], v[16:17] op_sel:[0,1]
	v_mov_b32_e32 v50, v37
; %bb.57:
	s_or_b64 exec, exec, s[26:27]
	v_and_b32_e32 v16, v30, v48
	v_and_b32_e32 v17, v31, v48
	v_cmp_gt_u16_e64 s[20:21], v16, v17
	v_pk_mov_b32 v[16:17], v[34:35], v[34:35] op_sel:[0,1]
	s_and_saveexec_b64 s[26:27], s[20:21]
; %bb.58:
	v_lshlrev_b16_e32 v16, 8, v31
	v_or_b32_sdwa v16, v30, v16 dst_sel:WORD_1 dst_unused:UNUSED_PAD src0_sel:BYTE_0 src1_sel:DWORD
	s_mov_b32 s20, 0xffff
	v_and_or_b32 v12, v12, s20, v16
	v_pk_mov_b32 v[16:17], v[20:21], v[20:21] op_sel:[0,1]
	v_pk_mov_b32 v[20:21], v[34:35], v[34:35] op_sel:[0,1]
	v_mov_b32_e32 v30, v31
	v_mov_b32_e32 v31, 1
; %bb.59:
	s_or_b64 exec, exec, s[26:27]
	v_and_b32_e32 v32, v51, v48
	v_and_b32_e32 v34, v11, v48
	v_cmp_gt_u16_e64 s[20:21], v32, v34
	v_pk_mov_b32 v[34:35], v[28:29], v[28:29] op_sel:[0,1]
	s_and_saveexec_b64 s[26:27], s[20:21]
; %bb.60:
	v_lshlrev_b16_e32 v32, 8, v11
	v_or_b32_sdwa v32, v51, v32 dst_sel:DWORD dst_unused:UNUSED_PAD src0_sel:BYTE_0 src1_sel:DWORD
	v_and_b32_e32 v32, 0xffff, v32
	s_mov_b32 s20, 0xffff0000
	v_and_or_b32 v13, v13, s20, v32
	v_pk_mov_b32 v[34:35], v[22:23], v[22:23] op_sel:[0,1]
	v_pk_mov_b32 v[22:23], v[28:29], v[28:29] op_sel:[0,1]
	v_mov_b32_e32 v51, v11
	v_mov_b32_e32 v11, 1
; %bb.61:
	s_or_b64 exec, exec, s[26:27]
	v_and_b32_e32 v28, v52, v48
	v_and_b32_e32 v29, v10, v48
	v_cmp_gt_u16_e64 s[20:21], v28, v29
	v_pk_mov_b32 v[28:29], v[18:19], v[18:19] op_sel:[0,1]
	s_and_saveexec_b64 s[26:27], s[20:21]
; %bb.62:
	v_lshlrev_b16_e32 v28, 8, v10
	v_or_b32_sdwa v28, v52, v28 dst_sel:WORD_1 dst_unused:UNUSED_PAD src0_sel:BYTE_0 src1_sel:DWORD
	s_mov_b32 s20, 0xffff
	v_and_or_b32 v13, v13, s20, v28
	v_pk_mov_b32 v[28:29], v[14:15], v[14:15] op_sel:[0,1]
	v_pk_mov_b32 v[14:15], v[18:19], v[18:19] op_sel:[0,1]
	v_mov_b32_e32 v52, v10
	v_mov_b32_e32 v10, 1
; %bb.63:
	s_or_b64 exec, exec, s[26:27]
	v_and_b32_e32 v18, v31, v48
	v_and_b32_e32 v19, v50, v48
	v_cmp_gt_u16_e64 s[20:21], v18, v19
	v_pk_mov_b32 v[18:19], v[20:21], v[20:21] op_sel:[0,1]
	s_and_saveexec_b64 s[26:27], s[20:21]
; %bb.64:
	s_movk_i32 s20, 0xff00
	v_and_b32_sdwa v18, v12, s20 dst_sel:DWORD dst_unused:UNUSED_PAD src0_sel:WORD_1 src1_sel:DWORD
	v_lshlrev_b16_e32 v19, 8, v31
	v_or_b32_sdwa v18, v50, v18 dst_sel:WORD_1 dst_unused:UNUSED_PAD src0_sel:BYTE_0 src1_sel:DWORD
	v_or_b32_sdwa v12, v12, v19 dst_sel:DWORD dst_unused:UNUSED_PAD src0_sel:BYTE_0 src1_sel:DWORD
	v_or_b32_sdwa v12, v12, v18 dst_sel:DWORD dst_unused:UNUSED_PAD src0_sel:WORD_0 src1_sel:DWORD
	v_pk_mov_b32 v[18:19], v[26:27], v[26:27] op_sel:[0,1]
	v_pk_mov_b32 v[26:27], v[20:21], v[20:21] op_sel:[0,1]
	v_mov_b32_e32 v31, v50
	v_mov_b32_e32 v50, 1
; %bb.65:
	s_or_b64 exec, exec, s[26:27]
	v_and_b32_e32 v20, v11, v48
	v_and_b32_e32 v21, v30, v48
	v_cmp_gt_u16_e64 s[20:21], v20, v21
	v_pk_mov_b32 v[38:39], v[16:17], v[16:17] op_sel:[0,1]
	s_and_saveexec_b64 s[26:27], s[20:21]
	s_cbranch_execz .LBB1542_67
; %bb.66:
	s_mov_b32 s20, 0x3020104
	v_perm_b32 v13, v30, v13, s20
	s_movk_i32 s20, 0xff
	v_and_b32_sdwa v20, v12, s20 dst_sel:DWORD dst_unused:UNUSED_PAD src0_sel:WORD_1 src1_sel:DWORD
	v_lshlrev_b16_e32 v11, 8, v11
	v_or_b32_sdwa v11, v20, v11 dst_sel:WORD_1 dst_unused:UNUSED_PAD src0_sel:DWORD src1_sel:DWORD
	s_mov_b32 s20, 0xffff
	v_and_or_b32 v12, v12, s20, v11
	v_pk_mov_b32 v[38:39], v[34:35], v[34:35] op_sel:[0,1]
	v_pk_mov_b32 v[34:35], v[16:17], v[16:17] op_sel:[0,1]
	v_mov_b32_e32 v11, v30
	v_mov_b32_e32 v30, 1
.LBB1542_67:
	s_or_b64 exec, exec, s[26:27]
	v_and_b32_e32 v16, v10, v48
	v_and_b32_e32 v17, v51, v48
	v_cmp_gt_u16_e64 s[20:21], v16, v17
	v_pk_mov_b32 v[16:17], v[22:23], v[22:23] op_sel:[0,1]
	s_and_saveexec_b64 s[26:27], s[20:21]
; %bb.68:
	s_movk_i32 s20, 0xff00
	v_and_b32_sdwa v16, v13, s20 dst_sel:DWORD dst_unused:UNUSED_PAD src0_sel:WORD_1 src1_sel:DWORD
	v_lshlrev_b16_e32 v10, 8, v10
	v_or_b32_sdwa v16, v51, v16 dst_sel:WORD_1 dst_unused:UNUSED_PAD src0_sel:BYTE_0 src1_sel:DWORD
	v_or_b32_sdwa v10, v13, v10 dst_sel:DWORD dst_unused:UNUSED_PAD src0_sel:BYTE_0 src1_sel:DWORD
	v_or_b32_sdwa v13, v10, v16 dst_sel:DWORD dst_unused:UNUSED_PAD src0_sel:WORD_0 src1_sel:DWORD
	v_pk_mov_b32 v[16:17], v[28:29], v[28:29] op_sel:[0,1]
	v_pk_mov_b32 v[28:29], v[22:23], v[22:23] op_sel:[0,1]
	v_mov_b32_e32 v10, v51
	v_mov_b32_e32 v51, 1
; %bb.69:
	s_or_b64 exec, exec, s[26:27]
	v_and_b32_e32 v20, v50, v48
	v_and_b32_e32 v21, v33, v48
	v_cmp_gt_u16_e64 s[20:21], v20, v21
	v_pk_mov_b32 v[20:21], v[26:27], v[26:27] op_sel:[0,1]
	v_mov_b32_e32 v32, v33
	s_and_saveexec_b64 s[26:27], s[20:21]
; %bb.70:
	v_lshlrev_b16_e32 v20, 8, v33
	v_or_b32_sdwa v20, v50, v20 dst_sel:DWORD dst_unused:UNUSED_PAD src0_sel:BYTE_0 src1_sel:DWORD
	v_and_b32_e32 v20, 0xffff, v20
	s_mov_b32 s20, 0xffff0000
	v_and_or_b32 v12, v12, s20, v20
	v_mov_b32_e32 v32, 1
	v_pk_mov_b32 v[20:21], v[4:5], v[4:5] op_sel:[0,1]
	v_pk_mov_b32 v[4:5], v[26:27], v[26:27] op_sel:[0,1]
	v_mov_b32_e32 v50, v33
; %bb.71:
	s_or_b64 exec, exec, s[26:27]
	v_and_b32_e32 v22, v30, v48
	v_and_b32_e32 v23, v31, v48
	v_cmp_gt_u16_e64 s[20:21], v22, v23
	v_pk_mov_b32 v[36:37], v[38:39], v[38:39] op_sel:[0,1]
	s_and_saveexec_b64 s[26:27], s[20:21]
; %bb.72:
	v_lshlrev_b16_e32 v22, 8, v31
	v_or_b32_sdwa v22, v30, v22 dst_sel:WORD_1 dst_unused:UNUSED_PAD src0_sel:BYTE_0 src1_sel:DWORD
	s_mov_b32 s20, 0xffff
	v_and_or_b32 v12, v12, s20, v22
	v_pk_mov_b32 v[36:37], v[18:19], v[18:19] op_sel:[0,1]
	v_pk_mov_b32 v[18:19], v[38:39], v[38:39] op_sel:[0,1]
	v_mov_b32_e32 v30, v31
	v_mov_b32_e32 v31, 1
; %bb.73:
	s_or_b64 exec, exec, s[26:27]
	v_and_b32_e32 v22, v51, v48
	v_and_b32_e32 v23, v11, v48
	v_cmp_gt_u16_e64 s[20:21], v22, v23
	v_pk_mov_b32 v[38:39], v[34:35], v[34:35] op_sel:[0,1]
	s_and_saveexec_b64 s[26:27], s[20:21]
; %bb.74:
	v_lshlrev_b16_e32 v22, 8, v11
	v_or_b32_sdwa v22, v51, v22 dst_sel:DWORD dst_unused:UNUSED_PAD src0_sel:BYTE_0 src1_sel:DWORD
	v_and_b32_e32 v22, 0xffff, v22
	s_mov_b32 s20, 0xffff0000
	v_and_or_b32 v13, v13, s20, v22
	v_pk_mov_b32 v[38:39], v[16:17], v[16:17] op_sel:[0,1]
	v_pk_mov_b32 v[16:17], v[34:35], v[34:35] op_sel:[0,1]
	v_mov_b32_e32 v51, v11
	v_mov_b32_e32 v11, 1
; %bb.75:
	s_or_b64 exec, exec, s[26:27]
	v_and_b32_e32 v22, v52, v48
	v_and_b32_e32 v23, v10, v48
	v_cmp_gt_u16_e64 s[20:21], v22, v23
	v_pk_mov_b32 v[34:35], v[28:29], v[28:29] op_sel:[0,1]
	s_and_saveexec_b64 s[26:27], s[20:21]
; %bb.76:
	v_lshlrev_b16_e32 v10, 8, v10
	v_or_b32_sdwa v10, v52, v10 dst_sel:WORD_1 dst_unused:UNUSED_PAD src0_sel:BYTE_0 src1_sel:DWORD
	s_mov_b32 s20, 0xffff
	v_and_or_b32 v13, v13, s20, v10
	v_mov_b32_e32 v10, 1
	v_pk_mov_b32 v[34:35], v[14:15], v[14:15] op_sel:[0,1]
	v_pk_mov_b32 v[14:15], v[28:29], v[28:29] op_sel:[0,1]
; %bb.77:
	s_or_b64 exec, exec, s[26:27]
	s_movk_i32 s28, 0xff00
	v_and_b32_sdwa v22, v12, s28 dst_sel:DWORD dst_unused:UNUSED_PAD src0_sel:WORD_1 src1_sel:DWORD
	v_lshlrev_b16_e32 v27, 8, v31
	v_or_b32_sdwa v22, v50, v22 dst_sel:WORD_1 dst_unused:UNUSED_PAD src0_sel:BYTE_0 src1_sel:DWORD
	v_and_b32_e32 v23, v31, v48
	v_and_b32_e32 v26, v50, v48
	v_or_b32_sdwa v27, v12, v27 dst_sel:DWORD dst_unused:UNUSED_PAD src0_sel:BYTE_0 src1_sel:DWORD
	v_or_b32_sdwa v22, v27, v22 dst_sel:DWORD dst_unused:UNUSED_PAD src0_sel:WORD_0 src1_sel:DWORD
	v_cmp_gt_u16_e64 s[20:21], v23, v26
	s_movk_i32 s26, 0xff
	v_cndmask_b32_e64 v12, v12, v22, s[20:21]
	v_cndmask_b32_e64 v27, v19, v21, s[20:21]
	;; [unrolled: 1-line block ×5, first 2 shown]
	v_and_b32_sdwa v20, v12, s26 dst_sel:DWORD dst_unused:UNUSED_PAD src0_sel:WORD_1 src1_sel:DWORD
	v_and_b32_e32 v21, v11, v48
	v_lshlrev_b16_e32 v11, 8, v11
	s_mov_b32 s27, 0xffff
	s_mov_b32 s20, 0x3020104
	v_and_b32_e32 v22, v30, v48
	v_or_b32_sdwa v11, v20, v11 dst_sel:WORD_1 dst_unused:UNUSED_PAD src0_sel:DWORD src1_sel:DWORD
	v_perm_b32 v28, v30, v13, s20
	v_and_or_b32 v11, v12, s27, v11
	v_cmp_gt_u16_e64 s[20:21], v21, v22
	v_cndmask_b32_e64 v12, v12, v11, s[20:21]
	v_cndmask_b32_e64 v13, v13, v28, s[20:21]
	v_and_b32_e32 v11, v10, v48
	v_and_b32_e32 v28, v51, v48
	v_cndmask_b32_e64 v23, v37, v39, s[20:21]
	v_cndmask_b32_e64 v22, v36, v38, s[20:21]
	;; [unrolled: 1-line block ×4, first 2 shown]
	v_cmp_gt_u16_e64 s[20:21], v11, v28
	v_pk_mov_b32 v[28:29], v[34:35], v[34:35] op_sel:[0,1]
	s_and_saveexec_b64 s[26:27], s[20:21]
; %bb.78:
	v_and_b32_sdwa v11, v13, s28 dst_sel:DWORD dst_unused:UNUSED_PAD src0_sel:WORD_1 src1_sel:DWORD
	v_lshlrev_b16_e32 v10, 8, v10
	v_or_b32_sdwa v11, v51, v11 dst_sel:WORD_1 dst_unused:UNUSED_PAD src0_sel:BYTE_0 src1_sel:DWORD
	v_or_b32_sdwa v10, v13, v10 dst_sel:DWORD dst_unused:UNUSED_PAD src0_sel:BYTE_0 src1_sel:DWORD
	v_or_b32_sdwa v13, v10, v11 dst_sel:DWORD dst_unused:UNUSED_PAD src0_sel:WORD_0 src1_sel:DWORD
	v_pk_mov_b32 v[28:29], v[16:17], v[16:17] op_sel:[0,1]
	v_pk_mov_b32 v[16:17], v[34:35], v[34:35] op_sel:[0,1]
; %bb.79:
	s_or_b64 exec, exec, s[26:27]
.LBB1542_80:
	s_or_b64 exec, exec, s[22:23]
	v_and_b32_e32 v31, 0xfffffe00, v49
	v_lshlrev_b32_e32 v30, 3, v31
	v_lshl_add_u32 v36, v1, 3, v30
	v_lshrrev_b32_e32 v37, 8, v12
	v_add_u32_e32 v39, 0x810, v36
	v_lshrrev_b64 v[10:11], 24, v[12:13]
	ds_write2_b64 v39, v[26:27], v[22:23] offset1:1
	v_lshlrev_b16_e32 v39, 8, v37
	v_lshrrev_b32_e32 v38, 16, v12
	v_or_b32_sdwa v32, v32, v39 dst_sel:DWORD dst_unused:UNUSED_PAD src0_sel:BYTE_0 src1_sel:DWORD
	v_lshlrev_b16_e32 v39, 8, v10
	v_add_u32_e32 v11, 0x820, v36
	v_or_b32_sdwa v39, v38, v39 dst_sel:WORD_1 dst_unused:UNUSED_PAD src0_sel:BYTE_0 src1_sel:DWORD
	s_movk_i32 s20, 0x800
	v_add_u32_e32 v35, v31, v1
	v_add_u32_e32 v34, 0x800, v36
	ds_write2_b64 v11, v[20:21], v[16:17] offset1:1
	v_add_u32_e32 v11, 0x830, v36
	v_or_b32_sdwa v50, v32, v39 dst_sel:DWORD dst_unused:UNUSED_PAD src0_sel:WORD_0 src1_sel:DWORD
	v_mov_b32_e32 v51, v13
	v_sub_u32_e64 v33, s20, v31 clamp
	ds_write2_b64 v34, v[4:5], v[18:19] offset1:1
	ds_write_b64 v35, v[50:51]
	ds_write2_b64 v11, v[28:29], v[14:15] offset1:1
	v_or_b32_e32 v11, 8, v1
	v_min_u32_e32 v50, v33, v11
	v_add_u32_e32 v11, 8, v50
	v_and_b32_e32 v39, 0x3f0, v1
	v_min_u32_e32 v51, v33, v11
	v_and_b32_e32 v11, 8, v1
	v_min_u32_e32 v53, v33, v11
	v_sub_u32_e32 v11, v50, v39
	v_sub_u32_e32 v32, v51, v50
	v_sub_u32_e64 v54, v53, v32 clamp
	v_min_u32_e32 v11, v53, v11
	v_cmp_lt_u32_e64 s[20:21], v54, v11
	; wave barrier
	s_and_saveexec_b64 s[22:23], s[20:21]
	s_cbranch_execz .LBB1542_84
; %bb.81:
	v_add_u32_e32 v32, v31, v39
	v_add3_u32 v49, v31, v50, v53
	s_mov_b64 s[26:27], 0
.LBB1542_82:                            ; =>This Inner Loop Header: Depth=1
	v_add_u32_e32 v52, v11, v54
	v_lshrrev_b32_e32 v52, 1, v52
	v_add_u32_e32 v55, v32, v52
	v_xad_u32 v64, v52, -1, v49
	ds_read_u8 v64, v64
	ds_read_u8 v55, v55
	v_add_u32_e32 v65, 1, v52
	s_waitcnt lgkmcnt(1)
	v_and_b32_e32 v64, v64, v48
	s_waitcnt lgkmcnt(0)
	v_and_b32_e32 v55, v55, v48
	v_cmp_gt_u16_e64 s[20:21], v64, v55
	v_cndmask_b32_e64 v11, v11, v52, s[20:21]
	v_cndmask_b32_e64 v54, v65, v54, s[20:21]
	v_cmp_ge_u32_e64 s[20:21], v54, v11
	s_or_b64 s[26:27], s[20:21], s[26:27]
	s_andn2_b64 exec, exec, s[26:27]
	s_cbranch_execnz .LBB1542_82
; %bb.83:
	s_or_b64 exec, exec, s[26:27]
.LBB1542_84:
	s_or_b64 exec, exec, s[22:23]
	v_add_u32_e32 v52, v54, v39
	v_add_u32_e32 v39, v50, v53
	v_sub_u32_e32 v53, v39, v54
	v_cmp_le_u32_e64 s[20:21], v52, v50
	v_cmp_le_u32_e64 s[22:23], v53, v51
	v_lshrrev_b32_e32 v11, 8, v13
	v_lshrrev_b32_e32 v32, 16, v13
	;; [unrolled: 1-line block ×3, first 2 shown]
	s_or_b64 s[20:21], s[20:21], s[22:23]
	v_mov_b32_e32 v39, v13
	s_and_saveexec_b64 s[42:43], s[20:21]
	s_cbranch_execz .LBB1542_90
; %bb.85:
	v_cmp_lt_u32_e64 s[20:21], v52, v50
                                        ; implicit-def: $vgpr10
	s_and_saveexec_b64 s[22:23], s[20:21]
	s_cbranch_execz .LBB1542_87
; %bb.86:
	v_add_u32_e32 v4, v31, v52
	ds_read_u8 v10, v4
.LBB1542_87:
	s_or_b64 exec, exec, s[22:23]
	v_cmp_ge_u32_e64 s[22:23], v53, v51
	v_cmp_lt_u32_e64 s[26:27], v53, v51
                                        ; implicit-def: $vgpr11
	s_and_saveexec_b64 s[28:29], s[26:27]
	s_cbranch_execz .LBB1542_89
; %bb.88:
	v_add_u32_e32 v4, v31, v53
	ds_read_u8 v11, v4
.LBB1542_89:
	s_or_b64 exec, exec, s[28:29]
	s_waitcnt lgkmcnt(0)
	v_and_b32_e32 v4, v11, v48
	v_and_b32_e32 v5, v10, v48
	v_cmp_le_u16_e64 s[26:27], v4, v5
	s_and_b64 s[20:21], s[20:21], s[26:27]
	s_or_b64 s[20:21], s[22:23], s[20:21]
	v_cndmask_b32_e64 v4, v53, v52, s[20:21]
	v_cndmask_b32_e64 v5, v51, v50, s[20:21]
	v_add_u32_e32 v12, 1, v4
	v_add_u32_e32 v5, -1, v5
	v_min_u32_e32 v5, v12, v5
	v_add_u32_e32 v5, v31, v5
	ds_read_u8 v5, v5
	v_lshl_add_u32 v4, v4, 3, v30
	v_cndmask_b32_e64 v65, v11, v10, s[20:21]
	s_waitcnt lgkmcnt(0)
	v_cndmask_b32_e64 v13, v5, v11, s[20:21]
	v_cndmask_b32_e64 v14, v10, v5, s[20:21]
	;; [unrolled: 1-line block ×4, first 2 shown]
	v_and_b32_e32 v15, v13, v48
	v_and_b32_e32 v16, v14, v48
	v_cmp_lt_u32_e64 s[26:27], v12, v50
	v_cmp_le_u16_e64 s[28:29], v15, v16
	v_cmp_ge_u32_e64 s[22:23], v5, v51
	s_and_b64 s[26:27], s[28:29], s[26:27]
	s_or_b64 s[22:23], s[22:23], s[26:27]
	v_cndmask_b32_e64 v15, v5, v12, s[22:23]
	v_cndmask_b32_e64 v16, v51, v50, s[22:23]
	v_add_u32_e32 v17, 1, v15
	v_add_u32_e32 v16, -1, v16
	v_min_u32_e32 v16, v17, v16
	v_add_u32_e32 v16, v31, v16
	ds_read_u8 v16, v16
	v_cndmask_b32_e64 v12, v12, v17, s[22:23]
	v_cmp_lt_u32_e64 s[28:29], v12, v50
	v_lshl_add_u32 v15, v15, 3, v30
	s_waitcnt lgkmcnt(0)
	v_cndmask_b32_e64 v28, v16, v13, s[22:23]
	v_cndmask_b32_e64 v29, v14, v16, s[22:23]
	;; [unrolled: 1-line block ×3, first 2 shown]
	v_and_b32_e32 v5, v28, v48
	v_and_b32_e32 v17, v29, v48
	v_cmp_le_u16_e64 s[30:31], v5, v17
	v_cmp_ge_u32_e64 s[26:27], v16, v51
	s_and_b64 s[28:29], s[30:31], s[28:29]
	s_or_b64 s[26:27], s[26:27], s[28:29]
	v_cndmask_b32_e64 v17, v16, v12, s[26:27]
	v_cndmask_b32_e64 v5, v51, v50, s[26:27]
	v_add_u32_e32 v18, 1, v17
	v_add_u32_e32 v5, -1, v5
	v_min_u32_e32 v5, v18, v5
	v_add_u32_e32 v5, v31, v5
	ds_read_u8 v19, v5
	v_cndmask_b32_e64 v16, v18, v16, s[26:27]
	v_cndmask_b32_e64 v12, v12, v18, s[26:27]
	v_cmp_lt_u32_e64 s[30:31], v12, v50
	v_cmp_ge_u32_e64 s[28:29], v16, v51
	s_waitcnt lgkmcnt(0)
	v_cndmask_b32_e64 v32, v19, v28, s[26:27]
	v_cndmask_b32_e64 v39, v29, v19, s[26:27]
	v_and_b32_e32 v18, v32, v48
	v_and_b32_e32 v19, v39, v48
	v_cmp_le_u16_e64 s[34:35], v18, v19
	s_and_b64 s[30:31], s[34:35], s[30:31]
	s_or_b64 s[28:29], s[28:29], s[30:31]
	v_cndmask_b32_e64 v20, v16, v12, s[28:29]
	v_cndmask_b32_e64 v18, v51, v50, s[28:29]
	v_add_u32_e32 v21, 1, v20
	v_add_u32_e32 v18, -1, v18
	v_min_u32_e32 v18, v21, v18
	v_add_u32_e32 v18, v31, v18
	ds_read_u8 v22, v18
	ds_read_b64 v[4:5], v4 offset:2048
	ds_read_b64 v[18:19], v15 offset:2048
	v_lshl_add_u32 v15, v17, 3, v30
	ds_read_b64 v[26:27], v15 offset:2048
	s_waitcnt lgkmcnt(3)
	v_cndmask_b32_e64 v15, v22, v32, s[28:29]
	v_cndmask_b32_e64 v49, v39, v22, s[28:29]
	v_cndmask_b32_e64 v16, v21, v16, s[28:29]
	v_cndmask_b32_e64 v12, v12, v21, s[28:29]
	v_and_b32_e32 v17, v15, v48
	v_and_b32_e32 v21, v49, v48
	v_cmp_lt_u32_e64 s[34:35], v12, v50
	v_cmp_le_u16_e64 s[36:37], v17, v21
	v_cmp_ge_u32_e64 s[30:31], v16, v51
	s_and_b64 s[34:35], s[36:37], s[34:35]
	s_or_b64 s[30:31], s[30:31], s[34:35]
	v_cndmask_b32_e64 v17, v16, v12, s[30:31]
	v_cndmask_b32_e64 v21, v51, v50, s[30:31]
	v_add_u32_e32 v37, 1, v17
	v_add_u32_e32 v21, -1, v21
	v_min_u32_e32 v21, v37, v21
	v_add_u32_e32 v21, v31, v21
	ds_read_u8 v38, v21
	v_lshl_add_u32 v20, v20, 3, v30
	ds_read_b64 v[22:23], v20 offset:2048
	v_lshl_add_u32 v17, v17, 3, v30
	ds_read_b64 v[20:21], v17 offset:2048
	s_waitcnt lgkmcnt(2)
	v_cndmask_b32_e64 v52, v38, v15, s[30:31]
	v_cndmask_b32_e64 v53, v49, v38, s[30:31]
	;; [unrolled: 1-line block ×4, first 2 shown]
	v_and_b32_e32 v16, v52, v48
	v_and_b32_e32 v17, v53, v48
	v_cmp_lt_u32_e64 s[36:37], v12, v50
	v_cmp_le_u16_e64 s[38:39], v16, v17
	v_cmp_ge_u32_e64 s[34:35], v54, v51
	s_and_b64 s[36:37], s[38:39], s[36:37]
	s_or_b64 s[34:35], s[34:35], s[36:37]
	v_cndmask_b32_e64 v16, v54, v12, s[34:35]
	v_cndmask_b32_e64 v17, v51, v50, s[34:35]
	v_lshl_add_u32 v37, v16, 3, v30
	v_add_u32_e32 v55, 1, v16
	v_add_u32_e32 v16, -1, v17
	v_min_u32_e32 v16, v55, v16
	v_add_u32_e32 v16, v31, v16
	ds_read_u8 v64, v16
	ds_read_b64 v[16:17], v37 offset:2048
	v_cndmask_b32_e64 v37, v13, v14, s[22:23]
	v_cndmask_b32_e64 v12, v12, v55, s[34:35]
	;; [unrolled: 1-line block ×3, first 2 shown]
	s_waitcnt lgkmcnt(1)
	v_cndmask_b32_e64 v13, v64, v52, s[34:35]
	v_cndmask_b32_e64 v14, v53, v64, s[34:35]
	v_and_b32_e32 v10, v13, v48
	v_and_b32_e32 v11, v14, v48
	v_cndmask_b32_e64 v54, v55, v54, s[34:35]
	v_cmp_lt_u32_e64 s[22:23], v12, v50
	v_cmp_le_u16_e64 s[26:27], v10, v11
	v_cmp_ge_u32_e64 s[20:21], v54, v51
	s_and_b64 s[22:23], s[26:27], s[22:23]
	s_or_b64 s[20:21], s[20:21], s[22:23]
	v_cndmask_b32_e64 v10, v54, v12, s[20:21]
	v_cndmask_b32_e64 v11, v51, v50, s[20:21]
	v_lshl_add_u32 v28, v10, 3, v30
	v_add_u32_e32 v55, 1, v10
	v_add_u32_e32 v10, -1, v11
	v_min_u32_e32 v10, v55, v10
	v_add_u32_e32 v10, v31, v10
	ds_read_b64 v[28:29], v28 offset:2048
	ds_read_u8 v64, v10
	v_cndmask_b32_e64 v10, v32, v39, s[28:29]
	v_cndmask_b32_e64 v32, v13, v14, s[20:21]
	;; [unrolled: 1-line block ×4, first 2 shown]
	s_waitcnt lgkmcnt(0)
	v_cndmask_b32_e64 v13, v64, v13, s[20:21]
	v_cndmask_b32_e64 v14, v14, v64, s[20:21]
	v_cmp_lt_u32_e64 s[22:23], v12, v50
	v_and_b32_e32 v49, v13, v48
	v_and_b32_e32 v50, v14, v48
	v_cndmask_b32_e64 v15, v55, v54, s[20:21]
	v_cmp_le_u16_e64 s[26:27], v49, v50
	v_cmp_ge_u32_e64 s[20:21], v15, v51
	s_and_b64 s[22:23], s[26:27], s[22:23]
	s_or_b64 s[20:21], s[20:21], s[22:23]
	v_cndmask_b32_e64 v11, v52, v53, s[34:35]
	v_cndmask_b32_e64 v49, v13, v14, s[20:21]
	;; [unrolled: 1-line block ×3, first 2 shown]
	v_lshlrev_b16_e32 v13, 8, v49
	v_lshlrev_b16_e32 v14, 8, v11
	v_or_b32_sdwa v13, v32, v13 dst_sel:WORD_1 dst_unused:UNUSED_PAD src0_sel:BYTE_0 src1_sel:DWORD
	v_or_b32_sdwa v14, v39, v14 dst_sel:DWORD dst_unused:UNUSED_PAD src0_sel:BYTE_0 src1_sel:DWORD
	v_lshl_add_u32 v12, v12, 3, v30
	v_or_b32_sdwa v13, v14, v13 dst_sel:DWORD dst_unused:UNUSED_PAD src0_sel:WORD_0 src1_sel:DWORD
	ds_read_b64 v[14:15], v12 offset:2048
	v_lshlrev_b16_e32 v50, 8, v10
	v_or_b32_sdwa v12, v38, v50 dst_sel:WORD_1 dst_unused:UNUSED_PAD src0_sel:BYTE_0 src1_sel:DWORD
	v_lshlrev_b16_e32 v50, 8, v37
	v_or_b32_sdwa v50, v65, v50 dst_sel:DWORD dst_unused:UNUSED_PAD src0_sel:BYTE_0 src1_sel:DWORD
	v_or_b32_sdwa v12, v50, v12 dst_sel:DWORD dst_unused:UNUSED_PAD src0_sel:WORD_0 src1_sel:DWORD
.LBB1542_90:
	s_or_b64 exec, exec, s[42:43]
	v_add_u32_e32 v50, 0x800, v36
	; wave barrier
	ds_write2_b64 v50, v[4:5], v[18:19] offset1:1
	ds_write2_b64 v34, v[26:27], v[22:23] offset0:2 offset1:3
	ds_write2_b64 v34, v[20:21], v[16:17] offset0:4 offset1:5
	v_lshlrev_b16_e32 v50, 8, v11
	v_lshlrev_b16_e32 v51, 8, v49
	v_or_b32_sdwa v50, v39, v50 dst_sel:DWORD dst_unused:UNUSED_PAD src0_sel:BYTE_0 src1_sel:DWORD
	v_or_b32_sdwa v51, v32, v51 dst_sel:WORD_1 dst_unused:UNUSED_PAD src0_sel:BYTE_0 src1_sel:DWORD
	v_or_b32_sdwa v51, v50, v51 dst_sel:DWORD dst_unused:UNUSED_PAD src0_sel:WORD_0 src1_sel:DWORD
	v_lshlrev_b16_e32 v50, 8, v37
	v_lshlrev_b16_e32 v52, 8, v10
	v_or_b32_sdwa v50, v12, v50 dst_sel:DWORD dst_unused:UNUSED_PAD src0_sel:BYTE_0 src1_sel:DWORD
	v_or_b32_sdwa v52, v38, v52 dst_sel:WORD_1 dst_unused:UNUSED_PAD src0_sel:BYTE_0 src1_sel:DWORD
	v_or_b32_sdwa v50, v50, v52 dst_sel:DWORD dst_unused:UNUSED_PAD src0_sel:WORD_0 src1_sel:DWORD
	ds_write_b64 v35, v[50:51]
	s_waitcnt lgkmcnt(4)
	ds_write2_b64 v34, v[28:29], v[14:15] offset0:6 offset1:7
	v_and_b32_e32 v50, 0x3e0, v1
	v_or_b32_e32 v51, 16, v50
	v_min_u32_e32 v51, v33, v51
	v_add_u32_e32 v52, 16, v51
	v_min_u32_e32 v52, v33, v52
	v_and_b32_e32 v53, 24, v1
	v_min_u32_e32 v54, v33, v53
	v_sub_u32_e32 v53, v51, v50
	v_sub_u32_e32 v55, v52, v51
	v_sub_u32_e64 v55, v54, v55 clamp
	v_min_u32_e32 v53, v54, v53
	v_cmp_lt_u32_e64 s[20:21], v55, v53
	; wave barrier
	s_and_saveexec_b64 s[22:23], s[20:21]
	s_cbranch_execz .LBB1542_94
; %bb.91:
	v_add_u32_e32 v64, v31, v50
	v_add3_u32 v65, v31, v51, v54
	s_mov_b64 s[26:27], 0
.LBB1542_92:                            ; =>This Inner Loop Header: Depth=1
	v_add_u32_e32 v66, v53, v55
	v_lshrrev_b32_e32 v66, 1, v66
	v_add_u32_e32 v67, v64, v66
	v_xad_u32 v68, v66, -1, v65
	ds_read_u8 v68, v68
	ds_read_u8 v67, v67
	v_add_u32_e32 v69, 1, v66
	s_waitcnt lgkmcnt(1)
	v_and_b32_e32 v68, v68, v48
	s_waitcnt lgkmcnt(0)
	v_and_b32_e32 v67, v67, v48
	v_cmp_gt_u16_e64 s[20:21], v68, v67
	v_cndmask_b32_e64 v53, v53, v66, s[20:21]
	v_cndmask_b32_e64 v55, v69, v55, s[20:21]
	v_cmp_ge_u32_e64 s[20:21], v55, v53
	s_or_b64 s[26:27], s[20:21], s[26:27]
	s_andn2_b64 exec, exec, s[26:27]
	s_cbranch_execnz .LBB1542_92
; %bb.93:
	s_or_b64 exec, exec, s[26:27]
.LBB1542_94:
	s_or_b64 exec, exec, s[22:23]
	v_add_u32_e32 v53, v55, v50
	v_add_u32_e32 v50, v51, v54
	v_sub_u32_e32 v54, v50, v55
	v_cmp_le_u32_e64 s[20:21], v53, v51
	v_cmp_le_u32_e64 s[22:23], v54, v52
	s_or_b64 s[20:21], s[20:21], s[22:23]
	v_mov_b32_e32 v50, v12
	s_and_saveexec_b64 s[42:43], s[20:21]
	s_cbranch_execz .LBB1542_100
; %bb.95:
	v_cmp_lt_u32_e64 s[20:21], v53, v51
                                        ; implicit-def: $vgpr10
	s_and_saveexec_b64 s[22:23], s[20:21]
	s_cbranch_execz .LBB1542_97
; %bb.96:
	v_add_u32_e32 v4, v31, v53
	ds_read_u8 v10, v4
.LBB1542_97:
	s_or_b64 exec, exec, s[22:23]
	v_cmp_ge_u32_e64 s[22:23], v54, v52
	v_cmp_lt_u32_e64 s[26:27], v54, v52
                                        ; implicit-def: $vgpr11
	s_and_saveexec_b64 s[28:29], s[26:27]
	s_cbranch_execz .LBB1542_99
; %bb.98:
	v_add_u32_e32 v4, v31, v54
	ds_read_u8 v11, v4
.LBB1542_99:
	s_or_b64 exec, exec, s[28:29]
	s_waitcnt lgkmcnt(0)
	v_and_b32_e32 v4, v11, v48
	v_and_b32_e32 v5, v10, v48
	v_cmp_le_u16_e64 s[26:27], v4, v5
	s_and_b64 s[20:21], s[20:21], s[26:27]
	s_or_b64 s[20:21], s[22:23], s[20:21]
	v_cndmask_b32_e64 v4, v54, v53, s[20:21]
	v_cndmask_b32_e64 v5, v52, v51, s[20:21]
	v_add_u32_e32 v12, 1, v4
	v_add_u32_e32 v5, -1, v5
	v_min_u32_e32 v5, v12, v5
	v_add_u32_e32 v5, v31, v5
	ds_read_u8 v5, v5
	v_lshl_add_u32 v4, v4, 3, v30
	v_cndmask_b32_e64 v50, v11, v10, s[20:21]
	s_waitcnt lgkmcnt(0)
	v_cndmask_b32_e64 v13, v5, v11, s[20:21]
	v_cndmask_b32_e64 v14, v10, v5, s[20:21]
	;; [unrolled: 1-line block ×4, first 2 shown]
	v_and_b32_e32 v15, v13, v48
	v_and_b32_e32 v16, v14, v48
	v_cmp_lt_u32_e64 s[26:27], v12, v51
	v_cmp_le_u16_e64 s[28:29], v15, v16
	v_cmp_ge_u32_e64 s[22:23], v5, v52
	s_and_b64 s[26:27], s[28:29], s[26:27]
	s_or_b64 s[22:23], s[22:23], s[26:27]
	v_cndmask_b32_e64 v15, v5, v12, s[22:23]
	v_cndmask_b32_e64 v16, v52, v51, s[22:23]
	v_add_u32_e32 v17, 1, v15
	v_add_u32_e32 v16, -1, v16
	v_min_u32_e32 v16, v17, v16
	v_add_u32_e32 v16, v31, v16
	ds_read_u8 v16, v16
	v_cndmask_b32_e64 v12, v12, v17, s[22:23]
	v_cmp_lt_u32_e64 s[28:29], v12, v51
	v_lshl_add_u32 v15, v15, 3, v30
	s_waitcnt lgkmcnt(0)
	v_cndmask_b32_e64 v28, v16, v13, s[22:23]
	v_cndmask_b32_e64 v29, v14, v16, s[22:23]
	;; [unrolled: 1-line block ×3, first 2 shown]
	v_and_b32_e32 v5, v28, v48
	v_and_b32_e32 v17, v29, v48
	v_cmp_le_u16_e64 s[30:31], v5, v17
	v_cmp_ge_u32_e64 s[26:27], v16, v52
	s_and_b64 s[28:29], s[30:31], s[28:29]
	s_or_b64 s[26:27], s[26:27], s[28:29]
	v_cndmask_b32_e64 v17, v16, v12, s[26:27]
	v_cndmask_b32_e64 v5, v52, v51, s[26:27]
	v_add_u32_e32 v18, 1, v17
	v_add_u32_e32 v5, -1, v5
	v_min_u32_e32 v5, v18, v5
	v_add_u32_e32 v5, v31, v5
	ds_read_u8 v19, v5
	v_cndmask_b32_e64 v16, v18, v16, s[26:27]
	v_cndmask_b32_e64 v12, v12, v18, s[26:27]
	v_cmp_lt_u32_e64 s[30:31], v12, v51
	v_cmp_ge_u32_e64 s[28:29], v16, v52
	s_waitcnt lgkmcnt(0)
	v_cndmask_b32_e64 v32, v19, v28, s[26:27]
	v_cndmask_b32_e64 v39, v29, v19, s[26:27]
	v_and_b32_e32 v18, v32, v48
	v_and_b32_e32 v19, v39, v48
	v_cmp_le_u16_e64 s[34:35], v18, v19
	s_and_b64 s[30:31], s[34:35], s[30:31]
	s_or_b64 s[28:29], s[28:29], s[30:31]
	v_cndmask_b32_e64 v20, v16, v12, s[28:29]
	v_cndmask_b32_e64 v18, v52, v51, s[28:29]
	v_add_u32_e32 v21, 1, v20
	v_add_u32_e32 v18, -1, v18
	v_min_u32_e32 v18, v21, v18
	v_add_u32_e32 v18, v31, v18
	ds_read_u8 v22, v18
	ds_read_b64 v[4:5], v4 offset:2048
	ds_read_b64 v[18:19], v15 offset:2048
	v_lshl_add_u32 v15, v17, 3, v30
	ds_read_b64 v[26:27], v15 offset:2048
	s_waitcnt lgkmcnt(3)
	v_cndmask_b32_e64 v15, v22, v32, s[28:29]
	v_cndmask_b32_e64 v49, v39, v22, s[28:29]
	;; [unrolled: 1-line block ×4, first 2 shown]
	v_and_b32_e32 v17, v15, v48
	v_and_b32_e32 v21, v49, v48
	v_cmp_lt_u32_e64 s[34:35], v12, v51
	v_cmp_le_u16_e64 s[36:37], v17, v21
	v_cmp_ge_u32_e64 s[30:31], v16, v52
	s_and_b64 s[34:35], s[36:37], s[34:35]
	s_or_b64 s[30:31], s[30:31], s[34:35]
	v_cndmask_b32_e64 v17, v16, v12, s[30:31]
	v_cndmask_b32_e64 v21, v52, v51, s[30:31]
	v_add_u32_e32 v37, 1, v17
	v_add_u32_e32 v21, -1, v21
	v_min_u32_e32 v21, v37, v21
	v_add_u32_e32 v21, v31, v21
	ds_read_u8 v38, v21
	v_lshl_add_u32 v20, v20, 3, v30
	ds_read_b64 v[22:23], v20 offset:2048
	v_lshl_add_u32 v17, v17, 3, v30
	ds_read_b64 v[20:21], v17 offset:2048
	s_waitcnt lgkmcnt(2)
	v_cndmask_b32_e64 v53, v38, v15, s[30:31]
	v_cndmask_b32_e64 v54, v49, v38, s[30:31]
	;; [unrolled: 1-line block ×4, first 2 shown]
	v_and_b32_e32 v16, v53, v48
	v_and_b32_e32 v17, v54, v48
	v_cmp_lt_u32_e64 s[36:37], v12, v51
	v_cmp_le_u16_e64 s[38:39], v16, v17
	v_cmp_ge_u32_e64 s[34:35], v55, v52
	s_and_b64 s[36:37], s[38:39], s[36:37]
	s_or_b64 s[34:35], s[34:35], s[36:37]
	v_cndmask_b32_e64 v16, v55, v12, s[34:35]
	v_cndmask_b32_e64 v17, v52, v51, s[34:35]
	v_lshl_add_u32 v37, v16, 3, v30
	v_add_u32_e32 v64, 1, v16
	v_add_u32_e32 v16, -1, v17
	v_min_u32_e32 v16, v64, v16
	v_add_u32_e32 v16, v31, v16
	ds_read_u8 v65, v16
	ds_read_b64 v[16:17], v37 offset:2048
	v_cndmask_b32_e64 v37, v13, v14, s[22:23]
	v_cndmask_b32_e64 v12, v12, v64, s[34:35]
	;; [unrolled: 1-line block ×3, first 2 shown]
	s_waitcnt lgkmcnt(1)
	v_cndmask_b32_e64 v13, v65, v53, s[34:35]
	v_cndmask_b32_e64 v14, v54, v65, s[34:35]
	v_and_b32_e32 v10, v13, v48
	v_and_b32_e32 v11, v14, v48
	v_cndmask_b32_e64 v55, v64, v55, s[34:35]
	v_cmp_lt_u32_e64 s[22:23], v12, v51
	v_cmp_le_u16_e64 s[26:27], v10, v11
	v_cmp_ge_u32_e64 s[20:21], v55, v52
	s_and_b64 s[22:23], s[26:27], s[22:23]
	s_or_b64 s[20:21], s[20:21], s[22:23]
	v_cndmask_b32_e64 v10, v55, v12, s[20:21]
	v_cndmask_b32_e64 v11, v52, v51, s[20:21]
	v_lshl_add_u32 v28, v10, 3, v30
	v_add_u32_e32 v64, 1, v10
	v_add_u32_e32 v10, -1, v11
	v_min_u32_e32 v10, v64, v10
	v_add_u32_e32 v10, v31, v10
	ds_read_b64 v[28:29], v28 offset:2048
	ds_read_u8 v65, v10
	v_cndmask_b32_e64 v10, v32, v39, s[28:29]
	v_cndmask_b32_e64 v32, v13, v14, s[20:21]
	;; [unrolled: 1-line block ×4, first 2 shown]
	s_waitcnt lgkmcnt(0)
	v_cndmask_b32_e64 v13, v65, v13, s[20:21]
	v_cndmask_b32_e64 v14, v14, v65, s[20:21]
	v_cmp_lt_u32_e64 s[22:23], v12, v51
	v_and_b32_e32 v49, v13, v48
	v_and_b32_e32 v51, v14, v48
	v_cndmask_b32_e64 v15, v64, v55, s[20:21]
	v_cmp_le_u16_e64 s[26:27], v49, v51
	v_cmp_ge_u32_e64 s[20:21], v15, v52
	s_and_b64 s[22:23], s[26:27], s[22:23]
	s_or_b64 s[20:21], s[20:21], s[22:23]
	v_cndmask_b32_e64 v11, v53, v54, s[34:35]
	v_cndmask_b32_e64 v49, v13, v14, s[20:21]
	;; [unrolled: 1-line block ×3, first 2 shown]
	v_lshlrev_b16_e32 v13, 8, v49
	v_lshlrev_b16_e32 v14, 8, v11
	v_or_b32_sdwa v13, v32, v13 dst_sel:WORD_1 dst_unused:UNUSED_PAD src0_sel:BYTE_0 src1_sel:DWORD
	v_or_b32_sdwa v14, v39, v14 dst_sel:DWORD dst_unused:UNUSED_PAD src0_sel:BYTE_0 src1_sel:DWORD
	v_lshl_add_u32 v12, v12, 3, v30
	v_or_b32_sdwa v13, v14, v13 dst_sel:DWORD dst_unused:UNUSED_PAD src0_sel:WORD_0 src1_sel:DWORD
	ds_read_b64 v[14:15], v12 offset:2048
	v_lshlrev_b16_e32 v51, 8, v10
	v_or_b32_sdwa v12, v38, v51 dst_sel:WORD_1 dst_unused:UNUSED_PAD src0_sel:BYTE_0 src1_sel:DWORD
	v_lshlrev_b16_e32 v51, 8, v37
	v_or_b32_sdwa v51, v50, v51 dst_sel:DWORD dst_unused:UNUSED_PAD src0_sel:BYTE_0 src1_sel:DWORD
	v_or_b32_sdwa v12, v51, v12 dst_sel:DWORD dst_unused:UNUSED_PAD src0_sel:WORD_0 src1_sel:DWORD
.LBB1542_100:
	s_or_b64 exec, exec, s[42:43]
	v_add_u32_e32 v51, 0x800, v36
	; wave barrier
	ds_write2_b64 v51, v[4:5], v[18:19] offset1:1
	ds_write2_b64 v34, v[26:27], v[22:23] offset0:2 offset1:3
	ds_write2_b64 v34, v[20:21], v[16:17] offset0:4 offset1:5
	v_lshlrev_b16_e32 v51, 8, v11
	v_lshlrev_b16_e32 v52, 8, v49
	v_or_b32_sdwa v51, v39, v51 dst_sel:DWORD dst_unused:UNUSED_PAD src0_sel:BYTE_0 src1_sel:DWORD
	v_or_b32_sdwa v52, v32, v52 dst_sel:WORD_1 dst_unused:UNUSED_PAD src0_sel:BYTE_0 src1_sel:DWORD
	v_or_b32_sdwa v53, v51, v52 dst_sel:DWORD dst_unused:UNUSED_PAD src0_sel:WORD_0 src1_sel:DWORD
	v_lshlrev_b16_e32 v51, 8, v37
	v_lshlrev_b16_e32 v52, 8, v10
	v_or_b32_sdwa v51, v50, v51 dst_sel:DWORD dst_unused:UNUSED_PAD src0_sel:BYTE_0 src1_sel:DWORD
	v_or_b32_sdwa v52, v38, v52 dst_sel:WORD_1 dst_unused:UNUSED_PAD src0_sel:BYTE_0 src1_sel:DWORD
	v_or_b32_sdwa v52, v51, v52 dst_sel:DWORD dst_unused:UNUSED_PAD src0_sel:WORD_0 src1_sel:DWORD
	ds_write_b64 v35, v[52:53]
	s_waitcnt lgkmcnt(4)
	ds_write2_b64 v34, v[28:29], v[14:15] offset0:6 offset1:7
	v_and_b32_e32 v53, 0x3c0, v1
	v_or_b32_e32 v51, 32, v53
	v_min_u32_e32 v51, v33, v51
	v_add_u32_e32 v52, 32, v51
	v_min_u32_e32 v52, v33, v52
	v_and_b32_e32 v54, 56, v1
	v_min_u32_e32 v54, v33, v54
	v_sub_u32_e32 v64, v51, v53
	v_sub_u32_e32 v55, v52, v51
	v_sub_u32_e64 v55, v54, v55 clamp
	v_min_u32_e32 v64, v54, v64
	v_cmp_lt_u32_e64 s[20:21], v55, v64
	; wave barrier
	s_and_saveexec_b64 s[22:23], s[20:21]
	s_cbranch_execz .LBB1542_104
; %bb.101:
	v_add_u32_e32 v65, v31, v53
	v_add3_u32 v66, v31, v51, v54
	s_mov_b64 s[26:27], 0
.LBB1542_102:                           ; =>This Inner Loop Header: Depth=1
	v_add_u32_e32 v67, v64, v55
	v_lshrrev_b32_e32 v67, 1, v67
	v_add_u32_e32 v68, v65, v67
	v_xad_u32 v69, v67, -1, v66
	ds_read_u8 v69, v69
	ds_read_u8 v68, v68
	v_add_u32_e32 v70, 1, v67
	s_waitcnt lgkmcnt(1)
	v_and_b32_e32 v69, v69, v48
	s_waitcnt lgkmcnt(0)
	v_and_b32_e32 v68, v68, v48
	v_cmp_gt_u16_e64 s[20:21], v69, v68
	v_cndmask_b32_e64 v64, v64, v67, s[20:21]
	v_cndmask_b32_e64 v55, v70, v55, s[20:21]
	v_cmp_ge_u32_e64 s[20:21], v55, v64
	s_or_b64 s[26:27], s[20:21], s[26:27]
	s_andn2_b64 exec, exec, s[26:27]
	s_cbranch_execnz .LBB1542_102
; %bb.103:
	s_or_b64 exec, exec, s[26:27]
.LBB1542_104:
	s_or_b64 exec, exec, s[22:23]
	v_add_u32_e32 v54, v51, v54
	v_add_u32_e32 v53, v55, v53
	v_sub_u32_e32 v54, v54, v55
	v_cmp_le_u32_e64 s[20:21], v53, v51
	v_cmp_le_u32_e64 s[22:23], v54, v52
	s_or_b64 s[20:21], s[20:21], s[22:23]
	s_and_saveexec_b64 s[42:43], s[20:21]
	s_cbranch_execz .LBB1542_110
; %bb.105:
	v_cmp_lt_u32_e64 s[20:21], v53, v51
                                        ; implicit-def: $vgpr10
	s_and_saveexec_b64 s[22:23], s[20:21]
	s_cbranch_execz .LBB1542_107
; %bb.106:
	v_add_u32_e32 v4, v31, v53
	ds_read_u8 v10, v4
.LBB1542_107:
	s_or_b64 exec, exec, s[22:23]
	v_cmp_ge_u32_e64 s[22:23], v54, v52
	v_cmp_lt_u32_e64 s[26:27], v54, v52
                                        ; implicit-def: $vgpr11
	s_and_saveexec_b64 s[28:29], s[26:27]
	s_cbranch_execz .LBB1542_109
; %bb.108:
	v_add_u32_e32 v4, v31, v54
	ds_read_u8 v11, v4
.LBB1542_109:
	s_or_b64 exec, exec, s[28:29]
	s_waitcnt lgkmcnt(0)
	v_and_b32_e32 v4, v11, v48
	v_and_b32_e32 v5, v10, v48
	v_cmp_le_u16_e64 s[26:27], v4, v5
	s_and_b64 s[20:21], s[20:21], s[26:27]
	s_or_b64 s[20:21], s[22:23], s[20:21]
	v_cndmask_b32_e64 v4, v54, v53, s[20:21]
	v_cndmask_b32_e64 v5, v52, v51, s[20:21]
	v_add_u32_e32 v12, 1, v4
	v_add_u32_e32 v5, -1, v5
	v_min_u32_e32 v5, v12, v5
	v_add_u32_e32 v5, v31, v5
	ds_read_u8 v5, v5
	v_lshl_add_u32 v4, v4, 3, v30
	v_cndmask_b32_e64 v50, v11, v10, s[20:21]
	s_waitcnt lgkmcnt(0)
	v_cndmask_b32_e64 v13, v5, v11, s[20:21]
	v_cndmask_b32_e64 v14, v10, v5, s[20:21]
	;; [unrolled: 1-line block ×4, first 2 shown]
	v_and_b32_e32 v15, v13, v48
	v_and_b32_e32 v16, v14, v48
	v_cmp_lt_u32_e64 s[26:27], v12, v51
	v_cmp_le_u16_e64 s[28:29], v15, v16
	v_cmp_ge_u32_e64 s[22:23], v5, v52
	s_and_b64 s[26:27], s[28:29], s[26:27]
	s_or_b64 s[22:23], s[22:23], s[26:27]
	v_cndmask_b32_e64 v15, v5, v12, s[22:23]
	v_cndmask_b32_e64 v16, v52, v51, s[22:23]
	v_add_u32_e32 v17, 1, v15
	v_add_u32_e32 v16, -1, v16
	v_min_u32_e32 v16, v17, v16
	v_add_u32_e32 v16, v31, v16
	ds_read_u8 v16, v16
	v_cndmask_b32_e64 v12, v12, v17, s[22:23]
	v_cmp_lt_u32_e64 s[28:29], v12, v51
	v_lshl_add_u32 v15, v15, 3, v30
	s_waitcnt lgkmcnt(0)
	v_cndmask_b32_e64 v28, v16, v13, s[22:23]
	v_cndmask_b32_e64 v29, v14, v16, s[22:23]
	;; [unrolled: 1-line block ×3, first 2 shown]
	v_and_b32_e32 v5, v28, v48
	v_and_b32_e32 v17, v29, v48
	v_cmp_le_u16_e64 s[30:31], v5, v17
	v_cmp_ge_u32_e64 s[26:27], v16, v52
	s_and_b64 s[28:29], s[30:31], s[28:29]
	s_or_b64 s[26:27], s[26:27], s[28:29]
	v_cndmask_b32_e64 v17, v16, v12, s[26:27]
	v_cndmask_b32_e64 v5, v52, v51, s[26:27]
	v_add_u32_e32 v18, 1, v17
	v_add_u32_e32 v5, -1, v5
	v_min_u32_e32 v5, v18, v5
	v_add_u32_e32 v5, v31, v5
	ds_read_u8 v19, v5
	v_cndmask_b32_e64 v16, v18, v16, s[26:27]
	v_cndmask_b32_e64 v12, v12, v18, s[26:27]
	v_cmp_lt_u32_e64 s[30:31], v12, v51
	v_cmp_ge_u32_e64 s[28:29], v16, v52
	s_waitcnt lgkmcnt(0)
	v_cndmask_b32_e64 v32, v19, v28, s[26:27]
	v_cndmask_b32_e64 v39, v29, v19, s[26:27]
	v_and_b32_e32 v18, v32, v48
	v_and_b32_e32 v19, v39, v48
	v_cmp_le_u16_e64 s[34:35], v18, v19
	s_and_b64 s[30:31], s[34:35], s[30:31]
	s_or_b64 s[28:29], s[28:29], s[30:31]
	v_cndmask_b32_e64 v20, v16, v12, s[28:29]
	v_cndmask_b32_e64 v18, v52, v51, s[28:29]
	v_add_u32_e32 v21, 1, v20
	v_add_u32_e32 v18, -1, v18
	v_min_u32_e32 v18, v21, v18
	v_add_u32_e32 v18, v31, v18
	ds_read_u8 v22, v18
	ds_read_b64 v[4:5], v4 offset:2048
	ds_read_b64 v[18:19], v15 offset:2048
	v_lshl_add_u32 v15, v17, 3, v30
	ds_read_b64 v[26:27], v15 offset:2048
	s_waitcnt lgkmcnt(3)
	v_cndmask_b32_e64 v15, v22, v32, s[28:29]
	v_cndmask_b32_e64 v49, v39, v22, s[28:29]
	;; [unrolled: 1-line block ×4, first 2 shown]
	v_and_b32_e32 v17, v15, v48
	v_and_b32_e32 v21, v49, v48
	v_cmp_lt_u32_e64 s[34:35], v12, v51
	v_cmp_le_u16_e64 s[36:37], v17, v21
	v_cmp_ge_u32_e64 s[30:31], v16, v52
	s_and_b64 s[34:35], s[36:37], s[34:35]
	s_or_b64 s[30:31], s[30:31], s[34:35]
	v_cndmask_b32_e64 v17, v16, v12, s[30:31]
	v_cndmask_b32_e64 v21, v52, v51, s[30:31]
	v_add_u32_e32 v37, 1, v17
	v_add_u32_e32 v21, -1, v21
	v_min_u32_e32 v21, v37, v21
	v_add_u32_e32 v21, v31, v21
	ds_read_u8 v38, v21
	v_lshl_add_u32 v20, v20, 3, v30
	ds_read_b64 v[22:23], v20 offset:2048
	v_lshl_add_u32 v17, v17, 3, v30
	ds_read_b64 v[20:21], v17 offset:2048
	s_waitcnt lgkmcnt(2)
	v_cndmask_b32_e64 v53, v38, v15, s[30:31]
	v_cndmask_b32_e64 v54, v49, v38, s[30:31]
	;; [unrolled: 1-line block ×4, first 2 shown]
	v_and_b32_e32 v16, v53, v48
	v_and_b32_e32 v17, v54, v48
	v_cmp_lt_u32_e64 s[36:37], v12, v51
	v_cmp_le_u16_e64 s[38:39], v16, v17
	v_cmp_ge_u32_e64 s[34:35], v55, v52
	s_and_b64 s[36:37], s[38:39], s[36:37]
	s_or_b64 s[34:35], s[34:35], s[36:37]
	v_cndmask_b32_e64 v16, v55, v12, s[34:35]
	v_cndmask_b32_e64 v17, v52, v51, s[34:35]
	v_lshl_add_u32 v37, v16, 3, v30
	v_add_u32_e32 v64, 1, v16
	v_add_u32_e32 v16, -1, v17
	v_min_u32_e32 v16, v64, v16
	v_add_u32_e32 v16, v31, v16
	ds_read_u8 v65, v16
	ds_read_b64 v[16:17], v37 offset:2048
	v_cndmask_b32_e64 v37, v13, v14, s[22:23]
	v_cndmask_b32_e64 v12, v12, v64, s[34:35]
	v_cndmask_b32_e64 v38, v28, v29, s[26:27]
	s_waitcnt lgkmcnt(1)
	v_cndmask_b32_e64 v13, v65, v53, s[34:35]
	v_cndmask_b32_e64 v14, v54, v65, s[34:35]
	v_and_b32_e32 v10, v13, v48
	v_and_b32_e32 v11, v14, v48
	v_cndmask_b32_e64 v55, v64, v55, s[34:35]
	v_cmp_lt_u32_e64 s[22:23], v12, v51
	v_cmp_le_u16_e64 s[26:27], v10, v11
	v_cmp_ge_u32_e64 s[20:21], v55, v52
	s_and_b64 s[22:23], s[26:27], s[22:23]
	s_or_b64 s[20:21], s[20:21], s[22:23]
	v_cndmask_b32_e64 v10, v55, v12, s[20:21]
	v_cndmask_b32_e64 v11, v52, v51, s[20:21]
	v_lshl_add_u32 v28, v10, 3, v30
	v_add_u32_e32 v64, 1, v10
	v_add_u32_e32 v10, -1, v11
	v_min_u32_e32 v10, v64, v10
	v_add_u32_e32 v10, v31, v10
	ds_read_b64 v[28:29], v28 offset:2048
	ds_read_u8 v65, v10
	v_cndmask_b32_e64 v10, v32, v39, s[28:29]
	v_cndmask_b32_e64 v32, v13, v14, s[20:21]
	;; [unrolled: 1-line block ×4, first 2 shown]
	s_waitcnt lgkmcnt(0)
	v_cndmask_b32_e64 v13, v65, v13, s[20:21]
	v_cndmask_b32_e64 v14, v14, v65, s[20:21]
	v_cmp_lt_u32_e64 s[22:23], v12, v51
	v_and_b32_e32 v49, v13, v48
	v_and_b32_e32 v51, v14, v48
	v_cndmask_b32_e64 v15, v64, v55, s[20:21]
	v_cmp_le_u16_e64 s[26:27], v49, v51
	v_cmp_ge_u32_e64 s[20:21], v15, v52
	s_and_b64 s[22:23], s[26:27], s[22:23]
	s_or_b64 s[20:21], s[20:21], s[22:23]
	v_cndmask_b32_e64 v11, v53, v54, s[34:35]
	v_cndmask_b32_e64 v49, v13, v14, s[20:21]
	v_cndmask_b32_e64 v12, v15, v12, s[20:21]
	v_lshlrev_b16_e32 v13, 8, v49
	v_lshlrev_b16_e32 v14, 8, v11
	v_or_b32_sdwa v13, v32, v13 dst_sel:WORD_1 dst_unused:UNUSED_PAD src0_sel:BYTE_0 src1_sel:DWORD
	v_or_b32_sdwa v14, v39, v14 dst_sel:DWORD dst_unused:UNUSED_PAD src0_sel:BYTE_0 src1_sel:DWORD
	v_lshl_add_u32 v12, v12, 3, v30
	v_or_b32_sdwa v13, v14, v13 dst_sel:DWORD dst_unused:UNUSED_PAD src0_sel:WORD_0 src1_sel:DWORD
	ds_read_b64 v[14:15], v12 offset:2048
	v_lshlrev_b16_e32 v51, 8, v10
	v_or_b32_sdwa v12, v38, v51 dst_sel:WORD_1 dst_unused:UNUSED_PAD src0_sel:BYTE_0 src1_sel:DWORD
	v_lshlrev_b16_e32 v51, 8, v37
	v_or_b32_sdwa v51, v50, v51 dst_sel:DWORD dst_unused:UNUSED_PAD src0_sel:BYTE_0 src1_sel:DWORD
	v_or_b32_sdwa v12, v51, v12 dst_sel:DWORD dst_unused:UNUSED_PAD src0_sel:WORD_0 src1_sel:DWORD
.LBB1542_110:
	s_or_b64 exec, exec, s[42:43]
	v_add_u32_e32 v36, 0x800, v36
	; wave barrier
	ds_write2_b64 v36, v[4:5], v[18:19] offset1:1
	ds_write2_b64 v34, v[26:27], v[22:23] offset0:2 offset1:3
	ds_write2_b64 v34, v[20:21], v[16:17] offset0:4 offset1:5
	v_lshlrev_b16_e32 v11, 8, v11
	v_lshlrev_b16_e32 v36, 8, v49
	v_or_b32_sdwa v11, v39, v11 dst_sel:DWORD dst_unused:UNUSED_PAD src0_sel:BYTE_0 src1_sel:DWORD
	v_or_b32_sdwa v32, v32, v36 dst_sel:WORD_1 dst_unused:UNUSED_PAD src0_sel:BYTE_0 src1_sel:DWORD
	v_or_b32_sdwa v11, v11, v32 dst_sel:DWORD dst_unused:UNUSED_PAD src0_sel:WORD_0 src1_sel:DWORD
	v_lshlrev_b16_e32 v32, 8, v37
	v_lshlrev_b16_e32 v10, 8, v10
	v_or_b32_sdwa v32, v50, v32 dst_sel:DWORD dst_unused:UNUSED_PAD src0_sel:BYTE_0 src1_sel:DWORD
	v_or_b32_sdwa v10, v38, v10 dst_sel:WORD_1 dst_unused:UNUSED_PAD src0_sel:BYTE_0 src1_sel:DWORD
	v_or_b32_sdwa v10, v32, v10 dst_sel:DWORD dst_unused:UNUSED_PAD src0_sel:WORD_0 src1_sel:DWORD
	ds_write_b64 v35, v[10:11]
	s_waitcnt lgkmcnt(4)
	ds_write2_b64 v34, v[28:29], v[14:15] offset0:6 offset1:7
	v_and_b32_e32 v11, 0x380, v1
	v_or_b32_e32 v1, 64, v11
	v_min_u32_e32 v1, v33, v1
	v_add_u32_e32 v10, 64, v1
	v_min_u32_e32 v10, v33, v10
	v_min_u32_e32 v33, v33, v0
	v_sub_u32_e32 v32, v1, v11
	v_sub_u32_e32 v34, v10, v1
	v_sub_u32_e64 v34, v33, v34 clamp
	v_min_u32_e32 v32, v33, v32
	v_cmp_lt_u32_e64 s[20:21], v34, v32
	; wave barrier
	s_and_saveexec_b64 s[22:23], s[20:21]
	s_cbranch_execz .LBB1542_114
; %bb.111:
	v_add_u32_e32 v35, v31, v11
	v_add3_u32 v36, v31, v1, v33
	s_mov_b64 s[26:27], 0
.LBB1542_112:                           ; =>This Inner Loop Header: Depth=1
	v_add_u32_e32 v37, v32, v34
	v_lshrrev_b32_e32 v37, 1, v37
	v_add_u32_e32 v38, v35, v37
	v_xad_u32 v39, v37, -1, v36
	ds_read_u8 v39, v39
	ds_read_u8 v38, v38
	v_add_u32_e32 v49, 1, v37
	s_waitcnt lgkmcnt(1)
	v_and_b32_e32 v39, v39, v48
	s_waitcnt lgkmcnt(0)
	v_and_b32_e32 v38, v38, v48
	v_cmp_gt_u16_e64 s[20:21], v39, v38
	v_cndmask_b32_e64 v32, v32, v37, s[20:21]
	v_cndmask_b32_e64 v34, v49, v34, s[20:21]
	v_cmp_ge_u32_e64 s[20:21], v34, v32
	s_or_b64 s[26:27], s[20:21], s[26:27]
	s_andn2_b64 exec, exec, s[26:27]
	s_cbranch_execnz .LBB1542_112
; %bb.113:
	s_or_b64 exec, exec, s[26:27]
.LBB1542_114:
	s_or_b64 exec, exec, s[22:23]
	v_add_u32_e32 v32, v34, v11
	v_add_u32_e32 v11, v1, v33
	v_sub_u32_e32 v33, v11, v34
	v_cmp_le_u32_e64 s[20:21], v32, v1
	v_cmp_le_u32_e64 s[22:23], v33, v10
	s_or_b64 s[20:21], s[20:21], s[22:23]
	s_and_saveexec_b64 s[42:43], s[20:21]
	s_cbranch_execz .LBB1542_120
; %bb.115:
	v_cmp_lt_u32_e64 s[20:21], v32, v1
                                        ; implicit-def: $vgpr11
	s_and_saveexec_b64 s[22:23], s[20:21]
	s_cbranch_execz .LBB1542_117
; %bb.116:
	v_add_u32_e32 v4, v31, v32
	ds_read_u8 v11, v4
.LBB1542_117:
	s_or_b64 exec, exec, s[22:23]
	v_cmp_ge_u32_e64 s[22:23], v33, v10
	v_cmp_lt_u32_e64 s[26:27], v33, v10
                                        ; implicit-def: $vgpr12
	s_and_saveexec_b64 s[28:29], s[26:27]
	s_cbranch_execz .LBB1542_119
; %bb.118:
	v_add_u32_e32 v4, v31, v33
	ds_read_u8 v12, v4
.LBB1542_119:
	s_or_b64 exec, exec, s[28:29]
	s_waitcnt lgkmcnt(0)
	v_and_b32_e32 v4, v12, v48
	v_and_b32_e32 v5, v11, v48
	v_cmp_le_u16_e64 s[26:27], v4, v5
	s_and_b64 s[20:21], s[20:21], s[26:27]
	s_or_b64 s[20:21], s[22:23], s[20:21]
	v_cndmask_b32_e64 v4, v33, v32, s[20:21]
	v_cndmask_b32_e64 v5, v10, v1, s[20:21]
	v_add_u32_e32 v13, 1, v4
	v_add_u32_e32 v5, -1, v5
	v_min_u32_e32 v5, v13, v5
	v_add_u32_e32 v5, v31, v5
	ds_read_u8 v5, v5
	v_lshl_add_u32 v4, v4, 3, v30
	s_waitcnt lgkmcnt(0)
	v_cndmask_b32_e64 v14, v5, v12, s[20:21]
	v_cndmask_b32_e64 v15, v11, v5, s[20:21]
	;; [unrolled: 1-line block ×4, first 2 shown]
	v_and_b32_e32 v16, v14, v48
	v_and_b32_e32 v17, v15, v48
	v_cmp_lt_u32_e64 s[26:27], v13, v1
	v_cmp_le_u16_e64 s[28:29], v16, v17
	v_cmp_ge_u32_e64 s[22:23], v5, v10
	s_and_b64 s[26:27], s[28:29], s[26:27]
	s_or_b64 s[22:23], s[22:23], s[26:27]
	v_cndmask_b32_e64 v16, v5, v13, s[22:23]
	v_cndmask_b32_e64 v17, v10, v1, s[22:23]
	v_add_u32_e32 v18, 1, v16
	v_add_u32_e32 v17, -1, v17
	v_min_u32_e32 v17, v18, v17
	v_add_u32_e32 v17, v31, v17
	ds_read_u8 v17, v17
	v_cndmask_b32_e64 v13, v13, v18, s[22:23]
	v_cmp_lt_u32_e64 s[28:29], v13, v1
	v_lshl_add_u32 v16, v16, 3, v30
	v_cndmask_b32_e64 v11, v12, v11, s[20:21]
	s_waitcnt lgkmcnt(0)
	v_cndmask_b32_e64 v28, v17, v14, s[22:23]
	v_cndmask_b32_e64 v29, v15, v17, s[22:23]
	;; [unrolled: 1-line block ×3, first 2 shown]
	v_and_b32_e32 v5, v28, v48
	v_and_b32_e32 v18, v29, v48
	v_cmp_le_u16_e64 s[30:31], v5, v18
	v_cmp_ge_u32_e64 s[26:27], v17, v10
	s_and_b64 s[28:29], s[30:31], s[28:29]
	s_or_b64 s[26:27], s[26:27], s[28:29]
	v_cndmask_b32_e64 v20, v17, v13, s[26:27]
	v_cndmask_b32_e64 v5, v10, v1, s[26:27]
	v_add_u32_e32 v18, 1, v20
	v_add_u32_e32 v5, -1, v5
	v_min_u32_e32 v5, v18, v5
	v_add_u32_e32 v5, v31, v5
	ds_read_u8 v19, v5
	v_cndmask_b32_e64 v17, v18, v17, s[26:27]
	v_cndmask_b32_e64 v13, v13, v18, s[26:27]
	v_cmp_lt_u32_e64 s[30:31], v13, v1
	v_cmp_ge_u32_e64 s[28:29], v17, v10
	s_waitcnt lgkmcnt(0)
	v_cndmask_b32_e64 v32, v19, v28, s[26:27]
	v_cndmask_b32_e64 v33, v29, v19, s[26:27]
	v_and_b32_e32 v18, v32, v48
	v_and_b32_e32 v19, v33, v48
	v_cmp_le_u16_e64 s[34:35], v18, v19
	s_and_b64 s[30:31], s[34:35], s[30:31]
	s_or_b64 s[28:29], s[28:29], s[30:31]
	v_cndmask_b32_e64 v21, v17, v13, s[28:29]
	v_cndmask_b32_e64 v18, v10, v1, s[28:29]
	v_add_u32_e32 v22, 1, v21
	v_add_u32_e32 v18, -1, v18
	v_min_u32_e32 v18, v22, v18
	v_add_u32_e32 v18, v31, v18
	ds_read_u8 v23, v18
	ds_read_b64 v[4:5], v4 offset:2048
	ds_read_b64 v[18:19], v16 offset:2048
	v_lshl_add_u32 v16, v20, 3, v30
	ds_read_b64 v[26:27], v16 offset:2048
	s_waitcnt lgkmcnt(3)
	v_cndmask_b32_e64 v34, v23, v32, s[28:29]
	v_cndmask_b32_e64 v35, v33, v23, s[28:29]
	;; [unrolled: 1-line block ×4, first 2 shown]
	v_and_b32_e32 v17, v34, v48
	v_and_b32_e32 v20, v35, v48
	v_cmp_lt_u32_e64 s[34:35], v13, v1
	v_cmp_le_u16_e64 s[36:37], v17, v20
	v_cmp_ge_u32_e64 s[30:31], v16, v10
	s_and_b64 s[34:35], s[36:37], s[34:35]
	s_or_b64 s[30:31], s[30:31], s[34:35]
	v_cndmask_b32_e64 v17, v16, v13, s[30:31]
	v_cndmask_b32_e64 v20, v10, v1, s[30:31]
	v_add_u32_e32 v36, 1, v17
	v_add_u32_e32 v20, -1, v20
	v_min_u32_e32 v20, v36, v20
	v_add_u32_e32 v20, v31, v20
	ds_read_u8 v37, v20
	v_lshl_add_u32 v20, v21, 3, v30
	v_lshl_add_u32 v17, v17, 3, v30
	ds_read_b64 v[22:23], v20 offset:2048
	ds_read_b64 v[20:21], v17 offset:2048
	s_waitcnt lgkmcnt(2)
	v_cndmask_b32_e64 v38, v37, v34, s[30:31]
	v_cndmask_b32_e64 v37, v35, v37, s[30:31]
	;; [unrolled: 1-line block ×4, first 2 shown]
	v_and_b32_e32 v16, v38, v48
	v_and_b32_e32 v17, v37, v48
	v_cmp_lt_u32_e64 s[36:37], v13, v1
	v_cmp_le_u16_e64 s[38:39], v16, v17
	v_cmp_ge_u32_e64 s[34:35], v39, v10
	s_and_b64 s[36:37], s[38:39], s[36:37]
	s_or_b64 s[34:35], s[34:35], s[36:37]
	v_cndmask_b32_e64 v16, v39, v13, s[34:35]
	v_cndmask_b32_e64 v17, v10, v1, s[34:35]
	v_lshl_add_u32 v36, v16, 3, v30
	v_add_u32_e32 v49, 1, v16
	v_add_u32_e32 v16, -1, v17
	v_min_u32_e32 v16, v49, v16
	v_add_u32_e32 v16, v31, v16
	ds_read_u8 v50, v16
	ds_read_b64 v[16:17], v36 offset:2048
	v_cndmask_b32_e64 v12, v14, v15, s[22:23]
	v_cndmask_b32_e64 v36, v28, v29, s[26:27]
	v_cndmask_b32_e64 v13, v13, v49, s[34:35]
	s_waitcnt lgkmcnt(1)
	v_cndmask_b32_e64 v14, v50, v38, s[34:35]
	v_cndmask_b32_e64 v15, v37, v50, s[34:35]
	v_and_b32_e32 v28, v14, v48
	v_and_b32_e32 v29, v15, v48
	v_cndmask_b32_e64 v39, v49, v39, s[34:35]
	v_cmp_lt_u32_e64 s[22:23], v13, v1
	v_cmp_le_u16_e64 s[26:27], v28, v29
	v_cmp_ge_u32_e64 s[20:21], v39, v10
	s_and_b64 s[22:23], s[26:27], s[22:23]
	s_or_b64 s[20:21], s[20:21], s[22:23]
	v_cndmask_b32_e64 v28, v39, v13, s[20:21]
	v_cndmask_b32_e64 v29, v10, v1, s[20:21]
	v_lshl_add_u32 v49, v28, 3, v30
	v_add_u32_e32 v50, 1, v28
	v_add_u32_e32 v28, -1, v29
	v_min_u32_e32 v28, v50, v28
	v_add_u32_e32 v31, v31, v28
	ds_read_b64 v[28:29], v49 offset:2048
	ds_read_u8 v31, v31
	v_cndmask_b32_e64 v32, v32, v33, s[28:29]
	v_cndmask_b32_e64 v33, v34, v35, s[30:31]
	;; [unrolled: 1-line block ×4, first 2 shown]
	s_waitcnt lgkmcnt(0)
	v_cndmask_b32_e64 v14, v31, v14, s[20:21]
	v_cndmask_b32_e64 v15, v15, v31, s[20:21]
	;; [unrolled: 1-line block ×3, first 2 shown]
	v_cmp_ge_u32_e64 s[20:21], v31, v10
	v_cmp_lt_u32_e64 s[22:23], v13, v1
	v_and_b32_e32 v1, v14, v48
	v_and_b32_e32 v10, v15, v48
	v_cmp_le_u16_e64 s[26:27], v1, v10
	s_and_b64 s[22:23], s[26:27], s[22:23]
	s_or_b64 s[20:21], s[20:21], s[22:23]
	v_cndmask_b32_e64 v34, v38, v37, s[34:35]
	v_cndmask_b32_e64 v1, v31, v13, s[20:21]
	;; [unrolled: 1-line block ×3, first 2 shown]
	v_lshlrev_b16_e32 v10, 8, v10
	v_lshlrev_b16_e32 v13, 8, v34
	v_lshl_add_u32 v1, v1, 3, v30
	v_or_b32_sdwa v10, v35, v10 dst_sel:WORD_1 dst_unused:UNUSED_PAD src0_sel:BYTE_0 src1_sel:DWORD
	v_or_b32_sdwa v13, v33, v13 dst_sel:DWORD dst_unused:UNUSED_PAD src0_sel:BYTE_0 src1_sel:DWORD
	ds_read_b64 v[14:15], v1 offset:2048
	v_or_b32_sdwa v13, v13, v10 dst_sel:DWORD dst_unused:UNUSED_PAD src0_sel:WORD_0 src1_sel:DWORD
	v_lshlrev_b16_e32 v10, 8, v32
	v_or_b32_sdwa v1, v36, v10 dst_sel:WORD_1 dst_unused:UNUSED_PAD src0_sel:BYTE_0 src1_sel:DWORD
	v_lshlrev_b16_e32 v10, 8, v12
	v_or_b32_sdwa v10, v11, v10 dst_sel:DWORD dst_unused:UNUSED_PAD src0_sel:BYTE_0 src1_sel:DWORD
	v_or_b32_sdwa v12, v10, v1 dst_sel:DWORD dst_unused:UNUSED_PAD src0_sel:WORD_0 src1_sel:DWORD
.LBB1542_120:
	s_or_b64 exec, exec, s[42:43]
	; wave barrier
	s_waitcnt lgkmcnt(0)
	s_barrier
                                        ; implicit-def: $vgpr1
                                        ; implicit-def: $vgpr32_vgpr33
                                        ; implicit-def: $vgpr31
                                        ; implicit-def: $vgpr30
                                        ; implicit-def: $vgpr34
.LBB1542_121:
	s_andn2_saveexec_b64 s[34:35], s[40:41]
	s_cbranch_execz .LBB1542_217
; %bb.122:
	s_load_dwordx2 s[20:21], s[8:9], 0x0
	v_mov_b32_e32 v10, 0
	s_waitcnt lgkmcnt(0)
	s_cmp_lt_u32 s12, s20
	s_cselect_b32 s20, 12, 18
	s_cmp_lt_u32 s13, s21
	s_cselect_b32 s12, 14, 20
	s_add_u32 s12, s8, s12
	s_addc_u32 s13, s9, 0
	s_add_u32 s8, s8, s20
	s_addc_u32 s9, s9, 0
	global_load_ushort v11, v10, s[12:13]
	global_load_ushort v12, v10, s[8:9]
	v_and_b32_e32 v10, 0x3ff, v31
	s_movk_i32 s8, 0x800
	s_waitcnt vmcnt(0)
	v_mad_u32_u24 v11, v34, v11, v30
	v_mul_lo_u32 v11, v11, v12
	v_add_lshl_u32 v36, v11, v10, 3
	v_cmp_gt_u32_e64 s[8:9], s8, v36
	v_pk_mov_b32 v[12:13], v[32:33], v[32:33] op_sel:[0,1]
	s_and_saveexec_b64 s[12:13], s[8:9]
	s_cbranch_execz .LBB1542_176
; %bb.123:
	v_lshrrev_b32_e32 v38, 8, v32
	v_cmp_gt_u16_sdwa s[20:21], v38, v32 src0_sel:BYTE_0 src1_sel:BYTE_0
	v_pk_mov_b32 v[12:13], v[18:19], v[18:19] op_sel:[0,1]
	v_mov_b32_e32 v37, v32
	s_and_saveexec_b64 s[8:9], s[20:21]
; %bb.124:
	s_mov_b32 s20, 0xc0c0001
	v_perm_b32 v10, 0, v32, s20
	s_mov_b32 s20, 0xffff0000
	v_and_or_b32 v32, v32, s20, v10
	v_mov_b32_e32 v37, 1
	v_mov_b32_e32 v38, 0
	v_pk_mov_b32 v[12:13], v[4:5], v[4:5] op_sel:[0,1]
	v_pk_mov_b32 v[4:5], v[18:19], v[18:19] op_sel:[0,1]
; %bb.125:
	s_or_b64 exec, exec, s[8:9]
	v_lshrrev_b64 v[10:11], 24, v[32:33]
	v_lshrrev_b32_e32 v39, 16, v32
	v_cmp_gt_u16_sdwa s[20:21], v10, v39 src0_sel:BYTE_0 src1_sel:BYTE_0
	v_pk_mov_b32 v[30:31], v[22:23], v[22:23] op_sel:[0,1]
	s_and_saveexec_b64 s[8:9], s[20:21]
; %bb.126:
	s_mov_b32 s20, 0xc0c0001
	v_perm_b32 v10, 0, v39, s20
	v_lshlrev_b32_e32 v10, 16, v10
	s_mov_b32 s20, 0xffff
	v_and_or_b32 v32, v32, s20, v10
	v_mov_b32_e32 v10, 0
	v_mov_b32_e32 v39, 1
	v_pk_mov_b32 v[30:31], v[26:27], v[26:27] op_sel:[0,1]
	v_pk_mov_b32 v[26:27], v[22:23], v[22:23] op_sel:[0,1]
; %bb.127:
	s_or_b64 exec, exec, s[8:9]
	v_lshrrev_b32_e32 v11, 8, v33
	v_cmp_gt_u16_sdwa s[20:21], v11, v33 src0_sel:BYTE_0 src1_sel:BYTE_0
	v_pk_mov_b32 v[18:19], v[20:21], v[20:21] op_sel:[0,1]
	v_mov_b32_e32 v48, v33
	s_and_saveexec_b64 s[8:9], s[20:21]
; %bb.128:
	s_mov_b32 s20, 0x7060405
	v_perm_b32 v33, v33, v33, s20
	v_mov_b32_e32 v11, 0
	v_mov_b32_e32 v48, 1
	v_pk_mov_b32 v[18:19], v[16:17], v[16:17] op_sel:[0,1]
	v_pk_mov_b32 v[16:17], v[20:21], v[20:21] op_sel:[0,1]
; %bb.129:
	s_or_b64 exec, exec, s[8:9]
	v_lshrrev_b32_e32 v50, 24, v33
	v_lshrrev_b32_e32 v49, 16, v33
	v_cmp_gt_u16_sdwa s[20:21], v50, v49 src0_sel:DWORD src1_sel:BYTE_0
	v_pk_mov_b32 v[20:21], v[28:29], v[28:29] op_sel:[0,1]
	s_and_saveexec_b64 s[8:9], s[20:21]
; %bb.130:
	s_mov_b32 s20, 0x6070504
	v_mov_b32_e32 v50, 0
	v_perm_b32 v33, v33, v33, s20
	v_mov_b32_e32 v49, 1
	v_pk_mov_b32 v[20:21], v[14:15], v[14:15] op_sel:[0,1]
	v_pk_mov_b32 v[14:15], v[28:29], v[28:29] op_sel:[0,1]
; %bb.131:
	s_or_b64 exec, exec, s[8:9]
	v_and_b32_e32 v28, 0xff, v38
	v_cmp_gt_u16_sdwa s[8:9], v39, v28 src0_sel:BYTE_0 src1_sel:DWORD
	v_pk_mov_b32 v[22:23], v[26:27], v[26:27] op_sel:[0,1]
	s_and_saveexec_b64 s[20:21], s[8:9]
	s_xor_b64 s[8:9], exec, s[20:21]
; %bb.132:
	s_movk_i32 s20, 0xff00
	v_and_b32_sdwa v22, v32, s20 dst_sel:DWORD dst_unused:UNUSED_PAD src0_sel:WORD_1 src1_sel:DWORD
	v_lshlrev_b16_e32 v23, 8, v39
	v_or_b32_sdwa v22, v28, v22 dst_sel:WORD_1 dst_unused:UNUSED_PAD src0_sel:DWORD src1_sel:DWORD
	v_or_b32_sdwa v23, v32, v23 dst_sel:DWORD dst_unused:UNUSED_PAD src0_sel:BYTE_0 src1_sel:DWORD
	v_or_b32_sdwa v32, v23, v22 dst_sel:DWORD dst_unused:UNUSED_PAD src0_sel:WORD_0 src1_sel:DWORD
	v_mov_b32_e32 v39, 0
	v_mov_b32_e32 v38, 1
	v_pk_mov_b32 v[22:23], v[12:13], v[12:13] op_sel:[0,1]
	v_pk_mov_b32 v[12:13], v[26:27], v[26:27] op_sel:[0,1]
; %bb.133:
	s_or_b64 exec, exec, s[8:9]
	v_cmp_gt_u16_sdwa s[20:21], v48, v10 src0_sel:BYTE_0 src1_sel:BYTE_0
	v_pk_mov_b32 v[28:29], v[30:31], v[30:31] op_sel:[0,1]
	s_and_saveexec_b64 s[8:9], s[20:21]
	s_cbranch_execz .LBB1542_135
; %bb.134:
	s_mov_b32 s20, 0x3020104
	v_perm_b32 v33, v10, v33, s20
	s_movk_i32 s20, 0xff
	v_and_b32_sdwa v10, v32, s20 dst_sel:DWORD dst_unused:UNUSED_PAD src0_sel:WORD_1 src1_sel:DWORD
	v_lshlrev_b16_e32 v26, 8, v48
	v_or_b32_sdwa v10, v10, v26 dst_sel:WORD_1 dst_unused:UNUSED_PAD src0_sel:DWORD src1_sel:DWORD
	s_mov_b32 s20, 0xffff
	v_and_or_b32 v32, v32, s20, v10
	v_mov_b32_e32 v48, 0
	v_mov_b32_e32 v10, 1
	v_pk_mov_b32 v[28:29], v[18:19], v[18:19] op_sel:[0,1]
	v_pk_mov_b32 v[18:19], v[30:31], v[30:31] op_sel:[0,1]
.LBB1542_135:
	s_or_b64 exec, exec, s[8:9]
	v_cmp_gt_u16_sdwa s[20:21], v49, v11 src0_sel:BYTE_0 src1_sel:BYTE_0
	v_pk_mov_b32 v[26:27], v[16:17], v[16:17] op_sel:[0,1]
	s_and_saveexec_b64 s[8:9], s[20:21]
; %bb.136:
	s_movk_i32 s20, 0xff00
	v_and_b32_sdwa v26, v33, s20 dst_sel:DWORD dst_unused:UNUSED_PAD src0_sel:WORD_1 src1_sel:DWORD
	v_or_b32_sdwa v11, v11, v26 dst_sel:DWORD dst_unused:UNUSED_PAD src0_sel:BYTE_0 src1_sel:DWORD
	v_lshlrev_b16_e32 v26, 8, v49
	v_or_b32_sdwa v26, v33, v26 dst_sel:DWORD dst_unused:UNUSED_PAD src0_sel:BYTE_0 src1_sel:DWORD
	v_lshlrev_b32_e32 v11, 16, v11
	v_or_b32_sdwa v33, v26, v11 dst_sel:DWORD dst_unused:UNUSED_PAD src0_sel:WORD_0 src1_sel:DWORD
	v_mov_b32_e32 v11, 1
	v_pk_mov_b32 v[26:27], v[20:21], v[20:21] op_sel:[0,1]
	v_pk_mov_b32 v[20:21], v[16:17], v[16:17] op_sel:[0,1]
	v_mov_b32_e32 v49, 0
; %bb.137:
	s_or_b64 exec, exec, s[8:9]
	v_cmp_gt_u16_sdwa s[20:21], v38, v37 src0_sel:BYTE_0 src1_sel:BYTE_0
	v_pk_mov_b32 v[16:17], v[12:13], v[12:13] op_sel:[0,1]
	s_and_saveexec_b64 s[8:9], s[20:21]
; %bb.138:
	v_lshlrev_b16_e32 v16, 8, v37
	v_or_b32_sdwa v16, v38, v16 dst_sel:DWORD dst_unused:UNUSED_PAD src0_sel:BYTE_0 src1_sel:DWORD
	v_and_b32_e32 v16, 0xffff, v16
	s_mov_b32 s20, 0xffff0000
	v_and_or_b32 v32, v32, s20, v16
	v_mov_b32_e32 v37, 1
	v_mov_b32_e32 v38, 0
	v_pk_mov_b32 v[16:17], v[4:5], v[4:5] op_sel:[0,1]
	v_pk_mov_b32 v[4:5], v[12:13], v[12:13] op_sel:[0,1]
; %bb.139:
	s_or_b64 exec, exec, s[8:9]
	v_cmp_gt_u16_sdwa s[20:21], v10, v39 src0_sel:BYTE_0 src1_sel:BYTE_0
	v_pk_mov_b32 v[12:13], v[28:29], v[28:29] op_sel:[0,1]
	s_and_saveexec_b64 s[8:9], s[20:21]
; %bb.140:
	v_lshlrev_b16_e32 v12, 8, v39
	v_or_b32_sdwa v10, v10, v12 dst_sel:DWORD dst_unused:UNUSED_PAD src0_sel:BYTE_0 src1_sel:DWORD
	v_lshlrev_b32_e32 v10, 16, v10
	s_mov_b32 s20, 0xffff
	v_and_or_b32 v32, v32, s20, v10
	v_mov_b32_e32 v10, 0
	v_mov_b32_e32 v39, 1
	v_pk_mov_b32 v[12:13], v[22:23], v[22:23] op_sel:[0,1]
	v_pk_mov_b32 v[22:23], v[28:29], v[28:29] op_sel:[0,1]
; %bb.141:
	s_or_b64 exec, exec, s[8:9]
	v_cmp_gt_u16_sdwa s[20:21], v11, v48 src0_sel:BYTE_0 src1_sel:BYTE_0
	v_pk_mov_b32 v[30:31], v[18:19], v[18:19] op_sel:[0,1]
	s_and_saveexec_b64 s[8:9], s[20:21]
; %bb.142:
	v_lshlrev_b16_e32 v28, 8, v48
	v_or_b32_sdwa v11, v11, v28 dst_sel:DWORD dst_unused:UNUSED_PAD src0_sel:BYTE_0 src1_sel:DWORD
	v_and_b32_e32 v11, 0xffff, v11
	s_mov_b32 s20, 0xffff0000
	v_and_or_b32 v33, v33, s20, v11
	v_mov_b32_e32 v11, 0
	v_mov_b32_e32 v48, 1
	v_pk_mov_b32 v[30:31], v[26:27], v[26:27] op_sel:[0,1]
	v_pk_mov_b32 v[26:27], v[18:19], v[18:19] op_sel:[0,1]
; %bb.143:
	s_or_b64 exec, exec, s[8:9]
	v_cmp_gt_u16_sdwa s[20:21], v50, v49 src0_sel:DWORD src1_sel:BYTE_0
	v_pk_mov_b32 v[34:35], v[20:21], v[20:21] op_sel:[0,1]
	s_and_saveexec_b64 s[8:9], s[20:21]
; %bb.144:
	v_lshlrev_b16_e32 v18, 8, v49
	v_or_b32_sdwa v18, v50, v18 dst_sel:WORD_1 dst_unused:UNUSED_PAD src0_sel:DWORD src1_sel:DWORD
	s_mov_b32 s20, 0xffff
	v_and_or_b32 v33, v33, s20, v18
	v_mov_b32_e32 v49, 1
	v_pk_mov_b32 v[34:35], v[14:15], v[14:15] op_sel:[0,1]
	v_pk_mov_b32 v[14:15], v[20:21], v[20:21] op_sel:[0,1]
	v_mov_b32_e32 v50, 0
; %bb.145:
	s_or_b64 exec, exec, s[8:9]
	v_cmp_gt_u16_sdwa s[20:21], v39, v38 src0_sel:BYTE_0 src1_sel:BYTE_0
	v_pk_mov_b32 v[28:29], v[22:23], v[22:23] op_sel:[0,1]
	s_and_saveexec_b64 s[8:9], s[20:21]
; %bb.146:
	s_movk_i32 s20, 0xff00
	v_and_b32_sdwa v18, v32, s20 dst_sel:DWORD dst_unused:UNUSED_PAD src0_sel:WORD_1 src1_sel:DWORD
	v_lshlrev_b16_e32 v19, 8, v39
	v_or_b32_sdwa v18, v38, v18 dst_sel:WORD_1 dst_unused:UNUSED_PAD src0_sel:BYTE_0 src1_sel:DWORD
	v_or_b32_sdwa v19, v32, v19 dst_sel:DWORD dst_unused:UNUSED_PAD src0_sel:BYTE_0 src1_sel:DWORD
	v_or_b32_sdwa v32, v19, v18 dst_sel:DWORD dst_unused:UNUSED_PAD src0_sel:WORD_0 src1_sel:DWORD
	v_mov_b32_e32 v39, 0
	v_mov_b32_e32 v38, 1
	v_pk_mov_b32 v[28:29], v[16:17], v[16:17] op_sel:[0,1]
	v_pk_mov_b32 v[16:17], v[22:23], v[22:23] op_sel:[0,1]
; %bb.147:
	s_or_b64 exec, exec, s[8:9]
	s_movk_i32 s20, 0xff
	v_cmp_gt_u16_sdwa s[22:23], v48, v10 src0_sel:BYTE_0 src1_sel:BYTE_0
	v_pk_mov_b32 v[22:23], v[12:13], v[12:13] op_sel:[0,1]
	s_and_saveexec_b64 s[8:9], s[22:23]
; %bb.148:
	s_mov_b32 s21, 0x3020104
	v_perm_b32 v33, v10, v33, s21
	v_and_b32_sdwa v10, v32, s20 dst_sel:DWORD dst_unused:UNUSED_PAD src0_sel:WORD_1 src1_sel:DWORD
	v_lshlrev_b16_e32 v18, 8, v48
	v_or_b32_sdwa v10, v10, v18 dst_sel:WORD_1 dst_unused:UNUSED_PAD src0_sel:DWORD src1_sel:DWORD
	s_mov_b32 s20, 0xffff
	v_and_or_b32 v32, v32, s20, v10
	v_mov_b32_e32 v48, 0
	v_mov_b32_e32 v10, 1
	v_pk_mov_b32 v[22:23], v[30:31], v[30:31] op_sel:[0,1]
	v_pk_mov_b32 v[30:31], v[12:13], v[12:13] op_sel:[0,1]
; %bb.149:
	s_or_b64 exec, exec, s[8:9]
	v_cmp_gt_u16_sdwa s[20:21], v49, v11 src0_sel:BYTE_0 src1_sel:BYTE_0
	v_pk_mov_b32 v[18:19], v[26:27], v[26:27] op_sel:[0,1]
	s_and_saveexec_b64 s[8:9], s[20:21]
; %bb.150:
	s_movk_i32 s20, 0xff00
	v_and_b32_sdwa v12, v33, s20 dst_sel:DWORD dst_unused:UNUSED_PAD src0_sel:WORD_1 src1_sel:DWORD
	v_or_b32_sdwa v11, v11, v12 dst_sel:WORD_1 dst_unused:UNUSED_PAD src0_sel:BYTE_0 src1_sel:DWORD
	v_lshlrev_b16_e32 v12, 8, v49
	v_or_b32_sdwa v12, v33, v12 dst_sel:DWORD dst_unused:UNUSED_PAD src0_sel:BYTE_0 src1_sel:DWORD
	v_or_b32_sdwa v33, v12, v11 dst_sel:DWORD dst_unused:UNUSED_PAD src0_sel:WORD_0 src1_sel:DWORD
	v_mov_b32_e32 v11, 1
	v_pk_mov_b32 v[18:19], v[34:35], v[34:35] op_sel:[0,1]
	v_pk_mov_b32 v[34:35], v[26:27], v[26:27] op_sel:[0,1]
	v_mov_b32_e32 v49, 0
; %bb.151:
	s_or_b64 exec, exec, s[8:9]
	v_cmp_gt_u16_sdwa s[20:21], v38, v37 src0_sel:BYTE_0 src1_sel:BYTE_0
	v_pk_mov_b32 v[20:21], v[16:17], v[16:17] op_sel:[0,1]
	s_and_saveexec_b64 s[8:9], s[20:21]
; %bb.152:
	v_lshlrev_b16_e32 v12, 8, v37
	v_or_b32_sdwa v12, v38, v12 dst_sel:DWORD dst_unused:UNUSED_PAD src0_sel:BYTE_0 src1_sel:DWORD
	v_and_b32_e32 v12, 0xffff, v12
	s_mov_b32 s20, 0xffff0000
	v_and_or_b32 v32, v32, s20, v12
	v_mov_b32_e32 v37, 1
	v_mov_b32_e32 v38, 0
	v_pk_mov_b32 v[20:21], v[4:5], v[4:5] op_sel:[0,1]
	v_pk_mov_b32 v[4:5], v[16:17], v[16:17] op_sel:[0,1]
; %bb.153:
	s_or_b64 exec, exec, s[8:9]
	v_cmp_gt_u16_sdwa s[20:21], v10, v39 src0_sel:BYTE_0 src1_sel:BYTE_0
	v_pk_mov_b32 v[16:17], v[22:23], v[22:23] op_sel:[0,1]
	s_and_saveexec_b64 s[8:9], s[20:21]
; %bb.154:
	v_lshlrev_b16_e32 v12, 8, v39
	v_or_b32_sdwa v10, v10, v12 dst_sel:WORD_1 dst_unused:UNUSED_PAD src0_sel:BYTE_0 src1_sel:DWORD
	s_mov_b32 s20, 0xffff
	v_and_or_b32 v32, v32, s20, v10
	v_mov_b32_e32 v10, 0
	v_mov_b32_e32 v39, 1
	v_pk_mov_b32 v[16:17], v[28:29], v[28:29] op_sel:[0,1]
	v_pk_mov_b32 v[28:29], v[22:23], v[22:23] op_sel:[0,1]
; %bb.155:
	s_or_b64 exec, exec, s[8:9]
	v_cmp_gt_u16_sdwa s[20:21], v11, v48 src0_sel:BYTE_0 src1_sel:BYTE_0
	v_pk_mov_b32 v[12:13], v[30:31], v[30:31] op_sel:[0,1]
	s_and_saveexec_b64 s[8:9], s[20:21]
; %bb.156:
	v_lshlrev_b16_e32 v12, 8, v48
	v_or_b32_sdwa v11, v11, v12 dst_sel:DWORD dst_unused:UNUSED_PAD src0_sel:BYTE_0 src1_sel:DWORD
	v_and_b32_e32 v11, 0xffff, v11
	s_mov_b32 s20, 0xffff0000
	v_and_or_b32 v33, v33, s20, v11
	v_mov_b32_e32 v11, 0
	v_mov_b32_e32 v48, 1
	v_pk_mov_b32 v[12:13], v[18:19], v[18:19] op_sel:[0,1]
	v_pk_mov_b32 v[18:19], v[30:31], v[30:31] op_sel:[0,1]
; %bb.157:
	s_or_b64 exec, exec, s[8:9]
	v_cmp_gt_u16_sdwa s[20:21], v50, v49 src0_sel:DWORD src1_sel:BYTE_0
	v_pk_mov_b32 v[22:23], v[34:35], v[34:35] op_sel:[0,1]
	s_and_saveexec_b64 s[8:9], s[20:21]
; %bb.158:
	v_lshlrev_b16_e32 v22, 8, v49
	v_or_b32_sdwa v22, v50, v22 dst_sel:WORD_1 dst_unused:UNUSED_PAD src0_sel:DWORD src1_sel:DWORD
	s_mov_b32 s20, 0xffff
	v_and_or_b32 v33, v33, s20, v22
	v_mov_b32_e32 v49, 1
	v_pk_mov_b32 v[22:23], v[14:15], v[14:15] op_sel:[0,1]
	v_pk_mov_b32 v[14:15], v[34:35], v[34:35] op_sel:[0,1]
	v_mov_b32_e32 v50, 0
; %bb.159:
	s_or_b64 exec, exec, s[8:9]
	v_cmp_gt_u16_sdwa s[20:21], v39, v38 src0_sel:BYTE_0 src1_sel:BYTE_0
	v_pk_mov_b32 v[30:31], v[28:29], v[28:29] op_sel:[0,1]
	s_and_saveexec_b64 s[8:9], s[20:21]
; %bb.160:
	s_movk_i32 s20, 0xff00
	v_and_b32_sdwa v26, v32, s20 dst_sel:DWORD dst_unused:UNUSED_PAD src0_sel:WORD_1 src1_sel:DWORD
	v_or_b32_sdwa v26, v38, v26 dst_sel:DWORD dst_unused:UNUSED_PAD src0_sel:BYTE_0 src1_sel:DWORD
	v_lshlrev_b16_e32 v27, 8, v39
	v_or_b32_sdwa v27, v32, v27 dst_sel:DWORD dst_unused:UNUSED_PAD src0_sel:BYTE_0 src1_sel:DWORD
	v_lshlrev_b32_e32 v26, 16, v26
	v_or_b32_sdwa v32, v27, v26 dst_sel:DWORD dst_unused:UNUSED_PAD src0_sel:WORD_0 src1_sel:DWORD
	v_mov_b32_e32 v39, 0
	v_mov_b32_e32 v38, 1
	v_pk_mov_b32 v[30:31], v[20:21], v[20:21] op_sel:[0,1]
	v_pk_mov_b32 v[20:21], v[28:29], v[28:29] op_sel:[0,1]
; %bb.161:
	s_or_b64 exec, exec, s[8:9]
	v_cmp_gt_u16_sdwa s[20:21], v48, v10 src0_sel:BYTE_0 src1_sel:BYTE_0
	v_pk_mov_b32 v[26:27], v[16:17], v[16:17] op_sel:[0,1]
	s_and_saveexec_b64 s[8:9], s[20:21]
	s_cbranch_execz .LBB1542_163
; %bb.162:
	s_mov_b32 s20, 0x3020104
	v_perm_b32 v33, v10, v33, s20
	s_movk_i32 s20, 0xff
	v_and_b32_sdwa v10, v32, s20 dst_sel:DWORD dst_unused:UNUSED_PAD src0_sel:WORD_1 src1_sel:DWORD
	v_lshlrev_b16_e32 v26, 8, v48
	v_or_b32_sdwa v10, v10, v26 dst_sel:WORD_1 dst_unused:UNUSED_PAD src0_sel:DWORD src1_sel:DWORD
	s_mov_b32 s20, 0xffff
	v_and_or_b32 v32, v32, s20, v10
	v_mov_b32_e32 v48, 0
	v_mov_b32_e32 v10, 1
	v_pk_mov_b32 v[26:27], v[12:13], v[12:13] op_sel:[0,1]
	v_pk_mov_b32 v[12:13], v[16:17], v[16:17] op_sel:[0,1]
.LBB1542_163:
	s_or_b64 exec, exec, s[8:9]
	v_cmp_gt_u16_sdwa s[20:21], v49, v11 src0_sel:BYTE_0 src1_sel:BYTE_0
	v_pk_mov_b32 v[16:17], v[18:19], v[18:19] op_sel:[0,1]
	s_and_saveexec_b64 s[8:9], s[20:21]
; %bb.164:
	s_movk_i32 s20, 0xff00
	v_and_b32_sdwa v16, v33, s20 dst_sel:DWORD dst_unused:UNUSED_PAD src0_sel:WORD_1 src1_sel:DWORD
	v_or_b32_sdwa v11, v11, v16 dst_sel:DWORD dst_unused:UNUSED_PAD src0_sel:BYTE_0 src1_sel:DWORD
	v_lshlrev_b16_e32 v16, 8, v49
	v_or_b32_sdwa v16, v33, v16 dst_sel:DWORD dst_unused:UNUSED_PAD src0_sel:BYTE_0 src1_sel:DWORD
	v_lshlrev_b32_e32 v11, 16, v11
	v_or_b32_sdwa v33, v16, v11 dst_sel:DWORD dst_unused:UNUSED_PAD src0_sel:WORD_0 src1_sel:DWORD
	v_mov_b32_e32 v11, 1
	v_pk_mov_b32 v[16:17], v[22:23], v[22:23] op_sel:[0,1]
	v_pk_mov_b32 v[22:23], v[18:19], v[18:19] op_sel:[0,1]
	v_mov_b32_e32 v49, 0
; %bb.165:
	s_or_b64 exec, exec, s[8:9]
	v_cmp_gt_u16_sdwa s[20:21], v38, v37 src0_sel:BYTE_0 src1_sel:BYTE_0
	v_pk_mov_b32 v[18:19], v[20:21], v[20:21] op_sel:[0,1]
	s_and_saveexec_b64 s[8:9], s[20:21]
; %bb.166:
	v_lshlrev_b16_e32 v18, 8, v37
	v_or_b32_sdwa v18, v38, v18 dst_sel:DWORD dst_unused:UNUSED_PAD src0_sel:BYTE_0 src1_sel:DWORD
	v_and_b32_e32 v18, 0xffff, v18
	s_mov_b32 s20, 0xffff0000
	v_and_or_b32 v32, v32, s20, v18
	v_mov_b32_e32 v37, 1
	v_mov_b32_e32 v38, 0
	v_pk_mov_b32 v[18:19], v[4:5], v[4:5] op_sel:[0,1]
	v_pk_mov_b32 v[4:5], v[20:21], v[20:21] op_sel:[0,1]
; %bb.167:
	s_or_b64 exec, exec, s[8:9]
	v_cmp_gt_u16_sdwa s[20:21], v10, v39 src0_sel:BYTE_0 src1_sel:BYTE_0
	v_pk_mov_b32 v[20:21], v[26:27], v[26:27] op_sel:[0,1]
	s_and_saveexec_b64 s[8:9], s[20:21]
; %bb.168:
	v_lshlrev_b16_e32 v20, 8, v39
	v_or_b32_sdwa v10, v10, v20 dst_sel:DWORD dst_unused:UNUSED_PAD src0_sel:BYTE_0 src1_sel:DWORD
	v_lshlrev_b32_e32 v10, 16, v10
	s_mov_b32 s20, 0xffff
	v_and_or_b32 v32, v32, s20, v10
	v_mov_b32_e32 v10, 0
	v_mov_b32_e32 v39, 1
	v_pk_mov_b32 v[20:21], v[30:31], v[30:31] op_sel:[0,1]
	v_pk_mov_b32 v[30:31], v[26:27], v[26:27] op_sel:[0,1]
; %bb.169:
	s_or_b64 exec, exec, s[8:9]
	v_cmp_gt_u16_sdwa s[20:21], v11, v48 src0_sel:BYTE_0 src1_sel:BYTE_0
	v_pk_mov_b32 v[28:29], v[12:13], v[12:13] op_sel:[0,1]
	s_and_saveexec_b64 s[8:9], s[20:21]
; %bb.170:
	v_lshlrev_b16_e32 v26, 8, v48
	v_or_b32_sdwa v11, v11, v26 dst_sel:DWORD dst_unused:UNUSED_PAD src0_sel:BYTE_0 src1_sel:DWORD
	v_and_b32_e32 v11, 0xffff, v11
	s_mov_b32 s20, 0xffff0000
	v_and_or_b32 v33, v33, s20, v11
	v_mov_b32_e32 v11, 0
	v_mov_b32_e32 v48, 1
	v_pk_mov_b32 v[28:29], v[16:17], v[16:17] op_sel:[0,1]
	v_pk_mov_b32 v[16:17], v[12:13], v[12:13] op_sel:[0,1]
; %bb.171:
	s_or_b64 exec, exec, s[8:9]
	s_movk_i32 s20, 0xff
	v_cmp_gt_u16_sdwa s[22:23], v50, v49 src0_sel:DWORD src1_sel:BYTE_0
	v_pk_mov_b32 v[34:35], v[22:23], v[22:23] op_sel:[0,1]
	s_and_saveexec_b64 s[8:9], s[22:23]
; %bb.172:
	v_lshlrev_b16_e32 v12, 8, v49
	v_or_b32_sdwa v12, v50, v12 dst_sel:WORD_1 dst_unused:UNUSED_PAD src0_sel:DWORD src1_sel:DWORD
	s_mov_b32 s21, 0xffff
	v_and_or_b32 v33, v33, s21, v12
	v_mov_b32_e32 v49, 1
	v_pk_mov_b32 v[34:35], v[14:15], v[14:15] op_sel:[0,1]
	v_pk_mov_b32 v[14:15], v[22:23], v[22:23] op_sel:[0,1]
; %bb.173:
	s_or_b64 exec, exec, s[8:9]
	s_movk_i32 s21, 0xff00
	v_and_b32_sdwa v12, v32, s21 dst_sel:DWORD dst_unused:UNUSED_PAD src0_sel:WORD_1 src1_sel:DWORD
	v_lshlrev_b16_e32 v13, 8, v39
	v_or_b32_sdwa v12, v38, v12 dst_sel:WORD_1 dst_unused:UNUSED_PAD src0_sel:BYTE_0 src1_sel:DWORD
	v_or_b32_sdwa v13, v32, v13 dst_sel:DWORD dst_unused:UNUSED_PAD src0_sel:BYTE_0 src1_sel:DWORD
	v_or_b32_sdwa v12, v13, v12 dst_sel:DWORD dst_unused:UNUSED_PAD src0_sel:WORD_0 src1_sel:DWORD
	v_cmp_gt_u16_sdwa s[8:9], v39, v38 src0_sel:BYTE_0 src1_sel:BYTE_0
	v_cndmask_b32_e64 v12, v32, v12, s[8:9]
	v_and_b32_sdwa v13, v12, s20 dst_sel:DWORD dst_unused:UNUSED_PAD src0_sel:WORD_1 src1_sel:DWORD
	v_lshlrev_b16_e32 v22, 8, v48
	s_mov_b32 s22, 0xffff
	v_cndmask_b32_e64 v27, v31, v19, s[8:9]
	v_cndmask_b32_e64 v26, v30, v18, s[8:9]
	;; [unrolled: 1-line block ×4, first 2 shown]
	s_mov_b32 s8, 0x3020104
	v_or_b32_sdwa v13, v13, v22 dst_sel:WORD_1 dst_unused:UNUSED_PAD src0_sel:DWORD src1_sel:DWORD
	v_perm_b32 v30, v10, v33, s8
	v_and_or_b32 v13, v12, s22, v13
	v_cmp_gt_u16_sdwa s[8:9], v48, v10 src0_sel:BYTE_0 src1_sel:BYTE_0
	v_cndmask_b32_e64 v23, v21, v29, s[8:9]
	v_cndmask_b32_e64 v22, v20, v28, s[8:9]
	;; [unrolled: 1-line block ×6, first 2 shown]
	v_cmp_gt_u16_sdwa s[22:23], v49, v11 src0_sel:BYTE_0 src1_sel:BYTE_0
	v_pk_mov_b32 v[28:29], v[34:35], v[34:35] op_sel:[0,1]
	s_and_saveexec_b64 s[8:9], s[22:23]
; %bb.174:
	v_and_b32_sdwa v10, v13, s21 dst_sel:DWORD dst_unused:UNUSED_PAD src0_sel:WORD_1 src1_sel:DWORD
	v_or_b32_sdwa v10, v11, v10 dst_sel:WORD_1 dst_unused:UNUSED_PAD src0_sel:BYTE_0 src1_sel:DWORD
	v_lshlrev_b16_e32 v11, 8, v49
	v_or_b32_sdwa v11, v13, v11 dst_sel:DWORD dst_unused:UNUSED_PAD src0_sel:BYTE_0 src1_sel:DWORD
	v_or_b32_sdwa v13, v11, v10 dst_sel:DWORD dst_unused:UNUSED_PAD src0_sel:WORD_0 src1_sel:DWORD
	v_pk_mov_b32 v[28:29], v[16:17], v[16:17] op_sel:[0,1]
	v_pk_mov_b32 v[16:17], v[34:35], v[34:35] op_sel:[0,1]
; %bb.175:
	s_or_b64 exec, exec, s[8:9]
	v_mov_b32_e32 v32, v37
.LBB1542_176:
	s_or_b64 exec, exec, s[12:13]
	v_and_b32_e32 v31, 0xfffffe00, v36
	v_lshlrev_b32_e32 v30, 3, v31
	v_lshl_add_u32 v36, v1, 3, v30
	v_lshrrev_b32_e32 v37, 8, v12
	v_add_u32_e32 v39, 0x810, v36
	v_lshrrev_b64 v[10:11], 24, v[12:13]
	ds_write2_b64 v39, v[26:27], v[22:23] offset1:1
	v_lshlrev_b16_e32 v39, 8, v37
	v_lshrrev_b32_e32 v38, 16, v12
	v_or_b32_sdwa v32, v32, v39 dst_sel:DWORD dst_unused:UNUSED_PAD src0_sel:BYTE_0 src1_sel:DWORD
	v_lshlrev_b16_e32 v39, 8, v10
	v_add_u32_e32 v11, 0x820, v36
	v_or_b32_sdwa v39, v38, v39 dst_sel:WORD_1 dst_unused:UNUSED_PAD src0_sel:BYTE_0 src1_sel:DWORD
	s_movk_i32 s8, 0x800
	v_add_u32_e32 v35, v31, v1
	v_add_u32_e32 v34, 0x800, v36
	ds_write2_b64 v11, v[20:21], v[16:17] offset1:1
	v_add_u32_e32 v11, 0x830, v36
	v_or_b32_sdwa v48, v32, v39 dst_sel:DWORD dst_unused:UNUSED_PAD src0_sel:WORD_0 src1_sel:DWORD
	v_mov_b32_e32 v49, v13
	v_sub_u32_e64 v33, s8, v31 clamp
	ds_write2_b64 v34, v[4:5], v[18:19] offset1:1
	ds_write_b64 v35, v[48:49]
	ds_write2_b64 v11, v[28:29], v[14:15] offset1:1
	v_or_b32_e32 v11, 8, v1
	v_min_u32_e32 v49, v33, v11
	v_add_u32_e32 v11, 8, v49
	v_and_b32_e32 v39, 0x3f0, v1
	v_min_u32_e32 v50, v33, v11
	v_and_b32_e32 v11, 8, v1
	v_min_u32_e32 v52, v33, v11
	v_sub_u32_e32 v11, v49, v39
	v_sub_u32_e32 v32, v50, v49
	v_sub_u32_e64 v53, v52, v32 clamp
	v_min_u32_e32 v11, v52, v11
	v_cmp_lt_u32_e64 s[8:9], v53, v11
	; wave barrier
	s_and_saveexec_b64 s[12:13], s[8:9]
	s_cbranch_execz .LBB1542_180
; %bb.177:
	v_add_u32_e32 v32, v31, v39
	v_add3_u32 v48, v31, v49, v52
	s_mov_b64 s[20:21], 0
.LBB1542_178:                           ; =>This Inner Loop Header: Depth=1
	v_add_u32_e32 v51, v11, v53
	v_lshrrev_b32_e32 v51, 1, v51
	v_add_u32_e32 v54, v32, v51
	v_xad_u32 v55, v51, -1, v48
	ds_read_u8 v54, v54
	ds_read_u8 v55, v55
	v_add_u32_e32 v64, 1, v51
	s_waitcnt lgkmcnt(0)
	v_cmp_gt_u16_e64 s[8:9], v55, v54
	v_cndmask_b32_e64 v11, v11, v51, s[8:9]
	v_cndmask_b32_e64 v53, v64, v53, s[8:9]
	v_cmp_ge_u32_e64 s[8:9], v53, v11
	s_or_b64 s[20:21], s[8:9], s[20:21]
	s_andn2_b64 exec, exec, s[20:21]
	s_cbranch_execnz .LBB1542_178
; %bb.179:
	s_or_b64 exec, exec, s[20:21]
.LBB1542_180:
	s_or_b64 exec, exec, s[12:13]
	v_add_u32_e32 v51, v53, v39
	v_add_u32_e32 v39, v49, v52
	v_sub_u32_e32 v52, v39, v53
	v_cmp_le_u32_e64 s[8:9], v51, v49
	v_cmp_le_u32_e64 s[12:13], v52, v50
	v_lshrrev_b32_e32 v11, 8, v13
	v_lshrrev_b32_e32 v32, 16, v13
	;; [unrolled: 1-line block ×3, first 2 shown]
	s_or_b64 s[8:9], s[8:9], s[12:13]
	v_mov_b32_e32 v39, v13
	s_and_saveexec_b64 s[36:37], s[8:9]
	s_cbranch_execz .LBB1542_186
; %bb.181:
	v_cmp_lt_u32_e64 s[8:9], v51, v49
                                        ; implicit-def: $vgpr10
	s_and_saveexec_b64 s[12:13], s[8:9]
	s_cbranch_execz .LBB1542_183
; %bb.182:
	v_add_u32_e32 v4, v31, v51
	ds_read_u8 v10, v4
.LBB1542_183:
	s_or_b64 exec, exec, s[12:13]
	v_cmp_ge_u32_e64 s[20:21], v52, v50
	v_cmp_lt_u32_e64 s[12:13], v52, v50
                                        ; implicit-def: $vgpr11
	s_and_saveexec_b64 s[22:23], s[12:13]
	s_cbranch_execz .LBB1542_185
; %bb.184:
	v_add_u32_e32 v4, v31, v52
	ds_read_u8 v11, v4
.LBB1542_185:
	s_or_b64 exec, exec, s[22:23]
	s_waitcnt lgkmcnt(0)
	v_cmp_le_u16_sdwa s[12:13], v11, v10 src0_sel:BYTE_0 src1_sel:BYTE_0
	s_and_b64 s[8:9], s[8:9], s[12:13]
	s_or_b64 s[8:9], s[20:21], s[8:9]
	v_cndmask_b32_e64 v4, v52, v51, s[8:9]
	v_cndmask_b32_e64 v5, v50, v49, s[8:9]
	v_add_u32_e32 v12, 1, v4
	v_add_u32_e32 v5, -1, v5
	v_min_u32_e32 v5, v12, v5
	v_add_u32_e32 v5, v31, v5
	ds_read_u8 v5, v5
	v_cndmask_b32_e64 v13, v12, v52, s[8:9]
	v_cmp_ge_u32_e64 s[12:13], v13, v50
	v_lshl_add_u32 v4, v4, 3, v30
	v_cndmask_b32_e64 v64, v11, v10, s[8:9]
	s_waitcnt lgkmcnt(0)
	v_cndmask_b32_e64 v14, v5, v11, s[8:9]
	v_cndmask_b32_e64 v15, v10, v5, s[8:9]
	;; [unrolled: 1-line block ×3, first 2 shown]
	v_cmp_lt_u32_e64 s[20:21], v5, v49
	v_cmp_le_u16_sdwa s[22:23], v14, v15 src0_sel:BYTE_0 src1_sel:BYTE_0
	s_and_b64 s[20:21], s[22:23], s[20:21]
	s_or_b64 s[20:21], s[12:13], s[20:21]
	v_cndmask_b32_e64 v12, v13, v5, s[20:21]
	v_cndmask_b32_e64 v16, v50, v49, s[20:21]
	v_add_u32_e32 v17, 1, v12
	v_add_u32_e32 v16, -1, v16
	v_min_u32_e32 v16, v17, v16
	v_add_u32_e32 v16, v31, v16
	ds_read_u8 v16, v16
	v_cndmask_b32_e64 v13, v17, v13, s[20:21]
	v_cmp_ge_u32_e64 s[12:13], v13, v50
	v_lshl_add_u32 v12, v12, 3, v30
	s_waitcnt lgkmcnt(0)
	v_cndmask_b32_e64 v28, v16, v14, s[20:21]
	v_cndmask_b32_e64 v29, v15, v16, s[20:21]
	;; [unrolled: 1-line block ×3, first 2 shown]
	v_cmp_lt_u32_e64 s[22:23], v16, v49
	v_cmp_le_u16_sdwa s[26:27], v28, v29 src0_sel:BYTE_0 src1_sel:BYTE_0
	s_and_b64 s[22:23], s[26:27], s[22:23]
	s_or_b64 s[12:13], s[12:13], s[22:23]
	v_cndmask_b32_e64 v17, v13, v16, s[12:13]
	v_cndmask_b32_e64 v5, v50, v49, s[12:13]
	v_add_u32_e32 v18, 1, v17
	v_add_u32_e32 v5, -1, v5
	v_min_u32_e32 v5, v18, v5
	v_add_u32_e32 v5, v31, v5
	ds_read_u8 v19, v5
	v_cndmask_b32_e64 v16, v16, v18, s[12:13]
	v_cndmask_b32_e64 v13, v18, v13, s[12:13]
	v_cmp_lt_u32_e64 s[26:27], v16, v49
	v_cmp_ge_u32_e64 s[22:23], v13, v50
	s_waitcnt lgkmcnt(0)
	v_cndmask_b32_e64 v32, v19, v28, s[12:13]
	v_cndmask_b32_e64 v39, v29, v19, s[12:13]
	v_cmp_le_u16_sdwa s[28:29], v32, v39 src0_sel:BYTE_0 src1_sel:BYTE_0
	s_and_b64 s[26:27], s[28:29], s[26:27]
	s_or_b64 s[22:23], s[22:23], s[26:27]
	v_cndmask_b32_e64 v20, v13, v16, s[22:23]
	v_cndmask_b32_e64 v18, v50, v49, s[22:23]
	v_add_u32_e32 v21, 1, v20
	v_add_u32_e32 v18, -1, v18
	v_min_u32_e32 v18, v21, v18
	v_add_u32_e32 v18, v31, v18
	ds_read_u8 v22, v18
	ds_read_b64 v[4:5], v4 offset:2048
	ds_read_b64 v[18:19], v12 offset:2048
	v_lshl_add_u32 v12, v17, 3, v30
	ds_read_b64 v[26:27], v12 offset:2048
	s_waitcnt lgkmcnt(3)
	v_cndmask_b32_e64 v12, v22, v32, s[22:23]
	v_cndmask_b32_e64 v48, v39, v22, s[22:23]
	;; [unrolled: 1-line block ×4, first 2 shown]
	v_cmp_lt_u32_e64 s[28:29], v16, v49
	v_cmp_le_u16_sdwa s[30:31], v12, v48 src0_sel:BYTE_0 src1_sel:BYTE_0
	v_cmp_ge_u32_e64 s[26:27], v13, v50
	s_and_b64 s[28:29], s[30:31], s[28:29]
	s_or_b64 s[26:27], s[26:27], s[28:29]
	v_cndmask_b32_e64 v17, v13, v16, s[26:27]
	v_cndmask_b32_e64 v21, v50, v49, s[26:27]
	v_add_u32_e32 v37, 1, v17
	v_add_u32_e32 v21, -1, v21
	v_min_u32_e32 v21, v37, v21
	v_add_u32_e32 v21, v31, v21
	ds_read_u8 v38, v21
	v_lshl_add_u32 v20, v20, 3, v30
	ds_read_b64 v[22:23], v20 offset:2048
	v_cndmask_b32_e64 v53, v16, v37, s[26:27]
	v_cndmask_b32_e64 v13, v37, v13, s[26:27]
	s_waitcnt lgkmcnt(1)
	v_cndmask_b32_e64 v51, v38, v12, s[26:27]
	v_cndmask_b32_e64 v52, v48, v38, s[26:27]
	v_cmp_lt_u32_e64 s[30:31], v53, v49
	v_cmp_le_u16_sdwa s[38:39], v51, v52 src0_sel:BYTE_0 src1_sel:BYTE_0
	v_cmp_ge_u32_e64 s[28:29], v13, v50
	s_and_b64 s[30:31], s[38:39], s[30:31]
	v_lshl_add_u32 v17, v17, 3, v30
	s_or_b64 s[28:29], s[28:29], s[30:31]
	ds_read_b64 v[20:21], v17 offset:2048
	v_cndmask_b32_e64 v16, v13, v53, s[28:29]
	v_cndmask_b32_e64 v17, v50, v49, s[28:29]
	v_lshl_add_u32 v37, v16, 3, v30
	v_add_u32_e32 v54, 1, v16
	v_add_u32_e32 v16, -1, v17
	v_min_u32_e32 v16, v54, v16
	v_add_u32_e32 v16, v31, v16
	ds_read_u8 v55, v16
	ds_read_b64 v[16:17], v37 offset:2048
	v_cndmask_b32_e64 v37, v14, v15, s[20:21]
	v_cndmask_b32_e64 v53, v53, v54, s[28:29]
	;; [unrolled: 1-line block ×3, first 2 shown]
	s_waitcnt lgkmcnt(1)
	v_cndmask_b32_e64 v14, v55, v51, s[28:29]
	v_cndmask_b32_e64 v15, v52, v55, s[28:29]
	;; [unrolled: 1-line block ×3, first 2 shown]
	v_cmp_lt_u32_e64 s[12:13], v53, v49
	v_cmp_le_u16_sdwa s[20:21], v14, v15 src0_sel:BYTE_0 src1_sel:BYTE_0
	v_cmp_ge_u32_e64 s[8:9], v13, v50
	s_and_b64 s[12:13], s[20:21], s[12:13]
	s_or_b64 s[8:9], s[8:9], s[12:13]
	v_cndmask_b32_e64 v10, v13, v53, s[8:9]
	v_cndmask_b32_e64 v11, v50, v49, s[8:9]
	v_lshl_add_u32 v28, v10, 3, v30
	v_add_u32_e32 v54, 1, v10
	v_add_u32_e32 v10, -1, v11
	v_min_u32_e32 v10, v54, v10
	v_add_u32_e32 v10, v31, v10
	ds_read_b64 v[28:29], v28 offset:2048
	ds_read_u8 v55, v10
	v_cndmask_b32_e64 v10, v32, v39, s[22:23]
	v_cndmask_b32_e64 v39, v12, v48, s[26:27]
	;; [unrolled: 1-line block ×4, first 2 shown]
	s_waitcnt lgkmcnt(0)
	v_cndmask_b32_e64 v12, v55, v14, s[8:9]
	v_cndmask_b32_e64 v14, v15, v55, s[8:9]
	;; [unrolled: 1-line block ×3, first 2 shown]
	v_cmp_lt_u32_e64 s[12:13], v15, v49
	v_cmp_le_u16_sdwa s[20:21], v12, v14 src0_sel:BYTE_0 src1_sel:BYTE_0
	v_cmp_ge_u32_e64 s[8:9], v13, v50
	s_and_b64 s[12:13], s[20:21], s[12:13]
	s_or_b64 s[8:9], s[8:9], s[12:13]
	v_cndmask_b32_e64 v15, v13, v15, s[8:9]
	v_cndmask_b32_e64 v11, v51, v52, s[28:29]
	;; [unrolled: 1-line block ×3, first 2 shown]
	v_lshl_add_u32 v14, v15, 3, v30
	v_lshlrev_b16_e32 v12, 8, v48
	v_lshlrev_b16_e32 v13, 8, v11
	ds_read_b64 v[14:15], v14 offset:2048
	v_or_b32_sdwa v12, v32, v12 dst_sel:WORD_1 dst_unused:UNUSED_PAD src0_sel:BYTE_0 src1_sel:DWORD
	v_or_b32_sdwa v13, v39, v13 dst_sel:DWORD dst_unused:UNUSED_PAD src0_sel:BYTE_0 src1_sel:DWORD
	v_or_b32_sdwa v13, v13, v12 dst_sel:DWORD dst_unused:UNUSED_PAD src0_sel:WORD_0 src1_sel:DWORD
	v_lshlrev_b16_e32 v12, 8, v10
	v_lshlrev_b16_e32 v49, 8, v37
	v_or_b32_sdwa v12, v38, v12 dst_sel:WORD_1 dst_unused:UNUSED_PAD src0_sel:BYTE_0 src1_sel:DWORD
	v_or_b32_sdwa v49, v64, v49 dst_sel:DWORD dst_unused:UNUSED_PAD src0_sel:BYTE_0 src1_sel:DWORD
	v_or_b32_sdwa v12, v49, v12 dst_sel:DWORD dst_unused:UNUSED_PAD src0_sel:WORD_0 src1_sel:DWORD
.LBB1542_186:
	s_or_b64 exec, exec, s[36:37]
	v_add_u32_e32 v49, 0x800, v36
	; wave barrier
	ds_write2_b64 v49, v[4:5], v[18:19] offset1:1
	ds_write2_b64 v34, v[26:27], v[22:23] offset0:2 offset1:3
	ds_write2_b64 v34, v[20:21], v[16:17] offset0:4 offset1:5
	v_lshlrev_b16_e32 v49, 8, v11
	v_lshlrev_b16_e32 v50, 8, v48
	v_or_b32_sdwa v49, v39, v49 dst_sel:DWORD dst_unused:UNUSED_PAD src0_sel:BYTE_0 src1_sel:DWORD
	v_or_b32_sdwa v50, v32, v50 dst_sel:WORD_1 dst_unused:UNUSED_PAD src0_sel:BYTE_0 src1_sel:DWORD
	v_or_b32_sdwa v51, v49, v50 dst_sel:DWORD dst_unused:UNUSED_PAD src0_sel:WORD_0 src1_sel:DWORD
	v_lshlrev_b16_e32 v49, 8, v37
	v_lshlrev_b16_e32 v50, 8, v10
	v_or_b32_sdwa v49, v12, v49 dst_sel:DWORD dst_unused:UNUSED_PAD src0_sel:BYTE_0 src1_sel:DWORD
	v_or_b32_sdwa v50, v38, v50 dst_sel:WORD_1 dst_unused:UNUSED_PAD src0_sel:BYTE_0 src1_sel:DWORD
	v_or_b32_sdwa v50, v49, v50 dst_sel:DWORD dst_unused:UNUSED_PAD src0_sel:WORD_0 src1_sel:DWORD
	v_and_b32_e32 v49, 0x3e0, v1
	ds_write_b64 v35, v[50:51]
	s_waitcnt lgkmcnt(4)
	ds_write2_b64 v34, v[28:29], v[14:15] offset0:6 offset1:7
	v_or_b32_e32 v50, 16, v49
	v_min_u32_e32 v50, v33, v50
	v_add_u32_e32 v51, 16, v50
	v_min_u32_e32 v51, v33, v51
	v_and_b32_e32 v52, 24, v1
	v_min_u32_e32 v53, v33, v52
	v_sub_u32_e32 v52, v50, v49
	v_sub_u32_e32 v54, v51, v50
	v_sub_u32_e64 v54, v53, v54 clamp
	v_min_u32_e32 v52, v53, v52
	v_cmp_lt_u32_e64 s[8:9], v54, v52
	; wave barrier
	s_and_saveexec_b64 s[12:13], s[8:9]
	s_cbranch_execz .LBB1542_190
; %bb.187:
	v_add_u32_e32 v55, v31, v49
	v_add3_u32 v64, v31, v50, v53
	s_mov_b64 s[20:21], 0
.LBB1542_188:                           ; =>This Inner Loop Header: Depth=1
	v_add_u32_e32 v65, v52, v54
	v_lshrrev_b32_e32 v65, 1, v65
	v_add_u32_e32 v66, v55, v65
	v_xad_u32 v67, v65, -1, v64
	ds_read_u8 v66, v66
	ds_read_u8 v67, v67
	v_add_u32_e32 v68, 1, v65
	s_waitcnt lgkmcnt(0)
	v_cmp_gt_u16_e64 s[8:9], v67, v66
	v_cndmask_b32_e64 v52, v52, v65, s[8:9]
	v_cndmask_b32_e64 v54, v68, v54, s[8:9]
	v_cmp_ge_u32_e64 s[8:9], v54, v52
	s_or_b64 s[20:21], s[8:9], s[20:21]
	s_andn2_b64 exec, exec, s[20:21]
	s_cbranch_execnz .LBB1542_188
; %bb.189:
	s_or_b64 exec, exec, s[20:21]
.LBB1542_190:
	s_or_b64 exec, exec, s[12:13]
	v_add_u32_e32 v52, v54, v49
	v_add_u32_e32 v49, v50, v53
	v_sub_u32_e32 v53, v49, v54
	v_cmp_le_u32_e64 s[8:9], v52, v50
	v_cmp_le_u32_e64 s[12:13], v53, v51
	s_or_b64 s[8:9], s[8:9], s[12:13]
	v_mov_b32_e32 v49, v12
	s_and_saveexec_b64 s[36:37], s[8:9]
	s_cbranch_execz .LBB1542_196
; %bb.191:
	v_cmp_lt_u32_e64 s[8:9], v52, v50
                                        ; implicit-def: $vgpr10
	s_and_saveexec_b64 s[12:13], s[8:9]
	s_cbranch_execz .LBB1542_193
; %bb.192:
	v_add_u32_e32 v4, v31, v52
	ds_read_u8 v10, v4
.LBB1542_193:
	s_or_b64 exec, exec, s[12:13]
	v_cmp_ge_u32_e64 s[20:21], v53, v51
	v_cmp_lt_u32_e64 s[12:13], v53, v51
                                        ; implicit-def: $vgpr11
	s_and_saveexec_b64 s[22:23], s[12:13]
	s_cbranch_execz .LBB1542_195
; %bb.194:
	v_add_u32_e32 v4, v31, v53
	ds_read_u8 v11, v4
.LBB1542_195:
	s_or_b64 exec, exec, s[22:23]
	s_waitcnt lgkmcnt(0)
	v_cmp_le_u16_sdwa s[12:13], v11, v10 src0_sel:BYTE_0 src1_sel:BYTE_0
	s_and_b64 s[8:9], s[8:9], s[12:13]
	s_or_b64 s[8:9], s[20:21], s[8:9]
	v_cndmask_b32_e64 v4, v53, v52, s[8:9]
	v_cndmask_b32_e64 v5, v51, v50, s[8:9]
	v_add_u32_e32 v12, 1, v4
	v_add_u32_e32 v5, -1, v5
	v_min_u32_e32 v5, v12, v5
	v_add_u32_e32 v5, v31, v5
	ds_read_u8 v5, v5
	v_cndmask_b32_e64 v13, v12, v53, s[8:9]
	v_cmp_ge_u32_e64 s[12:13], v13, v51
	v_lshl_add_u32 v4, v4, 3, v30
	v_cndmask_b32_e64 v49, v11, v10, s[8:9]
	s_waitcnt lgkmcnt(0)
	v_cndmask_b32_e64 v14, v5, v11, s[8:9]
	v_cndmask_b32_e64 v15, v10, v5, s[8:9]
	;; [unrolled: 1-line block ×3, first 2 shown]
	v_cmp_lt_u32_e64 s[20:21], v5, v50
	v_cmp_le_u16_sdwa s[22:23], v14, v15 src0_sel:BYTE_0 src1_sel:BYTE_0
	s_and_b64 s[20:21], s[22:23], s[20:21]
	s_or_b64 s[20:21], s[12:13], s[20:21]
	v_cndmask_b32_e64 v12, v13, v5, s[20:21]
	v_cndmask_b32_e64 v16, v51, v50, s[20:21]
	v_add_u32_e32 v17, 1, v12
	v_add_u32_e32 v16, -1, v16
	v_min_u32_e32 v16, v17, v16
	v_add_u32_e32 v16, v31, v16
	ds_read_u8 v16, v16
	v_cndmask_b32_e64 v13, v17, v13, s[20:21]
	v_cmp_ge_u32_e64 s[12:13], v13, v51
	v_lshl_add_u32 v12, v12, 3, v30
	s_waitcnt lgkmcnt(0)
	v_cndmask_b32_e64 v28, v16, v14, s[20:21]
	v_cndmask_b32_e64 v29, v15, v16, s[20:21]
	;; [unrolled: 1-line block ×3, first 2 shown]
	v_cmp_lt_u32_e64 s[22:23], v16, v50
	v_cmp_le_u16_sdwa s[26:27], v28, v29 src0_sel:BYTE_0 src1_sel:BYTE_0
	s_and_b64 s[22:23], s[26:27], s[22:23]
	s_or_b64 s[12:13], s[12:13], s[22:23]
	v_cndmask_b32_e64 v17, v13, v16, s[12:13]
	v_cndmask_b32_e64 v5, v51, v50, s[12:13]
	v_add_u32_e32 v18, 1, v17
	v_add_u32_e32 v5, -1, v5
	v_min_u32_e32 v5, v18, v5
	v_add_u32_e32 v5, v31, v5
	ds_read_u8 v19, v5
	v_cndmask_b32_e64 v16, v16, v18, s[12:13]
	v_cndmask_b32_e64 v13, v18, v13, s[12:13]
	v_cmp_lt_u32_e64 s[26:27], v16, v50
	v_cmp_ge_u32_e64 s[22:23], v13, v51
	s_waitcnt lgkmcnt(0)
	v_cndmask_b32_e64 v32, v19, v28, s[12:13]
	v_cndmask_b32_e64 v39, v29, v19, s[12:13]
	v_cmp_le_u16_sdwa s[28:29], v32, v39 src0_sel:BYTE_0 src1_sel:BYTE_0
	s_and_b64 s[26:27], s[28:29], s[26:27]
	s_or_b64 s[22:23], s[22:23], s[26:27]
	v_cndmask_b32_e64 v20, v13, v16, s[22:23]
	v_cndmask_b32_e64 v18, v51, v50, s[22:23]
	v_add_u32_e32 v21, 1, v20
	v_add_u32_e32 v18, -1, v18
	v_min_u32_e32 v18, v21, v18
	v_add_u32_e32 v18, v31, v18
	ds_read_u8 v22, v18
	ds_read_b64 v[4:5], v4 offset:2048
	ds_read_b64 v[18:19], v12 offset:2048
	v_lshl_add_u32 v12, v17, 3, v30
	ds_read_b64 v[26:27], v12 offset:2048
	s_waitcnt lgkmcnt(3)
	v_cndmask_b32_e64 v12, v22, v32, s[22:23]
	v_cndmask_b32_e64 v48, v39, v22, s[22:23]
	;; [unrolled: 1-line block ×4, first 2 shown]
	v_cmp_lt_u32_e64 s[28:29], v16, v50
	v_cmp_le_u16_sdwa s[30:31], v12, v48 src0_sel:BYTE_0 src1_sel:BYTE_0
	v_cmp_ge_u32_e64 s[26:27], v13, v51
	s_and_b64 s[28:29], s[30:31], s[28:29]
	s_or_b64 s[26:27], s[26:27], s[28:29]
	v_cndmask_b32_e64 v17, v13, v16, s[26:27]
	v_cndmask_b32_e64 v21, v51, v50, s[26:27]
	v_add_u32_e32 v37, 1, v17
	v_add_u32_e32 v21, -1, v21
	v_min_u32_e32 v21, v37, v21
	v_add_u32_e32 v21, v31, v21
	ds_read_u8 v38, v21
	v_lshl_add_u32 v20, v20, 3, v30
	ds_read_b64 v[22:23], v20 offset:2048
	v_cndmask_b32_e64 v54, v16, v37, s[26:27]
	v_cndmask_b32_e64 v13, v37, v13, s[26:27]
	s_waitcnt lgkmcnt(1)
	v_cndmask_b32_e64 v52, v38, v12, s[26:27]
	v_cndmask_b32_e64 v53, v48, v38, s[26:27]
	v_cmp_lt_u32_e64 s[30:31], v54, v50
	v_cmp_le_u16_sdwa s[38:39], v52, v53 src0_sel:BYTE_0 src1_sel:BYTE_0
	v_cmp_ge_u32_e64 s[28:29], v13, v51
	s_and_b64 s[30:31], s[38:39], s[30:31]
	v_lshl_add_u32 v17, v17, 3, v30
	s_or_b64 s[28:29], s[28:29], s[30:31]
	ds_read_b64 v[20:21], v17 offset:2048
	v_cndmask_b32_e64 v16, v13, v54, s[28:29]
	v_cndmask_b32_e64 v17, v51, v50, s[28:29]
	v_lshl_add_u32 v37, v16, 3, v30
	v_add_u32_e32 v55, 1, v16
	v_add_u32_e32 v16, -1, v17
	v_min_u32_e32 v16, v55, v16
	v_add_u32_e32 v16, v31, v16
	ds_read_u8 v64, v16
	ds_read_b64 v[16:17], v37 offset:2048
	v_cndmask_b32_e64 v37, v14, v15, s[20:21]
	v_cndmask_b32_e64 v54, v54, v55, s[28:29]
	;; [unrolled: 1-line block ×3, first 2 shown]
	s_waitcnt lgkmcnt(1)
	v_cndmask_b32_e64 v14, v64, v52, s[28:29]
	v_cndmask_b32_e64 v15, v53, v64, s[28:29]
	;; [unrolled: 1-line block ×3, first 2 shown]
	v_cmp_lt_u32_e64 s[12:13], v54, v50
	v_cmp_le_u16_sdwa s[20:21], v14, v15 src0_sel:BYTE_0 src1_sel:BYTE_0
	v_cmp_ge_u32_e64 s[8:9], v13, v51
	s_and_b64 s[12:13], s[20:21], s[12:13]
	s_or_b64 s[8:9], s[8:9], s[12:13]
	v_cndmask_b32_e64 v10, v13, v54, s[8:9]
	v_cndmask_b32_e64 v11, v51, v50, s[8:9]
	v_lshl_add_u32 v28, v10, 3, v30
	v_add_u32_e32 v55, 1, v10
	v_add_u32_e32 v10, -1, v11
	v_min_u32_e32 v10, v55, v10
	v_add_u32_e32 v10, v31, v10
	ds_read_b64 v[28:29], v28 offset:2048
	ds_read_u8 v64, v10
	v_cndmask_b32_e64 v10, v32, v39, s[22:23]
	v_cndmask_b32_e64 v39, v12, v48, s[26:27]
	;; [unrolled: 1-line block ×4, first 2 shown]
	s_waitcnt lgkmcnt(0)
	v_cndmask_b32_e64 v12, v64, v14, s[8:9]
	v_cndmask_b32_e64 v14, v15, v64, s[8:9]
	;; [unrolled: 1-line block ×3, first 2 shown]
	v_cmp_lt_u32_e64 s[12:13], v15, v50
	v_cmp_le_u16_sdwa s[20:21], v12, v14 src0_sel:BYTE_0 src1_sel:BYTE_0
	v_cmp_ge_u32_e64 s[8:9], v13, v51
	s_and_b64 s[12:13], s[20:21], s[12:13]
	s_or_b64 s[8:9], s[8:9], s[12:13]
	v_cndmask_b32_e64 v15, v13, v15, s[8:9]
	v_cndmask_b32_e64 v11, v52, v53, s[28:29]
	;; [unrolled: 1-line block ×3, first 2 shown]
	v_lshl_add_u32 v14, v15, 3, v30
	v_lshlrev_b16_e32 v12, 8, v48
	v_lshlrev_b16_e32 v13, 8, v11
	ds_read_b64 v[14:15], v14 offset:2048
	v_or_b32_sdwa v12, v32, v12 dst_sel:WORD_1 dst_unused:UNUSED_PAD src0_sel:BYTE_0 src1_sel:DWORD
	v_or_b32_sdwa v13, v39, v13 dst_sel:DWORD dst_unused:UNUSED_PAD src0_sel:BYTE_0 src1_sel:DWORD
	v_or_b32_sdwa v13, v13, v12 dst_sel:DWORD dst_unused:UNUSED_PAD src0_sel:WORD_0 src1_sel:DWORD
	v_lshlrev_b16_e32 v12, 8, v10
	v_lshlrev_b16_e32 v50, 8, v37
	v_or_b32_sdwa v12, v38, v12 dst_sel:WORD_1 dst_unused:UNUSED_PAD src0_sel:BYTE_0 src1_sel:DWORD
	v_or_b32_sdwa v50, v49, v50 dst_sel:DWORD dst_unused:UNUSED_PAD src0_sel:BYTE_0 src1_sel:DWORD
	v_or_b32_sdwa v12, v50, v12 dst_sel:DWORD dst_unused:UNUSED_PAD src0_sel:WORD_0 src1_sel:DWORD
.LBB1542_196:
	s_or_b64 exec, exec, s[36:37]
	v_add_u32_e32 v50, 0x800, v36
	; wave barrier
	ds_write2_b64 v50, v[4:5], v[18:19] offset1:1
	ds_write2_b64 v34, v[26:27], v[22:23] offset0:2 offset1:3
	ds_write2_b64 v34, v[20:21], v[16:17] offset0:4 offset1:5
	v_lshlrev_b16_e32 v50, 8, v11
	v_lshlrev_b16_e32 v51, 8, v48
	v_or_b32_sdwa v50, v39, v50 dst_sel:DWORD dst_unused:UNUSED_PAD src0_sel:BYTE_0 src1_sel:DWORD
	v_or_b32_sdwa v51, v32, v51 dst_sel:WORD_1 dst_unused:UNUSED_PAD src0_sel:BYTE_0 src1_sel:DWORD
	v_or_b32_sdwa v51, v50, v51 dst_sel:DWORD dst_unused:UNUSED_PAD src0_sel:WORD_0 src1_sel:DWORD
	v_lshlrev_b16_e32 v50, 8, v37
	v_lshlrev_b16_e32 v52, 8, v10
	v_or_b32_sdwa v50, v49, v50 dst_sel:DWORD dst_unused:UNUSED_PAD src0_sel:BYTE_0 src1_sel:DWORD
	v_or_b32_sdwa v52, v38, v52 dst_sel:WORD_1 dst_unused:UNUSED_PAD src0_sel:BYTE_0 src1_sel:DWORD
	v_or_b32_sdwa v50, v50, v52 dst_sel:DWORD dst_unused:UNUSED_PAD src0_sel:WORD_0 src1_sel:DWORD
	v_and_b32_e32 v52, 0x3c0, v1
	ds_write_b64 v35, v[50:51]
	s_waitcnt lgkmcnt(4)
	ds_write2_b64 v34, v[28:29], v[14:15] offset0:6 offset1:7
	v_or_b32_e32 v50, 32, v52
	v_min_u32_e32 v50, v33, v50
	v_add_u32_e32 v51, 32, v50
	v_min_u32_e32 v51, v33, v51
	v_and_b32_e32 v53, 56, v1
	v_min_u32_e32 v53, v33, v53
	v_sub_u32_e32 v55, v50, v52
	v_sub_u32_e32 v54, v51, v50
	v_sub_u32_e64 v54, v53, v54 clamp
	v_min_u32_e32 v55, v53, v55
	v_cmp_lt_u32_e64 s[8:9], v54, v55
	; wave barrier
	s_and_saveexec_b64 s[12:13], s[8:9]
	s_cbranch_execz .LBB1542_200
; %bb.197:
	v_add_u32_e32 v64, v31, v52
	v_add3_u32 v65, v31, v50, v53
	s_mov_b64 s[20:21], 0
.LBB1542_198:                           ; =>This Inner Loop Header: Depth=1
	v_add_u32_e32 v66, v55, v54
	v_lshrrev_b32_e32 v66, 1, v66
	v_add_u32_e32 v67, v64, v66
	v_xad_u32 v68, v66, -1, v65
	ds_read_u8 v67, v67
	ds_read_u8 v68, v68
	v_add_u32_e32 v69, 1, v66
	s_waitcnt lgkmcnt(0)
	v_cmp_gt_u16_e64 s[8:9], v68, v67
	v_cndmask_b32_e64 v55, v55, v66, s[8:9]
	v_cndmask_b32_e64 v54, v69, v54, s[8:9]
	v_cmp_ge_u32_e64 s[8:9], v54, v55
	s_or_b64 s[20:21], s[8:9], s[20:21]
	s_andn2_b64 exec, exec, s[20:21]
	s_cbranch_execnz .LBB1542_198
; %bb.199:
	s_or_b64 exec, exec, s[20:21]
.LBB1542_200:
	s_or_b64 exec, exec, s[12:13]
	v_add_u32_e32 v53, v50, v53
	v_add_u32_e32 v52, v54, v52
	v_sub_u32_e32 v53, v53, v54
	v_cmp_le_u32_e64 s[8:9], v52, v50
	v_cmp_le_u32_e64 s[12:13], v53, v51
	s_or_b64 s[8:9], s[8:9], s[12:13]
	s_and_saveexec_b64 s[36:37], s[8:9]
	s_cbranch_execz .LBB1542_206
; %bb.201:
	v_cmp_lt_u32_e64 s[8:9], v52, v50
                                        ; implicit-def: $vgpr10
	s_and_saveexec_b64 s[12:13], s[8:9]
	s_cbranch_execz .LBB1542_203
; %bb.202:
	v_add_u32_e32 v4, v31, v52
	ds_read_u8 v10, v4
.LBB1542_203:
	s_or_b64 exec, exec, s[12:13]
	v_cmp_ge_u32_e64 s[20:21], v53, v51
	v_cmp_lt_u32_e64 s[12:13], v53, v51
                                        ; implicit-def: $vgpr11
	s_and_saveexec_b64 s[22:23], s[12:13]
	s_cbranch_execz .LBB1542_205
; %bb.204:
	v_add_u32_e32 v4, v31, v53
	ds_read_u8 v11, v4
.LBB1542_205:
	s_or_b64 exec, exec, s[22:23]
	s_waitcnt lgkmcnt(0)
	v_cmp_le_u16_sdwa s[12:13], v11, v10 src0_sel:BYTE_0 src1_sel:BYTE_0
	s_and_b64 s[8:9], s[8:9], s[12:13]
	s_or_b64 s[8:9], s[20:21], s[8:9]
	v_cndmask_b32_e64 v4, v53, v52, s[8:9]
	v_cndmask_b32_e64 v5, v51, v50, s[8:9]
	v_add_u32_e32 v12, 1, v4
	v_add_u32_e32 v5, -1, v5
	v_min_u32_e32 v5, v12, v5
	v_add_u32_e32 v5, v31, v5
	ds_read_u8 v5, v5
	v_cndmask_b32_e64 v13, v12, v53, s[8:9]
	v_cmp_ge_u32_e64 s[12:13], v13, v51
	v_lshl_add_u32 v4, v4, 3, v30
	v_cndmask_b32_e64 v49, v11, v10, s[8:9]
	s_waitcnt lgkmcnt(0)
	v_cndmask_b32_e64 v14, v5, v11, s[8:9]
	v_cndmask_b32_e64 v15, v10, v5, s[8:9]
	;; [unrolled: 1-line block ×3, first 2 shown]
	v_cmp_lt_u32_e64 s[20:21], v5, v50
	v_cmp_le_u16_sdwa s[22:23], v14, v15 src0_sel:BYTE_0 src1_sel:BYTE_0
	s_and_b64 s[20:21], s[22:23], s[20:21]
	s_or_b64 s[20:21], s[12:13], s[20:21]
	v_cndmask_b32_e64 v12, v13, v5, s[20:21]
	v_cndmask_b32_e64 v16, v51, v50, s[20:21]
	v_add_u32_e32 v17, 1, v12
	v_add_u32_e32 v16, -1, v16
	v_min_u32_e32 v16, v17, v16
	v_add_u32_e32 v16, v31, v16
	ds_read_u8 v16, v16
	v_cndmask_b32_e64 v13, v17, v13, s[20:21]
	v_cmp_ge_u32_e64 s[12:13], v13, v51
	v_lshl_add_u32 v12, v12, 3, v30
	s_waitcnt lgkmcnt(0)
	v_cndmask_b32_e64 v28, v16, v14, s[20:21]
	v_cndmask_b32_e64 v29, v15, v16, s[20:21]
	;; [unrolled: 1-line block ×3, first 2 shown]
	v_cmp_lt_u32_e64 s[22:23], v16, v50
	v_cmp_le_u16_sdwa s[26:27], v28, v29 src0_sel:BYTE_0 src1_sel:BYTE_0
	s_and_b64 s[22:23], s[26:27], s[22:23]
	s_or_b64 s[12:13], s[12:13], s[22:23]
	v_cndmask_b32_e64 v17, v13, v16, s[12:13]
	v_cndmask_b32_e64 v5, v51, v50, s[12:13]
	v_add_u32_e32 v18, 1, v17
	v_add_u32_e32 v5, -1, v5
	v_min_u32_e32 v5, v18, v5
	v_add_u32_e32 v5, v31, v5
	ds_read_u8 v19, v5
	v_cndmask_b32_e64 v16, v16, v18, s[12:13]
	v_cndmask_b32_e64 v13, v18, v13, s[12:13]
	v_cmp_lt_u32_e64 s[26:27], v16, v50
	v_cmp_ge_u32_e64 s[22:23], v13, v51
	s_waitcnt lgkmcnt(0)
	v_cndmask_b32_e64 v32, v19, v28, s[12:13]
	v_cndmask_b32_e64 v39, v29, v19, s[12:13]
	v_cmp_le_u16_sdwa s[28:29], v32, v39 src0_sel:BYTE_0 src1_sel:BYTE_0
	s_and_b64 s[26:27], s[28:29], s[26:27]
	s_or_b64 s[22:23], s[22:23], s[26:27]
	v_cndmask_b32_e64 v20, v13, v16, s[22:23]
	v_cndmask_b32_e64 v18, v51, v50, s[22:23]
	v_add_u32_e32 v21, 1, v20
	v_add_u32_e32 v18, -1, v18
	v_min_u32_e32 v18, v21, v18
	v_add_u32_e32 v18, v31, v18
	ds_read_u8 v22, v18
	ds_read_b64 v[4:5], v4 offset:2048
	ds_read_b64 v[18:19], v12 offset:2048
	v_lshl_add_u32 v12, v17, 3, v30
	ds_read_b64 v[26:27], v12 offset:2048
	s_waitcnt lgkmcnt(3)
	v_cndmask_b32_e64 v12, v22, v32, s[22:23]
	v_cndmask_b32_e64 v48, v39, v22, s[22:23]
	;; [unrolled: 1-line block ×4, first 2 shown]
	v_cmp_lt_u32_e64 s[28:29], v16, v50
	v_cmp_le_u16_sdwa s[30:31], v12, v48 src0_sel:BYTE_0 src1_sel:BYTE_0
	v_cmp_ge_u32_e64 s[26:27], v13, v51
	s_and_b64 s[28:29], s[30:31], s[28:29]
	s_or_b64 s[26:27], s[26:27], s[28:29]
	v_cndmask_b32_e64 v17, v13, v16, s[26:27]
	v_cndmask_b32_e64 v21, v51, v50, s[26:27]
	v_add_u32_e32 v37, 1, v17
	v_add_u32_e32 v21, -1, v21
	v_min_u32_e32 v21, v37, v21
	v_add_u32_e32 v21, v31, v21
	ds_read_u8 v38, v21
	v_lshl_add_u32 v20, v20, 3, v30
	ds_read_b64 v[22:23], v20 offset:2048
	v_cndmask_b32_e64 v54, v16, v37, s[26:27]
	v_cndmask_b32_e64 v13, v37, v13, s[26:27]
	s_waitcnt lgkmcnt(1)
	v_cndmask_b32_e64 v52, v38, v12, s[26:27]
	v_cndmask_b32_e64 v53, v48, v38, s[26:27]
	v_cmp_lt_u32_e64 s[30:31], v54, v50
	v_cmp_le_u16_sdwa s[38:39], v52, v53 src0_sel:BYTE_0 src1_sel:BYTE_0
	v_cmp_ge_u32_e64 s[28:29], v13, v51
	s_and_b64 s[30:31], s[38:39], s[30:31]
	v_lshl_add_u32 v17, v17, 3, v30
	s_or_b64 s[28:29], s[28:29], s[30:31]
	ds_read_b64 v[20:21], v17 offset:2048
	v_cndmask_b32_e64 v16, v13, v54, s[28:29]
	v_cndmask_b32_e64 v17, v51, v50, s[28:29]
	v_lshl_add_u32 v37, v16, 3, v30
	v_add_u32_e32 v55, 1, v16
	v_add_u32_e32 v16, -1, v17
	v_min_u32_e32 v16, v55, v16
	v_add_u32_e32 v16, v31, v16
	ds_read_u8 v64, v16
	ds_read_b64 v[16:17], v37 offset:2048
	v_cndmask_b32_e64 v37, v14, v15, s[20:21]
	v_cndmask_b32_e64 v54, v54, v55, s[28:29]
	;; [unrolled: 1-line block ×3, first 2 shown]
	s_waitcnt lgkmcnt(1)
	v_cndmask_b32_e64 v14, v64, v52, s[28:29]
	v_cndmask_b32_e64 v15, v53, v64, s[28:29]
	;; [unrolled: 1-line block ×3, first 2 shown]
	v_cmp_lt_u32_e64 s[12:13], v54, v50
	v_cmp_le_u16_sdwa s[20:21], v14, v15 src0_sel:BYTE_0 src1_sel:BYTE_0
	v_cmp_ge_u32_e64 s[8:9], v13, v51
	s_and_b64 s[12:13], s[20:21], s[12:13]
	s_or_b64 s[8:9], s[8:9], s[12:13]
	v_cndmask_b32_e64 v10, v13, v54, s[8:9]
	v_cndmask_b32_e64 v11, v51, v50, s[8:9]
	v_lshl_add_u32 v28, v10, 3, v30
	v_add_u32_e32 v55, 1, v10
	v_add_u32_e32 v10, -1, v11
	v_min_u32_e32 v10, v55, v10
	v_add_u32_e32 v10, v31, v10
	ds_read_b64 v[28:29], v28 offset:2048
	ds_read_u8 v64, v10
	v_cndmask_b32_e64 v10, v32, v39, s[22:23]
	v_cndmask_b32_e64 v39, v12, v48, s[26:27]
	;; [unrolled: 1-line block ×4, first 2 shown]
	s_waitcnt lgkmcnt(0)
	v_cndmask_b32_e64 v12, v64, v14, s[8:9]
	v_cndmask_b32_e64 v14, v15, v64, s[8:9]
	v_cndmask_b32_e64 v15, v54, v55, s[8:9]
	v_cmp_lt_u32_e64 s[12:13], v15, v50
	v_cmp_le_u16_sdwa s[20:21], v12, v14 src0_sel:BYTE_0 src1_sel:BYTE_0
	v_cmp_ge_u32_e64 s[8:9], v13, v51
	s_and_b64 s[12:13], s[20:21], s[12:13]
	s_or_b64 s[8:9], s[8:9], s[12:13]
	v_cndmask_b32_e64 v15, v13, v15, s[8:9]
	v_cndmask_b32_e64 v11, v52, v53, s[28:29]
	;; [unrolled: 1-line block ×3, first 2 shown]
	v_lshl_add_u32 v14, v15, 3, v30
	v_lshlrev_b16_e32 v12, 8, v48
	v_lshlrev_b16_e32 v13, 8, v11
	ds_read_b64 v[14:15], v14 offset:2048
	v_or_b32_sdwa v12, v32, v12 dst_sel:WORD_1 dst_unused:UNUSED_PAD src0_sel:BYTE_0 src1_sel:DWORD
	v_or_b32_sdwa v13, v39, v13 dst_sel:DWORD dst_unused:UNUSED_PAD src0_sel:BYTE_0 src1_sel:DWORD
	v_or_b32_sdwa v13, v13, v12 dst_sel:DWORD dst_unused:UNUSED_PAD src0_sel:WORD_0 src1_sel:DWORD
	v_lshlrev_b16_e32 v12, 8, v10
	v_lshlrev_b16_e32 v50, 8, v37
	v_or_b32_sdwa v12, v38, v12 dst_sel:WORD_1 dst_unused:UNUSED_PAD src0_sel:BYTE_0 src1_sel:DWORD
	v_or_b32_sdwa v50, v49, v50 dst_sel:DWORD dst_unused:UNUSED_PAD src0_sel:BYTE_0 src1_sel:DWORD
	v_or_b32_sdwa v12, v50, v12 dst_sel:DWORD dst_unused:UNUSED_PAD src0_sel:WORD_0 src1_sel:DWORD
.LBB1542_206:
	s_or_b64 exec, exec, s[36:37]
	v_add_u32_e32 v36, 0x800, v36
	; wave barrier
	ds_write2_b64 v36, v[4:5], v[18:19] offset1:1
	ds_write2_b64 v34, v[26:27], v[22:23] offset0:2 offset1:3
	ds_write2_b64 v34, v[20:21], v[16:17] offset0:4 offset1:5
	v_lshlrev_b16_e32 v11, 8, v11
	v_lshlrev_b16_e32 v36, 8, v48
	v_or_b32_sdwa v11, v39, v11 dst_sel:DWORD dst_unused:UNUSED_PAD src0_sel:BYTE_0 src1_sel:DWORD
	v_or_b32_sdwa v32, v32, v36 dst_sel:WORD_1 dst_unused:UNUSED_PAD src0_sel:BYTE_0 src1_sel:DWORD
	v_or_b32_sdwa v11, v11, v32 dst_sel:DWORD dst_unused:UNUSED_PAD src0_sel:WORD_0 src1_sel:DWORD
	v_lshlrev_b16_e32 v32, 8, v37
	v_lshlrev_b16_e32 v10, 8, v10
	v_or_b32_sdwa v32, v49, v32 dst_sel:DWORD dst_unused:UNUSED_PAD src0_sel:BYTE_0 src1_sel:DWORD
	v_or_b32_sdwa v10, v38, v10 dst_sel:WORD_1 dst_unused:UNUSED_PAD src0_sel:BYTE_0 src1_sel:DWORD
	v_or_b32_sdwa v10, v32, v10 dst_sel:DWORD dst_unused:UNUSED_PAD src0_sel:WORD_0 src1_sel:DWORD
	ds_write_b64 v35, v[10:11]
	s_waitcnt lgkmcnt(4)
	ds_write2_b64 v34, v[28:29], v[14:15] offset0:6 offset1:7
	v_and_b32_e32 v11, 0x380, v1
	v_or_b32_e32 v1, 64, v11
	v_min_u32_e32 v1, v33, v1
	v_add_u32_e32 v10, 64, v1
	v_min_u32_e32 v10, v33, v10
	v_min_u32_e32 v33, v33, v0
	v_sub_u32_e32 v32, v1, v11
	v_sub_u32_e32 v34, v10, v1
	v_sub_u32_e64 v34, v33, v34 clamp
	v_min_u32_e32 v32, v33, v32
	v_cmp_lt_u32_e64 s[8:9], v34, v32
	; wave barrier
	s_and_saveexec_b64 s[12:13], s[8:9]
	s_cbranch_execz .LBB1542_210
; %bb.207:
	v_add_u32_e32 v35, v31, v11
	v_add3_u32 v36, v31, v1, v33
	s_mov_b64 s[20:21], 0
.LBB1542_208:                           ; =>This Inner Loop Header: Depth=1
	v_add_u32_e32 v37, v32, v34
	v_lshrrev_b32_e32 v37, 1, v37
	v_add_u32_e32 v38, v35, v37
	v_xad_u32 v39, v37, -1, v36
	ds_read_u8 v38, v38
	ds_read_u8 v39, v39
	v_add_u32_e32 v48, 1, v37
	s_waitcnt lgkmcnt(0)
	v_cmp_gt_u16_e64 s[8:9], v39, v38
	v_cndmask_b32_e64 v32, v32, v37, s[8:9]
	v_cndmask_b32_e64 v34, v48, v34, s[8:9]
	v_cmp_ge_u32_e64 s[8:9], v34, v32
	s_or_b64 s[20:21], s[8:9], s[20:21]
	s_andn2_b64 exec, exec, s[20:21]
	s_cbranch_execnz .LBB1542_208
; %bb.209:
	s_or_b64 exec, exec, s[20:21]
.LBB1542_210:
	s_or_b64 exec, exec, s[12:13]
	v_add_u32_e32 v32, v34, v11
	v_add_u32_e32 v11, v1, v33
	v_sub_u32_e32 v33, v11, v34
	v_cmp_le_u32_e64 s[8:9], v32, v1
	v_cmp_le_u32_e64 s[12:13], v33, v10
	s_or_b64 s[8:9], s[8:9], s[12:13]
	s_and_saveexec_b64 s[36:37], s[8:9]
	s_cbranch_execz .LBB1542_216
; %bb.211:
	v_cmp_lt_u32_e64 s[8:9], v32, v1
                                        ; implicit-def: $vgpr11
	s_and_saveexec_b64 s[12:13], s[8:9]
	s_cbranch_execz .LBB1542_213
; %bb.212:
	v_add_u32_e32 v4, v31, v32
	ds_read_u8 v11, v4
.LBB1542_213:
	s_or_b64 exec, exec, s[12:13]
	v_cmp_ge_u32_e64 s[20:21], v33, v10
	v_cmp_lt_u32_e64 s[12:13], v33, v10
                                        ; implicit-def: $vgpr12
	s_and_saveexec_b64 s[22:23], s[12:13]
	s_cbranch_execz .LBB1542_215
; %bb.214:
	v_add_u32_e32 v4, v31, v33
	ds_read_u8 v12, v4
.LBB1542_215:
	s_or_b64 exec, exec, s[22:23]
	s_waitcnt lgkmcnt(0)
	v_cmp_le_u16_sdwa s[12:13], v12, v11 src0_sel:BYTE_0 src1_sel:BYTE_0
	s_and_b64 s[8:9], s[8:9], s[12:13]
	s_or_b64 s[8:9], s[20:21], s[8:9]
	v_cndmask_b32_e64 v4, v33, v32, s[8:9]
	v_cndmask_b32_e64 v5, v10, v1, s[8:9]
	v_add_u32_e32 v13, 1, v4
	v_add_u32_e32 v5, -1, v5
	v_min_u32_e32 v5, v13, v5
	v_add_u32_e32 v5, v31, v5
	ds_read_u8 v5, v5
	v_cndmask_b32_e64 v14, v13, v33, s[8:9]
	v_cmp_ge_u32_e64 s[12:13], v14, v10
	v_lshl_add_u32 v4, v4, 3, v30
	s_waitcnt lgkmcnt(0)
	v_cndmask_b32_e64 v15, v5, v12, s[8:9]
	v_cndmask_b32_e64 v28, v11, v5, s[8:9]
	;; [unrolled: 1-line block ×3, first 2 shown]
	v_cmp_lt_u32_e64 s[20:21], v5, v1
	v_cmp_le_u16_sdwa s[22:23], v15, v28 src0_sel:BYTE_0 src1_sel:BYTE_0
	s_and_b64 s[20:21], s[22:23], s[20:21]
	s_or_b64 s[20:21], s[12:13], s[20:21]
	v_cndmask_b32_e64 v13, v14, v5, s[20:21]
	v_cndmask_b32_e64 v16, v10, v1, s[20:21]
	v_add_u32_e32 v17, 1, v13
	v_add_u32_e32 v16, -1, v16
	v_min_u32_e32 v16, v17, v16
	v_add_u32_e32 v16, v31, v16
	ds_read_u8 v16, v16
	v_cndmask_b32_e64 v14, v17, v14, s[20:21]
	v_cmp_ge_u32_e64 s[12:13], v14, v10
	v_lshl_add_u32 v13, v13, 3, v30
	v_cndmask_b32_e64 v11, v12, v11, s[8:9]
	s_waitcnt lgkmcnt(0)
	v_cndmask_b32_e64 v29, v16, v15, s[20:21]
	v_cndmask_b32_e64 v32, v28, v16, s[20:21]
	;; [unrolled: 1-line block ×3, first 2 shown]
	v_cmp_lt_u32_e64 s[22:23], v16, v1
	v_cmp_le_u16_sdwa s[26:27], v29, v32 src0_sel:BYTE_0 src1_sel:BYTE_0
	s_and_b64 s[22:23], s[26:27], s[22:23]
	s_or_b64 s[12:13], s[12:13], s[22:23]
	v_cndmask_b32_e64 v17, v14, v16, s[12:13]
	v_cndmask_b32_e64 v5, v10, v1, s[12:13]
	v_add_u32_e32 v18, 1, v17
	v_add_u32_e32 v5, -1, v5
	v_min_u32_e32 v5, v18, v5
	v_add_u32_e32 v5, v31, v5
	ds_read_u8 v19, v5
	v_cndmask_b32_e64 v16, v16, v18, s[12:13]
	v_cndmask_b32_e64 v14, v18, v14, s[12:13]
	v_cmp_lt_u32_e64 s[26:27], v16, v1
	v_cmp_ge_u32_e64 s[22:23], v14, v10
	s_waitcnt lgkmcnt(0)
	v_cndmask_b32_e64 v33, v19, v29, s[12:13]
	v_cndmask_b32_e64 v34, v32, v19, s[12:13]
	v_cmp_le_u16_sdwa s[28:29], v33, v34 src0_sel:BYTE_0 src1_sel:BYTE_0
	s_and_b64 s[26:27], s[28:29], s[26:27]
	s_or_b64 s[22:23], s[22:23], s[26:27]
	v_cndmask_b32_e64 v20, v14, v16, s[22:23]
	v_cndmask_b32_e64 v18, v10, v1, s[22:23]
	v_add_u32_e32 v21, 1, v20
	v_add_u32_e32 v18, -1, v18
	v_min_u32_e32 v18, v21, v18
	v_add_u32_e32 v18, v31, v18
	ds_read_u8 v22, v18
	ds_read_b64 v[4:5], v4 offset:2048
	ds_read_b64 v[18:19], v13 offset:2048
	v_lshl_add_u32 v13, v17, 3, v30
	ds_read_b64 v[26:27], v13 offset:2048
	s_waitcnt lgkmcnt(3)
	v_cndmask_b32_e64 v13, v22, v33, s[22:23]
	v_cndmask_b32_e64 v35, v34, v22, s[22:23]
	;; [unrolled: 1-line block ×4, first 2 shown]
	v_cmp_lt_u32_e64 s[28:29], v16, v1
	v_cmp_le_u16_sdwa s[30:31], v13, v35 src0_sel:BYTE_0 src1_sel:BYTE_0
	v_cmp_ge_u32_e64 s[26:27], v14, v10
	s_and_b64 s[28:29], s[30:31], s[28:29]
	s_or_b64 s[26:27], s[26:27], s[28:29]
	v_cndmask_b32_e64 v17, v14, v16, s[26:27]
	v_cndmask_b32_e64 v21, v10, v1, s[26:27]
	v_add_u32_e32 v36, 1, v17
	v_add_u32_e32 v21, -1, v21
	v_min_u32_e32 v21, v36, v21
	v_add_u32_e32 v21, v31, v21
	ds_read_u8 v37, v21
	v_lshl_add_u32 v20, v20, 3, v30
	ds_read_b64 v[22:23], v20 offset:2048
	v_cndmask_b32_e64 v14, v36, v14, s[26:27]
	v_cndmask_b32_e64 v36, v16, v36, s[26:27]
	s_waitcnt lgkmcnt(1)
	v_cndmask_b32_e64 v38, v37, v13, s[26:27]
	v_cndmask_b32_e64 v37, v35, v37, s[26:27]
	v_cmp_lt_u32_e64 s[30:31], v36, v1
	v_cmp_le_u16_sdwa s[38:39], v38, v37 src0_sel:BYTE_0 src1_sel:BYTE_0
	v_cmp_ge_u32_e64 s[28:29], v14, v10
	s_and_b64 s[30:31], s[38:39], s[30:31]
	v_lshl_add_u32 v17, v17, 3, v30
	s_or_b64 s[28:29], s[28:29], s[30:31]
	ds_read_b64 v[20:21], v17 offset:2048
	v_cndmask_b32_e64 v16, v14, v36, s[28:29]
	v_cndmask_b32_e64 v17, v10, v1, s[28:29]
	v_lshl_add_u32 v39, v16, 3, v30
	v_add_u32_e32 v48, 1, v16
	v_add_u32_e32 v16, -1, v17
	v_min_u32_e32 v16, v48, v16
	v_add_u32_e32 v16, v31, v16
	ds_read_u8 v49, v16
	ds_read_b64 v[16:17], v39 offset:2048
	v_cndmask_b32_e64 v12, v15, v28, s[20:21]
	v_cndmask_b32_e64 v36, v36, v48, s[28:29]
	;; [unrolled: 1-line block ×3, first 2 shown]
	s_waitcnt lgkmcnt(1)
	v_cndmask_b32_e64 v15, v49, v38, s[28:29]
	v_cndmask_b32_e64 v39, v37, v49, s[28:29]
	;; [unrolled: 1-line block ×3, first 2 shown]
	v_cmp_lt_u32_e64 s[12:13], v36, v1
	v_cmp_le_u16_sdwa s[20:21], v15, v39 src0_sel:BYTE_0 src1_sel:BYTE_0
	v_cmp_ge_u32_e64 s[8:9], v14, v10
	s_and_b64 s[12:13], s[20:21], s[12:13]
	s_or_b64 s[8:9], s[8:9], s[12:13]
	v_cndmask_b32_e64 v28, v14, v36, s[8:9]
	v_cndmask_b32_e64 v29, v10, v1, s[8:9]
	v_lshl_add_u32 v48, v28, 3, v30
	v_add_u32_e32 v49, 1, v28
	v_add_u32_e32 v28, -1, v29
	v_min_u32_e32 v28, v49, v28
	v_add_u32_e32 v31, v31, v28
	ds_read_b64 v[28:29], v48 offset:2048
	ds_read_u8 v31, v31
	v_cndmask_b32_e64 v13, v13, v35, s[26:27]
	v_cndmask_b32_e64 v35, v15, v39, s[8:9]
	;; [unrolled: 1-line block ×4, first 2 shown]
	s_waitcnt lgkmcnt(0)
	v_cndmask_b32_e64 v15, v31, v15, s[8:9]
	v_cndmask_b32_e64 v31, v39, v31, s[8:9]
	v_cmp_lt_u32_e64 s[12:13], v36, v1
	v_cmp_le_u16_sdwa s[20:21], v15, v31 src0_sel:BYTE_0 src1_sel:BYTE_0
	v_cmp_ge_u32_e64 s[8:9], v14, v10
	s_and_b64 s[12:13], s[20:21], s[12:13]
	s_or_b64 s[8:9], s[8:9], s[12:13]
	v_cndmask_b32_e64 v33, v33, v34, s[22:23]
	v_cndmask_b32_e64 v34, v38, v37, s[28:29]
	;; [unrolled: 1-line block ×4, first 2 shown]
	v_lshlrev_b16_e32 v10, 8, v10
	v_lshlrev_b16_e32 v14, 8, v34
	v_lshl_add_u32 v1, v1, 3, v30
	v_or_b32_sdwa v10, v35, v10 dst_sel:WORD_1 dst_unused:UNUSED_PAD src0_sel:BYTE_0 src1_sel:DWORD
	v_or_b32_sdwa v13, v13, v14 dst_sel:DWORD dst_unused:UNUSED_PAD src0_sel:BYTE_0 src1_sel:DWORD
	ds_read_b64 v[14:15], v1 offset:2048
	v_or_b32_sdwa v13, v13, v10 dst_sel:DWORD dst_unused:UNUSED_PAD src0_sel:WORD_0 src1_sel:DWORD
	v_lshlrev_b16_e32 v10, 8, v33
	v_or_b32_sdwa v1, v32, v10 dst_sel:WORD_1 dst_unused:UNUSED_PAD src0_sel:BYTE_0 src1_sel:DWORD
	v_lshlrev_b16_e32 v10, 8, v12
	v_or_b32_sdwa v10, v11, v10 dst_sel:DWORD dst_unused:UNUSED_PAD src0_sel:BYTE_0 src1_sel:DWORD
	v_or_b32_sdwa v12, v10, v1 dst_sel:DWORD dst_unused:UNUSED_PAD src0_sel:WORD_0 src1_sel:DWORD
.LBB1542_216:
	s_or_b64 exec, exec, s[36:37]
	; wave barrier
	s_waitcnt lgkmcnt(0)
	s_barrier
.LBB1542_217:
	s_or_b64 exec, exec, s[34:35]
	v_add_co_u32_e64 v1, s[8:9], v2, v8
	v_addc_co_u32_e64 v2, s[8:9], 0, v3, s[8:9]
	v_add_co_u32_e64 v0, s[8:9], v1, v0
	v_addc_co_u32_e64 v1, s[8:9], 0, v2, s[8:9]
	s_waitcnt lgkmcnt(0)
	; wave barrier
	s_and_saveexec_b64 s[8:9], vcc
	s_cbranch_execnz .LBB1542_243
; %bb.218:
	s_or_b64 exec, exec, s[8:9]
	s_and_saveexec_b64 s[8:9], s[4:5]
	s_cbranch_execnz .LBB1542_244
.LBB1542_219:
	s_or_b64 exec, exec, s[8:9]
	s_and_saveexec_b64 s[8:9], s[6:7]
	s_cbranch_execnz .LBB1542_245
.LBB1542_220:
	s_or_b64 exec, exec, s[8:9]
	s_and_saveexec_b64 s[8:9], s[18:19]
	s_cbranch_execnz .LBB1542_246
.LBB1542_221:
	s_or_b64 exec, exec, s[8:9]
	s_and_saveexec_b64 s[8:9], s[10:11]
	s_cbranch_execnz .LBB1542_247
.LBB1542_222:
	s_or_b64 exec, exec, s[8:9]
	s_and_saveexec_b64 s[8:9], s[24:25]
	s_cbranch_execnz .LBB1542_248
.LBB1542_223:
	s_or_b64 exec, exec, s[8:9]
	s_and_saveexec_b64 s[8:9], s[14:15]
	s_cbranch_execnz .LBB1542_249
.LBB1542_224:
	s_or_b64 exec, exec, s[8:9]
	s_and_saveexec_b64 s[8:9], s[16:17]
	s_cbranch_execz .LBB1542_226
.LBB1542_225:
	v_lshrrev_b32_e32 v2, 24, v13
	flat_store_byte v[0:1], v2 offset:7
.LBB1542_226:
	s_or_b64 exec, exec, s[8:9]
	v_add_co_u32_e64 v0, s[8:9], v6, v24
	v_addc_co_u32_e64 v1, s[8:9], v7, v25, s[8:9]
	v_add_co_u32_e64 v0, s[8:9], v0, v9
	v_addc_co_u32_e64 v1, s[8:9], 0, v1, s[8:9]
	; wave barrier
	s_and_saveexec_b64 s[8:9], vcc
	s_cbranch_execnz .LBB1542_250
; %bb.227:
	s_or_b64 exec, exec, s[8:9]
	s_and_saveexec_b64 s[8:9], s[4:5]
	s_cbranch_execnz .LBB1542_251
.LBB1542_228:
	s_or_b64 exec, exec, s[8:9]
	s_and_saveexec_b64 s[4:5], s[6:7]
	s_cbranch_execnz .LBB1542_252
.LBB1542_229:
	s_or_b64 exec, exec, s[4:5]
	s_and_saveexec_b64 s[4:5], s[18:19]
	s_cbranch_execnz .LBB1542_253
.LBB1542_230:
	s_or_b64 exec, exec, s[4:5]
	s_and_saveexec_b64 s[4:5], s[10:11]
	s_cbranch_execnz .LBB1542_254
.LBB1542_231:
	s_or_b64 exec, exec, s[4:5]
	s_and_saveexec_b64 s[4:5], s[24:25]
	s_cbranch_execnz .LBB1542_255
.LBB1542_232:
	s_or_b64 exec, exec, s[4:5]
	s_and_saveexec_b64 s[4:5], s[14:15]
	s_cbranch_execnz .LBB1542_256
.LBB1542_233:
	s_or_b64 exec, exec, s[4:5]
	s_and_saveexec_b64 s[4:5], s[16:17]
	s_cbranch_execz .LBB1542_235
.LBB1542_234:
	s_waitcnt vmcnt(0) lgkmcnt(0)
	flat_store_dwordx2 v[0:1], v[14:15] offset:56
.LBB1542_235:
	s_or_b64 exec, exec, s[4:5]
	v_readlane_b32 s30, v40, 10
	v_readlane_b32 s31, v40, 11
	;; [unrolled: 1-line block ×12, first 2 shown]
	s_or_saveexec_b64 s[4:5], -1
	buffer_load_dword v40, off, s[0:3], s32 ; 4-byte Folded Reload
	s_mov_b64 exec, s[4:5]
	s_waitcnt vmcnt(0) lgkmcnt(0)
	s_setpc_b64 s[30:31]
.LBB1542_236:
	flat_load_dwordx2 v[4:5], v[34:35]
	s_or_b64 exec, exec, s[20:21]
	s_and_saveexec_b64 s[20:21], s[4:5]
                                        ; implicit-def: $vgpr16_vgpr17_vgpr18_vgpr19
	s_cbranch_execz .LBB1542_18
.LBB1542_237:
	flat_load_dwordx2 v[18:19], v[34:35] offset:8
	s_or_b64 exec, exec, s[20:21]
                                        ; implicit-def: $vgpr26_vgpr27
	s_and_saveexec_b64 s[20:21], s[6:7]
	s_cbranch_execz .LBB1542_19
.LBB1542_238:
	flat_load_dwordx2 v[26:27], v[34:35] offset:16
	s_or_b64 exec, exec, s[20:21]
	s_and_saveexec_b64 s[20:21], s[18:19]
                                        ; implicit-def: $vgpr20_vgpr21_vgpr22_vgpr23
	s_cbranch_execz .LBB1542_20
.LBB1542_239:
	flat_load_dwordx2 v[22:23], v[34:35] offset:24
	s_or_b64 exec, exec, s[20:21]
                                        ; implicit-def: $vgpr20_vgpr21
	s_and_saveexec_b64 s[20:21], s[10:11]
	s_cbranch_execz .LBB1542_21
.LBB1542_240:
	flat_load_dwordx2 v[20:21], v[34:35] offset:32
	s_or_b64 exec, exec, s[20:21]
	s_and_saveexec_b64 s[20:21], s[24:25]
                                        ; implicit-def: $vgpr14_vgpr15_vgpr16_vgpr17
	s_cbranch_execz .LBB1542_22
.LBB1542_241:
	flat_load_dwordx2 v[16:17], v[34:35] offset:40
	s_or_b64 exec, exec, s[20:21]
                                        ; implicit-def: $vgpr28_vgpr29
	s_and_saveexec_b64 s[20:21], s[14:15]
	s_cbranch_execz .LBB1542_23
.LBB1542_242:
	flat_load_dwordx2 v[28:29], v[34:35] offset:48
	s_or_b64 exec, exec, s[20:21]
	s_and_saveexec_b64 s[20:21], s[16:17]
                                        ; implicit-def: $vgpr12_vgpr13_vgpr14_vgpr15
	s_cbranch_execnz .LBB1542_24
	s_branch .LBB1542_25
.LBB1542_243:
	flat_store_byte v[0:1], v12
	s_or_b64 exec, exec, s[8:9]
	s_and_saveexec_b64 s[8:9], s[4:5]
	s_cbranch_execz .LBB1542_219
.LBB1542_244:
	v_lshrrev_b32_e32 v2, 8, v12
	flat_store_byte v[0:1], v2 offset:1
	s_or_b64 exec, exec, s[8:9]
	s_and_saveexec_b64 s[8:9], s[6:7]
	s_cbranch_execz .LBB1542_220
.LBB1542_245:
	flat_store_byte_d16_hi v[0:1], v12 offset:2
	s_or_b64 exec, exec, s[8:9]
	s_and_saveexec_b64 s[8:9], s[18:19]
	s_cbranch_execz .LBB1542_221
.LBB1542_246:
	v_lshrrev_b32_e32 v2, 24, v12
	flat_store_byte v[0:1], v2 offset:3
	s_or_b64 exec, exec, s[8:9]
	s_and_saveexec_b64 s[8:9], s[10:11]
	s_cbranch_execz .LBB1542_222
.LBB1542_247:
	flat_store_byte v[0:1], v13 offset:4
	s_or_b64 exec, exec, s[8:9]
	s_and_saveexec_b64 s[8:9], s[24:25]
	s_cbranch_execz .LBB1542_223
.LBB1542_248:
	v_lshrrev_b32_e32 v2, 8, v13
	flat_store_byte v[0:1], v2 offset:5
	s_or_b64 exec, exec, s[8:9]
	s_and_saveexec_b64 s[8:9], s[14:15]
	s_cbranch_execz .LBB1542_224
.LBB1542_249:
	flat_store_byte_d16_hi v[0:1], v13 offset:6
	s_or_b64 exec, exec, s[8:9]
	s_and_saveexec_b64 s[8:9], s[16:17]
	s_cbranch_execnz .LBB1542_225
	s_branch .LBB1542_226
.LBB1542_250:
	s_waitcnt vmcnt(0) lgkmcnt(0)
	flat_store_dwordx2 v[0:1], v[4:5]
	s_or_b64 exec, exec, s[8:9]
	s_and_saveexec_b64 s[8:9], s[4:5]
	s_cbranch_execz .LBB1542_228
.LBB1542_251:
	s_waitcnt vmcnt(0) lgkmcnt(0)
	flat_store_dwordx2 v[0:1], v[18:19] offset:8
	s_or_b64 exec, exec, s[8:9]
	s_and_saveexec_b64 s[4:5], s[6:7]
	s_cbranch_execz .LBB1542_229
.LBB1542_252:
	s_waitcnt vmcnt(0) lgkmcnt(0)
	flat_store_dwordx2 v[0:1], v[26:27] offset:16
	s_or_b64 exec, exec, s[4:5]
	s_and_saveexec_b64 s[4:5], s[18:19]
	s_cbranch_execz .LBB1542_230
.LBB1542_253:
	s_waitcnt vmcnt(0) lgkmcnt(0)
	flat_store_dwordx2 v[0:1], v[22:23] offset:24
	s_or_b64 exec, exec, s[4:5]
	s_and_saveexec_b64 s[4:5], s[10:11]
	s_cbranch_execz .LBB1542_231
.LBB1542_254:
	s_waitcnt vmcnt(0) lgkmcnt(0)
	flat_store_dwordx2 v[0:1], v[20:21] offset:32
	s_or_b64 exec, exec, s[4:5]
	s_and_saveexec_b64 s[4:5], s[24:25]
	s_cbranch_execz .LBB1542_232
.LBB1542_255:
	s_waitcnt vmcnt(0) lgkmcnt(0)
	flat_store_dwordx2 v[0:1], v[16:17] offset:40
	s_or_b64 exec, exec, s[4:5]
	s_and_saveexec_b64 s[4:5], s[14:15]
	s_cbranch_execz .LBB1542_233
.LBB1542_256:
	s_waitcnt vmcnt(0) lgkmcnt(0)
	flat_store_dwordx2 v[0:1], v[28:29] offset:48
	s_or_b64 exec, exec, s[4:5]
	s_and_saveexec_b64 s[4:5], s[16:17]
	s_cbranch_execnz .LBB1542_234
	s_branch .LBB1542_235
.Lfunc_end1542:
	.size	_ZN7rocprim17ROCPRIM_400000_NS6detail26segmented_warp_sort_helperINS1_20WarpSortHelperConfigILj16ELj8ELj256EEEblLi256ELb1EvE4sortIPKbPbPKlPlEEvT_T0_T1_T2_jjjjRNS5_12storage_typeE, .Lfunc_end1542-_ZN7rocprim17ROCPRIM_400000_NS6detail26segmented_warp_sort_helperINS1_20WarpSortHelperConfigILj16ELj8ELj256EEEblLi256ELb1EvE4sortIPKbPbPKlPlEEvT_T0_T1_T2_jjjjRNS5_12storage_typeE
                                        ; -- End function
	.section	.AMDGPU.csdata,"",@progbits
; Function info:
; codeLenInByte = 19180
; NumSgprs: 48
; NumVgprs: 71
; NumAgprs: 0
; TotalNumVgprs: 71
; ScratchSize: 8
; MemoryBound: 0
	.section	.text._ZN7rocprim17ROCPRIM_400000_NS6detail17trampoline_kernelINS0_14default_configENS1_36segmented_radix_sort_config_selectorIblEEZNS1_25segmented_radix_sort_implIS3_Lb1EPKbPbPKlPlN2at6native12_GLOBAL__N_18offset_tEEE10hipError_tPvRmT1_PNSt15iterator_traitsISK_E10value_typeET2_T3_PNSL_ISQ_E10value_typeET4_jRbjT5_SW_jjP12ihipStream_tbEUlT_E0_NS1_11comp_targetILNS1_3genE4ELNS1_11target_archE910ELNS1_3gpuE8ELNS1_3repE0EEENS1_60segmented_radix_sort_warp_sort_medium_config_static_selectorELNS0_4arch9wavefront6targetE1EEEvSK_,"axG",@progbits,_ZN7rocprim17ROCPRIM_400000_NS6detail17trampoline_kernelINS0_14default_configENS1_36segmented_radix_sort_config_selectorIblEEZNS1_25segmented_radix_sort_implIS3_Lb1EPKbPbPKlPlN2at6native12_GLOBAL__N_18offset_tEEE10hipError_tPvRmT1_PNSt15iterator_traitsISK_E10value_typeET2_T3_PNSL_ISQ_E10value_typeET4_jRbjT5_SW_jjP12ihipStream_tbEUlT_E0_NS1_11comp_targetILNS1_3genE4ELNS1_11target_archE910ELNS1_3gpuE8ELNS1_3repE0EEENS1_60segmented_radix_sort_warp_sort_medium_config_static_selectorELNS0_4arch9wavefront6targetE1EEEvSK_,comdat
	.globl	_ZN7rocprim17ROCPRIM_400000_NS6detail17trampoline_kernelINS0_14default_configENS1_36segmented_radix_sort_config_selectorIblEEZNS1_25segmented_radix_sort_implIS3_Lb1EPKbPbPKlPlN2at6native12_GLOBAL__N_18offset_tEEE10hipError_tPvRmT1_PNSt15iterator_traitsISK_E10value_typeET2_T3_PNSL_ISQ_E10value_typeET4_jRbjT5_SW_jjP12ihipStream_tbEUlT_E0_NS1_11comp_targetILNS1_3genE4ELNS1_11target_archE910ELNS1_3gpuE8ELNS1_3repE0EEENS1_60segmented_radix_sort_warp_sort_medium_config_static_selectorELNS0_4arch9wavefront6targetE1EEEvSK_ ; -- Begin function _ZN7rocprim17ROCPRIM_400000_NS6detail17trampoline_kernelINS0_14default_configENS1_36segmented_radix_sort_config_selectorIblEEZNS1_25segmented_radix_sort_implIS3_Lb1EPKbPbPKlPlN2at6native12_GLOBAL__N_18offset_tEEE10hipError_tPvRmT1_PNSt15iterator_traitsISK_E10value_typeET2_T3_PNSL_ISQ_E10value_typeET4_jRbjT5_SW_jjP12ihipStream_tbEUlT_E0_NS1_11comp_targetILNS1_3genE4ELNS1_11target_archE910ELNS1_3gpuE8ELNS1_3repE0EEENS1_60segmented_radix_sort_warp_sort_medium_config_static_selectorELNS0_4arch9wavefront6targetE1EEEvSK_
	.p2align	8
	.type	_ZN7rocprim17ROCPRIM_400000_NS6detail17trampoline_kernelINS0_14default_configENS1_36segmented_radix_sort_config_selectorIblEEZNS1_25segmented_radix_sort_implIS3_Lb1EPKbPbPKlPlN2at6native12_GLOBAL__N_18offset_tEEE10hipError_tPvRmT1_PNSt15iterator_traitsISK_E10value_typeET2_T3_PNSL_ISQ_E10value_typeET4_jRbjT5_SW_jjP12ihipStream_tbEUlT_E0_NS1_11comp_targetILNS1_3genE4ELNS1_11target_archE910ELNS1_3gpuE8ELNS1_3repE0EEENS1_60segmented_radix_sort_warp_sort_medium_config_static_selectorELNS0_4arch9wavefront6targetE1EEEvSK_,@function
_ZN7rocprim17ROCPRIM_400000_NS6detail17trampoline_kernelINS0_14default_configENS1_36segmented_radix_sort_config_selectorIblEEZNS1_25segmented_radix_sort_implIS3_Lb1EPKbPbPKlPlN2at6native12_GLOBAL__N_18offset_tEEE10hipError_tPvRmT1_PNSt15iterator_traitsISK_E10value_typeET2_T3_PNSL_ISQ_E10value_typeET4_jRbjT5_SW_jjP12ihipStream_tbEUlT_E0_NS1_11comp_targetILNS1_3genE4ELNS1_11target_archE910ELNS1_3gpuE8ELNS1_3repE0EEENS1_60segmented_radix_sort_warp_sort_medium_config_static_selectorELNS0_4arch9wavefront6targetE1EEEvSK_: ; @_ZN7rocprim17ROCPRIM_400000_NS6detail17trampoline_kernelINS0_14default_configENS1_36segmented_radix_sort_config_selectorIblEEZNS1_25segmented_radix_sort_implIS3_Lb1EPKbPbPKlPlN2at6native12_GLOBAL__N_18offset_tEEE10hipError_tPvRmT1_PNSt15iterator_traitsISK_E10value_typeET2_T3_PNSL_ISQ_E10value_typeET4_jRbjT5_SW_jjP12ihipStream_tbEUlT_E0_NS1_11comp_targetILNS1_3genE4ELNS1_11target_archE910ELNS1_3gpuE8ELNS1_3repE0EEENS1_60segmented_radix_sort_warp_sort_medium_config_static_selectorELNS0_4arch9wavefront6targetE1EEEvSK_
; %bb.0:
	s_add_u32 flat_scratch_lo, s6, s10
	s_addc_u32 flat_scratch_hi, s7, 0
	s_add_u32 s0, s0, s10
	s_load_dword s6, s[4:5], 0x64
	s_load_dword s10, s[4:5], 0x34
	s_addc_u32 s1, s1, 0
	v_bfe_u32 v1, v0, 10, 10
	v_bfe_u32 v2, v0, 20, 10
	s_waitcnt lgkmcnt(0)
	s_lshr_b32 s7, s6, 16
	s_and_b32 s6, s6, 0xffff
	v_mad_u32_u24 v1, v2, s7, v1
	v_and_b32_e32 v2, 0x3ff, v0
	v_mad_u64_u32 v[2:3], s[6:7], v1, s6, v[2:3]
	v_lshrrev_b32_e32 v1, 4, v2
	v_lshl_add_u32 v2, s8, 4, v1
	v_cmp_gt_u32_e32 vcc, s10, v2
	s_mov_b32 s32, 0
	s_and_saveexec_b64 s[6:7], vcc
	s_cbranch_execz .LBB1543_6
; %bb.1:
	s_load_dwordx2 s[6:7], s[4:5], 0x38
	s_load_dwordx4 s[12:15], s[4:5], 0x40
	v_mov_b32_e32 v3, 0
	v_lshlrev_b64 v[2:3], 2, v[2:3]
	s_waitcnt lgkmcnt(0)
	v_mov_b32_e32 v1, s7
	v_add_co_u32_e32 v2, vcc, s6, v2
	v_addc_co_u32_e32 v3, vcc, v1, v3, vcc
	global_load_dword v1, v[2:3], off
	s_waitcnt vmcnt(0)
	v_add_u32_e32 v2, s13, v1
	v_add_u32_e32 v1, s15, v1
	v_mul_lo_u32 v8, v2, s12
	v_mul_lo_u32 v41, v1, s14
	v_cmp_gt_u32_e32 vcc, v41, v8
	s_and_b64 exec, exec, vcc
	s_cbranch_execz .LBB1543_6
; %bb.2:
	s_load_dwordx4 s[56:59], s[4:5], 0x20
	s_load_dword s6, s[4:5], 0x30
	s_load_dwordx8 s[48:55], s[4:5], 0x0
	s_load_dwordx2 s[46:47], s[4:5], 0x50
	s_mov_b32 s44, s8
	s_mov_b32 s33, s9
	s_waitcnt lgkmcnt(0)
	s_bitcmp0_b32 s6, 0
	s_mov_b64 s[6:7], -1
	s_cbranch_scc0 .LBB1543_4
; %bb.3:
	s_add_u32 s8, s4, 0x58
	s_addc_u32 s9, s5, 0
	s_mov_b32 s12, s44
	s_mov_b32 s13, s33
	v_mov_b32_e32 v31, v0
	v_mov_b32_e32 v42, v0
	;; [unrolled: 1-line block ×13, first 2 shown]
	s_getpc_b64 s[6:7]
	s_add_u32 s6, s6, _ZN7rocprim17ROCPRIM_400000_NS6detail26segmented_warp_sort_helperINS1_20WarpSortHelperConfigILj16ELj8ELj256EEEblLi256ELb1EvE4sortIPKbPbPKlPlEEvT_T0_T1_T2_jjjjRNS5_12storage_typeE@rel32@lo+4
	s_addc_u32 s7, s7, _ZN7rocprim17ROCPRIM_400000_NS6detail26segmented_warp_sort_helperINS1_20WarpSortHelperConfigILj16ELj8ELj256EEEblLi256ELb1EvE4sortIPKbPbPKlPlEEvT_T0_T1_T2_jjjjRNS5_12storage_typeE@rel32@hi+12
	s_mov_b64 s[50:51], s[4:5]
	s_swappc_b64 s[30:31], s[6:7]
	v_mov_b32_e32 v0, v42
	s_mov_b64 s[4:5], s[50:51]
	s_mov_b64 s[6:7], 0
.LBB1543_4:
	s_andn2_b64 vcc, exec, s[6:7]
	s_cbranch_vccnz .LBB1543_6
; %bb.5:
	s_add_u32 s8, s4, 0x58
	s_addc_u32 s9, s5, 0
	s_mov_b32 s12, s44
	s_mov_b32 s13, s33
	v_mov_b32_e32 v31, v0
	v_mov_b32_e32 v0, s48
	;; [unrolled: 1-line block ×12, first 2 shown]
	s_getpc_b64 s[4:5]
	s_add_u32 s4, s4, _ZN7rocprim17ROCPRIM_400000_NS6detail26segmented_warp_sort_helperINS1_20WarpSortHelperConfigILj16ELj8ELj256EEEblLi256ELb1EvE4sortIPKbPbPKlPlEEvT_T0_T1_T2_jjjjRNS5_12storage_typeE@rel32@lo+4
	s_addc_u32 s5, s5, _ZN7rocprim17ROCPRIM_400000_NS6detail26segmented_warp_sort_helperINS1_20WarpSortHelperConfigILj16ELj8ELj256EEEblLi256ELb1EvE4sortIPKbPbPKlPlEEvT_T0_T1_T2_jjjjRNS5_12storage_typeE@rel32@hi+12
	s_swappc_b64 s[30:31], s[4:5]
.LBB1543_6:
	s_endpgm
	.section	.rodata,"a",@progbits
	.p2align	6, 0x0
	.amdhsa_kernel _ZN7rocprim17ROCPRIM_400000_NS6detail17trampoline_kernelINS0_14default_configENS1_36segmented_radix_sort_config_selectorIblEEZNS1_25segmented_radix_sort_implIS3_Lb1EPKbPbPKlPlN2at6native12_GLOBAL__N_18offset_tEEE10hipError_tPvRmT1_PNSt15iterator_traitsISK_E10value_typeET2_T3_PNSL_ISQ_E10value_typeET4_jRbjT5_SW_jjP12ihipStream_tbEUlT_E0_NS1_11comp_targetILNS1_3genE4ELNS1_11target_archE910ELNS1_3gpuE8ELNS1_3repE0EEENS1_60segmented_radix_sort_warp_sort_medium_config_static_selectorELNS0_4arch9wavefront6targetE1EEEvSK_
		.amdhsa_group_segment_fixed_size 18432
		.amdhsa_private_segment_fixed_size 8
		.amdhsa_kernarg_size 344
		.amdhsa_user_sgpr_count 8
		.amdhsa_user_sgpr_private_segment_buffer 1
		.amdhsa_user_sgpr_dispatch_ptr 0
		.amdhsa_user_sgpr_queue_ptr 0
		.amdhsa_user_sgpr_kernarg_segment_ptr 1
		.amdhsa_user_sgpr_dispatch_id 0
		.amdhsa_user_sgpr_flat_scratch_init 1
		.amdhsa_user_sgpr_kernarg_preload_length 0
		.amdhsa_user_sgpr_kernarg_preload_offset 0
		.amdhsa_user_sgpr_private_segment_size 0
		.amdhsa_uses_dynamic_stack 0
		.amdhsa_system_sgpr_private_segment_wavefront_offset 1
		.amdhsa_system_sgpr_workgroup_id_x 1
		.amdhsa_system_sgpr_workgroup_id_y 1
		.amdhsa_system_sgpr_workgroup_id_z 0
		.amdhsa_system_sgpr_workgroup_info 0
		.amdhsa_system_vgpr_workitem_id 2
		.amdhsa_next_free_vgpr 71
		.amdhsa_next_free_sgpr 60
		.amdhsa_accum_offset 72
		.amdhsa_reserve_vcc 1
		.amdhsa_reserve_flat_scratch 1
		.amdhsa_float_round_mode_32 0
		.amdhsa_float_round_mode_16_64 0
		.amdhsa_float_denorm_mode_32 3
		.amdhsa_float_denorm_mode_16_64 3
		.amdhsa_dx10_clamp 1
		.amdhsa_ieee_mode 1
		.amdhsa_fp16_overflow 0
		.amdhsa_tg_split 0
		.amdhsa_exception_fp_ieee_invalid_op 0
		.amdhsa_exception_fp_denorm_src 0
		.amdhsa_exception_fp_ieee_div_zero 0
		.amdhsa_exception_fp_ieee_overflow 0
		.amdhsa_exception_fp_ieee_underflow 0
		.amdhsa_exception_fp_ieee_inexact 0
		.amdhsa_exception_int_div_zero 0
	.end_amdhsa_kernel
	.section	.text._ZN7rocprim17ROCPRIM_400000_NS6detail17trampoline_kernelINS0_14default_configENS1_36segmented_radix_sort_config_selectorIblEEZNS1_25segmented_radix_sort_implIS3_Lb1EPKbPbPKlPlN2at6native12_GLOBAL__N_18offset_tEEE10hipError_tPvRmT1_PNSt15iterator_traitsISK_E10value_typeET2_T3_PNSL_ISQ_E10value_typeET4_jRbjT5_SW_jjP12ihipStream_tbEUlT_E0_NS1_11comp_targetILNS1_3genE4ELNS1_11target_archE910ELNS1_3gpuE8ELNS1_3repE0EEENS1_60segmented_radix_sort_warp_sort_medium_config_static_selectorELNS0_4arch9wavefront6targetE1EEEvSK_,"axG",@progbits,_ZN7rocprim17ROCPRIM_400000_NS6detail17trampoline_kernelINS0_14default_configENS1_36segmented_radix_sort_config_selectorIblEEZNS1_25segmented_radix_sort_implIS3_Lb1EPKbPbPKlPlN2at6native12_GLOBAL__N_18offset_tEEE10hipError_tPvRmT1_PNSt15iterator_traitsISK_E10value_typeET2_T3_PNSL_ISQ_E10value_typeET4_jRbjT5_SW_jjP12ihipStream_tbEUlT_E0_NS1_11comp_targetILNS1_3genE4ELNS1_11target_archE910ELNS1_3gpuE8ELNS1_3repE0EEENS1_60segmented_radix_sort_warp_sort_medium_config_static_selectorELNS0_4arch9wavefront6targetE1EEEvSK_,comdat
.Lfunc_end1543:
	.size	_ZN7rocprim17ROCPRIM_400000_NS6detail17trampoline_kernelINS0_14default_configENS1_36segmented_radix_sort_config_selectorIblEEZNS1_25segmented_radix_sort_implIS3_Lb1EPKbPbPKlPlN2at6native12_GLOBAL__N_18offset_tEEE10hipError_tPvRmT1_PNSt15iterator_traitsISK_E10value_typeET2_T3_PNSL_ISQ_E10value_typeET4_jRbjT5_SW_jjP12ihipStream_tbEUlT_E0_NS1_11comp_targetILNS1_3genE4ELNS1_11target_archE910ELNS1_3gpuE8ELNS1_3repE0EEENS1_60segmented_radix_sort_warp_sort_medium_config_static_selectorELNS0_4arch9wavefront6targetE1EEEvSK_, .Lfunc_end1543-_ZN7rocprim17ROCPRIM_400000_NS6detail17trampoline_kernelINS0_14default_configENS1_36segmented_radix_sort_config_selectorIblEEZNS1_25segmented_radix_sort_implIS3_Lb1EPKbPbPKlPlN2at6native12_GLOBAL__N_18offset_tEEE10hipError_tPvRmT1_PNSt15iterator_traitsISK_E10value_typeET2_T3_PNSL_ISQ_E10value_typeET4_jRbjT5_SW_jjP12ihipStream_tbEUlT_E0_NS1_11comp_targetILNS1_3genE4ELNS1_11target_archE910ELNS1_3gpuE8ELNS1_3repE0EEENS1_60segmented_radix_sort_warp_sort_medium_config_static_selectorELNS0_4arch9wavefront6targetE1EEEvSK_
                                        ; -- End function
	.section	.AMDGPU.csdata,"",@progbits
; Kernel info:
; codeLenInByte = 480
; NumSgprs: 66
; NumVgprs: 71
; NumAgprs: 0
; TotalNumVgprs: 71
; ScratchSize: 8
; MemoryBound: 0
; FloatMode: 240
; IeeeMode: 1
; LDSByteSize: 18432 bytes/workgroup (compile time only)
; SGPRBlocks: 8
; VGPRBlocks: 8
; NumSGPRsForWavesPerEU: 66
; NumVGPRsForWavesPerEU: 71
; AccumOffset: 72
; Occupancy: 3
; WaveLimiterHint : 0
; COMPUTE_PGM_RSRC2:SCRATCH_EN: 1
; COMPUTE_PGM_RSRC2:USER_SGPR: 8
; COMPUTE_PGM_RSRC2:TRAP_HANDLER: 0
; COMPUTE_PGM_RSRC2:TGID_X_EN: 1
; COMPUTE_PGM_RSRC2:TGID_Y_EN: 1
; COMPUTE_PGM_RSRC2:TGID_Z_EN: 0
; COMPUTE_PGM_RSRC2:TIDIG_COMP_CNT: 2
; COMPUTE_PGM_RSRC3_GFX90A:ACCUM_OFFSET: 17
; COMPUTE_PGM_RSRC3_GFX90A:TG_SPLIT: 0
	.section	.text._ZN7rocprim17ROCPRIM_400000_NS6detail17trampoline_kernelINS0_14default_configENS1_36segmented_radix_sort_config_selectorIblEEZNS1_25segmented_radix_sort_implIS3_Lb1EPKbPbPKlPlN2at6native12_GLOBAL__N_18offset_tEEE10hipError_tPvRmT1_PNSt15iterator_traitsISK_E10value_typeET2_T3_PNSL_ISQ_E10value_typeET4_jRbjT5_SW_jjP12ihipStream_tbEUlT_E0_NS1_11comp_targetILNS1_3genE3ELNS1_11target_archE908ELNS1_3gpuE7ELNS1_3repE0EEENS1_60segmented_radix_sort_warp_sort_medium_config_static_selectorELNS0_4arch9wavefront6targetE1EEEvSK_,"axG",@progbits,_ZN7rocprim17ROCPRIM_400000_NS6detail17trampoline_kernelINS0_14default_configENS1_36segmented_radix_sort_config_selectorIblEEZNS1_25segmented_radix_sort_implIS3_Lb1EPKbPbPKlPlN2at6native12_GLOBAL__N_18offset_tEEE10hipError_tPvRmT1_PNSt15iterator_traitsISK_E10value_typeET2_T3_PNSL_ISQ_E10value_typeET4_jRbjT5_SW_jjP12ihipStream_tbEUlT_E0_NS1_11comp_targetILNS1_3genE3ELNS1_11target_archE908ELNS1_3gpuE7ELNS1_3repE0EEENS1_60segmented_radix_sort_warp_sort_medium_config_static_selectorELNS0_4arch9wavefront6targetE1EEEvSK_,comdat
	.globl	_ZN7rocprim17ROCPRIM_400000_NS6detail17trampoline_kernelINS0_14default_configENS1_36segmented_radix_sort_config_selectorIblEEZNS1_25segmented_radix_sort_implIS3_Lb1EPKbPbPKlPlN2at6native12_GLOBAL__N_18offset_tEEE10hipError_tPvRmT1_PNSt15iterator_traitsISK_E10value_typeET2_T3_PNSL_ISQ_E10value_typeET4_jRbjT5_SW_jjP12ihipStream_tbEUlT_E0_NS1_11comp_targetILNS1_3genE3ELNS1_11target_archE908ELNS1_3gpuE7ELNS1_3repE0EEENS1_60segmented_radix_sort_warp_sort_medium_config_static_selectorELNS0_4arch9wavefront6targetE1EEEvSK_ ; -- Begin function _ZN7rocprim17ROCPRIM_400000_NS6detail17trampoline_kernelINS0_14default_configENS1_36segmented_radix_sort_config_selectorIblEEZNS1_25segmented_radix_sort_implIS3_Lb1EPKbPbPKlPlN2at6native12_GLOBAL__N_18offset_tEEE10hipError_tPvRmT1_PNSt15iterator_traitsISK_E10value_typeET2_T3_PNSL_ISQ_E10value_typeET4_jRbjT5_SW_jjP12ihipStream_tbEUlT_E0_NS1_11comp_targetILNS1_3genE3ELNS1_11target_archE908ELNS1_3gpuE7ELNS1_3repE0EEENS1_60segmented_radix_sort_warp_sort_medium_config_static_selectorELNS0_4arch9wavefront6targetE1EEEvSK_
	.p2align	8
	.type	_ZN7rocprim17ROCPRIM_400000_NS6detail17trampoline_kernelINS0_14default_configENS1_36segmented_radix_sort_config_selectorIblEEZNS1_25segmented_radix_sort_implIS3_Lb1EPKbPbPKlPlN2at6native12_GLOBAL__N_18offset_tEEE10hipError_tPvRmT1_PNSt15iterator_traitsISK_E10value_typeET2_T3_PNSL_ISQ_E10value_typeET4_jRbjT5_SW_jjP12ihipStream_tbEUlT_E0_NS1_11comp_targetILNS1_3genE3ELNS1_11target_archE908ELNS1_3gpuE7ELNS1_3repE0EEENS1_60segmented_radix_sort_warp_sort_medium_config_static_selectorELNS0_4arch9wavefront6targetE1EEEvSK_,@function
_ZN7rocprim17ROCPRIM_400000_NS6detail17trampoline_kernelINS0_14default_configENS1_36segmented_radix_sort_config_selectorIblEEZNS1_25segmented_radix_sort_implIS3_Lb1EPKbPbPKlPlN2at6native12_GLOBAL__N_18offset_tEEE10hipError_tPvRmT1_PNSt15iterator_traitsISK_E10value_typeET2_T3_PNSL_ISQ_E10value_typeET4_jRbjT5_SW_jjP12ihipStream_tbEUlT_E0_NS1_11comp_targetILNS1_3genE3ELNS1_11target_archE908ELNS1_3gpuE7ELNS1_3repE0EEENS1_60segmented_radix_sort_warp_sort_medium_config_static_selectorELNS0_4arch9wavefront6targetE1EEEvSK_: ; @_ZN7rocprim17ROCPRIM_400000_NS6detail17trampoline_kernelINS0_14default_configENS1_36segmented_radix_sort_config_selectorIblEEZNS1_25segmented_radix_sort_implIS3_Lb1EPKbPbPKlPlN2at6native12_GLOBAL__N_18offset_tEEE10hipError_tPvRmT1_PNSt15iterator_traitsISK_E10value_typeET2_T3_PNSL_ISQ_E10value_typeET4_jRbjT5_SW_jjP12ihipStream_tbEUlT_E0_NS1_11comp_targetILNS1_3genE3ELNS1_11target_archE908ELNS1_3gpuE7ELNS1_3repE0EEENS1_60segmented_radix_sort_warp_sort_medium_config_static_selectorELNS0_4arch9wavefront6targetE1EEEvSK_
; %bb.0:
	.section	.rodata,"a",@progbits
	.p2align	6, 0x0
	.amdhsa_kernel _ZN7rocprim17ROCPRIM_400000_NS6detail17trampoline_kernelINS0_14default_configENS1_36segmented_radix_sort_config_selectorIblEEZNS1_25segmented_radix_sort_implIS3_Lb1EPKbPbPKlPlN2at6native12_GLOBAL__N_18offset_tEEE10hipError_tPvRmT1_PNSt15iterator_traitsISK_E10value_typeET2_T3_PNSL_ISQ_E10value_typeET4_jRbjT5_SW_jjP12ihipStream_tbEUlT_E0_NS1_11comp_targetILNS1_3genE3ELNS1_11target_archE908ELNS1_3gpuE7ELNS1_3repE0EEENS1_60segmented_radix_sort_warp_sort_medium_config_static_selectorELNS0_4arch9wavefront6targetE1EEEvSK_
		.amdhsa_group_segment_fixed_size 0
		.amdhsa_private_segment_fixed_size 0
		.amdhsa_kernarg_size 88
		.amdhsa_user_sgpr_count 6
		.amdhsa_user_sgpr_private_segment_buffer 1
		.amdhsa_user_sgpr_dispatch_ptr 0
		.amdhsa_user_sgpr_queue_ptr 0
		.amdhsa_user_sgpr_kernarg_segment_ptr 1
		.amdhsa_user_sgpr_dispatch_id 0
		.amdhsa_user_sgpr_flat_scratch_init 0
		.amdhsa_user_sgpr_kernarg_preload_length 0
		.amdhsa_user_sgpr_kernarg_preload_offset 0
		.amdhsa_user_sgpr_private_segment_size 0
		.amdhsa_uses_dynamic_stack 0
		.amdhsa_system_sgpr_private_segment_wavefront_offset 0
		.amdhsa_system_sgpr_workgroup_id_x 1
		.amdhsa_system_sgpr_workgroup_id_y 0
		.amdhsa_system_sgpr_workgroup_id_z 0
		.amdhsa_system_sgpr_workgroup_info 0
		.amdhsa_system_vgpr_workitem_id 0
		.amdhsa_next_free_vgpr 1
		.amdhsa_next_free_sgpr 0
		.amdhsa_accum_offset 4
		.amdhsa_reserve_vcc 0
		.amdhsa_reserve_flat_scratch 0
		.amdhsa_float_round_mode_32 0
		.amdhsa_float_round_mode_16_64 0
		.amdhsa_float_denorm_mode_32 3
		.amdhsa_float_denorm_mode_16_64 3
		.amdhsa_dx10_clamp 1
		.amdhsa_ieee_mode 1
		.amdhsa_fp16_overflow 0
		.amdhsa_tg_split 0
		.amdhsa_exception_fp_ieee_invalid_op 0
		.amdhsa_exception_fp_denorm_src 0
		.amdhsa_exception_fp_ieee_div_zero 0
		.amdhsa_exception_fp_ieee_overflow 0
		.amdhsa_exception_fp_ieee_underflow 0
		.amdhsa_exception_fp_ieee_inexact 0
		.amdhsa_exception_int_div_zero 0
	.end_amdhsa_kernel
	.section	.text._ZN7rocprim17ROCPRIM_400000_NS6detail17trampoline_kernelINS0_14default_configENS1_36segmented_radix_sort_config_selectorIblEEZNS1_25segmented_radix_sort_implIS3_Lb1EPKbPbPKlPlN2at6native12_GLOBAL__N_18offset_tEEE10hipError_tPvRmT1_PNSt15iterator_traitsISK_E10value_typeET2_T3_PNSL_ISQ_E10value_typeET4_jRbjT5_SW_jjP12ihipStream_tbEUlT_E0_NS1_11comp_targetILNS1_3genE3ELNS1_11target_archE908ELNS1_3gpuE7ELNS1_3repE0EEENS1_60segmented_radix_sort_warp_sort_medium_config_static_selectorELNS0_4arch9wavefront6targetE1EEEvSK_,"axG",@progbits,_ZN7rocprim17ROCPRIM_400000_NS6detail17trampoline_kernelINS0_14default_configENS1_36segmented_radix_sort_config_selectorIblEEZNS1_25segmented_radix_sort_implIS3_Lb1EPKbPbPKlPlN2at6native12_GLOBAL__N_18offset_tEEE10hipError_tPvRmT1_PNSt15iterator_traitsISK_E10value_typeET2_T3_PNSL_ISQ_E10value_typeET4_jRbjT5_SW_jjP12ihipStream_tbEUlT_E0_NS1_11comp_targetILNS1_3genE3ELNS1_11target_archE908ELNS1_3gpuE7ELNS1_3repE0EEENS1_60segmented_radix_sort_warp_sort_medium_config_static_selectorELNS0_4arch9wavefront6targetE1EEEvSK_,comdat
.Lfunc_end1544:
	.size	_ZN7rocprim17ROCPRIM_400000_NS6detail17trampoline_kernelINS0_14default_configENS1_36segmented_radix_sort_config_selectorIblEEZNS1_25segmented_radix_sort_implIS3_Lb1EPKbPbPKlPlN2at6native12_GLOBAL__N_18offset_tEEE10hipError_tPvRmT1_PNSt15iterator_traitsISK_E10value_typeET2_T3_PNSL_ISQ_E10value_typeET4_jRbjT5_SW_jjP12ihipStream_tbEUlT_E0_NS1_11comp_targetILNS1_3genE3ELNS1_11target_archE908ELNS1_3gpuE7ELNS1_3repE0EEENS1_60segmented_radix_sort_warp_sort_medium_config_static_selectorELNS0_4arch9wavefront6targetE1EEEvSK_, .Lfunc_end1544-_ZN7rocprim17ROCPRIM_400000_NS6detail17trampoline_kernelINS0_14default_configENS1_36segmented_radix_sort_config_selectorIblEEZNS1_25segmented_radix_sort_implIS3_Lb1EPKbPbPKlPlN2at6native12_GLOBAL__N_18offset_tEEE10hipError_tPvRmT1_PNSt15iterator_traitsISK_E10value_typeET2_T3_PNSL_ISQ_E10value_typeET4_jRbjT5_SW_jjP12ihipStream_tbEUlT_E0_NS1_11comp_targetILNS1_3genE3ELNS1_11target_archE908ELNS1_3gpuE7ELNS1_3repE0EEENS1_60segmented_radix_sort_warp_sort_medium_config_static_selectorELNS0_4arch9wavefront6targetE1EEEvSK_
                                        ; -- End function
	.section	.AMDGPU.csdata,"",@progbits
; Kernel info:
; codeLenInByte = 0
; NumSgprs: 4
; NumVgprs: 0
; NumAgprs: 0
; TotalNumVgprs: 0
; ScratchSize: 0
; MemoryBound: 0
; FloatMode: 240
; IeeeMode: 1
; LDSByteSize: 0 bytes/workgroup (compile time only)
; SGPRBlocks: 0
; VGPRBlocks: 0
; NumSGPRsForWavesPerEU: 4
; NumVGPRsForWavesPerEU: 1
; AccumOffset: 4
; Occupancy: 8
; WaveLimiterHint : 0
; COMPUTE_PGM_RSRC2:SCRATCH_EN: 0
; COMPUTE_PGM_RSRC2:USER_SGPR: 6
; COMPUTE_PGM_RSRC2:TRAP_HANDLER: 0
; COMPUTE_PGM_RSRC2:TGID_X_EN: 1
; COMPUTE_PGM_RSRC2:TGID_Y_EN: 0
; COMPUTE_PGM_RSRC2:TGID_Z_EN: 0
; COMPUTE_PGM_RSRC2:TIDIG_COMP_CNT: 0
; COMPUTE_PGM_RSRC3_GFX90A:ACCUM_OFFSET: 0
; COMPUTE_PGM_RSRC3_GFX90A:TG_SPLIT: 0
	.section	.text._ZN7rocprim17ROCPRIM_400000_NS6detail17trampoline_kernelINS0_14default_configENS1_36segmented_radix_sort_config_selectorIblEEZNS1_25segmented_radix_sort_implIS3_Lb1EPKbPbPKlPlN2at6native12_GLOBAL__N_18offset_tEEE10hipError_tPvRmT1_PNSt15iterator_traitsISK_E10value_typeET2_T3_PNSL_ISQ_E10value_typeET4_jRbjT5_SW_jjP12ihipStream_tbEUlT_E0_NS1_11comp_targetILNS1_3genE2ELNS1_11target_archE906ELNS1_3gpuE6ELNS1_3repE0EEENS1_60segmented_radix_sort_warp_sort_medium_config_static_selectorELNS0_4arch9wavefront6targetE1EEEvSK_,"axG",@progbits,_ZN7rocprim17ROCPRIM_400000_NS6detail17trampoline_kernelINS0_14default_configENS1_36segmented_radix_sort_config_selectorIblEEZNS1_25segmented_radix_sort_implIS3_Lb1EPKbPbPKlPlN2at6native12_GLOBAL__N_18offset_tEEE10hipError_tPvRmT1_PNSt15iterator_traitsISK_E10value_typeET2_T3_PNSL_ISQ_E10value_typeET4_jRbjT5_SW_jjP12ihipStream_tbEUlT_E0_NS1_11comp_targetILNS1_3genE2ELNS1_11target_archE906ELNS1_3gpuE6ELNS1_3repE0EEENS1_60segmented_radix_sort_warp_sort_medium_config_static_selectorELNS0_4arch9wavefront6targetE1EEEvSK_,comdat
	.globl	_ZN7rocprim17ROCPRIM_400000_NS6detail17trampoline_kernelINS0_14default_configENS1_36segmented_radix_sort_config_selectorIblEEZNS1_25segmented_radix_sort_implIS3_Lb1EPKbPbPKlPlN2at6native12_GLOBAL__N_18offset_tEEE10hipError_tPvRmT1_PNSt15iterator_traitsISK_E10value_typeET2_T3_PNSL_ISQ_E10value_typeET4_jRbjT5_SW_jjP12ihipStream_tbEUlT_E0_NS1_11comp_targetILNS1_3genE2ELNS1_11target_archE906ELNS1_3gpuE6ELNS1_3repE0EEENS1_60segmented_radix_sort_warp_sort_medium_config_static_selectorELNS0_4arch9wavefront6targetE1EEEvSK_ ; -- Begin function _ZN7rocprim17ROCPRIM_400000_NS6detail17trampoline_kernelINS0_14default_configENS1_36segmented_radix_sort_config_selectorIblEEZNS1_25segmented_radix_sort_implIS3_Lb1EPKbPbPKlPlN2at6native12_GLOBAL__N_18offset_tEEE10hipError_tPvRmT1_PNSt15iterator_traitsISK_E10value_typeET2_T3_PNSL_ISQ_E10value_typeET4_jRbjT5_SW_jjP12ihipStream_tbEUlT_E0_NS1_11comp_targetILNS1_3genE2ELNS1_11target_archE906ELNS1_3gpuE6ELNS1_3repE0EEENS1_60segmented_radix_sort_warp_sort_medium_config_static_selectorELNS0_4arch9wavefront6targetE1EEEvSK_
	.p2align	8
	.type	_ZN7rocprim17ROCPRIM_400000_NS6detail17trampoline_kernelINS0_14default_configENS1_36segmented_radix_sort_config_selectorIblEEZNS1_25segmented_radix_sort_implIS3_Lb1EPKbPbPKlPlN2at6native12_GLOBAL__N_18offset_tEEE10hipError_tPvRmT1_PNSt15iterator_traitsISK_E10value_typeET2_T3_PNSL_ISQ_E10value_typeET4_jRbjT5_SW_jjP12ihipStream_tbEUlT_E0_NS1_11comp_targetILNS1_3genE2ELNS1_11target_archE906ELNS1_3gpuE6ELNS1_3repE0EEENS1_60segmented_radix_sort_warp_sort_medium_config_static_selectorELNS0_4arch9wavefront6targetE1EEEvSK_,@function
_ZN7rocprim17ROCPRIM_400000_NS6detail17trampoline_kernelINS0_14default_configENS1_36segmented_radix_sort_config_selectorIblEEZNS1_25segmented_radix_sort_implIS3_Lb1EPKbPbPKlPlN2at6native12_GLOBAL__N_18offset_tEEE10hipError_tPvRmT1_PNSt15iterator_traitsISK_E10value_typeET2_T3_PNSL_ISQ_E10value_typeET4_jRbjT5_SW_jjP12ihipStream_tbEUlT_E0_NS1_11comp_targetILNS1_3genE2ELNS1_11target_archE906ELNS1_3gpuE6ELNS1_3repE0EEENS1_60segmented_radix_sort_warp_sort_medium_config_static_selectorELNS0_4arch9wavefront6targetE1EEEvSK_: ; @_ZN7rocprim17ROCPRIM_400000_NS6detail17trampoline_kernelINS0_14default_configENS1_36segmented_radix_sort_config_selectorIblEEZNS1_25segmented_radix_sort_implIS3_Lb1EPKbPbPKlPlN2at6native12_GLOBAL__N_18offset_tEEE10hipError_tPvRmT1_PNSt15iterator_traitsISK_E10value_typeET2_T3_PNSL_ISQ_E10value_typeET4_jRbjT5_SW_jjP12ihipStream_tbEUlT_E0_NS1_11comp_targetILNS1_3genE2ELNS1_11target_archE906ELNS1_3gpuE6ELNS1_3repE0EEENS1_60segmented_radix_sort_warp_sort_medium_config_static_selectorELNS0_4arch9wavefront6targetE1EEEvSK_
; %bb.0:
	.section	.rodata,"a",@progbits
	.p2align	6, 0x0
	.amdhsa_kernel _ZN7rocprim17ROCPRIM_400000_NS6detail17trampoline_kernelINS0_14default_configENS1_36segmented_radix_sort_config_selectorIblEEZNS1_25segmented_radix_sort_implIS3_Lb1EPKbPbPKlPlN2at6native12_GLOBAL__N_18offset_tEEE10hipError_tPvRmT1_PNSt15iterator_traitsISK_E10value_typeET2_T3_PNSL_ISQ_E10value_typeET4_jRbjT5_SW_jjP12ihipStream_tbEUlT_E0_NS1_11comp_targetILNS1_3genE2ELNS1_11target_archE906ELNS1_3gpuE6ELNS1_3repE0EEENS1_60segmented_radix_sort_warp_sort_medium_config_static_selectorELNS0_4arch9wavefront6targetE1EEEvSK_
		.amdhsa_group_segment_fixed_size 0
		.amdhsa_private_segment_fixed_size 0
		.amdhsa_kernarg_size 88
		.amdhsa_user_sgpr_count 6
		.amdhsa_user_sgpr_private_segment_buffer 1
		.amdhsa_user_sgpr_dispatch_ptr 0
		.amdhsa_user_sgpr_queue_ptr 0
		.amdhsa_user_sgpr_kernarg_segment_ptr 1
		.amdhsa_user_sgpr_dispatch_id 0
		.amdhsa_user_sgpr_flat_scratch_init 0
		.amdhsa_user_sgpr_kernarg_preload_length 0
		.amdhsa_user_sgpr_kernarg_preload_offset 0
		.amdhsa_user_sgpr_private_segment_size 0
		.amdhsa_uses_dynamic_stack 0
		.amdhsa_system_sgpr_private_segment_wavefront_offset 0
		.amdhsa_system_sgpr_workgroup_id_x 1
		.amdhsa_system_sgpr_workgroup_id_y 0
		.amdhsa_system_sgpr_workgroup_id_z 0
		.amdhsa_system_sgpr_workgroup_info 0
		.amdhsa_system_vgpr_workitem_id 0
		.amdhsa_next_free_vgpr 1
		.amdhsa_next_free_sgpr 0
		.amdhsa_accum_offset 4
		.amdhsa_reserve_vcc 0
		.amdhsa_reserve_flat_scratch 0
		.amdhsa_float_round_mode_32 0
		.amdhsa_float_round_mode_16_64 0
		.amdhsa_float_denorm_mode_32 3
		.amdhsa_float_denorm_mode_16_64 3
		.amdhsa_dx10_clamp 1
		.amdhsa_ieee_mode 1
		.amdhsa_fp16_overflow 0
		.amdhsa_tg_split 0
		.amdhsa_exception_fp_ieee_invalid_op 0
		.amdhsa_exception_fp_denorm_src 0
		.amdhsa_exception_fp_ieee_div_zero 0
		.amdhsa_exception_fp_ieee_overflow 0
		.amdhsa_exception_fp_ieee_underflow 0
		.amdhsa_exception_fp_ieee_inexact 0
		.amdhsa_exception_int_div_zero 0
	.end_amdhsa_kernel
	.section	.text._ZN7rocprim17ROCPRIM_400000_NS6detail17trampoline_kernelINS0_14default_configENS1_36segmented_radix_sort_config_selectorIblEEZNS1_25segmented_radix_sort_implIS3_Lb1EPKbPbPKlPlN2at6native12_GLOBAL__N_18offset_tEEE10hipError_tPvRmT1_PNSt15iterator_traitsISK_E10value_typeET2_T3_PNSL_ISQ_E10value_typeET4_jRbjT5_SW_jjP12ihipStream_tbEUlT_E0_NS1_11comp_targetILNS1_3genE2ELNS1_11target_archE906ELNS1_3gpuE6ELNS1_3repE0EEENS1_60segmented_radix_sort_warp_sort_medium_config_static_selectorELNS0_4arch9wavefront6targetE1EEEvSK_,"axG",@progbits,_ZN7rocprim17ROCPRIM_400000_NS6detail17trampoline_kernelINS0_14default_configENS1_36segmented_radix_sort_config_selectorIblEEZNS1_25segmented_radix_sort_implIS3_Lb1EPKbPbPKlPlN2at6native12_GLOBAL__N_18offset_tEEE10hipError_tPvRmT1_PNSt15iterator_traitsISK_E10value_typeET2_T3_PNSL_ISQ_E10value_typeET4_jRbjT5_SW_jjP12ihipStream_tbEUlT_E0_NS1_11comp_targetILNS1_3genE2ELNS1_11target_archE906ELNS1_3gpuE6ELNS1_3repE0EEENS1_60segmented_radix_sort_warp_sort_medium_config_static_selectorELNS0_4arch9wavefront6targetE1EEEvSK_,comdat
.Lfunc_end1545:
	.size	_ZN7rocprim17ROCPRIM_400000_NS6detail17trampoline_kernelINS0_14default_configENS1_36segmented_radix_sort_config_selectorIblEEZNS1_25segmented_radix_sort_implIS3_Lb1EPKbPbPKlPlN2at6native12_GLOBAL__N_18offset_tEEE10hipError_tPvRmT1_PNSt15iterator_traitsISK_E10value_typeET2_T3_PNSL_ISQ_E10value_typeET4_jRbjT5_SW_jjP12ihipStream_tbEUlT_E0_NS1_11comp_targetILNS1_3genE2ELNS1_11target_archE906ELNS1_3gpuE6ELNS1_3repE0EEENS1_60segmented_radix_sort_warp_sort_medium_config_static_selectorELNS0_4arch9wavefront6targetE1EEEvSK_, .Lfunc_end1545-_ZN7rocprim17ROCPRIM_400000_NS6detail17trampoline_kernelINS0_14default_configENS1_36segmented_radix_sort_config_selectorIblEEZNS1_25segmented_radix_sort_implIS3_Lb1EPKbPbPKlPlN2at6native12_GLOBAL__N_18offset_tEEE10hipError_tPvRmT1_PNSt15iterator_traitsISK_E10value_typeET2_T3_PNSL_ISQ_E10value_typeET4_jRbjT5_SW_jjP12ihipStream_tbEUlT_E0_NS1_11comp_targetILNS1_3genE2ELNS1_11target_archE906ELNS1_3gpuE6ELNS1_3repE0EEENS1_60segmented_radix_sort_warp_sort_medium_config_static_selectorELNS0_4arch9wavefront6targetE1EEEvSK_
                                        ; -- End function
	.section	.AMDGPU.csdata,"",@progbits
; Kernel info:
; codeLenInByte = 0
; NumSgprs: 4
; NumVgprs: 0
; NumAgprs: 0
; TotalNumVgprs: 0
; ScratchSize: 0
; MemoryBound: 0
; FloatMode: 240
; IeeeMode: 1
; LDSByteSize: 0 bytes/workgroup (compile time only)
; SGPRBlocks: 0
; VGPRBlocks: 0
; NumSGPRsForWavesPerEU: 4
; NumVGPRsForWavesPerEU: 1
; AccumOffset: 4
; Occupancy: 8
; WaveLimiterHint : 0
; COMPUTE_PGM_RSRC2:SCRATCH_EN: 0
; COMPUTE_PGM_RSRC2:USER_SGPR: 6
; COMPUTE_PGM_RSRC2:TRAP_HANDLER: 0
; COMPUTE_PGM_RSRC2:TGID_X_EN: 1
; COMPUTE_PGM_RSRC2:TGID_Y_EN: 0
; COMPUTE_PGM_RSRC2:TGID_Z_EN: 0
; COMPUTE_PGM_RSRC2:TIDIG_COMP_CNT: 0
; COMPUTE_PGM_RSRC3_GFX90A:ACCUM_OFFSET: 0
; COMPUTE_PGM_RSRC3_GFX90A:TG_SPLIT: 0
	.section	.text._ZN7rocprim17ROCPRIM_400000_NS6detail17trampoline_kernelINS0_14default_configENS1_36segmented_radix_sort_config_selectorIblEEZNS1_25segmented_radix_sort_implIS3_Lb1EPKbPbPKlPlN2at6native12_GLOBAL__N_18offset_tEEE10hipError_tPvRmT1_PNSt15iterator_traitsISK_E10value_typeET2_T3_PNSL_ISQ_E10value_typeET4_jRbjT5_SW_jjP12ihipStream_tbEUlT_E0_NS1_11comp_targetILNS1_3genE10ELNS1_11target_archE1201ELNS1_3gpuE5ELNS1_3repE0EEENS1_60segmented_radix_sort_warp_sort_medium_config_static_selectorELNS0_4arch9wavefront6targetE1EEEvSK_,"axG",@progbits,_ZN7rocprim17ROCPRIM_400000_NS6detail17trampoline_kernelINS0_14default_configENS1_36segmented_radix_sort_config_selectorIblEEZNS1_25segmented_radix_sort_implIS3_Lb1EPKbPbPKlPlN2at6native12_GLOBAL__N_18offset_tEEE10hipError_tPvRmT1_PNSt15iterator_traitsISK_E10value_typeET2_T3_PNSL_ISQ_E10value_typeET4_jRbjT5_SW_jjP12ihipStream_tbEUlT_E0_NS1_11comp_targetILNS1_3genE10ELNS1_11target_archE1201ELNS1_3gpuE5ELNS1_3repE0EEENS1_60segmented_radix_sort_warp_sort_medium_config_static_selectorELNS0_4arch9wavefront6targetE1EEEvSK_,comdat
	.globl	_ZN7rocprim17ROCPRIM_400000_NS6detail17trampoline_kernelINS0_14default_configENS1_36segmented_radix_sort_config_selectorIblEEZNS1_25segmented_radix_sort_implIS3_Lb1EPKbPbPKlPlN2at6native12_GLOBAL__N_18offset_tEEE10hipError_tPvRmT1_PNSt15iterator_traitsISK_E10value_typeET2_T3_PNSL_ISQ_E10value_typeET4_jRbjT5_SW_jjP12ihipStream_tbEUlT_E0_NS1_11comp_targetILNS1_3genE10ELNS1_11target_archE1201ELNS1_3gpuE5ELNS1_3repE0EEENS1_60segmented_radix_sort_warp_sort_medium_config_static_selectorELNS0_4arch9wavefront6targetE1EEEvSK_ ; -- Begin function _ZN7rocprim17ROCPRIM_400000_NS6detail17trampoline_kernelINS0_14default_configENS1_36segmented_radix_sort_config_selectorIblEEZNS1_25segmented_radix_sort_implIS3_Lb1EPKbPbPKlPlN2at6native12_GLOBAL__N_18offset_tEEE10hipError_tPvRmT1_PNSt15iterator_traitsISK_E10value_typeET2_T3_PNSL_ISQ_E10value_typeET4_jRbjT5_SW_jjP12ihipStream_tbEUlT_E0_NS1_11comp_targetILNS1_3genE10ELNS1_11target_archE1201ELNS1_3gpuE5ELNS1_3repE0EEENS1_60segmented_radix_sort_warp_sort_medium_config_static_selectorELNS0_4arch9wavefront6targetE1EEEvSK_
	.p2align	8
	.type	_ZN7rocprim17ROCPRIM_400000_NS6detail17trampoline_kernelINS0_14default_configENS1_36segmented_radix_sort_config_selectorIblEEZNS1_25segmented_radix_sort_implIS3_Lb1EPKbPbPKlPlN2at6native12_GLOBAL__N_18offset_tEEE10hipError_tPvRmT1_PNSt15iterator_traitsISK_E10value_typeET2_T3_PNSL_ISQ_E10value_typeET4_jRbjT5_SW_jjP12ihipStream_tbEUlT_E0_NS1_11comp_targetILNS1_3genE10ELNS1_11target_archE1201ELNS1_3gpuE5ELNS1_3repE0EEENS1_60segmented_radix_sort_warp_sort_medium_config_static_selectorELNS0_4arch9wavefront6targetE1EEEvSK_,@function
_ZN7rocprim17ROCPRIM_400000_NS6detail17trampoline_kernelINS0_14default_configENS1_36segmented_radix_sort_config_selectorIblEEZNS1_25segmented_radix_sort_implIS3_Lb1EPKbPbPKlPlN2at6native12_GLOBAL__N_18offset_tEEE10hipError_tPvRmT1_PNSt15iterator_traitsISK_E10value_typeET2_T3_PNSL_ISQ_E10value_typeET4_jRbjT5_SW_jjP12ihipStream_tbEUlT_E0_NS1_11comp_targetILNS1_3genE10ELNS1_11target_archE1201ELNS1_3gpuE5ELNS1_3repE0EEENS1_60segmented_radix_sort_warp_sort_medium_config_static_selectorELNS0_4arch9wavefront6targetE1EEEvSK_: ; @_ZN7rocprim17ROCPRIM_400000_NS6detail17trampoline_kernelINS0_14default_configENS1_36segmented_radix_sort_config_selectorIblEEZNS1_25segmented_radix_sort_implIS3_Lb1EPKbPbPKlPlN2at6native12_GLOBAL__N_18offset_tEEE10hipError_tPvRmT1_PNSt15iterator_traitsISK_E10value_typeET2_T3_PNSL_ISQ_E10value_typeET4_jRbjT5_SW_jjP12ihipStream_tbEUlT_E0_NS1_11comp_targetILNS1_3genE10ELNS1_11target_archE1201ELNS1_3gpuE5ELNS1_3repE0EEENS1_60segmented_radix_sort_warp_sort_medium_config_static_selectorELNS0_4arch9wavefront6targetE1EEEvSK_
; %bb.0:
	.section	.rodata,"a",@progbits
	.p2align	6, 0x0
	.amdhsa_kernel _ZN7rocprim17ROCPRIM_400000_NS6detail17trampoline_kernelINS0_14default_configENS1_36segmented_radix_sort_config_selectorIblEEZNS1_25segmented_radix_sort_implIS3_Lb1EPKbPbPKlPlN2at6native12_GLOBAL__N_18offset_tEEE10hipError_tPvRmT1_PNSt15iterator_traitsISK_E10value_typeET2_T3_PNSL_ISQ_E10value_typeET4_jRbjT5_SW_jjP12ihipStream_tbEUlT_E0_NS1_11comp_targetILNS1_3genE10ELNS1_11target_archE1201ELNS1_3gpuE5ELNS1_3repE0EEENS1_60segmented_radix_sort_warp_sort_medium_config_static_selectorELNS0_4arch9wavefront6targetE1EEEvSK_
		.amdhsa_group_segment_fixed_size 0
		.amdhsa_private_segment_fixed_size 0
		.amdhsa_kernarg_size 88
		.amdhsa_user_sgpr_count 6
		.amdhsa_user_sgpr_private_segment_buffer 1
		.amdhsa_user_sgpr_dispatch_ptr 0
		.amdhsa_user_sgpr_queue_ptr 0
		.amdhsa_user_sgpr_kernarg_segment_ptr 1
		.amdhsa_user_sgpr_dispatch_id 0
		.amdhsa_user_sgpr_flat_scratch_init 0
		.amdhsa_user_sgpr_kernarg_preload_length 0
		.amdhsa_user_sgpr_kernarg_preload_offset 0
		.amdhsa_user_sgpr_private_segment_size 0
		.amdhsa_uses_dynamic_stack 0
		.amdhsa_system_sgpr_private_segment_wavefront_offset 0
		.amdhsa_system_sgpr_workgroup_id_x 1
		.amdhsa_system_sgpr_workgroup_id_y 0
		.amdhsa_system_sgpr_workgroup_id_z 0
		.amdhsa_system_sgpr_workgroup_info 0
		.amdhsa_system_vgpr_workitem_id 0
		.amdhsa_next_free_vgpr 1
		.amdhsa_next_free_sgpr 0
		.amdhsa_accum_offset 4
		.amdhsa_reserve_vcc 0
		.amdhsa_reserve_flat_scratch 0
		.amdhsa_float_round_mode_32 0
		.amdhsa_float_round_mode_16_64 0
		.amdhsa_float_denorm_mode_32 3
		.amdhsa_float_denorm_mode_16_64 3
		.amdhsa_dx10_clamp 1
		.amdhsa_ieee_mode 1
		.amdhsa_fp16_overflow 0
		.amdhsa_tg_split 0
		.amdhsa_exception_fp_ieee_invalid_op 0
		.amdhsa_exception_fp_denorm_src 0
		.amdhsa_exception_fp_ieee_div_zero 0
		.amdhsa_exception_fp_ieee_overflow 0
		.amdhsa_exception_fp_ieee_underflow 0
		.amdhsa_exception_fp_ieee_inexact 0
		.amdhsa_exception_int_div_zero 0
	.end_amdhsa_kernel
	.section	.text._ZN7rocprim17ROCPRIM_400000_NS6detail17trampoline_kernelINS0_14default_configENS1_36segmented_radix_sort_config_selectorIblEEZNS1_25segmented_radix_sort_implIS3_Lb1EPKbPbPKlPlN2at6native12_GLOBAL__N_18offset_tEEE10hipError_tPvRmT1_PNSt15iterator_traitsISK_E10value_typeET2_T3_PNSL_ISQ_E10value_typeET4_jRbjT5_SW_jjP12ihipStream_tbEUlT_E0_NS1_11comp_targetILNS1_3genE10ELNS1_11target_archE1201ELNS1_3gpuE5ELNS1_3repE0EEENS1_60segmented_radix_sort_warp_sort_medium_config_static_selectorELNS0_4arch9wavefront6targetE1EEEvSK_,"axG",@progbits,_ZN7rocprim17ROCPRIM_400000_NS6detail17trampoline_kernelINS0_14default_configENS1_36segmented_radix_sort_config_selectorIblEEZNS1_25segmented_radix_sort_implIS3_Lb1EPKbPbPKlPlN2at6native12_GLOBAL__N_18offset_tEEE10hipError_tPvRmT1_PNSt15iterator_traitsISK_E10value_typeET2_T3_PNSL_ISQ_E10value_typeET4_jRbjT5_SW_jjP12ihipStream_tbEUlT_E0_NS1_11comp_targetILNS1_3genE10ELNS1_11target_archE1201ELNS1_3gpuE5ELNS1_3repE0EEENS1_60segmented_radix_sort_warp_sort_medium_config_static_selectorELNS0_4arch9wavefront6targetE1EEEvSK_,comdat
.Lfunc_end1546:
	.size	_ZN7rocprim17ROCPRIM_400000_NS6detail17trampoline_kernelINS0_14default_configENS1_36segmented_radix_sort_config_selectorIblEEZNS1_25segmented_radix_sort_implIS3_Lb1EPKbPbPKlPlN2at6native12_GLOBAL__N_18offset_tEEE10hipError_tPvRmT1_PNSt15iterator_traitsISK_E10value_typeET2_T3_PNSL_ISQ_E10value_typeET4_jRbjT5_SW_jjP12ihipStream_tbEUlT_E0_NS1_11comp_targetILNS1_3genE10ELNS1_11target_archE1201ELNS1_3gpuE5ELNS1_3repE0EEENS1_60segmented_radix_sort_warp_sort_medium_config_static_selectorELNS0_4arch9wavefront6targetE1EEEvSK_, .Lfunc_end1546-_ZN7rocprim17ROCPRIM_400000_NS6detail17trampoline_kernelINS0_14default_configENS1_36segmented_radix_sort_config_selectorIblEEZNS1_25segmented_radix_sort_implIS3_Lb1EPKbPbPKlPlN2at6native12_GLOBAL__N_18offset_tEEE10hipError_tPvRmT1_PNSt15iterator_traitsISK_E10value_typeET2_T3_PNSL_ISQ_E10value_typeET4_jRbjT5_SW_jjP12ihipStream_tbEUlT_E0_NS1_11comp_targetILNS1_3genE10ELNS1_11target_archE1201ELNS1_3gpuE5ELNS1_3repE0EEENS1_60segmented_radix_sort_warp_sort_medium_config_static_selectorELNS0_4arch9wavefront6targetE1EEEvSK_
                                        ; -- End function
	.section	.AMDGPU.csdata,"",@progbits
; Kernel info:
; codeLenInByte = 0
; NumSgprs: 4
; NumVgprs: 0
; NumAgprs: 0
; TotalNumVgprs: 0
; ScratchSize: 0
; MemoryBound: 0
; FloatMode: 240
; IeeeMode: 1
; LDSByteSize: 0 bytes/workgroup (compile time only)
; SGPRBlocks: 0
; VGPRBlocks: 0
; NumSGPRsForWavesPerEU: 4
; NumVGPRsForWavesPerEU: 1
; AccumOffset: 4
; Occupancy: 8
; WaveLimiterHint : 0
; COMPUTE_PGM_RSRC2:SCRATCH_EN: 0
; COMPUTE_PGM_RSRC2:USER_SGPR: 6
; COMPUTE_PGM_RSRC2:TRAP_HANDLER: 0
; COMPUTE_PGM_RSRC2:TGID_X_EN: 1
; COMPUTE_PGM_RSRC2:TGID_Y_EN: 0
; COMPUTE_PGM_RSRC2:TGID_Z_EN: 0
; COMPUTE_PGM_RSRC2:TIDIG_COMP_CNT: 0
; COMPUTE_PGM_RSRC3_GFX90A:ACCUM_OFFSET: 0
; COMPUTE_PGM_RSRC3_GFX90A:TG_SPLIT: 0
	.section	.text._ZN7rocprim17ROCPRIM_400000_NS6detail17trampoline_kernelINS0_14default_configENS1_36segmented_radix_sort_config_selectorIblEEZNS1_25segmented_radix_sort_implIS3_Lb1EPKbPbPKlPlN2at6native12_GLOBAL__N_18offset_tEEE10hipError_tPvRmT1_PNSt15iterator_traitsISK_E10value_typeET2_T3_PNSL_ISQ_E10value_typeET4_jRbjT5_SW_jjP12ihipStream_tbEUlT_E0_NS1_11comp_targetILNS1_3genE10ELNS1_11target_archE1200ELNS1_3gpuE4ELNS1_3repE0EEENS1_60segmented_radix_sort_warp_sort_medium_config_static_selectorELNS0_4arch9wavefront6targetE1EEEvSK_,"axG",@progbits,_ZN7rocprim17ROCPRIM_400000_NS6detail17trampoline_kernelINS0_14default_configENS1_36segmented_radix_sort_config_selectorIblEEZNS1_25segmented_radix_sort_implIS3_Lb1EPKbPbPKlPlN2at6native12_GLOBAL__N_18offset_tEEE10hipError_tPvRmT1_PNSt15iterator_traitsISK_E10value_typeET2_T3_PNSL_ISQ_E10value_typeET4_jRbjT5_SW_jjP12ihipStream_tbEUlT_E0_NS1_11comp_targetILNS1_3genE10ELNS1_11target_archE1200ELNS1_3gpuE4ELNS1_3repE0EEENS1_60segmented_radix_sort_warp_sort_medium_config_static_selectorELNS0_4arch9wavefront6targetE1EEEvSK_,comdat
	.globl	_ZN7rocprim17ROCPRIM_400000_NS6detail17trampoline_kernelINS0_14default_configENS1_36segmented_radix_sort_config_selectorIblEEZNS1_25segmented_radix_sort_implIS3_Lb1EPKbPbPKlPlN2at6native12_GLOBAL__N_18offset_tEEE10hipError_tPvRmT1_PNSt15iterator_traitsISK_E10value_typeET2_T3_PNSL_ISQ_E10value_typeET4_jRbjT5_SW_jjP12ihipStream_tbEUlT_E0_NS1_11comp_targetILNS1_3genE10ELNS1_11target_archE1200ELNS1_3gpuE4ELNS1_3repE0EEENS1_60segmented_radix_sort_warp_sort_medium_config_static_selectorELNS0_4arch9wavefront6targetE1EEEvSK_ ; -- Begin function _ZN7rocprim17ROCPRIM_400000_NS6detail17trampoline_kernelINS0_14default_configENS1_36segmented_radix_sort_config_selectorIblEEZNS1_25segmented_radix_sort_implIS3_Lb1EPKbPbPKlPlN2at6native12_GLOBAL__N_18offset_tEEE10hipError_tPvRmT1_PNSt15iterator_traitsISK_E10value_typeET2_T3_PNSL_ISQ_E10value_typeET4_jRbjT5_SW_jjP12ihipStream_tbEUlT_E0_NS1_11comp_targetILNS1_3genE10ELNS1_11target_archE1200ELNS1_3gpuE4ELNS1_3repE0EEENS1_60segmented_radix_sort_warp_sort_medium_config_static_selectorELNS0_4arch9wavefront6targetE1EEEvSK_
	.p2align	8
	.type	_ZN7rocprim17ROCPRIM_400000_NS6detail17trampoline_kernelINS0_14default_configENS1_36segmented_radix_sort_config_selectorIblEEZNS1_25segmented_radix_sort_implIS3_Lb1EPKbPbPKlPlN2at6native12_GLOBAL__N_18offset_tEEE10hipError_tPvRmT1_PNSt15iterator_traitsISK_E10value_typeET2_T3_PNSL_ISQ_E10value_typeET4_jRbjT5_SW_jjP12ihipStream_tbEUlT_E0_NS1_11comp_targetILNS1_3genE10ELNS1_11target_archE1200ELNS1_3gpuE4ELNS1_3repE0EEENS1_60segmented_radix_sort_warp_sort_medium_config_static_selectorELNS0_4arch9wavefront6targetE1EEEvSK_,@function
_ZN7rocprim17ROCPRIM_400000_NS6detail17trampoline_kernelINS0_14default_configENS1_36segmented_radix_sort_config_selectorIblEEZNS1_25segmented_radix_sort_implIS3_Lb1EPKbPbPKlPlN2at6native12_GLOBAL__N_18offset_tEEE10hipError_tPvRmT1_PNSt15iterator_traitsISK_E10value_typeET2_T3_PNSL_ISQ_E10value_typeET4_jRbjT5_SW_jjP12ihipStream_tbEUlT_E0_NS1_11comp_targetILNS1_3genE10ELNS1_11target_archE1200ELNS1_3gpuE4ELNS1_3repE0EEENS1_60segmented_radix_sort_warp_sort_medium_config_static_selectorELNS0_4arch9wavefront6targetE1EEEvSK_: ; @_ZN7rocprim17ROCPRIM_400000_NS6detail17trampoline_kernelINS0_14default_configENS1_36segmented_radix_sort_config_selectorIblEEZNS1_25segmented_radix_sort_implIS3_Lb1EPKbPbPKlPlN2at6native12_GLOBAL__N_18offset_tEEE10hipError_tPvRmT1_PNSt15iterator_traitsISK_E10value_typeET2_T3_PNSL_ISQ_E10value_typeET4_jRbjT5_SW_jjP12ihipStream_tbEUlT_E0_NS1_11comp_targetILNS1_3genE10ELNS1_11target_archE1200ELNS1_3gpuE4ELNS1_3repE0EEENS1_60segmented_radix_sort_warp_sort_medium_config_static_selectorELNS0_4arch9wavefront6targetE1EEEvSK_
; %bb.0:
	.section	.rodata,"a",@progbits
	.p2align	6, 0x0
	.amdhsa_kernel _ZN7rocprim17ROCPRIM_400000_NS6detail17trampoline_kernelINS0_14default_configENS1_36segmented_radix_sort_config_selectorIblEEZNS1_25segmented_radix_sort_implIS3_Lb1EPKbPbPKlPlN2at6native12_GLOBAL__N_18offset_tEEE10hipError_tPvRmT1_PNSt15iterator_traitsISK_E10value_typeET2_T3_PNSL_ISQ_E10value_typeET4_jRbjT5_SW_jjP12ihipStream_tbEUlT_E0_NS1_11comp_targetILNS1_3genE10ELNS1_11target_archE1200ELNS1_3gpuE4ELNS1_3repE0EEENS1_60segmented_radix_sort_warp_sort_medium_config_static_selectorELNS0_4arch9wavefront6targetE1EEEvSK_
		.amdhsa_group_segment_fixed_size 0
		.amdhsa_private_segment_fixed_size 0
		.amdhsa_kernarg_size 88
		.amdhsa_user_sgpr_count 6
		.amdhsa_user_sgpr_private_segment_buffer 1
		.amdhsa_user_sgpr_dispatch_ptr 0
		.amdhsa_user_sgpr_queue_ptr 0
		.amdhsa_user_sgpr_kernarg_segment_ptr 1
		.amdhsa_user_sgpr_dispatch_id 0
		.amdhsa_user_sgpr_flat_scratch_init 0
		.amdhsa_user_sgpr_kernarg_preload_length 0
		.amdhsa_user_sgpr_kernarg_preload_offset 0
		.amdhsa_user_sgpr_private_segment_size 0
		.amdhsa_uses_dynamic_stack 0
		.amdhsa_system_sgpr_private_segment_wavefront_offset 0
		.amdhsa_system_sgpr_workgroup_id_x 1
		.amdhsa_system_sgpr_workgroup_id_y 0
		.amdhsa_system_sgpr_workgroup_id_z 0
		.amdhsa_system_sgpr_workgroup_info 0
		.amdhsa_system_vgpr_workitem_id 0
		.amdhsa_next_free_vgpr 1
		.amdhsa_next_free_sgpr 0
		.amdhsa_accum_offset 4
		.amdhsa_reserve_vcc 0
		.amdhsa_reserve_flat_scratch 0
		.amdhsa_float_round_mode_32 0
		.amdhsa_float_round_mode_16_64 0
		.amdhsa_float_denorm_mode_32 3
		.amdhsa_float_denorm_mode_16_64 3
		.amdhsa_dx10_clamp 1
		.amdhsa_ieee_mode 1
		.amdhsa_fp16_overflow 0
		.amdhsa_tg_split 0
		.amdhsa_exception_fp_ieee_invalid_op 0
		.amdhsa_exception_fp_denorm_src 0
		.amdhsa_exception_fp_ieee_div_zero 0
		.amdhsa_exception_fp_ieee_overflow 0
		.amdhsa_exception_fp_ieee_underflow 0
		.amdhsa_exception_fp_ieee_inexact 0
		.amdhsa_exception_int_div_zero 0
	.end_amdhsa_kernel
	.section	.text._ZN7rocprim17ROCPRIM_400000_NS6detail17trampoline_kernelINS0_14default_configENS1_36segmented_radix_sort_config_selectorIblEEZNS1_25segmented_radix_sort_implIS3_Lb1EPKbPbPKlPlN2at6native12_GLOBAL__N_18offset_tEEE10hipError_tPvRmT1_PNSt15iterator_traitsISK_E10value_typeET2_T3_PNSL_ISQ_E10value_typeET4_jRbjT5_SW_jjP12ihipStream_tbEUlT_E0_NS1_11comp_targetILNS1_3genE10ELNS1_11target_archE1200ELNS1_3gpuE4ELNS1_3repE0EEENS1_60segmented_radix_sort_warp_sort_medium_config_static_selectorELNS0_4arch9wavefront6targetE1EEEvSK_,"axG",@progbits,_ZN7rocprim17ROCPRIM_400000_NS6detail17trampoline_kernelINS0_14default_configENS1_36segmented_radix_sort_config_selectorIblEEZNS1_25segmented_radix_sort_implIS3_Lb1EPKbPbPKlPlN2at6native12_GLOBAL__N_18offset_tEEE10hipError_tPvRmT1_PNSt15iterator_traitsISK_E10value_typeET2_T3_PNSL_ISQ_E10value_typeET4_jRbjT5_SW_jjP12ihipStream_tbEUlT_E0_NS1_11comp_targetILNS1_3genE10ELNS1_11target_archE1200ELNS1_3gpuE4ELNS1_3repE0EEENS1_60segmented_radix_sort_warp_sort_medium_config_static_selectorELNS0_4arch9wavefront6targetE1EEEvSK_,comdat
.Lfunc_end1547:
	.size	_ZN7rocprim17ROCPRIM_400000_NS6detail17trampoline_kernelINS0_14default_configENS1_36segmented_radix_sort_config_selectorIblEEZNS1_25segmented_radix_sort_implIS3_Lb1EPKbPbPKlPlN2at6native12_GLOBAL__N_18offset_tEEE10hipError_tPvRmT1_PNSt15iterator_traitsISK_E10value_typeET2_T3_PNSL_ISQ_E10value_typeET4_jRbjT5_SW_jjP12ihipStream_tbEUlT_E0_NS1_11comp_targetILNS1_3genE10ELNS1_11target_archE1200ELNS1_3gpuE4ELNS1_3repE0EEENS1_60segmented_radix_sort_warp_sort_medium_config_static_selectorELNS0_4arch9wavefront6targetE1EEEvSK_, .Lfunc_end1547-_ZN7rocprim17ROCPRIM_400000_NS6detail17trampoline_kernelINS0_14default_configENS1_36segmented_radix_sort_config_selectorIblEEZNS1_25segmented_radix_sort_implIS3_Lb1EPKbPbPKlPlN2at6native12_GLOBAL__N_18offset_tEEE10hipError_tPvRmT1_PNSt15iterator_traitsISK_E10value_typeET2_T3_PNSL_ISQ_E10value_typeET4_jRbjT5_SW_jjP12ihipStream_tbEUlT_E0_NS1_11comp_targetILNS1_3genE10ELNS1_11target_archE1200ELNS1_3gpuE4ELNS1_3repE0EEENS1_60segmented_radix_sort_warp_sort_medium_config_static_selectorELNS0_4arch9wavefront6targetE1EEEvSK_
                                        ; -- End function
	.section	.AMDGPU.csdata,"",@progbits
; Kernel info:
; codeLenInByte = 0
; NumSgprs: 4
; NumVgprs: 0
; NumAgprs: 0
; TotalNumVgprs: 0
; ScratchSize: 0
; MemoryBound: 0
; FloatMode: 240
; IeeeMode: 1
; LDSByteSize: 0 bytes/workgroup (compile time only)
; SGPRBlocks: 0
; VGPRBlocks: 0
; NumSGPRsForWavesPerEU: 4
; NumVGPRsForWavesPerEU: 1
; AccumOffset: 4
; Occupancy: 8
; WaveLimiterHint : 0
; COMPUTE_PGM_RSRC2:SCRATCH_EN: 0
; COMPUTE_PGM_RSRC2:USER_SGPR: 6
; COMPUTE_PGM_RSRC2:TRAP_HANDLER: 0
; COMPUTE_PGM_RSRC2:TGID_X_EN: 1
; COMPUTE_PGM_RSRC2:TGID_Y_EN: 0
; COMPUTE_PGM_RSRC2:TGID_Z_EN: 0
; COMPUTE_PGM_RSRC2:TIDIG_COMP_CNT: 0
; COMPUTE_PGM_RSRC3_GFX90A:ACCUM_OFFSET: 0
; COMPUTE_PGM_RSRC3_GFX90A:TG_SPLIT: 0
	.section	.text._ZN7rocprim17ROCPRIM_400000_NS6detail17trampoline_kernelINS0_14default_configENS1_36segmented_radix_sort_config_selectorIblEEZNS1_25segmented_radix_sort_implIS3_Lb1EPKbPbPKlPlN2at6native12_GLOBAL__N_18offset_tEEE10hipError_tPvRmT1_PNSt15iterator_traitsISK_E10value_typeET2_T3_PNSL_ISQ_E10value_typeET4_jRbjT5_SW_jjP12ihipStream_tbEUlT_E0_NS1_11comp_targetILNS1_3genE9ELNS1_11target_archE1100ELNS1_3gpuE3ELNS1_3repE0EEENS1_60segmented_radix_sort_warp_sort_medium_config_static_selectorELNS0_4arch9wavefront6targetE1EEEvSK_,"axG",@progbits,_ZN7rocprim17ROCPRIM_400000_NS6detail17trampoline_kernelINS0_14default_configENS1_36segmented_radix_sort_config_selectorIblEEZNS1_25segmented_radix_sort_implIS3_Lb1EPKbPbPKlPlN2at6native12_GLOBAL__N_18offset_tEEE10hipError_tPvRmT1_PNSt15iterator_traitsISK_E10value_typeET2_T3_PNSL_ISQ_E10value_typeET4_jRbjT5_SW_jjP12ihipStream_tbEUlT_E0_NS1_11comp_targetILNS1_3genE9ELNS1_11target_archE1100ELNS1_3gpuE3ELNS1_3repE0EEENS1_60segmented_radix_sort_warp_sort_medium_config_static_selectorELNS0_4arch9wavefront6targetE1EEEvSK_,comdat
	.globl	_ZN7rocprim17ROCPRIM_400000_NS6detail17trampoline_kernelINS0_14default_configENS1_36segmented_radix_sort_config_selectorIblEEZNS1_25segmented_radix_sort_implIS3_Lb1EPKbPbPKlPlN2at6native12_GLOBAL__N_18offset_tEEE10hipError_tPvRmT1_PNSt15iterator_traitsISK_E10value_typeET2_T3_PNSL_ISQ_E10value_typeET4_jRbjT5_SW_jjP12ihipStream_tbEUlT_E0_NS1_11comp_targetILNS1_3genE9ELNS1_11target_archE1100ELNS1_3gpuE3ELNS1_3repE0EEENS1_60segmented_radix_sort_warp_sort_medium_config_static_selectorELNS0_4arch9wavefront6targetE1EEEvSK_ ; -- Begin function _ZN7rocprim17ROCPRIM_400000_NS6detail17trampoline_kernelINS0_14default_configENS1_36segmented_radix_sort_config_selectorIblEEZNS1_25segmented_radix_sort_implIS3_Lb1EPKbPbPKlPlN2at6native12_GLOBAL__N_18offset_tEEE10hipError_tPvRmT1_PNSt15iterator_traitsISK_E10value_typeET2_T3_PNSL_ISQ_E10value_typeET4_jRbjT5_SW_jjP12ihipStream_tbEUlT_E0_NS1_11comp_targetILNS1_3genE9ELNS1_11target_archE1100ELNS1_3gpuE3ELNS1_3repE0EEENS1_60segmented_radix_sort_warp_sort_medium_config_static_selectorELNS0_4arch9wavefront6targetE1EEEvSK_
	.p2align	8
	.type	_ZN7rocprim17ROCPRIM_400000_NS6detail17trampoline_kernelINS0_14default_configENS1_36segmented_radix_sort_config_selectorIblEEZNS1_25segmented_radix_sort_implIS3_Lb1EPKbPbPKlPlN2at6native12_GLOBAL__N_18offset_tEEE10hipError_tPvRmT1_PNSt15iterator_traitsISK_E10value_typeET2_T3_PNSL_ISQ_E10value_typeET4_jRbjT5_SW_jjP12ihipStream_tbEUlT_E0_NS1_11comp_targetILNS1_3genE9ELNS1_11target_archE1100ELNS1_3gpuE3ELNS1_3repE0EEENS1_60segmented_radix_sort_warp_sort_medium_config_static_selectorELNS0_4arch9wavefront6targetE1EEEvSK_,@function
_ZN7rocprim17ROCPRIM_400000_NS6detail17trampoline_kernelINS0_14default_configENS1_36segmented_radix_sort_config_selectorIblEEZNS1_25segmented_radix_sort_implIS3_Lb1EPKbPbPKlPlN2at6native12_GLOBAL__N_18offset_tEEE10hipError_tPvRmT1_PNSt15iterator_traitsISK_E10value_typeET2_T3_PNSL_ISQ_E10value_typeET4_jRbjT5_SW_jjP12ihipStream_tbEUlT_E0_NS1_11comp_targetILNS1_3genE9ELNS1_11target_archE1100ELNS1_3gpuE3ELNS1_3repE0EEENS1_60segmented_radix_sort_warp_sort_medium_config_static_selectorELNS0_4arch9wavefront6targetE1EEEvSK_: ; @_ZN7rocprim17ROCPRIM_400000_NS6detail17trampoline_kernelINS0_14default_configENS1_36segmented_radix_sort_config_selectorIblEEZNS1_25segmented_radix_sort_implIS3_Lb1EPKbPbPKlPlN2at6native12_GLOBAL__N_18offset_tEEE10hipError_tPvRmT1_PNSt15iterator_traitsISK_E10value_typeET2_T3_PNSL_ISQ_E10value_typeET4_jRbjT5_SW_jjP12ihipStream_tbEUlT_E0_NS1_11comp_targetILNS1_3genE9ELNS1_11target_archE1100ELNS1_3gpuE3ELNS1_3repE0EEENS1_60segmented_radix_sort_warp_sort_medium_config_static_selectorELNS0_4arch9wavefront6targetE1EEEvSK_
; %bb.0:
	.section	.rodata,"a",@progbits
	.p2align	6, 0x0
	.amdhsa_kernel _ZN7rocprim17ROCPRIM_400000_NS6detail17trampoline_kernelINS0_14default_configENS1_36segmented_radix_sort_config_selectorIblEEZNS1_25segmented_radix_sort_implIS3_Lb1EPKbPbPKlPlN2at6native12_GLOBAL__N_18offset_tEEE10hipError_tPvRmT1_PNSt15iterator_traitsISK_E10value_typeET2_T3_PNSL_ISQ_E10value_typeET4_jRbjT5_SW_jjP12ihipStream_tbEUlT_E0_NS1_11comp_targetILNS1_3genE9ELNS1_11target_archE1100ELNS1_3gpuE3ELNS1_3repE0EEENS1_60segmented_radix_sort_warp_sort_medium_config_static_selectorELNS0_4arch9wavefront6targetE1EEEvSK_
		.amdhsa_group_segment_fixed_size 0
		.amdhsa_private_segment_fixed_size 0
		.amdhsa_kernarg_size 88
		.amdhsa_user_sgpr_count 6
		.amdhsa_user_sgpr_private_segment_buffer 1
		.amdhsa_user_sgpr_dispatch_ptr 0
		.amdhsa_user_sgpr_queue_ptr 0
		.amdhsa_user_sgpr_kernarg_segment_ptr 1
		.amdhsa_user_sgpr_dispatch_id 0
		.amdhsa_user_sgpr_flat_scratch_init 0
		.amdhsa_user_sgpr_kernarg_preload_length 0
		.amdhsa_user_sgpr_kernarg_preload_offset 0
		.amdhsa_user_sgpr_private_segment_size 0
		.amdhsa_uses_dynamic_stack 0
		.amdhsa_system_sgpr_private_segment_wavefront_offset 0
		.amdhsa_system_sgpr_workgroup_id_x 1
		.amdhsa_system_sgpr_workgroup_id_y 0
		.amdhsa_system_sgpr_workgroup_id_z 0
		.amdhsa_system_sgpr_workgroup_info 0
		.amdhsa_system_vgpr_workitem_id 0
		.amdhsa_next_free_vgpr 1
		.amdhsa_next_free_sgpr 0
		.amdhsa_accum_offset 4
		.amdhsa_reserve_vcc 0
		.amdhsa_reserve_flat_scratch 0
		.amdhsa_float_round_mode_32 0
		.amdhsa_float_round_mode_16_64 0
		.amdhsa_float_denorm_mode_32 3
		.amdhsa_float_denorm_mode_16_64 3
		.amdhsa_dx10_clamp 1
		.amdhsa_ieee_mode 1
		.amdhsa_fp16_overflow 0
		.amdhsa_tg_split 0
		.amdhsa_exception_fp_ieee_invalid_op 0
		.amdhsa_exception_fp_denorm_src 0
		.amdhsa_exception_fp_ieee_div_zero 0
		.amdhsa_exception_fp_ieee_overflow 0
		.amdhsa_exception_fp_ieee_underflow 0
		.amdhsa_exception_fp_ieee_inexact 0
		.amdhsa_exception_int_div_zero 0
	.end_amdhsa_kernel
	.section	.text._ZN7rocprim17ROCPRIM_400000_NS6detail17trampoline_kernelINS0_14default_configENS1_36segmented_radix_sort_config_selectorIblEEZNS1_25segmented_radix_sort_implIS3_Lb1EPKbPbPKlPlN2at6native12_GLOBAL__N_18offset_tEEE10hipError_tPvRmT1_PNSt15iterator_traitsISK_E10value_typeET2_T3_PNSL_ISQ_E10value_typeET4_jRbjT5_SW_jjP12ihipStream_tbEUlT_E0_NS1_11comp_targetILNS1_3genE9ELNS1_11target_archE1100ELNS1_3gpuE3ELNS1_3repE0EEENS1_60segmented_radix_sort_warp_sort_medium_config_static_selectorELNS0_4arch9wavefront6targetE1EEEvSK_,"axG",@progbits,_ZN7rocprim17ROCPRIM_400000_NS6detail17trampoline_kernelINS0_14default_configENS1_36segmented_radix_sort_config_selectorIblEEZNS1_25segmented_radix_sort_implIS3_Lb1EPKbPbPKlPlN2at6native12_GLOBAL__N_18offset_tEEE10hipError_tPvRmT1_PNSt15iterator_traitsISK_E10value_typeET2_T3_PNSL_ISQ_E10value_typeET4_jRbjT5_SW_jjP12ihipStream_tbEUlT_E0_NS1_11comp_targetILNS1_3genE9ELNS1_11target_archE1100ELNS1_3gpuE3ELNS1_3repE0EEENS1_60segmented_radix_sort_warp_sort_medium_config_static_selectorELNS0_4arch9wavefront6targetE1EEEvSK_,comdat
.Lfunc_end1548:
	.size	_ZN7rocprim17ROCPRIM_400000_NS6detail17trampoline_kernelINS0_14default_configENS1_36segmented_radix_sort_config_selectorIblEEZNS1_25segmented_radix_sort_implIS3_Lb1EPKbPbPKlPlN2at6native12_GLOBAL__N_18offset_tEEE10hipError_tPvRmT1_PNSt15iterator_traitsISK_E10value_typeET2_T3_PNSL_ISQ_E10value_typeET4_jRbjT5_SW_jjP12ihipStream_tbEUlT_E0_NS1_11comp_targetILNS1_3genE9ELNS1_11target_archE1100ELNS1_3gpuE3ELNS1_3repE0EEENS1_60segmented_radix_sort_warp_sort_medium_config_static_selectorELNS0_4arch9wavefront6targetE1EEEvSK_, .Lfunc_end1548-_ZN7rocprim17ROCPRIM_400000_NS6detail17trampoline_kernelINS0_14default_configENS1_36segmented_radix_sort_config_selectorIblEEZNS1_25segmented_radix_sort_implIS3_Lb1EPKbPbPKlPlN2at6native12_GLOBAL__N_18offset_tEEE10hipError_tPvRmT1_PNSt15iterator_traitsISK_E10value_typeET2_T3_PNSL_ISQ_E10value_typeET4_jRbjT5_SW_jjP12ihipStream_tbEUlT_E0_NS1_11comp_targetILNS1_3genE9ELNS1_11target_archE1100ELNS1_3gpuE3ELNS1_3repE0EEENS1_60segmented_radix_sort_warp_sort_medium_config_static_selectorELNS0_4arch9wavefront6targetE1EEEvSK_
                                        ; -- End function
	.section	.AMDGPU.csdata,"",@progbits
; Kernel info:
; codeLenInByte = 0
; NumSgprs: 4
; NumVgprs: 0
; NumAgprs: 0
; TotalNumVgprs: 0
; ScratchSize: 0
; MemoryBound: 0
; FloatMode: 240
; IeeeMode: 1
; LDSByteSize: 0 bytes/workgroup (compile time only)
; SGPRBlocks: 0
; VGPRBlocks: 0
; NumSGPRsForWavesPerEU: 4
; NumVGPRsForWavesPerEU: 1
; AccumOffset: 4
; Occupancy: 8
; WaveLimiterHint : 0
; COMPUTE_PGM_RSRC2:SCRATCH_EN: 0
; COMPUTE_PGM_RSRC2:USER_SGPR: 6
; COMPUTE_PGM_RSRC2:TRAP_HANDLER: 0
; COMPUTE_PGM_RSRC2:TGID_X_EN: 1
; COMPUTE_PGM_RSRC2:TGID_Y_EN: 0
; COMPUTE_PGM_RSRC2:TGID_Z_EN: 0
; COMPUTE_PGM_RSRC2:TIDIG_COMP_CNT: 0
; COMPUTE_PGM_RSRC3_GFX90A:ACCUM_OFFSET: 0
; COMPUTE_PGM_RSRC3_GFX90A:TG_SPLIT: 0
	.section	.text._ZN7rocprim17ROCPRIM_400000_NS6detail17trampoline_kernelINS0_14default_configENS1_36segmented_radix_sort_config_selectorIblEEZNS1_25segmented_radix_sort_implIS3_Lb1EPKbPbPKlPlN2at6native12_GLOBAL__N_18offset_tEEE10hipError_tPvRmT1_PNSt15iterator_traitsISK_E10value_typeET2_T3_PNSL_ISQ_E10value_typeET4_jRbjT5_SW_jjP12ihipStream_tbEUlT_E0_NS1_11comp_targetILNS1_3genE8ELNS1_11target_archE1030ELNS1_3gpuE2ELNS1_3repE0EEENS1_60segmented_radix_sort_warp_sort_medium_config_static_selectorELNS0_4arch9wavefront6targetE1EEEvSK_,"axG",@progbits,_ZN7rocprim17ROCPRIM_400000_NS6detail17trampoline_kernelINS0_14default_configENS1_36segmented_radix_sort_config_selectorIblEEZNS1_25segmented_radix_sort_implIS3_Lb1EPKbPbPKlPlN2at6native12_GLOBAL__N_18offset_tEEE10hipError_tPvRmT1_PNSt15iterator_traitsISK_E10value_typeET2_T3_PNSL_ISQ_E10value_typeET4_jRbjT5_SW_jjP12ihipStream_tbEUlT_E0_NS1_11comp_targetILNS1_3genE8ELNS1_11target_archE1030ELNS1_3gpuE2ELNS1_3repE0EEENS1_60segmented_radix_sort_warp_sort_medium_config_static_selectorELNS0_4arch9wavefront6targetE1EEEvSK_,comdat
	.globl	_ZN7rocprim17ROCPRIM_400000_NS6detail17trampoline_kernelINS0_14default_configENS1_36segmented_radix_sort_config_selectorIblEEZNS1_25segmented_radix_sort_implIS3_Lb1EPKbPbPKlPlN2at6native12_GLOBAL__N_18offset_tEEE10hipError_tPvRmT1_PNSt15iterator_traitsISK_E10value_typeET2_T3_PNSL_ISQ_E10value_typeET4_jRbjT5_SW_jjP12ihipStream_tbEUlT_E0_NS1_11comp_targetILNS1_3genE8ELNS1_11target_archE1030ELNS1_3gpuE2ELNS1_3repE0EEENS1_60segmented_radix_sort_warp_sort_medium_config_static_selectorELNS0_4arch9wavefront6targetE1EEEvSK_ ; -- Begin function _ZN7rocprim17ROCPRIM_400000_NS6detail17trampoline_kernelINS0_14default_configENS1_36segmented_radix_sort_config_selectorIblEEZNS1_25segmented_radix_sort_implIS3_Lb1EPKbPbPKlPlN2at6native12_GLOBAL__N_18offset_tEEE10hipError_tPvRmT1_PNSt15iterator_traitsISK_E10value_typeET2_T3_PNSL_ISQ_E10value_typeET4_jRbjT5_SW_jjP12ihipStream_tbEUlT_E0_NS1_11comp_targetILNS1_3genE8ELNS1_11target_archE1030ELNS1_3gpuE2ELNS1_3repE0EEENS1_60segmented_radix_sort_warp_sort_medium_config_static_selectorELNS0_4arch9wavefront6targetE1EEEvSK_
	.p2align	8
	.type	_ZN7rocprim17ROCPRIM_400000_NS6detail17trampoline_kernelINS0_14default_configENS1_36segmented_radix_sort_config_selectorIblEEZNS1_25segmented_radix_sort_implIS3_Lb1EPKbPbPKlPlN2at6native12_GLOBAL__N_18offset_tEEE10hipError_tPvRmT1_PNSt15iterator_traitsISK_E10value_typeET2_T3_PNSL_ISQ_E10value_typeET4_jRbjT5_SW_jjP12ihipStream_tbEUlT_E0_NS1_11comp_targetILNS1_3genE8ELNS1_11target_archE1030ELNS1_3gpuE2ELNS1_3repE0EEENS1_60segmented_radix_sort_warp_sort_medium_config_static_selectorELNS0_4arch9wavefront6targetE1EEEvSK_,@function
_ZN7rocprim17ROCPRIM_400000_NS6detail17trampoline_kernelINS0_14default_configENS1_36segmented_radix_sort_config_selectorIblEEZNS1_25segmented_radix_sort_implIS3_Lb1EPKbPbPKlPlN2at6native12_GLOBAL__N_18offset_tEEE10hipError_tPvRmT1_PNSt15iterator_traitsISK_E10value_typeET2_T3_PNSL_ISQ_E10value_typeET4_jRbjT5_SW_jjP12ihipStream_tbEUlT_E0_NS1_11comp_targetILNS1_3genE8ELNS1_11target_archE1030ELNS1_3gpuE2ELNS1_3repE0EEENS1_60segmented_radix_sort_warp_sort_medium_config_static_selectorELNS0_4arch9wavefront6targetE1EEEvSK_: ; @_ZN7rocprim17ROCPRIM_400000_NS6detail17trampoline_kernelINS0_14default_configENS1_36segmented_radix_sort_config_selectorIblEEZNS1_25segmented_radix_sort_implIS3_Lb1EPKbPbPKlPlN2at6native12_GLOBAL__N_18offset_tEEE10hipError_tPvRmT1_PNSt15iterator_traitsISK_E10value_typeET2_T3_PNSL_ISQ_E10value_typeET4_jRbjT5_SW_jjP12ihipStream_tbEUlT_E0_NS1_11comp_targetILNS1_3genE8ELNS1_11target_archE1030ELNS1_3gpuE2ELNS1_3repE0EEENS1_60segmented_radix_sort_warp_sort_medium_config_static_selectorELNS0_4arch9wavefront6targetE1EEEvSK_
; %bb.0:
	.section	.rodata,"a",@progbits
	.p2align	6, 0x0
	.amdhsa_kernel _ZN7rocprim17ROCPRIM_400000_NS6detail17trampoline_kernelINS0_14default_configENS1_36segmented_radix_sort_config_selectorIblEEZNS1_25segmented_radix_sort_implIS3_Lb1EPKbPbPKlPlN2at6native12_GLOBAL__N_18offset_tEEE10hipError_tPvRmT1_PNSt15iterator_traitsISK_E10value_typeET2_T3_PNSL_ISQ_E10value_typeET4_jRbjT5_SW_jjP12ihipStream_tbEUlT_E0_NS1_11comp_targetILNS1_3genE8ELNS1_11target_archE1030ELNS1_3gpuE2ELNS1_3repE0EEENS1_60segmented_radix_sort_warp_sort_medium_config_static_selectorELNS0_4arch9wavefront6targetE1EEEvSK_
		.amdhsa_group_segment_fixed_size 0
		.amdhsa_private_segment_fixed_size 0
		.amdhsa_kernarg_size 88
		.amdhsa_user_sgpr_count 6
		.amdhsa_user_sgpr_private_segment_buffer 1
		.amdhsa_user_sgpr_dispatch_ptr 0
		.amdhsa_user_sgpr_queue_ptr 0
		.amdhsa_user_sgpr_kernarg_segment_ptr 1
		.amdhsa_user_sgpr_dispatch_id 0
		.amdhsa_user_sgpr_flat_scratch_init 0
		.amdhsa_user_sgpr_kernarg_preload_length 0
		.amdhsa_user_sgpr_kernarg_preload_offset 0
		.amdhsa_user_sgpr_private_segment_size 0
		.amdhsa_uses_dynamic_stack 0
		.amdhsa_system_sgpr_private_segment_wavefront_offset 0
		.amdhsa_system_sgpr_workgroup_id_x 1
		.amdhsa_system_sgpr_workgroup_id_y 0
		.amdhsa_system_sgpr_workgroup_id_z 0
		.amdhsa_system_sgpr_workgroup_info 0
		.amdhsa_system_vgpr_workitem_id 0
		.amdhsa_next_free_vgpr 1
		.amdhsa_next_free_sgpr 0
		.amdhsa_accum_offset 4
		.amdhsa_reserve_vcc 0
		.amdhsa_reserve_flat_scratch 0
		.amdhsa_float_round_mode_32 0
		.amdhsa_float_round_mode_16_64 0
		.amdhsa_float_denorm_mode_32 3
		.amdhsa_float_denorm_mode_16_64 3
		.amdhsa_dx10_clamp 1
		.amdhsa_ieee_mode 1
		.amdhsa_fp16_overflow 0
		.amdhsa_tg_split 0
		.amdhsa_exception_fp_ieee_invalid_op 0
		.amdhsa_exception_fp_denorm_src 0
		.amdhsa_exception_fp_ieee_div_zero 0
		.amdhsa_exception_fp_ieee_overflow 0
		.amdhsa_exception_fp_ieee_underflow 0
		.amdhsa_exception_fp_ieee_inexact 0
		.amdhsa_exception_int_div_zero 0
	.end_amdhsa_kernel
	.section	.text._ZN7rocprim17ROCPRIM_400000_NS6detail17trampoline_kernelINS0_14default_configENS1_36segmented_radix_sort_config_selectorIblEEZNS1_25segmented_radix_sort_implIS3_Lb1EPKbPbPKlPlN2at6native12_GLOBAL__N_18offset_tEEE10hipError_tPvRmT1_PNSt15iterator_traitsISK_E10value_typeET2_T3_PNSL_ISQ_E10value_typeET4_jRbjT5_SW_jjP12ihipStream_tbEUlT_E0_NS1_11comp_targetILNS1_3genE8ELNS1_11target_archE1030ELNS1_3gpuE2ELNS1_3repE0EEENS1_60segmented_radix_sort_warp_sort_medium_config_static_selectorELNS0_4arch9wavefront6targetE1EEEvSK_,"axG",@progbits,_ZN7rocprim17ROCPRIM_400000_NS6detail17trampoline_kernelINS0_14default_configENS1_36segmented_radix_sort_config_selectorIblEEZNS1_25segmented_radix_sort_implIS3_Lb1EPKbPbPKlPlN2at6native12_GLOBAL__N_18offset_tEEE10hipError_tPvRmT1_PNSt15iterator_traitsISK_E10value_typeET2_T3_PNSL_ISQ_E10value_typeET4_jRbjT5_SW_jjP12ihipStream_tbEUlT_E0_NS1_11comp_targetILNS1_3genE8ELNS1_11target_archE1030ELNS1_3gpuE2ELNS1_3repE0EEENS1_60segmented_radix_sort_warp_sort_medium_config_static_selectorELNS0_4arch9wavefront6targetE1EEEvSK_,comdat
.Lfunc_end1549:
	.size	_ZN7rocprim17ROCPRIM_400000_NS6detail17trampoline_kernelINS0_14default_configENS1_36segmented_radix_sort_config_selectorIblEEZNS1_25segmented_radix_sort_implIS3_Lb1EPKbPbPKlPlN2at6native12_GLOBAL__N_18offset_tEEE10hipError_tPvRmT1_PNSt15iterator_traitsISK_E10value_typeET2_T3_PNSL_ISQ_E10value_typeET4_jRbjT5_SW_jjP12ihipStream_tbEUlT_E0_NS1_11comp_targetILNS1_3genE8ELNS1_11target_archE1030ELNS1_3gpuE2ELNS1_3repE0EEENS1_60segmented_radix_sort_warp_sort_medium_config_static_selectorELNS0_4arch9wavefront6targetE1EEEvSK_, .Lfunc_end1549-_ZN7rocprim17ROCPRIM_400000_NS6detail17trampoline_kernelINS0_14default_configENS1_36segmented_radix_sort_config_selectorIblEEZNS1_25segmented_radix_sort_implIS3_Lb1EPKbPbPKlPlN2at6native12_GLOBAL__N_18offset_tEEE10hipError_tPvRmT1_PNSt15iterator_traitsISK_E10value_typeET2_T3_PNSL_ISQ_E10value_typeET4_jRbjT5_SW_jjP12ihipStream_tbEUlT_E0_NS1_11comp_targetILNS1_3genE8ELNS1_11target_archE1030ELNS1_3gpuE2ELNS1_3repE0EEENS1_60segmented_radix_sort_warp_sort_medium_config_static_selectorELNS0_4arch9wavefront6targetE1EEEvSK_
                                        ; -- End function
	.section	.AMDGPU.csdata,"",@progbits
; Kernel info:
; codeLenInByte = 0
; NumSgprs: 4
; NumVgprs: 0
; NumAgprs: 0
; TotalNumVgprs: 0
; ScratchSize: 0
; MemoryBound: 0
; FloatMode: 240
; IeeeMode: 1
; LDSByteSize: 0 bytes/workgroup (compile time only)
; SGPRBlocks: 0
; VGPRBlocks: 0
; NumSGPRsForWavesPerEU: 4
; NumVGPRsForWavesPerEU: 1
; AccumOffset: 4
; Occupancy: 8
; WaveLimiterHint : 0
; COMPUTE_PGM_RSRC2:SCRATCH_EN: 0
; COMPUTE_PGM_RSRC2:USER_SGPR: 6
; COMPUTE_PGM_RSRC2:TRAP_HANDLER: 0
; COMPUTE_PGM_RSRC2:TGID_X_EN: 1
; COMPUTE_PGM_RSRC2:TGID_Y_EN: 0
; COMPUTE_PGM_RSRC2:TGID_Z_EN: 0
; COMPUTE_PGM_RSRC2:TIDIG_COMP_CNT: 0
; COMPUTE_PGM_RSRC3_GFX90A:ACCUM_OFFSET: 0
; COMPUTE_PGM_RSRC3_GFX90A:TG_SPLIT: 0
	.section	.text._ZN7rocprim17ROCPRIM_400000_NS6detail17trampoline_kernelINS0_14default_configENS1_36segmented_radix_sort_config_selectorIblEEZNS1_25segmented_radix_sort_implIS3_Lb1EPKbPbPKlPlN2at6native12_GLOBAL__N_18offset_tEEE10hipError_tPvRmT1_PNSt15iterator_traitsISK_E10value_typeET2_T3_PNSL_ISQ_E10value_typeET4_jRbjT5_SW_jjP12ihipStream_tbEUlT_E1_NS1_11comp_targetILNS1_3genE0ELNS1_11target_archE4294967295ELNS1_3gpuE0ELNS1_3repE0EEENS1_59segmented_radix_sort_warp_sort_small_config_static_selectorELNS0_4arch9wavefront6targetE1EEEvSK_,"axG",@progbits,_ZN7rocprim17ROCPRIM_400000_NS6detail17trampoline_kernelINS0_14default_configENS1_36segmented_radix_sort_config_selectorIblEEZNS1_25segmented_radix_sort_implIS3_Lb1EPKbPbPKlPlN2at6native12_GLOBAL__N_18offset_tEEE10hipError_tPvRmT1_PNSt15iterator_traitsISK_E10value_typeET2_T3_PNSL_ISQ_E10value_typeET4_jRbjT5_SW_jjP12ihipStream_tbEUlT_E1_NS1_11comp_targetILNS1_3genE0ELNS1_11target_archE4294967295ELNS1_3gpuE0ELNS1_3repE0EEENS1_59segmented_radix_sort_warp_sort_small_config_static_selectorELNS0_4arch9wavefront6targetE1EEEvSK_,comdat
	.globl	_ZN7rocprim17ROCPRIM_400000_NS6detail17trampoline_kernelINS0_14default_configENS1_36segmented_radix_sort_config_selectorIblEEZNS1_25segmented_radix_sort_implIS3_Lb1EPKbPbPKlPlN2at6native12_GLOBAL__N_18offset_tEEE10hipError_tPvRmT1_PNSt15iterator_traitsISK_E10value_typeET2_T3_PNSL_ISQ_E10value_typeET4_jRbjT5_SW_jjP12ihipStream_tbEUlT_E1_NS1_11comp_targetILNS1_3genE0ELNS1_11target_archE4294967295ELNS1_3gpuE0ELNS1_3repE0EEENS1_59segmented_radix_sort_warp_sort_small_config_static_selectorELNS0_4arch9wavefront6targetE1EEEvSK_ ; -- Begin function _ZN7rocprim17ROCPRIM_400000_NS6detail17trampoline_kernelINS0_14default_configENS1_36segmented_radix_sort_config_selectorIblEEZNS1_25segmented_radix_sort_implIS3_Lb1EPKbPbPKlPlN2at6native12_GLOBAL__N_18offset_tEEE10hipError_tPvRmT1_PNSt15iterator_traitsISK_E10value_typeET2_T3_PNSL_ISQ_E10value_typeET4_jRbjT5_SW_jjP12ihipStream_tbEUlT_E1_NS1_11comp_targetILNS1_3genE0ELNS1_11target_archE4294967295ELNS1_3gpuE0ELNS1_3repE0EEENS1_59segmented_radix_sort_warp_sort_small_config_static_selectorELNS0_4arch9wavefront6targetE1EEEvSK_
	.p2align	8
	.type	_ZN7rocprim17ROCPRIM_400000_NS6detail17trampoline_kernelINS0_14default_configENS1_36segmented_radix_sort_config_selectorIblEEZNS1_25segmented_radix_sort_implIS3_Lb1EPKbPbPKlPlN2at6native12_GLOBAL__N_18offset_tEEE10hipError_tPvRmT1_PNSt15iterator_traitsISK_E10value_typeET2_T3_PNSL_ISQ_E10value_typeET4_jRbjT5_SW_jjP12ihipStream_tbEUlT_E1_NS1_11comp_targetILNS1_3genE0ELNS1_11target_archE4294967295ELNS1_3gpuE0ELNS1_3repE0EEENS1_59segmented_radix_sort_warp_sort_small_config_static_selectorELNS0_4arch9wavefront6targetE1EEEvSK_,@function
_ZN7rocprim17ROCPRIM_400000_NS6detail17trampoline_kernelINS0_14default_configENS1_36segmented_radix_sort_config_selectorIblEEZNS1_25segmented_radix_sort_implIS3_Lb1EPKbPbPKlPlN2at6native12_GLOBAL__N_18offset_tEEE10hipError_tPvRmT1_PNSt15iterator_traitsISK_E10value_typeET2_T3_PNSL_ISQ_E10value_typeET4_jRbjT5_SW_jjP12ihipStream_tbEUlT_E1_NS1_11comp_targetILNS1_3genE0ELNS1_11target_archE4294967295ELNS1_3gpuE0ELNS1_3repE0EEENS1_59segmented_radix_sort_warp_sort_small_config_static_selectorELNS0_4arch9wavefront6targetE1EEEvSK_: ; @_ZN7rocprim17ROCPRIM_400000_NS6detail17trampoline_kernelINS0_14default_configENS1_36segmented_radix_sort_config_selectorIblEEZNS1_25segmented_radix_sort_implIS3_Lb1EPKbPbPKlPlN2at6native12_GLOBAL__N_18offset_tEEE10hipError_tPvRmT1_PNSt15iterator_traitsISK_E10value_typeET2_T3_PNSL_ISQ_E10value_typeET4_jRbjT5_SW_jjP12ihipStream_tbEUlT_E1_NS1_11comp_targetILNS1_3genE0ELNS1_11target_archE4294967295ELNS1_3gpuE0ELNS1_3repE0EEENS1_59segmented_radix_sort_warp_sort_small_config_static_selectorELNS0_4arch9wavefront6targetE1EEEvSK_
; %bb.0:
	.section	.rodata,"a",@progbits
	.p2align	6, 0x0
	.amdhsa_kernel _ZN7rocprim17ROCPRIM_400000_NS6detail17trampoline_kernelINS0_14default_configENS1_36segmented_radix_sort_config_selectorIblEEZNS1_25segmented_radix_sort_implIS3_Lb1EPKbPbPKlPlN2at6native12_GLOBAL__N_18offset_tEEE10hipError_tPvRmT1_PNSt15iterator_traitsISK_E10value_typeET2_T3_PNSL_ISQ_E10value_typeET4_jRbjT5_SW_jjP12ihipStream_tbEUlT_E1_NS1_11comp_targetILNS1_3genE0ELNS1_11target_archE4294967295ELNS1_3gpuE0ELNS1_3repE0EEENS1_59segmented_radix_sort_warp_sort_small_config_static_selectorELNS0_4arch9wavefront6targetE1EEEvSK_
		.amdhsa_group_segment_fixed_size 0
		.amdhsa_private_segment_fixed_size 0
		.amdhsa_kernarg_size 88
		.amdhsa_user_sgpr_count 6
		.amdhsa_user_sgpr_private_segment_buffer 1
		.amdhsa_user_sgpr_dispatch_ptr 0
		.amdhsa_user_sgpr_queue_ptr 0
		.amdhsa_user_sgpr_kernarg_segment_ptr 1
		.amdhsa_user_sgpr_dispatch_id 0
		.amdhsa_user_sgpr_flat_scratch_init 0
		.amdhsa_user_sgpr_kernarg_preload_length 0
		.amdhsa_user_sgpr_kernarg_preload_offset 0
		.amdhsa_user_sgpr_private_segment_size 0
		.amdhsa_uses_dynamic_stack 0
		.amdhsa_system_sgpr_private_segment_wavefront_offset 0
		.amdhsa_system_sgpr_workgroup_id_x 1
		.amdhsa_system_sgpr_workgroup_id_y 0
		.amdhsa_system_sgpr_workgroup_id_z 0
		.amdhsa_system_sgpr_workgroup_info 0
		.amdhsa_system_vgpr_workitem_id 0
		.amdhsa_next_free_vgpr 1
		.amdhsa_next_free_sgpr 0
		.amdhsa_accum_offset 4
		.amdhsa_reserve_vcc 0
		.amdhsa_reserve_flat_scratch 0
		.amdhsa_float_round_mode_32 0
		.amdhsa_float_round_mode_16_64 0
		.amdhsa_float_denorm_mode_32 3
		.amdhsa_float_denorm_mode_16_64 3
		.amdhsa_dx10_clamp 1
		.amdhsa_ieee_mode 1
		.amdhsa_fp16_overflow 0
		.amdhsa_tg_split 0
		.amdhsa_exception_fp_ieee_invalid_op 0
		.amdhsa_exception_fp_denorm_src 0
		.amdhsa_exception_fp_ieee_div_zero 0
		.amdhsa_exception_fp_ieee_overflow 0
		.amdhsa_exception_fp_ieee_underflow 0
		.amdhsa_exception_fp_ieee_inexact 0
		.amdhsa_exception_int_div_zero 0
	.end_amdhsa_kernel
	.section	.text._ZN7rocprim17ROCPRIM_400000_NS6detail17trampoline_kernelINS0_14default_configENS1_36segmented_radix_sort_config_selectorIblEEZNS1_25segmented_radix_sort_implIS3_Lb1EPKbPbPKlPlN2at6native12_GLOBAL__N_18offset_tEEE10hipError_tPvRmT1_PNSt15iterator_traitsISK_E10value_typeET2_T3_PNSL_ISQ_E10value_typeET4_jRbjT5_SW_jjP12ihipStream_tbEUlT_E1_NS1_11comp_targetILNS1_3genE0ELNS1_11target_archE4294967295ELNS1_3gpuE0ELNS1_3repE0EEENS1_59segmented_radix_sort_warp_sort_small_config_static_selectorELNS0_4arch9wavefront6targetE1EEEvSK_,"axG",@progbits,_ZN7rocprim17ROCPRIM_400000_NS6detail17trampoline_kernelINS0_14default_configENS1_36segmented_radix_sort_config_selectorIblEEZNS1_25segmented_radix_sort_implIS3_Lb1EPKbPbPKlPlN2at6native12_GLOBAL__N_18offset_tEEE10hipError_tPvRmT1_PNSt15iterator_traitsISK_E10value_typeET2_T3_PNSL_ISQ_E10value_typeET4_jRbjT5_SW_jjP12ihipStream_tbEUlT_E1_NS1_11comp_targetILNS1_3genE0ELNS1_11target_archE4294967295ELNS1_3gpuE0ELNS1_3repE0EEENS1_59segmented_radix_sort_warp_sort_small_config_static_selectorELNS0_4arch9wavefront6targetE1EEEvSK_,comdat
.Lfunc_end1550:
	.size	_ZN7rocprim17ROCPRIM_400000_NS6detail17trampoline_kernelINS0_14default_configENS1_36segmented_radix_sort_config_selectorIblEEZNS1_25segmented_radix_sort_implIS3_Lb1EPKbPbPKlPlN2at6native12_GLOBAL__N_18offset_tEEE10hipError_tPvRmT1_PNSt15iterator_traitsISK_E10value_typeET2_T3_PNSL_ISQ_E10value_typeET4_jRbjT5_SW_jjP12ihipStream_tbEUlT_E1_NS1_11comp_targetILNS1_3genE0ELNS1_11target_archE4294967295ELNS1_3gpuE0ELNS1_3repE0EEENS1_59segmented_radix_sort_warp_sort_small_config_static_selectorELNS0_4arch9wavefront6targetE1EEEvSK_, .Lfunc_end1550-_ZN7rocprim17ROCPRIM_400000_NS6detail17trampoline_kernelINS0_14default_configENS1_36segmented_radix_sort_config_selectorIblEEZNS1_25segmented_radix_sort_implIS3_Lb1EPKbPbPKlPlN2at6native12_GLOBAL__N_18offset_tEEE10hipError_tPvRmT1_PNSt15iterator_traitsISK_E10value_typeET2_T3_PNSL_ISQ_E10value_typeET4_jRbjT5_SW_jjP12ihipStream_tbEUlT_E1_NS1_11comp_targetILNS1_3genE0ELNS1_11target_archE4294967295ELNS1_3gpuE0ELNS1_3repE0EEENS1_59segmented_radix_sort_warp_sort_small_config_static_selectorELNS0_4arch9wavefront6targetE1EEEvSK_
                                        ; -- End function
	.section	.AMDGPU.csdata,"",@progbits
; Kernel info:
; codeLenInByte = 0
; NumSgprs: 4
; NumVgprs: 0
; NumAgprs: 0
; TotalNumVgprs: 0
; ScratchSize: 0
; MemoryBound: 0
; FloatMode: 240
; IeeeMode: 1
; LDSByteSize: 0 bytes/workgroup (compile time only)
; SGPRBlocks: 0
; VGPRBlocks: 0
; NumSGPRsForWavesPerEU: 4
; NumVGPRsForWavesPerEU: 1
; AccumOffset: 4
; Occupancy: 8
; WaveLimiterHint : 0
; COMPUTE_PGM_RSRC2:SCRATCH_EN: 0
; COMPUTE_PGM_RSRC2:USER_SGPR: 6
; COMPUTE_PGM_RSRC2:TRAP_HANDLER: 0
; COMPUTE_PGM_RSRC2:TGID_X_EN: 1
; COMPUTE_PGM_RSRC2:TGID_Y_EN: 0
; COMPUTE_PGM_RSRC2:TGID_Z_EN: 0
; COMPUTE_PGM_RSRC2:TIDIG_COMP_CNT: 0
; COMPUTE_PGM_RSRC3_GFX90A:ACCUM_OFFSET: 0
; COMPUTE_PGM_RSRC3_GFX90A:TG_SPLIT: 0
	.section	.text._ZN7rocprim17ROCPRIM_400000_NS6detail17trampoline_kernelINS0_14default_configENS1_36segmented_radix_sort_config_selectorIblEEZNS1_25segmented_radix_sort_implIS3_Lb1EPKbPbPKlPlN2at6native12_GLOBAL__N_18offset_tEEE10hipError_tPvRmT1_PNSt15iterator_traitsISK_E10value_typeET2_T3_PNSL_ISQ_E10value_typeET4_jRbjT5_SW_jjP12ihipStream_tbEUlT_E1_NS1_11comp_targetILNS1_3genE5ELNS1_11target_archE942ELNS1_3gpuE9ELNS1_3repE0EEENS1_59segmented_radix_sort_warp_sort_small_config_static_selectorELNS0_4arch9wavefront6targetE1EEEvSK_,"axG",@progbits,_ZN7rocprim17ROCPRIM_400000_NS6detail17trampoline_kernelINS0_14default_configENS1_36segmented_radix_sort_config_selectorIblEEZNS1_25segmented_radix_sort_implIS3_Lb1EPKbPbPKlPlN2at6native12_GLOBAL__N_18offset_tEEE10hipError_tPvRmT1_PNSt15iterator_traitsISK_E10value_typeET2_T3_PNSL_ISQ_E10value_typeET4_jRbjT5_SW_jjP12ihipStream_tbEUlT_E1_NS1_11comp_targetILNS1_3genE5ELNS1_11target_archE942ELNS1_3gpuE9ELNS1_3repE0EEENS1_59segmented_radix_sort_warp_sort_small_config_static_selectorELNS0_4arch9wavefront6targetE1EEEvSK_,comdat
	.globl	_ZN7rocprim17ROCPRIM_400000_NS6detail17trampoline_kernelINS0_14default_configENS1_36segmented_radix_sort_config_selectorIblEEZNS1_25segmented_radix_sort_implIS3_Lb1EPKbPbPKlPlN2at6native12_GLOBAL__N_18offset_tEEE10hipError_tPvRmT1_PNSt15iterator_traitsISK_E10value_typeET2_T3_PNSL_ISQ_E10value_typeET4_jRbjT5_SW_jjP12ihipStream_tbEUlT_E1_NS1_11comp_targetILNS1_3genE5ELNS1_11target_archE942ELNS1_3gpuE9ELNS1_3repE0EEENS1_59segmented_radix_sort_warp_sort_small_config_static_selectorELNS0_4arch9wavefront6targetE1EEEvSK_ ; -- Begin function _ZN7rocprim17ROCPRIM_400000_NS6detail17trampoline_kernelINS0_14default_configENS1_36segmented_radix_sort_config_selectorIblEEZNS1_25segmented_radix_sort_implIS3_Lb1EPKbPbPKlPlN2at6native12_GLOBAL__N_18offset_tEEE10hipError_tPvRmT1_PNSt15iterator_traitsISK_E10value_typeET2_T3_PNSL_ISQ_E10value_typeET4_jRbjT5_SW_jjP12ihipStream_tbEUlT_E1_NS1_11comp_targetILNS1_3genE5ELNS1_11target_archE942ELNS1_3gpuE9ELNS1_3repE0EEENS1_59segmented_radix_sort_warp_sort_small_config_static_selectorELNS0_4arch9wavefront6targetE1EEEvSK_
	.p2align	8
	.type	_ZN7rocprim17ROCPRIM_400000_NS6detail17trampoline_kernelINS0_14default_configENS1_36segmented_radix_sort_config_selectorIblEEZNS1_25segmented_radix_sort_implIS3_Lb1EPKbPbPKlPlN2at6native12_GLOBAL__N_18offset_tEEE10hipError_tPvRmT1_PNSt15iterator_traitsISK_E10value_typeET2_T3_PNSL_ISQ_E10value_typeET4_jRbjT5_SW_jjP12ihipStream_tbEUlT_E1_NS1_11comp_targetILNS1_3genE5ELNS1_11target_archE942ELNS1_3gpuE9ELNS1_3repE0EEENS1_59segmented_radix_sort_warp_sort_small_config_static_selectorELNS0_4arch9wavefront6targetE1EEEvSK_,@function
_ZN7rocprim17ROCPRIM_400000_NS6detail17trampoline_kernelINS0_14default_configENS1_36segmented_radix_sort_config_selectorIblEEZNS1_25segmented_radix_sort_implIS3_Lb1EPKbPbPKlPlN2at6native12_GLOBAL__N_18offset_tEEE10hipError_tPvRmT1_PNSt15iterator_traitsISK_E10value_typeET2_T3_PNSL_ISQ_E10value_typeET4_jRbjT5_SW_jjP12ihipStream_tbEUlT_E1_NS1_11comp_targetILNS1_3genE5ELNS1_11target_archE942ELNS1_3gpuE9ELNS1_3repE0EEENS1_59segmented_radix_sort_warp_sort_small_config_static_selectorELNS0_4arch9wavefront6targetE1EEEvSK_: ; @_ZN7rocprim17ROCPRIM_400000_NS6detail17trampoline_kernelINS0_14default_configENS1_36segmented_radix_sort_config_selectorIblEEZNS1_25segmented_radix_sort_implIS3_Lb1EPKbPbPKlPlN2at6native12_GLOBAL__N_18offset_tEEE10hipError_tPvRmT1_PNSt15iterator_traitsISK_E10value_typeET2_T3_PNSL_ISQ_E10value_typeET4_jRbjT5_SW_jjP12ihipStream_tbEUlT_E1_NS1_11comp_targetILNS1_3genE5ELNS1_11target_archE942ELNS1_3gpuE9ELNS1_3repE0EEENS1_59segmented_radix_sort_warp_sort_small_config_static_selectorELNS0_4arch9wavefront6targetE1EEEvSK_
; %bb.0:
	.section	.rodata,"a",@progbits
	.p2align	6, 0x0
	.amdhsa_kernel _ZN7rocprim17ROCPRIM_400000_NS6detail17trampoline_kernelINS0_14default_configENS1_36segmented_radix_sort_config_selectorIblEEZNS1_25segmented_radix_sort_implIS3_Lb1EPKbPbPKlPlN2at6native12_GLOBAL__N_18offset_tEEE10hipError_tPvRmT1_PNSt15iterator_traitsISK_E10value_typeET2_T3_PNSL_ISQ_E10value_typeET4_jRbjT5_SW_jjP12ihipStream_tbEUlT_E1_NS1_11comp_targetILNS1_3genE5ELNS1_11target_archE942ELNS1_3gpuE9ELNS1_3repE0EEENS1_59segmented_radix_sort_warp_sort_small_config_static_selectorELNS0_4arch9wavefront6targetE1EEEvSK_
		.amdhsa_group_segment_fixed_size 0
		.amdhsa_private_segment_fixed_size 0
		.amdhsa_kernarg_size 88
		.amdhsa_user_sgpr_count 6
		.amdhsa_user_sgpr_private_segment_buffer 1
		.amdhsa_user_sgpr_dispatch_ptr 0
		.amdhsa_user_sgpr_queue_ptr 0
		.amdhsa_user_sgpr_kernarg_segment_ptr 1
		.amdhsa_user_sgpr_dispatch_id 0
		.amdhsa_user_sgpr_flat_scratch_init 0
		.amdhsa_user_sgpr_kernarg_preload_length 0
		.amdhsa_user_sgpr_kernarg_preload_offset 0
		.amdhsa_user_sgpr_private_segment_size 0
		.amdhsa_uses_dynamic_stack 0
		.amdhsa_system_sgpr_private_segment_wavefront_offset 0
		.amdhsa_system_sgpr_workgroup_id_x 1
		.amdhsa_system_sgpr_workgroup_id_y 0
		.amdhsa_system_sgpr_workgroup_id_z 0
		.amdhsa_system_sgpr_workgroup_info 0
		.amdhsa_system_vgpr_workitem_id 0
		.amdhsa_next_free_vgpr 1
		.amdhsa_next_free_sgpr 0
		.amdhsa_accum_offset 4
		.amdhsa_reserve_vcc 0
		.amdhsa_reserve_flat_scratch 0
		.amdhsa_float_round_mode_32 0
		.amdhsa_float_round_mode_16_64 0
		.amdhsa_float_denorm_mode_32 3
		.amdhsa_float_denorm_mode_16_64 3
		.amdhsa_dx10_clamp 1
		.amdhsa_ieee_mode 1
		.amdhsa_fp16_overflow 0
		.amdhsa_tg_split 0
		.amdhsa_exception_fp_ieee_invalid_op 0
		.amdhsa_exception_fp_denorm_src 0
		.amdhsa_exception_fp_ieee_div_zero 0
		.amdhsa_exception_fp_ieee_overflow 0
		.amdhsa_exception_fp_ieee_underflow 0
		.amdhsa_exception_fp_ieee_inexact 0
		.amdhsa_exception_int_div_zero 0
	.end_amdhsa_kernel
	.section	.text._ZN7rocprim17ROCPRIM_400000_NS6detail17trampoline_kernelINS0_14default_configENS1_36segmented_radix_sort_config_selectorIblEEZNS1_25segmented_radix_sort_implIS3_Lb1EPKbPbPKlPlN2at6native12_GLOBAL__N_18offset_tEEE10hipError_tPvRmT1_PNSt15iterator_traitsISK_E10value_typeET2_T3_PNSL_ISQ_E10value_typeET4_jRbjT5_SW_jjP12ihipStream_tbEUlT_E1_NS1_11comp_targetILNS1_3genE5ELNS1_11target_archE942ELNS1_3gpuE9ELNS1_3repE0EEENS1_59segmented_radix_sort_warp_sort_small_config_static_selectorELNS0_4arch9wavefront6targetE1EEEvSK_,"axG",@progbits,_ZN7rocprim17ROCPRIM_400000_NS6detail17trampoline_kernelINS0_14default_configENS1_36segmented_radix_sort_config_selectorIblEEZNS1_25segmented_radix_sort_implIS3_Lb1EPKbPbPKlPlN2at6native12_GLOBAL__N_18offset_tEEE10hipError_tPvRmT1_PNSt15iterator_traitsISK_E10value_typeET2_T3_PNSL_ISQ_E10value_typeET4_jRbjT5_SW_jjP12ihipStream_tbEUlT_E1_NS1_11comp_targetILNS1_3genE5ELNS1_11target_archE942ELNS1_3gpuE9ELNS1_3repE0EEENS1_59segmented_radix_sort_warp_sort_small_config_static_selectorELNS0_4arch9wavefront6targetE1EEEvSK_,comdat
.Lfunc_end1551:
	.size	_ZN7rocprim17ROCPRIM_400000_NS6detail17trampoline_kernelINS0_14default_configENS1_36segmented_radix_sort_config_selectorIblEEZNS1_25segmented_radix_sort_implIS3_Lb1EPKbPbPKlPlN2at6native12_GLOBAL__N_18offset_tEEE10hipError_tPvRmT1_PNSt15iterator_traitsISK_E10value_typeET2_T3_PNSL_ISQ_E10value_typeET4_jRbjT5_SW_jjP12ihipStream_tbEUlT_E1_NS1_11comp_targetILNS1_3genE5ELNS1_11target_archE942ELNS1_3gpuE9ELNS1_3repE0EEENS1_59segmented_radix_sort_warp_sort_small_config_static_selectorELNS0_4arch9wavefront6targetE1EEEvSK_, .Lfunc_end1551-_ZN7rocprim17ROCPRIM_400000_NS6detail17trampoline_kernelINS0_14default_configENS1_36segmented_radix_sort_config_selectorIblEEZNS1_25segmented_radix_sort_implIS3_Lb1EPKbPbPKlPlN2at6native12_GLOBAL__N_18offset_tEEE10hipError_tPvRmT1_PNSt15iterator_traitsISK_E10value_typeET2_T3_PNSL_ISQ_E10value_typeET4_jRbjT5_SW_jjP12ihipStream_tbEUlT_E1_NS1_11comp_targetILNS1_3genE5ELNS1_11target_archE942ELNS1_3gpuE9ELNS1_3repE0EEENS1_59segmented_radix_sort_warp_sort_small_config_static_selectorELNS0_4arch9wavefront6targetE1EEEvSK_
                                        ; -- End function
	.section	.AMDGPU.csdata,"",@progbits
; Kernel info:
; codeLenInByte = 0
; NumSgprs: 4
; NumVgprs: 0
; NumAgprs: 0
; TotalNumVgprs: 0
; ScratchSize: 0
; MemoryBound: 0
; FloatMode: 240
; IeeeMode: 1
; LDSByteSize: 0 bytes/workgroup (compile time only)
; SGPRBlocks: 0
; VGPRBlocks: 0
; NumSGPRsForWavesPerEU: 4
; NumVGPRsForWavesPerEU: 1
; AccumOffset: 4
; Occupancy: 8
; WaveLimiterHint : 0
; COMPUTE_PGM_RSRC2:SCRATCH_EN: 0
; COMPUTE_PGM_RSRC2:USER_SGPR: 6
; COMPUTE_PGM_RSRC2:TRAP_HANDLER: 0
; COMPUTE_PGM_RSRC2:TGID_X_EN: 1
; COMPUTE_PGM_RSRC2:TGID_Y_EN: 0
; COMPUTE_PGM_RSRC2:TGID_Z_EN: 0
; COMPUTE_PGM_RSRC2:TIDIG_COMP_CNT: 0
; COMPUTE_PGM_RSRC3_GFX90A:ACCUM_OFFSET: 0
; COMPUTE_PGM_RSRC3_GFX90A:TG_SPLIT: 0
	.text
	.p2align	2                               ; -- Begin function _ZN7rocprim17ROCPRIM_400000_NS6detail26segmented_warp_sort_helperINS1_20WarpSortHelperConfigILj8ELj4ELj256EEEblLi256ELb1EvE4sortIPKbPbPKlPlEEvT_T0_T1_T2_jjjjRNS5_12storage_typeE
	.type	_ZN7rocprim17ROCPRIM_400000_NS6detail26segmented_warp_sort_helperINS1_20WarpSortHelperConfigILj8ELj4ELj256EEEblLi256ELb1EvE4sortIPKbPbPKlPlEEvT_T0_T1_T2_jjjjRNS5_12storage_typeE,@function
_ZN7rocprim17ROCPRIM_400000_NS6detail26segmented_warp_sort_helperINS1_20WarpSortHelperConfigILj8ELj4ELj256EEEblLi256ELb1EvE4sortIPKbPbPKlPlEEvT_T0_T1_T2_jjjjRNS5_12storage_typeE: ; @_ZN7rocprim17ROCPRIM_400000_NS6detail26segmented_warp_sort_helperINS1_20WarpSortHelperConfigILj8ELj4ELj256EEEblLi256ELb1EvE4sortIPKbPbPKlPlEEvT_T0_T1_T2_jjjjRNS5_12storage_typeE
; %bb.0:
	s_waitcnt vmcnt(0) expcnt(0) lgkmcnt(0)
	v_mbcnt_lo_u32_b32 v15, -1, 0
	v_mbcnt_hi_u32_b32 v15, -1, v15
	v_add_co_u32_e32 v0, vcc, v0, v8
	v_lshlrev_b32_e32 v82, 2, v15
	v_addc_co_u32_e32 v1, vcc, 0, v1, vcc
	v_and_b32_e32 v30, 28, v82
	v_sub_u32_e32 v14, v9, v8
	v_mov_b32_e32 v48, 0
	v_add_co_u32_e32 v0, vcc, v0, v30
	v_mov_b32_e32 v9, v48
	v_addc_co_u32_e32 v1, vcc, 0, v1, vcc
	v_cmp_lt_u32_e64 s[4:5], v30, v14
	v_mov_b32_e32 v84, 0
	s_and_saveexec_b64 s[6:7], s[4:5]
	s_cbranch_execz .LBB1552_2
; %bb.1:
	flat_load_ubyte v84, v[0:1]
.LBB1552_2:
	s_or_b64 exec, exec, s[6:7]
	v_or_b32_e32 v15, 1, v30
	v_cmp_lt_u32_e64 s[6:7], v15, v14
	s_and_saveexec_b64 s[10:11], s[6:7]
	s_cbranch_execz .LBB1552_4
; %bb.3:
	flat_load_ubyte v48, v[0:1] offset:1
.LBB1552_4:
	s_or_b64 exec, exec, s[10:11]
	v_or_b32_e32 v15, 2, v30
	v_cmp_lt_u32_e64 s[16:17], v15, v14
	v_mov_b32_e32 v83, 0
	v_mov_b32_e32 v49, 0
	s_and_saveexec_b64 s[10:11], s[16:17]
	s_cbranch_execz .LBB1552_6
; %bb.5:
	flat_load_ubyte v49, v[0:1] offset:2
.LBB1552_6:
	s_or_b64 exec, exec, s[10:11]
	v_or_b32_e32 v15, 3, v30
	v_cmp_lt_u32_e64 s[10:11], v15, v14
	s_and_saveexec_b64 s[14:15], s[10:11]
	s_cbranch_execz .LBB1552_8
; %bb.7:
	flat_load_ubyte v83, v[0:1] offset:3
.LBB1552_8:
	s_or_b64 exec, exec, s[14:15]
	v_lshlrev_b64 v[80:81], 3, v[8:9]
	v_add_co_u32_e32 v0, vcc, v4, v80
	v_addc_co_u32_e32 v1, vcc, v5, v81, vcc
	v_lshlrev_b32_e32 v9, 3, v30
	v_add_co_u32_e32 v0, vcc, v0, v9
	v_addc_co_u32_e32 v1, vcc, 0, v1, vcc
	; wave barrier
                                        ; implicit-def: $vgpr14_vgpr15
	s_and_saveexec_b64 s[14:15], s[4:5]
	s_cbranch_execz .LBB1552_10
; %bb.9:
	flat_load_dwordx2 v[14:15], v[0:1]
.LBB1552_10:
	s_or_b64 exec, exec, s[14:15]
	s_and_saveexec_b64 s[14:15], s[6:7]
                                        ; implicit-def: $vgpr32_vgpr33_vgpr34_vgpr35_vgpr36_vgpr37_vgpr38_vgpr39
                                        ; implicit-def: $vgpr22_vgpr23_vgpr24_vgpr25_vgpr26_vgpr27_vgpr28_vgpr29
	s_cbranch_execz .LBB1552_98
; %bb.11:
	flat_load_dwordx2 v[16:17], v[0:1] offset:8
                                        ; implicit-def: $vgpr32_vgpr33_vgpr34_vgpr35_vgpr36_vgpr37_vgpr38_vgpr39
                                        ; implicit-def: $vgpr22_vgpr23_vgpr24_vgpr25_vgpr26_vgpr27_vgpr28_vgpr29
	s_or_b64 exec, exec, s[14:15]
                                        ; implicit-def: $vgpr18_vgpr19
	s_and_saveexec_b64 s[14:15], s[16:17]
	s_cbranch_execnz .LBB1552_99
.LBB1552_12:
	s_or_b64 exec, exec, s[14:15]
	s_and_saveexec_b64 s[14:15], s[10:11]
	s_cbranch_execz .LBB1552_14
.LBB1552_13:
	flat_load_dwordx2 v[28:29], v[0:1] offset:24
	s_waitcnt vmcnt(0) lgkmcnt(0)
	v_pk_mov_b32 v[20:21], v[28:29], v[28:29] op_sel:[0,1]
.LBB1552_14:
	s_or_b64 exec, exec, s[14:15]
	v_cmp_ne_u32_e32 vcc, 0, v10
	v_cmp_ne_u32_e64 s[14:15], 8, v11
	s_or_b64 s[14:15], vcc, s[14:15]
	v_bfe_u32 v0, v31, 10, 10
	v_bfe_u32 v1, v31, 20, 10
	; wave barrier
	s_and_saveexec_b64 s[18:19], s[14:15]
	s_xor_b64 s[26:27], exec, s[18:19]
	s_cbranch_execz .LBB1552_58
; %bb.15:
	s_load_dwordx2 s[18:19], s[8:9], 0x0
	v_cmp_ne_u32_e32 vcc, 0, v11
	v_cmp_ne_u32_e64 s[14:15], 0, v10
	s_xor_b64 s[14:15], s[14:15], vcc
	v_mov_b32_e32 v4, 0
	s_waitcnt lgkmcnt(0)
	s_cmp_lt_u32 s12, s18
	s_cselect_b32 s20, 12, 18
	s_cmp_lt_u32 s13, s19
	s_cselect_b32 s18, 14, 20
	s_add_u32 s18, s8, s18
	s_addc_u32 s19, s9, 0
	s_add_u32 s20, s8, s20
	s_addc_u32 s21, s9, 0
	global_load_ushort v5, v4, s[18:19]
	global_load_ushort v10, v4, s[20:21]
	v_and_b32_e32 v4, 0x3ff, v31
	v_cndmask_b32_e64 v31, 0, 1, s[14:15]
	s_movk_i32 s14, 0x400
	s_waitcnt vmcnt(0)
	v_mad_u32_u24 v0, v1, v5, v0
	v_mul_lo_u32 v0, v0, v10
	v_add_lshl_u32 v10, v0, v4, 2
	v_cmp_gt_u32_e32 vcc, s14, v10
	s_and_saveexec_b64 s[18:19], vcc
	s_cbranch_execz .LBB1552_27
; %bb.16:
	v_and_b32_e32 v0, v48, v31
	v_and_b32_e32 v1, v84, v31
	v_cmp_gt_u16_e32 vcc, v0, v1
	v_cndmask_b32_e32 v4, v16, v14, vcc
	v_cndmask_b32_e32 v0, v14, v16, vcc
	v_and_b32_e32 v11, v83, v31
	v_and_b32_e32 v14, v49, v31
	v_cndmask_b32_e32 v5, v17, v15, vcc
	v_cndmask_b32_e32 v1, v15, v17, vcc
	v_cmp_gt_u16_e64 s[14:15], v11, v14
	v_mov_b32_e32 v11, v49
	s_and_saveexec_b64 s[20:21], s[14:15]
; %bb.17:
	v_pk_mov_b32 v[16:17], v[36:37], v[36:37] op_sel:[0,1]
	v_mov_b32_e32 v11, 1
	v_mov_b32_e32 v83, v49
	v_mov_b32_e32 v14, 1
	v_pk_mov_b32 v[36:37], v[28:29], v[28:29] op_sel:[0,1]
	v_pk_mov_b32 v[28:29], v[16:17], v[16:17] op_sel:[0,1]
; %bb.18:
	s_or_b64 exec, exec, s[20:21]
	v_cndmask_b32_e32 v33, v48, v84, vcc
	v_and_b32_e32 v34, v33, v31
	v_cmp_le_u16_e64 s[14:15], v14, v34
                                        ; implicit-def: $vgpr32
	s_and_saveexec_b64 s[20:21], s[14:15]
	s_xor_b64 s[14:15], exec, s[20:21]
                                        ; implicit-def: $vgpr48_vgpr49_vgpr50_vgpr51_vgpr52_vgpr53_vgpr54_vgpr55
                                        ; implicit-def: $vgpr64_vgpr65_vgpr66_vgpr67_vgpr68_vgpr69_vgpr70_vgpr71
                                        ; implicit-def: $vgpr14_vgpr15_vgpr16_vgpr17_vgpr18_vgpr19_vgpr20_vgpr21
; %bb.19:
	v_mov_b32_e32 v50, v4
	v_mov_b32_e32 v67, v5
	;; [unrolled: 1-line block ×6, first 2 shown]
	v_and_b32_e32 v32, v11, v31
                                        ; implicit-def: $vgpr36_vgpr37
                                        ; implicit-def: $vgpr22_vgpr23_vgpr24_vgpr25_vgpr26_vgpr27_vgpr28_vgpr29
; %bb.20:
	s_or_saveexec_b64 s[14:15], s[14:15]
	v_mov_b32_e32 v18, v33
	s_xor_b64 exec, exec, s[14:15]
; %bb.21:
	v_mov_b32_e32 v50, v36
	v_mov_b32_e32 v67, v37
	;; [unrolled: 1-line block ×8, first 2 shown]
; %bb.22:
	s_or_b64 exec, exec, s[14:15]
	v_cndmask_b32_e64 v19, v84, 1, vcc
	v_and_b32_e32 v14, v19, v31
	v_cmp_gt_u16_sdwa vcc, v34, v14 src0_sel:BYTE_0 src1_sel:DWORD
	v_cndmask_b32_e32 v16, v50, v0, vcc
	v_cndmask_b32_e32 v14, v0, v50, vcc
	v_and_b32_e32 v0, v83, v31
	v_cndmask_b32_e32 v17, v67, v1, vcc
	v_cndmask_b32_e32 v15, v1, v67, vcc
	v_cmp_gt_u16_sdwa s[20:21], v0, v32 src0_sel:DWORD src1_sel:BYTE_0
	v_mov_b32_e32 v22, v11
	s_and_saveexec_b64 s[14:15], s[20:21]
; %bb.23:
	v_pk_mov_b32 v[0:1], v[4:5], v[4:5] op_sel:[0,1]
	v_mov_b32_e32 v22, 1
	v_mov_b32_e32 v83, v11
	v_mov_b32_e32 v32, 1
	v_pk_mov_b32 v[4:5], v[20:21], v[20:21] op_sel:[0,1]
	v_pk_mov_b32 v[20:21], v[0:1], v[0:1] op_sel:[0,1]
; %bb.24:
	s_or_b64 exec, exec, s[14:15]
	v_cndmask_b32_e32 v48, v18, v19, vcc
	v_and_b32_e32 v0, v48, v31
	v_cmp_gt_u16_sdwa s[20:21], v32, v0 src0_sel:BYTE_0 src1_sel:DWORD
	v_pk_mov_b32 v[0:1], v[4:5], v[4:5] op_sel:[0,1]
	v_mov_b32_e32 v49, v22
	s_and_saveexec_b64 s[14:15], s[20:21]
; %bb.25:
	v_pk_mov_b32 v[0:1], v[16:17], v[16:17] op_sel:[0,1]
	v_pk_mov_b32 v[16:17], v[4:5], v[4:5] op_sel:[0,1]
	v_mov_b32_e32 v49, v48
	v_mov_b32_e32 v48, v22
; %bb.26:
	s_or_b64 exec, exec, s[14:15]
	v_cndmask_b32_e32 v84, v19, v18, vcc
	v_pk_mov_b32 v[18:19], v[0:1], v[0:1] op_sel:[0,1]
.LBB1552_27:
	s_or_b64 exec, exec, s[18:19]
	v_and_b32_e32 v0, 0xffffff00, v10
	v_add_co_u32_e32 v4, vcc, v12, v0
	v_addc_co_u32_e32 v5, vcc, 0, v13, vcc
	s_movk_i32 s18, 0x400
	v_add_co_u32_e32 v10, vcc, v4, v82
	v_sub_u32_e64 v24, s18, v0 clamp
	v_mad_u64_u32 v[0:1], s[14:15], v0, 7, v[4:5]
	v_addc_co_u32_e32 v11, vcc, 0, v5, vcc
	v_lshlrev_b32_e32 v12, 3, v82
	v_lshlrev_b16_e32 v25, 8, v48
	v_lshlrev_b16_e32 v26, 8, v83
	v_add_co_u32_e32 v22, vcc, v0, v12
	v_or_b32_sdwa v25, v84, v25 dst_sel:DWORD dst_unused:UNUSED_PAD src0_sel:BYTE_0 src1_sel:DWORD
	v_or_b32_sdwa v26, v49, v26 dst_sel:WORD_1 dst_unused:UNUSED_PAD src0_sel:BYTE_0 src1_sel:DWORD
	v_addc_co_u32_e32 v23, vcc, 0, v1, vcc
	v_or_b32_sdwa v25, v25, v26 dst_sel:DWORD dst_unused:UNUSED_PAD src0_sel:WORD_0 src1_sel:DWORD
	flat_store_dwordx4 v[22:23], v[14:17] offset:1024
	flat_store_dword v[10:11], v25
	flat_store_dwordx4 v[22:23], v[18:21] offset:1040
	v_or_b32_e32 v25, 4, v82
	v_min_u32_e32 v25, v24, v25
	v_add_u32_e32 v26, 4, v25
	v_and_b32_e32 v27, 0x1f8, v82
	v_min_u32_e32 v26, v24, v26
	v_and_b32_e32 v28, 4, v82
	v_add_co_u32_e32 v12, vcc, s18, v22
	v_min_u32_e32 v28, v24, v28
	v_sub_u32_e32 v29, v25, v27
	v_sub_u32_e32 v32, v26, v25
	v_addc_co_u32_e32 v13, vcc, 0, v23, vcc
	v_sub_u32_e64 v32, v28, v32 clamp
	v_min_u32_e32 v29, v28, v29
	v_cmp_lt_u32_e32 vcc, v32, v29
	; wave barrier
	s_and_saveexec_b64 s[14:15], vcc
	s_cbranch_execz .LBB1552_31
; %bb.28:
	v_add_co_u32_e32 v33, vcc, v4, v27
	v_addc_co_u32_e32 v34, vcc, 0, v5, vcc
	v_add_co_u32_e32 v35, vcc, v4, v25
	v_addc_co_u32_e32 v36, vcc, 0, v5, vcc
	s_mov_b64 s[18:19], 0
.LBB1552_29:                            ; =>This Inner Loop Header: Depth=1
	v_add_u32_e32 v37, v29, v32
	v_lshrrev_b32_e32 v37, 1, v37
	v_add_co_u32_e32 v38, vcc, v33, v37
	v_xad_u32 v50, v37, -1, v28
	v_addc_co_u32_e32 v39, vcc, 0, v34, vcc
	v_add_co_u32_e32 v50, vcc, v35, v50
	v_addc_co_u32_e32 v51, vcc, 0, v36, vcc
	flat_load_ubyte v52, v[38:39]
	flat_load_ubyte v53, v[50:51]
	v_add_u32_e32 v38, 1, v37
	s_waitcnt vmcnt(0) lgkmcnt(0)
	v_and_b32_e32 v39, v52, v31
	v_and_b32_e32 v50, v53, v31
	v_cmp_gt_u16_e32 vcc, v50, v39
	v_cndmask_b32_e32 v29, v29, v37, vcc
	v_cndmask_b32_e32 v32, v38, v32, vcc
	v_cmp_ge_u32_e32 vcc, v32, v29
	s_or_b64 s[18:19], vcc, s[18:19]
	s_andn2_b64 exec, exec, s[18:19]
	s_cbranch_execnz .LBB1552_29
; %bb.30:
	s_or_b64 exec, exec, s[18:19]
.LBB1552_31:
	s_or_b64 exec, exec, s[14:15]
	v_add_u32_e32 v29, v32, v27
	v_add_u32_e32 v27, v25, v28
	v_sub_u32_e32 v32, v27, v32
	v_cmp_le_u32_e32 vcc, v29, v25
	v_cmp_le_u32_e64 s[14:15], v32, v26
	s_or_b64 s[14:15], vcc, s[14:15]
	s_and_saveexec_b64 s[28:29], s[14:15]
	s_cbranch_execz .LBB1552_37
; %bb.32:
	v_cmp_lt_u32_e32 vcc, v29, v25
                                        ; implicit-def: $vgpr27
	s_and_saveexec_b64 s[18:19], vcc
	s_cbranch_execz .LBB1552_34
; %bb.33:
	v_add_co_u32_e64 v14, s[14:15], v4, v29
	v_addc_co_u32_e64 v15, s[14:15], 0, v5, s[14:15]
	flat_load_ubyte v27, v[14:15]
.LBB1552_34:
	s_or_b64 exec, exec, s[18:19]
	v_cmp_ge_u32_e64 s[14:15], v32, v26
	v_cmp_lt_u32_e64 s[18:19], v32, v26
                                        ; implicit-def: $vgpr28
	s_and_saveexec_b64 s[20:21], s[18:19]
	s_cbranch_execz .LBB1552_36
; %bb.35:
	v_add_co_u32_e64 v14, s[18:19], v4, v32
	v_addc_co_u32_e64 v15, s[18:19], 0, v5, s[18:19]
	flat_load_ubyte v28, v[14:15]
.LBB1552_36:
	s_or_b64 exec, exec, s[20:21]
	s_waitcnt vmcnt(0) lgkmcnt(0)
	v_and_b32_e32 v14, v28, v31
	v_and_b32_e32 v15, v27, v31
	v_cmp_le_u16_e64 s[18:19], v14, v15
	s_and_b64 s[18:19], vcc, s[18:19]
	s_or_b64 vcc, s[14:15], s[18:19]
	v_cndmask_b32_e32 v20, v32, v29, vcc
	v_cndmask_b32_e32 v14, v26, v25, vcc
	v_add_u32_e32 v16, 1, v20
	v_add_u32_e32 v14, -1, v14
	v_min_u32_e32 v14, v16, v14
	v_add_co_u32_e64 v14, s[14:15], v4, v14
	v_addc_co_u32_e64 v15, s[14:15], 0, v5, s[14:15]
	flat_load_ubyte v17, v[14:15]
	v_cndmask_b32_e32 v18, v16, v32, vcc
	v_cndmask_b32_e32 v19, v29, v16, vcc
	v_cmp_lt_u32_e64 s[18:19], v19, v25
	v_cmp_ge_u32_e64 s[14:15], v18, v26
	v_mov_b32_e32 v21, 0
	v_lshlrev_b64 v[14:15], 3, v[20:21]
	v_cndmask_b32_e32 v84, v28, v27, vcc
	s_waitcnt vmcnt(0) lgkmcnt(0)
	v_cndmask_b32_e32 v29, v17, v28, vcc
	v_cndmask_b32_e32 v32, v27, v17, vcc
	v_and_b32_e32 v16, v29, v31
	v_and_b32_e32 v17, v32, v31
	v_cmp_le_u16_e64 s[20:21], v16, v17
	s_and_b64 s[18:19], s[20:21], s[18:19]
	s_or_b64 s[14:15], s[14:15], s[18:19]
	v_cndmask_b32_e64 v20, v18, v19, s[14:15]
	v_cndmask_b32_e64 v16, v26, v25, s[14:15]
	v_add_u32_e32 v33, 1, v20
	v_add_u32_e32 v16, -1, v16
	v_min_u32_e32 v16, v33, v16
	v_add_co_u32_e64 v16, s[18:19], v4, v16
	v_addc_co_u32_e64 v17, s[18:19], 0, v5, s[18:19]
	flat_load_ubyte v34, v[16:17]
	v_cndmask_b32_e64 v35, v33, v18, s[14:15]
	v_cndmask_b32_e64 v33, v19, v33, s[14:15]
	v_cmp_lt_u32_e64 s[20:21], v33, v25
	v_cmp_ge_u32_e64 s[18:19], v35, v26
	v_lshlrev_b64 v[16:17], 3, v[20:21]
	v_cndmask_b32_e64 v48, v29, v32, s[14:15]
	s_waitcnt vmcnt(0) lgkmcnt(0)
	v_cndmask_b32_e64 v36, v34, v29, s[14:15]
	v_cndmask_b32_e64 v34, v32, v34, s[14:15]
	v_and_b32_e32 v18, v36, v31
	v_and_b32_e32 v19, v34, v31
	v_cmp_le_u16_e64 s[22:23], v18, v19
	s_and_b64 s[20:21], s[22:23], s[20:21]
	s_or_b64 s[18:19], s[18:19], s[20:21]
	v_cndmask_b32_e64 v20, v35, v33, s[18:19]
	v_cndmask_b32_e64 v18, v26, v25, s[18:19]
	v_add_u32_e32 v37, 1, v20
	v_add_u32_e32 v18, -1, v18
	v_min_u32_e32 v18, v37, v18
	v_add_co_u32_e64 v18, s[20:21], v4, v18
	v_addc_co_u32_e64 v19, s[20:21], 0, v5, s[20:21]
	flat_load_ubyte v38, v[18:19]
	v_add_co_u32_e64 v14, s[20:21], v0, v14
	v_addc_co_u32_e64 v15, s[20:21], v1, v15, s[20:21]
	v_add_co_u32_e64 v16, s[20:21], v0, v16
	v_addc_co_u32_e64 v17, s[20:21], v1, v17, s[20:21]
	flat_load_dwordx2 v[16:17], v[16:17] offset:1024
	v_lshlrev_b64 v[18:19], 3, v[20:21]
	flat_load_dwordx2 v[14:15], v[14:15] offset:1024
	v_add_co_u32_e64 v18, s[20:21], v0, v18
	v_addc_co_u32_e64 v19, s[20:21], v1, v19, s[20:21]
	v_cndmask_b32_e64 v20, v37, v35, s[18:19]
	v_cndmask_b32_e64 v33, v33, v37, s[18:19]
	v_cmp_ge_u32_e64 s[20:21], v20, v26
	v_cmp_lt_u32_e64 s[22:23], v33, v25
	flat_load_dwordx2 v[18:19], v[18:19] offset:1024
	v_cndmask_b32_e64 v49, v36, v34, s[18:19]
	s_waitcnt vmcnt(0) lgkmcnt(0)
	v_cndmask_b32_e64 v25, v38, v36, s[18:19]
	v_cndmask_b32_e64 v26, v34, v38, s[18:19]
	v_and_b32_e32 v35, v25, v31
	v_and_b32_e32 v37, v26, v31
	v_cmp_le_u16_e64 s[24:25], v35, v37
	s_and_b64 s[22:23], s[24:25], s[22:23]
	s_or_b64 s[20:21], s[20:21], s[22:23]
	v_cndmask_b32_e64 v20, v20, v33, s[20:21]
	v_lshlrev_b64 v[20:21], 3, v[20:21]
	v_add_co_u32_e64 v20, s[22:23], v0, v20
	v_addc_co_u32_e64 v21, s[22:23], v1, v21, s[22:23]
	flat_load_dwordx2 v[20:21], v[20:21] offset:1024
	v_cndmask_b32_e64 v83, v25, v26, s[20:21]
.LBB1552_37:
	s_or_b64 exec, exec, s[28:29]
	v_lshlrev_b16_e32 v25, 8, v48
	v_lshlrev_b16_e32 v26, 8, v83
	v_or_b32_sdwa v25, v84, v25 dst_sel:DWORD dst_unused:UNUSED_PAD src0_sel:BYTE_0 src1_sel:DWORD
	v_or_b32_sdwa v26, v49, v26 dst_sel:WORD_1 dst_unused:UNUSED_PAD src0_sel:BYTE_0 src1_sel:DWORD
	v_or_b32_sdwa v25, v25, v26 dst_sel:DWORD dst_unused:UNUSED_PAD src0_sel:WORD_0 src1_sel:DWORD
	v_and_b32_e32 v27, 0x1f0, v82
	; wave barrier
	flat_store_dwordx4 v[22:23], v[14:17] offset:1024
	flat_store_dword v[10:11], v25
	s_waitcnt vmcnt(0) lgkmcnt(0)
	flat_store_dwordx4 v[12:13], v[18:21] offset:16
	v_or_b32_e32 v25, 8, v27
	v_min_u32_e32 v25, v24, v25
	v_add_u32_e32 v26, 8, v25
	v_min_u32_e32 v26, v24, v26
	v_and_b32_e32 v28, 12, v82
	v_min_u32_e32 v28, v24, v28
	v_sub_u32_e32 v29, v25, v27
	v_sub_u32_e32 v32, v26, v25
	v_sub_u32_e64 v32, v28, v32 clamp
	v_min_u32_e32 v29, v28, v29
	v_cmp_lt_u32_e32 vcc, v32, v29
	; wave barrier
	s_and_saveexec_b64 s[14:15], vcc
	s_cbranch_execz .LBB1552_41
; %bb.38:
	v_add_co_u32_e32 v33, vcc, v4, v27
	v_addc_co_u32_e32 v34, vcc, 0, v5, vcc
	v_add_co_u32_e32 v35, vcc, v4, v25
	v_addc_co_u32_e32 v36, vcc, 0, v5, vcc
	s_mov_b64 s[18:19], 0
.LBB1552_39:                            ; =>This Inner Loop Header: Depth=1
	v_add_u32_e32 v37, v29, v32
	v_lshrrev_b32_e32 v37, 1, v37
	v_add_co_u32_e32 v38, vcc, v33, v37
	v_xad_u32 v50, v37, -1, v28
	v_addc_co_u32_e32 v39, vcc, 0, v34, vcc
	v_add_co_u32_e32 v50, vcc, v35, v50
	v_addc_co_u32_e32 v51, vcc, 0, v36, vcc
	flat_load_ubyte v52, v[38:39]
	flat_load_ubyte v53, v[50:51]
	v_add_u32_e32 v38, 1, v37
	s_waitcnt vmcnt(0) lgkmcnt(0)
	v_and_b32_e32 v39, v52, v31
	v_and_b32_e32 v50, v53, v31
	v_cmp_gt_u16_e32 vcc, v50, v39
	v_cndmask_b32_e32 v29, v29, v37, vcc
	v_cndmask_b32_e32 v32, v38, v32, vcc
	v_cmp_ge_u32_e32 vcc, v32, v29
	s_or_b64 s[18:19], vcc, s[18:19]
	s_andn2_b64 exec, exec, s[18:19]
	s_cbranch_execnz .LBB1552_39
; %bb.40:
	s_or_b64 exec, exec, s[18:19]
.LBB1552_41:
	s_or_b64 exec, exec, s[14:15]
	v_add_u32_e32 v29, v32, v27
	v_add_u32_e32 v27, v25, v28
	v_sub_u32_e32 v32, v27, v32
	v_cmp_le_u32_e32 vcc, v29, v25
	v_cmp_le_u32_e64 s[14:15], v32, v26
	s_or_b64 s[14:15], vcc, s[14:15]
	s_and_saveexec_b64 s[28:29], s[14:15]
	s_cbranch_execz .LBB1552_47
; %bb.42:
	v_cmp_lt_u32_e32 vcc, v29, v25
                                        ; implicit-def: $vgpr27
	s_and_saveexec_b64 s[18:19], vcc
	s_cbranch_execz .LBB1552_44
; %bb.43:
	v_add_co_u32_e64 v14, s[14:15], v4, v29
	v_addc_co_u32_e64 v15, s[14:15], 0, v5, s[14:15]
	flat_load_ubyte v27, v[14:15]
.LBB1552_44:
	s_or_b64 exec, exec, s[18:19]
	v_cmp_ge_u32_e64 s[14:15], v32, v26
	v_cmp_lt_u32_e64 s[18:19], v32, v26
                                        ; implicit-def: $vgpr28
	s_and_saveexec_b64 s[20:21], s[18:19]
	s_cbranch_execz .LBB1552_46
; %bb.45:
	v_add_co_u32_e64 v14, s[18:19], v4, v32
	v_addc_co_u32_e64 v15, s[18:19], 0, v5, s[18:19]
	flat_load_ubyte v28, v[14:15]
.LBB1552_46:
	s_or_b64 exec, exec, s[20:21]
	s_waitcnt vmcnt(0) lgkmcnt(0)
	v_and_b32_e32 v14, v28, v31
	v_and_b32_e32 v15, v27, v31
	v_cmp_le_u16_e64 s[18:19], v14, v15
	s_and_b64 s[18:19], vcc, s[18:19]
	s_or_b64 vcc, s[14:15], s[18:19]
	v_cndmask_b32_e32 v20, v32, v29, vcc
	v_cndmask_b32_e32 v14, v26, v25, vcc
	v_add_u32_e32 v16, 1, v20
	v_add_u32_e32 v14, -1, v14
	v_min_u32_e32 v14, v16, v14
	v_add_co_u32_e64 v14, s[14:15], v4, v14
	v_addc_co_u32_e64 v15, s[14:15], 0, v5, s[14:15]
	flat_load_ubyte v17, v[14:15]
	v_cndmask_b32_e32 v18, v16, v32, vcc
	v_cndmask_b32_e32 v19, v29, v16, vcc
	v_cmp_lt_u32_e64 s[18:19], v19, v25
	v_cmp_ge_u32_e64 s[14:15], v18, v26
	v_mov_b32_e32 v21, 0
	v_lshlrev_b64 v[14:15], 3, v[20:21]
	v_cndmask_b32_e32 v84, v28, v27, vcc
	s_waitcnt vmcnt(0) lgkmcnt(0)
	v_cndmask_b32_e32 v29, v17, v28, vcc
	v_cndmask_b32_e32 v32, v27, v17, vcc
	v_and_b32_e32 v16, v29, v31
	v_and_b32_e32 v17, v32, v31
	v_cmp_le_u16_e64 s[20:21], v16, v17
	s_and_b64 s[18:19], s[20:21], s[18:19]
	s_or_b64 s[14:15], s[14:15], s[18:19]
	v_cndmask_b32_e64 v20, v18, v19, s[14:15]
	v_cndmask_b32_e64 v16, v26, v25, s[14:15]
	v_add_u32_e32 v33, 1, v20
	v_add_u32_e32 v16, -1, v16
	v_min_u32_e32 v16, v33, v16
	v_add_co_u32_e64 v16, s[18:19], v4, v16
	v_addc_co_u32_e64 v17, s[18:19], 0, v5, s[18:19]
	flat_load_ubyte v34, v[16:17]
	v_cndmask_b32_e64 v35, v33, v18, s[14:15]
	v_cndmask_b32_e64 v33, v19, v33, s[14:15]
	v_cmp_lt_u32_e64 s[20:21], v33, v25
	v_cmp_ge_u32_e64 s[18:19], v35, v26
	v_lshlrev_b64 v[16:17], 3, v[20:21]
	v_cndmask_b32_e64 v48, v29, v32, s[14:15]
	s_waitcnt vmcnt(0) lgkmcnt(0)
	v_cndmask_b32_e64 v36, v34, v29, s[14:15]
	v_cndmask_b32_e64 v34, v32, v34, s[14:15]
	v_and_b32_e32 v18, v36, v31
	v_and_b32_e32 v19, v34, v31
	v_cmp_le_u16_e64 s[22:23], v18, v19
	s_and_b64 s[20:21], s[22:23], s[20:21]
	s_or_b64 s[18:19], s[18:19], s[20:21]
	v_cndmask_b32_e64 v20, v35, v33, s[18:19]
	v_cndmask_b32_e64 v18, v26, v25, s[18:19]
	v_add_u32_e32 v37, 1, v20
	v_add_u32_e32 v18, -1, v18
	v_min_u32_e32 v18, v37, v18
	v_add_co_u32_e64 v18, s[20:21], v4, v18
	v_addc_co_u32_e64 v19, s[20:21], 0, v5, s[20:21]
	flat_load_ubyte v38, v[18:19]
	v_add_co_u32_e64 v14, s[20:21], v0, v14
	v_addc_co_u32_e64 v15, s[20:21], v1, v15, s[20:21]
	v_add_co_u32_e64 v16, s[20:21], v0, v16
	v_addc_co_u32_e64 v17, s[20:21], v1, v17, s[20:21]
	flat_load_dwordx2 v[16:17], v[16:17] offset:1024
	v_lshlrev_b64 v[18:19], 3, v[20:21]
	flat_load_dwordx2 v[14:15], v[14:15] offset:1024
	v_add_co_u32_e64 v18, s[20:21], v0, v18
	v_addc_co_u32_e64 v19, s[20:21], v1, v19, s[20:21]
	v_cndmask_b32_e64 v20, v37, v35, s[18:19]
	v_cndmask_b32_e64 v33, v33, v37, s[18:19]
	v_cmp_ge_u32_e64 s[20:21], v20, v26
	v_cmp_lt_u32_e64 s[22:23], v33, v25
	flat_load_dwordx2 v[18:19], v[18:19] offset:1024
	v_cndmask_b32_e64 v49, v36, v34, s[18:19]
	s_waitcnt vmcnt(0) lgkmcnt(0)
	v_cndmask_b32_e64 v25, v38, v36, s[18:19]
	v_cndmask_b32_e64 v26, v34, v38, s[18:19]
	v_and_b32_e32 v35, v25, v31
	v_and_b32_e32 v37, v26, v31
	v_cmp_le_u16_e64 s[24:25], v35, v37
	s_and_b64 s[22:23], s[24:25], s[22:23]
	s_or_b64 s[20:21], s[20:21], s[22:23]
	v_cndmask_b32_e64 v20, v20, v33, s[20:21]
	v_lshlrev_b64 v[20:21], 3, v[20:21]
	v_add_co_u32_e64 v20, s[22:23], v0, v20
	v_addc_co_u32_e64 v21, s[22:23], v1, v21, s[22:23]
	flat_load_dwordx2 v[20:21], v[20:21] offset:1024
	v_cndmask_b32_e64 v83, v25, v26, s[20:21]
.LBB1552_47:
	s_or_b64 exec, exec, s[28:29]
	; wave barrier
	flat_store_dwordx4 v[22:23], v[14:17] offset:1024
	v_lshlrev_b16_e32 v22, 8, v48
	v_lshlrev_b16_e32 v23, 8, v83
	v_or_b32_sdwa v22, v84, v22 dst_sel:DWORD dst_unused:UNUSED_PAD src0_sel:BYTE_0 src1_sel:DWORD
	v_or_b32_sdwa v23, v49, v23 dst_sel:WORD_1 dst_unused:UNUSED_PAD src0_sel:BYTE_0 src1_sel:DWORD
	v_or_b32_sdwa v22, v22, v23 dst_sel:DWORD dst_unused:UNUSED_PAD src0_sel:WORD_0 src1_sel:DWORD
	flat_store_dword v[10:11], v22
	s_waitcnt vmcnt(0) lgkmcnt(0)
	flat_store_dwordx4 v[12:13], v[18:21] offset:16
	v_and_b32_e32 v12, 0x1e0, v82
	v_or_b32_e32 v10, 16, v12
	v_min_u32_e32 v10, v24, v10
	v_add_u32_e32 v11, 16, v10
	v_min_u32_e32 v11, v24, v11
	v_min_u32_e32 v13, v24, v30
	v_sub_u32_e32 v22, v10, v12
	v_sub_u32_e32 v23, v11, v10
	v_sub_u32_e64 v23, v13, v23 clamp
	v_min_u32_e32 v22, v13, v22
	v_cmp_lt_u32_e32 vcc, v23, v22
	; wave barrier
	s_and_saveexec_b64 s[14:15], vcc
	s_cbranch_execz .LBB1552_51
; %bb.48:
	v_add_co_u32_e32 v24, vcc, v4, v12
	v_addc_co_u32_e32 v25, vcc, 0, v5, vcc
	v_add_co_u32_e32 v26, vcc, v4, v10
	v_addc_co_u32_e32 v27, vcc, 0, v5, vcc
	s_mov_b64 s[18:19], 0
.LBB1552_49:                            ; =>This Inner Loop Header: Depth=1
	v_add_u32_e32 v28, v22, v23
	v_lshrrev_b32_e32 v34, 1, v28
	v_add_co_u32_e32 v28, vcc, v24, v34
	v_xad_u32 v32, v34, -1, v13
	v_addc_co_u32_e32 v29, vcc, 0, v25, vcc
	v_add_co_u32_e32 v32, vcc, v26, v32
	v_addc_co_u32_e32 v33, vcc, 0, v27, vcc
	flat_load_ubyte v35, v[28:29]
	flat_load_ubyte v36, v[32:33]
	v_add_u32_e32 v28, 1, v34
	s_waitcnt vmcnt(0) lgkmcnt(0)
	v_and_b32_e32 v29, v35, v31
	v_and_b32_e32 v32, v36, v31
	v_cmp_gt_u16_e32 vcc, v32, v29
	v_cndmask_b32_e32 v22, v22, v34, vcc
	v_cndmask_b32_e32 v23, v28, v23, vcc
	v_cmp_ge_u32_e32 vcc, v23, v22
	s_or_b64 s[18:19], vcc, s[18:19]
	s_andn2_b64 exec, exec, s[18:19]
	s_cbranch_execnz .LBB1552_49
; %bb.50:
	s_or_b64 exec, exec, s[18:19]
.LBB1552_51:
	s_or_b64 exec, exec, s[14:15]
	v_add_u32_e32 v22, v23, v12
	v_add_u32_e32 v12, v10, v13
	v_sub_u32_e32 v23, v12, v23
	v_cmp_le_u32_e32 vcc, v22, v10
	v_cmp_le_u32_e64 s[14:15], v23, v11
	s_or_b64 s[14:15], vcc, s[14:15]
	s_and_saveexec_b64 s[28:29], s[14:15]
	s_cbranch_execz .LBB1552_57
; %bb.52:
	v_cmp_lt_u32_e32 vcc, v22, v10
                                        ; implicit-def: $vgpr12
	s_and_saveexec_b64 s[18:19], vcc
	s_cbranch_execz .LBB1552_54
; %bb.53:
	v_add_co_u32_e64 v12, s[14:15], v4, v22
	v_addc_co_u32_e64 v13, s[14:15], 0, v5, s[14:15]
	flat_load_ubyte v12, v[12:13]
.LBB1552_54:
	s_or_b64 exec, exec, s[18:19]
	v_cmp_ge_u32_e64 s[14:15], v23, v11
	v_cmp_lt_u32_e64 s[18:19], v23, v11
                                        ; implicit-def: $vgpr13
	s_and_saveexec_b64 s[20:21], s[18:19]
	s_cbranch_execz .LBB1552_56
; %bb.55:
	v_add_co_u32_e64 v14, s[18:19], v4, v23
	v_addc_co_u32_e64 v15, s[18:19], 0, v5, s[18:19]
	flat_load_ubyte v13, v[14:15]
.LBB1552_56:
	s_or_b64 exec, exec, s[20:21]
	s_waitcnt vmcnt(0) lgkmcnt(0)
	v_and_b32_e32 v14, v13, v31
	v_and_b32_e32 v15, v12, v31
	v_cmp_le_u16_e64 s[18:19], v14, v15
	s_and_b64 s[18:19], vcc, s[18:19]
	s_or_b64 vcc, s[14:15], s[18:19]
	v_cndmask_b32_e32 v20, v23, v22, vcc
	v_cndmask_b32_e32 v14, v11, v10, vcc
	v_add_u32_e32 v16, 1, v20
	v_add_u32_e32 v14, -1, v14
	v_min_u32_e32 v14, v16, v14
	v_add_co_u32_e64 v14, s[14:15], v4, v14
	v_addc_co_u32_e64 v15, s[14:15], 0, v5, s[14:15]
	flat_load_ubyte v17, v[14:15]
	v_cndmask_b32_e32 v18, v16, v23, vcc
	v_cndmask_b32_e32 v19, v22, v16, vcc
	v_cmp_lt_u32_e64 s[18:19], v19, v10
	v_cmp_ge_u32_e64 s[14:15], v18, v11
	v_mov_b32_e32 v21, 0
	v_lshlrev_b64 v[14:15], 3, v[20:21]
	v_cndmask_b32_e32 v84, v13, v12, vcc
	s_waitcnt vmcnt(0) lgkmcnt(0)
	v_cndmask_b32_e32 v22, v17, v13, vcc
	v_cndmask_b32_e32 v23, v12, v17, vcc
	v_and_b32_e32 v16, v22, v31
	v_and_b32_e32 v17, v23, v31
	v_cmp_le_u16_e64 s[20:21], v16, v17
	s_and_b64 s[18:19], s[20:21], s[18:19]
	s_or_b64 s[14:15], s[14:15], s[18:19]
	v_cndmask_b32_e64 v20, v18, v19, s[14:15]
	v_cndmask_b32_e64 v16, v11, v10, s[14:15]
	v_add_u32_e32 v24, 1, v20
	v_add_u32_e32 v16, -1, v16
	v_min_u32_e32 v16, v24, v16
	v_add_co_u32_e64 v16, s[18:19], v4, v16
	v_addc_co_u32_e64 v17, s[18:19], 0, v5, s[18:19]
	flat_load_ubyte v25, v[16:17]
	v_cndmask_b32_e64 v26, v24, v18, s[14:15]
	v_cndmask_b32_e64 v24, v19, v24, s[14:15]
	v_cmp_lt_u32_e64 s[20:21], v24, v10
	v_cmp_ge_u32_e64 s[18:19], v26, v11
	v_lshlrev_b64 v[16:17], 3, v[20:21]
	v_cndmask_b32_e64 v48, v22, v23, s[14:15]
	s_waitcnt vmcnt(0) lgkmcnt(0)
	v_cndmask_b32_e64 v27, v25, v22, s[14:15]
	v_cndmask_b32_e64 v25, v23, v25, s[14:15]
	v_and_b32_e32 v18, v27, v31
	v_and_b32_e32 v19, v25, v31
	v_cmp_le_u16_e64 s[22:23], v18, v19
	s_and_b64 s[20:21], s[22:23], s[20:21]
	s_or_b64 s[18:19], s[18:19], s[20:21]
	v_cndmask_b32_e64 v20, v26, v24, s[18:19]
	v_cndmask_b32_e64 v18, v11, v10, s[18:19]
	v_add_u32_e32 v28, 1, v20
	v_add_u32_e32 v18, -1, v18
	v_min_u32_e32 v18, v28, v18
	v_add_co_u32_e64 v4, s[20:21], v4, v18
	v_addc_co_u32_e64 v5, s[20:21], 0, v5, s[20:21]
	flat_load_ubyte v29, v[4:5]
	v_add_co_u32_e64 v4, s[20:21], v0, v14
	v_addc_co_u32_e64 v5, s[20:21], v1, v15, s[20:21]
	flat_load_dwordx2 v[14:15], v[4:5] offset:1024
	v_add_co_u32_e64 v4, s[20:21], v0, v16
	v_addc_co_u32_e64 v5, s[20:21], v1, v17, s[20:21]
	flat_load_dwordx2 v[16:17], v[4:5] offset:1024
	v_lshlrev_b64 v[4:5], 3, v[20:21]
	v_add_co_u32_e64 v4, s[20:21], v0, v4
	v_addc_co_u32_e64 v5, s[20:21], v1, v5, s[20:21]
	flat_load_dwordx2 v[18:19], v[4:5] offset:1024
	v_cndmask_b32_e64 v4, v28, v26, s[18:19]
	v_cndmask_b32_e64 v5, v24, v28, s[18:19]
	v_cmp_ge_u32_e64 s[20:21], v4, v11
	v_cmp_lt_u32_e64 s[22:23], v5, v10
	v_cndmask_b32_e64 v49, v27, v25, s[18:19]
	s_waitcnt vmcnt(0) lgkmcnt(0)
	v_cndmask_b32_e64 v10, v29, v27, s[18:19]
	v_cndmask_b32_e64 v11, v25, v29, s[18:19]
	v_and_b32_e32 v20, v10, v31
	v_and_b32_e32 v24, v11, v31
	v_cmp_le_u16_e64 s[24:25], v20, v24
	s_and_b64 s[22:23], s[24:25], s[22:23]
	s_or_b64 s[20:21], s[20:21], s[22:23]
	v_cndmask_b32_e64 v20, v4, v5, s[20:21]
	v_lshlrev_b64 v[4:5], 3, v[20:21]
	v_add_co_u32_e64 v0, s[22:23], v0, v4
	v_addc_co_u32_e64 v1, s[22:23], v1, v5, s[22:23]
	flat_load_dwordx2 v[20:21], v[0:1] offset:1024
	v_cndmask_b32_e64 v83, v10, v11, s[20:21]
.LBB1552_57:
	s_or_b64 exec, exec, s[28:29]
	; wave barrier
	s_waitcnt lgkmcnt(0)
	s_barrier
                                        ; implicit-def: $vgpr82
                                        ; implicit-def: $vgpr12
                                        ; implicit-def: $vgpr13
                                        ; implicit-def: $vgpr31
                                        ; implicit-def: $vgpr0
                                        ; implicit-def: $vgpr1
                                        ; implicit-def: $vgpr32_vgpr33_vgpr34_vgpr35_vgpr36_vgpr37_vgpr38_vgpr39
                                        ; implicit-def: $vgpr22_vgpr23_vgpr24_vgpr25_vgpr26_vgpr27_vgpr28_vgpr29
.LBB1552_58:
	s_andn2_saveexec_b64 s[20:21], s[26:27]
	s_cbranch_execz .LBB1552_94
; %bb.59:
	s_load_dwordx2 s[14:15], s[8:9], 0x0
	v_mov_b32_e32 v4, 0
	s_movk_i32 s18, 0x400
	s_waitcnt lgkmcnt(0)
	s_cmp_lt_u32 s12, s14
	s_cselect_b32 s14, 12, 18
	s_cmp_lt_u32 s13, s15
	s_cselect_b32 s12, 14, 20
	s_add_u32 s12, s8, s12
	s_addc_u32 s13, s9, 0
	s_add_u32 s8, s8, s14
	s_addc_u32 s9, s9, 0
	global_load_ushort v5, v4, s[12:13]
	global_load_ushort v10, v4, s[8:9]
	v_and_b32_e32 v4, 0x3ff, v31
	s_waitcnt vmcnt(0)
	v_mad_u32_u24 v0, v1, v5, v0
	v_mul_lo_u32 v0, v0, v10
	v_add_lshl_u32 v0, v0, v4, 2
	v_cmp_gt_u32_e32 vcc, s18, v0
	s_and_saveexec_b64 s[12:13], vcc
	s_cbranch_execz .LBB1552_63
; %bb.60:
	v_cmp_gt_u16_sdwa vcc, v48, v84 src0_sel:BYTE_0 src1_sel:BYTE_0
	v_cndmask_b32_e64 v1, v84, 1, vcc
	v_cndmask_b32_e64 v5, v48, 0, vcc
	v_cndmask_b32_e32 v10, v14, v16, vcc
	v_cndmask_b32_e32 v11, v15, v17, vcc
	v_cndmask_b32_e32 v15, v17, v15, vcc
	v_cndmask_b32_e32 v14, v16, v14, vcc
	v_cmp_gt_u16_sdwa vcc, v83, v49 src0_sel:BYTE_0 src1_sel:BYTE_0
	v_cndmask_b32_e64 v16, v49, 1, vcc
	v_cndmask_b32_e64 v4, v83, 0, vcc
	v_cndmask_b32_e32 v18, v28, v36, vcc
	v_cndmask_b32_e32 v19, v29, v37, vcc
	v_cndmask_b32_e32 v17, v37, v29, vcc
	v_cndmask_b32_e32 v20, v36, v28, vcc
	;; [unrolled: 7-line block ×3, first 2 shown]
	v_cmp_gt_u16_sdwa vcc, v5, v1 src0_sel:BYTE_0 src1_sel:BYTE_0
	v_cmp_gt_u16_sdwa s[8:9], v4, v21 src0_sel:BYTE_0 src1_sel:BYTE_0
	v_cndmask_b32_e64 v48, v5, 0, vcc
	v_cndmask_b32_e64 v49, v21, 1, s[8:9]
	v_cndmask_b32_e32 v15, v11, v17, vcc
	v_cndmask_b32_e32 v14, v10, v16, vcc
	;; [unrolled: 1-line block ×4, first 2 shown]
	v_cndmask_b32_e64 v21, v19, v23, s[8:9]
	v_cndmask_b32_e64 v20, v18, v22, s[8:9]
	;; [unrolled: 1-line block ×4, first 2 shown]
	v_cmp_gt_u16_sdwa s[22:23], v49, v48 src0_sel:BYTE_0 src1_sel:BYTE_0
	s_and_saveexec_b64 s[14:15], s[22:23]
; %bb.61:
	v_pk_mov_b32 v[10:11], v[18:19], v[18:19] op_sel:[0,1]
	v_mov_b32_e32 v49, 0
	v_mov_b32_e32 v48, 1
	v_pk_mov_b32 v[18:19], v[16:17], v[16:17] op_sel:[0,1]
	v_pk_mov_b32 v[16:17], v[10:11], v[10:11] op_sel:[0,1]
; %bb.62:
	s_or_b64 exec, exec, s[14:15]
	v_cndmask_b32_e64 v84, v1, 1, vcc
	v_cndmask_b32_e64 v83, v4, 0, s[8:9]
.LBB1552_63:
	s_or_b64 exec, exec, s[12:13]
	v_and_b32_e32 v0, 0xffffff00, v0
	v_add_co_u32_e32 v4, vcc, v12, v0
	v_addc_co_u32_e32 v5, vcc, 0, v13, vcc
	v_add_co_u32_e32 v10, vcc, v4, v82
	v_sub_u32_e64 v24, s18, v0 clamp
	v_mad_u64_u32 v[0:1], s[8:9], v0, 7, v[4:5]
	v_addc_co_u32_e32 v11, vcc, 0, v5, vcc
	v_lshlrev_b32_e32 v12, 3, v82
	v_lshlrev_b16_e32 v25, 8, v48
	v_lshlrev_b16_e32 v26, 8, v83
	v_add_co_u32_e32 v22, vcc, v0, v12
	v_or_b32_sdwa v25, v84, v25 dst_sel:DWORD dst_unused:UNUSED_PAD src0_sel:BYTE_0 src1_sel:DWORD
	v_or_b32_sdwa v26, v49, v26 dst_sel:WORD_1 dst_unused:UNUSED_PAD src0_sel:BYTE_0 src1_sel:DWORD
	v_addc_co_u32_e32 v23, vcc, 0, v1, vcc
	v_or_b32_sdwa v25, v25, v26 dst_sel:DWORD dst_unused:UNUSED_PAD src0_sel:WORD_0 src1_sel:DWORD
	flat_store_dwordx4 v[22:23], v[14:17] offset:1024
	flat_store_dword v[10:11], v25
	flat_store_dwordx4 v[22:23], v[18:21] offset:1040
	v_or_b32_e32 v25, 4, v82
	v_min_u32_e32 v25, v24, v25
	v_add_u32_e32 v26, 4, v25
	v_and_b32_e32 v27, 0x1f8, v82
	v_min_u32_e32 v26, v24, v26
	v_and_b32_e32 v28, 4, v82
	v_add_co_u32_e32 v12, vcc, s18, v22
	v_min_u32_e32 v28, v24, v28
	v_sub_u32_e32 v29, v25, v27
	v_sub_u32_e32 v31, v26, v25
	v_addc_co_u32_e32 v13, vcc, 0, v23, vcc
	v_sub_u32_e64 v31, v28, v31 clamp
	v_min_u32_e32 v29, v28, v29
	v_cmp_lt_u32_e32 vcc, v31, v29
	; wave barrier
	s_and_saveexec_b64 s[8:9], vcc
	s_cbranch_execz .LBB1552_67
; %bb.64:
	v_add_co_u32_e32 v32, vcc, v4, v27
	v_addc_co_u32_e32 v33, vcc, 0, v5, vcc
	v_add_co_u32_e32 v34, vcc, v4, v25
	v_addc_co_u32_e32 v35, vcc, 0, v5, vcc
	s_mov_b64 s[12:13], 0
.LBB1552_65:                            ; =>This Inner Loop Header: Depth=1
	v_add_u32_e32 v36, v29, v31
	v_lshrrev_b32_e32 v50, 1, v36
	v_add_co_u32_e32 v36, vcc, v32, v50
	v_xad_u32 v38, v50, -1, v28
	v_addc_co_u32_e32 v37, vcc, 0, v33, vcc
	v_add_co_u32_e32 v38, vcc, v34, v38
	v_addc_co_u32_e32 v39, vcc, 0, v35, vcc
	flat_load_ubyte v51, v[36:37]
	flat_load_ubyte v52, v[38:39]
	v_add_u32_e32 v36, 1, v50
	s_waitcnt vmcnt(0) lgkmcnt(0)
	v_cmp_gt_u16_e32 vcc, v52, v51
	v_cndmask_b32_e32 v29, v29, v50, vcc
	v_cndmask_b32_e32 v31, v36, v31, vcc
	v_cmp_ge_u32_e32 vcc, v31, v29
	s_or_b64 s[12:13], vcc, s[12:13]
	s_andn2_b64 exec, exec, s[12:13]
	s_cbranch_execnz .LBB1552_65
; %bb.66:
	s_or_b64 exec, exec, s[12:13]
.LBB1552_67:
	s_or_b64 exec, exec, s[8:9]
	v_add_u32_e32 v29, v31, v27
	v_add_u32_e32 v27, v25, v28
	v_sub_u32_e32 v31, v27, v31
	v_cmp_le_u32_e32 vcc, v29, v25
	v_cmp_le_u32_e64 s[8:9], v31, v26
	s_or_b64 s[8:9], vcc, s[8:9]
	s_and_saveexec_b64 s[22:23], s[8:9]
	s_cbranch_execz .LBB1552_73
; %bb.68:
	v_cmp_lt_u32_e32 vcc, v29, v25
                                        ; implicit-def: $vgpr27
	s_and_saveexec_b64 s[12:13], vcc
	s_cbranch_execz .LBB1552_70
; %bb.69:
	v_add_co_u32_e64 v14, s[8:9], v4, v29
	v_addc_co_u32_e64 v15, s[8:9], 0, v5, s[8:9]
	flat_load_ubyte v27, v[14:15]
.LBB1552_70:
	s_or_b64 exec, exec, s[12:13]
	v_cmp_ge_u32_e64 s[8:9], v31, v26
	v_cmp_lt_u32_e64 s[12:13], v31, v26
                                        ; implicit-def: $vgpr28
	s_and_saveexec_b64 s[14:15], s[12:13]
	s_cbranch_execz .LBB1552_72
; %bb.71:
	v_add_co_u32_e64 v14, s[12:13], v4, v31
	v_addc_co_u32_e64 v15, s[12:13], 0, v5, s[12:13]
	flat_load_ubyte v28, v[14:15]
.LBB1552_72:
	s_or_b64 exec, exec, s[14:15]
	s_waitcnt vmcnt(0) lgkmcnt(0)
	v_cmp_le_u16_sdwa s[12:13], v28, v27 src0_sel:BYTE_0 src1_sel:BYTE_0
	s_and_b64 s[12:13], vcc, s[12:13]
	s_or_b64 vcc, s[8:9], s[12:13]
	v_cndmask_b32_e32 v20, v31, v29, vcc
	v_cndmask_b32_e32 v14, v26, v25, vcc
	v_add_u32_e32 v16, 1, v20
	v_add_u32_e32 v14, -1, v14
	v_min_u32_e32 v14, v16, v14
	v_add_co_u32_e64 v14, s[8:9], v4, v14
	v_addc_co_u32_e64 v15, s[8:9], 0, v5, s[8:9]
	flat_load_ubyte v17, v[14:15]
	v_cndmask_b32_e32 v18, v16, v31, vcc
	v_cndmask_b32_e32 v19, v29, v16, vcc
	v_cmp_lt_u32_e64 s[12:13], v19, v25
	v_cmp_ge_u32_e64 s[8:9], v18, v26
	v_mov_b32_e32 v21, 0
	v_lshlrev_b64 v[14:15], 3, v[20:21]
	v_cndmask_b32_e32 v84, v28, v27, vcc
	s_waitcnt vmcnt(0) lgkmcnt(0)
	v_cndmask_b32_e32 v29, v17, v28, vcc
	v_cndmask_b32_e32 v31, v27, v17, vcc
	v_cmp_le_u16_sdwa s[14:15], v29, v31 src0_sel:BYTE_0 src1_sel:BYTE_0
	s_and_b64 s[12:13], s[14:15], s[12:13]
	s_or_b64 s[8:9], s[8:9], s[12:13]
	v_cndmask_b32_e64 v20, v18, v19, s[8:9]
	v_cndmask_b32_e64 v16, v26, v25, s[8:9]
	v_add_u32_e32 v32, 1, v20
	v_add_u32_e32 v16, -1, v16
	v_min_u32_e32 v16, v32, v16
	v_add_co_u32_e64 v16, s[12:13], v4, v16
	v_addc_co_u32_e64 v17, s[12:13], 0, v5, s[12:13]
	flat_load_ubyte v33, v[16:17]
	v_cndmask_b32_e64 v34, v32, v18, s[8:9]
	v_cndmask_b32_e64 v32, v19, v32, s[8:9]
	v_cmp_lt_u32_e64 s[14:15], v32, v25
	v_cmp_ge_u32_e64 s[12:13], v34, v26
	v_lshlrev_b64 v[16:17], 3, v[20:21]
	v_cndmask_b32_e64 v48, v29, v31, s[8:9]
	s_waitcnt vmcnt(0) lgkmcnt(0)
	v_cndmask_b32_e64 v35, v33, v29, s[8:9]
	v_cndmask_b32_e64 v33, v31, v33, s[8:9]
	v_cmp_le_u16_sdwa s[18:19], v35, v33 src0_sel:BYTE_0 src1_sel:BYTE_0
	s_and_b64 s[14:15], s[18:19], s[14:15]
	s_or_b64 s[12:13], s[12:13], s[14:15]
	v_cndmask_b32_e64 v20, v34, v32, s[12:13]
	v_cndmask_b32_e64 v18, v26, v25, s[12:13]
	v_add_u32_e32 v36, 1, v20
	v_add_u32_e32 v18, -1, v18
	v_min_u32_e32 v18, v36, v18
	v_add_co_u32_e64 v18, s[14:15], v4, v18
	v_addc_co_u32_e64 v19, s[14:15], 0, v5, s[14:15]
	flat_load_ubyte v37, v[18:19]
	v_add_co_u32_e64 v14, s[14:15], v0, v14
	v_addc_co_u32_e64 v15, s[14:15], v1, v15, s[14:15]
	v_add_co_u32_e64 v16, s[14:15], v0, v16
	v_addc_co_u32_e64 v17, s[14:15], v1, v17, s[14:15]
	flat_load_dwordx2 v[16:17], v[16:17] offset:1024
	v_lshlrev_b64 v[18:19], 3, v[20:21]
	flat_load_dwordx2 v[14:15], v[14:15] offset:1024
	v_add_co_u32_e64 v18, s[14:15], v0, v18
	v_addc_co_u32_e64 v19, s[14:15], v1, v19, s[14:15]
	v_cndmask_b32_e64 v20, v36, v34, s[12:13]
	v_cndmask_b32_e64 v32, v32, v36, s[12:13]
	v_cmp_ge_u32_e64 s[14:15], v20, v26
	v_cmp_lt_u32_e64 s[18:19], v32, v25
	flat_load_dwordx2 v[18:19], v[18:19] offset:1024
	v_cndmask_b32_e64 v49, v35, v33, s[12:13]
	s_waitcnt vmcnt(0) lgkmcnt(0)
	v_cndmask_b32_e64 v25, v37, v35, s[12:13]
	v_cndmask_b32_e64 v26, v33, v37, s[12:13]
	v_cmp_le_u16_sdwa s[24:25], v25, v26 src0_sel:BYTE_0 src1_sel:BYTE_0
	s_and_b64 s[18:19], s[24:25], s[18:19]
	s_or_b64 s[14:15], s[14:15], s[18:19]
	v_cndmask_b32_e64 v20, v20, v32, s[14:15]
	v_lshlrev_b64 v[20:21], 3, v[20:21]
	v_add_co_u32_e64 v20, s[18:19], v0, v20
	v_addc_co_u32_e64 v21, s[18:19], v1, v21, s[18:19]
	flat_load_dwordx2 v[20:21], v[20:21] offset:1024
	v_cndmask_b32_e64 v83, v25, v26, s[14:15]
.LBB1552_73:
	s_or_b64 exec, exec, s[22:23]
	v_lshlrev_b16_e32 v25, 8, v48
	v_lshlrev_b16_e32 v26, 8, v83
	v_or_b32_sdwa v25, v84, v25 dst_sel:DWORD dst_unused:UNUSED_PAD src0_sel:BYTE_0 src1_sel:DWORD
	v_or_b32_sdwa v26, v49, v26 dst_sel:WORD_1 dst_unused:UNUSED_PAD src0_sel:BYTE_0 src1_sel:DWORD
	v_or_b32_sdwa v25, v25, v26 dst_sel:DWORD dst_unused:UNUSED_PAD src0_sel:WORD_0 src1_sel:DWORD
	v_and_b32_e32 v27, 0x1f0, v82
	; wave barrier
	flat_store_dwordx4 v[22:23], v[14:17] offset:1024
	flat_store_dword v[10:11], v25
	s_waitcnt vmcnt(0) lgkmcnt(0)
	flat_store_dwordx4 v[12:13], v[18:21] offset:16
	v_or_b32_e32 v25, 8, v27
	v_min_u32_e32 v25, v24, v25
	v_add_u32_e32 v26, 8, v25
	v_min_u32_e32 v26, v24, v26
	v_and_b32_e32 v28, 12, v82
	v_min_u32_e32 v28, v24, v28
	v_sub_u32_e32 v29, v25, v27
	v_sub_u32_e32 v31, v26, v25
	v_sub_u32_e64 v31, v28, v31 clamp
	v_min_u32_e32 v29, v28, v29
	v_cmp_lt_u32_e32 vcc, v31, v29
	; wave barrier
	s_and_saveexec_b64 s[8:9], vcc
	s_cbranch_execz .LBB1552_77
; %bb.74:
	v_add_co_u32_e32 v32, vcc, v4, v27
	v_addc_co_u32_e32 v33, vcc, 0, v5, vcc
	v_add_co_u32_e32 v34, vcc, v4, v25
	v_addc_co_u32_e32 v35, vcc, 0, v5, vcc
	s_mov_b64 s[12:13], 0
.LBB1552_75:                            ; =>This Inner Loop Header: Depth=1
	v_add_u32_e32 v36, v29, v31
	v_lshrrev_b32_e32 v50, 1, v36
	v_add_co_u32_e32 v36, vcc, v32, v50
	v_xad_u32 v38, v50, -1, v28
	v_addc_co_u32_e32 v37, vcc, 0, v33, vcc
	v_add_co_u32_e32 v38, vcc, v34, v38
	v_addc_co_u32_e32 v39, vcc, 0, v35, vcc
	flat_load_ubyte v51, v[36:37]
	flat_load_ubyte v52, v[38:39]
	v_add_u32_e32 v36, 1, v50
	s_waitcnt vmcnt(0) lgkmcnt(0)
	v_cmp_gt_u16_e32 vcc, v52, v51
	v_cndmask_b32_e32 v29, v29, v50, vcc
	v_cndmask_b32_e32 v31, v36, v31, vcc
	v_cmp_ge_u32_e32 vcc, v31, v29
	s_or_b64 s[12:13], vcc, s[12:13]
	s_andn2_b64 exec, exec, s[12:13]
	s_cbranch_execnz .LBB1552_75
; %bb.76:
	s_or_b64 exec, exec, s[12:13]
.LBB1552_77:
	s_or_b64 exec, exec, s[8:9]
	v_add_u32_e32 v29, v31, v27
	v_add_u32_e32 v27, v25, v28
	v_sub_u32_e32 v31, v27, v31
	v_cmp_le_u32_e32 vcc, v29, v25
	v_cmp_le_u32_e64 s[8:9], v31, v26
	s_or_b64 s[8:9], vcc, s[8:9]
	s_and_saveexec_b64 s[22:23], s[8:9]
	s_cbranch_execz .LBB1552_83
; %bb.78:
	v_cmp_lt_u32_e32 vcc, v29, v25
                                        ; implicit-def: $vgpr27
	s_and_saveexec_b64 s[12:13], vcc
	s_cbranch_execz .LBB1552_80
; %bb.79:
	v_add_co_u32_e64 v14, s[8:9], v4, v29
	v_addc_co_u32_e64 v15, s[8:9], 0, v5, s[8:9]
	flat_load_ubyte v27, v[14:15]
.LBB1552_80:
	s_or_b64 exec, exec, s[12:13]
	v_cmp_ge_u32_e64 s[8:9], v31, v26
	v_cmp_lt_u32_e64 s[12:13], v31, v26
                                        ; implicit-def: $vgpr28
	s_and_saveexec_b64 s[14:15], s[12:13]
	s_cbranch_execz .LBB1552_82
; %bb.81:
	v_add_co_u32_e64 v14, s[12:13], v4, v31
	v_addc_co_u32_e64 v15, s[12:13], 0, v5, s[12:13]
	flat_load_ubyte v28, v[14:15]
.LBB1552_82:
	s_or_b64 exec, exec, s[14:15]
	s_waitcnt vmcnt(0) lgkmcnt(0)
	v_cmp_le_u16_sdwa s[12:13], v28, v27 src0_sel:BYTE_0 src1_sel:BYTE_0
	s_and_b64 s[12:13], vcc, s[12:13]
	s_or_b64 vcc, s[8:9], s[12:13]
	v_cndmask_b32_e32 v20, v31, v29, vcc
	v_cndmask_b32_e32 v14, v26, v25, vcc
	v_add_u32_e32 v16, 1, v20
	v_add_u32_e32 v14, -1, v14
	v_min_u32_e32 v14, v16, v14
	v_add_co_u32_e64 v14, s[8:9], v4, v14
	v_addc_co_u32_e64 v15, s[8:9], 0, v5, s[8:9]
	flat_load_ubyte v17, v[14:15]
	v_cndmask_b32_e32 v18, v16, v31, vcc
	v_cndmask_b32_e32 v19, v29, v16, vcc
	v_cmp_lt_u32_e64 s[12:13], v19, v25
	v_cmp_ge_u32_e64 s[8:9], v18, v26
	v_mov_b32_e32 v21, 0
	v_lshlrev_b64 v[14:15], 3, v[20:21]
	v_cndmask_b32_e32 v84, v28, v27, vcc
	s_waitcnt vmcnt(0) lgkmcnt(0)
	v_cndmask_b32_e32 v29, v17, v28, vcc
	v_cndmask_b32_e32 v31, v27, v17, vcc
	v_cmp_le_u16_sdwa s[14:15], v29, v31 src0_sel:BYTE_0 src1_sel:BYTE_0
	s_and_b64 s[12:13], s[14:15], s[12:13]
	s_or_b64 s[8:9], s[8:9], s[12:13]
	v_cndmask_b32_e64 v20, v18, v19, s[8:9]
	v_cndmask_b32_e64 v16, v26, v25, s[8:9]
	v_add_u32_e32 v32, 1, v20
	v_add_u32_e32 v16, -1, v16
	v_min_u32_e32 v16, v32, v16
	v_add_co_u32_e64 v16, s[12:13], v4, v16
	v_addc_co_u32_e64 v17, s[12:13], 0, v5, s[12:13]
	flat_load_ubyte v33, v[16:17]
	v_cndmask_b32_e64 v34, v32, v18, s[8:9]
	v_cndmask_b32_e64 v32, v19, v32, s[8:9]
	v_cmp_lt_u32_e64 s[14:15], v32, v25
	v_cmp_ge_u32_e64 s[12:13], v34, v26
	v_lshlrev_b64 v[16:17], 3, v[20:21]
	v_cndmask_b32_e64 v48, v29, v31, s[8:9]
	s_waitcnt vmcnt(0) lgkmcnt(0)
	v_cndmask_b32_e64 v35, v33, v29, s[8:9]
	v_cndmask_b32_e64 v33, v31, v33, s[8:9]
	v_cmp_le_u16_sdwa s[18:19], v35, v33 src0_sel:BYTE_0 src1_sel:BYTE_0
	s_and_b64 s[14:15], s[18:19], s[14:15]
	s_or_b64 s[12:13], s[12:13], s[14:15]
	v_cndmask_b32_e64 v20, v34, v32, s[12:13]
	v_cndmask_b32_e64 v18, v26, v25, s[12:13]
	v_add_u32_e32 v36, 1, v20
	v_add_u32_e32 v18, -1, v18
	v_min_u32_e32 v18, v36, v18
	v_add_co_u32_e64 v18, s[14:15], v4, v18
	v_addc_co_u32_e64 v19, s[14:15], 0, v5, s[14:15]
	flat_load_ubyte v37, v[18:19]
	v_add_co_u32_e64 v14, s[14:15], v0, v14
	v_addc_co_u32_e64 v15, s[14:15], v1, v15, s[14:15]
	v_add_co_u32_e64 v16, s[14:15], v0, v16
	v_addc_co_u32_e64 v17, s[14:15], v1, v17, s[14:15]
	flat_load_dwordx2 v[16:17], v[16:17] offset:1024
	v_lshlrev_b64 v[18:19], 3, v[20:21]
	flat_load_dwordx2 v[14:15], v[14:15] offset:1024
	v_add_co_u32_e64 v18, s[14:15], v0, v18
	v_addc_co_u32_e64 v19, s[14:15], v1, v19, s[14:15]
	v_cndmask_b32_e64 v20, v36, v34, s[12:13]
	v_cndmask_b32_e64 v32, v32, v36, s[12:13]
	v_cmp_ge_u32_e64 s[14:15], v20, v26
	v_cmp_lt_u32_e64 s[18:19], v32, v25
	flat_load_dwordx2 v[18:19], v[18:19] offset:1024
	v_cndmask_b32_e64 v49, v35, v33, s[12:13]
	s_waitcnt vmcnt(0) lgkmcnt(0)
	v_cndmask_b32_e64 v25, v37, v35, s[12:13]
	v_cndmask_b32_e64 v26, v33, v37, s[12:13]
	v_cmp_le_u16_sdwa s[24:25], v25, v26 src0_sel:BYTE_0 src1_sel:BYTE_0
	s_and_b64 s[18:19], s[24:25], s[18:19]
	s_or_b64 s[14:15], s[14:15], s[18:19]
	v_cndmask_b32_e64 v20, v20, v32, s[14:15]
	v_lshlrev_b64 v[20:21], 3, v[20:21]
	v_add_co_u32_e64 v20, s[18:19], v0, v20
	v_addc_co_u32_e64 v21, s[18:19], v1, v21, s[18:19]
	flat_load_dwordx2 v[20:21], v[20:21] offset:1024
	v_cndmask_b32_e64 v83, v25, v26, s[14:15]
.LBB1552_83:
	s_or_b64 exec, exec, s[22:23]
	; wave barrier
	flat_store_dwordx4 v[22:23], v[14:17] offset:1024
	v_lshlrev_b16_e32 v22, 8, v48
	v_lshlrev_b16_e32 v23, 8, v83
	v_or_b32_sdwa v22, v84, v22 dst_sel:DWORD dst_unused:UNUSED_PAD src0_sel:BYTE_0 src1_sel:DWORD
	v_or_b32_sdwa v23, v49, v23 dst_sel:WORD_1 dst_unused:UNUSED_PAD src0_sel:BYTE_0 src1_sel:DWORD
	v_or_b32_sdwa v22, v22, v23 dst_sel:DWORD dst_unused:UNUSED_PAD src0_sel:WORD_0 src1_sel:DWORD
	flat_store_dword v[10:11], v22
	s_waitcnt vmcnt(0) lgkmcnt(0)
	flat_store_dwordx4 v[12:13], v[18:21] offset:16
	v_and_b32_e32 v12, 0x1e0, v82
	v_or_b32_e32 v10, 16, v12
	v_min_u32_e32 v10, v24, v10
	v_add_u32_e32 v11, 16, v10
	v_min_u32_e32 v11, v24, v11
	v_min_u32_e32 v13, v24, v30
	v_sub_u32_e32 v22, v10, v12
	v_sub_u32_e32 v23, v11, v10
	v_sub_u32_e64 v23, v13, v23 clamp
	v_min_u32_e32 v22, v13, v22
	v_cmp_lt_u32_e32 vcc, v23, v22
	; wave barrier
	s_and_saveexec_b64 s[8:9], vcc
	s_cbranch_execz .LBB1552_87
; %bb.84:
	v_add_co_u32_e32 v24, vcc, v4, v12
	v_addc_co_u32_e32 v25, vcc, 0, v5, vcc
	v_add_co_u32_e32 v26, vcc, v4, v10
	v_addc_co_u32_e32 v27, vcc, 0, v5, vcc
	s_mov_b64 s[12:13], 0
.LBB1552_85:                            ; =>This Inner Loop Header: Depth=1
	v_add_u32_e32 v28, v22, v23
	v_lshrrev_b32_e32 v31, 1, v28
	v_add_co_u32_e32 v28, vcc, v24, v31
	v_xad_u32 v32, v31, -1, v13
	v_addc_co_u32_e32 v29, vcc, 0, v25, vcc
	v_add_co_u32_e32 v32, vcc, v26, v32
	v_addc_co_u32_e32 v33, vcc, 0, v27, vcc
	flat_load_ubyte v34, v[28:29]
	flat_load_ubyte v35, v[32:33]
	v_add_u32_e32 v28, 1, v31
	s_waitcnt vmcnt(0) lgkmcnt(0)
	v_cmp_gt_u16_e32 vcc, v35, v34
	v_cndmask_b32_e32 v22, v22, v31, vcc
	v_cndmask_b32_e32 v23, v28, v23, vcc
	v_cmp_ge_u32_e32 vcc, v23, v22
	s_or_b64 s[12:13], vcc, s[12:13]
	s_andn2_b64 exec, exec, s[12:13]
	s_cbranch_execnz .LBB1552_85
; %bb.86:
	s_or_b64 exec, exec, s[12:13]
.LBB1552_87:
	s_or_b64 exec, exec, s[8:9]
	v_add_u32_e32 v22, v23, v12
	v_add_u32_e32 v12, v10, v13
	v_sub_u32_e32 v23, v12, v23
	v_cmp_le_u32_e32 vcc, v22, v10
	v_cmp_le_u32_e64 s[8:9], v23, v11
	s_or_b64 s[8:9], vcc, s[8:9]
	s_and_saveexec_b64 s[22:23], s[8:9]
	s_cbranch_execz .LBB1552_93
; %bb.88:
	v_cmp_lt_u32_e32 vcc, v22, v10
                                        ; implicit-def: $vgpr12
	s_and_saveexec_b64 s[12:13], vcc
	s_cbranch_execz .LBB1552_90
; %bb.89:
	v_add_co_u32_e64 v12, s[8:9], v4, v22
	v_addc_co_u32_e64 v13, s[8:9], 0, v5, s[8:9]
	flat_load_ubyte v12, v[12:13]
.LBB1552_90:
	s_or_b64 exec, exec, s[12:13]
	v_cmp_ge_u32_e64 s[8:9], v23, v11
	v_cmp_lt_u32_e64 s[12:13], v23, v11
                                        ; implicit-def: $vgpr13
	s_and_saveexec_b64 s[14:15], s[12:13]
	s_cbranch_execz .LBB1552_92
; %bb.91:
	v_add_co_u32_e64 v14, s[12:13], v4, v23
	v_addc_co_u32_e64 v15, s[12:13], 0, v5, s[12:13]
	flat_load_ubyte v13, v[14:15]
.LBB1552_92:
	s_or_b64 exec, exec, s[14:15]
	s_waitcnt vmcnt(0) lgkmcnt(0)
	v_cmp_le_u16_sdwa s[12:13], v13, v12 src0_sel:BYTE_0 src1_sel:BYTE_0
	s_and_b64 s[12:13], vcc, s[12:13]
	s_or_b64 vcc, s[8:9], s[12:13]
	v_cndmask_b32_e32 v20, v23, v22, vcc
	v_cndmask_b32_e32 v14, v11, v10, vcc
	v_add_u32_e32 v16, 1, v20
	v_add_u32_e32 v14, -1, v14
	v_min_u32_e32 v14, v16, v14
	v_add_co_u32_e64 v14, s[8:9], v4, v14
	v_addc_co_u32_e64 v15, s[8:9], 0, v5, s[8:9]
	flat_load_ubyte v17, v[14:15]
	v_cndmask_b32_e32 v18, v16, v23, vcc
	v_cndmask_b32_e32 v19, v22, v16, vcc
	v_cmp_lt_u32_e64 s[12:13], v19, v10
	v_cmp_ge_u32_e64 s[8:9], v18, v11
	v_mov_b32_e32 v21, 0
	v_lshlrev_b64 v[14:15], 3, v[20:21]
	v_cndmask_b32_e32 v84, v13, v12, vcc
	s_waitcnt vmcnt(0) lgkmcnt(0)
	v_cndmask_b32_e32 v22, v17, v13, vcc
	v_cndmask_b32_e32 v23, v12, v17, vcc
	v_cmp_le_u16_sdwa s[14:15], v22, v23 src0_sel:BYTE_0 src1_sel:BYTE_0
	s_and_b64 s[12:13], s[14:15], s[12:13]
	s_or_b64 s[8:9], s[8:9], s[12:13]
	v_cndmask_b32_e64 v20, v18, v19, s[8:9]
	v_cndmask_b32_e64 v16, v11, v10, s[8:9]
	v_add_u32_e32 v24, 1, v20
	v_add_u32_e32 v16, -1, v16
	v_min_u32_e32 v16, v24, v16
	v_add_co_u32_e64 v16, s[12:13], v4, v16
	v_addc_co_u32_e64 v17, s[12:13], 0, v5, s[12:13]
	flat_load_ubyte v25, v[16:17]
	v_cndmask_b32_e64 v26, v24, v18, s[8:9]
	v_cndmask_b32_e64 v24, v19, v24, s[8:9]
	v_cmp_lt_u32_e64 s[14:15], v24, v10
	v_cmp_ge_u32_e64 s[12:13], v26, v11
	v_lshlrev_b64 v[16:17], 3, v[20:21]
	v_cndmask_b32_e64 v48, v22, v23, s[8:9]
	s_waitcnt vmcnt(0) lgkmcnt(0)
	v_cndmask_b32_e64 v27, v25, v22, s[8:9]
	v_cndmask_b32_e64 v25, v23, v25, s[8:9]
	v_cmp_le_u16_sdwa s[18:19], v27, v25 src0_sel:BYTE_0 src1_sel:BYTE_0
	s_and_b64 s[14:15], s[18:19], s[14:15]
	s_or_b64 s[12:13], s[12:13], s[14:15]
	v_cndmask_b32_e64 v20, v26, v24, s[12:13]
	v_cndmask_b32_e64 v18, v11, v10, s[12:13]
	v_add_u32_e32 v28, 1, v20
	v_add_u32_e32 v18, -1, v18
	v_min_u32_e32 v18, v28, v18
	v_add_co_u32_e64 v4, s[14:15], v4, v18
	v_addc_co_u32_e64 v5, s[14:15], 0, v5, s[14:15]
	flat_load_ubyte v29, v[4:5]
	v_add_co_u32_e64 v4, s[14:15], v0, v14
	v_addc_co_u32_e64 v5, s[14:15], v1, v15, s[14:15]
	flat_load_dwordx2 v[14:15], v[4:5] offset:1024
	v_add_co_u32_e64 v4, s[14:15], v0, v16
	v_addc_co_u32_e64 v5, s[14:15], v1, v17, s[14:15]
	flat_load_dwordx2 v[16:17], v[4:5] offset:1024
	v_lshlrev_b64 v[4:5], 3, v[20:21]
	v_add_co_u32_e64 v4, s[14:15], v0, v4
	v_addc_co_u32_e64 v5, s[14:15], v1, v5, s[14:15]
	flat_load_dwordx2 v[18:19], v[4:5] offset:1024
	v_cndmask_b32_e64 v4, v28, v26, s[12:13]
	v_cndmask_b32_e64 v5, v24, v28, s[12:13]
	v_cmp_ge_u32_e64 s[14:15], v4, v11
	v_cmp_lt_u32_e64 s[18:19], v5, v10
	v_cndmask_b32_e64 v49, v27, v25, s[12:13]
	s_waitcnt vmcnt(0) lgkmcnt(0)
	v_cndmask_b32_e64 v10, v29, v27, s[12:13]
	v_cndmask_b32_e64 v11, v25, v29, s[12:13]
	v_cmp_le_u16_sdwa s[24:25], v10, v11 src0_sel:BYTE_0 src1_sel:BYTE_0
	s_and_b64 s[18:19], s[24:25], s[18:19]
	s_or_b64 s[14:15], s[14:15], s[18:19]
	v_cndmask_b32_e64 v20, v4, v5, s[14:15]
	v_lshlrev_b64 v[4:5], 3, v[20:21]
	v_add_co_u32_e64 v0, s[18:19], v0, v4
	v_addc_co_u32_e64 v1, s[18:19], v1, v5, s[18:19]
	flat_load_dwordx2 v[20:21], v[0:1] offset:1024
	v_cndmask_b32_e64 v83, v10, v11, s[14:15]
.LBB1552_93:
	s_or_b64 exec, exec, s[22:23]
	; wave barrier
	s_waitcnt lgkmcnt(0)
	s_barrier
.LBB1552_94:
	s_or_b64 exec, exec, s[20:21]
	v_add_co_u32_e32 v0, vcc, v2, v8
	v_addc_co_u32_e32 v1, vcc, 0, v3, vcc
	v_add_co_u32_e32 v0, vcc, v0, v30
	v_addc_co_u32_e32 v1, vcc, 0, v1, vcc
	s_waitcnt lgkmcnt(0)
	; wave barrier
	s_and_saveexec_b64 s[8:9], s[4:5]
	s_cbranch_execz .LBB1552_100
; %bb.95:
	s_waitcnt vmcnt(0) lgkmcnt(0)
	flat_store_byte v[0:1], v84
	s_or_b64 exec, exec, s[8:9]
	s_and_saveexec_b64 s[8:9], s[6:7]
	s_cbranch_execnz .LBB1552_101
.LBB1552_96:
	s_or_b64 exec, exec, s[8:9]
	s_and_saveexec_b64 s[8:9], s[16:17]
	s_cbranch_execz .LBB1552_102
.LBB1552_97:
	s_waitcnt vmcnt(0) lgkmcnt(0)
	flat_store_byte v[0:1], v49 offset:2
	s_or_b64 exec, exec, s[8:9]
	s_and_saveexec_b64 s[8:9], s[10:11]
	s_cbranch_execnz .LBB1552_103
	s_branch .LBB1552_104
.LBB1552_98:
	s_or_b64 exec, exec, s[14:15]
                                        ; implicit-def: $vgpr18_vgpr19
	s_and_saveexec_b64 s[14:15], s[16:17]
	s_cbranch_execz .LBB1552_12
.LBB1552_99:
	flat_load_dwordx2 v[36:37], v[0:1] offset:16
	s_waitcnt vmcnt(0) lgkmcnt(0)
	v_pk_mov_b32 v[18:19], v[36:37], v[36:37] op_sel:[0,1]
	s_or_b64 exec, exec, s[14:15]
	s_and_saveexec_b64 s[14:15], s[10:11]
	s_cbranch_execnz .LBB1552_13
	s_branch .LBB1552_14
.LBB1552_100:
	s_or_b64 exec, exec, s[8:9]
	s_and_saveexec_b64 s[8:9], s[6:7]
	s_cbranch_execz .LBB1552_96
.LBB1552_101:
	s_waitcnt vmcnt(0) lgkmcnt(0)
	flat_store_byte v[0:1], v48 offset:1
	s_or_b64 exec, exec, s[8:9]
	s_and_saveexec_b64 s[8:9], s[16:17]
	s_cbranch_execnz .LBB1552_97
.LBB1552_102:
	s_or_b64 exec, exec, s[8:9]
	s_and_saveexec_b64 s[8:9], s[10:11]
	s_cbranch_execz .LBB1552_104
.LBB1552_103:
	s_waitcnt vmcnt(0) lgkmcnt(0)
	flat_store_byte v[0:1], v83 offset:3
.LBB1552_104:
	s_or_b64 exec, exec, s[8:9]
	v_add_co_u32_e32 v0, vcc, v6, v80
	v_addc_co_u32_e32 v1, vcc, v7, v81, vcc
	v_add_co_u32_e32 v0, vcc, v0, v9
	v_addc_co_u32_e32 v1, vcc, 0, v1, vcc
	; wave barrier
	s_and_saveexec_b64 s[8:9], s[4:5]
	s_cbranch_execz .LBB1552_109
; %bb.105:
	s_waitcnt vmcnt(0) lgkmcnt(0)
	flat_store_dwordx2 v[0:1], v[14:15]
	s_or_b64 exec, exec, s[8:9]
	s_and_saveexec_b64 s[4:5], s[6:7]
	s_cbranch_execnz .LBB1552_110
.LBB1552_106:
	s_or_b64 exec, exec, s[4:5]
	s_and_saveexec_b64 s[4:5], s[16:17]
	s_cbranch_execz .LBB1552_111
.LBB1552_107:
	flat_store_dwordx2 v[0:1], v[18:19] offset:16
	s_or_b64 exec, exec, s[4:5]
	s_and_saveexec_b64 s[4:5], s[10:11]
	s_cbranch_execnz .LBB1552_112
.LBB1552_108:
	s_or_b64 exec, exec, s[4:5]
	s_waitcnt vmcnt(0) lgkmcnt(0)
	s_setpc_b64 s[30:31]
.LBB1552_109:
	s_or_b64 exec, exec, s[8:9]
	s_and_saveexec_b64 s[4:5], s[6:7]
	s_cbranch_execz .LBB1552_106
.LBB1552_110:
	s_waitcnt vmcnt(0) lgkmcnt(0)
	flat_store_dwordx2 v[0:1], v[16:17] offset:8
	s_or_b64 exec, exec, s[4:5]
	s_and_saveexec_b64 s[4:5], s[16:17]
	s_cbranch_execnz .LBB1552_107
.LBB1552_111:
	s_or_b64 exec, exec, s[4:5]
	s_and_saveexec_b64 s[4:5], s[10:11]
	s_cbranch_execz .LBB1552_108
.LBB1552_112:
	s_waitcnt vmcnt(0)
	flat_store_dwordx2 v[0:1], v[20:21] offset:24
	s_or_b64 exec, exec, s[4:5]
	s_waitcnt vmcnt(0) lgkmcnt(0)
	s_setpc_b64 s[30:31]
.Lfunc_end1552:
	.size	_ZN7rocprim17ROCPRIM_400000_NS6detail26segmented_warp_sort_helperINS1_20WarpSortHelperConfigILj8ELj4ELj256EEEblLi256ELb1EvE4sortIPKbPbPKlPlEEvT_T0_T1_T2_jjjjRNS5_12storage_typeE, .Lfunc_end1552-_ZN7rocprim17ROCPRIM_400000_NS6detail26segmented_warp_sort_helperINS1_20WarpSortHelperConfigILj8ELj4ELj256EEEblLi256ELb1EvE4sortIPKbPbPKlPlEEvT_T0_T1_T2_jjjjRNS5_12storage_typeE
                                        ; -- End function
	.section	.AMDGPU.csdata,"",@progbits
; Function info:
; codeLenInByte = 7212
; NumSgprs: 36
; NumVgprs: 85
; NumAgprs: 0
; TotalNumVgprs: 85
; ScratchSize: 0
; MemoryBound: 1
	.section	.text._ZN7rocprim17ROCPRIM_400000_NS6detail17trampoline_kernelINS0_14default_configENS1_36segmented_radix_sort_config_selectorIblEEZNS1_25segmented_radix_sort_implIS3_Lb1EPKbPbPKlPlN2at6native12_GLOBAL__N_18offset_tEEE10hipError_tPvRmT1_PNSt15iterator_traitsISK_E10value_typeET2_T3_PNSL_ISQ_E10value_typeET4_jRbjT5_SW_jjP12ihipStream_tbEUlT_E1_NS1_11comp_targetILNS1_3genE4ELNS1_11target_archE910ELNS1_3gpuE8ELNS1_3repE0EEENS1_59segmented_radix_sort_warp_sort_small_config_static_selectorELNS0_4arch9wavefront6targetE1EEEvSK_,"axG",@progbits,_ZN7rocprim17ROCPRIM_400000_NS6detail17trampoline_kernelINS0_14default_configENS1_36segmented_radix_sort_config_selectorIblEEZNS1_25segmented_radix_sort_implIS3_Lb1EPKbPbPKlPlN2at6native12_GLOBAL__N_18offset_tEEE10hipError_tPvRmT1_PNSt15iterator_traitsISK_E10value_typeET2_T3_PNSL_ISQ_E10value_typeET4_jRbjT5_SW_jjP12ihipStream_tbEUlT_E1_NS1_11comp_targetILNS1_3genE4ELNS1_11target_archE910ELNS1_3gpuE8ELNS1_3repE0EEENS1_59segmented_radix_sort_warp_sort_small_config_static_selectorELNS0_4arch9wavefront6targetE1EEEvSK_,comdat
	.globl	_ZN7rocprim17ROCPRIM_400000_NS6detail17trampoline_kernelINS0_14default_configENS1_36segmented_radix_sort_config_selectorIblEEZNS1_25segmented_radix_sort_implIS3_Lb1EPKbPbPKlPlN2at6native12_GLOBAL__N_18offset_tEEE10hipError_tPvRmT1_PNSt15iterator_traitsISK_E10value_typeET2_T3_PNSL_ISQ_E10value_typeET4_jRbjT5_SW_jjP12ihipStream_tbEUlT_E1_NS1_11comp_targetILNS1_3genE4ELNS1_11target_archE910ELNS1_3gpuE8ELNS1_3repE0EEENS1_59segmented_radix_sort_warp_sort_small_config_static_selectorELNS0_4arch9wavefront6targetE1EEEvSK_ ; -- Begin function _ZN7rocprim17ROCPRIM_400000_NS6detail17trampoline_kernelINS0_14default_configENS1_36segmented_radix_sort_config_selectorIblEEZNS1_25segmented_radix_sort_implIS3_Lb1EPKbPbPKlPlN2at6native12_GLOBAL__N_18offset_tEEE10hipError_tPvRmT1_PNSt15iterator_traitsISK_E10value_typeET2_T3_PNSL_ISQ_E10value_typeET4_jRbjT5_SW_jjP12ihipStream_tbEUlT_E1_NS1_11comp_targetILNS1_3genE4ELNS1_11target_archE910ELNS1_3gpuE8ELNS1_3repE0EEENS1_59segmented_radix_sort_warp_sort_small_config_static_selectorELNS0_4arch9wavefront6targetE1EEEvSK_
	.p2align	8
	.type	_ZN7rocprim17ROCPRIM_400000_NS6detail17trampoline_kernelINS0_14default_configENS1_36segmented_radix_sort_config_selectorIblEEZNS1_25segmented_radix_sort_implIS3_Lb1EPKbPbPKlPlN2at6native12_GLOBAL__N_18offset_tEEE10hipError_tPvRmT1_PNSt15iterator_traitsISK_E10value_typeET2_T3_PNSL_ISQ_E10value_typeET4_jRbjT5_SW_jjP12ihipStream_tbEUlT_E1_NS1_11comp_targetILNS1_3genE4ELNS1_11target_archE910ELNS1_3gpuE8ELNS1_3repE0EEENS1_59segmented_radix_sort_warp_sort_small_config_static_selectorELNS0_4arch9wavefront6targetE1EEEvSK_,@function
_ZN7rocprim17ROCPRIM_400000_NS6detail17trampoline_kernelINS0_14default_configENS1_36segmented_radix_sort_config_selectorIblEEZNS1_25segmented_radix_sort_implIS3_Lb1EPKbPbPKlPlN2at6native12_GLOBAL__N_18offset_tEEE10hipError_tPvRmT1_PNSt15iterator_traitsISK_E10value_typeET2_T3_PNSL_ISQ_E10value_typeET4_jRbjT5_SW_jjP12ihipStream_tbEUlT_E1_NS1_11comp_targetILNS1_3genE4ELNS1_11target_archE910ELNS1_3gpuE8ELNS1_3repE0EEENS1_59segmented_radix_sort_warp_sort_small_config_static_selectorELNS0_4arch9wavefront6targetE1EEEvSK_: ; @_ZN7rocprim17ROCPRIM_400000_NS6detail17trampoline_kernelINS0_14default_configENS1_36segmented_radix_sort_config_selectorIblEEZNS1_25segmented_radix_sort_implIS3_Lb1EPKbPbPKlPlN2at6native12_GLOBAL__N_18offset_tEEE10hipError_tPvRmT1_PNSt15iterator_traitsISK_E10value_typeET2_T3_PNSL_ISQ_E10value_typeET4_jRbjT5_SW_jjP12ihipStream_tbEUlT_E1_NS1_11comp_targetILNS1_3genE4ELNS1_11target_archE910ELNS1_3gpuE8ELNS1_3repE0EEENS1_59segmented_radix_sort_warp_sort_small_config_static_selectorELNS0_4arch9wavefront6targetE1EEEvSK_
; %bb.0:
	s_add_u32 flat_scratch_lo, s6, s10
	s_addc_u32 flat_scratch_hi, s7, 0
	s_add_u32 s0, s0, s10
	s_load_dword s6, s[4:5], 0x64
	s_load_dword s10, s[4:5], 0x34
	s_addc_u32 s1, s1, 0
	v_bfe_u32 v1, v0, 10, 10
	v_bfe_u32 v2, v0, 20, 10
	s_waitcnt lgkmcnt(0)
	s_lshr_b32 s7, s6, 16
	s_and_b32 s6, s6, 0xffff
	v_mad_u32_u24 v1, v2, s7, v1
	v_and_b32_e32 v2, 0x3ff, v0
	v_mad_u64_u32 v[2:3], s[6:7], v1, s6, v[2:3]
	v_lshrrev_b32_e32 v1, 3, v2
	v_lshl_add_u32 v2, s8, 5, v1
	v_cmp_gt_u32_e32 vcc, s10, v2
	s_mov_b32 s32, 0
	s_and_saveexec_b64 s[6:7], vcc
	s_cbranch_execz .LBB1553_6
; %bb.1:
	s_load_dwordx2 s[6:7], s[4:5], 0x38
	s_load_dwordx4 s[12:15], s[4:5], 0x40
	v_mov_b32_e32 v3, 0
	v_lshlrev_b64 v[2:3], 2, v[2:3]
	s_waitcnt lgkmcnt(0)
	v_mov_b32_e32 v1, s7
	v_sub_co_u32_e32 v2, vcc, s6, v2
	v_subb_co_u32_e32 v3, vcc, v1, v3, vcc
	global_load_dword v1, v[2:3], off offset:-4
	s_waitcnt vmcnt(0)
	v_add_u32_e32 v2, s13, v1
	v_add_u32_e32 v1, s15, v1
	v_mul_lo_u32 v8, v2, s12
	v_mul_lo_u32 v40, v1, s14
	v_cmp_gt_u32_e32 vcc, v40, v8
	s_and_b64 exec, exec, vcc
	s_cbranch_execz .LBB1553_6
; %bb.2:
	s_load_dwordx4 s[44:47], s[4:5], 0x20
	s_load_dword s6, s[4:5], 0x30
	s_load_dwordx8 s[36:43], s[4:5], 0x0
	s_load_dwordx2 s[48:49], s[4:5], 0x50
	s_mov_b32 s34, s8
	s_mov_b32 s33, s9
	s_waitcnt lgkmcnt(0)
	s_bitcmp0_b32 s6, 0
	s_mov_b64 s[6:7], -1
	s_cbranch_scc0 .LBB1553_4
; %bb.3:
	s_add_u32 s8, s4, 0x58
	s_mov_b64 s[6:7], src_shared_base
	s_addc_u32 s9, s5, 0
	s_mov_b32 s12, s34
	s_mov_b32 s13, s33
	v_mov_b32_e32 v31, v0
	v_mov_b32_e32 v41, v0
	;; [unrolled: 1-line block ×15, first 2 shown]
	s_getpc_b64 s[10:11]
	s_add_u32 s10, s10, _ZN7rocprim17ROCPRIM_400000_NS6detail26segmented_warp_sort_helperINS1_20WarpSortHelperConfigILj8ELj4ELj256EEEblLi256ELb1EvE4sortIPKbPbPKlPlEEvT_T0_T1_T2_jjjjRNS5_12storage_typeE@rel32@lo+4
	s_addc_u32 s11, s11, _ZN7rocprim17ROCPRIM_400000_NS6detail26segmented_warp_sort_helperINS1_20WarpSortHelperConfigILj8ELj4ELj256EEEblLi256ELb1EvE4sortIPKbPbPKlPlEEvT_T0_T1_T2_jjjjRNS5_12storage_typeE@rel32@hi+12
	s_mov_b64 s[38:39], s[4:5]
	s_swappc_b64 s[30:31], s[10:11]
	v_mov_b32_e32 v0, v41
	s_mov_b64 s[4:5], s[38:39]
	s_mov_b64 s[6:7], 0
.LBB1553_4:
	s_andn2_b64 vcc, exec, s[6:7]
	s_cbranch_vccnz .LBB1553_6
; %bb.5:
	s_add_u32 s8, s4, 0x58
	s_addc_u32 s9, s5, 0
	s_mov_b64 s[4:5], src_shared_base
	s_mov_b32 s12, s34
	s_mov_b32 s13, s33
	v_mov_b32_e32 v31, v0
	v_mov_b32_e32 v0, s36
	;; [unrolled: 1-line block ×14, first 2 shown]
	s_getpc_b64 s[6:7]
	s_add_u32 s6, s6, _ZN7rocprim17ROCPRIM_400000_NS6detail26segmented_warp_sort_helperINS1_20WarpSortHelperConfigILj8ELj4ELj256EEEblLi256ELb1EvE4sortIPKbPbPKlPlEEvT_T0_T1_T2_jjjjRNS5_12storage_typeE@rel32@lo+4
	s_addc_u32 s7, s7, _ZN7rocprim17ROCPRIM_400000_NS6detail26segmented_warp_sort_helperINS1_20WarpSortHelperConfigILj8ELj4ELj256EEEblLi256ELb1EvE4sortIPKbPbPKlPlEEvT_T0_T1_T2_jjjjRNS5_12storage_typeE@rel32@hi+12
	s_swappc_b64 s[30:31], s[6:7]
.LBB1553_6:
	s_endpgm
	.section	.rodata,"a",@progbits
	.p2align	6, 0x0
	.amdhsa_kernel _ZN7rocprim17ROCPRIM_400000_NS6detail17trampoline_kernelINS0_14default_configENS1_36segmented_radix_sort_config_selectorIblEEZNS1_25segmented_radix_sort_implIS3_Lb1EPKbPbPKlPlN2at6native12_GLOBAL__N_18offset_tEEE10hipError_tPvRmT1_PNSt15iterator_traitsISK_E10value_typeET2_T3_PNSL_ISQ_E10value_typeET4_jRbjT5_SW_jjP12ihipStream_tbEUlT_E1_NS1_11comp_targetILNS1_3genE4ELNS1_11target_archE910ELNS1_3gpuE8ELNS1_3repE0EEENS1_59segmented_radix_sort_warp_sort_small_config_static_selectorELNS0_4arch9wavefront6targetE1EEEvSK_
		.amdhsa_group_segment_fixed_size 9216
		.amdhsa_private_segment_fixed_size 0
		.amdhsa_kernarg_size 344
		.amdhsa_user_sgpr_count 8
		.amdhsa_user_sgpr_private_segment_buffer 1
		.amdhsa_user_sgpr_dispatch_ptr 0
		.amdhsa_user_sgpr_queue_ptr 0
		.amdhsa_user_sgpr_kernarg_segment_ptr 1
		.amdhsa_user_sgpr_dispatch_id 0
		.amdhsa_user_sgpr_flat_scratch_init 1
		.amdhsa_user_sgpr_kernarg_preload_length 0
		.amdhsa_user_sgpr_kernarg_preload_offset 0
		.amdhsa_user_sgpr_private_segment_size 0
		.amdhsa_uses_dynamic_stack 0
		.amdhsa_system_sgpr_private_segment_wavefront_offset 0
		.amdhsa_system_sgpr_workgroup_id_x 1
		.amdhsa_system_sgpr_workgroup_id_y 1
		.amdhsa_system_sgpr_workgroup_id_z 0
		.amdhsa_system_sgpr_workgroup_info 0
		.amdhsa_system_vgpr_workitem_id 2
		.amdhsa_next_free_vgpr 85
		.amdhsa_next_free_sgpr 50
		.amdhsa_accum_offset 88
		.amdhsa_reserve_vcc 1
		.amdhsa_reserve_flat_scratch 1
		.amdhsa_float_round_mode_32 0
		.amdhsa_float_round_mode_16_64 0
		.amdhsa_float_denorm_mode_32 3
		.amdhsa_float_denorm_mode_16_64 3
		.amdhsa_dx10_clamp 1
		.amdhsa_ieee_mode 1
		.amdhsa_fp16_overflow 0
		.amdhsa_tg_split 0
		.amdhsa_exception_fp_ieee_invalid_op 0
		.amdhsa_exception_fp_denorm_src 0
		.amdhsa_exception_fp_ieee_div_zero 0
		.amdhsa_exception_fp_ieee_overflow 0
		.amdhsa_exception_fp_ieee_underflow 0
		.amdhsa_exception_fp_ieee_inexact 0
		.amdhsa_exception_int_div_zero 0
	.end_amdhsa_kernel
	.section	.text._ZN7rocprim17ROCPRIM_400000_NS6detail17trampoline_kernelINS0_14default_configENS1_36segmented_radix_sort_config_selectorIblEEZNS1_25segmented_radix_sort_implIS3_Lb1EPKbPbPKlPlN2at6native12_GLOBAL__N_18offset_tEEE10hipError_tPvRmT1_PNSt15iterator_traitsISK_E10value_typeET2_T3_PNSL_ISQ_E10value_typeET4_jRbjT5_SW_jjP12ihipStream_tbEUlT_E1_NS1_11comp_targetILNS1_3genE4ELNS1_11target_archE910ELNS1_3gpuE8ELNS1_3repE0EEENS1_59segmented_radix_sort_warp_sort_small_config_static_selectorELNS0_4arch9wavefront6targetE1EEEvSK_,"axG",@progbits,_ZN7rocprim17ROCPRIM_400000_NS6detail17trampoline_kernelINS0_14default_configENS1_36segmented_radix_sort_config_selectorIblEEZNS1_25segmented_radix_sort_implIS3_Lb1EPKbPbPKlPlN2at6native12_GLOBAL__N_18offset_tEEE10hipError_tPvRmT1_PNSt15iterator_traitsISK_E10value_typeET2_T3_PNSL_ISQ_E10value_typeET4_jRbjT5_SW_jjP12ihipStream_tbEUlT_E1_NS1_11comp_targetILNS1_3genE4ELNS1_11target_archE910ELNS1_3gpuE8ELNS1_3repE0EEENS1_59segmented_radix_sort_warp_sort_small_config_static_selectorELNS0_4arch9wavefront6targetE1EEEvSK_,comdat
.Lfunc_end1553:
	.size	_ZN7rocprim17ROCPRIM_400000_NS6detail17trampoline_kernelINS0_14default_configENS1_36segmented_radix_sort_config_selectorIblEEZNS1_25segmented_radix_sort_implIS3_Lb1EPKbPbPKlPlN2at6native12_GLOBAL__N_18offset_tEEE10hipError_tPvRmT1_PNSt15iterator_traitsISK_E10value_typeET2_T3_PNSL_ISQ_E10value_typeET4_jRbjT5_SW_jjP12ihipStream_tbEUlT_E1_NS1_11comp_targetILNS1_3genE4ELNS1_11target_archE910ELNS1_3gpuE8ELNS1_3repE0EEENS1_59segmented_radix_sort_warp_sort_small_config_static_selectorELNS0_4arch9wavefront6targetE1EEEvSK_, .Lfunc_end1553-_ZN7rocprim17ROCPRIM_400000_NS6detail17trampoline_kernelINS0_14default_configENS1_36segmented_radix_sort_config_selectorIblEEZNS1_25segmented_radix_sort_implIS3_Lb1EPKbPbPKlPlN2at6native12_GLOBAL__N_18offset_tEEE10hipError_tPvRmT1_PNSt15iterator_traitsISK_E10value_typeET2_T3_PNSL_ISQ_E10value_typeET4_jRbjT5_SW_jjP12ihipStream_tbEUlT_E1_NS1_11comp_targetILNS1_3genE4ELNS1_11target_archE910ELNS1_3gpuE8ELNS1_3repE0EEENS1_59segmented_radix_sort_warp_sort_small_config_static_selectorELNS0_4arch9wavefront6targetE1EEEvSK_
                                        ; -- End function
	.section	.AMDGPU.csdata,"",@progbits
; Kernel info:
; codeLenInByte = 504
; NumSgprs: 56
; NumVgprs: 85
; NumAgprs: 0
; TotalNumVgprs: 85
; ScratchSize: 0
; MemoryBound: 0
; FloatMode: 240
; IeeeMode: 1
; LDSByteSize: 9216 bytes/workgroup (compile time only)
; SGPRBlocks: 6
; VGPRBlocks: 10
; NumSGPRsForWavesPerEU: 56
; NumVGPRsForWavesPerEU: 85
; AccumOffset: 88
; Occupancy: 5
; WaveLimiterHint : 0
; COMPUTE_PGM_RSRC2:SCRATCH_EN: 0
; COMPUTE_PGM_RSRC2:USER_SGPR: 8
; COMPUTE_PGM_RSRC2:TRAP_HANDLER: 0
; COMPUTE_PGM_RSRC2:TGID_X_EN: 1
; COMPUTE_PGM_RSRC2:TGID_Y_EN: 1
; COMPUTE_PGM_RSRC2:TGID_Z_EN: 0
; COMPUTE_PGM_RSRC2:TIDIG_COMP_CNT: 2
; COMPUTE_PGM_RSRC3_GFX90A:ACCUM_OFFSET: 21
; COMPUTE_PGM_RSRC3_GFX90A:TG_SPLIT: 0
	.section	.text._ZN7rocprim17ROCPRIM_400000_NS6detail17trampoline_kernelINS0_14default_configENS1_36segmented_radix_sort_config_selectorIblEEZNS1_25segmented_radix_sort_implIS3_Lb1EPKbPbPKlPlN2at6native12_GLOBAL__N_18offset_tEEE10hipError_tPvRmT1_PNSt15iterator_traitsISK_E10value_typeET2_T3_PNSL_ISQ_E10value_typeET4_jRbjT5_SW_jjP12ihipStream_tbEUlT_E1_NS1_11comp_targetILNS1_3genE3ELNS1_11target_archE908ELNS1_3gpuE7ELNS1_3repE0EEENS1_59segmented_radix_sort_warp_sort_small_config_static_selectorELNS0_4arch9wavefront6targetE1EEEvSK_,"axG",@progbits,_ZN7rocprim17ROCPRIM_400000_NS6detail17trampoline_kernelINS0_14default_configENS1_36segmented_radix_sort_config_selectorIblEEZNS1_25segmented_radix_sort_implIS3_Lb1EPKbPbPKlPlN2at6native12_GLOBAL__N_18offset_tEEE10hipError_tPvRmT1_PNSt15iterator_traitsISK_E10value_typeET2_T3_PNSL_ISQ_E10value_typeET4_jRbjT5_SW_jjP12ihipStream_tbEUlT_E1_NS1_11comp_targetILNS1_3genE3ELNS1_11target_archE908ELNS1_3gpuE7ELNS1_3repE0EEENS1_59segmented_radix_sort_warp_sort_small_config_static_selectorELNS0_4arch9wavefront6targetE1EEEvSK_,comdat
	.globl	_ZN7rocprim17ROCPRIM_400000_NS6detail17trampoline_kernelINS0_14default_configENS1_36segmented_radix_sort_config_selectorIblEEZNS1_25segmented_radix_sort_implIS3_Lb1EPKbPbPKlPlN2at6native12_GLOBAL__N_18offset_tEEE10hipError_tPvRmT1_PNSt15iterator_traitsISK_E10value_typeET2_T3_PNSL_ISQ_E10value_typeET4_jRbjT5_SW_jjP12ihipStream_tbEUlT_E1_NS1_11comp_targetILNS1_3genE3ELNS1_11target_archE908ELNS1_3gpuE7ELNS1_3repE0EEENS1_59segmented_radix_sort_warp_sort_small_config_static_selectorELNS0_4arch9wavefront6targetE1EEEvSK_ ; -- Begin function _ZN7rocprim17ROCPRIM_400000_NS6detail17trampoline_kernelINS0_14default_configENS1_36segmented_radix_sort_config_selectorIblEEZNS1_25segmented_radix_sort_implIS3_Lb1EPKbPbPKlPlN2at6native12_GLOBAL__N_18offset_tEEE10hipError_tPvRmT1_PNSt15iterator_traitsISK_E10value_typeET2_T3_PNSL_ISQ_E10value_typeET4_jRbjT5_SW_jjP12ihipStream_tbEUlT_E1_NS1_11comp_targetILNS1_3genE3ELNS1_11target_archE908ELNS1_3gpuE7ELNS1_3repE0EEENS1_59segmented_radix_sort_warp_sort_small_config_static_selectorELNS0_4arch9wavefront6targetE1EEEvSK_
	.p2align	8
	.type	_ZN7rocprim17ROCPRIM_400000_NS6detail17trampoline_kernelINS0_14default_configENS1_36segmented_radix_sort_config_selectorIblEEZNS1_25segmented_radix_sort_implIS3_Lb1EPKbPbPKlPlN2at6native12_GLOBAL__N_18offset_tEEE10hipError_tPvRmT1_PNSt15iterator_traitsISK_E10value_typeET2_T3_PNSL_ISQ_E10value_typeET4_jRbjT5_SW_jjP12ihipStream_tbEUlT_E1_NS1_11comp_targetILNS1_3genE3ELNS1_11target_archE908ELNS1_3gpuE7ELNS1_3repE0EEENS1_59segmented_radix_sort_warp_sort_small_config_static_selectorELNS0_4arch9wavefront6targetE1EEEvSK_,@function
_ZN7rocprim17ROCPRIM_400000_NS6detail17trampoline_kernelINS0_14default_configENS1_36segmented_radix_sort_config_selectorIblEEZNS1_25segmented_radix_sort_implIS3_Lb1EPKbPbPKlPlN2at6native12_GLOBAL__N_18offset_tEEE10hipError_tPvRmT1_PNSt15iterator_traitsISK_E10value_typeET2_T3_PNSL_ISQ_E10value_typeET4_jRbjT5_SW_jjP12ihipStream_tbEUlT_E1_NS1_11comp_targetILNS1_3genE3ELNS1_11target_archE908ELNS1_3gpuE7ELNS1_3repE0EEENS1_59segmented_radix_sort_warp_sort_small_config_static_selectorELNS0_4arch9wavefront6targetE1EEEvSK_: ; @_ZN7rocprim17ROCPRIM_400000_NS6detail17trampoline_kernelINS0_14default_configENS1_36segmented_radix_sort_config_selectorIblEEZNS1_25segmented_radix_sort_implIS3_Lb1EPKbPbPKlPlN2at6native12_GLOBAL__N_18offset_tEEE10hipError_tPvRmT1_PNSt15iterator_traitsISK_E10value_typeET2_T3_PNSL_ISQ_E10value_typeET4_jRbjT5_SW_jjP12ihipStream_tbEUlT_E1_NS1_11comp_targetILNS1_3genE3ELNS1_11target_archE908ELNS1_3gpuE7ELNS1_3repE0EEENS1_59segmented_radix_sort_warp_sort_small_config_static_selectorELNS0_4arch9wavefront6targetE1EEEvSK_
; %bb.0:
	.section	.rodata,"a",@progbits
	.p2align	6, 0x0
	.amdhsa_kernel _ZN7rocprim17ROCPRIM_400000_NS6detail17trampoline_kernelINS0_14default_configENS1_36segmented_radix_sort_config_selectorIblEEZNS1_25segmented_radix_sort_implIS3_Lb1EPKbPbPKlPlN2at6native12_GLOBAL__N_18offset_tEEE10hipError_tPvRmT1_PNSt15iterator_traitsISK_E10value_typeET2_T3_PNSL_ISQ_E10value_typeET4_jRbjT5_SW_jjP12ihipStream_tbEUlT_E1_NS1_11comp_targetILNS1_3genE3ELNS1_11target_archE908ELNS1_3gpuE7ELNS1_3repE0EEENS1_59segmented_radix_sort_warp_sort_small_config_static_selectorELNS0_4arch9wavefront6targetE1EEEvSK_
		.amdhsa_group_segment_fixed_size 0
		.amdhsa_private_segment_fixed_size 0
		.amdhsa_kernarg_size 88
		.amdhsa_user_sgpr_count 6
		.amdhsa_user_sgpr_private_segment_buffer 1
		.amdhsa_user_sgpr_dispatch_ptr 0
		.amdhsa_user_sgpr_queue_ptr 0
		.amdhsa_user_sgpr_kernarg_segment_ptr 1
		.amdhsa_user_sgpr_dispatch_id 0
		.amdhsa_user_sgpr_flat_scratch_init 0
		.amdhsa_user_sgpr_kernarg_preload_length 0
		.amdhsa_user_sgpr_kernarg_preload_offset 0
		.amdhsa_user_sgpr_private_segment_size 0
		.amdhsa_uses_dynamic_stack 0
		.amdhsa_system_sgpr_private_segment_wavefront_offset 0
		.amdhsa_system_sgpr_workgroup_id_x 1
		.amdhsa_system_sgpr_workgroup_id_y 0
		.amdhsa_system_sgpr_workgroup_id_z 0
		.amdhsa_system_sgpr_workgroup_info 0
		.amdhsa_system_vgpr_workitem_id 0
		.amdhsa_next_free_vgpr 1
		.amdhsa_next_free_sgpr 0
		.amdhsa_accum_offset 4
		.amdhsa_reserve_vcc 0
		.amdhsa_reserve_flat_scratch 0
		.amdhsa_float_round_mode_32 0
		.amdhsa_float_round_mode_16_64 0
		.amdhsa_float_denorm_mode_32 3
		.amdhsa_float_denorm_mode_16_64 3
		.amdhsa_dx10_clamp 1
		.amdhsa_ieee_mode 1
		.amdhsa_fp16_overflow 0
		.amdhsa_tg_split 0
		.amdhsa_exception_fp_ieee_invalid_op 0
		.amdhsa_exception_fp_denorm_src 0
		.amdhsa_exception_fp_ieee_div_zero 0
		.amdhsa_exception_fp_ieee_overflow 0
		.amdhsa_exception_fp_ieee_underflow 0
		.amdhsa_exception_fp_ieee_inexact 0
		.amdhsa_exception_int_div_zero 0
	.end_amdhsa_kernel
	.section	.text._ZN7rocprim17ROCPRIM_400000_NS6detail17trampoline_kernelINS0_14default_configENS1_36segmented_radix_sort_config_selectorIblEEZNS1_25segmented_radix_sort_implIS3_Lb1EPKbPbPKlPlN2at6native12_GLOBAL__N_18offset_tEEE10hipError_tPvRmT1_PNSt15iterator_traitsISK_E10value_typeET2_T3_PNSL_ISQ_E10value_typeET4_jRbjT5_SW_jjP12ihipStream_tbEUlT_E1_NS1_11comp_targetILNS1_3genE3ELNS1_11target_archE908ELNS1_3gpuE7ELNS1_3repE0EEENS1_59segmented_radix_sort_warp_sort_small_config_static_selectorELNS0_4arch9wavefront6targetE1EEEvSK_,"axG",@progbits,_ZN7rocprim17ROCPRIM_400000_NS6detail17trampoline_kernelINS0_14default_configENS1_36segmented_radix_sort_config_selectorIblEEZNS1_25segmented_radix_sort_implIS3_Lb1EPKbPbPKlPlN2at6native12_GLOBAL__N_18offset_tEEE10hipError_tPvRmT1_PNSt15iterator_traitsISK_E10value_typeET2_T3_PNSL_ISQ_E10value_typeET4_jRbjT5_SW_jjP12ihipStream_tbEUlT_E1_NS1_11comp_targetILNS1_3genE3ELNS1_11target_archE908ELNS1_3gpuE7ELNS1_3repE0EEENS1_59segmented_radix_sort_warp_sort_small_config_static_selectorELNS0_4arch9wavefront6targetE1EEEvSK_,comdat
.Lfunc_end1554:
	.size	_ZN7rocprim17ROCPRIM_400000_NS6detail17trampoline_kernelINS0_14default_configENS1_36segmented_radix_sort_config_selectorIblEEZNS1_25segmented_radix_sort_implIS3_Lb1EPKbPbPKlPlN2at6native12_GLOBAL__N_18offset_tEEE10hipError_tPvRmT1_PNSt15iterator_traitsISK_E10value_typeET2_T3_PNSL_ISQ_E10value_typeET4_jRbjT5_SW_jjP12ihipStream_tbEUlT_E1_NS1_11comp_targetILNS1_3genE3ELNS1_11target_archE908ELNS1_3gpuE7ELNS1_3repE0EEENS1_59segmented_radix_sort_warp_sort_small_config_static_selectorELNS0_4arch9wavefront6targetE1EEEvSK_, .Lfunc_end1554-_ZN7rocprim17ROCPRIM_400000_NS6detail17trampoline_kernelINS0_14default_configENS1_36segmented_radix_sort_config_selectorIblEEZNS1_25segmented_radix_sort_implIS3_Lb1EPKbPbPKlPlN2at6native12_GLOBAL__N_18offset_tEEE10hipError_tPvRmT1_PNSt15iterator_traitsISK_E10value_typeET2_T3_PNSL_ISQ_E10value_typeET4_jRbjT5_SW_jjP12ihipStream_tbEUlT_E1_NS1_11comp_targetILNS1_3genE3ELNS1_11target_archE908ELNS1_3gpuE7ELNS1_3repE0EEENS1_59segmented_radix_sort_warp_sort_small_config_static_selectorELNS0_4arch9wavefront6targetE1EEEvSK_
                                        ; -- End function
	.section	.AMDGPU.csdata,"",@progbits
; Kernel info:
; codeLenInByte = 0
; NumSgprs: 4
; NumVgprs: 0
; NumAgprs: 0
; TotalNumVgprs: 0
; ScratchSize: 0
; MemoryBound: 0
; FloatMode: 240
; IeeeMode: 1
; LDSByteSize: 0 bytes/workgroup (compile time only)
; SGPRBlocks: 0
; VGPRBlocks: 0
; NumSGPRsForWavesPerEU: 4
; NumVGPRsForWavesPerEU: 1
; AccumOffset: 4
; Occupancy: 8
; WaveLimiterHint : 0
; COMPUTE_PGM_RSRC2:SCRATCH_EN: 0
; COMPUTE_PGM_RSRC2:USER_SGPR: 6
; COMPUTE_PGM_RSRC2:TRAP_HANDLER: 0
; COMPUTE_PGM_RSRC2:TGID_X_EN: 1
; COMPUTE_PGM_RSRC2:TGID_Y_EN: 0
; COMPUTE_PGM_RSRC2:TGID_Z_EN: 0
; COMPUTE_PGM_RSRC2:TIDIG_COMP_CNT: 0
; COMPUTE_PGM_RSRC3_GFX90A:ACCUM_OFFSET: 0
; COMPUTE_PGM_RSRC3_GFX90A:TG_SPLIT: 0
	.section	.text._ZN7rocprim17ROCPRIM_400000_NS6detail17trampoline_kernelINS0_14default_configENS1_36segmented_radix_sort_config_selectorIblEEZNS1_25segmented_radix_sort_implIS3_Lb1EPKbPbPKlPlN2at6native12_GLOBAL__N_18offset_tEEE10hipError_tPvRmT1_PNSt15iterator_traitsISK_E10value_typeET2_T3_PNSL_ISQ_E10value_typeET4_jRbjT5_SW_jjP12ihipStream_tbEUlT_E1_NS1_11comp_targetILNS1_3genE2ELNS1_11target_archE906ELNS1_3gpuE6ELNS1_3repE0EEENS1_59segmented_radix_sort_warp_sort_small_config_static_selectorELNS0_4arch9wavefront6targetE1EEEvSK_,"axG",@progbits,_ZN7rocprim17ROCPRIM_400000_NS6detail17trampoline_kernelINS0_14default_configENS1_36segmented_radix_sort_config_selectorIblEEZNS1_25segmented_radix_sort_implIS3_Lb1EPKbPbPKlPlN2at6native12_GLOBAL__N_18offset_tEEE10hipError_tPvRmT1_PNSt15iterator_traitsISK_E10value_typeET2_T3_PNSL_ISQ_E10value_typeET4_jRbjT5_SW_jjP12ihipStream_tbEUlT_E1_NS1_11comp_targetILNS1_3genE2ELNS1_11target_archE906ELNS1_3gpuE6ELNS1_3repE0EEENS1_59segmented_radix_sort_warp_sort_small_config_static_selectorELNS0_4arch9wavefront6targetE1EEEvSK_,comdat
	.globl	_ZN7rocprim17ROCPRIM_400000_NS6detail17trampoline_kernelINS0_14default_configENS1_36segmented_radix_sort_config_selectorIblEEZNS1_25segmented_radix_sort_implIS3_Lb1EPKbPbPKlPlN2at6native12_GLOBAL__N_18offset_tEEE10hipError_tPvRmT1_PNSt15iterator_traitsISK_E10value_typeET2_T3_PNSL_ISQ_E10value_typeET4_jRbjT5_SW_jjP12ihipStream_tbEUlT_E1_NS1_11comp_targetILNS1_3genE2ELNS1_11target_archE906ELNS1_3gpuE6ELNS1_3repE0EEENS1_59segmented_radix_sort_warp_sort_small_config_static_selectorELNS0_4arch9wavefront6targetE1EEEvSK_ ; -- Begin function _ZN7rocprim17ROCPRIM_400000_NS6detail17trampoline_kernelINS0_14default_configENS1_36segmented_radix_sort_config_selectorIblEEZNS1_25segmented_radix_sort_implIS3_Lb1EPKbPbPKlPlN2at6native12_GLOBAL__N_18offset_tEEE10hipError_tPvRmT1_PNSt15iterator_traitsISK_E10value_typeET2_T3_PNSL_ISQ_E10value_typeET4_jRbjT5_SW_jjP12ihipStream_tbEUlT_E1_NS1_11comp_targetILNS1_3genE2ELNS1_11target_archE906ELNS1_3gpuE6ELNS1_3repE0EEENS1_59segmented_radix_sort_warp_sort_small_config_static_selectorELNS0_4arch9wavefront6targetE1EEEvSK_
	.p2align	8
	.type	_ZN7rocprim17ROCPRIM_400000_NS6detail17trampoline_kernelINS0_14default_configENS1_36segmented_radix_sort_config_selectorIblEEZNS1_25segmented_radix_sort_implIS3_Lb1EPKbPbPKlPlN2at6native12_GLOBAL__N_18offset_tEEE10hipError_tPvRmT1_PNSt15iterator_traitsISK_E10value_typeET2_T3_PNSL_ISQ_E10value_typeET4_jRbjT5_SW_jjP12ihipStream_tbEUlT_E1_NS1_11comp_targetILNS1_3genE2ELNS1_11target_archE906ELNS1_3gpuE6ELNS1_3repE0EEENS1_59segmented_radix_sort_warp_sort_small_config_static_selectorELNS0_4arch9wavefront6targetE1EEEvSK_,@function
_ZN7rocprim17ROCPRIM_400000_NS6detail17trampoline_kernelINS0_14default_configENS1_36segmented_radix_sort_config_selectorIblEEZNS1_25segmented_radix_sort_implIS3_Lb1EPKbPbPKlPlN2at6native12_GLOBAL__N_18offset_tEEE10hipError_tPvRmT1_PNSt15iterator_traitsISK_E10value_typeET2_T3_PNSL_ISQ_E10value_typeET4_jRbjT5_SW_jjP12ihipStream_tbEUlT_E1_NS1_11comp_targetILNS1_3genE2ELNS1_11target_archE906ELNS1_3gpuE6ELNS1_3repE0EEENS1_59segmented_radix_sort_warp_sort_small_config_static_selectorELNS0_4arch9wavefront6targetE1EEEvSK_: ; @_ZN7rocprim17ROCPRIM_400000_NS6detail17trampoline_kernelINS0_14default_configENS1_36segmented_radix_sort_config_selectorIblEEZNS1_25segmented_radix_sort_implIS3_Lb1EPKbPbPKlPlN2at6native12_GLOBAL__N_18offset_tEEE10hipError_tPvRmT1_PNSt15iterator_traitsISK_E10value_typeET2_T3_PNSL_ISQ_E10value_typeET4_jRbjT5_SW_jjP12ihipStream_tbEUlT_E1_NS1_11comp_targetILNS1_3genE2ELNS1_11target_archE906ELNS1_3gpuE6ELNS1_3repE0EEENS1_59segmented_radix_sort_warp_sort_small_config_static_selectorELNS0_4arch9wavefront6targetE1EEEvSK_
; %bb.0:
	.section	.rodata,"a",@progbits
	.p2align	6, 0x0
	.amdhsa_kernel _ZN7rocprim17ROCPRIM_400000_NS6detail17trampoline_kernelINS0_14default_configENS1_36segmented_radix_sort_config_selectorIblEEZNS1_25segmented_radix_sort_implIS3_Lb1EPKbPbPKlPlN2at6native12_GLOBAL__N_18offset_tEEE10hipError_tPvRmT1_PNSt15iterator_traitsISK_E10value_typeET2_T3_PNSL_ISQ_E10value_typeET4_jRbjT5_SW_jjP12ihipStream_tbEUlT_E1_NS1_11comp_targetILNS1_3genE2ELNS1_11target_archE906ELNS1_3gpuE6ELNS1_3repE0EEENS1_59segmented_radix_sort_warp_sort_small_config_static_selectorELNS0_4arch9wavefront6targetE1EEEvSK_
		.amdhsa_group_segment_fixed_size 0
		.amdhsa_private_segment_fixed_size 0
		.amdhsa_kernarg_size 88
		.amdhsa_user_sgpr_count 6
		.amdhsa_user_sgpr_private_segment_buffer 1
		.amdhsa_user_sgpr_dispatch_ptr 0
		.amdhsa_user_sgpr_queue_ptr 0
		.amdhsa_user_sgpr_kernarg_segment_ptr 1
		.amdhsa_user_sgpr_dispatch_id 0
		.amdhsa_user_sgpr_flat_scratch_init 0
		.amdhsa_user_sgpr_kernarg_preload_length 0
		.amdhsa_user_sgpr_kernarg_preload_offset 0
		.amdhsa_user_sgpr_private_segment_size 0
		.amdhsa_uses_dynamic_stack 0
		.amdhsa_system_sgpr_private_segment_wavefront_offset 0
		.amdhsa_system_sgpr_workgroup_id_x 1
		.amdhsa_system_sgpr_workgroup_id_y 0
		.amdhsa_system_sgpr_workgroup_id_z 0
		.amdhsa_system_sgpr_workgroup_info 0
		.amdhsa_system_vgpr_workitem_id 0
		.amdhsa_next_free_vgpr 1
		.amdhsa_next_free_sgpr 0
		.amdhsa_accum_offset 4
		.amdhsa_reserve_vcc 0
		.amdhsa_reserve_flat_scratch 0
		.amdhsa_float_round_mode_32 0
		.amdhsa_float_round_mode_16_64 0
		.amdhsa_float_denorm_mode_32 3
		.amdhsa_float_denorm_mode_16_64 3
		.amdhsa_dx10_clamp 1
		.amdhsa_ieee_mode 1
		.amdhsa_fp16_overflow 0
		.amdhsa_tg_split 0
		.amdhsa_exception_fp_ieee_invalid_op 0
		.amdhsa_exception_fp_denorm_src 0
		.amdhsa_exception_fp_ieee_div_zero 0
		.amdhsa_exception_fp_ieee_overflow 0
		.amdhsa_exception_fp_ieee_underflow 0
		.amdhsa_exception_fp_ieee_inexact 0
		.amdhsa_exception_int_div_zero 0
	.end_amdhsa_kernel
	.section	.text._ZN7rocprim17ROCPRIM_400000_NS6detail17trampoline_kernelINS0_14default_configENS1_36segmented_radix_sort_config_selectorIblEEZNS1_25segmented_radix_sort_implIS3_Lb1EPKbPbPKlPlN2at6native12_GLOBAL__N_18offset_tEEE10hipError_tPvRmT1_PNSt15iterator_traitsISK_E10value_typeET2_T3_PNSL_ISQ_E10value_typeET4_jRbjT5_SW_jjP12ihipStream_tbEUlT_E1_NS1_11comp_targetILNS1_3genE2ELNS1_11target_archE906ELNS1_3gpuE6ELNS1_3repE0EEENS1_59segmented_radix_sort_warp_sort_small_config_static_selectorELNS0_4arch9wavefront6targetE1EEEvSK_,"axG",@progbits,_ZN7rocprim17ROCPRIM_400000_NS6detail17trampoline_kernelINS0_14default_configENS1_36segmented_radix_sort_config_selectorIblEEZNS1_25segmented_radix_sort_implIS3_Lb1EPKbPbPKlPlN2at6native12_GLOBAL__N_18offset_tEEE10hipError_tPvRmT1_PNSt15iterator_traitsISK_E10value_typeET2_T3_PNSL_ISQ_E10value_typeET4_jRbjT5_SW_jjP12ihipStream_tbEUlT_E1_NS1_11comp_targetILNS1_3genE2ELNS1_11target_archE906ELNS1_3gpuE6ELNS1_3repE0EEENS1_59segmented_radix_sort_warp_sort_small_config_static_selectorELNS0_4arch9wavefront6targetE1EEEvSK_,comdat
.Lfunc_end1555:
	.size	_ZN7rocprim17ROCPRIM_400000_NS6detail17trampoline_kernelINS0_14default_configENS1_36segmented_radix_sort_config_selectorIblEEZNS1_25segmented_radix_sort_implIS3_Lb1EPKbPbPKlPlN2at6native12_GLOBAL__N_18offset_tEEE10hipError_tPvRmT1_PNSt15iterator_traitsISK_E10value_typeET2_T3_PNSL_ISQ_E10value_typeET4_jRbjT5_SW_jjP12ihipStream_tbEUlT_E1_NS1_11comp_targetILNS1_3genE2ELNS1_11target_archE906ELNS1_3gpuE6ELNS1_3repE0EEENS1_59segmented_radix_sort_warp_sort_small_config_static_selectorELNS0_4arch9wavefront6targetE1EEEvSK_, .Lfunc_end1555-_ZN7rocprim17ROCPRIM_400000_NS6detail17trampoline_kernelINS0_14default_configENS1_36segmented_radix_sort_config_selectorIblEEZNS1_25segmented_radix_sort_implIS3_Lb1EPKbPbPKlPlN2at6native12_GLOBAL__N_18offset_tEEE10hipError_tPvRmT1_PNSt15iterator_traitsISK_E10value_typeET2_T3_PNSL_ISQ_E10value_typeET4_jRbjT5_SW_jjP12ihipStream_tbEUlT_E1_NS1_11comp_targetILNS1_3genE2ELNS1_11target_archE906ELNS1_3gpuE6ELNS1_3repE0EEENS1_59segmented_radix_sort_warp_sort_small_config_static_selectorELNS0_4arch9wavefront6targetE1EEEvSK_
                                        ; -- End function
	.section	.AMDGPU.csdata,"",@progbits
; Kernel info:
; codeLenInByte = 0
; NumSgprs: 4
; NumVgprs: 0
; NumAgprs: 0
; TotalNumVgprs: 0
; ScratchSize: 0
; MemoryBound: 0
; FloatMode: 240
; IeeeMode: 1
; LDSByteSize: 0 bytes/workgroup (compile time only)
; SGPRBlocks: 0
; VGPRBlocks: 0
; NumSGPRsForWavesPerEU: 4
; NumVGPRsForWavesPerEU: 1
; AccumOffset: 4
; Occupancy: 8
; WaveLimiterHint : 0
; COMPUTE_PGM_RSRC2:SCRATCH_EN: 0
; COMPUTE_PGM_RSRC2:USER_SGPR: 6
; COMPUTE_PGM_RSRC2:TRAP_HANDLER: 0
; COMPUTE_PGM_RSRC2:TGID_X_EN: 1
; COMPUTE_PGM_RSRC2:TGID_Y_EN: 0
; COMPUTE_PGM_RSRC2:TGID_Z_EN: 0
; COMPUTE_PGM_RSRC2:TIDIG_COMP_CNT: 0
; COMPUTE_PGM_RSRC3_GFX90A:ACCUM_OFFSET: 0
; COMPUTE_PGM_RSRC3_GFX90A:TG_SPLIT: 0
	.section	.text._ZN7rocprim17ROCPRIM_400000_NS6detail17trampoline_kernelINS0_14default_configENS1_36segmented_radix_sort_config_selectorIblEEZNS1_25segmented_radix_sort_implIS3_Lb1EPKbPbPKlPlN2at6native12_GLOBAL__N_18offset_tEEE10hipError_tPvRmT1_PNSt15iterator_traitsISK_E10value_typeET2_T3_PNSL_ISQ_E10value_typeET4_jRbjT5_SW_jjP12ihipStream_tbEUlT_E1_NS1_11comp_targetILNS1_3genE10ELNS1_11target_archE1201ELNS1_3gpuE5ELNS1_3repE0EEENS1_59segmented_radix_sort_warp_sort_small_config_static_selectorELNS0_4arch9wavefront6targetE1EEEvSK_,"axG",@progbits,_ZN7rocprim17ROCPRIM_400000_NS6detail17trampoline_kernelINS0_14default_configENS1_36segmented_radix_sort_config_selectorIblEEZNS1_25segmented_radix_sort_implIS3_Lb1EPKbPbPKlPlN2at6native12_GLOBAL__N_18offset_tEEE10hipError_tPvRmT1_PNSt15iterator_traitsISK_E10value_typeET2_T3_PNSL_ISQ_E10value_typeET4_jRbjT5_SW_jjP12ihipStream_tbEUlT_E1_NS1_11comp_targetILNS1_3genE10ELNS1_11target_archE1201ELNS1_3gpuE5ELNS1_3repE0EEENS1_59segmented_radix_sort_warp_sort_small_config_static_selectorELNS0_4arch9wavefront6targetE1EEEvSK_,comdat
	.globl	_ZN7rocprim17ROCPRIM_400000_NS6detail17trampoline_kernelINS0_14default_configENS1_36segmented_radix_sort_config_selectorIblEEZNS1_25segmented_radix_sort_implIS3_Lb1EPKbPbPKlPlN2at6native12_GLOBAL__N_18offset_tEEE10hipError_tPvRmT1_PNSt15iterator_traitsISK_E10value_typeET2_T3_PNSL_ISQ_E10value_typeET4_jRbjT5_SW_jjP12ihipStream_tbEUlT_E1_NS1_11comp_targetILNS1_3genE10ELNS1_11target_archE1201ELNS1_3gpuE5ELNS1_3repE0EEENS1_59segmented_radix_sort_warp_sort_small_config_static_selectorELNS0_4arch9wavefront6targetE1EEEvSK_ ; -- Begin function _ZN7rocprim17ROCPRIM_400000_NS6detail17trampoline_kernelINS0_14default_configENS1_36segmented_radix_sort_config_selectorIblEEZNS1_25segmented_radix_sort_implIS3_Lb1EPKbPbPKlPlN2at6native12_GLOBAL__N_18offset_tEEE10hipError_tPvRmT1_PNSt15iterator_traitsISK_E10value_typeET2_T3_PNSL_ISQ_E10value_typeET4_jRbjT5_SW_jjP12ihipStream_tbEUlT_E1_NS1_11comp_targetILNS1_3genE10ELNS1_11target_archE1201ELNS1_3gpuE5ELNS1_3repE0EEENS1_59segmented_radix_sort_warp_sort_small_config_static_selectorELNS0_4arch9wavefront6targetE1EEEvSK_
	.p2align	8
	.type	_ZN7rocprim17ROCPRIM_400000_NS6detail17trampoline_kernelINS0_14default_configENS1_36segmented_radix_sort_config_selectorIblEEZNS1_25segmented_radix_sort_implIS3_Lb1EPKbPbPKlPlN2at6native12_GLOBAL__N_18offset_tEEE10hipError_tPvRmT1_PNSt15iterator_traitsISK_E10value_typeET2_T3_PNSL_ISQ_E10value_typeET4_jRbjT5_SW_jjP12ihipStream_tbEUlT_E1_NS1_11comp_targetILNS1_3genE10ELNS1_11target_archE1201ELNS1_3gpuE5ELNS1_3repE0EEENS1_59segmented_radix_sort_warp_sort_small_config_static_selectorELNS0_4arch9wavefront6targetE1EEEvSK_,@function
_ZN7rocprim17ROCPRIM_400000_NS6detail17trampoline_kernelINS0_14default_configENS1_36segmented_radix_sort_config_selectorIblEEZNS1_25segmented_radix_sort_implIS3_Lb1EPKbPbPKlPlN2at6native12_GLOBAL__N_18offset_tEEE10hipError_tPvRmT1_PNSt15iterator_traitsISK_E10value_typeET2_T3_PNSL_ISQ_E10value_typeET4_jRbjT5_SW_jjP12ihipStream_tbEUlT_E1_NS1_11comp_targetILNS1_3genE10ELNS1_11target_archE1201ELNS1_3gpuE5ELNS1_3repE0EEENS1_59segmented_radix_sort_warp_sort_small_config_static_selectorELNS0_4arch9wavefront6targetE1EEEvSK_: ; @_ZN7rocprim17ROCPRIM_400000_NS6detail17trampoline_kernelINS0_14default_configENS1_36segmented_radix_sort_config_selectorIblEEZNS1_25segmented_radix_sort_implIS3_Lb1EPKbPbPKlPlN2at6native12_GLOBAL__N_18offset_tEEE10hipError_tPvRmT1_PNSt15iterator_traitsISK_E10value_typeET2_T3_PNSL_ISQ_E10value_typeET4_jRbjT5_SW_jjP12ihipStream_tbEUlT_E1_NS1_11comp_targetILNS1_3genE10ELNS1_11target_archE1201ELNS1_3gpuE5ELNS1_3repE0EEENS1_59segmented_radix_sort_warp_sort_small_config_static_selectorELNS0_4arch9wavefront6targetE1EEEvSK_
; %bb.0:
	.section	.rodata,"a",@progbits
	.p2align	6, 0x0
	.amdhsa_kernel _ZN7rocprim17ROCPRIM_400000_NS6detail17trampoline_kernelINS0_14default_configENS1_36segmented_radix_sort_config_selectorIblEEZNS1_25segmented_radix_sort_implIS3_Lb1EPKbPbPKlPlN2at6native12_GLOBAL__N_18offset_tEEE10hipError_tPvRmT1_PNSt15iterator_traitsISK_E10value_typeET2_T3_PNSL_ISQ_E10value_typeET4_jRbjT5_SW_jjP12ihipStream_tbEUlT_E1_NS1_11comp_targetILNS1_3genE10ELNS1_11target_archE1201ELNS1_3gpuE5ELNS1_3repE0EEENS1_59segmented_radix_sort_warp_sort_small_config_static_selectorELNS0_4arch9wavefront6targetE1EEEvSK_
		.amdhsa_group_segment_fixed_size 0
		.amdhsa_private_segment_fixed_size 0
		.amdhsa_kernarg_size 88
		.amdhsa_user_sgpr_count 6
		.amdhsa_user_sgpr_private_segment_buffer 1
		.amdhsa_user_sgpr_dispatch_ptr 0
		.amdhsa_user_sgpr_queue_ptr 0
		.amdhsa_user_sgpr_kernarg_segment_ptr 1
		.amdhsa_user_sgpr_dispatch_id 0
		.amdhsa_user_sgpr_flat_scratch_init 0
		.amdhsa_user_sgpr_kernarg_preload_length 0
		.amdhsa_user_sgpr_kernarg_preload_offset 0
		.amdhsa_user_sgpr_private_segment_size 0
		.amdhsa_uses_dynamic_stack 0
		.amdhsa_system_sgpr_private_segment_wavefront_offset 0
		.amdhsa_system_sgpr_workgroup_id_x 1
		.amdhsa_system_sgpr_workgroup_id_y 0
		.amdhsa_system_sgpr_workgroup_id_z 0
		.amdhsa_system_sgpr_workgroup_info 0
		.amdhsa_system_vgpr_workitem_id 0
		.amdhsa_next_free_vgpr 1
		.amdhsa_next_free_sgpr 0
		.amdhsa_accum_offset 4
		.amdhsa_reserve_vcc 0
		.amdhsa_reserve_flat_scratch 0
		.amdhsa_float_round_mode_32 0
		.amdhsa_float_round_mode_16_64 0
		.amdhsa_float_denorm_mode_32 3
		.amdhsa_float_denorm_mode_16_64 3
		.amdhsa_dx10_clamp 1
		.amdhsa_ieee_mode 1
		.amdhsa_fp16_overflow 0
		.amdhsa_tg_split 0
		.amdhsa_exception_fp_ieee_invalid_op 0
		.amdhsa_exception_fp_denorm_src 0
		.amdhsa_exception_fp_ieee_div_zero 0
		.amdhsa_exception_fp_ieee_overflow 0
		.amdhsa_exception_fp_ieee_underflow 0
		.amdhsa_exception_fp_ieee_inexact 0
		.amdhsa_exception_int_div_zero 0
	.end_amdhsa_kernel
	.section	.text._ZN7rocprim17ROCPRIM_400000_NS6detail17trampoline_kernelINS0_14default_configENS1_36segmented_radix_sort_config_selectorIblEEZNS1_25segmented_radix_sort_implIS3_Lb1EPKbPbPKlPlN2at6native12_GLOBAL__N_18offset_tEEE10hipError_tPvRmT1_PNSt15iterator_traitsISK_E10value_typeET2_T3_PNSL_ISQ_E10value_typeET4_jRbjT5_SW_jjP12ihipStream_tbEUlT_E1_NS1_11comp_targetILNS1_3genE10ELNS1_11target_archE1201ELNS1_3gpuE5ELNS1_3repE0EEENS1_59segmented_radix_sort_warp_sort_small_config_static_selectorELNS0_4arch9wavefront6targetE1EEEvSK_,"axG",@progbits,_ZN7rocprim17ROCPRIM_400000_NS6detail17trampoline_kernelINS0_14default_configENS1_36segmented_radix_sort_config_selectorIblEEZNS1_25segmented_radix_sort_implIS3_Lb1EPKbPbPKlPlN2at6native12_GLOBAL__N_18offset_tEEE10hipError_tPvRmT1_PNSt15iterator_traitsISK_E10value_typeET2_T3_PNSL_ISQ_E10value_typeET4_jRbjT5_SW_jjP12ihipStream_tbEUlT_E1_NS1_11comp_targetILNS1_3genE10ELNS1_11target_archE1201ELNS1_3gpuE5ELNS1_3repE0EEENS1_59segmented_radix_sort_warp_sort_small_config_static_selectorELNS0_4arch9wavefront6targetE1EEEvSK_,comdat
.Lfunc_end1556:
	.size	_ZN7rocprim17ROCPRIM_400000_NS6detail17trampoline_kernelINS0_14default_configENS1_36segmented_radix_sort_config_selectorIblEEZNS1_25segmented_radix_sort_implIS3_Lb1EPKbPbPKlPlN2at6native12_GLOBAL__N_18offset_tEEE10hipError_tPvRmT1_PNSt15iterator_traitsISK_E10value_typeET2_T3_PNSL_ISQ_E10value_typeET4_jRbjT5_SW_jjP12ihipStream_tbEUlT_E1_NS1_11comp_targetILNS1_3genE10ELNS1_11target_archE1201ELNS1_3gpuE5ELNS1_3repE0EEENS1_59segmented_radix_sort_warp_sort_small_config_static_selectorELNS0_4arch9wavefront6targetE1EEEvSK_, .Lfunc_end1556-_ZN7rocprim17ROCPRIM_400000_NS6detail17trampoline_kernelINS0_14default_configENS1_36segmented_radix_sort_config_selectorIblEEZNS1_25segmented_radix_sort_implIS3_Lb1EPKbPbPKlPlN2at6native12_GLOBAL__N_18offset_tEEE10hipError_tPvRmT1_PNSt15iterator_traitsISK_E10value_typeET2_T3_PNSL_ISQ_E10value_typeET4_jRbjT5_SW_jjP12ihipStream_tbEUlT_E1_NS1_11comp_targetILNS1_3genE10ELNS1_11target_archE1201ELNS1_3gpuE5ELNS1_3repE0EEENS1_59segmented_radix_sort_warp_sort_small_config_static_selectorELNS0_4arch9wavefront6targetE1EEEvSK_
                                        ; -- End function
	.section	.AMDGPU.csdata,"",@progbits
; Kernel info:
; codeLenInByte = 0
; NumSgprs: 4
; NumVgprs: 0
; NumAgprs: 0
; TotalNumVgprs: 0
; ScratchSize: 0
; MemoryBound: 0
; FloatMode: 240
; IeeeMode: 1
; LDSByteSize: 0 bytes/workgroup (compile time only)
; SGPRBlocks: 0
; VGPRBlocks: 0
; NumSGPRsForWavesPerEU: 4
; NumVGPRsForWavesPerEU: 1
; AccumOffset: 4
; Occupancy: 8
; WaveLimiterHint : 0
; COMPUTE_PGM_RSRC2:SCRATCH_EN: 0
; COMPUTE_PGM_RSRC2:USER_SGPR: 6
; COMPUTE_PGM_RSRC2:TRAP_HANDLER: 0
; COMPUTE_PGM_RSRC2:TGID_X_EN: 1
; COMPUTE_PGM_RSRC2:TGID_Y_EN: 0
; COMPUTE_PGM_RSRC2:TGID_Z_EN: 0
; COMPUTE_PGM_RSRC2:TIDIG_COMP_CNT: 0
; COMPUTE_PGM_RSRC3_GFX90A:ACCUM_OFFSET: 0
; COMPUTE_PGM_RSRC3_GFX90A:TG_SPLIT: 0
	.section	.text._ZN7rocprim17ROCPRIM_400000_NS6detail17trampoline_kernelINS0_14default_configENS1_36segmented_radix_sort_config_selectorIblEEZNS1_25segmented_radix_sort_implIS3_Lb1EPKbPbPKlPlN2at6native12_GLOBAL__N_18offset_tEEE10hipError_tPvRmT1_PNSt15iterator_traitsISK_E10value_typeET2_T3_PNSL_ISQ_E10value_typeET4_jRbjT5_SW_jjP12ihipStream_tbEUlT_E1_NS1_11comp_targetILNS1_3genE10ELNS1_11target_archE1200ELNS1_3gpuE4ELNS1_3repE0EEENS1_59segmented_radix_sort_warp_sort_small_config_static_selectorELNS0_4arch9wavefront6targetE1EEEvSK_,"axG",@progbits,_ZN7rocprim17ROCPRIM_400000_NS6detail17trampoline_kernelINS0_14default_configENS1_36segmented_radix_sort_config_selectorIblEEZNS1_25segmented_radix_sort_implIS3_Lb1EPKbPbPKlPlN2at6native12_GLOBAL__N_18offset_tEEE10hipError_tPvRmT1_PNSt15iterator_traitsISK_E10value_typeET2_T3_PNSL_ISQ_E10value_typeET4_jRbjT5_SW_jjP12ihipStream_tbEUlT_E1_NS1_11comp_targetILNS1_3genE10ELNS1_11target_archE1200ELNS1_3gpuE4ELNS1_3repE0EEENS1_59segmented_radix_sort_warp_sort_small_config_static_selectorELNS0_4arch9wavefront6targetE1EEEvSK_,comdat
	.globl	_ZN7rocprim17ROCPRIM_400000_NS6detail17trampoline_kernelINS0_14default_configENS1_36segmented_radix_sort_config_selectorIblEEZNS1_25segmented_radix_sort_implIS3_Lb1EPKbPbPKlPlN2at6native12_GLOBAL__N_18offset_tEEE10hipError_tPvRmT1_PNSt15iterator_traitsISK_E10value_typeET2_T3_PNSL_ISQ_E10value_typeET4_jRbjT5_SW_jjP12ihipStream_tbEUlT_E1_NS1_11comp_targetILNS1_3genE10ELNS1_11target_archE1200ELNS1_3gpuE4ELNS1_3repE0EEENS1_59segmented_radix_sort_warp_sort_small_config_static_selectorELNS0_4arch9wavefront6targetE1EEEvSK_ ; -- Begin function _ZN7rocprim17ROCPRIM_400000_NS6detail17trampoline_kernelINS0_14default_configENS1_36segmented_radix_sort_config_selectorIblEEZNS1_25segmented_radix_sort_implIS3_Lb1EPKbPbPKlPlN2at6native12_GLOBAL__N_18offset_tEEE10hipError_tPvRmT1_PNSt15iterator_traitsISK_E10value_typeET2_T3_PNSL_ISQ_E10value_typeET4_jRbjT5_SW_jjP12ihipStream_tbEUlT_E1_NS1_11comp_targetILNS1_3genE10ELNS1_11target_archE1200ELNS1_3gpuE4ELNS1_3repE0EEENS1_59segmented_radix_sort_warp_sort_small_config_static_selectorELNS0_4arch9wavefront6targetE1EEEvSK_
	.p2align	8
	.type	_ZN7rocprim17ROCPRIM_400000_NS6detail17trampoline_kernelINS0_14default_configENS1_36segmented_radix_sort_config_selectorIblEEZNS1_25segmented_radix_sort_implIS3_Lb1EPKbPbPKlPlN2at6native12_GLOBAL__N_18offset_tEEE10hipError_tPvRmT1_PNSt15iterator_traitsISK_E10value_typeET2_T3_PNSL_ISQ_E10value_typeET4_jRbjT5_SW_jjP12ihipStream_tbEUlT_E1_NS1_11comp_targetILNS1_3genE10ELNS1_11target_archE1200ELNS1_3gpuE4ELNS1_3repE0EEENS1_59segmented_radix_sort_warp_sort_small_config_static_selectorELNS0_4arch9wavefront6targetE1EEEvSK_,@function
_ZN7rocprim17ROCPRIM_400000_NS6detail17trampoline_kernelINS0_14default_configENS1_36segmented_radix_sort_config_selectorIblEEZNS1_25segmented_radix_sort_implIS3_Lb1EPKbPbPKlPlN2at6native12_GLOBAL__N_18offset_tEEE10hipError_tPvRmT1_PNSt15iterator_traitsISK_E10value_typeET2_T3_PNSL_ISQ_E10value_typeET4_jRbjT5_SW_jjP12ihipStream_tbEUlT_E1_NS1_11comp_targetILNS1_3genE10ELNS1_11target_archE1200ELNS1_3gpuE4ELNS1_3repE0EEENS1_59segmented_radix_sort_warp_sort_small_config_static_selectorELNS0_4arch9wavefront6targetE1EEEvSK_: ; @_ZN7rocprim17ROCPRIM_400000_NS6detail17trampoline_kernelINS0_14default_configENS1_36segmented_radix_sort_config_selectorIblEEZNS1_25segmented_radix_sort_implIS3_Lb1EPKbPbPKlPlN2at6native12_GLOBAL__N_18offset_tEEE10hipError_tPvRmT1_PNSt15iterator_traitsISK_E10value_typeET2_T3_PNSL_ISQ_E10value_typeET4_jRbjT5_SW_jjP12ihipStream_tbEUlT_E1_NS1_11comp_targetILNS1_3genE10ELNS1_11target_archE1200ELNS1_3gpuE4ELNS1_3repE0EEENS1_59segmented_radix_sort_warp_sort_small_config_static_selectorELNS0_4arch9wavefront6targetE1EEEvSK_
; %bb.0:
	.section	.rodata,"a",@progbits
	.p2align	6, 0x0
	.amdhsa_kernel _ZN7rocprim17ROCPRIM_400000_NS6detail17trampoline_kernelINS0_14default_configENS1_36segmented_radix_sort_config_selectorIblEEZNS1_25segmented_radix_sort_implIS3_Lb1EPKbPbPKlPlN2at6native12_GLOBAL__N_18offset_tEEE10hipError_tPvRmT1_PNSt15iterator_traitsISK_E10value_typeET2_T3_PNSL_ISQ_E10value_typeET4_jRbjT5_SW_jjP12ihipStream_tbEUlT_E1_NS1_11comp_targetILNS1_3genE10ELNS1_11target_archE1200ELNS1_3gpuE4ELNS1_3repE0EEENS1_59segmented_radix_sort_warp_sort_small_config_static_selectorELNS0_4arch9wavefront6targetE1EEEvSK_
		.amdhsa_group_segment_fixed_size 0
		.amdhsa_private_segment_fixed_size 0
		.amdhsa_kernarg_size 88
		.amdhsa_user_sgpr_count 6
		.amdhsa_user_sgpr_private_segment_buffer 1
		.amdhsa_user_sgpr_dispatch_ptr 0
		.amdhsa_user_sgpr_queue_ptr 0
		.amdhsa_user_sgpr_kernarg_segment_ptr 1
		.amdhsa_user_sgpr_dispatch_id 0
		.amdhsa_user_sgpr_flat_scratch_init 0
		.amdhsa_user_sgpr_kernarg_preload_length 0
		.amdhsa_user_sgpr_kernarg_preload_offset 0
		.amdhsa_user_sgpr_private_segment_size 0
		.amdhsa_uses_dynamic_stack 0
		.amdhsa_system_sgpr_private_segment_wavefront_offset 0
		.amdhsa_system_sgpr_workgroup_id_x 1
		.amdhsa_system_sgpr_workgroup_id_y 0
		.amdhsa_system_sgpr_workgroup_id_z 0
		.amdhsa_system_sgpr_workgroup_info 0
		.amdhsa_system_vgpr_workitem_id 0
		.amdhsa_next_free_vgpr 1
		.amdhsa_next_free_sgpr 0
		.amdhsa_accum_offset 4
		.amdhsa_reserve_vcc 0
		.amdhsa_reserve_flat_scratch 0
		.amdhsa_float_round_mode_32 0
		.amdhsa_float_round_mode_16_64 0
		.amdhsa_float_denorm_mode_32 3
		.amdhsa_float_denorm_mode_16_64 3
		.amdhsa_dx10_clamp 1
		.amdhsa_ieee_mode 1
		.amdhsa_fp16_overflow 0
		.amdhsa_tg_split 0
		.amdhsa_exception_fp_ieee_invalid_op 0
		.amdhsa_exception_fp_denorm_src 0
		.amdhsa_exception_fp_ieee_div_zero 0
		.amdhsa_exception_fp_ieee_overflow 0
		.amdhsa_exception_fp_ieee_underflow 0
		.amdhsa_exception_fp_ieee_inexact 0
		.amdhsa_exception_int_div_zero 0
	.end_amdhsa_kernel
	.section	.text._ZN7rocprim17ROCPRIM_400000_NS6detail17trampoline_kernelINS0_14default_configENS1_36segmented_radix_sort_config_selectorIblEEZNS1_25segmented_radix_sort_implIS3_Lb1EPKbPbPKlPlN2at6native12_GLOBAL__N_18offset_tEEE10hipError_tPvRmT1_PNSt15iterator_traitsISK_E10value_typeET2_T3_PNSL_ISQ_E10value_typeET4_jRbjT5_SW_jjP12ihipStream_tbEUlT_E1_NS1_11comp_targetILNS1_3genE10ELNS1_11target_archE1200ELNS1_3gpuE4ELNS1_3repE0EEENS1_59segmented_radix_sort_warp_sort_small_config_static_selectorELNS0_4arch9wavefront6targetE1EEEvSK_,"axG",@progbits,_ZN7rocprim17ROCPRIM_400000_NS6detail17trampoline_kernelINS0_14default_configENS1_36segmented_radix_sort_config_selectorIblEEZNS1_25segmented_radix_sort_implIS3_Lb1EPKbPbPKlPlN2at6native12_GLOBAL__N_18offset_tEEE10hipError_tPvRmT1_PNSt15iterator_traitsISK_E10value_typeET2_T3_PNSL_ISQ_E10value_typeET4_jRbjT5_SW_jjP12ihipStream_tbEUlT_E1_NS1_11comp_targetILNS1_3genE10ELNS1_11target_archE1200ELNS1_3gpuE4ELNS1_3repE0EEENS1_59segmented_radix_sort_warp_sort_small_config_static_selectorELNS0_4arch9wavefront6targetE1EEEvSK_,comdat
.Lfunc_end1557:
	.size	_ZN7rocprim17ROCPRIM_400000_NS6detail17trampoline_kernelINS0_14default_configENS1_36segmented_radix_sort_config_selectorIblEEZNS1_25segmented_radix_sort_implIS3_Lb1EPKbPbPKlPlN2at6native12_GLOBAL__N_18offset_tEEE10hipError_tPvRmT1_PNSt15iterator_traitsISK_E10value_typeET2_T3_PNSL_ISQ_E10value_typeET4_jRbjT5_SW_jjP12ihipStream_tbEUlT_E1_NS1_11comp_targetILNS1_3genE10ELNS1_11target_archE1200ELNS1_3gpuE4ELNS1_3repE0EEENS1_59segmented_radix_sort_warp_sort_small_config_static_selectorELNS0_4arch9wavefront6targetE1EEEvSK_, .Lfunc_end1557-_ZN7rocprim17ROCPRIM_400000_NS6detail17trampoline_kernelINS0_14default_configENS1_36segmented_radix_sort_config_selectorIblEEZNS1_25segmented_radix_sort_implIS3_Lb1EPKbPbPKlPlN2at6native12_GLOBAL__N_18offset_tEEE10hipError_tPvRmT1_PNSt15iterator_traitsISK_E10value_typeET2_T3_PNSL_ISQ_E10value_typeET4_jRbjT5_SW_jjP12ihipStream_tbEUlT_E1_NS1_11comp_targetILNS1_3genE10ELNS1_11target_archE1200ELNS1_3gpuE4ELNS1_3repE0EEENS1_59segmented_radix_sort_warp_sort_small_config_static_selectorELNS0_4arch9wavefront6targetE1EEEvSK_
                                        ; -- End function
	.section	.AMDGPU.csdata,"",@progbits
; Kernel info:
; codeLenInByte = 0
; NumSgprs: 4
; NumVgprs: 0
; NumAgprs: 0
; TotalNumVgprs: 0
; ScratchSize: 0
; MemoryBound: 0
; FloatMode: 240
; IeeeMode: 1
; LDSByteSize: 0 bytes/workgroup (compile time only)
; SGPRBlocks: 0
; VGPRBlocks: 0
; NumSGPRsForWavesPerEU: 4
; NumVGPRsForWavesPerEU: 1
; AccumOffset: 4
; Occupancy: 8
; WaveLimiterHint : 0
; COMPUTE_PGM_RSRC2:SCRATCH_EN: 0
; COMPUTE_PGM_RSRC2:USER_SGPR: 6
; COMPUTE_PGM_RSRC2:TRAP_HANDLER: 0
; COMPUTE_PGM_RSRC2:TGID_X_EN: 1
; COMPUTE_PGM_RSRC2:TGID_Y_EN: 0
; COMPUTE_PGM_RSRC2:TGID_Z_EN: 0
; COMPUTE_PGM_RSRC2:TIDIG_COMP_CNT: 0
; COMPUTE_PGM_RSRC3_GFX90A:ACCUM_OFFSET: 0
; COMPUTE_PGM_RSRC3_GFX90A:TG_SPLIT: 0
	.section	.text._ZN7rocprim17ROCPRIM_400000_NS6detail17trampoline_kernelINS0_14default_configENS1_36segmented_radix_sort_config_selectorIblEEZNS1_25segmented_radix_sort_implIS3_Lb1EPKbPbPKlPlN2at6native12_GLOBAL__N_18offset_tEEE10hipError_tPvRmT1_PNSt15iterator_traitsISK_E10value_typeET2_T3_PNSL_ISQ_E10value_typeET4_jRbjT5_SW_jjP12ihipStream_tbEUlT_E1_NS1_11comp_targetILNS1_3genE9ELNS1_11target_archE1100ELNS1_3gpuE3ELNS1_3repE0EEENS1_59segmented_radix_sort_warp_sort_small_config_static_selectorELNS0_4arch9wavefront6targetE1EEEvSK_,"axG",@progbits,_ZN7rocprim17ROCPRIM_400000_NS6detail17trampoline_kernelINS0_14default_configENS1_36segmented_radix_sort_config_selectorIblEEZNS1_25segmented_radix_sort_implIS3_Lb1EPKbPbPKlPlN2at6native12_GLOBAL__N_18offset_tEEE10hipError_tPvRmT1_PNSt15iterator_traitsISK_E10value_typeET2_T3_PNSL_ISQ_E10value_typeET4_jRbjT5_SW_jjP12ihipStream_tbEUlT_E1_NS1_11comp_targetILNS1_3genE9ELNS1_11target_archE1100ELNS1_3gpuE3ELNS1_3repE0EEENS1_59segmented_radix_sort_warp_sort_small_config_static_selectorELNS0_4arch9wavefront6targetE1EEEvSK_,comdat
	.globl	_ZN7rocprim17ROCPRIM_400000_NS6detail17trampoline_kernelINS0_14default_configENS1_36segmented_radix_sort_config_selectorIblEEZNS1_25segmented_radix_sort_implIS3_Lb1EPKbPbPKlPlN2at6native12_GLOBAL__N_18offset_tEEE10hipError_tPvRmT1_PNSt15iterator_traitsISK_E10value_typeET2_T3_PNSL_ISQ_E10value_typeET4_jRbjT5_SW_jjP12ihipStream_tbEUlT_E1_NS1_11comp_targetILNS1_3genE9ELNS1_11target_archE1100ELNS1_3gpuE3ELNS1_3repE0EEENS1_59segmented_radix_sort_warp_sort_small_config_static_selectorELNS0_4arch9wavefront6targetE1EEEvSK_ ; -- Begin function _ZN7rocprim17ROCPRIM_400000_NS6detail17trampoline_kernelINS0_14default_configENS1_36segmented_radix_sort_config_selectorIblEEZNS1_25segmented_radix_sort_implIS3_Lb1EPKbPbPKlPlN2at6native12_GLOBAL__N_18offset_tEEE10hipError_tPvRmT1_PNSt15iterator_traitsISK_E10value_typeET2_T3_PNSL_ISQ_E10value_typeET4_jRbjT5_SW_jjP12ihipStream_tbEUlT_E1_NS1_11comp_targetILNS1_3genE9ELNS1_11target_archE1100ELNS1_3gpuE3ELNS1_3repE0EEENS1_59segmented_radix_sort_warp_sort_small_config_static_selectorELNS0_4arch9wavefront6targetE1EEEvSK_
	.p2align	8
	.type	_ZN7rocprim17ROCPRIM_400000_NS6detail17trampoline_kernelINS0_14default_configENS1_36segmented_radix_sort_config_selectorIblEEZNS1_25segmented_radix_sort_implIS3_Lb1EPKbPbPKlPlN2at6native12_GLOBAL__N_18offset_tEEE10hipError_tPvRmT1_PNSt15iterator_traitsISK_E10value_typeET2_T3_PNSL_ISQ_E10value_typeET4_jRbjT5_SW_jjP12ihipStream_tbEUlT_E1_NS1_11comp_targetILNS1_3genE9ELNS1_11target_archE1100ELNS1_3gpuE3ELNS1_3repE0EEENS1_59segmented_radix_sort_warp_sort_small_config_static_selectorELNS0_4arch9wavefront6targetE1EEEvSK_,@function
_ZN7rocprim17ROCPRIM_400000_NS6detail17trampoline_kernelINS0_14default_configENS1_36segmented_radix_sort_config_selectorIblEEZNS1_25segmented_radix_sort_implIS3_Lb1EPKbPbPKlPlN2at6native12_GLOBAL__N_18offset_tEEE10hipError_tPvRmT1_PNSt15iterator_traitsISK_E10value_typeET2_T3_PNSL_ISQ_E10value_typeET4_jRbjT5_SW_jjP12ihipStream_tbEUlT_E1_NS1_11comp_targetILNS1_3genE9ELNS1_11target_archE1100ELNS1_3gpuE3ELNS1_3repE0EEENS1_59segmented_radix_sort_warp_sort_small_config_static_selectorELNS0_4arch9wavefront6targetE1EEEvSK_: ; @_ZN7rocprim17ROCPRIM_400000_NS6detail17trampoline_kernelINS0_14default_configENS1_36segmented_radix_sort_config_selectorIblEEZNS1_25segmented_radix_sort_implIS3_Lb1EPKbPbPKlPlN2at6native12_GLOBAL__N_18offset_tEEE10hipError_tPvRmT1_PNSt15iterator_traitsISK_E10value_typeET2_T3_PNSL_ISQ_E10value_typeET4_jRbjT5_SW_jjP12ihipStream_tbEUlT_E1_NS1_11comp_targetILNS1_3genE9ELNS1_11target_archE1100ELNS1_3gpuE3ELNS1_3repE0EEENS1_59segmented_radix_sort_warp_sort_small_config_static_selectorELNS0_4arch9wavefront6targetE1EEEvSK_
; %bb.0:
	.section	.rodata,"a",@progbits
	.p2align	6, 0x0
	.amdhsa_kernel _ZN7rocprim17ROCPRIM_400000_NS6detail17trampoline_kernelINS0_14default_configENS1_36segmented_radix_sort_config_selectorIblEEZNS1_25segmented_radix_sort_implIS3_Lb1EPKbPbPKlPlN2at6native12_GLOBAL__N_18offset_tEEE10hipError_tPvRmT1_PNSt15iterator_traitsISK_E10value_typeET2_T3_PNSL_ISQ_E10value_typeET4_jRbjT5_SW_jjP12ihipStream_tbEUlT_E1_NS1_11comp_targetILNS1_3genE9ELNS1_11target_archE1100ELNS1_3gpuE3ELNS1_3repE0EEENS1_59segmented_radix_sort_warp_sort_small_config_static_selectorELNS0_4arch9wavefront6targetE1EEEvSK_
		.amdhsa_group_segment_fixed_size 0
		.amdhsa_private_segment_fixed_size 0
		.amdhsa_kernarg_size 88
		.amdhsa_user_sgpr_count 6
		.amdhsa_user_sgpr_private_segment_buffer 1
		.amdhsa_user_sgpr_dispatch_ptr 0
		.amdhsa_user_sgpr_queue_ptr 0
		.amdhsa_user_sgpr_kernarg_segment_ptr 1
		.amdhsa_user_sgpr_dispatch_id 0
		.amdhsa_user_sgpr_flat_scratch_init 0
		.amdhsa_user_sgpr_kernarg_preload_length 0
		.amdhsa_user_sgpr_kernarg_preload_offset 0
		.amdhsa_user_sgpr_private_segment_size 0
		.amdhsa_uses_dynamic_stack 0
		.amdhsa_system_sgpr_private_segment_wavefront_offset 0
		.amdhsa_system_sgpr_workgroup_id_x 1
		.amdhsa_system_sgpr_workgroup_id_y 0
		.amdhsa_system_sgpr_workgroup_id_z 0
		.amdhsa_system_sgpr_workgroup_info 0
		.amdhsa_system_vgpr_workitem_id 0
		.amdhsa_next_free_vgpr 1
		.amdhsa_next_free_sgpr 0
		.amdhsa_accum_offset 4
		.amdhsa_reserve_vcc 0
		.amdhsa_reserve_flat_scratch 0
		.amdhsa_float_round_mode_32 0
		.amdhsa_float_round_mode_16_64 0
		.amdhsa_float_denorm_mode_32 3
		.amdhsa_float_denorm_mode_16_64 3
		.amdhsa_dx10_clamp 1
		.amdhsa_ieee_mode 1
		.amdhsa_fp16_overflow 0
		.amdhsa_tg_split 0
		.amdhsa_exception_fp_ieee_invalid_op 0
		.amdhsa_exception_fp_denorm_src 0
		.amdhsa_exception_fp_ieee_div_zero 0
		.amdhsa_exception_fp_ieee_overflow 0
		.amdhsa_exception_fp_ieee_underflow 0
		.amdhsa_exception_fp_ieee_inexact 0
		.amdhsa_exception_int_div_zero 0
	.end_amdhsa_kernel
	.section	.text._ZN7rocprim17ROCPRIM_400000_NS6detail17trampoline_kernelINS0_14default_configENS1_36segmented_radix_sort_config_selectorIblEEZNS1_25segmented_radix_sort_implIS3_Lb1EPKbPbPKlPlN2at6native12_GLOBAL__N_18offset_tEEE10hipError_tPvRmT1_PNSt15iterator_traitsISK_E10value_typeET2_T3_PNSL_ISQ_E10value_typeET4_jRbjT5_SW_jjP12ihipStream_tbEUlT_E1_NS1_11comp_targetILNS1_3genE9ELNS1_11target_archE1100ELNS1_3gpuE3ELNS1_3repE0EEENS1_59segmented_radix_sort_warp_sort_small_config_static_selectorELNS0_4arch9wavefront6targetE1EEEvSK_,"axG",@progbits,_ZN7rocprim17ROCPRIM_400000_NS6detail17trampoline_kernelINS0_14default_configENS1_36segmented_radix_sort_config_selectorIblEEZNS1_25segmented_radix_sort_implIS3_Lb1EPKbPbPKlPlN2at6native12_GLOBAL__N_18offset_tEEE10hipError_tPvRmT1_PNSt15iterator_traitsISK_E10value_typeET2_T3_PNSL_ISQ_E10value_typeET4_jRbjT5_SW_jjP12ihipStream_tbEUlT_E1_NS1_11comp_targetILNS1_3genE9ELNS1_11target_archE1100ELNS1_3gpuE3ELNS1_3repE0EEENS1_59segmented_radix_sort_warp_sort_small_config_static_selectorELNS0_4arch9wavefront6targetE1EEEvSK_,comdat
.Lfunc_end1558:
	.size	_ZN7rocprim17ROCPRIM_400000_NS6detail17trampoline_kernelINS0_14default_configENS1_36segmented_radix_sort_config_selectorIblEEZNS1_25segmented_radix_sort_implIS3_Lb1EPKbPbPKlPlN2at6native12_GLOBAL__N_18offset_tEEE10hipError_tPvRmT1_PNSt15iterator_traitsISK_E10value_typeET2_T3_PNSL_ISQ_E10value_typeET4_jRbjT5_SW_jjP12ihipStream_tbEUlT_E1_NS1_11comp_targetILNS1_3genE9ELNS1_11target_archE1100ELNS1_3gpuE3ELNS1_3repE0EEENS1_59segmented_radix_sort_warp_sort_small_config_static_selectorELNS0_4arch9wavefront6targetE1EEEvSK_, .Lfunc_end1558-_ZN7rocprim17ROCPRIM_400000_NS6detail17trampoline_kernelINS0_14default_configENS1_36segmented_radix_sort_config_selectorIblEEZNS1_25segmented_radix_sort_implIS3_Lb1EPKbPbPKlPlN2at6native12_GLOBAL__N_18offset_tEEE10hipError_tPvRmT1_PNSt15iterator_traitsISK_E10value_typeET2_T3_PNSL_ISQ_E10value_typeET4_jRbjT5_SW_jjP12ihipStream_tbEUlT_E1_NS1_11comp_targetILNS1_3genE9ELNS1_11target_archE1100ELNS1_3gpuE3ELNS1_3repE0EEENS1_59segmented_radix_sort_warp_sort_small_config_static_selectorELNS0_4arch9wavefront6targetE1EEEvSK_
                                        ; -- End function
	.section	.AMDGPU.csdata,"",@progbits
; Kernel info:
; codeLenInByte = 0
; NumSgprs: 4
; NumVgprs: 0
; NumAgprs: 0
; TotalNumVgprs: 0
; ScratchSize: 0
; MemoryBound: 0
; FloatMode: 240
; IeeeMode: 1
; LDSByteSize: 0 bytes/workgroup (compile time only)
; SGPRBlocks: 0
; VGPRBlocks: 0
; NumSGPRsForWavesPerEU: 4
; NumVGPRsForWavesPerEU: 1
; AccumOffset: 4
; Occupancy: 8
; WaveLimiterHint : 0
; COMPUTE_PGM_RSRC2:SCRATCH_EN: 0
; COMPUTE_PGM_RSRC2:USER_SGPR: 6
; COMPUTE_PGM_RSRC2:TRAP_HANDLER: 0
; COMPUTE_PGM_RSRC2:TGID_X_EN: 1
; COMPUTE_PGM_RSRC2:TGID_Y_EN: 0
; COMPUTE_PGM_RSRC2:TGID_Z_EN: 0
; COMPUTE_PGM_RSRC2:TIDIG_COMP_CNT: 0
; COMPUTE_PGM_RSRC3_GFX90A:ACCUM_OFFSET: 0
; COMPUTE_PGM_RSRC3_GFX90A:TG_SPLIT: 0
	.section	.text._ZN7rocprim17ROCPRIM_400000_NS6detail17trampoline_kernelINS0_14default_configENS1_36segmented_radix_sort_config_selectorIblEEZNS1_25segmented_radix_sort_implIS3_Lb1EPKbPbPKlPlN2at6native12_GLOBAL__N_18offset_tEEE10hipError_tPvRmT1_PNSt15iterator_traitsISK_E10value_typeET2_T3_PNSL_ISQ_E10value_typeET4_jRbjT5_SW_jjP12ihipStream_tbEUlT_E1_NS1_11comp_targetILNS1_3genE8ELNS1_11target_archE1030ELNS1_3gpuE2ELNS1_3repE0EEENS1_59segmented_radix_sort_warp_sort_small_config_static_selectorELNS0_4arch9wavefront6targetE1EEEvSK_,"axG",@progbits,_ZN7rocprim17ROCPRIM_400000_NS6detail17trampoline_kernelINS0_14default_configENS1_36segmented_radix_sort_config_selectorIblEEZNS1_25segmented_radix_sort_implIS3_Lb1EPKbPbPKlPlN2at6native12_GLOBAL__N_18offset_tEEE10hipError_tPvRmT1_PNSt15iterator_traitsISK_E10value_typeET2_T3_PNSL_ISQ_E10value_typeET4_jRbjT5_SW_jjP12ihipStream_tbEUlT_E1_NS1_11comp_targetILNS1_3genE8ELNS1_11target_archE1030ELNS1_3gpuE2ELNS1_3repE0EEENS1_59segmented_radix_sort_warp_sort_small_config_static_selectorELNS0_4arch9wavefront6targetE1EEEvSK_,comdat
	.globl	_ZN7rocprim17ROCPRIM_400000_NS6detail17trampoline_kernelINS0_14default_configENS1_36segmented_radix_sort_config_selectorIblEEZNS1_25segmented_radix_sort_implIS3_Lb1EPKbPbPKlPlN2at6native12_GLOBAL__N_18offset_tEEE10hipError_tPvRmT1_PNSt15iterator_traitsISK_E10value_typeET2_T3_PNSL_ISQ_E10value_typeET4_jRbjT5_SW_jjP12ihipStream_tbEUlT_E1_NS1_11comp_targetILNS1_3genE8ELNS1_11target_archE1030ELNS1_3gpuE2ELNS1_3repE0EEENS1_59segmented_radix_sort_warp_sort_small_config_static_selectorELNS0_4arch9wavefront6targetE1EEEvSK_ ; -- Begin function _ZN7rocprim17ROCPRIM_400000_NS6detail17trampoline_kernelINS0_14default_configENS1_36segmented_radix_sort_config_selectorIblEEZNS1_25segmented_radix_sort_implIS3_Lb1EPKbPbPKlPlN2at6native12_GLOBAL__N_18offset_tEEE10hipError_tPvRmT1_PNSt15iterator_traitsISK_E10value_typeET2_T3_PNSL_ISQ_E10value_typeET4_jRbjT5_SW_jjP12ihipStream_tbEUlT_E1_NS1_11comp_targetILNS1_3genE8ELNS1_11target_archE1030ELNS1_3gpuE2ELNS1_3repE0EEENS1_59segmented_radix_sort_warp_sort_small_config_static_selectorELNS0_4arch9wavefront6targetE1EEEvSK_
	.p2align	8
	.type	_ZN7rocprim17ROCPRIM_400000_NS6detail17trampoline_kernelINS0_14default_configENS1_36segmented_radix_sort_config_selectorIblEEZNS1_25segmented_radix_sort_implIS3_Lb1EPKbPbPKlPlN2at6native12_GLOBAL__N_18offset_tEEE10hipError_tPvRmT1_PNSt15iterator_traitsISK_E10value_typeET2_T3_PNSL_ISQ_E10value_typeET4_jRbjT5_SW_jjP12ihipStream_tbEUlT_E1_NS1_11comp_targetILNS1_3genE8ELNS1_11target_archE1030ELNS1_3gpuE2ELNS1_3repE0EEENS1_59segmented_radix_sort_warp_sort_small_config_static_selectorELNS0_4arch9wavefront6targetE1EEEvSK_,@function
_ZN7rocprim17ROCPRIM_400000_NS6detail17trampoline_kernelINS0_14default_configENS1_36segmented_radix_sort_config_selectorIblEEZNS1_25segmented_radix_sort_implIS3_Lb1EPKbPbPKlPlN2at6native12_GLOBAL__N_18offset_tEEE10hipError_tPvRmT1_PNSt15iterator_traitsISK_E10value_typeET2_T3_PNSL_ISQ_E10value_typeET4_jRbjT5_SW_jjP12ihipStream_tbEUlT_E1_NS1_11comp_targetILNS1_3genE8ELNS1_11target_archE1030ELNS1_3gpuE2ELNS1_3repE0EEENS1_59segmented_radix_sort_warp_sort_small_config_static_selectorELNS0_4arch9wavefront6targetE1EEEvSK_: ; @_ZN7rocprim17ROCPRIM_400000_NS6detail17trampoline_kernelINS0_14default_configENS1_36segmented_radix_sort_config_selectorIblEEZNS1_25segmented_radix_sort_implIS3_Lb1EPKbPbPKlPlN2at6native12_GLOBAL__N_18offset_tEEE10hipError_tPvRmT1_PNSt15iterator_traitsISK_E10value_typeET2_T3_PNSL_ISQ_E10value_typeET4_jRbjT5_SW_jjP12ihipStream_tbEUlT_E1_NS1_11comp_targetILNS1_3genE8ELNS1_11target_archE1030ELNS1_3gpuE2ELNS1_3repE0EEENS1_59segmented_radix_sort_warp_sort_small_config_static_selectorELNS0_4arch9wavefront6targetE1EEEvSK_
; %bb.0:
	.section	.rodata,"a",@progbits
	.p2align	6, 0x0
	.amdhsa_kernel _ZN7rocprim17ROCPRIM_400000_NS6detail17trampoline_kernelINS0_14default_configENS1_36segmented_radix_sort_config_selectorIblEEZNS1_25segmented_radix_sort_implIS3_Lb1EPKbPbPKlPlN2at6native12_GLOBAL__N_18offset_tEEE10hipError_tPvRmT1_PNSt15iterator_traitsISK_E10value_typeET2_T3_PNSL_ISQ_E10value_typeET4_jRbjT5_SW_jjP12ihipStream_tbEUlT_E1_NS1_11comp_targetILNS1_3genE8ELNS1_11target_archE1030ELNS1_3gpuE2ELNS1_3repE0EEENS1_59segmented_radix_sort_warp_sort_small_config_static_selectorELNS0_4arch9wavefront6targetE1EEEvSK_
		.amdhsa_group_segment_fixed_size 0
		.amdhsa_private_segment_fixed_size 0
		.amdhsa_kernarg_size 88
		.amdhsa_user_sgpr_count 6
		.amdhsa_user_sgpr_private_segment_buffer 1
		.amdhsa_user_sgpr_dispatch_ptr 0
		.amdhsa_user_sgpr_queue_ptr 0
		.amdhsa_user_sgpr_kernarg_segment_ptr 1
		.amdhsa_user_sgpr_dispatch_id 0
		.amdhsa_user_sgpr_flat_scratch_init 0
		.amdhsa_user_sgpr_kernarg_preload_length 0
		.amdhsa_user_sgpr_kernarg_preload_offset 0
		.amdhsa_user_sgpr_private_segment_size 0
		.amdhsa_uses_dynamic_stack 0
		.amdhsa_system_sgpr_private_segment_wavefront_offset 0
		.amdhsa_system_sgpr_workgroup_id_x 1
		.amdhsa_system_sgpr_workgroup_id_y 0
		.amdhsa_system_sgpr_workgroup_id_z 0
		.amdhsa_system_sgpr_workgroup_info 0
		.amdhsa_system_vgpr_workitem_id 0
		.amdhsa_next_free_vgpr 1
		.amdhsa_next_free_sgpr 0
		.amdhsa_accum_offset 4
		.amdhsa_reserve_vcc 0
		.amdhsa_reserve_flat_scratch 0
		.amdhsa_float_round_mode_32 0
		.amdhsa_float_round_mode_16_64 0
		.amdhsa_float_denorm_mode_32 3
		.amdhsa_float_denorm_mode_16_64 3
		.amdhsa_dx10_clamp 1
		.amdhsa_ieee_mode 1
		.amdhsa_fp16_overflow 0
		.amdhsa_tg_split 0
		.amdhsa_exception_fp_ieee_invalid_op 0
		.amdhsa_exception_fp_denorm_src 0
		.amdhsa_exception_fp_ieee_div_zero 0
		.amdhsa_exception_fp_ieee_overflow 0
		.amdhsa_exception_fp_ieee_underflow 0
		.amdhsa_exception_fp_ieee_inexact 0
		.amdhsa_exception_int_div_zero 0
	.end_amdhsa_kernel
	.section	.text._ZN7rocprim17ROCPRIM_400000_NS6detail17trampoline_kernelINS0_14default_configENS1_36segmented_radix_sort_config_selectorIblEEZNS1_25segmented_radix_sort_implIS3_Lb1EPKbPbPKlPlN2at6native12_GLOBAL__N_18offset_tEEE10hipError_tPvRmT1_PNSt15iterator_traitsISK_E10value_typeET2_T3_PNSL_ISQ_E10value_typeET4_jRbjT5_SW_jjP12ihipStream_tbEUlT_E1_NS1_11comp_targetILNS1_3genE8ELNS1_11target_archE1030ELNS1_3gpuE2ELNS1_3repE0EEENS1_59segmented_radix_sort_warp_sort_small_config_static_selectorELNS0_4arch9wavefront6targetE1EEEvSK_,"axG",@progbits,_ZN7rocprim17ROCPRIM_400000_NS6detail17trampoline_kernelINS0_14default_configENS1_36segmented_radix_sort_config_selectorIblEEZNS1_25segmented_radix_sort_implIS3_Lb1EPKbPbPKlPlN2at6native12_GLOBAL__N_18offset_tEEE10hipError_tPvRmT1_PNSt15iterator_traitsISK_E10value_typeET2_T3_PNSL_ISQ_E10value_typeET4_jRbjT5_SW_jjP12ihipStream_tbEUlT_E1_NS1_11comp_targetILNS1_3genE8ELNS1_11target_archE1030ELNS1_3gpuE2ELNS1_3repE0EEENS1_59segmented_radix_sort_warp_sort_small_config_static_selectorELNS0_4arch9wavefront6targetE1EEEvSK_,comdat
.Lfunc_end1559:
	.size	_ZN7rocprim17ROCPRIM_400000_NS6detail17trampoline_kernelINS0_14default_configENS1_36segmented_radix_sort_config_selectorIblEEZNS1_25segmented_radix_sort_implIS3_Lb1EPKbPbPKlPlN2at6native12_GLOBAL__N_18offset_tEEE10hipError_tPvRmT1_PNSt15iterator_traitsISK_E10value_typeET2_T3_PNSL_ISQ_E10value_typeET4_jRbjT5_SW_jjP12ihipStream_tbEUlT_E1_NS1_11comp_targetILNS1_3genE8ELNS1_11target_archE1030ELNS1_3gpuE2ELNS1_3repE0EEENS1_59segmented_radix_sort_warp_sort_small_config_static_selectorELNS0_4arch9wavefront6targetE1EEEvSK_, .Lfunc_end1559-_ZN7rocprim17ROCPRIM_400000_NS6detail17trampoline_kernelINS0_14default_configENS1_36segmented_radix_sort_config_selectorIblEEZNS1_25segmented_radix_sort_implIS3_Lb1EPKbPbPKlPlN2at6native12_GLOBAL__N_18offset_tEEE10hipError_tPvRmT1_PNSt15iterator_traitsISK_E10value_typeET2_T3_PNSL_ISQ_E10value_typeET4_jRbjT5_SW_jjP12ihipStream_tbEUlT_E1_NS1_11comp_targetILNS1_3genE8ELNS1_11target_archE1030ELNS1_3gpuE2ELNS1_3repE0EEENS1_59segmented_radix_sort_warp_sort_small_config_static_selectorELNS0_4arch9wavefront6targetE1EEEvSK_
                                        ; -- End function
	.section	.AMDGPU.csdata,"",@progbits
; Kernel info:
; codeLenInByte = 0
; NumSgprs: 4
; NumVgprs: 0
; NumAgprs: 0
; TotalNumVgprs: 0
; ScratchSize: 0
; MemoryBound: 0
; FloatMode: 240
; IeeeMode: 1
; LDSByteSize: 0 bytes/workgroup (compile time only)
; SGPRBlocks: 0
; VGPRBlocks: 0
; NumSGPRsForWavesPerEU: 4
; NumVGPRsForWavesPerEU: 1
; AccumOffset: 4
; Occupancy: 8
; WaveLimiterHint : 0
; COMPUTE_PGM_RSRC2:SCRATCH_EN: 0
; COMPUTE_PGM_RSRC2:USER_SGPR: 6
; COMPUTE_PGM_RSRC2:TRAP_HANDLER: 0
; COMPUTE_PGM_RSRC2:TGID_X_EN: 1
; COMPUTE_PGM_RSRC2:TGID_Y_EN: 0
; COMPUTE_PGM_RSRC2:TGID_Z_EN: 0
; COMPUTE_PGM_RSRC2:TIDIG_COMP_CNT: 0
; COMPUTE_PGM_RSRC3_GFX90A:ACCUM_OFFSET: 0
; COMPUTE_PGM_RSRC3_GFX90A:TG_SPLIT: 0
	.section	.text._ZN7rocprim17ROCPRIM_400000_NS6detail17trampoline_kernelINS0_14default_configENS1_36segmented_radix_sort_config_selectorIblEEZNS1_25segmented_radix_sort_implIS3_Lb1EPKbPbPKlPlN2at6native12_GLOBAL__N_18offset_tEEE10hipError_tPvRmT1_PNSt15iterator_traitsISK_E10value_typeET2_T3_PNSL_ISQ_E10value_typeET4_jRbjT5_SW_jjP12ihipStream_tbEUlT_E2_NS1_11comp_targetILNS1_3genE0ELNS1_11target_archE4294967295ELNS1_3gpuE0ELNS1_3repE0EEENS1_30default_config_static_selectorELNS0_4arch9wavefront6targetE1EEEvSK_,"axG",@progbits,_ZN7rocprim17ROCPRIM_400000_NS6detail17trampoline_kernelINS0_14default_configENS1_36segmented_radix_sort_config_selectorIblEEZNS1_25segmented_radix_sort_implIS3_Lb1EPKbPbPKlPlN2at6native12_GLOBAL__N_18offset_tEEE10hipError_tPvRmT1_PNSt15iterator_traitsISK_E10value_typeET2_T3_PNSL_ISQ_E10value_typeET4_jRbjT5_SW_jjP12ihipStream_tbEUlT_E2_NS1_11comp_targetILNS1_3genE0ELNS1_11target_archE4294967295ELNS1_3gpuE0ELNS1_3repE0EEENS1_30default_config_static_selectorELNS0_4arch9wavefront6targetE1EEEvSK_,comdat
	.globl	_ZN7rocprim17ROCPRIM_400000_NS6detail17trampoline_kernelINS0_14default_configENS1_36segmented_radix_sort_config_selectorIblEEZNS1_25segmented_radix_sort_implIS3_Lb1EPKbPbPKlPlN2at6native12_GLOBAL__N_18offset_tEEE10hipError_tPvRmT1_PNSt15iterator_traitsISK_E10value_typeET2_T3_PNSL_ISQ_E10value_typeET4_jRbjT5_SW_jjP12ihipStream_tbEUlT_E2_NS1_11comp_targetILNS1_3genE0ELNS1_11target_archE4294967295ELNS1_3gpuE0ELNS1_3repE0EEENS1_30default_config_static_selectorELNS0_4arch9wavefront6targetE1EEEvSK_ ; -- Begin function _ZN7rocprim17ROCPRIM_400000_NS6detail17trampoline_kernelINS0_14default_configENS1_36segmented_radix_sort_config_selectorIblEEZNS1_25segmented_radix_sort_implIS3_Lb1EPKbPbPKlPlN2at6native12_GLOBAL__N_18offset_tEEE10hipError_tPvRmT1_PNSt15iterator_traitsISK_E10value_typeET2_T3_PNSL_ISQ_E10value_typeET4_jRbjT5_SW_jjP12ihipStream_tbEUlT_E2_NS1_11comp_targetILNS1_3genE0ELNS1_11target_archE4294967295ELNS1_3gpuE0ELNS1_3repE0EEENS1_30default_config_static_selectorELNS0_4arch9wavefront6targetE1EEEvSK_
	.p2align	8
	.type	_ZN7rocprim17ROCPRIM_400000_NS6detail17trampoline_kernelINS0_14default_configENS1_36segmented_radix_sort_config_selectorIblEEZNS1_25segmented_radix_sort_implIS3_Lb1EPKbPbPKlPlN2at6native12_GLOBAL__N_18offset_tEEE10hipError_tPvRmT1_PNSt15iterator_traitsISK_E10value_typeET2_T3_PNSL_ISQ_E10value_typeET4_jRbjT5_SW_jjP12ihipStream_tbEUlT_E2_NS1_11comp_targetILNS1_3genE0ELNS1_11target_archE4294967295ELNS1_3gpuE0ELNS1_3repE0EEENS1_30default_config_static_selectorELNS0_4arch9wavefront6targetE1EEEvSK_,@function
_ZN7rocprim17ROCPRIM_400000_NS6detail17trampoline_kernelINS0_14default_configENS1_36segmented_radix_sort_config_selectorIblEEZNS1_25segmented_radix_sort_implIS3_Lb1EPKbPbPKlPlN2at6native12_GLOBAL__N_18offset_tEEE10hipError_tPvRmT1_PNSt15iterator_traitsISK_E10value_typeET2_T3_PNSL_ISQ_E10value_typeET4_jRbjT5_SW_jjP12ihipStream_tbEUlT_E2_NS1_11comp_targetILNS1_3genE0ELNS1_11target_archE4294967295ELNS1_3gpuE0ELNS1_3repE0EEENS1_30default_config_static_selectorELNS0_4arch9wavefront6targetE1EEEvSK_: ; @_ZN7rocprim17ROCPRIM_400000_NS6detail17trampoline_kernelINS0_14default_configENS1_36segmented_radix_sort_config_selectorIblEEZNS1_25segmented_radix_sort_implIS3_Lb1EPKbPbPKlPlN2at6native12_GLOBAL__N_18offset_tEEE10hipError_tPvRmT1_PNSt15iterator_traitsISK_E10value_typeET2_T3_PNSL_ISQ_E10value_typeET4_jRbjT5_SW_jjP12ihipStream_tbEUlT_E2_NS1_11comp_targetILNS1_3genE0ELNS1_11target_archE4294967295ELNS1_3gpuE0ELNS1_3repE0EEENS1_30default_config_static_selectorELNS0_4arch9wavefront6targetE1EEEvSK_
; %bb.0:
	.section	.rodata,"a",@progbits
	.p2align	6, 0x0
	.amdhsa_kernel _ZN7rocprim17ROCPRIM_400000_NS6detail17trampoline_kernelINS0_14default_configENS1_36segmented_radix_sort_config_selectorIblEEZNS1_25segmented_radix_sort_implIS3_Lb1EPKbPbPKlPlN2at6native12_GLOBAL__N_18offset_tEEE10hipError_tPvRmT1_PNSt15iterator_traitsISK_E10value_typeET2_T3_PNSL_ISQ_E10value_typeET4_jRbjT5_SW_jjP12ihipStream_tbEUlT_E2_NS1_11comp_targetILNS1_3genE0ELNS1_11target_archE4294967295ELNS1_3gpuE0ELNS1_3repE0EEENS1_30default_config_static_selectorELNS0_4arch9wavefront6targetE1EEEvSK_
		.amdhsa_group_segment_fixed_size 0
		.amdhsa_private_segment_fixed_size 0
		.amdhsa_kernarg_size 80
		.amdhsa_user_sgpr_count 6
		.amdhsa_user_sgpr_private_segment_buffer 1
		.amdhsa_user_sgpr_dispatch_ptr 0
		.amdhsa_user_sgpr_queue_ptr 0
		.amdhsa_user_sgpr_kernarg_segment_ptr 1
		.amdhsa_user_sgpr_dispatch_id 0
		.amdhsa_user_sgpr_flat_scratch_init 0
		.amdhsa_user_sgpr_kernarg_preload_length 0
		.amdhsa_user_sgpr_kernarg_preload_offset 0
		.amdhsa_user_sgpr_private_segment_size 0
		.amdhsa_uses_dynamic_stack 0
		.amdhsa_system_sgpr_private_segment_wavefront_offset 0
		.amdhsa_system_sgpr_workgroup_id_x 1
		.amdhsa_system_sgpr_workgroup_id_y 0
		.amdhsa_system_sgpr_workgroup_id_z 0
		.amdhsa_system_sgpr_workgroup_info 0
		.amdhsa_system_vgpr_workitem_id 0
		.amdhsa_next_free_vgpr 1
		.amdhsa_next_free_sgpr 0
		.amdhsa_accum_offset 4
		.amdhsa_reserve_vcc 0
		.amdhsa_reserve_flat_scratch 0
		.amdhsa_float_round_mode_32 0
		.amdhsa_float_round_mode_16_64 0
		.amdhsa_float_denorm_mode_32 3
		.amdhsa_float_denorm_mode_16_64 3
		.amdhsa_dx10_clamp 1
		.amdhsa_ieee_mode 1
		.amdhsa_fp16_overflow 0
		.amdhsa_tg_split 0
		.amdhsa_exception_fp_ieee_invalid_op 0
		.amdhsa_exception_fp_denorm_src 0
		.amdhsa_exception_fp_ieee_div_zero 0
		.amdhsa_exception_fp_ieee_overflow 0
		.amdhsa_exception_fp_ieee_underflow 0
		.amdhsa_exception_fp_ieee_inexact 0
		.amdhsa_exception_int_div_zero 0
	.end_amdhsa_kernel
	.section	.text._ZN7rocprim17ROCPRIM_400000_NS6detail17trampoline_kernelINS0_14default_configENS1_36segmented_radix_sort_config_selectorIblEEZNS1_25segmented_radix_sort_implIS3_Lb1EPKbPbPKlPlN2at6native12_GLOBAL__N_18offset_tEEE10hipError_tPvRmT1_PNSt15iterator_traitsISK_E10value_typeET2_T3_PNSL_ISQ_E10value_typeET4_jRbjT5_SW_jjP12ihipStream_tbEUlT_E2_NS1_11comp_targetILNS1_3genE0ELNS1_11target_archE4294967295ELNS1_3gpuE0ELNS1_3repE0EEENS1_30default_config_static_selectorELNS0_4arch9wavefront6targetE1EEEvSK_,"axG",@progbits,_ZN7rocprim17ROCPRIM_400000_NS6detail17trampoline_kernelINS0_14default_configENS1_36segmented_radix_sort_config_selectorIblEEZNS1_25segmented_radix_sort_implIS3_Lb1EPKbPbPKlPlN2at6native12_GLOBAL__N_18offset_tEEE10hipError_tPvRmT1_PNSt15iterator_traitsISK_E10value_typeET2_T3_PNSL_ISQ_E10value_typeET4_jRbjT5_SW_jjP12ihipStream_tbEUlT_E2_NS1_11comp_targetILNS1_3genE0ELNS1_11target_archE4294967295ELNS1_3gpuE0ELNS1_3repE0EEENS1_30default_config_static_selectorELNS0_4arch9wavefront6targetE1EEEvSK_,comdat
.Lfunc_end1560:
	.size	_ZN7rocprim17ROCPRIM_400000_NS6detail17trampoline_kernelINS0_14default_configENS1_36segmented_radix_sort_config_selectorIblEEZNS1_25segmented_radix_sort_implIS3_Lb1EPKbPbPKlPlN2at6native12_GLOBAL__N_18offset_tEEE10hipError_tPvRmT1_PNSt15iterator_traitsISK_E10value_typeET2_T3_PNSL_ISQ_E10value_typeET4_jRbjT5_SW_jjP12ihipStream_tbEUlT_E2_NS1_11comp_targetILNS1_3genE0ELNS1_11target_archE4294967295ELNS1_3gpuE0ELNS1_3repE0EEENS1_30default_config_static_selectorELNS0_4arch9wavefront6targetE1EEEvSK_, .Lfunc_end1560-_ZN7rocprim17ROCPRIM_400000_NS6detail17trampoline_kernelINS0_14default_configENS1_36segmented_radix_sort_config_selectorIblEEZNS1_25segmented_radix_sort_implIS3_Lb1EPKbPbPKlPlN2at6native12_GLOBAL__N_18offset_tEEE10hipError_tPvRmT1_PNSt15iterator_traitsISK_E10value_typeET2_T3_PNSL_ISQ_E10value_typeET4_jRbjT5_SW_jjP12ihipStream_tbEUlT_E2_NS1_11comp_targetILNS1_3genE0ELNS1_11target_archE4294967295ELNS1_3gpuE0ELNS1_3repE0EEENS1_30default_config_static_selectorELNS0_4arch9wavefront6targetE1EEEvSK_
                                        ; -- End function
	.section	.AMDGPU.csdata,"",@progbits
; Kernel info:
; codeLenInByte = 0
; NumSgprs: 4
; NumVgprs: 0
; NumAgprs: 0
; TotalNumVgprs: 0
; ScratchSize: 0
; MemoryBound: 0
; FloatMode: 240
; IeeeMode: 1
; LDSByteSize: 0 bytes/workgroup (compile time only)
; SGPRBlocks: 0
; VGPRBlocks: 0
; NumSGPRsForWavesPerEU: 4
; NumVGPRsForWavesPerEU: 1
; AccumOffset: 4
; Occupancy: 8
; WaveLimiterHint : 0
; COMPUTE_PGM_RSRC2:SCRATCH_EN: 0
; COMPUTE_PGM_RSRC2:USER_SGPR: 6
; COMPUTE_PGM_RSRC2:TRAP_HANDLER: 0
; COMPUTE_PGM_RSRC2:TGID_X_EN: 1
; COMPUTE_PGM_RSRC2:TGID_Y_EN: 0
; COMPUTE_PGM_RSRC2:TGID_Z_EN: 0
; COMPUTE_PGM_RSRC2:TIDIG_COMP_CNT: 0
; COMPUTE_PGM_RSRC3_GFX90A:ACCUM_OFFSET: 0
; COMPUTE_PGM_RSRC3_GFX90A:TG_SPLIT: 0
	.section	.text._ZN7rocprim17ROCPRIM_400000_NS6detail17trampoline_kernelINS0_14default_configENS1_36segmented_radix_sort_config_selectorIblEEZNS1_25segmented_radix_sort_implIS3_Lb1EPKbPbPKlPlN2at6native12_GLOBAL__N_18offset_tEEE10hipError_tPvRmT1_PNSt15iterator_traitsISK_E10value_typeET2_T3_PNSL_ISQ_E10value_typeET4_jRbjT5_SW_jjP12ihipStream_tbEUlT_E2_NS1_11comp_targetILNS1_3genE5ELNS1_11target_archE942ELNS1_3gpuE9ELNS1_3repE0EEENS1_30default_config_static_selectorELNS0_4arch9wavefront6targetE1EEEvSK_,"axG",@progbits,_ZN7rocprim17ROCPRIM_400000_NS6detail17trampoline_kernelINS0_14default_configENS1_36segmented_radix_sort_config_selectorIblEEZNS1_25segmented_radix_sort_implIS3_Lb1EPKbPbPKlPlN2at6native12_GLOBAL__N_18offset_tEEE10hipError_tPvRmT1_PNSt15iterator_traitsISK_E10value_typeET2_T3_PNSL_ISQ_E10value_typeET4_jRbjT5_SW_jjP12ihipStream_tbEUlT_E2_NS1_11comp_targetILNS1_3genE5ELNS1_11target_archE942ELNS1_3gpuE9ELNS1_3repE0EEENS1_30default_config_static_selectorELNS0_4arch9wavefront6targetE1EEEvSK_,comdat
	.globl	_ZN7rocprim17ROCPRIM_400000_NS6detail17trampoline_kernelINS0_14default_configENS1_36segmented_radix_sort_config_selectorIblEEZNS1_25segmented_radix_sort_implIS3_Lb1EPKbPbPKlPlN2at6native12_GLOBAL__N_18offset_tEEE10hipError_tPvRmT1_PNSt15iterator_traitsISK_E10value_typeET2_T3_PNSL_ISQ_E10value_typeET4_jRbjT5_SW_jjP12ihipStream_tbEUlT_E2_NS1_11comp_targetILNS1_3genE5ELNS1_11target_archE942ELNS1_3gpuE9ELNS1_3repE0EEENS1_30default_config_static_selectorELNS0_4arch9wavefront6targetE1EEEvSK_ ; -- Begin function _ZN7rocprim17ROCPRIM_400000_NS6detail17trampoline_kernelINS0_14default_configENS1_36segmented_radix_sort_config_selectorIblEEZNS1_25segmented_radix_sort_implIS3_Lb1EPKbPbPKlPlN2at6native12_GLOBAL__N_18offset_tEEE10hipError_tPvRmT1_PNSt15iterator_traitsISK_E10value_typeET2_T3_PNSL_ISQ_E10value_typeET4_jRbjT5_SW_jjP12ihipStream_tbEUlT_E2_NS1_11comp_targetILNS1_3genE5ELNS1_11target_archE942ELNS1_3gpuE9ELNS1_3repE0EEENS1_30default_config_static_selectorELNS0_4arch9wavefront6targetE1EEEvSK_
	.p2align	8
	.type	_ZN7rocprim17ROCPRIM_400000_NS6detail17trampoline_kernelINS0_14default_configENS1_36segmented_radix_sort_config_selectorIblEEZNS1_25segmented_radix_sort_implIS3_Lb1EPKbPbPKlPlN2at6native12_GLOBAL__N_18offset_tEEE10hipError_tPvRmT1_PNSt15iterator_traitsISK_E10value_typeET2_T3_PNSL_ISQ_E10value_typeET4_jRbjT5_SW_jjP12ihipStream_tbEUlT_E2_NS1_11comp_targetILNS1_3genE5ELNS1_11target_archE942ELNS1_3gpuE9ELNS1_3repE0EEENS1_30default_config_static_selectorELNS0_4arch9wavefront6targetE1EEEvSK_,@function
_ZN7rocprim17ROCPRIM_400000_NS6detail17trampoline_kernelINS0_14default_configENS1_36segmented_radix_sort_config_selectorIblEEZNS1_25segmented_radix_sort_implIS3_Lb1EPKbPbPKlPlN2at6native12_GLOBAL__N_18offset_tEEE10hipError_tPvRmT1_PNSt15iterator_traitsISK_E10value_typeET2_T3_PNSL_ISQ_E10value_typeET4_jRbjT5_SW_jjP12ihipStream_tbEUlT_E2_NS1_11comp_targetILNS1_3genE5ELNS1_11target_archE942ELNS1_3gpuE9ELNS1_3repE0EEENS1_30default_config_static_selectorELNS0_4arch9wavefront6targetE1EEEvSK_: ; @_ZN7rocprim17ROCPRIM_400000_NS6detail17trampoline_kernelINS0_14default_configENS1_36segmented_radix_sort_config_selectorIblEEZNS1_25segmented_radix_sort_implIS3_Lb1EPKbPbPKlPlN2at6native12_GLOBAL__N_18offset_tEEE10hipError_tPvRmT1_PNSt15iterator_traitsISK_E10value_typeET2_T3_PNSL_ISQ_E10value_typeET4_jRbjT5_SW_jjP12ihipStream_tbEUlT_E2_NS1_11comp_targetILNS1_3genE5ELNS1_11target_archE942ELNS1_3gpuE9ELNS1_3repE0EEENS1_30default_config_static_selectorELNS0_4arch9wavefront6targetE1EEEvSK_
; %bb.0:
	.section	.rodata,"a",@progbits
	.p2align	6, 0x0
	.amdhsa_kernel _ZN7rocprim17ROCPRIM_400000_NS6detail17trampoline_kernelINS0_14default_configENS1_36segmented_radix_sort_config_selectorIblEEZNS1_25segmented_radix_sort_implIS3_Lb1EPKbPbPKlPlN2at6native12_GLOBAL__N_18offset_tEEE10hipError_tPvRmT1_PNSt15iterator_traitsISK_E10value_typeET2_T3_PNSL_ISQ_E10value_typeET4_jRbjT5_SW_jjP12ihipStream_tbEUlT_E2_NS1_11comp_targetILNS1_3genE5ELNS1_11target_archE942ELNS1_3gpuE9ELNS1_3repE0EEENS1_30default_config_static_selectorELNS0_4arch9wavefront6targetE1EEEvSK_
		.amdhsa_group_segment_fixed_size 0
		.amdhsa_private_segment_fixed_size 0
		.amdhsa_kernarg_size 80
		.amdhsa_user_sgpr_count 6
		.amdhsa_user_sgpr_private_segment_buffer 1
		.amdhsa_user_sgpr_dispatch_ptr 0
		.amdhsa_user_sgpr_queue_ptr 0
		.amdhsa_user_sgpr_kernarg_segment_ptr 1
		.amdhsa_user_sgpr_dispatch_id 0
		.amdhsa_user_sgpr_flat_scratch_init 0
		.amdhsa_user_sgpr_kernarg_preload_length 0
		.amdhsa_user_sgpr_kernarg_preload_offset 0
		.amdhsa_user_sgpr_private_segment_size 0
		.amdhsa_uses_dynamic_stack 0
		.amdhsa_system_sgpr_private_segment_wavefront_offset 0
		.amdhsa_system_sgpr_workgroup_id_x 1
		.amdhsa_system_sgpr_workgroup_id_y 0
		.amdhsa_system_sgpr_workgroup_id_z 0
		.amdhsa_system_sgpr_workgroup_info 0
		.amdhsa_system_vgpr_workitem_id 0
		.amdhsa_next_free_vgpr 1
		.amdhsa_next_free_sgpr 0
		.amdhsa_accum_offset 4
		.amdhsa_reserve_vcc 0
		.amdhsa_reserve_flat_scratch 0
		.amdhsa_float_round_mode_32 0
		.amdhsa_float_round_mode_16_64 0
		.amdhsa_float_denorm_mode_32 3
		.amdhsa_float_denorm_mode_16_64 3
		.amdhsa_dx10_clamp 1
		.amdhsa_ieee_mode 1
		.amdhsa_fp16_overflow 0
		.amdhsa_tg_split 0
		.amdhsa_exception_fp_ieee_invalid_op 0
		.amdhsa_exception_fp_denorm_src 0
		.amdhsa_exception_fp_ieee_div_zero 0
		.amdhsa_exception_fp_ieee_overflow 0
		.amdhsa_exception_fp_ieee_underflow 0
		.amdhsa_exception_fp_ieee_inexact 0
		.amdhsa_exception_int_div_zero 0
	.end_amdhsa_kernel
	.section	.text._ZN7rocprim17ROCPRIM_400000_NS6detail17trampoline_kernelINS0_14default_configENS1_36segmented_radix_sort_config_selectorIblEEZNS1_25segmented_radix_sort_implIS3_Lb1EPKbPbPKlPlN2at6native12_GLOBAL__N_18offset_tEEE10hipError_tPvRmT1_PNSt15iterator_traitsISK_E10value_typeET2_T3_PNSL_ISQ_E10value_typeET4_jRbjT5_SW_jjP12ihipStream_tbEUlT_E2_NS1_11comp_targetILNS1_3genE5ELNS1_11target_archE942ELNS1_3gpuE9ELNS1_3repE0EEENS1_30default_config_static_selectorELNS0_4arch9wavefront6targetE1EEEvSK_,"axG",@progbits,_ZN7rocprim17ROCPRIM_400000_NS6detail17trampoline_kernelINS0_14default_configENS1_36segmented_radix_sort_config_selectorIblEEZNS1_25segmented_radix_sort_implIS3_Lb1EPKbPbPKlPlN2at6native12_GLOBAL__N_18offset_tEEE10hipError_tPvRmT1_PNSt15iterator_traitsISK_E10value_typeET2_T3_PNSL_ISQ_E10value_typeET4_jRbjT5_SW_jjP12ihipStream_tbEUlT_E2_NS1_11comp_targetILNS1_3genE5ELNS1_11target_archE942ELNS1_3gpuE9ELNS1_3repE0EEENS1_30default_config_static_selectorELNS0_4arch9wavefront6targetE1EEEvSK_,comdat
.Lfunc_end1561:
	.size	_ZN7rocprim17ROCPRIM_400000_NS6detail17trampoline_kernelINS0_14default_configENS1_36segmented_radix_sort_config_selectorIblEEZNS1_25segmented_radix_sort_implIS3_Lb1EPKbPbPKlPlN2at6native12_GLOBAL__N_18offset_tEEE10hipError_tPvRmT1_PNSt15iterator_traitsISK_E10value_typeET2_T3_PNSL_ISQ_E10value_typeET4_jRbjT5_SW_jjP12ihipStream_tbEUlT_E2_NS1_11comp_targetILNS1_3genE5ELNS1_11target_archE942ELNS1_3gpuE9ELNS1_3repE0EEENS1_30default_config_static_selectorELNS0_4arch9wavefront6targetE1EEEvSK_, .Lfunc_end1561-_ZN7rocprim17ROCPRIM_400000_NS6detail17trampoline_kernelINS0_14default_configENS1_36segmented_radix_sort_config_selectorIblEEZNS1_25segmented_radix_sort_implIS3_Lb1EPKbPbPKlPlN2at6native12_GLOBAL__N_18offset_tEEE10hipError_tPvRmT1_PNSt15iterator_traitsISK_E10value_typeET2_T3_PNSL_ISQ_E10value_typeET4_jRbjT5_SW_jjP12ihipStream_tbEUlT_E2_NS1_11comp_targetILNS1_3genE5ELNS1_11target_archE942ELNS1_3gpuE9ELNS1_3repE0EEENS1_30default_config_static_selectorELNS0_4arch9wavefront6targetE1EEEvSK_
                                        ; -- End function
	.section	.AMDGPU.csdata,"",@progbits
; Kernel info:
; codeLenInByte = 0
; NumSgprs: 4
; NumVgprs: 0
; NumAgprs: 0
; TotalNumVgprs: 0
; ScratchSize: 0
; MemoryBound: 0
; FloatMode: 240
; IeeeMode: 1
; LDSByteSize: 0 bytes/workgroup (compile time only)
; SGPRBlocks: 0
; VGPRBlocks: 0
; NumSGPRsForWavesPerEU: 4
; NumVGPRsForWavesPerEU: 1
; AccumOffset: 4
; Occupancy: 8
; WaveLimiterHint : 0
; COMPUTE_PGM_RSRC2:SCRATCH_EN: 0
; COMPUTE_PGM_RSRC2:USER_SGPR: 6
; COMPUTE_PGM_RSRC2:TRAP_HANDLER: 0
; COMPUTE_PGM_RSRC2:TGID_X_EN: 1
; COMPUTE_PGM_RSRC2:TGID_Y_EN: 0
; COMPUTE_PGM_RSRC2:TGID_Z_EN: 0
; COMPUTE_PGM_RSRC2:TIDIG_COMP_CNT: 0
; COMPUTE_PGM_RSRC3_GFX90A:ACCUM_OFFSET: 0
; COMPUTE_PGM_RSRC3_GFX90A:TG_SPLIT: 0
	.section	.text._ZN7rocprim17ROCPRIM_400000_NS6detail17trampoline_kernelINS0_14default_configENS1_36segmented_radix_sort_config_selectorIblEEZNS1_25segmented_radix_sort_implIS3_Lb1EPKbPbPKlPlN2at6native12_GLOBAL__N_18offset_tEEE10hipError_tPvRmT1_PNSt15iterator_traitsISK_E10value_typeET2_T3_PNSL_ISQ_E10value_typeET4_jRbjT5_SW_jjP12ihipStream_tbEUlT_E2_NS1_11comp_targetILNS1_3genE4ELNS1_11target_archE910ELNS1_3gpuE8ELNS1_3repE0EEENS1_30default_config_static_selectorELNS0_4arch9wavefront6targetE1EEEvSK_,"axG",@progbits,_ZN7rocprim17ROCPRIM_400000_NS6detail17trampoline_kernelINS0_14default_configENS1_36segmented_radix_sort_config_selectorIblEEZNS1_25segmented_radix_sort_implIS3_Lb1EPKbPbPKlPlN2at6native12_GLOBAL__N_18offset_tEEE10hipError_tPvRmT1_PNSt15iterator_traitsISK_E10value_typeET2_T3_PNSL_ISQ_E10value_typeET4_jRbjT5_SW_jjP12ihipStream_tbEUlT_E2_NS1_11comp_targetILNS1_3genE4ELNS1_11target_archE910ELNS1_3gpuE8ELNS1_3repE0EEENS1_30default_config_static_selectorELNS0_4arch9wavefront6targetE1EEEvSK_,comdat
	.globl	_ZN7rocprim17ROCPRIM_400000_NS6detail17trampoline_kernelINS0_14default_configENS1_36segmented_radix_sort_config_selectorIblEEZNS1_25segmented_radix_sort_implIS3_Lb1EPKbPbPKlPlN2at6native12_GLOBAL__N_18offset_tEEE10hipError_tPvRmT1_PNSt15iterator_traitsISK_E10value_typeET2_T3_PNSL_ISQ_E10value_typeET4_jRbjT5_SW_jjP12ihipStream_tbEUlT_E2_NS1_11comp_targetILNS1_3genE4ELNS1_11target_archE910ELNS1_3gpuE8ELNS1_3repE0EEENS1_30default_config_static_selectorELNS0_4arch9wavefront6targetE1EEEvSK_ ; -- Begin function _ZN7rocprim17ROCPRIM_400000_NS6detail17trampoline_kernelINS0_14default_configENS1_36segmented_radix_sort_config_selectorIblEEZNS1_25segmented_radix_sort_implIS3_Lb1EPKbPbPKlPlN2at6native12_GLOBAL__N_18offset_tEEE10hipError_tPvRmT1_PNSt15iterator_traitsISK_E10value_typeET2_T3_PNSL_ISQ_E10value_typeET4_jRbjT5_SW_jjP12ihipStream_tbEUlT_E2_NS1_11comp_targetILNS1_3genE4ELNS1_11target_archE910ELNS1_3gpuE8ELNS1_3repE0EEENS1_30default_config_static_selectorELNS0_4arch9wavefront6targetE1EEEvSK_
	.p2align	8
	.type	_ZN7rocprim17ROCPRIM_400000_NS6detail17trampoline_kernelINS0_14default_configENS1_36segmented_radix_sort_config_selectorIblEEZNS1_25segmented_radix_sort_implIS3_Lb1EPKbPbPKlPlN2at6native12_GLOBAL__N_18offset_tEEE10hipError_tPvRmT1_PNSt15iterator_traitsISK_E10value_typeET2_T3_PNSL_ISQ_E10value_typeET4_jRbjT5_SW_jjP12ihipStream_tbEUlT_E2_NS1_11comp_targetILNS1_3genE4ELNS1_11target_archE910ELNS1_3gpuE8ELNS1_3repE0EEENS1_30default_config_static_selectorELNS0_4arch9wavefront6targetE1EEEvSK_,@function
_ZN7rocprim17ROCPRIM_400000_NS6detail17trampoline_kernelINS0_14default_configENS1_36segmented_radix_sort_config_selectorIblEEZNS1_25segmented_radix_sort_implIS3_Lb1EPKbPbPKlPlN2at6native12_GLOBAL__N_18offset_tEEE10hipError_tPvRmT1_PNSt15iterator_traitsISK_E10value_typeET2_T3_PNSL_ISQ_E10value_typeET4_jRbjT5_SW_jjP12ihipStream_tbEUlT_E2_NS1_11comp_targetILNS1_3genE4ELNS1_11target_archE910ELNS1_3gpuE8ELNS1_3repE0EEENS1_30default_config_static_selectorELNS0_4arch9wavefront6targetE1EEEvSK_: ; @_ZN7rocprim17ROCPRIM_400000_NS6detail17trampoline_kernelINS0_14default_configENS1_36segmented_radix_sort_config_selectorIblEEZNS1_25segmented_radix_sort_implIS3_Lb1EPKbPbPKlPlN2at6native12_GLOBAL__N_18offset_tEEE10hipError_tPvRmT1_PNSt15iterator_traitsISK_E10value_typeET2_T3_PNSL_ISQ_E10value_typeET4_jRbjT5_SW_jjP12ihipStream_tbEUlT_E2_NS1_11comp_targetILNS1_3genE4ELNS1_11target_archE910ELNS1_3gpuE8ELNS1_3repE0EEENS1_30default_config_static_selectorELNS0_4arch9wavefront6targetE1EEEvSK_
; %bb.0:
	s_add_u32 flat_scratch_lo, s6, s10
	s_addc_u32 flat_scratch_hi, s7, 0
	s_add_u32 s0, s0, s10
	s_mov_b32 s33, s9
	s_mov_b32 s50, s8
	s_load_dwordx4 s[8:11], s[4:5], 0x34
	s_addc_u32 s1, s1, 0
	s_mov_b32 s32, 0
	s_waitcnt lgkmcnt(0)
	s_add_i32 s51, s9, s50
	s_add_i32 s76, s11, s50
	s_mul_i32 s51, s51, s8
	s_mul_i32 s76, s76, s10
	s_cmp_le_u32 s76, s51
	s_cbranch_scc1 .LBB1562_686
; %bb.1:
	s_load_dword s6, s[4:5], 0x30
	s_load_dwordx4 s[64:67], s[4:5], 0x20
	s_load_dwordx4 s[68:71], s[4:5], 0x44
	s_load_dwordx8 s[56:63], s[4:5], 0x0
	s_waitcnt lgkmcnt(0)
	s_bitcmp1_b32 s6, 0
	s_cselect_b64 s[54:55], -1, 0
	s_sub_i32 s71, s76, s51
	s_cmpk_lt_u32 s71, 0x801
	s_mov_b64 s[6:7], -1
	s_cbranch_scc0 .LBB1562_15
; %bb.2:
	s_cmp_lt_u32 s71, 33
	s_cbranch_scc0 .LBB1562_9
; %bb.3:
	s_load_dword s6, s[4:5], 0x5c
	v_bfe_u32 v1, v0, 10, 10
	v_bfe_u32 v3, v0, 20, 10
	v_and_b32_e32 v2, 0x3ff, v0
	s_waitcnt lgkmcnt(0)
	s_lshr_b32 s7, s6, 16
	s_and_b32 s6, s6, 0xffff
	v_mad_u32_u24 v1, v3, s7, v1
	v_mad_u64_u32 v[2:3], s[6:7], v1, s6, v[2:3]
	v_cmp_gt_u32_e32 vcc, 8, v2
	s_and_saveexec_b64 s[34:35], vcc
	s_cbranch_execz .LBB1562_8
; %bb.4:
	s_and_b32 s6, s68, 1
	v_cndmask_b32_e64 v1, 0, 1, s[54:55]
	v_cmp_ne_u32_e32 vcc, s6, v1
	s_mov_b64 s[6:7], -1
	s_cbranch_vccnz .LBB1562_6
; %bb.5:
	s_add_u32 s8, s4, 0x50
	s_mov_b64 s[6:7], src_shared_base
	s_addc_u32 s9, s5, 0
	s_mov_b32 s12, s50
	s_mov_b32 s13, s33
	v_mov_b32_e32 v31, v0
	v_mov_b32_e32 v40, v0
	;; [unrolled: 1-line block ×16, first 2 shown]
	s_getpc_b64 s[10:11]
	s_add_u32 s10, s10, _ZN7rocprim17ROCPRIM_400000_NS6detail26segmented_warp_sort_helperINS1_20WarpSortHelperConfigILj8ELj4ELj256EEEblLi256ELb1EvE4sortIPKbPbPKlPlEEvT_T0_T1_T2_jjjjRNS5_12storage_typeE@rel32@lo+4
	s_addc_u32 s11, s11, _ZN7rocprim17ROCPRIM_400000_NS6detail26segmented_warp_sort_helperINS1_20WarpSortHelperConfigILj8ELj4ELj256EEEblLi256ELb1EvE4sortIPKbPbPKlPlEEvT_T0_T1_T2_jjjjRNS5_12storage_typeE@rel32@hi+12
	s_mov_b64 s[36:37], s[4:5]
	s_swappc_b64 s[30:31], s[10:11]
	v_mov_b32_e32 v0, v40
	s_mov_b64 s[4:5], s[36:37]
	s_mov_b64 s[6:7], 0
.LBB1562_6:
	s_andn2_b64 vcc, exec, s[6:7]
	s_cbranch_vccnz .LBB1562_8
; %bb.7:
	s_add_u32 s8, s4, 0x50
	s_mov_b64 s[6:7], src_shared_base
	s_addc_u32 s9, s5, 0
	s_mov_b32 s12, s50
	s_mov_b32 s13, s33
	v_mov_b32_e32 v31, v0
	v_mov_b32_e32 v40, v0
	;; [unrolled: 1-line block ×16, first 2 shown]
	s_getpc_b64 s[10:11]
	s_add_u32 s10, s10, _ZN7rocprim17ROCPRIM_400000_NS6detail26segmented_warp_sort_helperINS1_20WarpSortHelperConfigILj8ELj4ELj256EEEblLi256ELb1EvE4sortIPKbPbPKlPlEEvT_T0_T1_T2_jjjjRNS5_12storage_typeE@rel32@lo+4
	s_addc_u32 s11, s11, _ZN7rocprim17ROCPRIM_400000_NS6detail26segmented_warp_sort_helperINS1_20WarpSortHelperConfigILj8ELj4ELj256EEEblLi256ELb1EvE4sortIPKbPbPKlPlEEvT_T0_T1_T2_jjjjRNS5_12storage_typeE@rel32@hi+12
	s_mov_b64 s[36:37], s[4:5]
	s_swappc_b64 s[30:31], s[10:11]
	v_mov_b32_e32 v0, v40
	s_mov_b64 s[4:5], s[36:37]
.LBB1562_8:
	s_or_b64 exec, exec, s[34:35]
	s_mov_b64 s[6:7], 0
.LBB1562_9:
	s_andn2_b64 vcc, exec, s[6:7]
	s_cbranch_vccnz .LBB1562_14
; %bb.10:
	s_and_b32 s6, s68, 1
	v_cndmask_b32_e64 v1, 0, 1, s[54:55]
	v_cmp_ne_u32_e32 vcc, s6, v1
	s_mov_b64 s[6:7], -1
	s_cbranch_vccnz .LBB1562_12
; %bb.11:
	s_add_u32 s8, s4, 0x50
	s_mov_b64 s[6:7], src_shared_base
	s_addc_u32 s9, s5, 0
	s_mov_b32 s12, s50
	s_mov_b32 s13, s33
	v_mov_b32_e32 v31, v0
	v_mov_b32_e32 v41, v0
	v_mov_b32_e32 v0, s56
	v_mov_b32_e32 v1, s57
	v_mov_b32_e32 v2, s60
	v_mov_b32_e32 v3, s61
	v_mov_b32_e32 v4, s62
	v_mov_b32_e32 v5, s63
	v_mov_b32_e32 v6, s66
	v_mov_b32_e32 v7, s67
	v_mov_b32_e32 v8, s51
	v_mov_b32_e32 v9, s76
	v_mov_b32_e32 v10, s69
	v_mov_b32_e32 v11, s70
	v_mov_b32_e32 v12, 0
	v_mov_b32_e32 v13, s7
	s_getpc_b64 s[10:11]
	s_add_u32 s10, s10, _ZN7rocprim17ROCPRIM_400000_NS6detail40segmented_radix_sort_single_block_helperIblLj256ELj8ELb1EE4sortIPKbPbPKlPlEEbT_T0_T1_T2_jjjjRNS3_12storage_typeE@rel32@lo+4
	s_addc_u32 s11, s11, _ZN7rocprim17ROCPRIM_400000_NS6detail40segmented_radix_sort_single_block_helperIblLj256ELj8ELb1EE4sortIPKbPbPKlPlEEbT_T0_T1_T2_jjjjRNS3_12storage_typeE@rel32@hi+12
	s_mov_b64 s[48:49], s[4:5]
	s_swappc_b64 s[30:31], s[10:11]
	v_mov_b32_e32 v0, v41
	s_mov_b64 s[4:5], s[48:49]
	s_mov_b64 s[6:7], 0
.LBB1562_12:
	s_andn2_b64 vcc, exec, s[6:7]
	s_cbranch_vccnz .LBB1562_14
; %bb.13:
	s_add_u32 s8, s4, 0x50
	s_mov_b64 s[6:7], src_shared_base
	s_addc_u32 s9, s5, 0
	s_mov_b32 s12, s50
	s_mov_b32 s13, s33
	v_mov_b32_e32 v31, v0
	v_mov_b32_e32 v41, v0
	;; [unrolled: 1-line block ×16, first 2 shown]
	s_getpc_b64 s[10:11]
	s_add_u32 s10, s10, _ZN7rocprim17ROCPRIM_400000_NS6detail40segmented_radix_sort_single_block_helperIblLj256ELj8ELb1EE4sortIPKbPbPKlPlEEbT_T0_T1_T2_jjjjRNS3_12storage_typeE@rel32@lo+4
	s_addc_u32 s11, s11, _ZN7rocprim17ROCPRIM_400000_NS6detail40segmented_radix_sort_single_block_helperIblLj256ELj8ELb1EE4sortIPKbPbPKlPlEEbT_T0_T1_T2_jjjjRNS3_12storage_typeE@rel32@hi+12
	s_mov_b64 s[48:49], s[4:5]
	s_swappc_b64 s[30:31], s[10:11]
	v_mov_b32_e32 v0, v41
	s_mov_b64 s[4:5], s[48:49]
.LBB1562_14:
	s_mov_b64 s[6:7], 0
.LBB1562_15:
	s_andn2_b64 vcc, exec, s[6:7]
	s_cbranch_vccnz .LBB1562_686
; %bb.16:
	s_cmp_ge_u32 s69, s70
	s_cbranch_scc1 .LBB1562_686
; %bb.17:
	v_and_b32_e32 v2, 0x3ff, v0
	v_mov_b32_e32 v4, s61
	v_add_co_u32_e32 v28, vcc, s60, v2
	s_movk_i32 s6, 0x100
	v_addc_co_u32_e32 v29, vcc, 0, v4, vcc
	v_or_b32_e32 v4, 63, v2
	s_mov_b64 s[12:13], s[4:5]
	v_cmp_gt_u32_e64 s[4:5], s6, v2
	v_cmp_eq_u32_e64 s[6:7], v4, v2
	v_lshrrev_b32_e32 v4, 4, v2
	v_and_b32_e32 v35, 12, v4
	v_lshlrev_b32_e32 v4, 3, v2
	v_bfe_u32 v40, v0, 20, 10
	v_bfe_u32 v41, v0, 10, 10
	v_mul_u32_u24_e32 v0, 5, v2
	v_mov_b32_e32 v43, 0x410
	v_and_b32_e32 v39, 0x600, v4
	v_lshl_add_u32 v44, v0, 2, v43
	v_lshlrev_b32_e32 v0, 4, v2
	v_sub_u32_e32 v45, 0, v0
	v_lshlrev_b32_e32 v0, 3, v39
	v_mov_b32_e32 v4, s67
	v_add_co_u32_e32 v46, vcc, s66, v0
	v_addc_co_u32_e32 v47, vcc, 0, v4, vcc
	v_mov_b32_e32 v4, s61
	v_add_co_u32_e32 v48, vcc, s60, v39
	v_addc_co_u32_e32 v49, vcc, 0, v4, vcc
	;; [unrolled: 3-line block ×7, first 2 shown]
	v_lshlrev_b32_e32 v3, 2, v2
	v_mov_b32_e32 v0, s57
	v_add_co_u32_e32 v61, vcc, s56, v39
	v_mad_u32_u24 v34, v2, 12, v3
	s_add_u32 s74, s12, 0x50
	s_movk_i32 s68, 0xff
	v_addc_co_u32_e32 v62, vcc, 0, v0, vcc
	v_mbcnt_lo_u32_b32 v0, -1, 0
	s_mov_b32 s73, 0
	v_mov_b32_e32 v1, 0
	v_or_b32_e32 v24, 0x100, v2
	v_or_b32_e32 v25, 0x200, v2
	;; [unrolled: 1-line block ×3, first 2 shown]
	v_and_b32_e32 v27, 3, v2
	v_or_b32_e32 v30, 0x400, v2
	v_or_b32_e32 v31, 0x500, v2
	;; [unrolled: 1-line block ×5, first 2 shown]
	v_cmp_gt_u32_e64 s[8:9], 4, v2
	v_add_u32_e32 v37, 0x4400, v3
	v_cmp_lt_u32_e64 s[10:11], 63, v2
	v_add_u32_e32 v38, 0x43fc, v35
	s_addc_u32 s75, s13, 0
	v_add_u32_e32 v42, v34, v3
	v_cmp_eq_u32_e64 s[12:13], 0, v2
	v_cmp_ne_u32_e64 s[14:15], s68, v2
	v_mul_u32_u24_e32 v50, 7, v2
	s_mov_b32 s77, 0xffff
	v_mov_b32_e32 v63, 1
	s_mov_b32 s78, 0x7060004
	s_movk_i32 s79, 0xff00
	s_mov_b32 s80, 0x3020104
	s_mov_b32 s81, 0x7000504
	;; [unrolled: 1-line block ×3, first 2 shown]
	v_mbcnt_hi_u32_b32 v64, -1, v0
	s_mov_b32 s83, s69
	s_branch .LBB1562_20
.LBB1562_18:                            ;   in Loop: Header=BB1562_20 Depth=1
	s_waitcnt lgkmcnt(0)
	s_barrier
.LBB1562_19:                            ;   in Loop: Header=BB1562_20 Depth=1
	s_add_i32 s83, s83, 8
	s_cmp_ge_u32 s83, s70
	s_cbranch_scc1 .LBB1562_686
.LBB1562_20:                            ; =>This Loop Header: Depth=1
                                        ;     Child Loop BB1562_24 Depth 2
                                        ;     Child Loop BB1562_74 Depth 2
                                        ;     Child Loop BB1562_190 Depth 2
                                        ;     Child Loop BB1562_240 Depth 2
                                        ;     Child Loop BB1562_358 Depth 2
                                        ;     Child Loop BB1562_408 Depth 2
                                        ;     Child Loop BB1562_524 Depth 2
                                        ;     Child Loop BB1562_574 Depth 2
	s_sub_i32 s16, s70, s83
	s_min_u32 s16, s16, 8
	s_lshl_b32 s16, -1, s16
	s_xor_b64 s[54:55], s[54:55], -1
	s_not_b32 s84, s16
	s_cmp_lg_u32 s83, s69
	s_mov_b64 s[16:17], -1
	ds_write2st64_b32 v3, v1, v1 offset1:4
	ds_write2st64_b32 v3, v1, v1 offset0:8 offset1:12
	s_waitcnt lgkmcnt(0)
	s_cbranch_scc0 .LBB1562_354
; %bb.21:                               ;   in Loop: Header=BB1562_20 Depth=1
	s_and_b64 vcc, exec, s[54:55]
	s_cbranch_vccz .LBB1562_187
; %bb.22:                               ;   in Loop: Header=BB1562_20 Depth=1
	s_mov_b32 s20, s71
	s_mov_b32 s22, s51
	s_barrier
	s_waitcnt lgkmcnt(0)
                                        ; implicit-def: $vgpr0
                                        ; implicit-def: $vgpr6
                                        ; implicit-def: $vgpr7
                                        ; implicit-def: $vgpr8
                                        ; implicit-def: $vgpr9
                                        ; implicit-def: $vgpr10
                                        ; implicit-def: $vgpr11
                                        ; implicit-def: $vgpr12
	s_branch .LBB1562_24
.LBB1562_23:                            ;   in Loop: Header=BB1562_24 Depth=2
	s_or_b64 exec, exec, s[16:17]
	s_addk_i32 s20, 0xf800
	s_cmp_ge_u32 s21, s76
	s_mov_b32 s22, s21
	s_cbranch_scc1 .LBB1562_62
.LBB1562_24:                            ;   Parent Loop BB1562_20 Depth=1
                                        ; =>  This Inner Loop Header: Depth=2
	s_add_i32 s21, s22, 0x800
	s_cmp_gt_u32 s21, s76
	s_cbranch_scc1 .LBB1562_27
; %bb.25:                               ;   in Loop: Header=BB1562_24 Depth=2
	v_add_co_u32_e32 v4, vcc, s22, v28
	v_addc_co_u32_e32 v5, vcc, 0, v29, vcc
	global_load_ubyte v20, v[4:5], off offset:1536
	global_load_ubyte v19, v[4:5], off offset:1280
	;; [unrolled: 1-line block ×6, first 2 shown]
	global_load_ubyte v14, v[4:5], off
	v_add_co_u32_e32 v4, vcc, 0x700, v4
	v_addc_co_u32_e32 v5, vcc, 0, v5, vcc
	s_mov_b64 s[16:17], -1
	s_movk_i32 s25, 0x800
	s_cbranch_execz .LBB1562_28
; %bb.26:                               ;   in Loop: Header=BB1562_24 Depth=2
                                        ; implicit-def: $vgpr0
                                        ; implicit-def: $vgpr6
                                        ; implicit-def: $vgpr7
                                        ; implicit-def: $vgpr8
                                        ; implicit-def: $vgpr9
                                        ; implicit-def: $vgpr10
                                        ; implicit-def: $vgpr11
                                        ; implicit-def: $vgpr12
	v_mov_b32_e32 v13, s20
	s_and_saveexec_b64 s[18:19], s[16:17]
	s_cbranch_execnz .LBB1562_39
	s_branch .LBB1562_40
.LBB1562_27:                            ;   in Loop: Header=BB1562_24 Depth=2
	s_mov_b64 s[16:17], 0
                                        ; implicit-def: $sgpr25
                                        ; implicit-def: $vgpr14
                                        ; implicit-def: $vgpr15
                                        ; implicit-def: $vgpr16
                                        ; implicit-def: $vgpr17
                                        ; implicit-def: $vgpr18
                                        ; implicit-def: $vgpr19
                                        ; implicit-def: $vgpr20
                                        ; implicit-def: $vgpr4_vgpr5
.LBB1562_28:                            ;   in Loop: Header=BB1562_24 Depth=2
	s_add_u32 s23, s60, s22
	s_addc_u32 s24, s61, 0
	v_cmp_gt_u32_e32 vcc, s20, v2
	s_and_saveexec_b64 s[18:19], vcc
	s_cbranch_execz .LBB1562_56
; %bb.29:                               ;   in Loop: Header=BB1562_24 Depth=2
	v_mov_b32_e32 v0, s24
	v_add_co_u32_e32 v4, vcc, s23, v2
	v_addc_co_u32_e32 v5, vcc, 0, v0, vcc
	global_load_ubyte v0, v[4:5], off
	s_or_b64 exec, exec, s[18:19]
	v_cmp_gt_u32_e32 vcc, s20, v24
	s_and_saveexec_b64 s[18:19], vcc
	s_cbranch_execnz .LBB1562_57
.LBB1562_30:                            ;   in Loop: Header=BB1562_24 Depth=2
	s_or_b64 exec, exec, s[18:19]
	v_cmp_gt_u32_e32 vcc, s20, v25
	s_and_saveexec_b64 s[18:19], vcc
	s_cbranch_execz .LBB1562_58
.LBB1562_31:                            ;   in Loop: Header=BB1562_24 Depth=2
	v_mov_b32_e32 v5, s24
	v_add_co_u32_e32 v4, vcc, s23, v2
	v_addc_co_u32_e32 v5, vcc, 0, v5, vcc
	global_load_ubyte v7, v[4:5], off offset:512
	s_or_b64 exec, exec, s[18:19]
	v_cmp_gt_u32_e32 vcc, s20, v26
	s_and_saveexec_b64 s[18:19], vcc
	s_cbranch_execnz .LBB1562_59
.LBB1562_32:                            ;   in Loop: Header=BB1562_24 Depth=2
	s_or_b64 exec, exec, s[18:19]
	v_cmp_gt_u32_e32 vcc, s20, v30
	s_and_saveexec_b64 s[18:19], vcc
	s_cbranch_execz .LBB1562_60
.LBB1562_33:                            ;   in Loop: Header=BB1562_24 Depth=2
	v_mov_b32_e32 v5, s24
	v_add_co_u32_e32 v4, vcc, s23, v2
	v_addc_co_u32_e32 v5, vcc, 0, v5, vcc
	global_load_ubyte v9, v[4:5], off offset:1024
	s_or_b64 exec, exec, s[18:19]
	v_cmp_gt_u32_e32 vcc, s20, v31
	s_and_saveexec_b64 s[18:19], vcc
	s_cbranch_execnz .LBB1562_61
.LBB1562_34:                            ;   in Loop: Header=BB1562_24 Depth=2
	s_or_b64 exec, exec, s[18:19]
	v_cmp_gt_u32_e32 vcc, s20, v32
	s_and_saveexec_b64 s[18:19], vcc
	s_cbranch_execz .LBB1562_36
.LBB1562_35:                            ;   in Loop: Header=BB1562_24 Depth=2
	v_mov_b32_e32 v5, s24
	v_add_co_u32_e32 v4, vcc, s23, v2
	v_addc_co_u32_e32 v5, vcc, 0, v5, vcc
	global_load_ubyte v11, v[4:5], off offset:1536
.LBB1562_36:                            ;   in Loop: Header=BB1562_24 Depth=2
	s_or_b64 exec, exec, s[18:19]
	v_cmp_gt_u32_e32 vcc, s20, v33
                                        ; implicit-def: $sgpr25
                                        ; implicit-def: $vgpr4_vgpr5
	s_and_saveexec_b64 s[18:19], vcc
	s_cbranch_execz .LBB1562_38
; %bb.37:                               ;   in Loop: Header=BB1562_24 Depth=2
	v_mov_b32_e32 v4, s24
	v_add_co_u32_e32 v5, vcc, s23, v2
	s_waitcnt vmcnt(0)
	v_addc_co_u32_e32 v12, vcc, 0, v4, vcc
	v_add_co_u32_e32 v4, vcc, 0x700, v5
	s_sub_i32 s25, s76, s22
	v_addc_co_u32_e32 v5, vcc, 0, v12, vcc
	s_or_b64 s[16:17], s[16:17], exec
                                        ; implicit-def: $vgpr12
.LBB1562_38:                            ;   in Loop: Header=BB1562_24 Depth=2
	s_or_b64 exec, exec, s[18:19]
	s_waitcnt vmcnt(0)
	v_mov_b32_e32 v14, v0
	v_mov_b32_e32 v15, v6
	;; [unrolled: 1-line block ×8, first 2 shown]
	s_and_saveexec_b64 s[18:19], s[16:17]
	s_cbranch_execz .LBB1562_40
.LBB1562_39:                            ;   in Loop: Header=BB1562_24 Depth=2
	global_load_ubyte v12, v[4:5], off
	v_mov_b32_e32 v13, s25
	s_waitcnt vmcnt(1)
	v_mov_b32_e32 v0, v14
	v_mov_b32_e32 v6, v15
	;; [unrolled: 1-line block ×7, first 2 shown]
.LBB1562_40:                            ;   in Loop: Header=BB1562_24 Depth=2
	s_or_b64 exec, exec, s[18:19]
	v_cmp_lt_u32_e32 vcc, v2, v13
	s_and_saveexec_b64 s[16:17], vcc
	s_cbranch_execz .LBB1562_48
; %bb.41:                               ;   in Loop: Header=BB1562_24 Depth=2
	v_xor_b32_e32 v4, -1, v0
	v_and_b32_e32 v4, 1, v4
	v_lshrrev_b32_sdwa v4, s83, v4 dst_sel:DWORD dst_unused:UNUSED_PAD src0_sel:DWORD src1_sel:WORD_0
	v_and_b32_e32 v4, s84, v4
	v_lshlrev_b32_e32 v5, 2, v27
	v_lshl_or_b32 v4, v4, 4, v5
	ds_add_u32 v4, v63
	s_or_b64 exec, exec, s[16:17]
	v_cmp_lt_u32_e32 vcc, v24, v13
	s_and_saveexec_b64 s[16:17], vcc
	s_cbranch_execnz .LBB1562_49
.LBB1562_42:                            ;   in Loop: Header=BB1562_24 Depth=2
	s_or_b64 exec, exec, s[16:17]
	v_cmp_lt_u32_e32 vcc, v25, v13
	s_and_saveexec_b64 s[16:17], vcc
	s_cbranch_execz .LBB1562_50
.LBB1562_43:                            ;   in Loop: Header=BB1562_24 Depth=2
	v_xor_b32_e32 v4, -1, v7
	v_and_b32_e32 v4, 1, v4
	v_lshrrev_b32_sdwa v4, s83, v4 dst_sel:DWORD dst_unused:UNUSED_PAD src0_sel:DWORD src1_sel:WORD_0
	v_and_b32_e32 v4, s84, v4
	v_lshlrev_b32_e32 v5, 2, v27
	v_lshl_or_b32 v4, v4, 4, v5
	ds_add_u32 v4, v63
	s_or_b64 exec, exec, s[16:17]
	v_cmp_lt_u32_e32 vcc, v26, v13
	s_and_saveexec_b64 s[16:17], vcc
	s_cbranch_execnz .LBB1562_51
.LBB1562_44:                            ;   in Loop: Header=BB1562_24 Depth=2
	s_or_b64 exec, exec, s[16:17]
	v_cmp_lt_u32_e32 vcc, v30, v13
	s_and_saveexec_b64 s[16:17], vcc
	s_cbranch_execz .LBB1562_52
.LBB1562_45:                            ;   in Loop: Header=BB1562_24 Depth=2
	v_xor_b32_e32 v4, -1, v9
	v_and_b32_e32 v4, 1, v4
	v_lshrrev_b32_sdwa v4, s83, v4 dst_sel:DWORD dst_unused:UNUSED_PAD src0_sel:DWORD src1_sel:WORD_0
	v_and_b32_e32 v4, s84, v4
	v_lshlrev_b32_e32 v5, 2, v27
	v_lshl_or_b32 v4, v4, 4, v5
	ds_add_u32 v4, v63
	s_or_b64 exec, exec, s[16:17]
	v_cmp_lt_u32_e32 vcc, v31, v13
	s_and_saveexec_b64 s[16:17], vcc
	s_cbranch_execnz .LBB1562_53
.LBB1562_46:                            ;   in Loop: Header=BB1562_24 Depth=2
	s_or_b64 exec, exec, s[16:17]
	v_cmp_lt_u32_e32 vcc, v32, v13
	s_and_saveexec_b64 s[16:17], vcc
	s_cbranch_execz .LBB1562_54
.LBB1562_47:                            ;   in Loop: Header=BB1562_24 Depth=2
	v_xor_b32_e32 v4, -1, v11
	v_and_b32_e32 v4, 1, v4
	v_lshrrev_b32_sdwa v4, s83, v4 dst_sel:DWORD dst_unused:UNUSED_PAD src0_sel:DWORD src1_sel:WORD_0
	v_and_b32_e32 v4, s84, v4
	v_lshlrev_b32_e32 v5, 2, v27
	v_lshl_or_b32 v4, v4, 4, v5
	ds_add_u32 v4, v63
	s_or_b64 exec, exec, s[16:17]
	v_cmp_lt_u32_e32 vcc, v33, v13
	s_and_saveexec_b64 s[16:17], vcc
	s_cbranch_execz .LBB1562_23
	s_branch .LBB1562_55
.LBB1562_48:                            ;   in Loop: Header=BB1562_24 Depth=2
	s_or_b64 exec, exec, s[16:17]
	v_cmp_lt_u32_e32 vcc, v24, v13
	s_and_saveexec_b64 s[16:17], vcc
	s_cbranch_execz .LBB1562_42
.LBB1562_49:                            ;   in Loop: Header=BB1562_24 Depth=2
	v_xor_b32_e32 v4, -1, v6
	v_and_b32_e32 v4, 1, v4
	v_lshrrev_b32_sdwa v4, s83, v4 dst_sel:DWORD dst_unused:UNUSED_PAD src0_sel:DWORD src1_sel:WORD_0
	v_and_b32_e32 v4, s84, v4
	v_lshlrev_b32_e32 v5, 2, v27
	v_lshl_or_b32 v4, v4, 4, v5
	ds_add_u32 v4, v63
	s_or_b64 exec, exec, s[16:17]
	v_cmp_lt_u32_e32 vcc, v25, v13
	s_and_saveexec_b64 s[16:17], vcc
	s_cbranch_execnz .LBB1562_43
.LBB1562_50:                            ;   in Loop: Header=BB1562_24 Depth=2
	s_or_b64 exec, exec, s[16:17]
	v_cmp_lt_u32_e32 vcc, v26, v13
	s_and_saveexec_b64 s[16:17], vcc
	s_cbranch_execz .LBB1562_44
.LBB1562_51:                            ;   in Loop: Header=BB1562_24 Depth=2
	v_xor_b32_e32 v4, -1, v8
	v_and_b32_e32 v4, 1, v4
	v_lshrrev_b32_sdwa v4, s83, v4 dst_sel:DWORD dst_unused:UNUSED_PAD src0_sel:DWORD src1_sel:WORD_0
	v_and_b32_e32 v4, s84, v4
	v_lshlrev_b32_e32 v5, 2, v27
	v_lshl_or_b32 v4, v4, 4, v5
	ds_add_u32 v4, v63
	s_or_b64 exec, exec, s[16:17]
	v_cmp_lt_u32_e32 vcc, v30, v13
	s_and_saveexec_b64 s[16:17], vcc
	s_cbranch_execnz .LBB1562_45
.LBB1562_52:                            ;   in Loop: Header=BB1562_24 Depth=2
	s_or_b64 exec, exec, s[16:17]
	v_cmp_lt_u32_e32 vcc, v31, v13
	s_and_saveexec_b64 s[16:17], vcc
	s_cbranch_execz .LBB1562_46
.LBB1562_53:                            ;   in Loop: Header=BB1562_24 Depth=2
	v_xor_b32_e32 v4, -1, v10
	v_and_b32_e32 v4, 1, v4
	v_lshrrev_b32_sdwa v4, s83, v4 dst_sel:DWORD dst_unused:UNUSED_PAD src0_sel:DWORD src1_sel:WORD_0
	v_and_b32_e32 v4, s84, v4
	v_lshlrev_b32_e32 v5, 2, v27
	v_lshl_or_b32 v4, v4, 4, v5
	ds_add_u32 v4, v63
	s_or_b64 exec, exec, s[16:17]
	v_cmp_lt_u32_e32 vcc, v32, v13
	s_and_saveexec_b64 s[16:17], vcc
	s_cbranch_execnz .LBB1562_47
.LBB1562_54:                            ;   in Loop: Header=BB1562_24 Depth=2
	s_or_b64 exec, exec, s[16:17]
	v_cmp_lt_u32_e32 vcc, v33, v13
	s_and_saveexec_b64 s[16:17], vcc
	s_cbranch_execz .LBB1562_23
.LBB1562_55:                            ;   in Loop: Header=BB1562_24 Depth=2
	s_waitcnt vmcnt(0)
	v_xor_b32_e32 v4, -1, v12
	v_and_b32_e32 v4, 1, v4
	v_lshrrev_b32_sdwa v4, s83, v4 dst_sel:DWORD dst_unused:UNUSED_PAD src0_sel:DWORD src1_sel:WORD_0
	v_and_b32_e32 v4, s84, v4
	v_lshlrev_b32_e32 v5, 2, v27
	v_lshl_or_b32 v4, v4, 4, v5
	ds_add_u32 v4, v63
	s_branch .LBB1562_23
.LBB1562_56:                            ;   in Loop: Header=BB1562_24 Depth=2
	s_or_b64 exec, exec, s[18:19]
	v_cmp_gt_u32_e32 vcc, s20, v24
	s_and_saveexec_b64 s[18:19], vcc
	s_cbranch_execz .LBB1562_30
.LBB1562_57:                            ;   in Loop: Header=BB1562_24 Depth=2
	v_mov_b32_e32 v5, s24
	v_add_co_u32_e32 v4, vcc, s23, v2
	v_addc_co_u32_e32 v5, vcc, 0, v5, vcc
	global_load_ubyte v6, v[4:5], off offset:256
	s_or_b64 exec, exec, s[18:19]
	v_cmp_gt_u32_e32 vcc, s20, v25
	s_and_saveexec_b64 s[18:19], vcc
	s_cbranch_execnz .LBB1562_31
.LBB1562_58:                            ;   in Loop: Header=BB1562_24 Depth=2
	s_or_b64 exec, exec, s[18:19]
	v_cmp_gt_u32_e32 vcc, s20, v26
	s_and_saveexec_b64 s[18:19], vcc
	s_cbranch_execz .LBB1562_32
.LBB1562_59:                            ;   in Loop: Header=BB1562_24 Depth=2
	v_mov_b32_e32 v5, s24
	v_add_co_u32_e32 v4, vcc, s23, v2
	v_addc_co_u32_e32 v5, vcc, 0, v5, vcc
	global_load_ubyte v8, v[4:5], off offset:768
	s_or_b64 exec, exec, s[18:19]
	v_cmp_gt_u32_e32 vcc, s20, v30
	s_and_saveexec_b64 s[18:19], vcc
	s_cbranch_execnz .LBB1562_33
.LBB1562_60:                            ;   in Loop: Header=BB1562_24 Depth=2
	s_or_b64 exec, exec, s[18:19]
	v_cmp_gt_u32_e32 vcc, s20, v31
	s_and_saveexec_b64 s[18:19], vcc
	s_cbranch_execz .LBB1562_34
.LBB1562_61:                            ;   in Loop: Header=BB1562_24 Depth=2
	v_mov_b32_e32 v5, s24
	v_add_co_u32_e32 v4, vcc, s23, v2
	v_addc_co_u32_e32 v5, vcc, 0, v5, vcc
	global_load_ubyte v10, v[4:5], off offset:1280
	s_or_b64 exec, exec, s[18:19]
	v_cmp_gt_u32_e32 vcc, s20, v32
	s_and_saveexec_b64 s[18:19], vcc
	s_cbranch_execz .LBB1562_36
	s_branch .LBB1562_35
.LBB1562_62:                            ;   in Loop: Header=BB1562_20 Depth=1
	v_mov_b32_e32 v0, 0
	s_waitcnt lgkmcnt(0)
	s_barrier
	s_and_saveexec_b64 s[16:17], s[4:5]
	s_cbranch_execz .LBB1562_64
; %bb.63:                               ;   in Loop: Header=BB1562_20 Depth=1
	ds_read2_b64 v[4:7], v34 offset1:1
	s_waitcnt lgkmcnt(0)
	v_add_u32_e32 v0, v5, v4
	v_add3_u32 v0, v0, v6, v7
.LBB1562_64:                            ;   in Loop: Header=BB1562_20 Depth=1
	s_or_b64 exec, exec, s[16:17]
	v_and_b32_e32 v4, 15, v64
	v_mov_b32_dpp v5, v0 row_shr:1 row_mask:0xf bank_mask:0xf
	v_cmp_eq_u32_e64 s[16:17], 0, v4
	v_cndmask_b32_e64 v5, v5, 0, s[16:17]
	v_add_u32_e32 v0, v5, v0
	v_cmp_lt_u32_e64 s[18:19], 1, v4
	v_cmp_lt_u32_e64 s[20:21], 3, v4
	v_mov_b32_dpp v5, v0 row_shr:2 row_mask:0xf bank_mask:0xf
	v_cndmask_b32_e64 v5, 0, v5, s[18:19]
	v_add_u32_e32 v0, v0, v5
	v_cmp_lt_u32_e64 s[22:23], 7, v4
	v_cmp_lt_u32_e64 s[26:27], 31, v64
	v_mov_b32_dpp v5, v0 row_shr:4 row_mask:0xf bank_mask:0xf
	v_cndmask_b32_e64 v5, 0, v5, s[20:21]
	v_add_u32_e32 v0, v0, v5
	v_and_b32_e32 v6, 16, v64
	v_cmp_eq_u32_e64 s[24:25], 0, v6
	v_mov_b32_dpp v5, v0 row_shr:8 row_mask:0xf bank_mask:0xf
	v_cndmask_b32_e64 v4, 0, v5, s[22:23]
	v_add_u32_e32 v0, v0, v4
	v_bfe_i32 v5, v64, 4, 1
	s_nop 0
	v_mov_b32_dpp v4, v0 row_bcast:15 row_mask:0xf bank_mask:0xf
	v_and_b32_e32 v4, v5, v4
	v_add_u32_e32 v0, v0, v4
	s_nop 1
	v_mov_b32_dpp v4, v0 row_bcast:31 row_mask:0xf bank_mask:0xf
	v_cndmask_b32_e64 v4, 0, v4, s[26:27]
	v_add_u32_e32 v4, v0, v4
	s_and_saveexec_b64 s[28:29], s[6:7]
	s_cbranch_execz .LBB1562_66
; %bb.65:                               ;   in Loop: Header=BB1562_20 Depth=1
	ds_write_b32 v36, v4
.LBB1562_66:                            ;   in Loop: Header=BB1562_20 Depth=1
	s_or_b64 exec, exec, s[28:29]
	v_and_b32_e32 v0, 3, v64
	s_waitcnt lgkmcnt(0)
	s_barrier
	s_and_saveexec_b64 s[28:29], s[8:9]
	s_cbranch_execz .LBB1562_68
; %bb.67:                               ;   in Loop: Header=BB1562_20 Depth=1
	ds_read_b32 v5, v37
	v_cmp_ne_u32_e32 vcc, 0, v0
	s_waitcnt lgkmcnt(0)
	v_mov_b32_dpp v6, v5 row_shr:1 row_mask:0xf bank_mask:0xf
	v_cndmask_b32_e32 v6, 0, v6, vcc
	v_add_u32_e32 v5, v6, v5
	v_cmp_lt_u32_e32 vcc, 1, v0
	s_nop 0
	v_mov_b32_dpp v6, v5 row_shr:2 row_mask:0xf bank_mask:0xf
	v_cndmask_b32_e32 v6, 0, v6, vcc
	v_add_u32_e32 v5, v5, v6
	ds_write_b32 v37, v5
.LBB1562_68:                            ;   in Loop: Header=BB1562_20 Depth=1
	s_or_b64 exec, exec, s[28:29]
	v_mov_b32_e32 v5, 0
	s_waitcnt lgkmcnt(0)
	s_barrier
	s_and_saveexec_b64 s[28:29], s[10:11]
	s_cbranch_execz .LBB1562_70
; %bb.69:                               ;   in Loop: Header=BB1562_20 Depth=1
	ds_read_b32 v5, v38
.LBB1562_70:                            ;   in Loop: Header=BB1562_20 Depth=1
	s_or_b64 exec, exec, s[28:29]
	v_add_u32_e32 v6, -1, v64
	v_and_b32_e32 v7, 64, v64
	v_cmp_lt_i32_e32 vcc, v6, v7
	v_cndmask_b32_e32 v6, v6, v64, vcc
	s_waitcnt lgkmcnt(0)
	v_add_u32_e32 v4, v5, v4
	v_lshlrev_b32_e32 v65, 2, v6
	ds_bpermute_b32 v4, v65, v4
	v_cmp_eq_u32_e64 s[28:29], 0, v64
	s_waitcnt lgkmcnt(0)
	s_barrier
	s_and_saveexec_b64 s[30:31], s[4:5]
	s_cbranch_execz .LBB1562_72
; %bb.71:                               ;   in Loop: Header=BB1562_20 Depth=1
	v_cndmask_b32_e64 v4, v4, v5, s[28:29]
	v_add_u32_e32 v4, s51, v4
	ds_write_b32 v3, v4
.LBB1562_72:                            ;   in Loop: Header=BB1562_20 Depth=1
	s_or_b64 exec, exec, s[30:31]
	s_load_dword s30, s[74:75], 0x4
	s_load_dword s36, s[74:75], 0xc
	v_cmp_lt_u32_e64 s[34:35], 1, v0
	s_mov_b32 s85, s71
	s_mov_b32 s72, s51
	s_waitcnt lgkmcnt(0)
	s_cmp_lt_u32 s33, s30
	s_cselect_b32 s30, 14, 20
	s_add_u32 s30, s74, s30
	s_addc_u32 s31, s75, 0
	global_load_ushort v20, v1, s[30:31]
	v_cmp_eq_u32_e64 s[30:31], 0, v0
	v_and_b32_e32 v0, 63, v64
	v_add_co_u32_e32 v74, vcc, v48, v0
	v_lshlrev_b32_e32 v21, 3, v0
	v_addc_co_u32_e32 v76, vcc, 0, v49, vcc
	v_add_co_u32_e32 v77, vcc, v46, v21
	v_or_b32_e32 v72, v0, v39
	v_addc_co_u32_e32 v78, vcc, 0, v47, vcc
	s_and_b32 s36, s36, 0xffff
	v_add_co_u32_e32 v86, vcc, 0x1c0, v74
	v_or_b32_e32 v79, 64, v72
	v_or_b32_e32 v80, 0x80, v72
	;; [unrolled: 1-line block ×7, first 2 shown]
	v_addc_co_u32_e32 v87, vcc, 0, v76, vcc
                                        ; implicit-def: $vgpr4_vgpr5
                                        ; implicit-def: $vgpr6_vgpr7
                                        ; implicit-def: $vgpr8_vgpr9
                                        ; implicit-def: $vgpr10_vgpr11
                                        ; implicit-def: $vgpr12_vgpr13
                                        ; implicit-def: $vgpr14_vgpr15
                                        ; implicit-def: $vgpr16_vgpr17
                                        ; implicit-def: $vgpr18_vgpr19
                                        ; implicit-def: $vgpr66
                                        ; implicit-def: $vgpr67
                                        ; implicit-def: $vgpr68
                                        ; implicit-def: $vgpr69
                                        ; implicit-def: $vgpr70
                                        ; implicit-def: $vgpr71
                                        ; implicit-def: $vgpr73
                                        ; implicit-def: $vgpr75
	s_waitcnt vmcnt(0)
	v_mad_u32_u24 v0, v40, v20, v41
	v_mad_u64_u32 v[20:21], s[36:37], v0, s36, v[2:3]
	v_lshrrev_b32_e32 v88, 6, v20
	s_branch .LBB1562_74
.LBB1562_73:                            ;   in Loop: Header=BB1562_74 Depth=2
	s_or_b64 exec, exec, s[36:37]
	s_addk_i32 s85, 0xf800
	s_cmp_lt_u32 s86, s76
	s_mov_b32 s72, s86
	s_cbranch_scc0 .LBB1562_186
.LBB1562_74:                            ;   Parent Loop BB1562_20 Depth=1
                                        ; =>  This Inner Loop Header: Depth=2
	s_add_i32 s86, s72, 0x800
	s_cmp_gt_u32 s86, s76
	s_cbranch_scc1 .LBB1562_76
; %bb.75:                               ;   in Loop: Header=BB1562_74 Depth=2
	v_add_co_u32_e32 v20, vcc, s72, v74
	v_addc_co_u32_e32 v21, vcc, 0, v76, vcc
	global_load_ubyte v0, v[20:21], off offset:64
	global_load_ubyte v22, v[20:21], off offset:192
	global_load_ubyte v23, v[20:21], off offset:320
	global_load_ubyte v89, v[20:21], off
	global_load_ubyte v90, v[20:21], off offset:128
	global_load_ubyte v91, v[20:21], off offset:256
	s_nop 0
	global_load_ubyte v21, v[20:21], off offset:384
	s_mov_b64 s[36:37], -1
	s_movk_i32 s40, 0x800
	s_waitcnt vmcnt(6)
	v_lshlrev_b16_e32 v0, 8, v0
	s_waitcnt vmcnt(5)
	v_lshlrev_b16_e32 v20, 8, v22
	;; [unrolled: 2-line block ×3, first 2 shown]
	s_waitcnt vmcnt(3)
	v_or_b32_e32 v0, v89, v0
	s_waitcnt vmcnt(2)
	v_or_b32_sdwa v20, v90, v20 dst_sel:WORD_1 dst_unused:UNUSED_PAD src0_sel:DWORD src1_sel:DWORD
	s_waitcnt vmcnt(1)
	v_or_b32_e32 v22, v91, v22
	v_or_b32_sdwa v20, v0, v20 dst_sel:DWORD dst_unused:UNUSED_PAD src0_sel:WORD_0 src1_sel:DWORD
	v_and_b32_e32 v0, 0xffff, v22
	s_waitcnt vmcnt(0)
	v_lshl_or_b32 v21, v21, 16, v0
	s_cbranch_execz .LBB1562_77
	s_branch .LBB1562_86
.LBB1562_76:                            ;   in Loop: Header=BB1562_74 Depth=2
	s_mov_b64 s[36:37], 0
                                        ; implicit-def: $sgpr40
                                        ; implicit-def: $vgpr20_vgpr21
.LBB1562_77:                            ;   in Loop: Header=BB1562_74 Depth=2
	v_add_co_u32_e32 v22, vcc, s72, v74
	v_addc_co_u32_e32 v23, vcc, 0, v76, vcc
	s_mov_b32 s36, s73
	s_mov_b32 s37, s73
	v_cmp_gt_u32_e32 vcc, s85, v72
	v_pk_mov_b32 v[20:21], s[36:37], s[36:37] op_sel:[0,1]
	s_and_saveexec_b64 s[36:37], vcc
	s_cbranch_execz .LBB1562_180
; %bb.78:                               ;   in Loop: Header=BB1562_74 Depth=2
	global_load_ubyte v0, v[22:23], off
	v_mov_b32_e32 v21, s73
	s_waitcnt vmcnt(0)
	v_and_b32_e32 v20, 0xffff, v0
	s_or_b64 exec, exec, s[36:37]
	v_cmp_gt_u32_e32 vcc, s85, v79
	s_and_saveexec_b64 s[36:37], vcc
	s_cbranch_execnz .LBB1562_181
.LBB1562_79:                            ;   in Loop: Header=BB1562_74 Depth=2
	s_or_b64 exec, exec, s[36:37]
	v_cmp_gt_u32_e32 vcc, s85, v80
	s_and_saveexec_b64 s[36:37], vcc
	s_cbranch_execz .LBB1562_182
.LBB1562_80:                            ;   in Loop: Header=BB1562_74 Depth=2
	global_load_ubyte v0, v[22:23], off offset:128
	v_and_b32_sdwa v89, v20, s79 dst_sel:DWORD dst_unused:UNUSED_PAD src0_sel:WORD_1 src1_sel:DWORD
	s_waitcnt vmcnt(0)
	v_or_b32_sdwa v0, v0, v89 dst_sel:WORD_1 dst_unused:UNUSED_PAD src0_sel:DWORD src1_sel:DWORD
	v_and_or_b32 v20, v20, s77, v0
	s_or_b64 exec, exec, s[36:37]
	v_cmp_gt_u32_e32 vcc, s85, v81
	s_and_saveexec_b64 s[36:37], vcc
	s_cbranch_execnz .LBB1562_183
.LBB1562_81:                            ;   in Loop: Header=BB1562_74 Depth=2
	s_or_b64 exec, exec, s[36:37]
	v_cmp_gt_u32_e32 vcc, s85, v82
	s_and_saveexec_b64 s[36:37], vcc
	s_cbranch_execz .LBB1562_184
.LBB1562_82:                            ;   in Loop: Header=BB1562_74 Depth=2
	global_load_ubyte v0, v[22:23], off offset:256
	s_waitcnt vmcnt(0)
	v_perm_b32 v21, v0, v21, s80
	s_or_b64 exec, exec, s[36:37]
	v_cmp_gt_u32_e32 vcc, s85, v83
	s_and_saveexec_b64 s[36:37], vcc
	s_cbranch_execnz .LBB1562_185
.LBB1562_83:                            ;   in Loop: Header=BB1562_74 Depth=2
	s_or_b64 exec, exec, s[36:37]
	v_cmp_gt_u32_e32 vcc, s85, v84
	s_and_saveexec_b64 s[36:37], vcc
	s_cbranch_execz .LBB1562_85
.LBB1562_84:                            ;   in Loop: Header=BB1562_74 Depth=2
	global_load_ubyte v0, v[22:23], off offset:384
	s_waitcnt vmcnt(0)
	v_perm_b32 v21, v21, v0, s81
.LBB1562_85:                            ;   in Loop: Header=BB1562_74 Depth=2
	s_or_b64 exec, exec, s[36:37]
	s_sub_i32 s40, s76, s72
	v_cmp_gt_u32_e64 s[36:37], s85, v85
.LBB1562_86:                            ;   in Loop: Header=BB1562_74 Depth=2
	v_mov_b32_e32 v0, s85
	s_and_saveexec_b64 s[38:39], s[36:37]
	s_cbranch_execz .LBB1562_88
; %bb.87:                               ;   in Loop: Header=BB1562_74 Depth=2
	v_mov_b32_e32 v0, s73
	v_add_co_u32_e32 v22, vcc, s72, v86
	v_addc_co_u32_e32 v23, vcc, v87, v0, vcc
	global_load_ubyte v0, v[22:23], off
	s_waitcnt vmcnt(0)
	v_perm_b32 v21, v21, v0, s82
	v_mov_b32_e32 v0, s40
.LBB1562_88:                            ;   in Loop: Header=BB1562_74 Depth=2
	s_or_b64 exec, exec, s[38:39]
	v_and_b32_sdwa v22, v63, v20 dst_sel:DWORD dst_unused:UNUSED_PAD src0_sel:DWORD src1_sel:BYTE_1
	v_cmp_eq_u32_e64 s[46:47], 1, v22
	v_and_b32_sdwa v22, v63, v21 dst_sel:DWORD dst_unused:UNUSED_PAD src0_sel:DWORD src1_sel:BYTE_1
	v_cmp_eq_u32_e64 s[38:39], 1, v22
	v_and_b32_e32 v22, 0x1000000, v21
	v_cmp_ne_u32_e32 vcc, 0, v22
	v_and_b32_e32 v22, 0x10000, v21
	v_and_b32_e32 v21, 1, v21
	v_cmp_eq_u32_e64 s[40:41], 1, v21
	v_and_b32_e32 v21, 0x1000000, v20
	v_cmp_ne_u32_e64 s[42:43], 0, v21
	v_and_b32_e32 v21, 0x10000, v20
	v_and_b32_e32 v20, 1, v20
	v_cmp_eq_u32_e64 s[48:49], 1, v20
	s_xor_b64 s[48:49], s[48:49], -1
	v_add_u32_e32 v20, 0x410, v42
	v_cndmask_b32_e64 v89, 0, 1, s[48:49]
	ds_write2_b32 v20, v1, v1 offset1:1
	ds_write2_b32 v44, v1, v1 offset0:2 offset1:3
	ds_write_b32 v44, v1 offset:16
	v_lshrrev_b32_e32 v20, s83, v89
	v_and_b32_e32 v20, s84, v20
	v_cmp_ne_u32_e64 s[44:45], 0, v21
	v_mad_u32_u24 v21, v20, 5, v88
	v_cmp_ne_u32_e64 s[48:49], 0, v20
	v_add_co_u32_e64 v20, s[52:53], -1, v20
	v_lshl_add_u32 v92, v21, 2, v43
	v_addc_co_u32_e64 v21, s[52:53], 0, -1, s[52:53]
	v_xor_b32_e32 v20, s48, v20
	v_xor_b32_e32 v21, s49, v21
	v_and_b32_e32 v20, exec_lo, v20
	v_cmp_ne_u32_e64 s[36:37], 0, v22
	v_and_b32_e32 v21, exec_hi, v21
	v_mbcnt_lo_u32_b32 v22, v20, 0
	v_mbcnt_hi_u32_b32 v90, v21, v22
	v_cmp_eq_u32_e64 s[48:49], 0, v90
	v_cmp_ne_u64_e64 s[52:53], 0, v[20:21]
	s_and_b64 s[52:53], s[52:53], s[48:49]
	s_waitcnt lgkmcnt(0)
	s_barrier
	s_waitcnt lgkmcnt(0)
	; wave barrier
	s_and_saveexec_b64 s[48:49], s[52:53]
	s_cbranch_execz .LBB1562_90
; %bb.89:                               ;   in Loop: Header=BB1562_74 Depth=2
	v_bcnt_u32_b32 v20, v20, 0
	v_bcnt_u32_b32 v20, v21, v20
	ds_write_b32 v92, v20
.LBB1562_90:                            ;   in Loop: Header=BB1562_74 Depth=2
	s_or_b64 exec, exec, s[48:49]
	s_xor_b64 s[46:47], s[46:47], -1
	v_cndmask_b32_e64 v91, 0, 1, s[46:47]
	v_lshrrev_b32_e32 v20, s83, v91
	v_and_b32_e32 v20, s84, v20
	v_mul_u32_u24_e32 v21, 5, v20
	v_add_lshl_u32 v21, v21, v88, 2
	v_cmp_ne_u32_e64 s[46:47], 0, v20
	v_add_co_u32_e64 v20, s[48:49], -1, v20
	; wave barrier
	v_add_u32_e32 v95, 0x410, v21
	ds_read_b32 v93, v21 offset:1040
	v_addc_co_u32_e64 v21, s[48:49], 0, -1, s[48:49]
	v_xor_b32_e32 v20, s46, v20
	v_xor_b32_e32 v21, s47, v21
	v_and_b32_e32 v20, exec_lo, v20
	v_and_b32_e32 v21, exec_hi, v21
	v_mbcnt_lo_u32_b32 v22, v20, 0
	v_mbcnt_hi_u32_b32 v94, v21, v22
	v_cmp_eq_u32_e64 s[46:47], 0, v94
	v_cmp_ne_u64_e64 s[48:49], 0, v[20:21]
	s_and_b64 s[48:49], s[48:49], s[46:47]
	; wave barrier
	s_and_saveexec_b64 s[46:47], s[48:49]
	s_cbranch_execz .LBB1562_92
; %bb.91:                               ;   in Loop: Header=BB1562_74 Depth=2
	v_bcnt_u32_b32 v20, v20, 0
	v_bcnt_u32_b32 v20, v21, v20
	s_waitcnt lgkmcnt(0)
	v_add_u32_e32 v20, v93, v20
	ds_write_b32 v95, v20
.LBB1562_92:                            ;   in Loop: Header=BB1562_74 Depth=2
	s_or_b64 exec, exec, s[46:47]
	s_xor_b64 s[44:45], s[44:45], -1
	v_cndmask_b32_e64 v98, 0, 1, s[44:45]
	v_lshrrev_b32_e32 v20, s83, v98
	v_and_b32_e32 v20, s84, v20
	v_mul_u32_u24_e32 v21, 5, v20
	v_add_lshl_u32 v21, v21, v88, 2
	v_cmp_ne_u32_e64 s[44:45], 0, v20
	v_add_co_u32_e64 v20, s[46:47], -1, v20
	; wave barrier
	v_add_u32_e32 v96, 0x410, v21
	ds_read_b32 v99, v21 offset:1040
	v_addc_co_u32_e64 v21, s[46:47], 0, -1, s[46:47]
	v_xor_b32_e32 v20, s44, v20
	v_xor_b32_e32 v21, s45, v21
	v_and_b32_e32 v20, exec_lo, v20
	v_and_b32_e32 v21, exec_hi, v21
	v_mbcnt_lo_u32_b32 v22, v20, 0
	v_mbcnt_hi_u32_b32 v100, v21, v22
	v_cmp_eq_u32_e64 s[44:45], 0, v100
	v_cmp_ne_u64_e64 s[46:47], 0, v[20:21]
	s_and_b64 s[46:47], s[46:47], s[44:45]
	; wave barrier
	s_and_saveexec_b64 s[44:45], s[46:47]
	s_cbranch_execz .LBB1562_94
; %bb.93:                               ;   in Loop: Header=BB1562_74 Depth=2
	v_bcnt_u32_b32 v20, v20, 0
	v_bcnt_u32_b32 v20, v21, v20
	s_waitcnt lgkmcnt(0)
	v_add_u32_e32 v20, v99, v20
	ds_write_b32 v96, v20
.LBB1562_94:                            ;   in Loop: Header=BB1562_74 Depth=2
	;; [unrolled: 32-line block ×4, first 2 shown]
	s_or_b64 exec, exec, s[40:41]
	s_xor_b64 s[38:39], s[38:39], -1
	v_cndmask_b32_e64 v107, 0, 1, s[38:39]
	v_lshrrev_b32_e32 v20, s83, v107
	v_and_b32_e32 v20, s84, v20
	v_mul_u32_u24_e32 v21, 5, v20
	v_add_lshl_u32 v21, v21, v88, 2
	v_cmp_ne_u32_e64 s[38:39], 0, v20
	v_add_co_u32_e64 v20, s[40:41], -1, v20
	; wave barrier
	v_add_u32_e32 v112, 0x410, v21
	ds_read_b32 v109, v21 offset:1040
	v_addc_co_u32_e64 v21, s[40:41], 0, -1, s[40:41]
	v_xor_b32_e32 v20, s38, v20
	v_xor_b32_e32 v21, s39, v21
	v_and_b32_e32 v20, exec_lo, v20
	v_and_b32_e32 v21, exec_hi, v21
	v_mbcnt_lo_u32_b32 v22, v20, 0
	v_mbcnt_hi_u32_b32 v110, v21, v22
	v_cmp_eq_u32_e64 s[38:39], 0, v110
	v_cmp_ne_u64_e64 s[40:41], 0, v[20:21]
	s_and_b64 s[40:41], s[40:41], s[38:39]
	; wave barrier
	s_and_saveexec_b64 s[38:39], s[40:41]
	s_cbranch_execz .LBB1562_100
; %bb.99:                               ;   in Loop: Header=BB1562_74 Depth=2
	v_bcnt_u32_b32 v20, v20, 0
	v_bcnt_u32_b32 v20, v21, v20
	s_waitcnt lgkmcnt(0)
	v_add_u32_e32 v20, v109, v20
	ds_write_b32 v112, v20
.LBB1562_100:                           ;   in Loop: Header=BB1562_74 Depth=2
	s_or_b64 exec, exec, s[38:39]
	s_xor_b64 s[36:37], s[36:37], -1
	v_cndmask_b32_e64 v111, 0, 1, s[36:37]
	v_lshrrev_b32_e32 v20, s83, v111
	v_and_b32_e32 v20, s84, v20
	v_mul_u32_u24_e32 v21, 5, v20
	v_add_lshl_u32 v21, v21, v88, 2
	v_cmp_ne_u32_e64 s[36:37], 0, v20
	v_add_co_u32_e64 v20, s[38:39], -1, v20
	; wave barrier
	v_add_u32_e32 v116, 0x410, v21
	ds_read_b32 v113, v21 offset:1040
	v_addc_co_u32_e64 v21, s[38:39], 0, -1, s[38:39]
	v_xor_b32_e32 v20, s36, v20
	v_xor_b32_e32 v21, s37, v21
	v_and_b32_e32 v20, exec_lo, v20
	v_and_b32_e32 v21, exec_hi, v21
	v_mbcnt_lo_u32_b32 v22, v20, 0
	v_mbcnt_hi_u32_b32 v114, v21, v22
	v_cmp_eq_u32_e64 s[36:37], 0, v114
	v_cmp_ne_u64_e64 s[38:39], 0, v[20:21]
	s_and_b64 s[38:39], s[38:39], s[36:37]
	; wave barrier
	s_and_saveexec_b64 s[36:37], s[38:39]
	s_cbranch_execz .LBB1562_102
; %bb.101:                              ;   in Loop: Header=BB1562_74 Depth=2
	v_bcnt_u32_b32 v20, v20, 0
	v_bcnt_u32_b32 v20, v21, v20
	s_waitcnt lgkmcnt(0)
	v_add_u32_e32 v20, v113, v20
	ds_write_b32 v116, v20
.LBB1562_102:                           ;   in Loop: Header=BB1562_74 Depth=2
	s_or_b64 exec, exec, s[36:37]
	s_xor_b64 s[36:37], vcc, -1
	v_cndmask_b32_e64 v115, 0, 1, s[36:37]
	v_lshrrev_b32_e32 v20, s83, v115
	v_and_b32_e32 v20, s84, v20
	v_mul_u32_u24_e32 v21, 5, v20
	v_add_lshl_u32 v21, v21, v88, 2
	v_cmp_ne_u32_e32 vcc, 0, v20
	v_add_co_u32_e64 v20, s[36:37], -1, v20
	; wave barrier
	v_add_u32_e32 v119, 0x410, v21
	ds_read_b32 v117, v21 offset:1040
	v_addc_co_u32_e64 v21, s[36:37], 0, -1, s[36:37]
	v_xor_b32_e32 v20, vcc_lo, v20
	v_xor_b32_e32 v21, vcc_hi, v21
	v_and_b32_e32 v20, exec_lo, v20
	v_and_b32_e32 v21, exec_hi, v21
	v_mbcnt_lo_u32_b32 v22, v20, 0
	v_mbcnt_hi_u32_b32 v118, v21, v22
	v_cmp_eq_u32_e32 vcc, 0, v118
	v_cmp_ne_u64_e64 s[36:37], 0, v[20:21]
	s_and_b64 s[38:39], s[36:37], vcc
	; wave barrier
	s_and_saveexec_b64 s[36:37], s[38:39]
	s_cbranch_execz .LBB1562_104
; %bb.103:                              ;   in Loop: Header=BB1562_74 Depth=2
	v_bcnt_u32_b32 v20, v20, 0
	v_bcnt_u32_b32 v20, v21, v20
	s_waitcnt lgkmcnt(0)
	v_add_u32_e32 v20, v117, v20
	ds_write_b32 v119, v20
.LBB1562_104:                           ;   in Loop: Header=BB1562_74 Depth=2
	s_or_b64 exec, exec, s[36:37]
	; wave barrier
	s_waitcnt lgkmcnt(0)
	s_barrier
	ds_read_b32 v120, v42 offset:1040
	ds_read2_b32 v[22:23], v44 offset0:1 offset1:2
	ds_read2_b32 v[20:21], v44 offset0:3 offset1:4
	s_waitcnt lgkmcnt(1)
	v_add3_u32 v121, v22, v120, v23
	s_waitcnt lgkmcnt(0)
	v_add3_u32 v21, v121, v20, v21
	s_nop 1
	v_mov_b32_dpp v121, v21 row_shr:1 row_mask:0xf bank_mask:0xf
	v_cndmask_b32_e64 v121, v121, 0, s[16:17]
	v_add_u32_e32 v21, v121, v21
	s_nop 1
	v_mov_b32_dpp v121, v21 row_shr:2 row_mask:0xf bank_mask:0xf
	v_cndmask_b32_e64 v121, 0, v121, s[18:19]
	v_add_u32_e32 v21, v21, v121
	;; [unrolled: 4-line block ×4, first 2 shown]
	s_nop 1
	v_mov_b32_dpp v121, v21 row_bcast:15 row_mask:0xf bank_mask:0xf
	v_cndmask_b32_e64 v121, v121, 0, s[24:25]
	v_add_u32_e32 v21, v21, v121
	s_nop 1
	v_mov_b32_dpp v121, v21 row_bcast:31 row_mask:0xf bank_mask:0xf
	v_cndmask_b32_e64 v121, 0, v121, s[26:27]
	v_add_u32_e32 v21, v21, v121
	s_and_saveexec_b64 s[36:37], s[6:7]
	s_cbranch_execz .LBB1562_106
; %bb.105:                              ;   in Loop: Header=BB1562_74 Depth=2
	ds_write_b32 v35, v21 offset:1024
.LBB1562_106:                           ;   in Loop: Header=BB1562_74 Depth=2
	s_or_b64 exec, exec, s[36:37]
	s_waitcnt lgkmcnt(0)
	s_barrier
	s_and_saveexec_b64 s[36:37], s[8:9]
	s_cbranch_execz .LBB1562_108
; %bb.107:                              ;   in Loop: Header=BB1562_74 Depth=2
	v_add_u32_e32 v121, v42, v45
	ds_read_b32 v122, v121 offset:1024
	s_waitcnt lgkmcnt(0)
	s_nop 0
	v_mov_b32_dpp v123, v122 row_shr:1 row_mask:0xf bank_mask:0xf
	v_cndmask_b32_e64 v123, v123, 0, s[30:31]
	v_add_u32_e32 v122, v123, v122
	s_nop 1
	v_mov_b32_dpp v123, v122 row_shr:2 row_mask:0xf bank_mask:0xf
	v_cndmask_b32_e64 v123, 0, v123, s[34:35]
	v_add_u32_e32 v122, v122, v123
	ds_write_b32 v121, v122 offset:1024
.LBB1562_108:                           ;   in Loop: Header=BB1562_74 Depth=2
	s_or_b64 exec, exec, s[36:37]
	v_mov_b32_e32 v121, 0
	s_waitcnt lgkmcnt(0)
	s_barrier
	s_and_saveexec_b64 s[36:37], s[10:11]
	s_cbranch_execz .LBB1562_110
; %bb.109:                              ;   in Loop: Header=BB1562_74 Depth=2
	ds_read_b32 v121, v35 offset:1020
.LBB1562_110:                           ;   in Loop: Header=BB1562_74 Depth=2
	s_or_b64 exec, exec, s[36:37]
	s_waitcnt lgkmcnt(0)
	v_add_u32_e32 v21, v121, v21
	ds_bpermute_b32 v21, v65, v21
	s_waitcnt lgkmcnt(0)
	v_cndmask_b32_e64 v21, v21, v121, s[28:29]
	v_cndmask_b32_e64 v21, v21, 0, s[12:13]
	v_add_u32_e32 v120, v21, v120
	ds_write_b32 v42, v21 offset:1040
	v_add_u32_e32 v21, v120, v22
	v_add_u32_e32 v22, v21, v23
	v_add_u32_e32 v20, v22, v20
	ds_write2_b32 v44, v120, v21 offset0:1 offset1:2
	ds_write2_b32 v44, v22, v20 offset0:3 offset1:4
	s_waitcnt lgkmcnt(0)
	s_barrier
	ds_read_b32 v20, v95
	ds_read_b32 v21, v96
	ds_read_b32 v23, v97
	ds_read_b32 v108, v108
	ds_read_b32 v112, v112
	ds_read_b32 v116, v116
	ds_read_b32 v119, v119
	ds_read_b32 v92, v92
	ds_read_b32 v95, v42 offset:1040
	v_mov_b32_e32 v22, 0x800
	s_and_saveexec_b64 s[36:37], s[14:15]
	s_cbranch_execz .LBB1562_112
; %bb.111:                              ;   in Loop: Header=BB1562_74 Depth=2
	ds_read_b32 v22, v42 offset:1060
.LBB1562_112:                           ;   in Loop: Header=BB1562_74 Depth=2
	s_or_b64 exec, exec, s[36:37]
	s_waitcnt lgkmcnt(0)
	s_barrier
	s_and_saveexec_b64 s[36:37], s[4:5]
	s_cbranch_execz .LBB1562_114
; %bb.113:                              ;   in Loop: Header=BB1562_74 Depth=2
	ds_read_b32 v96, v3
	s_waitcnt lgkmcnt(0)
	v_sub_u32_e32 v95, v96, v95
	ds_write_b32 v3, v95
.LBB1562_114:                           ;   in Loop: Header=BB1562_74 Depth=2
	s_or_b64 exec, exec, s[36:37]
	v_add_u32_e32 v97, v92, v90
	v_add3_u32 v96, v94, v93, v20
	v_add3_u32 v95, v100, v99, v21
	v_add3_u32 v94, v103, v102, v23
	v_add3_u32 v93, v106, v105, v108
	v_add3_u32 v92, v110, v109, v112
	v_add3_u32 v90, v114, v113, v116
	v_add3_u32 v23, v118, v117, v119
	v_cmp_lt_u32_e64 s[48:49], v2, v0
	ds_write_b8 v97, v89 offset:1024
	ds_write_b8 v96, v91 offset:1024
	;; [unrolled: 1-line block ×8, first 2 shown]
	s_waitcnt lgkmcnt(0)
	s_barrier
	s_and_saveexec_b64 s[36:37], s[48:49]
	s_cbranch_execz .LBB1562_122
; %bb.115:                              ;   in Loop: Header=BB1562_74 Depth=2
	ds_read_u8 v20, v2 offset:1024
	s_waitcnt lgkmcnt(0)
	v_and_b32_e32 v21, 1, v20
	v_lshrrev_b32_e32 v21, s83, v21
	v_and_b32_e32 v21, s84, v21
	v_lshlrev_b32_e32 v21, 2, v21
	ds_read_b32 v21, v21
	v_xor_b32_e32 v20, 1, v20
	s_waitcnt lgkmcnt(0)
	v_add_u32_e32 v21, v21, v2
	global_store_byte v21, v20, s[58:59]
	s_or_b64 exec, exec, s[36:37]
	v_cmp_lt_u32_e64 s[46:47], v24, v0
	s_and_saveexec_b64 s[36:37], s[46:47]
	s_cbranch_execnz .LBB1562_123
.LBB1562_116:                           ;   in Loop: Header=BB1562_74 Depth=2
	s_or_b64 exec, exec, s[36:37]
	v_cmp_lt_u32_e64 s[44:45], v25, v0
	s_and_saveexec_b64 s[36:37], s[44:45]
	s_cbranch_execz .LBB1562_124
.LBB1562_117:                           ;   in Loop: Header=BB1562_74 Depth=2
	ds_read_u8 v20, v30 offset:512
	s_waitcnt lgkmcnt(0)
	v_and_b32_e32 v21, 1, v20
	v_lshrrev_b32_e32 v21, s83, v21
	v_and_b32_e32 v21, s84, v21
	v_lshlrev_b32_e32 v21, 2, v21
	ds_read_b32 v21, v21
	v_xor_b32_e32 v20, 1, v20
	s_waitcnt lgkmcnt(0)
	v_add_u32_e32 v21, v21, v25
	global_store_byte v21, v20, s[58:59]
	s_or_b64 exec, exec, s[36:37]
	v_cmp_lt_u32_e64 s[42:43], v26, v0
	s_and_saveexec_b64 s[36:37], s[42:43]
	s_cbranch_execnz .LBB1562_125
.LBB1562_118:                           ;   in Loop: Header=BB1562_74 Depth=2
	s_or_b64 exec, exec, s[36:37]
	v_cmp_lt_u32_e64 s[40:41], v30, v0
	s_and_saveexec_b64 s[36:37], s[40:41]
	s_cbranch_execz .LBB1562_126
.LBB1562_119:                           ;   in Loop: Header=BB1562_74 Depth=2
	ds_read_u8 v20, v30 offset:1024
	s_waitcnt lgkmcnt(0)
	v_and_b32_e32 v21, 1, v20
	v_lshrrev_b32_e32 v21, s83, v21
	v_and_b32_e32 v21, s84, v21
	v_lshlrev_b32_e32 v21, 2, v21
	ds_read_b32 v21, v21
	v_xor_b32_e32 v20, 1, v20
	s_waitcnt lgkmcnt(0)
	v_add_u32_e32 v21, v21, v30
	global_store_byte v21, v20, s[58:59]
	s_or_b64 exec, exec, s[36:37]
	v_cmp_lt_u32_e64 s[38:39], v31, v0
	s_and_saveexec_b64 s[36:37], s[38:39]
	s_cbranch_execnz .LBB1562_127
.LBB1562_120:                           ;   in Loop: Header=BB1562_74 Depth=2
	s_or_b64 exec, exec, s[36:37]
	v_cmp_lt_u32_e64 s[36:37], v32, v0
	s_and_saveexec_b64 s[52:53], s[36:37]
	s_cbranch_execz .LBB1562_128
.LBB1562_121:                           ;   in Loop: Header=BB1562_74 Depth=2
	ds_read_u8 v20, v30 offset:1536
	s_waitcnt lgkmcnt(0)
	v_and_b32_e32 v21, 1, v20
	v_lshrrev_b32_e32 v21, s83, v21
	v_and_b32_e32 v21, s84, v21
	v_lshlrev_b32_e32 v21, 2, v21
	ds_read_b32 v21, v21
	v_xor_b32_e32 v20, 1, v20
	s_waitcnt lgkmcnt(0)
	v_add_u32_e32 v21, v21, v32
	global_store_byte v21, v20, s[58:59]
	s_or_b64 exec, exec, s[52:53]
	v_cmp_lt_u32_e32 vcc, v33, v0
	s_and_saveexec_b64 s[52:53], vcc
	s_cbranch_execnz .LBB1562_129
	s_branch .LBB1562_130
.LBB1562_122:                           ;   in Loop: Header=BB1562_74 Depth=2
	s_or_b64 exec, exec, s[36:37]
	v_cmp_lt_u32_e64 s[46:47], v24, v0
	s_and_saveexec_b64 s[36:37], s[46:47]
	s_cbranch_execz .LBB1562_116
.LBB1562_123:                           ;   in Loop: Header=BB1562_74 Depth=2
	ds_read_u8 v20, v30 offset:256
	s_waitcnt lgkmcnt(0)
	v_and_b32_e32 v21, 1, v20
	v_lshrrev_b32_e32 v21, s83, v21
	v_and_b32_e32 v21, s84, v21
	v_lshlrev_b32_e32 v21, 2, v21
	ds_read_b32 v21, v21
	v_xor_b32_e32 v20, 1, v20
	s_waitcnt lgkmcnt(0)
	v_add_u32_e32 v21, v21, v24
	global_store_byte v21, v20, s[58:59]
	s_or_b64 exec, exec, s[36:37]
	v_cmp_lt_u32_e64 s[44:45], v25, v0
	s_and_saveexec_b64 s[36:37], s[44:45]
	s_cbranch_execnz .LBB1562_117
.LBB1562_124:                           ;   in Loop: Header=BB1562_74 Depth=2
	s_or_b64 exec, exec, s[36:37]
	v_cmp_lt_u32_e64 s[42:43], v26, v0
	s_and_saveexec_b64 s[36:37], s[42:43]
	s_cbranch_execz .LBB1562_118
.LBB1562_125:                           ;   in Loop: Header=BB1562_74 Depth=2
	ds_read_u8 v20, v30 offset:768
	s_waitcnt lgkmcnt(0)
	v_and_b32_e32 v21, 1, v20
	v_lshrrev_b32_e32 v21, s83, v21
	v_and_b32_e32 v21, s84, v21
	v_lshlrev_b32_e32 v21, 2, v21
	ds_read_b32 v21, v21
	v_xor_b32_e32 v20, 1, v20
	s_waitcnt lgkmcnt(0)
	v_add_u32_e32 v21, v21, v26
	global_store_byte v21, v20, s[58:59]
	s_or_b64 exec, exec, s[36:37]
	v_cmp_lt_u32_e64 s[40:41], v30, v0
	s_and_saveexec_b64 s[36:37], s[40:41]
	s_cbranch_execnz .LBB1562_119
.LBB1562_126:                           ;   in Loop: Header=BB1562_74 Depth=2
	s_or_b64 exec, exec, s[36:37]
	v_cmp_lt_u32_e64 s[38:39], v31, v0
	s_and_saveexec_b64 s[36:37], s[38:39]
	s_cbranch_execz .LBB1562_120
.LBB1562_127:                           ;   in Loop: Header=BB1562_74 Depth=2
	ds_read_u8 v20, v30 offset:1280
	s_waitcnt lgkmcnt(0)
	v_and_b32_e32 v21, 1, v20
	v_lshrrev_b32_e32 v21, s83, v21
	v_and_b32_e32 v21, s84, v21
	v_lshlrev_b32_e32 v21, 2, v21
	ds_read_b32 v21, v21
	v_xor_b32_e32 v20, 1, v20
	s_waitcnt lgkmcnt(0)
	v_add_u32_e32 v21, v21, v31
	global_store_byte v21, v20, s[58:59]
	s_or_b64 exec, exec, s[36:37]
	v_cmp_lt_u32_e64 s[36:37], v32, v0
	s_and_saveexec_b64 s[52:53], s[36:37]
	s_cbranch_execnz .LBB1562_121
.LBB1562_128:                           ;   in Loop: Header=BB1562_74 Depth=2
	s_or_b64 exec, exec, s[52:53]
	v_cmp_lt_u32_e32 vcc, v33, v0
	s_and_saveexec_b64 s[52:53], vcc
	s_cbranch_execz .LBB1562_130
.LBB1562_129:                           ;   in Loop: Header=BB1562_74 Depth=2
	ds_read_u8 v20, v30 offset:1792
	s_waitcnt lgkmcnt(0)
	v_and_b32_e32 v21, 1, v20
	v_lshrrev_b32_e32 v21, s83, v21
	v_and_b32_e32 v21, s84, v21
	v_lshlrev_b32_e32 v21, 2, v21
	ds_read_b32 v21, v21
	v_xor_b32_e32 v20, 1, v20
	s_waitcnt lgkmcnt(0)
	v_add_u32_e32 v21, v21, v33
	global_store_byte v21, v20, s[58:59]
.LBB1562_130:                           ;   in Loop: Header=BB1562_74 Depth=2
	s_or_b64 exec, exec, s[52:53]
	s_lshl_b64 s[52:53], s[72:73], 3
	v_mov_b32_e32 v21, s53
	v_add_co_u32_e64 v20, s[52:53], s52, v77
	v_addc_co_u32_e64 v21, s[52:53], v78, v21, s[52:53]
	v_cmp_lt_u32_e64 s[52:53], v72, v0
	s_and_saveexec_b64 s[62:63], s[52:53]
	s_xor_b64 s[52:53], exec, s[62:63]
	s_cbranch_execz .LBB1562_146
; %bb.131:                              ;   in Loop: Header=BB1562_74 Depth=2
	global_load_dwordx2 v[18:19], v[20:21], off
	s_or_b64 exec, exec, s[52:53]
	v_cmp_lt_u32_e64 s[52:53], v79, v0
	s_and_saveexec_b64 s[62:63], s[52:53]
	s_cbranch_execnz .LBB1562_147
.LBB1562_132:                           ;   in Loop: Header=BB1562_74 Depth=2
	s_or_b64 exec, exec, s[62:63]
	v_cmp_lt_u32_e64 s[52:53], v80, v0
	s_and_saveexec_b64 s[62:63], s[52:53]
	s_cbranch_execz .LBB1562_148
.LBB1562_133:                           ;   in Loop: Header=BB1562_74 Depth=2
	global_load_dwordx2 v[14:15], v[20:21], off offset:1024
	s_or_b64 exec, exec, s[62:63]
	v_cmp_lt_u32_e64 s[52:53], v81, v0
	s_and_saveexec_b64 s[62:63], s[52:53]
	s_cbranch_execnz .LBB1562_149
.LBB1562_134:                           ;   in Loop: Header=BB1562_74 Depth=2
	s_or_b64 exec, exec, s[62:63]
	v_cmp_lt_u32_e64 s[52:53], v82, v0
	s_and_saveexec_b64 s[62:63], s[52:53]
	s_cbranch_execz .LBB1562_150
.LBB1562_135:                           ;   in Loop: Header=BB1562_74 Depth=2
	global_load_dwordx2 v[10:11], v[20:21], off offset:2048
	s_or_b64 exec, exec, s[62:63]
	v_cmp_lt_u32_e64 s[52:53], v83, v0
	s_and_saveexec_b64 s[62:63], s[52:53]
	s_cbranch_execnz .LBB1562_151
.LBB1562_136:                           ;   in Loop: Header=BB1562_74 Depth=2
	s_or_b64 exec, exec, s[62:63]
	v_cmp_lt_u32_e64 s[52:53], v84, v0
	s_and_saveexec_b64 s[62:63], s[52:53]
	s_cbranch_execz .LBB1562_152
.LBB1562_137:                           ;   in Loop: Header=BB1562_74 Depth=2
	global_load_dwordx2 v[6:7], v[20:21], off offset:3072
	s_or_b64 exec, exec, s[62:63]
	v_cmp_lt_u32_e64 s[52:53], v85, v0
	s_and_saveexec_b64 s[62:63], s[52:53]
	s_cbranch_execnz .LBB1562_153
.LBB1562_138:                           ;   in Loop: Header=BB1562_74 Depth=2
	s_or_b64 exec, exec, s[62:63]
	s_and_saveexec_b64 s[52:53], s[48:49]
	s_cbranch_execz .LBB1562_154
.LBB1562_139:                           ;   in Loop: Header=BB1562_74 Depth=2
	ds_read_u8 v0, v2 offset:1024
	s_waitcnt lgkmcnt(0)
	v_lshrrev_b32_e32 v0, s83, v0
	v_and_b32_e32 v75, s84, v0
	s_or_b64 exec, exec, s[52:53]
	s_and_saveexec_b64 s[52:53], s[46:47]
	s_cbranch_execnz .LBB1562_155
.LBB1562_140:                           ;   in Loop: Header=BB1562_74 Depth=2
	s_or_b64 exec, exec, s[52:53]
	s_and_saveexec_b64 s[52:53], s[44:45]
	s_cbranch_execz .LBB1562_156
.LBB1562_141:                           ;   in Loop: Header=BB1562_74 Depth=2
	ds_read_u8 v0, v30 offset:512
	s_waitcnt lgkmcnt(0)
	v_lshrrev_b32_e32 v0, s83, v0
	v_and_b32_e32 v71, s84, v0
	s_or_b64 exec, exec, s[52:53]
	s_and_saveexec_b64 s[52:53], s[42:43]
	s_cbranch_execnz .LBB1562_157
.LBB1562_142:                           ;   in Loop: Header=BB1562_74 Depth=2
	s_or_b64 exec, exec, s[52:53]
	s_and_saveexec_b64 s[52:53], s[40:41]
	s_cbranch_execz .LBB1562_158
.LBB1562_143:                           ;   in Loop: Header=BB1562_74 Depth=2
	ds_read_u8 v0, v30 offset:1024
	s_waitcnt lgkmcnt(0)
	v_lshrrev_b32_e32 v0, s83, v0
	v_and_b32_e32 v69, s84, v0
	s_or_b64 exec, exec, s[52:53]
	s_and_saveexec_b64 s[52:53], s[38:39]
	s_cbranch_execnz .LBB1562_159
.LBB1562_144:                           ;   in Loop: Header=BB1562_74 Depth=2
	s_or_b64 exec, exec, s[52:53]
	s_and_saveexec_b64 s[52:53], s[36:37]
	s_cbranch_execz .LBB1562_160
.LBB1562_145:                           ;   in Loop: Header=BB1562_74 Depth=2
	ds_read_u8 v0, v30 offset:1536
	s_waitcnt lgkmcnt(0)
	v_lshrrev_b32_e32 v0, s83, v0
	v_and_b32_e32 v67, s84, v0
	s_or_b64 exec, exec, s[52:53]
	s_and_saveexec_b64 s[52:53], vcc
	s_cbranch_execnz .LBB1562_161
	s_branch .LBB1562_162
.LBB1562_146:                           ;   in Loop: Header=BB1562_74 Depth=2
	s_or_b64 exec, exec, s[52:53]
	v_cmp_lt_u32_e64 s[52:53], v79, v0
	s_and_saveexec_b64 s[62:63], s[52:53]
	s_cbranch_execz .LBB1562_132
.LBB1562_147:                           ;   in Loop: Header=BB1562_74 Depth=2
	global_load_dwordx2 v[16:17], v[20:21], off offset:512
	s_or_b64 exec, exec, s[62:63]
	v_cmp_lt_u32_e64 s[52:53], v80, v0
	s_and_saveexec_b64 s[62:63], s[52:53]
	s_cbranch_execnz .LBB1562_133
.LBB1562_148:                           ;   in Loop: Header=BB1562_74 Depth=2
	s_or_b64 exec, exec, s[62:63]
	v_cmp_lt_u32_e64 s[52:53], v81, v0
	s_and_saveexec_b64 s[62:63], s[52:53]
	s_cbranch_execz .LBB1562_134
.LBB1562_149:                           ;   in Loop: Header=BB1562_74 Depth=2
	global_load_dwordx2 v[12:13], v[20:21], off offset:1536
	s_or_b64 exec, exec, s[62:63]
	v_cmp_lt_u32_e64 s[52:53], v82, v0
	s_and_saveexec_b64 s[62:63], s[52:53]
	s_cbranch_execnz .LBB1562_135
.LBB1562_150:                           ;   in Loop: Header=BB1562_74 Depth=2
	s_or_b64 exec, exec, s[62:63]
	v_cmp_lt_u32_e64 s[52:53], v83, v0
	s_and_saveexec_b64 s[62:63], s[52:53]
	s_cbranch_execz .LBB1562_136
.LBB1562_151:                           ;   in Loop: Header=BB1562_74 Depth=2
	global_load_dwordx2 v[8:9], v[20:21], off offset:2560
	s_or_b64 exec, exec, s[62:63]
	v_cmp_lt_u32_e64 s[52:53], v84, v0
	s_and_saveexec_b64 s[62:63], s[52:53]
	s_cbranch_execnz .LBB1562_137
.LBB1562_152:                           ;   in Loop: Header=BB1562_74 Depth=2
	s_or_b64 exec, exec, s[62:63]
	v_cmp_lt_u32_e64 s[52:53], v85, v0
	s_and_saveexec_b64 s[62:63], s[52:53]
	s_cbranch_execz .LBB1562_138
.LBB1562_153:                           ;   in Loop: Header=BB1562_74 Depth=2
	global_load_dwordx2 v[4:5], v[20:21], off offset:3584
	s_or_b64 exec, exec, s[62:63]
	s_and_saveexec_b64 s[52:53], s[48:49]
	s_cbranch_execnz .LBB1562_139
.LBB1562_154:                           ;   in Loop: Header=BB1562_74 Depth=2
	s_or_b64 exec, exec, s[52:53]
	s_and_saveexec_b64 s[52:53], s[46:47]
	s_cbranch_execz .LBB1562_140
.LBB1562_155:                           ;   in Loop: Header=BB1562_74 Depth=2
	ds_read_u8 v0, v30 offset:256
	s_waitcnt lgkmcnt(0)
	v_lshrrev_b32_e32 v0, s83, v0
	v_and_b32_e32 v73, s84, v0
	s_or_b64 exec, exec, s[52:53]
	s_and_saveexec_b64 s[52:53], s[44:45]
	s_cbranch_execnz .LBB1562_141
.LBB1562_156:                           ;   in Loop: Header=BB1562_74 Depth=2
	s_or_b64 exec, exec, s[52:53]
	s_and_saveexec_b64 s[52:53], s[42:43]
	s_cbranch_execz .LBB1562_142
.LBB1562_157:                           ;   in Loop: Header=BB1562_74 Depth=2
	ds_read_u8 v0, v30 offset:768
	s_waitcnt lgkmcnt(0)
	v_lshrrev_b32_e32 v0, s83, v0
	v_and_b32_e32 v70, s84, v0
	s_or_b64 exec, exec, s[52:53]
	s_and_saveexec_b64 s[52:53], s[40:41]
	s_cbranch_execnz .LBB1562_143
.LBB1562_158:                           ;   in Loop: Header=BB1562_74 Depth=2
	s_or_b64 exec, exec, s[52:53]
	s_and_saveexec_b64 s[52:53], s[38:39]
	s_cbranch_execz .LBB1562_144
.LBB1562_159:                           ;   in Loop: Header=BB1562_74 Depth=2
	ds_read_u8 v0, v30 offset:1280
	s_waitcnt lgkmcnt(0)
	v_lshrrev_b32_e32 v0, s83, v0
	v_and_b32_e32 v68, s84, v0
	s_or_b64 exec, exec, s[52:53]
	s_and_saveexec_b64 s[52:53], s[36:37]
	s_cbranch_execnz .LBB1562_145
.LBB1562_160:                           ;   in Loop: Header=BB1562_74 Depth=2
	s_or_b64 exec, exec, s[52:53]
	s_and_saveexec_b64 s[52:53], vcc
	s_cbranch_execz .LBB1562_162
.LBB1562_161:                           ;   in Loop: Header=BB1562_74 Depth=2
	ds_read_u8 v0, v30 offset:1792
	s_waitcnt lgkmcnt(0)
	v_lshrrev_b32_e32 v0, s83, v0
	v_and_b32_e32 v66, s84, v0
.LBB1562_162:                           ;   in Loop: Header=BB1562_74 Depth=2
	s_or_b64 exec, exec, s[52:53]
	v_lshlrev_b32_e32 v0, 3, v97
	s_barrier
	s_waitcnt vmcnt(0)
	ds_write_b64 v0, v[18:19] offset:1024
	v_lshlrev_b32_e32 v0, 3, v96
	ds_write_b64 v0, v[16:17] offset:1024
	v_lshlrev_b32_e32 v0, 3, v95
	;; [unrolled: 2-line block ×7, first 2 shown]
	ds_write_b64 v0, v[4:5] offset:1024
	s_waitcnt lgkmcnt(0)
	s_barrier
	s_and_saveexec_b64 s[52:53], s[48:49]
	s_cbranch_execz .LBB1562_170
; %bb.163:                              ;   in Loop: Header=BB1562_74 Depth=2
	v_lshlrev_b32_e32 v0, 2, v75
	ds_read_b32 v0, v0
	v_add_u32_e32 v20, v2, v50
	ds_read_b64 v[20:21], v20 offset:1024
	v_mov_b32_e32 v23, s65
	s_waitcnt lgkmcnt(1)
	v_add_u32_e32 v0, v0, v2
	v_lshlrev_b64 v[90:91], 3, v[0:1]
	v_add_co_u32_e64 v90, s[48:49], s64, v90
	v_addc_co_u32_e64 v91, s[48:49], v23, v91, s[48:49]
	s_waitcnt lgkmcnt(0)
	global_store_dwordx2 v[90:91], v[20:21], off
	s_or_b64 exec, exec, s[52:53]
	s_and_saveexec_b64 s[48:49], s[46:47]
	s_cbranch_execnz .LBB1562_171
.LBB1562_164:                           ;   in Loop: Header=BB1562_74 Depth=2
	s_or_b64 exec, exec, s[48:49]
	s_and_saveexec_b64 s[46:47], s[44:45]
	s_cbranch_execz .LBB1562_172
.LBB1562_165:                           ;   in Loop: Header=BB1562_74 Depth=2
	v_lshlrev_b32_e32 v0, 2, v71
	ds_read_b32 v0, v0
	v_add_u32_e32 v20, v30, v50
	ds_read_b64 v[20:21], v20 offset:4096
	v_mov_b32_e32 v23, s65
	s_waitcnt lgkmcnt(1)
	v_add_u32_e32 v0, v0, v25
	v_lshlrev_b64 v[90:91], 3, v[0:1]
	v_add_co_u32_e64 v90, s[44:45], s64, v90
	v_addc_co_u32_e64 v91, s[44:45], v23, v91, s[44:45]
	s_waitcnt lgkmcnt(0)
	global_store_dwordx2 v[90:91], v[20:21], off
	s_or_b64 exec, exec, s[46:47]
	s_and_saveexec_b64 s[44:45], s[42:43]
	s_cbranch_execnz .LBB1562_173
.LBB1562_166:                           ;   in Loop: Header=BB1562_74 Depth=2
	s_or_b64 exec, exec, s[44:45]
	s_and_saveexec_b64 s[42:43], s[40:41]
	s_cbranch_execz .LBB1562_174
.LBB1562_167:                           ;   in Loop: Header=BB1562_74 Depth=2
	v_lshlrev_b32_e32 v0, 2, v69
	ds_read_b32 v0, v0
	v_add_u32_e32 v20, v30, v50
	ds_read_b64 v[20:21], v20 offset:8192
	v_mov_b32_e32 v23, s65
	s_waitcnt lgkmcnt(1)
	v_add_u32_e32 v0, v0, v30
	v_lshlrev_b64 v[90:91], 3, v[0:1]
	v_add_co_u32_e64 v90, s[40:41], s64, v90
	v_addc_co_u32_e64 v91, s[40:41], v23, v91, s[40:41]
	s_waitcnt lgkmcnt(0)
	global_store_dwordx2 v[90:91], v[20:21], off
	s_or_b64 exec, exec, s[42:43]
	s_and_saveexec_b64 s[40:41], s[38:39]
	s_cbranch_execnz .LBB1562_175
.LBB1562_168:                           ;   in Loop: Header=BB1562_74 Depth=2
	s_or_b64 exec, exec, s[40:41]
	s_and_saveexec_b64 s[38:39], s[36:37]
	s_cbranch_execz .LBB1562_176
.LBB1562_169:                           ;   in Loop: Header=BB1562_74 Depth=2
	v_lshlrev_b32_e32 v0, 2, v67
	ds_read_b32 v0, v0
	v_add_u32_e32 v20, v30, v50
	ds_read_b64 v[20:21], v20 offset:12288
	v_mov_b32_e32 v23, s65
	s_waitcnt lgkmcnt(1)
	v_add_u32_e32 v0, v0, v32
	v_lshlrev_b64 v[90:91], 3, v[0:1]
	v_add_co_u32_e64 v90, s[36:37], s64, v90
	v_addc_co_u32_e64 v91, s[36:37], v23, v91, s[36:37]
	s_waitcnt lgkmcnt(0)
	global_store_dwordx2 v[90:91], v[20:21], off
	s_or_b64 exec, exec, s[38:39]
	s_and_saveexec_b64 s[36:37], vcc
	s_cbranch_execnz .LBB1562_177
	s_branch .LBB1562_178
.LBB1562_170:                           ;   in Loop: Header=BB1562_74 Depth=2
	s_or_b64 exec, exec, s[52:53]
	s_and_saveexec_b64 s[48:49], s[46:47]
	s_cbranch_execz .LBB1562_164
.LBB1562_171:                           ;   in Loop: Header=BB1562_74 Depth=2
	v_lshlrev_b32_e32 v0, 2, v73
	ds_read_b32 v0, v0
	v_add_u32_e32 v20, v30, v50
	ds_read_b64 v[20:21], v20 offset:2048
	v_mov_b32_e32 v23, s65
	s_waitcnt lgkmcnt(1)
	v_add_u32_e32 v0, v0, v24
	v_lshlrev_b64 v[90:91], 3, v[0:1]
	v_add_co_u32_e64 v90, s[46:47], s64, v90
	v_addc_co_u32_e64 v91, s[46:47], v23, v91, s[46:47]
	s_waitcnt lgkmcnt(0)
	global_store_dwordx2 v[90:91], v[20:21], off
	s_or_b64 exec, exec, s[48:49]
	s_and_saveexec_b64 s[46:47], s[44:45]
	s_cbranch_execnz .LBB1562_165
.LBB1562_172:                           ;   in Loop: Header=BB1562_74 Depth=2
	s_or_b64 exec, exec, s[46:47]
	s_and_saveexec_b64 s[44:45], s[42:43]
	s_cbranch_execz .LBB1562_166
.LBB1562_173:                           ;   in Loop: Header=BB1562_74 Depth=2
	v_lshlrev_b32_e32 v0, 2, v70
	ds_read_b32 v0, v0
	v_add_u32_e32 v20, v30, v50
	ds_read_b64 v[20:21], v20 offset:6144
	v_mov_b32_e32 v23, s65
	s_waitcnt lgkmcnt(1)
	v_add_u32_e32 v0, v0, v26
	v_lshlrev_b64 v[90:91], 3, v[0:1]
	v_add_co_u32_e64 v90, s[42:43], s64, v90
	v_addc_co_u32_e64 v91, s[42:43], v23, v91, s[42:43]
	s_waitcnt lgkmcnt(0)
	global_store_dwordx2 v[90:91], v[20:21], off
	s_or_b64 exec, exec, s[44:45]
	s_and_saveexec_b64 s[42:43], s[40:41]
	s_cbranch_execnz .LBB1562_167
.LBB1562_174:                           ;   in Loop: Header=BB1562_74 Depth=2
	s_or_b64 exec, exec, s[42:43]
	s_and_saveexec_b64 s[40:41], s[38:39]
	s_cbranch_execz .LBB1562_168
.LBB1562_175:                           ;   in Loop: Header=BB1562_74 Depth=2
	v_lshlrev_b32_e32 v0, 2, v68
	ds_read_b32 v0, v0
	v_add_u32_e32 v20, v30, v50
	ds_read_b64 v[20:21], v20 offset:10240
	v_mov_b32_e32 v23, s65
	s_waitcnt lgkmcnt(1)
	v_add_u32_e32 v0, v0, v31
	v_lshlrev_b64 v[90:91], 3, v[0:1]
	v_add_co_u32_e64 v90, s[38:39], s64, v90
	v_addc_co_u32_e64 v91, s[38:39], v23, v91, s[38:39]
	s_waitcnt lgkmcnt(0)
	global_store_dwordx2 v[90:91], v[20:21], off
	s_or_b64 exec, exec, s[40:41]
	s_and_saveexec_b64 s[38:39], s[36:37]
	s_cbranch_execnz .LBB1562_169
.LBB1562_176:                           ;   in Loop: Header=BB1562_74 Depth=2
	s_or_b64 exec, exec, s[38:39]
	s_and_saveexec_b64 s[36:37], vcc
	s_cbranch_execz .LBB1562_178
.LBB1562_177:                           ;   in Loop: Header=BB1562_74 Depth=2
	v_lshlrev_b32_e32 v0, 2, v66
	ds_read_b32 v0, v0
	v_add_u32_e32 v20, v30, v50
	ds_read_b64 v[20:21], v20 offset:14336
	v_mov_b32_e32 v23, s65
	s_waitcnt lgkmcnt(1)
	v_add_u32_e32 v0, v0, v33
	v_lshlrev_b64 v[90:91], 3, v[0:1]
	v_add_co_u32_e32 v90, vcc, s64, v90
	v_addc_co_u32_e32 v91, vcc, v23, v91, vcc
	s_waitcnt lgkmcnt(0)
	global_store_dwordx2 v[90:91], v[20:21], off
.LBB1562_178:                           ;   in Loop: Header=BB1562_74 Depth=2
	s_or_b64 exec, exec, s[36:37]
	s_barrier
	s_and_saveexec_b64 s[36:37], s[4:5]
	s_cbranch_execz .LBB1562_73
; %bb.179:                              ;   in Loop: Header=BB1562_74 Depth=2
	ds_read_b32 v0, v3
	s_waitcnt lgkmcnt(0)
	v_add_u32_e32 v0, v0, v22
	ds_write_b32 v3, v0
	s_branch .LBB1562_73
.LBB1562_180:                           ;   in Loop: Header=BB1562_74 Depth=2
	s_or_b64 exec, exec, s[36:37]
	v_cmp_gt_u32_e32 vcc, s85, v79
	s_and_saveexec_b64 s[36:37], vcc
	s_cbranch_execz .LBB1562_79
.LBB1562_181:                           ;   in Loop: Header=BB1562_74 Depth=2
	global_load_ubyte v0, v[22:23], off offset:64
	s_waitcnt vmcnt(0)
	v_perm_b32 v20, v20, v0, s78
	s_or_b64 exec, exec, s[36:37]
	v_cmp_gt_u32_e32 vcc, s85, v80
	s_and_saveexec_b64 s[36:37], vcc
	s_cbranch_execnz .LBB1562_80
.LBB1562_182:                           ;   in Loop: Header=BB1562_74 Depth=2
	s_or_b64 exec, exec, s[36:37]
	v_cmp_gt_u32_e32 vcc, s85, v81
	s_and_saveexec_b64 s[36:37], vcc
	s_cbranch_execz .LBB1562_81
.LBB1562_183:                           ;   in Loop: Header=BB1562_74 Depth=2
	global_load_ubyte v0, v[22:23], off offset:192
	v_and_b32_sdwa v89, v20, s68 dst_sel:DWORD dst_unused:UNUSED_PAD src0_sel:WORD_1 src1_sel:DWORD
	s_waitcnt vmcnt(0)
	v_lshlrev_b16_e32 v0, 8, v0
	v_or_b32_sdwa v0, v89, v0 dst_sel:WORD_1 dst_unused:UNUSED_PAD src0_sel:DWORD src1_sel:DWORD
	v_and_or_b32 v20, v20, s77, v0
	s_or_b64 exec, exec, s[36:37]
	v_cmp_gt_u32_e32 vcc, s85, v82
	s_and_saveexec_b64 s[36:37], vcc
	s_cbranch_execnz .LBB1562_82
.LBB1562_184:                           ;   in Loop: Header=BB1562_74 Depth=2
	s_or_b64 exec, exec, s[36:37]
	v_cmp_gt_u32_e32 vcc, s85, v83
	s_and_saveexec_b64 s[36:37], vcc
	s_cbranch_execz .LBB1562_83
.LBB1562_185:                           ;   in Loop: Header=BB1562_74 Depth=2
	global_load_ubyte v0, v[22:23], off offset:320
	s_waitcnt vmcnt(0)
	v_perm_b32 v21, v21, v0, s78
	s_or_b64 exec, exec, s[36:37]
	v_cmp_gt_u32_e32 vcc, s85, v84
	s_and_saveexec_b64 s[36:37], vcc
	s_cbranch_execnz .LBB1562_84
	s_branch .LBB1562_85
.LBB1562_186:                           ;   in Loop: Header=BB1562_20 Depth=1
	s_waitcnt lgkmcnt(0)
	s_barrier
	s_mov_b64 s[16:17], 0
.LBB1562_187:                           ;   in Loop: Header=BB1562_20 Depth=1
	s_and_b64 vcc, exec, s[16:17]
	s_cbranch_vccz .LBB1562_353
; %bb.188:                              ;   in Loop: Header=BB1562_20 Depth=1
	s_mov_b32 s20, s71
	s_mov_b32 s22, s51
	s_barrier
	s_waitcnt lgkmcnt(0)
                                        ; implicit-def: $vgpr0
                                        ; implicit-def: $vgpr6
                                        ; implicit-def: $vgpr7
                                        ; implicit-def: $vgpr8
                                        ; implicit-def: $vgpr9
                                        ; implicit-def: $vgpr10
                                        ; implicit-def: $vgpr11
                                        ; implicit-def: $vgpr12
	s_branch .LBB1562_190
.LBB1562_189:                           ;   in Loop: Header=BB1562_190 Depth=2
	s_or_b64 exec, exec, s[16:17]
	s_addk_i32 s20, 0xf800
	s_cmp_ge_u32 s21, s76
	s_mov_b32 s22, s21
	s_cbranch_scc1 .LBB1562_228
.LBB1562_190:                           ;   Parent Loop BB1562_20 Depth=1
                                        ; =>  This Inner Loop Header: Depth=2
	s_add_i32 s21, s22, 0x800
	s_cmp_gt_u32 s21, s76
	s_cbranch_scc1 .LBB1562_193
; %bb.191:                              ;   in Loop: Header=BB1562_190 Depth=2
	v_add_co_u32_e32 v4, vcc, s22, v51
	v_addc_co_u32_e32 v5, vcc, 0, v52, vcc
	global_load_ubyte v20, v[4:5], off offset:1536
	global_load_ubyte v19, v[4:5], off offset:1280
	global_load_ubyte v18, v[4:5], off offset:1024
	global_load_ubyte v17, v[4:5], off offset:768
	global_load_ubyte v16, v[4:5], off offset:512
	global_load_ubyte v15, v[4:5], off offset:256
	global_load_ubyte v14, v[4:5], off
	v_add_co_u32_e32 v4, vcc, 0x700, v4
	v_addc_co_u32_e32 v5, vcc, 0, v5, vcc
	s_mov_b64 s[16:17], -1
	s_movk_i32 s25, 0x800
	s_cbranch_execz .LBB1562_194
; %bb.192:                              ;   in Loop: Header=BB1562_190 Depth=2
                                        ; implicit-def: $vgpr0
                                        ; implicit-def: $vgpr6
                                        ; implicit-def: $vgpr7
                                        ; implicit-def: $vgpr8
                                        ; implicit-def: $vgpr9
                                        ; implicit-def: $vgpr10
                                        ; implicit-def: $vgpr11
                                        ; implicit-def: $vgpr12
	v_mov_b32_e32 v13, s20
	s_and_saveexec_b64 s[18:19], s[16:17]
	s_cbranch_execnz .LBB1562_205
	s_branch .LBB1562_206
.LBB1562_193:                           ;   in Loop: Header=BB1562_190 Depth=2
	s_mov_b64 s[16:17], 0
                                        ; implicit-def: $sgpr25
                                        ; implicit-def: $vgpr14
                                        ; implicit-def: $vgpr15
                                        ; implicit-def: $vgpr16
                                        ; implicit-def: $vgpr17
                                        ; implicit-def: $vgpr18
                                        ; implicit-def: $vgpr19
                                        ; implicit-def: $vgpr20
                                        ; implicit-def: $vgpr4_vgpr5
.LBB1562_194:                           ;   in Loop: Header=BB1562_190 Depth=2
	s_add_u32 s23, s58, s22
	s_addc_u32 s24, s59, 0
	v_cmp_gt_u32_e32 vcc, s20, v2
	s_and_saveexec_b64 s[18:19], vcc
	s_cbranch_execz .LBB1562_222
; %bb.195:                              ;   in Loop: Header=BB1562_190 Depth=2
	v_mov_b32_e32 v0, s24
	v_add_co_u32_e32 v4, vcc, s23, v2
	v_addc_co_u32_e32 v5, vcc, 0, v0, vcc
	global_load_ubyte v0, v[4:5], off
	s_or_b64 exec, exec, s[18:19]
	v_cmp_gt_u32_e32 vcc, s20, v24
	s_and_saveexec_b64 s[18:19], vcc
	s_cbranch_execnz .LBB1562_223
.LBB1562_196:                           ;   in Loop: Header=BB1562_190 Depth=2
	s_or_b64 exec, exec, s[18:19]
	v_cmp_gt_u32_e32 vcc, s20, v25
	s_and_saveexec_b64 s[18:19], vcc
	s_cbranch_execz .LBB1562_224
.LBB1562_197:                           ;   in Loop: Header=BB1562_190 Depth=2
	v_mov_b32_e32 v5, s24
	v_add_co_u32_e32 v4, vcc, s23, v2
	v_addc_co_u32_e32 v5, vcc, 0, v5, vcc
	global_load_ubyte v7, v[4:5], off offset:512
	s_or_b64 exec, exec, s[18:19]
	v_cmp_gt_u32_e32 vcc, s20, v26
	s_and_saveexec_b64 s[18:19], vcc
	s_cbranch_execnz .LBB1562_225
.LBB1562_198:                           ;   in Loop: Header=BB1562_190 Depth=2
	s_or_b64 exec, exec, s[18:19]
	v_cmp_gt_u32_e32 vcc, s20, v30
	s_and_saveexec_b64 s[18:19], vcc
	s_cbranch_execz .LBB1562_226
.LBB1562_199:                           ;   in Loop: Header=BB1562_190 Depth=2
	v_mov_b32_e32 v5, s24
	v_add_co_u32_e32 v4, vcc, s23, v2
	v_addc_co_u32_e32 v5, vcc, 0, v5, vcc
	global_load_ubyte v9, v[4:5], off offset:1024
	s_or_b64 exec, exec, s[18:19]
	v_cmp_gt_u32_e32 vcc, s20, v31
	s_and_saveexec_b64 s[18:19], vcc
	s_cbranch_execnz .LBB1562_227
.LBB1562_200:                           ;   in Loop: Header=BB1562_190 Depth=2
	s_or_b64 exec, exec, s[18:19]
	v_cmp_gt_u32_e32 vcc, s20, v32
	s_and_saveexec_b64 s[18:19], vcc
	s_cbranch_execz .LBB1562_202
.LBB1562_201:                           ;   in Loop: Header=BB1562_190 Depth=2
	v_mov_b32_e32 v5, s24
	v_add_co_u32_e32 v4, vcc, s23, v2
	v_addc_co_u32_e32 v5, vcc, 0, v5, vcc
	global_load_ubyte v11, v[4:5], off offset:1536
.LBB1562_202:                           ;   in Loop: Header=BB1562_190 Depth=2
	s_or_b64 exec, exec, s[18:19]
	v_cmp_gt_u32_e32 vcc, s20, v33
                                        ; implicit-def: $sgpr25
                                        ; implicit-def: $vgpr4_vgpr5
	s_and_saveexec_b64 s[18:19], vcc
	s_cbranch_execz .LBB1562_204
; %bb.203:                              ;   in Loop: Header=BB1562_190 Depth=2
	v_mov_b32_e32 v4, s24
	v_add_co_u32_e32 v5, vcc, s23, v2
	s_waitcnt vmcnt(0)
	v_addc_co_u32_e32 v12, vcc, 0, v4, vcc
	v_add_co_u32_e32 v4, vcc, 0x700, v5
	s_sub_i32 s25, s76, s22
	v_addc_co_u32_e32 v5, vcc, 0, v12, vcc
	s_or_b64 s[16:17], s[16:17], exec
                                        ; implicit-def: $vgpr12
.LBB1562_204:                           ;   in Loop: Header=BB1562_190 Depth=2
	s_or_b64 exec, exec, s[18:19]
	s_waitcnt vmcnt(0)
	v_mov_b32_e32 v14, v0
	v_mov_b32_e32 v15, v6
	;; [unrolled: 1-line block ×8, first 2 shown]
	s_and_saveexec_b64 s[18:19], s[16:17]
	s_cbranch_execz .LBB1562_206
.LBB1562_205:                           ;   in Loop: Header=BB1562_190 Depth=2
	global_load_ubyte v12, v[4:5], off
	v_mov_b32_e32 v13, s25
	s_waitcnt vmcnt(1)
	v_mov_b32_e32 v0, v14
	v_mov_b32_e32 v6, v15
	;; [unrolled: 1-line block ×7, first 2 shown]
.LBB1562_206:                           ;   in Loop: Header=BB1562_190 Depth=2
	s_or_b64 exec, exec, s[18:19]
	v_cmp_lt_u32_e32 vcc, v2, v13
	s_and_saveexec_b64 s[16:17], vcc
	s_cbranch_execz .LBB1562_214
; %bb.207:                              ;   in Loop: Header=BB1562_190 Depth=2
	v_xor_b32_e32 v4, -1, v0
	v_and_b32_e32 v4, 1, v4
	v_lshrrev_b32_sdwa v4, s83, v4 dst_sel:DWORD dst_unused:UNUSED_PAD src0_sel:DWORD src1_sel:WORD_0
	v_and_b32_e32 v4, s84, v4
	v_lshlrev_b32_e32 v5, 2, v27
	v_lshl_or_b32 v4, v4, 4, v5
	ds_add_u32 v4, v63
	s_or_b64 exec, exec, s[16:17]
	v_cmp_lt_u32_e32 vcc, v24, v13
	s_and_saveexec_b64 s[16:17], vcc
	s_cbranch_execnz .LBB1562_215
.LBB1562_208:                           ;   in Loop: Header=BB1562_190 Depth=2
	s_or_b64 exec, exec, s[16:17]
	v_cmp_lt_u32_e32 vcc, v25, v13
	s_and_saveexec_b64 s[16:17], vcc
	s_cbranch_execz .LBB1562_216
.LBB1562_209:                           ;   in Loop: Header=BB1562_190 Depth=2
	v_xor_b32_e32 v4, -1, v7
	v_and_b32_e32 v4, 1, v4
	v_lshrrev_b32_sdwa v4, s83, v4 dst_sel:DWORD dst_unused:UNUSED_PAD src0_sel:DWORD src1_sel:WORD_0
	v_and_b32_e32 v4, s84, v4
	v_lshlrev_b32_e32 v5, 2, v27
	v_lshl_or_b32 v4, v4, 4, v5
	ds_add_u32 v4, v63
	s_or_b64 exec, exec, s[16:17]
	v_cmp_lt_u32_e32 vcc, v26, v13
	s_and_saveexec_b64 s[16:17], vcc
	s_cbranch_execnz .LBB1562_217
.LBB1562_210:                           ;   in Loop: Header=BB1562_190 Depth=2
	s_or_b64 exec, exec, s[16:17]
	v_cmp_lt_u32_e32 vcc, v30, v13
	s_and_saveexec_b64 s[16:17], vcc
	s_cbranch_execz .LBB1562_218
.LBB1562_211:                           ;   in Loop: Header=BB1562_190 Depth=2
	v_xor_b32_e32 v4, -1, v9
	v_and_b32_e32 v4, 1, v4
	v_lshrrev_b32_sdwa v4, s83, v4 dst_sel:DWORD dst_unused:UNUSED_PAD src0_sel:DWORD src1_sel:WORD_0
	v_and_b32_e32 v4, s84, v4
	v_lshlrev_b32_e32 v5, 2, v27
	v_lshl_or_b32 v4, v4, 4, v5
	ds_add_u32 v4, v63
	s_or_b64 exec, exec, s[16:17]
	v_cmp_lt_u32_e32 vcc, v31, v13
	s_and_saveexec_b64 s[16:17], vcc
	s_cbranch_execnz .LBB1562_219
.LBB1562_212:                           ;   in Loop: Header=BB1562_190 Depth=2
	s_or_b64 exec, exec, s[16:17]
	v_cmp_lt_u32_e32 vcc, v32, v13
	s_and_saveexec_b64 s[16:17], vcc
	s_cbranch_execz .LBB1562_220
.LBB1562_213:                           ;   in Loop: Header=BB1562_190 Depth=2
	v_xor_b32_e32 v4, -1, v11
	v_and_b32_e32 v4, 1, v4
	v_lshrrev_b32_sdwa v4, s83, v4 dst_sel:DWORD dst_unused:UNUSED_PAD src0_sel:DWORD src1_sel:WORD_0
	v_and_b32_e32 v4, s84, v4
	v_lshlrev_b32_e32 v5, 2, v27
	v_lshl_or_b32 v4, v4, 4, v5
	ds_add_u32 v4, v63
	s_or_b64 exec, exec, s[16:17]
	v_cmp_lt_u32_e32 vcc, v33, v13
	s_and_saveexec_b64 s[16:17], vcc
	s_cbranch_execz .LBB1562_189
	s_branch .LBB1562_221
.LBB1562_214:                           ;   in Loop: Header=BB1562_190 Depth=2
	s_or_b64 exec, exec, s[16:17]
	v_cmp_lt_u32_e32 vcc, v24, v13
	s_and_saveexec_b64 s[16:17], vcc
	s_cbranch_execz .LBB1562_208
.LBB1562_215:                           ;   in Loop: Header=BB1562_190 Depth=2
	v_xor_b32_e32 v4, -1, v6
	v_and_b32_e32 v4, 1, v4
	v_lshrrev_b32_sdwa v4, s83, v4 dst_sel:DWORD dst_unused:UNUSED_PAD src0_sel:DWORD src1_sel:WORD_0
	v_and_b32_e32 v4, s84, v4
	v_lshlrev_b32_e32 v5, 2, v27
	v_lshl_or_b32 v4, v4, 4, v5
	ds_add_u32 v4, v63
	s_or_b64 exec, exec, s[16:17]
	v_cmp_lt_u32_e32 vcc, v25, v13
	s_and_saveexec_b64 s[16:17], vcc
	s_cbranch_execnz .LBB1562_209
.LBB1562_216:                           ;   in Loop: Header=BB1562_190 Depth=2
	s_or_b64 exec, exec, s[16:17]
	v_cmp_lt_u32_e32 vcc, v26, v13
	s_and_saveexec_b64 s[16:17], vcc
	s_cbranch_execz .LBB1562_210
.LBB1562_217:                           ;   in Loop: Header=BB1562_190 Depth=2
	v_xor_b32_e32 v4, -1, v8
	v_and_b32_e32 v4, 1, v4
	v_lshrrev_b32_sdwa v4, s83, v4 dst_sel:DWORD dst_unused:UNUSED_PAD src0_sel:DWORD src1_sel:WORD_0
	v_and_b32_e32 v4, s84, v4
	v_lshlrev_b32_e32 v5, 2, v27
	v_lshl_or_b32 v4, v4, 4, v5
	ds_add_u32 v4, v63
	s_or_b64 exec, exec, s[16:17]
	v_cmp_lt_u32_e32 vcc, v30, v13
	s_and_saveexec_b64 s[16:17], vcc
	s_cbranch_execnz .LBB1562_211
.LBB1562_218:                           ;   in Loop: Header=BB1562_190 Depth=2
	s_or_b64 exec, exec, s[16:17]
	v_cmp_lt_u32_e32 vcc, v31, v13
	s_and_saveexec_b64 s[16:17], vcc
	s_cbranch_execz .LBB1562_212
.LBB1562_219:                           ;   in Loop: Header=BB1562_190 Depth=2
	v_xor_b32_e32 v4, -1, v10
	v_and_b32_e32 v4, 1, v4
	v_lshrrev_b32_sdwa v4, s83, v4 dst_sel:DWORD dst_unused:UNUSED_PAD src0_sel:DWORD src1_sel:WORD_0
	v_and_b32_e32 v4, s84, v4
	v_lshlrev_b32_e32 v5, 2, v27
	v_lshl_or_b32 v4, v4, 4, v5
	ds_add_u32 v4, v63
	s_or_b64 exec, exec, s[16:17]
	v_cmp_lt_u32_e32 vcc, v32, v13
	s_and_saveexec_b64 s[16:17], vcc
	s_cbranch_execnz .LBB1562_213
.LBB1562_220:                           ;   in Loop: Header=BB1562_190 Depth=2
	s_or_b64 exec, exec, s[16:17]
	v_cmp_lt_u32_e32 vcc, v33, v13
	s_and_saveexec_b64 s[16:17], vcc
	s_cbranch_execz .LBB1562_189
.LBB1562_221:                           ;   in Loop: Header=BB1562_190 Depth=2
	s_waitcnt vmcnt(0)
	v_xor_b32_e32 v4, -1, v12
	v_and_b32_e32 v4, 1, v4
	v_lshrrev_b32_sdwa v4, s83, v4 dst_sel:DWORD dst_unused:UNUSED_PAD src0_sel:DWORD src1_sel:WORD_0
	v_and_b32_e32 v4, s84, v4
	v_lshlrev_b32_e32 v5, 2, v27
	v_lshl_or_b32 v4, v4, 4, v5
	ds_add_u32 v4, v63
	s_branch .LBB1562_189
.LBB1562_222:                           ;   in Loop: Header=BB1562_190 Depth=2
	s_or_b64 exec, exec, s[18:19]
	v_cmp_gt_u32_e32 vcc, s20, v24
	s_and_saveexec_b64 s[18:19], vcc
	s_cbranch_execz .LBB1562_196
.LBB1562_223:                           ;   in Loop: Header=BB1562_190 Depth=2
	v_mov_b32_e32 v5, s24
	v_add_co_u32_e32 v4, vcc, s23, v2
	v_addc_co_u32_e32 v5, vcc, 0, v5, vcc
	global_load_ubyte v6, v[4:5], off offset:256
	s_or_b64 exec, exec, s[18:19]
	v_cmp_gt_u32_e32 vcc, s20, v25
	s_and_saveexec_b64 s[18:19], vcc
	s_cbranch_execnz .LBB1562_197
.LBB1562_224:                           ;   in Loop: Header=BB1562_190 Depth=2
	s_or_b64 exec, exec, s[18:19]
	v_cmp_gt_u32_e32 vcc, s20, v26
	s_and_saveexec_b64 s[18:19], vcc
	s_cbranch_execz .LBB1562_198
.LBB1562_225:                           ;   in Loop: Header=BB1562_190 Depth=2
	v_mov_b32_e32 v5, s24
	v_add_co_u32_e32 v4, vcc, s23, v2
	v_addc_co_u32_e32 v5, vcc, 0, v5, vcc
	global_load_ubyte v8, v[4:5], off offset:768
	s_or_b64 exec, exec, s[18:19]
	v_cmp_gt_u32_e32 vcc, s20, v30
	s_and_saveexec_b64 s[18:19], vcc
	s_cbranch_execnz .LBB1562_199
.LBB1562_226:                           ;   in Loop: Header=BB1562_190 Depth=2
	s_or_b64 exec, exec, s[18:19]
	v_cmp_gt_u32_e32 vcc, s20, v31
	s_and_saveexec_b64 s[18:19], vcc
	s_cbranch_execz .LBB1562_200
.LBB1562_227:                           ;   in Loop: Header=BB1562_190 Depth=2
	v_mov_b32_e32 v5, s24
	v_add_co_u32_e32 v4, vcc, s23, v2
	v_addc_co_u32_e32 v5, vcc, 0, v5, vcc
	global_load_ubyte v10, v[4:5], off offset:1280
	s_or_b64 exec, exec, s[18:19]
	v_cmp_gt_u32_e32 vcc, s20, v32
	s_and_saveexec_b64 s[18:19], vcc
	s_cbranch_execz .LBB1562_202
	s_branch .LBB1562_201
.LBB1562_228:                           ;   in Loop: Header=BB1562_20 Depth=1
	v_mov_b32_e32 v0, 0
	s_waitcnt lgkmcnt(0)
	s_barrier
	s_and_saveexec_b64 s[16:17], s[4:5]
	s_cbranch_execz .LBB1562_230
; %bb.229:                              ;   in Loop: Header=BB1562_20 Depth=1
	ds_read2_b64 v[4:7], v34 offset1:1
	s_waitcnt lgkmcnt(0)
	v_add_u32_e32 v0, v5, v4
	v_add3_u32 v0, v0, v6, v7
.LBB1562_230:                           ;   in Loop: Header=BB1562_20 Depth=1
	s_or_b64 exec, exec, s[16:17]
	v_and_b32_e32 v4, 15, v64
	v_mov_b32_dpp v5, v0 row_shr:1 row_mask:0xf bank_mask:0xf
	v_cmp_eq_u32_e64 s[16:17], 0, v4
	v_cndmask_b32_e64 v5, v5, 0, s[16:17]
	v_add_u32_e32 v0, v5, v0
	v_cmp_lt_u32_e64 s[18:19], 1, v4
	v_cmp_lt_u32_e64 s[20:21], 3, v4
	v_mov_b32_dpp v5, v0 row_shr:2 row_mask:0xf bank_mask:0xf
	v_cndmask_b32_e64 v5, 0, v5, s[18:19]
	v_add_u32_e32 v0, v0, v5
	v_cmp_lt_u32_e64 s[22:23], 7, v4
	v_cmp_lt_u32_e64 s[26:27], 31, v64
	v_mov_b32_dpp v5, v0 row_shr:4 row_mask:0xf bank_mask:0xf
	v_cndmask_b32_e64 v5, 0, v5, s[20:21]
	v_add_u32_e32 v0, v0, v5
	v_and_b32_e32 v6, 16, v64
	v_cmp_eq_u32_e64 s[24:25], 0, v6
	v_mov_b32_dpp v5, v0 row_shr:8 row_mask:0xf bank_mask:0xf
	v_cndmask_b32_e64 v4, 0, v5, s[22:23]
	v_add_u32_e32 v0, v0, v4
	v_bfe_i32 v5, v64, 4, 1
	s_nop 0
	v_mov_b32_dpp v4, v0 row_bcast:15 row_mask:0xf bank_mask:0xf
	v_and_b32_e32 v4, v5, v4
	v_add_u32_e32 v0, v0, v4
	s_nop 1
	v_mov_b32_dpp v4, v0 row_bcast:31 row_mask:0xf bank_mask:0xf
	v_cndmask_b32_e64 v4, 0, v4, s[26:27]
	v_add_u32_e32 v4, v0, v4
	s_and_saveexec_b64 s[28:29], s[6:7]
	s_cbranch_execz .LBB1562_232
; %bb.231:                              ;   in Loop: Header=BB1562_20 Depth=1
	ds_write_b32 v36, v4
.LBB1562_232:                           ;   in Loop: Header=BB1562_20 Depth=1
	s_or_b64 exec, exec, s[28:29]
	v_and_b32_e32 v0, 3, v64
	s_waitcnt lgkmcnt(0)
	s_barrier
	s_and_saveexec_b64 s[28:29], s[8:9]
	s_cbranch_execz .LBB1562_234
; %bb.233:                              ;   in Loop: Header=BB1562_20 Depth=1
	ds_read_b32 v5, v37
	v_cmp_ne_u32_e32 vcc, 0, v0
	s_waitcnt lgkmcnt(0)
	v_mov_b32_dpp v6, v5 row_shr:1 row_mask:0xf bank_mask:0xf
	v_cndmask_b32_e32 v6, 0, v6, vcc
	v_add_u32_e32 v5, v6, v5
	v_cmp_lt_u32_e32 vcc, 1, v0
	s_nop 0
	v_mov_b32_dpp v6, v5 row_shr:2 row_mask:0xf bank_mask:0xf
	v_cndmask_b32_e32 v6, 0, v6, vcc
	v_add_u32_e32 v5, v5, v6
	ds_write_b32 v37, v5
.LBB1562_234:                           ;   in Loop: Header=BB1562_20 Depth=1
	s_or_b64 exec, exec, s[28:29]
	v_mov_b32_e32 v5, 0
	s_waitcnt lgkmcnt(0)
	s_barrier
	s_and_saveexec_b64 s[28:29], s[10:11]
	s_cbranch_execz .LBB1562_236
; %bb.235:                              ;   in Loop: Header=BB1562_20 Depth=1
	ds_read_b32 v5, v38
.LBB1562_236:                           ;   in Loop: Header=BB1562_20 Depth=1
	s_or_b64 exec, exec, s[28:29]
	v_add_u32_e32 v6, -1, v64
	v_and_b32_e32 v7, 64, v64
	v_cmp_lt_i32_e32 vcc, v6, v7
	v_cndmask_b32_e32 v6, v6, v64, vcc
	s_waitcnt lgkmcnt(0)
	v_add_u32_e32 v4, v5, v4
	v_lshlrev_b32_e32 v65, 2, v6
	ds_bpermute_b32 v4, v65, v4
	v_cmp_eq_u32_e64 s[28:29], 0, v64
	s_waitcnt lgkmcnt(0)
	s_barrier
	s_and_saveexec_b64 s[30:31], s[4:5]
	s_cbranch_execz .LBB1562_238
; %bb.237:                              ;   in Loop: Header=BB1562_20 Depth=1
	v_cndmask_b32_e64 v4, v4, v5, s[28:29]
	v_add_u32_e32 v4, s51, v4
	ds_write_b32 v3, v4
.LBB1562_238:                           ;   in Loop: Header=BB1562_20 Depth=1
	s_or_b64 exec, exec, s[30:31]
	s_load_dwordx2 s[30:31], s[74:75], 0x0
	s_mov_b32 s85, s71
	s_mov_b32 s72, s51
                                        ; implicit-def: $vgpr4_vgpr5
                                        ; implicit-def: $vgpr6_vgpr7
                                        ; implicit-def: $vgpr8_vgpr9
                                        ; implicit-def: $vgpr10_vgpr11
                                        ; implicit-def: $vgpr12_vgpr13
                                        ; implicit-def: $vgpr14_vgpr15
                                        ; implicit-def: $vgpr16_vgpr17
                                        ; implicit-def: $vgpr18_vgpr19
                                        ; implicit-def: $vgpr66
                                        ; implicit-def: $vgpr67
                                        ; implicit-def: $vgpr68
                                        ; implicit-def: $vgpr69
                                        ; implicit-def: $vgpr70
                                        ; implicit-def: $vgpr71
                                        ; implicit-def: $vgpr73
                                        ; implicit-def: $vgpr75
	s_waitcnt lgkmcnt(0)
	s_cmp_lt_u32 s50, s30
	s_cselect_b32 s34, 12, 18
	s_cmp_lt_u32 s33, s31
	s_cselect_b32 s30, 14, 20
	s_add_u32 s30, s74, s30
	s_addc_u32 s31, s75, 0
	s_add_u32 s34, s74, s34
	global_load_ushort v20, v1, s[30:31]
	s_addc_u32 s35, s75, 0
	global_load_ushort v21, v1, s[34:35]
	v_cmp_eq_u32_e64 s[30:31], 0, v0
	v_cmp_lt_u32_e64 s[34:35], 1, v0
	v_and_b32_e32 v0, 63, v64
	v_add_co_u32_e32 v74, vcc, v55, v0
	v_lshlrev_b32_e32 v22, 3, v0
	v_addc_co_u32_e32 v76, vcc, 0, v56, vcc
	v_add_co_u32_e32 v77, vcc, v53, v22
	v_or_b32_e32 v72, v0, v39
	v_addc_co_u32_e32 v78, vcc, 0, v54, vcc
	v_add_co_u32_e32 v86, vcc, 0x1c0, v74
	v_or_b32_e32 v79, 64, v72
	v_or_b32_e32 v80, 0x80, v72
	;; [unrolled: 1-line block ×7, first 2 shown]
	v_addc_co_u32_e32 v87, vcc, 0, v76, vcc
	s_waitcnt vmcnt(1)
	v_mad_u32_u24 v0, v40, v20, v41
	s_waitcnt vmcnt(0)
	v_mad_u64_u32 v[20:21], s[36:37], v0, v21, v[2:3]
	v_lshrrev_b32_e32 v88, 6, v20
	s_branch .LBB1562_240
.LBB1562_239:                           ;   in Loop: Header=BB1562_240 Depth=2
	s_or_b64 exec, exec, s[36:37]
	s_addk_i32 s85, 0xf800
	s_cmp_lt_u32 s86, s76
	s_mov_b32 s72, s86
	s_cbranch_scc0 .LBB1562_352
.LBB1562_240:                           ;   Parent Loop BB1562_20 Depth=1
                                        ; =>  This Inner Loop Header: Depth=2
	s_add_i32 s86, s72, 0x800
	s_cmp_gt_u32 s86, s76
	s_cbranch_scc1 .LBB1562_242
; %bb.241:                              ;   in Loop: Header=BB1562_240 Depth=2
	v_add_co_u32_e32 v20, vcc, s72, v74
	v_addc_co_u32_e32 v21, vcc, 0, v76, vcc
	global_load_ubyte v0, v[20:21], off offset:64
	global_load_ubyte v22, v[20:21], off offset:192
	;; [unrolled: 1-line block ×3, first 2 shown]
	global_load_ubyte v89, v[20:21], off
	global_load_ubyte v90, v[20:21], off offset:128
	global_load_ubyte v91, v[20:21], off offset:256
	s_nop 0
	global_load_ubyte v21, v[20:21], off offset:384
	s_mov_b64 s[36:37], -1
	s_movk_i32 s40, 0x800
	s_waitcnt vmcnt(6)
	v_lshlrev_b16_e32 v0, 8, v0
	s_waitcnt vmcnt(5)
	v_lshlrev_b16_e32 v20, 8, v22
	;; [unrolled: 2-line block ×3, first 2 shown]
	s_waitcnt vmcnt(3)
	v_or_b32_e32 v0, v89, v0
	s_waitcnt vmcnt(2)
	v_or_b32_sdwa v20, v90, v20 dst_sel:WORD_1 dst_unused:UNUSED_PAD src0_sel:DWORD src1_sel:DWORD
	s_waitcnt vmcnt(1)
	v_or_b32_e32 v22, v91, v22
	v_or_b32_sdwa v20, v0, v20 dst_sel:DWORD dst_unused:UNUSED_PAD src0_sel:WORD_0 src1_sel:DWORD
	v_and_b32_e32 v0, 0xffff, v22
	s_waitcnt vmcnt(0)
	v_lshl_or_b32 v21, v21, 16, v0
	s_cbranch_execz .LBB1562_243
	s_branch .LBB1562_252
.LBB1562_242:                           ;   in Loop: Header=BB1562_240 Depth=2
	s_mov_b64 s[36:37], 0
                                        ; implicit-def: $sgpr40
                                        ; implicit-def: $vgpr20_vgpr21
.LBB1562_243:                           ;   in Loop: Header=BB1562_240 Depth=2
	v_add_co_u32_e32 v22, vcc, s72, v74
	v_addc_co_u32_e32 v23, vcc, 0, v76, vcc
	s_mov_b32 s36, s73
	s_mov_b32 s37, s73
	v_cmp_gt_u32_e32 vcc, s85, v72
	v_pk_mov_b32 v[20:21], s[36:37], s[36:37] op_sel:[0,1]
	s_and_saveexec_b64 s[36:37], vcc
	s_cbranch_execz .LBB1562_346
; %bb.244:                              ;   in Loop: Header=BB1562_240 Depth=2
	global_load_ubyte v0, v[22:23], off
	v_mov_b32_e32 v21, s73
	s_waitcnt vmcnt(0)
	v_and_b32_e32 v20, 0xffff, v0
	s_or_b64 exec, exec, s[36:37]
	v_cmp_gt_u32_e32 vcc, s85, v79
	s_and_saveexec_b64 s[36:37], vcc
	s_cbranch_execnz .LBB1562_347
.LBB1562_245:                           ;   in Loop: Header=BB1562_240 Depth=2
	s_or_b64 exec, exec, s[36:37]
	v_cmp_gt_u32_e32 vcc, s85, v80
	s_and_saveexec_b64 s[36:37], vcc
	s_cbranch_execz .LBB1562_348
.LBB1562_246:                           ;   in Loop: Header=BB1562_240 Depth=2
	global_load_ubyte v0, v[22:23], off offset:128
	v_and_b32_sdwa v89, v20, s79 dst_sel:DWORD dst_unused:UNUSED_PAD src0_sel:WORD_1 src1_sel:DWORD
	s_waitcnt vmcnt(0)
	v_or_b32_sdwa v0, v0, v89 dst_sel:WORD_1 dst_unused:UNUSED_PAD src0_sel:DWORD src1_sel:DWORD
	v_and_or_b32 v20, v20, s77, v0
	s_or_b64 exec, exec, s[36:37]
	v_cmp_gt_u32_e32 vcc, s85, v81
	s_and_saveexec_b64 s[36:37], vcc
	s_cbranch_execnz .LBB1562_349
.LBB1562_247:                           ;   in Loop: Header=BB1562_240 Depth=2
	s_or_b64 exec, exec, s[36:37]
	v_cmp_gt_u32_e32 vcc, s85, v82
	s_and_saveexec_b64 s[36:37], vcc
	s_cbranch_execz .LBB1562_350
.LBB1562_248:                           ;   in Loop: Header=BB1562_240 Depth=2
	global_load_ubyte v0, v[22:23], off offset:256
	s_waitcnt vmcnt(0)
	v_perm_b32 v21, v0, v21, s80
	s_or_b64 exec, exec, s[36:37]
	v_cmp_gt_u32_e32 vcc, s85, v83
	s_and_saveexec_b64 s[36:37], vcc
	s_cbranch_execnz .LBB1562_351
.LBB1562_249:                           ;   in Loop: Header=BB1562_240 Depth=2
	s_or_b64 exec, exec, s[36:37]
	v_cmp_gt_u32_e32 vcc, s85, v84
	s_and_saveexec_b64 s[36:37], vcc
	s_cbranch_execz .LBB1562_251
.LBB1562_250:                           ;   in Loop: Header=BB1562_240 Depth=2
	global_load_ubyte v0, v[22:23], off offset:384
	s_waitcnt vmcnt(0)
	v_perm_b32 v21, v21, v0, s81
.LBB1562_251:                           ;   in Loop: Header=BB1562_240 Depth=2
	s_or_b64 exec, exec, s[36:37]
	s_sub_i32 s40, s76, s72
	v_cmp_gt_u32_e64 s[36:37], s85, v85
.LBB1562_252:                           ;   in Loop: Header=BB1562_240 Depth=2
	v_mov_b32_e32 v0, s85
	s_and_saveexec_b64 s[38:39], s[36:37]
	s_cbranch_execz .LBB1562_254
; %bb.253:                              ;   in Loop: Header=BB1562_240 Depth=2
	v_mov_b32_e32 v0, s73
	v_add_co_u32_e32 v22, vcc, s72, v86
	v_addc_co_u32_e32 v23, vcc, v87, v0, vcc
	global_load_ubyte v0, v[22:23], off
	s_waitcnt vmcnt(0)
	v_perm_b32 v21, v21, v0, s82
	v_mov_b32_e32 v0, s40
.LBB1562_254:                           ;   in Loop: Header=BB1562_240 Depth=2
	s_or_b64 exec, exec, s[38:39]
	v_and_b32_sdwa v22, v63, v20 dst_sel:DWORD dst_unused:UNUSED_PAD src0_sel:DWORD src1_sel:BYTE_1
	v_cmp_eq_u32_e64 s[46:47], 1, v22
	v_and_b32_sdwa v22, v63, v21 dst_sel:DWORD dst_unused:UNUSED_PAD src0_sel:DWORD src1_sel:BYTE_1
	v_cmp_eq_u32_e64 s[38:39], 1, v22
	v_and_b32_e32 v22, 0x1000000, v21
	v_cmp_ne_u32_e32 vcc, 0, v22
	v_and_b32_e32 v22, 0x10000, v21
	v_and_b32_e32 v21, 1, v21
	v_cmp_eq_u32_e64 s[40:41], 1, v21
	v_and_b32_e32 v21, 0x1000000, v20
	v_cmp_ne_u32_e64 s[42:43], 0, v21
	v_and_b32_e32 v21, 0x10000, v20
	v_and_b32_e32 v20, 1, v20
	v_cmp_eq_u32_e64 s[48:49], 1, v20
	s_xor_b64 s[48:49], s[48:49], -1
	v_add_u32_e32 v20, 0x410, v42
	v_cndmask_b32_e64 v89, 0, 1, s[48:49]
	ds_write2_b32 v20, v1, v1 offset1:1
	ds_write2_b32 v44, v1, v1 offset0:2 offset1:3
	ds_write_b32 v44, v1 offset:16
	v_lshrrev_b32_e32 v20, s83, v89
	v_and_b32_e32 v20, s84, v20
	v_cmp_ne_u32_e64 s[44:45], 0, v21
	v_mad_u32_u24 v21, v20, 5, v88
	v_cmp_ne_u32_e64 s[48:49], 0, v20
	v_add_co_u32_e64 v20, s[52:53], -1, v20
	v_lshl_add_u32 v92, v21, 2, v43
	v_addc_co_u32_e64 v21, s[52:53], 0, -1, s[52:53]
	v_xor_b32_e32 v20, s48, v20
	v_xor_b32_e32 v21, s49, v21
	v_and_b32_e32 v20, exec_lo, v20
	v_cmp_ne_u32_e64 s[36:37], 0, v22
	v_and_b32_e32 v21, exec_hi, v21
	v_mbcnt_lo_u32_b32 v22, v20, 0
	v_mbcnt_hi_u32_b32 v90, v21, v22
	v_cmp_eq_u32_e64 s[48:49], 0, v90
	v_cmp_ne_u64_e64 s[52:53], 0, v[20:21]
	s_and_b64 s[52:53], s[52:53], s[48:49]
	s_waitcnt lgkmcnt(0)
	s_barrier
	s_waitcnt lgkmcnt(0)
	; wave barrier
	s_and_saveexec_b64 s[48:49], s[52:53]
	s_cbranch_execz .LBB1562_256
; %bb.255:                              ;   in Loop: Header=BB1562_240 Depth=2
	v_bcnt_u32_b32 v20, v20, 0
	v_bcnt_u32_b32 v20, v21, v20
	ds_write_b32 v92, v20
.LBB1562_256:                           ;   in Loop: Header=BB1562_240 Depth=2
	s_or_b64 exec, exec, s[48:49]
	s_xor_b64 s[46:47], s[46:47], -1
	v_cndmask_b32_e64 v91, 0, 1, s[46:47]
	v_lshrrev_b32_e32 v20, s83, v91
	v_and_b32_e32 v20, s84, v20
	v_mul_u32_u24_e32 v21, 5, v20
	v_add_lshl_u32 v21, v21, v88, 2
	v_cmp_ne_u32_e64 s[46:47], 0, v20
	v_add_co_u32_e64 v20, s[48:49], -1, v20
	; wave barrier
	v_add_u32_e32 v95, 0x410, v21
	ds_read_b32 v93, v21 offset:1040
	v_addc_co_u32_e64 v21, s[48:49], 0, -1, s[48:49]
	v_xor_b32_e32 v20, s46, v20
	v_xor_b32_e32 v21, s47, v21
	v_and_b32_e32 v20, exec_lo, v20
	v_and_b32_e32 v21, exec_hi, v21
	v_mbcnt_lo_u32_b32 v22, v20, 0
	v_mbcnt_hi_u32_b32 v94, v21, v22
	v_cmp_eq_u32_e64 s[46:47], 0, v94
	v_cmp_ne_u64_e64 s[48:49], 0, v[20:21]
	s_and_b64 s[48:49], s[48:49], s[46:47]
	; wave barrier
	s_and_saveexec_b64 s[46:47], s[48:49]
	s_cbranch_execz .LBB1562_258
; %bb.257:                              ;   in Loop: Header=BB1562_240 Depth=2
	v_bcnt_u32_b32 v20, v20, 0
	v_bcnt_u32_b32 v20, v21, v20
	s_waitcnt lgkmcnt(0)
	v_add_u32_e32 v20, v93, v20
	ds_write_b32 v95, v20
.LBB1562_258:                           ;   in Loop: Header=BB1562_240 Depth=2
	s_or_b64 exec, exec, s[46:47]
	s_xor_b64 s[44:45], s[44:45], -1
	v_cndmask_b32_e64 v98, 0, 1, s[44:45]
	v_lshrrev_b32_e32 v20, s83, v98
	v_and_b32_e32 v20, s84, v20
	v_mul_u32_u24_e32 v21, 5, v20
	v_add_lshl_u32 v21, v21, v88, 2
	v_cmp_ne_u32_e64 s[44:45], 0, v20
	v_add_co_u32_e64 v20, s[46:47], -1, v20
	; wave barrier
	v_add_u32_e32 v96, 0x410, v21
	ds_read_b32 v99, v21 offset:1040
	v_addc_co_u32_e64 v21, s[46:47], 0, -1, s[46:47]
	v_xor_b32_e32 v20, s44, v20
	v_xor_b32_e32 v21, s45, v21
	v_and_b32_e32 v20, exec_lo, v20
	v_and_b32_e32 v21, exec_hi, v21
	v_mbcnt_lo_u32_b32 v22, v20, 0
	v_mbcnt_hi_u32_b32 v100, v21, v22
	v_cmp_eq_u32_e64 s[44:45], 0, v100
	v_cmp_ne_u64_e64 s[46:47], 0, v[20:21]
	s_and_b64 s[46:47], s[46:47], s[44:45]
	; wave barrier
	s_and_saveexec_b64 s[44:45], s[46:47]
	s_cbranch_execz .LBB1562_260
; %bb.259:                              ;   in Loop: Header=BB1562_240 Depth=2
	v_bcnt_u32_b32 v20, v20, 0
	v_bcnt_u32_b32 v20, v21, v20
	s_waitcnt lgkmcnt(0)
	v_add_u32_e32 v20, v99, v20
	ds_write_b32 v96, v20
.LBB1562_260:                           ;   in Loop: Header=BB1562_240 Depth=2
	;; [unrolled: 32-line block ×6, first 2 shown]
	s_or_b64 exec, exec, s[36:37]
	s_xor_b64 s[36:37], vcc, -1
	v_cndmask_b32_e64 v115, 0, 1, s[36:37]
	v_lshrrev_b32_e32 v20, s83, v115
	v_and_b32_e32 v20, s84, v20
	v_mul_u32_u24_e32 v21, 5, v20
	v_add_lshl_u32 v21, v21, v88, 2
	v_cmp_ne_u32_e32 vcc, 0, v20
	v_add_co_u32_e64 v20, s[36:37], -1, v20
	; wave barrier
	v_add_u32_e32 v119, 0x410, v21
	ds_read_b32 v117, v21 offset:1040
	v_addc_co_u32_e64 v21, s[36:37], 0, -1, s[36:37]
	v_xor_b32_e32 v20, vcc_lo, v20
	v_xor_b32_e32 v21, vcc_hi, v21
	v_and_b32_e32 v20, exec_lo, v20
	v_and_b32_e32 v21, exec_hi, v21
	v_mbcnt_lo_u32_b32 v22, v20, 0
	v_mbcnt_hi_u32_b32 v118, v21, v22
	v_cmp_eq_u32_e32 vcc, 0, v118
	v_cmp_ne_u64_e64 s[36:37], 0, v[20:21]
	s_and_b64 s[38:39], s[36:37], vcc
	; wave barrier
	s_and_saveexec_b64 s[36:37], s[38:39]
	s_cbranch_execz .LBB1562_270
; %bb.269:                              ;   in Loop: Header=BB1562_240 Depth=2
	v_bcnt_u32_b32 v20, v20, 0
	v_bcnt_u32_b32 v20, v21, v20
	s_waitcnt lgkmcnt(0)
	v_add_u32_e32 v20, v117, v20
	ds_write_b32 v119, v20
.LBB1562_270:                           ;   in Loop: Header=BB1562_240 Depth=2
	s_or_b64 exec, exec, s[36:37]
	; wave barrier
	s_waitcnt lgkmcnt(0)
	s_barrier
	ds_read_b32 v120, v42 offset:1040
	ds_read2_b32 v[22:23], v44 offset0:1 offset1:2
	ds_read2_b32 v[20:21], v44 offset0:3 offset1:4
	s_waitcnt lgkmcnt(1)
	v_add3_u32 v121, v22, v120, v23
	s_waitcnt lgkmcnt(0)
	v_add3_u32 v21, v121, v20, v21
	s_nop 1
	v_mov_b32_dpp v121, v21 row_shr:1 row_mask:0xf bank_mask:0xf
	v_cndmask_b32_e64 v121, v121, 0, s[16:17]
	v_add_u32_e32 v21, v121, v21
	s_nop 1
	v_mov_b32_dpp v121, v21 row_shr:2 row_mask:0xf bank_mask:0xf
	v_cndmask_b32_e64 v121, 0, v121, s[18:19]
	v_add_u32_e32 v21, v21, v121
	;; [unrolled: 4-line block ×4, first 2 shown]
	s_nop 1
	v_mov_b32_dpp v121, v21 row_bcast:15 row_mask:0xf bank_mask:0xf
	v_cndmask_b32_e64 v121, v121, 0, s[24:25]
	v_add_u32_e32 v21, v21, v121
	s_nop 1
	v_mov_b32_dpp v121, v21 row_bcast:31 row_mask:0xf bank_mask:0xf
	v_cndmask_b32_e64 v121, 0, v121, s[26:27]
	v_add_u32_e32 v21, v21, v121
	s_and_saveexec_b64 s[36:37], s[6:7]
	s_cbranch_execz .LBB1562_272
; %bb.271:                              ;   in Loop: Header=BB1562_240 Depth=2
	ds_write_b32 v35, v21 offset:1024
.LBB1562_272:                           ;   in Loop: Header=BB1562_240 Depth=2
	s_or_b64 exec, exec, s[36:37]
	s_waitcnt lgkmcnt(0)
	s_barrier
	s_and_saveexec_b64 s[36:37], s[8:9]
	s_cbranch_execz .LBB1562_274
; %bb.273:                              ;   in Loop: Header=BB1562_240 Depth=2
	v_add_u32_e32 v121, v42, v45
	ds_read_b32 v122, v121 offset:1024
	s_waitcnt lgkmcnt(0)
	s_nop 0
	v_mov_b32_dpp v123, v122 row_shr:1 row_mask:0xf bank_mask:0xf
	v_cndmask_b32_e64 v123, v123, 0, s[30:31]
	v_add_u32_e32 v122, v123, v122
	s_nop 1
	v_mov_b32_dpp v123, v122 row_shr:2 row_mask:0xf bank_mask:0xf
	v_cndmask_b32_e64 v123, 0, v123, s[34:35]
	v_add_u32_e32 v122, v122, v123
	ds_write_b32 v121, v122 offset:1024
.LBB1562_274:                           ;   in Loop: Header=BB1562_240 Depth=2
	s_or_b64 exec, exec, s[36:37]
	v_mov_b32_e32 v121, 0
	s_waitcnt lgkmcnt(0)
	s_barrier
	s_and_saveexec_b64 s[36:37], s[10:11]
	s_cbranch_execz .LBB1562_276
; %bb.275:                              ;   in Loop: Header=BB1562_240 Depth=2
	ds_read_b32 v121, v35 offset:1020
.LBB1562_276:                           ;   in Loop: Header=BB1562_240 Depth=2
	s_or_b64 exec, exec, s[36:37]
	s_waitcnt lgkmcnt(0)
	v_add_u32_e32 v21, v121, v21
	ds_bpermute_b32 v21, v65, v21
	s_waitcnt lgkmcnt(0)
	v_cndmask_b32_e64 v21, v21, v121, s[28:29]
	v_cndmask_b32_e64 v21, v21, 0, s[12:13]
	v_add_u32_e32 v120, v21, v120
	ds_write_b32 v42, v21 offset:1040
	v_add_u32_e32 v21, v120, v22
	v_add_u32_e32 v22, v21, v23
	;; [unrolled: 1-line block ×3, first 2 shown]
	ds_write2_b32 v44, v120, v21 offset0:1 offset1:2
	ds_write2_b32 v44, v22, v20 offset0:3 offset1:4
	s_waitcnt lgkmcnt(0)
	s_barrier
	ds_read_b32 v20, v95
	ds_read_b32 v21, v96
	;; [unrolled: 1-line block ×8, first 2 shown]
	ds_read_b32 v95, v42 offset:1040
	v_mov_b32_e32 v22, 0x800
	s_and_saveexec_b64 s[36:37], s[14:15]
	s_cbranch_execz .LBB1562_278
; %bb.277:                              ;   in Loop: Header=BB1562_240 Depth=2
	ds_read_b32 v22, v42 offset:1060
.LBB1562_278:                           ;   in Loop: Header=BB1562_240 Depth=2
	s_or_b64 exec, exec, s[36:37]
	s_waitcnt lgkmcnt(0)
	s_barrier
	s_and_saveexec_b64 s[36:37], s[4:5]
	s_cbranch_execz .LBB1562_280
; %bb.279:                              ;   in Loop: Header=BB1562_240 Depth=2
	ds_read_b32 v96, v3
	s_waitcnt lgkmcnt(0)
	v_sub_u32_e32 v95, v96, v95
	ds_write_b32 v3, v95
.LBB1562_280:                           ;   in Loop: Header=BB1562_240 Depth=2
	s_or_b64 exec, exec, s[36:37]
	v_add_u32_e32 v97, v92, v90
	v_add3_u32 v96, v94, v93, v20
	v_add3_u32 v95, v100, v99, v21
	;; [unrolled: 1-line block ×7, first 2 shown]
	v_cmp_lt_u32_e64 s[48:49], v2, v0
	ds_write_b8 v97, v89 offset:1024
	ds_write_b8 v96, v91 offset:1024
	;; [unrolled: 1-line block ×8, first 2 shown]
	s_waitcnt lgkmcnt(0)
	s_barrier
	s_and_saveexec_b64 s[36:37], s[48:49]
	s_cbranch_execz .LBB1562_288
; %bb.281:                              ;   in Loop: Header=BB1562_240 Depth=2
	ds_read_u8 v20, v2 offset:1024
	s_waitcnt lgkmcnt(0)
	v_and_b32_e32 v21, 1, v20
	v_lshrrev_b32_e32 v21, s83, v21
	v_and_b32_e32 v21, s84, v21
	v_lshlrev_b32_e32 v21, 2, v21
	ds_read_b32 v21, v21
	v_xor_b32_e32 v20, 1, v20
	s_waitcnt lgkmcnt(0)
	v_add_u32_e32 v21, v21, v2
	global_store_byte v21, v20, s[60:61]
	s_or_b64 exec, exec, s[36:37]
	v_cmp_lt_u32_e64 s[46:47], v24, v0
	s_and_saveexec_b64 s[36:37], s[46:47]
	s_cbranch_execnz .LBB1562_289
.LBB1562_282:                           ;   in Loop: Header=BB1562_240 Depth=2
	s_or_b64 exec, exec, s[36:37]
	v_cmp_lt_u32_e64 s[44:45], v25, v0
	s_and_saveexec_b64 s[36:37], s[44:45]
	s_cbranch_execz .LBB1562_290
.LBB1562_283:                           ;   in Loop: Header=BB1562_240 Depth=2
	ds_read_u8 v20, v30 offset:512
	s_waitcnt lgkmcnt(0)
	v_and_b32_e32 v21, 1, v20
	v_lshrrev_b32_e32 v21, s83, v21
	v_and_b32_e32 v21, s84, v21
	v_lshlrev_b32_e32 v21, 2, v21
	ds_read_b32 v21, v21
	v_xor_b32_e32 v20, 1, v20
	s_waitcnt lgkmcnt(0)
	v_add_u32_e32 v21, v21, v25
	global_store_byte v21, v20, s[60:61]
	s_or_b64 exec, exec, s[36:37]
	v_cmp_lt_u32_e64 s[42:43], v26, v0
	s_and_saveexec_b64 s[36:37], s[42:43]
	s_cbranch_execnz .LBB1562_291
.LBB1562_284:                           ;   in Loop: Header=BB1562_240 Depth=2
	s_or_b64 exec, exec, s[36:37]
	v_cmp_lt_u32_e64 s[40:41], v30, v0
	s_and_saveexec_b64 s[36:37], s[40:41]
	s_cbranch_execz .LBB1562_292
.LBB1562_285:                           ;   in Loop: Header=BB1562_240 Depth=2
	ds_read_u8 v20, v30 offset:1024
	s_waitcnt lgkmcnt(0)
	v_and_b32_e32 v21, 1, v20
	v_lshrrev_b32_e32 v21, s83, v21
	v_and_b32_e32 v21, s84, v21
	v_lshlrev_b32_e32 v21, 2, v21
	ds_read_b32 v21, v21
	v_xor_b32_e32 v20, 1, v20
	s_waitcnt lgkmcnt(0)
	v_add_u32_e32 v21, v21, v30
	global_store_byte v21, v20, s[60:61]
	s_or_b64 exec, exec, s[36:37]
	v_cmp_lt_u32_e64 s[38:39], v31, v0
	s_and_saveexec_b64 s[36:37], s[38:39]
	s_cbranch_execnz .LBB1562_293
.LBB1562_286:                           ;   in Loop: Header=BB1562_240 Depth=2
	s_or_b64 exec, exec, s[36:37]
	v_cmp_lt_u32_e64 s[36:37], v32, v0
	s_and_saveexec_b64 s[52:53], s[36:37]
	s_cbranch_execz .LBB1562_294
.LBB1562_287:                           ;   in Loop: Header=BB1562_240 Depth=2
	ds_read_u8 v20, v30 offset:1536
	s_waitcnt lgkmcnt(0)
	v_and_b32_e32 v21, 1, v20
	v_lshrrev_b32_e32 v21, s83, v21
	v_and_b32_e32 v21, s84, v21
	v_lshlrev_b32_e32 v21, 2, v21
	ds_read_b32 v21, v21
	v_xor_b32_e32 v20, 1, v20
	s_waitcnt lgkmcnt(0)
	v_add_u32_e32 v21, v21, v32
	global_store_byte v21, v20, s[60:61]
	s_or_b64 exec, exec, s[52:53]
	v_cmp_lt_u32_e32 vcc, v33, v0
	s_and_saveexec_b64 s[52:53], vcc
	s_cbranch_execnz .LBB1562_295
	s_branch .LBB1562_296
.LBB1562_288:                           ;   in Loop: Header=BB1562_240 Depth=2
	s_or_b64 exec, exec, s[36:37]
	v_cmp_lt_u32_e64 s[46:47], v24, v0
	s_and_saveexec_b64 s[36:37], s[46:47]
	s_cbranch_execz .LBB1562_282
.LBB1562_289:                           ;   in Loop: Header=BB1562_240 Depth=2
	ds_read_u8 v20, v30 offset:256
	s_waitcnt lgkmcnt(0)
	v_and_b32_e32 v21, 1, v20
	v_lshrrev_b32_e32 v21, s83, v21
	v_and_b32_e32 v21, s84, v21
	v_lshlrev_b32_e32 v21, 2, v21
	ds_read_b32 v21, v21
	v_xor_b32_e32 v20, 1, v20
	s_waitcnt lgkmcnt(0)
	v_add_u32_e32 v21, v21, v24
	global_store_byte v21, v20, s[60:61]
	s_or_b64 exec, exec, s[36:37]
	v_cmp_lt_u32_e64 s[44:45], v25, v0
	s_and_saveexec_b64 s[36:37], s[44:45]
	s_cbranch_execnz .LBB1562_283
.LBB1562_290:                           ;   in Loop: Header=BB1562_240 Depth=2
	s_or_b64 exec, exec, s[36:37]
	v_cmp_lt_u32_e64 s[42:43], v26, v0
	s_and_saveexec_b64 s[36:37], s[42:43]
	s_cbranch_execz .LBB1562_284
.LBB1562_291:                           ;   in Loop: Header=BB1562_240 Depth=2
	ds_read_u8 v20, v30 offset:768
	s_waitcnt lgkmcnt(0)
	v_and_b32_e32 v21, 1, v20
	v_lshrrev_b32_e32 v21, s83, v21
	v_and_b32_e32 v21, s84, v21
	v_lshlrev_b32_e32 v21, 2, v21
	ds_read_b32 v21, v21
	v_xor_b32_e32 v20, 1, v20
	s_waitcnt lgkmcnt(0)
	v_add_u32_e32 v21, v21, v26
	global_store_byte v21, v20, s[60:61]
	s_or_b64 exec, exec, s[36:37]
	v_cmp_lt_u32_e64 s[40:41], v30, v0
	s_and_saveexec_b64 s[36:37], s[40:41]
	s_cbranch_execnz .LBB1562_285
.LBB1562_292:                           ;   in Loop: Header=BB1562_240 Depth=2
	s_or_b64 exec, exec, s[36:37]
	v_cmp_lt_u32_e64 s[38:39], v31, v0
	s_and_saveexec_b64 s[36:37], s[38:39]
	s_cbranch_execz .LBB1562_286
.LBB1562_293:                           ;   in Loop: Header=BB1562_240 Depth=2
	ds_read_u8 v20, v30 offset:1280
	s_waitcnt lgkmcnt(0)
	v_and_b32_e32 v21, 1, v20
	v_lshrrev_b32_e32 v21, s83, v21
	v_and_b32_e32 v21, s84, v21
	v_lshlrev_b32_e32 v21, 2, v21
	ds_read_b32 v21, v21
	v_xor_b32_e32 v20, 1, v20
	s_waitcnt lgkmcnt(0)
	v_add_u32_e32 v21, v21, v31
	global_store_byte v21, v20, s[60:61]
	s_or_b64 exec, exec, s[36:37]
	v_cmp_lt_u32_e64 s[36:37], v32, v0
	s_and_saveexec_b64 s[52:53], s[36:37]
	s_cbranch_execnz .LBB1562_287
.LBB1562_294:                           ;   in Loop: Header=BB1562_240 Depth=2
	s_or_b64 exec, exec, s[52:53]
	v_cmp_lt_u32_e32 vcc, v33, v0
	s_and_saveexec_b64 s[52:53], vcc
	s_cbranch_execz .LBB1562_296
.LBB1562_295:                           ;   in Loop: Header=BB1562_240 Depth=2
	ds_read_u8 v20, v30 offset:1792
	s_waitcnt lgkmcnt(0)
	v_and_b32_e32 v21, 1, v20
	v_lshrrev_b32_e32 v21, s83, v21
	v_and_b32_e32 v21, s84, v21
	v_lshlrev_b32_e32 v21, 2, v21
	ds_read_b32 v21, v21
	v_xor_b32_e32 v20, 1, v20
	s_waitcnt lgkmcnt(0)
	v_add_u32_e32 v21, v21, v33
	global_store_byte v21, v20, s[60:61]
.LBB1562_296:                           ;   in Loop: Header=BB1562_240 Depth=2
	s_or_b64 exec, exec, s[52:53]
	s_lshl_b64 s[52:53], s[72:73], 3
	v_mov_b32_e32 v21, s53
	v_add_co_u32_e64 v20, s[52:53], s52, v77
	v_addc_co_u32_e64 v21, s[52:53], v78, v21, s[52:53]
	v_cmp_lt_u32_e64 s[52:53], v72, v0
	s_and_saveexec_b64 s[62:63], s[52:53]
	s_xor_b64 s[52:53], exec, s[62:63]
	s_cbranch_execz .LBB1562_312
; %bb.297:                              ;   in Loop: Header=BB1562_240 Depth=2
	global_load_dwordx2 v[18:19], v[20:21], off
	s_or_b64 exec, exec, s[52:53]
	v_cmp_lt_u32_e64 s[52:53], v79, v0
	s_and_saveexec_b64 s[62:63], s[52:53]
	s_cbranch_execnz .LBB1562_313
.LBB1562_298:                           ;   in Loop: Header=BB1562_240 Depth=2
	s_or_b64 exec, exec, s[62:63]
	v_cmp_lt_u32_e64 s[52:53], v80, v0
	s_and_saveexec_b64 s[62:63], s[52:53]
	s_cbranch_execz .LBB1562_314
.LBB1562_299:                           ;   in Loop: Header=BB1562_240 Depth=2
	global_load_dwordx2 v[14:15], v[20:21], off offset:1024
	s_or_b64 exec, exec, s[62:63]
	v_cmp_lt_u32_e64 s[52:53], v81, v0
	s_and_saveexec_b64 s[62:63], s[52:53]
	s_cbranch_execnz .LBB1562_315
.LBB1562_300:                           ;   in Loop: Header=BB1562_240 Depth=2
	s_or_b64 exec, exec, s[62:63]
	v_cmp_lt_u32_e64 s[52:53], v82, v0
	s_and_saveexec_b64 s[62:63], s[52:53]
	s_cbranch_execz .LBB1562_316
.LBB1562_301:                           ;   in Loop: Header=BB1562_240 Depth=2
	global_load_dwordx2 v[10:11], v[20:21], off offset:2048
	s_or_b64 exec, exec, s[62:63]
	v_cmp_lt_u32_e64 s[52:53], v83, v0
	s_and_saveexec_b64 s[62:63], s[52:53]
	s_cbranch_execnz .LBB1562_317
.LBB1562_302:                           ;   in Loop: Header=BB1562_240 Depth=2
	s_or_b64 exec, exec, s[62:63]
	v_cmp_lt_u32_e64 s[52:53], v84, v0
	s_and_saveexec_b64 s[62:63], s[52:53]
	s_cbranch_execz .LBB1562_318
.LBB1562_303:                           ;   in Loop: Header=BB1562_240 Depth=2
	global_load_dwordx2 v[6:7], v[20:21], off offset:3072
	s_or_b64 exec, exec, s[62:63]
	v_cmp_lt_u32_e64 s[52:53], v85, v0
	s_and_saveexec_b64 s[62:63], s[52:53]
	s_cbranch_execnz .LBB1562_319
.LBB1562_304:                           ;   in Loop: Header=BB1562_240 Depth=2
	s_or_b64 exec, exec, s[62:63]
	s_and_saveexec_b64 s[52:53], s[48:49]
	s_cbranch_execz .LBB1562_320
.LBB1562_305:                           ;   in Loop: Header=BB1562_240 Depth=2
	ds_read_u8 v0, v2 offset:1024
	s_waitcnt lgkmcnt(0)
	v_lshrrev_b32_e32 v0, s83, v0
	v_and_b32_e32 v75, s84, v0
	s_or_b64 exec, exec, s[52:53]
	s_and_saveexec_b64 s[52:53], s[46:47]
	s_cbranch_execnz .LBB1562_321
.LBB1562_306:                           ;   in Loop: Header=BB1562_240 Depth=2
	s_or_b64 exec, exec, s[52:53]
	s_and_saveexec_b64 s[52:53], s[44:45]
	s_cbranch_execz .LBB1562_322
.LBB1562_307:                           ;   in Loop: Header=BB1562_240 Depth=2
	ds_read_u8 v0, v30 offset:512
	s_waitcnt lgkmcnt(0)
	v_lshrrev_b32_e32 v0, s83, v0
	v_and_b32_e32 v71, s84, v0
	s_or_b64 exec, exec, s[52:53]
	s_and_saveexec_b64 s[52:53], s[42:43]
	s_cbranch_execnz .LBB1562_323
.LBB1562_308:                           ;   in Loop: Header=BB1562_240 Depth=2
	s_or_b64 exec, exec, s[52:53]
	s_and_saveexec_b64 s[52:53], s[40:41]
	s_cbranch_execz .LBB1562_324
.LBB1562_309:                           ;   in Loop: Header=BB1562_240 Depth=2
	ds_read_u8 v0, v30 offset:1024
	s_waitcnt lgkmcnt(0)
	v_lshrrev_b32_e32 v0, s83, v0
	v_and_b32_e32 v69, s84, v0
	s_or_b64 exec, exec, s[52:53]
	s_and_saveexec_b64 s[52:53], s[38:39]
	s_cbranch_execnz .LBB1562_325
.LBB1562_310:                           ;   in Loop: Header=BB1562_240 Depth=2
	s_or_b64 exec, exec, s[52:53]
	s_and_saveexec_b64 s[52:53], s[36:37]
	s_cbranch_execz .LBB1562_326
.LBB1562_311:                           ;   in Loop: Header=BB1562_240 Depth=2
	ds_read_u8 v0, v30 offset:1536
	s_waitcnt lgkmcnt(0)
	v_lshrrev_b32_e32 v0, s83, v0
	v_and_b32_e32 v67, s84, v0
	s_or_b64 exec, exec, s[52:53]
	s_and_saveexec_b64 s[52:53], vcc
	s_cbranch_execnz .LBB1562_327
	s_branch .LBB1562_328
.LBB1562_312:                           ;   in Loop: Header=BB1562_240 Depth=2
	s_or_b64 exec, exec, s[52:53]
	v_cmp_lt_u32_e64 s[52:53], v79, v0
	s_and_saveexec_b64 s[62:63], s[52:53]
	s_cbranch_execz .LBB1562_298
.LBB1562_313:                           ;   in Loop: Header=BB1562_240 Depth=2
	global_load_dwordx2 v[16:17], v[20:21], off offset:512
	s_or_b64 exec, exec, s[62:63]
	v_cmp_lt_u32_e64 s[52:53], v80, v0
	s_and_saveexec_b64 s[62:63], s[52:53]
	s_cbranch_execnz .LBB1562_299
.LBB1562_314:                           ;   in Loop: Header=BB1562_240 Depth=2
	s_or_b64 exec, exec, s[62:63]
	v_cmp_lt_u32_e64 s[52:53], v81, v0
	s_and_saveexec_b64 s[62:63], s[52:53]
	s_cbranch_execz .LBB1562_300
.LBB1562_315:                           ;   in Loop: Header=BB1562_240 Depth=2
	global_load_dwordx2 v[12:13], v[20:21], off offset:1536
	s_or_b64 exec, exec, s[62:63]
	v_cmp_lt_u32_e64 s[52:53], v82, v0
	s_and_saveexec_b64 s[62:63], s[52:53]
	s_cbranch_execnz .LBB1562_301
.LBB1562_316:                           ;   in Loop: Header=BB1562_240 Depth=2
	s_or_b64 exec, exec, s[62:63]
	v_cmp_lt_u32_e64 s[52:53], v83, v0
	s_and_saveexec_b64 s[62:63], s[52:53]
	s_cbranch_execz .LBB1562_302
.LBB1562_317:                           ;   in Loop: Header=BB1562_240 Depth=2
	global_load_dwordx2 v[8:9], v[20:21], off offset:2560
	s_or_b64 exec, exec, s[62:63]
	v_cmp_lt_u32_e64 s[52:53], v84, v0
	s_and_saveexec_b64 s[62:63], s[52:53]
	s_cbranch_execnz .LBB1562_303
.LBB1562_318:                           ;   in Loop: Header=BB1562_240 Depth=2
	s_or_b64 exec, exec, s[62:63]
	v_cmp_lt_u32_e64 s[52:53], v85, v0
	s_and_saveexec_b64 s[62:63], s[52:53]
	s_cbranch_execz .LBB1562_304
.LBB1562_319:                           ;   in Loop: Header=BB1562_240 Depth=2
	global_load_dwordx2 v[4:5], v[20:21], off offset:3584
	s_or_b64 exec, exec, s[62:63]
	s_and_saveexec_b64 s[52:53], s[48:49]
	s_cbranch_execnz .LBB1562_305
.LBB1562_320:                           ;   in Loop: Header=BB1562_240 Depth=2
	s_or_b64 exec, exec, s[52:53]
	s_and_saveexec_b64 s[52:53], s[46:47]
	s_cbranch_execz .LBB1562_306
.LBB1562_321:                           ;   in Loop: Header=BB1562_240 Depth=2
	ds_read_u8 v0, v30 offset:256
	s_waitcnt lgkmcnt(0)
	v_lshrrev_b32_e32 v0, s83, v0
	v_and_b32_e32 v73, s84, v0
	s_or_b64 exec, exec, s[52:53]
	s_and_saveexec_b64 s[52:53], s[44:45]
	s_cbranch_execnz .LBB1562_307
.LBB1562_322:                           ;   in Loop: Header=BB1562_240 Depth=2
	s_or_b64 exec, exec, s[52:53]
	s_and_saveexec_b64 s[52:53], s[42:43]
	s_cbranch_execz .LBB1562_308
.LBB1562_323:                           ;   in Loop: Header=BB1562_240 Depth=2
	ds_read_u8 v0, v30 offset:768
	s_waitcnt lgkmcnt(0)
	v_lshrrev_b32_e32 v0, s83, v0
	v_and_b32_e32 v70, s84, v0
	s_or_b64 exec, exec, s[52:53]
	s_and_saveexec_b64 s[52:53], s[40:41]
	s_cbranch_execnz .LBB1562_309
.LBB1562_324:                           ;   in Loop: Header=BB1562_240 Depth=2
	s_or_b64 exec, exec, s[52:53]
	s_and_saveexec_b64 s[52:53], s[38:39]
	s_cbranch_execz .LBB1562_310
.LBB1562_325:                           ;   in Loop: Header=BB1562_240 Depth=2
	ds_read_u8 v0, v30 offset:1280
	s_waitcnt lgkmcnt(0)
	v_lshrrev_b32_e32 v0, s83, v0
	v_and_b32_e32 v68, s84, v0
	s_or_b64 exec, exec, s[52:53]
	s_and_saveexec_b64 s[52:53], s[36:37]
	s_cbranch_execnz .LBB1562_311
.LBB1562_326:                           ;   in Loop: Header=BB1562_240 Depth=2
	s_or_b64 exec, exec, s[52:53]
	s_and_saveexec_b64 s[52:53], vcc
	s_cbranch_execz .LBB1562_328
.LBB1562_327:                           ;   in Loop: Header=BB1562_240 Depth=2
	ds_read_u8 v0, v30 offset:1792
	s_waitcnt lgkmcnt(0)
	v_lshrrev_b32_e32 v0, s83, v0
	v_and_b32_e32 v66, s84, v0
.LBB1562_328:                           ;   in Loop: Header=BB1562_240 Depth=2
	s_or_b64 exec, exec, s[52:53]
	v_lshlrev_b32_e32 v0, 3, v97
	s_barrier
	s_waitcnt vmcnt(0)
	ds_write_b64 v0, v[18:19] offset:1024
	v_lshlrev_b32_e32 v0, 3, v96
	ds_write_b64 v0, v[16:17] offset:1024
	v_lshlrev_b32_e32 v0, 3, v95
	;; [unrolled: 2-line block ×7, first 2 shown]
	ds_write_b64 v0, v[4:5] offset:1024
	s_waitcnt lgkmcnt(0)
	s_barrier
	s_and_saveexec_b64 s[52:53], s[48:49]
	s_cbranch_execz .LBB1562_336
; %bb.329:                              ;   in Loop: Header=BB1562_240 Depth=2
	v_lshlrev_b32_e32 v0, 2, v75
	ds_read_b32 v0, v0
	v_add_u32_e32 v20, v2, v50
	ds_read_b64 v[20:21], v20 offset:1024
	v_mov_b32_e32 v23, s67
	s_waitcnt lgkmcnt(1)
	v_add_u32_e32 v0, v0, v2
	v_lshlrev_b64 v[90:91], 3, v[0:1]
	v_add_co_u32_e64 v90, s[48:49], s66, v90
	v_addc_co_u32_e64 v91, s[48:49], v23, v91, s[48:49]
	s_waitcnt lgkmcnt(0)
	global_store_dwordx2 v[90:91], v[20:21], off
	s_or_b64 exec, exec, s[52:53]
	s_and_saveexec_b64 s[48:49], s[46:47]
	s_cbranch_execnz .LBB1562_337
.LBB1562_330:                           ;   in Loop: Header=BB1562_240 Depth=2
	s_or_b64 exec, exec, s[48:49]
	s_and_saveexec_b64 s[46:47], s[44:45]
	s_cbranch_execz .LBB1562_338
.LBB1562_331:                           ;   in Loop: Header=BB1562_240 Depth=2
	v_lshlrev_b32_e32 v0, 2, v71
	ds_read_b32 v0, v0
	v_add_u32_e32 v20, v30, v50
	ds_read_b64 v[20:21], v20 offset:4096
	v_mov_b32_e32 v23, s67
	s_waitcnt lgkmcnt(1)
	v_add_u32_e32 v0, v0, v25
	v_lshlrev_b64 v[90:91], 3, v[0:1]
	v_add_co_u32_e64 v90, s[44:45], s66, v90
	v_addc_co_u32_e64 v91, s[44:45], v23, v91, s[44:45]
	s_waitcnt lgkmcnt(0)
	global_store_dwordx2 v[90:91], v[20:21], off
	s_or_b64 exec, exec, s[46:47]
	s_and_saveexec_b64 s[44:45], s[42:43]
	s_cbranch_execnz .LBB1562_339
.LBB1562_332:                           ;   in Loop: Header=BB1562_240 Depth=2
	s_or_b64 exec, exec, s[44:45]
	s_and_saveexec_b64 s[42:43], s[40:41]
	s_cbranch_execz .LBB1562_340
.LBB1562_333:                           ;   in Loop: Header=BB1562_240 Depth=2
	v_lshlrev_b32_e32 v0, 2, v69
	ds_read_b32 v0, v0
	v_add_u32_e32 v20, v30, v50
	ds_read_b64 v[20:21], v20 offset:8192
	v_mov_b32_e32 v23, s67
	s_waitcnt lgkmcnt(1)
	v_add_u32_e32 v0, v0, v30
	v_lshlrev_b64 v[90:91], 3, v[0:1]
	v_add_co_u32_e64 v90, s[40:41], s66, v90
	v_addc_co_u32_e64 v91, s[40:41], v23, v91, s[40:41]
	s_waitcnt lgkmcnt(0)
	global_store_dwordx2 v[90:91], v[20:21], off
	s_or_b64 exec, exec, s[42:43]
	s_and_saveexec_b64 s[40:41], s[38:39]
	s_cbranch_execnz .LBB1562_341
.LBB1562_334:                           ;   in Loop: Header=BB1562_240 Depth=2
	s_or_b64 exec, exec, s[40:41]
	s_and_saveexec_b64 s[38:39], s[36:37]
	s_cbranch_execz .LBB1562_342
.LBB1562_335:                           ;   in Loop: Header=BB1562_240 Depth=2
	v_lshlrev_b32_e32 v0, 2, v67
	ds_read_b32 v0, v0
	v_add_u32_e32 v20, v30, v50
	ds_read_b64 v[20:21], v20 offset:12288
	v_mov_b32_e32 v23, s67
	s_waitcnt lgkmcnt(1)
	v_add_u32_e32 v0, v0, v32
	v_lshlrev_b64 v[90:91], 3, v[0:1]
	v_add_co_u32_e64 v90, s[36:37], s66, v90
	v_addc_co_u32_e64 v91, s[36:37], v23, v91, s[36:37]
	s_waitcnt lgkmcnt(0)
	global_store_dwordx2 v[90:91], v[20:21], off
	s_or_b64 exec, exec, s[38:39]
	s_and_saveexec_b64 s[36:37], vcc
	s_cbranch_execnz .LBB1562_343
	s_branch .LBB1562_344
.LBB1562_336:                           ;   in Loop: Header=BB1562_240 Depth=2
	s_or_b64 exec, exec, s[52:53]
	s_and_saveexec_b64 s[48:49], s[46:47]
	s_cbranch_execz .LBB1562_330
.LBB1562_337:                           ;   in Loop: Header=BB1562_240 Depth=2
	v_lshlrev_b32_e32 v0, 2, v73
	ds_read_b32 v0, v0
	v_add_u32_e32 v20, v30, v50
	ds_read_b64 v[20:21], v20 offset:2048
	v_mov_b32_e32 v23, s67
	s_waitcnt lgkmcnt(1)
	v_add_u32_e32 v0, v0, v24
	v_lshlrev_b64 v[90:91], 3, v[0:1]
	v_add_co_u32_e64 v90, s[46:47], s66, v90
	v_addc_co_u32_e64 v91, s[46:47], v23, v91, s[46:47]
	s_waitcnt lgkmcnt(0)
	global_store_dwordx2 v[90:91], v[20:21], off
	s_or_b64 exec, exec, s[48:49]
	s_and_saveexec_b64 s[46:47], s[44:45]
	s_cbranch_execnz .LBB1562_331
.LBB1562_338:                           ;   in Loop: Header=BB1562_240 Depth=2
	s_or_b64 exec, exec, s[46:47]
	s_and_saveexec_b64 s[44:45], s[42:43]
	s_cbranch_execz .LBB1562_332
.LBB1562_339:                           ;   in Loop: Header=BB1562_240 Depth=2
	v_lshlrev_b32_e32 v0, 2, v70
	ds_read_b32 v0, v0
	v_add_u32_e32 v20, v30, v50
	ds_read_b64 v[20:21], v20 offset:6144
	v_mov_b32_e32 v23, s67
	s_waitcnt lgkmcnt(1)
	v_add_u32_e32 v0, v0, v26
	v_lshlrev_b64 v[90:91], 3, v[0:1]
	v_add_co_u32_e64 v90, s[42:43], s66, v90
	v_addc_co_u32_e64 v91, s[42:43], v23, v91, s[42:43]
	s_waitcnt lgkmcnt(0)
	global_store_dwordx2 v[90:91], v[20:21], off
	s_or_b64 exec, exec, s[44:45]
	s_and_saveexec_b64 s[42:43], s[40:41]
	s_cbranch_execnz .LBB1562_333
.LBB1562_340:                           ;   in Loop: Header=BB1562_240 Depth=2
	s_or_b64 exec, exec, s[42:43]
	s_and_saveexec_b64 s[40:41], s[38:39]
	s_cbranch_execz .LBB1562_334
.LBB1562_341:                           ;   in Loop: Header=BB1562_240 Depth=2
	v_lshlrev_b32_e32 v0, 2, v68
	ds_read_b32 v0, v0
	v_add_u32_e32 v20, v30, v50
	ds_read_b64 v[20:21], v20 offset:10240
	v_mov_b32_e32 v23, s67
	s_waitcnt lgkmcnt(1)
	v_add_u32_e32 v0, v0, v31
	v_lshlrev_b64 v[90:91], 3, v[0:1]
	v_add_co_u32_e64 v90, s[38:39], s66, v90
	v_addc_co_u32_e64 v91, s[38:39], v23, v91, s[38:39]
	s_waitcnt lgkmcnt(0)
	global_store_dwordx2 v[90:91], v[20:21], off
	s_or_b64 exec, exec, s[40:41]
	s_and_saveexec_b64 s[38:39], s[36:37]
	s_cbranch_execnz .LBB1562_335
.LBB1562_342:                           ;   in Loop: Header=BB1562_240 Depth=2
	s_or_b64 exec, exec, s[38:39]
	s_and_saveexec_b64 s[36:37], vcc
	s_cbranch_execz .LBB1562_344
.LBB1562_343:                           ;   in Loop: Header=BB1562_240 Depth=2
	v_lshlrev_b32_e32 v0, 2, v66
	ds_read_b32 v0, v0
	v_add_u32_e32 v20, v30, v50
	ds_read_b64 v[20:21], v20 offset:14336
	v_mov_b32_e32 v23, s67
	s_waitcnt lgkmcnt(1)
	v_add_u32_e32 v0, v0, v33
	v_lshlrev_b64 v[90:91], 3, v[0:1]
	v_add_co_u32_e32 v90, vcc, s66, v90
	v_addc_co_u32_e32 v91, vcc, v23, v91, vcc
	s_waitcnt lgkmcnt(0)
	global_store_dwordx2 v[90:91], v[20:21], off
.LBB1562_344:                           ;   in Loop: Header=BB1562_240 Depth=2
	s_or_b64 exec, exec, s[36:37]
	s_barrier
	s_and_saveexec_b64 s[36:37], s[4:5]
	s_cbranch_execz .LBB1562_239
; %bb.345:                              ;   in Loop: Header=BB1562_240 Depth=2
	ds_read_b32 v0, v3
	s_waitcnt lgkmcnt(0)
	v_add_u32_e32 v0, v0, v22
	ds_write_b32 v3, v0
	s_branch .LBB1562_239
.LBB1562_346:                           ;   in Loop: Header=BB1562_240 Depth=2
	s_or_b64 exec, exec, s[36:37]
	v_cmp_gt_u32_e32 vcc, s85, v79
	s_and_saveexec_b64 s[36:37], vcc
	s_cbranch_execz .LBB1562_245
.LBB1562_347:                           ;   in Loop: Header=BB1562_240 Depth=2
	global_load_ubyte v0, v[22:23], off offset:64
	s_waitcnt vmcnt(0)
	v_perm_b32 v20, v20, v0, s78
	s_or_b64 exec, exec, s[36:37]
	v_cmp_gt_u32_e32 vcc, s85, v80
	s_and_saveexec_b64 s[36:37], vcc
	s_cbranch_execnz .LBB1562_246
.LBB1562_348:                           ;   in Loop: Header=BB1562_240 Depth=2
	s_or_b64 exec, exec, s[36:37]
	v_cmp_gt_u32_e32 vcc, s85, v81
	s_and_saveexec_b64 s[36:37], vcc
	s_cbranch_execz .LBB1562_247
.LBB1562_349:                           ;   in Loop: Header=BB1562_240 Depth=2
	global_load_ubyte v0, v[22:23], off offset:192
	v_and_b32_sdwa v89, v20, s68 dst_sel:DWORD dst_unused:UNUSED_PAD src0_sel:WORD_1 src1_sel:DWORD
	s_waitcnt vmcnt(0)
	v_lshlrev_b16_e32 v0, 8, v0
	v_or_b32_sdwa v0, v89, v0 dst_sel:WORD_1 dst_unused:UNUSED_PAD src0_sel:DWORD src1_sel:DWORD
	v_and_or_b32 v20, v20, s77, v0
	s_or_b64 exec, exec, s[36:37]
	v_cmp_gt_u32_e32 vcc, s85, v82
	s_and_saveexec_b64 s[36:37], vcc
	s_cbranch_execnz .LBB1562_248
.LBB1562_350:                           ;   in Loop: Header=BB1562_240 Depth=2
	s_or_b64 exec, exec, s[36:37]
	v_cmp_gt_u32_e32 vcc, s85, v83
	s_and_saveexec_b64 s[36:37], vcc
	s_cbranch_execz .LBB1562_249
.LBB1562_351:                           ;   in Loop: Header=BB1562_240 Depth=2
	global_load_ubyte v0, v[22:23], off offset:320
	s_waitcnt vmcnt(0)
	v_perm_b32 v21, v21, v0, s78
	s_or_b64 exec, exec, s[36:37]
	v_cmp_gt_u32_e32 vcc, s85, v84
	s_and_saveexec_b64 s[36:37], vcc
	s_cbranch_execnz .LBB1562_250
	s_branch .LBB1562_251
.LBB1562_352:                           ;   in Loop: Header=BB1562_20 Depth=1
	s_waitcnt lgkmcnt(0)
	s_barrier
.LBB1562_353:                           ;   in Loop: Header=BB1562_20 Depth=1
	s_mov_b64 s[16:17], 0
.LBB1562_354:                           ;   in Loop: Header=BB1562_20 Depth=1
	s_andn2_b64 vcc, exec, s[16:17]
	s_cbranch_vccnz .LBB1562_19
; %bb.355:                              ;   in Loop: Header=BB1562_20 Depth=1
	s_mov_b64 s[16:17], -1
	s_and_b64 vcc, exec, s[54:55]
	s_cbranch_vccz .LBB1562_521
; %bb.356:                              ;   in Loop: Header=BB1562_20 Depth=1
	s_mov_b32 s20, s71
	s_mov_b32 s22, s51
	s_barrier
	s_waitcnt lgkmcnt(0)
                                        ; implicit-def: $vgpr0
                                        ; implicit-def: $vgpr6
                                        ; implicit-def: $vgpr7
                                        ; implicit-def: $vgpr8
                                        ; implicit-def: $vgpr9
                                        ; implicit-def: $vgpr10
                                        ; implicit-def: $vgpr11
                                        ; implicit-def: $vgpr12
	s_branch .LBB1562_358
.LBB1562_357:                           ;   in Loop: Header=BB1562_358 Depth=2
	s_or_b64 exec, exec, s[16:17]
	s_addk_i32 s20, 0xf800
	s_cmp_ge_u32 s21, s76
	s_mov_b32 s22, s21
	s_cbranch_scc1 .LBB1562_396
.LBB1562_358:                           ;   Parent Loop BB1562_20 Depth=1
                                        ; =>  This Inner Loop Header: Depth=2
	s_add_i32 s21, s22, 0x800
	s_cmp_gt_u32 s21, s76
	s_cbranch_scc1 .LBB1562_361
; %bb.359:                              ;   in Loop: Header=BB1562_358 Depth=2
	v_add_co_u32_e32 v4, vcc, s22, v57
	v_addc_co_u32_e32 v5, vcc, 0, v58, vcc
	global_load_ubyte v20, v[4:5], off offset:1536
	global_load_ubyte v19, v[4:5], off offset:1280
	;; [unrolled: 1-line block ×6, first 2 shown]
	global_load_ubyte v14, v[4:5], off
	v_add_co_u32_e32 v4, vcc, 0x700, v4
	v_addc_co_u32_e32 v5, vcc, 0, v5, vcc
	s_mov_b64 s[16:17], -1
	s_movk_i32 s25, 0x800
	s_cbranch_execz .LBB1562_362
; %bb.360:                              ;   in Loop: Header=BB1562_358 Depth=2
                                        ; implicit-def: $vgpr0
                                        ; implicit-def: $vgpr6
                                        ; implicit-def: $vgpr7
                                        ; implicit-def: $vgpr8
                                        ; implicit-def: $vgpr9
                                        ; implicit-def: $vgpr10
                                        ; implicit-def: $vgpr11
                                        ; implicit-def: $vgpr12
	v_mov_b32_e32 v13, s20
	s_and_saveexec_b64 s[18:19], s[16:17]
	s_cbranch_execnz .LBB1562_373
	s_branch .LBB1562_374
.LBB1562_361:                           ;   in Loop: Header=BB1562_358 Depth=2
	s_mov_b64 s[16:17], 0
                                        ; implicit-def: $sgpr25
                                        ; implicit-def: $vgpr14
                                        ; implicit-def: $vgpr15
                                        ; implicit-def: $vgpr16
                                        ; implicit-def: $vgpr17
                                        ; implicit-def: $vgpr18
                                        ; implicit-def: $vgpr19
                                        ; implicit-def: $vgpr20
                                        ; implicit-def: $vgpr4_vgpr5
.LBB1562_362:                           ;   in Loop: Header=BB1562_358 Depth=2
	s_add_u32 s23, s56, s22
	s_addc_u32 s24, s57, 0
	v_cmp_gt_u32_e32 vcc, s20, v2
	s_and_saveexec_b64 s[18:19], vcc
	s_cbranch_execz .LBB1562_390
; %bb.363:                              ;   in Loop: Header=BB1562_358 Depth=2
	v_mov_b32_e32 v0, s24
	v_add_co_u32_e32 v4, vcc, s23, v2
	v_addc_co_u32_e32 v5, vcc, 0, v0, vcc
	global_load_ubyte v0, v[4:5], off
	s_or_b64 exec, exec, s[18:19]
	v_cmp_gt_u32_e32 vcc, s20, v24
	s_and_saveexec_b64 s[18:19], vcc
	s_cbranch_execnz .LBB1562_391
.LBB1562_364:                           ;   in Loop: Header=BB1562_358 Depth=2
	s_or_b64 exec, exec, s[18:19]
	v_cmp_gt_u32_e32 vcc, s20, v25
	s_and_saveexec_b64 s[18:19], vcc
	s_cbranch_execz .LBB1562_392
.LBB1562_365:                           ;   in Loop: Header=BB1562_358 Depth=2
	v_mov_b32_e32 v5, s24
	v_add_co_u32_e32 v4, vcc, s23, v2
	v_addc_co_u32_e32 v5, vcc, 0, v5, vcc
	global_load_ubyte v7, v[4:5], off offset:512
	s_or_b64 exec, exec, s[18:19]
	v_cmp_gt_u32_e32 vcc, s20, v26
	s_and_saveexec_b64 s[18:19], vcc
	s_cbranch_execnz .LBB1562_393
.LBB1562_366:                           ;   in Loop: Header=BB1562_358 Depth=2
	s_or_b64 exec, exec, s[18:19]
	v_cmp_gt_u32_e32 vcc, s20, v30
	s_and_saveexec_b64 s[18:19], vcc
	s_cbranch_execz .LBB1562_394
.LBB1562_367:                           ;   in Loop: Header=BB1562_358 Depth=2
	v_mov_b32_e32 v5, s24
	v_add_co_u32_e32 v4, vcc, s23, v2
	v_addc_co_u32_e32 v5, vcc, 0, v5, vcc
	global_load_ubyte v9, v[4:5], off offset:1024
	s_or_b64 exec, exec, s[18:19]
	v_cmp_gt_u32_e32 vcc, s20, v31
	s_and_saveexec_b64 s[18:19], vcc
	s_cbranch_execnz .LBB1562_395
.LBB1562_368:                           ;   in Loop: Header=BB1562_358 Depth=2
	s_or_b64 exec, exec, s[18:19]
	v_cmp_gt_u32_e32 vcc, s20, v32
	s_and_saveexec_b64 s[18:19], vcc
	s_cbranch_execz .LBB1562_370
.LBB1562_369:                           ;   in Loop: Header=BB1562_358 Depth=2
	v_mov_b32_e32 v5, s24
	v_add_co_u32_e32 v4, vcc, s23, v2
	v_addc_co_u32_e32 v5, vcc, 0, v5, vcc
	global_load_ubyte v11, v[4:5], off offset:1536
.LBB1562_370:                           ;   in Loop: Header=BB1562_358 Depth=2
	s_or_b64 exec, exec, s[18:19]
	v_cmp_gt_u32_e32 vcc, s20, v33
                                        ; implicit-def: $sgpr25
                                        ; implicit-def: $vgpr4_vgpr5
	s_and_saveexec_b64 s[18:19], vcc
	s_cbranch_execz .LBB1562_372
; %bb.371:                              ;   in Loop: Header=BB1562_358 Depth=2
	v_mov_b32_e32 v4, s24
	v_add_co_u32_e32 v5, vcc, s23, v2
	s_waitcnt vmcnt(0)
	v_addc_co_u32_e32 v12, vcc, 0, v4, vcc
	v_add_co_u32_e32 v4, vcc, 0x700, v5
	s_sub_i32 s25, s76, s22
	v_addc_co_u32_e32 v5, vcc, 0, v12, vcc
	s_or_b64 s[16:17], s[16:17], exec
                                        ; implicit-def: $vgpr12
.LBB1562_372:                           ;   in Loop: Header=BB1562_358 Depth=2
	s_or_b64 exec, exec, s[18:19]
	s_waitcnt vmcnt(0)
	v_mov_b32_e32 v14, v0
	v_mov_b32_e32 v15, v6
	v_mov_b32_e32 v16, v7
	v_mov_b32_e32 v17, v8
	v_mov_b32_e32 v18, v9
	v_mov_b32_e32 v19, v10
	v_mov_b32_e32 v20, v11
	v_mov_b32_e32 v13, s20
	s_and_saveexec_b64 s[18:19], s[16:17]
	s_cbranch_execz .LBB1562_374
.LBB1562_373:                           ;   in Loop: Header=BB1562_358 Depth=2
	global_load_ubyte v12, v[4:5], off
	v_mov_b32_e32 v13, s25
	s_waitcnt vmcnt(1)
	v_mov_b32_e32 v0, v14
	v_mov_b32_e32 v6, v15
	;; [unrolled: 1-line block ×7, first 2 shown]
.LBB1562_374:                           ;   in Loop: Header=BB1562_358 Depth=2
	s_or_b64 exec, exec, s[18:19]
	v_cmp_lt_u32_e32 vcc, v2, v13
	s_and_saveexec_b64 s[16:17], vcc
	s_cbranch_execz .LBB1562_382
; %bb.375:                              ;   in Loop: Header=BB1562_358 Depth=2
	v_xor_b32_e32 v4, -1, v0
	v_and_b32_e32 v4, 1, v4
	v_lshrrev_b32_sdwa v4, s69, v4 dst_sel:DWORD dst_unused:UNUSED_PAD src0_sel:DWORD src1_sel:WORD_0
	v_and_b32_e32 v4, s84, v4
	v_lshlrev_b32_e32 v5, 2, v27
	v_lshl_or_b32 v4, v4, 4, v5
	ds_add_u32 v4, v63
	s_or_b64 exec, exec, s[16:17]
	v_cmp_lt_u32_e32 vcc, v24, v13
	s_and_saveexec_b64 s[16:17], vcc
	s_cbranch_execnz .LBB1562_383
.LBB1562_376:                           ;   in Loop: Header=BB1562_358 Depth=2
	s_or_b64 exec, exec, s[16:17]
	v_cmp_lt_u32_e32 vcc, v25, v13
	s_and_saveexec_b64 s[16:17], vcc
	s_cbranch_execz .LBB1562_384
.LBB1562_377:                           ;   in Loop: Header=BB1562_358 Depth=2
	v_xor_b32_e32 v4, -1, v7
	v_and_b32_e32 v4, 1, v4
	v_lshrrev_b32_sdwa v4, s69, v4 dst_sel:DWORD dst_unused:UNUSED_PAD src0_sel:DWORD src1_sel:WORD_0
	v_and_b32_e32 v4, s84, v4
	v_lshlrev_b32_e32 v5, 2, v27
	v_lshl_or_b32 v4, v4, 4, v5
	ds_add_u32 v4, v63
	s_or_b64 exec, exec, s[16:17]
	v_cmp_lt_u32_e32 vcc, v26, v13
	s_and_saveexec_b64 s[16:17], vcc
	s_cbranch_execnz .LBB1562_385
.LBB1562_378:                           ;   in Loop: Header=BB1562_358 Depth=2
	s_or_b64 exec, exec, s[16:17]
	v_cmp_lt_u32_e32 vcc, v30, v13
	s_and_saveexec_b64 s[16:17], vcc
	s_cbranch_execz .LBB1562_386
.LBB1562_379:                           ;   in Loop: Header=BB1562_358 Depth=2
	v_xor_b32_e32 v4, -1, v9
	v_and_b32_e32 v4, 1, v4
	v_lshrrev_b32_sdwa v4, s69, v4 dst_sel:DWORD dst_unused:UNUSED_PAD src0_sel:DWORD src1_sel:WORD_0
	v_and_b32_e32 v4, s84, v4
	v_lshlrev_b32_e32 v5, 2, v27
	v_lshl_or_b32 v4, v4, 4, v5
	ds_add_u32 v4, v63
	s_or_b64 exec, exec, s[16:17]
	v_cmp_lt_u32_e32 vcc, v31, v13
	s_and_saveexec_b64 s[16:17], vcc
	s_cbranch_execnz .LBB1562_387
.LBB1562_380:                           ;   in Loop: Header=BB1562_358 Depth=2
	s_or_b64 exec, exec, s[16:17]
	v_cmp_lt_u32_e32 vcc, v32, v13
	s_and_saveexec_b64 s[16:17], vcc
	s_cbranch_execz .LBB1562_388
.LBB1562_381:                           ;   in Loop: Header=BB1562_358 Depth=2
	v_xor_b32_e32 v4, -1, v11
	v_and_b32_e32 v4, 1, v4
	v_lshrrev_b32_sdwa v4, s69, v4 dst_sel:DWORD dst_unused:UNUSED_PAD src0_sel:DWORD src1_sel:WORD_0
	v_and_b32_e32 v4, s84, v4
	v_lshlrev_b32_e32 v5, 2, v27
	v_lshl_or_b32 v4, v4, 4, v5
	ds_add_u32 v4, v63
	s_or_b64 exec, exec, s[16:17]
	v_cmp_lt_u32_e32 vcc, v33, v13
	s_and_saveexec_b64 s[16:17], vcc
	s_cbranch_execz .LBB1562_357
	s_branch .LBB1562_389
.LBB1562_382:                           ;   in Loop: Header=BB1562_358 Depth=2
	s_or_b64 exec, exec, s[16:17]
	v_cmp_lt_u32_e32 vcc, v24, v13
	s_and_saveexec_b64 s[16:17], vcc
	s_cbranch_execz .LBB1562_376
.LBB1562_383:                           ;   in Loop: Header=BB1562_358 Depth=2
	v_xor_b32_e32 v4, -1, v6
	v_and_b32_e32 v4, 1, v4
	v_lshrrev_b32_sdwa v4, s69, v4 dst_sel:DWORD dst_unused:UNUSED_PAD src0_sel:DWORD src1_sel:WORD_0
	v_and_b32_e32 v4, s84, v4
	v_lshlrev_b32_e32 v5, 2, v27
	v_lshl_or_b32 v4, v4, 4, v5
	ds_add_u32 v4, v63
	s_or_b64 exec, exec, s[16:17]
	v_cmp_lt_u32_e32 vcc, v25, v13
	s_and_saveexec_b64 s[16:17], vcc
	s_cbranch_execnz .LBB1562_377
.LBB1562_384:                           ;   in Loop: Header=BB1562_358 Depth=2
	s_or_b64 exec, exec, s[16:17]
	v_cmp_lt_u32_e32 vcc, v26, v13
	s_and_saveexec_b64 s[16:17], vcc
	s_cbranch_execz .LBB1562_378
.LBB1562_385:                           ;   in Loop: Header=BB1562_358 Depth=2
	v_xor_b32_e32 v4, -1, v8
	v_and_b32_e32 v4, 1, v4
	v_lshrrev_b32_sdwa v4, s69, v4 dst_sel:DWORD dst_unused:UNUSED_PAD src0_sel:DWORD src1_sel:WORD_0
	v_and_b32_e32 v4, s84, v4
	v_lshlrev_b32_e32 v5, 2, v27
	v_lshl_or_b32 v4, v4, 4, v5
	ds_add_u32 v4, v63
	s_or_b64 exec, exec, s[16:17]
	v_cmp_lt_u32_e32 vcc, v30, v13
	s_and_saveexec_b64 s[16:17], vcc
	s_cbranch_execnz .LBB1562_379
.LBB1562_386:                           ;   in Loop: Header=BB1562_358 Depth=2
	s_or_b64 exec, exec, s[16:17]
	v_cmp_lt_u32_e32 vcc, v31, v13
	s_and_saveexec_b64 s[16:17], vcc
	s_cbranch_execz .LBB1562_380
.LBB1562_387:                           ;   in Loop: Header=BB1562_358 Depth=2
	v_xor_b32_e32 v4, -1, v10
	v_and_b32_e32 v4, 1, v4
	v_lshrrev_b32_sdwa v4, s69, v4 dst_sel:DWORD dst_unused:UNUSED_PAD src0_sel:DWORD src1_sel:WORD_0
	v_and_b32_e32 v4, s84, v4
	v_lshlrev_b32_e32 v5, 2, v27
	v_lshl_or_b32 v4, v4, 4, v5
	ds_add_u32 v4, v63
	s_or_b64 exec, exec, s[16:17]
	v_cmp_lt_u32_e32 vcc, v32, v13
	s_and_saveexec_b64 s[16:17], vcc
	s_cbranch_execnz .LBB1562_381
.LBB1562_388:                           ;   in Loop: Header=BB1562_358 Depth=2
	s_or_b64 exec, exec, s[16:17]
	v_cmp_lt_u32_e32 vcc, v33, v13
	s_and_saveexec_b64 s[16:17], vcc
	s_cbranch_execz .LBB1562_357
.LBB1562_389:                           ;   in Loop: Header=BB1562_358 Depth=2
	s_waitcnt vmcnt(0)
	v_xor_b32_e32 v4, -1, v12
	v_and_b32_e32 v4, 1, v4
	v_lshrrev_b32_sdwa v4, s69, v4 dst_sel:DWORD dst_unused:UNUSED_PAD src0_sel:DWORD src1_sel:WORD_0
	v_and_b32_e32 v4, s84, v4
	v_lshlrev_b32_e32 v5, 2, v27
	v_lshl_or_b32 v4, v4, 4, v5
	ds_add_u32 v4, v63
	s_branch .LBB1562_357
.LBB1562_390:                           ;   in Loop: Header=BB1562_358 Depth=2
	s_or_b64 exec, exec, s[18:19]
	v_cmp_gt_u32_e32 vcc, s20, v24
	s_and_saveexec_b64 s[18:19], vcc
	s_cbranch_execz .LBB1562_364
.LBB1562_391:                           ;   in Loop: Header=BB1562_358 Depth=2
	v_mov_b32_e32 v5, s24
	v_add_co_u32_e32 v4, vcc, s23, v2
	v_addc_co_u32_e32 v5, vcc, 0, v5, vcc
	global_load_ubyte v6, v[4:5], off offset:256
	s_or_b64 exec, exec, s[18:19]
	v_cmp_gt_u32_e32 vcc, s20, v25
	s_and_saveexec_b64 s[18:19], vcc
	s_cbranch_execnz .LBB1562_365
.LBB1562_392:                           ;   in Loop: Header=BB1562_358 Depth=2
	s_or_b64 exec, exec, s[18:19]
	v_cmp_gt_u32_e32 vcc, s20, v26
	s_and_saveexec_b64 s[18:19], vcc
	s_cbranch_execz .LBB1562_366
.LBB1562_393:                           ;   in Loop: Header=BB1562_358 Depth=2
	v_mov_b32_e32 v5, s24
	v_add_co_u32_e32 v4, vcc, s23, v2
	v_addc_co_u32_e32 v5, vcc, 0, v5, vcc
	global_load_ubyte v8, v[4:5], off offset:768
	s_or_b64 exec, exec, s[18:19]
	v_cmp_gt_u32_e32 vcc, s20, v30
	s_and_saveexec_b64 s[18:19], vcc
	s_cbranch_execnz .LBB1562_367
.LBB1562_394:                           ;   in Loop: Header=BB1562_358 Depth=2
	s_or_b64 exec, exec, s[18:19]
	v_cmp_gt_u32_e32 vcc, s20, v31
	s_and_saveexec_b64 s[18:19], vcc
	s_cbranch_execz .LBB1562_368
.LBB1562_395:                           ;   in Loop: Header=BB1562_358 Depth=2
	v_mov_b32_e32 v5, s24
	v_add_co_u32_e32 v4, vcc, s23, v2
	v_addc_co_u32_e32 v5, vcc, 0, v5, vcc
	global_load_ubyte v10, v[4:5], off offset:1280
	s_or_b64 exec, exec, s[18:19]
	v_cmp_gt_u32_e32 vcc, s20, v32
	s_and_saveexec_b64 s[18:19], vcc
	s_cbranch_execz .LBB1562_370
	s_branch .LBB1562_369
.LBB1562_396:                           ;   in Loop: Header=BB1562_20 Depth=1
	v_mov_b32_e32 v0, 0
	s_waitcnt lgkmcnt(0)
	s_barrier
	s_and_saveexec_b64 s[16:17], s[4:5]
	s_cbranch_execz .LBB1562_398
; %bb.397:                              ;   in Loop: Header=BB1562_20 Depth=1
	ds_read2_b64 v[4:7], v34 offset1:1
	s_waitcnt lgkmcnt(0)
	v_add_u32_e32 v0, v5, v4
	v_add3_u32 v0, v0, v6, v7
.LBB1562_398:                           ;   in Loop: Header=BB1562_20 Depth=1
	s_or_b64 exec, exec, s[16:17]
	v_and_b32_e32 v4, 15, v64
	v_mov_b32_dpp v5, v0 row_shr:1 row_mask:0xf bank_mask:0xf
	v_cmp_eq_u32_e64 s[16:17], 0, v4
	v_cndmask_b32_e64 v5, v5, 0, s[16:17]
	v_add_u32_e32 v0, v5, v0
	v_cmp_lt_u32_e64 s[18:19], 1, v4
	v_cmp_lt_u32_e64 s[20:21], 3, v4
	v_mov_b32_dpp v5, v0 row_shr:2 row_mask:0xf bank_mask:0xf
	v_cndmask_b32_e64 v5, 0, v5, s[18:19]
	v_add_u32_e32 v0, v0, v5
	v_cmp_lt_u32_e64 s[22:23], 7, v4
	v_cmp_lt_u32_e64 s[26:27], 31, v64
	v_mov_b32_dpp v5, v0 row_shr:4 row_mask:0xf bank_mask:0xf
	v_cndmask_b32_e64 v5, 0, v5, s[20:21]
	v_add_u32_e32 v0, v0, v5
	v_and_b32_e32 v6, 16, v64
	v_cmp_eq_u32_e64 s[24:25], 0, v6
	v_mov_b32_dpp v5, v0 row_shr:8 row_mask:0xf bank_mask:0xf
	v_cndmask_b32_e64 v4, 0, v5, s[22:23]
	v_add_u32_e32 v0, v0, v4
	v_bfe_i32 v5, v64, 4, 1
	s_nop 0
	v_mov_b32_dpp v4, v0 row_bcast:15 row_mask:0xf bank_mask:0xf
	v_and_b32_e32 v4, v5, v4
	v_add_u32_e32 v0, v0, v4
	s_nop 1
	v_mov_b32_dpp v4, v0 row_bcast:31 row_mask:0xf bank_mask:0xf
	v_cndmask_b32_e64 v4, 0, v4, s[26:27]
	v_add_u32_e32 v4, v0, v4
	s_and_saveexec_b64 s[28:29], s[6:7]
	s_cbranch_execz .LBB1562_400
; %bb.399:                              ;   in Loop: Header=BB1562_20 Depth=1
	ds_write_b32 v36, v4
.LBB1562_400:                           ;   in Loop: Header=BB1562_20 Depth=1
	s_or_b64 exec, exec, s[28:29]
	v_and_b32_e32 v0, 3, v64
	s_waitcnt lgkmcnt(0)
	s_barrier
	s_and_saveexec_b64 s[28:29], s[8:9]
	s_cbranch_execz .LBB1562_402
; %bb.401:                              ;   in Loop: Header=BB1562_20 Depth=1
	ds_read_b32 v5, v37
	v_cmp_ne_u32_e32 vcc, 0, v0
	s_waitcnt lgkmcnt(0)
	v_mov_b32_dpp v6, v5 row_shr:1 row_mask:0xf bank_mask:0xf
	v_cndmask_b32_e32 v6, 0, v6, vcc
	v_add_u32_e32 v5, v6, v5
	v_cmp_lt_u32_e32 vcc, 1, v0
	s_nop 0
	v_mov_b32_dpp v6, v5 row_shr:2 row_mask:0xf bank_mask:0xf
	v_cndmask_b32_e32 v6, 0, v6, vcc
	v_add_u32_e32 v5, v5, v6
	ds_write_b32 v37, v5
.LBB1562_402:                           ;   in Loop: Header=BB1562_20 Depth=1
	s_or_b64 exec, exec, s[28:29]
	v_mov_b32_e32 v5, 0
	s_waitcnt lgkmcnt(0)
	s_barrier
	s_and_saveexec_b64 s[28:29], s[10:11]
	s_cbranch_execz .LBB1562_404
; %bb.403:                              ;   in Loop: Header=BB1562_20 Depth=1
	ds_read_b32 v5, v38
.LBB1562_404:                           ;   in Loop: Header=BB1562_20 Depth=1
	s_or_b64 exec, exec, s[28:29]
	v_add_u32_e32 v6, -1, v64
	v_and_b32_e32 v7, 64, v64
	v_cmp_lt_i32_e32 vcc, v6, v7
	v_cndmask_b32_e32 v6, v6, v64, vcc
	s_waitcnt lgkmcnt(0)
	v_add_u32_e32 v4, v5, v4
	v_lshlrev_b32_e32 v65, 2, v6
	ds_bpermute_b32 v4, v65, v4
	v_cmp_eq_u32_e64 s[28:29], 0, v64
	s_waitcnt lgkmcnt(0)
	s_barrier
	s_and_saveexec_b64 s[30:31], s[4:5]
	s_cbranch_execz .LBB1562_406
; %bb.405:                              ;   in Loop: Header=BB1562_20 Depth=1
	v_cndmask_b32_e64 v4, v4, v5, s[28:29]
	v_add_u32_e32 v4, s51, v4
	ds_write_b32 v3, v4
.LBB1562_406:                           ;   in Loop: Header=BB1562_20 Depth=1
	s_or_b64 exec, exec, s[30:31]
	s_load_dwordx2 s[30:31], s[74:75], 0x0
	s_mov_b32 s85, s71
	s_mov_b32 s72, s51
                                        ; implicit-def: $vgpr4_vgpr5
                                        ; implicit-def: $vgpr6_vgpr7
                                        ; implicit-def: $vgpr8_vgpr9
                                        ; implicit-def: $vgpr10_vgpr11
                                        ; implicit-def: $vgpr12_vgpr13
                                        ; implicit-def: $vgpr14_vgpr15
                                        ; implicit-def: $vgpr16_vgpr17
                                        ; implicit-def: $vgpr18_vgpr19
                                        ; implicit-def: $vgpr66
                                        ; implicit-def: $vgpr67
                                        ; implicit-def: $vgpr68
                                        ; implicit-def: $vgpr69
                                        ; implicit-def: $vgpr70
                                        ; implicit-def: $vgpr71
                                        ; implicit-def: $vgpr73
                                        ; implicit-def: $vgpr75
	s_waitcnt lgkmcnt(0)
	s_cmp_lt_u32 s50, s30
	s_cselect_b32 s34, 12, 18
	s_cmp_lt_u32 s33, s31
	s_cselect_b32 s30, 14, 20
	s_add_u32 s30, s74, s30
	s_addc_u32 s31, s75, 0
	s_add_u32 s34, s74, s34
	global_load_ushort v20, v1, s[30:31]
	s_addc_u32 s35, s75, 0
	global_load_ushort v21, v1, s[34:35]
	v_cmp_eq_u32_e64 s[30:31], 0, v0
	v_cmp_lt_u32_e64 s[34:35], 1, v0
	v_and_b32_e32 v0, 63, v64
	v_add_co_u32_e32 v74, vcc, v61, v0
	v_lshlrev_b32_e32 v22, 3, v0
	v_addc_co_u32_e32 v76, vcc, 0, v62, vcc
	v_add_co_u32_e32 v77, vcc, v59, v22
	v_or_b32_e32 v72, v0, v39
	v_addc_co_u32_e32 v78, vcc, 0, v60, vcc
	v_add_co_u32_e32 v86, vcc, 0x1c0, v74
	v_or_b32_e32 v79, 64, v72
	v_or_b32_e32 v80, 0x80, v72
	;; [unrolled: 1-line block ×7, first 2 shown]
	v_addc_co_u32_e32 v87, vcc, 0, v76, vcc
	s_waitcnt vmcnt(1)
	v_mad_u32_u24 v0, v40, v20, v41
	s_waitcnt vmcnt(0)
	v_mad_u64_u32 v[20:21], s[36:37], v0, v21, v[2:3]
	v_lshrrev_b32_e32 v88, 6, v20
	s_branch .LBB1562_408
.LBB1562_407:                           ;   in Loop: Header=BB1562_408 Depth=2
	s_or_b64 exec, exec, s[36:37]
	s_addk_i32 s85, 0xf800
	s_cmp_lt_u32 s86, s76
	s_mov_b32 s72, s86
	s_cbranch_scc0 .LBB1562_520
.LBB1562_408:                           ;   Parent Loop BB1562_20 Depth=1
                                        ; =>  This Inner Loop Header: Depth=2
	s_add_i32 s86, s72, 0x800
	s_cmp_gt_u32 s86, s76
	s_cbranch_scc1 .LBB1562_410
; %bb.409:                              ;   in Loop: Header=BB1562_408 Depth=2
	v_add_co_u32_e32 v20, vcc, s72, v74
	v_addc_co_u32_e32 v21, vcc, 0, v76, vcc
	global_load_ubyte v0, v[20:21], off offset:64
	global_load_ubyte v22, v[20:21], off offset:192
	;; [unrolled: 1-line block ×3, first 2 shown]
	global_load_ubyte v89, v[20:21], off
	global_load_ubyte v90, v[20:21], off offset:128
	global_load_ubyte v91, v[20:21], off offset:256
	s_nop 0
	global_load_ubyte v21, v[20:21], off offset:384
	s_mov_b64 s[36:37], -1
	s_movk_i32 s40, 0x800
	s_waitcnt vmcnt(6)
	v_lshlrev_b16_e32 v0, 8, v0
	s_waitcnt vmcnt(5)
	v_lshlrev_b16_e32 v20, 8, v22
	;; [unrolled: 2-line block ×3, first 2 shown]
	s_waitcnt vmcnt(3)
	v_or_b32_e32 v0, v89, v0
	s_waitcnt vmcnt(2)
	v_or_b32_sdwa v20, v90, v20 dst_sel:WORD_1 dst_unused:UNUSED_PAD src0_sel:DWORD src1_sel:DWORD
	s_waitcnt vmcnt(1)
	v_or_b32_e32 v22, v91, v22
	v_or_b32_sdwa v20, v0, v20 dst_sel:DWORD dst_unused:UNUSED_PAD src0_sel:WORD_0 src1_sel:DWORD
	v_and_b32_e32 v0, 0xffff, v22
	s_waitcnt vmcnt(0)
	v_lshl_or_b32 v21, v21, 16, v0
	s_cbranch_execz .LBB1562_411
	s_branch .LBB1562_420
.LBB1562_410:                           ;   in Loop: Header=BB1562_408 Depth=2
	s_mov_b64 s[36:37], 0
                                        ; implicit-def: $sgpr40
                                        ; implicit-def: $vgpr20_vgpr21
.LBB1562_411:                           ;   in Loop: Header=BB1562_408 Depth=2
	v_add_co_u32_e32 v22, vcc, s72, v74
	v_addc_co_u32_e32 v23, vcc, 0, v76, vcc
	s_mov_b32 s36, s73
	s_mov_b32 s37, s73
	v_cmp_gt_u32_e32 vcc, s85, v72
	v_pk_mov_b32 v[20:21], s[36:37], s[36:37] op_sel:[0,1]
	s_and_saveexec_b64 s[36:37], vcc
	s_cbranch_execz .LBB1562_514
; %bb.412:                              ;   in Loop: Header=BB1562_408 Depth=2
	global_load_ubyte v0, v[22:23], off
	v_mov_b32_e32 v21, s73
	s_waitcnt vmcnt(0)
	v_and_b32_e32 v20, 0xffff, v0
	s_or_b64 exec, exec, s[36:37]
	v_cmp_gt_u32_e32 vcc, s85, v79
	s_and_saveexec_b64 s[36:37], vcc
	s_cbranch_execnz .LBB1562_515
.LBB1562_413:                           ;   in Loop: Header=BB1562_408 Depth=2
	s_or_b64 exec, exec, s[36:37]
	v_cmp_gt_u32_e32 vcc, s85, v80
	s_and_saveexec_b64 s[36:37], vcc
	s_cbranch_execz .LBB1562_516
.LBB1562_414:                           ;   in Loop: Header=BB1562_408 Depth=2
	global_load_ubyte v0, v[22:23], off offset:128
	v_and_b32_sdwa v89, v20, s79 dst_sel:DWORD dst_unused:UNUSED_PAD src0_sel:WORD_1 src1_sel:DWORD
	s_waitcnt vmcnt(0)
	v_or_b32_sdwa v0, v0, v89 dst_sel:WORD_1 dst_unused:UNUSED_PAD src0_sel:DWORD src1_sel:DWORD
	v_and_or_b32 v20, v20, s77, v0
	s_or_b64 exec, exec, s[36:37]
	v_cmp_gt_u32_e32 vcc, s85, v81
	s_and_saveexec_b64 s[36:37], vcc
	s_cbranch_execnz .LBB1562_517
.LBB1562_415:                           ;   in Loop: Header=BB1562_408 Depth=2
	s_or_b64 exec, exec, s[36:37]
	v_cmp_gt_u32_e32 vcc, s85, v82
	s_and_saveexec_b64 s[36:37], vcc
	s_cbranch_execz .LBB1562_518
.LBB1562_416:                           ;   in Loop: Header=BB1562_408 Depth=2
	global_load_ubyte v0, v[22:23], off offset:256
	s_waitcnt vmcnt(0)
	v_perm_b32 v21, v0, v21, s80
	s_or_b64 exec, exec, s[36:37]
	v_cmp_gt_u32_e32 vcc, s85, v83
	s_and_saveexec_b64 s[36:37], vcc
	s_cbranch_execnz .LBB1562_519
.LBB1562_417:                           ;   in Loop: Header=BB1562_408 Depth=2
	s_or_b64 exec, exec, s[36:37]
	v_cmp_gt_u32_e32 vcc, s85, v84
	s_and_saveexec_b64 s[36:37], vcc
	s_cbranch_execz .LBB1562_419
.LBB1562_418:                           ;   in Loop: Header=BB1562_408 Depth=2
	global_load_ubyte v0, v[22:23], off offset:384
	s_waitcnt vmcnt(0)
	v_perm_b32 v21, v21, v0, s81
.LBB1562_419:                           ;   in Loop: Header=BB1562_408 Depth=2
	s_or_b64 exec, exec, s[36:37]
	s_sub_i32 s40, s76, s72
	v_cmp_gt_u32_e64 s[36:37], s85, v85
.LBB1562_420:                           ;   in Loop: Header=BB1562_408 Depth=2
	v_mov_b32_e32 v0, s85
	s_and_saveexec_b64 s[38:39], s[36:37]
	s_cbranch_execz .LBB1562_422
; %bb.421:                              ;   in Loop: Header=BB1562_408 Depth=2
	v_mov_b32_e32 v0, s73
	v_add_co_u32_e32 v22, vcc, s72, v86
	v_addc_co_u32_e32 v23, vcc, v87, v0, vcc
	global_load_ubyte v0, v[22:23], off
	s_waitcnt vmcnt(0)
	v_perm_b32 v21, v21, v0, s82
	v_mov_b32_e32 v0, s40
.LBB1562_422:                           ;   in Loop: Header=BB1562_408 Depth=2
	s_or_b64 exec, exec, s[38:39]
	v_and_b32_sdwa v22, v63, v20 dst_sel:DWORD dst_unused:UNUSED_PAD src0_sel:DWORD src1_sel:BYTE_1
	v_cmp_eq_u32_e64 s[46:47], 1, v22
	v_and_b32_sdwa v22, v63, v21 dst_sel:DWORD dst_unused:UNUSED_PAD src0_sel:DWORD src1_sel:BYTE_1
	v_cmp_eq_u32_e64 s[38:39], 1, v22
	v_and_b32_e32 v22, 0x1000000, v21
	v_cmp_ne_u32_e32 vcc, 0, v22
	v_and_b32_e32 v22, 0x10000, v21
	v_and_b32_e32 v21, 1, v21
	v_cmp_eq_u32_e64 s[40:41], 1, v21
	v_and_b32_e32 v21, 0x1000000, v20
	v_cmp_ne_u32_e64 s[42:43], 0, v21
	v_and_b32_e32 v21, 0x10000, v20
	v_and_b32_e32 v20, 1, v20
	v_cmp_eq_u32_e64 s[48:49], 1, v20
	s_xor_b64 s[48:49], s[48:49], -1
	v_add_u32_e32 v20, 0x410, v42
	v_cndmask_b32_e64 v89, 0, 1, s[48:49]
	ds_write2_b32 v20, v1, v1 offset1:1
	ds_write2_b32 v44, v1, v1 offset0:2 offset1:3
	ds_write_b32 v44, v1 offset:16
	v_lshrrev_b32_e32 v20, s69, v89
	v_and_b32_e32 v20, s84, v20
	v_cmp_ne_u32_e64 s[44:45], 0, v21
	v_mad_u32_u24 v21, v20, 5, v88
	v_cmp_ne_u32_e64 s[48:49], 0, v20
	v_add_co_u32_e64 v20, s[52:53], -1, v20
	v_lshl_add_u32 v92, v21, 2, v43
	v_addc_co_u32_e64 v21, s[52:53], 0, -1, s[52:53]
	v_xor_b32_e32 v20, s48, v20
	v_xor_b32_e32 v21, s49, v21
	v_and_b32_e32 v20, exec_lo, v20
	v_cmp_ne_u32_e64 s[36:37], 0, v22
	v_and_b32_e32 v21, exec_hi, v21
	v_mbcnt_lo_u32_b32 v22, v20, 0
	v_mbcnt_hi_u32_b32 v90, v21, v22
	v_cmp_eq_u32_e64 s[48:49], 0, v90
	v_cmp_ne_u64_e64 s[52:53], 0, v[20:21]
	s_and_b64 s[52:53], s[52:53], s[48:49]
	s_waitcnt lgkmcnt(0)
	s_barrier
	s_waitcnt lgkmcnt(0)
	; wave barrier
	s_and_saveexec_b64 s[48:49], s[52:53]
	s_cbranch_execz .LBB1562_424
; %bb.423:                              ;   in Loop: Header=BB1562_408 Depth=2
	v_bcnt_u32_b32 v20, v20, 0
	v_bcnt_u32_b32 v20, v21, v20
	ds_write_b32 v92, v20
.LBB1562_424:                           ;   in Loop: Header=BB1562_408 Depth=2
	s_or_b64 exec, exec, s[48:49]
	s_xor_b64 s[46:47], s[46:47], -1
	v_cndmask_b32_e64 v91, 0, 1, s[46:47]
	v_lshrrev_b32_e32 v20, s69, v91
	v_and_b32_e32 v20, s84, v20
	v_mul_u32_u24_e32 v21, 5, v20
	v_add_lshl_u32 v21, v21, v88, 2
	v_cmp_ne_u32_e64 s[46:47], 0, v20
	v_add_co_u32_e64 v20, s[48:49], -1, v20
	; wave barrier
	v_add_u32_e32 v95, 0x410, v21
	ds_read_b32 v93, v21 offset:1040
	v_addc_co_u32_e64 v21, s[48:49], 0, -1, s[48:49]
	v_xor_b32_e32 v20, s46, v20
	v_xor_b32_e32 v21, s47, v21
	v_and_b32_e32 v20, exec_lo, v20
	v_and_b32_e32 v21, exec_hi, v21
	v_mbcnt_lo_u32_b32 v22, v20, 0
	v_mbcnt_hi_u32_b32 v94, v21, v22
	v_cmp_eq_u32_e64 s[46:47], 0, v94
	v_cmp_ne_u64_e64 s[48:49], 0, v[20:21]
	s_and_b64 s[48:49], s[48:49], s[46:47]
	; wave barrier
	s_and_saveexec_b64 s[46:47], s[48:49]
	s_cbranch_execz .LBB1562_426
; %bb.425:                              ;   in Loop: Header=BB1562_408 Depth=2
	v_bcnt_u32_b32 v20, v20, 0
	v_bcnt_u32_b32 v20, v21, v20
	s_waitcnt lgkmcnt(0)
	v_add_u32_e32 v20, v93, v20
	ds_write_b32 v95, v20
.LBB1562_426:                           ;   in Loop: Header=BB1562_408 Depth=2
	s_or_b64 exec, exec, s[46:47]
	s_xor_b64 s[44:45], s[44:45], -1
	v_cndmask_b32_e64 v98, 0, 1, s[44:45]
	v_lshrrev_b32_e32 v20, s69, v98
	v_and_b32_e32 v20, s84, v20
	v_mul_u32_u24_e32 v21, 5, v20
	v_add_lshl_u32 v21, v21, v88, 2
	v_cmp_ne_u32_e64 s[44:45], 0, v20
	v_add_co_u32_e64 v20, s[46:47], -1, v20
	; wave barrier
	v_add_u32_e32 v96, 0x410, v21
	ds_read_b32 v99, v21 offset:1040
	v_addc_co_u32_e64 v21, s[46:47], 0, -1, s[46:47]
	v_xor_b32_e32 v20, s44, v20
	v_xor_b32_e32 v21, s45, v21
	v_and_b32_e32 v20, exec_lo, v20
	v_and_b32_e32 v21, exec_hi, v21
	v_mbcnt_lo_u32_b32 v22, v20, 0
	v_mbcnt_hi_u32_b32 v100, v21, v22
	v_cmp_eq_u32_e64 s[44:45], 0, v100
	v_cmp_ne_u64_e64 s[46:47], 0, v[20:21]
	s_and_b64 s[46:47], s[46:47], s[44:45]
	; wave barrier
	s_and_saveexec_b64 s[44:45], s[46:47]
	s_cbranch_execz .LBB1562_428
; %bb.427:                              ;   in Loop: Header=BB1562_408 Depth=2
	v_bcnt_u32_b32 v20, v20, 0
	v_bcnt_u32_b32 v20, v21, v20
	s_waitcnt lgkmcnt(0)
	v_add_u32_e32 v20, v99, v20
	ds_write_b32 v96, v20
.LBB1562_428:                           ;   in Loop: Header=BB1562_408 Depth=2
	;; [unrolled: 32-line block ×6, first 2 shown]
	s_or_b64 exec, exec, s[36:37]
	s_xor_b64 s[36:37], vcc, -1
	v_cndmask_b32_e64 v115, 0, 1, s[36:37]
	v_lshrrev_b32_e32 v20, s69, v115
	v_and_b32_e32 v20, s84, v20
	v_mul_u32_u24_e32 v21, 5, v20
	v_add_lshl_u32 v21, v21, v88, 2
	v_cmp_ne_u32_e32 vcc, 0, v20
	v_add_co_u32_e64 v20, s[36:37], -1, v20
	; wave barrier
	v_add_u32_e32 v119, 0x410, v21
	ds_read_b32 v117, v21 offset:1040
	v_addc_co_u32_e64 v21, s[36:37], 0, -1, s[36:37]
	v_xor_b32_e32 v20, vcc_lo, v20
	v_xor_b32_e32 v21, vcc_hi, v21
	v_and_b32_e32 v20, exec_lo, v20
	v_and_b32_e32 v21, exec_hi, v21
	v_mbcnt_lo_u32_b32 v22, v20, 0
	v_mbcnt_hi_u32_b32 v118, v21, v22
	v_cmp_eq_u32_e32 vcc, 0, v118
	v_cmp_ne_u64_e64 s[36:37], 0, v[20:21]
	s_and_b64 s[38:39], s[36:37], vcc
	; wave barrier
	s_and_saveexec_b64 s[36:37], s[38:39]
	s_cbranch_execz .LBB1562_438
; %bb.437:                              ;   in Loop: Header=BB1562_408 Depth=2
	v_bcnt_u32_b32 v20, v20, 0
	v_bcnt_u32_b32 v20, v21, v20
	s_waitcnt lgkmcnt(0)
	v_add_u32_e32 v20, v117, v20
	ds_write_b32 v119, v20
.LBB1562_438:                           ;   in Loop: Header=BB1562_408 Depth=2
	s_or_b64 exec, exec, s[36:37]
	; wave barrier
	s_waitcnt lgkmcnt(0)
	s_barrier
	ds_read_b32 v120, v42 offset:1040
	ds_read2_b32 v[22:23], v44 offset0:1 offset1:2
	ds_read2_b32 v[20:21], v44 offset0:3 offset1:4
	s_waitcnt lgkmcnt(1)
	v_add3_u32 v121, v22, v120, v23
	s_waitcnt lgkmcnt(0)
	v_add3_u32 v21, v121, v20, v21
	s_nop 1
	v_mov_b32_dpp v121, v21 row_shr:1 row_mask:0xf bank_mask:0xf
	v_cndmask_b32_e64 v121, v121, 0, s[16:17]
	v_add_u32_e32 v21, v121, v21
	s_nop 1
	v_mov_b32_dpp v121, v21 row_shr:2 row_mask:0xf bank_mask:0xf
	v_cndmask_b32_e64 v121, 0, v121, s[18:19]
	v_add_u32_e32 v21, v21, v121
	;; [unrolled: 4-line block ×4, first 2 shown]
	s_nop 1
	v_mov_b32_dpp v121, v21 row_bcast:15 row_mask:0xf bank_mask:0xf
	v_cndmask_b32_e64 v121, v121, 0, s[24:25]
	v_add_u32_e32 v21, v21, v121
	s_nop 1
	v_mov_b32_dpp v121, v21 row_bcast:31 row_mask:0xf bank_mask:0xf
	v_cndmask_b32_e64 v121, 0, v121, s[26:27]
	v_add_u32_e32 v21, v21, v121
	s_and_saveexec_b64 s[36:37], s[6:7]
	s_cbranch_execz .LBB1562_440
; %bb.439:                              ;   in Loop: Header=BB1562_408 Depth=2
	ds_write_b32 v35, v21 offset:1024
.LBB1562_440:                           ;   in Loop: Header=BB1562_408 Depth=2
	s_or_b64 exec, exec, s[36:37]
	s_waitcnt lgkmcnt(0)
	s_barrier
	s_and_saveexec_b64 s[36:37], s[8:9]
	s_cbranch_execz .LBB1562_442
; %bb.441:                              ;   in Loop: Header=BB1562_408 Depth=2
	v_add_u32_e32 v121, v42, v45
	ds_read_b32 v122, v121 offset:1024
	s_waitcnt lgkmcnt(0)
	s_nop 0
	v_mov_b32_dpp v123, v122 row_shr:1 row_mask:0xf bank_mask:0xf
	v_cndmask_b32_e64 v123, v123, 0, s[30:31]
	v_add_u32_e32 v122, v123, v122
	s_nop 1
	v_mov_b32_dpp v123, v122 row_shr:2 row_mask:0xf bank_mask:0xf
	v_cndmask_b32_e64 v123, 0, v123, s[34:35]
	v_add_u32_e32 v122, v122, v123
	ds_write_b32 v121, v122 offset:1024
.LBB1562_442:                           ;   in Loop: Header=BB1562_408 Depth=2
	s_or_b64 exec, exec, s[36:37]
	v_mov_b32_e32 v121, 0
	s_waitcnt lgkmcnt(0)
	s_barrier
	s_and_saveexec_b64 s[36:37], s[10:11]
	s_cbranch_execz .LBB1562_444
; %bb.443:                              ;   in Loop: Header=BB1562_408 Depth=2
	ds_read_b32 v121, v35 offset:1020
.LBB1562_444:                           ;   in Loop: Header=BB1562_408 Depth=2
	s_or_b64 exec, exec, s[36:37]
	s_waitcnt lgkmcnt(0)
	v_add_u32_e32 v21, v121, v21
	ds_bpermute_b32 v21, v65, v21
	s_waitcnt lgkmcnt(0)
	v_cndmask_b32_e64 v21, v21, v121, s[28:29]
	v_cndmask_b32_e64 v21, v21, 0, s[12:13]
	v_add_u32_e32 v120, v21, v120
	ds_write_b32 v42, v21 offset:1040
	v_add_u32_e32 v21, v120, v22
	v_add_u32_e32 v22, v21, v23
	;; [unrolled: 1-line block ×3, first 2 shown]
	ds_write2_b32 v44, v120, v21 offset0:1 offset1:2
	ds_write2_b32 v44, v22, v20 offset0:3 offset1:4
	s_waitcnt lgkmcnt(0)
	s_barrier
	ds_read_b32 v20, v95
	ds_read_b32 v21, v96
	;; [unrolled: 1-line block ×8, first 2 shown]
	ds_read_b32 v95, v42 offset:1040
	v_mov_b32_e32 v22, 0x800
	s_and_saveexec_b64 s[36:37], s[14:15]
	s_cbranch_execz .LBB1562_446
; %bb.445:                              ;   in Loop: Header=BB1562_408 Depth=2
	ds_read_b32 v22, v42 offset:1060
.LBB1562_446:                           ;   in Loop: Header=BB1562_408 Depth=2
	s_or_b64 exec, exec, s[36:37]
	s_waitcnt lgkmcnt(0)
	s_barrier
	s_and_saveexec_b64 s[36:37], s[4:5]
	s_cbranch_execz .LBB1562_448
; %bb.447:                              ;   in Loop: Header=BB1562_408 Depth=2
	ds_read_b32 v96, v3
	s_waitcnt lgkmcnt(0)
	v_sub_u32_e32 v95, v96, v95
	ds_write_b32 v3, v95
.LBB1562_448:                           ;   in Loop: Header=BB1562_408 Depth=2
	s_or_b64 exec, exec, s[36:37]
	v_add_u32_e32 v97, v92, v90
	v_add3_u32 v96, v94, v93, v20
	v_add3_u32 v95, v100, v99, v21
	;; [unrolled: 1-line block ×7, first 2 shown]
	v_cmp_lt_u32_e64 s[48:49], v2, v0
	ds_write_b8 v97, v89 offset:1024
	ds_write_b8 v96, v91 offset:1024
	;; [unrolled: 1-line block ×8, first 2 shown]
	s_waitcnt lgkmcnt(0)
	s_barrier
	s_and_saveexec_b64 s[36:37], s[48:49]
	s_cbranch_execz .LBB1562_456
; %bb.449:                              ;   in Loop: Header=BB1562_408 Depth=2
	ds_read_u8 v20, v2 offset:1024
	s_waitcnt lgkmcnt(0)
	v_and_b32_e32 v21, 1, v20
	v_lshrrev_b32_e32 v21, s69, v21
	v_and_b32_e32 v21, s84, v21
	v_lshlrev_b32_e32 v21, 2, v21
	ds_read_b32 v21, v21
	v_xor_b32_e32 v20, 1, v20
	s_waitcnt lgkmcnt(0)
	v_add_u32_e32 v21, v21, v2
	global_store_byte v21, v20, s[58:59]
	s_or_b64 exec, exec, s[36:37]
	v_cmp_lt_u32_e64 s[46:47], v24, v0
	s_and_saveexec_b64 s[36:37], s[46:47]
	s_cbranch_execnz .LBB1562_457
.LBB1562_450:                           ;   in Loop: Header=BB1562_408 Depth=2
	s_or_b64 exec, exec, s[36:37]
	v_cmp_lt_u32_e64 s[44:45], v25, v0
	s_and_saveexec_b64 s[36:37], s[44:45]
	s_cbranch_execz .LBB1562_458
.LBB1562_451:                           ;   in Loop: Header=BB1562_408 Depth=2
	ds_read_u8 v20, v30 offset:512
	s_waitcnt lgkmcnt(0)
	v_and_b32_e32 v21, 1, v20
	v_lshrrev_b32_e32 v21, s69, v21
	v_and_b32_e32 v21, s84, v21
	v_lshlrev_b32_e32 v21, 2, v21
	ds_read_b32 v21, v21
	v_xor_b32_e32 v20, 1, v20
	s_waitcnt lgkmcnt(0)
	v_add_u32_e32 v21, v21, v25
	global_store_byte v21, v20, s[58:59]
	s_or_b64 exec, exec, s[36:37]
	v_cmp_lt_u32_e64 s[42:43], v26, v0
	s_and_saveexec_b64 s[36:37], s[42:43]
	s_cbranch_execnz .LBB1562_459
.LBB1562_452:                           ;   in Loop: Header=BB1562_408 Depth=2
	s_or_b64 exec, exec, s[36:37]
	v_cmp_lt_u32_e64 s[40:41], v30, v0
	s_and_saveexec_b64 s[36:37], s[40:41]
	s_cbranch_execz .LBB1562_460
.LBB1562_453:                           ;   in Loop: Header=BB1562_408 Depth=2
	ds_read_u8 v20, v30 offset:1024
	s_waitcnt lgkmcnt(0)
	v_and_b32_e32 v21, 1, v20
	v_lshrrev_b32_e32 v21, s69, v21
	v_and_b32_e32 v21, s84, v21
	v_lshlrev_b32_e32 v21, 2, v21
	ds_read_b32 v21, v21
	v_xor_b32_e32 v20, 1, v20
	s_waitcnt lgkmcnt(0)
	v_add_u32_e32 v21, v21, v30
	global_store_byte v21, v20, s[58:59]
	s_or_b64 exec, exec, s[36:37]
	v_cmp_lt_u32_e64 s[38:39], v31, v0
	s_and_saveexec_b64 s[36:37], s[38:39]
	s_cbranch_execnz .LBB1562_461
.LBB1562_454:                           ;   in Loop: Header=BB1562_408 Depth=2
	s_or_b64 exec, exec, s[36:37]
	v_cmp_lt_u32_e64 s[36:37], v32, v0
	s_and_saveexec_b64 s[52:53], s[36:37]
	s_cbranch_execz .LBB1562_462
.LBB1562_455:                           ;   in Loop: Header=BB1562_408 Depth=2
	ds_read_u8 v20, v30 offset:1536
	s_waitcnt lgkmcnt(0)
	v_and_b32_e32 v21, 1, v20
	v_lshrrev_b32_e32 v21, s69, v21
	v_and_b32_e32 v21, s84, v21
	v_lshlrev_b32_e32 v21, 2, v21
	ds_read_b32 v21, v21
	v_xor_b32_e32 v20, 1, v20
	s_waitcnt lgkmcnt(0)
	v_add_u32_e32 v21, v21, v32
	global_store_byte v21, v20, s[58:59]
	s_or_b64 exec, exec, s[52:53]
	v_cmp_lt_u32_e32 vcc, v33, v0
	s_and_saveexec_b64 s[52:53], vcc
	s_cbranch_execnz .LBB1562_463
	s_branch .LBB1562_464
.LBB1562_456:                           ;   in Loop: Header=BB1562_408 Depth=2
	s_or_b64 exec, exec, s[36:37]
	v_cmp_lt_u32_e64 s[46:47], v24, v0
	s_and_saveexec_b64 s[36:37], s[46:47]
	s_cbranch_execz .LBB1562_450
.LBB1562_457:                           ;   in Loop: Header=BB1562_408 Depth=2
	ds_read_u8 v20, v30 offset:256
	s_waitcnt lgkmcnt(0)
	v_and_b32_e32 v21, 1, v20
	v_lshrrev_b32_e32 v21, s69, v21
	v_and_b32_e32 v21, s84, v21
	v_lshlrev_b32_e32 v21, 2, v21
	ds_read_b32 v21, v21
	v_xor_b32_e32 v20, 1, v20
	s_waitcnt lgkmcnt(0)
	v_add_u32_e32 v21, v21, v24
	global_store_byte v21, v20, s[58:59]
	s_or_b64 exec, exec, s[36:37]
	v_cmp_lt_u32_e64 s[44:45], v25, v0
	s_and_saveexec_b64 s[36:37], s[44:45]
	s_cbranch_execnz .LBB1562_451
.LBB1562_458:                           ;   in Loop: Header=BB1562_408 Depth=2
	s_or_b64 exec, exec, s[36:37]
	v_cmp_lt_u32_e64 s[42:43], v26, v0
	s_and_saveexec_b64 s[36:37], s[42:43]
	s_cbranch_execz .LBB1562_452
.LBB1562_459:                           ;   in Loop: Header=BB1562_408 Depth=2
	ds_read_u8 v20, v30 offset:768
	s_waitcnt lgkmcnt(0)
	v_and_b32_e32 v21, 1, v20
	v_lshrrev_b32_e32 v21, s69, v21
	v_and_b32_e32 v21, s84, v21
	v_lshlrev_b32_e32 v21, 2, v21
	ds_read_b32 v21, v21
	v_xor_b32_e32 v20, 1, v20
	s_waitcnt lgkmcnt(0)
	v_add_u32_e32 v21, v21, v26
	global_store_byte v21, v20, s[58:59]
	s_or_b64 exec, exec, s[36:37]
	v_cmp_lt_u32_e64 s[40:41], v30, v0
	s_and_saveexec_b64 s[36:37], s[40:41]
	s_cbranch_execnz .LBB1562_453
.LBB1562_460:                           ;   in Loop: Header=BB1562_408 Depth=2
	s_or_b64 exec, exec, s[36:37]
	v_cmp_lt_u32_e64 s[38:39], v31, v0
	s_and_saveexec_b64 s[36:37], s[38:39]
	s_cbranch_execz .LBB1562_454
.LBB1562_461:                           ;   in Loop: Header=BB1562_408 Depth=2
	ds_read_u8 v20, v30 offset:1280
	s_waitcnt lgkmcnt(0)
	v_and_b32_e32 v21, 1, v20
	v_lshrrev_b32_e32 v21, s69, v21
	v_and_b32_e32 v21, s84, v21
	v_lshlrev_b32_e32 v21, 2, v21
	ds_read_b32 v21, v21
	v_xor_b32_e32 v20, 1, v20
	s_waitcnt lgkmcnt(0)
	v_add_u32_e32 v21, v21, v31
	global_store_byte v21, v20, s[58:59]
	s_or_b64 exec, exec, s[36:37]
	v_cmp_lt_u32_e64 s[36:37], v32, v0
	s_and_saveexec_b64 s[52:53], s[36:37]
	s_cbranch_execnz .LBB1562_455
.LBB1562_462:                           ;   in Loop: Header=BB1562_408 Depth=2
	s_or_b64 exec, exec, s[52:53]
	v_cmp_lt_u32_e32 vcc, v33, v0
	s_and_saveexec_b64 s[52:53], vcc
	s_cbranch_execz .LBB1562_464
.LBB1562_463:                           ;   in Loop: Header=BB1562_408 Depth=2
	ds_read_u8 v20, v30 offset:1792
	s_waitcnt lgkmcnt(0)
	v_and_b32_e32 v21, 1, v20
	v_lshrrev_b32_e32 v21, s69, v21
	v_and_b32_e32 v21, s84, v21
	v_lshlrev_b32_e32 v21, 2, v21
	ds_read_b32 v21, v21
	v_xor_b32_e32 v20, 1, v20
	s_waitcnt lgkmcnt(0)
	v_add_u32_e32 v21, v21, v33
	global_store_byte v21, v20, s[58:59]
.LBB1562_464:                           ;   in Loop: Header=BB1562_408 Depth=2
	s_or_b64 exec, exec, s[52:53]
	s_lshl_b64 s[52:53], s[72:73], 3
	v_mov_b32_e32 v21, s53
	v_add_co_u32_e64 v20, s[52:53], s52, v77
	v_addc_co_u32_e64 v21, s[52:53], v78, v21, s[52:53]
	v_cmp_lt_u32_e64 s[52:53], v72, v0
	s_and_saveexec_b64 s[62:63], s[52:53]
	s_xor_b64 s[52:53], exec, s[62:63]
	s_cbranch_execz .LBB1562_480
; %bb.465:                              ;   in Loop: Header=BB1562_408 Depth=2
	global_load_dwordx2 v[18:19], v[20:21], off
	s_or_b64 exec, exec, s[52:53]
	v_cmp_lt_u32_e64 s[52:53], v79, v0
	s_and_saveexec_b64 s[62:63], s[52:53]
	s_cbranch_execnz .LBB1562_481
.LBB1562_466:                           ;   in Loop: Header=BB1562_408 Depth=2
	s_or_b64 exec, exec, s[62:63]
	v_cmp_lt_u32_e64 s[52:53], v80, v0
	s_and_saveexec_b64 s[62:63], s[52:53]
	s_cbranch_execz .LBB1562_482
.LBB1562_467:                           ;   in Loop: Header=BB1562_408 Depth=2
	global_load_dwordx2 v[14:15], v[20:21], off offset:1024
	s_or_b64 exec, exec, s[62:63]
	v_cmp_lt_u32_e64 s[52:53], v81, v0
	s_and_saveexec_b64 s[62:63], s[52:53]
	s_cbranch_execnz .LBB1562_483
.LBB1562_468:                           ;   in Loop: Header=BB1562_408 Depth=2
	s_or_b64 exec, exec, s[62:63]
	v_cmp_lt_u32_e64 s[52:53], v82, v0
	s_and_saveexec_b64 s[62:63], s[52:53]
	s_cbranch_execz .LBB1562_484
.LBB1562_469:                           ;   in Loop: Header=BB1562_408 Depth=2
	global_load_dwordx2 v[10:11], v[20:21], off offset:2048
	s_or_b64 exec, exec, s[62:63]
	v_cmp_lt_u32_e64 s[52:53], v83, v0
	s_and_saveexec_b64 s[62:63], s[52:53]
	s_cbranch_execnz .LBB1562_485
.LBB1562_470:                           ;   in Loop: Header=BB1562_408 Depth=2
	s_or_b64 exec, exec, s[62:63]
	v_cmp_lt_u32_e64 s[52:53], v84, v0
	s_and_saveexec_b64 s[62:63], s[52:53]
	s_cbranch_execz .LBB1562_486
.LBB1562_471:                           ;   in Loop: Header=BB1562_408 Depth=2
	global_load_dwordx2 v[6:7], v[20:21], off offset:3072
	s_or_b64 exec, exec, s[62:63]
	v_cmp_lt_u32_e64 s[52:53], v85, v0
	s_and_saveexec_b64 s[62:63], s[52:53]
	s_cbranch_execnz .LBB1562_487
.LBB1562_472:                           ;   in Loop: Header=BB1562_408 Depth=2
	s_or_b64 exec, exec, s[62:63]
	s_and_saveexec_b64 s[52:53], s[48:49]
	s_cbranch_execz .LBB1562_488
.LBB1562_473:                           ;   in Loop: Header=BB1562_408 Depth=2
	ds_read_u8 v0, v2 offset:1024
	s_waitcnt lgkmcnt(0)
	v_lshrrev_b32_e32 v0, s69, v0
	v_and_b32_e32 v75, s84, v0
	s_or_b64 exec, exec, s[52:53]
	s_and_saveexec_b64 s[52:53], s[46:47]
	s_cbranch_execnz .LBB1562_489
.LBB1562_474:                           ;   in Loop: Header=BB1562_408 Depth=2
	s_or_b64 exec, exec, s[52:53]
	s_and_saveexec_b64 s[52:53], s[44:45]
	s_cbranch_execz .LBB1562_490
.LBB1562_475:                           ;   in Loop: Header=BB1562_408 Depth=2
	ds_read_u8 v0, v30 offset:512
	s_waitcnt lgkmcnt(0)
	v_lshrrev_b32_e32 v0, s69, v0
	v_and_b32_e32 v71, s84, v0
	s_or_b64 exec, exec, s[52:53]
	s_and_saveexec_b64 s[52:53], s[42:43]
	s_cbranch_execnz .LBB1562_491
.LBB1562_476:                           ;   in Loop: Header=BB1562_408 Depth=2
	s_or_b64 exec, exec, s[52:53]
	s_and_saveexec_b64 s[52:53], s[40:41]
	s_cbranch_execz .LBB1562_492
.LBB1562_477:                           ;   in Loop: Header=BB1562_408 Depth=2
	ds_read_u8 v0, v30 offset:1024
	s_waitcnt lgkmcnt(0)
	v_lshrrev_b32_e32 v0, s69, v0
	v_and_b32_e32 v69, s84, v0
	s_or_b64 exec, exec, s[52:53]
	s_and_saveexec_b64 s[52:53], s[38:39]
	s_cbranch_execnz .LBB1562_493
.LBB1562_478:                           ;   in Loop: Header=BB1562_408 Depth=2
	s_or_b64 exec, exec, s[52:53]
	s_and_saveexec_b64 s[52:53], s[36:37]
	s_cbranch_execz .LBB1562_494
.LBB1562_479:                           ;   in Loop: Header=BB1562_408 Depth=2
	ds_read_u8 v0, v30 offset:1536
	s_waitcnt lgkmcnt(0)
	v_lshrrev_b32_e32 v0, s69, v0
	v_and_b32_e32 v67, s84, v0
	s_or_b64 exec, exec, s[52:53]
	s_and_saveexec_b64 s[52:53], vcc
	s_cbranch_execnz .LBB1562_495
	s_branch .LBB1562_496
.LBB1562_480:                           ;   in Loop: Header=BB1562_408 Depth=2
	s_or_b64 exec, exec, s[52:53]
	v_cmp_lt_u32_e64 s[52:53], v79, v0
	s_and_saveexec_b64 s[62:63], s[52:53]
	s_cbranch_execz .LBB1562_466
.LBB1562_481:                           ;   in Loop: Header=BB1562_408 Depth=2
	global_load_dwordx2 v[16:17], v[20:21], off offset:512
	s_or_b64 exec, exec, s[62:63]
	v_cmp_lt_u32_e64 s[52:53], v80, v0
	s_and_saveexec_b64 s[62:63], s[52:53]
	s_cbranch_execnz .LBB1562_467
.LBB1562_482:                           ;   in Loop: Header=BB1562_408 Depth=2
	s_or_b64 exec, exec, s[62:63]
	v_cmp_lt_u32_e64 s[52:53], v81, v0
	s_and_saveexec_b64 s[62:63], s[52:53]
	s_cbranch_execz .LBB1562_468
.LBB1562_483:                           ;   in Loop: Header=BB1562_408 Depth=2
	global_load_dwordx2 v[12:13], v[20:21], off offset:1536
	s_or_b64 exec, exec, s[62:63]
	v_cmp_lt_u32_e64 s[52:53], v82, v0
	s_and_saveexec_b64 s[62:63], s[52:53]
	s_cbranch_execnz .LBB1562_469
.LBB1562_484:                           ;   in Loop: Header=BB1562_408 Depth=2
	s_or_b64 exec, exec, s[62:63]
	v_cmp_lt_u32_e64 s[52:53], v83, v0
	s_and_saveexec_b64 s[62:63], s[52:53]
	s_cbranch_execz .LBB1562_470
.LBB1562_485:                           ;   in Loop: Header=BB1562_408 Depth=2
	global_load_dwordx2 v[8:9], v[20:21], off offset:2560
	s_or_b64 exec, exec, s[62:63]
	v_cmp_lt_u32_e64 s[52:53], v84, v0
	s_and_saveexec_b64 s[62:63], s[52:53]
	s_cbranch_execnz .LBB1562_471
.LBB1562_486:                           ;   in Loop: Header=BB1562_408 Depth=2
	s_or_b64 exec, exec, s[62:63]
	v_cmp_lt_u32_e64 s[52:53], v85, v0
	s_and_saveexec_b64 s[62:63], s[52:53]
	s_cbranch_execz .LBB1562_472
.LBB1562_487:                           ;   in Loop: Header=BB1562_408 Depth=2
	global_load_dwordx2 v[4:5], v[20:21], off offset:3584
	s_or_b64 exec, exec, s[62:63]
	s_and_saveexec_b64 s[52:53], s[48:49]
	s_cbranch_execnz .LBB1562_473
.LBB1562_488:                           ;   in Loop: Header=BB1562_408 Depth=2
	s_or_b64 exec, exec, s[52:53]
	s_and_saveexec_b64 s[52:53], s[46:47]
	s_cbranch_execz .LBB1562_474
.LBB1562_489:                           ;   in Loop: Header=BB1562_408 Depth=2
	ds_read_u8 v0, v30 offset:256
	s_waitcnt lgkmcnt(0)
	v_lshrrev_b32_e32 v0, s69, v0
	v_and_b32_e32 v73, s84, v0
	s_or_b64 exec, exec, s[52:53]
	s_and_saveexec_b64 s[52:53], s[44:45]
	s_cbranch_execnz .LBB1562_475
.LBB1562_490:                           ;   in Loop: Header=BB1562_408 Depth=2
	s_or_b64 exec, exec, s[52:53]
	s_and_saveexec_b64 s[52:53], s[42:43]
	s_cbranch_execz .LBB1562_476
.LBB1562_491:                           ;   in Loop: Header=BB1562_408 Depth=2
	ds_read_u8 v0, v30 offset:768
	s_waitcnt lgkmcnt(0)
	v_lshrrev_b32_e32 v0, s69, v0
	v_and_b32_e32 v70, s84, v0
	s_or_b64 exec, exec, s[52:53]
	s_and_saveexec_b64 s[52:53], s[40:41]
	s_cbranch_execnz .LBB1562_477
.LBB1562_492:                           ;   in Loop: Header=BB1562_408 Depth=2
	s_or_b64 exec, exec, s[52:53]
	s_and_saveexec_b64 s[52:53], s[38:39]
	s_cbranch_execz .LBB1562_478
.LBB1562_493:                           ;   in Loop: Header=BB1562_408 Depth=2
	ds_read_u8 v0, v30 offset:1280
	s_waitcnt lgkmcnt(0)
	v_lshrrev_b32_e32 v0, s69, v0
	v_and_b32_e32 v68, s84, v0
	s_or_b64 exec, exec, s[52:53]
	s_and_saveexec_b64 s[52:53], s[36:37]
	s_cbranch_execnz .LBB1562_479
.LBB1562_494:                           ;   in Loop: Header=BB1562_408 Depth=2
	s_or_b64 exec, exec, s[52:53]
	s_and_saveexec_b64 s[52:53], vcc
	s_cbranch_execz .LBB1562_496
.LBB1562_495:                           ;   in Loop: Header=BB1562_408 Depth=2
	ds_read_u8 v0, v30 offset:1792
	s_waitcnt lgkmcnt(0)
	v_lshrrev_b32_e32 v0, s69, v0
	v_and_b32_e32 v66, s84, v0
.LBB1562_496:                           ;   in Loop: Header=BB1562_408 Depth=2
	s_or_b64 exec, exec, s[52:53]
	v_lshlrev_b32_e32 v0, 3, v97
	s_barrier
	s_waitcnt vmcnt(0)
	ds_write_b64 v0, v[18:19] offset:1024
	v_lshlrev_b32_e32 v0, 3, v96
	ds_write_b64 v0, v[16:17] offset:1024
	v_lshlrev_b32_e32 v0, 3, v95
	;; [unrolled: 2-line block ×7, first 2 shown]
	ds_write_b64 v0, v[4:5] offset:1024
	s_waitcnt lgkmcnt(0)
	s_barrier
	s_and_saveexec_b64 s[52:53], s[48:49]
	s_cbranch_execz .LBB1562_504
; %bb.497:                              ;   in Loop: Header=BB1562_408 Depth=2
	v_lshlrev_b32_e32 v0, 2, v75
	ds_read_b32 v0, v0
	v_add_u32_e32 v20, v2, v50
	ds_read_b64 v[20:21], v20 offset:1024
	v_mov_b32_e32 v23, s65
	s_waitcnt lgkmcnt(1)
	v_add_u32_e32 v0, v0, v2
	v_lshlrev_b64 v[90:91], 3, v[0:1]
	v_add_co_u32_e64 v90, s[48:49], s64, v90
	v_addc_co_u32_e64 v91, s[48:49], v23, v91, s[48:49]
	s_waitcnt lgkmcnt(0)
	global_store_dwordx2 v[90:91], v[20:21], off
	s_or_b64 exec, exec, s[52:53]
	s_and_saveexec_b64 s[48:49], s[46:47]
	s_cbranch_execnz .LBB1562_505
.LBB1562_498:                           ;   in Loop: Header=BB1562_408 Depth=2
	s_or_b64 exec, exec, s[48:49]
	s_and_saveexec_b64 s[46:47], s[44:45]
	s_cbranch_execz .LBB1562_506
.LBB1562_499:                           ;   in Loop: Header=BB1562_408 Depth=2
	v_lshlrev_b32_e32 v0, 2, v71
	ds_read_b32 v0, v0
	v_add_u32_e32 v20, v30, v50
	ds_read_b64 v[20:21], v20 offset:4096
	v_mov_b32_e32 v23, s65
	s_waitcnt lgkmcnt(1)
	v_add_u32_e32 v0, v0, v25
	v_lshlrev_b64 v[90:91], 3, v[0:1]
	v_add_co_u32_e64 v90, s[44:45], s64, v90
	v_addc_co_u32_e64 v91, s[44:45], v23, v91, s[44:45]
	s_waitcnt lgkmcnt(0)
	global_store_dwordx2 v[90:91], v[20:21], off
	s_or_b64 exec, exec, s[46:47]
	s_and_saveexec_b64 s[44:45], s[42:43]
	s_cbranch_execnz .LBB1562_507
.LBB1562_500:                           ;   in Loop: Header=BB1562_408 Depth=2
	s_or_b64 exec, exec, s[44:45]
	s_and_saveexec_b64 s[42:43], s[40:41]
	s_cbranch_execz .LBB1562_508
.LBB1562_501:                           ;   in Loop: Header=BB1562_408 Depth=2
	v_lshlrev_b32_e32 v0, 2, v69
	ds_read_b32 v0, v0
	v_add_u32_e32 v20, v30, v50
	ds_read_b64 v[20:21], v20 offset:8192
	v_mov_b32_e32 v23, s65
	s_waitcnt lgkmcnt(1)
	v_add_u32_e32 v0, v0, v30
	v_lshlrev_b64 v[90:91], 3, v[0:1]
	v_add_co_u32_e64 v90, s[40:41], s64, v90
	v_addc_co_u32_e64 v91, s[40:41], v23, v91, s[40:41]
	s_waitcnt lgkmcnt(0)
	global_store_dwordx2 v[90:91], v[20:21], off
	s_or_b64 exec, exec, s[42:43]
	s_and_saveexec_b64 s[40:41], s[38:39]
	s_cbranch_execnz .LBB1562_509
.LBB1562_502:                           ;   in Loop: Header=BB1562_408 Depth=2
	s_or_b64 exec, exec, s[40:41]
	s_and_saveexec_b64 s[38:39], s[36:37]
	s_cbranch_execz .LBB1562_510
.LBB1562_503:                           ;   in Loop: Header=BB1562_408 Depth=2
	v_lshlrev_b32_e32 v0, 2, v67
	ds_read_b32 v0, v0
	v_add_u32_e32 v20, v30, v50
	ds_read_b64 v[20:21], v20 offset:12288
	v_mov_b32_e32 v23, s65
	s_waitcnt lgkmcnt(1)
	v_add_u32_e32 v0, v0, v32
	v_lshlrev_b64 v[90:91], 3, v[0:1]
	v_add_co_u32_e64 v90, s[36:37], s64, v90
	v_addc_co_u32_e64 v91, s[36:37], v23, v91, s[36:37]
	s_waitcnt lgkmcnt(0)
	global_store_dwordx2 v[90:91], v[20:21], off
	s_or_b64 exec, exec, s[38:39]
	s_and_saveexec_b64 s[36:37], vcc
	s_cbranch_execnz .LBB1562_511
	s_branch .LBB1562_512
.LBB1562_504:                           ;   in Loop: Header=BB1562_408 Depth=2
	s_or_b64 exec, exec, s[52:53]
	s_and_saveexec_b64 s[48:49], s[46:47]
	s_cbranch_execz .LBB1562_498
.LBB1562_505:                           ;   in Loop: Header=BB1562_408 Depth=2
	v_lshlrev_b32_e32 v0, 2, v73
	ds_read_b32 v0, v0
	v_add_u32_e32 v20, v30, v50
	ds_read_b64 v[20:21], v20 offset:2048
	v_mov_b32_e32 v23, s65
	s_waitcnt lgkmcnt(1)
	v_add_u32_e32 v0, v0, v24
	v_lshlrev_b64 v[90:91], 3, v[0:1]
	v_add_co_u32_e64 v90, s[46:47], s64, v90
	v_addc_co_u32_e64 v91, s[46:47], v23, v91, s[46:47]
	s_waitcnt lgkmcnt(0)
	global_store_dwordx2 v[90:91], v[20:21], off
	s_or_b64 exec, exec, s[48:49]
	s_and_saveexec_b64 s[46:47], s[44:45]
	s_cbranch_execnz .LBB1562_499
.LBB1562_506:                           ;   in Loop: Header=BB1562_408 Depth=2
	s_or_b64 exec, exec, s[46:47]
	s_and_saveexec_b64 s[44:45], s[42:43]
	s_cbranch_execz .LBB1562_500
.LBB1562_507:                           ;   in Loop: Header=BB1562_408 Depth=2
	v_lshlrev_b32_e32 v0, 2, v70
	ds_read_b32 v0, v0
	v_add_u32_e32 v20, v30, v50
	ds_read_b64 v[20:21], v20 offset:6144
	v_mov_b32_e32 v23, s65
	s_waitcnt lgkmcnt(1)
	v_add_u32_e32 v0, v0, v26
	v_lshlrev_b64 v[90:91], 3, v[0:1]
	v_add_co_u32_e64 v90, s[42:43], s64, v90
	v_addc_co_u32_e64 v91, s[42:43], v23, v91, s[42:43]
	s_waitcnt lgkmcnt(0)
	global_store_dwordx2 v[90:91], v[20:21], off
	s_or_b64 exec, exec, s[44:45]
	s_and_saveexec_b64 s[42:43], s[40:41]
	s_cbranch_execnz .LBB1562_501
.LBB1562_508:                           ;   in Loop: Header=BB1562_408 Depth=2
	s_or_b64 exec, exec, s[42:43]
	s_and_saveexec_b64 s[40:41], s[38:39]
	s_cbranch_execz .LBB1562_502
.LBB1562_509:                           ;   in Loop: Header=BB1562_408 Depth=2
	v_lshlrev_b32_e32 v0, 2, v68
	ds_read_b32 v0, v0
	v_add_u32_e32 v20, v30, v50
	ds_read_b64 v[20:21], v20 offset:10240
	v_mov_b32_e32 v23, s65
	s_waitcnt lgkmcnt(1)
	v_add_u32_e32 v0, v0, v31
	v_lshlrev_b64 v[90:91], 3, v[0:1]
	v_add_co_u32_e64 v90, s[38:39], s64, v90
	v_addc_co_u32_e64 v91, s[38:39], v23, v91, s[38:39]
	s_waitcnt lgkmcnt(0)
	global_store_dwordx2 v[90:91], v[20:21], off
	s_or_b64 exec, exec, s[40:41]
	s_and_saveexec_b64 s[38:39], s[36:37]
	s_cbranch_execnz .LBB1562_503
.LBB1562_510:                           ;   in Loop: Header=BB1562_408 Depth=2
	s_or_b64 exec, exec, s[38:39]
	s_and_saveexec_b64 s[36:37], vcc
	s_cbranch_execz .LBB1562_512
.LBB1562_511:                           ;   in Loop: Header=BB1562_408 Depth=2
	v_lshlrev_b32_e32 v0, 2, v66
	ds_read_b32 v0, v0
	v_add_u32_e32 v20, v30, v50
	ds_read_b64 v[20:21], v20 offset:14336
	v_mov_b32_e32 v23, s65
	s_waitcnt lgkmcnt(1)
	v_add_u32_e32 v0, v0, v33
	v_lshlrev_b64 v[90:91], 3, v[0:1]
	v_add_co_u32_e32 v90, vcc, s64, v90
	v_addc_co_u32_e32 v91, vcc, v23, v91, vcc
	s_waitcnt lgkmcnt(0)
	global_store_dwordx2 v[90:91], v[20:21], off
.LBB1562_512:                           ;   in Loop: Header=BB1562_408 Depth=2
	s_or_b64 exec, exec, s[36:37]
	s_barrier
	s_and_saveexec_b64 s[36:37], s[4:5]
	s_cbranch_execz .LBB1562_407
; %bb.513:                              ;   in Loop: Header=BB1562_408 Depth=2
	ds_read_b32 v0, v3
	s_waitcnt lgkmcnt(0)
	v_add_u32_e32 v0, v0, v22
	ds_write_b32 v3, v0
	s_branch .LBB1562_407
.LBB1562_514:                           ;   in Loop: Header=BB1562_408 Depth=2
	s_or_b64 exec, exec, s[36:37]
	v_cmp_gt_u32_e32 vcc, s85, v79
	s_and_saveexec_b64 s[36:37], vcc
	s_cbranch_execz .LBB1562_413
.LBB1562_515:                           ;   in Loop: Header=BB1562_408 Depth=2
	global_load_ubyte v0, v[22:23], off offset:64
	s_waitcnt vmcnt(0)
	v_perm_b32 v20, v20, v0, s78
	s_or_b64 exec, exec, s[36:37]
	v_cmp_gt_u32_e32 vcc, s85, v80
	s_and_saveexec_b64 s[36:37], vcc
	s_cbranch_execnz .LBB1562_414
.LBB1562_516:                           ;   in Loop: Header=BB1562_408 Depth=2
	s_or_b64 exec, exec, s[36:37]
	v_cmp_gt_u32_e32 vcc, s85, v81
	s_and_saveexec_b64 s[36:37], vcc
	s_cbranch_execz .LBB1562_415
.LBB1562_517:                           ;   in Loop: Header=BB1562_408 Depth=2
	global_load_ubyte v0, v[22:23], off offset:192
	v_and_b32_sdwa v89, v20, s68 dst_sel:DWORD dst_unused:UNUSED_PAD src0_sel:WORD_1 src1_sel:DWORD
	s_waitcnt vmcnt(0)
	v_lshlrev_b16_e32 v0, 8, v0
	v_or_b32_sdwa v0, v89, v0 dst_sel:WORD_1 dst_unused:UNUSED_PAD src0_sel:DWORD src1_sel:DWORD
	v_and_or_b32 v20, v20, s77, v0
	s_or_b64 exec, exec, s[36:37]
	v_cmp_gt_u32_e32 vcc, s85, v82
	s_and_saveexec_b64 s[36:37], vcc
	s_cbranch_execnz .LBB1562_416
.LBB1562_518:                           ;   in Loop: Header=BB1562_408 Depth=2
	s_or_b64 exec, exec, s[36:37]
	v_cmp_gt_u32_e32 vcc, s85, v83
	s_and_saveexec_b64 s[36:37], vcc
	s_cbranch_execz .LBB1562_417
.LBB1562_519:                           ;   in Loop: Header=BB1562_408 Depth=2
	global_load_ubyte v0, v[22:23], off offset:320
	s_waitcnt vmcnt(0)
	v_perm_b32 v21, v21, v0, s78
	s_or_b64 exec, exec, s[36:37]
	v_cmp_gt_u32_e32 vcc, s85, v84
	s_and_saveexec_b64 s[36:37], vcc
	s_cbranch_execnz .LBB1562_418
	s_branch .LBB1562_419
.LBB1562_520:                           ;   in Loop: Header=BB1562_20 Depth=1
	s_waitcnt lgkmcnt(0)
	s_barrier
	s_mov_b64 s[16:17], 0
.LBB1562_521:                           ;   in Loop: Header=BB1562_20 Depth=1
	s_and_b64 vcc, exec, s[16:17]
	s_cbranch_vccz .LBB1562_19
; %bb.522:                              ;   in Loop: Header=BB1562_20 Depth=1
	s_mov_b32 s20, s71
	s_mov_b32 s22, s51
	s_barrier
	s_waitcnt lgkmcnt(0)
                                        ; implicit-def: $vgpr0
                                        ; implicit-def: $vgpr6
                                        ; implicit-def: $vgpr7
                                        ; implicit-def: $vgpr8
                                        ; implicit-def: $vgpr9
                                        ; implicit-def: $vgpr10
                                        ; implicit-def: $vgpr11
                                        ; implicit-def: $vgpr12
	s_branch .LBB1562_524
.LBB1562_523:                           ;   in Loop: Header=BB1562_524 Depth=2
	s_or_b64 exec, exec, s[16:17]
	s_addk_i32 s20, 0xf800
	s_cmp_ge_u32 s21, s76
	s_mov_b32 s22, s21
	s_cbranch_scc1 .LBB1562_562
.LBB1562_524:                           ;   Parent Loop BB1562_20 Depth=1
                                        ; =>  This Inner Loop Header: Depth=2
	s_add_i32 s21, s22, 0x800
	s_cmp_gt_u32 s21, s76
	s_cbranch_scc1 .LBB1562_527
; %bb.525:                              ;   in Loop: Header=BB1562_524 Depth=2
	v_add_co_u32_e32 v4, vcc, s22, v57
	v_addc_co_u32_e32 v5, vcc, 0, v58, vcc
	global_load_ubyte v20, v[4:5], off offset:1536
	global_load_ubyte v19, v[4:5], off offset:1280
	;; [unrolled: 1-line block ×6, first 2 shown]
	global_load_ubyte v14, v[4:5], off
	v_add_co_u32_e32 v4, vcc, 0x700, v4
	v_addc_co_u32_e32 v5, vcc, 0, v5, vcc
	s_mov_b64 s[16:17], -1
	s_movk_i32 s25, 0x800
	s_cbranch_execz .LBB1562_528
; %bb.526:                              ;   in Loop: Header=BB1562_524 Depth=2
                                        ; implicit-def: $vgpr0
                                        ; implicit-def: $vgpr6
                                        ; implicit-def: $vgpr7
                                        ; implicit-def: $vgpr8
                                        ; implicit-def: $vgpr9
                                        ; implicit-def: $vgpr10
                                        ; implicit-def: $vgpr11
                                        ; implicit-def: $vgpr12
	v_mov_b32_e32 v13, s20
	s_and_saveexec_b64 s[18:19], s[16:17]
	s_cbranch_execnz .LBB1562_539
	s_branch .LBB1562_540
.LBB1562_527:                           ;   in Loop: Header=BB1562_524 Depth=2
	s_mov_b64 s[16:17], 0
                                        ; implicit-def: $sgpr25
                                        ; implicit-def: $vgpr14
                                        ; implicit-def: $vgpr15
                                        ; implicit-def: $vgpr16
                                        ; implicit-def: $vgpr17
                                        ; implicit-def: $vgpr18
                                        ; implicit-def: $vgpr19
                                        ; implicit-def: $vgpr20
                                        ; implicit-def: $vgpr4_vgpr5
.LBB1562_528:                           ;   in Loop: Header=BB1562_524 Depth=2
	s_add_u32 s23, s56, s22
	s_addc_u32 s24, s57, 0
	v_cmp_gt_u32_e32 vcc, s20, v2
	s_and_saveexec_b64 s[18:19], vcc
	s_cbranch_execz .LBB1562_556
; %bb.529:                              ;   in Loop: Header=BB1562_524 Depth=2
	v_mov_b32_e32 v0, s24
	v_add_co_u32_e32 v4, vcc, s23, v2
	v_addc_co_u32_e32 v5, vcc, 0, v0, vcc
	global_load_ubyte v0, v[4:5], off
	s_or_b64 exec, exec, s[18:19]
	v_cmp_gt_u32_e32 vcc, s20, v24
	s_and_saveexec_b64 s[18:19], vcc
	s_cbranch_execnz .LBB1562_557
.LBB1562_530:                           ;   in Loop: Header=BB1562_524 Depth=2
	s_or_b64 exec, exec, s[18:19]
	v_cmp_gt_u32_e32 vcc, s20, v25
	s_and_saveexec_b64 s[18:19], vcc
	s_cbranch_execz .LBB1562_558
.LBB1562_531:                           ;   in Loop: Header=BB1562_524 Depth=2
	v_mov_b32_e32 v5, s24
	v_add_co_u32_e32 v4, vcc, s23, v2
	v_addc_co_u32_e32 v5, vcc, 0, v5, vcc
	global_load_ubyte v7, v[4:5], off offset:512
	s_or_b64 exec, exec, s[18:19]
	v_cmp_gt_u32_e32 vcc, s20, v26
	s_and_saveexec_b64 s[18:19], vcc
	s_cbranch_execnz .LBB1562_559
.LBB1562_532:                           ;   in Loop: Header=BB1562_524 Depth=2
	s_or_b64 exec, exec, s[18:19]
	v_cmp_gt_u32_e32 vcc, s20, v30
	s_and_saveexec_b64 s[18:19], vcc
	s_cbranch_execz .LBB1562_560
.LBB1562_533:                           ;   in Loop: Header=BB1562_524 Depth=2
	v_mov_b32_e32 v5, s24
	v_add_co_u32_e32 v4, vcc, s23, v2
	v_addc_co_u32_e32 v5, vcc, 0, v5, vcc
	global_load_ubyte v9, v[4:5], off offset:1024
	s_or_b64 exec, exec, s[18:19]
	v_cmp_gt_u32_e32 vcc, s20, v31
	s_and_saveexec_b64 s[18:19], vcc
	s_cbranch_execnz .LBB1562_561
.LBB1562_534:                           ;   in Loop: Header=BB1562_524 Depth=2
	s_or_b64 exec, exec, s[18:19]
	v_cmp_gt_u32_e32 vcc, s20, v32
	s_and_saveexec_b64 s[18:19], vcc
	s_cbranch_execz .LBB1562_536
.LBB1562_535:                           ;   in Loop: Header=BB1562_524 Depth=2
	v_mov_b32_e32 v5, s24
	v_add_co_u32_e32 v4, vcc, s23, v2
	v_addc_co_u32_e32 v5, vcc, 0, v5, vcc
	global_load_ubyte v11, v[4:5], off offset:1536
.LBB1562_536:                           ;   in Loop: Header=BB1562_524 Depth=2
	s_or_b64 exec, exec, s[18:19]
	v_cmp_gt_u32_e32 vcc, s20, v33
                                        ; implicit-def: $sgpr25
                                        ; implicit-def: $vgpr4_vgpr5
	s_and_saveexec_b64 s[18:19], vcc
	s_cbranch_execz .LBB1562_538
; %bb.537:                              ;   in Loop: Header=BB1562_524 Depth=2
	v_mov_b32_e32 v4, s24
	v_add_co_u32_e32 v5, vcc, s23, v2
	s_waitcnt vmcnt(0)
	v_addc_co_u32_e32 v12, vcc, 0, v4, vcc
	v_add_co_u32_e32 v4, vcc, 0x700, v5
	s_sub_i32 s25, s76, s22
	v_addc_co_u32_e32 v5, vcc, 0, v12, vcc
	s_or_b64 s[16:17], s[16:17], exec
                                        ; implicit-def: $vgpr12
.LBB1562_538:                           ;   in Loop: Header=BB1562_524 Depth=2
	s_or_b64 exec, exec, s[18:19]
	s_waitcnt vmcnt(0)
	v_mov_b32_e32 v14, v0
	v_mov_b32_e32 v15, v6
	;; [unrolled: 1-line block ×8, first 2 shown]
	s_and_saveexec_b64 s[18:19], s[16:17]
	s_cbranch_execz .LBB1562_540
.LBB1562_539:                           ;   in Loop: Header=BB1562_524 Depth=2
	global_load_ubyte v12, v[4:5], off
	v_mov_b32_e32 v13, s25
	s_waitcnt vmcnt(1)
	v_mov_b32_e32 v0, v14
	v_mov_b32_e32 v6, v15
	;; [unrolled: 1-line block ×7, first 2 shown]
.LBB1562_540:                           ;   in Loop: Header=BB1562_524 Depth=2
	s_or_b64 exec, exec, s[18:19]
	v_cmp_lt_u32_e32 vcc, v2, v13
	v_lshlrev_b32_e32 v4, 2, v27
	s_and_saveexec_b64 s[16:17], vcc
	s_cbranch_execz .LBB1562_548
; %bb.541:                              ;   in Loop: Header=BB1562_524 Depth=2
	v_xor_b32_e32 v5, -1, v0
	v_and_b32_e32 v5, 1, v5
	v_lshrrev_b32_sdwa v5, s69, v5 dst_sel:DWORD dst_unused:UNUSED_PAD src0_sel:DWORD src1_sel:WORD_0
	v_and_b32_e32 v5, s84, v5
	v_lshl_or_b32 v5, v5, 4, v4
	ds_add_u32 v5, v63
	s_or_b64 exec, exec, s[16:17]
	v_cmp_lt_u32_e32 vcc, v24, v13
	s_and_saveexec_b64 s[16:17], vcc
	s_cbranch_execnz .LBB1562_549
.LBB1562_542:                           ;   in Loop: Header=BB1562_524 Depth=2
	s_or_b64 exec, exec, s[16:17]
	v_cmp_lt_u32_e32 vcc, v25, v13
	s_and_saveexec_b64 s[16:17], vcc
	s_cbranch_execz .LBB1562_550
.LBB1562_543:                           ;   in Loop: Header=BB1562_524 Depth=2
	v_xor_b32_e32 v5, -1, v7
	v_and_b32_e32 v5, 1, v5
	v_lshrrev_b32_sdwa v5, s69, v5 dst_sel:DWORD dst_unused:UNUSED_PAD src0_sel:DWORD src1_sel:WORD_0
	v_and_b32_e32 v5, s84, v5
	v_lshl_or_b32 v5, v5, 4, v4
	ds_add_u32 v5, v63
	s_or_b64 exec, exec, s[16:17]
	v_cmp_lt_u32_e32 vcc, v26, v13
	s_and_saveexec_b64 s[16:17], vcc
	s_cbranch_execnz .LBB1562_551
.LBB1562_544:                           ;   in Loop: Header=BB1562_524 Depth=2
	s_or_b64 exec, exec, s[16:17]
	v_cmp_lt_u32_e32 vcc, v30, v13
	s_and_saveexec_b64 s[16:17], vcc
	s_cbranch_execz .LBB1562_552
.LBB1562_545:                           ;   in Loop: Header=BB1562_524 Depth=2
	v_xor_b32_e32 v5, -1, v9
	v_and_b32_e32 v5, 1, v5
	v_lshrrev_b32_sdwa v5, s69, v5 dst_sel:DWORD dst_unused:UNUSED_PAD src0_sel:DWORD src1_sel:WORD_0
	v_and_b32_e32 v5, s84, v5
	v_lshl_or_b32 v5, v5, 4, v4
	ds_add_u32 v5, v63
	s_or_b64 exec, exec, s[16:17]
	v_cmp_lt_u32_e32 vcc, v31, v13
	s_and_saveexec_b64 s[16:17], vcc
	s_cbranch_execnz .LBB1562_553
.LBB1562_546:                           ;   in Loop: Header=BB1562_524 Depth=2
	s_or_b64 exec, exec, s[16:17]
	v_cmp_lt_u32_e32 vcc, v32, v13
	s_and_saveexec_b64 s[16:17], vcc
	s_cbranch_execz .LBB1562_554
.LBB1562_547:                           ;   in Loop: Header=BB1562_524 Depth=2
	v_xor_b32_e32 v5, -1, v11
	v_and_b32_e32 v5, 1, v5
	v_lshrrev_b32_sdwa v5, s69, v5 dst_sel:DWORD dst_unused:UNUSED_PAD src0_sel:DWORD src1_sel:WORD_0
	v_and_b32_e32 v5, s84, v5
	v_lshl_or_b32 v5, v5, 4, v4
	ds_add_u32 v5, v63
	s_or_b64 exec, exec, s[16:17]
	v_cmp_lt_u32_e32 vcc, v33, v13
	s_and_saveexec_b64 s[16:17], vcc
	s_cbranch_execz .LBB1562_523
	s_branch .LBB1562_555
.LBB1562_548:                           ;   in Loop: Header=BB1562_524 Depth=2
	s_or_b64 exec, exec, s[16:17]
	v_cmp_lt_u32_e32 vcc, v24, v13
	s_and_saveexec_b64 s[16:17], vcc
	s_cbranch_execz .LBB1562_542
.LBB1562_549:                           ;   in Loop: Header=BB1562_524 Depth=2
	v_xor_b32_e32 v5, -1, v6
	v_and_b32_e32 v5, 1, v5
	v_lshrrev_b32_sdwa v5, s69, v5 dst_sel:DWORD dst_unused:UNUSED_PAD src0_sel:DWORD src1_sel:WORD_0
	v_and_b32_e32 v5, s84, v5
	v_lshl_or_b32 v5, v5, 4, v4
	ds_add_u32 v5, v63
	s_or_b64 exec, exec, s[16:17]
	v_cmp_lt_u32_e32 vcc, v25, v13
	s_and_saveexec_b64 s[16:17], vcc
	s_cbranch_execnz .LBB1562_543
.LBB1562_550:                           ;   in Loop: Header=BB1562_524 Depth=2
	s_or_b64 exec, exec, s[16:17]
	v_cmp_lt_u32_e32 vcc, v26, v13
	s_and_saveexec_b64 s[16:17], vcc
	s_cbranch_execz .LBB1562_544
.LBB1562_551:                           ;   in Loop: Header=BB1562_524 Depth=2
	v_xor_b32_e32 v5, -1, v8
	v_and_b32_e32 v5, 1, v5
	v_lshrrev_b32_sdwa v5, s69, v5 dst_sel:DWORD dst_unused:UNUSED_PAD src0_sel:DWORD src1_sel:WORD_0
	v_and_b32_e32 v5, s84, v5
	v_lshl_or_b32 v5, v5, 4, v4
	ds_add_u32 v5, v63
	s_or_b64 exec, exec, s[16:17]
	v_cmp_lt_u32_e32 vcc, v30, v13
	s_and_saveexec_b64 s[16:17], vcc
	s_cbranch_execnz .LBB1562_545
.LBB1562_552:                           ;   in Loop: Header=BB1562_524 Depth=2
	s_or_b64 exec, exec, s[16:17]
	v_cmp_lt_u32_e32 vcc, v31, v13
	s_and_saveexec_b64 s[16:17], vcc
	s_cbranch_execz .LBB1562_546
.LBB1562_553:                           ;   in Loop: Header=BB1562_524 Depth=2
	v_xor_b32_e32 v5, -1, v10
	v_and_b32_e32 v5, 1, v5
	v_lshrrev_b32_sdwa v5, s69, v5 dst_sel:DWORD dst_unused:UNUSED_PAD src0_sel:DWORD src1_sel:WORD_0
	v_and_b32_e32 v5, s84, v5
	v_lshl_or_b32 v5, v5, 4, v4
	ds_add_u32 v5, v63
	s_or_b64 exec, exec, s[16:17]
	v_cmp_lt_u32_e32 vcc, v32, v13
	s_and_saveexec_b64 s[16:17], vcc
	s_cbranch_execnz .LBB1562_547
.LBB1562_554:                           ;   in Loop: Header=BB1562_524 Depth=2
	s_or_b64 exec, exec, s[16:17]
	v_cmp_lt_u32_e32 vcc, v33, v13
	s_and_saveexec_b64 s[16:17], vcc
	s_cbranch_execz .LBB1562_523
.LBB1562_555:                           ;   in Loop: Header=BB1562_524 Depth=2
	s_waitcnt vmcnt(0)
	v_xor_b32_e32 v5, -1, v12
	v_and_b32_e32 v5, 1, v5
	v_lshrrev_b32_sdwa v5, s69, v5 dst_sel:DWORD dst_unused:UNUSED_PAD src0_sel:DWORD src1_sel:WORD_0
	v_and_b32_e32 v5, s84, v5
	v_lshl_or_b32 v4, v5, 4, v4
	ds_add_u32 v4, v63
	s_branch .LBB1562_523
.LBB1562_556:                           ;   in Loop: Header=BB1562_524 Depth=2
	s_or_b64 exec, exec, s[18:19]
	v_cmp_gt_u32_e32 vcc, s20, v24
	s_and_saveexec_b64 s[18:19], vcc
	s_cbranch_execz .LBB1562_530
.LBB1562_557:                           ;   in Loop: Header=BB1562_524 Depth=2
	v_mov_b32_e32 v5, s24
	v_add_co_u32_e32 v4, vcc, s23, v2
	v_addc_co_u32_e32 v5, vcc, 0, v5, vcc
	global_load_ubyte v6, v[4:5], off offset:256
	s_or_b64 exec, exec, s[18:19]
	v_cmp_gt_u32_e32 vcc, s20, v25
	s_and_saveexec_b64 s[18:19], vcc
	s_cbranch_execnz .LBB1562_531
.LBB1562_558:                           ;   in Loop: Header=BB1562_524 Depth=2
	s_or_b64 exec, exec, s[18:19]
	v_cmp_gt_u32_e32 vcc, s20, v26
	s_and_saveexec_b64 s[18:19], vcc
	s_cbranch_execz .LBB1562_532
.LBB1562_559:                           ;   in Loop: Header=BB1562_524 Depth=2
	v_mov_b32_e32 v5, s24
	v_add_co_u32_e32 v4, vcc, s23, v2
	v_addc_co_u32_e32 v5, vcc, 0, v5, vcc
	global_load_ubyte v8, v[4:5], off offset:768
	s_or_b64 exec, exec, s[18:19]
	v_cmp_gt_u32_e32 vcc, s20, v30
	s_and_saveexec_b64 s[18:19], vcc
	s_cbranch_execnz .LBB1562_533
.LBB1562_560:                           ;   in Loop: Header=BB1562_524 Depth=2
	s_or_b64 exec, exec, s[18:19]
	v_cmp_gt_u32_e32 vcc, s20, v31
	s_and_saveexec_b64 s[18:19], vcc
	s_cbranch_execz .LBB1562_534
.LBB1562_561:                           ;   in Loop: Header=BB1562_524 Depth=2
	v_mov_b32_e32 v5, s24
	v_add_co_u32_e32 v4, vcc, s23, v2
	v_addc_co_u32_e32 v5, vcc, 0, v5, vcc
	global_load_ubyte v10, v[4:5], off offset:1280
	s_or_b64 exec, exec, s[18:19]
	v_cmp_gt_u32_e32 vcc, s20, v32
	s_and_saveexec_b64 s[18:19], vcc
	s_cbranch_execz .LBB1562_536
	s_branch .LBB1562_535
.LBB1562_562:                           ;   in Loop: Header=BB1562_20 Depth=1
	v_mov_b32_e32 v0, 0
	s_waitcnt lgkmcnt(0)
	s_barrier
	s_and_saveexec_b64 s[16:17], s[4:5]
	s_cbranch_execz .LBB1562_564
; %bb.563:                              ;   in Loop: Header=BB1562_20 Depth=1
	ds_read2_b64 v[4:7], v34 offset1:1
	s_waitcnt lgkmcnt(0)
	v_add_u32_e32 v0, v5, v4
	v_add3_u32 v0, v0, v6, v7
.LBB1562_564:                           ;   in Loop: Header=BB1562_20 Depth=1
	s_or_b64 exec, exec, s[16:17]
	v_and_b32_e32 v4, 15, v64
	v_mov_b32_dpp v5, v0 row_shr:1 row_mask:0xf bank_mask:0xf
	v_cmp_eq_u32_e64 s[16:17], 0, v4
	v_cndmask_b32_e64 v5, v5, 0, s[16:17]
	v_add_u32_e32 v0, v5, v0
	v_cmp_lt_u32_e64 s[18:19], 1, v4
	v_cmp_lt_u32_e64 s[20:21], 3, v4
	v_mov_b32_dpp v5, v0 row_shr:2 row_mask:0xf bank_mask:0xf
	v_cndmask_b32_e64 v5, 0, v5, s[18:19]
	v_add_u32_e32 v0, v0, v5
	v_cmp_lt_u32_e64 s[22:23], 7, v4
	v_cmp_lt_u32_e64 s[26:27], 31, v64
	v_mov_b32_dpp v5, v0 row_shr:4 row_mask:0xf bank_mask:0xf
	v_cndmask_b32_e64 v5, 0, v5, s[20:21]
	v_add_u32_e32 v0, v0, v5
	v_and_b32_e32 v6, 16, v64
	v_cmp_eq_u32_e64 s[24:25], 0, v6
	v_mov_b32_dpp v5, v0 row_shr:8 row_mask:0xf bank_mask:0xf
	v_cndmask_b32_e64 v4, 0, v5, s[22:23]
	v_add_u32_e32 v0, v0, v4
	v_bfe_i32 v5, v64, 4, 1
	s_nop 0
	v_mov_b32_dpp v4, v0 row_bcast:15 row_mask:0xf bank_mask:0xf
	v_and_b32_e32 v4, v5, v4
	v_add_u32_e32 v0, v0, v4
	s_nop 1
	v_mov_b32_dpp v4, v0 row_bcast:31 row_mask:0xf bank_mask:0xf
	v_cndmask_b32_e64 v4, 0, v4, s[26:27]
	v_add_u32_e32 v4, v0, v4
	s_and_saveexec_b64 s[28:29], s[6:7]
	s_cbranch_execz .LBB1562_566
; %bb.565:                              ;   in Loop: Header=BB1562_20 Depth=1
	ds_write_b32 v36, v4
.LBB1562_566:                           ;   in Loop: Header=BB1562_20 Depth=1
	s_or_b64 exec, exec, s[28:29]
	v_and_b32_e32 v0, 3, v64
	s_waitcnt lgkmcnt(0)
	s_barrier
	s_and_saveexec_b64 s[28:29], s[8:9]
	s_cbranch_execz .LBB1562_568
; %bb.567:                              ;   in Loop: Header=BB1562_20 Depth=1
	ds_read_b32 v5, v37
	v_cmp_ne_u32_e32 vcc, 0, v0
	s_waitcnt lgkmcnt(0)
	v_mov_b32_dpp v6, v5 row_shr:1 row_mask:0xf bank_mask:0xf
	v_cndmask_b32_e32 v6, 0, v6, vcc
	v_add_u32_e32 v5, v6, v5
	v_cmp_lt_u32_e32 vcc, 1, v0
	s_nop 0
	v_mov_b32_dpp v6, v5 row_shr:2 row_mask:0xf bank_mask:0xf
	v_cndmask_b32_e32 v6, 0, v6, vcc
	v_add_u32_e32 v5, v5, v6
	ds_write_b32 v37, v5
.LBB1562_568:                           ;   in Loop: Header=BB1562_20 Depth=1
	s_or_b64 exec, exec, s[28:29]
	v_mov_b32_e32 v5, 0
	s_waitcnt lgkmcnt(0)
	s_barrier
	s_and_saveexec_b64 s[28:29], s[10:11]
	s_cbranch_execz .LBB1562_570
; %bb.569:                              ;   in Loop: Header=BB1562_20 Depth=1
	ds_read_b32 v5, v38
.LBB1562_570:                           ;   in Loop: Header=BB1562_20 Depth=1
	s_or_b64 exec, exec, s[28:29]
	v_add_u32_e32 v6, -1, v64
	v_and_b32_e32 v7, 64, v64
	v_cmp_lt_i32_e32 vcc, v6, v7
	v_cndmask_b32_e32 v6, v6, v64, vcc
	s_waitcnt lgkmcnt(0)
	v_add_u32_e32 v4, v5, v4
	v_lshlrev_b32_e32 v65, 2, v6
	ds_bpermute_b32 v4, v65, v4
	v_cmp_eq_u32_e64 s[28:29], 0, v64
	s_waitcnt lgkmcnt(0)
	s_barrier
	s_and_saveexec_b64 s[30:31], s[4:5]
	s_cbranch_execz .LBB1562_572
; %bb.571:                              ;   in Loop: Header=BB1562_20 Depth=1
	v_cndmask_b32_e64 v4, v4, v5, s[28:29]
	v_add_u32_e32 v4, s51, v4
	ds_write_b32 v3, v4
.LBB1562_572:                           ;   in Loop: Header=BB1562_20 Depth=1
	s_or_b64 exec, exec, s[30:31]
	s_load_dwordx2 s[30:31], s[74:75], 0x0
	s_mov_b32 s85, s71
	s_mov_b32 s72, s51
                                        ; implicit-def: $vgpr4_vgpr5
                                        ; implicit-def: $vgpr6_vgpr7
                                        ; implicit-def: $vgpr8_vgpr9
                                        ; implicit-def: $vgpr10_vgpr11
                                        ; implicit-def: $vgpr12_vgpr13
                                        ; implicit-def: $vgpr14_vgpr15
                                        ; implicit-def: $vgpr16_vgpr17
                                        ; implicit-def: $vgpr18_vgpr19
                                        ; implicit-def: $vgpr66
                                        ; implicit-def: $vgpr67
                                        ; implicit-def: $vgpr68
                                        ; implicit-def: $vgpr69
                                        ; implicit-def: $vgpr70
                                        ; implicit-def: $vgpr71
                                        ; implicit-def: $vgpr73
                                        ; implicit-def: $vgpr75
	s_waitcnt lgkmcnt(0)
	s_cmp_lt_u32 s50, s30
	s_cselect_b32 s34, 12, 18
	s_cmp_lt_u32 s33, s31
	s_cselect_b32 s30, 14, 20
	s_add_u32 s30, s74, s30
	s_addc_u32 s31, s75, 0
	s_add_u32 s34, s74, s34
	global_load_ushort v20, v1, s[30:31]
	s_addc_u32 s35, s75, 0
	global_load_ushort v21, v1, s[34:35]
	v_cmp_eq_u32_e64 s[30:31], 0, v0
	v_cmp_lt_u32_e64 s[34:35], 1, v0
	v_and_b32_e32 v0, 63, v64
	v_add_co_u32_e32 v74, vcc, v61, v0
	v_lshlrev_b32_e32 v22, 3, v0
	v_addc_co_u32_e32 v76, vcc, 0, v62, vcc
	v_add_co_u32_e32 v77, vcc, v59, v22
	v_or_b32_e32 v72, v0, v39
	v_addc_co_u32_e32 v78, vcc, 0, v60, vcc
	v_add_co_u32_e32 v86, vcc, 0x1c0, v74
	v_or_b32_e32 v79, 64, v72
	v_or_b32_e32 v80, 0x80, v72
	;; [unrolled: 1-line block ×7, first 2 shown]
	v_addc_co_u32_e32 v87, vcc, 0, v76, vcc
	s_waitcnt vmcnt(1)
	v_mad_u32_u24 v0, v40, v20, v41
	s_waitcnt vmcnt(0)
	v_mad_u64_u32 v[20:21], s[36:37], v0, v21, v[2:3]
	v_lshrrev_b32_e32 v88, 6, v20
	s_branch .LBB1562_574
.LBB1562_573:                           ;   in Loop: Header=BB1562_574 Depth=2
	s_or_b64 exec, exec, s[36:37]
	s_addk_i32 s85, 0xf800
	s_cmp_lt_u32 s86, s76
	s_mov_b32 s72, s86
	s_cbranch_scc0 .LBB1562_18
.LBB1562_574:                           ;   Parent Loop BB1562_20 Depth=1
                                        ; =>  This Inner Loop Header: Depth=2
	s_add_i32 s86, s72, 0x800
	s_cmp_gt_u32 s86, s76
	s_cbranch_scc1 .LBB1562_576
; %bb.575:                              ;   in Loop: Header=BB1562_574 Depth=2
	v_add_co_u32_e32 v20, vcc, s72, v74
	v_addc_co_u32_e32 v21, vcc, 0, v76, vcc
	global_load_ubyte v0, v[20:21], off offset:64
	global_load_ubyte v22, v[20:21], off offset:192
	;; [unrolled: 1-line block ×3, first 2 shown]
	global_load_ubyte v89, v[20:21], off
	global_load_ubyte v90, v[20:21], off offset:128
	global_load_ubyte v91, v[20:21], off offset:256
	s_nop 0
	global_load_ubyte v21, v[20:21], off offset:384
	s_mov_b64 s[36:37], -1
	s_movk_i32 s40, 0x800
	s_waitcnt vmcnt(6)
	v_lshlrev_b16_e32 v0, 8, v0
	s_waitcnt vmcnt(5)
	v_lshlrev_b16_e32 v20, 8, v22
	;; [unrolled: 2-line block ×3, first 2 shown]
	s_waitcnt vmcnt(3)
	v_or_b32_e32 v0, v89, v0
	s_waitcnt vmcnt(2)
	v_or_b32_sdwa v20, v90, v20 dst_sel:WORD_1 dst_unused:UNUSED_PAD src0_sel:DWORD src1_sel:DWORD
	s_waitcnt vmcnt(1)
	v_or_b32_e32 v22, v91, v22
	v_or_b32_sdwa v20, v0, v20 dst_sel:DWORD dst_unused:UNUSED_PAD src0_sel:WORD_0 src1_sel:DWORD
	v_and_b32_e32 v0, 0xffff, v22
	s_waitcnt vmcnt(0)
	v_lshl_or_b32 v21, v21, 16, v0
	s_cbranch_execz .LBB1562_577
	s_branch .LBB1562_586
.LBB1562_576:                           ;   in Loop: Header=BB1562_574 Depth=2
	s_mov_b64 s[36:37], 0
                                        ; implicit-def: $sgpr40
                                        ; implicit-def: $vgpr20_vgpr21
.LBB1562_577:                           ;   in Loop: Header=BB1562_574 Depth=2
	v_add_co_u32_e32 v22, vcc, s72, v74
	v_addc_co_u32_e32 v23, vcc, 0, v76, vcc
	s_mov_b32 s36, s73
	s_mov_b32 s37, s73
	v_cmp_gt_u32_e32 vcc, s85, v72
	v_pk_mov_b32 v[20:21], s[36:37], s[36:37] op_sel:[0,1]
	s_and_saveexec_b64 s[36:37], vcc
	s_cbranch_execz .LBB1562_680
; %bb.578:                              ;   in Loop: Header=BB1562_574 Depth=2
	global_load_ubyte v0, v[22:23], off
	v_mov_b32_e32 v21, s73
	s_waitcnt vmcnt(0)
	v_and_b32_e32 v20, 0xffff, v0
	s_or_b64 exec, exec, s[36:37]
	v_cmp_gt_u32_e32 vcc, s85, v79
	s_and_saveexec_b64 s[36:37], vcc
	s_cbranch_execnz .LBB1562_681
.LBB1562_579:                           ;   in Loop: Header=BB1562_574 Depth=2
	s_or_b64 exec, exec, s[36:37]
	v_cmp_gt_u32_e32 vcc, s85, v80
	s_and_saveexec_b64 s[36:37], vcc
	s_cbranch_execz .LBB1562_682
.LBB1562_580:                           ;   in Loop: Header=BB1562_574 Depth=2
	global_load_ubyte v0, v[22:23], off offset:128
	v_and_b32_sdwa v89, v20, s79 dst_sel:DWORD dst_unused:UNUSED_PAD src0_sel:WORD_1 src1_sel:DWORD
	s_waitcnt vmcnt(0)
	v_or_b32_sdwa v0, v0, v89 dst_sel:WORD_1 dst_unused:UNUSED_PAD src0_sel:DWORD src1_sel:DWORD
	v_and_or_b32 v20, v20, s77, v0
	s_or_b64 exec, exec, s[36:37]
	v_cmp_gt_u32_e32 vcc, s85, v81
	s_and_saveexec_b64 s[36:37], vcc
	s_cbranch_execnz .LBB1562_683
.LBB1562_581:                           ;   in Loop: Header=BB1562_574 Depth=2
	s_or_b64 exec, exec, s[36:37]
	v_cmp_gt_u32_e32 vcc, s85, v82
	s_and_saveexec_b64 s[36:37], vcc
	s_cbranch_execz .LBB1562_684
.LBB1562_582:                           ;   in Loop: Header=BB1562_574 Depth=2
	global_load_ubyte v0, v[22:23], off offset:256
	s_waitcnt vmcnt(0)
	v_perm_b32 v21, v0, v21, s80
	s_or_b64 exec, exec, s[36:37]
	v_cmp_gt_u32_e32 vcc, s85, v83
	s_and_saveexec_b64 s[36:37], vcc
	s_cbranch_execnz .LBB1562_685
.LBB1562_583:                           ;   in Loop: Header=BB1562_574 Depth=2
	s_or_b64 exec, exec, s[36:37]
	v_cmp_gt_u32_e32 vcc, s85, v84
	s_and_saveexec_b64 s[36:37], vcc
	s_cbranch_execz .LBB1562_585
.LBB1562_584:                           ;   in Loop: Header=BB1562_574 Depth=2
	global_load_ubyte v0, v[22:23], off offset:384
	s_waitcnt vmcnt(0)
	v_perm_b32 v21, v21, v0, s81
.LBB1562_585:                           ;   in Loop: Header=BB1562_574 Depth=2
	s_or_b64 exec, exec, s[36:37]
	s_sub_i32 s40, s76, s72
	v_cmp_gt_u32_e64 s[36:37], s85, v85
.LBB1562_586:                           ;   in Loop: Header=BB1562_574 Depth=2
	v_mov_b32_e32 v0, s85
	s_and_saveexec_b64 s[38:39], s[36:37]
	s_cbranch_execz .LBB1562_588
; %bb.587:                              ;   in Loop: Header=BB1562_574 Depth=2
	v_mov_b32_e32 v0, s73
	v_add_co_u32_e32 v22, vcc, s72, v86
	v_addc_co_u32_e32 v23, vcc, v87, v0, vcc
	global_load_ubyte v0, v[22:23], off
	s_waitcnt vmcnt(0)
	v_perm_b32 v21, v21, v0, s82
	v_mov_b32_e32 v0, s40
.LBB1562_588:                           ;   in Loop: Header=BB1562_574 Depth=2
	s_or_b64 exec, exec, s[38:39]
	v_and_b32_sdwa v22, v63, v20 dst_sel:DWORD dst_unused:UNUSED_PAD src0_sel:DWORD src1_sel:BYTE_1
	v_cmp_eq_u32_e64 s[46:47], 1, v22
	v_and_b32_sdwa v22, v63, v21 dst_sel:DWORD dst_unused:UNUSED_PAD src0_sel:DWORD src1_sel:BYTE_1
	v_cmp_eq_u32_e64 s[38:39], 1, v22
	v_and_b32_e32 v22, 0x1000000, v21
	v_cmp_ne_u32_e32 vcc, 0, v22
	v_and_b32_e32 v22, 0x10000, v21
	v_and_b32_e32 v21, 1, v21
	v_cmp_eq_u32_e64 s[40:41], 1, v21
	v_and_b32_e32 v21, 0x1000000, v20
	v_cmp_ne_u32_e64 s[42:43], 0, v21
	v_and_b32_e32 v21, 0x10000, v20
	v_and_b32_e32 v20, 1, v20
	v_cmp_eq_u32_e64 s[48:49], 1, v20
	s_xor_b64 s[48:49], s[48:49], -1
	v_add_u32_e32 v20, 0x410, v42
	v_cndmask_b32_e64 v89, 0, 1, s[48:49]
	ds_write2_b32 v20, v1, v1 offset1:1
	ds_write2_b32 v44, v1, v1 offset0:2 offset1:3
	ds_write_b32 v44, v1 offset:16
	v_lshrrev_b32_e32 v20, s69, v89
	v_and_b32_e32 v20, s84, v20
	v_cmp_ne_u32_e64 s[44:45], 0, v21
	v_mad_u32_u24 v21, v20, 5, v88
	v_cmp_ne_u32_e64 s[48:49], 0, v20
	v_add_co_u32_e64 v20, s[52:53], -1, v20
	v_lshl_add_u32 v92, v21, 2, v43
	v_addc_co_u32_e64 v21, s[52:53], 0, -1, s[52:53]
	v_xor_b32_e32 v20, s48, v20
	v_xor_b32_e32 v21, s49, v21
	v_and_b32_e32 v20, exec_lo, v20
	v_cmp_ne_u32_e64 s[36:37], 0, v22
	v_and_b32_e32 v21, exec_hi, v21
	v_mbcnt_lo_u32_b32 v22, v20, 0
	v_mbcnt_hi_u32_b32 v90, v21, v22
	v_cmp_eq_u32_e64 s[48:49], 0, v90
	v_cmp_ne_u64_e64 s[52:53], 0, v[20:21]
	s_and_b64 s[52:53], s[52:53], s[48:49]
	s_waitcnt lgkmcnt(0)
	s_barrier
	s_waitcnt lgkmcnt(0)
	; wave barrier
	s_and_saveexec_b64 s[48:49], s[52:53]
	s_cbranch_execz .LBB1562_590
; %bb.589:                              ;   in Loop: Header=BB1562_574 Depth=2
	v_bcnt_u32_b32 v20, v20, 0
	v_bcnt_u32_b32 v20, v21, v20
	ds_write_b32 v92, v20
.LBB1562_590:                           ;   in Loop: Header=BB1562_574 Depth=2
	s_or_b64 exec, exec, s[48:49]
	s_xor_b64 s[46:47], s[46:47], -1
	v_cndmask_b32_e64 v91, 0, 1, s[46:47]
	v_lshrrev_b32_e32 v20, s69, v91
	v_and_b32_e32 v20, s84, v20
	v_mul_u32_u24_e32 v21, 5, v20
	v_add_lshl_u32 v21, v21, v88, 2
	v_cmp_ne_u32_e64 s[46:47], 0, v20
	v_add_co_u32_e64 v20, s[48:49], -1, v20
	; wave barrier
	v_add_u32_e32 v95, 0x410, v21
	ds_read_b32 v93, v21 offset:1040
	v_addc_co_u32_e64 v21, s[48:49], 0, -1, s[48:49]
	v_xor_b32_e32 v20, s46, v20
	v_xor_b32_e32 v21, s47, v21
	v_and_b32_e32 v20, exec_lo, v20
	v_and_b32_e32 v21, exec_hi, v21
	v_mbcnt_lo_u32_b32 v22, v20, 0
	v_mbcnt_hi_u32_b32 v94, v21, v22
	v_cmp_eq_u32_e64 s[46:47], 0, v94
	v_cmp_ne_u64_e64 s[48:49], 0, v[20:21]
	s_and_b64 s[48:49], s[48:49], s[46:47]
	; wave barrier
	s_and_saveexec_b64 s[46:47], s[48:49]
	s_cbranch_execz .LBB1562_592
; %bb.591:                              ;   in Loop: Header=BB1562_574 Depth=2
	v_bcnt_u32_b32 v20, v20, 0
	v_bcnt_u32_b32 v20, v21, v20
	s_waitcnt lgkmcnt(0)
	v_add_u32_e32 v20, v93, v20
	ds_write_b32 v95, v20
.LBB1562_592:                           ;   in Loop: Header=BB1562_574 Depth=2
	s_or_b64 exec, exec, s[46:47]
	s_xor_b64 s[44:45], s[44:45], -1
	v_cndmask_b32_e64 v98, 0, 1, s[44:45]
	v_lshrrev_b32_e32 v20, s69, v98
	v_and_b32_e32 v20, s84, v20
	v_mul_u32_u24_e32 v21, 5, v20
	v_add_lshl_u32 v21, v21, v88, 2
	v_cmp_ne_u32_e64 s[44:45], 0, v20
	v_add_co_u32_e64 v20, s[46:47], -1, v20
	; wave barrier
	v_add_u32_e32 v96, 0x410, v21
	ds_read_b32 v99, v21 offset:1040
	v_addc_co_u32_e64 v21, s[46:47], 0, -1, s[46:47]
	v_xor_b32_e32 v20, s44, v20
	v_xor_b32_e32 v21, s45, v21
	v_and_b32_e32 v20, exec_lo, v20
	v_and_b32_e32 v21, exec_hi, v21
	v_mbcnt_lo_u32_b32 v22, v20, 0
	v_mbcnt_hi_u32_b32 v100, v21, v22
	v_cmp_eq_u32_e64 s[44:45], 0, v100
	v_cmp_ne_u64_e64 s[46:47], 0, v[20:21]
	s_and_b64 s[46:47], s[46:47], s[44:45]
	; wave barrier
	s_and_saveexec_b64 s[44:45], s[46:47]
	s_cbranch_execz .LBB1562_594
; %bb.593:                              ;   in Loop: Header=BB1562_574 Depth=2
	v_bcnt_u32_b32 v20, v20, 0
	v_bcnt_u32_b32 v20, v21, v20
	s_waitcnt lgkmcnt(0)
	v_add_u32_e32 v20, v99, v20
	ds_write_b32 v96, v20
.LBB1562_594:                           ;   in Loop: Header=BB1562_574 Depth=2
	;; [unrolled: 32-line block ×6, first 2 shown]
	s_or_b64 exec, exec, s[36:37]
	s_xor_b64 s[36:37], vcc, -1
	v_cndmask_b32_e64 v115, 0, 1, s[36:37]
	v_lshrrev_b32_e32 v20, s69, v115
	v_and_b32_e32 v20, s84, v20
	v_mul_u32_u24_e32 v21, 5, v20
	v_add_lshl_u32 v21, v21, v88, 2
	v_cmp_ne_u32_e32 vcc, 0, v20
	v_add_co_u32_e64 v20, s[36:37], -1, v20
	; wave barrier
	v_add_u32_e32 v119, 0x410, v21
	ds_read_b32 v117, v21 offset:1040
	v_addc_co_u32_e64 v21, s[36:37], 0, -1, s[36:37]
	v_xor_b32_e32 v20, vcc_lo, v20
	v_xor_b32_e32 v21, vcc_hi, v21
	v_and_b32_e32 v20, exec_lo, v20
	v_and_b32_e32 v21, exec_hi, v21
	v_mbcnt_lo_u32_b32 v22, v20, 0
	v_mbcnt_hi_u32_b32 v118, v21, v22
	v_cmp_eq_u32_e32 vcc, 0, v118
	v_cmp_ne_u64_e64 s[36:37], 0, v[20:21]
	s_and_b64 s[38:39], s[36:37], vcc
	; wave barrier
	s_and_saveexec_b64 s[36:37], s[38:39]
	s_cbranch_execz .LBB1562_604
; %bb.603:                              ;   in Loop: Header=BB1562_574 Depth=2
	v_bcnt_u32_b32 v20, v20, 0
	v_bcnt_u32_b32 v20, v21, v20
	s_waitcnt lgkmcnt(0)
	v_add_u32_e32 v20, v117, v20
	ds_write_b32 v119, v20
.LBB1562_604:                           ;   in Loop: Header=BB1562_574 Depth=2
	s_or_b64 exec, exec, s[36:37]
	; wave barrier
	s_waitcnt lgkmcnt(0)
	s_barrier
	ds_read_b32 v120, v42 offset:1040
	ds_read2_b32 v[22:23], v44 offset0:1 offset1:2
	ds_read2_b32 v[20:21], v44 offset0:3 offset1:4
	s_waitcnt lgkmcnt(1)
	v_add3_u32 v121, v22, v120, v23
	s_waitcnt lgkmcnt(0)
	v_add3_u32 v21, v121, v20, v21
	s_nop 1
	v_mov_b32_dpp v121, v21 row_shr:1 row_mask:0xf bank_mask:0xf
	v_cndmask_b32_e64 v121, v121, 0, s[16:17]
	v_add_u32_e32 v21, v121, v21
	s_nop 1
	v_mov_b32_dpp v121, v21 row_shr:2 row_mask:0xf bank_mask:0xf
	v_cndmask_b32_e64 v121, 0, v121, s[18:19]
	v_add_u32_e32 v21, v21, v121
	;; [unrolled: 4-line block ×4, first 2 shown]
	s_nop 1
	v_mov_b32_dpp v121, v21 row_bcast:15 row_mask:0xf bank_mask:0xf
	v_cndmask_b32_e64 v121, v121, 0, s[24:25]
	v_add_u32_e32 v21, v21, v121
	s_nop 1
	v_mov_b32_dpp v121, v21 row_bcast:31 row_mask:0xf bank_mask:0xf
	v_cndmask_b32_e64 v121, 0, v121, s[26:27]
	v_add_u32_e32 v21, v21, v121
	s_and_saveexec_b64 s[36:37], s[6:7]
	s_cbranch_execz .LBB1562_606
; %bb.605:                              ;   in Loop: Header=BB1562_574 Depth=2
	ds_write_b32 v35, v21 offset:1024
.LBB1562_606:                           ;   in Loop: Header=BB1562_574 Depth=2
	s_or_b64 exec, exec, s[36:37]
	s_waitcnt lgkmcnt(0)
	s_barrier
	s_and_saveexec_b64 s[36:37], s[8:9]
	s_cbranch_execz .LBB1562_608
; %bb.607:                              ;   in Loop: Header=BB1562_574 Depth=2
	v_add_u32_e32 v121, v42, v45
	ds_read_b32 v122, v121 offset:1024
	s_waitcnt lgkmcnt(0)
	s_nop 0
	v_mov_b32_dpp v123, v122 row_shr:1 row_mask:0xf bank_mask:0xf
	v_cndmask_b32_e64 v123, v123, 0, s[30:31]
	v_add_u32_e32 v122, v123, v122
	s_nop 1
	v_mov_b32_dpp v123, v122 row_shr:2 row_mask:0xf bank_mask:0xf
	v_cndmask_b32_e64 v123, 0, v123, s[34:35]
	v_add_u32_e32 v122, v122, v123
	ds_write_b32 v121, v122 offset:1024
.LBB1562_608:                           ;   in Loop: Header=BB1562_574 Depth=2
	s_or_b64 exec, exec, s[36:37]
	v_mov_b32_e32 v121, 0
	s_waitcnt lgkmcnt(0)
	s_barrier
	s_and_saveexec_b64 s[36:37], s[10:11]
	s_cbranch_execz .LBB1562_610
; %bb.609:                              ;   in Loop: Header=BB1562_574 Depth=2
	ds_read_b32 v121, v35 offset:1020
.LBB1562_610:                           ;   in Loop: Header=BB1562_574 Depth=2
	s_or_b64 exec, exec, s[36:37]
	s_waitcnt lgkmcnt(0)
	v_add_u32_e32 v21, v121, v21
	ds_bpermute_b32 v21, v65, v21
	s_waitcnt lgkmcnt(0)
	v_cndmask_b32_e64 v21, v21, v121, s[28:29]
	v_cndmask_b32_e64 v21, v21, 0, s[12:13]
	v_add_u32_e32 v120, v21, v120
	ds_write_b32 v42, v21 offset:1040
	v_add_u32_e32 v21, v120, v22
	v_add_u32_e32 v22, v21, v23
	;; [unrolled: 1-line block ×3, first 2 shown]
	ds_write2_b32 v44, v120, v21 offset0:1 offset1:2
	ds_write2_b32 v44, v22, v20 offset0:3 offset1:4
	s_waitcnt lgkmcnt(0)
	s_barrier
	ds_read_b32 v20, v95
	ds_read_b32 v21, v96
	;; [unrolled: 1-line block ×8, first 2 shown]
	ds_read_b32 v95, v42 offset:1040
	v_mov_b32_e32 v22, 0x800
	s_and_saveexec_b64 s[36:37], s[14:15]
	s_cbranch_execz .LBB1562_612
; %bb.611:                              ;   in Loop: Header=BB1562_574 Depth=2
	ds_read_b32 v22, v42 offset:1060
.LBB1562_612:                           ;   in Loop: Header=BB1562_574 Depth=2
	s_or_b64 exec, exec, s[36:37]
	s_waitcnt lgkmcnt(0)
	s_barrier
	s_and_saveexec_b64 s[36:37], s[4:5]
	s_cbranch_execz .LBB1562_614
; %bb.613:                              ;   in Loop: Header=BB1562_574 Depth=2
	ds_read_b32 v96, v3
	s_waitcnt lgkmcnt(0)
	v_sub_u32_e32 v95, v96, v95
	ds_write_b32 v3, v95
.LBB1562_614:                           ;   in Loop: Header=BB1562_574 Depth=2
	s_or_b64 exec, exec, s[36:37]
	v_add_u32_e32 v97, v92, v90
	v_add3_u32 v96, v94, v93, v20
	v_add3_u32 v95, v100, v99, v21
	;; [unrolled: 1-line block ×7, first 2 shown]
	v_cmp_lt_u32_e64 s[48:49], v2, v0
	ds_write_b8 v97, v89 offset:1024
	ds_write_b8 v96, v91 offset:1024
	ds_write_b8 v95, v98 offset:1024
	ds_write_b8 v94, v101 offset:1024
	ds_write_b8 v93, v104 offset:1024
	ds_write_b8 v92, v107 offset:1024
	ds_write_b8 v90, v111 offset:1024
	ds_write_b8 v23, v115 offset:1024
	s_waitcnt lgkmcnt(0)
	s_barrier
	s_and_saveexec_b64 s[36:37], s[48:49]
	s_cbranch_execz .LBB1562_622
; %bb.615:                              ;   in Loop: Header=BB1562_574 Depth=2
	ds_read_u8 v20, v2 offset:1024
	s_waitcnt lgkmcnt(0)
	v_and_b32_e32 v21, 1, v20
	v_lshrrev_b32_e32 v21, s69, v21
	v_and_b32_e32 v21, s84, v21
	v_lshlrev_b32_e32 v21, 2, v21
	ds_read_b32 v21, v21
	v_xor_b32_e32 v20, 1, v20
	s_waitcnt lgkmcnt(0)
	v_add_u32_e32 v21, v21, v2
	global_store_byte v21, v20, s[60:61]
	s_or_b64 exec, exec, s[36:37]
	v_cmp_lt_u32_e64 s[46:47], v24, v0
	s_and_saveexec_b64 s[36:37], s[46:47]
	s_cbranch_execnz .LBB1562_623
.LBB1562_616:                           ;   in Loop: Header=BB1562_574 Depth=2
	s_or_b64 exec, exec, s[36:37]
	v_cmp_lt_u32_e64 s[44:45], v25, v0
	s_and_saveexec_b64 s[36:37], s[44:45]
	s_cbranch_execz .LBB1562_624
.LBB1562_617:                           ;   in Loop: Header=BB1562_574 Depth=2
	ds_read_u8 v20, v30 offset:512
	s_waitcnt lgkmcnt(0)
	v_and_b32_e32 v21, 1, v20
	v_lshrrev_b32_e32 v21, s69, v21
	v_and_b32_e32 v21, s84, v21
	v_lshlrev_b32_e32 v21, 2, v21
	ds_read_b32 v21, v21
	v_xor_b32_e32 v20, 1, v20
	s_waitcnt lgkmcnt(0)
	v_add_u32_e32 v21, v21, v25
	global_store_byte v21, v20, s[60:61]
	s_or_b64 exec, exec, s[36:37]
	v_cmp_lt_u32_e64 s[42:43], v26, v0
	s_and_saveexec_b64 s[36:37], s[42:43]
	s_cbranch_execnz .LBB1562_625
.LBB1562_618:                           ;   in Loop: Header=BB1562_574 Depth=2
	s_or_b64 exec, exec, s[36:37]
	v_cmp_lt_u32_e64 s[40:41], v30, v0
	s_and_saveexec_b64 s[36:37], s[40:41]
	s_cbranch_execz .LBB1562_626
.LBB1562_619:                           ;   in Loop: Header=BB1562_574 Depth=2
	ds_read_u8 v20, v30 offset:1024
	s_waitcnt lgkmcnt(0)
	v_and_b32_e32 v21, 1, v20
	v_lshrrev_b32_e32 v21, s69, v21
	v_and_b32_e32 v21, s84, v21
	v_lshlrev_b32_e32 v21, 2, v21
	ds_read_b32 v21, v21
	v_xor_b32_e32 v20, 1, v20
	s_waitcnt lgkmcnt(0)
	v_add_u32_e32 v21, v21, v30
	global_store_byte v21, v20, s[60:61]
	s_or_b64 exec, exec, s[36:37]
	v_cmp_lt_u32_e64 s[38:39], v31, v0
	s_and_saveexec_b64 s[36:37], s[38:39]
	s_cbranch_execnz .LBB1562_627
.LBB1562_620:                           ;   in Loop: Header=BB1562_574 Depth=2
	s_or_b64 exec, exec, s[36:37]
	v_cmp_lt_u32_e64 s[36:37], v32, v0
	s_and_saveexec_b64 s[52:53], s[36:37]
	s_cbranch_execz .LBB1562_628
.LBB1562_621:                           ;   in Loop: Header=BB1562_574 Depth=2
	ds_read_u8 v20, v30 offset:1536
	s_waitcnt lgkmcnt(0)
	v_and_b32_e32 v21, 1, v20
	v_lshrrev_b32_e32 v21, s69, v21
	v_and_b32_e32 v21, s84, v21
	v_lshlrev_b32_e32 v21, 2, v21
	ds_read_b32 v21, v21
	v_xor_b32_e32 v20, 1, v20
	s_waitcnt lgkmcnt(0)
	v_add_u32_e32 v21, v21, v32
	global_store_byte v21, v20, s[60:61]
	s_or_b64 exec, exec, s[52:53]
	v_cmp_lt_u32_e32 vcc, v33, v0
	s_and_saveexec_b64 s[52:53], vcc
	s_cbranch_execnz .LBB1562_629
	s_branch .LBB1562_630
.LBB1562_622:                           ;   in Loop: Header=BB1562_574 Depth=2
	s_or_b64 exec, exec, s[36:37]
	v_cmp_lt_u32_e64 s[46:47], v24, v0
	s_and_saveexec_b64 s[36:37], s[46:47]
	s_cbranch_execz .LBB1562_616
.LBB1562_623:                           ;   in Loop: Header=BB1562_574 Depth=2
	ds_read_u8 v20, v30 offset:256
	s_waitcnt lgkmcnt(0)
	v_and_b32_e32 v21, 1, v20
	v_lshrrev_b32_e32 v21, s69, v21
	v_and_b32_e32 v21, s84, v21
	v_lshlrev_b32_e32 v21, 2, v21
	ds_read_b32 v21, v21
	v_xor_b32_e32 v20, 1, v20
	s_waitcnt lgkmcnt(0)
	v_add_u32_e32 v21, v21, v24
	global_store_byte v21, v20, s[60:61]
	s_or_b64 exec, exec, s[36:37]
	v_cmp_lt_u32_e64 s[44:45], v25, v0
	s_and_saveexec_b64 s[36:37], s[44:45]
	s_cbranch_execnz .LBB1562_617
.LBB1562_624:                           ;   in Loop: Header=BB1562_574 Depth=2
	s_or_b64 exec, exec, s[36:37]
	v_cmp_lt_u32_e64 s[42:43], v26, v0
	s_and_saveexec_b64 s[36:37], s[42:43]
	s_cbranch_execz .LBB1562_618
.LBB1562_625:                           ;   in Loop: Header=BB1562_574 Depth=2
	ds_read_u8 v20, v30 offset:768
	s_waitcnt lgkmcnt(0)
	v_and_b32_e32 v21, 1, v20
	v_lshrrev_b32_e32 v21, s69, v21
	v_and_b32_e32 v21, s84, v21
	v_lshlrev_b32_e32 v21, 2, v21
	ds_read_b32 v21, v21
	v_xor_b32_e32 v20, 1, v20
	s_waitcnt lgkmcnt(0)
	v_add_u32_e32 v21, v21, v26
	global_store_byte v21, v20, s[60:61]
	s_or_b64 exec, exec, s[36:37]
	v_cmp_lt_u32_e64 s[40:41], v30, v0
	s_and_saveexec_b64 s[36:37], s[40:41]
	s_cbranch_execnz .LBB1562_619
.LBB1562_626:                           ;   in Loop: Header=BB1562_574 Depth=2
	s_or_b64 exec, exec, s[36:37]
	v_cmp_lt_u32_e64 s[38:39], v31, v0
	s_and_saveexec_b64 s[36:37], s[38:39]
	s_cbranch_execz .LBB1562_620
.LBB1562_627:                           ;   in Loop: Header=BB1562_574 Depth=2
	ds_read_u8 v20, v30 offset:1280
	s_waitcnt lgkmcnt(0)
	v_and_b32_e32 v21, 1, v20
	v_lshrrev_b32_e32 v21, s69, v21
	v_and_b32_e32 v21, s84, v21
	v_lshlrev_b32_e32 v21, 2, v21
	ds_read_b32 v21, v21
	v_xor_b32_e32 v20, 1, v20
	s_waitcnt lgkmcnt(0)
	v_add_u32_e32 v21, v21, v31
	global_store_byte v21, v20, s[60:61]
	s_or_b64 exec, exec, s[36:37]
	v_cmp_lt_u32_e64 s[36:37], v32, v0
	s_and_saveexec_b64 s[52:53], s[36:37]
	s_cbranch_execnz .LBB1562_621
.LBB1562_628:                           ;   in Loop: Header=BB1562_574 Depth=2
	s_or_b64 exec, exec, s[52:53]
	v_cmp_lt_u32_e32 vcc, v33, v0
	s_and_saveexec_b64 s[52:53], vcc
	s_cbranch_execz .LBB1562_630
.LBB1562_629:                           ;   in Loop: Header=BB1562_574 Depth=2
	ds_read_u8 v20, v30 offset:1792
	s_waitcnt lgkmcnt(0)
	v_and_b32_e32 v21, 1, v20
	v_lshrrev_b32_e32 v21, s69, v21
	v_and_b32_e32 v21, s84, v21
	v_lshlrev_b32_e32 v21, 2, v21
	ds_read_b32 v21, v21
	v_xor_b32_e32 v20, 1, v20
	s_waitcnt lgkmcnt(0)
	v_add_u32_e32 v21, v21, v33
	global_store_byte v21, v20, s[60:61]
.LBB1562_630:                           ;   in Loop: Header=BB1562_574 Depth=2
	s_or_b64 exec, exec, s[52:53]
	s_lshl_b64 s[52:53], s[72:73], 3
	v_mov_b32_e32 v21, s53
	v_add_co_u32_e64 v20, s[52:53], s52, v77
	v_addc_co_u32_e64 v21, s[52:53], v78, v21, s[52:53]
	v_cmp_lt_u32_e64 s[52:53], v72, v0
	s_and_saveexec_b64 s[62:63], s[52:53]
	s_xor_b64 s[52:53], exec, s[62:63]
	s_cbranch_execz .LBB1562_646
; %bb.631:                              ;   in Loop: Header=BB1562_574 Depth=2
	global_load_dwordx2 v[18:19], v[20:21], off
	s_or_b64 exec, exec, s[52:53]
	v_cmp_lt_u32_e64 s[52:53], v79, v0
	s_and_saveexec_b64 s[62:63], s[52:53]
	s_cbranch_execnz .LBB1562_647
.LBB1562_632:                           ;   in Loop: Header=BB1562_574 Depth=2
	s_or_b64 exec, exec, s[62:63]
	v_cmp_lt_u32_e64 s[52:53], v80, v0
	s_and_saveexec_b64 s[62:63], s[52:53]
	s_cbranch_execz .LBB1562_648
.LBB1562_633:                           ;   in Loop: Header=BB1562_574 Depth=2
	global_load_dwordx2 v[14:15], v[20:21], off offset:1024
	s_or_b64 exec, exec, s[62:63]
	v_cmp_lt_u32_e64 s[52:53], v81, v0
	s_and_saveexec_b64 s[62:63], s[52:53]
	s_cbranch_execnz .LBB1562_649
.LBB1562_634:                           ;   in Loop: Header=BB1562_574 Depth=2
	s_or_b64 exec, exec, s[62:63]
	v_cmp_lt_u32_e64 s[52:53], v82, v0
	s_and_saveexec_b64 s[62:63], s[52:53]
	s_cbranch_execz .LBB1562_650
.LBB1562_635:                           ;   in Loop: Header=BB1562_574 Depth=2
	global_load_dwordx2 v[10:11], v[20:21], off offset:2048
	s_or_b64 exec, exec, s[62:63]
	v_cmp_lt_u32_e64 s[52:53], v83, v0
	s_and_saveexec_b64 s[62:63], s[52:53]
	s_cbranch_execnz .LBB1562_651
.LBB1562_636:                           ;   in Loop: Header=BB1562_574 Depth=2
	s_or_b64 exec, exec, s[62:63]
	v_cmp_lt_u32_e64 s[52:53], v84, v0
	s_and_saveexec_b64 s[62:63], s[52:53]
	s_cbranch_execz .LBB1562_652
.LBB1562_637:                           ;   in Loop: Header=BB1562_574 Depth=2
	global_load_dwordx2 v[6:7], v[20:21], off offset:3072
	s_or_b64 exec, exec, s[62:63]
	v_cmp_lt_u32_e64 s[52:53], v85, v0
	s_and_saveexec_b64 s[62:63], s[52:53]
	s_cbranch_execnz .LBB1562_653
.LBB1562_638:                           ;   in Loop: Header=BB1562_574 Depth=2
	s_or_b64 exec, exec, s[62:63]
	s_and_saveexec_b64 s[52:53], s[48:49]
	s_cbranch_execz .LBB1562_654
.LBB1562_639:                           ;   in Loop: Header=BB1562_574 Depth=2
	ds_read_u8 v0, v2 offset:1024
	s_waitcnt lgkmcnt(0)
	v_lshrrev_b32_e32 v0, s69, v0
	v_and_b32_e32 v75, s84, v0
	s_or_b64 exec, exec, s[52:53]
	s_and_saveexec_b64 s[52:53], s[46:47]
	s_cbranch_execnz .LBB1562_655
.LBB1562_640:                           ;   in Loop: Header=BB1562_574 Depth=2
	s_or_b64 exec, exec, s[52:53]
	s_and_saveexec_b64 s[52:53], s[44:45]
	s_cbranch_execz .LBB1562_656
.LBB1562_641:                           ;   in Loop: Header=BB1562_574 Depth=2
	ds_read_u8 v0, v30 offset:512
	s_waitcnt lgkmcnt(0)
	v_lshrrev_b32_e32 v0, s69, v0
	v_and_b32_e32 v71, s84, v0
	s_or_b64 exec, exec, s[52:53]
	s_and_saveexec_b64 s[52:53], s[42:43]
	s_cbranch_execnz .LBB1562_657
.LBB1562_642:                           ;   in Loop: Header=BB1562_574 Depth=2
	s_or_b64 exec, exec, s[52:53]
	s_and_saveexec_b64 s[52:53], s[40:41]
	s_cbranch_execz .LBB1562_658
.LBB1562_643:                           ;   in Loop: Header=BB1562_574 Depth=2
	ds_read_u8 v0, v30 offset:1024
	s_waitcnt lgkmcnt(0)
	v_lshrrev_b32_e32 v0, s69, v0
	v_and_b32_e32 v69, s84, v0
	s_or_b64 exec, exec, s[52:53]
	s_and_saveexec_b64 s[52:53], s[38:39]
	s_cbranch_execnz .LBB1562_659
.LBB1562_644:                           ;   in Loop: Header=BB1562_574 Depth=2
	s_or_b64 exec, exec, s[52:53]
	s_and_saveexec_b64 s[52:53], s[36:37]
	s_cbranch_execz .LBB1562_660
.LBB1562_645:                           ;   in Loop: Header=BB1562_574 Depth=2
	ds_read_u8 v0, v30 offset:1536
	s_waitcnt lgkmcnt(0)
	v_lshrrev_b32_e32 v0, s69, v0
	v_and_b32_e32 v67, s84, v0
	s_or_b64 exec, exec, s[52:53]
	s_and_saveexec_b64 s[52:53], vcc
	s_cbranch_execnz .LBB1562_661
	s_branch .LBB1562_662
.LBB1562_646:                           ;   in Loop: Header=BB1562_574 Depth=2
	s_or_b64 exec, exec, s[52:53]
	v_cmp_lt_u32_e64 s[52:53], v79, v0
	s_and_saveexec_b64 s[62:63], s[52:53]
	s_cbranch_execz .LBB1562_632
.LBB1562_647:                           ;   in Loop: Header=BB1562_574 Depth=2
	global_load_dwordx2 v[16:17], v[20:21], off offset:512
	s_or_b64 exec, exec, s[62:63]
	v_cmp_lt_u32_e64 s[52:53], v80, v0
	s_and_saveexec_b64 s[62:63], s[52:53]
	s_cbranch_execnz .LBB1562_633
.LBB1562_648:                           ;   in Loop: Header=BB1562_574 Depth=2
	s_or_b64 exec, exec, s[62:63]
	v_cmp_lt_u32_e64 s[52:53], v81, v0
	s_and_saveexec_b64 s[62:63], s[52:53]
	s_cbranch_execz .LBB1562_634
.LBB1562_649:                           ;   in Loop: Header=BB1562_574 Depth=2
	global_load_dwordx2 v[12:13], v[20:21], off offset:1536
	s_or_b64 exec, exec, s[62:63]
	v_cmp_lt_u32_e64 s[52:53], v82, v0
	s_and_saveexec_b64 s[62:63], s[52:53]
	s_cbranch_execnz .LBB1562_635
.LBB1562_650:                           ;   in Loop: Header=BB1562_574 Depth=2
	s_or_b64 exec, exec, s[62:63]
	v_cmp_lt_u32_e64 s[52:53], v83, v0
	s_and_saveexec_b64 s[62:63], s[52:53]
	s_cbranch_execz .LBB1562_636
.LBB1562_651:                           ;   in Loop: Header=BB1562_574 Depth=2
	global_load_dwordx2 v[8:9], v[20:21], off offset:2560
	s_or_b64 exec, exec, s[62:63]
	v_cmp_lt_u32_e64 s[52:53], v84, v0
	s_and_saveexec_b64 s[62:63], s[52:53]
	s_cbranch_execnz .LBB1562_637
.LBB1562_652:                           ;   in Loop: Header=BB1562_574 Depth=2
	s_or_b64 exec, exec, s[62:63]
	v_cmp_lt_u32_e64 s[52:53], v85, v0
	s_and_saveexec_b64 s[62:63], s[52:53]
	s_cbranch_execz .LBB1562_638
.LBB1562_653:                           ;   in Loop: Header=BB1562_574 Depth=2
	global_load_dwordx2 v[4:5], v[20:21], off offset:3584
	s_or_b64 exec, exec, s[62:63]
	s_and_saveexec_b64 s[52:53], s[48:49]
	s_cbranch_execnz .LBB1562_639
.LBB1562_654:                           ;   in Loop: Header=BB1562_574 Depth=2
	s_or_b64 exec, exec, s[52:53]
	s_and_saveexec_b64 s[52:53], s[46:47]
	s_cbranch_execz .LBB1562_640
.LBB1562_655:                           ;   in Loop: Header=BB1562_574 Depth=2
	ds_read_u8 v0, v30 offset:256
	s_waitcnt lgkmcnt(0)
	v_lshrrev_b32_e32 v0, s69, v0
	v_and_b32_e32 v73, s84, v0
	s_or_b64 exec, exec, s[52:53]
	s_and_saveexec_b64 s[52:53], s[44:45]
	s_cbranch_execnz .LBB1562_641
.LBB1562_656:                           ;   in Loop: Header=BB1562_574 Depth=2
	s_or_b64 exec, exec, s[52:53]
	s_and_saveexec_b64 s[52:53], s[42:43]
	s_cbranch_execz .LBB1562_642
.LBB1562_657:                           ;   in Loop: Header=BB1562_574 Depth=2
	ds_read_u8 v0, v30 offset:768
	s_waitcnt lgkmcnt(0)
	v_lshrrev_b32_e32 v0, s69, v0
	v_and_b32_e32 v70, s84, v0
	s_or_b64 exec, exec, s[52:53]
	s_and_saveexec_b64 s[52:53], s[40:41]
	s_cbranch_execnz .LBB1562_643
.LBB1562_658:                           ;   in Loop: Header=BB1562_574 Depth=2
	s_or_b64 exec, exec, s[52:53]
	s_and_saveexec_b64 s[52:53], s[38:39]
	s_cbranch_execz .LBB1562_644
.LBB1562_659:                           ;   in Loop: Header=BB1562_574 Depth=2
	ds_read_u8 v0, v30 offset:1280
	s_waitcnt lgkmcnt(0)
	v_lshrrev_b32_e32 v0, s69, v0
	v_and_b32_e32 v68, s84, v0
	s_or_b64 exec, exec, s[52:53]
	s_and_saveexec_b64 s[52:53], s[36:37]
	s_cbranch_execnz .LBB1562_645
.LBB1562_660:                           ;   in Loop: Header=BB1562_574 Depth=2
	s_or_b64 exec, exec, s[52:53]
	s_and_saveexec_b64 s[52:53], vcc
	s_cbranch_execz .LBB1562_662
.LBB1562_661:                           ;   in Loop: Header=BB1562_574 Depth=2
	ds_read_u8 v0, v30 offset:1792
	s_waitcnt lgkmcnt(0)
	v_lshrrev_b32_e32 v0, s69, v0
	v_and_b32_e32 v66, s84, v0
.LBB1562_662:                           ;   in Loop: Header=BB1562_574 Depth=2
	s_or_b64 exec, exec, s[52:53]
	v_lshlrev_b32_e32 v0, 3, v97
	s_barrier
	s_waitcnt vmcnt(0)
	ds_write_b64 v0, v[18:19] offset:1024
	v_lshlrev_b32_e32 v0, 3, v96
	ds_write_b64 v0, v[16:17] offset:1024
	v_lshlrev_b32_e32 v0, 3, v95
	;; [unrolled: 2-line block ×7, first 2 shown]
	ds_write_b64 v0, v[4:5] offset:1024
	s_waitcnt lgkmcnt(0)
	s_barrier
	s_and_saveexec_b64 s[52:53], s[48:49]
	s_cbranch_execz .LBB1562_670
; %bb.663:                              ;   in Loop: Header=BB1562_574 Depth=2
	v_lshlrev_b32_e32 v0, 2, v75
	ds_read_b32 v0, v0
	v_add_u32_e32 v20, v2, v50
	ds_read_b64 v[20:21], v20 offset:1024
	v_mov_b32_e32 v23, s67
	s_waitcnt lgkmcnt(1)
	v_add_u32_e32 v0, v0, v2
	v_lshlrev_b64 v[90:91], 3, v[0:1]
	v_add_co_u32_e64 v90, s[48:49], s66, v90
	v_addc_co_u32_e64 v91, s[48:49], v23, v91, s[48:49]
	s_waitcnt lgkmcnt(0)
	global_store_dwordx2 v[90:91], v[20:21], off
	s_or_b64 exec, exec, s[52:53]
	v_add_u32_e32 v20, v30, v50
	s_and_saveexec_b64 s[48:49], s[46:47]
	s_cbranch_execnz .LBB1562_671
.LBB1562_664:                           ;   in Loop: Header=BB1562_574 Depth=2
	s_or_b64 exec, exec, s[48:49]
	s_and_saveexec_b64 s[46:47], s[44:45]
	s_cbranch_execz .LBB1562_672
.LBB1562_665:                           ;   in Loop: Header=BB1562_574 Depth=2
	v_lshlrev_b32_e32 v0, 2, v71
	ds_read_b32 v0, v0
	ds_read_b64 v[90:91], v20 offset:4096
	v_mov_b32_e32 v21, s67
	s_waitcnt lgkmcnt(1)
	v_add_u32_e32 v0, v0, v25
	v_lshlrev_b64 v[92:93], 3, v[0:1]
	v_add_co_u32_e64 v92, s[44:45], s66, v92
	v_addc_co_u32_e64 v93, s[44:45], v21, v93, s[44:45]
	s_waitcnt lgkmcnt(0)
	global_store_dwordx2 v[92:93], v[90:91], off
	s_or_b64 exec, exec, s[46:47]
	s_and_saveexec_b64 s[44:45], s[42:43]
	s_cbranch_execnz .LBB1562_673
.LBB1562_666:                           ;   in Loop: Header=BB1562_574 Depth=2
	s_or_b64 exec, exec, s[44:45]
	s_and_saveexec_b64 s[42:43], s[40:41]
	s_cbranch_execz .LBB1562_674
.LBB1562_667:                           ;   in Loop: Header=BB1562_574 Depth=2
	v_lshlrev_b32_e32 v0, 2, v69
	ds_read_b32 v0, v0
	ds_read_b64 v[90:91], v20 offset:8192
	v_mov_b32_e32 v21, s67
	s_waitcnt lgkmcnt(1)
	v_add_u32_e32 v0, v0, v30
	v_lshlrev_b64 v[92:93], 3, v[0:1]
	v_add_co_u32_e64 v92, s[40:41], s66, v92
	v_addc_co_u32_e64 v93, s[40:41], v21, v93, s[40:41]
	s_waitcnt lgkmcnt(0)
	global_store_dwordx2 v[92:93], v[90:91], off
	s_or_b64 exec, exec, s[42:43]
	s_and_saveexec_b64 s[40:41], s[38:39]
	s_cbranch_execnz .LBB1562_675
.LBB1562_668:                           ;   in Loop: Header=BB1562_574 Depth=2
	s_or_b64 exec, exec, s[40:41]
	s_and_saveexec_b64 s[38:39], s[36:37]
	s_cbranch_execz .LBB1562_676
.LBB1562_669:                           ;   in Loop: Header=BB1562_574 Depth=2
	v_lshlrev_b32_e32 v0, 2, v67
	ds_read_b32 v0, v0
	ds_read_b64 v[90:91], v20 offset:12288
	v_mov_b32_e32 v21, s67
	s_waitcnt lgkmcnt(1)
	v_add_u32_e32 v0, v0, v32
	v_lshlrev_b64 v[92:93], 3, v[0:1]
	v_add_co_u32_e64 v92, s[36:37], s66, v92
	v_addc_co_u32_e64 v93, s[36:37], v21, v93, s[36:37]
	s_waitcnt lgkmcnt(0)
	global_store_dwordx2 v[92:93], v[90:91], off
	s_or_b64 exec, exec, s[38:39]
	s_and_saveexec_b64 s[36:37], vcc
	s_cbranch_execnz .LBB1562_677
	s_branch .LBB1562_678
.LBB1562_670:                           ;   in Loop: Header=BB1562_574 Depth=2
	s_or_b64 exec, exec, s[52:53]
	v_add_u32_e32 v20, v30, v50
	s_and_saveexec_b64 s[48:49], s[46:47]
	s_cbranch_execz .LBB1562_664
.LBB1562_671:                           ;   in Loop: Header=BB1562_574 Depth=2
	v_lshlrev_b32_e32 v0, 2, v73
	ds_read_b32 v0, v0
	ds_read_b64 v[90:91], v20 offset:2048
	v_mov_b32_e32 v21, s67
	s_waitcnt lgkmcnt(1)
	v_add_u32_e32 v0, v0, v24
	v_lshlrev_b64 v[92:93], 3, v[0:1]
	v_add_co_u32_e64 v92, s[46:47], s66, v92
	v_addc_co_u32_e64 v93, s[46:47], v21, v93, s[46:47]
	s_waitcnt lgkmcnt(0)
	global_store_dwordx2 v[92:93], v[90:91], off
	s_or_b64 exec, exec, s[48:49]
	s_and_saveexec_b64 s[46:47], s[44:45]
	s_cbranch_execnz .LBB1562_665
.LBB1562_672:                           ;   in Loop: Header=BB1562_574 Depth=2
	s_or_b64 exec, exec, s[46:47]
	s_and_saveexec_b64 s[44:45], s[42:43]
	s_cbranch_execz .LBB1562_666
.LBB1562_673:                           ;   in Loop: Header=BB1562_574 Depth=2
	v_lshlrev_b32_e32 v0, 2, v70
	ds_read_b32 v0, v0
	ds_read_b64 v[90:91], v20 offset:6144
	v_mov_b32_e32 v21, s67
	s_waitcnt lgkmcnt(1)
	v_add_u32_e32 v0, v0, v26
	v_lshlrev_b64 v[92:93], 3, v[0:1]
	v_add_co_u32_e64 v92, s[42:43], s66, v92
	v_addc_co_u32_e64 v93, s[42:43], v21, v93, s[42:43]
	s_waitcnt lgkmcnt(0)
	global_store_dwordx2 v[92:93], v[90:91], off
	s_or_b64 exec, exec, s[44:45]
	s_and_saveexec_b64 s[42:43], s[40:41]
	s_cbranch_execnz .LBB1562_667
.LBB1562_674:                           ;   in Loop: Header=BB1562_574 Depth=2
	s_or_b64 exec, exec, s[42:43]
	s_and_saveexec_b64 s[40:41], s[38:39]
	s_cbranch_execz .LBB1562_668
.LBB1562_675:                           ;   in Loop: Header=BB1562_574 Depth=2
	v_lshlrev_b32_e32 v0, 2, v68
	ds_read_b32 v0, v0
	ds_read_b64 v[90:91], v20 offset:10240
	v_mov_b32_e32 v21, s67
	s_waitcnt lgkmcnt(1)
	v_add_u32_e32 v0, v0, v31
	v_lshlrev_b64 v[92:93], 3, v[0:1]
	v_add_co_u32_e64 v92, s[38:39], s66, v92
	v_addc_co_u32_e64 v93, s[38:39], v21, v93, s[38:39]
	s_waitcnt lgkmcnt(0)
	global_store_dwordx2 v[92:93], v[90:91], off
	s_or_b64 exec, exec, s[40:41]
	s_and_saveexec_b64 s[38:39], s[36:37]
	s_cbranch_execnz .LBB1562_669
.LBB1562_676:                           ;   in Loop: Header=BB1562_574 Depth=2
	s_or_b64 exec, exec, s[38:39]
	s_and_saveexec_b64 s[36:37], vcc
	s_cbranch_execz .LBB1562_678
.LBB1562_677:                           ;   in Loop: Header=BB1562_574 Depth=2
	v_lshlrev_b32_e32 v0, 2, v66
	ds_read_b32 v0, v0
	ds_read_b64 v[20:21], v20 offset:14336
	v_mov_b32_e32 v23, s67
	s_waitcnt lgkmcnt(1)
	v_add_u32_e32 v0, v0, v33
	v_lshlrev_b64 v[90:91], 3, v[0:1]
	v_add_co_u32_e32 v90, vcc, s66, v90
	v_addc_co_u32_e32 v91, vcc, v23, v91, vcc
	s_waitcnt lgkmcnt(0)
	global_store_dwordx2 v[90:91], v[20:21], off
.LBB1562_678:                           ;   in Loop: Header=BB1562_574 Depth=2
	s_or_b64 exec, exec, s[36:37]
	s_barrier
	s_and_saveexec_b64 s[36:37], s[4:5]
	s_cbranch_execz .LBB1562_573
; %bb.679:                              ;   in Loop: Header=BB1562_574 Depth=2
	ds_read_b32 v0, v3
	s_waitcnt lgkmcnt(0)
	v_add_u32_e32 v0, v0, v22
	ds_write_b32 v3, v0
	s_branch .LBB1562_573
.LBB1562_680:                           ;   in Loop: Header=BB1562_574 Depth=2
	s_or_b64 exec, exec, s[36:37]
	v_cmp_gt_u32_e32 vcc, s85, v79
	s_and_saveexec_b64 s[36:37], vcc
	s_cbranch_execz .LBB1562_579
.LBB1562_681:                           ;   in Loop: Header=BB1562_574 Depth=2
	global_load_ubyte v0, v[22:23], off offset:64
	s_waitcnt vmcnt(0)
	v_perm_b32 v20, v20, v0, s78
	s_or_b64 exec, exec, s[36:37]
	v_cmp_gt_u32_e32 vcc, s85, v80
	s_and_saveexec_b64 s[36:37], vcc
	s_cbranch_execnz .LBB1562_580
.LBB1562_682:                           ;   in Loop: Header=BB1562_574 Depth=2
	s_or_b64 exec, exec, s[36:37]
	v_cmp_gt_u32_e32 vcc, s85, v81
	s_and_saveexec_b64 s[36:37], vcc
	s_cbranch_execz .LBB1562_581
.LBB1562_683:                           ;   in Loop: Header=BB1562_574 Depth=2
	global_load_ubyte v0, v[22:23], off offset:192
	v_and_b32_sdwa v89, v20, s68 dst_sel:DWORD dst_unused:UNUSED_PAD src0_sel:WORD_1 src1_sel:DWORD
	s_waitcnt vmcnt(0)
	v_lshlrev_b16_e32 v0, 8, v0
	v_or_b32_sdwa v0, v89, v0 dst_sel:WORD_1 dst_unused:UNUSED_PAD src0_sel:DWORD src1_sel:DWORD
	v_and_or_b32 v20, v20, s77, v0
	s_or_b64 exec, exec, s[36:37]
	v_cmp_gt_u32_e32 vcc, s85, v82
	s_and_saveexec_b64 s[36:37], vcc
	s_cbranch_execnz .LBB1562_582
.LBB1562_684:                           ;   in Loop: Header=BB1562_574 Depth=2
	s_or_b64 exec, exec, s[36:37]
	v_cmp_gt_u32_e32 vcc, s85, v83
	s_and_saveexec_b64 s[36:37], vcc
	s_cbranch_execz .LBB1562_583
.LBB1562_685:                           ;   in Loop: Header=BB1562_574 Depth=2
	global_load_ubyte v0, v[22:23], off offset:320
	s_waitcnt vmcnt(0)
	v_perm_b32 v21, v21, v0, s78
	s_or_b64 exec, exec, s[36:37]
	v_cmp_gt_u32_e32 vcc, s85, v84
	s_and_saveexec_b64 s[36:37], vcc
	s_cbranch_execnz .LBB1562_584
	s_branch .LBB1562_585
.LBB1562_686:
	s_endpgm
	.section	.rodata,"a",@progbits
	.p2align	6, 0x0
	.amdhsa_kernel _ZN7rocprim17ROCPRIM_400000_NS6detail17trampoline_kernelINS0_14default_configENS1_36segmented_radix_sort_config_selectorIblEEZNS1_25segmented_radix_sort_implIS3_Lb1EPKbPbPKlPlN2at6native12_GLOBAL__N_18offset_tEEE10hipError_tPvRmT1_PNSt15iterator_traitsISK_E10value_typeET2_T3_PNSL_ISQ_E10value_typeET4_jRbjT5_SW_jjP12ihipStream_tbEUlT_E2_NS1_11comp_targetILNS1_3genE4ELNS1_11target_archE910ELNS1_3gpuE8ELNS1_3repE0EEENS1_30default_config_static_selectorELNS0_4arch9wavefront6targetE1EEEvSK_
		.amdhsa_group_segment_fixed_size 17424
		.amdhsa_private_segment_fixed_size 8
		.amdhsa_kernarg_size 336
		.amdhsa_user_sgpr_count 8
		.amdhsa_user_sgpr_private_segment_buffer 1
		.amdhsa_user_sgpr_dispatch_ptr 0
		.amdhsa_user_sgpr_queue_ptr 0
		.amdhsa_user_sgpr_kernarg_segment_ptr 1
		.amdhsa_user_sgpr_dispatch_id 0
		.amdhsa_user_sgpr_flat_scratch_init 1
		.amdhsa_user_sgpr_kernarg_preload_length 0
		.amdhsa_user_sgpr_kernarg_preload_offset 0
		.amdhsa_user_sgpr_private_segment_size 0
		.amdhsa_uses_dynamic_stack 0
		.amdhsa_system_sgpr_private_segment_wavefront_offset 1
		.amdhsa_system_sgpr_workgroup_id_x 1
		.amdhsa_system_sgpr_workgroup_id_y 1
		.amdhsa_system_sgpr_workgroup_id_z 0
		.amdhsa_system_sgpr_workgroup_info 0
		.amdhsa_system_vgpr_workitem_id 2
		.amdhsa_next_free_vgpr 168
		.amdhsa_next_free_sgpr 87
		.amdhsa_accum_offset 168
		.amdhsa_reserve_vcc 1
		.amdhsa_reserve_flat_scratch 1
		.amdhsa_float_round_mode_32 0
		.amdhsa_float_round_mode_16_64 0
		.amdhsa_float_denorm_mode_32 3
		.amdhsa_float_denorm_mode_16_64 3
		.amdhsa_dx10_clamp 1
		.amdhsa_ieee_mode 1
		.amdhsa_fp16_overflow 0
		.amdhsa_tg_split 0
		.amdhsa_exception_fp_ieee_invalid_op 0
		.amdhsa_exception_fp_denorm_src 0
		.amdhsa_exception_fp_ieee_div_zero 0
		.amdhsa_exception_fp_ieee_overflow 0
		.amdhsa_exception_fp_ieee_underflow 0
		.amdhsa_exception_fp_ieee_inexact 0
		.amdhsa_exception_int_div_zero 0
	.end_amdhsa_kernel
	.section	.text._ZN7rocprim17ROCPRIM_400000_NS6detail17trampoline_kernelINS0_14default_configENS1_36segmented_radix_sort_config_selectorIblEEZNS1_25segmented_radix_sort_implIS3_Lb1EPKbPbPKlPlN2at6native12_GLOBAL__N_18offset_tEEE10hipError_tPvRmT1_PNSt15iterator_traitsISK_E10value_typeET2_T3_PNSL_ISQ_E10value_typeET4_jRbjT5_SW_jjP12ihipStream_tbEUlT_E2_NS1_11comp_targetILNS1_3genE4ELNS1_11target_archE910ELNS1_3gpuE8ELNS1_3repE0EEENS1_30default_config_static_selectorELNS0_4arch9wavefront6targetE1EEEvSK_,"axG",@progbits,_ZN7rocprim17ROCPRIM_400000_NS6detail17trampoline_kernelINS0_14default_configENS1_36segmented_radix_sort_config_selectorIblEEZNS1_25segmented_radix_sort_implIS3_Lb1EPKbPbPKlPlN2at6native12_GLOBAL__N_18offset_tEEE10hipError_tPvRmT1_PNSt15iterator_traitsISK_E10value_typeET2_T3_PNSL_ISQ_E10value_typeET4_jRbjT5_SW_jjP12ihipStream_tbEUlT_E2_NS1_11comp_targetILNS1_3genE4ELNS1_11target_archE910ELNS1_3gpuE8ELNS1_3repE0EEENS1_30default_config_static_selectorELNS0_4arch9wavefront6targetE1EEEvSK_,comdat
.Lfunc_end1562:
	.size	_ZN7rocprim17ROCPRIM_400000_NS6detail17trampoline_kernelINS0_14default_configENS1_36segmented_radix_sort_config_selectorIblEEZNS1_25segmented_radix_sort_implIS3_Lb1EPKbPbPKlPlN2at6native12_GLOBAL__N_18offset_tEEE10hipError_tPvRmT1_PNSt15iterator_traitsISK_E10value_typeET2_T3_PNSL_ISQ_E10value_typeET4_jRbjT5_SW_jjP12ihipStream_tbEUlT_E2_NS1_11comp_targetILNS1_3genE4ELNS1_11target_archE910ELNS1_3gpuE8ELNS1_3repE0EEENS1_30default_config_static_selectorELNS0_4arch9wavefront6targetE1EEEvSK_, .Lfunc_end1562-_ZN7rocprim17ROCPRIM_400000_NS6detail17trampoline_kernelINS0_14default_configENS1_36segmented_radix_sort_config_selectorIblEEZNS1_25segmented_radix_sort_implIS3_Lb1EPKbPbPKlPlN2at6native12_GLOBAL__N_18offset_tEEE10hipError_tPvRmT1_PNSt15iterator_traitsISK_E10value_typeET2_T3_PNSL_ISQ_E10value_typeET4_jRbjT5_SW_jjP12ihipStream_tbEUlT_E2_NS1_11comp_targetILNS1_3genE4ELNS1_11target_archE910ELNS1_3gpuE8ELNS1_3repE0EEENS1_30default_config_static_selectorELNS0_4arch9wavefront6targetE1EEEvSK_
                                        ; -- End function
	.section	.AMDGPU.csdata,"",@progbits
; Kernel info:
; codeLenInByte = 30008
; NumSgprs: 93
; NumVgprs: 168
; NumAgprs: 0
; TotalNumVgprs: 168
; ScratchSize: 8
; MemoryBound: 0
; FloatMode: 240
; IeeeMode: 1
; LDSByteSize: 17424 bytes/workgroup (compile time only)
; SGPRBlocks: 11
; VGPRBlocks: 20
; NumSGPRsForWavesPerEU: 93
; NumVGPRsForWavesPerEU: 168
; AccumOffset: 168
; Occupancy: 3
; WaveLimiterHint : 1
; COMPUTE_PGM_RSRC2:SCRATCH_EN: 1
; COMPUTE_PGM_RSRC2:USER_SGPR: 8
; COMPUTE_PGM_RSRC2:TRAP_HANDLER: 0
; COMPUTE_PGM_RSRC2:TGID_X_EN: 1
; COMPUTE_PGM_RSRC2:TGID_Y_EN: 1
; COMPUTE_PGM_RSRC2:TGID_Z_EN: 0
; COMPUTE_PGM_RSRC2:TIDIG_COMP_CNT: 2
; COMPUTE_PGM_RSRC3_GFX90A:ACCUM_OFFSET: 41
; COMPUTE_PGM_RSRC3_GFX90A:TG_SPLIT: 0
	.section	.text._ZN7rocprim17ROCPRIM_400000_NS6detail17trampoline_kernelINS0_14default_configENS1_36segmented_radix_sort_config_selectorIblEEZNS1_25segmented_radix_sort_implIS3_Lb1EPKbPbPKlPlN2at6native12_GLOBAL__N_18offset_tEEE10hipError_tPvRmT1_PNSt15iterator_traitsISK_E10value_typeET2_T3_PNSL_ISQ_E10value_typeET4_jRbjT5_SW_jjP12ihipStream_tbEUlT_E2_NS1_11comp_targetILNS1_3genE3ELNS1_11target_archE908ELNS1_3gpuE7ELNS1_3repE0EEENS1_30default_config_static_selectorELNS0_4arch9wavefront6targetE1EEEvSK_,"axG",@progbits,_ZN7rocprim17ROCPRIM_400000_NS6detail17trampoline_kernelINS0_14default_configENS1_36segmented_radix_sort_config_selectorIblEEZNS1_25segmented_radix_sort_implIS3_Lb1EPKbPbPKlPlN2at6native12_GLOBAL__N_18offset_tEEE10hipError_tPvRmT1_PNSt15iterator_traitsISK_E10value_typeET2_T3_PNSL_ISQ_E10value_typeET4_jRbjT5_SW_jjP12ihipStream_tbEUlT_E2_NS1_11comp_targetILNS1_3genE3ELNS1_11target_archE908ELNS1_3gpuE7ELNS1_3repE0EEENS1_30default_config_static_selectorELNS0_4arch9wavefront6targetE1EEEvSK_,comdat
	.globl	_ZN7rocprim17ROCPRIM_400000_NS6detail17trampoline_kernelINS0_14default_configENS1_36segmented_radix_sort_config_selectorIblEEZNS1_25segmented_radix_sort_implIS3_Lb1EPKbPbPKlPlN2at6native12_GLOBAL__N_18offset_tEEE10hipError_tPvRmT1_PNSt15iterator_traitsISK_E10value_typeET2_T3_PNSL_ISQ_E10value_typeET4_jRbjT5_SW_jjP12ihipStream_tbEUlT_E2_NS1_11comp_targetILNS1_3genE3ELNS1_11target_archE908ELNS1_3gpuE7ELNS1_3repE0EEENS1_30default_config_static_selectorELNS0_4arch9wavefront6targetE1EEEvSK_ ; -- Begin function _ZN7rocprim17ROCPRIM_400000_NS6detail17trampoline_kernelINS0_14default_configENS1_36segmented_radix_sort_config_selectorIblEEZNS1_25segmented_radix_sort_implIS3_Lb1EPKbPbPKlPlN2at6native12_GLOBAL__N_18offset_tEEE10hipError_tPvRmT1_PNSt15iterator_traitsISK_E10value_typeET2_T3_PNSL_ISQ_E10value_typeET4_jRbjT5_SW_jjP12ihipStream_tbEUlT_E2_NS1_11comp_targetILNS1_3genE3ELNS1_11target_archE908ELNS1_3gpuE7ELNS1_3repE0EEENS1_30default_config_static_selectorELNS0_4arch9wavefront6targetE1EEEvSK_
	.p2align	8
	.type	_ZN7rocprim17ROCPRIM_400000_NS6detail17trampoline_kernelINS0_14default_configENS1_36segmented_radix_sort_config_selectorIblEEZNS1_25segmented_radix_sort_implIS3_Lb1EPKbPbPKlPlN2at6native12_GLOBAL__N_18offset_tEEE10hipError_tPvRmT1_PNSt15iterator_traitsISK_E10value_typeET2_T3_PNSL_ISQ_E10value_typeET4_jRbjT5_SW_jjP12ihipStream_tbEUlT_E2_NS1_11comp_targetILNS1_3genE3ELNS1_11target_archE908ELNS1_3gpuE7ELNS1_3repE0EEENS1_30default_config_static_selectorELNS0_4arch9wavefront6targetE1EEEvSK_,@function
_ZN7rocprim17ROCPRIM_400000_NS6detail17trampoline_kernelINS0_14default_configENS1_36segmented_radix_sort_config_selectorIblEEZNS1_25segmented_radix_sort_implIS3_Lb1EPKbPbPKlPlN2at6native12_GLOBAL__N_18offset_tEEE10hipError_tPvRmT1_PNSt15iterator_traitsISK_E10value_typeET2_T3_PNSL_ISQ_E10value_typeET4_jRbjT5_SW_jjP12ihipStream_tbEUlT_E2_NS1_11comp_targetILNS1_3genE3ELNS1_11target_archE908ELNS1_3gpuE7ELNS1_3repE0EEENS1_30default_config_static_selectorELNS0_4arch9wavefront6targetE1EEEvSK_: ; @_ZN7rocprim17ROCPRIM_400000_NS6detail17trampoline_kernelINS0_14default_configENS1_36segmented_radix_sort_config_selectorIblEEZNS1_25segmented_radix_sort_implIS3_Lb1EPKbPbPKlPlN2at6native12_GLOBAL__N_18offset_tEEE10hipError_tPvRmT1_PNSt15iterator_traitsISK_E10value_typeET2_T3_PNSL_ISQ_E10value_typeET4_jRbjT5_SW_jjP12ihipStream_tbEUlT_E2_NS1_11comp_targetILNS1_3genE3ELNS1_11target_archE908ELNS1_3gpuE7ELNS1_3repE0EEENS1_30default_config_static_selectorELNS0_4arch9wavefront6targetE1EEEvSK_
; %bb.0:
	.section	.rodata,"a",@progbits
	.p2align	6, 0x0
	.amdhsa_kernel _ZN7rocprim17ROCPRIM_400000_NS6detail17trampoline_kernelINS0_14default_configENS1_36segmented_radix_sort_config_selectorIblEEZNS1_25segmented_radix_sort_implIS3_Lb1EPKbPbPKlPlN2at6native12_GLOBAL__N_18offset_tEEE10hipError_tPvRmT1_PNSt15iterator_traitsISK_E10value_typeET2_T3_PNSL_ISQ_E10value_typeET4_jRbjT5_SW_jjP12ihipStream_tbEUlT_E2_NS1_11comp_targetILNS1_3genE3ELNS1_11target_archE908ELNS1_3gpuE7ELNS1_3repE0EEENS1_30default_config_static_selectorELNS0_4arch9wavefront6targetE1EEEvSK_
		.amdhsa_group_segment_fixed_size 0
		.amdhsa_private_segment_fixed_size 0
		.amdhsa_kernarg_size 80
		.amdhsa_user_sgpr_count 6
		.amdhsa_user_sgpr_private_segment_buffer 1
		.amdhsa_user_sgpr_dispatch_ptr 0
		.amdhsa_user_sgpr_queue_ptr 0
		.amdhsa_user_sgpr_kernarg_segment_ptr 1
		.amdhsa_user_sgpr_dispatch_id 0
		.amdhsa_user_sgpr_flat_scratch_init 0
		.amdhsa_user_sgpr_kernarg_preload_length 0
		.amdhsa_user_sgpr_kernarg_preload_offset 0
		.amdhsa_user_sgpr_private_segment_size 0
		.amdhsa_uses_dynamic_stack 0
		.amdhsa_system_sgpr_private_segment_wavefront_offset 0
		.amdhsa_system_sgpr_workgroup_id_x 1
		.amdhsa_system_sgpr_workgroup_id_y 0
		.amdhsa_system_sgpr_workgroup_id_z 0
		.amdhsa_system_sgpr_workgroup_info 0
		.amdhsa_system_vgpr_workitem_id 0
		.amdhsa_next_free_vgpr 1
		.amdhsa_next_free_sgpr 0
		.amdhsa_accum_offset 4
		.amdhsa_reserve_vcc 0
		.amdhsa_reserve_flat_scratch 0
		.amdhsa_float_round_mode_32 0
		.amdhsa_float_round_mode_16_64 0
		.amdhsa_float_denorm_mode_32 3
		.amdhsa_float_denorm_mode_16_64 3
		.amdhsa_dx10_clamp 1
		.amdhsa_ieee_mode 1
		.amdhsa_fp16_overflow 0
		.amdhsa_tg_split 0
		.amdhsa_exception_fp_ieee_invalid_op 0
		.amdhsa_exception_fp_denorm_src 0
		.amdhsa_exception_fp_ieee_div_zero 0
		.amdhsa_exception_fp_ieee_overflow 0
		.amdhsa_exception_fp_ieee_underflow 0
		.amdhsa_exception_fp_ieee_inexact 0
		.amdhsa_exception_int_div_zero 0
	.end_amdhsa_kernel
	.section	.text._ZN7rocprim17ROCPRIM_400000_NS6detail17trampoline_kernelINS0_14default_configENS1_36segmented_radix_sort_config_selectorIblEEZNS1_25segmented_radix_sort_implIS3_Lb1EPKbPbPKlPlN2at6native12_GLOBAL__N_18offset_tEEE10hipError_tPvRmT1_PNSt15iterator_traitsISK_E10value_typeET2_T3_PNSL_ISQ_E10value_typeET4_jRbjT5_SW_jjP12ihipStream_tbEUlT_E2_NS1_11comp_targetILNS1_3genE3ELNS1_11target_archE908ELNS1_3gpuE7ELNS1_3repE0EEENS1_30default_config_static_selectorELNS0_4arch9wavefront6targetE1EEEvSK_,"axG",@progbits,_ZN7rocprim17ROCPRIM_400000_NS6detail17trampoline_kernelINS0_14default_configENS1_36segmented_radix_sort_config_selectorIblEEZNS1_25segmented_radix_sort_implIS3_Lb1EPKbPbPKlPlN2at6native12_GLOBAL__N_18offset_tEEE10hipError_tPvRmT1_PNSt15iterator_traitsISK_E10value_typeET2_T3_PNSL_ISQ_E10value_typeET4_jRbjT5_SW_jjP12ihipStream_tbEUlT_E2_NS1_11comp_targetILNS1_3genE3ELNS1_11target_archE908ELNS1_3gpuE7ELNS1_3repE0EEENS1_30default_config_static_selectorELNS0_4arch9wavefront6targetE1EEEvSK_,comdat
.Lfunc_end1563:
	.size	_ZN7rocprim17ROCPRIM_400000_NS6detail17trampoline_kernelINS0_14default_configENS1_36segmented_radix_sort_config_selectorIblEEZNS1_25segmented_radix_sort_implIS3_Lb1EPKbPbPKlPlN2at6native12_GLOBAL__N_18offset_tEEE10hipError_tPvRmT1_PNSt15iterator_traitsISK_E10value_typeET2_T3_PNSL_ISQ_E10value_typeET4_jRbjT5_SW_jjP12ihipStream_tbEUlT_E2_NS1_11comp_targetILNS1_3genE3ELNS1_11target_archE908ELNS1_3gpuE7ELNS1_3repE0EEENS1_30default_config_static_selectorELNS0_4arch9wavefront6targetE1EEEvSK_, .Lfunc_end1563-_ZN7rocprim17ROCPRIM_400000_NS6detail17trampoline_kernelINS0_14default_configENS1_36segmented_radix_sort_config_selectorIblEEZNS1_25segmented_radix_sort_implIS3_Lb1EPKbPbPKlPlN2at6native12_GLOBAL__N_18offset_tEEE10hipError_tPvRmT1_PNSt15iterator_traitsISK_E10value_typeET2_T3_PNSL_ISQ_E10value_typeET4_jRbjT5_SW_jjP12ihipStream_tbEUlT_E2_NS1_11comp_targetILNS1_3genE3ELNS1_11target_archE908ELNS1_3gpuE7ELNS1_3repE0EEENS1_30default_config_static_selectorELNS0_4arch9wavefront6targetE1EEEvSK_
                                        ; -- End function
	.section	.AMDGPU.csdata,"",@progbits
; Kernel info:
; codeLenInByte = 0
; NumSgprs: 4
; NumVgprs: 0
; NumAgprs: 0
; TotalNumVgprs: 0
; ScratchSize: 0
; MemoryBound: 0
; FloatMode: 240
; IeeeMode: 1
; LDSByteSize: 0 bytes/workgroup (compile time only)
; SGPRBlocks: 0
; VGPRBlocks: 0
; NumSGPRsForWavesPerEU: 4
; NumVGPRsForWavesPerEU: 1
; AccumOffset: 4
; Occupancy: 8
; WaveLimiterHint : 0
; COMPUTE_PGM_RSRC2:SCRATCH_EN: 0
; COMPUTE_PGM_RSRC2:USER_SGPR: 6
; COMPUTE_PGM_RSRC2:TRAP_HANDLER: 0
; COMPUTE_PGM_RSRC2:TGID_X_EN: 1
; COMPUTE_PGM_RSRC2:TGID_Y_EN: 0
; COMPUTE_PGM_RSRC2:TGID_Z_EN: 0
; COMPUTE_PGM_RSRC2:TIDIG_COMP_CNT: 0
; COMPUTE_PGM_RSRC3_GFX90A:ACCUM_OFFSET: 0
; COMPUTE_PGM_RSRC3_GFX90A:TG_SPLIT: 0
	.section	.text._ZN7rocprim17ROCPRIM_400000_NS6detail17trampoline_kernelINS0_14default_configENS1_36segmented_radix_sort_config_selectorIblEEZNS1_25segmented_radix_sort_implIS3_Lb1EPKbPbPKlPlN2at6native12_GLOBAL__N_18offset_tEEE10hipError_tPvRmT1_PNSt15iterator_traitsISK_E10value_typeET2_T3_PNSL_ISQ_E10value_typeET4_jRbjT5_SW_jjP12ihipStream_tbEUlT_E2_NS1_11comp_targetILNS1_3genE2ELNS1_11target_archE906ELNS1_3gpuE6ELNS1_3repE0EEENS1_30default_config_static_selectorELNS0_4arch9wavefront6targetE1EEEvSK_,"axG",@progbits,_ZN7rocprim17ROCPRIM_400000_NS6detail17trampoline_kernelINS0_14default_configENS1_36segmented_radix_sort_config_selectorIblEEZNS1_25segmented_radix_sort_implIS3_Lb1EPKbPbPKlPlN2at6native12_GLOBAL__N_18offset_tEEE10hipError_tPvRmT1_PNSt15iterator_traitsISK_E10value_typeET2_T3_PNSL_ISQ_E10value_typeET4_jRbjT5_SW_jjP12ihipStream_tbEUlT_E2_NS1_11comp_targetILNS1_3genE2ELNS1_11target_archE906ELNS1_3gpuE6ELNS1_3repE0EEENS1_30default_config_static_selectorELNS0_4arch9wavefront6targetE1EEEvSK_,comdat
	.globl	_ZN7rocprim17ROCPRIM_400000_NS6detail17trampoline_kernelINS0_14default_configENS1_36segmented_radix_sort_config_selectorIblEEZNS1_25segmented_radix_sort_implIS3_Lb1EPKbPbPKlPlN2at6native12_GLOBAL__N_18offset_tEEE10hipError_tPvRmT1_PNSt15iterator_traitsISK_E10value_typeET2_T3_PNSL_ISQ_E10value_typeET4_jRbjT5_SW_jjP12ihipStream_tbEUlT_E2_NS1_11comp_targetILNS1_3genE2ELNS1_11target_archE906ELNS1_3gpuE6ELNS1_3repE0EEENS1_30default_config_static_selectorELNS0_4arch9wavefront6targetE1EEEvSK_ ; -- Begin function _ZN7rocprim17ROCPRIM_400000_NS6detail17trampoline_kernelINS0_14default_configENS1_36segmented_radix_sort_config_selectorIblEEZNS1_25segmented_radix_sort_implIS3_Lb1EPKbPbPKlPlN2at6native12_GLOBAL__N_18offset_tEEE10hipError_tPvRmT1_PNSt15iterator_traitsISK_E10value_typeET2_T3_PNSL_ISQ_E10value_typeET4_jRbjT5_SW_jjP12ihipStream_tbEUlT_E2_NS1_11comp_targetILNS1_3genE2ELNS1_11target_archE906ELNS1_3gpuE6ELNS1_3repE0EEENS1_30default_config_static_selectorELNS0_4arch9wavefront6targetE1EEEvSK_
	.p2align	8
	.type	_ZN7rocprim17ROCPRIM_400000_NS6detail17trampoline_kernelINS0_14default_configENS1_36segmented_radix_sort_config_selectorIblEEZNS1_25segmented_radix_sort_implIS3_Lb1EPKbPbPKlPlN2at6native12_GLOBAL__N_18offset_tEEE10hipError_tPvRmT1_PNSt15iterator_traitsISK_E10value_typeET2_T3_PNSL_ISQ_E10value_typeET4_jRbjT5_SW_jjP12ihipStream_tbEUlT_E2_NS1_11comp_targetILNS1_3genE2ELNS1_11target_archE906ELNS1_3gpuE6ELNS1_3repE0EEENS1_30default_config_static_selectorELNS0_4arch9wavefront6targetE1EEEvSK_,@function
_ZN7rocprim17ROCPRIM_400000_NS6detail17trampoline_kernelINS0_14default_configENS1_36segmented_radix_sort_config_selectorIblEEZNS1_25segmented_radix_sort_implIS3_Lb1EPKbPbPKlPlN2at6native12_GLOBAL__N_18offset_tEEE10hipError_tPvRmT1_PNSt15iterator_traitsISK_E10value_typeET2_T3_PNSL_ISQ_E10value_typeET4_jRbjT5_SW_jjP12ihipStream_tbEUlT_E2_NS1_11comp_targetILNS1_3genE2ELNS1_11target_archE906ELNS1_3gpuE6ELNS1_3repE0EEENS1_30default_config_static_selectorELNS0_4arch9wavefront6targetE1EEEvSK_: ; @_ZN7rocprim17ROCPRIM_400000_NS6detail17trampoline_kernelINS0_14default_configENS1_36segmented_radix_sort_config_selectorIblEEZNS1_25segmented_radix_sort_implIS3_Lb1EPKbPbPKlPlN2at6native12_GLOBAL__N_18offset_tEEE10hipError_tPvRmT1_PNSt15iterator_traitsISK_E10value_typeET2_T3_PNSL_ISQ_E10value_typeET4_jRbjT5_SW_jjP12ihipStream_tbEUlT_E2_NS1_11comp_targetILNS1_3genE2ELNS1_11target_archE906ELNS1_3gpuE6ELNS1_3repE0EEENS1_30default_config_static_selectorELNS0_4arch9wavefront6targetE1EEEvSK_
; %bb.0:
	.section	.rodata,"a",@progbits
	.p2align	6, 0x0
	.amdhsa_kernel _ZN7rocprim17ROCPRIM_400000_NS6detail17trampoline_kernelINS0_14default_configENS1_36segmented_radix_sort_config_selectorIblEEZNS1_25segmented_radix_sort_implIS3_Lb1EPKbPbPKlPlN2at6native12_GLOBAL__N_18offset_tEEE10hipError_tPvRmT1_PNSt15iterator_traitsISK_E10value_typeET2_T3_PNSL_ISQ_E10value_typeET4_jRbjT5_SW_jjP12ihipStream_tbEUlT_E2_NS1_11comp_targetILNS1_3genE2ELNS1_11target_archE906ELNS1_3gpuE6ELNS1_3repE0EEENS1_30default_config_static_selectorELNS0_4arch9wavefront6targetE1EEEvSK_
		.amdhsa_group_segment_fixed_size 0
		.amdhsa_private_segment_fixed_size 0
		.amdhsa_kernarg_size 80
		.amdhsa_user_sgpr_count 6
		.amdhsa_user_sgpr_private_segment_buffer 1
		.amdhsa_user_sgpr_dispatch_ptr 0
		.amdhsa_user_sgpr_queue_ptr 0
		.amdhsa_user_sgpr_kernarg_segment_ptr 1
		.amdhsa_user_sgpr_dispatch_id 0
		.amdhsa_user_sgpr_flat_scratch_init 0
		.amdhsa_user_sgpr_kernarg_preload_length 0
		.amdhsa_user_sgpr_kernarg_preload_offset 0
		.amdhsa_user_sgpr_private_segment_size 0
		.amdhsa_uses_dynamic_stack 0
		.amdhsa_system_sgpr_private_segment_wavefront_offset 0
		.amdhsa_system_sgpr_workgroup_id_x 1
		.amdhsa_system_sgpr_workgroup_id_y 0
		.amdhsa_system_sgpr_workgroup_id_z 0
		.amdhsa_system_sgpr_workgroup_info 0
		.amdhsa_system_vgpr_workitem_id 0
		.amdhsa_next_free_vgpr 1
		.amdhsa_next_free_sgpr 0
		.amdhsa_accum_offset 4
		.amdhsa_reserve_vcc 0
		.amdhsa_reserve_flat_scratch 0
		.amdhsa_float_round_mode_32 0
		.amdhsa_float_round_mode_16_64 0
		.amdhsa_float_denorm_mode_32 3
		.amdhsa_float_denorm_mode_16_64 3
		.amdhsa_dx10_clamp 1
		.amdhsa_ieee_mode 1
		.amdhsa_fp16_overflow 0
		.amdhsa_tg_split 0
		.amdhsa_exception_fp_ieee_invalid_op 0
		.amdhsa_exception_fp_denorm_src 0
		.amdhsa_exception_fp_ieee_div_zero 0
		.amdhsa_exception_fp_ieee_overflow 0
		.amdhsa_exception_fp_ieee_underflow 0
		.amdhsa_exception_fp_ieee_inexact 0
		.amdhsa_exception_int_div_zero 0
	.end_amdhsa_kernel
	.section	.text._ZN7rocprim17ROCPRIM_400000_NS6detail17trampoline_kernelINS0_14default_configENS1_36segmented_radix_sort_config_selectorIblEEZNS1_25segmented_radix_sort_implIS3_Lb1EPKbPbPKlPlN2at6native12_GLOBAL__N_18offset_tEEE10hipError_tPvRmT1_PNSt15iterator_traitsISK_E10value_typeET2_T3_PNSL_ISQ_E10value_typeET4_jRbjT5_SW_jjP12ihipStream_tbEUlT_E2_NS1_11comp_targetILNS1_3genE2ELNS1_11target_archE906ELNS1_3gpuE6ELNS1_3repE0EEENS1_30default_config_static_selectorELNS0_4arch9wavefront6targetE1EEEvSK_,"axG",@progbits,_ZN7rocprim17ROCPRIM_400000_NS6detail17trampoline_kernelINS0_14default_configENS1_36segmented_radix_sort_config_selectorIblEEZNS1_25segmented_radix_sort_implIS3_Lb1EPKbPbPKlPlN2at6native12_GLOBAL__N_18offset_tEEE10hipError_tPvRmT1_PNSt15iterator_traitsISK_E10value_typeET2_T3_PNSL_ISQ_E10value_typeET4_jRbjT5_SW_jjP12ihipStream_tbEUlT_E2_NS1_11comp_targetILNS1_3genE2ELNS1_11target_archE906ELNS1_3gpuE6ELNS1_3repE0EEENS1_30default_config_static_selectorELNS0_4arch9wavefront6targetE1EEEvSK_,comdat
.Lfunc_end1564:
	.size	_ZN7rocprim17ROCPRIM_400000_NS6detail17trampoline_kernelINS0_14default_configENS1_36segmented_radix_sort_config_selectorIblEEZNS1_25segmented_radix_sort_implIS3_Lb1EPKbPbPKlPlN2at6native12_GLOBAL__N_18offset_tEEE10hipError_tPvRmT1_PNSt15iterator_traitsISK_E10value_typeET2_T3_PNSL_ISQ_E10value_typeET4_jRbjT5_SW_jjP12ihipStream_tbEUlT_E2_NS1_11comp_targetILNS1_3genE2ELNS1_11target_archE906ELNS1_3gpuE6ELNS1_3repE0EEENS1_30default_config_static_selectorELNS0_4arch9wavefront6targetE1EEEvSK_, .Lfunc_end1564-_ZN7rocprim17ROCPRIM_400000_NS6detail17trampoline_kernelINS0_14default_configENS1_36segmented_radix_sort_config_selectorIblEEZNS1_25segmented_radix_sort_implIS3_Lb1EPKbPbPKlPlN2at6native12_GLOBAL__N_18offset_tEEE10hipError_tPvRmT1_PNSt15iterator_traitsISK_E10value_typeET2_T3_PNSL_ISQ_E10value_typeET4_jRbjT5_SW_jjP12ihipStream_tbEUlT_E2_NS1_11comp_targetILNS1_3genE2ELNS1_11target_archE906ELNS1_3gpuE6ELNS1_3repE0EEENS1_30default_config_static_selectorELNS0_4arch9wavefront6targetE1EEEvSK_
                                        ; -- End function
	.section	.AMDGPU.csdata,"",@progbits
; Kernel info:
; codeLenInByte = 0
; NumSgprs: 4
; NumVgprs: 0
; NumAgprs: 0
; TotalNumVgprs: 0
; ScratchSize: 0
; MemoryBound: 0
; FloatMode: 240
; IeeeMode: 1
; LDSByteSize: 0 bytes/workgroup (compile time only)
; SGPRBlocks: 0
; VGPRBlocks: 0
; NumSGPRsForWavesPerEU: 4
; NumVGPRsForWavesPerEU: 1
; AccumOffset: 4
; Occupancy: 8
; WaveLimiterHint : 0
; COMPUTE_PGM_RSRC2:SCRATCH_EN: 0
; COMPUTE_PGM_RSRC2:USER_SGPR: 6
; COMPUTE_PGM_RSRC2:TRAP_HANDLER: 0
; COMPUTE_PGM_RSRC2:TGID_X_EN: 1
; COMPUTE_PGM_RSRC2:TGID_Y_EN: 0
; COMPUTE_PGM_RSRC2:TGID_Z_EN: 0
; COMPUTE_PGM_RSRC2:TIDIG_COMP_CNT: 0
; COMPUTE_PGM_RSRC3_GFX90A:ACCUM_OFFSET: 0
; COMPUTE_PGM_RSRC3_GFX90A:TG_SPLIT: 0
	.section	.text._ZN7rocprim17ROCPRIM_400000_NS6detail17trampoline_kernelINS0_14default_configENS1_36segmented_radix_sort_config_selectorIblEEZNS1_25segmented_radix_sort_implIS3_Lb1EPKbPbPKlPlN2at6native12_GLOBAL__N_18offset_tEEE10hipError_tPvRmT1_PNSt15iterator_traitsISK_E10value_typeET2_T3_PNSL_ISQ_E10value_typeET4_jRbjT5_SW_jjP12ihipStream_tbEUlT_E2_NS1_11comp_targetILNS1_3genE10ELNS1_11target_archE1201ELNS1_3gpuE5ELNS1_3repE0EEENS1_30default_config_static_selectorELNS0_4arch9wavefront6targetE1EEEvSK_,"axG",@progbits,_ZN7rocprim17ROCPRIM_400000_NS6detail17trampoline_kernelINS0_14default_configENS1_36segmented_radix_sort_config_selectorIblEEZNS1_25segmented_radix_sort_implIS3_Lb1EPKbPbPKlPlN2at6native12_GLOBAL__N_18offset_tEEE10hipError_tPvRmT1_PNSt15iterator_traitsISK_E10value_typeET2_T3_PNSL_ISQ_E10value_typeET4_jRbjT5_SW_jjP12ihipStream_tbEUlT_E2_NS1_11comp_targetILNS1_3genE10ELNS1_11target_archE1201ELNS1_3gpuE5ELNS1_3repE0EEENS1_30default_config_static_selectorELNS0_4arch9wavefront6targetE1EEEvSK_,comdat
	.globl	_ZN7rocprim17ROCPRIM_400000_NS6detail17trampoline_kernelINS0_14default_configENS1_36segmented_radix_sort_config_selectorIblEEZNS1_25segmented_radix_sort_implIS3_Lb1EPKbPbPKlPlN2at6native12_GLOBAL__N_18offset_tEEE10hipError_tPvRmT1_PNSt15iterator_traitsISK_E10value_typeET2_T3_PNSL_ISQ_E10value_typeET4_jRbjT5_SW_jjP12ihipStream_tbEUlT_E2_NS1_11comp_targetILNS1_3genE10ELNS1_11target_archE1201ELNS1_3gpuE5ELNS1_3repE0EEENS1_30default_config_static_selectorELNS0_4arch9wavefront6targetE1EEEvSK_ ; -- Begin function _ZN7rocprim17ROCPRIM_400000_NS6detail17trampoline_kernelINS0_14default_configENS1_36segmented_radix_sort_config_selectorIblEEZNS1_25segmented_radix_sort_implIS3_Lb1EPKbPbPKlPlN2at6native12_GLOBAL__N_18offset_tEEE10hipError_tPvRmT1_PNSt15iterator_traitsISK_E10value_typeET2_T3_PNSL_ISQ_E10value_typeET4_jRbjT5_SW_jjP12ihipStream_tbEUlT_E2_NS1_11comp_targetILNS1_3genE10ELNS1_11target_archE1201ELNS1_3gpuE5ELNS1_3repE0EEENS1_30default_config_static_selectorELNS0_4arch9wavefront6targetE1EEEvSK_
	.p2align	8
	.type	_ZN7rocprim17ROCPRIM_400000_NS6detail17trampoline_kernelINS0_14default_configENS1_36segmented_radix_sort_config_selectorIblEEZNS1_25segmented_radix_sort_implIS3_Lb1EPKbPbPKlPlN2at6native12_GLOBAL__N_18offset_tEEE10hipError_tPvRmT1_PNSt15iterator_traitsISK_E10value_typeET2_T3_PNSL_ISQ_E10value_typeET4_jRbjT5_SW_jjP12ihipStream_tbEUlT_E2_NS1_11comp_targetILNS1_3genE10ELNS1_11target_archE1201ELNS1_3gpuE5ELNS1_3repE0EEENS1_30default_config_static_selectorELNS0_4arch9wavefront6targetE1EEEvSK_,@function
_ZN7rocprim17ROCPRIM_400000_NS6detail17trampoline_kernelINS0_14default_configENS1_36segmented_radix_sort_config_selectorIblEEZNS1_25segmented_radix_sort_implIS3_Lb1EPKbPbPKlPlN2at6native12_GLOBAL__N_18offset_tEEE10hipError_tPvRmT1_PNSt15iterator_traitsISK_E10value_typeET2_T3_PNSL_ISQ_E10value_typeET4_jRbjT5_SW_jjP12ihipStream_tbEUlT_E2_NS1_11comp_targetILNS1_3genE10ELNS1_11target_archE1201ELNS1_3gpuE5ELNS1_3repE0EEENS1_30default_config_static_selectorELNS0_4arch9wavefront6targetE1EEEvSK_: ; @_ZN7rocprim17ROCPRIM_400000_NS6detail17trampoline_kernelINS0_14default_configENS1_36segmented_radix_sort_config_selectorIblEEZNS1_25segmented_radix_sort_implIS3_Lb1EPKbPbPKlPlN2at6native12_GLOBAL__N_18offset_tEEE10hipError_tPvRmT1_PNSt15iterator_traitsISK_E10value_typeET2_T3_PNSL_ISQ_E10value_typeET4_jRbjT5_SW_jjP12ihipStream_tbEUlT_E2_NS1_11comp_targetILNS1_3genE10ELNS1_11target_archE1201ELNS1_3gpuE5ELNS1_3repE0EEENS1_30default_config_static_selectorELNS0_4arch9wavefront6targetE1EEEvSK_
; %bb.0:
	.section	.rodata,"a",@progbits
	.p2align	6, 0x0
	.amdhsa_kernel _ZN7rocprim17ROCPRIM_400000_NS6detail17trampoline_kernelINS0_14default_configENS1_36segmented_radix_sort_config_selectorIblEEZNS1_25segmented_radix_sort_implIS3_Lb1EPKbPbPKlPlN2at6native12_GLOBAL__N_18offset_tEEE10hipError_tPvRmT1_PNSt15iterator_traitsISK_E10value_typeET2_T3_PNSL_ISQ_E10value_typeET4_jRbjT5_SW_jjP12ihipStream_tbEUlT_E2_NS1_11comp_targetILNS1_3genE10ELNS1_11target_archE1201ELNS1_3gpuE5ELNS1_3repE0EEENS1_30default_config_static_selectorELNS0_4arch9wavefront6targetE1EEEvSK_
		.amdhsa_group_segment_fixed_size 0
		.amdhsa_private_segment_fixed_size 0
		.amdhsa_kernarg_size 80
		.amdhsa_user_sgpr_count 6
		.amdhsa_user_sgpr_private_segment_buffer 1
		.amdhsa_user_sgpr_dispatch_ptr 0
		.amdhsa_user_sgpr_queue_ptr 0
		.amdhsa_user_sgpr_kernarg_segment_ptr 1
		.amdhsa_user_sgpr_dispatch_id 0
		.amdhsa_user_sgpr_flat_scratch_init 0
		.amdhsa_user_sgpr_kernarg_preload_length 0
		.amdhsa_user_sgpr_kernarg_preload_offset 0
		.amdhsa_user_sgpr_private_segment_size 0
		.amdhsa_uses_dynamic_stack 0
		.amdhsa_system_sgpr_private_segment_wavefront_offset 0
		.amdhsa_system_sgpr_workgroup_id_x 1
		.amdhsa_system_sgpr_workgroup_id_y 0
		.amdhsa_system_sgpr_workgroup_id_z 0
		.amdhsa_system_sgpr_workgroup_info 0
		.amdhsa_system_vgpr_workitem_id 0
		.amdhsa_next_free_vgpr 1
		.amdhsa_next_free_sgpr 0
		.amdhsa_accum_offset 4
		.amdhsa_reserve_vcc 0
		.amdhsa_reserve_flat_scratch 0
		.amdhsa_float_round_mode_32 0
		.amdhsa_float_round_mode_16_64 0
		.amdhsa_float_denorm_mode_32 3
		.amdhsa_float_denorm_mode_16_64 3
		.amdhsa_dx10_clamp 1
		.amdhsa_ieee_mode 1
		.amdhsa_fp16_overflow 0
		.amdhsa_tg_split 0
		.amdhsa_exception_fp_ieee_invalid_op 0
		.amdhsa_exception_fp_denorm_src 0
		.amdhsa_exception_fp_ieee_div_zero 0
		.amdhsa_exception_fp_ieee_overflow 0
		.amdhsa_exception_fp_ieee_underflow 0
		.amdhsa_exception_fp_ieee_inexact 0
		.amdhsa_exception_int_div_zero 0
	.end_amdhsa_kernel
	.section	.text._ZN7rocprim17ROCPRIM_400000_NS6detail17trampoline_kernelINS0_14default_configENS1_36segmented_radix_sort_config_selectorIblEEZNS1_25segmented_radix_sort_implIS3_Lb1EPKbPbPKlPlN2at6native12_GLOBAL__N_18offset_tEEE10hipError_tPvRmT1_PNSt15iterator_traitsISK_E10value_typeET2_T3_PNSL_ISQ_E10value_typeET4_jRbjT5_SW_jjP12ihipStream_tbEUlT_E2_NS1_11comp_targetILNS1_3genE10ELNS1_11target_archE1201ELNS1_3gpuE5ELNS1_3repE0EEENS1_30default_config_static_selectorELNS0_4arch9wavefront6targetE1EEEvSK_,"axG",@progbits,_ZN7rocprim17ROCPRIM_400000_NS6detail17trampoline_kernelINS0_14default_configENS1_36segmented_radix_sort_config_selectorIblEEZNS1_25segmented_radix_sort_implIS3_Lb1EPKbPbPKlPlN2at6native12_GLOBAL__N_18offset_tEEE10hipError_tPvRmT1_PNSt15iterator_traitsISK_E10value_typeET2_T3_PNSL_ISQ_E10value_typeET4_jRbjT5_SW_jjP12ihipStream_tbEUlT_E2_NS1_11comp_targetILNS1_3genE10ELNS1_11target_archE1201ELNS1_3gpuE5ELNS1_3repE0EEENS1_30default_config_static_selectorELNS0_4arch9wavefront6targetE1EEEvSK_,comdat
.Lfunc_end1565:
	.size	_ZN7rocprim17ROCPRIM_400000_NS6detail17trampoline_kernelINS0_14default_configENS1_36segmented_radix_sort_config_selectorIblEEZNS1_25segmented_radix_sort_implIS3_Lb1EPKbPbPKlPlN2at6native12_GLOBAL__N_18offset_tEEE10hipError_tPvRmT1_PNSt15iterator_traitsISK_E10value_typeET2_T3_PNSL_ISQ_E10value_typeET4_jRbjT5_SW_jjP12ihipStream_tbEUlT_E2_NS1_11comp_targetILNS1_3genE10ELNS1_11target_archE1201ELNS1_3gpuE5ELNS1_3repE0EEENS1_30default_config_static_selectorELNS0_4arch9wavefront6targetE1EEEvSK_, .Lfunc_end1565-_ZN7rocprim17ROCPRIM_400000_NS6detail17trampoline_kernelINS0_14default_configENS1_36segmented_radix_sort_config_selectorIblEEZNS1_25segmented_radix_sort_implIS3_Lb1EPKbPbPKlPlN2at6native12_GLOBAL__N_18offset_tEEE10hipError_tPvRmT1_PNSt15iterator_traitsISK_E10value_typeET2_T3_PNSL_ISQ_E10value_typeET4_jRbjT5_SW_jjP12ihipStream_tbEUlT_E2_NS1_11comp_targetILNS1_3genE10ELNS1_11target_archE1201ELNS1_3gpuE5ELNS1_3repE0EEENS1_30default_config_static_selectorELNS0_4arch9wavefront6targetE1EEEvSK_
                                        ; -- End function
	.section	.AMDGPU.csdata,"",@progbits
; Kernel info:
; codeLenInByte = 0
; NumSgprs: 4
; NumVgprs: 0
; NumAgprs: 0
; TotalNumVgprs: 0
; ScratchSize: 0
; MemoryBound: 0
; FloatMode: 240
; IeeeMode: 1
; LDSByteSize: 0 bytes/workgroup (compile time only)
; SGPRBlocks: 0
; VGPRBlocks: 0
; NumSGPRsForWavesPerEU: 4
; NumVGPRsForWavesPerEU: 1
; AccumOffset: 4
; Occupancy: 8
; WaveLimiterHint : 0
; COMPUTE_PGM_RSRC2:SCRATCH_EN: 0
; COMPUTE_PGM_RSRC2:USER_SGPR: 6
; COMPUTE_PGM_RSRC2:TRAP_HANDLER: 0
; COMPUTE_PGM_RSRC2:TGID_X_EN: 1
; COMPUTE_PGM_RSRC2:TGID_Y_EN: 0
; COMPUTE_PGM_RSRC2:TGID_Z_EN: 0
; COMPUTE_PGM_RSRC2:TIDIG_COMP_CNT: 0
; COMPUTE_PGM_RSRC3_GFX90A:ACCUM_OFFSET: 0
; COMPUTE_PGM_RSRC3_GFX90A:TG_SPLIT: 0
	.section	.text._ZN7rocprim17ROCPRIM_400000_NS6detail17trampoline_kernelINS0_14default_configENS1_36segmented_radix_sort_config_selectorIblEEZNS1_25segmented_radix_sort_implIS3_Lb1EPKbPbPKlPlN2at6native12_GLOBAL__N_18offset_tEEE10hipError_tPvRmT1_PNSt15iterator_traitsISK_E10value_typeET2_T3_PNSL_ISQ_E10value_typeET4_jRbjT5_SW_jjP12ihipStream_tbEUlT_E2_NS1_11comp_targetILNS1_3genE10ELNS1_11target_archE1200ELNS1_3gpuE4ELNS1_3repE0EEENS1_30default_config_static_selectorELNS0_4arch9wavefront6targetE1EEEvSK_,"axG",@progbits,_ZN7rocprim17ROCPRIM_400000_NS6detail17trampoline_kernelINS0_14default_configENS1_36segmented_radix_sort_config_selectorIblEEZNS1_25segmented_radix_sort_implIS3_Lb1EPKbPbPKlPlN2at6native12_GLOBAL__N_18offset_tEEE10hipError_tPvRmT1_PNSt15iterator_traitsISK_E10value_typeET2_T3_PNSL_ISQ_E10value_typeET4_jRbjT5_SW_jjP12ihipStream_tbEUlT_E2_NS1_11comp_targetILNS1_3genE10ELNS1_11target_archE1200ELNS1_3gpuE4ELNS1_3repE0EEENS1_30default_config_static_selectorELNS0_4arch9wavefront6targetE1EEEvSK_,comdat
	.globl	_ZN7rocprim17ROCPRIM_400000_NS6detail17trampoline_kernelINS0_14default_configENS1_36segmented_radix_sort_config_selectorIblEEZNS1_25segmented_radix_sort_implIS3_Lb1EPKbPbPKlPlN2at6native12_GLOBAL__N_18offset_tEEE10hipError_tPvRmT1_PNSt15iterator_traitsISK_E10value_typeET2_T3_PNSL_ISQ_E10value_typeET4_jRbjT5_SW_jjP12ihipStream_tbEUlT_E2_NS1_11comp_targetILNS1_3genE10ELNS1_11target_archE1200ELNS1_3gpuE4ELNS1_3repE0EEENS1_30default_config_static_selectorELNS0_4arch9wavefront6targetE1EEEvSK_ ; -- Begin function _ZN7rocprim17ROCPRIM_400000_NS6detail17trampoline_kernelINS0_14default_configENS1_36segmented_radix_sort_config_selectorIblEEZNS1_25segmented_radix_sort_implIS3_Lb1EPKbPbPKlPlN2at6native12_GLOBAL__N_18offset_tEEE10hipError_tPvRmT1_PNSt15iterator_traitsISK_E10value_typeET2_T3_PNSL_ISQ_E10value_typeET4_jRbjT5_SW_jjP12ihipStream_tbEUlT_E2_NS1_11comp_targetILNS1_3genE10ELNS1_11target_archE1200ELNS1_3gpuE4ELNS1_3repE0EEENS1_30default_config_static_selectorELNS0_4arch9wavefront6targetE1EEEvSK_
	.p2align	8
	.type	_ZN7rocprim17ROCPRIM_400000_NS6detail17trampoline_kernelINS0_14default_configENS1_36segmented_radix_sort_config_selectorIblEEZNS1_25segmented_radix_sort_implIS3_Lb1EPKbPbPKlPlN2at6native12_GLOBAL__N_18offset_tEEE10hipError_tPvRmT1_PNSt15iterator_traitsISK_E10value_typeET2_T3_PNSL_ISQ_E10value_typeET4_jRbjT5_SW_jjP12ihipStream_tbEUlT_E2_NS1_11comp_targetILNS1_3genE10ELNS1_11target_archE1200ELNS1_3gpuE4ELNS1_3repE0EEENS1_30default_config_static_selectorELNS0_4arch9wavefront6targetE1EEEvSK_,@function
_ZN7rocprim17ROCPRIM_400000_NS6detail17trampoline_kernelINS0_14default_configENS1_36segmented_radix_sort_config_selectorIblEEZNS1_25segmented_radix_sort_implIS3_Lb1EPKbPbPKlPlN2at6native12_GLOBAL__N_18offset_tEEE10hipError_tPvRmT1_PNSt15iterator_traitsISK_E10value_typeET2_T3_PNSL_ISQ_E10value_typeET4_jRbjT5_SW_jjP12ihipStream_tbEUlT_E2_NS1_11comp_targetILNS1_3genE10ELNS1_11target_archE1200ELNS1_3gpuE4ELNS1_3repE0EEENS1_30default_config_static_selectorELNS0_4arch9wavefront6targetE1EEEvSK_: ; @_ZN7rocprim17ROCPRIM_400000_NS6detail17trampoline_kernelINS0_14default_configENS1_36segmented_radix_sort_config_selectorIblEEZNS1_25segmented_radix_sort_implIS3_Lb1EPKbPbPKlPlN2at6native12_GLOBAL__N_18offset_tEEE10hipError_tPvRmT1_PNSt15iterator_traitsISK_E10value_typeET2_T3_PNSL_ISQ_E10value_typeET4_jRbjT5_SW_jjP12ihipStream_tbEUlT_E2_NS1_11comp_targetILNS1_3genE10ELNS1_11target_archE1200ELNS1_3gpuE4ELNS1_3repE0EEENS1_30default_config_static_selectorELNS0_4arch9wavefront6targetE1EEEvSK_
; %bb.0:
	.section	.rodata,"a",@progbits
	.p2align	6, 0x0
	.amdhsa_kernel _ZN7rocprim17ROCPRIM_400000_NS6detail17trampoline_kernelINS0_14default_configENS1_36segmented_radix_sort_config_selectorIblEEZNS1_25segmented_radix_sort_implIS3_Lb1EPKbPbPKlPlN2at6native12_GLOBAL__N_18offset_tEEE10hipError_tPvRmT1_PNSt15iterator_traitsISK_E10value_typeET2_T3_PNSL_ISQ_E10value_typeET4_jRbjT5_SW_jjP12ihipStream_tbEUlT_E2_NS1_11comp_targetILNS1_3genE10ELNS1_11target_archE1200ELNS1_3gpuE4ELNS1_3repE0EEENS1_30default_config_static_selectorELNS0_4arch9wavefront6targetE1EEEvSK_
		.amdhsa_group_segment_fixed_size 0
		.amdhsa_private_segment_fixed_size 0
		.amdhsa_kernarg_size 80
		.amdhsa_user_sgpr_count 6
		.amdhsa_user_sgpr_private_segment_buffer 1
		.amdhsa_user_sgpr_dispatch_ptr 0
		.amdhsa_user_sgpr_queue_ptr 0
		.amdhsa_user_sgpr_kernarg_segment_ptr 1
		.amdhsa_user_sgpr_dispatch_id 0
		.amdhsa_user_sgpr_flat_scratch_init 0
		.amdhsa_user_sgpr_kernarg_preload_length 0
		.amdhsa_user_sgpr_kernarg_preload_offset 0
		.amdhsa_user_sgpr_private_segment_size 0
		.amdhsa_uses_dynamic_stack 0
		.amdhsa_system_sgpr_private_segment_wavefront_offset 0
		.amdhsa_system_sgpr_workgroup_id_x 1
		.amdhsa_system_sgpr_workgroup_id_y 0
		.amdhsa_system_sgpr_workgroup_id_z 0
		.amdhsa_system_sgpr_workgroup_info 0
		.amdhsa_system_vgpr_workitem_id 0
		.amdhsa_next_free_vgpr 1
		.amdhsa_next_free_sgpr 0
		.amdhsa_accum_offset 4
		.amdhsa_reserve_vcc 0
		.amdhsa_reserve_flat_scratch 0
		.amdhsa_float_round_mode_32 0
		.amdhsa_float_round_mode_16_64 0
		.amdhsa_float_denorm_mode_32 3
		.amdhsa_float_denorm_mode_16_64 3
		.amdhsa_dx10_clamp 1
		.amdhsa_ieee_mode 1
		.amdhsa_fp16_overflow 0
		.amdhsa_tg_split 0
		.amdhsa_exception_fp_ieee_invalid_op 0
		.amdhsa_exception_fp_denorm_src 0
		.amdhsa_exception_fp_ieee_div_zero 0
		.amdhsa_exception_fp_ieee_overflow 0
		.amdhsa_exception_fp_ieee_underflow 0
		.amdhsa_exception_fp_ieee_inexact 0
		.amdhsa_exception_int_div_zero 0
	.end_amdhsa_kernel
	.section	.text._ZN7rocprim17ROCPRIM_400000_NS6detail17trampoline_kernelINS0_14default_configENS1_36segmented_radix_sort_config_selectorIblEEZNS1_25segmented_radix_sort_implIS3_Lb1EPKbPbPKlPlN2at6native12_GLOBAL__N_18offset_tEEE10hipError_tPvRmT1_PNSt15iterator_traitsISK_E10value_typeET2_T3_PNSL_ISQ_E10value_typeET4_jRbjT5_SW_jjP12ihipStream_tbEUlT_E2_NS1_11comp_targetILNS1_3genE10ELNS1_11target_archE1200ELNS1_3gpuE4ELNS1_3repE0EEENS1_30default_config_static_selectorELNS0_4arch9wavefront6targetE1EEEvSK_,"axG",@progbits,_ZN7rocprim17ROCPRIM_400000_NS6detail17trampoline_kernelINS0_14default_configENS1_36segmented_radix_sort_config_selectorIblEEZNS1_25segmented_radix_sort_implIS3_Lb1EPKbPbPKlPlN2at6native12_GLOBAL__N_18offset_tEEE10hipError_tPvRmT1_PNSt15iterator_traitsISK_E10value_typeET2_T3_PNSL_ISQ_E10value_typeET4_jRbjT5_SW_jjP12ihipStream_tbEUlT_E2_NS1_11comp_targetILNS1_3genE10ELNS1_11target_archE1200ELNS1_3gpuE4ELNS1_3repE0EEENS1_30default_config_static_selectorELNS0_4arch9wavefront6targetE1EEEvSK_,comdat
.Lfunc_end1566:
	.size	_ZN7rocprim17ROCPRIM_400000_NS6detail17trampoline_kernelINS0_14default_configENS1_36segmented_radix_sort_config_selectorIblEEZNS1_25segmented_radix_sort_implIS3_Lb1EPKbPbPKlPlN2at6native12_GLOBAL__N_18offset_tEEE10hipError_tPvRmT1_PNSt15iterator_traitsISK_E10value_typeET2_T3_PNSL_ISQ_E10value_typeET4_jRbjT5_SW_jjP12ihipStream_tbEUlT_E2_NS1_11comp_targetILNS1_3genE10ELNS1_11target_archE1200ELNS1_3gpuE4ELNS1_3repE0EEENS1_30default_config_static_selectorELNS0_4arch9wavefront6targetE1EEEvSK_, .Lfunc_end1566-_ZN7rocprim17ROCPRIM_400000_NS6detail17trampoline_kernelINS0_14default_configENS1_36segmented_radix_sort_config_selectorIblEEZNS1_25segmented_radix_sort_implIS3_Lb1EPKbPbPKlPlN2at6native12_GLOBAL__N_18offset_tEEE10hipError_tPvRmT1_PNSt15iterator_traitsISK_E10value_typeET2_T3_PNSL_ISQ_E10value_typeET4_jRbjT5_SW_jjP12ihipStream_tbEUlT_E2_NS1_11comp_targetILNS1_3genE10ELNS1_11target_archE1200ELNS1_3gpuE4ELNS1_3repE0EEENS1_30default_config_static_selectorELNS0_4arch9wavefront6targetE1EEEvSK_
                                        ; -- End function
	.section	.AMDGPU.csdata,"",@progbits
; Kernel info:
; codeLenInByte = 0
; NumSgprs: 4
; NumVgprs: 0
; NumAgprs: 0
; TotalNumVgprs: 0
; ScratchSize: 0
; MemoryBound: 0
; FloatMode: 240
; IeeeMode: 1
; LDSByteSize: 0 bytes/workgroup (compile time only)
; SGPRBlocks: 0
; VGPRBlocks: 0
; NumSGPRsForWavesPerEU: 4
; NumVGPRsForWavesPerEU: 1
; AccumOffset: 4
; Occupancy: 8
; WaveLimiterHint : 0
; COMPUTE_PGM_RSRC2:SCRATCH_EN: 0
; COMPUTE_PGM_RSRC2:USER_SGPR: 6
; COMPUTE_PGM_RSRC2:TRAP_HANDLER: 0
; COMPUTE_PGM_RSRC2:TGID_X_EN: 1
; COMPUTE_PGM_RSRC2:TGID_Y_EN: 0
; COMPUTE_PGM_RSRC2:TGID_Z_EN: 0
; COMPUTE_PGM_RSRC2:TIDIG_COMP_CNT: 0
; COMPUTE_PGM_RSRC3_GFX90A:ACCUM_OFFSET: 0
; COMPUTE_PGM_RSRC3_GFX90A:TG_SPLIT: 0
	.section	.text._ZN7rocprim17ROCPRIM_400000_NS6detail17trampoline_kernelINS0_14default_configENS1_36segmented_radix_sort_config_selectorIblEEZNS1_25segmented_radix_sort_implIS3_Lb1EPKbPbPKlPlN2at6native12_GLOBAL__N_18offset_tEEE10hipError_tPvRmT1_PNSt15iterator_traitsISK_E10value_typeET2_T3_PNSL_ISQ_E10value_typeET4_jRbjT5_SW_jjP12ihipStream_tbEUlT_E2_NS1_11comp_targetILNS1_3genE9ELNS1_11target_archE1100ELNS1_3gpuE3ELNS1_3repE0EEENS1_30default_config_static_selectorELNS0_4arch9wavefront6targetE1EEEvSK_,"axG",@progbits,_ZN7rocprim17ROCPRIM_400000_NS6detail17trampoline_kernelINS0_14default_configENS1_36segmented_radix_sort_config_selectorIblEEZNS1_25segmented_radix_sort_implIS3_Lb1EPKbPbPKlPlN2at6native12_GLOBAL__N_18offset_tEEE10hipError_tPvRmT1_PNSt15iterator_traitsISK_E10value_typeET2_T3_PNSL_ISQ_E10value_typeET4_jRbjT5_SW_jjP12ihipStream_tbEUlT_E2_NS1_11comp_targetILNS1_3genE9ELNS1_11target_archE1100ELNS1_3gpuE3ELNS1_3repE0EEENS1_30default_config_static_selectorELNS0_4arch9wavefront6targetE1EEEvSK_,comdat
	.globl	_ZN7rocprim17ROCPRIM_400000_NS6detail17trampoline_kernelINS0_14default_configENS1_36segmented_radix_sort_config_selectorIblEEZNS1_25segmented_radix_sort_implIS3_Lb1EPKbPbPKlPlN2at6native12_GLOBAL__N_18offset_tEEE10hipError_tPvRmT1_PNSt15iterator_traitsISK_E10value_typeET2_T3_PNSL_ISQ_E10value_typeET4_jRbjT5_SW_jjP12ihipStream_tbEUlT_E2_NS1_11comp_targetILNS1_3genE9ELNS1_11target_archE1100ELNS1_3gpuE3ELNS1_3repE0EEENS1_30default_config_static_selectorELNS0_4arch9wavefront6targetE1EEEvSK_ ; -- Begin function _ZN7rocprim17ROCPRIM_400000_NS6detail17trampoline_kernelINS0_14default_configENS1_36segmented_radix_sort_config_selectorIblEEZNS1_25segmented_radix_sort_implIS3_Lb1EPKbPbPKlPlN2at6native12_GLOBAL__N_18offset_tEEE10hipError_tPvRmT1_PNSt15iterator_traitsISK_E10value_typeET2_T3_PNSL_ISQ_E10value_typeET4_jRbjT5_SW_jjP12ihipStream_tbEUlT_E2_NS1_11comp_targetILNS1_3genE9ELNS1_11target_archE1100ELNS1_3gpuE3ELNS1_3repE0EEENS1_30default_config_static_selectorELNS0_4arch9wavefront6targetE1EEEvSK_
	.p2align	8
	.type	_ZN7rocprim17ROCPRIM_400000_NS6detail17trampoline_kernelINS0_14default_configENS1_36segmented_radix_sort_config_selectorIblEEZNS1_25segmented_radix_sort_implIS3_Lb1EPKbPbPKlPlN2at6native12_GLOBAL__N_18offset_tEEE10hipError_tPvRmT1_PNSt15iterator_traitsISK_E10value_typeET2_T3_PNSL_ISQ_E10value_typeET4_jRbjT5_SW_jjP12ihipStream_tbEUlT_E2_NS1_11comp_targetILNS1_3genE9ELNS1_11target_archE1100ELNS1_3gpuE3ELNS1_3repE0EEENS1_30default_config_static_selectorELNS0_4arch9wavefront6targetE1EEEvSK_,@function
_ZN7rocprim17ROCPRIM_400000_NS6detail17trampoline_kernelINS0_14default_configENS1_36segmented_radix_sort_config_selectorIblEEZNS1_25segmented_radix_sort_implIS3_Lb1EPKbPbPKlPlN2at6native12_GLOBAL__N_18offset_tEEE10hipError_tPvRmT1_PNSt15iterator_traitsISK_E10value_typeET2_T3_PNSL_ISQ_E10value_typeET4_jRbjT5_SW_jjP12ihipStream_tbEUlT_E2_NS1_11comp_targetILNS1_3genE9ELNS1_11target_archE1100ELNS1_3gpuE3ELNS1_3repE0EEENS1_30default_config_static_selectorELNS0_4arch9wavefront6targetE1EEEvSK_: ; @_ZN7rocprim17ROCPRIM_400000_NS6detail17trampoline_kernelINS0_14default_configENS1_36segmented_radix_sort_config_selectorIblEEZNS1_25segmented_radix_sort_implIS3_Lb1EPKbPbPKlPlN2at6native12_GLOBAL__N_18offset_tEEE10hipError_tPvRmT1_PNSt15iterator_traitsISK_E10value_typeET2_T3_PNSL_ISQ_E10value_typeET4_jRbjT5_SW_jjP12ihipStream_tbEUlT_E2_NS1_11comp_targetILNS1_3genE9ELNS1_11target_archE1100ELNS1_3gpuE3ELNS1_3repE0EEENS1_30default_config_static_selectorELNS0_4arch9wavefront6targetE1EEEvSK_
; %bb.0:
	.section	.rodata,"a",@progbits
	.p2align	6, 0x0
	.amdhsa_kernel _ZN7rocprim17ROCPRIM_400000_NS6detail17trampoline_kernelINS0_14default_configENS1_36segmented_radix_sort_config_selectorIblEEZNS1_25segmented_radix_sort_implIS3_Lb1EPKbPbPKlPlN2at6native12_GLOBAL__N_18offset_tEEE10hipError_tPvRmT1_PNSt15iterator_traitsISK_E10value_typeET2_T3_PNSL_ISQ_E10value_typeET4_jRbjT5_SW_jjP12ihipStream_tbEUlT_E2_NS1_11comp_targetILNS1_3genE9ELNS1_11target_archE1100ELNS1_3gpuE3ELNS1_3repE0EEENS1_30default_config_static_selectorELNS0_4arch9wavefront6targetE1EEEvSK_
		.amdhsa_group_segment_fixed_size 0
		.amdhsa_private_segment_fixed_size 0
		.amdhsa_kernarg_size 80
		.amdhsa_user_sgpr_count 6
		.amdhsa_user_sgpr_private_segment_buffer 1
		.amdhsa_user_sgpr_dispatch_ptr 0
		.amdhsa_user_sgpr_queue_ptr 0
		.amdhsa_user_sgpr_kernarg_segment_ptr 1
		.amdhsa_user_sgpr_dispatch_id 0
		.amdhsa_user_sgpr_flat_scratch_init 0
		.amdhsa_user_sgpr_kernarg_preload_length 0
		.amdhsa_user_sgpr_kernarg_preload_offset 0
		.amdhsa_user_sgpr_private_segment_size 0
		.amdhsa_uses_dynamic_stack 0
		.amdhsa_system_sgpr_private_segment_wavefront_offset 0
		.amdhsa_system_sgpr_workgroup_id_x 1
		.amdhsa_system_sgpr_workgroup_id_y 0
		.amdhsa_system_sgpr_workgroup_id_z 0
		.amdhsa_system_sgpr_workgroup_info 0
		.amdhsa_system_vgpr_workitem_id 0
		.amdhsa_next_free_vgpr 1
		.amdhsa_next_free_sgpr 0
		.amdhsa_accum_offset 4
		.amdhsa_reserve_vcc 0
		.amdhsa_reserve_flat_scratch 0
		.amdhsa_float_round_mode_32 0
		.amdhsa_float_round_mode_16_64 0
		.amdhsa_float_denorm_mode_32 3
		.amdhsa_float_denorm_mode_16_64 3
		.amdhsa_dx10_clamp 1
		.amdhsa_ieee_mode 1
		.amdhsa_fp16_overflow 0
		.amdhsa_tg_split 0
		.amdhsa_exception_fp_ieee_invalid_op 0
		.amdhsa_exception_fp_denorm_src 0
		.amdhsa_exception_fp_ieee_div_zero 0
		.amdhsa_exception_fp_ieee_overflow 0
		.amdhsa_exception_fp_ieee_underflow 0
		.amdhsa_exception_fp_ieee_inexact 0
		.amdhsa_exception_int_div_zero 0
	.end_amdhsa_kernel
	.section	.text._ZN7rocprim17ROCPRIM_400000_NS6detail17trampoline_kernelINS0_14default_configENS1_36segmented_radix_sort_config_selectorIblEEZNS1_25segmented_radix_sort_implIS3_Lb1EPKbPbPKlPlN2at6native12_GLOBAL__N_18offset_tEEE10hipError_tPvRmT1_PNSt15iterator_traitsISK_E10value_typeET2_T3_PNSL_ISQ_E10value_typeET4_jRbjT5_SW_jjP12ihipStream_tbEUlT_E2_NS1_11comp_targetILNS1_3genE9ELNS1_11target_archE1100ELNS1_3gpuE3ELNS1_3repE0EEENS1_30default_config_static_selectorELNS0_4arch9wavefront6targetE1EEEvSK_,"axG",@progbits,_ZN7rocprim17ROCPRIM_400000_NS6detail17trampoline_kernelINS0_14default_configENS1_36segmented_radix_sort_config_selectorIblEEZNS1_25segmented_radix_sort_implIS3_Lb1EPKbPbPKlPlN2at6native12_GLOBAL__N_18offset_tEEE10hipError_tPvRmT1_PNSt15iterator_traitsISK_E10value_typeET2_T3_PNSL_ISQ_E10value_typeET4_jRbjT5_SW_jjP12ihipStream_tbEUlT_E2_NS1_11comp_targetILNS1_3genE9ELNS1_11target_archE1100ELNS1_3gpuE3ELNS1_3repE0EEENS1_30default_config_static_selectorELNS0_4arch9wavefront6targetE1EEEvSK_,comdat
.Lfunc_end1567:
	.size	_ZN7rocprim17ROCPRIM_400000_NS6detail17trampoline_kernelINS0_14default_configENS1_36segmented_radix_sort_config_selectorIblEEZNS1_25segmented_radix_sort_implIS3_Lb1EPKbPbPKlPlN2at6native12_GLOBAL__N_18offset_tEEE10hipError_tPvRmT1_PNSt15iterator_traitsISK_E10value_typeET2_T3_PNSL_ISQ_E10value_typeET4_jRbjT5_SW_jjP12ihipStream_tbEUlT_E2_NS1_11comp_targetILNS1_3genE9ELNS1_11target_archE1100ELNS1_3gpuE3ELNS1_3repE0EEENS1_30default_config_static_selectorELNS0_4arch9wavefront6targetE1EEEvSK_, .Lfunc_end1567-_ZN7rocprim17ROCPRIM_400000_NS6detail17trampoline_kernelINS0_14default_configENS1_36segmented_radix_sort_config_selectorIblEEZNS1_25segmented_radix_sort_implIS3_Lb1EPKbPbPKlPlN2at6native12_GLOBAL__N_18offset_tEEE10hipError_tPvRmT1_PNSt15iterator_traitsISK_E10value_typeET2_T3_PNSL_ISQ_E10value_typeET4_jRbjT5_SW_jjP12ihipStream_tbEUlT_E2_NS1_11comp_targetILNS1_3genE9ELNS1_11target_archE1100ELNS1_3gpuE3ELNS1_3repE0EEENS1_30default_config_static_selectorELNS0_4arch9wavefront6targetE1EEEvSK_
                                        ; -- End function
	.section	.AMDGPU.csdata,"",@progbits
; Kernel info:
; codeLenInByte = 0
; NumSgprs: 4
; NumVgprs: 0
; NumAgprs: 0
; TotalNumVgprs: 0
; ScratchSize: 0
; MemoryBound: 0
; FloatMode: 240
; IeeeMode: 1
; LDSByteSize: 0 bytes/workgroup (compile time only)
; SGPRBlocks: 0
; VGPRBlocks: 0
; NumSGPRsForWavesPerEU: 4
; NumVGPRsForWavesPerEU: 1
; AccumOffset: 4
; Occupancy: 8
; WaveLimiterHint : 0
; COMPUTE_PGM_RSRC2:SCRATCH_EN: 0
; COMPUTE_PGM_RSRC2:USER_SGPR: 6
; COMPUTE_PGM_RSRC2:TRAP_HANDLER: 0
; COMPUTE_PGM_RSRC2:TGID_X_EN: 1
; COMPUTE_PGM_RSRC2:TGID_Y_EN: 0
; COMPUTE_PGM_RSRC2:TGID_Z_EN: 0
; COMPUTE_PGM_RSRC2:TIDIG_COMP_CNT: 0
; COMPUTE_PGM_RSRC3_GFX90A:ACCUM_OFFSET: 0
; COMPUTE_PGM_RSRC3_GFX90A:TG_SPLIT: 0
	.section	.text._ZN7rocprim17ROCPRIM_400000_NS6detail17trampoline_kernelINS0_14default_configENS1_36segmented_radix_sort_config_selectorIblEEZNS1_25segmented_radix_sort_implIS3_Lb1EPKbPbPKlPlN2at6native12_GLOBAL__N_18offset_tEEE10hipError_tPvRmT1_PNSt15iterator_traitsISK_E10value_typeET2_T3_PNSL_ISQ_E10value_typeET4_jRbjT5_SW_jjP12ihipStream_tbEUlT_E2_NS1_11comp_targetILNS1_3genE8ELNS1_11target_archE1030ELNS1_3gpuE2ELNS1_3repE0EEENS1_30default_config_static_selectorELNS0_4arch9wavefront6targetE1EEEvSK_,"axG",@progbits,_ZN7rocprim17ROCPRIM_400000_NS6detail17trampoline_kernelINS0_14default_configENS1_36segmented_radix_sort_config_selectorIblEEZNS1_25segmented_radix_sort_implIS3_Lb1EPKbPbPKlPlN2at6native12_GLOBAL__N_18offset_tEEE10hipError_tPvRmT1_PNSt15iterator_traitsISK_E10value_typeET2_T3_PNSL_ISQ_E10value_typeET4_jRbjT5_SW_jjP12ihipStream_tbEUlT_E2_NS1_11comp_targetILNS1_3genE8ELNS1_11target_archE1030ELNS1_3gpuE2ELNS1_3repE0EEENS1_30default_config_static_selectorELNS0_4arch9wavefront6targetE1EEEvSK_,comdat
	.globl	_ZN7rocprim17ROCPRIM_400000_NS6detail17trampoline_kernelINS0_14default_configENS1_36segmented_radix_sort_config_selectorIblEEZNS1_25segmented_radix_sort_implIS3_Lb1EPKbPbPKlPlN2at6native12_GLOBAL__N_18offset_tEEE10hipError_tPvRmT1_PNSt15iterator_traitsISK_E10value_typeET2_T3_PNSL_ISQ_E10value_typeET4_jRbjT5_SW_jjP12ihipStream_tbEUlT_E2_NS1_11comp_targetILNS1_3genE8ELNS1_11target_archE1030ELNS1_3gpuE2ELNS1_3repE0EEENS1_30default_config_static_selectorELNS0_4arch9wavefront6targetE1EEEvSK_ ; -- Begin function _ZN7rocprim17ROCPRIM_400000_NS6detail17trampoline_kernelINS0_14default_configENS1_36segmented_radix_sort_config_selectorIblEEZNS1_25segmented_radix_sort_implIS3_Lb1EPKbPbPKlPlN2at6native12_GLOBAL__N_18offset_tEEE10hipError_tPvRmT1_PNSt15iterator_traitsISK_E10value_typeET2_T3_PNSL_ISQ_E10value_typeET4_jRbjT5_SW_jjP12ihipStream_tbEUlT_E2_NS1_11comp_targetILNS1_3genE8ELNS1_11target_archE1030ELNS1_3gpuE2ELNS1_3repE0EEENS1_30default_config_static_selectorELNS0_4arch9wavefront6targetE1EEEvSK_
	.p2align	8
	.type	_ZN7rocprim17ROCPRIM_400000_NS6detail17trampoline_kernelINS0_14default_configENS1_36segmented_radix_sort_config_selectorIblEEZNS1_25segmented_radix_sort_implIS3_Lb1EPKbPbPKlPlN2at6native12_GLOBAL__N_18offset_tEEE10hipError_tPvRmT1_PNSt15iterator_traitsISK_E10value_typeET2_T3_PNSL_ISQ_E10value_typeET4_jRbjT5_SW_jjP12ihipStream_tbEUlT_E2_NS1_11comp_targetILNS1_3genE8ELNS1_11target_archE1030ELNS1_3gpuE2ELNS1_3repE0EEENS1_30default_config_static_selectorELNS0_4arch9wavefront6targetE1EEEvSK_,@function
_ZN7rocprim17ROCPRIM_400000_NS6detail17trampoline_kernelINS0_14default_configENS1_36segmented_radix_sort_config_selectorIblEEZNS1_25segmented_radix_sort_implIS3_Lb1EPKbPbPKlPlN2at6native12_GLOBAL__N_18offset_tEEE10hipError_tPvRmT1_PNSt15iterator_traitsISK_E10value_typeET2_T3_PNSL_ISQ_E10value_typeET4_jRbjT5_SW_jjP12ihipStream_tbEUlT_E2_NS1_11comp_targetILNS1_3genE8ELNS1_11target_archE1030ELNS1_3gpuE2ELNS1_3repE0EEENS1_30default_config_static_selectorELNS0_4arch9wavefront6targetE1EEEvSK_: ; @_ZN7rocprim17ROCPRIM_400000_NS6detail17trampoline_kernelINS0_14default_configENS1_36segmented_radix_sort_config_selectorIblEEZNS1_25segmented_radix_sort_implIS3_Lb1EPKbPbPKlPlN2at6native12_GLOBAL__N_18offset_tEEE10hipError_tPvRmT1_PNSt15iterator_traitsISK_E10value_typeET2_T3_PNSL_ISQ_E10value_typeET4_jRbjT5_SW_jjP12ihipStream_tbEUlT_E2_NS1_11comp_targetILNS1_3genE8ELNS1_11target_archE1030ELNS1_3gpuE2ELNS1_3repE0EEENS1_30default_config_static_selectorELNS0_4arch9wavefront6targetE1EEEvSK_
; %bb.0:
	.section	.rodata,"a",@progbits
	.p2align	6, 0x0
	.amdhsa_kernel _ZN7rocprim17ROCPRIM_400000_NS6detail17trampoline_kernelINS0_14default_configENS1_36segmented_radix_sort_config_selectorIblEEZNS1_25segmented_radix_sort_implIS3_Lb1EPKbPbPKlPlN2at6native12_GLOBAL__N_18offset_tEEE10hipError_tPvRmT1_PNSt15iterator_traitsISK_E10value_typeET2_T3_PNSL_ISQ_E10value_typeET4_jRbjT5_SW_jjP12ihipStream_tbEUlT_E2_NS1_11comp_targetILNS1_3genE8ELNS1_11target_archE1030ELNS1_3gpuE2ELNS1_3repE0EEENS1_30default_config_static_selectorELNS0_4arch9wavefront6targetE1EEEvSK_
		.amdhsa_group_segment_fixed_size 0
		.amdhsa_private_segment_fixed_size 0
		.amdhsa_kernarg_size 80
		.amdhsa_user_sgpr_count 6
		.amdhsa_user_sgpr_private_segment_buffer 1
		.amdhsa_user_sgpr_dispatch_ptr 0
		.amdhsa_user_sgpr_queue_ptr 0
		.amdhsa_user_sgpr_kernarg_segment_ptr 1
		.amdhsa_user_sgpr_dispatch_id 0
		.amdhsa_user_sgpr_flat_scratch_init 0
		.amdhsa_user_sgpr_kernarg_preload_length 0
		.amdhsa_user_sgpr_kernarg_preload_offset 0
		.amdhsa_user_sgpr_private_segment_size 0
		.amdhsa_uses_dynamic_stack 0
		.amdhsa_system_sgpr_private_segment_wavefront_offset 0
		.amdhsa_system_sgpr_workgroup_id_x 1
		.amdhsa_system_sgpr_workgroup_id_y 0
		.amdhsa_system_sgpr_workgroup_id_z 0
		.amdhsa_system_sgpr_workgroup_info 0
		.amdhsa_system_vgpr_workitem_id 0
		.amdhsa_next_free_vgpr 1
		.amdhsa_next_free_sgpr 0
		.amdhsa_accum_offset 4
		.amdhsa_reserve_vcc 0
		.amdhsa_reserve_flat_scratch 0
		.amdhsa_float_round_mode_32 0
		.amdhsa_float_round_mode_16_64 0
		.amdhsa_float_denorm_mode_32 3
		.amdhsa_float_denorm_mode_16_64 3
		.amdhsa_dx10_clamp 1
		.amdhsa_ieee_mode 1
		.amdhsa_fp16_overflow 0
		.amdhsa_tg_split 0
		.amdhsa_exception_fp_ieee_invalid_op 0
		.amdhsa_exception_fp_denorm_src 0
		.amdhsa_exception_fp_ieee_div_zero 0
		.amdhsa_exception_fp_ieee_overflow 0
		.amdhsa_exception_fp_ieee_underflow 0
		.amdhsa_exception_fp_ieee_inexact 0
		.amdhsa_exception_int_div_zero 0
	.end_amdhsa_kernel
	.section	.text._ZN7rocprim17ROCPRIM_400000_NS6detail17trampoline_kernelINS0_14default_configENS1_36segmented_radix_sort_config_selectorIblEEZNS1_25segmented_radix_sort_implIS3_Lb1EPKbPbPKlPlN2at6native12_GLOBAL__N_18offset_tEEE10hipError_tPvRmT1_PNSt15iterator_traitsISK_E10value_typeET2_T3_PNSL_ISQ_E10value_typeET4_jRbjT5_SW_jjP12ihipStream_tbEUlT_E2_NS1_11comp_targetILNS1_3genE8ELNS1_11target_archE1030ELNS1_3gpuE2ELNS1_3repE0EEENS1_30default_config_static_selectorELNS0_4arch9wavefront6targetE1EEEvSK_,"axG",@progbits,_ZN7rocprim17ROCPRIM_400000_NS6detail17trampoline_kernelINS0_14default_configENS1_36segmented_radix_sort_config_selectorIblEEZNS1_25segmented_radix_sort_implIS3_Lb1EPKbPbPKlPlN2at6native12_GLOBAL__N_18offset_tEEE10hipError_tPvRmT1_PNSt15iterator_traitsISK_E10value_typeET2_T3_PNSL_ISQ_E10value_typeET4_jRbjT5_SW_jjP12ihipStream_tbEUlT_E2_NS1_11comp_targetILNS1_3genE8ELNS1_11target_archE1030ELNS1_3gpuE2ELNS1_3repE0EEENS1_30default_config_static_selectorELNS0_4arch9wavefront6targetE1EEEvSK_,comdat
.Lfunc_end1568:
	.size	_ZN7rocprim17ROCPRIM_400000_NS6detail17trampoline_kernelINS0_14default_configENS1_36segmented_radix_sort_config_selectorIblEEZNS1_25segmented_radix_sort_implIS3_Lb1EPKbPbPKlPlN2at6native12_GLOBAL__N_18offset_tEEE10hipError_tPvRmT1_PNSt15iterator_traitsISK_E10value_typeET2_T3_PNSL_ISQ_E10value_typeET4_jRbjT5_SW_jjP12ihipStream_tbEUlT_E2_NS1_11comp_targetILNS1_3genE8ELNS1_11target_archE1030ELNS1_3gpuE2ELNS1_3repE0EEENS1_30default_config_static_selectorELNS0_4arch9wavefront6targetE1EEEvSK_, .Lfunc_end1568-_ZN7rocprim17ROCPRIM_400000_NS6detail17trampoline_kernelINS0_14default_configENS1_36segmented_radix_sort_config_selectorIblEEZNS1_25segmented_radix_sort_implIS3_Lb1EPKbPbPKlPlN2at6native12_GLOBAL__N_18offset_tEEE10hipError_tPvRmT1_PNSt15iterator_traitsISK_E10value_typeET2_T3_PNSL_ISQ_E10value_typeET4_jRbjT5_SW_jjP12ihipStream_tbEUlT_E2_NS1_11comp_targetILNS1_3genE8ELNS1_11target_archE1030ELNS1_3gpuE2ELNS1_3repE0EEENS1_30default_config_static_selectorELNS0_4arch9wavefront6targetE1EEEvSK_
                                        ; -- End function
	.section	.AMDGPU.csdata,"",@progbits
; Kernel info:
; codeLenInByte = 0
; NumSgprs: 4
; NumVgprs: 0
; NumAgprs: 0
; TotalNumVgprs: 0
; ScratchSize: 0
; MemoryBound: 0
; FloatMode: 240
; IeeeMode: 1
; LDSByteSize: 0 bytes/workgroup (compile time only)
; SGPRBlocks: 0
; VGPRBlocks: 0
; NumSGPRsForWavesPerEU: 4
; NumVGPRsForWavesPerEU: 1
; AccumOffset: 4
; Occupancy: 8
; WaveLimiterHint : 0
; COMPUTE_PGM_RSRC2:SCRATCH_EN: 0
; COMPUTE_PGM_RSRC2:USER_SGPR: 6
; COMPUTE_PGM_RSRC2:TRAP_HANDLER: 0
; COMPUTE_PGM_RSRC2:TGID_X_EN: 1
; COMPUTE_PGM_RSRC2:TGID_Y_EN: 0
; COMPUTE_PGM_RSRC2:TGID_Z_EN: 0
; COMPUTE_PGM_RSRC2:TIDIG_COMP_CNT: 0
; COMPUTE_PGM_RSRC3_GFX90A:ACCUM_OFFSET: 0
; COMPUTE_PGM_RSRC3_GFX90A:TG_SPLIT: 0
	.section	.text._ZN7rocprim17ROCPRIM_400000_NS6detail17trampoline_kernelINS0_13select_configILj256ELj13ELNS0_17block_load_methodE3ELS4_3ELS4_3ELNS0_20block_scan_algorithmE0ELj4294967295EEENS1_25partition_config_selectorILNS1_17partition_subalgoE4EjNS0_10empty_typeEbEEZZNS1_14partition_implILS8_4ELb0ES6_15HIP_vector_typeIjLj2EENS0_17counting_iteratorIjlEEPS9_SG_NS0_5tupleIJPjSI_NS0_16reverse_iteratorISI_EEEEENSH_IJSG_SG_SG_EEES9_SI_JZNS1_25segmented_radix_sort_implINS0_14default_configELb0EPKbPbPKlPlN2at6native12_GLOBAL__N_18offset_tEEE10hipError_tPvRmT1_PNSt15iterator_traitsIS12_E10value_typeET2_T3_PNS13_IS18_E10value_typeET4_jRbjT5_S1E_jjP12ihipStream_tbEUljE_ZNSN_ISO_Lb0ESQ_SR_ST_SU_SY_EESZ_S10_S11_S12_S16_S17_S18_S1B_S1C_jS1D_jS1E_S1E_jjS1G_bEUljE0_EEESZ_S10_S11_S18_S1C_S1E_T6_T7_T9_mT8_S1G_bDpT10_ENKUlT_T0_E_clISt17integral_constantIbLb0EES1U_EEDaS1P_S1Q_EUlS1P_E_NS1_11comp_targetILNS1_3genE0ELNS1_11target_archE4294967295ELNS1_3gpuE0ELNS1_3repE0EEENS1_30default_config_static_selectorELNS0_4arch9wavefront6targetE1EEEvS12_,"axG",@progbits,_ZN7rocprim17ROCPRIM_400000_NS6detail17trampoline_kernelINS0_13select_configILj256ELj13ELNS0_17block_load_methodE3ELS4_3ELS4_3ELNS0_20block_scan_algorithmE0ELj4294967295EEENS1_25partition_config_selectorILNS1_17partition_subalgoE4EjNS0_10empty_typeEbEEZZNS1_14partition_implILS8_4ELb0ES6_15HIP_vector_typeIjLj2EENS0_17counting_iteratorIjlEEPS9_SG_NS0_5tupleIJPjSI_NS0_16reverse_iteratorISI_EEEEENSH_IJSG_SG_SG_EEES9_SI_JZNS1_25segmented_radix_sort_implINS0_14default_configELb0EPKbPbPKlPlN2at6native12_GLOBAL__N_18offset_tEEE10hipError_tPvRmT1_PNSt15iterator_traitsIS12_E10value_typeET2_T3_PNS13_IS18_E10value_typeET4_jRbjT5_S1E_jjP12ihipStream_tbEUljE_ZNSN_ISO_Lb0ESQ_SR_ST_SU_SY_EESZ_S10_S11_S12_S16_S17_S18_S1B_S1C_jS1D_jS1E_S1E_jjS1G_bEUljE0_EEESZ_S10_S11_S18_S1C_S1E_T6_T7_T9_mT8_S1G_bDpT10_ENKUlT_T0_E_clISt17integral_constantIbLb0EES1U_EEDaS1P_S1Q_EUlS1P_E_NS1_11comp_targetILNS1_3genE0ELNS1_11target_archE4294967295ELNS1_3gpuE0ELNS1_3repE0EEENS1_30default_config_static_selectorELNS0_4arch9wavefront6targetE1EEEvS12_,comdat
	.globl	_ZN7rocprim17ROCPRIM_400000_NS6detail17trampoline_kernelINS0_13select_configILj256ELj13ELNS0_17block_load_methodE3ELS4_3ELS4_3ELNS0_20block_scan_algorithmE0ELj4294967295EEENS1_25partition_config_selectorILNS1_17partition_subalgoE4EjNS0_10empty_typeEbEEZZNS1_14partition_implILS8_4ELb0ES6_15HIP_vector_typeIjLj2EENS0_17counting_iteratorIjlEEPS9_SG_NS0_5tupleIJPjSI_NS0_16reverse_iteratorISI_EEEEENSH_IJSG_SG_SG_EEES9_SI_JZNS1_25segmented_radix_sort_implINS0_14default_configELb0EPKbPbPKlPlN2at6native12_GLOBAL__N_18offset_tEEE10hipError_tPvRmT1_PNSt15iterator_traitsIS12_E10value_typeET2_T3_PNS13_IS18_E10value_typeET4_jRbjT5_S1E_jjP12ihipStream_tbEUljE_ZNSN_ISO_Lb0ESQ_SR_ST_SU_SY_EESZ_S10_S11_S12_S16_S17_S18_S1B_S1C_jS1D_jS1E_S1E_jjS1G_bEUljE0_EEESZ_S10_S11_S18_S1C_S1E_T6_T7_T9_mT8_S1G_bDpT10_ENKUlT_T0_E_clISt17integral_constantIbLb0EES1U_EEDaS1P_S1Q_EUlS1P_E_NS1_11comp_targetILNS1_3genE0ELNS1_11target_archE4294967295ELNS1_3gpuE0ELNS1_3repE0EEENS1_30default_config_static_selectorELNS0_4arch9wavefront6targetE1EEEvS12_ ; -- Begin function _ZN7rocprim17ROCPRIM_400000_NS6detail17trampoline_kernelINS0_13select_configILj256ELj13ELNS0_17block_load_methodE3ELS4_3ELS4_3ELNS0_20block_scan_algorithmE0ELj4294967295EEENS1_25partition_config_selectorILNS1_17partition_subalgoE4EjNS0_10empty_typeEbEEZZNS1_14partition_implILS8_4ELb0ES6_15HIP_vector_typeIjLj2EENS0_17counting_iteratorIjlEEPS9_SG_NS0_5tupleIJPjSI_NS0_16reverse_iteratorISI_EEEEENSH_IJSG_SG_SG_EEES9_SI_JZNS1_25segmented_radix_sort_implINS0_14default_configELb0EPKbPbPKlPlN2at6native12_GLOBAL__N_18offset_tEEE10hipError_tPvRmT1_PNSt15iterator_traitsIS12_E10value_typeET2_T3_PNS13_IS18_E10value_typeET4_jRbjT5_S1E_jjP12ihipStream_tbEUljE_ZNSN_ISO_Lb0ESQ_SR_ST_SU_SY_EESZ_S10_S11_S12_S16_S17_S18_S1B_S1C_jS1D_jS1E_S1E_jjS1G_bEUljE0_EEESZ_S10_S11_S18_S1C_S1E_T6_T7_T9_mT8_S1G_bDpT10_ENKUlT_T0_E_clISt17integral_constantIbLb0EES1U_EEDaS1P_S1Q_EUlS1P_E_NS1_11comp_targetILNS1_3genE0ELNS1_11target_archE4294967295ELNS1_3gpuE0ELNS1_3repE0EEENS1_30default_config_static_selectorELNS0_4arch9wavefront6targetE1EEEvS12_
	.p2align	8
	.type	_ZN7rocprim17ROCPRIM_400000_NS6detail17trampoline_kernelINS0_13select_configILj256ELj13ELNS0_17block_load_methodE3ELS4_3ELS4_3ELNS0_20block_scan_algorithmE0ELj4294967295EEENS1_25partition_config_selectorILNS1_17partition_subalgoE4EjNS0_10empty_typeEbEEZZNS1_14partition_implILS8_4ELb0ES6_15HIP_vector_typeIjLj2EENS0_17counting_iteratorIjlEEPS9_SG_NS0_5tupleIJPjSI_NS0_16reverse_iteratorISI_EEEEENSH_IJSG_SG_SG_EEES9_SI_JZNS1_25segmented_radix_sort_implINS0_14default_configELb0EPKbPbPKlPlN2at6native12_GLOBAL__N_18offset_tEEE10hipError_tPvRmT1_PNSt15iterator_traitsIS12_E10value_typeET2_T3_PNS13_IS18_E10value_typeET4_jRbjT5_S1E_jjP12ihipStream_tbEUljE_ZNSN_ISO_Lb0ESQ_SR_ST_SU_SY_EESZ_S10_S11_S12_S16_S17_S18_S1B_S1C_jS1D_jS1E_S1E_jjS1G_bEUljE0_EEESZ_S10_S11_S18_S1C_S1E_T6_T7_T9_mT8_S1G_bDpT10_ENKUlT_T0_E_clISt17integral_constantIbLb0EES1U_EEDaS1P_S1Q_EUlS1P_E_NS1_11comp_targetILNS1_3genE0ELNS1_11target_archE4294967295ELNS1_3gpuE0ELNS1_3repE0EEENS1_30default_config_static_selectorELNS0_4arch9wavefront6targetE1EEEvS12_,@function
_ZN7rocprim17ROCPRIM_400000_NS6detail17trampoline_kernelINS0_13select_configILj256ELj13ELNS0_17block_load_methodE3ELS4_3ELS4_3ELNS0_20block_scan_algorithmE0ELj4294967295EEENS1_25partition_config_selectorILNS1_17partition_subalgoE4EjNS0_10empty_typeEbEEZZNS1_14partition_implILS8_4ELb0ES6_15HIP_vector_typeIjLj2EENS0_17counting_iteratorIjlEEPS9_SG_NS0_5tupleIJPjSI_NS0_16reverse_iteratorISI_EEEEENSH_IJSG_SG_SG_EEES9_SI_JZNS1_25segmented_radix_sort_implINS0_14default_configELb0EPKbPbPKlPlN2at6native12_GLOBAL__N_18offset_tEEE10hipError_tPvRmT1_PNSt15iterator_traitsIS12_E10value_typeET2_T3_PNS13_IS18_E10value_typeET4_jRbjT5_S1E_jjP12ihipStream_tbEUljE_ZNSN_ISO_Lb0ESQ_SR_ST_SU_SY_EESZ_S10_S11_S12_S16_S17_S18_S1B_S1C_jS1D_jS1E_S1E_jjS1G_bEUljE0_EEESZ_S10_S11_S18_S1C_S1E_T6_T7_T9_mT8_S1G_bDpT10_ENKUlT_T0_E_clISt17integral_constantIbLb0EES1U_EEDaS1P_S1Q_EUlS1P_E_NS1_11comp_targetILNS1_3genE0ELNS1_11target_archE4294967295ELNS1_3gpuE0ELNS1_3repE0EEENS1_30default_config_static_selectorELNS0_4arch9wavefront6targetE1EEEvS12_: ; @_ZN7rocprim17ROCPRIM_400000_NS6detail17trampoline_kernelINS0_13select_configILj256ELj13ELNS0_17block_load_methodE3ELS4_3ELS4_3ELNS0_20block_scan_algorithmE0ELj4294967295EEENS1_25partition_config_selectorILNS1_17partition_subalgoE4EjNS0_10empty_typeEbEEZZNS1_14partition_implILS8_4ELb0ES6_15HIP_vector_typeIjLj2EENS0_17counting_iteratorIjlEEPS9_SG_NS0_5tupleIJPjSI_NS0_16reverse_iteratorISI_EEEEENSH_IJSG_SG_SG_EEES9_SI_JZNS1_25segmented_radix_sort_implINS0_14default_configELb0EPKbPbPKlPlN2at6native12_GLOBAL__N_18offset_tEEE10hipError_tPvRmT1_PNSt15iterator_traitsIS12_E10value_typeET2_T3_PNS13_IS18_E10value_typeET4_jRbjT5_S1E_jjP12ihipStream_tbEUljE_ZNSN_ISO_Lb0ESQ_SR_ST_SU_SY_EESZ_S10_S11_S12_S16_S17_S18_S1B_S1C_jS1D_jS1E_S1E_jjS1G_bEUljE0_EEESZ_S10_S11_S18_S1C_S1E_T6_T7_T9_mT8_S1G_bDpT10_ENKUlT_T0_E_clISt17integral_constantIbLb0EES1U_EEDaS1P_S1Q_EUlS1P_E_NS1_11comp_targetILNS1_3genE0ELNS1_11target_archE4294967295ELNS1_3gpuE0ELNS1_3repE0EEENS1_30default_config_static_selectorELNS0_4arch9wavefront6targetE1EEEvS12_
; %bb.0:
	.section	.rodata,"a",@progbits
	.p2align	6, 0x0
	.amdhsa_kernel _ZN7rocprim17ROCPRIM_400000_NS6detail17trampoline_kernelINS0_13select_configILj256ELj13ELNS0_17block_load_methodE3ELS4_3ELS4_3ELNS0_20block_scan_algorithmE0ELj4294967295EEENS1_25partition_config_selectorILNS1_17partition_subalgoE4EjNS0_10empty_typeEbEEZZNS1_14partition_implILS8_4ELb0ES6_15HIP_vector_typeIjLj2EENS0_17counting_iteratorIjlEEPS9_SG_NS0_5tupleIJPjSI_NS0_16reverse_iteratorISI_EEEEENSH_IJSG_SG_SG_EEES9_SI_JZNS1_25segmented_radix_sort_implINS0_14default_configELb0EPKbPbPKlPlN2at6native12_GLOBAL__N_18offset_tEEE10hipError_tPvRmT1_PNSt15iterator_traitsIS12_E10value_typeET2_T3_PNS13_IS18_E10value_typeET4_jRbjT5_S1E_jjP12ihipStream_tbEUljE_ZNSN_ISO_Lb0ESQ_SR_ST_SU_SY_EESZ_S10_S11_S12_S16_S17_S18_S1B_S1C_jS1D_jS1E_S1E_jjS1G_bEUljE0_EEESZ_S10_S11_S18_S1C_S1E_T6_T7_T9_mT8_S1G_bDpT10_ENKUlT_T0_E_clISt17integral_constantIbLb0EES1U_EEDaS1P_S1Q_EUlS1P_E_NS1_11comp_targetILNS1_3genE0ELNS1_11target_archE4294967295ELNS1_3gpuE0ELNS1_3repE0EEENS1_30default_config_static_selectorELNS0_4arch9wavefront6targetE1EEEvS12_
		.amdhsa_group_segment_fixed_size 0
		.amdhsa_private_segment_fixed_size 0
		.amdhsa_kernarg_size 176
		.amdhsa_user_sgpr_count 6
		.amdhsa_user_sgpr_private_segment_buffer 1
		.amdhsa_user_sgpr_dispatch_ptr 0
		.amdhsa_user_sgpr_queue_ptr 0
		.amdhsa_user_sgpr_kernarg_segment_ptr 1
		.amdhsa_user_sgpr_dispatch_id 0
		.amdhsa_user_sgpr_flat_scratch_init 0
		.amdhsa_user_sgpr_kernarg_preload_length 0
		.amdhsa_user_sgpr_kernarg_preload_offset 0
		.amdhsa_user_sgpr_private_segment_size 0
		.amdhsa_uses_dynamic_stack 0
		.amdhsa_system_sgpr_private_segment_wavefront_offset 0
		.amdhsa_system_sgpr_workgroup_id_x 1
		.amdhsa_system_sgpr_workgroup_id_y 0
		.amdhsa_system_sgpr_workgroup_id_z 0
		.amdhsa_system_sgpr_workgroup_info 0
		.amdhsa_system_vgpr_workitem_id 0
		.amdhsa_next_free_vgpr 1
		.amdhsa_next_free_sgpr 0
		.amdhsa_accum_offset 4
		.amdhsa_reserve_vcc 0
		.amdhsa_reserve_flat_scratch 0
		.amdhsa_float_round_mode_32 0
		.amdhsa_float_round_mode_16_64 0
		.amdhsa_float_denorm_mode_32 3
		.amdhsa_float_denorm_mode_16_64 3
		.amdhsa_dx10_clamp 1
		.amdhsa_ieee_mode 1
		.amdhsa_fp16_overflow 0
		.amdhsa_tg_split 0
		.amdhsa_exception_fp_ieee_invalid_op 0
		.amdhsa_exception_fp_denorm_src 0
		.amdhsa_exception_fp_ieee_div_zero 0
		.amdhsa_exception_fp_ieee_overflow 0
		.amdhsa_exception_fp_ieee_underflow 0
		.amdhsa_exception_fp_ieee_inexact 0
		.amdhsa_exception_int_div_zero 0
	.end_amdhsa_kernel
	.section	.text._ZN7rocprim17ROCPRIM_400000_NS6detail17trampoline_kernelINS0_13select_configILj256ELj13ELNS0_17block_load_methodE3ELS4_3ELS4_3ELNS0_20block_scan_algorithmE0ELj4294967295EEENS1_25partition_config_selectorILNS1_17partition_subalgoE4EjNS0_10empty_typeEbEEZZNS1_14partition_implILS8_4ELb0ES6_15HIP_vector_typeIjLj2EENS0_17counting_iteratorIjlEEPS9_SG_NS0_5tupleIJPjSI_NS0_16reverse_iteratorISI_EEEEENSH_IJSG_SG_SG_EEES9_SI_JZNS1_25segmented_radix_sort_implINS0_14default_configELb0EPKbPbPKlPlN2at6native12_GLOBAL__N_18offset_tEEE10hipError_tPvRmT1_PNSt15iterator_traitsIS12_E10value_typeET2_T3_PNS13_IS18_E10value_typeET4_jRbjT5_S1E_jjP12ihipStream_tbEUljE_ZNSN_ISO_Lb0ESQ_SR_ST_SU_SY_EESZ_S10_S11_S12_S16_S17_S18_S1B_S1C_jS1D_jS1E_S1E_jjS1G_bEUljE0_EEESZ_S10_S11_S18_S1C_S1E_T6_T7_T9_mT8_S1G_bDpT10_ENKUlT_T0_E_clISt17integral_constantIbLb0EES1U_EEDaS1P_S1Q_EUlS1P_E_NS1_11comp_targetILNS1_3genE0ELNS1_11target_archE4294967295ELNS1_3gpuE0ELNS1_3repE0EEENS1_30default_config_static_selectorELNS0_4arch9wavefront6targetE1EEEvS12_,"axG",@progbits,_ZN7rocprim17ROCPRIM_400000_NS6detail17trampoline_kernelINS0_13select_configILj256ELj13ELNS0_17block_load_methodE3ELS4_3ELS4_3ELNS0_20block_scan_algorithmE0ELj4294967295EEENS1_25partition_config_selectorILNS1_17partition_subalgoE4EjNS0_10empty_typeEbEEZZNS1_14partition_implILS8_4ELb0ES6_15HIP_vector_typeIjLj2EENS0_17counting_iteratorIjlEEPS9_SG_NS0_5tupleIJPjSI_NS0_16reverse_iteratorISI_EEEEENSH_IJSG_SG_SG_EEES9_SI_JZNS1_25segmented_radix_sort_implINS0_14default_configELb0EPKbPbPKlPlN2at6native12_GLOBAL__N_18offset_tEEE10hipError_tPvRmT1_PNSt15iterator_traitsIS12_E10value_typeET2_T3_PNS13_IS18_E10value_typeET4_jRbjT5_S1E_jjP12ihipStream_tbEUljE_ZNSN_ISO_Lb0ESQ_SR_ST_SU_SY_EESZ_S10_S11_S12_S16_S17_S18_S1B_S1C_jS1D_jS1E_S1E_jjS1G_bEUljE0_EEESZ_S10_S11_S18_S1C_S1E_T6_T7_T9_mT8_S1G_bDpT10_ENKUlT_T0_E_clISt17integral_constantIbLb0EES1U_EEDaS1P_S1Q_EUlS1P_E_NS1_11comp_targetILNS1_3genE0ELNS1_11target_archE4294967295ELNS1_3gpuE0ELNS1_3repE0EEENS1_30default_config_static_selectorELNS0_4arch9wavefront6targetE1EEEvS12_,comdat
.Lfunc_end1569:
	.size	_ZN7rocprim17ROCPRIM_400000_NS6detail17trampoline_kernelINS0_13select_configILj256ELj13ELNS0_17block_load_methodE3ELS4_3ELS4_3ELNS0_20block_scan_algorithmE0ELj4294967295EEENS1_25partition_config_selectorILNS1_17partition_subalgoE4EjNS0_10empty_typeEbEEZZNS1_14partition_implILS8_4ELb0ES6_15HIP_vector_typeIjLj2EENS0_17counting_iteratorIjlEEPS9_SG_NS0_5tupleIJPjSI_NS0_16reverse_iteratorISI_EEEEENSH_IJSG_SG_SG_EEES9_SI_JZNS1_25segmented_radix_sort_implINS0_14default_configELb0EPKbPbPKlPlN2at6native12_GLOBAL__N_18offset_tEEE10hipError_tPvRmT1_PNSt15iterator_traitsIS12_E10value_typeET2_T3_PNS13_IS18_E10value_typeET4_jRbjT5_S1E_jjP12ihipStream_tbEUljE_ZNSN_ISO_Lb0ESQ_SR_ST_SU_SY_EESZ_S10_S11_S12_S16_S17_S18_S1B_S1C_jS1D_jS1E_S1E_jjS1G_bEUljE0_EEESZ_S10_S11_S18_S1C_S1E_T6_T7_T9_mT8_S1G_bDpT10_ENKUlT_T0_E_clISt17integral_constantIbLb0EES1U_EEDaS1P_S1Q_EUlS1P_E_NS1_11comp_targetILNS1_3genE0ELNS1_11target_archE4294967295ELNS1_3gpuE0ELNS1_3repE0EEENS1_30default_config_static_selectorELNS0_4arch9wavefront6targetE1EEEvS12_, .Lfunc_end1569-_ZN7rocprim17ROCPRIM_400000_NS6detail17trampoline_kernelINS0_13select_configILj256ELj13ELNS0_17block_load_methodE3ELS4_3ELS4_3ELNS0_20block_scan_algorithmE0ELj4294967295EEENS1_25partition_config_selectorILNS1_17partition_subalgoE4EjNS0_10empty_typeEbEEZZNS1_14partition_implILS8_4ELb0ES6_15HIP_vector_typeIjLj2EENS0_17counting_iteratorIjlEEPS9_SG_NS0_5tupleIJPjSI_NS0_16reverse_iteratorISI_EEEEENSH_IJSG_SG_SG_EEES9_SI_JZNS1_25segmented_radix_sort_implINS0_14default_configELb0EPKbPbPKlPlN2at6native12_GLOBAL__N_18offset_tEEE10hipError_tPvRmT1_PNSt15iterator_traitsIS12_E10value_typeET2_T3_PNS13_IS18_E10value_typeET4_jRbjT5_S1E_jjP12ihipStream_tbEUljE_ZNSN_ISO_Lb0ESQ_SR_ST_SU_SY_EESZ_S10_S11_S12_S16_S17_S18_S1B_S1C_jS1D_jS1E_S1E_jjS1G_bEUljE0_EEESZ_S10_S11_S18_S1C_S1E_T6_T7_T9_mT8_S1G_bDpT10_ENKUlT_T0_E_clISt17integral_constantIbLb0EES1U_EEDaS1P_S1Q_EUlS1P_E_NS1_11comp_targetILNS1_3genE0ELNS1_11target_archE4294967295ELNS1_3gpuE0ELNS1_3repE0EEENS1_30default_config_static_selectorELNS0_4arch9wavefront6targetE1EEEvS12_
                                        ; -- End function
	.section	.AMDGPU.csdata,"",@progbits
; Kernel info:
; codeLenInByte = 0
; NumSgprs: 4
; NumVgprs: 0
; NumAgprs: 0
; TotalNumVgprs: 0
; ScratchSize: 0
; MemoryBound: 0
; FloatMode: 240
; IeeeMode: 1
; LDSByteSize: 0 bytes/workgroup (compile time only)
; SGPRBlocks: 0
; VGPRBlocks: 0
; NumSGPRsForWavesPerEU: 4
; NumVGPRsForWavesPerEU: 1
; AccumOffset: 4
; Occupancy: 8
; WaveLimiterHint : 0
; COMPUTE_PGM_RSRC2:SCRATCH_EN: 0
; COMPUTE_PGM_RSRC2:USER_SGPR: 6
; COMPUTE_PGM_RSRC2:TRAP_HANDLER: 0
; COMPUTE_PGM_RSRC2:TGID_X_EN: 1
; COMPUTE_PGM_RSRC2:TGID_Y_EN: 0
; COMPUTE_PGM_RSRC2:TGID_Z_EN: 0
; COMPUTE_PGM_RSRC2:TIDIG_COMP_CNT: 0
; COMPUTE_PGM_RSRC3_GFX90A:ACCUM_OFFSET: 0
; COMPUTE_PGM_RSRC3_GFX90A:TG_SPLIT: 0
	.section	.text._ZN7rocprim17ROCPRIM_400000_NS6detail17trampoline_kernelINS0_13select_configILj256ELj13ELNS0_17block_load_methodE3ELS4_3ELS4_3ELNS0_20block_scan_algorithmE0ELj4294967295EEENS1_25partition_config_selectorILNS1_17partition_subalgoE4EjNS0_10empty_typeEbEEZZNS1_14partition_implILS8_4ELb0ES6_15HIP_vector_typeIjLj2EENS0_17counting_iteratorIjlEEPS9_SG_NS0_5tupleIJPjSI_NS0_16reverse_iteratorISI_EEEEENSH_IJSG_SG_SG_EEES9_SI_JZNS1_25segmented_radix_sort_implINS0_14default_configELb0EPKbPbPKlPlN2at6native12_GLOBAL__N_18offset_tEEE10hipError_tPvRmT1_PNSt15iterator_traitsIS12_E10value_typeET2_T3_PNS13_IS18_E10value_typeET4_jRbjT5_S1E_jjP12ihipStream_tbEUljE_ZNSN_ISO_Lb0ESQ_SR_ST_SU_SY_EESZ_S10_S11_S12_S16_S17_S18_S1B_S1C_jS1D_jS1E_S1E_jjS1G_bEUljE0_EEESZ_S10_S11_S18_S1C_S1E_T6_T7_T9_mT8_S1G_bDpT10_ENKUlT_T0_E_clISt17integral_constantIbLb0EES1U_EEDaS1P_S1Q_EUlS1P_E_NS1_11comp_targetILNS1_3genE5ELNS1_11target_archE942ELNS1_3gpuE9ELNS1_3repE0EEENS1_30default_config_static_selectorELNS0_4arch9wavefront6targetE1EEEvS12_,"axG",@progbits,_ZN7rocprim17ROCPRIM_400000_NS6detail17trampoline_kernelINS0_13select_configILj256ELj13ELNS0_17block_load_methodE3ELS4_3ELS4_3ELNS0_20block_scan_algorithmE0ELj4294967295EEENS1_25partition_config_selectorILNS1_17partition_subalgoE4EjNS0_10empty_typeEbEEZZNS1_14partition_implILS8_4ELb0ES6_15HIP_vector_typeIjLj2EENS0_17counting_iteratorIjlEEPS9_SG_NS0_5tupleIJPjSI_NS0_16reverse_iteratorISI_EEEEENSH_IJSG_SG_SG_EEES9_SI_JZNS1_25segmented_radix_sort_implINS0_14default_configELb0EPKbPbPKlPlN2at6native12_GLOBAL__N_18offset_tEEE10hipError_tPvRmT1_PNSt15iterator_traitsIS12_E10value_typeET2_T3_PNS13_IS18_E10value_typeET4_jRbjT5_S1E_jjP12ihipStream_tbEUljE_ZNSN_ISO_Lb0ESQ_SR_ST_SU_SY_EESZ_S10_S11_S12_S16_S17_S18_S1B_S1C_jS1D_jS1E_S1E_jjS1G_bEUljE0_EEESZ_S10_S11_S18_S1C_S1E_T6_T7_T9_mT8_S1G_bDpT10_ENKUlT_T0_E_clISt17integral_constantIbLb0EES1U_EEDaS1P_S1Q_EUlS1P_E_NS1_11comp_targetILNS1_3genE5ELNS1_11target_archE942ELNS1_3gpuE9ELNS1_3repE0EEENS1_30default_config_static_selectorELNS0_4arch9wavefront6targetE1EEEvS12_,comdat
	.globl	_ZN7rocprim17ROCPRIM_400000_NS6detail17trampoline_kernelINS0_13select_configILj256ELj13ELNS0_17block_load_methodE3ELS4_3ELS4_3ELNS0_20block_scan_algorithmE0ELj4294967295EEENS1_25partition_config_selectorILNS1_17partition_subalgoE4EjNS0_10empty_typeEbEEZZNS1_14partition_implILS8_4ELb0ES6_15HIP_vector_typeIjLj2EENS0_17counting_iteratorIjlEEPS9_SG_NS0_5tupleIJPjSI_NS0_16reverse_iteratorISI_EEEEENSH_IJSG_SG_SG_EEES9_SI_JZNS1_25segmented_radix_sort_implINS0_14default_configELb0EPKbPbPKlPlN2at6native12_GLOBAL__N_18offset_tEEE10hipError_tPvRmT1_PNSt15iterator_traitsIS12_E10value_typeET2_T3_PNS13_IS18_E10value_typeET4_jRbjT5_S1E_jjP12ihipStream_tbEUljE_ZNSN_ISO_Lb0ESQ_SR_ST_SU_SY_EESZ_S10_S11_S12_S16_S17_S18_S1B_S1C_jS1D_jS1E_S1E_jjS1G_bEUljE0_EEESZ_S10_S11_S18_S1C_S1E_T6_T7_T9_mT8_S1G_bDpT10_ENKUlT_T0_E_clISt17integral_constantIbLb0EES1U_EEDaS1P_S1Q_EUlS1P_E_NS1_11comp_targetILNS1_3genE5ELNS1_11target_archE942ELNS1_3gpuE9ELNS1_3repE0EEENS1_30default_config_static_selectorELNS0_4arch9wavefront6targetE1EEEvS12_ ; -- Begin function _ZN7rocprim17ROCPRIM_400000_NS6detail17trampoline_kernelINS0_13select_configILj256ELj13ELNS0_17block_load_methodE3ELS4_3ELS4_3ELNS0_20block_scan_algorithmE0ELj4294967295EEENS1_25partition_config_selectorILNS1_17partition_subalgoE4EjNS0_10empty_typeEbEEZZNS1_14partition_implILS8_4ELb0ES6_15HIP_vector_typeIjLj2EENS0_17counting_iteratorIjlEEPS9_SG_NS0_5tupleIJPjSI_NS0_16reverse_iteratorISI_EEEEENSH_IJSG_SG_SG_EEES9_SI_JZNS1_25segmented_radix_sort_implINS0_14default_configELb0EPKbPbPKlPlN2at6native12_GLOBAL__N_18offset_tEEE10hipError_tPvRmT1_PNSt15iterator_traitsIS12_E10value_typeET2_T3_PNS13_IS18_E10value_typeET4_jRbjT5_S1E_jjP12ihipStream_tbEUljE_ZNSN_ISO_Lb0ESQ_SR_ST_SU_SY_EESZ_S10_S11_S12_S16_S17_S18_S1B_S1C_jS1D_jS1E_S1E_jjS1G_bEUljE0_EEESZ_S10_S11_S18_S1C_S1E_T6_T7_T9_mT8_S1G_bDpT10_ENKUlT_T0_E_clISt17integral_constantIbLb0EES1U_EEDaS1P_S1Q_EUlS1P_E_NS1_11comp_targetILNS1_3genE5ELNS1_11target_archE942ELNS1_3gpuE9ELNS1_3repE0EEENS1_30default_config_static_selectorELNS0_4arch9wavefront6targetE1EEEvS12_
	.p2align	8
	.type	_ZN7rocprim17ROCPRIM_400000_NS6detail17trampoline_kernelINS0_13select_configILj256ELj13ELNS0_17block_load_methodE3ELS4_3ELS4_3ELNS0_20block_scan_algorithmE0ELj4294967295EEENS1_25partition_config_selectorILNS1_17partition_subalgoE4EjNS0_10empty_typeEbEEZZNS1_14partition_implILS8_4ELb0ES6_15HIP_vector_typeIjLj2EENS0_17counting_iteratorIjlEEPS9_SG_NS0_5tupleIJPjSI_NS0_16reverse_iteratorISI_EEEEENSH_IJSG_SG_SG_EEES9_SI_JZNS1_25segmented_radix_sort_implINS0_14default_configELb0EPKbPbPKlPlN2at6native12_GLOBAL__N_18offset_tEEE10hipError_tPvRmT1_PNSt15iterator_traitsIS12_E10value_typeET2_T3_PNS13_IS18_E10value_typeET4_jRbjT5_S1E_jjP12ihipStream_tbEUljE_ZNSN_ISO_Lb0ESQ_SR_ST_SU_SY_EESZ_S10_S11_S12_S16_S17_S18_S1B_S1C_jS1D_jS1E_S1E_jjS1G_bEUljE0_EEESZ_S10_S11_S18_S1C_S1E_T6_T7_T9_mT8_S1G_bDpT10_ENKUlT_T0_E_clISt17integral_constantIbLb0EES1U_EEDaS1P_S1Q_EUlS1P_E_NS1_11comp_targetILNS1_3genE5ELNS1_11target_archE942ELNS1_3gpuE9ELNS1_3repE0EEENS1_30default_config_static_selectorELNS0_4arch9wavefront6targetE1EEEvS12_,@function
_ZN7rocprim17ROCPRIM_400000_NS6detail17trampoline_kernelINS0_13select_configILj256ELj13ELNS0_17block_load_methodE3ELS4_3ELS4_3ELNS0_20block_scan_algorithmE0ELj4294967295EEENS1_25partition_config_selectorILNS1_17partition_subalgoE4EjNS0_10empty_typeEbEEZZNS1_14partition_implILS8_4ELb0ES6_15HIP_vector_typeIjLj2EENS0_17counting_iteratorIjlEEPS9_SG_NS0_5tupleIJPjSI_NS0_16reverse_iteratorISI_EEEEENSH_IJSG_SG_SG_EEES9_SI_JZNS1_25segmented_radix_sort_implINS0_14default_configELb0EPKbPbPKlPlN2at6native12_GLOBAL__N_18offset_tEEE10hipError_tPvRmT1_PNSt15iterator_traitsIS12_E10value_typeET2_T3_PNS13_IS18_E10value_typeET4_jRbjT5_S1E_jjP12ihipStream_tbEUljE_ZNSN_ISO_Lb0ESQ_SR_ST_SU_SY_EESZ_S10_S11_S12_S16_S17_S18_S1B_S1C_jS1D_jS1E_S1E_jjS1G_bEUljE0_EEESZ_S10_S11_S18_S1C_S1E_T6_T7_T9_mT8_S1G_bDpT10_ENKUlT_T0_E_clISt17integral_constantIbLb0EES1U_EEDaS1P_S1Q_EUlS1P_E_NS1_11comp_targetILNS1_3genE5ELNS1_11target_archE942ELNS1_3gpuE9ELNS1_3repE0EEENS1_30default_config_static_selectorELNS0_4arch9wavefront6targetE1EEEvS12_: ; @_ZN7rocprim17ROCPRIM_400000_NS6detail17trampoline_kernelINS0_13select_configILj256ELj13ELNS0_17block_load_methodE3ELS4_3ELS4_3ELNS0_20block_scan_algorithmE0ELj4294967295EEENS1_25partition_config_selectorILNS1_17partition_subalgoE4EjNS0_10empty_typeEbEEZZNS1_14partition_implILS8_4ELb0ES6_15HIP_vector_typeIjLj2EENS0_17counting_iteratorIjlEEPS9_SG_NS0_5tupleIJPjSI_NS0_16reverse_iteratorISI_EEEEENSH_IJSG_SG_SG_EEES9_SI_JZNS1_25segmented_radix_sort_implINS0_14default_configELb0EPKbPbPKlPlN2at6native12_GLOBAL__N_18offset_tEEE10hipError_tPvRmT1_PNSt15iterator_traitsIS12_E10value_typeET2_T3_PNS13_IS18_E10value_typeET4_jRbjT5_S1E_jjP12ihipStream_tbEUljE_ZNSN_ISO_Lb0ESQ_SR_ST_SU_SY_EESZ_S10_S11_S12_S16_S17_S18_S1B_S1C_jS1D_jS1E_S1E_jjS1G_bEUljE0_EEESZ_S10_S11_S18_S1C_S1E_T6_T7_T9_mT8_S1G_bDpT10_ENKUlT_T0_E_clISt17integral_constantIbLb0EES1U_EEDaS1P_S1Q_EUlS1P_E_NS1_11comp_targetILNS1_3genE5ELNS1_11target_archE942ELNS1_3gpuE9ELNS1_3repE0EEENS1_30default_config_static_selectorELNS0_4arch9wavefront6targetE1EEEvS12_
; %bb.0:
	.section	.rodata,"a",@progbits
	.p2align	6, 0x0
	.amdhsa_kernel _ZN7rocprim17ROCPRIM_400000_NS6detail17trampoline_kernelINS0_13select_configILj256ELj13ELNS0_17block_load_methodE3ELS4_3ELS4_3ELNS0_20block_scan_algorithmE0ELj4294967295EEENS1_25partition_config_selectorILNS1_17partition_subalgoE4EjNS0_10empty_typeEbEEZZNS1_14partition_implILS8_4ELb0ES6_15HIP_vector_typeIjLj2EENS0_17counting_iteratorIjlEEPS9_SG_NS0_5tupleIJPjSI_NS0_16reverse_iteratorISI_EEEEENSH_IJSG_SG_SG_EEES9_SI_JZNS1_25segmented_radix_sort_implINS0_14default_configELb0EPKbPbPKlPlN2at6native12_GLOBAL__N_18offset_tEEE10hipError_tPvRmT1_PNSt15iterator_traitsIS12_E10value_typeET2_T3_PNS13_IS18_E10value_typeET4_jRbjT5_S1E_jjP12ihipStream_tbEUljE_ZNSN_ISO_Lb0ESQ_SR_ST_SU_SY_EESZ_S10_S11_S12_S16_S17_S18_S1B_S1C_jS1D_jS1E_S1E_jjS1G_bEUljE0_EEESZ_S10_S11_S18_S1C_S1E_T6_T7_T9_mT8_S1G_bDpT10_ENKUlT_T0_E_clISt17integral_constantIbLb0EES1U_EEDaS1P_S1Q_EUlS1P_E_NS1_11comp_targetILNS1_3genE5ELNS1_11target_archE942ELNS1_3gpuE9ELNS1_3repE0EEENS1_30default_config_static_selectorELNS0_4arch9wavefront6targetE1EEEvS12_
		.amdhsa_group_segment_fixed_size 0
		.amdhsa_private_segment_fixed_size 0
		.amdhsa_kernarg_size 176
		.amdhsa_user_sgpr_count 6
		.amdhsa_user_sgpr_private_segment_buffer 1
		.amdhsa_user_sgpr_dispatch_ptr 0
		.amdhsa_user_sgpr_queue_ptr 0
		.amdhsa_user_sgpr_kernarg_segment_ptr 1
		.amdhsa_user_sgpr_dispatch_id 0
		.amdhsa_user_sgpr_flat_scratch_init 0
		.amdhsa_user_sgpr_kernarg_preload_length 0
		.amdhsa_user_sgpr_kernarg_preload_offset 0
		.amdhsa_user_sgpr_private_segment_size 0
		.amdhsa_uses_dynamic_stack 0
		.amdhsa_system_sgpr_private_segment_wavefront_offset 0
		.amdhsa_system_sgpr_workgroup_id_x 1
		.amdhsa_system_sgpr_workgroup_id_y 0
		.amdhsa_system_sgpr_workgroup_id_z 0
		.amdhsa_system_sgpr_workgroup_info 0
		.amdhsa_system_vgpr_workitem_id 0
		.amdhsa_next_free_vgpr 1
		.amdhsa_next_free_sgpr 0
		.amdhsa_accum_offset 4
		.amdhsa_reserve_vcc 0
		.amdhsa_reserve_flat_scratch 0
		.amdhsa_float_round_mode_32 0
		.amdhsa_float_round_mode_16_64 0
		.amdhsa_float_denorm_mode_32 3
		.amdhsa_float_denorm_mode_16_64 3
		.amdhsa_dx10_clamp 1
		.amdhsa_ieee_mode 1
		.amdhsa_fp16_overflow 0
		.amdhsa_tg_split 0
		.amdhsa_exception_fp_ieee_invalid_op 0
		.amdhsa_exception_fp_denorm_src 0
		.amdhsa_exception_fp_ieee_div_zero 0
		.amdhsa_exception_fp_ieee_overflow 0
		.amdhsa_exception_fp_ieee_underflow 0
		.amdhsa_exception_fp_ieee_inexact 0
		.amdhsa_exception_int_div_zero 0
	.end_amdhsa_kernel
	.section	.text._ZN7rocprim17ROCPRIM_400000_NS6detail17trampoline_kernelINS0_13select_configILj256ELj13ELNS0_17block_load_methodE3ELS4_3ELS4_3ELNS0_20block_scan_algorithmE0ELj4294967295EEENS1_25partition_config_selectorILNS1_17partition_subalgoE4EjNS0_10empty_typeEbEEZZNS1_14partition_implILS8_4ELb0ES6_15HIP_vector_typeIjLj2EENS0_17counting_iteratorIjlEEPS9_SG_NS0_5tupleIJPjSI_NS0_16reverse_iteratorISI_EEEEENSH_IJSG_SG_SG_EEES9_SI_JZNS1_25segmented_radix_sort_implINS0_14default_configELb0EPKbPbPKlPlN2at6native12_GLOBAL__N_18offset_tEEE10hipError_tPvRmT1_PNSt15iterator_traitsIS12_E10value_typeET2_T3_PNS13_IS18_E10value_typeET4_jRbjT5_S1E_jjP12ihipStream_tbEUljE_ZNSN_ISO_Lb0ESQ_SR_ST_SU_SY_EESZ_S10_S11_S12_S16_S17_S18_S1B_S1C_jS1D_jS1E_S1E_jjS1G_bEUljE0_EEESZ_S10_S11_S18_S1C_S1E_T6_T7_T9_mT8_S1G_bDpT10_ENKUlT_T0_E_clISt17integral_constantIbLb0EES1U_EEDaS1P_S1Q_EUlS1P_E_NS1_11comp_targetILNS1_3genE5ELNS1_11target_archE942ELNS1_3gpuE9ELNS1_3repE0EEENS1_30default_config_static_selectorELNS0_4arch9wavefront6targetE1EEEvS12_,"axG",@progbits,_ZN7rocprim17ROCPRIM_400000_NS6detail17trampoline_kernelINS0_13select_configILj256ELj13ELNS0_17block_load_methodE3ELS4_3ELS4_3ELNS0_20block_scan_algorithmE0ELj4294967295EEENS1_25partition_config_selectorILNS1_17partition_subalgoE4EjNS0_10empty_typeEbEEZZNS1_14partition_implILS8_4ELb0ES6_15HIP_vector_typeIjLj2EENS0_17counting_iteratorIjlEEPS9_SG_NS0_5tupleIJPjSI_NS0_16reverse_iteratorISI_EEEEENSH_IJSG_SG_SG_EEES9_SI_JZNS1_25segmented_radix_sort_implINS0_14default_configELb0EPKbPbPKlPlN2at6native12_GLOBAL__N_18offset_tEEE10hipError_tPvRmT1_PNSt15iterator_traitsIS12_E10value_typeET2_T3_PNS13_IS18_E10value_typeET4_jRbjT5_S1E_jjP12ihipStream_tbEUljE_ZNSN_ISO_Lb0ESQ_SR_ST_SU_SY_EESZ_S10_S11_S12_S16_S17_S18_S1B_S1C_jS1D_jS1E_S1E_jjS1G_bEUljE0_EEESZ_S10_S11_S18_S1C_S1E_T6_T7_T9_mT8_S1G_bDpT10_ENKUlT_T0_E_clISt17integral_constantIbLb0EES1U_EEDaS1P_S1Q_EUlS1P_E_NS1_11comp_targetILNS1_3genE5ELNS1_11target_archE942ELNS1_3gpuE9ELNS1_3repE0EEENS1_30default_config_static_selectorELNS0_4arch9wavefront6targetE1EEEvS12_,comdat
.Lfunc_end1570:
	.size	_ZN7rocprim17ROCPRIM_400000_NS6detail17trampoline_kernelINS0_13select_configILj256ELj13ELNS0_17block_load_methodE3ELS4_3ELS4_3ELNS0_20block_scan_algorithmE0ELj4294967295EEENS1_25partition_config_selectorILNS1_17partition_subalgoE4EjNS0_10empty_typeEbEEZZNS1_14partition_implILS8_4ELb0ES6_15HIP_vector_typeIjLj2EENS0_17counting_iteratorIjlEEPS9_SG_NS0_5tupleIJPjSI_NS0_16reverse_iteratorISI_EEEEENSH_IJSG_SG_SG_EEES9_SI_JZNS1_25segmented_radix_sort_implINS0_14default_configELb0EPKbPbPKlPlN2at6native12_GLOBAL__N_18offset_tEEE10hipError_tPvRmT1_PNSt15iterator_traitsIS12_E10value_typeET2_T3_PNS13_IS18_E10value_typeET4_jRbjT5_S1E_jjP12ihipStream_tbEUljE_ZNSN_ISO_Lb0ESQ_SR_ST_SU_SY_EESZ_S10_S11_S12_S16_S17_S18_S1B_S1C_jS1D_jS1E_S1E_jjS1G_bEUljE0_EEESZ_S10_S11_S18_S1C_S1E_T6_T7_T9_mT8_S1G_bDpT10_ENKUlT_T0_E_clISt17integral_constantIbLb0EES1U_EEDaS1P_S1Q_EUlS1P_E_NS1_11comp_targetILNS1_3genE5ELNS1_11target_archE942ELNS1_3gpuE9ELNS1_3repE0EEENS1_30default_config_static_selectorELNS0_4arch9wavefront6targetE1EEEvS12_, .Lfunc_end1570-_ZN7rocprim17ROCPRIM_400000_NS6detail17trampoline_kernelINS0_13select_configILj256ELj13ELNS0_17block_load_methodE3ELS4_3ELS4_3ELNS0_20block_scan_algorithmE0ELj4294967295EEENS1_25partition_config_selectorILNS1_17partition_subalgoE4EjNS0_10empty_typeEbEEZZNS1_14partition_implILS8_4ELb0ES6_15HIP_vector_typeIjLj2EENS0_17counting_iteratorIjlEEPS9_SG_NS0_5tupleIJPjSI_NS0_16reverse_iteratorISI_EEEEENSH_IJSG_SG_SG_EEES9_SI_JZNS1_25segmented_radix_sort_implINS0_14default_configELb0EPKbPbPKlPlN2at6native12_GLOBAL__N_18offset_tEEE10hipError_tPvRmT1_PNSt15iterator_traitsIS12_E10value_typeET2_T3_PNS13_IS18_E10value_typeET4_jRbjT5_S1E_jjP12ihipStream_tbEUljE_ZNSN_ISO_Lb0ESQ_SR_ST_SU_SY_EESZ_S10_S11_S12_S16_S17_S18_S1B_S1C_jS1D_jS1E_S1E_jjS1G_bEUljE0_EEESZ_S10_S11_S18_S1C_S1E_T6_T7_T9_mT8_S1G_bDpT10_ENKUlT_T0_E_clISt17integral_constantIbLb0EES1U_EEDaS1P_S1Q_EUlS1P_E_NS1_11comp_targetILNS1_3genE5ELNS1_11target_archE942ELNS1_3gpuE9ELNS1_3repE0EEENS1_30default_config_static_selectorELNS0_4arch9wavefront6targetE1EEEvS12_
                                        ; -- End function
	.section	.AMDGPU.csdata,"",@progbits
; Kernel info:
; codeLenInByte = 0
; NumSgprs: 4
; NumVgprs: 0
; NumAgprs: 0
; TotalNumVgprs: 0
; ScratchSize: 0
; MemoryBound: 0
; FloatMode: 240
; IeeeMode: 1
; LDSByteSize: 0 bytes/workgroup (compile time only)
; SGPRBlocks: 0
; VGPRBlocks: 0
; NumSGPRsForWavesPerEU: 4
; NumVGPRsForWavesPerEU: 1
; AccumOffset: 4
; Occupancy: 8
; WaveLimiterHint : 0
; COMPUTE_PGM_RSRC2:SCRATCH_EN: 0
; COMPUTE_PGM_RSRC2:USER_SGPR: 6
; COMPUTE_PGM_RSRC2:TRAP_HANDLER: 0
; COMPUTE_PGM_RSRC2:TGID_X_EN: 1
; COMPUTE_PGM_RSRC2:TGID_Y_EN: 0
; COMPUTE_PGM_RSRC2:TGID_Z_EN: 0
; COMPUTE_PGM_RSRC2:TIDIG_COMP_CNT: 0
; COMPUTE_PGM_RSRC3_GFX90A:ACCUM_OFFSET: 0
; COMPUTE_PGM_RSRC3_GFX90A:TG_SPLIT: 0
	.section	.text._ZN7rocprim17ROCPRIM_400000_NS6detail17trampoline_kernelINS0_13select_configILj256ELj13ELNS0_17block_load_methodE3ELS4_3ELS4_3ELNS0_20block_scan_algorithmE0ELj4294967295EEENS1_25partition_config_selectorILNS1_17partition_subalgoE4EjNS0_10empty_typeEbEEZZNS1_14partition_implILS8_4ELb0ES6_15HIP_vector_typeIjLj2EENS0_17counting_iteratorIjlEEPS9_SG_NS0_5tupleIJPjSI_NS0_16reverse_iteratorISI_EEEEENSH_IJSG_SG_SG_EEES9_SI_JZNS1_25segmented_radix_sort_implINS0_14default_configELb0EPKbPbPKlPlN2at6native12_GLOBAL__N_18offset_tEEE10hipError_tPvRmT1_PNSt15iterator_traitsIS12_E10value_typeET2_T3_PNS13_IS18_E10value_typeET4_jRbjT5_S1E_jjP12ihipStream_tbEUljE_ZNSN_ISO_Lb0ESQ_SR_ST_SU_SY_EESZ_S10_S11_S12_S16_S17_S18_S1B_S1C_jS1D_jS1E_S1E_jjS1G_bEUljE0_EEESZ_S10_S11_S18_S1C_S1E_T6_T7_T9_mT8_S1G_bDpT10_ENKUlT_T0_E_clISt17integral_constantIbLb0EES1U_EEDaS1P_S1Q_EUlS1P_E_NS1_11comp_targetILNS1_3genE4ELNS1_11target_archE910ELNS1_3gpuE8ELNS1_3repE0EEENS1_30default_config_static_selectorELNS0_4arch9wavefront6targetE1EEEvS12_,"axG",@progbits,_ZN7rocprim17ROCPRIM_400000_NS6detail17trampoline_kernelINS0_13select_configILj256ELj13ELNS0_17block_load_methodE3ELS4_3ELS4_3ELNS0_20block_scan_algorithmE0ELj4294967295EEENS1_25partition_config_selectorILNS1_17partition_subalgoE4EjNS0_10empty_typeEbEEZZNS1_14partition_implILS8_4ELb0ES6_15HIP_vector_typeIjLj2EENS0_17counting_iteratorIjlEEPS9_SG_NS0_5tupleIJPjSI_NS0_16reverse_iteratorISI_EEEEENSH_IJSG_SG_SG_EEES9_SI_JZNS1_25segmented_radix_sort_implINS0_14default_configELb0EPKbPbPKlPlN2at6native12_GLOBAL__N_18offset_tEEE10hipError_tPvRmT1_PNSt15iterator_traitsIS12_E10value_typeET2_T3_PNS13_IS18_E10value_typeET4_jRbjT5_S1E_jjP12ihipStream_tbEUljE_ZNSN_ISO_Lb0ESQ_SR_ST_SU_SY_EESZ_S10_S11_S12_S16_S17_S18_S1B_S1C_jS1D_jS1E_S1E_jjS1G_bEUljE0_EEESZ_S10_S11_S18_S1C_S1E_T6_T7_T9_mT8_S1G_bDpT10_ENKUlT_T0_E_clISt17integral_constantIbLb0EES1U_EEDaS1P_S1Q_EUlS1P_E_NS1_11comp_targetILNS1_3genE4ELNS1_11target_archE910ELNS1_3gpuE8ELNS1_3repE0EEENS1_30default_config_static_selectorELNS0_4arch9wavefront6targetE1EEEvS12_,comdat
	.globl	_ZN7rocprim17ROCPRIM_400000_NS6detail17trampoline_kernelINS0_13select_configILj256ELj13ELNS0_17block_load_methodE3ELS4_3ELS4_3ELNS0_20block_scan_algorithmE0ELj4294967295EEENS1_25partition_config_selectorILNS1_17partition_subalgoE4EjNS0_10empty_typeEbEEZZNS1_14partition_implILS8_4ELb0ES6_15HIP_vector_typeIjLj2EENS0_17counting_iteratorIjlEEPS9_SG_NS0_5tupleIJPjSI_NS0_16reverse_iteratorISI_EEEEENSH_IJSG_SG_SG_EEES9_SI_JZNS1_25segmented_radix_sort_implINS0_14default_configELb0EPKbPbPKlPlN2at6native12_GLOBAL__N_18offset_tEEE10hipError_tPvRmT1_PNSt15iterator_traitsIS12_E10value_typeET2_T3_PNS13_IS18_E10value_typeET4_jRbjT5_S1E_jjP12ihipStream_tbEUljE_ZNSN_ISO_Lb0ESQ_SR_ST_SU_SY_EESZ_S10_S11_S12_S16_S17_S18_S1B_S1C_jS1D_jS1E_S1E_jjS1G_bEUljE0_EEESZ_S10_S11_S18_S1C_S1E_T6_T7_T9_mT8_S1G_bDpT10_ENKUlT_T0_E_clISt17integral_constantIbLb0EES1U_EEDaS1P_S1Q_EUlS1P_E_NS1_11comp_targetILNS1_3genE4ELNS1_11target_archE910ELNS1_3gpuE8ELNS1_3repE0EEENS1_30default_config_static_selectorELNS0_4arch9wavefront6targetE1EEEvS12_ ; -- Begin function _ZN7rocprim17ROCPRIM_400000_NS6detail17trampoline_kernelINS0_13select_configILj256ELj13ELNS0_17block_load_methodE3ELS4_3ELS4_3ELNS0_20block_scan_algorithmE0ELj4294967295EEENS1_25partition_config_selectorILNS1_17partition_subalgoE4EjNS0_10empty_typeEbEEZZNS1_14partition_implILS8_4ELb0ES6_15HIP_vector_typeIjLj2EENS0_17counting_iteratorIjlEEPS9_SG_NS0_5tupleIJPjSI_NS0_16reverse_iteratorISI_EEEEENSH_IJSG_SG_SG_EEES9_SI_JZNS1_25segmented_radix_sort_implINS0_14default_configELb0EPKbPbPKlPlN2at6native12_GLOBAL__N_18offset_tEEE10hipError_tPvRmT1_PNSt15iterator_traitsIS12_E10value_typeET2_T3_PNS13_IS18_E10value_typeET4_jRbjT5_S1E_jjP12ihipStream_tbEUljE_ZNSN_ISO_Lb0ESQ_SR_ST_SU_SY_EESZ_S10_S11_S12_S16_S17_S18_S1B_S1C_jS1D_jS1E_S1E_jjS1G_bEUljE0_EEESZ_S10_S11_S18_S1C_S1E_T6_T7_T9_mT8_S1G_bDpT10_ENKUlT_T0_E_clISt17integral_constantIbLb0EES1U_EEDaS1P_S1Q_EUlS1P_E_NS1_11comp_targetILNS1_3genE4ELNS1_11target_archE910ELNS1_3gpuE8ELNS1_3repE0EEENS1_30default_config_static_selectorELNS0_4arch9wavefront6targetE1EEEvS12_
	.p2align	8
	.type	_ZN7rocprim17ROCPRIM_400000_NS6detail17trampoline_kernelINS0_13select_configILj256ELj13ELNS0_17block_load_methodE3ELS4_3ELS4_3ELNS0_20block_scan_algorithmE0ELj4294967295EEENS1_25partition_config_selectorILNS1_17partition_subalgoE4EjNS0_10empty_typeEbEEZZNS1_14partition_implILS8_4ELb0ES6_15HIP_vector_typeIjLj2EENS0_17counting_iteratorIjlEEPS9_SG_NS0_5tupleIJPjSI_NS0_16reverse_iteratorISI_EEEEENSH_IJSG_SG_SG_EEES9_SI_JZNS1_25segmented_radix_sort_implINS0_14default_configELb0EPKbPbPKlPlN2at6native12_GLOBAL__N_18offset_tEEE10hipError_tPvRmT1_PNSt15iterator_traitsIS12_E10value_typeET2_T3_PNS13_IS18_E10value_typeET4_jRbjT5_S1E_jjP12ihipStream_tbEUljE_ZNSN_ISO_Lb0ESQ_SR_ST_SU_SY_EESZ_S10_S11_S12_S16_S17_S18_S1B_S1C_jS1D_jS1E_S1E_jjS1G_bEUljE0_EEESZ_S10_S11_S18_S1C_S1E_T6_T7_T9_mT8_S1G_bDpT10_ENKUlT_T0_E_clISt17integral_constantIbLb0EES1U_EEDaS1P_S1Q_EUlS1P_E_NS1_11comp_targetILNS1_3genE4ELNS1_11target_archE910ELNS1_3gpuE8ELNS1_3repE0EEENS1_30default_config_static_selectorELNS0_4arch9wavefront6targetE1EEEvS12_,@function
_ZN7rocprim17ROCPRIM_400000_NS6detail17trampoline_kernelINS0_13select_configILj256ELj13ELNS0_17block_load_methodE3ELS4_3ELS4_3ELNS0_20block_scan_algorithmE0ELj4294967295EEENS1_25partition_config_selectorILNS1_17partition_subalgoE4EjNS0_10empty_typeEbEEZZNS1_14partition_implILS8_4ELb0ES6_15HIP_vector_typeIjLj2EENS0_17counting_iteratorIjlEEPS9_SG_NS0_5tupleIJPjSI_NS0_16reverse_iteratorISI_EEEEENSH_IJSG_SG_SG_EEES9_SI_JZNS1_25segmented_radix_sort_implINS0_14default_configELb0EPKbPbPKlPlN2at6native12_GLOBAL__N_18offset_tEEE10hipError_tPvRmT1_PNSt15iterator_traitsIS12_E10value_typeET2_T3_PNS13_IS18_E10value_typeET4_jRbjT5_S1E_jjP12ihipStream_tbEUljE_ZNSN_ISO_Lb0ESQ_SR_ST_SU_SY_EESZ_S10_S11_S12_S16_S17_S18_S1B_S1C_jS1D_jS1E_S1E_jjS1G_bEUljE0_EEESZ_S10_S11_S18_S1C_S1E_T6_T7_T9_mT8_S1G_bDpT10_ENKUlT_T0_E_clISt17integral_constantIbLb0EES1U_EEDaS1P_S1Q_EUlS1P_E_NS1_11comp_targetILNS1_3genE4ELNS1_11target_archE910ELNS1_3gpuE8ELNS1_3repE0EEENS1_30default_config_static_selectorELNS0_4arch9wavefront6targetE1EEEvS12_: ; @_ZN7rocprim17ROCPRIM_400000_NS6detail17trampoline_kernelINS0_13select_configILj256ELj13ELNS0_17block_load_methodE3ELS4_3ELS4_3ELNS0_20block_scan_algorithmE0ELj4294967295EEENS1_25partition_config_selectorILNS1_17partition_subalgoE4EjNS0_10empty_typeEbEEZZNS1_14partition_implILS8_4ELb0ES6_15HIP_vector_typeIjLj2EENS0_17counting_iteratorIjlEEPS9_SG_NS0_5tupleIJPjSI_NS0_16reverse_iteratorISI_EEEEENSH_IJSG_SG_SG_EEES9_SI_JZNS1_25segmented_radix_sort_implINS0_14default_configELb0EPKbPbPKlPlN2at6native12_GLOBAL__N_18offset_tEEE10hipError_tPvRmT1_PNSt15iterator_traitsIS12_E10value_typeET2_T3_PNS13_IS18_E10value_typeET4_jRbjT5_S1E_jjP12ihipStream_tbEUljE_ZNSN_ISO_Lb0ESQ_SR_ST_SU_SY_EESZ_S10_S11_S12_S16_S17_S18_S1B_S1C_jS1D_jS1E_S1E_jjS1G_bEUljE0_EEESZ_S10_S11_S18_S1C_S1E_T6_T7_T9_mT8_S1G_bDpT10_ENKUlT_T0_E_clISt17integral_constantIbLb0EES1U_EEDaS1P_S1Q_EUlS1P_E_NS1_11comp_targetILNS1_3genE4ELNS1_11target_archE910ELNS1_3gpuE8ELNS1_3repE0EEENS1_30default_config_static_selectorELNS0_4arch9wavefront6targetE1EEEvS12_
; %bb.0:
	s_load_dwordx2 s[0:1], s[4:5], 0x68
	s_load_dword s7, s[4:5], 0x8
	s_load_dwordx2 s[56:57], s[4:5], 0x10
	s_load_dwordx4 s[44:47], s[4:5], 0x58
	s_mul_i32 s33, s6, 0xd00
	s_waitcnt lgkmcnt(0)
	v_mov_b32_e32 v3, s1
	v_mov_b32_e32 v2, s0
	s_load_dword s1, s[4:5], 0x80
	s_load_dwordx2 s[60:61], s[4:5], 0xa8
	s_load_dwordx8 s[36:43], s[4:5], 0x88
	s_load_dwordx4 s[48:51], s[46:47], 0x0
	s_waitcnt lgkmcnt(0)
	s_add_i32 s8, s1, -1
	s_mulk_i32 s1, 0xd00
	s_add_u32 s2, s56, s1
	s_addc_u32 s3, s57, 0
	s_cmp_eq_u32 s6, s8
	s_cselect_b64 s[30:31], -1, 0
	s_cmp_lg_u32 s6, s8
	v_cmp_lt_u64_e32 vcc, s[2:3], v[2:3]
	s_cselect_b64 s[2:3], -1, 0
	s_add_i32 s7, s7, s33
	s_or_b64 s[2:3], s[2:3], vcc
	s_add_i32 s7, s7, s56
	v_add_u32_e32 v1, s7, v0
	s_mov_b64 s[8:9], -1
	s_and_b64 vcc, exec, s[2:3]
	s_cbranch_vccz .LBB1571_2
; %bb.1:
	v_add_u32_e32 v2, 0x100, v1
	v_lshlrev_b32_e32 v14, 2, v0
	v_add_u32_e32 v3, 0x200, v1
	v_add_u32_e32 v4, 0x300, v1
	;; [unrolled: 1-line block ×11, first 2 shown]
	ds_write2st64_b32 v14, v1, v2 offset1:4
	ds_write2st64_b32 v14, v3, v4 offset0:8 offset1:12
	ds_write2st64_b32 v14, v5, v6 offset0:16 offset1:20
	;; [unrolled: 1-line block ×5, first 2 shown]
	ds_write_b32 v14, v13 offset:12288
	s_waitcnt lgkmcnt(0)
	s_barrier
	s_mov_b64 s[8:9], 0
.LBB1571_2:
	s_andn2_b64 vcc, exec, s[8:9]
	s_add_i32 s1, s1, s56
	s_cbranch_vccnz .LBB1571_4
; %bb.3:
	v_add_u32_e32 v2, 0x100, v1
	v_lshlrev_b32_e32 v14, 2, v0
	v_add_u32_e32 v3, 0x200, v1
	v_add_u32_e32 v4, 0x300, v1
	;; [unrolled: 1-line block ×11, first 2 shown]
	ds_write2st64_b32 v14, v1, v2 offset1:4
	ds_write2st64_b32 v14, v3, v4 offset0:8 offset1:12
	ds_write2st64_b32 v14, v5, v6 offset0:16 offset1:20
	;; [unrolled: 1-line block ×5, first 2 shown]
	ds_write_b32 v14, v13 offset:12288
	s_waitcnt lgkmcnt(0)
	s_barrier
.LBB1571_4:
	v_mul_u32_u24_e32 v31, 13, v0
	v_lshlrev_b32_e32 v1, 2, v31
	s_load_dwordx4 s[52:55], s[4:5], 0x28
	s_load_dwordx2 s[34:35], s[4:5], 0x38
	s_waitcnt lgkmcnt(0)
	ds_read2_b32 v[18:19], v1 offset1:1
	ds_read2_b32 v[16:17], v1 offset0:2 offset1:3
	ds_read2_b32 v[14:15], v1 offset0:4 offset1:5
	;; [unrolled: 1-line block ×5, first 2 shown]
	ds_read_b32 v30, v1 offset:48
	v_cndmask_b32_e64 v1, 0, 1, s[2:3]
	s_sub_i32 s7, s0, s1
	v_cmp_ne_u32_e64 s[0:1], 1, v1
	s_andn2_b64 vcc, exec, s[2:3]
	s_waitcnt lgkmcnt(0)
	s_barrier
	s_cbranch_vccnz .LBB1571_32
; %bb.5:
	v_add_u32_e32 v1, s37, v18
	v_add_u32_e32 v2, s39, v18
	v_mul_lo_u32 v1, v1, s36
	v_mul_lo_u32 v2, v2, s38
	v_sub_u32_e32 v1, v1, v2
	v_cmp_lt_u32_e32 vcc, s40, v1
	v_cmp_ge_u32_e64 s[2:3], s40, v1
	s_mov_b64 s[64:65], 0
	s_mov_b64 s[62:63], 0
	s_and_saveexec_b64 s[8:9], s[2:3]
; %bb.6:
	v_add_u32_e32 v1, s42, v18
	v_add_u32_e32 v2, s60, v18
	v_mul_lo_u32 v1, v1, s41
	v_mul_lo_u32 v2, v2, s43
	v_sub_u32_e32 v1, v1, v2
	v_cmp_lt_u32_e64 s[2:3], s61, v1
	s_and_b64 s[62:63], s[2:3], exec
; %bb.7:
	s_or_b64 exec, exec, s[8:9]
	v_add_u32_e32 v1, s37, v19
	v_add_u32_e32 v2, s39, v19
	v_mul_lo_u32 v1, v1, s36
	v_mul_lo_u32 v2, v2, s38
	v_sub_u32_e32 v1, v1, v2
	v_cmp_lt_u32_e64 s[2:3], s40, v1
	v_cmp_ge_u32_e64 s[8:9], s40, v1
	s_and_saveexec_b64 s[10:11], s[8:9]
; %bb.8:
	v_add_u32_e32 v1, s42, v19
	v_add_u32_e32 v2, s60, v19
	v_mul_lo_u32 v1, v1, s41
	v_mul_lo_u32 v2, v2, s43
	v_sub_u32_e32 v1, v1, v2
	v_cmp_lt_u32_e64 s[8:9], s61, v1
	s_and_b64 s[64:65], s[8:9], exec
; %bb.9:
	s_or_b64 exec, exec, s[10:11]
	v_add_u32_e32 v1, s37, v16
	v_add_u32_e32 v2, s39, v16
	v_mul_lo_u32 v1, v1, s36
	v_mul_lo_u32 v2, v2, s38
	v_sub_u32_e32 v1, v1, v2
	v_cmp_lt_u32_e64 s[26:27], s40, v1
	v_cmp_ge_u32_e64 s[8:9], s40, v1
	s_mov_b64 s[68:69], 0
	s_mov_b64 s[66:67], 0
	s_and_saveexec_b64 s[10:11], s[8:9]
; %bb.10:
	v_add_u32_e32 v1, s42, v16
	v_add_u32_e32 v2, s60, v16
	v_mul_lo_u32 v1, v1, s41
	v_mul_lo_u32 v2, v2, s43
	v_sub_u32_e32 v1, v1, v2
	v_cmp_lt_u32_e64 s[8:9], s61, v1
	s_and_b64 s[66:67], s[8:9], exec
; %bb.11:
	s_or_b64 exec, exec, s[10:11]
	v_add_u32_e32 v1, s37, v17
	v_add_u32_e32 v2, s39, v17
	v_mul_lo_u32 v1, v1, s36
	v_mul_lo_u32 v2, v2, s38
	v_sub_u32_e32 v1, v1, v2
	v_cmp_lt_u32_e64 s[8:9], s40, v1
	v_cmp_ge_u32_e64 s[10:11], s40, v1
	s_and_saveexec_b64 s[12:13], s[10:11]
; %bb.12:
	v_add_u32_e32 v1, s42, v17
	v_add_u32_e32 v2, s60, v17
	v_mul_lo_u32 v1, v1, s41
	v_mul_lo_u32 v2, v2, s43
	v_sub_u32_e32 v1, v1, v2
	v_cmp_lt_u32_e64 s[10:11], s61, v1
	s_and_b64 s[68:69], s[10:11], exec
; %bb.13:
	s_or_b64 exec, exec, s[12:13]
	v_add_u32_e32 v1, s37, v14
	v_add_u32_e32 v2, s39, v14
	v_mul_lo_u32 v1, v1, s36
	v_mul_lo_u32 v2, v2, s38
	v_sub_u32_e32 v1, v1, v2
	v_cmp_lt_u32_e64 s[10:11], s40, v1
	;; [unrolled: 38-line block ×5, first 2 shown]
	v_cmp_ge_u32_e64 s[24:25], s40, v1
	s_mov_b64 s[84:85], 0
	s_mov_b64 s[86:87], 0
	s_and_saveexec_b64 s[28:29], s[24:25]
; %bb.26:
	v_add_u32_e32 v1, s42, v8
	v_add_u32_e32 v2, s60, v8
	v_mul_lo_u32 v1, v1, s41
	v_mul_lo_u32 v2, v2, s43
	v_sub_u32_e32 v1, v1, v2
	v_cmp_lt_u32_e64 s[24:25], s61, v1
	s_and_b64 s[86:87], s[24:25], exec
; %bb.27:
	s_or_b64 exec, exec, s[28:29]
	v_add_u32_e32 v1, s37, v9
	v_add_u32_e32 v2, s39, v9
	v_mul_lo_u32 v1, v1, s36
	v_mul_lo_u32 v2, v2, s38
	v_sub_u32_e32 v1, v1, v2
	v_cmp_lt_u32_e64 s[24:25], s40, v1
	v_cmp_ge_u32_e64 s[28:29], s40, v1
	s_and_saveexec_b64 s[46:47], s[28:29]
; %bb.28:
	v_add_u32_e32 v1, s42, v9
	v_add_u32_e32 v2, s60, v9
	v_mul_lo_u32 v1, v1, s41
	v_mul_lo_u32 v2, v2, s43
	v_sub_u32_e32 v1, v1, v2
	v_cmp_lt_u32_e64 s[28:29], s61, v1
	s_and_b64 s[84:85], s[28:29], exec
; %bb.29:
	s_or_b64 exec, exec, s[46:47]
	v_add_u32_e32 v1, s37, v30
	v_add_u32_e32 v2, s39, v30
	v_mul_lo_u32 v1, v1, s36
	v_mul_lo_u32 v2, v2, s38
	v_sub_u32_e32 v1, v1, v2
	v_cmp_ge_u32_e64 s[28:29], s40, v1
	s_mov_b64 s[46:47], -1
	s_mov_b64 s[78:79], 0
	s_mov_b64 s[58:59], 0
	s_and_saveexec_b64 s[88:89], s[28:29]
; %bb.30:
	v_add_u32_e32 v1, s42, v30
	v_add_u32_e32 v2, s60, v30
	v_mul_lo_u32 v1, v1, s41
	v_mul_lo_u32 v2, v2, s43
	v_sub_u32_e32 v1, v1, v2
	v_cmp_lt_u32_e64 s[28:29], s61, v1
	s_and_b64 s[58:59], s[28:29], exec
	s_xor_b64 s[46:47], exec, -1
; %bb.31:
	s_or_b64 exec, exec, s[88:89]
	v_cndmask_b32_e64 v52, 0, 1, s[86:87]
	v_cndmask_b32_e64 v55, 0, 1, s[24:25]
	;; [unrolled: 1-line block ×22, first 2 shown]
	v_cndmask_b32_e64 v32, 0, 1, vcc
	v_cndmask_b32_e64 v54, 0, 1, s[84:85]
	s_load_dwordx2 s[12:13], s[4:5], 0x78
	s_add_i32 s18, s7, 0xd00
	s_and_b64 vcc, exec, s[78:79]
	s_cbranch_vccnz .LBB1571_33
	s_branch .LBB1571_86
.LBB1571_32:
                                        ; implicit-def: $sgpr46_sgpr47
                                        ; implicit-def: $sgpr58_sgpr59
                                        ; implicit-def: $vgpr54
                                        ; implicit-def: $vgpr52
                                        ; implicit-def: $vgpr50
                                        ; implicit-def: $vgpr48
                                        ; implicit-def: $vgpr46
                                        ; implicit-def: $vgpr44
                                        ; implicit-def: $vgpr42
                                        ; implicit-def: $vgpr40
                                        ; implicit-def: $vgpr38
                                        ; implicit-def: $vgpr32
                                        ; implicit-def: $vgpr34
                                        ; implicit-def: $vgpr36
                                        ; implicit-def: $vgpr39
                                        ; implicit-def: $vgpr41
                                        ; implicit-def: $vgpr43
                                        ; implicit-def: $vgpr45
                                        ; implicit-def: $vgpr47
                                        ; implicit-def: $vgpr49
                                        ; implicit-def: $vgpr51
                                        ; implicit-def: $vgpr53
                                        ; implicit-def: $vgpr55
                                        ; implicit-def: $vgpr33
                                        ; implicit-def: $vgpr35
                                        ; implicit-def: $vgpr37
	s_load_dwordx2 s[12:13], s[4:5], 0x78
	s_add_i32 s18, s7, 0xd00
	s_cbranch_execz .LBB1571_86
.LBB1571_33:
	v_cmp_gt_u32_e32 vcc, s18, v31
	v_mov_b32_e32 v33, 0
	v_mov_b32_e32 v32, 0
	s_and_saveexec_b64 s[4:5], vcc
	s_cbranch_execz .LBB1571_37
; %bb.34:
	v_add_u32_e32 v1, s37, v18
	v_add_u32_e32 v2, s39, v18
	v_mul_lo_u32 v1, v1, s36
	v_mul_lo_u32 v2, v2, s38
	v_sub_u32_e32 v1, v1, v2
	v_cmp_lt_u32_e32 vcc, s40, v1
	v_cmp_ge_u32_e64 s[2:3], s40, v1
	s_mov_b64 s[10:11], 0
	s_and_saveexec_b64 s[8:9], s[2:3]
; %bb.35:
	v_add_u32_e32 v1, s42, v18
	v_add_u32_e32 v2, s60, v18
	v_mul_lo_u32 v1, v1, s41
	v_mul_lo_u32 v2, v2, s43
	v_sub_u32_e32 v1, v1, v2
	v_cmp_lt_u32_e64 s[2:3], s61, v1
	s_and_b64 s[10:11], s[2:3], exec
; %bb.36:
	s_or_b64 exec, exec, s[8:9]
	v_cndmask_b32_e64 v32, 0, 1, vcc
	v_cndmask_b32_e64 v33, 0, 1, s[10:11]
.LBB1571_37:
	s_or_b64 exec, exec, s[4:5]
	v_add_u32_e32 v1, 1, v31
	v_cmp_gt_u32_e32 vcc, s18, v1
	v_mov_b32_e32 v34, 0
	v_mov_b32_e32 v35, 0
	s_and_saveexec_b64 s[4:5], vcc
	s_cbranch_execz .LBB1571_41
; %bb.38:
	v_add_u32_e32 v1, s37, v19
	v_add_u32_e32 v2, s39, v19
	v_mul_lo_u32 v1, v1, s36
	v_mul_lo_u32 v2, v2, s38
	v_sub_u32_e32 v1, v1, v2
	v_cmp_lt_u32_e32 vcc, s40, v1
	v_cmp_ge_u32_e64 s[2:3], s40, v1
	s_mov_b64 s[10:11], 0
	s_and_saveexec_b64 s[8:9], s[2:3]
; %bb.39:
	v_add_u32_e32 v1, s42, v19
	v_add_u32_e32 v2, s60, v19
	v_mul_lo_u32 v1, v1, s41
	v_mul_lo_u32 v2, v2, s43
	v_sub_u32_e32 v1, v1, v2
	v_cmp_lt_u32_e64 s[2:3], s61, v1
	s_and_b64 s[10:11], s[2:3], exec
; %bb.40:
	s_or_b64 exec, exec, s[8:9]
	v_cndmask_b32_e64 v34, 0, 1, vcc
	v_cndmask_b32_e64 v35, 0, 1, s[10:11]
.LBB1571_41:
	s_or_b64 exec, exec, s[4:5]
	v_add_u32_e32 v1, 2, v31
	;; [unrolled: 30-line block ×12, first 2 shown]
	v_cmp_gt_u32_e32 vcc, s18, v1
	s_mov_b64 s[46:47], 0
	s_mov_b64 s[58:59], 0
	s_and_saveexec_b64 s[2:3], vcc
	s_cbranch_execz .LBB1571_85
; %bb.82:
	v_add_u32_e32 v1, s37, v30
	v_add_u32_e32 v2, s39, v30
	v_mul_lo_u32 v1, v1, s36
	v_mul_lo_u32 v2, v2, s38
	v_sub_u32_e32 v1, v1, v2
	v_cmp_ge_u32_e32 vcc, s40, v1
	s_mov_b64 s[8:9], -1
	s_mov_b64 s[10:11], 0
	s_and_saveexec_b64 s[4:5], vcc
; %bb.83:
	v_add_u32_e32 v1, s42, v30
	v_add_u32_e32 v2, s60, v30
	v_mul_lo_u32 v1, v1, s41
	v_mul_lo_u32 v2, v2, s43
	v_sub_u32_e32 v1, v1, v2
	v_cmp_lt_u32_e32 vcc, s61, v1
	s_and_b64 s[10:11], vcc, exec
	s_xor_b64 s[8:9], exec, -1
; %bb.84:
	s_or_b64 exec, exec, s[4:5]
	s_and_b64 s[58:59], s[10:11], exec
	s_and_b64 s[46:47], s[8:9], exec
.LBB1571_85:
	s_or_b64 exec, exec, s[2:3]
.LBB1571_86:
	v_and_b32_e32 v63, 0xff, v33
	v_and_b32_e32 v74, 0xff, v35
	;; [unrolled: 1-line block ×5, first 2 shown]
	v_add3_u32 v2, v74, v65, v63
	v_and_b32_e32 v76, 0xff, v42
	v_and_b32_e32 v69, 0xff, v44
	v_add3_u32 v2, v2, v75, v67
	v_and_b32_e32 v62, 0xff, v32
	v_and_b32_e32 v56, 0xff, v34
	;; [unrolled: 1-line block ×5, first 2 shown]
	v_add3_u32 v2, v2, v76, v69
	v_and_b32_e32 v57, 0xff, v39
	v_and_b32_e32 v66, 0xff, v41
	;; [unrolled: 1-line block ×4, first 2 shown]
	v_add3_u32 v3, v56, v64, v62
	v_add3_u32 v2, v2, v77, v71
	v_and_b32_e32 v58, 0xff, v43
	v_and_b32_e32 v68, 0xff, v45
	;; [unrolled: 1-line block ×3, first 2 shown]
	v_cndmask_b32_e64 v1, 0, 1, s[58:59]
	v_add3_u32 v3, v3, v57, v66
	v_add3_u32 v2, v2, v78, v73
	v_and_b32_e32 v59, 0xff, v47
	v_and_b32_e32 v70, 0xff, v49
	v_add3_u32 v3, v3, v58, v68
	v_add3_u32 v86, v2, v79, v1
	v_mbcnt_lo_u32_b32 v1, -1, 0
	v_and_b32_e32 v60, 0xff, v51
	v_and_b32_e32 v72, 0xff, v53
	v_add3_u32 v3, v3, v59, v70
	v_mbcnt_hi_u32_b32 v80, -1, v1
	v_and_b32_e32 v61, 0xff, v55
	v_add3_u32 v3, v3, v60, v72
	v_cndmask_b32_e64 v4, 0, 1, s[46:47]
	v_and_b32_e32 v84, 15, v80
	s_cmp_lg_u32 s6, 0
	v_add3_u32 v85, v3, v61, v4
	v_cmp_eq_u32_e64 s[4:5], 0, v84
	v_cmp_lt_u32_e64 s[2:3], 1, v84
	v_cmp_lt_u32_e64 s[8:9], 3, v84
	;; [unrolled: 1-line block ×3, first 2 shown]
	v_and_b32_e32 v83, 16, v80
	v_cmp_lt_u32_e32 vcc, 31, v80
	v_lshrrev_b32_e32 v81, 6, v0
	v_or_b32_e32 v82, 63, v0
	s_cbranch_scc0 .LBB1571_115
; %bb.87:
	v_mov_b32_dpp v1, v85 row_shr:1 row_mask:0xf bank_mask:0xf
	v_mov_b32_dpp v2, v86 row_shr:1 row_mask:0xf bank_mask:0xf
	v_add_u32_e32 v1, v1, v85
	v_add_u32_e32 v2, v2, v86
	v_cndmask_b32_e64 v2, v2, v86, s[4:5]
	v_cndmask_b32_e64 v1, v1, v85, s[4:5]
	s_nop 0
	v_mov_b32_dpp v4, v2 row_shr:2 row_mask:0xf bank_mask:0xf
	v_mov_b32_dpp v3, v1 row_shr:2 row_mask:0xf bank_mask:0xf
	v_add_u32_e32 v3, v1, v3
	v_add_u32_e32 v4, v2, v4
	v_cndmask_b32_e64 v2, v2, v4, s[2:3]
	v_cndmask_b32_e64 v1, v1, v3, s[2:3]
	s_nop 0
	v_mov_b32_dpp v4, v2 row_shr:4 row_mask:0xf bank_mask:0xf
	v_mov_b32_dpp v3, v1 row_shr:4 row_mask:0xf bank_mask:0xf
	v_add_u32_e32 v3, v1, v3
	v_add_u32_e32 v4, v2, v4
	v_cndmask_b32_e64 v2, v2, v4, s[8:9]
	v_cndmask_b32_e64 v1, v1, v3, s[8:9]
	v_cmp_eq_u32_e64 s[8:9], 0, v83
	v_mov_b32_dpp v4, v2 row_shr:8 row_mask:0xf bank_mask:0xf
	v_mov_b32_dpp v3, v1 row_shr:8 row_mask:0xf bank_mask:0xf
	v_add_u32_e32 v3, v1, v3
	v_add_u32_e32 v4, v2, v4
	v_cndmask_b32_e64 v2, v2, v4, s[10:11]
	v_cndmask_b32_e64 v1, v1, v3, s[10:11]
	s_nop 0
	v_mov_b32_dpp v4, v2 row_bcast:15 row_mask:0xf bank_mask:0xf
	v_mov_b32_dpp v3, v1 row_bcast:15 row_mask:0xf bank_mask:0xf
	v_add_u32_e32 v3, v1, v3
	v_add_u32_e32 v4, v2, v4
	v_cndmask_b32_e64 v2, v4, v2, s[8:9]
	v_cndmask_b32_e64 v1, v3, v1, s[8:9]
	s_nop 0
	v_mov_b32_dpp v4, v2 row_bcast:31 row_mask:0xf bank_mask:0xf
	v_mov_b32_dpp v3, v1 row_bcast:31 row_mask:0xf bank_mask:0xf
	v_add_u32_e32 v4, v2, v4
	v_add_u32_e32 v5, v1, v3
	v_cndmask_b32_e32 v3, v2, v4, vcc
	v_cndmask_b32_e32 v2, v1, v5, vcc
	v_cmp_eq_u32_e32 vcc, v82, v0
	s_and_saveexec_b64 s[8:9], vcc
	s_cbranch_execz .LBB1571_89
; %bb.88:
	v_lshlrev_b32_e32 v1, 3, v81
	ds_write_b64 v1, v[2:3]
.LBB1571_89:
	s_or_b64 exec, exec, s[8:9]
	v_cmp_gt_u32_e32 vcc, 4, v0
	s_waitcnt lgkmcnt(0)
	s_barrier
	s_and_saveexec_b64 s[8:9], vcc
	s_cbranch_execz .LBB1571_91
; %bb.90:
	v_lshlrev_b32_e32 v1, 3, v0
	ds_read_b64 v[4:5], v1
	v_and_b32_e32 v6, 3, v80
	v_cmp_eq_u32_e32 vcc, 0, v6
	s_waitcnt lgkmcnt(0)
	v_mov_b32_dpp v7, v4 row_shr:1 row_mask:0xf bank_mask:0xf
	v_mov_b32_dpp v20, v5 row_shr:1 row_mask:0xf bank_mask:0xf
	v_add_u32_e32 v7, v7, v4
	v_add_u32_e32 v20, v20, v5
	v_cndmask_b32_e32 v5, v20, v5, vcc
	v_cndmask_b32_e32 v4, v7, v4, vcc
	v_cmp_lt_u32_e32 vcc, 1, v6
	v_mov_b32_dpp v20, v5 row_shr:2 row_mask:0xf bank_mask:0xf
	v_mov_b32_dpp v7, v4 row_shr:2 row_mask:0xf bank_mask:0xf
	v_cndmask_b32_e32 v6, 0, v7, vcc
	v_cndmask_b32_e32 v7, 0, v20, vcc
	v_add_u32_e32 v5, v7, v5
	v_add_u32_e32 v4, v6, v4
	ds_write_b64 v1, v[4:5]
.LBB1571_91:
	s_or_b64 exec, exec, s[8:9]
	v_cmp_gt_u32_e32 vcc, 64, v0
	v_cmp_lt_u32_e64 s[8:9], 63, v0
	s_waitcnt lgkmcnt(0)
	s_barrier
	s_waitcnt lgkmcnt(0)
                                        ; implicit-def: $vgpr21
	s_and_saveexec_b64 s[10:11], s[8:9]
	s_xor_b64 s[8:9], exec, s[10:11]
	s_cbranch_execz .LBB1571_93
; %bb.92:
	v_lshl_add_u32 v1, v81, 3, -8
	ds_read_b64 v[20:21], v1
	s_waitcnt lgkmcnt(0)
	v_add_u32_e32 v3, v21, v3
	v_add_u32_e32 v2, v20, v2
.LBB1571_93:
	s_andn2_saveexec_b64 s[8:9], s[8:9]
; %bb.94:
                                        ; implicit-def: $vgpr20
; %bb.95:
	s_or_b64 exec, exec, s[8:9]
	v_add_u32_e32 v1, -1, v80
	v_and_b32_e32 v4, 64, v80
	v_cmp_lt_i32_e64 s[8:9], v1, v4
	v_cndmask_b32_e64 v1, v1, v80, s[8:9]
	v_lshlrev_b32_e32 v4, 2, v1
	ds_bpermute_b32 v1, v4, v2
	ds_bpermute_b32 v87, v4, v3
	v_cmp_eq_u32_e64 s[8:9], 0, v80
	s_and_saveexec_b64 s[10:11], vcc
	s_cbranch_execz .LBB1571_114
; %bb.96:
	v_mov_b32_e32 v7, 0
	ds_read_b64 v[22:23], v7 offset:24
	s_and_saveexec_b64 s[14:15], s[8:9]
	s_cbranch_execz .LBB1571_98
; %bb.97:
	s_add_i32 s16, s6, 64
	s_mov_b32 s17, 0
	s_lshl_b64 s[16:17], s[16:17], 4
	s_waitcnt lgkmcnt(0)
	v_and_b32_e32 v2, 0xff000000, v23
	v_and_b32_e32 v3, 0xff0000, v23
	s_add_u32 s16, s12, s16
	v_or_b32_e32 v2, v3, v2
	v_and_b32_e32 v3, 0xff00, v23
	s_addc_u32 s17, s13, s17
	v_or_b32_e32 v2, v2, v3
	v_or_b32_sdwa v5, v2, v23 dst_sel:DWORD dst_unused:UNUSED_PAD src0_sel:DWORD src1_sel:BYTE_0
	v_mov_b32_e32 v6, 1
	v_mov_b32_e32 v4, v22
	v_pk_mov_b32 v[2:3], s[16:17], s[16:17] op_sel:[0,1]
	;;#ASMSTART
	global_store_dwordx4 v[2:3], v[4:7] off	
s_waitcnt vmcnt(0)
	;;#ASMEND
.LBB1571_98:
	s_or_b64 exec, exec, s[14:15]
	v_xad_u32 v24, v80, -1, s6
	v_add_u32_e32 v6, 64, v24
	v_lshlrev_b64 v[2:3], 4, v[6:7]
	v_mov_b32_e32 v4, s13
	v_add_co_u32_e32 v26, vcc, s12, v2
	v_addc_co_u32_e32 v27, vcc, v4, v3, vcc
	;;#ASMSTART
	global_load_dwordx4 v[2:5], v[26:27] off glc	
s_waitcnt vmcnt(0)
	;;#ASMEND
	v_and_b32_e32 v5, 0xff, v3
	v_and_b32_e32 v6, 0xff00, v3
	v_or3_b32 v5, 0, v5, v6
	v_or3_b32 v2, v2, 0, 0
	v_and_b32_e32 v6, 0xff000000, v3
	v_and_b32_e32 v3, 0xff0000, v3
	v_or3_b32 v3, v5, v3, v6
	v_or3_b32 v2, v2, 0, 0
	v_cmp_eq_u16_sdwa s[16:17], v4, v7 src0_sel:BYTE_0 src1_sel:DWORD
	s_and_saveexec_b64 s[14:15], s[16:17]
	s_cbranch_execz .LBB1571_102
; %bb.99:
	s_mov_b64 s[16:17], 0
	v_mov_b32_e32 v6, 0
.LBB1571_100:                           ; =>This Inner Loop Header: Depth=1
	;;#ASMSTART
	global_load_dwordx4 v[2:5], v[26:27] off glc	
s_waitcnt vmcnt(0)
	;;#ASMEND
	v_cmp_ne_u16_sdwa s[20:21], v4, v6 src0_sel:BYTE_0 src1_sel:DWORD
	s_or_b64 s[16:17], s[20:21], s[16:17]
	s_andn2_b64 exec, exec, s[16:17]
	s_cbranch_execnz .LBB1571_100
; %bb.101:
	s_or_b64 exec, exec, s[16:17]
.LBB1571_102:
	s_or_b64 exec, exec, s[14:15]
	v_and_b32_e32 v89, 63, v80
	v_cmp_ne_u32_e32 vcc, 63, v89
	v_mov_b32_e32 v88, 2
	v_addc_co_u32_e32 v26, vcc, 0, v80, vcc
	v_cmp_eq_u16_sdwa s[14:15], v4, v88 src0_sel:BYTE_0 src1_sel:DWORD
	v_lshlrev_b64 v[6:7], v80, -1
	v_lshlrev_b32_e32 v90, 2, v26
	v_and_b32_e32 v5, s15, v7
	ds_bpermute_b32 v26, v90, v2
	ds_bpermute_b32 v27, v90, v3
	v_or_b32_e32 v5, 0x80000000, v5
	v_and_b32_e32 v25, s14, v6
	v_ffbl_b32_e32 v5, v5
	v_add_u32_e32 v5, 32, v5
	v_ffbl_b32_e32 v25, v25
	v_min_u32_e32 v5, v25, v5
	s_waitcnt lgkmcnt(1)
	v_add_u32_e32 v25, v26, v2
	s_waitcnt lgkmcnt(0)
	v_add_u32_e32 v26, v27, v3
	v_cmp_lt_u32_e32 vcc, v89, v5
	v_cndmask_b32_e32 v3, v3, v26, vcc
	v_cndmask_b32_e32 v2, v2, v25, vcc
	v_cmp_gt_u32_e32 vcc, 62, v89
	v_cndmask_b32_e64 v25, 0, 1, vcc
	v_lshlrev_b32_e32 v25, 1, v25
	v_add_lshl_u32 v91, v25, v80, 2
	ds_bpermute_b32 v25, v91, v2
	ds_bpermute_b32 v26, v91, v3
	v_add_u32_e32 v92, 2, v89
	v_cmp_gt_u32_e32 vcc, v92, v5
	v_add_u32_e32 v94, 4, v89
	s_waitcnt lgkmcnt(1)
	v_add_u32_e32 v25, v2, v25
	s_waitcnt lgkmcnt(0)
	v_add_u32_e32 v26, v3, v26
	v_cndmask_b32_e32 v3, v26, v3, vcc
	v_cndmask_b32_e32 v2, v25, v2, vcc
	v_cmp_gt_u32_e32 vcc, 60, v89
	v_cndmask_b32_e64 v25, 0, 1, vcc
	v_lshlrev_b32_e32 v25, 2, v25
	v_add_lshl_u32 v93, v25, v80, 2
	ds_bpermute_b32 v25, v93, v2
	ds_bpermute_b32 v26, v93, v3
	v_cmp_gt_u32_e32 vcc, v94, v5
	v_add_u32_e32 v96, 8, v89
	v_add_u32_e32 v98, 16, v89
	s_waitcnt lgkmcnt(1)
	v_add_u32_e32 v25, v2, v25
	s_waitcnt lgkmcnt(0)
	v_add_u32_e32 v26, v3, v26
	v_cndmask_b32_e32 v3, v26, v3, vcc
	v_cndmask_b32_e32 v2, v25, v2, vcc
	v_cmp_gt_u32_e32 vcc, 56, v89
	v_cndmask_b32_e64 v25, 0, 1, vcc
	v_lshlrev_b32_e32 v25, 3, v25
	v_add_lshl_u32 v95, v25, v80, 2
	ds_bpermute_b32 v25, v95, v2
	ds_bpermute_b32 v26, v95, v3
	v_cmp_gt_u32_e32 vcc, v96, v5
	v_add_u32_e32 v100, 32, v89
	s_waitcnt lgkmcnt(1)
	v_add_u32_e32 v25, v2, v25
	s_waitcnt lgkmcnt(0)
	v_add_u32_e32 v26, v3, v26
	v_cndmask_b32_e32 v3, v26, v3, vcc
	v_cndmask_b32_e32 v2, v25, v2, vcc
	v_cmp_gt_u32_e32 vcc, 48, v89
	v_cndmask_b32_e64 v25, 0, 1, vcc
	v_lshlrev_b32_e32 v25, 4, v25
	v_add_lshl_u32 v97, v25, v80, 2
	ds_bpermute_b32 v25, v97, v2
	ds_bpermute_b32 v26, v97, v3
	v_cmp_gt_u32_e32 vcc, v98, v5
	s_waitcnt lgkmcnt(1)
	v_add_u32_e32 v25, v2, v25
	s_waitcnt lgkmcnt(0)
	v_add_u32_e32 v26, v3, v26
	v_cndmask_b32_e32 v3, v26, v3, vcc
	v_cndmask_b32_e32 v2, v25, v2, vcc
	v_cmp_gt_u32_e32 vcc, 32, v89
	v_cndmask_b32_e64 v25, 0, 1, vcc
	v_lshlrev_b32_e32 v25, 5, v25
	v_add_lshl_u32 v99, v25, v80, 2
	ds_bpermute_b32 v25, v99, v2
	ds_bpermute_b32 v26, v99, v3
	v_cmp_le_u32_e32 vcc, v100, v5
	s_waitcnt lgkmcnt(1)
	v_cndmask_b32_e32 v5, 0, v25, vcc
	s_waitcnt lgkmcnt(0)
	v_cndmask_b32_e32 v25, 0, v26, vcc
	v_add_u32_e32 v3, v3, v25
	v_add_u32_e32 v2, v2, v5
	v_mov_b32_e32 v25, 0
	s_branch .LBB1571_104
.LBB1571_103:                           ;   in Loop: Header=BB1571_104 Depth=1
	s_or_b64 exec, exec, s[14:15]
	v_cmp_eq_u16_sdwa s[14:15], v4, v88 src0_sel:BYTE_0 src1_sel:DWORD
	v_and_b32_e32 v5, s15, v7
	ds_bpermute_b32 v29, v90, v2
	ds_bpermute_b32 v101, v90, v3
	v_or_b32_e32 v5, 0x80000000, v5
	v_and_b32_e32 v28, s14, v6
	v_ffbl_b32_e32 v5, v5
	v_add_u32_e32 v5, 32, v5
	v_ffbl_b32_e32 v28, v28
	v_min_u32_e32 v5, v28, v5
	s_waitcnt lgkmcnt(1)
	v_add_u32_e32 v28, v29, v2
	s_waitcnt lgkmcnt(0)
	v_add_u32_e32 v29, v101, v3
	v_cmp_lt_u32_e32 vcc, v89, v5
	v_cndmask_b32_e32 v3, v3, v29, vcc
	v_cndmask_b32_e32 v2, v2, v28, vcc
	ds_bpermute_b32 v28, v91, v2
	ds_bpermute_b32 v29, v91, v3
	v_cmp_gt_u32_e32 vcc, v92, v5
	v_subrev_u32_e32 v24, 64, v24
	s_waitcnt lgkmcnt(1)
	v_add_u32_e32 v28, v2, v28
	s_waitcnt lgkmcnt(0)
	v_add_u32_e32 v29, v3, v29
	v_cndmask_b32_e32 v3, v29, v3, vcc
	v_cndmask_b32_e32 v2, v28, v2, vcc
	ds_bpermute_b32 v28, v93, v2
	ds_bpermute_b32 v29, v93, v3
	v_cmp_gt_u32_e32 vcc, v94, v5
	s_waitcnt lgkmcnt(1)
	v_add_u32_e32 v28, v2, v28
	s_waitcnt lgkmcnt(0)
	v_add_u32_e32 v29, v3, v29
	v_cndmask_b32_e32 v3, v29, v3, vcc
	v_cndmask_b32_e32 v2, v28, v2, vcc
	ds_bpermute_b32 v28, v95, v2
	ds_bpermute_b32 v29, v95, v3
	v_cmp_gt_u32_e32 vcc, v96, v5
	;; [unrolled: 9-line block ×3, first 2 shown]
	s_waitcnt lgkmcnt(1)
	v_add_u32_e32 v28, v2, v28
	s_waitcnt lgkmcnt(0)
	v_add_u32_e32 v29, v3, v29
	v_cndmask_b32_e32 v3, v29, v3, vcc
	v_cndmask_b32_e32 v2, v28, v2, vcc
	ds_bpermute_b32 v28, v99, v2
	ds_bpermute_b32 v29, v99, v3
	v_cmp_le_u32_e32 vcc, v100, v5
	s_waitcnt lgkmcnt(1)
	v_cndmask_b32_e32 v5, 0, v28, vcc
	s_waitcnt lgkmcnt(0)
	v_cndmask_b32_e32 v28, 0, v29, vcc
	v_add3_u32 v3, v28, v27, v3
	v_add3_u32 v2, v5, v26, v2
.LBB1571_104:                           ; =>This Loop Header: Depth=1
                                        ;     Child Loop BB1571_107 Depth 2
	v_cmp_ne_u16_sdwa s[14:15], v4, v88 src0_sel:BYTE_0 src1_sel:DWORD
	v_cndmask_b32_e64 v4, 0, 1, s[14:15]
	;;#ASMSTART
	;;#ASMEND
	v_cmp_ne_u32_e32 vcc, 0, v4
	s_cmp_lg_u64 vcc, exec
	v_pk_mov_b32 v[26:27], v[2:3], v[2:3] op_sel:[0,1]
	s_cbranch_scc1 .LBB1571_109
; %bb.105:                              ;   in Loop: Header=BB1571_104 Depth=1
	v_lshlrev_b64 v[2:3], 4, v[24:25]
	v_mov_b32_e32 v4, s13
	v_add_co_u32_e32 v28, vcc, s12, v2
	v_addc_co_u32_e32 v29, vcc, v4, v3, vcc
	;;#ASMSTART
	global_load_dwordx4 v[2:5], v[28:29] off glc	
s_waitcnt vmcnt(0)
	;;#ASMEND
	v_and_b32_e32 v5, 0xff, v3
	v_and_b32_e32 v101, 0xff00, v3
	v_or3_b32 v5, 0, v5, v101
	v_or3_b32 v2, v2, 0, 0
	v_and_b32_e32 v101, 0xff000000, v3
	v_and_b32_e32 v3, 0xff0000, v3
	v_or3_b32 v3, v5, v3, v101
	v_or3_b32 v2, v2, 0, 0
	v_cmp_eq_u16_sdwa s[16:17], v4, v25 src0_sel:BYTE_0 src1_sel:DWORD
	s_and_saveexec_b64 s[14:15], s[16:17]
	s_cbranch_execz .LBB1571_103
; %bb.106:                              ;   in Loop: Header=BB1571_104 Depth=1
	s_mov_b64 s[16:17], 0
.LBB1571_107:                           ;   Parent Loop BB1571_104 Depth=1
                                        ; =>  This Inner Loop Header: Depth=2
	;;#ASMSTART
	global_load_dwordx4 v[2:5], v[28:29] off glc	
s_waitcnt vmcnt(0)
	;;#ASMEND
	v_cmp_ne_u16_sdwa s[20:21], v4, v25 src0_sel:BYTE_0 src1_sel:DWORD
	s_or_b64 s[16:17], s[20:21], s[16:17]
	s_andn2_b64 exec, exec, s[16:17]
	s_cbranch_execnz .LBB1571_107
; %bb.108:                              ;   in Loop: Header=BB1571_104 Depth=1
	s_or_b64 exec, exec, s[16:17]
	s_branch .LBB1571_103
.LBB1571_109:                           ;   in Loop: Header=BB1571_104 Depth=1
                                        ; implicit-def: $vgpr4
                                        ; implicit-def: $vgpr2_vgpr3
	s_cbranch_execz .LBB1571_104
; %bb.110:
	s_and_saveexec_b64 s[14:15], s[8:9]
	s_cbranch_execz .LBB1571_112
; %bb.111:
	s_add_i32 s6, s6, 64
	s_mov_b32 s7, 0
	v_add_u32_e32 v3, v27, v23
	s_lshl_b64 s[6:7], s[6:7], 4
	s_add_u32 s6, s12, s6
	v_and_b32_e32 v4, 0xff000000, v3
	v_and_b32_e32 v6, 0xff0000, v3
	s_addc_u32 s7, s13, s7
	v_or_b32_e32 v4, v6, v4
	v_and_b32_e32 v6, 0xff00, v3
	v_and_b32_e32 v3, 0xff, v3
	v_add_u32_e32 v2, v26, v22
	v_mov_b32_e32 v5, 0
	v_or3_b32 v3, v4, v6, v3
	v_mov_b32_e32 v4, 2
	v_pk_mov_b32 v[6:7], s[6:7], s[6:7] op_sel:[0,1]
	;;#ASMSTART
	global_store_dwordx4 v[6:7], v[2:5] off	
s_waitcnt vmcnt(0)
	;;#ASMEND
	s_movk_i32 s6, 0x3400
	v_add_u32_e64 v2, s6, 0
	ds_write2_b32 v2, v22, v23 offset1:2
	ds_write2_b32 v2, v26, v27 offset0:4 offset1:6
.LBB1571_112:
	s_or_b64 exec, exec, s[14:15]
	v_cmp_eq_u32_e32 vcc, 0, v0
	s_and_b64 exec, exec, vcc
	s_cbranch_execz .LBB1571_114
; %bb.113:
	v_mov_b32_e32 v2, 0
	ds_write_b64 v2, v[26:27] offset:24
.LBB1571_114:
	s_or_b64 exec, exec, s[10:11]
	v_mov_b32_e32 v2, 0
	s_waitcnt lgkmcnt(0)
	s_barrier
	ds_read_b64 v[6:7], v2 offset:24
	s_movk_i32 s6, 0x3400
	v_cndmask_b32_e64 v2, v87, v21, s[8:9]
	v_cndmask_b32_e64 v1, v1, v20, s[8:9]
	v_add_u32_e64 v4, s6, 0
	s_waitcnt lgkmcnt(0)
	v_add_u32_e32 v20, v6, v1
	v_add_u32_e32 v1, v7, v2
	s_barrier
	ds_read2_b32 v[2:3], v4 offset1:2
	ds_read2_b32 v[4:5], v4 offset0:4 offset1:6
	v_cmp_eq_u32_e32 vcc, 0, v0
	v_cndmask_b32_e32 v1, v1, v7, vcc
	v_cndmask_b32_e32 v20, v20, v6, vcc
	s_branch .LBB1571_125
.LBB1571_115:
                                        ; implicit-def: $vgpr1
                                        ; implicit-def: $vgpr4
                                        ; implicit-def: $vgpr2
                                        ; implicit-def: $vgpr20_vgpr21
	s_cbranch_execz .LBB1571_125
; %bb.116:
	s_nop 0
	v_mov_b32_dpp v1, v85 row_shr:1 row_mask:0xf bank_mask:0xf
	s_waitcnt lgkmcnt(0)
	v_mov_b32_dpp v2, v86 row_shr:1 row_mask:0xf bank_mask:0xf
	v_add_u32_e32 v1, v1, v85
	v_add_u32_e32 v2, v2, v86
	v_cndmask_b32_e64 v2, v2, v86, s[4:5]
	v_cndmask_b32_e64 v1, v1, v85, s[4:5]
	v_cmp_lt_u32_e32 vcc, 3, v84
	v_mov_b32_dpp v4, v2 row_shr:2 row_mask:0xf bank_mask:0xf
	v_mov_b32_dpp v3, v1 row_shr:2 row_mask:0xf bank_mask:0xf
	v_add_u32_e32 v3, v1, v3
	v_add_u32_e32 v4, v2, v4
	v_cndmask_b32_e64 v2, v2, v4, s[2:3]
	v_cndmask_b32_e64 v1, v1, v3, s[2:3]
	s_nop 0
	v_mov_b32_dpp v4, v2 row_shr:4 row_mask:0xf bank_mask:0xf
	v_mov_b32_dpp v3, v1 row_shr:4 row_mask:0xf bank_mask:0xf
	v_add_u32_e32 v3, v1, v3
	v_add_u32_e32 v4, v2, v4
	v_cndmask_b32_e32 v2, v2, v4, vcc
	v_cndmask_b32_e32 v1, v1, v3, vcc
	v_cmp_lt_u32_e32 vcc, 7, v84
	v_mov_b32_dpp v4, v2 row_shr:8 row_mask:0xf bank_mask:0xf
	v_mov_b32_dpp v3, v1 row_shr:8 row_mask:0xf bank_mask:0xf
	v_add_u32_e32 v3, v1, v3
	v_add_u32_e32 v4, v2, v4
	v_cndmask_b32_e32 v2, v2, v4, vcc
	v_cndmask_b32_e32 v1, v1, v3, vcc
	v_cmp_eq_u32_e32 vcc, 0, v83
	v_mov_b32_dpp v4, v2 row_bcast:15 row_mask:0xf bank_mask:0xf
	v_mov_b32_dpp v3, v1 row_bcast:15 row_mask:0xf bank_mask:0xf
	v_add_u32_e32 v3, v1, v3
	v_add_u32_e32 v4, v2, v4
	v_cndmask_b32_e32 v2, v4, v2, vcc
	v_cndmask_b32_e32 v1, v3, v1, vcc
	v_cmp_lt_u32_e32 vcc, 31, v80
	v_mov_b32_dpp v4, v2 row_bcast:31 row_mask:0xf bank_mask:0xf
	v_mov_b32_dpp v3, v1 row_bcast:31 row_mask:0xf bank_mask:0xf
	v_add_u32_e32 v4, v2, v4
	v_add_u32_e32 v5, v1, v3
	v_cndmask_b32_e32 v3, v2, v4, vcc
	v_cndmask_b32_e32 v2, v1, v5, vcc
	v_cmp_eq_u32_e32 vcc, v82, v0
	s_and_saveexec_b64 s[2:3], vcc
	s_cbranch_execz .LBB1571_118
; %bb.117:
	v_lshlrev_b32_e32 v1, 3, v81
	ds_write_b64 v1, v[2:3]
.LBB1571_118:
	s_or_b64 exec, exec, s[2:3]
	v_cmp_gt_u32_e32 vcc, 4, v0
	s_waitcnt lgkmcnt(0)
	s_barrier
	s_and_saveexec_b64 s[2:3], vcc
	s_cbranch_execz .LBB1571_120
; %bb.119:
	v_lshlrev_b32_e32 v1, 3, v0
	ds_read_b64 v[4:5], v1
	v_and_b32_e32 v6, 3, v80
	v_cmp_eq_u32_e32 vcc, 0, v6
	s_waitcnt lgkmcnt(0)
	v_mov_b32_dpp v7, v4 row_shr:1 row_mask:0xf bank_mask:0xf
	v_mov_b32_dpp v20, v5 row_shr:1 row_mask:0xf bank_mask:0xf
	v_add_u32_e32 v7, v7, v4
	v_add_u32_e32 v20, v20, v5
	v_cndmask_b32_e32 v5, v20, v5, vcc
	v_cndmask_b32_e32 v4, v7, v4, vcc
	v_cmp_lt_u32_e32 vcc, 1, v6
	v_mov_b32_dpp v20, v5 row_shr:2 row_mask:0xf bank_mask:0xf
	v_mov_b32_dpp v7, v4 row_shr:2 row_mask:0xf bank_mask:0xf
	v_cndmask_b32_e32 v6, 0, v7, vcc
	v_cndmask_b32_e32 v7, 0, v20, vcc
	v_add_u32_e32 v5, v7, v5
	v_add_u32_e32 v4, v6, v4
	ds_write_b64 v1, v[4:5]
.LBB1571_120:
	s_or_b64 exec, exec, s[2:3]
	v_cmp_lt_u32_e32 vcc, 63, v0
	v_mov_b32_e32 v4, 0
	v_mov_b32_e32 v6, 0
	;; [unrolled: 1-line block ×3, first 2 shown]
	s_waitcnt lgkmcnt(0)
	s_barrier
	s_and_saveexec_b64 s[2:3], vcc
	s_cbranch_execz .LBB1571_122
; %bb.121:
	v_lshl_add_u32 v1, v81, 3, -8
	ds_read_b64 v[6:7], v1
.LBB1571_122:
	s_or_b64 exec, exec, s[2:3]
	s_waitcnt lgkmcnt(0)
	v_add_u32_e32 v5, v7, v3
	v_add_u32_e32 v1, v6, v2
	v_add_u32_e32 v2, -1, v80
	v_and_b32_e32 v3, 64, v80
	v_cmp_lt_i32_e32 vcc, v2, v3
	v_cndmask_b32_e32 v2, v2, v80, vcc
	v_lshlrev_b32_e32 v20, 2, v2
	ds_read_b64 v[2:3], v4 offset:24
	ds_bpermute_b32 v1, v20, v1
	ds_bpermute_b32 v20, v20, v5
	v_cmp_eq_u32_e32 vcc, 0, v0
	s_waitcnt lgkmcnt(2)
	v_readfirstlane_b32 s4, v3
	s_and_saveexec_b64 s[2:3], vcc
	s_cbranch_execz .LBB1571_124
; %bb.123:
	s_add_u32 s6, s12, 0x400
	s_mov_b32 s8, 0
	s_addc_u32 s7, s13, 0
	s_and_b32 s9, s4, 0xff000000
	s_and_b32 s11, s4, 0xff0000
	s_mov_b32 s10, s8
	s_or_b64 s[10:11], s[10:11], s[8:9]
	s_and_b32 s9, s4, 0xff00
	s_or_b64 s[10:11], s[10:11], s[8:9]
	s_and_b32 s9, s4, 0xff
	s_or_b64 s[8:9], s[10:11], s[8:9]
	v_mov_b32_e32 v3, s9
	v_mov_b32_e32 v4, 2
	;; [unrolled: 1-line block ×3, first 2 shown]
	v_pk_mov_b32 v[22:23], s[6:7], s[6:7] op_sel:[0,1]
	;;#ASMSTART
	global_store_dwordx4 v[22:23], v[2:5] off	
s_waitcnt vmcnt(0)
	;;#ASMEND
.LBB1571_124:
	s_or_b64 exec, exec, s[2:3]
	v_cmp_eq_u32_e64 s[2:3], 0, v80
	s_waitcnt lgkmcnt(1)
	v_cndmask_b32_e64 v3, v1, v6, s[2:3]
	s_waitcnt lgkmcnt(0)
	v_cndmask_b32_e64 v1, v20, v7, s[2:3]
	v_mov_b32_e32 v4, 0
	v_cndmask_b32_e64 v1, v1, 0, vcc
	v_cndmask_b32_e64 v20, v3, 0, vcc
	s_barrier
	v_mov_b32_e32 v3, s4
	v_mov_b32_e32 v5, 0
.LBB1571_125:
	v_add_u32_e32 v24, v1, v63
	v_add_u32_e32 v25, v24, v74
	;; [unrolled: 1-line block ×14, first 2 shown]
	v_mov_b32_e32 v7, s49
	s_waitcnt lgkmcnt(0)
	v_add_co_u32_e32 v6, vcc, s48, v4
	v_add_u32_e32 v64, v58, v68
	v_add_u32_e32 v68, v66, v71
	v_addc_co_u32_e32 v7, vcc, 0, v7, vcc
	v_add_u32_e32 v69, v68, v78
	v_mov_b32_e32 v22, s51
	v_sub_co_u32_e32 v23, vcc, s50, v2
	v_add_u32_e32 v71, v69, v73
	v_subbrev_co_u32_e32 v73, vcc, 0, v22, vcc
	v_add_co_u32_e32 v22, vcc, v23, v5
	v_addc_co_u32_e32 v23, vcc, 0, v73, vcc
	v_lshlrev_b32_e32 v73, 1, v2
	v_sub_u32_e32 v1, v1, v5
	v_add_u32_e32 v74, v73, v3
	v_sub_u32_e32 v20, v20, v4
	v_add_u32_e32 v1, v1, v2
	v_add_u32_e32 v31, v74, v31
	v_and_b32_e32 v33, 1, v33
	v_add_u32_e32 v74, v20, v1
	v_and_b32_e32 v32, 1, v32
	v_sub_u32_e32 v74, v31, v74
	v_cmp_eq_u32_e32 vcc, 1, v33
	v_cndmask_b32_e32 v1, v74, v1, vcc
	v_cmp_eq_u32_e32 vcc, 1, v32
	v_cndmask_b32_e32 v1, v1, v20, vcc
	v_lshlrev_b32_e32 v1, 2, v1
	v_sub_u32_e32 v20, v24, v5
	ds_write_b32 v1, v18
	v_sub_u32_e32 v1, v21, v4
	v_add_u32_e32 v20, v20, v2
	v_add_u32_e32 v24, v20, v1
	v_and_b32_e32 v21, 1, v35
	v_sub_u32_e32 v24, v31, v24
	v_and_b32_e32 v18, 1, v34
	v_add_u32_e32 v24, 1, v24
	v_cmp_eq_u32_e32 vcc, 1, v21
	v_cndmask_b32_e32 v20, v24, v20, vcc
	v_cmp_eq_u32_e32 vcc, 1, v18
	v_cndmask_b32_e32 v1, v20, v1, vcc
	v_lshlrev_b32_e32 v1, 2, v1
	ds_write_b32 v1, v19
	v_sub_u32_e32 v19, v25, v5
	v_sub_u32_e32 v1, v26, v4
	v_add_u32_e32 v19, v19, v2
	v_add_u32_e32 v21, v19, v1
	v_and_b32_e32 v20, 1, v37
	v_sub_u32_e32 v21, v31, v21
	v_and_b32_e32 v18, 1, v36
	v_add_u32_e32 v21, 2, v21
	v_cmp_eq_u32_e32 vcc, 1, v20
	v_cndmask_b32_e32 v19, v21, v19, vcc
	v_cmp_eq_u32_e32 vcc, 1, v18
	v_cndmask_b32_e32 v1, v19, v1, vcc
	v_lshlrev_b32_e32 v1, 2, v1
	v_sub_u32_e32 v18, v28, v5
	ds_write_b32 v1, v16
	v_sub_u32_e32 v1, v27, v4
	v_add_u32_e32 v18, v18, v2
	v_add_u32_e32 v20, v1, v18
	v_and_b32_e32 v19, 1, v38
	v_sub_u32_e32 v20, v31, v20
	v_and_b32_e32 v16, 1, v39
	v_add_u32_e32 v20, 3, v20
	v_cmp_eq_u32_e32 vcc, 1, v19
	v_cndmask_b32_e32 v18, v20, v18, vcc
	v_cmp_eq_u32_e32 vcc, 1, v16
	v_cndmask_b32_e32 v1, v18, v1, vcc
	v_lshlrev_b32_e32 v1, 2, v1
	ds_write_b32 v1, v17
	v_sub_u32_e32 v17, v29, v5
	v_sub_u32_e32 v1, v56, v4
	v_add_u32_e32 v17, v17, v2
	v_add_u32_e32 v19, v1, v17
	v_and_b32_e32 v18, 1, v40
	v_sub_u32_e32 v19, v31, v19
	v_and_b32_e32 v16, 1, v41
	v_add_u32_e32 v19, 4, v19
	;; [unrolled: 28-line block ×3, first 2 shown]
	v_cmp_eq_u32_e32 vcc, 1, v16
	v_cndmask_b32_e32 v15, v17, v15, vcc
	v_cmp_eq_u32_e32 vcc, 1, v14
	v_cndmask_b32_e32 v1, v15, v1, vcc
	v_lshlrev_b32_e32 v1, 2, v1
	v_sub_u32_e32 v14, v65, v5
	ds_write_b32 v1, v12
	v_sub_u32_e32 v1, v64, v4
	v_add_u32_e32 v14, v14, v2
	v_add_u32_e32 v16, v1, v14
	v_and_b32_e32 v15, 1, v46
	v_sub_u32_e32 v16, v31, v16
	v_and_b32_e32 v12, 1, v47
	v_add_u32_e32 v16, 7, v16
	v_cmp_eq_u32_e32 vcc, 1, v15
	v_cndmask_b32_e32 v14, v16, v14, vcc
	v_cmp_eq_u32_e32 vcc, 1, v12
	v_cndmask_b32_e32 v1, v14, v1, vcc
	v_lshlrev_b32_e32 v1, 2, v1
	v_add_u32_e32 v59, v64, v59
	ds_write_b32 v1, v13
	v_sub_u32_e32 v13, v66, v5
	v_sub_u32_e32 v1, v59, v4
	v_add_u32_e32 v13, v13, v2
	v_add_u32_e32 v15, v1, v13
	v_and_b32_e32 v14, 1, v48
	v_sub_u32_e32 v15, v31, v15
	v_and_b32_e32 v12, 1, v49
	v_add_u32_e32 v15, 8, v15
	v_cmp_eq_u32_e32 vcc, 1, v14
	v_cndmask_b32_e32 v13, v15, v13, vcc
	v_cmp_eq_u32_e32 vcc, 1, v12
	v_cndmask_b32_e32 v1, v13, v1, vcc
	v_add_u32_e32 v67, v59, v70
	v_lshlrev_b32_e32 v1, 2, v1
	v_sub_u32_e32 v12, v68, v5
	ds_write_b32 v1, v10
	v_sub_u32_e32 v1, v67, v4
	v_add_u32_e32 v12, v12, v2
	v_add_u32_e32 v14, v1, v12
	v_and_b32_e32 v13, 1, v50
	v_sub_u32_e32 v14, v31, v14
	v_and_b32_e32 v10, 1, v51
	v_add_u32_e32 v14, 9, v14
	v_cmp_eq_u32_e32 vcc, 1, v13
	v_cndmask_b32_e32 v12, v14, v12, vcc
	v_cmp_eq_u32_e32 vcc, 1, v10
	v_cndmask_b32_e32 v1, v12, v1, vcc
	v_lshlrev_b32_e32 v1, 2, v1
	v_add_u32_e32 v60, v67, v60
	ds_write_b32 v1, v11
	v_sub_u32_e32 v11, v69, v5
	v_sub_u32_e32 v1, v60, v4
	v_add_u32_e32 v11, v11, v2
	v_add_u32_e32 v13, v1, v11
	v_and_b32_e32 v12, 1, v52
	v_sub_u32_e32 v13, v31, v13
	v_and_b32_e32 v10, 1, v53
	v_add_u32_e32 v13, 10, v13
	v_cmp_eq_u32_e32 vcc, 1, v12
	v_cndmask_b32_e32 v11, v13, v11, vcc
	v_cmp_eq_u32_e32 vcc, 1, v10
	v_cndmask_b32_e32 v1, v11, v1, vcc
	v_add_u32_e32 v70, v60, v72
	v_lshlrev_b32_e32 v1, 2, v1
	v_sub_u32_e32 v10, v71, v5
	ds_write_b32 v1, v8
	v_sub_u32_e32 v1, v70, v4
	v_add_u32_e32 v10, v10, v2
	v_add_u32_e32 v12, v1, v10
	v_and_b32_e32 v11, 1, v54
	v_sub_u32_e32 v12, v31, v12
	v_and_b32_e32 v8, 1, v55
	v_add_u32_e32 v12, 11, v12
	v_cmp_eq_u32_e32 vcc, 1, v11
	v_cndmask_b32_e32 v10, v12, v10, vcc
	v_cmp_eq_u32_e32 vcc, 1, v8
	v_cndmask_b32_e32 v1, v10, v1, vcc
	v_add_u32_e32 v72, v71, v79
	v_add_u32_e32 v61, v70, v61
	v_lshlrev_b32_e32 v1, 2, v1
	ds_write_b32 v1, v9
	v_sub_u32_e32 v1, v61, v4
	v_sub_u32_e32 v4, v72, v5
	v_add_u32_e32 v4, v4, v2
	v_add_u32_e32 v8, v1, v4
	v_sub_u32_e32 v8, v31, v8
	v_add_u32_e32 v8, 12, v8
	v_cndmask_b32_e64 v4, v8, v4, s[58:59]
	v_cndmask_b32_e64 v1, v4, v1, s[46:47]
	v_lshlrev_b32_e32 v1, 2, v1
	ds_write_b32 v1, v30
	v_add_co_u32_e32 v1, vcc, v3, v73
	v_addc_co_u32_e64 v4, s[2:3], 0, 0, vcc
	v_add_co_u32_e32 v1, vcc, v1, v22
	v_addc_co_u32_e32 v4, vcc, v4, v23, vcc
	s_add_u32 s4, s56, s33
	v_add_co_u32_e32 v1, vcc, v1, v6
	s_addc_u32 s5, s57, 0
	v_addc_co_u32_e32 v4, vcc, v4, v7, vcc
	v_mov_b32_e32 v8, s5
	v_sub_co_u32_e32 v1, vcc, s4, v1
	v_subb_co_u32_e32 v4, vcc, v8, v4, vcc
	v_lshlrev_b64 v[8:9], 2, v[22:23]
	v_mov_b32_e32 v10, s55
	v_add_co_u32_e32 v8, vcc, s54, v8
	v_addc_co_u32_e32 v9, vcc, v10, v9, vcc
	v_lshlrev_b64 v[10:11], 2, v[6:7]
	v_mov_b32_e32 v13, s53
	v_add_co_u32_e32 v10, vcc, s52, v10
	s_add_u32 s6, s34, -4
	v_addc_co_u32_e32 v11, vcc, v13, v11, vcc
	s_addc_u32 s7, s35, -1
	v_add_u32_e32 v12, v2, v3
	s_and_b64 vcc, exec, s[0:1]
	s_mov_b64 s[0:1], -1
	s_waitcnt lgkmcnt(0)
	s_barrier
	s_cbranch_vccz .LBB1571_129
; %bb.126:
	s_and_b64 vcc, exec, s[0:1]
	s_cbranch_vccnz .LBB1571_234
.LBB1571_127:
	v_cmp_eq_u32_e32 vcc, 0, v0
	s_and_b64 s[0:1], vcc, s[30:31]
	s_and_saveexec_b64 s[2:3], s[0:1]
	s_cbranch_execnz .LBB1571_352
.LBB1571_128:
	s_endpgm
.LBB1571_129:
	v_cmp_le_u32_e32 vcc, v2, v0
	s_and_saveexec_b64 s[0:1], vcc
	s_xor_b64 s[0:1], exec, s[0:1]
	s_cbranch_execz .LBB1571_135
; %bb.130:
	v_cmp_le_u32_e32 vcc, v12, v0
	s_and_saveexec_b64 s[2:3], vcc
	s_xor_b64 s[2:3], exec, s[2:3]
	s_cbranch_execz .LBB1571_132
; %bb.131:
	v_lshlrev_b32_e32 v13, 2, v0
	v_add_co_u32_e32 v14, vcc, v1, v0
	ds_read_b32 v13, v13
	v_addc_co_u32_e32 v15, vcc, 0, v4, vcc
	v_lshlrev_b64 v[14:15], 2, v[14:15]
	v_mov_b32_e32 v16, s35
	v_sub_co_u32_e32 v14, vcc, s34, v14
	v_subb_co_u32_e32 v15, vcc, v16, v15, vcc
	s_waitcnt lgkmcnt(0)
	global_store_dword v[14:15], v13, off offset:-4
.LBB1571_132:
	s_andn2_saveexec_b64 s[2:3], s[2:3]
	s_cbranch_execz .LBB1571_134
; %bb.133:
	v_lshlrev_b32_e32 v13, 2, v0
	ds_read_b32 v14, v13
	v_readfirstlane_b32 s4, v8
	v_readfirstlane_b32 s5, v9
	s_waitcnt lgkmcnt(0)
	s_nop 3
	global_store_dword v13, v14, s[4:5]
.LBB1571_134:
	s_or_b64 exec, exec, s[2:3]
.LBB1571_135:
	s_andn2_saveexec_b64 s[0:1], s[0:1]
	s_cbranch_execz .LBB1571_137
; %bb.136:
	v_lshlrev_b32_e32 v13, 2, v0
	ds_read_b32 v14, v13
	v_readfirstlane_b32 s2, v10
	v_readfirstlane_b32 s3, v11
	s_waitcnt lgkmcnt(0)
	s_nop 3
	global_store_dword v13, v14, s[2:3]
.LBB1571_137:
	s_or_b64 exec, exec, s[0:1]
	v_or_b32_e32 v13, 0x100, v0
	v_cmp_le_u32_e32 vcc, v2, v13
	s_and_saveexec_b64 s[0:1], vcc
	s_xor_b64 s[0:1], exec, s[0:1]
	s_cbranch_execz .LBB1571_143
; %bb.138:
	v_cmp_le_u32_e32 vcc, v12, v13
	s_and_saveexec_b64 s[2:3], vcc
	s_xor_b64 s[2:3], exec, s[2:3]
	s_cbranch_execz .LBB1571_140
; %bb.139:
	v_lshlrev_b32_e32 v13, 2, v0
	ds_read_b32 v13, v13 offset:1024
	v_add_co_u32_e32 v14, vcc, v1, v0
	v_addc_co_u32_e32 v15, vcc, 0, v4, vcc
	v_lshlrev_b64 v[14:15], 2, v[14:15]
	v_mov_b32_e32 v16, s7
	v_sub_co_u32_e32 v14, vcc, s6, v14
	v_subb_co_u32_e32 v15, vcc, v16, v15, vcc
	s_waitcnt lgkmcnt(0)
	global_store_dword v[14:15], v13, off offset:-1024
.LBB1571_140:
	s_andn2_saveexec_b64 s[2:3], s[2:3]
	s_cbranch_execz .LBB1571_142
; %bb.141:
	v_lshlrev_b32_e32 v13, 2, v0
	ds_read_b32 v14, v13 offset:1024
	v_readfirstlane_b32 s4, v8
	v_readfirstlane_b32 s5, v9
	s_waitcnt lgkmcnt(0)
	s_nop 3
	global_store_dword v13, v14, s[4:5] offset:1024
.LBB1571_142:
	s_or_b64 exec, exec, s[2:3]
.LBB1571_143:
	s_andn2_saveexec_b64 s[0:1], s[0:1]
	s_cbranch_execz .LBB1571_145
; %bb.144:
	v_lshlrev_b32_e32 v13, 2, v0
	ds_read_b32 v14, v13 offset:1024
	v_readfirstlane_b32 s2, v10
	v_readfirstlane_b32 s3, v11
	s_waitcnt lgkmcnt(0)
	s_nop 3
	global_store_dword v13, v14, s[2:3] offset:1024
.LBB1571_145:
	s_or_b64 exec, exec, s[0:1]
	v_or_b32_e32 v13, 0x200, v0
	v_cmp_le_u32_e32 vcc, v2, v13
	s_and_saveexec_b64 s[0:1], vcc
	s_xor_b64 s[0:1], exec, s[0:1]
	s_cbranch_execz .LBB1571_151
; %bb.146:
	v_cmp_le_u32_e32 vcc, v12, v13
	s_and_saveexec_b64 s[2:3], vcc
	s_xor_b64 s[2:3], exec, s[2:3]
	s_cbranch_execz .LBB1571_148
; %bb.147:
	v_lshlrev_b32_e32 v13, 2, v0
	ds_read_b32 v13, v13 offset:2048
	v_add_co_u32_e32 v14, vcc, v1, v0
	v_addc_co_u32_e32 v15, vcc, 0, v4, vcc
	v_lshlrev_b64 v[14:15], 2, v[14:15]
	v_mov_b32_e32 v16, s7
	v_sub_co_u32_e32 v14, vcc, s6, v14
	v_subb_co_u32_e32 v15, vcc, v16, v15, vcc
	s_waitcnt lgkmcnt(0)
	global_store_dword v[14:15], v13, off offset:-2048
.LBB1571_148:
	s_andn2_saveexec_b64 s[2:3], s[2:3]
	s_cbranch_execz .LBB1571_150
; %bb.149:
	v_lshlrev_b32_e32 v13, 2, v0
	ds_read_b32 v14, v13 offset:2048
	v_readfirstlane_b32 s4, v8
	v_readfirstlane_b32 s5, v9
	s_waitcnt lgkmcnt(0)
	s_nop 3
	global_store_dword v13, v14, s[4:5] offset:2048
.LBB1571_150:
	s_or_b64 exec, exec, s[2:3]
.LBB1571_151:
	s_andn2_saveexec_b64 s[0:1], s[0:1]
	s_cbranch_execz .LBB1571_153
; %bb.152:
	v_lshlrev_b32_e32 v13, 2, v0
	ds_read_b32 v14, v13 offset:2048
	v_readfirstlane_b32 s2, v10
	v_readfirstlane_b32 s3, v11
	s_waitcnt lgkmcnt(0)
	s_nop 3
	global_store_dword v13, v14, s[2:3] offset:2048
.LBB1571_153:
	;; [unrolled: 47-line block ×3, first 2 shown]
	s_or_b64 exec, exec, s[0:1]
	v_or_b32_e32 v13, 0x400, v0
	v_cmp_le_u32_e32 vcc, v2, v13
	s_and_saveexec_b64 s[0:1], vcc
	s_xor_b64 s[0:1], exec, s[0:1]
	s_cbranch_execz .LBB1571_167
; %bb.162:
	v_cmp_le_u32_e32 vcc, v12, v13
	s_and_saveexec_b64 s[2:3], vcc
	s_xor_b64 s[2:3], exec, s[2:3]
	s_cbranch_execz .LBB1571_164
; %bb.163:
	v_lshlrev_b32_e32 v13, 2, v0
	ds_read_b32 v13, v13 offset:4096
	v_add_co_u32_e32 v14, vcc, v1, v0
	v_addc_co_u32_e32 v15, vcc, 0, v4, vcc
	v_lshlrev_b64 v[14:15], 2, v[14:15]
	v_mov_b32_e32 v16, s7
	v_sub_co_u32_e32 v14, vcc, s6, v14
	v_subb_co_u32_e32 v15, vcc, v16, v15, vcc
	s_waitcnt lgkmcnt(0)
	global_store_dword v[14:15], v13, off offset:-4096
                                        ; implicit-def: $vgpr13
.LBB1571_164:
	s_andn2_saveexec_b64 s[2:3], s[2:3]
	s_cbranch_execz .LBB1571_166
; %bb.165:
	v_lshlrev_b32_e32 v14, 2, v0
	ds_read_b32 v14, v14 offset:4096
	v_lshlrev_b32_e32 v13, 2, v13
	v_readfirstlane_b32 s4, v8
	v_readfirstlane_b32 s5, v9
	s_waitcnt lgkmcnt(0)
	s_nop 3
	global_store_dword v13, v14, s[4:5]
.LBB1571_166:
	s_or_b64 exec, exec, s[2:3]
                                        ; implicit-def: $vgpr13
.LBB1571_167:
	s_andn2_saveexec_b64 s[0:1], s[0:1]
	s_cbranch_execz .LBB1571_169
; %bb.168:
	v_lshlrev_b32_e32 v14, 2, v0
	ds_read_b32 v14, v14 offset:4096
	v_lshlrev_b32_e32 v13, 2, v13
	v_readfirstlane_b32 s2, v10
	v_readfirstlane_b32 s3, v11
	s_waitcnt lgkmcnt(0)
	s_nop 3
	global_store_dword v13, v14, s[2:3]
.LBB1571_169:
	s_or_b64 exec, exec, s[0:1]
	v_or_b32_e32 v13, 0x500, v0
	v_cmp_le_u32_e32 vcc, v2, v13
	s_and_saveexec_b64 s[0:1], vcc
	s_xor_b64 s[0:1], exec, s[0:1]
	s_cbranch_execz .LBB1571_175
; %bb.170:
	v_cmp_le_u32_e32 vcc, v12, v13
	s_and_saveexec_b64 s[2:3], vcc
	s_xor_b64 s[2:3], exec, s[2:3]
	s_cbranch_execz .LBB1571_172
; %bb.171:
	v_add_co_u32_e32 v14, vcc, v1, v13
	v_lshlrev_b32_e32 v13, 2, v0
	ds_read_b32 v13, v13 offset:5120
	v_addc_co_u32_e32 v15, vcc, 0, v4, vcc
	v_lshlrev_b64 v[14:15], 2, v[14:15]
	v_mov_b32_e32 v16, s7
	v_sub_co_u32_e32 v14, vcc, s6, v14
	v_subb_co_u32_e32 v15, vcc, v16, v15, vcc
	s_waitcnt lgkmcnt(0)
	global_store_dword v[14:15], v13, off
                                        ; implicit-def: $vgpr13
.LBB1571_172:
	s_andn2_saveexec_b64 s[2:3], s[2:3]
	s_cbranch_execz .LBB1571_174
; %bb.173:
	v_lshlrev_b32_e32 v14, 2, v0
	ds_read_b32 v14, v14 offset:5120
	v_lshlrev_b32_e32 v13, 2, v13
	v_readfirstlane_b32 s4, v8
	v_readfirstlane_b32 s5, v9
	s_waitcnt lgkmcnt(0)
	s_nop 3
	global_store_dword v13, v14, s[4:5]
.LBB1571_174:
	s_or_b64 exec, exec, s[2:3]
                                        ; implicit-def: $vgpr13
.LBB1571_175:
	s_andn2_saveexec_b64 s[0:1], s[0:1]
	s_cbranch_execz .LBB1571_177
; %bb.176:
	v_lshlrev_b32_e32 v14, 2, v0
	ds_read_b32 v14, v14 offset:5120
	v_lshlrev_b32_e32 v13, 2, v13
	v_readfirstlane_b32 s2, v10
	v_readfirstlane_b32 s3, v11
	s_waitcnt lgkmcnt(0)
	s_nop 3
	global_store_dword v13, v14, s[2:3]
.LBB1571_177:
	s_or_b64 exec, exec, s[0:1]
	v_or_b32_e32 v13, 0x600, v0
	v_cmp_le_u32_e32 vcc, v2, v13
	s_and_saveexec_b64 s[0:1], vcc
	s_xor_b64 s[0:1], exec, s[0:1]
	s_cbranch_execz .LBB1571_183
; %bb.178:
	v_cmp_le_u32_e32 vcc, v12, v13
	s_and_saveexec_b64 s[2:3], vcc
	s_xor_b64 s[2:3], exec, s[2:3]
	s_cbranch_execz .LBB1571_180
; %bb.179:
	v_add_co_u32_e32 v14, vcc, v1, v13
	v_lshlrev_b32_e32 v13, 2, v0
	ds_read_b32 v13, v13 offset:6144
	v_addc_co_u32_e32 v15, vcc, 0, v4, vcc
	v_lshlrev_b64 v[14:15], 2, v[14:15]
	v_mov_b32_e32 v16, s7
	v_sub_co_u32_e32 v14, vcc, s6, v14
	v_subb_co_u32_e32 v15, vcc, v16, v15, vcc
	s_waitcnt lgkmcnt(0)
	global_store_dword v[14:15], v13, off
                                        ; implicit-def: $vgpr13
.LBB1571_180:
	s_andn2_saveexec_b64 s[2:3], s[2:3]
	s_cbranch_execz .LBB1571_182
; %bb.181:
	v_lshlrev_b32_e32 v14, 2, v0
	ds_read_b32 v14, v14 offset:6144
	v_lshlrev_b32_e32 v13, 2, v13
	v_readfirstlane_b32 s4, v8
	v_readfirstlane_b32 s5, v9
	s_waitcnt lgkmcnt(0)
	s_nop 3
	global_store_dword v13, v14, s[4:5]
.LBB1571_182:
	s_or_b64 exec, exec, s[2:3]
                                        ; implicit-def: $vgpr13
.LBB1571_183:
	;; [unrolled: 51-line block ×8, first 2 shown]
	s_andn2_saveexec_b64 s[0:1], s[0:1]
	s_cbranch_execz .LBB1571_233
; %bb.232:
	v_lshlrev_b32_e32 v14, 2, v0
	ds_read_b32 v14, v14 offset:12288
	v_lshlrev_b32_e32 v13, 2, v13
	v_readfirstlane_b32 s2, v10
	v_readfirstlane_b32 s3, v11
	s_waitcnt lgkmcnt(0)
	s_nop 3
	global_store_dword v13, v14, s[2:3]
.LBB1571_233:
	s_or_b64 exec, exec, s[0:1]
	s_branch .LBB1571_127
.LBB1571_234:
	v_cmp_gt_u32_e32 vcc, s18, v0
	s_and_saveexec_b64 s[0:1], vcc
	s_cbranch_execz .LBB1571_243
; %bb.235:
	v_cmp_le_u32_e32 vcc, v2, v0
	s_and_saveexec_b64 s[2:3], vcc
	s_xor_b64 s[2:3], exec, s[2:3]
	s_cbranch_execz .LBB1571_241
; %bb.236:
	v_cmp_le_u32_e32 vcc, v12, v0
	s_and_saveexec_b64 s[4:5], vcc
	s_xor_b64 s[4:5], exec, s[4:5]
	s_cbranch_execz .LBB1571_238
; %bb.237:
	v_lshlrev_b32_e32 v13, 2, v0
	v_add_co_u32_e32 v14, vcc, v1, v0
	ds_read_b32 v13, v13
	v_addc_co_u32_e32 v15, vcc, 0, v4, vcc
	v_lshlrev_b64 v[14:15], 2, v[14:15]
	v_mov_b32_e32 v16, s35
	v_sub_co_u32_e32 v14, vcc, s34, v14
	v_subb_co_u32_e32 v15, vcc, v16, v15, vcc
	s_waitcnt lgkmcnt(0)
	global_store_dword v[14:15], v13, off offset:-4
.LBB1571_238:
	s_andn2_saveexec_b64 s[4:5], s[4:5]
	s_cbranch_execz .LBB1571_240
; %bb.239:
	v_lshlrev_b32_e32 v13, 2, v0
	ds_read_b32 v14, v13
	v_readfirstlane_b32 s8, v8
	v_readfirstlane_b32 s9, v9
	s_waitcnt lgkmcnt(0)
	s_nop 3
	global_store_dword v13, v14, s[8:9]
.LBB1571_240:
	s_or_b64 exec, exec, s[4:5]
.LBB1571_241:
	s_andn2_saveexec_b64 s[2:3], s[2:3]
	s_cbranch_execz .LBB1571_243
; %bb.242:
	v_lshlrev_b32_e32 v13, 2, v0
	ds_read_b32 v14, v13
	v_readfirstlane_b32 s2, v10
	v_readfirstlane_b32 s3, v11
	s_waitcnt lgkmcnt(0)
	s_nop 3
	global_store_dword v13, v14, s[2:3]
.LBB1571_243:
	s_or_b64 exec, exec, s[0:1]
	v_or_b32_e32 v13, 0x100, v0
	v_cmp_gt_u32_e32 vcc, s18, v13
	s_and_saveexec_b64 s[0:1], vcc
	s_cbranch_execz .LBB1571_252
; %bb.244:
	v_cmp_le_u32_e32 vcc, v2, v13
	s_and_saveexec_b64 s[2:3], vcc
	s_xor_b64 s[2:3], exec, s[2:3]
	s_cbranch_execz .LBB1571_250
; %bb.245:
	v_cmp_le_u32_e32 vcc, v12, v13
	s_and_saveexec_b64 s[4:5], vcc
	s_xor_b64 s[4:5], exec, s[4:5]
	s_cbranch_execz .LBB1571_247
; %bb.246:
	v_lshlrev_b32_e32 v13, 2, v0
	ds_read_b32 v13, v13 offset:1024
	v_add_co_u32_e32 v14, vcc, v1, v0
	v_addc_co_u32_e32 v15, vcc, 0, v4, vcc
	v_lshlrev_b64 v[14:15], 2, v[14:15]
	v_mov_b32_e32 v16, s7
	v_sub_co_u32_e32 v14, vcc, s6, v14
	v_subb_co_u32_e32 v15, vcc, v16, v15, vcc
	s_waitcnt lgkmcnt(0)
	global_store_dword v[14:15], v13, off offset:-1024
.LBB1571_247:
	s_andn2_saveexec_b64 s[4:5], s[4:5]
	s_cbranch_execz .LBB1571_249
; %bb.248:
	v_lshlrev_b32_e32 v13, 2, v0
	ds_read_b32 v14, v13 offset:1024
	v_readfirstlane_b32 s8, v8
	v_readfirstlane_b32 s9, v9
	s_waitcnt lgkmcnt(0)
	s_nop 3
	global_store_dword v13, v14, s[8:9] offset:1024
.LBB1571_249:
	s_or_b64 exec, exec, s[4:5]
.LBB1571_250:
	s_andn2_saveexec_b64 s[2:3], s[2:3]
	s_cbranch_execz .LBB1571_252
; %bb.251:
	v_lshlrev_b32_e32 v13, 2, v0
	ds_read_b32 v14, v13 offset:1024
	v_readfirstlane_b32 s2, v10
	v_readfirstlane_b32 s3, v11
	s_waitcnt lgkmcnt(0)
	s_nop 3
	global_store_dword v13, v14, s[2:3] offset:1024
.LBB1571_252:
	s_or_b64 exec, exec, s[0:1]
	v_or_b32_e32 v13, 0x200, v0
	v_cmp_gt_u32_e32 vcc, s18, v13
	s_and_saveexec_b64 s[0:1], vcc
	s_cbranch_execz .LBB1571_261
; %bb.253:
	v_cmp_le_u32_e32 vcc, v2, v13
	s_and_saveexec_b64 s[2:3], vcc
	s_xor_b64 s[2:3], exec, s[2:3]
	s_cbranch_execz .LBB1571_259
; %bb.254:
	v_cmp_le_u32_e32 vcc, v12, v13
	s_and_saveexec_b64 s[4:5], vcc
	s_xor_b64 s[4:5], exec, s[4:5]
	s_cbranch_execz .LBB1571_256
; %bb.255:
	v_lshlrev_b32_e32 v13, 2, v0
	ds_read_b32 v13, v13 offset:2048
	v_add_co_u32_e32 v14, vcc, v1, v0
	v_addc_co_u32_e32 v15, vcc, 0, v4, vcc
	v_lshlrev_b64 v[14:15], 2, v[14:15]
	v_mov_b32_e32 v16, s7
	v_sub_co_u32_e32 v14, vcc, s6, v14
	v_subb_co_u32_e32 v15, vcc, v16, v15, vcc
	s_waitcnt lgkmcnt(0)
	global_store_dword v[14:15], v13, off offset:-2048
.LBB1571_256:
	s_andn2_saveexec_b64 s[4:5], s[4:5]
	s_cbranch_execz .LBB1571_258
; %bb.257:
	v_lshlrev_b32_e32 v13, 2, v0
	ds_read_b32 v14, v13 offset:2048
	v_readfirstlane_b32 s8, v8
	v_readfirstlane_b32 s9, v9
	s_waitcnt lgkmcnt(0)
	s_nop 3
	global_store_dword v13, v14, s[8:9] offset:2048
.LBB1571_258:
	s_or_b64 exec, exec, s[4:5]
.LBB1571_259:
	s_andn2_saveexec_b64 s[2:3], s[2:3]
	s_cbranch_execz .LBB1571_261
; %bb.260:
	v_lshlrev_b32_e32 v13, 2, v0
	ds_read_b32 v14, v13 offset:2048
	v_readfirstlane_b32 s2, v10
	v_readfirstlane_b32 s3, v11
	s_waitcnt lgkmcnt(0)
	s_nop 3
	global_store_dword v13, v14, s[2:3] offset:2048
.LBB1571_261:
	;; [unrolled: 51-line block ×3, first 2 shown]
	s_or_b64 exec, exec, s[0:1]
	v_or_b32_e32 v13, 0x400, v0
	v_cmp_gt_u32_e32 vcc, s18, v13
	s_and_saveexec_b64 s[0:1], vcc
	s_cbranch_execz .LBB1571_279
; %bb.271:
	v_cmp_le_u32_e32 vcc, v2, v13
	s_and_saveexec_b64 s[2:3], vcc
	s_xor_b64 s[2:3], exec, s[2:3]
	s_cbranch_execz .LBB1571_277
; %bb.272:
	v_cmp_le_u32_e32 vcc, v12, v13
	s_and_saveexec_b64 s[4:5], vcc
	s_xor_b64 s[4:5], exec, s[4:5]
	s_cbranch_execz .LBB1571_274
; %bb.273:
	v_lshlrev_b32_e32 v13, 2, v0
	ds_read_b32 v13, v13 offset:4096
	v_add_co_u32_e32 v14, vcc, v1, v0
	v_addc_co_u32_e32 v15, vcc, 0, v4, vcc
	v_lshlrev_b64 v[14:15], 2, v[14:15]
	v_mov_b32_e32 v16, s7
	v_sub_co_u32_e32 v14, vcc, s6, v14
	v_subb_co_u32_e32 v15, vcc, v16, v15, vcc
	s_waitcnt lgkmcnt(0)
	global_store_dword v[14:15], v13, off offset:-4096
                                        ; implicit-def: $vgpr13
.LBB1571_274:
	s_andn2_saveexec_b64 s[4:5], s[4:5]
	s_cbranch_execz .LBB1571_276
; %bb.275:
	v_lshlrev_b32_e32 v14, 2, v0
	ds_read_b32 v14, v14 offset:4096
	v_lshlrev_b32_e32 v13, 2, v13
	v_readfirstlane_b32 s8, v8
	v_readfirstlane_b32 s9, v9
	s_waitcnt lgkmcnt(0)
	s_nop 3
	global_store_dword v13, v14, s[8:9]
.LBB1571_276:
	s_or_b64 exec, exec, s[4:5]
                                        ; implicit-def: $vgpr13
.LBB1571_277:
	s_andn2_saveexec_b64 s[2:3], s[2:3]
	s_cbranch_execz .LBB1571_279
; %bb.278:
	v_lshlrev_b32_e32 v14, 2, v0
	ds_read_b32 v14, v14 offset:4096
	v_lshlrev_b32_e32 v13, 2, v13
	v_readfirstlane_b32 s2, v10
	v_readfirstlane_b32 s3, v11
	s_waitcnt lgkmcnt(0)
	s_nop 3
	global_store_dword v13, v14, s[2:3]
.LBB1571_279:
	s_or_b64 exec, exec, s[0:1]
	v_or_b32_e32 v13, 0x500, v0
	v_cmp_gt_u32_e32 vcc, s18, v13
	s_and_saveexec_b64 s[0:1], vcc
	s_cbranch_execz .LBB1571_288
; %bb.280:
	v_cmp_le_u32_e32 vcc, v2, v13
	s_and_saveexec_b64 s[2:3], vcc
	s_xor_b64 s[2:3], exec, s[2:3]
	s_cbranch_execz .LBB1571_286
; %bb.281:
	v_cmp_le_u32_e32 vcc, v12, v13
	s_and_saveexec_b64 s[4:5], vcc
	s_xor_b64 s[4:5], exec, s[4:5]
	s_cbranch_execz .LBB1571_283
; %bb.282:
	v_add_co_u32_e32 v14, vcc, v1, v13
	v_lshlrev_b32_e32 v13, 2, v0
	ds_read_b32 v13, v13 offset:5120
	v_addc_co_u32_e32 v15, vcc, 0, v4, vcc
	v_lshlrev_b64 v[14:15], 2, v[14:15]
	v_mov_b32_e32 v16, s7
	v_sub_co_u32_e32 v14, vcc, s6, v14
	v_subb_co_u32_e32 v15, vcc, v16, v15, vcc
	s_waitcnt lgkmcnt(0)
	global_store_dword v[14:15], v13, off
                                        ; implicit-def: $vgpr13
.LBB1571_283:
	s_andn2_saveexec_b64 s[4:5], s[4:5]
	s_cbranch_execz .LBB1571_285
; %bb.284:
	v_lshlrev_b32_e32 v14, 2, v0
	ds_read_b32 v14, v14 offset:5120
	v_lshlrev_b32_e32 v13, 2, v13
	v_readfirstlane_b32 s8, v8
	v_readfirstlane_b32 s9, v9
	s_waitcnt lgkmcnt(0)
	s_nop 3
	global_store_dword v13, v14, s[8:9]
.LBB1571_285:
	s_or_b64 exec, exec, s[4:5]
                                        ; implicit-def: $vgpr13
.LBB1571_286:
	s_andn2_saveexec_b64 s[2:3], s[2:3]
	s_cbranch_execz .LBB1571_288
; %bb.287:
	v_lshlrev_b32_e32 v14, 2, v0
	ds_read_b32 v14, v14 offset:5120
	v_lshlrev_b32_e32 v13, 2, v13
	v_readfirstlane_b32 s2, v10
	v_readfirstlane_b32 s3, v11
	s_waitcnt lgkmcnt(0)
	s_nop 3
	global_store_dword v13, v14, s[2:3]
.LBB1571_288:
	s_or_b64 exec, exec, s[0:1]
	v_or_b32_e32 v13, 0x600, v0
	v_cmp_gt_u32_e32 vcc, s18, v13
	s_and_saveexec_b64 s[0:1], vcc
	s_cbranch_execz .LBB1571_297
; %bb.289:
	v_cmp_le_u32_e32 vcc, v2, v13
	s_and_saveexec_b64 s[2:3], vcc
	s_xor_b64 s[2:3], exec, s[2:3]
	s_cbranch_execz .LBB1571_295
; %bb.290:
	v_cmp_le_u32_e32 vcc, v12, v13
	s_and_saveexec_b64 s[4:5], vcc
	s_xor_b64 s[4:5], exec, s[4:5]
	s_cbranch_execz .LBB1571_292
; %bb.291:
	v_add_co_u32_e32 v14, vcc, v1, v13
	v_lshlrev_b32_e32 v13, 2, v0
	ds_read_b32 v13, v13 offset:6144
	v_addc_co_u32_e32 v15, vcc, 0, v4, vcc
	v_lshlrev_b64 v[14:15], 2, v[14:15]
	v_mov_b32_e32 v16, s7
	v_sub_co_u32_e32 v14, vcc, s6, v14
	v_subb_co_u32_e32 v15, vcc, v16, v15, vcc
	s_waitcnt lgkmcnt(0)
	global_store_dword v[14:15], v13, off
                                        ; implicit-def: $vgpr13
.LBB1571_292:
	s_andn2_saveexec_b64 s[4:5], s[4:5]
	s_cbranch_execz .LBB1571_294
; %bb.293:
	v_lshlrev_b32_e32 v14, 2, v0
	ds_read_b32 v14, v14 offset:6144
	v_lshlrev_b32_e32 v13, 2, v13
	v_readfirstlane_b32 s8, v8
	v_readfirstlane_b32 s9, v9
	s_waitcnt lgkmcnt(0)
	s_nop 3
	global_store_dword v13, v14, s[8:9]
.LBB1571_294:
	s_or_b64 exec, exec, s[4:5]
                                        ; implicit-def: $vgpr13
.LBB1571_295:
	s_andn2_saveexec_b64 s[2:3], s[2:3]
	s_cbranch_execz .LBB1571_297
; %bb.296:
	v_lshlrev_b32_e32 v14, 2, v0
	ds_read_b32 v14, v14 offset:6144
	v_lshlrev_b32_e32 v13, 2, v13
	v_readfirstlane_b32 s2, v10
	v_readfirstlane_b32 s3, v11
	s_waitcnt lgkmcnt(0)
	s_nop 3
	global_store_dword v13, v14, s[2:3]
.LBB1571_297:
	;; [unrolled: 55-line block ×7, first 2 shown]
	s_or_b64 exec, exec, s[0:1]
	v_or_b32_e32 v13, 0xc00, v0
	v_cmp_gt_u32_e32 vcc, s18, v13
	s_and_saveexec_b64 s[0:1], vcc
	s_cbranch_execz .LBB1571_351
; %bb.343:
	v_cmp_le_u32_e32 vcc, v2, v13
	s_and_saveexec_b64 s[2:3], vcc
	s_xor_b64 s[2:3], exec, s[2:3]
	s_cbranch_execz .LBB1571_349
; %bb.344:
	v_cmp_le_u32_e32 vcc, v12, v13
	s_and_saveexec_b64 s[4:5], vcc
	s_xor_b64 s[4:5], exec, s[4:5]
	s_cbranch_execz .LBB1571_346
; %bb.345:
	v_add_co_u32_e32 v8, vcc, v1, v13
	v_lshlrev_b32_e32 v1, 2, v0
	ds_read_b32 v1, v1 offset:12288
	v_addc_co_u32_e32 v9, vcc, 0, v4, vcc
	v_lshlrev_b64 v[8:9], 2, v[8:9]
	v_mov_b32_e32 v4, s7
	v_sub_co_u32_e32 v8, vcc, s6, v8
	v_subb_co_u32_e32 v9, vcc, v4, v9, vcc
	s_waitcnt lgkmcnt(0)
	global_store_dword v[8:9], v1, off
                                        ; implicit-def: $vgpr13
                                        ; implicit-def: $vgpr8_vgpr9
.LBB1571_346:
	s_andn2_saveexec_b64 s[4:5], s[4:5]
	s_cbranch_execz .LBB1571_348
; %bb.347:
	v_lshlrev_b32_e32 v1, 2, v0
	ds_read_b32 v1, v1 offset:12288
	v_lshlrev_b32_e32 v4, 2, v13
	v_readfirstlane_b32 s6, v8
	v_readfirstlane_b32 s7, v9
	s_waitcnt lgkmcnt(0)
	s_nop 3
	global_store_dword v4, v1, s[6:7]
.LBB1571_348:
	s_or_b64 exec, exec, s[4:5]
                                        ; implicit-def: $vgpr13
                                        ; implicit-def: $vgpr10_vgpr11
.LBB1571_349:
	s_andn2_saveexec_b64 s[2:3], s[2:3]
	s_cbranch_execz .LBB1571_351
; %bb.350:
	v_lshlrev_b32_e32 v1, 2, v0
	ds_read_b32 v1, v1 offset:12288
	v_lshlrev_b32_e32 v4, 2, v13
	v_readfirstlane_b32 s2, v10
	v_readfirstlane_b32 s3, v11
	s_waitcnt lgkmcnt(0)
	s_nop 3
	global_store_dword v4, v1, s[2:3]
.LBB1571_351:
	s_or_b64 exec, exec, s[0:1]
	v_cmp_eq_u32_e32 vcc, 0, v0
	s_and_b64 s[0:1], vcc, s[30:31]
	s_and_saveexec_b64 s[2:3], s[0:1]
	s_cbranch_execz .LBB1571_128
.LBB1571_352:
	v_add_co_u32_e32 v0, vcc, v6, v2
	v_addc_co_u32_e32 v1, vcc, 0, v7, vcc
	v_mov_b32_e32 v2, s51
	v_add_co_u32_e32 v3, vcc, s50, v3
	v_addc_co_u32_e32 v6, vcc, 0, v2, vcc
	v_add_co_u32_e32 v2, vcc, v3, v5
	v_mov_b32_e32 v4, 0
	v_addc_co_u32_e32 v3, vcc, 0, v6, vcc
	global_store_dwordx4 v4, v[0:3], s[44:45]
	s_endpgm
	.section	.rodata,"a",@progbits
	.p2align	6, 0x0
	.amdhsa_kernel _ZN7rocprim17ROCPRIM_400000_NS6detail17trampoline_kernelINS0_13select_configILj256ELj13ELNS0_17block_load_methodE3ELS4_3ELS4_3ELNS0_20block_scan_algorithmE0ELj4294967295EEENS1_25partition_config_selectorILNS1_17partition_subalgoE4EjNS0_10empty_typeEbEEZZNS1_14partition_implILS8_4ELb0ES6_15HIP_vector_typeIjLj2EENS0_17counting_iteratorIjlEEPS9_SG_NS0_5tupleIJPjSI_NS0_16reverse_iteratorISI_EEEEENSH_IJSG_SG_SG_EEES9_SI_JZNS1_25segmented_radix_sort_implINS0_14default_configELb0EPKbPbPKlPlN2at6native12_GLOBAL__N_18offset_tEEE10hipError_tPvRmT1_PNSt15iterator_traitsIS12_E10value_typeET2_T3_PNS13_IS18_E10value_typeET4_jRbjT5_S1E_jjP12ihipStream_tbEUljE_ZNSN_ISO_Lb0ESQ_SR_ST_SU_SY_EESZ_S10_S11_S12_S16_S17_S18_S1B_S1C_jS1D_jS1E_S1E_jjS1G_bEUljE0_EEESZ_S10_S11_S18_S1C_S1E_T6_T7_T9_mT8_S1G_bDpT10_ENKUlT_T0_E_clISt17integral_constantIbLb0EES1U_EEDaS1P_S1Q_EUlS1P_E_NS1_11comp_targetILNS1_3genE4ELNS1_11target_archE910ELNS1_3gpuE8ELNS1_3repE0EEENS1_30default_config_static_selectorELNS0_4arch9wavefront6targetE1EEEvS12_
		.amdhsa_group_segment_fixed_size 13340
		.amdhsa_private_segment_fixed_size 0
		.amdhsa_kernarg_size 176
		.amdhsa_user_sgpr_count 6
		.amdhsa_user_sgpr_private_segment_buffer 1
		.amdhsa_user_sgpr_dispatch_ptr 0
		.amdhsa_user_sgpr_queue_ptr 0
		.amdhsa_user_sgpr_kernarg_segment_ptr 1
		.amdhsa_user_sgpr_dispatch_id 0
		.amdhsa_user_sgpr_flat_scratch_init 0
		.amdhsa_user_sgpr_kernarg_preload_length 0
		.amdhsa_user_sgpr_kernarg_preload_offset 0
		.amdhsa_user_sgpr_private_segment_size 0
		.amdhsa_uses_dynamic_stack 0
		.amdhsa_system_sgpr_private_segment_wavefront_offset 0
		.amdhsa_system_sgpr_workgroup_id_x 1
		.amdhsa_system_sgpr_workgroup_id_y 0
		.amdhsa_system_sgpr_workgroup_id_z 0
		.amdhsa_system_sgpr_workgroup_info 0
		.amdhsa_system_vgpr_workitem_id 0
		.amdhsa_next_free_vgpr 102
		.amdhsa_next_free_sgpr 90
		.amdhsa_accum_offset 104
		.amdhsa_reserve_vcc 1
		.amdhsa_reserve_flat_scratch 0
		.amdhsa_float_round_mode_32 0
		.amdhsa_float_round_mode_16_64 0
		.amdhsa_float_denorm_mode_32 3
		.amdhsa_float_denorm_mode_16_64 3
		.amdhsa_dx10_clamp 1
		.amdhsa_ieee_mode 1
		.amdhsa_fp16_overflow 0
		.amdhsa_tg_split 0
		.amdhsa_exception_fp_ieee_invalid_op 0
		.amdhsa_exception_fp_denorm_src 0
		.amdhsa_exception_fp_ieee_div_zero 0
		.amdhsa_exception_fp_ieee_overflow 0
		.amdhsa_exception_fp_ieee_underflow 0
		.amdhsa_exception_fp_ieee_inexact 0
		.amdhsa_exception_int_div_zero 0
	.end_amdhsa_kernel
	.section	.text._ZN7rocprim17ROCPRIM_400000_NS6detail17trampoline_kernelINS0_13select_configILj256ELj13ELNS0_17block_load_methodE3ELS4_3ELS4_3ELNS0_20block_scan_algorithmE0ELj4294967295EEENS1_25partition_config_selectorILNS1_17partition_subalgoE4EjNS0_10empty_typeEbEEZZNS1_14partition_implILS8_4ELb0ES6_15HIP_vector_typeIjLj2EENS0_17counting_iteratorIjlEEPS9_SG_NS0_5tupleIJPjSI_NS0_16reverse_iteratorISI_EEEEENSH_IJSG_SG_SG_EEES9_SI_JZNS1_25segmented_radix_sort_implINS0_14default_configELb0EPKbPbPKlPlN2at6native12_GLOBAL__N_18offset_tEEE10hipError_tPvRmT1_PNSt15iterator_traitsIS12_E10value_typeET2_T3_PNS13_IS18_E10value_typeET4_jRbjT5_S1E_jjP12ihipStream_tbEUljE_ZNSN_ISO_Lb0ESQ_SR_ST_SU_SY_EESZ_S10_S11_S12_S16_S17_S18_S1B_S1C_jS1D_jS1E_S1E_jjS1G_bEUljE0_EEESZ_S10_S11_S18_S1C_S1E_T6_T7_T9_mT8_S1G_bDpT10_ENKUlT_T0_E_clISt17integral_constantIbLb0EES1U_EEDaS1P_S1Q_EUlS1P_E_NS1_11comp_targetILNS1_3genE4ELNS1_11target_archE910ELNS1_3gpuE8ELNS1_3repE0EEENS1_30default_config_static_selectorELNS0_4arch9wavefront6targetE1EEEvS12_,"axG",@progbits,_ZN7rocprim17ROCPRIM_400000_NS6detail17trampoline_kernelINS0_13select_configILj256ELj13ELNS0_17block_load_methodE3ELS4_3ELS4_3ELNS0_20block_scan_algorithmE0ELj4294967295EEENS1_25partition_config_selectorILNS1_17partition_subalgoE4EjNS0_10empty_typeEbEEZZNS1_14partition_implILS8_4ELb0ES6_15HIP_vector_typeIjLj2EENS0_17counting_iteratorIjlEEPS9_SG_NS0_5tupleIJPjSI_NS0_16reverse_iteratorISI_EEEEENSH_IJSG_SG_SG_EEES9_SI_JZNS1_25segmented_radix_sort_implINS0_14default_configELb0EPKbPbPKlPlN2at6native12_GLOBAL__N_18offset_tEEE10hipError_tPvRmT1_PNSt15iterator_traitsIS12_E10value_typeET2_T3_PNS13_IS18_E10value_typeET4_jRbjT5_S1E_jjP12ihipStream_tbEUljE_ZNSN_ISO_Lb0ESQ_SR_ST_SU_SY_EESZ_S10_S11_S12_S16_S17_S18_S1B_S1C_jS1D_jS1E_S1E_jjS1G_bEUljE0_EEESZ_S10_S11_S18_S1C_S1E_T6_T7_T9_mT8_S1G_bDpT10_ENKUlT_T0_E_clISt17integral_constantIbLb0EES1U_EEDaS1P_S1Q_EUlS1P_E_NS1_11comp_targetILNS1_3genE4ELNS1_11target_archE910ELNS1_3gpuE8ELNS1_3repE0EEENS1_30default_config_static_selectorELNS0_4arch9wavefront6targetE1EEEvS12_,comdat
.Lfunc_end1571:
	.size	_ZN7rocprim17ROCPRIM_400000_NS6detail17trampoline_kernelINS0_13select_configILj256ELj13ELNS0_17block_load_methodE3ELS4_3ELS4_3ELNS0_20block_scan_algorithmE0ELj4294967295EEENS1_25partition_config_selectorILNS1_17partition_subalgoE4EjNS0_10empty_typeEbEEZZNS1_14partition_implILS8_4ELb0ES6_15HIP_vector_typeIjLj2EENS0_17counting_iteratorIjlEEPS9_SG_NS0_5tupleIJPjSI_NS0_16reverse_iteratorISI_EEEEENSH_IJSG_SG_SG_EEES9_SI_JZNS1_25segmented_radix_sort_implINS0_14default_configELb0EPKbPbPKlPlN2at6native12_GLOBAL__N_18offset_tEEE10hipError_tPvRmT1_PNSt15iterator_traitsIS12_E10value_typeET2_T3_PNS13_IS18_E10value_typeET4_jRbjT5_S1E_jjP12ihipStream_tbEUljE_ZNSN_ISO_Lb0ESQ_SR_ST_SU_SY_EESZ_S10_S11_S12_S16_S17_S18_S1B_S1C_jS1D_jS1E_S1E_jjS1G_bEUljE0_EEESZ_S10_S11_S18_S1C_S1E_T6_T7_T9_mT8_S1G_bDpT10_ENKUlT_T0_E_clISt17integral_constantIbLb0EES1U_EEDaS1P_S1Q_EUlS1P_E_NS1_11comp_targetILNS1_3genE4ELNS1_11target_archE910ELNS1_3gpuE8ELNS1_3repE0EEENS1_30default_config_static_selectorELNS0_4arch9wavefront6targetE1EEEvS12_, .Lfunc_end1571-_ZN7rocprim17ROCPRIM_400000_NS6detail17trampoline_kernelINS0_13select_configILj256ELj13ELNS0_17block_load_methodE3ELS4_3ELS4_3ELNS0_20block_scan_algorithmE0ELj4294967295EEENS1_25partition_config_selectorILNS1_17partition_subalgoE4EjNS0_10empty_typeEbEEZZNS1_14partition_implILS8_4ELb0ES6_15HIP_vector_typeIjLj2EENS0_17counting_iteratorIjlEEPS9_SG_NS0_5tupleIJPjSI_NS0_16reverse_iteratorISI_EEEEENSH_IJSG_SG_SG_EEES9_SI_JZNS1_25segmented_radix_sort_implINS0_14default_configELb0EPKbPbPKlPlN2at6native12_GLOBAL__N_18offset_tEEE10hipError_tPvRmT1_PNSt15iterator_traitsIS12_E10value_typeET2_T3_PNS13_IS18_E10value_typeET4_jRbjT5_S1E_jjP12ihipStream_tbEUljE_ZNSN_ISO_Lb0ESQ_SR_ST_SU_SY_EESZ_S10_S11_S12_S16_S17_S18_S1B_S1C_jS1D_jS1E_S1E_jjS1G_bEUljE0_EEESZ_S10_S11_S18_S1C_S1E_T6_T7_T9_mT8_S1G_bDpT10_ENKUlT_T0_E_clISt17integral_constantIbLb0EES1U_EEDaS1P_S1Q_EUlS1P_E_NS1_11comp_targetILNS1_3genE4ELNS1_11target_archE910ELNS1_3gpuE8ELNS1_3repE0EEENS1_30default_config_static_selectorELNS0_4arch9wavefront6targetE1EEEvS12_
                                        ; -- End function
	.section	.AMDGPU.csdata,"",@progbits
; Kernel info:
; codeLenInByte = 13332
; NumSgprs: 94
; NumVgprs: 102
; NumAgprs: 0
; TotalNumVgprs: 102
; ScratchSize: 0
; MemoryBound: 0
; FloatMode: 240
; IeeeMode: 1
; LDSByteSize: 13340 bytes/workgroup (compile time only)
; SGPRBlocks: 11
; VGPRBlocks: 12
; NumSGPRsForWavesPerEU: 94
; NumVGPRsForWavesPerEU: 102
; AccumOffset: 104
; Occupancy: 4
; WaveLimiterHint : 1
; COMPUTE_PGM_RSRC2:SCRATCH_EN: 0
; COMPUTE_PGM_RSRC2:USER_SGPR: 6
; COMPUTE_PGM_RSRC2:TRAP_HANDLER: 0
; COMPUTE_PGM_RSRC2:TGID_X_EN: 1
; COMPUTE_PGM_RSRC2:TGID_Y_EN: 0
; COMPUTE_PGM_RSRC2:TGID_Z_EN: 0
; COMPUTE_PGM_RSRC2:TIDIG_COMP_CNT: 0
; COMPUTE_PGM_RSRC3_GFX90A:ACCUM_OFFSET: 25
; COMPUTE_PGM_RSRC3_GFX90A:TG_SPLIT: 0
	.section	.text._ZN7rocprim17ROCPRIM_400000_NS6detail17trampoline_kernelINS0_13select_configILj256ELj13ELNS0_17block_load_methodE3ELS4_3ELS4_3ELNS0_20block_scan_algorithmE0ELj4294967295EEENS1_25partition_config_selectorILNS1_17partition_subalgoE4EjNS0_10empty_typeEbEEZZNS1_14partition_implILS8_4ELb0ES6_15HIP_vector_typeIjLj2EENS0_17counting_iteratorIjlEEPS9_SG_NS0_5tupleIJPjSI_NS0_16reverse_iteratorISI_EEEEENSH_IJSG_SG_SG_EEES9_SI_JZNS1_25segmented_radix_sort_implINS0_14default_configELb0EPKbPbPKlPlN2at6native12_GLOBAL__N_18offset_tEEE10hipError_tPvRmT1_PNSt15iterator_traitsIS12_E10value_typeET2_T3_PNS13_IS18_E10value_typeET4_jRbjT5_S1E_jjP12ihipStream_tbEUljE_ZNSN_ISO_Lb0ESQ_SR_ST_SU_SY_EESZ_S10_S11_S12_S16_S17_S18_S1B_S1C_jS1D_jS1E_S1E_jjS1G_bEUljE0_EEESZ_S10_S11_S18_S1C_S1E_T6_T7_T9_mT8_S1G_bDpT10_ENKUlT_T0_E_clISt17integral_constantIbLb0EES1U_EEDaS1P_S1Q_EUlS1P_E_NS1_11comp_targetILNS1_3genE3ELNS1_11target_archE908ELNS1_3gpuE7ELNS1_3repE0EEENS1_30default_config_static_selectorELNS0_4arch9wavefront6targetE1EEEvS12_,"axG",@progbits,_ZN7rocprim17ROCPRIM_400000_NS6detail17trampoline_kernelINS0_13select_configILj256ELj13ELNS0_17block_load_methodE3ELS4_3ELS4_3ELNS0_20block_scan_algorithmE0ELj4294967295EEENS1_25partition_config_selectorILNS1_17partition_subalgoE4EjNS0_10empty_typeEbEEZZNS1_14partition_implILS8_4ELb0ES6_15HIP_vector_typeIjLj2EENS0_17counting_iteratorIjlEEPS9_SG_NS0_5tupleIJPjSI_NS0_16reverse_iteratorISI_EEEEENSH_IJSG_SG_SG_EEES9_SI_JZNS1_25segmented_radix_sort_implINS0_14default_configELb0EPKbPbPKlPlN2at6native12_GLOBAL__N_18offset_tEEE10hipError_tPvRmT1_PNSt15iterator_traitsIS12_E10value_typeET2_T3_PNS13_IS18_E10value_typeET4_jRbjT5_S1E_jjP12ihipStream_tbEUljE_ZNSN_ISO_Lb0ESQ_SR_ST_SU_SY_EESZ_S10_S11_S12_S16_S17_S18_S1B_S1C_jS1D_jS1E_S1E_jjS1G_bEUljE0_EEESZ_S10_S11_S18_S1C_S1E_T6_T7_T9_mT8_S1G_bDpT10_ENKUlT_T0_E_clISt17integral_constantIbLb0EES1U_EEDaS1P_S1Q_EUlS1P_E_NS1_11comp_targetILNS1_3genE3ELNS1_11target_archE908ELNS1_3gpuE7ELNS1_3repE0EEENS1_30default_config_static_selectorELNS0_4arch9wavefront6targetE1EEEvS12_,comdat
	.globl	_ZN7rocprim17ROCPRIM_400000_NS6detail17trampoline_kernelINS0_13select_configILj256ELj13ELNS0_17block_load_methodE3ELS4_3ELS4_3ELNS0_20block_scan_algorithmE0ELj4294967295EEENS1_25partition_config_selectorILNS1_17partition_subalgoE4EjNS0_10empty_typeEbEEZZNS1_14partition_implILS8_4ELb0ES6_15HIP_vector_typeIjLj2EENS0_17counting_iteratorIjlEEPS9_SG_NS0_5tupleIJPjSI_NS0_16reverse_iteratorISI_EEEEENSH_IJSG_SG_SG_EEES9_SI_JZNS1_25segmented_radix_sort_implINS0_14default_configELb0EPKbPbPKlPlN2at6native12_GLOBAL__N_18offset_tEEE10hipError_tPvRmT1_PNSt15iterator_traitsIS12_E10value_typeET2_T3_PNS13_IS18_E10value_typeET4_jRbjT5_S1E_jjP12ihipStream_tbEUljE_ZNSN_ISO_Lb0ESQ_SR_ST_SU_SY_EESZ_S10_S11_S12_S16_S17_S18_S1B_S1C_jS1D_jS1E_S1E_jjS1G_bEUljE0_EEESZ_S10_S11_S18_S1C_S1E_T6_T7_T9_mT8_S1G_bDpT10_ENKUlT_T0_E_clISt17integral_constantIbLb0EES1U_EEDaS1P_S1Q_EUlS1P_E_NS1_11comp_targetILNS1_3genE3ELNS1_11target_archE908ELNS1_3gpuE7ELNS1_3repE0EEENS1_30default_config_static_selectorELNS0_4arch9wavefront6targetE1EEEvS12_ ; -- Begin function _ZN7rocprim17ROCPRIM_400000_NS6detail17trampoline_kernelINS0_13select_configILj256ELj13ELNS0_17block_load_methodE3ELS4_3ELS4_3ELNS0_20block_scan_algorithmE0ELj4294967295EEENS1_25partition_config_selectorILNS1_17partition_subalgoE4EjNS0_10empty_typeEbEEZZNS1_14partition_implILS8_4ELb0ES6_15HIP_vector_typeIjLj2EENS0_17counting_iteratorIjlEEPS9_SG_NS0_5tupleIJPjSI_NS0_16reverse_iteratorISI_EEEEENSH_IJSG_SG_SG_EEES9_SI_JZNS1_25segmented_radix_sort_implINS0_14default_configELb0EPKbPbPKlPlN2at6native12_GLOBAL__N_18offset_tEEE10hipError_tPvRmT1_PNSt15iterator_traitsIS12_E10value_typeET2_T3_PNS13_IS18_E10value_typeET4_jRbjT5_S1E_jjP12ihipStream_tbEUljE_ZNSN_ISO_Lb0ESQ_SR_ST_SU_SY_EESZ_S10_S11_S12_S16_S17_S18_S1B_S1C_jS1D_jS1E_S1E_jjS1G_bEUljE0_EEESZ_S10_S11_S18_S1C_S1E_T6_T7_T9_mT8_S1G_bDpT10_ENKUlT_T0_E_clISt17integral_constantIbLb0EES1U_EEDaS1P_S1Q_EUlS1P_E_NS1_11comp_targetILNS1_3genE3ELNS1_11target_archE908ELNS1_3gpuE7ELNS1_3repE0EEENS1_30default_config_static_selectorELNS0_4arch9wavefront6targetE1EEEvS12_
	.p2align	8
	.type	_ZN7rocprim17ROCPRIM_400000_NS6detail17trampoline_kernelINS0_13select_configILj256ELj13ELNS0_17block_load_methodE3ELS4_3ELS4_3ELNS0_20block_scan_algorithmE0ELj4294967295EEENS1_25partition_config_selectorILNS1_17partition_subalgoE4EjNS0_10empty_typeEbEEZZNS1_14partition_implILS8_4ELb0ES6_15HIP_vector_typeIjLj2EENS0_17counting_iteratorIjlEEPS9_SG_NS0_5tupleIJPjSI_NS0_16reverse_iteratorISI_EEEEENSH_IJSG_SG_SG_EEES9_SI_JZNS1_25segmented_radix_sort_implINS0_14default_configELb0EPKbPbPKlPlN2at6native12_GLOBAL__N_18offset_tEEE10hipError_tPvRmT1_PNSt15iterator_traitsIS12_E10value_typeET2_T3_PNS13_IS18_E10value_typeET4_jRbjT5_S1E_jjP12ihipStream_tbEUljE_ZNSN_ISO_Lb0ESQ_SR_ST_SU_SY_EESZ_S10_S11_S12_S16_S17_S18_S1B_S1C_jS1D_jS1E_S1E_jjS1G_bEUljE0_EEESZ_S10_S11_S18_S1C_S1E_T6_T7_T9_mT8_S1G_bDpT10_ENKUlT_T0_E_clISt17integral_constantIbLb0EES1U_EEDaS1P_S1Q_EUlS1P_E_NS1_11comp_targetILNS1_3genE3ELNS1_11target_archE908ELNS1_3gpuE7ELNS1_3repE0EEENS1_30default_config_static_selectorELNS0_4arch9wavefront6targetE1EEEvS12_,@function
_ZN7rocprim17ROCPRIM_400000_NS6detail17trampoline_kernelINS0_13select_configILj256ELj13ELNS0_17block_load_methodE3ELS4_3ELS4_3ELNS0_20block_scan_algorithmE0ELj4294967295EEENS1_25partition_config_selectorILNS1_17partition_subalgoE4EjNS0_10empty_typeEbEEZZNS1_14partition_implILS8_4ELb0ES6_15HIP_vector_typeIjLj2EENS0_17counting_iteratorIjlEEPS9_SG_NS0_5tupleIJPjSI_NS0_16reverse_iteratorISI_EEEEENSH_IJSG_SG_SG_EEES9_SI_JZNS1_25segmented_radix_sort_implINS0_14default_configELb0EPKbPbPKlPlN2at6native12_GLOBAL__N_18offset_tEEE10hipError_tPvRmT1_PNSt15iterator_traitsIS12_E10value_typeET2_T3_PNS13_IS18_E10value_typeET4_jRbjT5_S1E_jjP12ihipStream_tbEUljE_ZNSN_ISO_Lb0ESQ_SR_ST_SU_SY_EESZ_S10_S11_S12_S16_S17_S18_S1B_S1C_jS1D_jS1E_S1E_jjS1G_bEUljE0_EEESZ_S10_S11_S18_S1C_S1E_T6_T7_T9_mT8_S1G_bDpT10_ENKUlT_T0_E_clISt17integral_constantIbLb0EES1U_EEDaS1P_S1Q_EUlS1P_E_NS1_11comp_targetILNS1_3genE3ELNS1_11target_archE908ELNS1_3gpuE7ELNS1_3repE0EEENS1_30default_config_static_selectorELNS0_4arch9wavefront6targetE1EEEvS12_: ; @_ZN7rocprim17ROCPRIM_400000_NS6detail17trampoline_kernelINS0_13select_configILj256ELj13ELNS0_17block_load_methodE3ELS4_3ELS4_3ELNS0_20block_scan_algorithmE0ELj4294967295EEENS1_25partition_config_selectorILNS1_17partition_subalgoE4EjNS0_10empty_typeEbEEZZNS1_14partition_implILS8_4ELb0ES6_15HIP_vector_typeIjLj2EENS0_17counting_iteratorIjlEEPS9_SG_NS0_5tupleIJPjSI_NS0_16reverse_iteratorISI_EEEEENSH_IJSG_SG_SG_EEES9_SI_JZNS1_25segmented_radix_sort_implINS0_14default_configELb0EPKbPbPKlPlN2at6native12_GLOBAL__N_18offset_tEEE10hipError_tPvRmT1_PNSt15iterator_traitsIS12_E10value_typeET2_T3_PNS13_IS18_E10value_typeET4_jRbjT5_S1E_jjP12ihipStream_tbEUljE_ZNSN_ISO_Lb0ESQ_SR_ST_SU_SY_EESZ_S10_S11_S12_S16_S17_S18_S1B_S1C_jS1D_jS1E_S1E_jjS1G_bEUljE0_EEESZ_S10_S11_S18_S1C_S1E_T6_T7_T9_mT8_S1G_bDpT10_ENKUlT_T0_E_clISt17integral_constantIbLb0EES1U_EEDaS1P_S1Q_EUlS1P_E_NS1_11comp_targetILNS1_3genE3ELNS1_11target_archE908ELNS1_3gpuE7ELNS1_3repE0EEENS1_30default_config_static_selectorELNS0_4arch9wavefront6targetE1EEEvS12_
; %bb.0:
	.section	.rodata,"a",@progbits
	.p2align	6, 0x0
	.amdhsa_kernel _ZN7rocprim17ROCPRIM_400000_NS6detail17trampoline_kernelINS0_13select_configILj256ELj13ELNS0_17block_load_methodE3ELS4_3ELS4_3ELNS0_20block_scan_algorithmE0ELj4294967295EEENS1_25partition_config_selectorILNS1_17partition_subalgoE4EjNS0_10empty_typeEbEEZZNS1_14partition_implILS8_4ELb0ES6_15HIP_vector_typeIjLj2EENS0_17counting_iteratorIjlEEPS9_SG_NS0_5tupleIJPjSI_NS0_16reverse_iteratorISI_EEEEENSH_IJSG_SG_SG_EEES9_SI_JZNS1_25segmented_radix_sort_implINS0_14default_configELb0EPKbPbPKlPlN2at6native12_GLOBAL__N_18offset_tEEE10hipError_tPvRmT1_PNSt15iterator_traitsIS12_E10value_typeET2_T3_PNS13_IS18_E10value_typeET4_jRbjT5_S1E_jjP12ihipStream_tbEUljE_ZNSN_ISO_Lb0ESQ_SR_ST_SU_SY_EESZ_S10_S11_S12_S16_S17_S18_S1B_S1C_jS1D_jS1E_S1E_jjS1G_bEUljE0_EEESZ_S10_S11_S18_S1C_S1E_T6_T7_T9_mT8_S1G_bDpT10_ENKUlT_T0_E_clISt17integral_constantIbLb0EES1U_EEDaS1P_S1Q_EUlS1P_E_NS1_11comp_targetILNS1_3genE3ELNS1_11target_archE908ELNS1_3gpuE7ELNS1_3repE0EEENS1_30default_config_static_selectorELNS0_4arch9wavefront6targetE1EEEvS12_
		.amdhsa_group_segment_fixed_size 0
		.amdhsa_private_segment_fixed_size 0
		.amdhsa_kernarg_size 176
		.amdhsa_user_sgpr_count 6
		.amdhsa_user_sgpr_private_segment_buffer 1
		.amdhsa_user_sgpr_dispatch_ptr 0
		.amdhsa_user_sgpr_queue_ptr 0
		.amdhsa_user_sgpr_kernarg_segment_ptr 1
		.amdhsa_user_sgpr_dispatch_id 0
		.amdhsa_user_sgpr_flat_scratch_init 0
		.amdhsa_user_sgpr_kernarg_preload_length 0
		.amdhsa_user_sgpr_kernarg_preload_offset 0
		.amdhsa_user_sgpr_private_segment_size 0
		.amdhsa_uses_dynamic_stack 0
		.amdhsa_system_sgpr_private_segment_wavefront_offset 0
		.amdhsa_system_sgpr_workgroup_id_x 1
		.amdhsa_system_sgpr_workgroup_id_y 0
		.amdhsa_system_sgpr_workgroup_id_z 0
		.amdhsa_system_sgpr_workgroup_info 0
		.amdhsa_system_vgpr_workitem_id 0
		.amdhsa_next_free_vgpr 1
		.amdhsa_next_free_sgpr 0
		.amdhsa_accum_offset 4
		.amdhsa_reserve_vcc 0
		.amdhsa_reserve_flat_scratch 0
		.amdhsa_float_round_mode_32 0
		.amdhsa_float_round_mode_16_64 0
		.amdhsa_float_denorm_mode_32 3
		.amdhsa_float_denorm_mode_16_64 3
		.amdhsa_dx10_clamp 1
		.amdhsa_ieee_mode 1
		.amdhsa_fp16_overflow 0
		.amdhsa_tg_split 0
		.amdhsa_exception_fp_ieee_invalid_op 0
		.amdhsa_exception_fp_denorm_src 0
		.amdhsa_exception_fp_ieee_div_zero 0
		.amdhsa_exception_fp_ieee_overflow 0
		.amdhsa_exception_fp_ieee_underflow 0
		.amdhsa_exception_fp_ieee_inexact 0
		.amdhsa_exception_int_div_zero 0
	.end_amdhsa_kernel
	.section	.text._ZN7rocprim17ROCPRIM_400000_NS6detail17trampoline_kernelINS0_13select_configILj256ELj13ELNS0_17block_load_methodE3ELS4_3ELS4_3ELNS0_20block_scan_algorithmE0ELj4294967295EEENS1_25partition_config_selectorILNS1_17partition_subalgoE4EjNS0_10empty_typeEbEEZZNS1_14partition_implILS8_4ELb0ES6_15HIP_vector_typeIjLj2EENS0_17counting_iteratorIjlEEPS9_SG_NS0_5tupleIJPjSI_NS0_16reverse_iteratorISI_EEEEENSH_IJSG_SG_SG_EEES9_SI_JZNS1_25segmented_radix_sort_implINS0_14default_configELb0EPKbPbPKlPlN2at6native12_GLOBAL__N_18offset_tEEE10hipError_tPvRmT1_PNSt15iterator_traitsIS12_E10value_typeET2_T3_PNS13_IS18_E10value_typeET4_jRbjT5_S1E_jjP12ihipStream_tbEUljE_ZNSN_ISO_Lb0ESQ_SR_ST_SU_SY_EESZ_S10_S11_S12_S16_S17_S18_S1B_S1C_jS1D_jS1E_S1E_jjS1G_bEUljE0_EEESZ_S10_S11_S18_S1C_S1E_T6_T7_T9_mT8_S1G_bDpT10_ENKUlT_T0_E_clISt17integral_constantIbLb0EES1U_EEDaS1P_S1Q_EUlS1P_E_NS1_11comp_targetILNS1_3genE3ELNS1_11target_archE908ELNS1_3gpuE7ELNS1_3repE0EEENS1_30default_config_static_selectorELNS0_4arch9wavefront6targetE1EEEvS12_,"axG",@progbits,_ZN7rocprim17ROCPRIM_400000_NS6detail17trampoline_kernelINS0_13select_configILj256ELj13ELNS0_17block_load_methodE3ELS4_3ELS4_3ELNS0_20block_scan_algorithmE0ELj4294967295EEENS1_25partition_config_selectorILNS1_17partition_subalgoE4EjNS0_10empty_typeEbEEZZNS1_14partition_implILS8_4ELb0ES6_15HIP_vector_typeIjLj2EENS0_17counting_iteratorIjlEEPS9_SG_NS0_5tupleIJPjSI_NS0_16reverse_iteratorISI_EEEEENSH_IJSG_SG_SG_EEES9_SI_JZNS1_25segmented_radix_sort_implINS0_14default_configELb0EPKbPbPKlPlN2at6native12_GLOBAL__N_18offset_tEEE10hipError_tPvRmT1_PNSt15iterator_traitsIS12_E10value_typeET2_T3_PNS13_IS18_E10value_typeET4_jRbjT5_S1E_jjP12ihipStream_tbEUljE_ZNSN_ISO_Lb0ESQ_SR_ST_SU_SY_EESZ_S10_S11_S12_S16_S17_S18_S1B_S1C_jS1D_jS1E_S1E_jjS1G_bEUljE0_EEESZ_S10_S11_S18_S1C_S1E_T6_T7_T9_mT8_S1G_bDpT10_ENKUlT_T0_E_clISt17integral_constantIbLb0EES1U_EEDaS1P_S1Q_EUlS1P_E_NS1_11comp_targetILNS1_3genE3ELNS1_11target_archE908ELNS1_3gpuE7ELNS1_3repE0EEENS1_30default_config_static_selectorELNS0_4arch9wavefront6targetE1EEEvS12_,comdat
.Lfunc_end1572:
	.size	_ZN7rocprim17ROCPRIM_400000_NS6detail17trampoline_kernelINS0_13select_configILj256ELj13ELNS0_17block_load_methodE3ELS4_3ELS4_3ELNS0_20block_scan_algorithmE0ELj4294967295EEENS1_25partition_config_selectorILNS1_17partition_subalgoE4EjNS0_10empty_typeEbEEZZNS1_14partition_implILS8_4ELb0ES6_15HIP_vector_typeIjLj2EENS0_17counting_iteratorIjlEEPS9_SG_NS0_5tupleIJPjSI_NS0_16reverse_iteratorISI_EEEEENSH_IJSG_SG_SG_EEES9_SI_JZNS1_25segmented_radix_sort_implINS0_14default_configELb0EPKbPbPKlPlN2at6native12_GLOBAL__N_18offset_tEEE10hipError_tPvRmT1_PNSt15iterator_traitsIS12_E10value_typeET2_T3_PNS13_IS18_E10value_typeET4_jRbjT5_S1E_jjP12ihipStream_tbEUljE_ZNSN_ISO_Lb0ESQ_SR_ST_SU_SY_EESZ_S10_S11_S12_S16_S17_S18_S1B_S1C_jS1D_jS1E_S1E_jjS1G_bEUljE0_EEESZ_S10_S11_S18_S1C_S1E_T6_T7_T9_mT8_S1G_bDpT10_ENKUlT_T0_E_clISt17integral_constantIbLb0EES1U_EEDaS1P_S1Q_EUlS1P_E_NS1_11comp_targetILNS1_3genE3ELNS1_11target_archE908ELNS1_3gpuE7ELNS1_3repE0EEENS1_30default_config_static_selectorELNS0_4arch9wavefront6targetE1EEEvS12_, .Lfunc_end1572-_ZN7rocprim17ROCPRIM_400000_NS6detail17trampoline_kernelINS0_13select_configILj256ELj13ELNS0_17block_load_methodE3ELS4_3ELS4_3ELNS0_20block_scan_algorithmE0ELj4294967295EEENS1_25partition_config_selectorILNS1_17partition_subalgoE4EjNS0_10empty_typeEbEEZZNS1_14partition_implILS8_4ELb0ES6_15HIP_vector_typeIjLj2EENS0_17counting_iteratorIjlEEPS9_SG_NS0_5tupleIJPjSI_NS0_16reverse_iteratorISI_EEEEENSH_IJSG_SG_SG_EEES9_SI_JZNS1_25segmented_radix_sort_implINS0_14default_configELb0EPKbPbPKlPlN2at6native12_GLOBAL__N_18offset_tEEE10hipError_tPvRmT1_PNSt15iterator_traitsIS12_E10value_typeET2_T3_PNS13_IS18_E10value_typeET4_jRbjT5_S1E_jjP12ihipStream_tbEUljE_ZNSN_ISO_Lb0ESQ_SR_ST_SU_SY_EESZ_S10_S11_S12_S16_S17_S18_S1B_S1C_jS1D_jS1E_S1E_jjS1G_bEUljE0_EEESZ_S10_S11_S18_S1C_S1E_T6_T7_T9_mT8_S1G_bDpT10_ENKUlT_T0_E_clISt17integral_constantIbLb0EES1U_EEDaS1P_S1Q_EUlS1P_E_NS1_11comp_targetILNS1_3genE3ELNS1_11target_archE908ELNS1_3gpuE7ELNS1_3repE0EEENS1_30default_config_static_selectorELNS0_4arch9wavefront6targetE1EEEvS12_
                                        ; -- End function
	.section	.AMDGPU.csdata,"",@progbits
; Kernel info:
; codeLenInByte = 0
; NumSgprs: 4
; NumVgprs: 0
; NumAgprs: 0
; TotalNumVgprs: 0
; ScratchSize: 0
; MemoryBound: 0
; FloatMode: 240
; IeeeMode: 1
; LDSByteSize: 0 bytes/workgroup (compile time only)
; SGPRBlocks: 0
; VGPRBlocks: 0
; NumSGPRsForWavesPerEU: 4
; NumVGPRsForWavesPerEU: 1
; AccumOffset: 4
; Occupancy: 8
; WaveLimiterHint : 0
; COMPUTE_PGM_RSRC2:SCRATCH_EN: 0
; COMPUTE_PGM_RSRC2:USER_SGPR: 6
; COMPUTE_PGM_RSRC2:TRAP_HANDLER: 0
; COMPUTE_PGM_RSRC2:TGID_X_EN: 1
; COMPUTE_PGM_RSRC2:TGID_Y_EN: 0
; COMPUTE_PGM_RSRC2:TGID_Z_EN: 0
; COMPUTE_PGM_RSRC2:TIDIG_COMP_CNT: 0
; COMPUTE_PGM_RSRC3_GFX90A:ACCUM_OFFSET: 0
; COMPUTE_PGM_RSRC3_GFX90A:TG_SPLIT: 0
	.section	.text._ZN7rocprim17ROCPRIM_400000_NS6detail17trampoline_kernelINS0_13select_configILj256ELj13ELNS0_17block_load_methodE3ELS4_3ELS4_3ELNS0_20block_scan_algorithmE0ELj4294967295EEENS1_25partition_config_selectorILNS1_17partition_subalgoE4EjNS0_10empty_typeEbEEZZNS1_14partition_implILS8_4ELb0ES6_15HIP_vector_typeIjLj2EENS0_17counting_iteratorIjlEEPS9_SG_NS0_5tupleIJPjSI_NS0_16reverse_iteratorISI_EEEEENSH_IJSG_SG_SG_EEES9_SI_JZNS1_25segmented_radix_sort_implINS0_14default_configELb0EPKbPbPKlPlN2at6native12_GLOBAL__N_18offset_tEEE10hipError_tPvRmT1_PNSt15iterator_traitsIS12_E10value_typeET2_T3_PNS13_IS18_E10value_typeET4_jRbjT5_S1E_jjP12ihipStream_tbEUljE_ZNSN_ISO_Lb0ESQ_SR_ST_SU_SY_EESZ_S10_S11_S12_S16_S17_S18_S1B_S1C_jS1D_jS1E_S1E_jjS1G_bEUljE0_EEESZ_S10_S11_S18_S1C_S1E_T6_T7_T9_mT8_S1G_bDpT10_ENKUlT_T0_E_clISt17integral_constantIbLb0EES1U_EEDaS1P_S1Q_EUlS1P_E_NS1_11comp_targetILNS1_3genE2ELNS1_11target_archE906ELNS1_3gpuE6ELNS1_3repE0EEENS1_30default_config_static_selectorELNS0_4arch9wavefront6targetE1EEEvS12_,"axG",@progbits,_ZN7rocprim17ROCPRIM_400000_NS6detail17trampoline_kernelINS0_13select_configILj256ELj13ELNS0_17block_load_methodE3ELS4_3ELS4_3ELNS0_20block_scan_algorithmE0ELj4294967295EEENS1_25partition_config_selectorILNS1_17partition_subalgoE4EjNS0_10empty_typeEbEEZZNS1_14partition_implILS8_4ELb0ES6_15HIP_vector_typeIjLj2EENS0_17counting_iteratorIjlEEPS9_SG_NS0_5tupleIJPjSI_NS0_16reverse_iteratorISI_EEEEENSH_IJSG_SG_SG_EEES9_SI_JZNS1_25segmented_radix_sort_implINS0_14default_configELb0EPKbPbPKlPlN2at6native12_GLOBAL__N_18offset_tEEE10hipError_tPvRmT1_PNSt15iterator_traitsIS12_E10value_typeET2_T3_PNS13_IS18_E10value_typeET4_jRbjT5_S1E_jjP12ihipStream_tbEUljE_ZNSN_ISO_Lb0ESQ_SR_ST_SU_SY_EESZ_S10_S11_S12_S16_S17_S18_S1B_S1C_jS1D_jS1E_S1E_jjS1G_bEUljE0_EEESZ_S10_S11_S18_S1C_S1E_T6_T7_T9_mT8_S1G_bDpT10_ENKUlT_T0_E_clISt17integral_constantIbLb0EES1U_EEDaS1P_S1Q_EUlS1P_E_NS1_11comp_targetILNS1_3genE2ELNS1_11target_archE906ELNS1_3gpuE6ELNS1_3repE0EEENS1_30default_config_static_selectorELNS0_4arch9wavefront6targetE1EEEvS12_,comdat
	.globl	_ZN7rocprim17ROCPRIM_400000_NS6detail17trampoline_kernelINS0_13select_configILj256ELj13ELNS0_17block_load_methodE3ELS4_3ELS4_3ELNS0_20block_scan_algorithmE0ELj4294967295EEENS1_25partition_config_selectorILNS1_17partition_subalgoE4EjNS0_10empty_typeEbEEZZNS1_14partition_implILS8_4ELb0ES6_15HIP_vector_typeIjLj2EENS0_17counting_iteratorIjlEEPS9_SG_NS0_5tupleIJPjSI_NS0_16reverse_iteratorISI_EEEEENSH_IJSG_SG_SG_EEES9_SI_JZNS1_25segmented_radix_sort_implINS0_14default_configELb0EPKbPbPKlPlN2at6native12_GLOBAL__N_18offset_tEEE10hipError_tPvRmT1_PNSt15iterator_traitsIS12_E10value_typeET2_T3_PNS13_IS18_E10value_typeET4_jRbjT5_S1E_jjP12ihipStream_tbEUljE_ZNSN_ISO_Lb0ESQ_SR_ST_SU_SY_EESZ_S10_S11_S12_S16_S17_S18_S1B_S1C_jS1D_jS1E_S1E_jjS1G_bEUljE0_EEESZ_S10_S11_S18_S1C_S1E_T6_T7_T9_mT8_S1G_bDpT10_ENKUlT_T0_E_clISt17integral_constantIbLb0EES1U_EEDaS1P_S1Q_EUlS1P_E_NS1_11comp_targetILNS1_3genE2ELNS1_11target_archE906ELNS1_3gpuE6ELNS1_3repE0EEENS1_30default_config_static_selectorELNS0_4arch9wavefront6targetE1EEEvS12_ ; -- Begin function _ZN7rocprim17ROCPRIM_400000_NS6detail17trampoline_kernelINS0_13select_configILj256ELj13ELNS0_17block_load_methodE3ELS4_3ELS4_3ELNS0_20block_scan_algorithmE0ELj4294967295EEENS1_25partition_config_selectorILNS1_17partition_subalgoE4EjNS0_10empty_typeEbEEZZNS1_14partition_implILS8_4ELb0ES6_15HIP_vector_typeIjLj2EENS0_17counting_iteratorIjlEEPS9_SG_NS0_5tupleIJPjSI_NS0_16reverse_iteratorISI_EEEEENSH_IJSG_SG_SG_EEES9_SI_JZNS1_25segmented_radix_sort_implINS0_14default_configELb0EPKbPbPKlPlN2at6native12_GLOBAL__N_18offset_tEEE10hipError_tPvRmT1_PNSt15iterator_traitsIS12_E10value_typeET2_T3_PNS13_IS18_E10value_typeET4_jRbjT5_S1E_jjP12ihipStream_tbEUljE_ZNSN_ISO_Lb0ESQ_SR_ST_SU_SY_EESZ_S10_S11_S12_S16_S17_S18_S1B_S1C_jS1D_jS1E_S1E_jjS1G_bEUljE0_EEESZ_S10_S11_S18_S1C_S1E_T6_T7_T9_mT8_S1G_bDpT10_ENKUlT_T0_E_clISt17integral_constantIbLb0EES1U_EEDaS1P_S1Q_EUlS1P_E_NS1_11comp_targetILNS1_3genE2ELNS1_11target_archE906ELNS1_3gpuE6ELNS1_3repE0EEENS1_30default_config_static_selectorELNS0_4arch9wavefront6targetE1EEEvS12_
	.p2align	8
	.type	_ZN7rocprim17ROCPRIM_400000_NS6detail17trampoline_kernelINS0_13select_configILj256ELj13ELNS0_17block_load_methodE3ELS4_3ELS4_3ELNS0_20block_scan_algorithmE0ELj4294967295EEENS1_25partition_config_selectorILNS1_17partition_subalgoE4EjNS0_10empty_typeEbEEZZNS1_14partition_implILS8_4ELb0ES6_15HIP_vector_typeIjLj2EENS0_17counting_iteratorIjlEEPS9_SG_NS0_5tupleIJPjSI_NS0_16reverse_iteratorISI_EEEEENSH_IJSG_SG_SG_EEES9_SI_JZNS1_25segmented_radix_sort_implINS0_14default_configELb0EPKbPbPKlPlN2at6native12_GLOBAL__N_18offset_tEEE10hipError_tPvRmT1_PNSt15iterator_traitsIS12_E10value_typeET2_T3_PNS13_IS18_E10value_typeET4_jRbjT5_S1E_jjP12ihipStream_tbEUljE_ZNSN_ISO_Lb0ESQ_SR_ST_SU_SY_EESZ_S10_S11_S12_S16_S17_S18_S1B_S1C_jS1D_jS1E_S1E_jjS1G_bEUljE0_EEESZ_S10_S11_S18_S1C_S1E_T6_T7_T9_mT8_S1G_bDpT10_ENKUlT_T0_E_clISt17integral_constantIbLb0EES1U_EEDaS1P_S1Q_EUlS1P_E_NS1_11comp_targetILNS1_3genE2ELNS1_11target_archE906ELNS1_3gpuE6ELNS1_3repE0EEENS1_30default_config_static_selectorELNS0_4arch9wavefront6targetE1EEEvS12_,@function
_ZN7rocprim17ROCPRIM_400000_NS6detail17trampoline_kernelINS0_13select_configILj256ELj13ELNS0_17block_load_methodE3ELS4_3ELS4_3ELNS0_20block_scan_algorithmE0ELj4294967295EEENS1_25partition_config_selectorILNS1_17partition_subalgoE4EjNS0_10empty_typeEbEEZZNS1_14partition_implILS8_4ELb0ES6_15HIP_vector_typeIjLj2EENS0_17counting_iteratorIjlEEPS9_SG_NS0_5tupleIJPjSI_NS0_16reverse_iteratorISI_EEEEENSH_IJSG_SG_SG_EEES9_SI_JZNS1_25segmented_radix_sort_implINS0_14default_configELb0EPKbPbPKlPlN2at6native12_GLOBAL__N_18offset_tEEE10hipError_tPvRmT1_PNSt15iterator_traitsIS12_E10value_typeET2_T3_PNS13_IS18_E10value_typeET4_jRbjT5_S1E_jjP12ihipStream_tbEUljE_ZNSN_ISO_Lb0ESQ_SR_ST_SU_SY_EESZ_S10_S11_S12_S16_S17_S18_S1B_S1C_jS1D_jS1E_S1E_jjS1G_bEUljE0_EEESZ_S10_S11_S18_S1C_S1E_T6_T7_T9_mT8_S1G_bDpT10_ENKUlT_T0_E_clISt17integral_constantIbLb0EES1U_EEDaS1P_S1Q_EUlS1P_E_NS1_11comp_targetILNS1_3genE2ELNS1_11target_archE906ELNS1_3gpuE6ELNS1_3repE0EEENS1_30default_config_static_selectorELNS0_4arch9wavefront6targetE1EEEvS12_: ; @_ZN7rocprim17ROCPRIM_400000_NS6detail17trampoline_kernelINS0_13select_configILj256ELj13ELNS0_17block_load_methodE3ELS4_3ELS4_3ELNS0_20block_scan_algorithmE0ELj4294967295EEENS1_25partition_config_selectorILNS1_17partition_subalgoE4EjNS0_10empty_typeEbEEZZNS1_14partition_implILS8_4ELb0ES6_15HIP_vector_typeIjLj2EENS0_17counting_iteratorIjlEEPS9_SG_NS0_5tupleIJPjSI_NS0_16reverse_iteratorISI_EEEEENSH_IJSG_SG_SG_EEES9_SI_JZNS1_25segmented_radix_sort_implINS0_14default_configELb0EPKbPbPKlPlN2at6native12_GLOBAL__N_18offset_tEEE10hipError_tPvRmT1_PNSt15iterator_traitsIS12_E10value_typeET2_T3_PNS13_IS18_E10value_typeET4_jRbjT5_S1E_jjP12ihipStream_tbEUljE_ZNSN_ISO_Lb0ESQ_SR_ST_SU_SY_EESZ_S10_S11_S12_S16_S17_S18_S1B_S1C_jS1D_jS1E_S1E_jjS1G_bEUljE0_EEESZ_S10_S11_S18_S1C_S1E_T6_T7_T9_mT8_S1G_bDpT10_ENKUlT_T0_E_clISt17integral_constantIbLb0EES1U_EEDaS1P_S1Q_EUlS1P_E_NS1_11comp_targetILNS1_3genE2ELNS1_11target_archE906ELNS1_3gpuE6ELNS1_3repE0EEENS1_30default_config_static_selectorELNS0_4arch9wavefront6targetE1EEEvS12_
; %bb.0:
	.section	.rodata,"a",@progbits
	.p2align	6, 0x0
	.amdhsa_kernel _ZN7rocprim17ROCPRIM_400000_NS6detail17trampoline_kernelINS0_13select_configILj256ELj13ELNS0_17block_load_methodE3ELS4_3ELS4_3ELNS0_20block_scan_algorithmE0ELj4294967295EEENS1_25partition_config_selectorILNS1_17partition_subalgoE4EjNS0_10empty_typeEbEEZZNS1_14partition_implILS8_4ELb0ES6_15HIP_vector_typeIjLj2EENS0_17counting_iteratorIjlEEPS9_SG_NS0_5tupleIJPjSI_NS0_16reverse_iteratorISI_EEEEENSH_IJSG_SG_SG_EEES9_SI_JZNS1_25segmented_radix_sort_implINS0_14default_configELb0EPKbPbPKlPlN2at6native12_GLOBAL__N_18offset_tEEE10hipError_tPvRmT1_PNSt15iterator_traitsIS12_E10value_typeET2_T3_PNS13_IS18_E10value_typeET4_jRbjT5_S1E_jjP12ihipStream_tbEUljE_ZNSN_ISO_Lb0ESQ_SR_ST_SU_SY_EESZ_S10_S11_S12_S16_S17_S18_S1B_S1C_jS1D_jS1E_S1E_jjS1G_bEUljE0_EEESZ_S10_S11_S18_S1C_S1E_T6_T7_T9_mT8_S1G_bDpT10_ENKUlT_T0_E_clISt17integral_constantIbLb0EES1U_EEDaS1P_S1Q_EUlS1P_E_NS1_11comp_targetILNS1_3genE2ELNS1_11target_archE906ELNS1_3gpuE6ELNS1_3repE0EEENS1_30default_config_static_selectorELNS0_4arch9wavefront6targetE1EEEvS12_
		.amdhsa_group_segment_fixed_size 0
		.amdhsa_private_segment_fixed_size 0
		.amdhsa_kernarg_size 176
		.amdhsa_user_sgpr_count 6
		.amdhsa_user_sgpr_private_segment_buffer 1
		.amdhsa_user_sgpr_dispatch_ptr 0
		.amdhsa_user_sgpr_queue_ptr 0
		.amdhsa_user_sgpr_kernarg_segment_ptr 1
		.amdhsa_user_sgpr_dispatch_id 0
		.amdhsa_user_sgpr_flat_scratch_init 0
		.amdhsa_user_sgpr_kernarg_preload_length 0
		.amdhsa_user_sgpr_kernarg_preload_offset 0
		.amdhsa_user_sgpr_private_segment_size 0
		.amdhsa_uses_dynamic_stack 0
		.amdhsa_system_sgpr_private_segment_wavefront_offset 0
		.amdhsa_system_sgpr_workgroup_id_x 1
		.amdhsa_system_sgpr_workgroup_id_y 0
		.amdhsa_system_sgpr_workgroup_id_z 0
		.amdhsa_system_sgpr_workgroup_info 0
		.amdhsa_system_vgpr_workitem_id 0
		.amdhsa_next_free_vgpr 1
		.amdhsa_next_free_sgpr 0
		.amdhsa_accum_offset 4
		.amdhsa_reserve_vcc 0
		.amdhsa_reserve_flat_scratch 0
		.amdhsa_float_round_mode_32 0
		.amdhsa_float_round_mode_16_64 0
		.amdhsa_float_denorm_mode_32 3
		.amdhsa_float_denorm_mode_16_64 3
		.amdhsa_dx10_clamp 1
		.amdhsa_ieee_mode 1
		.amdhsa_fp16_overflow 0
		.amdhsa_tg_split 0
		.amdhsa_exception_fp_ieee_invalid_op 0
		.amdhsa_exception_fp_denorm_src 0
		.amdhsa_exception_fp_ieee_div_zero 0
		.amdhsa_exception_fp_ieee_overflow 0
		.amdhsa_exception_fp_ieee_underflow 0
		.amdhsa_exception_fp_ieee_inexact 0
		.amdhsa_exception_int_div_zero 0
	.end_amdhsa_kernel
	.section	.text._ZN7rocprim17ROCPRIM_400000_NS6detail17trampoline_kernelINS0_13select_configILj256ELj13ELNS0_17block_load_methodE3ELS4_3ELS4_3ELNS0_20block_scan_algorithmE0ELj4294967295EEENS1_25partition_config_selectorILNS1_17partition_subalgoE4EjNS0_10empty_typeEbEEZZNS1_14partition_implILS8_4ELb0ES6_15HIP_vector_typeIjLj2EENS0_17counting_iteratorIjlEEPS9_SG_NS0_5tupleIJPjSI_NS0_16reverse_iteratorISI_EEEEENSH_IJSG_SG_SG_EEES9_SI_JZNS1_25segmented_radix_sort_implINS0_14default_configELb0EPKbPbPKlPlN2at6native12_GLOBAL__N_18offset_tEEE10hipError_tPvRmT1_PNSt15iterator_traitsIS12_E10value_typeET2_T3_PNS13_IS18_E10value_typeET4_jRbjT5_S1E_jjP12ihipStream_tbEUljE_ZNSN_ISO_Lb0ESQ_SR_ST_SU_SY_EESZ_S10_S11_S12_S16_S17_S18_S1B_S1C_jS1D_jS1E_S1E_jjS1G_bEUljE0_EEESZ_S10_S11_S18_S1C_S1E_T6_T7_T9_mT8_S1G_bDpT10_ENKUlT_T0_E_clISt17integral_constantIbLb0EES1U_EEDaS1P_S1Q_EUlS1P_E_NS1_11comp_targetILNS1_3genE2ELNS1_11target_archE906ELNS1_3gpuE6ELNS1_3repE0EEENS1_30default_config_static_selectorELNS0_4arch9wavefront6targetE1EEEvS12_,"axG",@progbits,_ZN7rocprim17ROCPRIM_400000_NS6detail17trampoline_kernelINS0_13select_configILj256ELj13ELNS0_17block_load_methodE3ELS4_3ELS4_3ELNS0_20block_scan_algorithmE0ELj4294967295EEENS1_25partition_config_selectorILNS1_17partition_subalgoE4EjNS0_10empty_typeEbEEZZNS1_14partition_implILS8_4ELb0ES6_15HIP_vector_typeIjLj2EENS0_17counting_iteratorIjlEEPS9_SG_NS0_5tupleIJPjSI_NS0_16reverse_iteratorISI_EEEEENSH_IJSG_SG_SG_EEES9_SI_JZNS1_25segmented_radix_sort_implINS0_14default_configELb0EPKbPbPKlPlN2at6native12_GLOBAL__N_18offset_tEEE10hipError_tPvRmT1_PNSt15iterator_traitsIS12_E10value_typeET2_T3_PNS13_IS18_E10value_typeET4_jRbjT5_S1E_jjP12ihipStream_tbEUljE_ZNSN_ISO_Lb0ESQ_SR_ST_SU_SY_EESZ_S10_S11_S12_S16_S17_S18_S1B_S1C_jS1D_jS1E_S1E_jjS1G_bEUljE0_EEESZ_S10_S11_S18_S1C_S1E_T6_T7_T9_mT8_S1G_bDpT10_ENKUlT_T0_E_clISt17integral_constantIbLb0EES1U_EEDaS1P_S1Q_EUlS1P_E_NS1_11comp_targetILNS1_3genE2ELNS1_11target_archE906ELNS1_3gpuE6ELNS1_3repE0EEENS1_30default_config_static_selectorELNS0_4arch9wavefront6targetE1EEEvS12_,comdat
.Lfunc_end1573:
	.size	_ZN7rocprim17ROCPRIM_400000_NS6detail17trampoline_kernelINS0_13select_configILj256ELj13ELNS0_17block_load_methodE3ELS4_3ELS4_3ELNS0_20block_scan_algorithmE0ELj4294967295EEENS1_25partition_config_selectorILNS1_17partition_subalgoE4EjNS0_10empty_typeEbEEZZNS1_14partition_implILS8_4ELb0ES6_15HIP_vector_typeIjLj2EENS0_17counting_iteratorIjlEEPS9_SG_NS0_5tupleIJPjSI_NS0_16reverse_iteratorISI_EEEEENSH_IJSG_SG_SG_EEES9_SI_JZNS1_25segmented_radix_sort_implINS0_14default_configELb0EPKbPbPKlPlN2at6native12_GLOBAL__N_18offset_tEEE10hipError_tPvRmT1_PNSt15iterator_traitsIS12_E10value_typeET2_T3_PNS13_IS18_E10value_typeET4_jRbjT5_S1E_jjP12ihipStream_tbEUljE_ZNSN_ISO_Lb0ESQ_SR_ST_SU_SY_EESZ_S10_S11_S12_S16_S17_S18_S1B_S1C_jS1D_jS1E_S1E_jjS1G_bEUljE0_EEESZ_S10_S11_S18_S1C_S1E_T6_T7_T9_mT8_S1G_bDpT10_ENKUlT_T0_E_clISt17integral_constantIbLb0EES1U_EEDaS1P_S1Q_EUlS1P_E_NS1_11comp_targetILNS1_3genE2ELNS1_11target_archE906ELNS1_3gpuE6ELNS1_3repE0EEENS1_30default_config_static_selectorELNS0_4arch9wavefront6targetE1EEEvS12_, .Lfunc_end1573-_ZN7rocprim17ROCPRIM_400000_NS6detail17trampoline_kernelINS0_13select_configILj256ELj13ELNS0_17block_load_methodE3ELS4_3ELS4_3ELNS0_20block_scan_algorithmE0ELj4294967295EEENS1_25partition_config_selectorILNS1_17partition_subalgoE4EjNS0_10empty_typeEbEEZZNS1_14partition_implILS8_4ELb0ES6_15HIP_vector_typeIjLj2EENS0_17counting_iteratorIjlEEPS9_SG_NS0_5tupleIJPjSI_NS0_16reverse_iteratorISI_EEEEENSH_IJSG_SG_SG_EEES9_SI_JZNS1_25segmented_radix_sort_implINS0_14default_configELb0EPKbPbPKlPlN2at6native12_GLOBAL__N_18offset_tEEE10hipError_tPvRmT1_PNSt15iterator_traitsIS12_E10value_typeET2_T3_PNS13_IS18_E10value_typeET4_jRbjT5_S1E_jjP12ihipStream_tbEUljE_ZNSN_ISO_Lb0ESQ_SR_ST_SU_SY_EESZ_S10_S11_S12_S16_S17_S18_S1B_S1C_jS1D_jS1E_S1E_jjS1G_bEUljE0_EEESZ_S10_S11_S18_S1C_S1E_T6_T7_T9_mT8_S1G_bDpT10_ENKUlT_T0_E_clISt17integral_constantIbLb0EES1U_EEDaS1P_S1Q_EUlS1P_E_NS1_11comp_targetILNS1_3genE2ELNS1_11target_archE906ELNS1_3gpuE6ELNS1_3repE0EEENS1_30default_config_static_selectorELNS0_4arch9wavefront6targetE1EEEvS12_
                                        ; -- End function
	.section	.AMDGPU.csdata,"",@progbits
; Kernel info:
; codeLenInByte = 0
; NumSgprs: 4
; NumVgprs: 0
; NumAgprs: 0
; TotalNumVgprs: 0
; ScratchSize: 0
; MemoryBound: 0
; FloatMode: 240
; IeeeMode: 1
; LDSByteSize: 0 bytes/workgroup (compile time only)
; SGPRBlocks: 0
; VGPRBlocks: 0
; NumSGPRsForWavesPerEU: 4
; NumVGPRsForWavesPerEU: 1
; AccumOffset: 4
; Occupancy: 8
; WaveLimiterHint : 0
; COMPUTE_PGM_RSRC2:SCRATCH_EN: 0
; COMPUTE_PGM_RSRC2:USER_SGPR: 6
; COMPUTE_PGM_RSRC2:TRAP_HANDLER: 0
; COMPUTE_PGM_RSRC2:TGID_X_EN: 1
; COMPUTE_PGM_RSRC2:TGID_Y_EN: 0
; COMPUTE_PGM_RSRC2:TGID_Z_EN: 0
; COMPUTE_PGM_RSRC2:TIDIG_COMP_CNT: 0
; COMPUTE_PGM_RSRC3_GFX90A:ACCUM_OFFSET: 0
; COMPUTE_PGM_RSRC3_GFX90A:TG_SPLIT: 0
	.section	.text._ZN7rocprim17ROCPRIM_400000_NS6detail17trampoline_kernelINS0_13select_configILj256ELj13ELNS0_17block_load_methodE3ELS4_3ELS4_3ELNS0_20block_scan_algorithmE0ELj4294967295EEENS1_25partition_config_selectorILNS1_17partition_subalgoE4EjNS0_10empty_typeEbEEZZNS1_14partition_implILS8_4ELb0ES6_15HIP_vector_typeIjLj2EENS0_17counting_iteratorIjlEEPS9_SG_NS0_5tupleIJPjSI_NS0_16reverse_iteratorISI_EEEEENSH_IJSG_SG_SG_EEES9_SI_JZNS1_25segmented_radix_sort_implINS0_14default_configELb0EPKbPbPKlPlN2at6native12_GLOBAL__N_18offset_tEEE10hipError_tPvRmT1_PNSt15iterator_traitsIS12_E10value_typeET2_T3_PNS13_IS18_E10value_typeET4_jRbjT5_S1E_jjP12ihipStream_tbEUljE_ZNSN_ISO_Lb0ESQ_SR_ST_SU_SY_EESZ_S10_S11_S12_S16_S17_S18_S1B_S1C_jS1D_jS1E_S1E_jjS1G_bEUljE0_EEESZ_S10_S11_S18_S1C_S1E_T6_T7_T9_mT8_S1G_bDpT10_ENKUlT_T0_E_clISt17integral_constantIbLb0EES1U_EEDaS1P_S1Q_EUlS1P_E_NS1_11comp_targetILNS1_3genE10ELNS1_11target_archE1200ELNS1_3gpuE4ELNS1_3repE0EEENS1_30default_config_static_selectorELNS0_4arch9wavefront6targetE1EEEvS12_,"axG",@progbits,_ZN7rocprim17ROCPRIM_400000_NS6detail17trampoline_kernelINS0_13select_configILj256ELj13ELNS0_17block_load_methodE3ELS4_3ELS4_3ELNS0_20block_scan_algorithmE0ELj4294967295EEENS1_25partition_config_selectorILNS1_17partition_subalgoE4EjNS0_10empty_typeEbEEZZNS1_14partition_implILS8_4ELb0ES6_15HIP_vector_typeIjLj2EENS0_17counting_iteratorIjlEEPS9_SG_NS0_5tupleIJPjSI_NS0_16reverse_iteratorISI_EEEEENSH_IJSG_SG_SG_EEES9_SI_JZNS1_25segmented_radix_sort_implINS0_14default_configELb0EPKbPbPKlPlN2at6native12_GLOBAL__N_18offset_tEEE10hipError_tPvRmT1_PNSt15iterator_traitsIS12_E10value_typeET2_T3_PNS13_IS18_E10value_typeET4_jRbjT5_S1E_jjP12ihipStream_tbEUljE_ZNSN_ISO_Lb0ESQ_SR_ST_SU_SY_EESZ_S10_S11_S12_S16_S17_S18_S1B_S1C_jS1D_jS1E_S1E_jjS1G_bEUljE0_EEESZ_S10_S11_S18_S1C_S1E_T6_T7_T9_mT8_S1G_bDpT10_ENKUlT_T0_E_clISt17integral_constantIbLb0EES1U_EEDaS1P_S1Q_EUlS1P_E_NS1_11comp_targetILNS1_3genE10ELNS1_11target_archE1200ELNS1_3gpuE4ELNS1_3repE0EEENS1_30default_config_static_selectorELNS0_4arch9wavefront6targetE1EEEvS12_,comdat
	.globl	_ZN7rocprim17ROCPRIM_400000_NS6detail17trampoline_kernelINS0_13select_configILj256ELj13ELNS0_17block_load_methodE3ELS4_3ELS4_3ELNS0_20block_scan_algorithmE0ELj4294967295EEENS1_25partition_config_selectorILNS1_17partition_subalgoE4EjNS0_10empty_typeEbEEZZNS1_14partition_implILS8_4ELb0ES6_15HIP_vector_typeIjLj2EENS0_17counting_iteratorIjlEEPS9_SG_NS0_5tupleIJPjSI_NS0_16reverse_iteratorISI_EEEEENSH_IJSG_SG_SG_EEES9_SI_JZNS1_25segmented_radix_sort_implINS0_14default_configELb0EPKbPbPKlPlN2at6native12_GLOBAL__N_18offset_tEEE10hipError_tPvRmT1_PNSt15iterator_traitsIS12_E10value_typeET2_T3_PNS13_IS18_E10value_typeET4_jRbjT5_S1E_jjP12ihipStream_tbEUljE_ZNSN_ISO_Lb0ESQ_SR_ST_SU_SY_EESZ_S10_S11_S12_S16_S17_S18_S1B_S1C_jS1D_jS1E_S1E_jjS1G_bEUljE0_EEESZ_S10_S11_S18_S1C_S1E_T6_T7_T9_mT8_S1G_bDpT10_ENKUlT_T0_E_clISt17integral_constantIbLb0EES1U_EEDaS1P_S1Q_EUlS1P_E_NS1_11comp_targetILNS1_3genE10ELNS1_11target_archE1200ELNS1_3gpuE4ELNS1_3repE0EEENS1_30default_config_static_selectorELNS0_4arch9wavefront6targetE1EEEvS12_ ; -- Begin function _ZN7rocprim17ROCPRIM_400000_NS6detail17trampoline_kernelINS0_13select_configILj256ELj13ELNS0_17block_load_methodE3ELS4_3ELS4_3ELNS0_20block_scan_algorithmE0ELj4294967295EEENS1_25partition_config_selectorILNS1_17partition_subalgoE4EjNS0_10empty_typeEbEEZZNS1_14partition_implILS8_4ELb0ES6_15HIP_vector_typeIjLj2EENS0_17counting_iteratorIjlEEPS9_SG_NS0_5tupleIJPjSI_NS0_16reverse_iteratorISI_EEEEENSH_IJSG_SG_SG_EEES9_SI_JZNS1_25segmented_radix_sort_implINS0_14default_configELb0EPKbPbPKlPlN2at6native12_GLOBAL__N_18offset_tEEE10hipError_tPvRmT1_PNSt15iterator_traitsIS12_E10value_typeET2_T3_PNS13_IS18_E10value_typeET4_jRbjT5_S1E_jjP12ihipStream_tbEUljE_ZNSN_ISO_Lb0ESQ_SR_ST_SU_SY_EESZ_S10_S11_S12_S16_S17_S18_S1B_S1C_jS1D_jS1E_S1E_jjS1G_bEUljE0_EEESZ_S10_S11_S18_S1C_S1E_T6_T7_T9_mT8_S1G_bDpT10_ENKUlT_T0_E_clISt17integral_constantIbLb0EES1U_EEDaS1P_S1Q_EUlS1P_E_NS1_11comp_targetILNS1_3genE10ELNS1_11target_archE1200ELNS1_3gpuE4ELNS1_3repE0EEENS1_30default_config_static_selectorELNS0_4arch9wavefront6targetE1EEEvS12_
	.p2align	8
	.type	_ZN7rocprim17ROCPRIM_400000_NS6detail17trampoline_kernelINS0_13select_configILj256ELj13ELNS0_17block_load_methodE3ELS4_3ELS4_3ELNS0_20block_scan_algorithmE0ELj4294967295EEENS1_25partition_config_selectorILNS1_17partition_subalgoE4EjNS0_10empty_typeEbEEZZNS1_14partition_implILS8_4ELb0ES6_15HIP_vector_typeIjLj2EENS0_17counting_iteratorIjlEEPS9_SG_NS0_5tupleIJPjSI_NS0_16reverse_iteratorISI_EEEEENSH_IJSG_SG_SG_EEES9_SI_JZNS1_25segmented_radix_sort_implINS0_14default_configELb0EPKbPbPKlPlN2at6native12_GLOBAL__N_18offset_tEEE10hipError_tPvRmT1_PNSt15iterator_traitsIS12_E10value_typeET2_T3_PNS13_IS18_E10value_typeET4_jRbjT5_S1E_jjP12ihipStream_tbEUljE_ZNSN_ISO_Lb0ESQ_SR_ST_SU_SY_EESZ_S10_S11_S12_S16_S17_S18_S1B_S1C_jS1D_jS1E_S1E_jjS1G_bEUljE0_EEESZ_S10_S11_S18_S1C_S1E_T6_T7_T9_mT8_S1G_bDpT10_ENKUlT_T0_E_clISt17integral_constantIbLb0EES1U_EEDaS1P_S1Q_EUlS1P_E_NS1_11comp_targetILNS1_3genE10ELNS1_11target_archE1200ELNS1_3gpuE4ELNS1_3repE0EEENS1_30default_config_static_selectorELNS0_4arch9wavefront6targetE1EEEvS12_,@function
_ZN7rocprim17ROCPRIM_400000_NS6detail17trampoline_kernelINS0_13select_configILj256ELj13ELNS0_17block_load_methodE3ELS4_3ELS4_3ELNS0_20block_scan_algorithmE0ELj4294967295EEENS1_25partition_config_selectorILNS1_17partition_subalgoE4EjNS0_10empty_typeEbEEZZNS1_14partition_implILS8_4ELb0ES6_15HIP_vector_typeIjLj2EENS0_17counting_iteratorIjlEEPS9_SG_NS0_5tupleIJPjSI_NS0_16reverse_iteratorISI_EEEEENSH_IJSG_SG_SG_EEES9_SI_JZNS1_25segmented_radix_sort_implINS0_14default_configELb0EPKbPbPKlPlN2at6native12_GLOBAL__N_18offset_tEEE10hipError_tPvRmT1_PNSt15iterator_traitsIS12_E10value_typeET2_T3_PNS13_IS18_E10value_typeET4_jRbjT5_S1E_jjP12ihipStream_tbEUljE_ZNSN_ISO_Lb0ESQ_SR_ST_SU_SY_EESZ_S10_S11_S12_S16_S17_S18_S1B_S1C_jS1D_jS1E_S1E_jjS1G_bEUljE0_EEESZ_S10_S11_S18_S1C_S1E_T6_T7_T9_mT8_S1G_bDpT10_ENKUlT_T0_E_clISt17integral_constantIbLb0EES1U_EEDaS1P_S1Q_EUlS1P_E_NS1_11comp_targetILNS1_3genE10ELNS1_11target_archE1200ELNS1_3gpuE4ELNS1_3repE0EEENS1_30default_config_static_selectorELNS0_4arch9wavefront6targetE1EEEvS12_: ; @_ZN7rocprim17ROCPRIM_400000_NS6detail17trampoline_kernelINS0_13select_configILj256ELj13ELNS0_17block_load_methodE3ELS4_3ELS4_3ELNS0_20block_scan_algorithmE0ELj4294967295EEENS1_25partition_config_selectorILNS1_17partition_subalgoE4EjNS0_10empty_typeEbEEZZNS1_14partition_implILS8_4ELb0ES6_15HIP_vector_typeIjLj2EENS0_17counting_iteratorIjlEEPS9_SG_NS0_5tupleIJPjSI_NS0_16reverse_iteratorISI_EEEEENSH_IJSG_SG_SG_EEES9_SI_JZNS1_25segmented_radix_sort_implINS0_14default_configELb0EPKbPbPKlPlN2at6native12_GLOBAL__N_18offset_tEEE10hipError_tPvRmT1_PNSt15iterator_traitsIS12_E10value_typeET2_T3_PNS13_IS18_E10value_typeET4_jRbjT5_S1E_jjP12ihipStream_tbEUljE_ZNSN_ISO_Lb0ESQ_SR_ST_SU_SY_EESZ_S10_S11_S12_S16_S17_S18_S1B_S1C_jS1D_jS1E_S1E_jjS1G_bEUljE0_EEESZ_S10_S11_S18_S1C_S1E_T6_T7_T9_mT8_S1G_bDpT10_ENKUlT_T0_E_clISt17integral_constantIbLb0EES1U_EEDaS1P_S1Q_EUlS1P_E_NS1_11comp_targetILNS1_3genE10ELNS1_11target_archE1200ELNS1_3gpuE4ELNS1_3repE0EEENS1_30default_config_static_selectorELNS0_4arch9wavefront6targetE1EEEvS12_
; %bb.0:
	.section	.rodata,"a",@progbits
	.p2align	6, 0x0
	.amdhsa_kernel _ZN7rocprim17ROCPRIM_400000_NS6detail17trampoline_kernelINS0_13select_configILj256ELj13ELNS0_17block_load_methodE3ELS4_3ELS4_3ELNS0_20block_scan_algorithmE0ELj4294967295EEENS1_25partition_config_selectorILNS1_17partition_subalgoE4EjNS0_10empty_typeEbEEZZNS1_14partition_implILS8_4ELb0ES6_15HIP_vector_typeIjLj2EENS0_17counting_iteratorIjlEEPS9_SG_NS0_5tupleIJPjSI_NS0_16reverse_iteratorISI_EEEEENSH_IJSG_SG_SG_EEES9_SI_JZNS1_25segmented_radix_sort_implINS0_14default_configELb0EPKbPbPKlPlN2at6native12_GLOBAL__N_18offset_tEEE10hipError_tPvRmT1_PNSt15iterator_traitsIS12_E10value_typeET2_T3_PNS13_IS18_E10value_typeET4_jRbjT5_S1E_jjP12ihipStream_tbEUljE_ZNSN_ISO_Lb0ESQ_SR_ST_SU_SY_EESZ_S10_S11_S12_S16_S17_S18_S1B_S1C_jS1D_jS1E_S1E_jjS1G_bEUljE0_EEESZ_S10_S11_S18_S1C_S1E_T6_T7_T9_mT8_S1G_bDpT10_ENKUlT_T0_E_clISt17integral_constantIbLb0EES1U_EEDaS1P_S1Q_EUlS1P_E_NS1_11comp_targetILNS1_3genE10ELNS1_11target_archE1200ELNS1_3gpuE4ELNS1_3repE0EEENS1_30default_config_static_selectorELNS0_4arch9wavefront6targetE1EEEvS12_
		.amdhsa_group_segment_fixed_size 0
		.amdhsa_private_segment_fixed_size 0
		.amdhsa_kernarg_size 176
		.amdhsa_user_sgpr_count 6
		.amdhsa_user_sgpr_private_segment_buffer 1
		.amdhsa_user_sgpr_dispatch_ptr 0
		.amdhsa_user_sgpr_queue_ptr 0
		.amdhsa_user_sgpr_kernarg_segment_ptr 1
		.amdhsa_user_sgpr_dispatch_id 0
		.amdhsa_user_sgpr_flat_scratch_init 0
		.amdhsa_user_sgpr_kernarg_preload_length 0
		.amdhsa_user_sgpr_kernarg_preload_offset 0
		.amdhsa_user_sgpr_private_segment_size 0
		.amdhsa_uses_dynamic_stack 0
		.amdhsa_system_sgpr_private_segment_wavefront_offset 0
		.amdhsa_system_sgpr_workgroup_id_x 1
		.amdhsa_system_sgpr_workgroup_id_y 0
		.amdhsa_system_sgpr_workgroup_id_z 0
		.amdhsa_system_sgpr_workgroup_info 0
		.amdhsa_system_vgpr_workitem_id 0
		.amdhsa_next_free_vgpr 1
		.amdhsa_next_free_sgpr 0
		.amdhsa_accum_offset 4
		.amdhsa_reserve_vcc 0
		.amdhsa_reserve_flat_scratch 0
		.amdhsa_float_round_mode_32 0
		.amdhsa_float_round_mode_16_64 0
		.amdhsa_float_denorm_mode_32 3
		.amdhsa_float_denorm_mode_16_64 3
		.amdhsa_dx10_clamp 1
		.amdhsa_ieee_mode 1
		.amdhsa_fp16_overflow 0
		.amdhsa_tg_split 0
		.amdhsa_exception_fp_ieee_invalid_op 0
		.amdhsa_exception_fp_denorm_src 0
		.amdhsa_exception_fp_ieee_div_zero 0
		.amdhsa_exception_fp_ieee_overflow 0
		.amdhsa_exception_fp_ieee_underflow 0
		.amdhsa_exception_fp_ieee_inexact 0
		.amdhsa_exception_int_div_zero 0
	.end_amdhsa_kernel
	.section	.text._ZN7rocprim17ROCPRIM_400000_NS6detail17trampoline_kernelINS0_13select_configILj256ELj13ELNS0_17block_load_methodE3ELS4_3ELS4_3ELNS0_20block_scan_algorithmE0ELj4294967295EEENS1_25partition_config_selectorILNS1_17partition_subalgoE4EjNS0_10empty_typeEbEEZZNS1_14partition_implILS8_4ELb0ES6_15HIP_vector_typeIjLj2EENS0_17counting_iteratorIjlEEPS9_SG_NS0_5tupleIJPjSI_NS0_16reverse_iteratorISI_EEEEENSH_IJSG_SG_SG_EEES9_SI_JZNS1_25segmented_radix_sort_implINS0_14default_configELb0EPKbPbPKlPlN2at6native12_GLOBAL__N_18offset_tEEE10hipError_tPvRmT1_PNSt15iterator_traitsIS12_E10value_typeET2_T3_PNS13_IS18_E10value_typeET4_jRbjT5_S1E_jjP12ihipStream_tbEUljE_ZNSN_ISO_Lb0ESQ_SR_ST_SU_SY_EESZ_S10_S11_S12_S16_S17_S18_S1B_S1C_jS1D_jS1E_S1E_jjS1G_bEUljE0_EEESZ_S10_S11_S18_S1C_S1E_T6_T7_T9_mT8_S1G_bDpT10_ENKUlT_T0_E_clISt17integral_constantIbLb0EES1U_EEDaS1P_S1Q_EUlS1P_E_NS1_11comp_targetILNS1_3genE10ELNS1_11target_archE1200ELNS1_3gpuE4ELNS1_3repE0EEENS1_30default_config_static_selectorELNS0_4arch9wavefront6targetE1EEEvS12_,"axG",@progbits,_ZN7rocprim17ROCPRIM_400000_NS6detail17trampoline_kernelINS0_13select_configILj256ELj13ELNS0_17block_load_methodE3ELS4_3ELS4_3ELNS0_20block_scan_algorithmE0ELj4294967295EEENS1_25partition_config_selectorILNS1_17partition_subalgoE4EjNS0_10empty_typeEbEEZZNS1_14partition_implILS8_4ELb0ES6_15HIP_vector_typeIjLj2EENS0_17counting_iteratorIjlEEPS9_SG_NS0_5tupleIJPjSI_NS0_16reverse_iteratorISI_EEEEENSH_IJSG_SG_SG_EEES9_SI_JZNS1_25segmented_radix_sort_implINS0_14default_configELb0EPKbPbPKlPlN2at6native12_GLOBAL__N_18offset_tEEE10hipError_tPvRmT1_PNSt15iterator_traitsIS12_E10value_typeET2_T3_PNS13_IS18_E10value_typeET4_jRbjT5_S1E_jjP12ihipStream_tbEUljE_ZNSN_ISO_Lb0ESQ_SR_ST_SU_SY_EESZ_S10_S11_S12_S16_S17_S18_S1B_S1C_jS1D_jS1E_S1E_jjS1G_bEUljE0_EEESZ_S10_S11_S18_S1C_S1E_T6_T7_T9_mT8_S1G_bDpT10_ENKUlT_T0_E_clISt17integral_constantIbLb0EES1U_EEDaS1P_S1Q_EUlS1P_E_NS1_11comp_targetILNS1_3genE10ELNS1_11target_archE1200ELNS1_3gpuE4ELNS1_3repE0EEENS1_30default_config_static_selectorELNS0_4arch9wavefront6targetE1EEEvS12_,comdat
.Lfunc_end1574:
	.size	_ZN7rocprim17ROCPRIM_400000_NS6detail17trampoline_kernelINS0_13select_configILj256ELj13ELNS0_17block_load_methodE3ELS4_3ELS4_3ELNS0_20block_scan_algorithmE0ELj4294967295EEENS1_25partition_config_selectorILNS1_17partition_subalgoE4EjNS0_10empty_typeEbEEZZNS1_14partition_implILS8_4ELb0ES6_15HIP_vector_typeIjLj2EENS0_17counting_iteratorIjlEEPS9_SG_NS0_5tupleIJPjSI_NS0_16reverse_iteratorISI_EEEEENSH_IJSG_SG_SG_EEES9_SI_JZNS1_25segmented_radix_sort_implINS0_14default_configELb0EPKbPbPKlPlN2at6native12_GLOBAL__N_18offset_tEEE10hipError_tPvRmT1_PNSt15iterator_traitsIS12_E10value_typeET2_T3_PNS13_IS18_E10value_typeET4_jRbjT5_S1E_jjP12ihipStream_tbEUljE_ZNSN_ISO_Lb0ESQ_SR_ST_SU_SY_EESZ_S10_S11_S12_S16_S17_S18_S1B_S1C_jS1D_jS1E_S1E_jjS1G_bEUljE0_EEESZ_S10_S11_S18_S1C_S1E_T6_T7_T9_mT8_S1G_bDpT10_ENKUlT_T0_E_clISt17integral_constantIbLb0EES1U_EEDaS1P_S1Q_EUlS1P_E_NS1_11comp_targetILNS1_3genE10ELNS1_11target_archE1200ELNS1_3gpuE4ELNS1_3repE0EEENS1_30default_config_static_selectorELNS0_4arch9wavefront6targetE1EEEvS12_, .Lfunc_end1574-_ZN7rocprim17ROCPRIM_400000_NS6detail17trampoline_kernelINS0_13select_configILj256ELj13ELNS0_17block_load_methodE3ELS4_3ELS4_3ELNS0_20block_scan_algorithmE0ELj4294967295EEENS1_25partition_config_selectorILNS1_17partition_subalgoE4EjNS0_10empty_typeEbEEZZNS1_14partition_implILS8_4ELb0ES6_15HIP_vector_typeIjLj2EENS0_17counting_iteratorIjlEEPS9_SG_NS0_5tupleIJPjSI_NS0_16reverse_iteratorISI_EEEEENSH_IJSG_SG_SG_EEES9_SI_JZNS1_25segmented_radix_sort_implINS0_14default_configELb0EPKbPbPKlPlN2at6native12_GLOBAL__N_18offset_tEEE10hipError_tPvRmT1_PNSt15iterator_traitsIS12_E10value_typeET2_T3_PNS13_IS18_E10value_typeET4_jRbjT5_S1E_jjP12ihipStream_tbEUljE_ZNSN_ISO_Lb0ESQ_SR_ST_SU_SY_EESZ_S10_S11_S12_S16_S17_S18_S1B_S1C_jS1D_jS1E_S1E_jjS1G_bEUljE0_EEESZ_S10_S11_S18_S1C_S1E_T6_T7_T9_mT8_S1G_bDpT10_ENKUlT_T0_E_clISt17integral_constantIbLb0EES1U_EEDaS1P_S1Q_EUlS1P_E_NS1_11comp_targetILNS1_3genE10ELNS1_11target_archE1200ELNS1_3gpuE4ELNS1_3repE0EEENS1_30default_config_static_selectorELNS0_4arch9wavefront6targetE1EEEvS12_
                                        ; -- End function
	.section	.AMDGPU.csdata,"",@progbits
; Kernel info:
; codeLenInByte = 0
; NumSgprs: 4
; NumVgprs: 0
; NumAgprs: 0
; TotalNumVgprs: 0
; ScratchSize: 0
; MemoryBound: 0
; FloatMode: 240
; IeeeMode: 1
; LDSByteSize: 0 bytes/workgroup (compile time only)
; SGPRBlocks: 0
; VGPRBlocks: 0
; NumSGPRsForWavesPerEU: 4
; NumVGPRsForWavesPerEU: 1
; AccumOffset: 4
; Occupancy: 8
; WaveLimiterHint : 0
; COMPUTE_PGM_RSRC2:SCRATCH_EN: 0
; COMPUTE_PGM_RSRC2:USER_SGPR: 6
; COMPUTE_PGM_RSRC2:TRAP_HANDLER: 0
; COMPUTE_PGM_RSRC2:TGID_X_EN: 1
; COMPUTE_PGM_RSRC2:TGID_Y_EN: 0
; COMPUTE_PGM_RSRC2:TGID_Z_EN: 0
; COMPUTE_PGM_RSRC2:TIDIG_COMP_CNT: 0
; COMPUTE_PGM_RSRC3_GFX90A:ACCUM_OFFSET: 0
; COMPUTE_PGM_RSRC3_GFX90A:TG_SPLIT: 0
	.section	.text._ZN7rocprim17ROCPRIM_400000_NS6detail17trampoline_kernelINS0_13select_configILj256ELj13ELNS0_17block_load_methodE3ELS4_3ELS4_3ELNS0_20block_scan_algorithmE0ELj4294967295EEENS1_25partition_config_selectorILNS1_17partition_subalgoE4EjNS0_10empty_typeEbEEZZNS1_14partition_implILS8_4ELb0ES6_15HIP_vector_typeIjLj2EENS0_17counting_iteratorIjlEEPS9_SG_NS0_5tupleIJPjSI_NS0_16reverse_iteratorISI_EEEEENSH_IJSG_SG_SG_EEES9_SI_JZNS1_25segmented_radix_sort_implINS0_14default_configELb0EPKbPbPKlPlN2at6native12_GLOBAL__N_18offset_tEEE10hipError_tPvRmT1_PNSt15iterator_traitsIS12_E10value_typeET2_T3_PNS13_IS18_E10value_typeET4_jRbjT5_S1E_jjP12ihipStream_tbEUljE_ZNSN_ISO_Lb0ESQ_SR_ST_SU_SY_EESZ_S10_S11_S12_S16_S17_S18_S1B_S1C_jS1D_jS1E_S1E_jjS1G_bEUljE0_EEESZ_S10_S11_S18_S1C_S1E_T6_T7_T9_mT8_S1G_bDpT10_ENKUlT_T0_E_clISt17integral_constantIbLb0EES1U_EEDaS1P_S1Q_EUlS1P_E_NS1_11comp_targetILNS1_3genE9ELNS1_11target_archE1100ELNS1_3gpuE3ELNS1_3repE0EEENS1_30default_config_static_selectorELNS0_4arch9wavefront6targetE1EEEvS12_,"axG",@progbits,_ZN7rocprim17ROCPRIM_400000_NS6detail17trampoline_kernelINS0_13select_configILj256ELj13ELNS0_17block_load_methodE3ELS4_3ELS4_3ELNS0_20block_scan_algorithmE0ELj4294967295EEENS1_25partition_config_selectorILNS1_17partition_subalgoE4EjNS0_10empty_typeEbEEZZNS1_14partition_implILS8_4ELb0ES6_15HIP_vector_typeIjLj2EENS0_17counting_iteratorIjlEEPS9_SG_NS0_5tupleIJPjSI_NS0_16reverse_iteratorISI_EEEEENSH_IJSG_SG_SG_EEES9_SI_JZNS1_25segmented_radix_sort_implINS0_14default_configELb0EPKbPbPKlPlN2at6native12_GLOBAL__N_18offset_tEEE10hipError_tPvRmT1_PNSt15iterator_traitsIS12_E10value_typeET2_T3_PNS13_IS18_E10value_typeET4_jRbjT5_S1E_jjP12ihipStream_tbEUljE_ZNSN_ISO_Lb0ESQ_SR_ST_SU_SY_EESZ_S10_S11_S12_S16_S17_S18_S1B_S1C_jS1D_jS1E_S1E_jjS1G_bEUljE0_EEESZ_S10_S11_S18_S1C_S1E_T6_T7_T9_mT8_S1G_bDpT10_ENKUlT_T0_E_clISt17integral_constantIbLb0EES1U_EEDaS1P_S1Q_EUlS1P_E_NS1_11comp_targetILNS1_3genE9ELNS1_11target_archE1100ELNS1_3gpuE3ELNS1_3repE0EEENS1_30default_config_static_selectorELNS0_4arch9wavefront6targetE1EEEvS12_,comdat
	.globl	_ZN7rocprim17ROCPRIM_400000_NS6detail17trampoline_kernelINS0_13select_configILj256ELj13ELNS0_17block_load_methodE3ELS4_3ELS4_3ELNS0_20block_scan_algorithmE0ELj4294967295EEENS1_25partition_config_selectorILNS1_17partition_subalgoE4EjNS0_10empty_typeEbEEZZNS1_14partition_implILS8_4ELb0ES6_15HIP_vector_typeIjLj2EENS0_17counting_iteratorIjlEEPS9_SG_NS0_5tupleIJPjSI_NS0_16reverse_iteratorISI_EEEEENSH_IJSG_SG_SG_EEES9_SI_JZNS1_25segmented_radix_sort_implINS0_14default_configELb0EPKbPbPKlPlN2at6native12_GLOBAL__N_18offset_tEEE10hipError_tPvRmT1_PNSt15iterator_traitsIS12_E10value_typeET2_T3_PNS13_IS18_E10value_typeET4_jRbjT5_S1E_jjP12ihipStream_tbEUljE_ZNSN_ISO_Lb0ESQ_SR_ST_SU_SY_EESZ_S10_S11_S12_S16_S17_S18_S1B_S1C_jS1D_jS1E_S1E_jjS1G_bEUljE0_EEESZ_S10_S11_S18_S1C_S1E_T6_T7_T9_mT8_S1G_bDpT10_ENKUlT_T0_E_clISt17integral_constantIbLb0EES1U_EEDaS1P_S1Q_EUlS1P_E_NS1_11comp_targetILNS1_3genE9ELNS1_11target_archE1100ELNS1_3gpuE3ELNS1_3repE0EEENS1_30default_config_static_selectorELNS0_4arch9wavefront6targetE1EEEvS12_ ; -- Begin function _ZN7rocprim17ROCPRIM_400000_NS6detail17trampoline_kernelINS0_13select_configILj256ELj13ELNS0_17block_load_methodE3ELS4_3ELS4_3ELNS0_20block_scan_algorithmE0ELj4294967295EEENS1_25partition_config_selectorILNS1_17partition_subalgoE4EjNS0_10empty_typeEbEEZZNS1_14partition_implILS8_4ELb0ES6_15HIP_vector_typeIjLj2EENS0_17counting_iteratorIjlEEPS9_SG_NS0_5tupleIJPjSI_NS0_16reverse_iteratorISI_EEEEENSH_IJSG_SG_SG_EEES9_SI_JZNS1_25segmented_radix_sort_implINS0_14default_configELb0EPKbPbPKlPlN2at6native12_GLOBAL__N_18offset_tEEE10hipError_tPvRmT1_PNSt15iterator_traitsIS12_E10value_typeET2_T3_PNS13_IS18_E10value_typeET4_jRbjT5_S1E_jjP12ihipStream_tbEUljE_ZNSN_ISO_Lb0ESQ_SR_ST_SU_SY_EESZ_S10_S11_S12_S16_S17_S18_S1B_S1C_jS1D_jS1E_S1E_jjS1G_bEUljE0_EEESZ_S10_S11_S18_S1C_S1E_T6_T7_T9_mT8_S1G_bDpT10_ENKUlT_T0_E_clISt17integral_constantIbLb0EES1U_EEDaS1P_S1Q_EUlS1P_E_NS1_11comp_targetILNS1_3genE9ELNS1_11target_archE1100ELNS1_3gpuE3ELNS1_3repE0EEENS1_30default_config_static_selectorELNS0_4arch9wavefront6targetE1EEEvS12_
	.p2align	8
	.type	_ZN7rocprim17ROCPRIM_400000_NS6detail17trampoline_kernelINS0_13select_configILj256ELj13ELNS0_17block_load_methodE3ELS4_3ELS4_3ELNS0_20block_scan_algorithmE0ELj4294967295EEENS1_25partition_config_selectorILNS1_17partition_subalgoE4EjNS0_10empty_typeEbEEZZNS1_14partition_implILS8_4ELb0ES6_15HIP_vector_typeIjLj2EENS0_17counting_iteratorIjlEEPS9_SG_NS0_5tupleIJPjSI_NS0_16reverse_iteratorISI_EEEEENSH_IJSG_SG_SG_EEES9_SI_JZNS1_25segmented_radix_sort_implINS0_14default_configELb0EPKbPbPKlPlN2at6native12_GLOBAL__N_18offset_tEEE10hipError_tPvRmT1_PNSt15iterator_traitsIS12_E10value_typeET2_T3_PNS13_IS18_E10value_typeET4_jRbjT5_S1E_jjP12ihipStream_tbEUljE_ZNSN_ISO_Lb0ESQ_SR_ST_SU_SY_EESZ_S10_S11_S12_S16_S17_S18_S1B_S1C_jS1D_jS1E_S1E_jjS1G_bEUljE0_EEESZ_S10_S11_S18_S1C_S1E_T6_T7_T9_mT8_S1G_bDpT10_ENKUlT_T0_E_clISt17integral_constantIbLb0EES1U_EEDaS1P_S1Q_EUlS1P_E_NS1_11comp_targetILNS1_3genE9ELNS1_11target_archE1100ELNS1_3gpuE3ELNS1_3repE0EEENS1_30default_config_static_selectorELNS0_4arch9wavefront6targetE1EEEvS12_,@function
_ZN7rocprim17ROCPRIM_400000_NS6detail17trampoline_kernelINS0_13select_configILj256ELj13ELNS0_17block_load_methodE3ELS4_3ELS4_3ELNS0_20block_scan_algorithmE0ELj4294967295EEENS1_25partition_config_selectorILNS1_17partition_subalgoE4EjNS0_10empty_typeEbEEZZNS1_14partition_implILS8_4ELb0ES6_15HIP_vector_typeIjLj2EENS0_17counting_iteratorIjlEEPS9_SG_NS0_5tupleIJPjSI_NS0_16reverse_iteratorISI_EEEEENSH_IJSG_SG_SG_EEES9_SI_JZNS1_25segmented_radix_sort_implINS0_14default_configELb0EPKbPbPKlPlN2at6native12_GLOBAL__N_18offset_tEEE10hipError_tPvRmT1_PNSt15iterator_traitsIS12_E10value_typeET2_T3_PNS13_IS18_E10value_typeET4_jRbjT5_S1E_jjP12ihipStream_tbEUljE_ZNSN_ISO_Lb0ESQ_SR_ST_SU_SY_EESZ_S10_S11_S12_S16_S17_S18_S1B_S1C_jS1D_jS1E_S1E_jjS1G_bEUljE0_EEESZ_S10_S11_S18_S1C_S1E_T6_T7_T9_mT8_S1G_bDpT10_ENKUlT_T0_E_clISt17integral_constantIbLb0EES1U_EEDaS1P_S1Q_EUlS1P_E_NS1_11comp_targetILNS1_3genE9ELNS1_11target_archE1100ELNS1_3gpuE3ELNS1_3repE0EEENS1_30default_config_static_selectorELNS0_4arch9wavefront6targetE1EEEvS12_: ; @_ZN7rocprim17ROCPRIM_400000_NS6detail17trampoline_kernelINS0_13select_configILj256ELj13ELNS0_17block_load_methodE3ELS4_3ELS4_3ELNS0_20block_scan_algorithmE0ELj4294967295EEENS1_25partition_config_selectorILNS1_17partition_subalgoE4EjNS0_10empty_typeEbEEZZNS1_14partition_implILS8_4ELb0ES6_15HIP_vector_typeIjLj2EENS0_17counting_iteratorIjlEEPS9_SG_NS0_5tupleIJPjSI_NS0_16reverse_iteratorISI_EEEEENSH_IJSG_SG_SG_EEES9_SI_JZNS1_25segmented_radix_sort_implINS0_14default_configELb0EPKbPbPKlPlN2at6native12_GLOBAL__N_18offset_tEEE10hipError_tPvRmT1_PNSt15iterator_traitsIS12_E10value_typeET2_T3_PNS13_IS18_E10value_typeET4_jRbjT5_S1E_jjP12ihipStream_tbEUljE_ZNSN_ISO_Lb0ESQ_SR_ST_SU_SY_EESZ_S10_S11_S12_S16_S17_S18_S1B_S1C_jS1D_jS1E_S1E_jjS1G_bEUljE0_EEESZ_S10_S11_S18_S1C_S1E_T6_T7_T9_mT8_S1G_bDpT10_ENKUlT_T0_E_clISt17integral_constantIbLb0EES1U_EEDaS1P_S1Q_EUlS1P_E_NS1_11comp_targetILNS1_3genE9ELNS1_11target_archE1100ELNS1_3gpuE3ELNS1_3repE0EEENS1_30default_config_static_selectorELNS0_4arch9wavefront6targetE1EEEvS12_
; %bb.0:
	.section	.rodata,"a",@progbits
	.p2align	6, 0x0
	.amdhsa_kernel _ZN7rocprim17ROCPRIM_400000_NS6detail17trampoline_kernelINS0_13select_configILj256ELj13ELNS0_17block_load_methodE3ELS4_3ELS4_3ELNS0_20block_scan_algorithmE0ELj4294967295EEENS1_25partition_config_selectorILNS1_17partition_subalgoE4EjNS0_10empty_typeEbEEZZNS1_14partition_implILS8_4ELb0ES6_15HIP_vector_typeIjLj2EENS0_17counting_iteratorIjlEEPS9_SG_NS0_5tupleIJPjSI_NS0_16reverse_iteratorISI_EEEEENSH_IJSG_SG_SG_EEES9_SI_JZNS1_25segmented_radix_sort_implINS0_14default_configELb0EPKbPbPKlPlN2at6native12_GLOBAL__N_18offset_tEEE10hipError_tPvRmT1_PNSt15iterator_traitsIS12_E10value_typeET2_T3_PNS13_IS18_E10value_typeET4_jRbjT5_S1E_jjP12ihipStream_tbEUljE_ZNSN_ISO_Lb0ESQ_SR_ST_SU_SY_EESZ_S10_S11_S12_S16_S17_S18_S1B_S1C_jS1D_jS1E_S1E_jjS1G_bEUljE0_EEESZ_S10_S11_S18_S1C_S1E_T6_T7_T9_mT8_S1G_bDpT10_ENKUlT_T0_E_clISt17integral_constantIbLb0EES1U_EEDaS1P_S1Q_EUlS1P_E_NS1_11comp_targetILNS1_3genE9ELNS1_11target_archE1100ELNS1_3gpuE3ELNS1_3repE0EEENS1_30default_config_static_selectorELNS0_4arch9wavefront6targetE1EEEvS12_
		.amdhsa_group_segment_fixed_size 0
		.amdhsa_private_segment_fixed_size 0
		.amdhsa_kernarg_size 176
		.amdhsa_user_sgpr_count 6
		.amdhsa_user_sgpr_private_segment_buffer 1
		.amdhsa_user_sgpr_dispatch_ptr 0
		.amdhsa_user_sgpr_queue_ptr 0
		.amdhsa_user_sgpr_kernarg_segment_ptr 1
		.amdhsa_user_sgpr_dispatch_id 0
		.amdhsa_user_sgpr_flat_scratch_init 0
		.amdhsa_user_sgpr_kernarg_preload_length 0
		.amdhsa_user_sgpr_kernarg_preload_offset 0
		.amdhsa_user_sgpr_private_segment_size 0
		.amdhsa_uses_dynamic_stack 0
		.amdhsa_system_sgpr_private_segment_wavefront_offset 0
		.amdhsa_system_sgpr_workgroup_id_x 1
		.amdhsa_system_sgpr_workgroup_id_y 0
		.amdhsa_system_sgpr_workgroup_id_z 0
		.amdhsa_system_sgpr_workgroup_info 0
		.amdhsa_system_vgpr_workitem_id 0
		.amdhsa_next_free_vgpr 1
		.amdhsa_next_free_sgpr 0
		.amdhsa_accum_offset 4
		.amdhsa_reserve_vcc 0
		.amdhsa_reserve_flat_scratch 0
		.amdhsa_float_round_mode_32 0
		.amdhsa_float_round_mode_16_64 0
		.amdhsa_float_denorm_mode_32 3
		.amdhsa_float_denorm_mode_16_64 3
		.amdhsa_dx10_clamp 1
		.amdhsa_ieee_mode 1
		.amdhsa_fp16_overflow 0
		.amdhsa_tg_split 0
		.amdhsa_exception_fp_ieee_invalid_op 0
		.amdhsa_exception_fp_denorm_src 0
		.amdhsa_exception_fp_ieee_div_zero 0
		.amdhsa_exception_fp_ieee_overflow 0
		.amdhsa_exception_fp_ieee_underflow 0
		.amdhsa_exception_fp_ieee_inexact 0
		.amdhsa_exception_int_div_zero 0
	.end_amdhsa_kernel
	.section	.text._ZN7rocprim17ROCPRIM_400000_NS6detail17trampoline_kernelINS0_13select_configILj256ELj13ELNS0_17block_load_methodE3ELS4_3ELS4_3ELNS0_20block_scan_algorithmE0ELj4294967295EEENS1_25partition_config_selectorILNS1_17partition_subalgoE4EjNS0_10empty_typeEbEEZZNS1_14partition_implILS8_4ELb0ES6_15HIP_vector_typeIjLj2EENS0_17counting_iteratorIjlEEPS9_SG_NS0_5tupleIJPjSI_NS0_16reverse_iteratorISI_EEEEENSH_IJSG_SG_SG_EEES9_SI_JZNS1_25segmented_radix_sort_implINS0_14default_configELb0EPKbPbPKlPlN2at6native12_GLOBAL__N_18offset_tEEE10hipError_tPvRmT1_PNSt15iterator_traitsIS12_E10value_typeET2_T3_PNS13_IS18_E10value_typeET4_jRbjT5_S1E_jjP12ihipStream_tbEUljE_ZNSN_ISO_Lb0ESQ_SR_ST_SU_SY_EESZ_S10_S11_S12_S16_S17_S18_S1B_S1C_jS1D_jS1E_S1E_jjS1G_bEUljE0_EEESZ_S10_S11_S18_S1C_S1E_T6_T7_T9_mT8_S1G_bDpT10_ENKUlT_T0_E_clISt17integral_constantIbLb0EES1U_EEDaS1P_S1Q_EUlS1P_E_NS1_11comp_targetILNS1_3genE9ELNS1_11target_archE1100ELNS1_3gpuE3ELNS1_3repE0EEENS1_30default_config_static_selectorELNS0_4arch9wavefront6targetE1EEEvS12_,"axG",@progbits,_ZN7rocprim17ROCPRIM_400000_NS6detail17trampoline_kernelINS0_13select_configILj256ELj13ELNS0_17block_load_methodE3ELS4_3ELS4_3ELNS0_20block_scan_algorithmE0ELj4294967295EEENS1_25partition_config_selectorILNS1_17partition_subalgoE4EjNS0_10empty_typeEbEEZZNS1_14partition_implILS8_4ELb0ES6_15HIP_vector_typeIjLj2EENS0_17counting_iteratorIjlEEPS9_SG_NS0_5tupleIJPjSI_NS0_16reverse_iteratorISI_EEEEENSH_IJSG_SG_SG_EEES9_SI_JZNS1_25segmented_radix_sort_implINS0_14default_configELb0EPKbPbPKlPlN2at6native12_GLOBAL__N_18offset_tEEE10hipError_tPvRmT1_PNSt15iterator_traitsIS12_E10value_typeET2_T3_PNS13_IS18_E10value_typeET4_jRbjT5_S1E_jjP12ihipStream_tbEUljE_ZNSN_ISO_Lb0ESQ_SR_ST_SU_SY_EESZ_S10_S11_S12_S16_S17_S18_S1B_S1C_jS1D_jS1E_S1E_jjS1G_bEUljE0_EEESZ_S10_S11_S18_S1C_S1E_T6_T7_T9_mT8_S1G_bDpT10_ENKUlT_T0_E_clISt17integral_constantIbLb0EES1U_EEDaS1P_S1Q_EUlS1P_E_NS1_11comp_targetILNS1_3genE9ELNS1_11target_archE1100ELNS1_3gpuE3ELNS1_3repE0EEENS1_30default_config_static_selectorELNS0_4arch9wavefront6targetE1EEEvS12_,comdat
.Lfunc_end1575:
	.size	_ZN7rocprim17ROCPRIM_400000_NS6detail17trampoline_kernelINS0_13select_configILj256ELj13ELNS0_17block_load_methodE3ELS4_3ELS4_3ELNS0_20block_scan_algorithmE0ELj4294967295EEENS1_25partition_config_selectorILNS1_17partition_subalgoE4EjNS0_10empty_typeEbEEZZNS1_14partition_implILS8_4ELb0ES6_15HIP_vector_typeIjLj2EENS0_17counting_iteratorIjlEEPS9_SG_NS0_5tupleIJPjSI_NS0_16reverse_iteratorISI_EEEEENSH_IJSG_SG_SG_EEES9_SI_JZNS1_25segmented_radix_sort_implINS0_14default_configELb0EPKbPbPKlPlN2at6native12_GLOBAL__N_18offset_tEEE10hipError_tPvRmT1_PNSt15iterator_traitsIS12_E10value_typeET2_T3_PNS13_IS18_E10value_typeET4_jRbjT5_S1E_jjP12ihipStream_tbEUljE_ZNSN_ISO_Lb0ESQ_SR_ST_SU_SY_EESZ_S10_S11_S12_S16_S17_S18_S1B_S1C_jS1D_jS1E_S1E_jjS1G_bEUljE0_EEESZ_S10_S11_S18_S1C_S1E_T6_T7_T9_mT8_S1G_bDpT10_ENKUlT_T0_E_clISt17integral_constantIbLb0EES1U_EEDaS1P_S1Q_EUlS1P_E_NS1_11comp_targetILNS1_3genE9ELNS1_11target_archE1100ELNS1_3gpuE3ELNS1_3repE0EEENS1_30default_config_static_selectorELNS0_4arch9wavefront6targetE1EEEvS12_, .Lfunc_end1575-_ZN7rocprim17ROCPRIM_400000_NS6detail17trampoline_kernelINS0_13select_configILj256ELj13ELNS0_17block_load_methodE3ELS4_3ELS4_3ELNS0_20block_scan_algorithmE0ELj4294967295EEENS1_25partition_config_selectorILNS1_17partition_subalgoE4EjNS0_10empty_typeEbEEZZNS1_14partition_implILS8_4ELb0ES6_15HIP_vector_typeIjLj2EENS0_17counting_iteratorIjlEEPS9_SG_NS0_5tupleIJPjSI_NS0_16reverse_iteratorISI_EEEEENSH_IJSG_SG_SG_EEES9_SI_JZNS1_25segmented_radix_sort_implINS0_14default_configELb0EPKbPbPKlPlN2at6native12_GLOBAL__N_18offset_tEEE10hipError_tPvRmT1_PNSt15iterator_traitsIS12_E10value_typeET2_T3_PNS13_IS18_E10value_typeET4_jRbjT5_S1E_jjP12ihipStream_tbEUljE_ZNSN_ISO_Lb0ESQ_SR_ST_SU_SY_EESZ_S10_S11_S12_S16_S17_S18_S1B_S1C_jS1D_jS1E_S1E_jjS1G_bEUljE0_EEESZ_S10_S11_S18_S1C_S1E_T6_T7_T9_mT8_S1G_bDpT10_ENKUlT_T0_E_clISt17integral_constantIbLb0EES1U_EEDaS1P_S1Q_EUlS1P_E_NS1_11comp_targetILNS1_3genE9ELNS1_11target_archE1100ELNS1_3gpuE3ELNS1_3repE0EEENS1_30default_config_static_selectorELNS0_4arch9wavefront6targetE1EEEvS12_
                                        ; -- End function
	.section	.AMDGPU.csdata,"",@progbits
; Kernel info:
; codeLenInByte = 0
; NumSgprs: 4
; NumVgprs: 0
; NumAgprs: 0
; TotalNumVgprs: 0
; ScratchSize: 0
; MemoryBound: 0
; FloatMode: 240
; IeeeMode: 1
; LDSByteSize: 0 bytes/workgroup (compile time only)
; SGPRBlocks: 0
; VGPRBlocks: 0
; NumSGPRsForWavesPerEU: 4
; NumVGPRsForWavesPerEU: 1
; AccumOffset: 4
; Occupancy: 8
; WaveLimiterHint : 0
; COMPUTE_PGM_RSRC2:SCRATCH_EN: 0
; COMPUTE_PGM_RSRC2:USER_SGPR: 6
; COMPUTE_PGM_RSRC2:TRAP_HANDLER: 0
; COMPUTE_PGM_RSRC2:TGID_X_EN: 1
; COMPUTE_PGM_RSRC2:TGID_Y_EN: 0
; COMPUTE_PGM_RSRC2:TGID_Z_EN: 0
; COMPUTE_PGM_RSRC2:TIDIG_COMP_CNT: 0
; COMPUTE_PGM_RSRC3_GFX90A:ACCUM_OFFSET: 0
; COMPUTE_PGM_RSRC3_GFX90A:TG_SPLIT: 0
	.section	.text._ZN7rocprim17ROCPRIM_400000_NS6detail17trampoline_kernelINS0_13select_configILj256ELj13ELNS0_17block_load_methodE3ELS4_3ELS4_3ELNS0_20block_scan_algorithmE0ELj4294967295EEENS1_25partition_config_selectorILNS1_17partition_subalgoE4EjNS0_10empty_typeEbEEZZNS1_14partition_implILS8_4ELb0ES6_15HIP_vector_typeIjLj2EENS0_17counting_iteratorIjlEEPS9_SG_NS0_5tupleIJPjSI_NS0_16reverse_iteratorISI_EEEEENSH_IJSG_SG_SG_EEES9_SI_JZNS1_25segmented_radix_sort_implINS0_14default_configELb0EPKbPbPKlPlN2at6native12_GLOBAL__N_18offset_tEEE10hipError_tPvRmT1_PNSt15iterator_traitsIS12_E10value_typeET2_T3_PNS13_IS18_E10value_typeET4_jRbjT5_S1E_jjP12ihipStream_tbEUljE_ZNSN_ISO_Lb0ESQ_SR_ST_SU_SY_EESZ_S10_S11_S12_S16_S17_S18_S1B_S1C_jS1D_jS1E_S1E_jjS1G_bEUljE0_EEESZ_S10_S11_S18_S1C_S1E_T6_T7_T9_mT8_S1G_bDpT10_ENKUlT_T0_E_clISt17integral_constantIbLb0EES1U_EEDaS1P_S1Q_EUlS1P_E_NS1_11comp_targetILNS1_3genE8ELNS1_11target_archE1030ELNS1_3gpuE2ELNS1_3repE0EEENS1_30default_config_static_selectorELNS0_4arch9wavefront6targetE1EEEvS12_,"axG",@progbits,_ZN7rocprim17ROCPRIM_400000_NS6detail17trampoline_kernelINS0_13select_configILj256ELj13ELNS0_17block_load_methodE3ELS4_3ELS4_3ELNS0_20block_scan_algorithmE0ELj4294967295EEENS1_25partition_config_selectorILNS1_17partition_subalgoE4EjNS0_10empty_typeEbEEZZNS1_14partition_implILS8_4ELb0ES6_15HIP_vector_typeIjLj2EENS0_17counting_iteratorIjlEEPS9_SG_NS0_5tupleIJPjSI_NS0_16reverse_iteratorISI_EEEEENSH_IJSG_SG_SG_EEES9_SI_JZNS1_25segmented_radix_sort_implINS0_14default_configELb0EPKbPbPKlPlN2at6native12_GLOBAL__N_18offset_tEEE10hipError_tPvRmT1_PNSt15iterator_traitsIS12_E10value_typeET2_T3_PNS13_IS18_E10value_typeET4_jRbjT5_S1E_jjP12ihipStream_tbEUljE_ZNSN_ISO_Lb0ESQ_SR_ST_SU_SY_EESZ_S10_S11_S12_S16_S17_S18_S1B_S1C_jS1D_jS1E_S1E_jjS1G_bEUljE0_EEESZ_S10_S11_S18_S1C_S1E_T6_T7_T9_mT8_S1G_bDpT10_ENKUlT_T0_E_clISt17integral_constantIbLb0EES1U_EEDaS1P_S1Q_EUlS1P_E_NS1_11comp_targetILNS1_3genE8ELNS1_11target_archE1030ELNS1_3gpuE2ELNS1_3repE0EEENS1_30default_config_static_selectorELNS0_4arch9wavefront6targetE1EEEvS12_,comdat
	.globl	_ZN7rocprim17ROCPRIM_400000_NS6detail17trampoline_kernelINS0_13select_configILj256ELj13ELNS0_17block_load_methodE3ELS4_3ELS4_3ELNS0_20block_scan_algorithmE0ELj4294967295EEENS1_25partition_config_selectorILNS1_17partition_subalgoE4EjNS0_10empty_typeEbEEZZNS1_14partition_implILS8_4ELb0ES6_15HIP_vector_typeIjLj2EENS0_17counting_iteratorIjlEEPS9_SG_NS0_5tupleIJPjSI_NS0_16reverse_iteratorISI_EEEEENSH_IJSG_SG_SG_EEES9_SI_JZNS1_25segmented_radix_sort_implINS0_14default_configELb0EPKbPbPKlPlN2at6native12_GLOBAL__N_18offset_tEEE10hipError_tPvRmT1_PNSt15iterator_traitsIS12_E10value_typeET2_T3_PNS13_IS18_E10value_typeET4_jRbjT5_S1E_jjP12ihipStream_tbEUljE_ZNSN_ISO_Lb0ESQ_SR_ST_SU_SY_EESZ_S10_S11_S12_S16_S17_S18_S1B_S1C_jS1D_jS1E_S1E_jjS1G_bEUljE0_EEESZ_S10_S11_S18_S1C_S1E_T6_T7_T9_mT8_S1G_bDpT10_ENKUlT_T0_E_clISt17integral_constantIbLb0EES1U_EEDaS1P_S1Q_EUlS1P_E_NS1_11comp_targetILNS1_3genE8ELNS1_11target_archE1030ELNS1_3gpuE2ELNS1_3repE0EEENS1_30default_config_static_selectorELNS0_4arch9wavefront6targetE1EEEvS12_ ; -- Begin function _ZN7rocprim17ROCPRIM_400000_NS6detail17trampoline_kernelINS0_13select_configILj256ELj13ELNS0_17block_load_methodE3ELS4_3ELS4_3ELNS0_20block_scan_algorithmE0ELj4294967295EEENS1_25partition_config_selectorILNS1_17partition_subalgoE4EjNS0_10empty_typeEbEEZZNS1_14partition_implILS8_4ELb0ES6_15HIP_vector_typeIjLj2EENS0_17counting_iteratorIjlEEPS9_SG_NS0_5tupleIJPjSI_NS0_16reverse_iteratorISI_EEEEENSH_IJSG_SG_SG_EEES9_SI_JZNS1_25segmented_radix_sort_implINS0_14default_configELb0EPKbPbPKlPlN2at6native12_GLOBAL__N_18offset_tEEE10hipError_tPvRmT1_PNSt15iterator_traitsIS12_E10value_typeET2_T3_PNS13_IS18_E10value_typeET4_jRbjT5_S1E_jjP12ihipStream_tbEUljE_ZNSN_ISO_Lb0ESQ_SR_ST_SU_SY_EESZ_S10_S11_S12_S16_S17_S18_S1B_S1C_jS1D_jS1E_S1E_jjS1G_bEUljE0_EEESZ_S10_S11_S18_S1C_S1E_T6_T7_T9_mT8_S1G_bDpT10_ENKUlT_T0_E_clISt17integral_constantIbLb0EES1U_EEDaS1P_S1Q_EUlS1P_E_NS1_11comp_targetILNS1_3genE8ELNS1_11target_archE1030ELNS1_3gpuE2ELNS1_3repE0EEENS1_30default_config_static_selectorELNS0_4arch9wavefront6targetE1EEEvS12_
	.p2align	8
	.type	_ZN7rocprim17ROCPRIM_400000_NS6detail17trampoline_kernelINS0_13select_configILj256ELj13ELNS0_17block_load_methodE3ELS4_3ELS4_3ELNS0_20block_scan_algorithmE0ELj4294967295EEENS1_25partition_config_selectorILNS1_17partition_subalgoE4EjNS0_10empty_typeEbEEZZNS1_14partition_implILS8_4ELb0ES6_15HIP_vector_typeIjLj2EENS0_17counting_iteratorIjlEEPS9_SG_NS0_5tupleIJPjSI_NS0_16reverse_iteratorISI_EEEEENSH_IJSG_SG_SG_EEES9_SI_JZNS1_25segmented_radix_sort_implINS0_14default_configELb0EPKbPbPKlPlN2at6native12_GLOBAL__N_18offset_tEEE10hipError_tPvRmT1_PNSt15iterator_traitsIS12_E10value_typeET2_T3_PNS13_IS18_E10value_typeET4_jRbjT5_S1E_jjP12ihipStream_tbEUljE_ZNSN_ISO_Lb0ESQ_SR_ST_SU_SY_EESZ_S10_S11_S12_S16_S17_S18_S1B_S1C_jS1D_jS1E_S1E_jjS1G_bEUljE0_EEESZ_S10_S11_S18_S1C_S1E_T6_T7_T9_mT8_S1G_bDpT10_ENKUlT_T0_E_clISt17integral_constantIbLb0EES1U_EEDaS1P_S1Q_EUlS1P_E_NS1_11comp_targetILNS1_3genE8ELNS1_11target_archE1030ELNS1_3gpuE2ELNS1_3repE0EEENS1_30default_config_static_selectorELNS0_4arch9wavefront6targetE1EEEvS12_,@function
_ZN7rocprim17ROCPRIM_400000_NS6detail17trampoline_kernelINS0_13select_configILj256ELj13ELNS0_17block_load_methodE3ELS4_3ELS4_3ELNS0_20block_scan_algorithmE0ELj4294967295EEENS1_25partition_config_selectorILNS1_17partition_subalgoE4EjNS0_10empty_typeEbEEZZNS1_14partition_implILS8_4ELb0ES6_15HIP_vector_typeIjLj2EENS0_17counting_iteratorIjlEEPS9_SG_NS0_5tupleIJPjSI_NS0_16reverse_iteratorISI_EEEEENSH_IJSG_SG_SG_EEES9_SI_JZNS1_25segmented_radix_sort_implINS0_14default_configELb0EPKbPbPKlPlN2at6native12_GLOBAL__N_18offset_tEEE10hipError_tPvRmT1_PNSt15iterator_traitsIS12_E10value_typeET2_T3_PNS13_IS18_E10value_typeET4_jRbjT5_S1E_jjP12ihipStream_tbEUljE_ZNSN_ISO_Lb0ESQ_SR_ST_SU_SY_EESZ_S10_S11_S12_S16_S17_S18_S1B_S1C_jS1D_jS1E_S1E_jjS1G_bEUljE0_EEESZ_S10_S11_S18_S1C_S1E_T6_T7_T9_mT8_S1G_bDpT10_ENKUlT_T0_E_clISt17integral_constantIbLb0EES1U_EEDaS1P_S1Q_EUlS1P_E_NS1_11comp_targetILNS1_3genE8ELNS1_11target_archE1030ELNS1_3gpuE2ELNS1_3repE0EEENS1_30default_config_static_selectorELNS0_4arch9wavefront6targetE1EEEvS12_: ; @_ZN7rocprim17ROCPRIM_400000_NS6detail17trampoline_kernelINS0_13select_configILj256ELj13ELNS0_17block_load_methodE3ELS4_3ELS4_3ELNS0_20block_scan_algorithmE0ELj4294967295EEENS1_25partition_config_selectorILNS1_17partition_subalgoE4EjNS0_10empty_typeEbEEZZNS1_14partition_implILS8_4ELb0ES6_15HIP_vector_typeIjLj2EENS0_17counting_iteratorIjlEEPS9_SG_NS0_5tupleIJPjSI_NS0_16reverse_iteratorISI_EEEEENSH_IJSG_SG_SG_EEES9_SI_JZNS1_25segmented_radix_sort_implINS0_14default_configELb0EPKbPbPKlPlN2at6native12_GLOBAL__N_18offset_tEEE10hipError_tPvRmT1_PNSt15iterator_traitsIS12_E10value_typeET2_T3_PNS13_IS18_E10value_typeET4_jRbjT5_S1E_jjP12ihipStream_tbEUljE_ZNSN_ISO_Lb0ESQ_SR_ST_SU_SY_EESZ_S10_S11_S12_S16_S17_S18_S1B_S1C_jS1D_jS1E_S1E_jjS1G_bEUljE0_EEESZ_S10_S11_S18_S1C_S1E_T6_T7_T9_mT8_S1G_bDpT10_ENKUlT_T0_E_clISt17integral_constantIbLb0EES1U_EEDaS1P_S1Q_EUlS1P_E_NS1_11comp_targetILNS1_3genE8ELNS1_11target_archE1030ELNS1_3gpuE2ELNS1_3repE0EEENS1_30default_config_static_selectorELNS0_4arch9wavefront6targetE1EEEvS12_
; %bb.0:
	.section	.rodata,"a",@progbits
	.p2align	6, 0x0
	.amdhsa_kernel _ZN7rocprim17ROCPRIM_400000_NS6detail17trampoline_kernelINS0_13select_configILj256ELj13ELNS0_17block_load_methodE3ELS4_3ELS4_3ELNS0_20block_scan_algorithmE0ELj4294967295EEENS1_25partition_config_selectorILNS1_17partition_subalgoE4EjNS0_10empty_typeEbEEZZNS1_14partition_implILS8_4ELb0ES6_15HIP_vector_typeIjLj2EENS0_17counting_iteratorIjlEEPS9_SG_NS0_5tupleIJPjSI_NS0_16reverse_iteratorISI_EEEEENSH_IJSG_SG_SG_EEES9_SI_JZNS1_25segmented_radix_sort_implINS0_14default_configELb0EPKbPbPKlPlN2at6native12_GLOBAL__N_18offset_tEEE10hipError_tPvRmT1_PNSt15iterator_traitsIS12_E10value_typeET2_T3_PNS13_IS18_E10value_typeET4_jRbjT5_S1E_jjP12ihipStream_tbEUljE_ZNSN_ISO_Lb0ESQ_SR_ST_SU_SY_EESZ_S10_S11_S12_S16_S17_S18_S1B_S1C_jS1D_jS1E_S1E_jjS1G_bEUljE0_EEESZ_S10_S11_S18_S1C_S1E_T6_T7_T9_mT8_S1G_bDpT10_ENKUlT_T0_E_clISt17integral_constantIbLb0EES1U_EEDaS1P_S1Q_EUlS1P_E_NS1_11comp_targetILNS1_3genE8ELNS1_11target_archE1030ELNS1_3gpuE2ELNS1_3repE0EEENS1_30default_config_static_selectorELNS0_4arch9wavefront6targetE1EEEvS12_
		.amdhsa_group_segment_fixed_size 0
		.amdhsa_private_segment_fixed_size 0
		.amdhsa_kernarg_size 176
		.amdhsa_user_sgpr_count 6
		.amdhsa_user_sgpr_private_segment_buffer 1
		.amdhsa_user_sgpr_dispatch_ptr 0
		.amdhsa_user_sgpr_queue_ptr 0
		.amdhsa_user_sgpr_kernarg_segment_ptr 1
		.amdhsa_user_sgpr_dispatch_id 0
		.amdhsa_user_sgpr_flat_scratch_init 0
		.amdhsa_user_sgpr_kernarg_preload_length 0
		.amdhsa_user_sgpr_kernarg_preload_offset 0
		.amdhsa_user_sgpr_private_segment_size 0
		.amdhsa_uses_dynamic_stack 0
		.amdhsa_system_sgpr_private_segment_wavefront_offset 0
		.amdhsa_system_sgpr_workgroup_id_x 1
		.amdhsa_system_sgpr_workgroup_id_y 0
		.amdhsa_system_sgpr_workgroup_id_z 0
		.amdhsa_system_sgpr_workgroup_info 0
		.amdhsa_system_vgpr_workitem_id 0
		.amdhsa_next_free_vgpr 1
		.amdhsa_next_free_sgpr 0
		.amdhsa_accum_offset 4
		.amdhsa_reserve_vcc 0
		.amdhsa_reserve_flat_scratch 0
		.amdhsa_float_round_mode_32 0
		.amdhsa_float_round_mode_16_64 0
		.amdhsa_float_denorm_mode_32 3
		.amdhsa_float_denorm_mode_16_64 3
		.amdhsa_dx10_clamp 1
		.amdhsa_ieee_mode 1
		.amdhsa_fp16_overflow 0
		.amdhsa_tg_split 0
		.amdhsa_exception_fp_ieee_invalid_op 0
		.amdhsa_exception_fp_denorm_src 0
		.amdhsa_exception_fp_ieee_div_zero 0
		.amdhsa_exception_fp_ieee_overflow 0
		.amdhsa_exception_fp_ieee_underflow 0
		.amdhsa_exception_fp_ieee_inexact 0
		.amdhsa_exception_int_div_zero 0
	.end_amdhsa_kernel
	.section	.text._ZN7rocprim17ROCPRIM_400000_NS6detail17trampoline_kernelINS0_13select_configILj256ELj13ELNS0_17block_load_methodE3ELS4_3ELS4_3ELNS0_20block_scan_algorithmE0ELj4294967295EEENS1_25partition_config_selectorILNS1_17partition_subalgoE4EjNS0_10empty_typeEbEEZZNS1_14partition_implILS8_4ELb0ES6_15HIP_vector_typeIjLj2EENS0_17counting_iteratorIjlEEPS9_SG_NS0_5tupleIJPjSI_NS0_16reverse_iteratorISI_EEEEENSH_IJSG_SG_SG_EEES9_SI_JZNS1_25segmented_radix_sort_implINS0_14default_configELb0EPKbPbPKlPlN2at6native12_GLOBAL__N_18offset_tEEE10hipError_tPvRmT1_PNSt15iterator_traitsIS12_E10value_typeET2_T3_PNS13_IS18_E10value_typeET4_jRbjT5_S1E_jjP12ihipStream_tbEUljE_ZNSN_ISO_Lb0ESQ_SR_ST_SU_SY_EESZ_S10_S11_S12_S16_S17_S18_S1B_S1C_jS1D_jS1E_S1E_jjS1G_bEUljE0_EEESZ_S10_S11_S18_S1C_S1E_T6_T7_T9_mT8_S1G_bDpT10_ENKUlT_T0_E_clISt17integral_constantIbLb0EES1U_EEDaS1P_S1Q_EUlS1P_E_NS1_11comp_targetILNS1_3genE8ELNS1_11target_archE1030ELNS1_3gpuE2ELNS1_3repE0EEENS1_30default_config_static_selectorELNS0_4arch9wavefront6targetE1EEEvS12_,"axG",@progbits,_ZN7rocprim17ROCPRIM_400000_NS6detail17trampoline_kernelINS0_13select_configILj256ELj13ELNS0_17block_load_methodE3ELS4_3ELS4_3ELNS0_20block_scan_algorithmE0ELj4294967295EEENS1_25partition_config_selectorILNS1_17partition_subalgoE4EjNS0_10empty_typeEbEEZZNS1_14partition_implILS8_4ELb0ES6_15HIP_vector_typeIjLj2EENS0_17counting_iteratorIjlEEPS9_SG_NS0_5tupleIJPjSI_NS0_16reverse_iteratorISI_EEEEENSH_IJSG_SG_SG_EEES9_SI_JZNS1_25segmented_radix_sort_implINS0_14default_configELb0EPKbPbPKlPlN2at6native12_GLOBAL__N_18offset_tEEE10hipError_tPvRmT1_PNSt15iterator_traitsIS12_E10value_typeET2_T3_PNS13_IS18_E10value_typeET4_jRbjT5_S1E_jjP12ihipStream_tbEUljE_ZNSN_ISO_Lb0ESQ_SR_ST_SU_SY_EESZ_S10_S11_S12_S16_S17_S18_S1B_S1C_jS1D_jS1E_S1E_jjS1G_bEUljE0_EEESZ_S10_S11_S18_S1C_S1E_T6_T7_T9_mT8_S1G_bDpT10_ENKUlT_T0_E_clISt17integral_constantIbLb0EES1U_EEDaS1P_S1Q_EUlS1P_E_NS1_11comp_targetILNS1_3genE8ELNS1_11target_archE1030ELNS1_3gpuE2ELNS1_3repE0EEENS1_30default_config_static_selectorELNS0_4arch9wavefront6targetE1EEEvS12_,comdat
.Lfunc_end1576:
	.size	_ZN7rocprim17ROCPRIM_400000_NS6detail17trampoline_kernelINS0_13select_configILj256ELj13ELNS0_17block_load_methodE3ELS4_3ELS4_3ELNS0_20block_scan_algorithmE0ELj4294967295EEENS1_25partition_config_selectorILNS1_17partition_subalgoE4EjNS0_10empty_typeEbEEZZNS1_14partition_implILS8_4ELb0ES6_15HIP_vector_typeIjLj2EENS0_17counting_iteratorIjlEEPS9_SG_NS0_5tupleIJPjSI_NS0_16reverse_iteratorISI_EEEEENSH_IJSG_SG_SG_EEES9_SI_JZNS1_25segmented_radix_sort_implINS0_14default_configELb0EPKbPbPKlPlN2at6native12_GLOBAL__N_18offset_tEEE10hipError_tPvRmT1_PNSt15iterator_traitsIS12_E10value_typeET2_T3_PNS13_IS18_E10value_typeET4_jRbjT5_S1E_jjP12ihipStream_tbEUljE_ZNSN_ISO_Lb0ESQ_SR_ST_SU_SY_EESZ_S10_S11_S12_S16_S17_S18_S1B_S1C_jS1D_jS1E_S1E_jjS1G_bEUljE0_EEESZ_S10_S11_S18_S1C_S1E_T6_T7_T9_mT8_S1G_bDpT10_ENKUlT_T0_E_clISt17integral_constantIbLb0EES1U_EEDaS1P_S1Q_EUlS1P_E_NS1_11comp_targetILNS1_3genE8ELNS1_11target_archE1030ELNS1_3gpuE2ELNS1_3repE0EEENS1_30default_config_static_selectorELNS0_4arch9wavefront6targetE1EEEvS12_, .Lfunc_end1576-_ZN7rocprim17ROCPRIM_400000_NS6detail17trampoline_kernelINS0_13select_configILj256ELj13ELNS0_17block_load_methodE3ELS4_3ELS4_3ELNS0_20block_scan_algorithmE0ELj4294967295EEENS1_25partition_config_selectorILNS1_17partition_subalgoE4EjNS0_10empty_typeEbEEZZNS1_14partition_implILS8_4ELb0ES6_15HIP_vector_typeIjLj2EENS0_17counting_iteratorIjlEEPS9_SG_NS0_5tupleIJPjSI_NS0_16reverse_iteratorISI_EEEEENSH_IJSG_SG_SG_EEES9_SI_JZNS1_25segmented_radix_sort_implINS0_14default_configELb0EPKbPbPKlPlN2at6native12_GLOBAL__N_18offset_tEEE10hipError_tPvRmT1_PNSt15iterator_traitsIS12_E10value_typeET2_T3_PNS13_IS18_E10value_typeET4_jRbjT5_S1E_jjP12ihipStream_tbEUljE_ZNSN_ISO_Lb0ESQ_SR_ST_SU_SY_EESZ_S10_S11_S12_S16_S17_S18_S1B_S1C_jS1D_jS1E_S1E_jjS1G_bEUljE0_EEESZ_S10_S11_S18_S1C_S1E_T6_T7_T9_mT8_S1G_bDpT10_ENKUlT_T0_E_clISt17integral_constantIbLb0EES1U_EEDaS1P_S1Q_EUlS1P_E_NS1_11comp_targetILNS1_3genE8ELNS1_11target_archE1030ELNS1_3gpuE2ELNS1_3repE0EEENS1_30default_config_static_selectorELNS0_4arch9wavefront6targetE1EEEvS12_
                                        ; -- End function
	.section	.AMDGPU.csdata,"",@progbits
; Kernel info:
; codeLenInByte = 0
; NumSgprs: 4
; NumVgprs: 0
; NumAgprs: 0
; TotalNumVgprs: 0
; ScratchSize: 0
; MemoryBound: 0
; FloatMode: 240
; IeeeMode: 1
; LDSByteSize: 0 bytes/workgroup (compile time only)
; SGPRBlocks: 0
; VGPRBlocks: 0
; NumSGPRsForWavesPerEU: 4
; NumVGPRsForWavesPerEU: 1
; AccumOffset: 4
; Occupancy: 8
; WaveLimiterHint : 0
; COMPUTE_PGM_RSRC2:SCRATCH_EN: 0
; COMPUTE_PGM_RSRC2:USER_SGPR: 6
; COMPUTE_PGM_RSRC2:TRAP_HANDLER: 0
; COMPUTE_PGM_RSRC2:TGID_X_EN: 1
; COMPUTE_PGM_RSRC2:TGID_Y_EN: 0
; COMPUTE_PGM_RSRC2:TGID_Z_EN: 0
; COMPUTE_PGM_RSRC2:TIDIG_COMP_CNT: 0
; COMPUTE_PGM_RSRC3_GFX90A:ACCUM_OFFSET: 0
; COMPUTE_PGM_RSRC3_GFX90A:TG_SPLIT: 0
	.section	.text._ZN7rocprim17ROCPRIM_400000_NS6detail17trampoline_kernelINS0_13select_configILj256ELj13ELNS0_17block_load_methodE3ELS4_3ELS4_3ELNS0_20block_scan_algorithmE0ELj4294967295EEENS1_25partition_config_selectorILNS1_17partition_subalgoE4EjNS0_10empty_typeEbEEZZNS1_14partition_implILS8_4ELb0ES6_15HIP_vector_typeIjLj2EENS0_17counting_iteratorIjlEEPS9_SG_NS0_5tupleIJPjSI_NS0_16reverse_iteratorISI_EEEEENSH_IJSG_SG_SG_EEES9_SI_JZNS1_25segmented_radix_sort_implINS0_14default_configELb0EPKbPbPKlPlN2at6native12_GLOBAL__N_18offset_tEEE10hipError_tPvRmT1_PNSt15iterator_traitsIS12_E10value_typeET2_T3_PNS13_IS18_E10value_typeET4_jRbjT5_S1E_jjP12ihipStream_tbEUljE_ZNSN_ISO_Lb0ESQ_SR_ST_SU_SY_EESZ_S10_S11_S12_S16_S17_S18_S1B_S1C_jS1D_jS1E_S1E_jjS1G_bEUljE0_EEESZ_S10_S11_S18_S1C_S1E_T6_T7_T9_mT8_S1G_bDpT10_ENKUlT_T0_E_clISt17integral_constantIbLb1EES1U_EEDaS1P_S1Q_EUlS1P_E_NS1_11comp_targetILNS1_3genE0ELNS1_11target_archE4294967295ELNS1_3gpuE0ELNS1_3repE0EEENS1_30default_config_static_selectorELNS0_4arch9wavefront6targetE1EEEvS12_,"axG",@progbits,_ZN7rocprim17ROCPRIM_400000_NS6detail17trampoline_kernelINS0_13select_configILj256ELj13ELNS0_17block_load_methodE3ELS4_3ELS4_3ELNS0_20block_scan_algorithmE0ELj4294967295EEENS1_25partition_config_selectorILNS1_17partition_subalgoE4EjNS0_10empty_typeEbEEZZNS1_14partition_implILS8_4ELb0ES6_15HIP_vector_typeIjLj2EENS0_17counting_iteratorIjlEEPS9_SG_NS0_5tupleIJPjSI_NS0_16reverse_iteratorISI_EEEEENSH_IJSG_SG_SG_EEES9_SI_JZNS1_25segmented_radix_sort_implINS0_14default_configELb0EPKbPbPKlPlN2at6native12_GLOBAL__N_18offset_tEEE10hipError_tPvRmT1_PNSt15iterator_traitsIS12_E10value_typeET2_T3_PNS13_IS18_E10value_typeET4_jRbjT5_S1E_jjP12ihipStream_tbEUljE_ZNSN_ISO_Lb0ESQ_SR_ST_SU_SY_EESZ_S10_S11_S12_S16_S17_S18_S1B_S1C_jS1D_jS1E_S1E_jjS1G_bEUljE0_EEESZ_S10_S11_S18_S1C_S1E_T6_T7_T9_mT8_S1G_bDpT10_ENKUlT_T0_E_clISt17integral_constantIbLb1EES1U_EEDaS1P_S1Q_EUlS1P_E_NS1_11comp_targetILNS1_3genE0ELNS1_11target_archE4294967295ELNS1_3gpuE0ELNS1_3repE0EEENS1_30default_config_static_selectorELNS0_4arch9wavefront6targetE1EEEvS12_,comdat
	.globl	_ZN7rocprim17ROCPRIM_400000_NS6detail17trampoline_kernelINS0_13select_configILj256ELj13ELNS0_17block_load_methodE3ELS4_3ELS4_3ELNS0_20block_scan_algorithmE0ELj4294967295EEENS1_25partition_config_selectorILNS1_17partition_subalgoE4EjNS0_10empty_typeEbEEZZNS1_14partition_implILS8_4ELb0ES6_15HIP_vector_typeIjLj2EENS0_17counting_iteratorIjlEEPS9_SG_NS0_5tupleIJPjSI_NS0_16reverse_iteratorISI_EEEEENSH_IJSG_SG_SG_EEES9_SI_JZNS1_25segmented_radix_sort_implINS0_14default_configELb0EPKbPbPKlPlN2at6native12_GLOBAL__N_18offset_tEEE10hipError_tPvRmT1_PNSt15iterator_traitsIS12_E10value_typeET2_T3_PNS13_IS18_E10value_typeET4_jRbjT5_S1E_jjP12ihipStream_tbEUljE_ZNSN_ISO_Lb0ESQ_SR_ST_SU_SY_EESZ_S10_S11_S12_S16_S17_S18_S1B_S1C_jS1D_jS1E_S1E_jjS1G_bEUljE0_EEESZ_S10_S11_S18_S1C_S1E_T6_T7_T9_mT8_S1G_bDpT10_ENKUlT_T0_E_clISt17integral_constantIbLb1EES1U_EEDaS1P_S1Q_EUlS1P_E_NS1_11comp_targetILNS1_3genE0ELNS1_11target_archE4294967295ELNS1_3gpuE0ELNS1_3repE0EEENS1_30default_config_static_selectorELNS0_4arch9wavefront6targetE1EEEvS12_ ; -- Begin function _ZN7rocprim17ROCPRIM_400000_NS6detail17trampoline_kernelINS0_13select_configILj256ELj13ELNS0_17block_load_methodE3ELS4_3ELS4_3ELNS0_20block_scan_algorithmE0ELj4294967295EEENS1_25partition_config_selectorILNS1_17partition_subalgoE4EjNS0_10empty_typeEbEEZZNS1_14partition_implILS8_4ELb0ES6_15HIP_vector_typeIjLj2EENS0_17counting_iteratorIjlEEPS9_SG_NS0_5tupleIJPjSI_NS0_16reverse_iteratorISI_EEEEENSH_IJSG_SG_SG_EEES9_SI_JZNS1_25segmented_radix_sort_implINS0_14default_configELb0EPKbPbPKlPlN2at6native12_GLOBAL__N_18offset_tEEE10hipError_tPvRmT1_PNSt15iterator_traitsIS12_E10value_typeET2_T3_PNS13_IS18_E10value_typeET4_jRbjT5_S1E_jjP12ihipStream_tbEUljE_ZNSN_ISO_Lb0ESQ_SR_ST_SU_SY_EESZ_S10_S11_S12_S16_S17_S18_S1B_S1C_jS1D_jS1E_S1E_jjS1G_bEUljE0_EEESZ_S10_S11_S18_S1C_S1E_T6_T7_T9_mT8_S1G_bDpT10_ENKUlT_T0_E_clISt17integral_constantIbLb1EES1U_EEDaS1P_S1Q_EUlS1P_E_NS1_11comp_targetILNS1_3genE0ELNS1_11target_archE4294967295ELNS1_3gpuE0ELNS1_3repE0EEENS1_30default_config_static_selectorELNS0_4arch9wavefront6targetE1EEEvS12_
	.p2align	8
	.type	_ZN7rocprim17ROCPRIM_400000_NS6detail17trampoline_kernelINS0_13select_configILj256ELj13ELNS0_17block_load_methodE3ELS4_3ELS4_3ELNS0_20block_scan_algorithmE0ELj4294967295EEENS1_25partition_config_selectorILNS1_17partition_subalgoE4EjNS0_10empty_typeEbEEZZNS1_14partition_implILS8_4ELb0ES6_15HIP_vector_typeIjLj2EENS0_17counting_iteratorIjlEEPS9_SG_NS0_5tupleIJPjSI_NS0_16reverse_iteratorISI_EEEEENSH_IJSG_SG_SG_EEES9_SI_JZNS1_25segmented_radix_sort_implINS0_14default_configELb0EPKbPbPKlPlN2at6native12_GLOBAL__N_18offset_tEEE10hipError_tPvRmT1_PNSt15iterator_traitsIS12_E10value_typeET2_T3_PNS13_IS18_E10value_typeET4_jRbjT5_S1E_jjP12ihipStream_tbEUljE_ZNSN_ISO_Lb0ESQ_SR_ST_SU_SY_EESZ_S10_S11_S12_S16_S17_S18_S1B_S1C_jS1D_jS1E_S1E_jjS1G_bEUljE0_EEESZ_S10_S11_S18_S1C_S1E_T6_T7_T9_mT8_S1G_bDpT10_ENKUlT_T0_E_clISt17integral_constantIbLb1EES1U_EEDaS1P_S1Q_EUlS1P_E_NS1_11comp_targetILNS1_3genE0ELNS1_11target_archE4294967295ELNS1_3gpuE0ELNS1_3repE0EEENS1_30default_config_static_selectorELNS0_4arch9wavefront6targetE1EEEvS12_,@function
_ZN7rocprim17ROCPRIM_400000_NS6detail17trampoline_kernelINS0_13select_configILj256ELj13ELNS0_17block_load_methodE3ELS4_3ELS4_3ELNS0_20block_scan_algorithmE0ELj4294967295EEENS1_25partition_config_selectorILNS1_17partition_subalgoE4EjNS0_10empty_typeEbEEZZNS1_14partition_implILS8_4ELb0ES6_15HIP_vector_typeIjLj2EENS0_17counting_iteratorIjlEEPS9_SG_NS0_5tupleIJPjSI_NS0_16reverse_iteratorISI_EEEEENSH_IJSG_SG_SG_EEES9_SI_JZNS1_25segmented_radix_sort_implINS0_14default_configELb0EPKbPbPKlPlN2at6native12_GLOBAL__N_18offset_tEEE10hipError_tPvRmT1_PNSt15iterator_traitsIS12_E10value_typeET2_T3_PNS13_IS18_E10value_typeET4_jRbjT5_S1E_jjP12ihipStream_tbEUljE_ZNSN_ISO_Lb0ESQ_SR_ST_SU_SY_EESZ_S10_S11_S12_S16_S17_S18_S1B_S1C_jS1D_jS1E_S1E_jjS1G_bEUljE0_EEESZ_S10_S11_S18_S1C_S1E_T6_T7_T9_mT8_S1G_bDpT10_ENKUlT_T0_E_clISt17integral_constantIbLb1EES1U_EEDaS1P_S1Q_EUlS1P_E_NS1_11comp_targetILNS1_3genE0ELNS1_11target_archE4294967295ELNS1_3gpuE0ELNS1_3repE0EEENS1_30default_config_static_selectorELNS0_4arch9wavefront6targetE1EEEvS12_: ; @_ZN7rocprim17ROCPRIM_400000_NS6detail17trampoline_kernelINS0_13select_configILj256ELj13ELNS0_17block_load_methodE3ELS4_3ELS4_3ELNS0_20block_scan_algorithmE0ELj4294967295EEENS1_25partition_config_selectorILNS1_17partition_subalgoE4EjNS0_10empty_typeEbEEZZNS1_14partition_implILS8_4ELb0ES6_15HIP_vector_typeIjLj2EENS0_17counting_iteratorIjlEEPS9_SG_NS0_5tupleIJPjSI_NS0_16reverse_iteratorISI_EEEEENSH_IJSG_SG_SG_EEES9_SI_JZNS1_25segmented_radix_sort_implINS0_14default_configELb0EPKbPbPKlPlN2at6native12_GLOBAL__N_18offset_tEEE10hipError_tPvRmT1_PNSt15iterator_traitsIS12_E10value_typeET2_T3_PNS13_IS18_E10value_typeET4_jRbjT5_S1E_jjP12ihipStream_tbEUljE_ZNSN_ISO_Lb0ESQ_SR_ST_SU_SY_EESZ_S10_S11_S12_S16_S17_S18_S1B_S1C_jS1D_jS1E_S1E_jjS1G_bEUljE0_EEESZ_S10_S11_S18_S1C_S1E_T6_T7_T9_mT8_S1G_bDpT10_ENKUlT_T0_E_clISt17integral_constantIbLb1EES1U_EEDaS1P_S1Q_EUlS1P_E_NS1_11comp_targetILNS1_3genE0ELNS1_11target_archE4294967295ELNS1_3gpuE0ELNS1_3repE0EEENS1_30default_config_static_selectorELNS0_4arch9wavefront6targetE1EEEvS12_
; %bb.0:
	.section	.rodata,"a",@progbits
	.p2align	6, 0x0
	.amdhsa_kernel _ZN7rocprim17ROCPRIM_400000_NS6detail17trampoline_kernelINS0_13select_configILj256ELj13ELNS0_17block_load_methodE3ELS4_3ELS4_3ELNS0_20block_scan_algorithmE0ELj4294967295EEENS1_25partition_config_selectorILNS1_17partition_subalgoE4EjNS0_10empty_typeEbEEZZNS1_14partition_implILS8_4ELb0ES6_15HIP_vector_typeIjLj2EENS0_17counting_iteratorIjlEEPS9_SG_NS0_5tupleIJPjSI_NS0_16reverse_iteratorISI_EEEEENSH_IJSG_SG_SG_EEES9_SI_JZNS1_25segmented_radix_sort_implINS0_14default_configELb0EPKbPbPKlPlN2at6native12_GLOBAL__N_18offset_tEEE10hipError_tPvRmT1_PNSt15iterator_traitsIS12_E10value_typeET2_T3_PNS13_IS18_E10value_typeET4_jRbjT5_S1E_jjP12ihipStream_tbEUljE_ZNSN_ISO_Lb0ESQ_SR_ST_SU_SY_EESZ_S10_S11_S12_S16_S17_S18_S1B_S1C_jS1D_jS1E_S1E_jjS1G_bEUljE0_EEESZ_S10_S11_S18_S1C_S1E_T6_T7_T9_mT8_S1G_bDpT10_ENKUlT_T0_E_clISt17integral_constantIbLb1EES1U_EEDaS1P_S1Q_EUlS1P_E_NS1_11comp_targetILNS1_3genE0ELNS1_11target_archE4294967295ELNS1_3gpuE0ELNS1_3repE0EEENS1_30default_config_static_selectorELNS0_4arch9wavefront6targetE1EEEvS12_
		.amdhsa_group_segment_fixed_size 0
		.amdhsa_private_segment_fixed_size 0
		.amdhsa_kernarg_size 184
		.amdhsa_user_sgpr_count 6
		.amdhsa_user_sgpr_private_segment_buffer 1
		.amdhsa_user_sgpr_dispatch_ptr 0
		.amdhsa_user_sgpr_queue_ptr 0
		.amdhsa_user_sgpr_kernarg_segment_ptr 1
		.amdhsa_user_sgpr_dispatch_id 0
		.amdhsa_user_sgpr_flat_scratch_init 0
		.amdhsa_user_sgpr_kernarg_preload_length 0
		.amdhsa_user_sgpr_kernarg_preload_offset 0
		.amdhsa_user_sgpr_private_segment_size 0
		.amdhsa_uses_dynamic_stack 0
		.amdhsa_system_sgpr_private_segment_wavefront_offset 0
		.amdhsa_system_sgpr_workgroup_id_x 1
		.amdhsa_system_sgpr_workgroup_id_y 0
		.amdhsa_system_sgpr_workgroup_id_z 0
		.amdhsa_system_sgpr_workgroup_info 0
		.amdhsa_system_vgpr_workitem_id 0
		.amdhsa_next_free_vgpr 1
		.amdhsa_next_free_sgpr 0
		.amdhsa_accum_offset 4
		.amdhsa_reserve_vcc 0
		.amdhsa_reserve_flat_scratch 0
		.amdhsa_float_round_mode_32 0
		.amdhsa_float_round_mode_16_64 0
		.amdhsa_float_denorm_mode_32 3
		.amdhsa_float_denorm_mode_16_64 3
		.amdhsa_dx10_clamp 1
		.amdhsa_ieee_mode 1
		.amdhsa_fp16_overflow 0
		.amdhsa_tg_split 0
		.amdhsa_exception_fp_ieee_invalid_op 0
		.amdhsa_exception_fp_denorm_src 0
		.amdhsa_exception_fp_ieee_div_zero 0
		.amdhsa_exception_fp_ieee_overflow 0
		.amdhsa_exception_fp_ieee_underflow 0
		.amdhsa_exception_fp_ieee_inexact 0
		.amdhsa_exception_int_div_zero 0
	.end_amdhsa_kernel
	.section	.text._ZN7rocprim17ROCPRIM_400000_NS6detail17trampoline_kernelINS0_13select_configILj256ELj13ELNS0_17block_load_methodE3ELS4_3ELS4_3ELNS0_20block_scan_algorithmE0ELj4294967295EEENS1_25partition_config_selectorILNS1_17partition_subalgoE4EjNS0_10empty_typeEbEEZZNS1_14partition_implILS8_4ELb0ES6_15HIP_vector_typeIjLj2EENS0_17counting_iteratorIjlEEPS9_SG_NS0_5tupleIJPjSI_NS0_16reverse_iteratorISI_EEEEENSH_IJSG_SG_SG_EEES9_SI_JZNS1_25segmented_radix_sort_implINS0_14default_configELb0EPKbPbPKlPlN2at6native12_GLOBAL__N_18offset_tEEE10hipError_tPvRmT1_PNSt15iterator_traitsIS12_E10value_typeET2_T3_PNS13_IS18_E10value_typeET4_jRbjT5_S1E_jjP12ihipStream_tbEUljE_ZNSN_ISO_Lb0ESQ_SR_ST_SU_SY_EESZ_S10_S11_S12_S16_S17_S18_S1B_S1C_jS1D_jS1E_S1E_jjS1G_bEUljE0_EEESZ_S10_S11_S18_S1C_S1E_T6_T7_T9_mT8_S1G_bDpT10_ENKUlT_T0_E_clISt17integral_constantIbLb1EES1U_EEDaS1P_S1Q_EUlS1P_E_NS1_11comp_targetILNS1_3genE0ELNS1_11target_archE4294967295ELNS1_3gpuE0ELNS1_3repE0EEENS1_30default_config_static_selectorELNS0_4arch9wavefront6targetE1EEEvS12_,"axG",@progbits,_ZN7rocprim17ROCPRIM_400000_NS6detail17trampoline_kernelINS0_13select_configILj256ELj13ELNS0_17block_load_methodE3ELS4_3ELS4_3ELNS0_20block_scan_algorithmE0ELj4294967295EEENS1_25partition_config_selectorILNS1_17partition_subalgoE4EjNS0_10empty_typeEbEEZZNS1_14partition_implILS8_4ELb0ES6_15HIP_vector_typeIjLj2EENS0_17counting_iteratorIjlEEPS9_SG_NS0_5tupleIJPjSI_NS0_16reverse_iteratorISI_EEEEENSH_IJSG_SG_SG_EEES9_SI_JZNS1_25segmented_radix_sort_implINS0_14default_configELb0EPKbPbPKlPlN2at6native12_GLOBAL__N_18offset_tEEE10hipError_tPvRmT1_PNSt15iterator_traitsIS12_E10value_typeET2_T3_PNS13_IS18_E10value_typeET4_jRbjT5_S1E_jjP12ihipStream_tbEUljE_ZNSN_ISO_Lb0ESQ_SR_ST_SU_SY_EESZ_S10_S11_S12_S16_S17_S18_S1B_S1C_jS1D_jS1E_S1E_jjS1G_bEUljE0_EEESZ_S10_S11_S18_S1C_S1E_T6_T7_T9_mT8_S1G_bDpT10_ENKUlT_T0_E_clISt17integral_constantIbLb1EES1U_EEDaS1P_S1Q_EUlS1P_E_NS1_11comp_targetILNS1_3genE0ELNS1_11target_archE4294967295ELNS1_3gpuE0ELNS1_3repE0EEENS1_30default_config_static_selectorELNS0_4arch9wavefront6targetE1EEEvS12_,comdat
.Lfunc_end1577:
	.size	_ZN7rocprim17ROCPRIM_400000_NS6detail17trampoline_kernelINS0_13select_configILj256ELj13ELNS0_17block_load_methodE3ELS4_3ELS4_3ELNS0_20block_scan_algorithmE0ELj4294967295EEENS1_25partition_config_selectorILNS1_17partition_subalgoE4EjNS0_10empty_typeEbEEZZNS1_14partition_implILS8_4ELb0ES6_15HIP_vector_typeIjLj2EENS0_17counting_iteratorIjlEEPS9_SG_NS0_5tupleIJPjSI_NS0_16reverse_iteratorISI_EEEEENSH_IJSG_SG_SG_EEES9_SI_JZNS1_25segmented_radix_sort_implINS0_14default_configELb0EPKbPbPKlPlN2at6native12_GLOBAL__N_18offset_tEEE10hipError_tPvRmT1_PNSt15iterator_traitsIS12_E10value_typeET2_T3_PNS13_IS18_E10value_typeET4_jRbjT5_S1E_jjP12ihipStream_tbEUljE_ZNSN_ISO_Lb0ESQ_SR_ST_SU_SY_EESZ_S10_S11_S12_S16_S17_S18_S1B_S1C_jS1D_jS1E_S1E_jjS1G_bEUljE0_EEESZ_S10_S11_S18_S1C_S1E_T6_T7_T9_mT8_S1G_bDpT10_ENKUlT_T0_E_clISt17integral_constantIbLb1EES1U_EEDaS1P_S1Q_EUlS1P_E_NS1_11comp_targetILNS1_3genE0ELNS1_11target_archE4294967295ELNS1_3gpuE0ELNS1_3repE0EEENS1_30default_config_static_selectorELNS0_4arch9wavefront6targetE1EEEvS12_, .Lfunc_end1577-_ZN7rocprim17ROCPRIM_400000_NS6detail17trampoline_kernelINS0_13select_configILj256ELj13ELNS0_17block_load_methodE3ELS4_3ELS4_3ELNS0_20block_scan_algorithmE0ELj4294967295EEENS1_25partition_config_selectorILNS1_17partition_subalgoE4EjNS0_10empty_typeEbEEZZNS1_14partition_implILS8_4ELb0ES6_15HIP_vector_typeIjLj2EENS0_17counting_iteratorIjlEEPS9_SG_NS0_5tupleIJPjSI_NS0_16reverse_iteratorISI_EEEEENSH_IJSG_SG_SG_EEES9_SI_JZNS1_25segmented_radix_sort_implINS0_14default_configELb0EPKbPbPKlPlN2at6native12_GLOBAL__N_18offset_tEEE10hipError_tPvRmT1_PNSt15iterator_traitsIS12_E10value_typeET2_T3_PNS13_IS18_E10value_typeET4_jRbjT5_S1E_jjP12ihipStream_tbEUljE_ZNSN_ISO_Lb0ESQ_SR_ST_SU_SY_EESZ_S10_S11_S12_S16_S17_S18_S1B_S1C_jS1D_jS1E_S1E_jjS1G_bEUljE0_EEESZ_S10_S11_S18_S1C_S1E_T6_T7_T9_mT8_S1G_bDpT10_ENKUlT_T0_E_clISt17integral_constantIbLb1EES1U_EEDaS1P_S1Q_EUlS1P_E_NS1_11comp_targetILNS1_3genE0ELNS1_11target_archE4294967295ELNS1_3gpuE0ELNS1_3repE0EEENS1_30default_config_static_selectorELNS0_4arch9wavefront6targetE1EEEvS12_
                                        ; -- End function
	.section	.AMDGPU.csdata,"",@progbits
; Kernel info:
; codeLenInByte = 0
; NumSgprs: 4
; NumVgprs: 0
; NumAgprs: 0
; TotalNumVgprs: 0
; ScratchSize: 0
; MemoryBound: 0
; FloatMode: 240
; IeeeMode: 1
; LDSByteSize: 0 bytes/workgroup (compile time only)
; SGPRBlocks: 0
; VGPRBlocks: 0
; NumSGPRsForWavesPerEU: 4
; NumVGPRsForWavesPerEU: 1
; AccumOffset: 4
; Occupancy: 8
; WaveLimiterHint : 0
; COMPUTE_PGM_RSRC2:SCRATCH_EN: 0
; COMPUTE_PGM_RSRC2:USER_SGPR: 6
; COMPUTE_PGM_RSRC2:TRAP_HANDLER: 0
; COMPUTE_PGM_RSRC2:TGID_X_EN: 1
; COMPUTE_PGM_RSRC2:TGID_Y_EN: 0
; COMPUTE_PGM_RSRC2:TGID_Z_EN: 0
; COMPUTE_PGM_RSRC2:TIDIG_COMP_CNT: 0
; COMPUTE_PGM_RSRC3_GFX90A:ACCUM_OFFSET: 0
; COMPUTE_PGM_RSRC3_GFX90A:TG_SPLIT: 0
	.section	.text._ZN7rocprim17ROCPRIM_400000_NS6detail17trampoline_kernelINS0_13select_configILj256ELj13ELNS0_17block_load_methodE3ELS4_3ELS4_3ELNS0_20block_scan_algorithmE0ELj4294967295EEENS1_25partition_config_selectorILNS1_17partition_subalgoE4EjNS0_10empty_typeEbEEZZNS1_14partition_implILS8_4ELb0ES6_15HIP_vector_typeIjLj2EENS0_17counting_iteratorIjlEEPS9_SG_NS0_5tupleIJPjSI_NS0_16reverse_iteratorISI_EEEEENSH_IJSG_SG_SG_EEES9_SI_JZNS1_25segmented_radix_sort_implINS0_14default_configELb0EPKbPbPKlPlN2at6native12_GLOBAL__N_18offset_tEEE10hipError_tPvRmT1_PNSt15iterator_traitsIS12_E10value_typeET2_T3_PNS13_IS18_E10value_typeET4_jRbjT5_S1E_jjP12ihipStream_tbEUljE_ZNSN_ISO_Lb0ESQ_SR_ST_SU_SY_EESZ_S10_S11_S12_S16_S17_S18_S1B_S1C_jS1D_jS1E_S1E_jjS1G_bEUljE0_EEESZ_S10_S11_S18_S1C_S1E_T6_T7_T9_mT8_S1G_bDpT10_ENKUlT_T0_E_clISt17integral_constantIbLb1EES1U_EEDaS1P_S1Q_EUlS1P_E_NS1_11comp_targetILNS1_3genE5ELNS1_11target_archE942ELNS1_3gpuE9ELNS1_3repE0EEENS1_30default_config_static_selectorELNS0_4arch9wavefront6targetE1EEEvS12_,"axG",@progbits,_ZN7rocprim17ROCPRIM_400000_NS6detail17trampoline_kernelINS0_13select_configILj256ELj13ELNS0_17block_load_methodE3ELS4_3ELS4_3ELNS0_20block_scan_algorithmE0ELj4294967295EEENS1_25partition_config_selectorILNS1_17partition_subalgoE4EjNS0_10empty_typeEbEEZZNS1_14partition_implILS8_4ELb0ES6_15HIP_vector_typeIjLj2EENS0_17counting_iteratorIjlEEPS9_SG_NS0_5tupleIJPjSI_NS0_16reverse_iteratorISI_EEEEENSH_IJSG_SG_SG_EEES9_SI_JZNS1_25segmented_radix_sort_implINS0_14default_configELb0EPKbPbPKlPlN2at6native12_GLOBAL__N_18offset_tEEE10hipError_tPvRmT1_PNSt15iterator_traitsIS12_E10value_typeET2_T3_PNS13_IS18_E10value_typeET4_jRbjT5_S1E_jjP12ihipStream_tbEUljE_ZNSN_ISO_Lb0ESQ_SR_ST_SU_SY_EESZ_S10_S11_S12_S16_S17_S18_S1B_S1C_jS1D_jS1E_S1E_jjS1G_bEUljE0_EEESZ_S10_S11_S18_S1C_S1E_T6_T7_T9_mT8_S1G_bDpT10_ENKUlT_T0_E_clISt17integral_constantIbLb1EES1U_EEDaS1P_S1Q_EUlS1P_E_NS1_11comp_targetILNS1_3genE5ELNS1_11target_archE942ELNS1_3gpuE9ELNS1_3repE0EEENS1_30default_config_static_selectorELNS0_4arch9wavefront6targetE1EEEvS12_,comdat
	.globl	_ZN7rocprim17ROCPRIM_400000_NS6detail17trampoline_kernelINS0_13select_configILj256ELj13ELNS0_17block_load_methodE3ELS4_3ELS4_3ELNS0_20block_scan_algorithmE0ELj4294967295EEENS1_25partition_config_selectorILNS1_17partition_subalgoE4EjNS0_10empty_typeEbEEZZNS1_14partition_implILS8_4ELb0ES6_15HIP_vector_typeIjLj2EENS0_17counting_iteratorIjlEEPS9_SG_NS0_5tupleIJPjSI_NS0_16reverse_iteratorISI_EEEEENSH_IJSG_SG_SG_EEES9_SI_JZNS1_25segmented_radix_sort_implINS0_14default_configELb0EPKbPbPKlPlN2at6native12_GLOBAL__N_18offset_tEEE10hipError_tPvRmT1_PNSt15iterator_traitsIS12_E10value_typeET2_T3_PNS13_IS18_E10value_typeET4_jRbjT5_S1E_jjP12ihipStream_tbEUljE_ZNSN_ISO_Lb0ESQ_SR_ST_SU_SY_EESZ_S10_S11_S12_S16_S17_S18_S1B_S1C_jS1D_jS1E_S1E_jjS1G_bEUljE0_EEESZ_S10_S11_S18_S1C_S1E_T6_T7_T9_mT8_S1G_bDpT10_ENKUlT_T0_E_clISt17integral_constantIbLb1EES1U_EEDaS1P_S1Q_EUlS1P_E_NS1_11comp_targetILNS1_3genE5ELNS1_11target_archE942ELNS1_3gpuE9ELNS1_3repE0EEENS1_30default_config_static_selectorELNS0_4arch9wavefront6targetE1EEEvS12_ ; -- Begin function _ZN7rocprim17ROCPRIM_400000_NS6detail17trampoline_kernelINS0_13select_configILj256ELj13ELNS0_17block_load_methodE3ELS4_3ELS4_3ELNS0_20block_scan_algorithmE0ELj4294967295EEENS1_25partition_config_selectorILNS1_17partition_subalgoE4EjNS0_10empty_typeEbEEZZNS1_14partition_implILS8_4ELb0ES6_15HIP_vector_typeIjLj2EENS0_17counting_iteratorIjlEEPS9_SG_NS0_5tupleIJPjSI_NS0_16reverse_iteratorISI_EEEEENSH_IJSG_SG_SG_EEES9_SI_JZNS1_25segmented_radix_sort_implINS0_14default_configELb0EPKbPbPKlPlN2at6native12_GLOBAL__N_18offset_tEEE10hipError_tPvRmT1_PNSt15iterator_traitsIS12_E10value_typeET2_T3_PNS13_IS18_E10value_typeET4_jRbjT5_S1E_jjP12ihipStream_tbEUljE_ZNSN_ISO_Lb0ESQ_SR_ST_SU_SY_EESZ_S10_S11_S12_S16_S17_S18_S1B_S1C_jS1D_jS1E_S1E_jjS1G_bEUljE0_EEESZ_S10_S11_S18_S1C_S1E_T6_T7_T9_mT8_S1G_bDpT10_ENKUlT_T0_E_clISt17integral_constantIbLb1EES1U_EEDaS1P_S1Q_EUlS1P_E_NS1_11comp_targetILNS1_3genE5ELNS1_11target_archE942ELNS1_3gpuE9ELNS1_3repE0EEENS1_30default_config_static_selectorELNS0_4arch9wavefront6targetE1EEEvS12_
	.p2align	8
	.type	_ZN7rocprim17ROCPRIM_400000_NS6detail17trampoline_kernelINS0_13select_configILj256ELj13ELNS0_17block_load_methodE3ELS4_3ELS4_3ELNS0_20block_scan_algorithmE0ELj4294967295EEENS1_25partition_config_selectorILNS1_17partition_subalgoE4EjNS0_10empty_typeEbEEZZNS1_14partition_implILS8_4ELb0ES6_15HIP_vector_typeIjLj2EENS0_17counting_iteratorIjlEEPS9_SG_NS0_5tupleIJPjSI_NS0_16reverse_iteratorISI_EEEEENSH_IJSG_SG_SG_EEES9_SI_JZNS1_25segmented_radix_sort_implINS0_14default_configELb0EPKbPbPKlPlN2at6native12_GLOBAL__N_18offset_tEEE10hipError_tPvRmT1_PNSt15iterator_traitsIS12_E10value_typeET2_T3_PNS13_IS18_E10value_typeET4_jRbjT5_S1E_jjP12ihipStream_tbEUljE_ZNSN_ISO_Lb0ESQ_SR_ST_SU_SY_EESZ_S10_S11_S12_S16_S17_S18_S1B_S1C_jS1D_jS1E_S1E_jjS1G_bEUljE0_EEESZ_S10_S11_S18_S1C_S1E_T6_T7_T9_mT8_S1G_bDpT10_ENKUlT_T0_E_clISt17integral_constantIbLb1EES1U_EEDaS1P_S1Q_EUlS1P_E_NS1_11comp_targetILNS1_3genE5ELNS1_11target_archE942ELNS1_3gpuE9ELNS1_3repE0EEENS1_30default_config_static_selectorELNS0_4arch9wavefront6targetE1EEEvS12_,@function
_ZN7rocprim17ROCPRIM_400000_NS6detail17trampoline_kernelINS0_13select_configILj256ELj13ELNS0_17block_load_methodE3ELS4_3ELS4_3ELNS0_20block_scan_algorithmE0ELj4294967295EEENS1_25partition_config_selectorILNS1_17partition_subalgoE4EjNS0_10empty_typeEbEEZZNS1_14partition_implILS8_4ELb0ES6_15HIP_vector_typeIjLj2EENS0_17counting_iteratorIjlEEPS9_SG_NS0_5tupleIJPjSI_NS0_16reverse_iteratorISI_EEEEENSH_IJSG_SG_SG_EEES9_SI_JZNS1_25segmented_radix_sort_implINS0_14default_configELb0EPKbPbPKlPlN2at6native12_GLOBAL__N_18offset_tEEE10hipError_tPvRmT1_PNSt15iterator_traitsIS12_E10value_typeET2_T3_PNS13_IS18_E10value_typeET4_jRbjT5_S1E_jjP12ihipStream_tbEUljE_ZNSN_ISO_Lb0ESQ_SR_ST_SU_SY_EESZ_S10_S11_S12_S16_S17_S18_S1B_S1C_jS1D_jS1E_S1E_jjS1G_bEUljE0_EEESZ_S10_S11_S18_S1C_S1E_T6_T7_T9_mT8_S1G_bDpT10_ENKUlT_T0_E_clISt17integral_constantIbLb1EES1U_EEDaS1P_S1Q_EUlS1P_E_NS1_11comp_targetILNS1_3genE5ELNS1_11target_archE942ELNS1_3gpuE9ELNS1_3repE0EEENS1_30default_config_static_selectorELNS0_4arch9wavefront6targetE1EEEvS12_: ; @_ZN7rocprim17ROCPRIM_400000_NS6detail17trampoline_kernelINS0_13select_configILj256ELj13ELNS0_17block_load_methodE3ELS4_3ELS4_3ELNS0_20block_scan_algorithmE0ELj4294967295EEENS1_25partition_config_selectorILNS1_17partition_subalgoE4EjNS0_10empty_typeEbEEZZNS1_14partition_implILS8_4ELb0ES6_15HIP_vector_typeIjLj2EENS0_17counting_iteratorIjlEEPS9_SG_NS0_5tupleIJPjSI_NS0_16reverse_iteratorISI_EEEEENSH_IJSG_SG_SG_EEES9_SI_JZNS1_25segmented_radix_sort_implINS0_14default_configELb0EPKbPbPKlPlN2at6native12_GLOBAL__N_18offset_tEEE10hipError_tPvRmT1_PNSt15iterator_traitsIS12_E10value_typeET2_T3_PNS13_IS18_E10value_typeET4_jRbjT5_S1E_jjP12ihipStream_tbEUljE_ZNSN_ISO_Lb0ESQ_SR_ST_SU_SY_EESZ_S10_S11_S12_S16_S17_S18_S1B_S1C_jS1D_jS1E_S1E_jjS1G_bEUljE0_EEESZ_S10_S11_S18_S1C_S1E_T6_T7_T9_mT8_S1G_bDpT10_ENKUlT_T0_E_clISt17integral_constantIbLb1EES1U_EEDaS1P_S1Q_EUlS1P_E_NS1_11comp_targetILNS1_3genE5ELNS1_11target_archE942ELNS1_3gpuE9ELNS1_3repE0EEENS1_30default_config_static_selectorELNS0_4arch9wavefront6targetE1EEEvS12_
; %bb.0:
	.section	.rodata,"a",@progbits
	.p2align	6, 0x0
	.amdhsa_kernel _ZN7rocprim17ROCPRIM_400000_NS6detail17trampoline_kernelINS0_13select_configILj256ELj13ELNS0_17block_load_methodE3ELS4_3ELS4_3ELNS0_20block_scan_algorithmE0ELj4294967295EEENS1_25partition_config_selectorILNS1_17partition_subalgoE4EjNS0_10empty_typeEbEEZZNS1_14partition_implILS8_4ELb0ES6_15HIP_vector_typeIjLj2EENS0_17counting_iteratorIjlEEPS9_SG_NS0_5tupleIJPjSI_NS0_16reverse_iteratorISI_EEEEENSH_IJSG_SG_SG_EEES9_SI_JZNS1_25segmented_radix_sort_implINS0_14default_configELb0EPKbPbPKlPlN2at6native12_GLOBAL__N_18offset_tEEE10hipError_tPvRmT1_PNSt15iterator_traitsIS12_E10value_typeET2_T3_PNS13_IS18_E10value_typeET4_jRbjT5_S1E_jjP12ihipStream_tbEUljE_ZNSN_ISO_Lb0ESQ_SR_ST_SU_SY_EESZ_S10_S11_S12_S16_S17_S18_S1B_S1C_jS1D_jS1E_S1E_jjS1G_bEUljE0_EEESZ_S10_S11_S18_S1C_S1E_T6_T7_T9_mT8_S1G_bDpT10_ENKUlT_T0_E_clISt17integral_constantIbLb1EES1U_EEDaS1P_S1Q_EUlS1P_E_NS1_11comp_targetILNS1_3genE5ELNS1_11target_archE942ELNS1_3gpuE9ELNS1_3repE0EEENS1_30default_config_static_selectorELNS0_4arch9wavefront6targetE1EEEvS12_
		.amdhsa_group_segment_fixed_size 0
		.amdhsa_private_segment_fixed_size 0
		.amdhsa_kernarg_size 184
		.amdhsa_user_sgpr_count 6
		.amdhsa_user_sgpr_private_segment_buffer 1
		.amdhsa_user_sgpr_dispatch_ptr 0
		.amdhsa_user_sgpr_queue_ptr 0
		.amdhsa_user_sgpr_kernarg_segment_ptr 1
		.amdhsa_user_sgpr_dispatch_id 0
		.amdhsa_user_sgpr_flat_scratch_init 0
		.amdhsa_user_sgpr_kernarg_preload_length 0
		.amdhsa_user_sgpr_kernarg_preload_offset 0
		.amdhsa_user_sgpr_private_segment_size 0
		.amdhsa_uses_dynamic_stack 0
		.amdhsa_system_sgpr_private_segment_wavefront_offset 0
		.amdhsa_system_sgpr_workgroup_id_x 1
		.amdhsa_system_sgpr_workgroup_id_y 0
		.amdhsa_system_sgpr_workgroup_id_z 0
		.amdhsa_system_sgpr_workgroup_info 0
		.amdhsa_system_vgpr_workitem_id 0
		.amdhsa_next_free_vgpr 1
		.amdhsa_next_free_sgpr 0
		.amdhsa_accum_offset 4
		.amdhsa_reserve_vcc 0
		.amdhsa_reserve_flat_scratch 0
		.amdhsa_float_round_mode_32 0
		.amdhsa_float_round_mode_16_64 0
		.amdhsa_float_denorm_mode_32 3
		.amdhsa_float_denorm_mode_16_64 3
		.amdhsa_dx10_clamp 1
		.amdhsa_ieee_mode 1
		.amdhsa_fp16_overflow 0
		.amdhsa_tg_split 0
		.amdhsa_exception_fp_ieee_invalid_op 0
		.amdhsa_exception_fp_denorm_src 0
		.amdhsa_exception_fp_ieee_div_zero 0
		.amdhsa_exception_fp_ieee_overflow 0
		.amdhsa_exception_fp_ieee_underflow 0
		.amdhsa_exception_fp_ieee_inexact 0
		.amdhsa_exception_int_div_zero 0
	.end_amdhsa_kernel
	.section	.text._ZN7rocprim17ROCPRIM_400000_NS6detail17trampoline_kernelINS0_13select_configILj256ELj13ELNS0_17block_load_methodE3ELS4_3ELS4_3ELNS0_20block_scan_algorithmE0ELj4294967295EEENS1_25partition_config_selectorILNS1_17partition_subalgoE4EjNS0_10empty_typeEbEEZZNS1_14partition_implILS8_4ELb0ES6_15HIP_vector_typeIjLj2EENS0_17counting_iteratorIjlEEPS9_SG_NS0_5tupleIJPjSI_NS0_16reverse_iteratorISI_EEEEENSH_IJSG_SG_SG_EEES9_SI_JZNS1_25segmented_radix_sort_implINS0_14default_configELb0EPKbPbPKlPlN2at6native12_GLOBAL__N_18offset_tEEE10hipError_tPvRmT1_PNSt15iterator_traitsIS12_E10value_typeET2_T3_PNS13_IS18_E10value_typeET4_jRbjT5_S1E_jjP12ihipStream_tbEUljE_ZNSN_ISO_Lb0ESQ_SR_ST_SU_SY_EESZ_S10_S11_S12_S16_S17_S18_S1B_S1C_jS1D_jS1E_S1E_jjS1G_bEUljE0_EEESZ_S10_S11_S18_S1C_S1E_T6_T7_T9_mT8_S1G_bDpT10_ENKUlT_T0_E_clISt17integral_constantIbLb1EES1U_EEDaS1P_S1Q_EUlS1P_E_NS1_11comp_targetILNS1_3genE5ELNS1_11target_archE942ELNS1_3gpuE9ELNS1_3repE0EEENS1_30default_config_static_selectorELNS0_4arch9wavefront6targetE1EEEvS12_,"axG",@progbits,_ZN7rocprim17ROCPRIM_400000_NS6detail17trampoline_kernelINS0_13select_configILj256ELj13ELNS0_17block_load_methodE3ELS4_3ELS4_3ELNS0_20block_scan_algorithmE0ELj4294967295EEENS1_25partition_config_selectorILNS1_17partition_subalgoE4EjNS0_10empty_typeEbEEZZNS1_14partition_implILS8_4ELb0ES6_15HIP_vector_typeIjLj2EENS0_17counting_iteratorIjlEEPS9_SG_NS0_5tupleIJPjSI_NS0_16reverse_iteratorISI_EEEEENSH_IJSG_SG_SG_EEES9_SI_JZNS1_25segmented_radix_sort_implINS0_14default_configELb0EPKbPbPKlPlN2at6native12_GLOBAL__N_18offset_tEEE10hipError_tPvRmT1_PNSt15iterator_traitsIS12_E10value_typeET2_T3_PNS13_IS18_E10value_typeET4_jRbjT5_S1E_jjP12ihipStream_tbEUljE_ZNSN_ISO_Lb0ESQ_SR_ST_SU_SY_EESZ_S10_S11_S12_S16_S17_S18_S1B_S1C_jS1D_jS1E_S1E_jjS1G_bEUljE0_EEESZ_S10_S11_S18_S1C_S1E_T6_T7_T9_mT8_S1G_bDpT10_ENKUlT_T0_E_clISt17integral_constantIbLb1EES1U_EEDaS1P_S1Q_EUlS1P_E_NS1_11comp_targetILNS1_3genE5ELNS1_11target_archE942ELNS1_3gpuE9ELNS1_3repE0EEENS1_30default_config_static_selectorELNS0_4arch9wavefront6targetE1EEEvS12_,comdat
.Lfunc_end1578:
	.size	_ZN7rocprim17ROCPRIM_400000_NS6detail17trampoline_kernelINS0_13select_configILj256ELj13ELNS0_17block_load_methodE3ELS4_3ELS4_3ELNS0_20block_scan_algorithmE0ELj4294967295EEENS1_25partition_config_selectorILNS1_17partition_subalgoE4EjNS0_10empty_typeEbEEZZNS1_14partition_implILS8_4ELb0ES6_15HIP_vector_typeIjLj2EENS0_17counting_iteratorIjlEEPS9_SG_NS0_5tupleIJPjSI_NS0_16reverse_iteratorISI_EEEEENSH_IJSG_SG_SG_EEES9_SI_JZNS1_25segmented_radix_sort_implINS0_14default_configELb0EPKbPbPKlPlN2at6native12_GLOBAL__N_18offset_tEEE10hipError_tPvRmT1_PNSt15iterator_traitsIS12_E10value_typeET2_T3_PNS13_IS18_E10value_typeET4_jRbjT5_S1E_jjP12ihipStream_tbEUljE_ZNSN_ISO_Lb0ESQ_SR_ST_SU_SY_EESZ_S10_S11_S12_S16_S17_S18_S1B_S1C_jS1D_jS1E_S1E_jjS1G_bEUljE0_EEESZ_S10_S11_S18_S1C_S1E_T6_T7_T9_mT8_S1G_bDpT10_ENKUlT_T0_E_clISt17integral_constantIbLb1EES1U_EEDaS1P_S1Q_EUlS1P_E_NS1_11comp_targetILNS1_3genE5ELNS1_11target_archE942ELNS1_3gpuE9ELNS1_3repE0EEENS1_30default_config_static_selectorELNS0_4arch9wavefront6targetE1EEEvS12_, .Lfunc_end1578-_ZN7rocprim17ROCPRIM_400000_NS6detail17trampoline_kernelINS0_13select_configILj256ELj13ELNS0_17block_load_methodE3ELS4_3ELS4_3ELNS0_20block_scan_algorithmE0ELj4294967295EEENS1_25partition_config_selectorILNS1_17partition_subalgoE4EjNS0_10empty_typeEbEEZZNS1_14partition_implILS8_4ELb0ES6_15HIP_vector_typeIjLj2EENS0_17counting_iteratorIjlEEPS9_SG_NS0_5tupleIJPjSI_NS0_16reverse_iteratorISI_EEEEENSH_IJSG_SG_SG_EEES9_SI_JZNS1_25segmented_radix_sort_implINS0_14default_configELb0EPKbPbPKlPlN2at6native12_GLOBAL__N_18offset_tEEE10hipError_tPvRmT1_PNSt15iterator_traitsIS12_E10value_typeET2_T3_PNS13_IS18_E10value_typeET4_jRbjT5_S1E_jjP12ihipStream_tbEUljE_ZNSN_ISO_Lb0ESQ_SR_ST_SU_SY_EESZ_S10_S11_S12_S16_S17_S18_S1B_S1C_jS1D_jS1E_S1E_jjS1G_bEUljE0_EEESZ_S10_S11_S18_S1C_S1E_T6_T7_T9_mT8_S1G_bDpT10_ENKUlT_T0_E_clISt17integral_constantIbLb1EES1U_EEDaS1P_S1Q_EUlS1P_E_NS1_11comp_targetILNS1_3genE5ELNS1_11target_archE942ELNS1_3gpuE9ELNS1_3repE0EEENS1_30default_config_static_selectorELNS0_4arch9wavefront6targetE1EEEvS12_
                                        ; -- End function
	.section	.AMDGPU.csdata,"",@progbits
; Kernel info:
; codeLenInByte = 0
; NumSgprs: 4
; NumVgprs: 0
; NumAgprs: 0
; TotalNumVgprs: 0
; ScratchSize: 0
; MemoryBound: 0
; FloatMode: 240
; IeeeMode: 1
; LDSByteSize: 0 bytes/workgroup (compile time only)
; SGPRBlocks: 0
; VGPRBlocks: 0
; NumSGPRsForWavesPerEU: 4
; NumVGPRsForWavesPerEU: 1
; AccumOffset: 4
; Occupancy: 8
; WaveLimiterHint : 0
; COMPUTE_PGM_RSRC2:SCRATCH_EN: 0
; COMPUTE_PGM_RSRC2:USER_SGPR: 6
; COMPUTE_PGM_RSRC2:TRAP_HANDLER: 0
; COMPUTE_PGM_RSRC2:TGID_X_EN: 1
; COMPUTE_PGM_RSRC2:TGID_Y_EN: 0
; COMPUTE_PGM_RSRC2:TGID_Z_EN: 0
; COMPUTE_PGM_RSRC2:TIDIG_COMP_CNT: 0
; COMPUTE_PGM_RSRC3_GFX90A:ACCUM_OFFSET: 0
; COMPUTE_PGM_RSRC3_GFX90A:TG_SPLIT: 0
	.section	.text._ZN7rocprim17ROCPRIM_400000_NS6detail17trampoline_kernelINS0_13select_configILj256ELj13ELNS0_17block_load_methodE3ELS4_3ELS4_3ELNS0_20block_scan_algorithmE0ELj4294967295EEENS1_25partition_config_selectorILNS1_17partition_subalgoE4EjNS0_10empty_typeEbEEZZNS1_14partition_implILS8_4ELb0ES6_15HIP_vector_typeIjLj2EENS0_17counting_iteratorIjlEEPS9_SG_NS0_5tupleIJPjSI_NS0_16reverse_iteratorISI_EEEEENSH_IJSG_SG_SG_EEES9_SI_JZNS1_25segmented_radix_sort_implINS0_14default_configELb0EPKbPbPKlPlN2at6native12_GLOBAL__N_18offset_tEEE10hipError_tPvRmT1_PNSt15iterator_traitsIS12_E10value_typeET2_T3_PNS13_IS18_E10value_typeET4_jRbjT5_S1E_jjP12ihipStream_tbEUljE_ZNSN_ISO_Lb0ESQ_SR_ST_SU_SY_EESZ_S10_S11_S12_S16_S17_S18_S1B_S1C_jS1D_jS1E_S1E_jjS1G_bEUljE0_EEESZ_S10_S11_S18_S1C_S1E_T6_T7_T9_mT8_S1G_bDpT10_ENKUlT_T0_E_clISt17integral_constantIbLb1EES1U_EEDaS1P_S1Q_EUlS1P_E_NS1_11comp_targetILNS1_3genE4ELNS1_11target_archE910ELNS1_3gpuE8ELNS1_3repE0EEENS1_30default_config_static_selectorELNS0_4arch9wavefront6targetE1EEEvS12_,"axG",@progbits,_ZN7rocprim17ROCPRIM_400000_NS6detail17trampoline_kernelINS0_13select_configILj256ELj13ELNS0_17block_load_methodE3ELS4_3ELS4_3ELNS0_20block_scan_algorithmE0ELj4294967295EEENS1_25partition_config_selectorILNS1_17partition_subalgoE4EjNS0_10empty_typeEbEEZZNS1_14partition_implILS8_4ELb0ES6_15HIP_vector_typeIjLj2EENS0_17counting_iteratorIjlEEPS9_SG_NS0_5tupleIJPjSI_NS0_16reverse_iteratorISI_EEEEENSH_IJSG_SG_SG_EEES9_SI_JZNS1_25segmented_radix_sort_implINS0_14default_configELb0EPKbPbPKlPlN2at6native12_GLOBAL__N_18offset_tEEE10hipError_tPvRmT1_PNSt15iterator_traitsIS12_E10value_typeET2_T3_PNS13_IS18_E10value_typeET4_jRbjT5_S1E_jjP12ihipStream_tbEUljE_ZNSN_ISO_Lb0ESQ_SR_ST_SU_SY_EESZ_S10_S11_S12_S16_S17_S18_S1B_S1C_jS1D_jS1E_S1E_jjS1G_bEUljE0_EEESZ_S10_S11_S18_S1C_S1E_T6_T7_T9_mT8_S1G_bDpT10_ENKUlT_T0_E_clISt17integral_constantIbLb1EES1U_EEDaS1P_S1Q_EUlS1P_E_NS1_11comp_targetILNS1_3genE4ELNS1_11target_archE910ELNS1_3gpuE8ELNS1_3repE0EEENS1_30default_config_static_selectorELNS0_4arch9wavefront6targetE1EEEvS12_,comdat
	.globl	_ZN7rocprim17ROCPRIM_400000_NS6detail17trampoline_kernelINS0_13select_configILj256ELj13ELNS0_17block_load_methodE3ELS4_3ELS4_3ELNS0_20block_scan_algorithmE0ELj4294967295EEENS1_25partition_config_selectorILNS1_17partition_subalgoE4EjNS0_10empty_typeEbEEZZNS1_14partition_implILS8_4ELb0ES6_15HIP_vector_typeIjLj2EENS0_17counting_iteratorIjlEEPS9_SG_NS0_5tupleIJPjSI_NS0_16reverse_iteratorISI_EEEEENSH_IJSG_SG_SG_EEES9_SI_JZNS1_25segmented_radix_sort_implINS0_14default_configELb0EPKbPbPKlPlN2at6native12_GLOBAL__N_18offset_tEEE10hipError_tPvRmT1_PNSt15iterator_traitsIS12_E10value_typeET2_T3_PNS13_IS18_E10value_typeET4_jRbjT5_S1E_jjP12ihipStream_tbEUljE_ZNSN_ISO_Lb0ESQ_SR_ST_SU_SY_EESZ_S10_S11_S12_S16_S17_S18_S1B_S1C_jS1D_jS1E_S1E_jjS1G_bEUljE0_EEESZ_S10_S11_S18_S1C_S1E_T6_T7_T9_mT8_S1G_bDpT10_ENKUlT_T0_E_clISt17integral_constantIbLb1EES1U_EEDaS1P_S1Q_EUlS1P_E_NS1_11comp_targetILNS1_3genE4ELNS1_11target_archE910ELNS1_3gpuE8ELNS1_3repE0EEENS1_30default_config_static_selectorELNS0_4arch9wavefront6targetE1EEEvS12_ ; -- Begin function _ZN7rocprim17ROCPRIM_400000_NS6detail17trampoline_kernelINS0_13select_configILj256ELj13ELNS0_17block_load_methodE3ELS4_3ELS4_3ELNS0_20block_scan_algorithmE0ELj4294967295EEENS1_25partition_config_selectorILNS1_17partition_subalgoE4EjNS0_10empty_typeEbEEZZNS1_14partition_implILS8_4ELb0ES6_15HIP_vector_typeIjLj2EENS0_17counting_iteratorIjlEEPS9_SG_NS0_5tupleIJPjSI_NS0_16reverse_iteratorISI_EEEEENSH_IJSG_SG_SG_EEES9_SI_JZNS1_25segmented_radix_sort_implINS0_14default_configELb0EPKbPbPKlPlN2at6native12_GLOBAL__N_18offset_tEEE10hipError_tPvRmT1_PNSt15iterator_traitsIS12_E10value_typeET2_T3_PNS13_IS18_E10value_typeET4_jRbjT5_S1E_jjP12ihipStream_tbEUljE_ZNSN_ISO_Lb0ESQ_SR_ST_SU_SY_EESZ_S10_S11_S12_S16_S17_S18_S1B_S1C_jS1D_jS1E_S1E_jjS1G_bEUljE0_EEESZ_S10_S11_S18_S1C_S1E_T6_T7_T9_mT8_S1G_bDpT10_ENKUlT_T0_E_clISt17integral_constantIbLb1EES1U_EEDaS1P_S1Q_EUlS1P_E_NS1_11comp_targetILNS1_3genE4ELNS1_11target_archE910ELNS1_3gpuE8ELNS1_3repE0EEENS1_30default_config_static_selectorELNS0_4arch9wavefront6targetE1EEEvS12_
	.p2align	8
	.type	_ZN7rocprim17ROCPRIM_400000_NS6detail17trampoline_kernelINS0_13select_configILj256ELj13ELNS0_17block_load_methodE3ELS4_3ELS4_3ELNS0_20block_scan_algorithmE0ELj4294967295EEENS1_25partition_config_selectorILNS1_17partition_subalgoE4EjNS0_10empty_typeEbEEZZNS1_14partition_implILS8_4ELb0ES6_15HIP_vector_typeIjLj2EENS0_17counting_iteratorIjlEEPS9_SG_NS0_5tupleIJPjSI_NS0_16reverse_iteratorISI_EEEEENSH_IJSG_SG_SG_EEES9_SI_JZNS1_25segmented_radix_sort_implINS0_14default_configELb0EPKbPbPKlPlN2at6native12_GLOBAL__N_18offset_tEEE10hipError_tPvRmT1_PNSt15iterator_traitsIS12_E10value_typeET2_T3_PNS13_IS18_E10value_typeET4_jRbjT5_S1E_jjP12ihipStream_tbEUljE_ZNSN_ISO_Lb0ESQ_SR_ST_SU_SY_EESZ_S10_S11_S12_S16_S17_S18_S1B_S1C_jS1D_jS1E_S1E_jjS1G_bEUljE0_EEESZ_S10_S11_S18_S1C_S1E_T6_T7_T9_mT8_S1G_bDpT10_ENKUlT_T0_E_clISt17integral_constantIbLb1EES1U_EEDaS1P_S1Q_EUlS1P_E_NS1_11comp_targetILNS1_3genE4ELNS1_11target_archE910ELNS1_3gpuE8ELNS1_3repE0EEENS1_30default_config_static_selectorELNS0_4arch9wavefront6targetE1EEEvS12_,@function
_ZN7rocprim17ROCPRIM_400000_NS6detail17trampoline_kernelINS0_13select_configILj256ELj13ELNS0_17block_load_methodE3ELS4_3ELS4_3ELNS0_20block_scan_algorithmE0ELj4294967295EEENS1_25partition_config_selectorILNS1_17partition_subalgoE4EjNS0_10empty_typeEbEEZZNS1_14partition_implILS8_4ELb0ES6_15HIP_vector_typeIjLj2EENS0_17counting_iteratorIjlEEPS9_SG_NS0_5tupleIJPjSI_NS0_16reverse_iteratorISI_EEEEENSH_IJSG_SG_SG_EEES9_SI_JZNS1_25segmented_radix_sort_implINS0_14default_configELb0EPKbPbPKlPlN2at6native12_GLOBAL__N_18offset_tEEE10hipError_tPvRmT1_PNSt15iterator_traitsIS12_E10value_typeET2_T3_PNS13_IS18_E10value_typeET4_jRbjT5_S1E_jjP12ihipStream_tbEUljE_ZNSN_ISO_Lb0ESQ_SR_ST_SU_SY_EESZ_S10_S11_S12_S16_S17_S18_S1B_S1C_jS1D_jS1E_S1E_jjS1G_bEUljE0_EEESZ_S10_S11_S18_S1C_S1E_T6_T7_T9_mT8_S1G_bDpT10_ENKUlT_T0_E_clISt17integral_constantIbLb1EES1U_EEDaS1P_S1Q_EUlS1P_E_NS1_11comp_targetILNS1_3genE4ELNS1_11target_archE910ELNS1_3gpuE8ELNS1_3repE0EEENS1_30default_config_static_selectorELNS0_4arch9wavefront6targetE1EEEvS12_: ; @_ZN7rocprim17ROCPRIM_400000_NS6detail17trampoline_kernelINS0_13select_configILj256ELj13ELNS0_17block_load_methodE3ELS4_3ELS4_3ELNS0_20block_scan_algorithmE0ELj4294967295EEENS1_25partition_config_selectorILNS1_17partition_subalgoE4EjNS0_10empty_typeEbEEZZNS1_14partition_implILS8_4ELb0ES6_15HIP_vector_typeIjLj2EENS0_17counting_iteratorIjlEEPS9_SG_NS0_5tupleIJPjSI_NS0_16reverse_iteratorISI_EEEEENSH_IJSG_SG_SG_EEES9_SI_JZNS1_25segmented_radix_sort_implINS0_14default_configELb0EPKbPbPKlPlN2at6native12_GLOBAL__N_18offset_tEEE10hipError_tPvRmT1_PNSt15iterator_traitsIS12_E10value_typeET2_T3_PNS13_IS18_E10value_typeET4_jRbjT5_S1E_jjP12ihipStream_tbEUljE_ZNSN_ISO_Lb0ESQ_SR_ST_SU_SY_EESZ_S10_S11_S12_S16_S17_S18_S1B_S1C_jS1D_jS1E_S1E_jjS1G_bEUljE0_EEESZ_S10_S11_S18_S1C_S1E_T6_T7_T9_mT8_S1G_bDpT10_ENKUlT_T0_E_clISt17integral_constantIbLb1EES1U_EEDaS1P_S1Q_EUlS1P_E_NS1_11comp_targetILNS1_3genE4ELNS1_11target_archE910ELNS1_3gpuE8ELNS1_3repE0EEENS1_30default_config_static_selectorELNS0_4arch9wavefront6targetE1EEEvS12_
; %bb.0:
	s_load_dwordx2 s[48:49], s[4:5], 0x10
	s_load_dwordx4 s[44:47], s[4:5], 0x28
	s_load_dwordx2 s[34:35], s[4:5], 0x38
	s_load_dwordx4 s[28:31], s[4:5], 0x58
	s_load_dwordx2 s[2:3], s[4:5], 0x68
	s_load_dwordx2 s[50:51], s[4:5], 0x78
	;; [unrolled: 1-line block ×3, first 2 shown]
	s_load_dwordx8 s[36:43], s[4:5], 0x90
	v_cmp_eq_u32_e64 s[0:1], 0, v0
	s_and_saveexec_b64 s[6:7], s[0:1]
	s_cbranch_execz .LBB1579_4
; %bb.1:
	s_mov_b64 s[10:11], exec
	v_mbcnt_lo_u32_b32 v1, s10, 0
	v_mbcnt_hi_u32_b32 v1, s11, v1
	v_cmp_eq_u32_e32 vcc, 0, v1
                                        ; implicit-def: $vgpr2
	s_and_saveexec_b64 s[8:9], vcc
	s_cbranch_execz .LBB1579_3
; %bb.2:
	s_load_dwordx2 s[12:13], s[4:5], 0x88
	s_bcnt1_i32_b64 s10, s[10:11]
	v_mov_b32_e32 v2, 0
	v_mov_b32_e32 v3, s10
	s_waitcnt lgkmcnt(0)
	global_atomic_add v2, v2, v3, s[12:13] glc
.LBB1579_3:
	s_or_b64 exec, exec, s[8:9]
	s_waitcnt vmcnt(0)
	v_readfirstlane_b32 s8, v2
	v_add_u32_e32 v1, s8, v1
	v_mov_b32_e32 v2, 0
	ds_write_b32 v2, v1
.LBB1579_4:
	s_or_b64 exec, exec, s[6:7]
	v_mov_b32_e32 v1, 0
	s_load_dword s7, s[4:5], 0x8
	s_load_dword s6, s[4:5], 0x80
	s_waitcnt lgkmcnt(0)
	s_barrier
	ds_read_b32 v8, v1
	s_waitcnt lgkmcnt(0)
	s_barrier
	global_load_dwordx4 v[2:5], v1, s[30:31]
	v_mov_b32_e32 v7, s3
	s_movk_i32 s3, 0xd00
	s_add_i32 s8, s7, s48
	v_mul_lo_u32 v34, v8, s3
	s_add_i32 s7, s6, -1
	s_mul_i32 s3, s6, 0xd00
	s_add_u32 s4, s48, s3
	v_readfirstlane_b32 s33, v8
	s_addc_u32 s5, s49, 0
	s_cmp_eq_u32 s33, s7
	v_mov_b32_e32 v6, s2
	s_cselect_b64 s[30:31], -1, 0
	s_cmp_lg_u32 s33, s7
	v_cmp_lt_u64_e32 vcc, s[4:5], v[6:7]
	s_cselect_b64 s[4:5], -1, 0
	s_or_b64 s[4:5], vcc, s[4:5]
	v_add_u32_e32 v1, s8, v34
	s_mov_b64 s[6:7], -1
	s_and_b64 vcc, exec, s[4:5]
	v_add_u32_e32 v1, v1, v0
	s_cbranch_vccz .LBB1579_6
; %bb.5:
	v_add_u32_e32 v6, 0x100, v1
	v_lshlrev_b32_e32 v18, 2, v0
	v_add_u32_e32 v7, 0x200, v1
	v_add_u32_e32 v8, 0x300, v1
	;; [unrolled: 1-line block ×11, first 2 shown]
	ds_write2st64_b32 v18, v1, v6 offset1:4
	ds_write2st64_b32 v18, v7, v8 offset0:8 offset1:12
	ds_write2st64_b32 v18, v9, v10 offset0:16 offset1:20
	ds_write2st64_b32 v18, v11, v12 offset0:24 offset1:28
	ds_write2st64_b32 v18, v13, v14 offset0:32 offset1:36
	ds_write2st64_b32 v18, v15, v16 offset0:40 offset1:44
	ds_write_b32 v18, v17 offset:12288
	s_waitcnt lgkmcnt(0)
	s_barrier
	s_mov_b64 s[6:7], 0
.LBB1579_6:
	s_andn2_b64 vcc, exec, s[6:7]
	s_add_i32 s3, s3, s48
	s_cbranch_vccnz .LBB1579_8
; %bb.7:
	v_add_u32_e32 v6, 0x100, v1
	v_lshlrev_b32_e32 v18, 2, v0
	v_add_u32_e32 v7, 0x200, v1
	v_add_u32_e32 v8, 0x300, v1
	;; [unrolled: 1-line block ×11, first 2 shown]
	ds_write2st64_b32 v18, v1, v6 offset1:4
	ds_write2st64_b32 v18, v7, v8 offset0:8 offset1:12
	ds_write2st64_b32 v18, v9, v10 offset0:16 offset1:20
	;; [unrolled: 1-line block ×5, first 2 shown]
	ds_write_b32 v18, v17 offset:12288
	s_waitcnt lgkmcnt(0)
	s_barrier
.LBB1579_8:
	v_mul_u32_u24_e32 v36, 13, v0
	v_lshlrev_b32_e32 v1, 2, v36
	ds_read2_b32 v[22:23], v1 offset1:1
	ds_read2_b32 v[20:21], v1 offset0:2 offset1:3
	ds_read2_b32 v[18:19], v1 offset0:4 offset1:5
	;; [unrolled: 1-line block ×5, first 2 shown]
	ds_read_b32 v35, v1 offset:48
	v_cndmask_b32_e64 v1, 0, 1, s[4:5]
	s_sub_i32 s86, s2, s3
	v_cmp_ne_u32_e64 s[2:3], 1, v1
	s_andn2_b64 vcc, exec, s[4:5]
	s_waitcnt lgkmcnt(0)
	s_barrier
	s_cbranch_vccnz .LBB1579_36
; %bb.9:
	v_add_u32_e32 v1, s37, v22
	v_add_u32_e32 v6, s39, v22
	v_mul_lo_u32 v1, v1, s36
	v_mul_lo_u32 v6, v6, s38
	v_sub_u32_e32 v1, v1, v6
	v_cmp_lt_u32_e32 vcc, s40, v1
	v_cmp_ge_u32_e64 s[4:5], s40, v1
	s_mov_b64 s[60:61], 0
	s_mov_b64 s[58:59], 0
	s_and_saveexec_b64 s[6:7], s[4:5]
; %bb.10:
	v_add_u32_e32 v1, s42, v22
	v_add_u32_e32 v6, s56, v22
	v_mul_lo_u32 v1, v1, s41
	v_mul_lo_u32 v6, v6, s43
	v_sub_u32_e32 v1, v1, v6
	v_cmp_lt_u32_e64 s[4:5], s57, v1
	s_and_b64 s[58:59], s[4:5], exec
; %bb.11:
	s_or_b64 exec, exec, s[6:7]
	v_add_u32_e32 v1, s37, v23
	v_add_u32_e32 v6, s39, v23
	v_mul_lo_u32 v1, v1, s36
	v_mul_lo_u32 v6, v6, s38
	v_sub_u32_e32 v1, v1, v6
	v_cmp_lt_u32_e64 s[4:5], s40, v1
	v_cmp_ge_u32_e64 s[6:7], s40, v1
	s_and_saveexec_b64 s[8:9], s[6:7]
; %bb.12:
	v_add_u32_e32 v1, s42, v23
	v_add_u32_e32 v6, s56, v23
	v_mul_lo_u32 v1, v1, s41
	v_mul_lo_u32 v6, v6, s43
	v_sub_u32_e32 v1, v1, v6
	v_cmp_lt_u32_e64 s[6:7], s57, v1
	s_and_b64 s[60:61], s[6:7], exec
; %bb.13:
	s_or_b64 exec, exec, s[8:9]
	v_add_u32_e32 v1, s37, v20
	v_add_u32_e32 v6, s39, v20
	v_mul_lo_u32 v1, v1, s36
	v_mul_lo_u32 v6, v6, s38
	v_sub_u32_e32 v1, v1, v6
	v_cmp_lt_u32_e64 s[6:7], s40, v1
	v_cmp_ge_u32_e64 s[8:9], s40, v1
	s_mov_b64 s[64:65], 0
	s_mov_b64 s[62:63], 0
	s_and_saveexec_b64 s[10:11], s[8:9]
; %bb.14:
	v_add_u32_e32 v1, s42, v20
	v_add_u32_e32 v6, s56, v20
	v_mul_lo_u32 v1, v1, s41
	v_mul_lo_u32 v6, v6, s43
	v_sub_u32_e32 v1, v1, v6
	v_cmp_lt_u32_e64 s[8:9], s57, v1
	s_and_b64 s[62:63], s[8:9], exec
; %bb.15:
	s_or_b64 exec, exec, s[10:11]
	v_add_u32_e32 v1, s37, v21
	v_add_u32_e32 v6, s39, v21
	v_mul_lo_u32 v1, v1, s36
	v_mul_lo_u32 v6, v6, s38
	v_sub_u32_e32 v1, v1, v6
	v_cmp_lt_u32_e64 s[8:9], s40, v1
	v_cmp_ge_u32_e64 s[10:11], s40, v1
	s_and_saveexec_b64 s[12:13], s[10:11]
; %bb.16:
	v_add_u32_e32 v1, s42, v21
	v_add_u32_e32 v6, s56, v21
	v_mul_lo_u32 v1, v1, s41
	v_mul_lo_u32 v6, v6, s43
	v_sub_u32_e32 v1, v1, v6
	v_cmp_lt_u32_e64 s[10:11], s57, v1
	s_and_b64 s[64:65], s[10:11], exec
; %bb.17:
	s_or_b64 exec, exec, s[12:13]
	v_add_u32_e32 v1, s37, v18
	v_add_u32_e32 v6, s39, v18
	v_mul_lo_u32 v1, v1, s36
	v_mul_lo_u32 v6, v6, s38
	v_sub_u32_e32 v1, v1, v6
	v_cmp_lt_u32_e64 s[10:11], s40, v1
	;; [unrolled: 38-line block ×5, first 2 shown]
	v_cmp_ge_u32_e64 s[24:25], s40, v1
	s_mov_b64 s[80:81], 0
	s_mov_b64 s[82:83], 0
	s_and_saveexec_b64 s[26:27], s[24:25]
; %bb.30:
	v_add_u32_e32 v1, s42, v12
	v_add_u32_e32 v6, s56, v12
	v_mul_lo_u32 v1, v1, s41
	v_mul_lo_u32 v6, v6, s43
	v_sub_u32_e32 v1, v1, v6
	v_cmp_lt_u32_e64 s[24:25], s57, v1
	s_and_b64 s[82:83], s[24:25], exec
; %bb.31:
	s_or_b64 exec, exec, s[26:27]
	v_add_u32_e32 v1, s37, v13
	v_add_u32_e32 v6, s39, v13
	v_mul_lo_u32 v1, v1, s36
	v_mul_lo_u32 v6, v6, s38
	v_sub_u32_e32 v1, v1, v6
	v_cmp_lt_u32_e64 s[24:25], s40, v1
	v_cmp_ge_u32_e64 s[26:27], s40, v1
	s_and_saveexec_b64 s[52:53], s[26:27]
; %bb.32:
	v_add_u32_e32 v1, s42, v13
	v_add_u32_e32 v6, s56, v13
	v_mul_lo_u32 v1, v1, s41
	v_mul_lo_u32 v6, v6, s43
	v_sub_u32_e32 v1, v1, v6
	v_cmp_lt_u32_e64 s[26:27], s57, v1
	s_and_b64 s[80:81], s[26:27], exec
; %bb.33:
	s_or_b64 exec, exec, s[52:53]
	v_add_u32_e32 v1, s37, v35
	v_add_u32_e32 v6, s39, v35
	v_mul_lo_u32 v1, v1, s36
	v_mul_lo_u32 v6, v6, s38
	v_sub_u32_e32 v1, v1, v6
	v_cmp_ge_u32_e64 s[26:27], s40, v1
	s_mov_b64 s[52:53], -1
	s_mov_b64 s[74:75], 0
	s_mov_b64 s[54:55], 0
	s_and_saveexec_b64 s[84:85], s[26:27]
; %bb.34:
	v_add_u32_e32 v1, s42, v35
	v_add_u32_e32 v6, s56, v35
	v_mul_lo_u32 v1, v1, s41
	v_mul_lo_u32 v6, v6, s43
	v_sub_u32_e32 v1, v1, v6
	v_cmp_lt_u32_e64 s[26:27], s57, v1
	s_and_b64 s[54:55], s[26:27], exec
	s_xor_b64 s[52:53], exec, -1
; %bb.35:
	s_or_b64 exec, exec, s[84:85]
	v_cndmask_b32_e64 v57, 0, 1, s[82:83]
	v_cndmask_b32_e64 v60, 0, 1, s[24:25]
	;; [unrolled: 1-line block ×22, first 2 shown]
	v_cndmask_b32_e64 v37, 0, 1, vcc
	v_cndmask_b32_e64 v59, 0, 1, s[80:81]
	s_add_i32 s16, s86, 0xd00
	s_and_b64 vcc, exec, s[74:75]
	s_cbranch_vccnz .LBB1579_37
	s_branch .LBB1579_90
.LBB1579_36:
                                        ; implicit-def: $sgpr52_sgpr53
                                        ; implicit-def: $sgpr54_sgpr55
                                        ; implicit-def: $vgpr59
                                        ; implicit-def: $vgpr57
                                        ; implicit-def: $vgpr55
                                        ; implicit-def: $vgpr53
                                        ; implicit-def: $vgpr51
                                        ; implicit-def: $vgpr49
                                        ; implicit-def: $vgpr47
                                        ; implicit-def: $vgpr45
                                        ; implicit-def: $vgpr43
                                        ; implicit-def: $vgpr37
                                        ; implicit-def: $vgpr39
                                        ; implicit-def: $vgpr41
                                        ; implicit-def: $vgpr44
                                        ; implicit-def: $vgpr46
                                        ; implicit-def: $vgpr48
                                        ; implicit-def: $vgpr50
                                        ; implicit-def: $vgpr52
                                        ; implicit-def: $vgpr54
                                        ; implicit-def: $vgpr56
                                        ; implicit-def: $vgpr58
                                        ; implicit-def: $vgpr60
                                        ; implicit-def: $vgpr38
                                        ; implicit-def: $vgpr40
                                        ; implicit-def: $vgpr42
	s_add_i32 s16, s86, 0xd00
	s_cbranch_execz .LBB1579_90
.LBB1579_37:
	v_cmp_gt_u32_e32 vcc, s16, v36
	v_mov_b32_e32 v38, 0
	v_mov_b32_e32 v37, 0
	s_and_saveexec_b64 s[6:7], vcc
	s_cbranch_execz .LBB1579_41
; %bb.38:
	v_add_u32_e32 v1, s37, v22
	v_add_u32_e32 v6, s39, v22
	v_mul_lo_u32 v1, v1, s36
	v_mul_lo_u32 v6, v6, s38
	v_sub_u32_e32 v1, v1, v6
	v_cmp_lt_u32_e32 vcc, s40, v1
	v_cmp_ge_u32_e64 s[4:5], s40, v1
	s_mov_b64 s[10:11], 0
	s_and_saveexec_b64 s[8:9], s[4:5]
; %bb.39:
	v_add_u32_e32 v1, s42, v22
	v_add_u32_e32 v6, s56, v22
	v_mul_lo_u32 v1, v1, s41
	v_mul_lo_u32 v6, v6, s43
	v_sub_u32_e32 v1, v1, v6
	v_cmp_lt_u32_e64 s[4:5], s57, v1
	s_and_b64 s[10:11], s[4:5], exec
; %bb.40:
	s_or_b64 exec, exec, s[8:9]
	v_cndmask_b32_e64 v37, 0, 1, vcc
	v_cndmask_b32_e64 v38, 0, 1, s[10:11]
.LBB1579_41:
	s_or_b64 exec, exec, s[6:7]
	v_add_u32_e32 v1, 1, v36
	v_cmp_gt_u32_e32 vcc, s16, v1
	v_mov_b32_e32 v39, 0
	v_mov_b32_e32 v40, 0
	s_and_saveexec_b64 s[6:7], vcc
	s_cbranch_execz .LBB1579_45
; %bb.42:
	v_add_u32_e32 v1, s37, v23
	v_add_u32_e32 v6, s39, v23
	v_mul_lo_u32 v1, v1, s36
	v_mul_lo_u32 v6, v6, s38
	v_sub_u32_e32 v1, v1, v6
	v_cmp_lt_u32_e32 vcc, s40, v1
	v_cmp_ge_u32_e64 s[4:5], s40, v1
	s_mov_b64 s[10:11], 0
	s_and_saveexec_b64 s[8:9], s[4:5]
; %bb.43:
	v_add_u32_e32 v1, s42, v23
	v_add_u32_e32 v6, s56, v23
	v_mul_lo_u32 v1, v1, s41
	v_mul_lo_u32 v6, v6, s43
	v_sub_u32_e32 v1, v1, v6
	v_cmp_lt_u32_e64 s[4:5], s57, v1
	s_and_b64 s[10:11], s[4:5], exec
; %bb.44:
	s_or_b64 exec, exec, s[8:9]
	v_cndmask_b32_e64 v39, 0, 1, vcc
	v_cndmask_b32_e64 v40, 0, 1, s[10:11]
.LBB1579_45:
	s_or_b64 exec, exec, s[6:7]
	v_add_u32_e32 v1, 2, v36
	;; [unrolled: 30-line block ×12, first 2 shown]
	v_cmp_gt_u32_e32 vcc, s16, v1
	s_mov_b64 s[52:53], 0
	s_mov_b64 s[54:55], 0
	s_and_saveexec_b64 s[4:5], vcc
	s_cbranch_execz .LBB1579_89
; %bb.86:
	v_add_u32_e32 v1, s37, v35
	v_add_u32_e32 v6, s39, v35
	v_mul_lo_u32 v1, v1, s36
	v_mul_lo_u32 v6, v6, s38
	v_sub_u32_e32 v1, v1, v6
	v_cmp_ge_u32_e32 vcc, s40, v1
	s_mov_b64 s[8:9], -1
	s_mov_b64 s[10:11], 0
	s_and_saveexec_b64 s[6:7], vcc
; %bb.87:
	v_add_u32_e32 v1, s42, v35
	v_add_u32_e32 v6, s56, v35
	v_mul_lo_u32 v1, v1, s41
	v_mul_lo_u32 v6, v6, s43
	v_sub_u32_e32 v1, v1, v6
	v_cmp_lt_u32_e32 vcc, s57, v1
	s_and_b64 s[10:11], vcc, exec
	s_xor_b64 s[8:9], exec, -1
; %bb.88:
	s_or_b64 exec, exec, s[6:7]
	s_and_b64 s[54:55], s[10:11], exec
	s_and_b64 s[52:53], s[8:9], exec
.LBB1579_89:
	s_or_b64 exec, exec, s[4:5]
.LBB1579_90:
	v_and_b32_e32 v68, 0xff, v38
	v_and_b32_e32 v79, 0xff, v40
	;; [unrolled: 1-line block ×5, first 2 shown]
	v_add3_u32 v6, v79, v70, v68
	v_and_b32_e32 v81, 0xff, v47
	v_and_b32_e32 v74, 0xff, v49
	v_add3_u32 v6, v6, v80, v72
	v_and_b32_e32 v67, 0xff, v37
	v_and_b32_e32 v61, 0xff, v39
	;; [unrolled: 1-line block ×5, first 2 shown]
	v_add3_u32 v6, v6, v81, v74
	v_and_b32_e32 v62, 0xff, v44
	v_and_b32_e32 v71, 0xff, v46
	;; [unrolled: 1-line block ×4, first 2 shown]
	v_add3_u32 v7, v61, v69, v67
	v_add3_u32 v6, v6, v82, v76
	v_and_b32_e32 v63, 0xff, v48
	v_and_b32_e32 v73, 0xff, v50
	;; [unrolled: 1-line block ×3, first 2 shown]
	v_cndmask_b32_e64 v1, 0, 1, s[54:55]
	v_add3_u32 v7, v7, v62, v71
	v_add3_u32 v6, v6, v83, v78
	v_and_b32_e32 v64, 0xff, v52
	v_and_b32_e32 v75, 0xff, v54
	v_add3_u32 v7, v7, v63, v73
	v_add3_u32 v91, v6, v84, v1
	v_mbcnt_lo_u32_b32 v1, -1, 0
	v_and_b32_e32 v65, 0xff, v56
	v_and_b32_e32 v77, 0xff, v58
	v_add3_u32 v7, v7, v64, v75
	v_mbcnt_hi_u32_b32 v85, -1, v1
	v_and_b32_e32 v66, 0xff, v60
	v_add3_u32 v7, v7, v65, v77
	v_cndmask_b32_e64 v8, 0, 1, s[52:53]
	v_and_b32_e32 v89, 15, v85
	s_cmp_lg_u32 s33, 0
	v_add3_u32 v90, v7, v66, v8
	v_cmp_eq_u32_e64 s[6:7], 0, v89
	v_cmp_lt_u32_e64 s[4:5], 1, v89
	v_cmp_lt_u32_e64 s[10:11], 3, v89
	v_cmp_lt_u32_e64 s[8:9], 7, v89
	v_and_b32_e32 v88, 16, v85
	v_cmp_lt_u32_e32 vcc, 31, v85
	v_lshrrev_b32_e32 v86, 6, v0
	v_or_b32_e32 v87, 63, v0
	s_cbranch_scc0 .LBB1579_123
; %bb.91:
	v_mov_b32_dpp v1, v90 row_shr:1 row_mask:0xf bank_mask:0xf
	v_mov_b32_dpp v6, v91 row_shr:1 row_mask:0xf bank_mask:0xf
	v_add_u32_e32 v1, v1, v90
	v_add_u32_e32 v6, v6, v91
	v_cndmask_b32_e64 v6, v6, v91, s[6:7]
	v_cndmask_b32_e64 v1, v1, v90, s[6:7]
	s_nop 0
	v_mov_b32_dpp v8, v6 row_shr:2 row_mask:0xf bank_mask:0xf
	v_mov_b32_dpp v7, v1 row_shr:2 row_mask:0xf bank_mask:0xf
	v_add_u32_e32 v7, v1, v7
	v_add_u32_e32 v8, v6, v8
	v_cndmask_b32_e64 v6, v6, v8, s[4:5]
	v_cndmask_b32_e64 v1, v1, v7, s[4:5]
	s_nop 0
	;; [unrolled: 7-line block ×3, first 2 shown]
	v_mov_b32_dpp v8, v6 row_shr:8 row_mask:0xf bank_mask:0xf
	v_mov_b32_dpp v7, v1 row_shr:8 row_mask:0xf bank_mask:0xf
	v_add_u32_e32 v7, v1, v7
	v_add_u32_e32 v8, v6, v8
	v_cndmask_b32_e64 v6, v6, v8, s[8:9]
	v_cndmask_b32_e64 v1, v1, v7, s[8:9]
	v_cmp_eq_u32_e64 s[8:9], 0, v88
	v_mov_b32_dpp v8, v6 row_bcast:15 row_mask:0xf bank_mask:0xf
	v_mov_b32_dpp v7, v1 row_bcast:15 row_mask:0xf bank_mask:0xf
	v_add_u32_e32 v7, v1, v7
	v_add_u32_e32 v8, v6, v8
	v_cndmask_b32_e64 v6, v8, v6, s[8:9]
	v_cndmask_b32_e64 v1, v7, v1, s[8:9]
	s_nop 0
	v_mov_b32_dpp v8, v6 row_bcast:31 row_mask:0xf bank_mask:0xf
	v_mov_b32_dpp v7, v1 row_bcast:31 row_mask:0xf bank_mask:0xf
	v_add_u32_e32 v8, v6, v8
	v_add_u32_e32 v9, v1, v7
	v_cndmask_b32_e32 v7, v6, v8, vcc
	v_cndmask_b32_e32 v6, v1, v9, vcc
	v_cmp_eq_u32_e32 vcc, v87, v0
	s_and_saveexec_b64 s[8:9], vcc
	s_cbranch_execz .LBB1579_93
; %bb.92:
	v_lshlrev_b32_e32 v1, 3, v86
	ds_write_b64 v1, v[6:7]
.LBB1579_93:
	s_or_b64 exec, exec, s[8:9]
	v_cmp_gt_u32_e32 vcc, 4, v0
	s_waitcnt lgkmcnt(0)
	s_barrier
	s_and_saveexec_b64 s[8:9], vcc
	s_cbranch_execz .LBB1579_95
; %bb.94:
	v_lshlrev_b32_e32 v1, 3, v0
	ds_read_b64 v[8:9], v1
	v_and_b32_e32 v10, 3, v85
	v_cmp_eq_u32_e32 vcc, 0, v10
	s_waitcnt lgkmcnt(0)
	v_mov_b32_dpp v11, v8 row_shr:1 row_mask:0xf bank_mask:0xf
	v_mov_b32_dpp v24, v9 row_shr:1 row_mask:0xf bank_mask:0xf
	v_add_u32_e32 v11, v11, v8
	v_add_u32_e32 v24, v24, v9
	v_cndmask_b32_e32 v9, v24, v9, vcc
	v_cndmask_b32_e32 v8, v11, v8, vcc
	v_cmp_lt_u32_e32 vcc, 1, v10
	v_mov_b32_dpp v24, v9 row_shr:2 row_mask:0xf bank_mask:0xf
	v_mov_b32_dpp v11, v8 row_shr:2 row_mask:0xf bank_mask:0xf
	v_cndmask_b32_e32 v10, 0, v11, vcc
	v_cndmask_b32_e32 v11, 0, v24, vcc
	v_add_u32_e32 v9, v11, v9
	v_add_u32_e32 v8, v10, v8
	ds_write_b64 v1, v[8:9]
.LBB1579_95:
	s_or_b64 exec, exec, s[8:9]
	v_cmp_gt_u32_e32 vcc, 64, v0
	v_cmp_lt_u32_e64 s[8:9], 63, v0
	s_waitcnt lgkmcnt(0)
	s_barrier
	s_waitcnt lgkmcnt(0)
                                        ; implicit-def: $vgpr25
	s_and_saveexec_b64 s[10:11], s[8:9]
	s_xor_b64 s[8:9], exec, s[10:11]
	s_cbranch_execz .LBB1579_97
; %bb.96:
	v_lshl_add_u32 v1, v86, 3, -8
	ds_read_b64 v[24:25], v1
	s_waitcnt lgkmcnt(0)
	v_add_u32_e32 v7, v25, v7
	v_add_u32_e32 v6, v24, v6
.LBB1579_97:
	s_andn2_saveexec_b64 s[8:9], s[8:9]
; %bb.98:
                                        ; implicit-def: $vgpr24
; %bb.99:
	s_or_b64 exec, exec, s[8:9]
	v_add_u32_e32 v1, -1, v85
	v_and_b32_e32 v8, 64, v85
	v_cmp_lt_i32_e64 s[8:9], v1, v8
	v_cndmask_b32_e64 v1, v1, v85, s[8:9]
	v_lshlrev_b32_e32 v8, 2, v1
	ds_bpermute_b32 v1, v8, v6
	ds_bpermute_b32 v92, v8, v7
	v_cmp_eq_u32_e64 s[8:9], 0, v85
	s_and_saveexec_b64 s[10:11], vcc
	s_cbranch_execz .LBB1579_122
; %bb.100:
	v_mov_b32_e32 v11, 0
	ds_read_b64 v[26:27], v11 offset:24
	s_and_saveexec_b64 s[12:13], s[8:9]
	s_cbranch_execz .LBB1579_102
; %bb.101:
	s_add_i32 s14, s33, 64
	s_mov_b32 s15, 0
	s_lshl_b64 s[14:15], s[14:15], 4
	s_waitcnt lgkmcnt(0)
	v_and_b32_e32 v6, 0xff000000, v27
	v_and_b32_e32 v7, 0xff0000, v27
	s_add_u32 s14, s50, s14
	v_or_b32_e32 v6, v7, v6
	v_and_b32_e32 v7, 0xff00, v27
	s_addc_u32 s15, s51, s15
	v_or_b32_e32 v6, v6, v7
	v_or_b32_sdwa v9, v6, v27 dst_sel:DWORD dst_unused:UNUSED_PAD src0_sel:DWORD src1_sel:BYTE_0
	v_mov_b32_e32 v10, 1
	v_mov_b32_e32 v8, v26
	v_pk_mov_b32 v[6:7], s[14:15], s[14:15] op_sel:[0,1]
	;;#ASMSTART
	global_store_dwordx4 v[6:7], v[8:11] off	
s_waitcnt vmcnt(0)
	;;#ASMEND
.LBB1579_102:
	s_or_b64 exec, exec, s[12:13]
	v_xad_u32 v28, v85, -1, s33
	v_add_u32_e32 v10, 64, v28
	v_lshlrev_b64 v[6:7], 4, v[10:11]
	v_mov_b32_e32 v8, s51
	v_add_co_u32_e32 v30, vcc, s50, v6
	v_addc_co_u32_e32 v31, vcc, v8, v7, vcc
	;;#ASMSTART
	global_load_dwordx4 v[6:9], v[30:31] off glc	
s_waitcnt vmcnt(0)
	;;#ASMEND
	v_and_b32_e32 v9, 0xff, v7
	v_and_b32_e32 v10, 0xff00, v7
	v_or3_b32 v9, 0, v9, v10
	v_or3_b32 v6, v6, 0, 0
	v_and_b32_e32 v10, 0xff000000, v7
	v_and_b32_e32 v7, 0xff0000, v7
	v_or3_b32 v7, v9, v7, v10
	v_or3_b32 v6, v6, 0, 0
	v_cmp_eq_u16_sdwa s[14:15], v8, v11 src0_sel:BYTE_0 src1_sel:DWORD
	s_and_saveexec_b64 s[12:13], s[14:15]
	s_cbranch_execz .LBB1579_108
; %bb.103:
	s_mov_b32 s17, 1
	s_mov_b64 s[14:15], 0
	v_mov_b32_e32 v10, 0
.LBB1579_104:                           ; =>This Loop Header: Depth=1
                                        ;     Child Loop BB1579_105 Depth 2
	s_max_u32 s18, s17, 1
.LBB1579_105:                           ;   Parent Loop BB1579_104 Depth=1
                                        ; =>  This Inner Loop Header: Depth=2
	s_add_i32 s18, s18, -1
	s_cmp_eq_u32 s18, 0
	s_sleep 1
	s_cbranch_scc0 .LBB1579_105
; %bb.106:                              ;   in Loop: Header=BB1579_104 Depth=1
	s_cmp_lt_u32 s17, 32
	s_cselect_b64 s[18:19], -1, 0
	s_cmp_lg_u64 s[18:19], 0
	s_addc_u32 s17, s17, 0
	;;#ASMSTART
	global_load_dwordx4 v[6:9], v[30:31] off glc	
s_waitcnt vmcnt(0)
	;;#ASMEND
	v_cmp_ne_u16_sdwa s[18:19], v8, v10 src0_sel:BYTE_0 src1_sel:DWORD
	s_or_b64 s[14:15], s[18:19], s[14:15]
	s_andn2_b64 exec, exec, s[14:15]
	s_cbranch_execnz .LBB1579_104
; %bb.107:
	s_or_b64 exec, exec, s[14:15]
.LBB1579_108:
	s_or_b64 exec, exec, s[12:13]
	v_and_b32_e32 v94, 63, v85
	v_cmp_ne_u32_e32 vcc, 63, v94
	v_mov_b32_e32 v93, 2
	v_addc_co_u32_e32 v30, vcc, 0, v85, vcc
	v_cmp_eq_u16_sdwa s[12:13], v8, v93 src0_sel:BYTE_0 src1_sel:DWORD
	v_lshlrev_b64 v[10:11], v85, -1
	v_lshlrev_b32_e32 v95, 2, v30
	v_and_b32_e32 v9, s13, v11
	ds_bpermute_b32 v30, v95, v6
	ds_bpermute_b32 v31, v95, v7
	v_or_b32_e32 v9, 0x80000000, v9
	v_and_b32_e32 v29, s12, v10
	v_ffbl_b32_e32 v9, v9
	v_add_u32_e32 v9, 32, v9
	v_ffbl_b32_e32 v29, v29
	v_min_u32_e32 v9, v29, v9
	s_waitcnt lgkmcnt(1)
	v_add_u32_e32 v29, v30, v6
	s_waitcnt lgkmcnt(0)
	v_add_u32_e32 v30, v31, v7
	v_cmp_lt_u32_e32 vcc, v94, v9
	v_cndmask_b32_e32 v7, v7, v30, vcc
	v_cndmask_b32_e32 v6, v6, v29, vcc
	v_cmp_gt_u32_e32 vcc, 62, v94
	v_cndmask_b32_e64 v29, 0, 1, vcc
	v_lshlrev_b32_e32 v29, 1, v29
	v_add_lshl_u32 v96, v29, v85, 2
	ds_bpermute_b32 v29, v96, v6
	ds_bpermute_b32 v30, v96, v7
	v_add_u32_e32 v97, 2, v94
	v_cmp_gt_u32_e32 vcc, v97, v9
	v_add_u32_e32 v99, 4, v94
	s_waitcnt lgkmcnt(1)
	v_add_u32_e32 v29, v6, v29
	s_waitcnt lgkmcnt(0)
	v_add_u32_e32 v30, v7, v30
	v_cndmask_b32_e32 v7, v30, v7, vcc
	v_cndmask_b32_e32 v6, v29, v6, vcc
	v_cmp_gt_u32_e32 vcc, 60, v94
	v_cndmask_b32_e64 v29, 0, 1, vcc
	v_lshlrev_b32_e32 v29, 2, v29
	v_add_lshl_u32 v98, v29, v85, 2
	ds_bpermute_b32 v29, v98, v6
	ds_bpermute_b32 v30, v98, v7
	v_cmp_gt_u32_e32 vcc, v99, v9
	v_add_u32_e32 v101, 8, v94
	v_add_u32_e32 v103, 16, v94
	s_waitcnt lgkmcnt(1)
	v_add_u32_e32 v29, v6, v29
	s_waitcnt lgkmcnt(0)
	v_add_u32_e32 v30, v7, v30
	v_cndmask_b32_e32 v7, v30, v7, vcc
	v_cndmask_b32_e32 v6, v29, v6, vcc
	v_cmp_gt_u32_e32 vcc, 56, v94
	v_cndmask_b32_e64 v29, 0, 1, vcc
	v_lshlrev_b32_e32 v29, 3, v29
	v_add_lshl_u32 v100, v29, v85, 2
	ds_bpermute_b32 v29, v100, v6
	ds_bpermute_b32 v30, v100, v7
	v_cmp_gt_u32_e32 vcc, v101, v9
	v_add_u32_e32 v105, 32, v94
	s_waitcnt lgkmcnt(1)
	v_add_u32_e32 v29, v6, v29
	s_waitcnt lgkmcnt(0)
	v_add_u32_e32 v30, v7, v30
	v_cndmask_b32_e32 v7, v30, v7, vcc
	v_cndmask_b32_e32 v6, v29, v6, vcc
	v_cmp_gt_u32_e32 vcc, 48, v94
	v_cndmask_b32_e64 v29, 0, 1, vcc
	v_lshlrev_b32_e32 v29, 4, v29
	v_add_lshl_u32 v102, v29, v85, 2
	ds_bpermute_b32 v29, v102, v6
	ds_bpermute_b32 v30, v102, v7
	v_cmp_gt_u32_e32 vcc, v103, v9
	s_waitcnt lgkmcnt(1)
	v_add_u32_e32 v29, v6, v29
	s_waitcnt lgkmcnt(0)
	v_add_u32_e32 v30, v7, v30
	v_cndmask_b32_e32 v7, v30, v7, vcc
	v_cndmask_b32_e32 v6, v29, v6, vcc
	v_cmp_gt_u32_e32 vcc, 32, v94
	v_cndmask_b32_e64 v29, 0, 1, vcc
	v_lshlrev_b32_e32 v29, 5, v29
	v_add_lshl_u32 v104, v29, v85, 2
	ds_bpermute_b32 v29, v104, v6
	ds_bpermute_b32 v30, v104, v7
	v_cmp_le_u32_e32 vcc, v105, v9
	s_waitcnt lgkmcnt(1)
	v_cndmask_b32_e32 v9, 0, v29, vcc
	s_waitcnt lgkmcnt(0)
	v_cndmask_b32_e32 v29, 0, v30, vcc
	v_add_u32_e32 v7, v7, v29
	v_add_u32_e32 v6, v6, v9
	v_mov_b32_e32 v29, 0
	s_branch .LBB1579_110
.LBB1579_109:                           ;   in Loop: Header=BB1579_110 Depth=1
	s_or_b64 exec, exec, s[12:13]
	v_cmp_eq_u16_sdwa s[12:13], v8, v93 src0_sel:BYTE_0 src1_sel:DWORD
	v_and_b32_e32 v9, s13, v11
	ds_bpermute_b32 v33, v95, v6
	ds_bpermute_b32 v106, v95, v7
	v_or_b32_e32 v9, 0x80000000, v9
	v_and_b32_e32 v32, s12, v10
	v_ffbl_b32_e32 v9, v9
	v_add_u32_e32 v9, 32, v9
	v_ffbl_b32_e32 v32, v32
	v_min_u32_e32 v9, v32, v9
	s_waitcnt lgkmcnt(1)
	v_add_u32_e32 v32, v33, v6
	s_waitcnt lgkmcnt(0)
	v_add_u32_e32 v33, v106, v7
	v_cmp_lt_u32_e32 vcc, v94, v9
	v_cndmask_b32_e32 v7, v7, v33, vcc
	v_cndmask_b32_e32 v6, v6, v32, vcc
	ds_bpermute_b32 v32, v96, v6
	ds_bpermute_b32 v33, v96, v7
	v_cmp_gt_u32_e32 vcc, v97, v9
	v_subrev_u32_e32 v28, 64, v28
	s_waitcnt lgkmcnt(1)
	v_add_u32_e32 v32, v6, v32
	s_waitcnt lgkmcnt(0)
	v_add_u32_e32 v33, v7, v33
	v_cndmask_b32_e32 v7, v33, v7, vcc
	v_cndmask_b32_e32 v6, v32, v6, vcc
	ds_bpermute_b32 v32, v98, v6
	ds_bpermute_b32 v33, v98, v7
	v_cmp_gt_u32_e32 vcc, v99, v9
	s_waitcnt lgkmcnt(1)
	v_add_u32_e32 v32, v6, v32
	s_waitcnt lgkmcnt(0)
	v_add_u32_e32 v33, v7, v33
	v_cndmask_b32_e32 v7, v33, v7, vcc
	v_cndmask_b32_e32 v6, v32, v6, vcc
	ds_bpermute_b32 v32, v100, v6
	ds_bpermute_b32 v33, v100, v7
	v_cmp_gt_u32_e32 vcc, v101, v9
	;; [unrolled: 9-line block ×3, first 2 shown]
	s_waitcnt lgkmcnt(1)
	v_add_u32_e32 v32, v6, v32
	s_waitcnt lgkmcnt(0)
	v_add_u32_e32 v33, v7, v33
	v_cndmask_b32_e32 v7, v33, v7, vcc
	v_cndmask_b32_e32 v6, v32, v6, vcc
	ds_bpermute_b32 v32, v104, v6
	ds_bpermute_b32 v33, v104, v7
	v_cmp_le_u32_e32 vcc, v105, v9
	s_waitcnt lgkmcnt(1)
	v_cndmask_b32_e32 v9, 0, v32, vcc
	s_waitcnt lgkmcnt(0)
	v_cndmask_b32_e32 v32, 0, v33, vcc
	v_add3_u32 v7, v32, v31, v7
	v_add3_u32 v6, v9, v30, v6
.LBB1579_110:                           ; =>This Loop Header: Depth=1
                                        ;     Child Loop BB1579_113 Depth 2
                                        ;       Child Loop BB1579_114 Depth 3
	v_cmp_ne_u16_sdwa s[12:13], v8, v93 src0_sel:BYTE_0 src1_sel:DWORD
	v_cndmask_b32_e64 v8, 0, 1, s[12:13]
	;;#ASMSTART
	;;#ASMEND
	v_cmp_ne_u32_e32 vcc, 0, v8
	s_cmp_lg_u64 vcc, exec
	v_pk_mov_b32 v[30:31], v[6:7], v[6:7] op_sel:[0,1]
	s_cbranch_scc1 .LBB1579_117
; %bb.111:                              ;   in Loop: Header=BB1579_110 Depth=1
	v_lshlrev_b64 v[6:7], 4, v[28:29]
	v_mov_b32_e32 v8, s51
	v_add_co_u32_e32 v32, vcc, s50, v6
	v_addc_co_u32_e32 v33, vcc, v8, v7, vcc
	;;#ASMSTART
	global_load_dwordx4 v[6:9], v[32:33] off glc	
s_waitcnt vmcnt(0)
	;;#ASMEND
	v_and_b32_e32 v9, 0xff, v7
	v_and_b32_e32 v106, 0xff00, v7
	v_or3_b32 v9, 0, v9, v106
	v_or3_b32 v6, v6, 0, 0
	v_and_b32_e32 v106, 0xff000000, v7
	v_and_b32_e32 v7, 0xff0000, v7
	v_or3_b32 v7, v9, v7, v106
	v_or3_b32 v6, v6, 0, 0
	v_cmp_eq_u16_sdwa s[14:15], v8, v29 src0_sel:BYTE_0 src1_sel:DWORD
	s_and_saveexec_b64 s[12:13], s[14:15]
	s_cbranch_execz .LBB1579_109
; %bb.112:                              ;   in Loop: Header=BB1579_110 Depth=1
	s_mov_b32 s17, 1
	s_mov_b64 s[14:15], 0
.LBB1579_113:                           ;   Parent Loop BB1579_110 Depth=1
                                        ; =>  This Loop Header: Depth=2
                                        ;       Child Loop BB1579_114 Depth 3
	s_max_u32 s18, s17, 1
.LBB1579_114:                           ;   Parent Loop BB1579_110 Depth=1
                                        ;     Parent Loop BB1579_113 Depth=2
                                        ; =>    This Inner Loop Header: Depth=3
	s_add_i32 s18, s18, -1
	s_cmp_eq_u32 s18, 0
	s_sleep 1
	s_cbranch_scc0 .LBB1579_114
; %bb.115:                              ;   in Loop: Header=BB1579_113 Depth=2
	s_cmp_lt_u32 s17, 32
	s_cselect_b64 s[18:19], -1, 0
	s_cmp_lg_u64 s[18:19], 0
	s_addc_u32 s17, s17, 0
	;;#ASMSTART
	global_load_dwordx4 v[6:9], v[32:33] off glc	
s_waitcnt vmcnt(0)
	;;#ASMEND
	v_cmp_ne_u16_sdwa s[18:19], v8, v29 src0_sel:BYTE_0 src1_sel:DWORD
	s_or_b64 s[14:15], s[18:19], s[14:15]
	s_andn2_b64 exec, exec, s[14:15]
	s_cbranch_execnz .LBB1579_113
; %bb.116:                              ;   in Loop: Header=BB1579_110 Depth=1
	s_or_b64 exec, exec, s[14:15]
	s_branch .LBB1579_109
.LBB1579_117:                           ;   in Loop: Header=BB1579_110 Depth=1
                                        ; implicit-def: $vgpr8
                                        ; implicit-def: $vgpr6_vgpr7
	s_cbranch_execz .LBB1579_110
; %bb.118:
	s_and_saveexec_b64 s[12:13], s[8:9]
	s_cbranch_execz .LBB1579_120
; %bb.119:
	s_add_i32 s14, s33, 64
	s_mov_b32 s15, 0
	v_add_u32_e32 v7, v31, v27
	s_lshl_b64 s[14:15], s[14:15], 4
	s_add_u32 s14, s50, s14
	v_and_b32_e32 v8, 0xff000000, v7
	v_and_b32_e32 v10, 0xff0000, v7
	s_addc_u32 s15, s51, s15
	v_or_b32_e32 v8, v10, v8
	v_and_b32_e32 v10, 0xff00, v7
	v_and_b32_e32 v7, 0xff, v7
	v_add_u32_e32 v6, v30, v26
	v_mov_b32_e32 v9, 0
	v_or3_b32 v7, v8, v10, v7
	v_mov_b32_e32 v8, 2
	v_pk_mov_b32 v[10:11], s[14:15], s[14:15] op_sel:[0,1]
	;;#ASMSTART
	global_store_dwordx4 v[10:11], v[6:9] off	
s_waitcnt vmcnt(0)
	;;#ASMEND
	s_movk_i32 s14, 0x3400
	v_add_u32_e64 v6, s14, 0
	ds_write2_b32 v6, v26, v27 offset1:2
	ds_write2_b32 v6, v30, v31 offset0:4 offset1:6
.LBB1579_120:
	s_or_b64 exec, exec, s[12:13]
	s_and_b64 exec, exec, s[0:1]
	s_cbranch_execz .LBB1579_122
; %bb.121:
	v_mov_b32_e32 v6, 0
	ds_write_b64 v6, v[30:31] offset:24
.LBB1579_122:
	s_or_b64 exec, exec, s[10:11]
	v_mov_b32_e32 v6, 0
	s_waitcnt lgkmcnt(0)
	s_barrier
	ds_read_b64 v[10:11], v6 offset:24
	v_cndmask_b32_e64 v25, v92, v25, s[8:9]
	v_cndmask_b32_e64 v1, v1, v24, s[8:9]
	s_movk_i32 s8, 0x3400
	s_waitcnt lgkmcnt(0)
	v_add_u32_e32 v24, v10, v1
	v_add_u32_e64 v1, s8, 0
	s_barrier
	ds_read2_b32 v[6:7], v1 offset1:2
	ds_read2_b32 v[8:9], v1 offset0:4 offset1:6
	v_add_u32_e32 v1, v11, v25
	v_cndmask_b32_e64 v1, v1, v11, s[0:1]
	v_cndmask_b32_e64 v10, v24, v10, s[0:1]
	s_branch .LBB1579_133
.LBB1579_123:
                                        ; implicit-def: $vgpr1
                                        ; implicit-def: $vgpr8
                                        ; implicit-def: $vgpr6
                                        ; implicit-def: $vgpr10_vgpr11
	s_cbranch_execz .LBB1579_133
; %bb.124:
	s_nop 0
	v_mov_b32_dpp v1, v90 row_shr:1 row_mask:0xf bank_mask:0xf
	s_waitcnt lgkmcnt(1)
	v_mov_b32_dpp v6, v91 row_shr:1 row_mask:0xf bank_mask:0xf
	v_add_u32_e32 v1, v1, v90
	v_add_u32_e32 v6, v6, v91
	v_cndmask_b32_e64 v6, v6, v91, s[6:7]
	v_cndmask_b32_e64 v1, v1, v90, s[6:7]
	v_cmp_lt_u32_e32 vcc, 3, v89
	s_waitcnt lgkmcnt(0)
	v_mov_b32_dpp v8, v6 row_shr:2 row_mask:0xf bank_mask:0xf
	v_mov_b32_dpp v7, v1 row_shr:2 row_mask:0xf bank_mask:0xf
	v_add_u32_e32 v7, v1, v7
	v_add_u32_e32 v8, v6, v8
	v_cndmask_b32_e64 v6, v6, v8, s[4:5]
	v_cndmask_b32_e64 v1, v1, v7, s[4:5]
	s_nop 0
	v_mov_b32_dpp v8, v6 row_shr:4 row_mask:0xf bank_mask:0xf
	v_mov_b32_dpp v7, v1 row_shr:4 row_mask:0xf bank_mask:0xf
	v_add_u32_e32 v7, v1, v7
	v_add_u32_e32 v8, v6, v8
	v_cndmask_b32_e32 v6, v6, v8, vcc
	v_cndmask_b32_e32 v1, v1, v7, vcc
	v_cmp_lt_u32_e32 vcc, 7, v89
	v_mov_b32_dpp v8, v6 row_shr:8 row_mask:0xf bank_mask:0xf
	v_mov_b32_dpp v7, v1 row_shr:8 row_mask:0xf bank_mask:0xf
	v_add_u32_e32 v7, v1, v7
	v_add_u32_e32 v8, v6, v8
	v_cndmask_b32_e32 v6, v6, v8, vcc
	v_cndmask_b32_e32 v1, v1, v7, vcc
	v_cmp_eq_u32_e32 vcc, 0, v88
	v_mov_b32_dpp v8, v6 row_bcast:15 row_mask:0xf bank_mask:0xf
	v_mov_b32_dpp v7, v1 row_bcast:15 row_mask:0xf bank_mask:0xf
	v_add_u32_e32 v7, v1, v7
	v_add_u32_e32 v8, v6, v8
	v_cndmask_b32_e32 v6, v8, v6, vcc
	v_cndmask_b32_e32 v1, v7, v1, vcc
	v_cmp_lt_u32_e32 vcc, 31, v85
	v_mov_b32_dpp v8, v6 row_bcast:31 row_mask:0xf bank_mask:0xf
	v_mov_b32_dpp v7, v1 row_bcast:31 row_mask:0xf bank_mask:0xf
	v_add_u32_e32 v8, v6, v8
	v_add_u32_e32 v9, v1, v7
	v_cndmask_b32_e32 v7, v6, v8, vcc
	v_cndmask_b32_e32 v6, v1, v9, vcc
	v_cmp_eq_u32_e32 vcc, v87, v0
	s_and_saveexec_b64 s[4:5], vcc
	s_cbranch_execz .LBB1579_126
; %bb.125:
	v_lshlrev_b32_e32 v1, 3, v86
	ds_write_b64 v1, v[6:7]
.LBB1579_126:
	s_or_b64 exec, exec, s[4:5]
	v_cmp_gt_u32_e32 vcc, 4, v0
	s_waitcnt lgkmcnt(0)
	s_barrier
	s_and_saveexec_b64 s[4:5], vcc
	s_cbranch_execz .LBB1579_128
; %bb.127:
	v_lshlrev_b32_e32 v1, 3, v0
	ds_read_b64 v[8:9], v1
	v_and_b32_e32 v10, 3, v85
	v_cmp_eq_u32_e32 vcc, 0, v10
	s_waitcnt lgkmcnt(0)
	v_mov_b32_dpp v11, v8 row_shr:1 row_mask:0xf bank_mask:0xf
	v_mov_b32_dpp v24, v9 row_shr:1 row_mask:0xf bank_mask:0xf
	v_add_u32_e32 v11, v11, v8
	v_add_u32_e32 v24, v24, v9
	v_cndmask_b32_e32 v9, v24, v9, vcc
	v_cndmask_b32_e32 v8, v11, v8, vcc
	v_cmp_lt_u32_e32 vcc, 1, v10
	v_mov_b32_dpp v24, v9 row_shr:2 row_mask:0xf bank_mask:0xf
	v_mov_b32_dpp v11, v8 row_shr:2 row_mask:0xf bank_mask:0xf
	v_cndmask_b32_e32 v10, 0, v11, vcc
	v_cndmask_b32_e32 v11, 0, v24, vcc
	v_add_u32_e32 v9, v11, v9
	v_add_u32_e32 v8, v10, v8
	ds_write_b64 v1, v[8:9]
.LBB1579_128:
	s_or_b64 exec, exec, s[4:5]
	v_cmp_lt_u32_e32 vcc, 63, v0
	v_mov_b32_e32 v8, 0
	v_mov_b32_e32 v10, 0
	;; [unrolled: 1-line block ×3, first 2 shown]
	s_waitcnt lgkmcnt(0)
	s_barrier
	s_and_saveexec_b64 s[4:5], vcc
	s_cbranch_execz .LBB1579_130
; %bb.129:
	v_lshl_add_u32 v1, v86, 3, -8
	ds_read_b64 v[10:11], v1
.LBB1579_130:
	s_or_b64 exec, exec, s[4:5]
	s_waitcnt lgkmcnt(0)
	v_add_u32_e32 v9, v11, v7
	v_add_u32_e32 v1, v10, v6
	v_add_u32_e32 v6, -1, v85
	v_and_b32_e32 v7, 64, v85
	v_cmp_lt_i32_e32 vcc, v6, v7
	v_cndmask_b32_e32 v6, v6, v85, vcc
	v_lshlrev_b32_e32 v24, 2, v6
	ds_read_b64 v[6:7], v8 offset:24
	ds_bpermute_b32 v1, v24, v1
	ds_bpermute_b32 v24, v24, v9
	s_waitcnt lgkmcnt(2)
	v_readfirstlane_b32 s6, v7
	s_and_saveexec_b64 s[4:5], s[0:1]
	s_cbranch_execz .LBB1579_132
; %bb.131:
	s_add_u32 s8, s50, 0x400
	s_mov_b32 s10, 0
	s_addc_u32 s9, s51, 0
	s_and_b32 s11, s6, 0xff000000
	s_and_b32 s13, s6, 0xff0000
	s_mov_b32 s12, s10
	s_or_b64 s[12:13], s[12:13], s[10:11]
	s_and_b32 s11, s6, 0xff00
	s_or_b64 s[12:13], s[12:13], s[10:11]
	s_and_b32 s11, s6, 0xff
	s_or_b64 s[10:11], s[12:13], s[10:11]
	v_mov_b32_e32 v7, s11
	v_mov_b32_e32 v8, 2
	;; [unrolled: 1-line block ×3, first 2 shown]
	v_pk_mov_b32 v[26:27], s[8:9], s[8:9] op_sel:[0,1]
	;;#ASMSTART
	global_store_dwordx4 v[26:27], v[6:9] off	
s_waitcnt vmcnt(0)
	;;#ASMEND
.LBB1579_132:
	s_or_b64 exec, exec, s[4:5]
	v_cmp_eq_u32_e32 vcc, 0, v85
	s_waitcnt lgkmcnt(1)
	v_cndmask_b32_e32 v7, v1, v10, vcc
	s_waitcnt lgkmcnt(0)
	v_cndmask_b32_e32 v1, v24, v11, vcc
	v_mov_b32_e32 v8, 0
	v_cndmask_b32_e64 v1, v1, 0, s[0:1]
	v_cndmask_b32_e64 v10, v7, 0, s[0:1]
	s_barrier
	v_mov_b32_e32 v7, s6
	v_mov_b32_e32 v9, 0
.LBB1579_133:
	v_add_u32_e32 v11, v10, v67
	v_add_u32_e32 v26, v1, v68
	;; [unrolled: 1-line block ×13, first 2 shown]
	s_waitcnt vmcnt(0) lgkmcnt(0)
	v_add_co_u32_e32 v2, vcc, v2, v8
	v_add_u32_e32 v68, v62, v74
	v_add_u32_e32 v64, v67, v64
	v_addc_co_u32_e32 v3, vcc, 0, v3, vcc
	v_add_u32_e32 v69, v68, v82
	v_add_u32_e32 v70, v64, v75
	v_sub_co_u32_e32 v24, vcc, v4, v6
	v_add_u32_e32 v71, v69, v76
	v_add_u32_e32 v65, v70, v65
	v_subbrev_co_u32_e32 v25, vcc, 0, v5, vcc
	v_lshlrev_b32_e32 v76, 1, v6
	v_sub_u32_e32 v1, v1, v9
	v_add_u32_e32 v73, v65, v77
	v_add_co_u32_e32 v24, vcc, v24, v9
	v_add_u32_e32 v77, v76, v7
	v_sub_u32_e32 v10, v10, v8
	v_add_u32_e32 v1, v1, v6
	v_addc_co_u32_e32 v25, vcc, 0, v25, vcc
	v_add_u32_e32 v36, v77, v36
	v_and_b32_e32 v38, 1, v38
	v_add_u32_e32 v77, v10, v1
	v_and_b32_e32 v37, 1, v37
	v_sub_u32_e32 v77, v36, v77
	v_cmp_eq_u32_e32 vcc, 1, v38
	v_cndmask_b32_e32 v1, v77, v1, vcc
	v_cmp_eq_u32_e32 vcc, 1, v37
	v_cndmask_b32_e32 v1, v1, v10, vcc
	v_lshlrev_b32_e32 v1, 2, v1
	ds_write_b32 v1, v22
	v_sub_u32_e32 v1, v11, v8
	v_sub_u32_e32 v11, v26, v9
	v_add_u32_e32 v11, v11, v6
	v_add_u32_e32 v26, v11, v1
	v_and_b32_e32 v22, 1, v40
	v_sub_u32_e32 v26, v36, v26
	v_and_b32_e32 v10, 1, v39
	v_add_u32_e32 v26, 1, v26
	v_cmp_eq_u32_e32 vcc, 1, v22
	v_cndmask_b32_e32 v11, v26, v11, vcc
	v_cmp_eq_u32_e32 vcc, 1, v10
	v_cndmask_b32_e32 v1, v11, v1, vcc
	v_lshlrev_b32_e32 v1, 2, v1
	v_sub_u32_e32 v11, v27, v9
	ds_write_b32 v1, v23
	v_sub_u32_e32 v1, v28, v8
	v_add_u32_e32 v11, v11, v6
	v_add_u32_e32 v23, v11, v1
	v_and_b32_e32 v22, 1, v42
	v_sub_u32_e32 v23, v36, v23
	v_and_b32_e32 v10, 1, v41
	v_add_u32_e32 v23, 2, v23
	v_cmp_eq_u32_e32 vcc, 1, v22
	v_cndmask_b32_e32 v11, v23, v11, vcc
	v_cmp_eq_u32_e32 vcc, 1, v10
	v_cndmask_b32_e32 v1, v11, v1, vcc
	v_lshlrev_b32_e32 v1, 2, v1
	v_sub_u32_e32 v11, v30, v9
	ds_write_b32 v1, v20
	;; [unrolled: 14-line block ×8, first 2 shown]
	v_sub_u32_e32 v1, v70, v8
	v_add_u32_e32 v11, v11, v6
	v_add_u32_e32 v16, v1, v11
	v_and_b32_e32 v14, 1, v55
	v_sub_u32_e32 v16, v36, v16
	v_and_b32_e32 v10, 1, v56
	v_add_u32_e32 v16, 9, v16
	v_cmp_eq_u32_e32 vcc, 1, v14
	v_cndmask_b32_e32 v11, v16, v11, vcc
	v_cmp_eq_u32_e32 vcc, 1, v10
	v_add_u32_e32 v72, v71, v83
	v_cndmask_b32_e32 v1, v11, v1, vcc
	v_lshlrev_b32_e32 v1, 2, v1
	v_sub_u32_e32 v11, v72, v9
	ds_write_b32 v1, v15
	v_sub_u32_e32 v1, v65, v8
	v_add_u32_e32 v11, v11, v6
	v_add_u32_e32 v15, v1, v11
	v_and_b32_e32 v14, 1, v57
	v_sub_u32_e32 v15, v36, v15
	v_and_b32_e32 v10, 1, v58
	v_add_u32_e32 v15, 10, v15
	v_cmp_eq_u32_e32 vcc, 1, v14
	v_cndmask_b32_e32 v11, v15, v11, vcc
	v_cmp_eq_u32_e32 vcc, 1, v10
	v_add_u32_e32 v74, v72, v78
	v_cndmask_b32_e32 v1, v11, v1, vcc
	v_lshlrev_b32_e32 v1, 2, v1
	v_sub_u32_e32 v11, v74, v9
	ds_write_b32 v1, v12
	v_sub_u32_e32 v1, v73, v8
	v_add_u32_e32 v11, v11, v6
	v_add_u32_e32 v14, v1, v11
	v_and_b32_e32 v12, 1, v59
	v_sub_u32_e32 v14, v36, v14
	v_and_b32_e32 v10, 1, v60
	v_add_u32_e32 v14, 11, v14
	v_cmp_eq_u32_e32 vcc, 1, v12
	v_cndmask_b32_e32 v11, v14, v11, vcc
	v_cmp_eq_u32_e32 vcc, 1, v10
	v_cndmask_b32_e32 v1, v11, v1, vcc
	v_add_u32_e32 v75, v74, v84
	v_add_u32_e32 v66, v73, v66
	v_lshlrev_b32_e32 v1, 2, v1
	ds_write_b32 v1, v13
	v_sub_u32_e32 v1, v66, v8
	v_sub_u32_e32 v8, v75, v9
	v_add_u32_e32 v8, v8, v6
	v_add_u32_e32 v10, v1, v8
	v_sub_u32_e32 v10, v36, v10
	v_add_u32_e32 v10, 12, v10
	v_cndmask_b32_e64 v8, v10, v8, s[54:55]
	v_cndmask_b32_e64 v1, v8, v1, s[52:53]
	v_lshlrev_b32_e32 v1, 2, v1
	ds_write_b32 v1, v35
	v_mov_b32_e32 v1, s49
	v_add_co_u32_e32 v8, vcc, s48, v34
	v_addc_co_u32_e32 v10, vcc, 0, v1, vcc
	v_add_co_u32_e32 v1, vcc, v7, v76
	v_addc_co_u32_e64 v11, s[4:5], 0, 0, vcc
	v_add_co_u32_e32 v1, vcc, v1, v24
	v_addc_co_u32_e32 v11, vcc, v11, v25, vcc
	v_add_co_u32_e32 v1, vcc, v1, v2
	v_addc_co_u32_e32 v11, vcc, v11, v3, vcc
	v_sub_co_u32_e32 v1, vcc, v8, v1
	v_subb_co_u32_e32 v8, vcc, v10, v11, vcc
	v_lshlrev_b64 v[10:11], 2, v[24:25]
	v_mov_b32_e32 v12, s47
	v_add_co_u32_e32 v10, vcc, s46, v10
	v_addc_co_u32_e32 v11, vcc, v12, v11, vcc
	v_lshlrev_b64 v[12:13], 2, v[2:3]
	v_mov_b32_e32 v15, s45
	v_add_co_u32_e32 v12, vcc, s44, v12
	s_add_u32 s8, s34, -4
	v_addc_co_u32_e32 v13, vcc, v15, v13, vcc
	s_addc_u32 s9, s35, -1
	v_add_u32_e32 v14, v6, v7
	s_and_b64 vcc, exec, s[2:3]
	s_mov_b64 s[2:3], -1
	s_waitcnt lgkmcnt(0)
	s_barrier
	s_cbranch_vccz .LBB1579_137
; %bb.134:
	s_and_b64 vcc, exec, s[2:3]
	s_cbranch_vccnz .LBB1579_242
.LBB1579_135:
	s_and_b64 s[0:1], s[0:1], s[30:31]
	s_and_saveexec_b64 s[2:3], s[0:1]
	s_cbranch_execnz .LBB1579_360
.LBB1579_136:
	s_endpgm
.LBB1579_137:
	v_cmp_le_u32_e32 vcc, v6, v0
	s_and_saveexec_b64 s[2:3], vcc
	s_xor_b64 s[2:3], exec, s[2:3]
	s_cbranch_execz .LBB1579_143
; %bb.138:
	v_cmp_le_u32_e32 vcc, v14, v0
	s_and_saveexec_b64 s[4:5], vcc
	s_xor_b64 s[4:5], exec, s[4:5]
	s_cbranch_execz .LBB1579_140
; %bb.139:
	v_lshlrev_b32_e32 v15, 2, v0
	v_add_co_u32_e32 v16, vcc, v1, v0
	ds_read_b32 v15, v15
	v_addc_co_u32_e32 v17, vcc, 0, v8, vcc
	v_lshlrev_b64 v[16:17], 2, v[16:17]
	v_mov_b32_e32 v18, s35
	v_sub_co_u32_e32 v16, vcc, s34, v16
	v_subb_co_u32_e32 v17, vcc, v18, v17, vcc
	s_waitcnt lgkmcnt(0)
	global_store_dword v[16:17], v15, off offset:-4
.LBB1579_140:
	s_andn2_saveexec_b64 s[4:5], s[4:5]
	s_cbranch_execz .LBB1579_142
; %bb.141:
	v_lshlrev_b32_e32 v15, 2, v0
	ds_read_b32 v16, v15
	v_readfirstlane_b32 s6, v10
	v_readfirstlane_b32 s7, v11
	s_waitcnt lgkmcnt(0)
	s_nop 3
	global_store_dword v15, v16, s[6:7]
.LBB1579_142:
	s_or_b64 exec, exec, s[4:5]
.LBB1579_143:
	s_andn2_saveexec_b64 s[2:3], s[2:3]
	s_cbranch_execz .LBB1579_145
; %bb.144:
	v_lshlrev_b32_e32 v15, 2, v0
	ds_read_b32 v16, v15
	v_readfirstlane_b32 s4, v12
	v_readfirstlane_b32 s5, v13
	s_waitcnt lgkmcnt(0)
	s_nop 3
	global_store_dword v15, v16, s[4:5]
.LBB1579_145:
	s_or_b64 exec, exec, s[2:3]
	v_or_b32_e32 v15, 0x100, v0
	v_cmp_le_u32_e32 vcc, v6, v15
	s_and_saveexec_b64 s[2:3], vcc
	s_xor_b64 s[2:3], exec, s[2:3]
	s_cbranch_execz .LBB1579_151
; %bb.146:
	v_cmp_le_u32_e32 vcc, v14, v15
	s_and_saveexec_b64 s[4:5], vcc
	s_xor_b64 s[4:5], exec, s[4:5]
	s_cbranch_execz .LBB1579_148
; %bb.147:
	v_lshlrev_b32_e32 v15, 2, v0
	ds_read_b32 v15, v15 offset:1024
	v_add_co_u32_e32 v16, vcc, v1, v0
	v_addc_co_u32_e32 v17, vcc, 0, v8, vcc
	v_lshlrev_b64 v[16:17], 2, v[16:17]
	v_mov_b32_e32 v18, s9
	v_sub_co_u32_e32 v16, vcc, s8, v16
	v_subb_co_u32_e32 v17, vcc, v18, v17, vcc
	s_waitcnt lgkmcnt(0)
	global_store_dword v[16:17], v15, off offset:-1024
.LBB1579_148:
	s_andn2_saveexec_b64 s[4:5], s[4:5]
	s_cbranch_execz .LBB1579_150
; %bb.149:
	v_lshlrev_b32_e32 v15, 2, v0
	ds_read_b32 v16, v15 offset:1024
	v_readfirstlane_b32 s6, v10
	v_readfirstlane_b32 s7, v11
	s_waitcnt lgkmcnt(0)
	s_nop 3
	global_store_dword v15, v16, s[6:7] offset:1024
.LBB1579_150:
	s_or_b64 exec, exec, s[4:5]
.LBB1579_151:
	s_andn2_saveexec_b64 s[2:3], s[2:3]
	s_cbranch_execz .LBB1579_153
; %bb.152:
	v_lshlrev_b32_e32 v15, 2, v0
	ds_read_b32 v16, v15 offset:1024
	v_readfirstlane_b32 s4, v12
	v_readfirstlane_b32 s5, v13
	s_waitcnt lgkmcnt(0)
	s_nop 3
	global_store_dword v15, v16, s[4:5] offset:1024
.LBB1579_153:
	s_or_b64 exec, exec, s[2:3]
	v_or_b32_e32 v15, 0x200, v0
	v_cmp_le_u32_e32 vcc, v6, v15
	s_and_saveexec_b64 s[2:3], vcc
	s_xor_b64 s[2:3], exec, s[2:3]
	s_cbranch_execz .LBB1579_159
; %bb.154:
	v_cmp_le_u32_e32 vcc, v14, v15
	s_and_saveexec_b64 s[4:5], vcc
	s_xor_b64 s[4:5], exec, s[4:5]
	s_cbranch_execz .LBB1579_156
; %bb.155:
	v_lshlrev_b32_e32 v15, 2, v0
	ds_read_b32 v15, v15 offset:2048
	v_add_co_u32_e32 v16, vcc, v1, v0
	v_addc_co_u32_e32 v17, vcc, 0, v8, vcc
	v_lshlrev_b64 v[16:17], 2, v[16:17]
	v_mov_b32_e32 v18, s9
	v_sub_co_u32_e32 v16, vcc, s8, v16
	v_subb_co_u32_e32 v17, vcc, v18, v17, vcc
	s_waitcnt lgkmcnt(0)
	global_store_dword v[16:17], v15, off offset:-2048
.LBB1579_156:
	s_andn2_saveexec_b64 s[4:5], s[4:5]
	s_cbranch_execz .LBB1579_158
; %bb.157:
	v_lshlrev_b32_e32 v15, 2, v0
	ds_read_b32 v16, v15 offset:2048
	v_readfirstlane_b32 s6, v10
	v_readfirstlane_b32 s7, v11
	s_waitcnt lgkmcnt(0)
	s_nop 3
	global_store_dword v15, v16, s[6:7] offset:2048
.LBB1579_158:
	s_or_b64 exec, exec, s[4:5]
.LBB1579_159:
	s_andn2_saveexec_b64 s[2:3], s[2:3]
	s_cbranch_execz .LBB1579_161
; %bb.160:
	v_lshlrev_b32_e32 v15, 2, v0
	ds_read_b32 v16, v15 offset:2048
	v_readfirstlane_b32 s4, v12
	v_readfirstlane_b32 s5, v13
	s_waitcnt lgkmcnt(0)
	s_nop 3
	global_store_dword v15, v16, s[4:5] offset:2048
.LBB1579_161:
	;; [unrolled: 47-line block ×3, first 2 shown]
	s_or_b64 exec, exec, s[2:3]
	v_or_b32_e32 v15, 0x400, v0
	v_cmp_le_u32_e32 vcc, v6, v15
	s_and_saveexec_b64 s[2:3], vcc
	s_xor_b64 s[2:3], exec, s[2:3]
	s_cbranch_execz .LBB1579_175
; %bb.170:
	v_cmp_le_u32_e32 vcc, v14, v15
	s_and_saveexec_b64 s[4:5], vcc
	s_xor_b64 s[4:5], exec, s[4:5]
	s_cbranch_execz .LBB1579_172
; %bb.171:
	v_lshlrev_b32_e32 v15, 2, v0
	ds_read_b32 v15, v15 offset:4096
	v_add_co_u32_e32 v16, vcc, v1, v0
	v_addc_co_u32_e32 v17, vcc, 0, v8, vcc
	v_lshlrev_b64 v[16:17], 2, v[16:17]
	v_mov_b32_e32 v18, s9
	v_sub_co_u32_e32 v16, vcc, s8, v16
	v_subb_co_u32_e32 v17, vcc, v18, v17, vcc
	s_waitcnt lgkmcnt(0)
	global_store_dword v[16:17], v15, off offset:-4096
                                        ; implicit-def: $vgpr15
.LBB1579_172:
	s_andn2_saveexec_b64 s[4:5], s[4:5]
	s_cbranch_execz .LBB1579_174
; %bb.173:
	v_lshlrev_b32_e32 v16, 2, v0
	ds_read_b32 v16, v16 offset:4096
	v_lshlrev_b32_e32 v15, 2, v15
	v_readfirstlane_b32 s6, v10
	v_readfirstlane_b32 s7, v11
	s_waitcnt lgkmcnt(0)
	s_nop 3
	global_store_dword v15, v16, s[6:7]
.LBB1579_174:
	s_or_b64 exec, exec, s[4:5]
                                        ; implicit-def: $vgpr15
.LBB1579_175:
	s_andn2_saveexec_b64 s[2:3], s[2:3]
	s_cbranch_execz .LBB1579_177
; %bb.176:
	v_lshlrev_b32_e32 v16, 2, v0
	ds_read_b32 v16, v16 offset:4096
	v_lshlrev_b32_e32 v15, 2, v15
	v_readfirstlane_b32 s4, v12
	v_readfirstlane_b32 s5, v13
	s_waitcnt lgkmcnt(0)
	s_nop 3
	global_store_dword v15, v16, s[4:5]
.LBB1579_177:
	s_or_b64 exec, exec, s[2:3]
	v_or_b32_e32 v15, 0x500, v0
	v_cmp_le_u32_e32 vcc, v6, v15
	s_and_saveexec_b64 s[2:3], vcc
	s_xor_b64 s[2:3], exec, s[2:3]
	s_cbranch_execz .LBB1579_183
; %bb.178:
	v_cmp_le_u32_e32 vcc, v14, v15
	s_and_saveexec_b64 s[4:5], vcc
	s_xor_b64 s[4:5], exec, s[4:5]
	s_cbranch_execz .LBB1579_180
; %bb.179:
	v_add_co_u32_e32 v16, vcc, v1, v15
	v_lshlrev_b32_e32 v15, 2, v0
	ds_read_b32 v15, v15 offset:5120
	v_addc_co_u32_e32 v17, vcc, 0, v8, vcc
	v_lshlrev_b64 v[16:17], 2, v[16:17]
	v_mov_b32_e32 v18, s9
	v_sub_co_u32_e32 v16, vcc, s8, v16
	v_subb_co_u32_e32 v17, vcc, v18, v17, vcc
	s_waitcnt lgkmcnt(0)
	global_store_dword v[16:17], v15, off
                                        ; implicit-def: $vgpr15
.LBB1579_180:
	s_andn2_saveexec_b64 s[4:5], s[4:5]
	s_cbranch_execz .LBB1579_182
; %bb.181:
	v_lshlrev_b32_e32 v16, 2, v0
	ds_read_b32 v16, v16 offset:5120
	v_lshlrev_b32_e32 v15, 2, v15
	v_readfirstlane_b32 s6, v10
	v_readfirstlane_b32 s7, v11
	s_waitcnt lgkmcnt(0)
	s_nop 3
	global_store_dword v15, v16, s[6:7]
.LBB1579_182:
	s_or_b64 exec, exec, s[4:5]
                                        ; implicit-def: $vgpr15
.LBB1579_183:
	s_andn2_saveexec_b64 s[2:3], s[2:3]
	s_cbranch_execz .LBB1579_185
; %bb.184:
	v_lshlrev_b32_e32 v16, 2, v0
	ds_read_b32 v16, v16 offset:5120
	v_lshlrev_b32_e32 v15, 2, v15
	v_readfirstlane_b32 s4, v12
	v_readfirstlane_b32 s5, v13
	s_waitcnt lgkmcnt(0)
	s_nop 3
	global_store_dword v15, v16, s[4:5]
.LBB1579_185:
	s_or_b64 exec, exec, s[2:3]
	v_or_b32_e32 v15, 0x600, v0
	v_cmp_le_u32_e32 vcc, v6, v15
	s_and_saveexec_b64 s[2:3], vcc
	s_xor_b64 s[2:3], exec, s[2:3]
	s_cbranch_execz .LBB1579_191
; %bb.186:
	v_cmp_le_u32_e32 vcc, v14, v15
	s_and_saveexec_b64 s[4:5], vcc
	s_xor_b64 s[4:5], exec, s[4:5]
	s_cbranch_execz .LBB1579_188
; %bb.187:
	v_add_co_u32_e32 v16, vcc, v1, v15
	v_lshlrev_b32_e32 v15, 2, v0
	ds_read_b32 v15, v15 offset:6144
	v_addc_co_u32_e32 v17, vcc, 0, v8, vcc
	v_lshlrev_b64 v[16:17], 2, v[16:17]
	v_mov_b32_e32 v18, s9
	v_sub_co_u32_e32 v16, vcc, s8, v16
	v_subb_co_u32_e32 v17, vcc, v18, v17, vcc
	s_waitcnt lgkmcnt(0)
	global_store_dword v[16:17], v15, off
                                        ; implicit-def: $vgpr15
.LBB1579_188:
	s_andn2_saveexec_b64 s[4:5], s[4:5]
	s_cbranch_execz .LBB1579_190
; %bb.189:
	v_lshlrev_b32_e32 v16, 2, v0
	ds_read_b32 v16, v16 offset:6144
	v_lshlrev_b32_e32 v15, 2, v15
	v_readfirstlane_b32 s6, v10
	v_readfirstlane_b32 s7, v11
	s_waitcnt lgkmcnt(0)
	s_nop 3
	global_store_dword v15, v16, s[6:7]
.LBB1579_190:
	s_or_b64 exec, exec, s[4:5]
                                        ; implicit-def: $vgpr15
.LBB1579_191:
	;; [unrolled: 51-line block ×8, first 2 shown]
	s_andn2_saveexec_b64 s[2:3], s[2:3]
	s_cbranch_execz .LBB1579_241
; %bb.240:
	v_lshlrev_b32_e32 v16, 2, v0
	ds_read_b32 v16, v16 offset:12288
	v_lshlrev_b32_e32 v15, 2, v15
	v_readfirstlane_b32 s4, v12
	v_readfirstlane_b32 s5, v13
	s_waitcnt lgkmcnt(0)
	s_nop 3
	global_store_dword v15, v16, s[4:5]
.LBB1579_241:
	s_or_b64 exec, exec, s[2:3]
	s_branch .LBB1579_135
.LBB1579_242:
	v_cmp_gt_u32_e32 vcc, s16, v0
	s_and_saveexec_b64 s[2:3], vcc
	s_cbranch_execz .LBB1579_251
; %bb.243:
	v_cmp_le_u32_e32 vcc, v6, v0
	s_and_saveexec_b64 s[4:5], vcc
	s_xor_b64 s[4:5], exec, s[4:5]
	s_cbranch_execz .LBB1579_249
; %bb.244:
	v_cmp_le_u32_e32 vcc, v14, v0
	s_and_saveexec_b64 s[6:7], vcc
	s_xor_b64 s[6:7], exec, s[6:7]
	s_cbranch_execz .LBB1579_246
; %bb.245:
	v_lshlrev_b32_e32 v15, 2, v0
	v_add_co_u32_e32 v16, vcc, v1, v0
	ds_read_b32 v15, v15
	v_addc_co_u32_e32 v17, vcc, 0, v8, vcc
	v_lshlrev_b64 v[16:17], 2, v[16:17]
	v_mov_b32_e32 v18, s35
	v_sub_co_u32_e32 v16, vcc, s34, v16
	v_subb_co_u32_e32 v17, vcc, v18, v17, vcc
	s_waitcnt lgkmcnt(0)
	global_store_dword v[16:17], v15, off offset:-4
.LBB1579_246:
	s_andn2_saveexec_b64 s[6:7], s[6:7]
	s_cbranch_execz .LBB1579_248
; %bb.247:
	v_lshlrev_b32_e32 v15, 2, v0
	ds_read_b32 v16, v15
	v_readfirstlane_b32 s10, v10
	v_readfirstlane_b32 s11, v11
	s_waitcnt lgkmcnt(0)
	s_nop 3
	global_store_dword v15, v16, s[10:11]
.LBB1579_248:
	s_or_b64 exec, exec, s[6:7]
.LBB1579_249:
	s_andn2_saveexec_b64 s[4:5], s[4:5]
	s_cbranch_execz .LBB1579_251
; %bb.250:
	v_lshlrev_b32_e32 v15, 2, v0
	ds_read_b32 v16, v15
	v_readfirstlane_b32 s4, v12
	v_readfirstlane_b32 s5, v13
	s_waitcnt lgkmcnt(0)
	s_nop 3
	global_store_dword v15, v16, s[4:5]
.LBB1579_251:
	s_or_b64 exec, exec, s[2:3]
	v_or_b32_e32 v15, 0x100, v0
	v_cmp_gt_u32_e32 vcc, s16, v15
	s_and_saveexec_b64 s[2:3], vcc
	s_cbranch_execz .LBB1579_260
; %bb.252:
	v_cmp_le_u32_e32 vcc, v6, v15
	s_and_saveexec_b64 s[4:5], vcc
	s_xor_b64 s[4:5], exec, s[4:5]
	s_cbranch_execz .LBB1579_258
; %bb.253:
	v_cmp_le_u32_e32 vcc, v14, v15
	s_and_saveexec_b64 s[6:7], vcc
	s_xor_b64 s[6:7], exec, s[6:7]
	s_cbranch_execz .LBB1579_255
; %bb.254:
	v_lshlrev_b32_e32 v15, 2, v0
	ds_read_b32 v15, v15 offset:1024
	v_add_co_u32_e32 v16, vcc, v1, v0
	v_addc_co_u32_e32 v17, vcc, 0, v8, vcc
	v_lshlrev_b64 v[16:17], 2, v[16:17]
	v_mov_b32_e32 v18, s9
	v_sub_co_u32_e32 v16, vcc, s8, v16
	v_subb_co_u32_e32 v17, vcc, v18, v17, vcc
	s_waitcnt lgkmcnt(0)
	global_store_dword v[16:17], v15, off offset:-1024
.LBB1579_255:
	s_andn2_saveexec_b64 s[6:7], s[6:7]
	s_cbranch_execz .LBB1579_257
; %bb.256:
	v_lshlrev_b32_e32 v15, 2, v0
	ds_read_b32 v16, v15 offset:1024
	v_readfirstlane_b32 s10, v10
	v_readfirstlane_b32 s11, v11
	s_waitcnt lgkmcnt(0)
	s_nop 3
	global_store_dword v15, v16, s[10:11] offset:1024
.LBB1579_257:
	s_or_b64 exec, exec, s[6:7]
.LBB1579_258:
	s_andn2_saveexec_b64 s[4:5], s[4:5]
	s_cbranch_execz .LBB1579_260
; %bb.259:
	v_lshlrev_b32_e32 v15, 2, v0
	ds_read_b32 v16, v15 offset:1024
	v_readfirstlane_b32 s4, v12
	v_readfirstlane_b32 s5, v13
	s_waitcnt lgkmcnt(0)
	s_nop 3
	global_store_dword v15, v16, s[4:5] offset:1024
.LBB1579_260:
	s_or_b64 exec, exec, s[2:3]
	v_or_b32_e32 v15, 0x200, v0
	v_cmp_gt_u32_e32 vcc, s16, v15
	s_and_saveexec_b64 s[2:3], vcc
	s_cbranch_execz .LBB1579_269
; %bb.261:
	v_cmp_le_u32_e32 vcc, v6, v15
	s_and_saveexec_b64 s[4:5], vcc
	s_xor_b64 s[4:5], exec, s[4:5]
	s_cbranch_execz .LBB1579_267
; %bb.262:
	v_cmp_le_u32_e32 vcc, v14, v15
	s_and_saveexec_b64 s[6:7], vcc
	s_xor_b64 s[6:7], exec, s[6:7]
	s_cbranch_execz .LBB1579_264
; %bb.263:
	v_lshlrev_b32_e32 v15, 2, v0
	ds_read_b32 v15, v15 offset:2048
	v_add_co_u32_e32 v16, vcc, v1, v0
	v_addc_co_u32_e32 v17, vcc, 0, v8, vcc
	v_lshlrev_b64 v[16:17], 2, v[16:17]
	v_mov_b32_e32 v18, s9
	v_sub_co_u32_e32 v16, vcc, s8, v16
	v_subb_co_u32_e32 v17, vcc, v18, v17, vcc
	s_waitcnt lgkmcnt(0)
	global_store_dword v[16:17], v15, off offset:-2048
.LBB1579_264:
	s_andn2_saveexec_b64 s[6:7], s[6:7]
	s_cbranch_execz .LBB1579_266
; %bb.265:
	v_lshlrev_b32_e32 v15, 2, v0
	ds_read_b32 v16, v15 offset:2048
	v_readfirstlane_b32 s10, v10
	v_readfirstlane_b32 s11, v11
	s_waitcnt lgkmcnt(0)
	s_nop 3
	global_store_dword v15, v16, s[10:11] offset:2048
.LBB1579_266:
	s_or_b64 exec, exec, s[6:7]
.LBB1579_267:
	s_andn2_saveexec_b64 s[4:5], s[4:5]
	s_cbranch_execz .LBB1579_269
; %bb.268:
	v_lshlrev_b32_e32 v15, 2, v0
	ds_read_b32 v16, v15 offset:2048
	v_readfirstlane_b32 s4, v12
	v_readfirstlane_b32 s5, v13
	s_waitcnt lgkmcnt(0)
	s_nop 3
	global_store_dword v15, v16, s[4:5] offset:2048
.LBB1579_269:
	;; [unrolled: 51-line block ×3, first 2 shown]
	s_or_b64 exec, exec, s[2:3]
	v_or_b32_e32 v15, 0x400, v0
	v_cmp_gt_u32_e32 vcc, s16, v15
	s_and_saveexec_b64 s[2:3], vcc
	s_cbranch_execz .LBB1579_287
; %bb.279:
	v_cmp_le_u32_e32 vcc, v6, v15
	s_and_saveexec_b64 s[4:5], vcc
	s_xor_b64 s[4:5], exec, s[4:5]
	s_cbranch_execz .LBB1579_285
; %bb.280:
	v_cmp_le_u32_e32 vcc, v14, v15
	s_and_saveexec_b64 s[6:7], vcc
	s_xor_b64 s[6:7], exec, s[6:7]
	s_cbranch_execz .LBB1579_282
; %bb.281:
	v_lshlrev_b32_e32 v15, 2, v0
	ds_read_b32 v15, v15 offset:4096
	v_add_co_u32_e32 v16, vcc, v1, v0
	v_addc_co_u32_e32 v17, vcc, 0, v8, vcc
	v_lshlrev_b64 v[16:17], 2, v[16:17]
	v_mov_b32_e32 v18, s9
	v_sub_co_u32_e32 v16, vcc, s8, v16
	v_subb_co_u32_e32 v17, vcc, v18, v17, vcc
	s_waitcnt lgkmcnt(0)
	global_store_dword v[16:17], v15, off offset:-4096
                                        ; implicit-def: $vgpr15
.LBB1579_282:
	s_andn2_saveexec_b64 s[6:7], s[6:7]
	s_cbranch_execz .LBB1579_284
; %bb.283:
	v_lshlrev_b32_e32 v16, 2, v0
	ds_read_b32 v16, v16 offset:4096
	v_lshlrev_b32_e32 v15, 2, v15
	v_readfirstlane_b32 s10, v10
	v_readfirstlane_b32 s11, v11
	s_waitcnt lgkmcnt(0)
	s_nop 3
	global_store_dword v15, v16, s[10:11]
.LBB1579_284:
	s_or_b64 exec, exec, s[6:7]
                                        ; implicit-def: $vgpr15
.LBB1579_285:
	s_andn2_saveexec_b64 s[4:5], s[4:5]
	s_cbranch_execz .LBB1579_287
; %bb.286:
	v_lshlrev_b32_e32 v16, 2, v0
	ds_read_b32 v16, v16 offset:4096
	v_lshlrev_b32_e32 v15, 2, v15
	v_readfirstlane_b32 s4, v12
	v_readfirstlane_b32 s5, v13
	s_waitcnt lgkmcnt(0)
	s_nop 3
	global_store_dword v15, v16, s[4:5]
.LBB1579_287:
	s_or_b64 exec, exec, s[2:3]
	v_or_b32_e32 v15, 0x500, v0
	v_cmp_gt_u32_e32 vcc, s16, v15
	s_and_saveexec_b64 s[2:3], vcc
	s_cbranch_execz .LBB1579_296
; %bb.288:
	v_cmp_le_u32_e32 vcc, v6, v15
	s_and_saveexec_b64 s[4:5], vcc
	s_xor_b64 s[4:5], exec, s[4:5]
	s_cbranch_execz .LBB1579_294
; %bb.289:
	v_cmp_le_u32_e32 vcc, v14, v15
	s_and_saveexec_b64 s[6:7], vcc
	s_xor_b64 s[6:7], exec, s[6:7]
	s_cbranch_execz .LBB1579_291
; %bb.290:
	v_add_co_u32_e32 v16, vcc, v1, v15
	v_lshlrev_b32_e32 v15, 2, v0
	ds_read_b32 v15, v15 offset:5120
	v_addc_co_u32_e32 v17, vcc, 0, v8, vcc
	v_lshlrev_b64 v[16:17], 2, v[16:17]
	v_mov_b32_e32 v18, s9
	v_sub_co_u32_e32 v16, vcc, s8, v16
	v_subb_co_u32_e32 v17, vcc, v18, v17, vcc
	s_waitcnt lgkmcnt(0)
	global_store_dword v[16:17], v15, off
                                        ; implicit-def: $vgpr15
.LBB1579_291:
	s_andn2_saveexec_b64 s[6:7], s[6:7]
	s_cbranch_execz .LBB1579_293
; %bb.292:
	v_lshlrev_b32_e32 v16, 2, v0
	ds_read_b32 v16, v16 offset:5120
	v_lshlrev_b32_e32 v15, 2, v15
	v_readfirstlane_b32 s10, v10
	v_readfirstlane_b32 s11, v11
	s_waitcnt lgkmcnt(0)
	s_nop 3
	global_store_dword v15, v16, s[10:11]
.LBB1579_293:
	s_or_b64 exec, exec, s[6:7]
                                        ; implicit-def: $vgpr15
.LBB1579_294:
	s_andn2_saveexec_b64 s[4:5], s[4:5]
	s_cbranch_execz .LBB1579_296
; %bb.295:
	v_lshlrev_b32_e32 v16, 2, v0
	ds_read_b32 v16, v16 offset:5120
	v_lshlrev_b32_e32 v15, 2, v15
	v_readfirstlane_b32 s4, v12
	v_readfirstlane_b32 s5, v13
	s_waitcnt lgkmcnt(0)
	s_nop 3
	global_store_dword v15, v16, s[4:5]
.LBB1579_296:
	s_or_b64 exec, exec, s[2:3]
	v_or_b32_e32 v15, 0x600, v0
	v_cmp_gt_u32_e32 vcc, s16, v15
	s_and_saveexec_b64 s[2:3], vcc
	s_cbranch_execz .LBB1579_305
; %bb.297:
	v_cmp_le_u32_e32 vcc, v6, v15
	s_and_saveexec_b64 s[4:5], vcc
	s_xor_b64 s[4:5], exec, s[4:5]
	s_cbranch_execz .LBB1579_303
; %bb.298:
	v_cmp_le_u32_e32 vcc, v14, v15
	s_and_saveexec_b64 s[6:7], vcc
	s_xor_b64 s[6:7], exec, s[6:7]
	s_cbranch_execz .LBB1579_300
; %bb.299:
	v_add_co_u32_e32 v16, vcc, v1, v15
	v_lshlrev_b32_e32 v15, 2, v0
	ds_read_b32 v15, v15 offset:6144
	v_addc_co_u32_e32 v17, vcc, 0, v8, vcc
	v_lshlrev_b64 v[16:17], 2, v[16:17]
	v_mov_b32_e32 v18, s9
	v_sub_co_u32_e32 v16, vcc, s8, v16
	v_subb_co_u32_e32 v17, vcc, v18, v17, vcc
	s_waitcnt lgkmcnt(0)
	global_store_dword v[16:17], v15, off
                                        ; implicit-def: $vgpr15
.LBB1579_300:
	s_andn2_saveexec_b64 s[6:7], s[6:7]
	s_cbranch_execz .LBB1579_302
; %bb.301:
	v_lshlrev_b32_e32 v16, 2, v0
	ds_read_b32 v16, v16 offset:6144
	v_lshlrev_b32_e32 v15, 2, v15
	v_readfirstlane_b32 s10, v10
	v_readfirstlane_b32 s11, v11
	s_waitcnt lgkmcnt(0)
	s_nop 3
	global_store_dword v15, v16, s[10:11]
.LBB1579_302:
	s_or_b64 exec, exec, s[6:7]
                                        ; implicit-def: $vgpr15
.LBB1579_303:
	s_andn2_saveexec_b64 s[4:5], s[4:5]
	s_cbranch_execz .LBB1579_305
; %bb.304:
	v_lshlrev_b32_e32 v16, 2, v0
	ds_read_b32 v16, v16 offset:6144
	v_lshlrev_b32_e32 v15, 2, v15
	v_readfirstlane_b32 s4, v12
	v_readfirstlane_b32 s5, v13
	s_waitcnt lgkmcnt(0)
	s_nop 3
	global_store_dword v15, v16, s[4:5]
.LBB1579_305:
	;; [unrolled: 55-line block ×7, first 2 shown]
	s_or_b64 exec, exec, s[2:3]
	v_or_b32_e32 v15, 0xc00, v0
	v_cmp_gt_u32_e32 vcc, s16, v15
	s_and_saveexec_b64 s[2:3], vcc
	s_cbranch_execz .LBB1579_359
; %bb.351:
	v_cmp_le_u32_e32 vcc, v6, v15
	s_and_saveexec_b64 s[4:5], vcc
	s_xor_b64 s[4:5], exec, s[4:5]
	s_cbranch_execz .LBB1579_357
; %bb.352:
	v_cmp_le_u32_e32 vcc, v14, v15
	s_and_saveexec_b64 s[6:7], vcc
	s_xor_b64 s[6:7], exec, s[6:7]
	s_cbranch_execz .LBB1579_354
; %bb.353:
	v_add_co_u32_e32 v10, vcc, v1, v15
	v_lshlrev_b32_e32 v0, 2, v0
	v_addc_co_u32_e32 v11, vcc, 0, v8, vcc
	ds_read_b32 v8, v0 offset:12288
	v_lshlrev_b64 v[0:1], 2, v[10:11]
	v_mov_b32_e32 v10, s9
	v_sub_co_u32_e32 v0, vcc, s8, v0
	v_subb_co_u32_e32 v1, vcc, v10, v1, vcc
	s_waitcnt lgkmcnt(0)
	global_store_dword v[0:1], v8, off
                                        ; implicit-def: $vgpr0
                                        ; implicit-def: $vgpr15
                                        ; implicit-def: $vgpr10_vgpr11
.LBB1579_354:
	s_andn2_saveexec_b64 s[6:7], s[6:7]
	s_cbranch_execz .LBB1579_356
; %bb.355:
	v_lshlrev_b32_e32 v0, 2, v0
	ds_read_b32 v0, v0 offset:12288
	v_lshlrev_b32_e32 v1, 2, v15
	v_readfirstlane_b32 s8, v10
	v_readfirstlane_b32 s9, v11
	s_waitcnt lgkmcnt(0)
	s_nop 3
	global_store_dword v1, v0, s[8:9]
.LBB1579_356:
	s_or_b64 exec, exec, s[6:7]
                                        ; implicit-def: $vgpr0
                                        ; implicit-def: $vgpr15
                                        ; implicit-def: $vgpr12_vgpr13
.LBB1579_357:
	s_andn2_saveexec_b64 s[4:5], s[4:5]
	s_cbranch_execz .LBB1579_359
; %bb.358:
	v_lshlrev_b32_e32 v0, 2, v0
	ds_read_b32 v0, v0 offset:12288
	v_lshlrev_b32_e32 v1, 2, v15
	v_readfirstlane_b32 s4, v12
	v_readfirstlane_b32 s5, v13
	s_waitcnt lgkmcnt(0)
	s_nop 3
	global_store_dword v1, v0, s[4:5]
.LBB1579_359:
	s_or_b64 exec, exec, s[2:3]
	s_and_b64 s[0:1], s[0:1], s[30:31]
	s_and_saveexec_b64 s[2:3], s[0:1]
	s_cbranch_execz .LBB1579_136
.LBB1579_360:
	v_add_co_u32_e32 v0, vcc, v2, v6
	v_addc_co_u32_e32 v1, vcc, 0, v3, vcc
	v_add_co_u32_e32 v2, vcc, v4, v7
	v_addc_co_u32_e32 v3, vcc, 0, v5, vcc
	v_add_co_u32_e32 v2, vcc, v2, v9
	v_mov_b32_e32 v8, 0
	v_addc_co_u32_e32 v3, vcc, 0, v3, vcc
	global_store_dwordx4 v8, v[0:3], s[28:29]
	s_endpgm
	.section	.rodata,"a",@progbits
	.p2align	6, 0x0
	.amdhsa_kernel _ZN7rocprim17ROCPRIM_400000_NS6detail17trampoline_kernelINS0_13select_configILj256ELj13ELNS0_17block_load_methodE3ELS4_3ELS4_3ELNS0_20block_scan_algorithmE0ELj4294967295EEENS1_25partition_config_selectorILNS1_17partition_subalgoE4EjNS0_10empty_typeEbEEZZNS1_14partition_implILS8_4ELb0ES6_15HIP_vector_typeIjLj2EENS0_17counting_iteratorIjlEEPS9_SG_NS0_5tupleIJPjSI_NS0_16reverse_iteratorISI_EEEEENSH_IJSG_SG_SG_EEES9_SI_JZNS1_25segmented_radix_sort_implINS0_14default_configELb0EPKbPbPKlPlN2at6native12_GLOBAL__N_18offset_tEEE10hipError_tPvRmT1_PNSt15iterator_traitsIS12_E10value_typeET2_T3_PNS13_IS18_E10value_typeET4_jRbjT5_S1E_jjP12ihipStream_tbEUljE_ZNSN_ISO_Lb0ESQ_SR_ST_SU_SY_EESZ_S10_S11_S12_S16_S17_S18_S1B_S1C_jS1D_jS1E_S1E_jjS1G_bEUljE0_EEESZ_S10_S11_S18_S1C_S1E_T6_T7_T9_mT8_S1G_bDpT10_ENKUlT_T0_E_clISt17integral_constantIbLb1EES1U_EEDaS1P_S1Q_EUlS1P_E_NS1_11comp_targetILNS1_3genE4ELNS1_11target_archE910ELNS1_3gpuE8ELNS1_3repE0EEENS1_30default_config_static_selectorELNS0_4arch9wavefront6targetE1EEEvS12_
		.amdhsa_group_segment_fixed_size 13340
		.amdhsa_private_segment_fixed_size 0
		.amdhsa_kernarg_size 184
		.amdhsa_user_sgpr_count 6
		.amdhsa_user_sgpr_private_segment_buffer 1
		.amdhsa_user_sgpr_dispatch_ptr 0
		.amdhsa_user_sgpr_queue_ptr 0
		.amdhsa_user_sgpr_kernarg_segment_ptr 1
		.amdhsa_user_sgpr_dispatch_id 0
		.amdhsa_user_sgpr_flat_scratch_init 0
		.amdhsa_user_sgpr_kernarg_preload_length 0
		.amdhsa_user_sgpr_kernarg_preload_offset 0
		.amdhsa_user_sgpr_private_segment_size 0
		.amdhsa_uses_dynamic_stack 0
		.amdhsa_system_sgpr_private_segment_wavefront_offset 0
		.amdhsa_system_sgpr_workgroup_id_x 1
		.amdhsa_system_sgpr_workgroup_id_y 0
		.amdhsa_system_sgpr_workgroup_id_z 0
		.amdhsa_system_sgpr_workgroup_info 0
		.amdhsa_system_vgpr_workitem_id 0
		.amdhsa_next_free_vgpr 107
		.amdhsa_next_free_sgpr 87
		.amdhsa_accum_offset 108
		.amdhsa_reserve_vcc 1
		.amdhsa_reserve_flat_scratch 0
		.amdhsa_float_round_mode_32 0
		.amdhsa_float_round_mode_16_64 0
		.amdhsa_float_denorm_mode_32 3
		.amdhsa_float_denorm_mode_16_64 3
		.amdhsa_dx10_clamp 1
		.amdhsa_ieee_mode 1
		.amdhsa_fp16_overflow 0
		.amdhsa_tg_split 0
		.amdhsa_exception_fp_ieee_invalid_op 0
		.amdhsa_exception_fp_denorm_src 0
		.amdhsa_exception_fp_ieee_div_zero 0
		.amdhsa_exception_fp_ieee_overflow 0
		.amdhsa_exception_fp_ieee_underflow 0
		.amdhsa_exception_fp_ieee_inexact 0
		.amdhsa_exception_int_div_zero 0
	.end_amdhsa_kernel
	.section	.text._ZN7rocprim17ROCPRIM_400000_NS6detail17trampoline_kernelINS0_13select_configILj256ELj13ELNS0_17block_load_methodE3ELS4_3ELS4_3ELNS0_20block_scan_algorithmE0ELj4294967295EEENS1_25partition_config_selectorILNS1_17partition_subalgoE4EjNS0_10empty_typeEbEEZZNS1_14partition_implILS8_4ELb0ES6_15HIP_vector_typeIjLj2EENS0_17counting_iteratorIjlEEPS9_SG_NS0_5tupleIJPjSI_NS0_16reverse_iteratorISI_EEEEENSH_IJSG_SG_SG_EEES9_SI_JZNS1_25segmented_radix_sort_implINS0_14default_configELb0EPKbPbPKlPlN2at6native12_GLOBAL__N_18offset_tEEE10hipError_tPvRmT1_PNSt15iterator_traitsIS12_E10value_typeET2_T3_PNS13_IS18_E10value_typeET4_jRbjT5_S1E_jjP12ihipStream_tbEUljE_ZNSN_ISO_Lb0ESQ_SR_ST_SU_SY_EESZ_S10_S11_S12_S16_S17_S18_S1B_S1C_jS1D_jS1E_S1E_jjS1G_bEUljE0_EEESZ_S10_S11_S18_S1C_S1E_T6_T7_T9_mT8_S1G_bDpT10_ENKUlT_T0_E_clISt17integral_constantIbLb1EES1U_EEDaS1P_S1Q_EUlS1P_E_NS1_11comp_targetILNS1_3genE4ELNS1_11target_archE910ELNS1_3gpuE8ELNS1_3repE0EEENS1_30default_config_static_selectorELNS0_4arch9wavefront6targetE1EEEvS12_,"axG",@progbits,_ZN7rocprim17ROCPRIM_400000_NS6detail17trampoline_kernelINS0_13select_configILj256ELj13ELNS0_17block_load_methodE3ELS4_3ELS4_3ELNS0_20block_scan_algorithmE0ELj4294967295EEENS1_25partition_config_selectorILNS1_17partition_subalgoE4EjNS0_10empty_typeEbEEZZNS1_14partition_implILS8_4ELb0ES6_15HIP_vector_typeIjLj2EENS0_17counting_iteratorIjlEEPS9_SG_NS0_5tupleIJPjSI_NS0_16reverse_iteratorISI_EEEEENSH_IJSG_SG_SG_EEES9_SI_JZNS1_25segmented_radix_sort_implINS0_14default_configELb0EPKbPbPKlPlN2at6native12_GLOBAL__N_18offset_tEEE10hipError_tPvRmT1_PNSt15iterator_traitsIS12_E10value_typeET2_T3_PNS13_IS18_E10value_typeET4_jRbjT5_S1E_jjP12ihipStream_tbEUljE_ZNSN_ISO_Lb0ESQ_SR_ST_SU_SY_EESZ_S10_S11_S12_S16_S17_S18_S1B_S1C_jS1D_jS1E_S1E_jjS1G_bEUljE0_EEESZ_S10_S11_S18_S1C_S1E_T6_T7_T9_mT8_S1G_bDpT10_ENKUlT_T0_E_clISt17integral_constantIbLb1EES1U_EEDaS1P_S1Q_EUlS1P_E_NS1_11comp_targetILNS1_3genE4ELNS1_11target_archE910ELNS1_3gpuE8ELNS1_3repE0EEENS1_30default_config_static_selectorELNS0_4arch9wavefront6targetE1EEEvS12_,comdat
.Lfunc_end1579:
	.size	_ZN7rocprim17ROCPRIM_400000_NS6detail17trampoline_kernelINS0_13select_configILj256ELj13ELNS0_17block_load_methodE3ELS4_3ELS4_3ELNS0_20block_scan_algorithmE0ELj4294967295EEENS1_25partition_config_selectorILNS1_17partition_subalgoE4EjNS0_10empty_typeEbEEZZNS1_14partition_implILS8_4ELb0ES6_15HIP_vector_typeIjLj2EENS0_17counting_iteratorIjlEEPS9_SG_NS0_5tupleIJPjSI_NS0_16reverse_iteratorISI_EEEEENSH_IJSG_SG_SG_EEES9_SI_JZNS1_25segmented_radix_sort_implINS0_14default_configELb0EPKbPbPKlPlN2at6native12_GLOBAL__N_18offset_tEEE10hipError_tPvRmT1_PNSt15iterator_traitsIS12_E10value_typeET2_T3_PNS13_IS18_E10value_typeET4_jRbjT5_S1E_jjP12ihipStream_tbEUljE_ZNSN_ISO_Lb0ESQ_SR_ST_SU_SY_EESZ_S10_S11_S12_S16_S17_S18_S1B_S1C_jS1D_jS1E_S1E_jjS1G_bEUljE0_EEESZ_S10_S11_S18_S1C_S1E_T6_T7_T9_mT8_S1G_bDpT10_ENKUlT_T0_E_clISt17integral_constantIbLb1EES1U_EEDaS1P_S1Q_EUlS1P_E_NS1_11comp_targetILNS1_3genE4ELNS1_11target_archE910ELNS1_3gpuE8ELNS1_3repE0EEENS1_30default_config_static_selectorELNS0_4arch9wavefront6targetE1EEEvS12_, .Lfunc_end1579-_ZN7rocprim17ROCPRIM_400000_NS6detail17trampoline_kernelINS0_13select_configILj256ELj13ELNS0_17block_load_methodE3ELS4_3ELS4_3ELNS0_20block_scan_algorithmE0ELj4294967295EEENS1_25partition_config_selectorILNS1_17partition_subalgoE4EjNS0_10empty_typeEbEEZZNS1_14partition_implILS8_4ELb0ES6_15HIP_vector_typeIjLj2EENS0_17counting_iteratorIjlEEPS9_SG_NS0_5tupleIJPjSI_NS0_16reverse_iteratorISI_EEEEENSH_IJSG_SG_SG_EEES9_SI_JZNS1_25segmented_radix_sort_implINS0_14default_configELb0EPKbPbPKlPlN2at6native12_GLOBAL__N_18offset_tEEE10hipError_tPvRmT1_PNSt15iterator_traitsIS12_E10value_typeET2_T3_PNS13_IS18_E10value_typeET4_jRbjT5_S1E_jjP12ihipStream_tbEUljE_ZNSN_ISO_Lb0ESQ_SR_ST_SU_SY_EESZ_S10_S11_S12_S16_S17_S18_S1B_S1C_jS1D_jS1E_S1E_jjS1G_bEUljE0_EEESZ_S10_S11_S18_S1C_S1E_T6_T7_T9_mT8_S1G_bDpT10_ENKUlT_T0_E_clISt17integral_constantIbLb1EES1U_EEDaS1P_S1Q_EUlS1P_E_NS1_11comp_targetILNS1_3genE4ELNS1_11target_archE910ELNS1_3gpuE8ELNS1_3repE0EEENS1_30default_config_static_selectorELNS0_4arch9wavefront6targetE1EEEvS12_
                                        ; -- End function
	.section	.AMDGPU.csdata,"",@progbits
; Kernel info:
; codeLenInByte = 13512
; NumSgprs: 91
; NumVgprs: 107
; NumAgprs: 0
; TotalNumVgprs: 107
; ScratchSize: 0
; MemoryBound: 0
; FloatMode: 240
; IeeeMode: 1
; LDSByteSize: 13340 bytes/workgroup (compile time only)
; SGPRBlocks: 11
; VGPRBlocks: 13
; NumSGPRsForWavesPerEU: 91
; NumVGPRsForWavesPerEU: 107
; AccumOffset: 108
; Occupancy: 4
; WaveLimiterHint : 1
; COMPUTE_PGM_RSRC2:SCRATCH_EN: 0
; COMPUTE_PGM_RSRC2:USER_SGPR: 6
; COMPUTE_PGM_RSRC2:TRAP_HANDLER: 0
; COMPUTE_PGM_RSRC2:TGID_X_EN: 1
; COMPUTE_PGM_RSRC2:TGID_Y_EN: 0
; COMPUTE_PGM_RSRC2:TGID_Z_EN: 0
; COMPUTE_PGM_RSRC2:TIDIG_COMP_CNT: 0
; COMPUTE_PGM_RSRC3_GFX90A:ACCUM_OFFSET: 26
; COMPUTE_PGM_RSRC3_GFX90A:TG_SPLIT: 0
	.section	.text._ZN7rocprim17ROCPRIM_400000_NS6detail17trampoline_kernelINS0_13select_configILj256ELj13ELNS0_17block_load_methodE3ELS4_3ELS4_3ELNS0_20block_scan_algorithmE0ELj4294967295EEENS1_25partition_config_selectorILNS1_17partition_subalgoE4EjNS0_10empty_typeEbEEZZNS1_14partition_implILS8_4ELb0ES6_15HIP_vector_typeIjLj2EENS0_17counting_iteratorIjlEEPS9_SG_NS0_5tupleIJPjSI_NS0_16reverse_iteratorISI_EEEEENSH_IJSG_SG_SG_EEES9_SI_JZNS1_25segmented_radix_sort_implINS0_14default_configELb0EPKbPbPKlPlN2at6native12_GLOBAL__N_18offset_tEEE10hipError_tPvRmT1_PNSt15iterator_traitsIS12_E10value_typeET2_T3_PNS13_IS18_E10value_typeET4_jRbjT5_S1E_jjP12ihipStream_tbEUljE_ZNSN_ISO_Lb0ESQ_SR_ST_SU_SY_EESZ_S10_S11_S12_S16_S17_S18_S1B_S1C_jS1D_jS1E_S1E_jjS1G_bEUljE0_EEESZ_S10_S11_S18_S1C_S1E_T6_T7_T9_mT8_S1G_bDpT10_ENKUlT_T0_E_clISt17integral_constantIbLb1EES1U_EEDaS1P_S1Q_EUlS1P_E_NS1_11comp_targetILNS1_3genE3ELNS1_11target_archE908ELNS1_3gpuE7ELNS1_3repE0EEENS1_30default_config_static_selectorELNS0_4arch9wavefront6targetE1EEEvS12_,"axG",@progbits,_ZN7rocprim17ROCPRIM_400000_NS6detail17trampoline_kernelINS0_13select_configILj256ELj13ELNS0_17block_load_methodE3ELS4_3ELS4_3ELNS0_20block_scan_algorithmE0ELj4294967295EEENS1_25partition_config_selectorILNS1_17partition_subalgoE4EjNS0_10empty_typeEbEEZZNS1_14partition_implILS8_4ELb0ES6_15HIP_vector_typeIjLj2EENS0_17counting_iteratorIjlEEPS9_SG_NS0_5tupleIJPjSI_NS0_16reverse_iteratorISI_EEEEENSH_IJSG_SG_SG_EEES9_SI_JZNS1_25segmented_radix_sort_implINS0_14default_configELb0EPKbPbPKlPlN2at6native12_GLOBAL__N_18offset_tEEE10hipError_tPvRmT1_PNSt15iterator_traitsIS12_E10value_typeET2_T3_PNS13_IS18_E10value_typeET4_jRbjT5_S1E_jjP12ihipStream_tbEUljE_ZNSN_ISO_Lb0ESQ_SR_ST_SU_SY_EESZ_S10_S11_S12_S16_S17_S18_S1B_S1C_jS1D_jS1E_S1E_jjS1G_bEUljE0_EEESZ_S10_S11_S18_S1C_S1E_T6_T7_T9_mT8_S1G_bDpT10_ENKUlT_T0_E_clISt17integral_constantIbLb1EES1U_EEDaS1P_S1Q_EUlS1P_E_NS1_11comp_targetILNS1_3genE3ELNS1_11target_archE908ELNS1_3gpuE7ELNS1_3repE0EEENS1_30default_config_static_selectorELNS0_4arch9wavefront6targetE1EEEvS12_,comdat
	.globl	_ZN7rocprim17ROCPRIM_400000_NS6detail17trampoline_kernelINS0_13select_configILj256ELj13ELNS0_17block_load_methodE3ELS4_3ELS4_3ELNS0_20block_scan_algorithmE0ELj4294967295EEENS1_25partition_config_selectorILNS1_17partition_subalgoE4EjNS0_10empty_typeEbEEZZNS1_14partition_implILS8_4ELb0ES6_15HIP_vector_typeIjLj2EENS0_17counting_iteratorIjlEEPS9_SG_NS0_5tupleIJPjSI_NS0_16reverse_iteratorISI_EEEEENSH_IJSG_SG_SG_EEES9_SI_JZNS1_25segmented_radix_sort_implINS0_14default_configELb0EPKbPbPKlPlN2at6native12_GLOBAL__N_18offset_tEEE10hipError_tPvRmT1_PNSt15iterator_traitsIS12_E10value_typeET2_T3_PNS13_IS18_E10value_typeET4_jRbjT5_S1E_jjP12ihipStream_tbEUljE_ZNSN_ISO_Lb0ESQ_SR_ST_SU_SY_EESZ_S10_S11_S12_S16_S17_S18_S1B_S1C_jS1D_jS1E_S1E_jjS1G_bEUljE0_EEESZ_S10_S11_S18_S1C_S1E_T6_T7_T9_mT8_S1G_bDpT10_ENKUlT_T0_E_clISt17integral_constantIbLb1EES1U_EEDaS1P_S1Q_EUlS1P_E_NS1_11comp_targetILNS1_3genE3ELNS1_11target_archE908ELNS1_3gpuE7ELNS1_3repE0EEENS1_30default_config_static_selectorELNS0_4arch9wavefront6targetE1EEEvS12_ ; -- Begin function _ZN7rocprim17ROCPRIM_400000_NS6detail17trampoline_kernelINS0_13select_configILj256ELj13ELNS0_17block_load_methodE3ELS4_3ELS4_3ELNS0_20block_scan_algorithmE0ELj4294967295EEENS1_25partition_config_selectorILNS1_17partition_subalgoE4EjNS0_10empty_typeEbEEZZNS1_14partition_implILS8_4ELb0ES6_15HIP_vector_typeIjLj2EENS0_17counting_iteratorIjlEEPS9_SG_NS0_5tupleIJPjSI_NS0_16reverse_iteratorISI_EEEEENSH_IJSG_SG_SG_EEES9_SI_JZNS1_25segmented_radix_sort_implINS0_14default_configELb0EPKbPbPKlPlN2at6native12_GLOBAL__N_18offset_tEEE10hipError_tPvRmT1_PNSt15iterator_traitsIS12_E10value_typeET2_T3_PNS13_IS18_E10value_typeET4_jRbjT5_S1E_jjP12ihipStream_tbEUljE_ZNSN_ISO_Lb0ESQ_SR_ST_SU_SY_EESZ_S10_S11_S12_S16_S17_S18_S1B_S1C_jS1D_jS1E_S1E_jjS1G_bEUljE0_EEESZ_S10_S11_S18_S1C_S1E_T6_T7_T9_mT8_S1G_bDpT10_ENKUlT_T0_E_clISt17integral_constantIbLb1EES1U_EEDaS1P_S1Q_EUlS1P_E_NS1_11comp_targetILNS1_3genE3ELNS1_11target_archE908ELNS1_3gpuE7ELNS1_3repE0EEENS1_30default_config_static_selectorELNS0_4arch9wavefront6targetE1EEEvS12_
	.p2align	8
	.type	_ZN7rocprim17ROCPRIM_400000_NS6detail17trampoline_kernelINS0_13select_configILj256ELj13ELNS0_17block_load_methodE3ELS4_3ELS4_3ELNS0_20block_scan_algorithmE0ELj4294967295EEENS1_25partition_config_selectorILNS1_17partition_subalgoE4EjNS0_10empty_typeEbEEZZNS1_14partition_implILS8_4ELb0ES6_15HIP_vector_typeIjLj2EENS0_17counting_iteratorIjlEEPS9_SG_NS0_5tupleIJPjSI_NS0_16reverse_iteratorISI_EEEEENSH_IJSG_SG_SG_EEES9_SI_JZNS1_25segmented_radix_sort_implINS0_14default_configELb0EPKbPbPKlPlN2at6native12_GLOBAL__N_18offset_tEEE10hipError_tPvRmT1_PNSt15iterator_traitsIS12_E10value_typeET2_T3_PNS13_IS18_E10value_typeET4_jRbjT5_S1E_jjP12ihipStream_tbEUljE_ZNSN_ISO_Lb0ESQ_SR_ST_SU_SY_EESZ_S10_S11_S12_S16_S17_S18_S1B_S1C_jS1D_jS1E_S1E_jjS1G_bEUljE0_EEESZ_S10_S11_S18_S1C_S1E_T6_T7_T9_mT8_S1G_bDpT10_ENKUlT_T0_E_clISt17integral_constantIbLb1EES1U_EEDaS1P_S1Q_EUlS1P_E_NS1_11comp_targetILNS1_3genE3ELNS1_11target_archE908ELNS1_3gpuE7ELNS1_3repE0EEENS1_30default_config_static_selectorELNS0_4arch9wavefront6targetE1EEEvS12_,@function
_ZN7rocprim17ROCPRIM_400000_NS6detail17trampoline_kernelINS0_13select_configILj256ELj13ELNS0_17block_load_methodE3ELS4_3ELS4_3ELNS0_20block_scan_algorithmE0ELj4294967295EEENS1_25partition_config_selectorILNS1_17partition_subalgoE4EjNS0_10empty_typeEbEEZZNS1_14partition_implILS8_4ELb0ES6_15HIP_vector_typeIjLj2EENS0_17counting_iteratorIjlEEPS9_SG_NS0_5tupleIJPjSI_NS0_16reverse_iteratorISI_EEEEENSH_IJSG_SG_SG_EEES9_SI_JZNS1_25segmented_radix_sort_implINS0_14default_configELb0EPKbPbPKlPlN2at6native12_GLOBAL__N_18offset_tEEE10hipError_tPvRmT1_PNSt15iterator_traitsIS12_E10value_typeET2_T3_PNS13_IS18_E10value_typeET4_jRbjT5_S1E_jjP12ihipStream_tbEUljE_ZNSN_ISO_Lb0ESQ_SR_ST_SU_SY_EESZ_S10_S11_S12_S16_S17_S18_S1B_S1C_jS1D_jS1E_S1E_jjS1G_bEUljE0_EEESZ_S10_S11_S18_S1C_S1E_T6_T7_T9_mT8_S1G_bDpT10_ENKUlT_T0_E_clISt17integral_constantIbLb1EES1U_EEDaS1P_S1Q_EUlS1P_E_NS1_11comp_targetILNS1_3genE3ELNS1_11target_archE908ELNS1_3gpuE7ELNS1_3repE0EEENS1_30default_config_static_selectorELNS0_4arch9wavefront6targetE1EEEvS12_: ; @_ZN7rocprim17ROCPRIM_400000_NS6detail17trampoline_kernelINS0_13select_configILj256ELj13ELNS0_17block_load_methodE3ELS4_3ELS4_3ELNS0_20block_scan_algorithmE0ELj4294967295EEENS1_25partition_config_selectorILNS1_17partition_subalgoE4EjNS0_10empty_typeEbEEZZNS1_14partition_implILS8_4ELb0ES6_15HIP_vector_typeIjLj2EENS0_17counting_iteratorIjlEEPS9_SG_NS0_5tupleIJPjSI_NS0_16reverse_iteratorISI_EEEEENSH_IJSG_SG_SG_EEES9_SI_JZNS1_25segmented_radix_sort_implINS0_14default_configELb0EPKbPbPKlPlN2at6native12_GLOBAL__N_18offset_tEEE10hipError_tPvRmT1_PNSt15iterator_traitsIS12_E10value_typeET2_T3_PNS13_IS18_E10value_typeET4_jRbjT5_S1E_jjP12ihipStream_tbEUljE_ZNSN_ISO_Lb0ESQ_SR_ST_SU_SY_EESZ_S10_S11_S12_S16_S17_S18_S1B_S1C_jS1D_jS1E_S1E_jjS1G_bEUljE0_EEESZ_S10_S11_S18_S1C_S1E_T6_T7_T9_mT8_S1G_bDpT10_ENKUlT_T0_E_clISt17integral_constantIbLb1EES1U_EEDaS1P_S1Q_EUlS1P_E_NS1_11comp_targetILNS1_3genE3ELNS1_11target_archE908ELNS1_3gpuE7ELNS1_3repE0EEENS1_30default_config_static_selectorELNS0_4arch9wavefront6targetE1EEEvS12_
; %bb.0:
	.section	.rodata,"a",@progbits
	.p2align	6, 0x0
	.amdhsa_kernel _ZN7rocprim17ROCPRIM_400000_NS6detail17trampoline_kernelINS0_13select_configILj256ELj13ELNS0_17block_load_methodE3ELS4_3ELS4_3ELNS0_20block_scan_algorithmE0ELj4294967295EEENS1_25partition_config_selectorILNS1_17partition_subalgoE4EjNS0_10empty_typeEbEEZZNS1_14partition_implILS8_4ELb0ES6_15HIP_vector_typeIjLj2EENS0_17counting_iteratorIjlEEPS9_SG_NS0_5tupleIJPjSI_NS0_16reverse_iteratorISI_EEEEENSH_IJSG_SG_SG_EEES9_SI_JZNS1_25segmented_radix_sort_implINS0_14default_configELb0EPKbPbPKlPlN2at6native12_GLOBAL__N_18offset_tEEE10hipError_tPvRmT1_PNSt15iterator_traitsIS12_E10value_typeET2_T3_PNS13_IS18_E10value_typeET4_jRbjT5_S1E_jjP12ihipStream_tbEUljE_ZNSN_ISO_Lb0ESQ_SR_ST_SU_SY_EESZ_S10_S11_S12_S16_S17_S18_S1B_S1C_jS1D_jS1E_S1E_jjS1G_bEUljE0_EEESZ_S10_S11_S18_S1C_S1E_T6_T7_T9_mT8_S1G_bDpT10_ENKUlT_T0_E_clISt17integral_constantIbLb1EES1U_EEDaS1P_S1Q_EUlS1P_E_NS1_11comp_targetILNS1_3genE3ELNS1_11target_archE908ELNS1_3gpuE7ELNS1_3repE0EEENS1_30default_config_static_selectorELNS0_4arch9wavefront6targetE1EEEvS12_
		.amdhsa_group_segment_fixed_size 0
		.amdhsa_private_segment_fixed_size 0
		.amdhsa_kernarg_size 184
		.amdhsa_user_sgpr_count 6
		.amdhsa_user_sgpr_private_segment_buffer 1
		.amdhsa_user_sgpr_dispatch_ptr 0
		.amdhsa_user_sgpr_queue_ptr 0
		.amdhsa_user_sgpr_kernarg_segment_ptr 1
		.amdhsa_user_sgpr_dispatch_id 0
		.amdhsa_user_sgpr_flat_scratch_init 0
		.amdhsa_user_sgpr_kernarg_preload_length 0
		.amdhsa_user_sgpr_kernarg_preload_offset 0
		.amdhsa_user_sgpr_private_segment_size 0
		.amdhsa_uses_dynamic_stack 0
		.amdhsa_system_sgpr_private_segment_wavefront_offset 0
		.amdhsa_system_sgpr_workgroup_id_x 1
		.amdhsa_system_sgpr_workgroup_id_y 0
		.amdhsa_system_sgpr_workgroup_id_z 0
		.amdhsa_system_sgpr_workgroup_info 0
		.amdhsa_system_vgpr_workitem_id 0
		.amdhsa_next_free_vgpr 1
		.amdhsa_next_free_sgpr 0
		.amdhsa_accum_offset 4
		.amdhsa_reserve_vcc 0
		.amdhsa_reserve_flat_scratch 0
		.amdhsa_float_round_mode_32 0
		.amdhsa_float_round_mode_16_64 0
		.amdhsa_float_denorm_mode_32 3
		.amdhsa_float_denorm_mode_16_64 3
		.amdhsa_dx10_clamp 1
		.amdhsa_ieee_mode 1
		.amdhsa_fp16_overflow 0
		.amdhsa_tg_split 0
		.amdhsa_exception_fp_ieee_invalid_op 0
		.amdhsa_exception_fp_denorm_src 0
		.amdhsa_exception_fp_ieee_div_zero 0
		.amdhsa_exception_fp_ieee_overflow 0
		.amdhsa_exception_fp_ieee_underflow 0
		.amdhsa_exception_fp_ieee_inexact 0
		.amdhsa_exception_int_div_zero 0
	.end_amdhsa_kernel
	.section	.text._ZN7rocprim17ROCPRIM_400000_NS6detail17trampoline_kernelINS0_13select_configILj256ELj13ELNS0_17block_load_methodE3ELS4_3ELS4_3ELNS0_20block_scan_algorithmE0ELj4294967295EEENS1_25partition_config_selectorILNS1_17partition_subalgoE4EjNS0_10empty_typeEbEEZZNS1_14partition_implILS8_4ELb0ES6_15HIP_vector_typeIjLj2EENS0_17counting_iteratorIjlEEPS9_SG_NS0_5tupleIJPjSI_NS0_16reverse_iteratorISI_EEEEENSH_IJSG_SG_SG_EEES9_SI_JZNS1_25segmented_radix_sort_implINS0_14default_configELb0EPKbPbPKlPlN2at6native12_GLOBAL__N_18offset_tEEE10hipError_tPvRmT1_PNSt15iterator_traitsIS12_E10value_typeET2_T3_PNS13_IS18_E10value_typeET4_jRbjT5_S1E_jjP12ihipStream_tbEUljE_ZNSN_ISO_Lb0ESQ_SR_ST_SU_SY_EESZ_S10_S11_S12_S16_S17_S18_S1B_S1C_jS1D_jS1E_S1E_jjS1G_bEUljE0_EEESZ_S10_S11_S18_S1C_S1E_T6_T7_T9_mT8_S1G_bDpT10_ENKUlT_T0_E_clISt17integral_constantIbLb1EES1U_EEDaS1P_S1Q_EUlS1P_E_NS1_11comp_targetILNS1_3genE3ELNS1_11target_archE908ELNS1_3gpuE7ELNS1_3repE0EEENS1_30default_config_static_selectorELNS0_4arch9wavefront6targetE1EEEvS12_,"axG",@progbits,_ZN7rocprim17ROCPRIM_400000_NS6detail17trampoline_kernelINS0_13select_configILj256ELj13ELNS0_17block_load_methodE3ELS4_3ELS4_3ELNS0_20block_scan_algorithmE0ELj4294967295EEENS1_25partition_config_selectorILNS1_17partition_subalgoE4EjNS0_10empty_typeEbEEZZNS1_14partition_implILS8_4ELb0ES6_15HIP_vector_typeIjLj2EENS0_17counting_iteratorIjlEEPS9_SG_NS0_5tupleIJPjSI_NS0_16reverse_iteratorISI_EEEEENSH_IJSG_SG_SG_EEES9_SI_JZNS1_25segmented_radix_sort_implINS0_14default_configELb0EPKbPbPKlPlN2at6native12_GLOBAL__N_18offset_tEEE10hipError_tPvRmT1_PNSt15iterator_traitsIS12_E10value_typeET2_T3_PNS13_IS18_E10value_typeET4_jRbjT5_S1E_jjP12ihipStream_tbEUljE_ZNSN_ISO_Lb0ESQ_SR_ST_SU_SY_EESZ_S10_S11_S12_S16_S17_S18_S1B_S1C_jS1D_jS1E_S1E_jjS1G_bEUljE0_EEESZ_S10_S11_S18_S1C_S1E_T6_T7_T9_mT8_S1G_bDpT10_ENKUlT_T0_E_clISt17integral_constantIbLb1EES1U_EEDaS1P_S1Q_EUlS1P_E_NS1_11comp_targetILNS1_3genE3ELNS1_11target_archE908ELNS1_3gpuE7ELNS1_3repE0EEENS1_30default_config_static_selectorELNS0_4arch9wavefront6targetE1EEEvS12_,comdat
.Lfunc_end1580:
	.size	_ZN7rocprim17ROCPRIM_400000_NS6detail17trampoline_kernelINS0_13select_configILj256ELj13ELNS0_17block_load_methodE3ELS4_3ELS4_3ELNS0_20block_scan_algorithmE0ELj4294967295EEENS1_25partition_config_selectorILNS1_17partition_subalgoE4EjNS0_10empty_typeEbEEZZNS1_14partition_implILS8_4ELb0ES6_15HIP_vector_typeIjLj2EENS0_17counting_iteratorIjlEEPS9_SG_NS0_5tupleIJPjSI_NS0_16reverse_iteratorISI_EEEEENSH_IJSG_SG_SG_EEES9_SI_JZNS1_25segmented_radix_sort_implINS0_14default_configELb0EPKbPbPKlPlN2at6native12_GLOBAL__N_18offset_tEEE10hipError_tPvRmT1_PNSt15iterator_traitsIS12_E10value_typeET2_T3_PNS13_IS18_E10value_typeET4_jRbjT5_S1E_jjP12ihipStream_tbEUljE_ZNSN_ISO_Lb0ESQ_SR_ST_SU_SY_EESZ_S10_S11_S12_S16_S17_S18_S1B_S1C_jS1D_jS1E_S1E_jjS1G_bEUljE0_EEESZ_S10_S11_S18_S1C_S1E_T6_T7_T9_mT8_S1G_bDpT10_ENKUlT_T0_E_clISt17integral_constantIbLb1EES1U_EEDaS1P_S1Q_EUlS1P_E_NS1_11comp_targetILNS1_3genE3ELNS1_11target_archE908ELNS1_3gpuE7ELNS1_3repE0EEENS1_30default_config_static_selectorELNS0_4arch9wavefront6targetE1EEEvS12_, .Lfunc_end1580-_ZN7rocprim17ROCPRIM_400000_NS6detail17trampoline_kernelINS0_13select_configILj256ELj13ELNS0_17block_load_methodE3ELS4_3ELS4_3ELNS0_20block_scan_algorithmE0ELj4294967295EEENS1_25partition_config_selectorILNS1_17partition_subalgoE4EjNS0_10empty_typeEbEEZZNS1_14partition_implILS8_4ELb0ES6_15HIP_vector_typeIjLj2EENS0_17counting_iteratorIjlEEPS9_SG_NS0_5tupleIJPjSI_NS0_16reverse_iteratorISI_EEEEENSH_IJSG_SG_SG_EEES9_SI_JZNS1_25segmented_radix_sort_implINS0_14default_configELb0EPKbPbPKlPlN2at6native12_GLOBAL__N_18offset_tEEE10hipError_tPvRmT1_PNSt15iterator_traitsIS12_E10value_typeET2_T3_PNS13_IS18_E10value_typeET4_jRbjT5_S1E_jjP12ihipStream_tbEUljE_ZNSN_ISO_Lb0ESQ_SR_ST_SU_SY_EESZ_S10_S11_S12_S16_S17_S18_S1B_S1C_jS1D_jS1E_S1E_jjS1G_bEUljE0_EEESZ_S10_S11_S18_S1C_S1E_T6_T7_T9_mT8_S1G_bDpT10_ENKUlT_T0_E_clISt17integral_constantIbLb1EES1U_EEDaS1P_S1Q_EUlS1P_E_NS1_11comp_targetILNS1_3genE3ELNS1_11target_archE908ELNS1_3gpuE7ELNS1_3repE0EEENS1_30default_config_static_selectorELNS0_4arch9wavefront6targetE1EEEvS12_
                                        ; -- End function
	.section	.AMDGPU.csdata,"",@progbits
; Kernel info:
; codeLenInByte = 0
; NumSgprs: 4
; NumVgprs: 0
; NumAgprs: 0
; TotalNumVgprs: 0
; ScratchSize: 0
; MemoryBound: 0
; FloatMode: 240
; IeeeMode: 1
; LDSByteSize: 0 bytes/workgroup (compile time only)
; SGPRBlocks: 0
; VGPRBlocks: 0
; NumSGPRsForWavesPerEU: 4
; NumVGPRsForWavesPerEU: 1
; AccumOffset: 4
; Occupancy: 8
; WaveLimiterHint : 0
; COMPUTE_PGM_RSRC2:SCRATCH_EN: 0
; COMPUTE_PGM_RSRC2:USER_SGPR: 6
; COMPUTE_PGM_RSRC2:TRAP_HANDLER: 0
; COMPUTE_PGM_RSRC2:TGID_X_EN: 1
; COMPUTE_PGM_RSRC2:TGID_Y_EN: 0
; COMPUTE_PGM_RSRC2:TGID_Z_EN: 0
; COMPUTE_PGM_RSRC2:TIDIG_COMP_CNT: 0
; COMPUTE_PGM_RSRC3_GFX90A:ACCUM_OFFSET: 0
; COMPUTE_PGM_RSRC3_GFX90A:TG_SPLIT: 0
	.section	.text._ZN7rocprim17ROCPRIM_400000_NS6detail17trampoline_kernelINS0_13select_configILj256ELj13ELNS0_17block_load_methodE3ELS4_3ELS4_3ELNS0_20block_scan_algorithmE0ELj4294967295EEENS1_25partition_config_selectorILNS1_17partition_subalgoE4EjNS0_10empty_typeEbEEZZNS1_14partition_implILS8_4ELb0ES6_15HIP_vector_typeIjLj2EENS0_17counting_iteratorIjlEEPS9_SG_NS0_5tupleIJPjSI_NS0_16reverse_iteratorISI_EEEEENSH_IJSG_SG_SG_EEES9_SI_JZNS1_25segmented_radix_sort_implINS0_14default_configELb0EPKbPbPKlPlN2at6native12_GLOBAL__N_18offset_tEEE10hipError_tPvRmT1_PNSt15iterator_traitsIS12_E10value_typeET2_T3_PNS13_IS18_E10value_typeET4_jRbjT5_S1E_jjP12ihipStream_tbEUljE_ZNSN_ISO_Lb0ESQ_SR_ST_SU_SY_EESZ_S10_S11_S12_S16_S17_S18_S1B_S1C_jS1D_jS1E_S1E_jjS1G_bEUljE0_EEESZ_S10_S11_S18_S1C_S1E_T6_T7_T9_mT8_S1G_bDpT10_ENKUlT_T0_E_clISt17integral_constantIbLb1EES1U_EEDaS1P_S1Q_EUlS1P_E_NS1_11comp_targetILNS1_3genE2ELNS1_11target_archE906ELNS1_3gpuE6ELNS1_3repE0EEENS1_30default_config_static_selectorELNS0_4arch9wavefront6targetE1EEEvS12_,"axG",@progbits,_ZN7rocprim17ROCPRIM_400000_NS6detail17trampoline_kernelINS0_13select_configILj256ELj13ELNS0_17block_load_methodE3ELS4_3ELS4_3ELNS0_20block_scan_algorithmE0ELj4294967295EEENS1_25partition_config_selectorILNS1_17partition_subalgoE4EjNS0_10empty_typeEbEEZZNS1_14partition_implILS8_4ELb0ES6_15HIP_vector_typeIjLj2EENS0_17counting_iteratorIjlEEPS9_SG_NS0_5tupleIJPjSI_NS0_16reverse_iteratorISI_EEEEENSH_IJSG_SG_SG_EEES9_SI_JZNS1_25segmented_radix_sort_implINS0_14default_configELb0EPKbPbPKlPlN2at6native12_GLOBAL__N_18offset_tEEE10hipError_tPvRmT1_PNSt15iterator_traitsIS12_E10value_typeET2_T3_PNS13_IS18_E10value_typeET4_jRbjT5_S1E_jjP12ihipStream_tbEUljE_ZNSN_ISO_Lb0ESQ_SR_ST_SU_SY_EESZ_S10_S11_S12_S16_S17_S18_S1B_S1C_jS1D_jS1E_S1E_jjS1G_bEUljE0_EEESZ_S10_S11_S18_S1C_S1E_T6_T7_T9_mT8_S1G_bDpT10_ENKUlT_T0_E_clISt17integral_constantIbLb1EES1U_EEDaS1P_S1Q_EUlS1P_E_NS1_11comp_targetILNS1_3genE2ELNS1_11target_archE906ELNS1_3gpuE6ELNS1_3repE0EEENS1_30default_config_static_selectorELNS0_4arch9wavefront6targetE1EEEvS12_,comdat
	.globl	_ZN7rocprim17ROCPRIM_400000_NS6detail17trampoline_kernelINS0_13select_configILj256ELj13ELNS0_17block_load_methodE3ELS4_3ELS4_3ELNS0_20block_scan_algorithmE0ELj4294967295EEENS1_25partition_config_selectorILNS1_17partition_subalgoE4EjNS0_10empty_typeEbEEZZNS1_14partition_implILS8_4ELb0ES6_15HIP_vector_typeIjLj2EENS0_17counting_iteratorIjlEEPS9_SG_NS0_5tupleIJPjSI_NS0_16reverse_iteratorISI_EEEEENSH_IJSG_SG_SG_EEES9_SI_JZNS1_25segmented_radix_sort_implINS0_14default_configELb0EPKbPbPKlPlN2at6native12_GLOBAL__N_18offset_tEEE10hipError_tPvRmT1_PNSt15iterator_traitsIS12_E10value_typeET2_T3_PNS13_IS18_E10value_typeET4_jRbjT5_S1E_jjP12ihipStream_tbEUljE_ZNSN_ISO_Lb0ESQ_SR_ST_SU_SY_EESZ_S10_S11_S12_S16_S17_S18_S1B_S1C_jS1D_jS1E_S1E_jjS1G_bEUljE0_EEESZ_S10_S11_S18_S1C_S1E_T6_T7_T9_mT8_S1G_bDpT10_ENKUlT_T0_E_clISt17integral_constantIbLb1EES1U_EEDaS1P_S1Q_EUlS1P_E_NS1_11comp_targetILNS1_3genE2ELNS1_11target_archE906ELNS1_3gpuE6ELNS1_3repE0EEENS1_30default_config_static_selectorELNS0_4arch9wavefront6targetE1EEEvS12_ ; -- Begin function _ZN7rocprim17ROCPRIM_400000_NS6detail17trampoline_kernelINS0_13select_configILj256ELj13ELNS0_17block_load_methodE3ELS4_3ELS4_3ELNS0_20block_scan_algorithmE0ELj4294967295EEENS1_25partition_config_selectorILNS1_17partition_subalgoE4EjNS0_10empty_typeEbEEZZNS1_14partition_implILS8_4ELb0ES6_15HIP_vector_typeIjLj2EENS0_17counting_iteratorIjlEEPS9_SG_NS0_5tupleIJPjSI_NS0_16reverse_iteratorISI_EEEEENSH_IJSG_SG_SG_EEES9_SI_JZNS1_25segmented_radix_sort_implINS0_14default_configELb0EPKbPbPKlPlN2at6native12_GLOBAL__N_18offset_tEEE10hipError_tPvRmT1_PNSt15iterator_traitsIS12_E10value_typeET2_T3_PNS13_IS18_E10value_typeET4_jRbjT5_S1E_jjP12ihipStream_tbEUljE_ZNSN_ISO_Lb0ESQ_SR_ST_SU_SY_EESZ_S10_S11_S12_S16_S17_S18_S1B_S1C_jS1D_jS1E_S1E_jjS1G_bEUljE0_EEESZ_S10_S11_S18_S1C_S1E_T6_T7_T9_mT8_S1G_bDpT10_ENKUlT_T0_E_clISt17integral_constantIbLb1EES1U_EEDaS1P_S1Q_EUlS1P_E_NS1_11comp_targetILNS1_3genE2ELNS1_11target_archE906ELNS1_3gpuE6ELNS1_3repE0EEENS1_30default_config_static_selectorELNS0_4arch9wavefront6targetE1EEEvS12_
	.p2align	8
	.type	_ZN7rocprim17ROCPRIM_400000_NS6detail17trampoline_kernelINS0_13select_configILj256ELj13ELNS0_17block_load_methodE3ELS4_3ELS4_3ELNS0_20block_scan_algorithmE0ELj4294967295EEENS1_25partition_config_selectorILNS1_17partition_subalgoE4EjNS0_10empty_typeEbEEZZNS1_14partition_implILS8_4ELb0ES6_15HIP_vector_typeIjLj2EENS0_17counting_iteratorIjlEEPS9_SG_NS0_5tupleIJPjSI_NS0_16reverse_iteratorISI_EEEEENSH_IJSG_SG_SG_EEES9_SI_JZNS1_25segmented_radix_sort_implINS0_14default_configELb0EPKbPbPKlPlN2at6native12_GLOBAL__N_18offset_tEEE10hipError_tPvRmT1_PNSt15iterator_traitsIS12_E10value_typeET2_T3_PNS13_IS18_E10value_typeET4_jRbjT5_S1E_jjP12ihipStream_tbEUljE_ZNSN_ISO_Lb0ESQ_SR_ST_SU_SY_EESZ_S10_S11_S12_S16_S17_S18_S1B_S1C_jS1D_jS1E_S1E_jjS1G_bEUljE0_EEESZ_S10_S11_S18_S1C_S1E_T6_T7_T9_mT8_S1G_bDpT10_ENKUlT_T0_E_clISt17integral_constantIbLb1EES1U_EEDaS1P_S1Q_EUlS1P_E_NS1_11comp_targetILNS1_3genE2ELNS1_11target_archE906ELNS1_3gpuE6ELNS1_3repE0EEENS1_30default_config_static_selectorELNS0_4arch9wavefront6targetE1EEEvS12_,@function
_ZN7rocprim17ROCPRIM_400000_NS6detail17trampoline_kernelINS0_13select_configILj256ELj13ELNS0_17block_load_methodE3ELS4_3ELS4_3ELNS0_20block_scan_algorithmE0ELj4294967295EEENS1_25partition_config_selectorILNS1_17partition_subalgoE4EjNS0_10empty_typeEbEEZZNS1_14partition_implILS8_4ELb0ES6_15HIP_vector_typeIjLj2EENS0_17counting_iteratorIjlEEPS9_SG_NS0_5tupleIJPjSI_NS0_16reverse_iteratorISI_EEEEENSH_IJSG_SG_SG_EEES9_SI_JZNS1_25segmented_radix_sort_implINS0_14default_configELb0EPKbPbPKlPlN2at6native12_GLOBAL__N_18offset_tEEE10hipError_tPvRmT1_PNSt15iterator_traitsIS12_E10value_typeET2_T3_PNS13_IS18_E10value_typeET4_jRbjT5_S1E_jjP12ihipStream_tbEUljE_ZNSN_ISO_Lb0ESQ_SR_ST_SU_SY_EESZ_S10_S11_S12_S16_S17_S18_S1B_S1C_jS1D_jS1E_S1E_jjS1G_bEUljE0_EEESZ_S10_S11_S18_S1C_S1E_T6_T7_T9_mT8_S1G_bDpT10_ENKUlT_T0_E_clISt17integral_constantIbLb1EES1U_EEDaS1P_S1Q_EUlS1P_E_NS1_11comp_targetILNS1_3genE2ELNS1_11target_archE906ELNS1_3gpuE6ELNS1_3repE0EEENS1_30default_config_static_selectorELNS0_4arch9wavefront6targetE1EEEvS12_: ; @_ZN7rocprim17ROCPRIM_400000_NS6detail17trampoline_kernelINS0_13select_configILj256ELj13ELNS0_17block_load_methodE3ELS4_3ELS4_3ELNS0_20block_scan_algorithmE0ELj4294967295EEENS1_25partition_config_selectorILNS1_17partition_subalgoE4EjNS0_10empty_typeEbEEZZNS1_14partition_implILS8_4ELb0ES6_15HIP_vector_typeIjLj2EENS0_17counting_iteratorIjlEEPS9_SG_NS0_5tupleIJPjSI_NS0_16reverse_iteratorISI_EEEEENSH_IJSG_SG_SG_EEES9_SI_JZNS1_25segmented_radix_sort_implINS0_14default_configELb0EPKbPbPKlPlN2at6native12_GLOBAL__N_18offset_tEEE10hipError_tPvRmT1_PNSt15iterator_traitsIS12_E10value_typeET2_T3_PNS13_IS18_E10value_typeET4_jRbjT5_S1E_jjP12ihipStream_tbEUljE_ZNSN_ISO_Lb0ESQ_SR_ST_SU_SY_EESZ_S10_S11_S12_S16_S17_S18_S1B_S1C_jS1D_jS1E_S1E_jjS1G_bEUljE0_EEESZ_S10_S11_S18_S1C_S1E_T6_T7_T9_mT8_S1G_bDpT10_ENKUlT_T0_E_clISt17integral_constantIbLb1EES1U_EEDaS1P_S1Q_EUlS1P_E_NS1_11comp_targetILNS1_3genE2ELNS1_11target_archE906ELNS1_3gpuE6ELNS1_3repE0EEENS1_30default_config_static_selectorELNS0_4arch9wavefront6targetE1EEEvS12_
; %bb.0:
	.section	.rodata,"a",@progbits
	.p2align	6, 0x0
	.amdhsa_kernel _ZN7rocprim17ROCPRIM_400000_NS6detail17trampoline_kernelINS0_13select_configILj256ELj13ELNS0_17block_load_methodE3ELS4_3ELS4_3ELNS0_20block_scan_algorithmE0ELj4294967295EEENS1_25partition_config_selectorILNS1_17partition_subalgoE4EjNS0_10empty_typeEbEEZZNS1_14partition_implILS8_4ELb0ES6_15HIP_vector_typeIjLj2EENS0_17counting_iteratorIjlEEPS9_SG_NS0_5tupleIJPjSI_NS0_16reverse_iteratorISI_EEEEENSH_IJSG_SG_SG_EEES9_SI_JZNS1_25segmented_radix_sort_implINS0_14default_configELb0EPKbPbPKlPlN2at6native12_GLOBAL__N_18offset_tEEE10hipError_tPvRmT1_PNSt15iterator_traitsIS12_E10value_typeET2_T3_PNS13_IS18_E10value_typeET4_jRbjT5_S1E_jjP12ihipStream_tbEUljE_ZNSN_ISO_Lb0ESQ_SR_ST_SU_SY_EESZ_S10_S11_S12_S16_S17_S18_S1B_S1C_jS1D_jS1E_S1E_jjS1G_bEUljE0_EEESZ_S10_S11_S18_S1C_S1E_T6_T7_T9_mT8_S1G_bDpT10_ENKUlT_T0_E_clISt17integral_constantIbLb1EES1U_EEDaS1P_S1Q_EUlS1P_E_NS1_11comp_targetILNS1_3genE2ELNS1_11target_archE906ELNS1_3gpuE6ELNS1_3repE0EEENS1_30default_config_static_selectorELNS0_4arch9wavefront6targetE1EEEvS12_
		.amdhsa_group_segment_fixed_size 0
		.amdhsa_private_segment_fixed_size 0
		.amdhsa_kernarg_size 184
		.amdhsa_user_sgpr_count 6
		.amdhsa_user_sgpr_private_segment_buffer 1
		.amdhsa_user_sgpr_dispatch_ptr 0
		.amdhsa_user_sgpr_queue_ptr 0
		.amdhsa_user_sgpr_kernarg_segment_ptr 1
		.amdhsa_user_sgpr_dispatch_id 0
		.amdhsa_user_sgpr_flat_scratch_init 0
		.amdhsa_user_sgpr_kernarg_preload_length 0
		.amdhsa_user_sgpr_kernarg_preload_offset 0
		.amdhsa_user_sgpr_private_segment_size 0
		.amdhsa_uses_dynamic_stack 0
		.amdhsa_system_sgpr_private_segment_wavefront_offset 0
		.amdhsa_system_sgpr_workgroup_id_x 1
		.amdhsa_system_sgpr_workgroup_id_y 0
		.amdhsa_system_sgpr_workgroup_id_z 0
		.amdhsa_system_sgpr_workgroup_info 0
		.amdhsa_system_vgpr_workitem_id 0
		.amdhsa_next_free_vgpr 1
		.amdhsa_next_free_sgpr 0
		.amdhsa_accum_offset 4
		.amdhsa_reserve_vcc 0
		.amdhsa_reserve_flat_scratch 0
		.amdhsa_float_round_mode_32 0
		.amdhsa_float_round_mode_16_64 0
		.amdhsa_float_denorm_mode_32 3
		.amdhsa_float_denorm_mode_16_64 3
		.amdhsa_dx10_clamp 1
		.amdhsa_ieee_mode 1
		.amdhsa_fp16_overflow 0
		.amdhsa_tg_split 0
		.amdhsa_exception_fp_ieee_invalid_op 0
		.amdhsa_exception_fp_denorm_src 0
		.amdhsa_exception_fp_ieee_div_zero 0
		.amdhsa_exception_fp_ieee_overflow 0
		.amdhsa_exception_fp_ieee_underflow 0
		.amdhsa_exception_fp_ieee_inexact 0
		.amdhsa_exception_int_div_zero 0
	.end_amdhsa_kernel
	.section	.text._ZN7rocprim17ROCPRIM_400000_NS6detail17trampoline_kernelINS0_13select_configILj256ELj13ELNS0_17block_load_methodE3ELS4_3ELS4_3ELNS0_20block_scan_algorithmE0ELj4294967295EEENS1_25partition_config_selectorILNS1_17partition_subalgoE4EjNS0_10empty_typeEbEEZZNS1_14partition_implILS8_4ELb0ES6_15HIP_vector_typeIjLj2EENS0_17counting_iteratorIjlEEPS9_SG_NS0_5tupleIJPjSI_NS0_16reverse_iteratorISI_EEEEENSH_IJSG_SG_SG_EEES9_SI_JZNS1_25segmented_radix_sort_implINS0_14default_configELb0EPKbPbPKlPlN2at6native12_GLOBAL__N_18offset_tEEE10hipError_tPvRmT1_PNSt15iterator_traitsIS12_E10value_typeET2_T3_PNS13_IS18_E10value_typeET4_jRbjT5_S1E_jjP12ihipStream_tbEUljE_ZNSN_ISO_Lb0ESQ_SR_ST_SU_SY_EESZ_S10_S11_S12_S16_S17_S18_S1B_S1C_jS1D_jS1E_S1E_jjS1G_bEUljE0_EEESZ_S10_S11_S18_S1C_S1E_T6_T7_T9_mT8_S1G_bDpT10_ENKUlT_T0_E_clISt17integral_constantIbLb1EES1U_EEDaS1P_S1Q_EUlS1P_E_NS1_11comp_targetILNS1_3genE2ELNS1_11target_archE906ELNS1_3gpuE6ELNS1_3repE0EEENS1_30default_config_static_selectorELNS0_4arch9wavefront6targetE1EEEvS12_,"axG",@progbits,_ZN7rocprim17ROCPRIM_400000_NS6detail17trampoline_kernelINS0_13select_configILj256ELj13ELNS0_17block_load_methodE3ELS4_3ELS4_3ELNS0_20block_scan_algorithmE0ELj4294967295EEENS1_25partition_config_selectorILNS1_17partition_subalgoE4EjNS0_10empty_typeEbEEZZNS1_14partition_implILS8_4ELb0ES6_15HIP_vector_typeIjLj2EENS0_17counting_iteratorIjlEEPS9_SG_NS0_5tupleIJPjSI_NS0_16reverse_iteratorISI_EEEEENSH_IJSG_SG_SG_EEES9_SI_JZNS1_25segmented_radix_sort_implINS0_14default_configELb0EPKbPbPKlPlN2at6native12_GLOBAL__N_18offset_tEEE10hipError_tPvRmT1_PNSt15iterator_traitsIS12_E10value_typeET2_T3_PNS13_IS18_E10value_typeET4_jRbjT5_S1E_jjP12ihipStream_tbEUljE_ZNSN_ISO_Lb0ESQ_SR_ST_SU_SY_EESZ_S10_S11_S12_S16_S17_S18_S1B_S1C_jS1D_jS1E_S1E_jjS1G_bEUljE0_EEESZ_S10_S11_S18_S1C_S1E_T6_T7_T9_mT8_S1G_bDpT10_ENKUlT_T0_E_clISt17integral_constantIbLb1EES1U_EEDaS1P_S1Q_EUlS1P_E_NS1_11comp_targetILNS1_3genE2ELNS1_11target_archE906ELNS1_3gpuE6ELNS1_3repE0EEENS1_30default_config_static_selectorELNS0_4arch9wavefront6targetE1EEEvS12_,comdat
.Lfunc_end1581:
	.size	_ZN7rocprim17ROCPRIM_400000_NS6detail17trampoline_kernelINS0_13select_configILj256ELj13ELNS0_17block_load_methodE3ELS4_3ELS4_3ELNS0_20block_scan_algorithmE0ELj4294967295EEENS1_25partition_config_selectorILNS1_17partition_subalgoE4EjNS0_10empty_typeEbEEZZNS1_14partition_implILS8_4ELb0ES6_15HIP_vector_typeIjLj2EENS0_17counting_iteratorIjlEEPS9_SG_NS0_5tupleIJPjSI_NS0_16reverse_iteratorISI_EEEEENSH_IJSG_SG_SG_EEES9_SI_JZNS1_25segmented_radix_sort_implINS0_14default_configELb0EPKbPbPKlPlN2at6native12_GLOBAL__N_18offset_tEEE10hipError_tPvRmT1_PNSt15iterator_traitsIS12_E10value_typeET2_T3_PNS13_IS18_E10value_typeET4_jRbjT5_S1E_jjP12ihipStream_tbEUljE_ZNSN_ISO_Lb0ESQ_SR_ST_SU_SY_EESZ_S10_S11_S12_S16_S17_S18_S1B_S1C_jS1D_jS1E_S1E_jjS1G_bEUljE0_EEESZ_S10_S11_S18_S1C_S1E_T6_T7_T9_mT8_S1G_bDpT10_ENKUlT_T0_E_clISt17integral_constantIbLb1EES1U_EEDaS1P_S1Q_EUlS1P_E_NS1_11comp_targetILNS1_3genE2ELNS1_11target_archE906ELNS1_3gpuE6ELNS1_3repE0EEENS1_30default_config_static_selectorELNS0_4arch9wavefront6targetE1EEEvS12_, .Lfunc_end1581-_ZN7rocprim17ROCPRIM_400000_NS6detail17trampoline_kernelINS0_13select_configILj256ELj13ELNS0_17block_load_methodE3ELS4_3ELS4_3ELNS0_20block_scan_algorithmE0ELj4294967295EEENS1_25partition_config_selectorILNS1_17partition_subalgoE4EjNS0_10empty_typeEbEEZZNS1_14partition_implILS8_4ELb0ES6_15HIP_vector_typeIjLj2EENS0_17counting_iteratorIjlEEPS9_SG_NS0_5tupleIJPjSI_NS0_16reverse_iteratorISI_EEEEENSH_IJSG_SG_SG_EEES9_SI_JZNS1_25segmented_radix_sort_implINS0_14default_configELb0EPKbPbPKlPlN2at6native12_GLOBAL__N_18offset_tEEE10hipError_tPvRmT1_PNSt15iterator_traitsIS12_E10value_typeET2_T3_PNS13_IS18_E10value_typeET4_jRbjT5_S1E_jjP12ihipStream_tbEUljE_ZNSN_ISO_Lb0ESQ_SR_ST_SU_SY_EESZ_S10_S11_S12_S16_S17_S18_S1B_S1C_jS1D_jS1E_S1E_jjS1G_bEUljE0_EEESZ_S10_S11_S18_S1C_S1E_T6_T7_T9_mT8_S1G_bDpT10_ENKUlT_T0_E_clISt17integral_constantIbLb1EES1U_EEDaS1P_S1Q_EUlS1P_E_NS1_11comp_targetILNS1_3genE2ELNS1_11target_archE906ELNS1_3gpuE6ELNS1_3repE0EEENS1_30default_config_static_selectorELNS0_4arch9wavefront6targetE1EEEvS12_
                                        ; -- End function
	.section	.AMDGPU.csdata,"",@progbits
; Kernel info:
; codeLenInByte = 0
; NumSgprs: 4
; NumVgprs: 0
; NumAgprs: 0
; TotalNumVgprs: 0
; ScratchSize: 0
; MemoryBound: 0
; FloatMode: 240
; IeeeMode: 1
; LDSByteSize: 0 bytes/workgroup (compile time only)
; SGPRBlocks: 0
; VGPRBlocks: 0
; NumSGPRsForWavesPerEU: 4
; NumVGPRsForWavesPerEU: 1
; AccumOffset: 4
; Occupancy: 8
; WaveLimiterHint : 0
; COMPUTE_PGM_RSRC2:SCRATCH_EN: 0
; COMPUTE_PGM_RSRC2:USER_SGPR: 6
; COMPUTE_PGM_RSRC2:TRAP_HANDLER: 0
; COMPUTE_PGM_RSRC2:TGID_X_EN: 1
; COMPUTE_PGM_RSRC2:TGID_Y_EN: 0
; COMPUTE_PGM_RSRC2:TGID_Z_EN: 0
; COMPUTE_PGM_RSRC2:TIDIG_COMP_CNT: 0
; COMPUTE_PGM_RSRC3_GFX90A:ACCUM_OFFSET: 0
; COMPUTE_PGM_RSRC3_GFX90A:TG_SPLIT: 0
	.section	.text._ZN7rocprim17ROCPRIM_400000_NS6detail17trampoline_kernelINS0_13select_configILj256ELj13ELNS0_17block_load_methodE3ELS4_3ELS4_3ELNS0_20block_scan_algorithmE0ELj4294967295EEENS1_25partition_config_selectorILNS1_17partition_subalgoE4EjNS0_10empty_typeEbEEZZNS1_14partition_implILS8_4ELb0ES6_15HIP_vector_typeIjLj2EENS0_17counting_iteratorIjlEEPS9_SG_NS0_5tupleIJPjSI_NS0_16reverse_iteratorISI_EEEEENSH_IJSG_SG_SG_EEES9_SI_JZNS1_25segmented_radix_sort_implINS0_14default_configELb0EPKbPbPKlPlN2at6native12_GLOBAL__N_18offset_tEEE10hipError_tPvRmT1_PNSt15iterator_traitsIS12_E10value_typeET2_T3_PNS13_IS18_E10value_typeET4_jRbjT5_S1E_jjP12ihipStream_tbEUljE_ZNSN_ISO_Lb0ESQ_SR_ST_SU_SY_EESZ_S10_S11_S12_S16_S17_S18_S1B_S1C_jS1D_jS1E_S1E_jjS1G_bEUljE0_EEESZ_S10_S11_S18_S1C_S1E_T6_T7_T9_mT8_S1G_bDpT10_ENKUlT_T0_E_clISt17integral_constantIbLb1EES1U_EEDaS1P_S1Q_EUlS1P_E_NS1_11comp_targetILNS1_3genE10ELNS1_11target_archE1200ELNS1_3gpuE4ELNS1_3repE0EEENS1_30default_config_static_selectorELNS0_4arch9wavefront6targetE1EEEvS12_,"axG",@progbits,_ZN7rocprim17ROCPRIM_400000_NS6detail17trampoline_kernelINS0_13select_configILj256ELj13ELNS0_17block_load_methodE3ELS4_3ELS4_3ELNS0_20block_scan_algorithmE0ELj4294967295EEENS1_25partition_config_selectorILNS1_17partition_subalgoE4EjNS0_10empty_typeEbEEZZNS1_14partition_implILS8_4ELb0ES6_15HIP_vector_typeIjLj2EENS0_17counting_iteratorIjlEEPS9_SG_NS0_5tupleIJPjSI_NS0_16reverse_iteratorISI_EEEEENSH_IJSG_SG_SG_EEES9_SI_JZNS1_25segmented_radix_sort_implINS0_14default_configELb0EPKbPbPKlPlN2at6native12_GLOBAL__N_18offset_tEEE10hipError_tPvRmT1_PNSt15iterator_traitsIS12_E10value_typeET2_T3_PNS13_IS18_E10value_typeET4_jRbjT5_S1E_jjP12ihipStream_tbEUljE_ZNSN_ISO_Lb0ESQ_SR_ST_SU_SY_EESZ_S10_S11_S12_S16_S17_S18_S1B_S1C_jS1D_jS1E_S1E_jjS1G_bEUljE0_EEESZ_S10_S11_S18_S1C_S1E_T6_T7_T9_mT8_S1G_bDpT10_ENKUlT_T0_E_clISt17integral_constantIbLb1EES1U_EEDaS1P_S1Q_EUlS1P_E_NS1_11comp_targetILNS1_3genE10ELNS1_11target_archE1200ELNS1_3gpuE4ELNS1_3repE0EEENS1_30default_config_static_selectorELNS0_4arch9wavefront6targetE1EEEvS12_,comdat
	.globl	_ZN7rocprim17ROCPRIM_400000_NS6detail17trampoline_kernelINS0_13select_configILj256ELj13ELNS0_17block_load_methodE3ELS4_3ELS4_3ELNS0_20block_scan_algorithmE0ELj4294967295EEENS1_25partition_config_selectorILNS1_17partition_subalgoE4EjNS0_10empty_typeEbEEZZNS1_14partition_implILS8_4ELb0ES6_15HIP_vector_typeIjLj2EENS0_17counting_iteratorIjlEEPS9_SG_NS0_5tupleIJPjSI_NS0_16reverse_iteratorISI_EEEEENSH_IJSG_SG_SG_EEES9_SI_JZNS1_25segmented_radix_sort_implINS0_14default_configELb0EPKbPbPKlPlN2at6native12_GLOBAL__N_18offset_tEEE10hipError_tPvRmT1_PNSt15iterator_traitsIS12_E10value_typeET2_T3_PNS13_IS18_E10value_typeET4_jRbjT5_S1E_jjP12ihipStream_tbEUljE_ZNSN_ISO_Lb0ESQ_SR_ST_SU_SY_EESZ_S10_S11_S12_S16_S17_S18_S1B_S1C_jS1D_jS1E_S1E_jjS1G_bEUljE0_EEESZ_S10_S11_S18_S1C_S1E_T6_T7_T9_mT8_S1G_bDpT10_ENKUlT_T0_E_clISt17integral_constantIbLb1EES1U_EEDaS1P_S1Q_EUlS1P_E_NS1_11comp_targetILNS1_3genE10ELNS1_11target_archE1200ELNS1_3gpuE4ELNS1_3repE0EEENS1_30default_config_static_selectorELNS0_4arch9wavefront6targetE1EEEvS12_ ; -- Begin function _ZN7rocprim17ROCPRIM_400000_NS6detail17trampoline_kernelINS0_13select_configILj256ELj13ELNS0_17block_load_methodE3ELS4_3ELS4_3ELNS0_20block_scan_algorithmE0ELj4294967295EEENS1_25partition_config_selectorILNS1_17partition_subalgoE4EjNS0_10empty_typeEbEEZZNS1_14partition_implILS8_4ELb0ES6_15HIP_vector_typeIjLj2EENS0_17counting_iteratorIjlEEPS9_SG_NS0_5tupleIJPjSI_NS0_16reverse_iteratorISI_EEEEENSH_IJSG_SG_SG_EEES9_SI_JZNS1_25segmented_radix_sort_implINS0_14default_configELb0EPKbPbPKlPlN2at6native12_GLOBAL__N_18offset_tEEE10hipError_tPvRmT1_PNSt15iterator_traitsIS12_E10value_typeET2_T3_PNS13_IS18_E10value_typeET4_jRbjT5_S1E_jjP12ihipStream_tbEUljE_ZNSN_ISO_Lb0ESQ_SR_ST_SU_SY_EESZ_S10_S11_S12_S16_S17_S18_S1B_S1C_jS1D_jS1E_S1E_jjS1G_bEUljE0_EEESZ_S10_S11_S18_S1C_S1E_T6_T7_T9_mT8_S1G_bDpT10_ENKUlT_T0_E_clISt17integral_constantIbLb1EES1U_EEDaS1P_S1Q_EUlS1P_E_NS1_11comp_targetILNS1_3genE10ELNS1_11target_archE1200ELNS1_3gpuE4ELNS1_3repE0EEENS1_30default_config_static_selectorELNS0_4arch9wavefront6targetE1EEEvS12_
	.p2align	8
	.type	_ZN7rocprim17ROCPRIM_400000_NS6detail17trampoline_kernelINS0_13select_configILj256ELj13ELNS0_17block_load_methodE3ELS4_3ELS4_3ELNS0_20block_scan_algorithmE0ELj4294967295EEENS1_25partition_config_selectorILNS1_17partition_subalgoE4EjNS0_10empty_typeEbEEZZNS1_14partition_implILS8_4ELb0ES6_15HIP_vector_typeIjLj2EENS0_17counting_iteratorIjlEEPS9_SG_NS0_5tupleIJPjSI_NS0_16reverse_iteratorISI_EEEEENSH_IJSG_SG_SG_EEES9_SI_JZNS1_25segmented_radix_sort_implINS0_14default_configELb0EPKbPbPKlPlN2at6native12_GLOBAL__N_18offset_tEEE10hipError_tPvRmT1_PNSt15iterator_traitsIS12_E10value_typeET2_T3_PNS13_IS18_E10value_typeET4_jRbjT5_S1E_jjP12ihipStream_tbEUljE_ZNSN_ISO_Lb0ESQ_SR_ST_SU_SY_EESZ_S10_S11_S12_S16_S17_S18_S1B_S1C_jS1D_jS1E_S1E_jjS1G_bEUljE0_EEESZ_S10_S11_S18_S1C_S1E_T6_T7_T9_mT8_S1G_bDpT10_ENKUlT_T0_E_clISt17integral_constantIbLb1EES1U_EEDaS1P_S1Q_EUlS1P_E_NS1_11comp_targetILNS1_3genE10ELNS1_11target_archE1200ELNS1_3gpuE4ELNS1_3repE0EEENS1_30default_config_static_selectorELNS0_4arch9wavefront6targetE1EEEvS12_,@function
_ZN7rocprim17ROCPRIM_400000_NS6detail17trampoline_kernelINS0_13select_configILj256ELj13ELNS0_17block_load_methodE3ELS4_3ELS4_3ELNS0_20block_scan_algorithmE0ELj4294967295EEENS1_25partition_config_selectorILNS1_17partition_subalgoE4EjNS0_10empty_typeEbEEZZNS1_14partition_implILS8_4ELb0ES6_15HIP_vector_typeIjLj2EENS0_17counting_iteratorIjlEEPS9_SG_NS0_5tupleIJPjSI_NS0_16reverse_iteratorISI_EEEEENSH_IJSG_SG_SG_EEES9_SI_JZNS1_25segmented_radix_sort_implINS0_14default_configELb0EPKbPbPKlPlN2at6native12_GLOBAL__N_18offset_tEEE10hipError_tPvRmT1_PNSt15iterator_traitsIS12_E10value_typeET2_T3_PNS13_IS18_E10value_typeET4_jRbjT5_S1E_jjP12ihipStream_tbEUljE_ZNSN_ISO_Lb0ESQ_SR_ST_SU_SY_EESZ_S10_S11_S12_S16_S17_S18_S1B_S1C_jS1D_jS1E_S1E_jjS1G_bEUljE0_EEESZ_S10_S11_S18_S1C_S1E_T6_T7_T9_mT8_S1G_bDpT10_ENKUlT_T0_E_clISt17integral_constantIbLb1EES1U_EEDaS1P_S1Q_EUlS1P_E_NS1_11comp_targetILNS1_3genE10ELNS1_11target_archE1200ELNS1_3gpuE4ELNS1_3repE0EEENS1_30default_config_static_selectorELNS0_4arch9wavefront6targetE1EEEvS12_: ; @_ZN7rocprim17ROCPRIM_400000_NS6detail17trampoline_kernelINS0_13select_configILj256ELj13ELNS0_17block_load_methodE3ELS4_3ELS4_3ELNS0_20block_scan_algorithmE0ELj4294967295EEENS1_25partition_config_selectorILNS1_17partition_subalgoE4EjNS0_10empty_typeEbEEZZNS1_14partition_implILS8_4ELb0ES6_15HIP_vector_typeIjLj2EENS0_17counting_iteratorIjlEEPS9_SG_NS0_5tupleIJPjSI_NS0_16reverse_iteratorISI_EEEEENSH_IJSG_SG_SG_EEES9_SI_JZNS1_25segmented_radix_sort_implINS0_14default_configELb0EPKbPbPKlPlN2at6native12_GLOBAL__N_18offset_tEEE10hipError_tPvRmT1_PNSt15iterator_traitsIS12_E10value_typeET2_T3_PNS13_IS18_E10value_typeET4_jRbjT5_S1E_jjP12ihipStream_tbEUljE_ZNSN_ISO_Lb0ESQ_SR_ST_SU_SY_EESZ_S10_S11_S12_S16_S17_S18_S1B_S1C_jS1D_jS1E_S1E_jjS1G_bEUljE0_EEESZ_S10_S11_S18_S1C_S1E_T6_T7_T9_mT8_S1G_bDpT10_ENKUlT_T0_E_clISt17integral_constantIbLb1EES1U_EEDaS1P_S1Q_EUlS1P_E_NS1_11comp_targetILNS1_3genE10ELNS1_11target_archE1200ELNS1_3gpuE4ELNS1_3repE0EEENS1_30default_config_static_selectorELNS0_4arch9wavefront6targetE1EEEvS12_
; %bb.0:
	.section	.rodata,"a",@progbits
	.p2align	6, 0x0
	.amdhsa_kernel _ZN7rocprim17ROCPRIM_400000_NS6detail17trampoline_kernelINS0_13select_configILj256ELj13ELNS0_17block_load_methodE3ELS4_3ELS4_3ELNS0_20block_scan_algorithmE0ELj4294967295EEENS1_25partition_config_selectorILNS1_17partition_subalgoE4EjNS0_10empty_typeEbEEZZNS1_14partition_implILS8_4ELb0ES6_15HIP_vector_typeIjLj2EENS0_17counting_iteratorIjlEEPS9_SG_NS0_5tupleIJPjSI_NS0_16reverse_iteratorISI_EEEEENSH_IJSG_SG_SG_EEES9_SI_JZNS1_25segmented_radix_sort_implINS0_14default_configELb0EPKbPbPKlPlN2at6native12_GLOBAL__N_18offset_tEEE10hipError_tPvRmT1_PNSt15iterator_traitsIS12_E10value_typeET2_T3_PNS13_IS18_E10value_typeET4_jRbjT5_S1E_jjP12ihipStream_tbEUljE_ZNSN_ISO_Lb0ESQ_SR_ST_SU_SY_EESZ_S10_S11_S12_S16_S17_S18_S1B_S1C_jS1D_jS1E_S1E_jjS1G_bEUljE0_EEESZ_S10_S11_S18_S1C_S1E_T6_T7_T9_mT8_S1G_bDpT10_ENKUlT_T0_E_clISt17integral_constantIbLb1EES1U_EEDaS1P_S1Q_EUlS1P_E_NS1_11comp_targetILNS1_3genE10ELNS1_11target_archE1200ELNS1_3gpuE4ELNS1_3repE0EEENS1_30default_config_static_selectorELNS0_4arch9wavefront6targetE1EEEvS12_
		.amdhsa_group_segment_fixed_size 0
		.amdhsa_private_segment_fixed_size 0
		.amdhsa_kernarg_size 184
		.amdhsa_user_sgpr_count 6
		.amdhsa_user_sgpr_private_segment_buffer 1
		.amdhsa_user_sgpr_dispatch_ptr 0
		.amdhsa_user_sgpr_queue_ptr 0
		.amdhsa_user_sgpr_kernarg_segment_ptr 1
		.amdhsa_user_sgpr_dispatch_id 0
		.amdhsa_user_sgpr_flat_scratch_init 0
		.amdhsa_user_sgpr_kernarg_preload_length 0
		.amdhsa_user_sgpr_kernarg_preload_offset 0
		.amdhsa_user_sgpr_private_segment_size 0
		.amdhsa_uses_dynamic_stack 0
		.amdhsa_system_sgpr_private_segment_wavefront_offset 0
		.amdhsa_system_sgpr_workgroup_id_x 1
		.amdhsa_system_sgpr_workgroup_id_y 0
		.amdhsa_system_sgpr_workgroup_id_z 0
		.amdhsa_system_sgpr_workgroup_info 0
		.amdhsa_system_vgpr_workitem_id 0
		.amdhsa_next_free_vgpr 1
		.amdhsa_next_free_sgpr 0
		.amdhsa_accum_offset 4
		.amdhsa_reserve_vcc 0
		.amdhsa_reserve_flat_scratch 0
		.amdhsa_float_round_mode_32 0
		.amdhsa_float_round_mode_16_64 0
		.amdhsa_float_denorm_mode_32 3
		.amdhsa_float_denorm_mode_16_64 3
		.amdhsa_dx10_clamp 1
		.amdhsa_ieee_mode 1
		.amdhsa_fp16_overflow 0
		.amdhsa_tg_split 0
		.amdhsa_exception_fp_ieee_invalid_op 0
		.amdhsa_exception_fp_denorm_src 0
		.amdhsa_exception_fp_ieee_div_zero 0
		.amdhsa_exception_fp_ieee_overflow 0
		.amdhsa_exception_fp_ieee_underflow 0
		.amdhsa_exception_fp_ieee_inexact 0
		.amdhsa_exception_int_div_zero 0
	.end_amdhsa_kernel
	.section	.text._ZN7rocprim17ROCPRIM_400000_NS6detail17trampoline_kernelINS0_13select_configILj256ELj13ELNS0_17block_load_methodE3ELS4_3ELS4_3ELNS0_20block_scan_algorithmE0ELj4294967295EEENS1_25partition_config_selectorILNS1_17partition_subalgoE4EjNS0_10empty_typeEbEEZZNS1_14partition_implILS8_4ELb0ES6_15HIP_vector_typeIjLj2EENS0_17counting_iteratorIjlEEPS9_SG_NS0_5tupleIJPjSI_NS0_16reverse_iteratorISI_EEEEENSH_IJSG_SG_SG_EEES9_SI_JZNS1_25segmented_radix_sort_implINS0_14default_configELb0EPKbPbPKlPlN2at6native12_GLOBAL__N_18offset_tEEE10hipError_tPvRmT1_PNSt15iterator_traitsIS12_E10value_typeET2_T3_PNS13_IS18_E10value_typeET4_jRbjT5_S1E_jjP12ihipStream_tbEUljE_ZNSN_ISO_Lb0ESQ_SR_ST_SU_SY_EESZ_S10_S11_S12_S16_S17_S18_S1B_S1C_jS1D_jS1E_S1E_jjS1G_bEUljE0_EEESZ_S10_S11_S18_S1C_S1E_T6_T7_T9_mT8_S1G_bDpT10_ENKUlT_T0_E_clISt17integral_constantIbLb1EES1U_EEDaS1P_S1Q_EUlS1P_E_NS1_11comp_targetILNS1_3genE10ELNS1_11target_archE1200ELNS1_3gpuE4ELNS1_3repE0EEENS1_30default_config_static_selectorELNS0_4arch9wavefront6targetE1EEEvS12_,"axG",@progbits,_ZN7rocprim17ROCPRIM_400000_NS6detail17trampoline_kernelINS0_13select_configILj256ELj13ELNS0_17block_load_methodE3ELS4_3ELS4_3ELNS0_20block_scan_algorithmE0ELj4294967295EEENS1_25partition_config_selectorILNS1_17partition_subalgoE4EjNS0_10empty_typeEbEEZZNS1_14partition_implILS8_4ELb0ES6_15HIP_vector_typeIjLj2EENS0_17counting_iteratorIjlEEPS9_SG_NS0_5tupleIJPjSI_NS0_16reverse_iteratorISI_EEEEENSH_IJSG_SG_SG_EEES9_SI_JZNS1_25segmented_radix_sort_implINS0_14default_configELb0EPKbPbPKlPlN2at6native12_GLOBAL__N_18offset_tEEE10hipError_tPvRmT1_PNSt15iterator_traitsIS12_E10value_typeET2_T3_PNS13_IS18_E10value_typeET4_jRbjT5_S1E_jjP12ihipStream_tbEUljE_ZNSN_ISO_Lb0ESQ_SR_ST_SU_SY_EESZ_S10_S11_S12_S16_S17_S18_S1B_S1C_jS1D_jS1E_S1E_jjS1G_bEUljE0_EEESZ_S10_S11_S18_S1C_S1E_T6_T7_T9_mT8_S1G_bDpT10_ENKUlT_T0_E_clISt17integral_constantIbLb1EES1U_EEDaS1P_S1Q_EUlS1P_E_NS1_11comp_targetILNS1_3genE10ELNS1_11target_archE1200ELNS1_3gpuE4ELNS1_3repE0EEENS1_30default_config_static_selectorELNS0_4arch9wavefront6targetE1EEEvS12_,comdat
.Lfunc_end1582:
	.size	_ZN7rocprim17ROCPRIM_400000_NS6detail17trampoline_kernelINS0_13select_configILj256ELj13ELNS0_17block_load_methodE3ELS4_3ELS4_3ELNS0_20block_scan_algorithmE0ELj4294967295EEENS1_25partition_config_selectorILNS1_17partition_subalgoE4EjNS0_10empty_typeEbEEZZNS1_14partition_implILS8_4ELb0ES6_15HIP_vector_typeIjLj2EENS0_17counting_iteratorIjlEEPS9_SG_NS0_5tupleIJPjSI_NS0_16reverse_iteratorISI_EEEEENSH_IJSG_SG_SG_EEES9_SI_JZNS1_25segmented_radix_sort_implINS0_14default_configELb0EPKbPbPKlPlN2at6native12_GLOBAL__N_18offset_tEEE10hipError_tPvRmT1_PNSt15iterator_traitsIS12_E10value_typeET2_T3_PNS13_IS18_E10value_typeET4_jRbjT5_S1E_jjP12ihipStream_tbEUljE_ZNSN_ISO_Lb0ESQ_SR_ST_SU_SY_EESZ_S10_S11_S12_S16_S17_S18_S1B_S1C_jS1D_jS1E_S1E_jjS1G_bEUljE0_EEESZ_S10_S11_S18_S1C_S1E_T6_T7_T9_mT8_S1G_bDpT10_ENKUlT_T0_E_clISt17integral_constantIbLb1EES1U_EEDaS1P_S1Q_EUlS1P_E_NS1_11comp_targetILNS1_3genE10ELNS1_11target_archE1200ELNS1_3gpuE4ELNS1_3repE0EEENS1_30default_config_static_selectorELNS0_4arch9wavefront6targetE1EEEvS12_, .Lfunc_end1582-_ZN7rocprim17ROCPRIM_400000_NS6detail17trampoline_kernelINS0_13select_configILj256ELj13ELNS0_17block_load_methodE3ELS4_3ELS4_3ELNS0_20block_scan_algorithmE0ELj4294967295EEENS1_25partition_config_selectorILNS1_17partition_subalgoE4EjNS0_10empty_typeEbEEZZNS1_14partition_implILS8_4ELb0ES6_15HIP_vector_typeIjLj2EENS0_17counting_iteratorIjlEEPS9_SG_NS0_5tupleIJPjSI_NS0_16reverse_iteratorISI_EEEEENSH_IJSG_SG_SG_EEES9_SI_JZNS1_25segmented_radix_sort_implINS0_14default_configELb0EPKbPbPKlPlN2at6native12_GLOBAL__N_18offset_tEEE10hipError_tPvRmT1_PNSt15iterator_traitsIS12_E10value_typeET2_T3_PNS13_IS18_E10value_typeET4_jRbjT5_S1E_jjP12ihipStream_tbEUljE_ZNSN_ISO_Lb0ESQ_SR_ST_SU_SY_EESZ_S10_S11_S12_S16_S17_S18_S1B_S1C_jS1D_jS1E_S1E_jjS1G_bEUljE0_EEESZ_S10_S11_S18_S1C_S1E_T6_T7_T9_mT8_S1G_bDpT10_ENKUlT_T0_E_clISt17integral_constantIbLb1EES1U_EEDaS1P_S1Q_EUlS1P_E_NS1_11comp_targetILNS1_3genE10ELNS1_11target_archE1200ELNS1_3gpuE4ELNS1_3repE0EEENS1_30default_config_static_selectorELNS0_4arch9wavefront6targetE1EEEvS12_
                                        ; -- End function
	.section	.AMDGPU.csdata,"",@progbits
; Kernel info:
; codeLenInByte = 0
; NumSgprs: 4
; NumVgprs: 0
; NumAgprs: 0
; TotalNumVgprs: 0
; ScratchSize: 0
; MemoryBound: 0
; FloatMode: 240
; IeeeMode: 1
; LDSByteSize: 0 bytes/workgroup (compile time only)
; SGPRBlocks: 0
; VGPRBlocks: 0
; NumSGPRsForWavesPerEU: 4
; NumVGPRsForWavesPerEU: 1
; AccumOffset: 4
; Occupancy: 8
; WaveLimiterHint : 0
; COMPUTE_PGM_RSRC2:SCRATCH_EN: 0
; COMPUTE_PGM_RSRC2:USER_SGPR: 6
; COMPUTE_PGM_RSRC2:TRAP_HANDLER: 0
; COMPUTE_PGM_RSRC2:TGID_X_EN: 1
; COMPUTE_PGM_RSRC2:TGID_Y_EN: 0
; COMPUTE_PGM_RSRC2:TGID_Z_EN: 0
; COMPUTE_PGM_RSRC2:TIDIG_COMP_CNT: 0
; COMPUTE_PGM_RSRC3_GFX90A:ACCUM_OFFSET: 0
; COMPUTE_PGM_RSRC3_GFX90A:TG_SPLIT: 0
	.section	.text._ZN7rocprim17ROCPRIM_400000_NS6detail17trampoline_kernelINS0_13select_configILj256ELj13ELNS0_17block_load_methodE3ELS4_3ELS4_3ELNS0_20block_scan_algorithmE0ELj4294967295EEENS1_25partition_config_selectorILNS1_17partition_subalgoE4EjNS0_10empty_typeEbEEZZNS1_14partition_implILS8_4ELb0ES6_15HIP_vector_typeIjLj2EENS0_17counting_iteratorIjlEEPS9_SG_NS0_5tupleIJPjSI_NS0_16reverse_iteratorISI_EEEEENSH_IJSG_SG_SG_EEES9_SI_JZNS1_25segmented_radix_sort_implINS0_14default_configELb0EPKbPbPKlPlN2at6native12_GLOBAL__N_18offset_tEEE10hipError_tPvRmT1_PNSt15iterator_traitsIS12_E10value_typeET2_T3_PNS13_IS18_E10value_typeET4_jRbjT5_S1E_jjP12ihipStream_tbEUljE_ZNSN_ISO_Lb0ESQ_SR_ST_SU_SY_EESZ_S10_S11_S12_S16_S17_S18_S1B_S1C_jS1D_jS1E_S1E_jjS1G_bEUljE0_EEESZ_S10_S11_S18_S1C_S1E_T6_T7_T9_mT8_S1G_bDpT10_ENKUlT_T0_E_clISt17integral_constantIbLb1EES1U_EEDaS1P_S1Q_EUlS1P_E_NS1_11comp_targetILNS1_3genE9ELNS1_11target_archE1100ELNS1_3gpuE3ELNS1_3repE0EEENS1_30default_config_static_selectorELNS0_4arch9wavefront6targetE1EEEvS12_,"axG",@progbits,_ZN7rocprim17ROCPRIM_400000_NS6detail17trampoline_kernelINS0_13select_configILj256ELj13ELNS0_17block_load_methodE3ELS4_3ELS4_3ELNS0_20block_scan_algorithmE0ELj4294967295EEENS1_25partition_config_selectorILNS1_17partition_subalgoE4EjNS0_10empty_typeEbEEZZNS1_14partition_implILS8_4ELb0ES6_15HIP_vector_typeIjLj2EENS0_17counting_iteratorIjlEEPS9_SG_NS0_5tupleIJPjSI_NS0_16reverse_iteratorISI_EEEEENSH_IJSG_SG_SG_EEES9_SI_JZNS1_25segmented_radix_sort_implINS0_14default_configELb0EPKbPbPKlPlN2at6native12_GLOBAL__N_18offset_tEEE10hipError_tPvRmT1_PNSt15iterator_traitsIS12_E10value_typeET2_T3_PNS13_IS18_E10value_typeET4_jRbjT5_S1E_jjP12ihipStream_tbEUljE_ZNSN_ISO_Lb0ESQ_SR_ST_SU_SY_EESZ_S10_S11_S12_S16_S17_S18_S1B_S1C_jS1D_jS1E_S1E_jjS1G_bEUljE0_EEESZ_S10_S11_S18_S1C_S1E_T6_T7_T9_mT8_S1G_bDpT10_ENKUlT_T0_E_clISt17integral_constantIbLb1EES1U_EEDaS1P_S1Q_EUlS1P_E_NS1_11comp_targetILNS1_3genE9ELNS1_11target_archE1100ELNS1_3gpuE3ELNS1_3repE0EEENS1_30default_config_static_selectorELNS0_4arch9wavefront6targetE1EEEvS12_,comdat
	.globl	_ZN7rocprim17ROCPRIM_400000_NS6detail17trampoline_kernelINS0_13select_configILj256ELj13ELNS0_17block_load_methodE3ELS4_3ELS4_3ELNS0_20block_scan_algorithmE0ELj4294967295EEENS1_25partition_config_selectorILNS1_17partition_subalgoE4EjNS0_10empty_typeEbEEZZNS1_14partition_implILS8_4ELb0ES6_15HIP_vector_typeIjLj2EENS0_17counting_iteratorIjlEEPS9_SG_NS0_5tupleIJPjSI_NS0_16reverse_iteratorISI_EEEEENSH_IJSG_SG_SG_EEES9_SI_JZNS1_25segmented_radix_sort_implINS0_14default_configELb0EPKbPbPKlPlN2at6native12_GLOBAL__N_18offset_tEEE10hipError_tPvRmT1_PNSt15iterator_traitsIS12_E10value_typeET2_T3_PNS13_IS18_E10value_typeET4_jRbjT5_S1E_jjP12ihipStream_tbEUljE_ZNSN_ISO_Lb0ESQ_SR_ST_SU_SY_EESZ_S10_S11_S12_S16_S17_S18_S1B_S1C_jS1D_jS1E_S1E_jjS1G_bEUljE0_EEESZ_S10_S11_S18_S1C_S1E_T6_T7_T9_mT8_S1G_bDpT10_ENKUlT_T0_E_clISt17integral_constantIbLb1EES1U_EEDaS1P_S1Q_EUlS1P_E_NS1_11comp_targetILNS1_3genE9ELNS1_11target_archE1100ELNS1_3gpuE3ELNS1_3repE0EEENS1_30default_config_static_selectorELNS0_4arch9wavefront6targetE1EEEvS12_ ; -- Begin function _ZN7rocprim17ROCPRIM_400000_NS6detail17trampoline_kernelINS0_13select_configILj256ELj13ELNS0_17block_load_methodE3ELS4_3ELS4_3ELNS0_20block_scan_algorithmE0ELj4294967295EEENS1_25partition_config_selectorILNS1_17partition_subalgoE4EjNS0_10empty_typeEbEEZZNS1_14partition_implILS8_4ELb0ES6_15HIP_vector_typeIjLj2EENS0_17counting_iteratorIjlEEPS9_SG_NS0_5tupleIJPjSI_NS0_16reverse_iteratorISI_EEEEENSH_IJSG_SG_SG_EEES9_SI_JZNS1_25segmented_radix_sort_implINS0_14default_configELb0EPKbPbPKlPlN2at6native12_GLOBAL__N_18offset_tEEE10hipError_tPvRmT1_PNSt15iterator_traitsIS12_E10value_typeET2_T3_PNS13_IS18_E10value_typeET4_jRbjT5_S1E_jjP12ihipStream_tbEUljE_ZNSN_ISO_Lb0ESQ_SR_ST_SU_SY_EESZ_S10_S11_S12_S16_S17_S18_S1B_S1C_jS1D_jS1E_S1E_jjS1G_bEUljE0_EEESZ_S10_S11_S18_S1C_S1E_T6_T7_T9_mT8_S1G_bDpT10_ENKUlT_T0_E_clISt17integral_constantIbLb1EES1U_EEDaS1P_S1Q_EUlS1P_E_NS1_11comp_targetILNS1_3genE9ELNS1_11target_archE1100ELNS1_3gpuE3ELNS1_3repE0EEENS1_30default_config_static_selectorELNS0_4arch9wavefront6targetE1EEEvS12_
	.p2align	8
	.type	_ZN7rocprim17ROCPRIM_400000_NS6detail17trampoline_kernelINS0_13select_configILj256ELj13ELNS0_17block_load_methodE3ELS4_3ELS4_3ELNS0_20block_scan_algorithmE0ELj4294967295EEENS1_25partition_config_selectorILNS1_17partition_subalgoE4EjNS0_10empty_typeEbEEZZNS1_14partition_implILS8_4ELb0ES6_15HIP_vector_typeIjLj2EENS0_17counting_iteratorIjlEEPS9_SG_NS0_5tupleIJPjSI_NS0_16reverse_iteratorISI_EEEEENSH_IJSG_SG_SG_EEES9_SI_JZNS1_25segmented_radix_sort_implINS0_14default_configELb0EPKbPbPKlPlN2at6native12_GLOBAL__N_18offset_tEEE10hipError_tPvRmT1_PNSt15iterator_traitsIS12_E10value_typeET2_T3_PNS13_IS18_E10value_typeET4_jRbjT5_S1E_jjP12ihipStream_tbEUljE_ZNSN_ISO_Lb0ESQ_SR_ST_SU_SY_EESZ_S10_S11_S12_S16_S17_S18_S1B_S1C_jS1D_jS1E_S1E_jjS1G_bEUljE0_EEESZ_S10_S11_S18_S1C_S1E_T6_T7_T9_mT8_S1G_bDpT10_ENKUlT_T0_E_clISt17integral_constantIbLb1EES1U_EEDaS1P_S1Q_EUlS1P_E_NS1_11comp_targetILNS1_3genE9ELNS1_11target_archE1100ELNS1_3gpuE3ELNS1_3repE0EEENS1_30default_config_static_selectorELNS0_4arch9wavefront6targetE1EEEvS12_,@function
_ZN7rocprim17ROCPRIM_400000_NS6detail17trampoline_kernelINS0_13select_configILj256ELj13ELNS0_17block_load_methodE3ELS4_3ELS4_3ELNS0_20block_scan_algorithmE0ELj4294967295EEENS1_25partition_config_selectorILNS1_17partition_subalgoE4EjNS0_10empty_typeEbEEZZNS1_14partition_implILS8_4ELb0ES6_15HIP_vector_typeIjLj2EENS0_17counting_iteratorIjlEEPS9_SG_NS0_5tupleIJPjSI_NS0_16reverse_iteratorISI_EEEEENSH_IJSG_SG_SG_EEES9_SI_JZNS1_25segmented_radix_sort_implINS0_14default_configELb0EPKbPbPKlPlN2at6native12_GLOBAL__N_18offset_tEEE10hipError_tPvRmT1_PNSt15iterator_traitsIS12_E10value_typeET2_T3_PNS13_IS18_E10value_typeET4_jRbjT5_S1E_jjP12ihipStream_tbEUljE_ZNSN_ISO_Lb0ESQ_SR_ST_SU_SY_EESZ_S10_S11_S12_S16_S17_S18_S1B_S1C_jS1D_jS1E_S1E_jjS1G_bEUljE0_EEESZ_S10_S11_S18_S1C_S1E_T6_T7_T9_mT8_S1G_bDpT10_ENKUlT_T0_E_clISt17integral_constantIbLb1EES1U_EEDaS1P_S1Q_EUlS1P_E_NS1_11comp_targetILNS1_3genE9ELNS1_11target_archE1100ELNS1_3gpuE3ELNS1_3repE0EEENS1_30default_config_static_selectorELNS0_4arch9wavefront6targetE1EEEvS12_: ; @_ZN7rocprim17ROCPRIM_400000_NS6detail17trampoline_kernelINS0_13select_configILj256ELj13ELNS0_17block_load_methodE3ELS4_3ELS4_3ELNS0_20block_scan_algorithmE0ELj4294967295EEENS1_25partition_config_selectorILNS1_17partition_subalgoE4EjNS0_10empty_typeEbEEZZNS1_14partition_implILS8_4ELb0ES6_15HIP_vector_typeIjLj2EENS0_17counting_iteratorIjlEEPS9_SG_NS0_5tupleIJPjSI_NS0_16reverse_iteratorISI_EEEEENSH_IJSG_SG_SG_EEES9_SI_JZNS1_25segmented_radix_sort_implINS0_14default_configELb0EPKbPbPKlPlN2at6native12_GLOBAL__N_18offset_tEEE10hipError_tPvRmT1_PNSt15iterator_traitsIS12_E10value_typeET2_T3_PNS13_IS18_E10value_typeET4_jRbjT5_S1E_jjP12ihipStream_tbEUljE_ZNSN_ISO_Lb0ESQ_SR_ST_SU_SY_EESZ_S10_S11_S12_S16_S17_S18_S1B_S1C_jS1D_jS1E_S1E_jjS1G_bEUljE0_EEESZ_S10_S11_S18_S1C_S1E_T6_T7_T9_mT8_S1G_bDpT10_ENKUlT_T0_E_clISt17integral_constantIbLb1EES1U_EEDaS1P_S1Q_EUlS1P_E_NS1_11comp_targetILNS1_3genE9ELNS1_11target_archE1100ELNS1_3gpuE3ELNS1_3repE0EEENS1_30default_config_static_selectorELNS0_4arch9wavefront6targetE1EEEvS12_
; %bb.0:
	.section	.rodata,"a",@progbits
	.p2align	6, 0x0
	.amdhsa_kernel _ZN7rocprim17ROCPRIM_400000_NS6detail17trampoline_kernelINS0_13select_configILj256ELj13ELNS0_17block_load_methodE3ELS4_3ELS4_3ELNS0_20block_scan_algorithmE0ELj4294967295EEENS1_25partition_config_selectorILNS1_17partition_subalgoE4EjNS0_10empty_typeEbEEZZNS1_14partition_implILS8_4ELb0ES6_15HIP_vector_typeIjLj2EENS0_17counting_iteratorIjlEEPS9_SG_NS0_5tupleIJPjSI_NS0_16reverse_iteratorISI_EEEEENSH_IJSG_SG_SG_EEES9_SI_JZNS1_25segmented_radix_sort_implINS0_14default_configELb0EPKbPbPKlPlN2at6native12_GLOBAL__N_18offset_tEEE10hipError_tPvRmT1_PNSt15iterator_traitsIS12_E10value_typeET2_T3_PNS13_IS18_E10value_typeET4_jRbjT5_S1E_jjP12ihipStream_tbEUljE_ZNSN_ISO_Lb0ESQ_SR_ST_SU_SY_EESZ_S10_S11_S12_S16_S17_S18_S1B_S1C_jS1D_jS1E_S1E_jjS1G_bEUljE0_EEESZ_S10_S11_S18_S1C_S1E_T6_T7_T9_mT8_S1G_bDpT10_ENKUlT_T0_E_clISt17integral_constantIbLb1EES1U_EEDaS1P_S1Q_EUlS1P_E_NS1_11comp_targetILNS1_3genE9ELNS1_11target_archE1100ELNS1_3gpuE3ELNS1_3repE0EEENS1_30default_config_static_selectorELNS0_4arch9wavefront6targetE1EEEvS12_
		.amdhsa_group_segment_fixed_size 0
		.amdhsa_private_segment_fixed_size 0
		.amdhsa_kernarg_size 184
		.amdhsa_user_sgpr_count 6
		.amdhsa_user_sgpr_private_segment_buffer 1
		.amdhsa_user_sgpr_dispatch_ptr 0
		.amdhsa_user_sgpr_queue_ptr 0
		.amdhsa_user_sgpr_kernarg_segment_ptr 1
		.amdhsa_user_sgpr_dispatch_id 0
		.amdhsa_user_sgpr_flat_scratch_init 0
		.amdhsa_user_sgpr_kernarg_preload_length 0
		.amdhsa_user_sgpr_kernarg_preload_offset 0
		.amdhsa_user_sgpr_private_segment_size 0
		.amdhsa_uses_dynamic_stack 0
		.amdhsa_system_sgpr_private_segment_wavefront_offset 0
		.amdhsa_system_sgpr_workgroup_id_x 1
		.amdhsa_system_sgpr_workgroup_id_y 0
		.amdhsa_system_sgpr_workgroup_id_z 0
		.amdhsa_system_sgpr_workgroup_info 0
		.amdhsa_system_vgpr_workitem_id 0
		.amdhsa_next_free_vgpr 1
		.amdhsa_next_free_sgpr 0
		.amdhsa_accum_offset 4
		.amdhsa_reserve_vcc 0
		.amdhsa_reserve_flat_scratch 0
		.amdhsa_float_round_mode_32 0
		.amdhsa_float_round_mode_16_64 0
		.amdhsa_float_denorm_mode_32 3
		.amdhsa_float_denorm_mode_16_64 3
		.amdhsa_dx10_clamp 1
		.amdhsa_ieee_mode 1
		.amdhsa_fp16_overflow 0
		.amdhsa_tg_split 0
		.amdhsa_exception_fp_ieee_invalid_op 0
		.amdhsa_exception_fp_denorm_src 0
		.amdhsa_exception_fp_ieee_div_zero 0
		.amdhsa_exception_fp_ieee_overflow 0
		.amdhsa_exception_fp_ieee_underflow 0
		.amdhsa_exception_fp_ieee_inexact 0
		.amdhsa_exception_int_div_zero 0
	.end_amdhsa_kernel
	.section	.text._ZN7rocprim17ROCPRIM_400000_NS6detail17trampoline_kernelINS0_13select_configILj256ELj13ELNS0_17block_load_methodE3ELS4_3ELS4_3ELNS0_20block_scan_algorithmE0ELj4294967295EEENS1_25partition_config_selectorILNS1_17partition_subalgoE4EjNS0_10empty_typeEbEEZZNS1_14partition_implILS8_4ELb0ES6_15HIP_vector_typeIjLj2EENS0_17counting_iteratorIjlEEPS9_SG_NS0_5tupleIJPjSI_NS0_16reverse_iteratorISI_EEEEENSH_IJSG_SG_SG_EEES9_SI_JZNS1_25segmented_radix_sort_implINS0_14default_configELb0EPKbPbPKlPlN2at6native12_GLOBAL__N_18offset_tEEE10hipError_tPvRmT1_PNSt15iterator_traitsIS12_E10value_typeET2_T3_PNS13_IS18_E10value_typeET4_jRbjT5_S1E_jjP12ihipStream_tbEUljE_ZNSN_ISO_Lb0ESQ_SR_ST_SU_SY_EESZ_S10_S11_S12_S16_S17_S18_S1B_S1C_jS1D_jS1E_S1E_jjS1G_bEUljE0_EEESZ_S10_S11_S18_S1C_S1E_T6_T7_T9_mT8_S1G_bDpT10_ENKUlT_T0_E_clISt17integral_constantIbLb1EES1U_EEDaS1P_S1Q_EUlS1P_E_NS1_11comp_targetILNS1_3genE9ELNS1_11target_archE1100ELNS1_3gpuE3ELNS1_3repE0EEENS1_30default_config_static_selectorELNS0_4arch9wavefront6targetE1EEEvS12_,"axG",@progbits,_ZN7rocprim17ROCPRIM_400000_NS6detail17trampoline_kernelINS0_13select_configILj256ELj13ELNS0_17block_load_methodE3ELS4_3ELS4_3ELNS0_20block_scan_algorithmE0ELj4294967295EEENS1_25partition_config_selectorILNS1_17partition_subalgoE4EjNS0_10empty_typeEbEEZZNS1_14partition_implILS8_4ELb0ES6_15HIP_vector_typeIjLj2EENS0_17counting_iteratorIjlEEPS9_SG_NS0_5tupleIJPjSI_NS0_16reverse_iteratorISI_EEEEENSH_IJSG_SG_SG_EEES9_SI_JZNS1_25segmented_radix_sort_implINS0_14default_configELb0EPKbPbPKlPlN2at6native12_GLOBAL__N_18offset_tEEE10hipError_tPvRmT1_PNSt15iterator_traitsIS12_E10value_typeET2_T3_PNS13_IS18_E10value_typeET4_jRbjT5_S1E_jjP12ihipStream_tbEUljE_ZNSN_ISO_Lb0ESQ_SR_ST_SU_SY_EESZ_S10_S11_S12_S16_S17_S18_S1B_S1C_jS1D_jS1E_S1E_jjS1G_bEUljE0_EEESZ_S10_S11_S18_S1C_S1E_T6_T7_T9_mT8_S1G_bDpT10_ENKUlT_T0_E_clISt17integral_constantIbLb1EES1U_EEDaS1P_S1Q_EUlS1P_E_NS1_11comp_targetILNS1_3genE9ELNS1_11target_archE1100ELNS1_3gpuE3ELNS1_3repE0EEENS1_30default_config_static_selectorELNS0_4arch9wavefront6targetE1EEEvS12_,comdat
.Lfunc_end1583:
	.size	_ZN7rocprim17ROCPRIM_400000_NS6detail17trampoline_kernelINS0_13select_configILj256ELj13ELNS0_17block_load_methodE3ELS4_3ELS4_3ELNS0_20block_scan_algorithmE0ELj4294967295EEENS1_25partition_config_selectorILNS1_17partition_subalgoE4EjNS0_10empty_typeEbEEZZNS1_14partition_implILS8_4ELb0ES6_15HIP_vector_typeIjLj2EENS0_17counting_iteratorIjlEEPS9_SG_NS0_5tupleIJPjSI_NS0_16reverse_iteratorISI_EEEEENSH_IJSG_SG_SG_EEES9_SI_JZNS1_25segmented_radix_sort_implINS0_14default_configELb0EPKbPbPKlPlN2at6native12_GLOBAL__N_18offset_tEEE10hipError_tPvRmT1_PNSt15iterator_traitsIS12_E10value_typeET2_T3_PNS13_IS18_E10value_typeET4_jRbjT5_S1E_jjP12ihipStream_tbEUljE_ZNSN_ISO_Lb0ESQ_SR_ST_SU_SY_EESZ_S10_S11_S12_S16_S17_S18_S1B_S1C_jS1D_jS1E_S1E_jjS1G_bEUljE0_EEESZ_S10_S11_S18_S1C_S1E_T6_T7_T9_mT8_S1G_bDpT10_ENKUlT_T0_E_clISt17integral_constantIbLb1EES1U_EEDaS1P_S1Q_EUlS1P_E_NS1_11comp_targetILNS1_3genE9ELNS1_11target_archE1100ELNS1_3gpuE3ELNS1_3repE0EEENS1_30default_config_static_selectorELNS0_4arch9wavefront6targetE1EEEvS12_, .Lfunc_end1583-_ZN7rocprim17ROCPRIM_400000_NS6detail17trampoline_kernelINS0_13select_configILj256ELj13ELNS0_17block_load_methodE3ELS4_3ELS4_3ELNS0_20block_scan_algorithmE0ELj4294967295EEENS1_25partition_config_selectorILNS1_17partition_subalgoE4EjNS0_10empty_typeEbEEZZNS1_14partition_implILS8_4ELb0ES6_15HIP_vector_typeIjLj2EENS0_17counting_iteratorIjlEEPS9_SG_NS0_5tupleIJPjSI_NS0_16reverse_iteratorISI_EEEEENSH_IJSG_SG_SG_EEES9_SI_JZNS1_25segmented_radix_sort_implINS0_14default_configELb0EPKbPbPKlPlN2at6native12_GLOBAL__N_18offset_tEEE10hipError_tPvRmT1_PNSt15iterator_traitsIS12_E10value_typeET2_T3_PNS13_IS18_E10value_typeET4_jRbjT5_S1E_jjP12ihipStream_tbEUljE_ZNSN_ISO_Lb0ESQ_SR_ST_SU_SY_EESZ_S10_S11_S12_S16_S17_S18_S1B_S1C_jS1D_jS1E_S1E_jjS1G_bEUljE0_EEESZ_S10_S11_S18_S1C_S1E_T6_T7_T9_mT8_S1G_bDpT10_ENKUlT_T0_E_clISt17integral_constantIbLb1EES1U_EEDaS1P_S1Q_EUlS1P_E_NS1_11comp_targetILNS1_3genE9ELNS1_11target_archE1100ELNS1_3gpuE3ELNS1_3repE0EEENS1_30default_config_static_selectorELNS0_4arch9wavefront6targetE1EEEvS12_
                                        ; -- End function
	.section	.AMDGPU.csdata,"",@progbits
; Kernel info:
; codeLenInByte = 0
; NumSgprs: 4
; NumVgprs: 0
; NumAgprs: 0
; TotalNumVgprs: 0
; ScratchSize: 0
; MemoryBound: 0
; FloatMode: 240
; IeeeMode: 1
; LDSByteSize: 0 bytes/workgroup (compile time only)
; SGPRBlocks: 0
; VGPRBlocks: 0
; NumSGPRsForWavesPerEU: 4
; NumVGPRsForWavesPerEU: 1
; AccumOffset: 4
; Occupancy: 8
; WaveLimiterHint : 0
; COMPUTE_PGM_RSRC2:SCRATCH_EN: 0
; COMPUTE_PGM_RSRC2:USER_SGPR: 6
; COMPUTE_PGM_RSRC2:TRAP_HANDLER: 0
; COMPUTE_PGM_RSRC2:TGID_X_EN: 1
; COMPUTE_PGM_RSRC2:TGID_Y_EN: 0
; COMPUTE_PGM_RSRC2:TGID_Z_EN: 0
; COMPUTE_PGM_RSRC2:TIDIG_COMP_CNT: 0
; COMPUTE_PGM_RSRC3_GFX90A:ACCUM_OFFSET: 0
; COMPUTE_PGM_RSRC3_GFX90A:TG_SPLIT: 0
	.section	.text._ZN7rocprim17ROCPRIM_400000_NS6detail17trampoline_kernelINS0_13select_configILj256ELj13ELNS0_17block_load_methodE3ELS4_3ELS4_3ELNS0_20block_scan_algorithmE0ELj4294967295EEENS1_25partition_config_selectorILNS1_17partition_subalgoE4EjNS0_10empty_typeEbEEZZNS1_14partition_implILS8_4ELb0ES6_15HIP_vector_typeIjLj2EENS0_17counting_iteratorIjlEEPS9_SG_NS0_5tupleIJPjSI_NS0_16reverse_iteratorISI_EEEEENSH_IJSG_SG_SG_EEES9_SI_JZNS1_25segmented_radix_sort_implINS0_14default_configELb0EPKbPbPKlPlN2at6native12_GLOBAL__N_18offset_tEEE10hipError_tPvRmT1_PNSt15iterator_traitsIS12_E10value_typeET2_T3_PNS13_IS18_E10value_typeET4_jRbjT5_S1E_jjP12ihipStream_tbEUljE_ZNSN_ISO_Lb0ESQ_SR_ST_SU_SY_EESZ_S10_S11_S12_S16_S17_S18_S1B_S1C_jS1D_jS1E_S1E_jjS1G_bEUljE0_EEESZ_S10_S11_S18_S1C_S1E_T6_T7_T9_mT8_S1G_bDpT10_ENKUlT_T0_E_clISt17integral_constantIbLb1EES1U_EEDaS1P_S1Q_EUlS1P_E_NS1_11comp_targetILNS1_3genE8ELNS1_11target_archE1030ELNS1_3gpuE2ELNS1_3repE0EEENS1_30default_config_static_selectorELNS0_4arch9wavefront6targetE1EEEvS12_,"axG",@progbits,_ZN7rocprim17ROCPRIM_400000_NS6detail17trampoline_kernelINS0_13select_configILj256ELj13ELNS0_17block_load_methodE3ELS4_3ELS4_3ELNS0_20block_scan_algorithmE0ELj4294967295EEENS1_25partition_config_selectorILNS1_17partition_subalgoE4EjNS0_10empty_typeEbEEZZNS1_14partition_implILS8_4ELb0ES6_15HIP_vector_typeIjLj2EENS0_17counting_iteratorIjlEEPS9_SG_NS0_5tupleIJPjSI_NS0_16reverse_iteratorISI_EEEEENSH_IJSG_SG_SG_EEES9_SI_JZNS1_25segmented_radix_sort_implINS0_14default_configELb0EPKbPbPKlPlN2at6native12_GLOBAL__N_18offset_tEEE10hipError_tPvRmT1_PNSt15iterator_traitsIS12_E10value_typeET2_T3_PNS13_IS18_E10value_typeET4_jRbjT5_S1E_jjP12ihipStream_tbEUljE_ZNSN_ISO_Lb0ESQ_SR_ST_SU_SY_EESZ_S10_S11_S12_S16_S17_S18_S1B_S1C_jS1D_jS1E_S1E_jjS1G_bEUljE0_EEESZ_S10_S11_S18_S1C_S1E_T6_T7_T9_mT8_S1G_bDpT10_ENKUlT_T0_E_clISt17integral_constantIbLb1EES1U_EEDaS1P_S1Q_EUlS1P_E_NS1_11comp_targetILNS1_3genE8ELNS1_11target_archE1030ELNS1_3gpuE2ELNS1_3repE0EEENS1_30default_config_static_selectorELNS0_4arch9wavefront6targetE1EEEvS12_,comdat
	.globl	_ZN7rocprim17ROCPRIM_400000_NS6detail17trampoline_kernelINS0_13select_configILj256ELj13ELNS0_17block_load_methodE3ELS4_3ELS4_3ELNS0_20block_scan_algorithmE0ELj4294967295EEENS1_25partition_config_selectorILNS1_17partition_subalgoE4EjNS0_10empty_typeEbEEZZNS1_14partition_implILS8_4ELb0ES6_15HIP_vector_typeIjLj2EENS0_17counting_iteratorIjlEEPS9_SG_NS0_5tupleIJPjSI_NS0_16reverse_iteratorISI_EEEEENSH_IJSG_SG_SG_EEES9_SI_JZNS1_25segmented_radix_sort_implINS0_14default_configELb0EPKbPbPKlPlN2at6native12_GLOBAL__N_18offset_tEEE10hipError_tPvRmT1_PNSt15iterator_traitsIS12_E10value_typeET2_T3_PNS13_IS18_E10value_typeET4_jRbjT5_S1E_jjP12ihipStream_tbEUljE_ZNSN_ISO_Lb0ESQ_SR_ST_SU_SY_EESZ_S10_S11_S12_S16_S17_S18_S1B_S1C_jS1D_jS1E_S1E_jjS1G_bEUljE0_EEESZ_S10_S11_S18_S1C_S1E_T6_T7_T9_mT8_S1G_bDpT10_ENKUlT_T0_E_clISt17integral_constantIbLb1EES1U_EEDaS1P_S1Q_EUlS1P_E_NS1_11comp_targetILNS1_3genE8ELNS1_11target_archE1030ELNS1_3gpuE2ELNS1_3repE0EEENS1_30default_config_static_selectorELNS0_4arch9wavefront6targetE1EEEvS12_ ; -- Begin function _ZN7rocprim17ROCPRIM_400000_NS6detail17trampoline_kernelINS0_13select_configILj256ELj13ELNS0_17block_load_methodE3ELS4_3ELS4_3ELNS0_20block_scan_algorithmE0ELj4294967295EEENS1_25partition_config_selectorILNS1_17partition_subalgoE4EjNS0_10empty_typeEbEEZZNS1_14partition_implILS8_4ELb0ES6_15HIP_vector_typeIjLj2EENS0_17counting_iteratorIjlEEPS9_SG_NS0_5tupleIJPjSI_NS0_16reverse_iteratorISI_EEEEENSH_IJSG_SG_SG_EEES9_SI_JZNS1_25segmented_radix_sort_implINS0_14default_configELb0EPKbPbPKlPlN2at6native12_GLOBAL__N_18offset_tEEE10hipError_tPvRmT1_PNSt15iterator_traitsIS12_E10value_typeET2_T3_PNS13_IS18_E10value_typeET4_jRbjT5_S1E_jjP12ihipStream_tbEUljE_ZNSN_ISO_Lb0ESQ_SR_ST_SU_SY_EESZ_S10_S11_S12_S16_S17_S18_S1B_S1C_jS1D_jS1E_S1E_jjS1G_bEUljE0_EEESZ_S10_S11_S18_S1C_S1E_T6_T7_T9_mT8_S1G_bDpT10_ENKUlT_T0_E_clISt17integral_constantIbLb1EES1U_EEDaS1P_S1Q_EUlS1P_E_NS1_11comp_targetILNS1_3genE8ELNS1_11target_archE1030ELNS1_3gpuE2ELNS1_3repE0EEENS1_30default_config_static_selectorELNS0_4arch9wavefront6targetE1EEEvS12_
	.p2align	8
	.type	_ZN7rocprim17ROCPRIM_400000_NS6detail17trampoline_kernelINS0_13select_configILj256ELj13ELNS0_17block_load_methodE3ELS4_3ELS4_3ELNS0_20block_scan_algorithmE0ELj4294967295EEENS1_25partition_config_selectorILNS1_17partition_subalgoE4EjNS0_10empty_typeEbEEZZNS1_14partition_implILS8_4ELb0ES6_15HIP_vector_typeIjLj2EENS0_17counting_iteratorIjlEEPS9_SG_NS0_5tupleIJPjSI_NS0_16reverse_iteratorISI_EEEEENSH_IJSG_SG_SG_EEES9_SI_JZNS1_25segmented_radix_sort_implINS0_14default_configELb0EPKbPbPKlPlN2at6native12_GLOBAL__N_18offset_tEEE10hipError_tPvRmT1_PNSt15iterator_traitsIS12_E10value_typeET2_T3_PNS13_IS18_E10value_typeET4_jRbjT5_S1E_jjP12ihipStream_tbEUljE_ZNSN_ISO_Lb0ESQ_SR_ST_SU_SY_EESZ_S10_S11_S12_S16_S17_S18_S1B_S1C_jS1D_jS1E_S1E_jjS1G_bEUljE0_EEESZ_S10_S11_S18_S1C_S1E_T6_T7_T9_mT8_S1G_bDpT10_ENKUlT_T0_E_clISt17integral_constantIbLb1EES1U_EEDaS1P_S1Q_EUlS1P_E_NS1_11comp_targetILNS1_3genE8ELNS1_11target_archE1030ELNS1_3gpuE2ELNS1_3repE0EEENS1_30default_config_static_selectorELNS0_4arch9wavefront6targetE1EEEvS12_,@function
_ZN7rocprim17ROCPRIM_400000_NS6detail17trampoline_kernelINS0_13select_configILj256ELj13ELNS0_17block_load_methodE3ELS4_3ELS4_3ELNS0_20block_scan_algorithmE0ELj4294967295EEENS1_25partition_config_selectorILNS1_17partition_subalgoE4EjNS0_10empty_typeEbEEZZNS1_14partition_implILS8_4ELb0ES6_15HIP_vector_typeIjLj2EENS0_17counting_iteratorIjlEEPS9_SG_NS0_5tupleIJPjSI_NS0_16reverse_iteratorISI_EEEEENSH_IJSG_SG_SG_EEES9_SI_JZNS1_25segmented_radix_sort_implINS0_14default_configELb0EPKbPbPKlPlN2at6native12_GLOBAL__N_18offset_tEEE10hipError_tPvRmT1_PNSt15iterator_traitsIS12_E10value_typeET2_T3_PNS13_IS18_E10value_typeET4_jRbjT5_S1E_jjP12ihipStream_tbEUljE_ZNSN_ISO_Lb0ESQ_SR_ST_SU_SY_EESZ_S10_S11_S12_S16_S17_S18_S1B_S1C_jS1D_jS1E_S1E_jjS1G_bEUljE0_EEESZ_S10_S11_S18_S1C_S1E_T6_T7_T9_mT8_S1G_bDpT10_ENKUlT_T0_E_clISt17integral_constantIbLb1EES1U_EEDaS1P_S1Q_EUlS1P_E_NS1_11comp_targetILNS1_3genE8ELNS1_11target_archE1030ELNS1_3gpuE2ELNS1_3repE0EEENS1_30default_config_static_selectorELNS0_4arch9wavefront6targetE1EEEvS12_: ; @_ZN7rocprim17ROCPRIM_400000_NS6detail17trampoline_kernelINS0_13select_configILj256ELj13ELNS0_17block_load_methodE3ELS4_3ELS4_3ELNS0_20block_scan_algorithmE0ELj4294967295EEENS1_25partition_config_selectorILNS1_17partition_subalgoE4EjNS0_10empty_typeEbEEZZNS1_14partition_implILS8_4ELb0ES6_15HIP_vector_typeIjLj2EENS0_17counting_iteratorIjlEEPS9_SG_NS0_5tupleIJPjSI_NS0_16reverse_iteratorISI_EEEEENSH_IJSG_SG_SG_EEES9_SI_JZNS1_25segmented_radix_sort_implINS0_14default_configELb0EPKbPbPKlPlN2at6native12_GLOBAL__N_18offset_tEEE10hipError_tPvRmT1_PNSt15iterator_traitsIS12_E10value_typeET2_T3_PNS13_IS18_E10value_typeET4_jRbjT5_S1E_jjP12ihipStream_tbEUljE_ZNSN_ISO_Lb0ESQ_SR_ST_SU_SY_EESZ_S10_S11_S12_S16_S17_S18_S1B_S1C_jS1D_jS1E_S1E_jjS1G_bEUljE0_EEESZ_S10_S11_S18_S1C_S1E_T6_T7_T9_mT8_S1G_bDpT10_ENKUlT_T0_E_clISt17integral_constantIbLb1EES1U_EEDaS1P_S1Q_EUlS1P_E_NS1_11comp_targetILNS1_3genE8ELNS1_11target_archE1030ELNS1_3gpuE2ELNS1_3repE0EEENS1_30default_config_static_selectorELNS0_4arch9wavefront6targetE1EEEvS12_
; %bb.0:
	.section	.rodata,"a",@progbits
	.p2align	6, 0x0
	.amdhsa_kernel _ZN7rocprim17ROCPRIM_400000_NS6detail17trampoline_kernelINS0_13select_configILj256ELj13ELNS0_17block_load_methodE3ELS4_3ELS4_3ELNS0_20block_scan_algorithmE0ELj4294967295EEENS1_25partition_config_selectorILNS1_17partition_subalgoE4EjNS0_10empty_typeEbEEZZNS1_14partition_implILS8_4ELb0ES6_15HIP_vector_typeIjLj2EENS0_17counting_iteratorIjlEEPS9_SG_NS0_5tupleIJPjSI_NS0_16reverse_iteratorISI_EEEEENSH_IJSG_SG_SG_EEES9_SI_JZNS1_25segmented_radix_sort_implINS0_14default_configELb0EPKbPbPKlPlN2at6native12_GLOBAL__N_18offset_tEEE10hipError_tPvRmT1_PNSt15iterator_traitsIS12_E10value_typeET2_T3_PNS13_IS18_E10value_typeET4_jRbjT5_S1E_jjP12ihipStream_tbEUljE_ZNSN_ISO_Lb0ESQ_SR_ST_SU_SY_EESZ_S10_S11_S12_S16_S17_S18_S1B_S1C_jS1D_jS1E_S1E_jjS1G_bEUljE0_EEESZ_S10_S11_S18_S1C_S1E_T6_T7_T9_mT8_S1G_bDpT10_ENKUlT_T0_E_clISt17integral_constantIbLb1EES1U_EEDaS1P_S1Q_EUlS1P_E_NS1_11comp_targetILNS1_3genE8ELNS1_11target_archE1030ELNS1_3gpuE2ELNS1_3repE0EEENS1_30default_config_static_selectorELNS0_4arch9wavefront6targetE1EEEvS12_
		.amdhsa_group_segment_fixed_size 0
		.amdhsa_private_segment_fixed_size 0
		.amdhsa_kernarg_size 184
		.amdhsa_user_sgpr_count 6
		.amdhsa_user_sgpr_private_segment_buffer 1
		.amdhsa_user_sgpr_dispatch_ptr 0
		.amdhsa_user_sgpr_queue_ptr 0
		.amdhsa_user_sgpr_kernarg_segment_ptr 1
		.amdhsa_user_sgpr_dispatch_id 0
		.amdhsa_user_sgpr_flat_scratch_init 0
		.amdhsa_user_sgpr_kernarg_preload_length 0
		.amdhsa_user_sgpr_kernarg_preload_offset 0
		.amdhsa_user_sgpr_private_segment_size 0
		.amdhsa_uses_dynamic_stack 0
		.amdhsa_system_sgpr_private_segment_wavefront_offset 0
		.amdhsa_system_sgpr_workgroup_id_x 1
		.amdhsa_system_sgpr_workgroup_id_y 0
		.amdhsa_system_sgpr_workgroup_id_z 0
		.amdhsa_system_sgpr_workgroup_info 0
		.amdhsa_system_vgpr_workitem_id 0
		.amdhsa_next_free_vgpr 1
		.amdhsa_next_free_sgpr 0
		.amdhsa_accum_offset 4
		.amdhsa_reserve_vcc 0
		.amdhsa_reserve_flat_scratch 0
		.amdhsa_float_round_mode_32 0
		.amdhsa_float_round_mode_16_64 0
		.amdhsa_float_denorm_mode_32 3
		.amdhsa_float_denorm_mode_16_64 3
		.amdhsa_dx10_clamp 1
		.amdhsa_ieee_mode 1
		.amdhsa_fp16_overflow 0
		.amdhsa_tg_split 0
		.amdhsa_exception_fp_ieee_invalid_op 0
		.amdhsa_exception_fp_denorm_src 0
		.amdhsa_exception_fp_ieee_div_zero 0
		.amdhsa_exception_fp_ieee_overflow 0
		.amdhsa_exception_fp_ieee_underflow 0
		.amdhsa_exception_fp_ieee_inexact 0
		.amdhsa_exception_int_div_zero 0
	.end_amdhsa_kernel
	.section	.text._ZN7rocprim17ROCPRIM_400000_NS6detail17trampoline_kernelINS0_13select_configILj256ELj13ELNS0_17block_load_methodE3ELS4_3ELS4_3ELNS0_20block_scan_algorithmE0ELj4294967295EEENS1_25partition_config_selectorILNS1_17partition_subalgoE4EjNS0_10empty_typeEbEEZZNS1_14partition_implILS8_4ELb0ES6_15HIP_vector_typeIjLj2EENS0_17counting_iteratorIjlEEPS9_SG_NS0_5tupleIJPjSI_NS0_16reverse_iteratorISI_EEEEENSH_IJSG_SG_SG_EEES9_SI_JZNS1_25segmented_radix_sort_implINS0_14default_configELb0EPKbPbPKlPlN2at6native12_GLOBAL__N_18offset_tEEE10hipError_tPvRmT1_PNSt15iterator_traitsIS12_E10value_typeET2_T3_PNS13_IS18_E10value_typeET4_jRbjT5_S1E_jjP12ihipStream_tbEUljE_ZNSN_ISO_Lb0ESQ_SR_ST_SU_SY_EESZ_S10_S11_S12_S16_S17_S18_S1B_S1C_jS1D_jS1E_S1E_jjS1G_bEUljE0_EEESZ_S10_S11_S18_S1C_S1E_T6_T7_T9_mT8_S1G_bDpT10_ENKUlT_T0_E_clISt17integral_constantIbLb1EES1U_EEDaS1P_S1Q_EUlS1P_E_NS1_11comp_targetILNS1_3genE8ELNS1_11target_archE1030ELNS1_3gpuE2ELNS1_3repE0EEENS1_30default_config_static_selectorELNS0_4arch9wavefront6targetE1EEEvS12_,"axG",@progbits,_ZN7rocprim17ROCPRIM_400000_NS6detail17trampoline_kernelINS0_13select_configILj256ELj13ELNS0_17block_load_methodE3ELS4_3ELS4_3ELNS0_20block_scan_algorithmE0ELj4294967295EEENS1_25partition_config_selectorILNS1_17partition_subalgoE4EjNS0_10empty_typeEbEEZZNS1_14partition_implILS8_4ELb0ES6_15HIP_vector_typeIjLj2EENS0_17counting_iteratorIjlEEPS9_SG_NS0_5tupleIJPjSI_NS0_16reverse_iteratorISI_EEEEENSH_IJSG_SG_SG_EEES9_SI_JZNS1_25segmented_radix_sort_implINS0_14default_configELb0EPKbPbPKlPlN2at6native12_GLOBAL__N_18offset_tEEE10hipError_tPvRmT1_PNSt15iterator_traitsIS12_E10value_typeET2_T3_PNS13_IS18_E10value_typeET4_jRbjT5_S1E_jjP12ihipStream_tbEUljE_ZNSN_ISO_Lb0ESQ_SR_ST_SU_SY_EESZ_S10_S11_S12_S16_S17_S18_S1B_S1C_jS1D_jS1E_S1E_jjS1G_bEUljE0_EEESZ_S10_S11_S18_S1C_S1E_T6_T7_T9_mT8_S1G_bDpT10_ENKUlT_T0_E_clISt17integral_constantIbLb1EES1U_EEDaS1P_S1Q_EUlS1P_E_NS1_11comp_targetILNS1_3genE8ELNS1_11target_archE1030ELNS1_3gpuE2ELNS1_3repE0EEENS1_30default_config_static_selectorELNS0_4arch9wavefront6targetE1EEEvS12_,comdat
.Lfunc_end1584:
	.size	_ZN7rocprim17ROCPRIM_400000_NS6detail17trampoline_kernelINS0_13select_configILj256ELj13ELNS0_17block_load_methodE3ELS4_3ELS4_3ELNS0_20block_scan_algorithmE0ELj4294967295EEENS1_25partition_config_selectorILNS1_17partition_subalgoE4EjNS0_10empty_typeEbEEZZNS1_14partition_implILS8_4ELb0ES6_15HIP_vector_typeIjLj2EENS0_17counting_iteratorIjlEEPS9_SG_NS0_5tupleIJPjSI_NS0_16reverse_iteratorISI_EEEEENSH_IJSG_SG_SG_EEES9_SI_JZNS1_25segmented_radix_sort_implINS0_14default_configELb0EPKbPbPKlPlN2at6native12_GLOBAL__N_18offset_tEEE10hipError_tPvRmT1_PNSt15iterator_traitsIS12_E10value_typeET2_T3_PNS13_IS18_E10value_typeET4_jRbjT5_S1E_jjP12ihipStream_tbEUljE_ZNSN_ISO_Lb0ESQ_SR_ST_SU_SY_EESZ_S10_S11_S12_S16_S17_S18_S1B_S1C_jS1D_jS1E_S1E_jjS1G_bEUljE0_EEESZ_S10_S11_S18_S1C_S1E_T6_T7_T9_mT8_S1G_bDpT10_ENKUlT_T0_E_clISt17integral_constantIbLb1EES1U_EEDaS1P_S1Q_EUlS1P_E_NS1_11comp_targetILNS1_3genE8ELNS1_11target_archE1030ELNS1_3gpuE2ELNS1_3repE0EEENS1_30default_config_static_selectorELNS0_4arch9wavefront6targetE1EEEvS12_, .Lfunc_end1584-_ZN7rocprim17ROCPRIM_400000_NS6detail17trampoline_kernelINS0_13select_configILj256ELj13ELNS0_17block_load_methodE3ELS4_3ELS4_3ELNS0_20block_scan_algorithmE0ELj4294967295EEENS1_25partition_config_selectorILNS1_17partition_subalgoE4EjNS0_10empty_typeEbEEZZNS1_14partition_implILS8_4ELb0ES6_15HIP_vector_typeIjLj2EENS0_17counting_iteratorIjlEEPS9_SG_NS0_5tupleIJPjSI_NS0_16reverse_iteratorISI_EEEEENSH_IJSG_SG_SG_EEES9_SI_JZNS1_25segmented_radix_sort_implINS0_14default_configELb0EPKbPbPKlPlN2at6native12_GLOBAL__N_18offset_tEEE10hipError_tPvRmT1_PNSt15iterator_traitsIS12_E10value_typeET2_T3_PNS13_IS18_E10value_typeET4_jRbjT5_S1E_jjP12ihipStream_tbEUljE_ZNSN_ISO_Lb0ESQ_SR_ST_SU_SY_EESZ_S10_S11_S12_S16_S17_S18_S1B_S1C_jS1D_jS1E_S1E_jjS1G_bEUljE0_EEESZ_S10_S11_S18_S1C_S1E_T6_T7_T9_mT8_S1G_bDpT10_ENKUlT_T0_E_clISt17integral_constantIbLb1EES1U_EEDaS1P_S1Q_EUlS1P_E_NS1_11comp_targetILNS1_3genE8ELNS1_11target_archE1030ELNS1_3gpuE2ELNS1_3repE0EEENS1_30default_config_static_selectorELNS0_4arch9wavefront6targetE1EEEvS12_
                                        ; -- End function
	.section	.AMDGPU.csdata,"",@progbits
; Kernel info:
; codeLenInByte = 0
; NumSgprs: 4
; NumVgprs: 0
; NumAgprs: 0
; TotalNumVgprs: 0
; ScratchSize: 0
; MemoryBound: 0
; FloatMode: 240
; IeeeMode: 1
; LDSByteSize: 0 bytes/workgroup (compile time only)
; SGPRBlocks: 0
; VGPRBlocks: 0
; NumSGPRsForWavesPerEU: 4
; NumVGPRsForWavesPerEU: 1
; AccumOffset: 4
; Occupancy: 8
; WaveLimiterHint : 0
; COMPUTE_PGM_RSRC2:SCRATCH_EN: 0
; COMPUTE_PGM_RSRC2:USER_SGPR: 6
; COMPUTE_PGM_RSRC2:TRAP_HANDLER: 0
; COMPUTE_PGM_RSRC2:TGID_X_EN: 1
; COMPUTE_PGM_RSRC2:TGID_Y_EN: 0
; COMPUTE_PGM_RSRC2:TGID_Z_EN: 0
; COMPUTE_PGM_RSRC2:TIDIG_COMP_CNT: 0
; COMPUTE_PGM_RSRC3_GFX90A:ACCUM_OFFSET: 0
; COMPUTE_PGM_RSRC3_GFX90A:TG_SPLIT: 0
	.section	.text._ZN7rocprim17ROCPRIM_400000_NS6detail17trampoline_kernelINS0_13select_configILj256ELj13ELNS0_17block_load_methodE3ELS4_3ELS4_3ELNS0_20block_scan_algorithmE0ELj4294967295EEENS1_25partition_config_selectorILNS1_17partition_subalgoE4EjNS0_10empty_typeEbEEZZNS1_14partition_implILS8_4ELb0ES6_15HIP_vector_typeIjLj2EENS0_17counting_iteratorIjlEEPS9_SG_NS0_5tupleIJPjSI_NS0_16reverse_iteratorISI_EEEEENSH_IJSG_SG_SG_EEES9_SI_JZNS1_25segmented_radix_sort_implINS0_14default_configELb0EPKbPbPKlPlN2at6native12_GLOBAL__N_18offset_tEEE10hipError_tPvRmT1_PNSt15iterator_traitsIS12_E10value_typeET2_T3_PNS13_IS18_E10value_typeET4_jRbjT5_S1E_jjP12ihipStream_tbEUljE_ZNSN_ISO_Lb0ESQ_SR_ST_SU_SY_EESZ_S10_S11_S12_S16_S17_S18_S1B_S1C_jS1D_jS1E_S1E_jjS1G_bEUljE0_EEESZ_S10_S11_S18_S1C_S1E_T6_T7_T9_mT8_S1G_bDpT10_ENKUlT_T0_E_clISt17integral_constantIbLb1EES1T_IbLb0EEEEDaS1P_S1Q_EUlS1P_E_NS1_11comp_targetILNS1_3genE0ELNS1_11target_archE4294967295ELNS1_3gpuE0ELNS1_3repE0EEENS1_30default_config_static_selectorELNS0_4arch9wavefront6targetE1EEEvS12_,"axG",@progbits,_ZN7rocprim17ROCPRIM_400000_NS6detail17trampoline_kernelINS0_13select_configILj256ELj13ELNS0_17block_load_methodE3ELS4_3ELS4_3ELNS0_20block_scan_algorithmE0ELj4294967295EEENS1_25partition_config_selectorILNS1_17partition_subalgoE4EjNS0_10empty_typeEbEEZZNS1_14partition_implILS8_4ELb0ES6_15HIP_vector_typeIjLj2EENS0_17counting_iteratorIjlEEPS9_SG_NS0_5tupleIJPjSI_NS0_16reverse_iteratorISI_EEEEENSH_IJSG_SG_SG_EEES9_SI_JZNS1_25segmented_radix_sort_implINS0_14default_configELb0EPKbPbPKlPlN2at6native12_GLOBAL__N_18offset_tEEE10hipError_tPvRmT1_PNSt15iterator_traitsIS12_E10value_typeET2_T3_PNS13_IS18_E10value_typeET4_jRbjT5_S1E_jjP12ihipStream_tbEUljE_ZNSN_ISO_Lb0ESQ_SR_ST_SU_SY_EESZ_S10_S11_S12_S16_S17_S18_S1B_S1C_jS1D_jS1E_S1E_jjS1G_bEUljE0_EEESZ_S10_S11_S18_S1C_S1E_T6_T7_T9_mT8_S1G_bDpT10_ENKUlT_T0_E_clISt17integral_constantIbLb1EES1T_IbLb0EEEEDaS1P_S1Q_EUlS1P_E_NS1_11comp_targetILNS1_3genE0ELNS1_11target_archE4294967295ELNS1_3gpuE0ELNS1_3repE0EEENS1_30default_config_static_selectorELNS0_4arch9wavefront6targetE1EEEvS12_,comdat
	.globl	_ZN7rocprim17ROCPRIM_400000_NS6detail17trampoline_kernelINS0_13select_configILj256ELj13ELNS0_17block_load_methodE3ELS4_3ELS4_3ELNS0_20block_scan_algorithmE0ELj4294967295EEENS1_25partition_config_selectorILNS1_17partition_subalgoE4EjNS0_10empty_typeEbEEZZNS1_14partition_implILS8_4ELb0ES6_15HIP_vector_typeIjLj2EENS0_17counting_iteratorIjlEEPS9_SG_NS0_5tupleIJPjSI_NS0_16reverse_iteratorISI_EEEEENSH_IJSG_SG_SG_EEES9_SI_JZNS1_25segmented_radix_sort_implINS0_14default_configELb0EPKbPbPKlPlN2at6native12_GLOBAL__N_18offset_tEEE10hipError_tPvRmT1_PNSt15iterator_traitsIS12_E10value_typeET2_T3_PNS13_IS18_E10value_typeET4_jRbjT5_S1E_jjP12ihipStream_tbEUljE_ZNSN_ISO_Lb0ESQ_SR_ST_SU_SY_EESZ_S10_S11_S12_S16_S17_S18_S1B_S1C_jS1D_jS1E_S1E_jjS1G_bEUljE0_EEESZ_S10_S11_S18_S1C_S1E_T6_T7_T9_mT8_S1G_bDpT10_ENKUlT_T0_E_clISt17integral_constantIbLb1EES1T_IbLb0EEEEDaS1P_S1Q_EUlS1P_E_NS1_11comp_targetILNS1_3genE0ELNS1_11target_archE4294967295ELNS1_3gpuE0ELNS1_3repE0EEENS1_30default_config_static_selectorELNS0_4arch9wavefront6targetE1EEEvS12_ ; -- Begin function _ZN7rocprim17ROCPRIM_400000_NS6detail17trampoline_kernelINS0_13select_configILj256ELj13ELNS0_17block_load_methodE3ELS4_3ELS4_3ELNS0_20block_scan_algorithmE0ELj4294967295EEENS1_25partition_config_selectorILNS1_17partition_subalgoE4EjNS0_10empty_typeEbEEZZNS1_14partition_implILS8_4ELb0ES6_15HIP_vector_typeIjLj2EENS0_17counting_iteratorIjlEEPS9_SG_NS0_5tupleIJPjSI_NS0_16reverse_iteratorISI_EEEEENSH_IJSG_SG_SG_EEES9_SI_JZNS1_25segmented_radix_sort_implINS0_14default_configELb0EPKbPbPKlPlN2at6native12_GLOBAL__N_18offset_tEEE10hipError_tPvRmT1_PNSt15iterator_traitsIS12_E10value_typeET2_T3_PNS13_IS18_E10value_typeET4_jRbjT5_S1E_jjP12ihipStream_tbEUljE_ZNSN_ISO_Lb0ESQ_SR_ST_SU_SY_EESZ_S10_S11_S12_S16_S17_S18_S1B_S1C_jS1D_jS1E_S1E_jjS1G_bEUljE0_EEESZ_S10_S11_S18_S1C_S1E_T6_T7_T9_mT8_S1G_bDpT10_ENKUlT_T0_E_clISt17integral_constantIbLb1EES1T_IbLb0EEEEDaS1P_S1Q_EUlS1P_E_NS1_11comp_targetILNS1_3genE0ELNS1_11target_archE4294967295ELNS1_3gpuE0ELNS1_3repE0EEENS1_30default_config_static_selectorELNS0_4arch9wavefront6targetE1EEEvS12_
	.p2align	8
	.type	_ZN7rocprim17ROCPRIM_400000_NS6detail17trampoline_kernelINS0_13select_configILj256ELj13ELNS0_17block_load_methodE3ELS4_3ELS4_3ELNS0_20block_scan_algorithmE0ELj4294967295EEENS1_25partition_config_selectorILNS1_17partition_subalgoE4EjNS0_10empty_typeEbEEZZNS1_14partition_implILS8_4ELb0ES6_15HIP_vector_typeIjLj2EENS0_17counting_iteratorIjlEEPS9_SG_NS0_5tupleIJPjSI_NS0_16reverse_iteratorISI_EEEEENSH_IJSG_SG_SG_EEES9_SI_JZNS1_25segmented_radix_sort_implINS0_14default_configELb0EPKbPbPKlPlN2at6native12_GLOBAL__N_18offset_tEEE10hipError_tPvRmT1_PNSt15iterator_traitsIS12_E10value_typeET2_T3_PNS13_IS18_E10value_typeET4_jRbjT5_S1E_jjP12ihipStream_tbEUljE_ZNSN_ISO_Lb0ESQ_SR_ST_SU_SY_EESZ_S10_S11_S12_S16_S17_S18_S1B_S1C_jS1D_jS1E_S1E_jjS1G_bEUljE0_EEESZ_S10_S11_S18_S1C_S1E_T6_T7_T9_mT8_S1G_bDpT10_ENKUlT_T0_E_clISt17integral_constantIbLb1EES1T_IbLb0EEEEDaS1P_S1Q_EUlS1P_E_NS1_11comp_targetILNS1_3genE0ELNS1_11target_archE4294967295ELNS1_3gpuE0ELNS1_3repE0EEENS1_30default_config_static_selectorELNS0_4arch9wavefront6targetE1EEEvS12_,@function
_ZN7rocprim17ROCPRIM_400000_NS6detail17trampoline_kernelINS0_13select_configILj256ELj13ELNS0_17block_load_methodE3ELS4_3ELS4_3ELNS0_20block_scan_algorithmE0ELj4294967295EEENS1_25partition_config_selectorILNS1_17partition_subalgoE4EjNS0_10empty_typeEbEEZZNS1_14partition_implILS8_4ELb0ES6_15HIP_vector_typeIjLj2EENS0_17counting_iteratorIjlEEPS9_SG_NS0_5tupleIJPjSI_NS0_16reverse_iteratorISI_EEEEENSH_IJSG_SG_SG_EEES9_SI_JZNS1_25segmented_radix_sort_implINS0_14default_configELb0EPKbPbPKlPlN2at6native12_GLOBAL__N_18offset_tEEE10hipError_tPvRmT1_PNSt15iterator_traitsIS12_E10value_typeET2_T3_PNS13_IS18_E10value_typeET4_jRbjT5_S1E_jjP12ihipStream_tbEUljE_ZNSN_ISO_Lb0ESQ_SR_ST_SU_SY_EESZ_S10_S11_S12_S16_S17_S18_S1B_S1C_jS1D_jS1E_S1E_jjS1G_bEUljE0_EEESZ_S10_S11_S18_S1C_S1E_T6_T7_T9_mT8_S1G_bDpT10_ENKUlT_T0_E_clISt17integral_constantIbLb1EES1T_IbLb0EEEEDaS1P_S1Q_EUlS1P_E_NS1_11comp_targetILNS1_3genE0ELNS1_11target_archE4294967295ELNS1_3gpuE0ELNS1_3repE0EEENS1_30default_config_static_selectorELNS0_4arch9wavefront6targetE1EEEvS12_: ; @_ZN7rocprim17ROCPRIM_400000_NS6detail17trampoline_kernelINS0_13select_configILj256ELj13ELNS0_17block_load_methodE3ELS4_3ELS4_3ELNS0_20block_scan_algorithmE0ELj4294967295EEENS1_25partition_config_selectorILNS1_17partition_subalgoE4EjNS0_10empty_typeEbEEZZNS1_14partition_implILS8_4ELb0ES6_15HIP_vector_typeIjLj2EENS0_17counting_iteratorIjlEEPS9_SG_NS0_5tupleIJPjSI_NS0_16reverse_iteratorISI_EEEEENSH_IJSG_SG_SG_EEES9_SI_JZNS1_25segmented_radix_sort_implINS0_14default_configELb0EPKbPbPKlPlN2at6native12_GLOBAL__N_18offset_tEEE10hipError_tPvRmT1_PNSt15iterator_traitsIS12_E10value_typeET2_T3_PNS13_IS18_E10value_typeET4_jRbjT5_S1E_jjP12ihipStream_tbEUljE_ZNSN_ISO_Lb0ESQ_SR_ST_SU_SY_EESZ_S10_S11_S12_S16_S17_S18_S1B_S1C_jS1D_jS1E_S1E_jjS1G_bEUljE0_EEESZ_S10_S11_S18_S1C_S1E_T6_T7_T9_mT8_S1G_bDpT10_ENKUlT_T0_E_clISt17integral_constantIbLb1EES1T_IbLb0EEEEDaS1P_S1Q_EUlS1P_E_NS1_11comp_targetILNS1_3genE0ELNS1_11target_archE4294967295ELNS1_3gpuE0ELNS1_3repE0EEENS1_30default_config_static_selectorELNS0_4arch9wavefront6targetE1EEEvS12_
; %bb.0:
	.section	.rodata,"a",@progbits
	.p2align	6, 0x0
	.amdhsa_kernel _ZN7rocprim17ROCPRIM_400000_NS6detail17trampoline_kernelINS0_13select_configILj256ELj13ELNS0_17block_load_methodE3ELS4_3ELS4_3ELNS0_20block_scan_algorithmE0ELj4294967295EEENS1_25partition_config_selectorILNS1_17partition_subalgoE4EjNS0_10empty_typeEbEEZZNS1_14partition_implILS8_4ELb0ES6_15HIP_vector_typeIjLj2EENS0_17counting_iteratorIjlEEPS9_SG_NS0_5tupleIJPjSI_NS0_16reverse_iteratorISI_EEEEENSH_IJSG_SG_SG_EEES9_SI_JZNS1_25segmented_radix_sort_implINS0_14default_configELb0EPKbPbPKlPlN2at6native12_GLOBAL__N_18offset_tEEE10hipError_tPvRmT1_PNSt15iterator_traitsIS12_E10value_typeET2_T3_PNS13_IS18_E10value_typeET4_jRbjT5_S1E_jjP12ihipStream_tbEUljE_ZNSN_ISO_Lb0ESQ_SR_ST_SU_SY_EESZ_S10_S11_S12_S16_S17_S18_S1B_S1C_jS1D_jS1E_S1E_jjS1G_bEUljE0_EEESZ_S10_S11_S18_S1C_S1E_T6_T7_T9_mT8_S1G_bDpT10_ENKUlT_T0_E_clISt17integral_constantIbLb1EES1T_IbLb0EEEEDaS1P_S1Q_EUlS1P_E_NS1_11comp_targetILNS1_3genE0ELNS1_11target_archE4294967295ELNS1_3gpuE0ELNS1_3repE0EEENS1_30default_config_static_selectorELNS0_4arch9wavefront6targetE1EEEvS12_
		.amdhsa_group_segment_fixed_size 0
		.amdhsa_private_segment_fixed_size 0
		.amdhsa_kernarg_size 176
		.amdhsa_user_sgpr_count 6
		.amdhsa_user_sgpr_private_segment_buffer 1
		.amdhsa_user_sgpr_dispatch_ptr 0
		.amdhsa_user_sgpr_queue_ptr 0
		.amdhsa_user_sgpr_kernarg_segment_ptr 1
		.amdhsa_user_sgpr_dispatch_id 0
		.amdhsa_user_sgpr_flat_scratch_init 0
		.amdhsa_user_sgpr_kernarg_preload_length 0
		.amdhsa_user_sgpr_kernarg_preload_offset 0
		.amdhsa_user_sgpr_private_segment_size 0
		.amdhsa_uses_dynamic_stack 0
		.amdhsa_system_sgpr_private_segment_wavefront_offset 0
		.amdhsa_system_sgpr_workgroup_id_x 1
		.amdhsa_system_sgpr_workgroup_id_y 0
		.amdhsa_system_sgpr_workgroup_id_z 0
		.amdhsa_system_sgpr_workgroup_info 0
		.amdhsa_system_vgpr_workitem_id 0
		.amdhsa_next_free_vgpr 1
		.amdhsa_next_free_sgpr 0
		.amdhsa_accum_offset 4
		.amdhsa_reserve_vcc 0
		.amdhsa_reserve_flat_scratch 0
		.amdhsa_float_round_mode_32 0
		.amdhsa_float_round_mode_16_64 0
		.amdhsa_float_denorm_mode_32 3
		.amdhsa_float_denorm_mode_16_64 3
		.amdhsa_dx10_clamp 1
		.amdhsa_ieee_mode 1
		.amdhsa_fp16_overflow 0
		.amdhsa_tg_split 0
		.amdhsa_exception_fp_ieee_invalid_op 0
		.amdhsa_exception_fp_denorm_src 0
		.amdhsa_exception_fp_ieee_div_zero 0
		.amdhsa_exception_fp_ieee_overflow 0
		.amdhsa_exception_fp_ieee_underflow 0
		.amdhsa_exception_fp_ieee_inexact 0
		.amdhsa_exception_int_div_zero 0
	.end_amdhsa_kernel
	.section	.text._ZN7rocprim17ROCPRIM_400000_NS6detail17trampoline_kernelINS0_13select_configILj256ELj13ELNS0_17block_load_methodE3ELS4_3ELS4_3ELNS0_20block_scan_algorithmE0ELj4294967295EEENS1_25partition_config_selectorILNS1_17partition_subalgoE4EjNS0_10empty_typeEbEEZZNS1_14partition_implILS8_4ELb0ES6_15HIP_vector_typeIjLj2EENS0_17counting_iteratorIjlEEPS9_SG_NS0_5tupleIJPjSI_NS0_16reverse_iteratorISI_EEEEENSH_IJSG_SG_SG_EEES9_SI_JZNS1_25segmented_radix_sort_implINS0_14default_configELb0EPKbPbPKlPlN2at6native12_GLOBAL__N_18offset_tEEE10hipError_tPvRmT1_PNSt15iterator_traitsIS12_E10value_typeET2_T3_PNS13_IS18_E10value_typeET4_jRbjT5_S1E_jjP12ihipStream_tbEUljE_ZNSN_ISO_Lb0ESQ_SR_ST_SU_SY_EESZ_S10_S11_S12_S16_S17_S18_S1B_S1C_jS1D_jS1E_S1E_jjS1G_bEUljE0_EEESZ_S10_S11_S18_S1C_S1E_T6_T7_T9_mT8_S1G_bDpT10_ENKUlT_T0_E_clISt17integral_constantIbLb1EES1T_IbLb0EEEEDaS1P_S1Q_EUlS1P_E_NS1_11comp_targetILNS1_3genE0ELNS1_11target_archE4294967295ELNS1_3gpuE0ELNS1_3repE0EEENS1_30default_config_static_selectorELNS0_4arch9wavefront6targetE1EEEvS12_,"axG",@progbits,_ZN7rocprim17ROCPRIM_400000_NS6detail17trampoline_kernelINS0_13select_configILj256ELj13ELNS0_17block_load_methodE3ELS4_3ELS4_3ELNS0_20block_scan_algorithmE0ELj4294967295EEENS1_25partition_config_selectorILNS1_17partition_subalgoE4EjNS0_10empty_typeEbEEZZNS1_14partition_implILS8_4ELb0ES6_15HIP_vector_typeIjLj2EENS0_17counting_iteratorIjlEEPS9_SG_NS0_5tupleIJPjSI_NS0_16reverse_iteratorISI_EEEEENSH_IJSG_SG_SG_EEES9_SI_JZNS1_25segmented_radix_sort_implINS0_14default_configELb0EPKbPbPKlPlN2at6native12_GLOBAL__N_18offset_tEEE10hipError_tPvRmT1_PNSt15iterator_traitsIS12_E10value_typeET2_T3_PNS13_IS18_E10value_typeET4_jRbjT5_S1E_jjP12ihipStream_tbEUljE_ZNSN_ISO_Lb0ESQ_SR_ST_SU_SY_EESZ_S10_S11_S12_S16_S17_S18_S1B_S1C_jS1D_jS1E_S1E_jjS1G_bEUljE0_EEESZ_S10_S11_S18_S1C_S1E_T6_T7_T9_mT8_S1G_bDpT10_ENKUlT_T0_E_clISt17integral_constantIbLb1EES1T_IbLb0EEEEDaS1P_S1Q_EUlS1P_E_NS1_11comp_targetILNS1_3genE0ELNS1_11target_archE4294967295ELNS1_3gpuE0ELNS1_3repE0EEENS1_30default_config_static_selectorELNS0_4arch9wavefront6targetE1EEEvS12_,comdat
.Lfunc_end1585:
	.size	_ZN7rocprim17ROCPRIM_400000_NS6detail17trampoline_kernelINS0_13select_configILj256ELj13ELNS0_17block_load_methodE3ELS4_3ELS4_3ELNS0_20block_scan_algorithmE0ELj4294967295EEENS1_25partition_config_selectorILNS1_17partition_subalgoE4EjNS0_10empty_typeEbEEZZNS1_14partition_implILS8_4ELb0ES6_15HIP_vector_typeIjLj2EENS0_17counting_iteratorIjlEEPS9_SG_NS0_5tupleIJPjSI_NS0_16reverse_iteratorISI_EEEEENSH_IJSG_SG_SG_EEES9_SI_JZNS1_25segmented_radix_sort_implINS0_14default_configELb0EPKbPbPKlPlN2at6native12_GLOBAL__N_18offset_tEEE10hipError_tPvRmT1_PNSt15iterator_traitsIS12_E10value_typeET2_T3_PNS13_IS18_E10value_typeET4_jRbjT5_S1E_jjP12ihipStream_tbEUljE_ZNSN_ISO_Lb0ESQ_SR_ST_SU_SY_EESZ_S10_S11_S12_S16_S17_S18_S1B_S1C_jS1D_jS1E_S1E_jjS1G_bEUljE0_EEESZ_S10_S11_S18_S1C_S1E_T6_T7_T9_mT8_S1G_bDpT10_ENKUlT_T0_E_clISt17integral_constantIbLb1EES1T_IbLb0EEEEDaS1P_S1Q_EUlS1P_E_NS1_11comp_targetILNS1_3genE0ELNS1_11target_archE4294967295ELNS1_3gpuE0ELNS1_3repE0EEENS1_30default_config_static_selectorELNS0_4arch9wavefront6targetE1EEEvS12_, .Lfunc_end1585-_ZN7rocprim17ROCPRIM_400000_NS6detail17trampoline_kernelINS0_13select_configILj256ELj13ELNS0_17block_load_methodE3ELS4_3ELS4_3ELNS0_20block_scan_algorithmE0ELj4294967295EEENS1_25partition_config_selectorILNS1_17partition_subalgoE4EjNS0_10empty_typeEbEEZZNS1_14partition_implILS8_4ELb0ES6_15HIP_vector_typeIjLj2EENS0_17counting_iteratorIjlEEPS9_SG_NS0_5tupleIJPjSI_NS0_16reverse_iteratorISI_EEEEENSH_IJSG_SG_SG_EEES9_SI_JZNS1_25segmented_radix_sort_implINS0_14default_configELb0EPKbPbPKlPlN2at6native12_GLOBAL__N_18offset_tEEE10hipError_tPvRmT1_PNSt15iterator_traitsIS12_E10value_typeET2_T3_PNS13_IS18_E10value_typeET4_jRbjT5_S1E_jjP12ihipStream_tbEUljE_ZNSN_ISO_Lb0ESQ_SR_ST_SU_SY_EESZ_S10_S11_S12_S16_S17_S18_S1B_S1C_jS1D_jS1E_S1E_jjS1G_bEUljE0_EEESZ_S10_S11_S18_S1C_S1E_T6_T7_T9_mT8_S1G_bDpT10_ENKUlT_T0_E_clISt17integral_constantIbLb1EES1T_IbLb0EEEEDaS1P_S1Q_EUlS1P_E_NS1_11comp_targetILNS1_3genE0ELNS1_11target_archE4294967295ELNS1_3gpuE0ELNS1_3repE0EEENS1_30default_config_static_selectorELNS0_4arch9wavefront6targetE1EEEvS12_
                                        ; -- End function
	.section	.AMDGPU.csdata,"",@progbits
; Kernel info:
; codeLenInByte = 0
; NumSgprs: 4
; NumVgprs: 0
; NumAgprs: 0
; TotalNumVgprs: 0
; ScratchSize: 0
; MemoryBound: 0
; FloatMode: 240
; IeeeMode: 1
; LDSByteSize: 0 bytes/workgroup (compile time only)
; SGPRBlocks: 0
; VGPRBlocks: 0
; NumSGPRsForWavesPerEU: 4
; NumVGPRsForWavesPerEU: 1
; AccumOffset: 4
; Occupancy: 8
; WaveLimiterHint : 0
; COMPUTE_PGM_RSRC2:SCRATCH_EN: 0
; COMPUTE_PGM_RSRC2:USER_SGPR: 6
; COMPUTE_PGM_RSRC2:TRAP_HANDLER: 0
; COMPUTE_PGM_RSRC2:TGID_X_EN: 1
; COMPUTE_PGM_RSRC2:TGID_Y_EN: 0
; COMPUTE_PGM_RSRC2:TGID_Z_EN: 0
; COMPUTE_PGM_RSRC2:TIDIG_COMP_CNT: 0
; COMPUTE_PGM_RSRC3_GFX90A:ACCUM_OFFSET: 0
; COMPUTE_PGM_RSRC3_GFX90A:TG_SPLIT: 0
	.section	.text._ZN7rocprim17ROCPRIM_400000_NS6detail17trampoline_kernelINS0_13select_configILj256ELj13ELNS0_17block_load_methodE3ELS4_3ELS4_3ELNS0_20block_scan_algorithmE0ELj4294967295EEENS1_25partition_config_selectorILNS1_17partition_subalgoE4EjNS0_10empty_typeEbEEZZNS1_14partition_implILS8_4ELb0ES6_15HIP_vector_typeIjLj2EENS0_17counting_iteratorIjlEEPS9_SG_NS0_5tupleIJPjSI_NS0_16reverse_iteratorISI_EEEEENSH_IJSG_SG_SG_EEES9_SI_JZNS1_25segmented_radix_sort_implINS0_14default_configELb0EPKbPbPKlPlN2at6native12_GLOBAL__N_18offset_tEEE10hipError_tPvRmT1_PNSt15iterator_traitsIS12_E10value_typeET2_T3_PNS13_IS18_E10value_typeET4_jRbjT5_S1E_jjP12ihipStream_tbEUljE_ZNSN_ISO_Lb0ESQ_SR_ST_SU_SY_EESZ_S10_S11_S12_S16_S17_S18_S1B_S1C_jS1D_jS1E_S1E_jjS1G_bEUljE0_EEESZ_S10_S11_S18_S1C_S1E_T6_T7_T9_mT8_S1G_bDpT10_ENKUlT_T0_E_clISt17integral_constantIbLb1EES1T_IbLb0EEEEDaS1P_S1Q_EUlS1P_E_NS1_11comp_targetILNS1_3genE5ELNS1_11target_archE942ELNS1_3gpuE9ELNS1_3repE0EEENS1_30default_config_static_selectorELNS0_4arch9wavefront6targetE1EEEvS12_,"axG",@progbits,_ZN7rocprim17ROCPRIM_400000_NS6detail17trampoline_kernelINS0_13select_configILj256ELj13ELNS0_17block_load_methodE3ELS4_3ELS4_3ELNS0_20block_scan_algorithmE0ELj4294967295EEENS1_25partition_config_selectorILNS1_17partition_subalgoE4EjNS0_10empty_typeEbEEZZNS1_14partition_implILS8_4ELb0ES6_15HIP_vector_typeIjLj2EENS0_17counting_iteratorIjlEEPS9_SG_NS0_5tupleIJPjSI_NS0_16reverse_iteratorISI_EEEEENSH_IJSG_SG_SG_EEES9_SI_JZNS1_25segmented_radix_sort_implINS0_14default_configELb0EPKbPbPKlPlN2at6native12_GLOBAL__N_18offset_tEEE10hipError_tPvRmT1_PNSt15iterator_traitsIS12_E10value_typeET2_T3_PNS13_IS18_E10value_typeET4_jRbjT5_S1E_jjP12ihipStream_tbEUljE_ZNSN_ISO_Lb0ESQ_SR_ST_SU_SY_EESZ_S10_S11_S12_S16_S17_S18_S1B_S1C_jS1D_jS1E_S1E_jjS1G_bEUljE0_EEESZ_S10_S11_S18_S1C_S1E_T6_T7_T9_mT8_S1G_bDpT10_ENKUlT_T0_E_clISt17integral_constantIbLb1EES1T_IbLb0EEEEDaS1P_S1Q_EUlS1P_E_NS1_11comp_targetILNS1_3genE5ELNS1_11target_archE942ELNS1_3gpuE9ELNS1_3repE0EEENS1_30default_config_static_selectorELNS0_4arch9wavefront6targetE1EEEvS12_,comdat
	.globl	_ZN7rocprim17ROCPRIM_400000_NS6detail17trampoline_kernelINS0_13select_configILj256ELj13ELNS0_17block_load_methodE3ELS4_3ELS4_3ELNS0_20block_scan_algorithmE0ELj4294967295EEENS1_25partition_config_selectorILNS1_17partition_subalgoE4EjNS0_10empty_typeEbEEZZNS1_14partition_implILS8_4ELb0ES6_15HIP_vector_typeIjLj2EENS0_17counting_iteratorIjlEEPS9_SG_NS0_5tupleIJPjSI_NS0_16reverse_iteratorISI_EEEEENSH_IJSG_SG_SG_EEES9_SI_JZNS1_25segmented_radix_sort_implINS0_14default_configELb0EPKbPbPKlPlN2at6native12_GLOBAL__N_18offset_tEEE10hipError_tPvRmT1_PNSt15iterator_traitsIS12_E10value_typeET2_T3_PNS13_IS18_E10value_typeET4_jRbjT5_S1E_jjP12ihipStream_tbEUljE_ZNSN_ISO_Lb0ESQ_SR_ST_SU_SY_EESZ_S10_S11_S12_S16_S17_S18_S1B_S1C_jS1D_jS1E_S1E_jjS1G_bEUljE0_EEESZ_S10_S11_S18_S1C_S1E_T6_T7_T9_mT8_S1G_bDpT10_ENKUlT_T0_E_clISt17integral_constantIbLb1EES1T_IbLb0EEEEDaS1P_S1Q_EUlS1P_E_NS1_11comp_targetILNS1_3genE5ELNS1_11target_archE942ELNS1_3gpuE9ELNS1_3repE0EEENS1_30default_config_static_selectorELNS0_4arch9wavefront6targetE1EEEvS12_ ; -- Begin function _ZN7rocprim17ROCPRIM_400000_NS6detail17trampoline_kernelINS0_13select_configILj256ELj13ELNS0_17block_load_methodE3ELS4_3ELS4_3ELNS0_20block_scan_algorithmE0ELj4294967295EEENS1_25partition_config_selectorILNS1_17partition_subalgoE4EjNS0_10empty_typeEbEEZZNS1_14partition_implILS8_4ELb0ES6_15HIP_vector_typeIjLj2EENS0_17counting_iteratorIjlEEPS9_SG_NS0_5tupleIJPjSI_NS0_16reverse_iteratorISI_EEEEENSH_IJSG_SG_SG_EEES9_SI_JZNS1_25segmented_radix_sort_implINS0_14default_configELb0EPKbPbPKlPlN2at6native12_GLOBAL__N_18offset_tEEE10hipError_tPvRmT1_PNSt15iterator_traitsIS12_E10value_typeET2_T3_PNS13_IS18_E10value_typeET4_jRbjT5_S1E_jjP12ihipStream_tbEUljE_ZNSN_ISO_Lb0ESQ_SR_ST_SU_SY_EESZ_S10_S11_S12_S16_S17_S18_S1B_S1C_jS1D_jS1E_S1E_jjS1G_bEUljE0_EEESZ_S10_S11_S18_S1C_S1E_T6_T7_T9_mT8_S1G_bDpT10_ENKUlT_T0_E_clISt17integral_constantIbLb1EES1T_IbLb0EEEEDaS1P_S1Q_EUlS1P_E_NS1_11comp_targetILNS1_3genE5ELNS1_11target_archE942ELNS1_3gpuE9ELNS1_3repE0EEENS1_30default_config_static_selectorELNS0_4arch9wavefront6targetE1EEEvS12_
	.p2align	8
	.type	_ZN7rocprim17ROCPRIM_400000_NS6detail17trampoline_kernelINS0_13select_configILj256ELj13ELNS0_17block_load_methodE3ELS4_3ELS4_3ELNS0_20block_scan_algorithmE0ELj4294967295EEENS1_25partition_config_selectorILNS1_17partition_subalgoE4EjNS0_10empty_typeEbEEZZNS1_14partition_implILS8_4ELb0ES6_15HIP_vector_typeIjLj2EENS0_17counting_iteratorIjlEEPS9_SG_NS0_5tupleIJPjSI_NS0_16reverse_iteratorISI_EEEEENSH_IJSG_SG_SG_EEES9_SI_JZNS1_25segmented_radix_sort_implINS0_14default_configELb0EPKbPbPKlPlN2at6native12_GLOBAL__N_18offset_tEEE10hipError_tPvRmT1_PNSt15iterator_traitsIS12_E10value_typeET2_T3_PNS13_IS18_E10value_typeET4_jRbjT5_S1E_jjP12ihipStream_tbEUljE_ZNSN_ISO_Lb0ESQ_SR_ST_SU_SY_EESZ_S10_S11_S12_S16_S17_S18_S1B_S1C_jS1D_jS1E_S1E_jjS1G_bEUljE0_EEESZ_S10_S11_S18_S1C_S1E_T6_T7_T9_mT8_S1G_bDpT10_ENKUlT_T0_E_clISt17integral_constantIbLb1EES1T_IbLb0EEEEDaS1P_S1Q_EUlS1P_E_NS1_11comp_targetILNS1_3genE5ELNS1_11target_archE942ELNS1_3gpuE9ELNS1_3repE0EEENS1_30default_config_static_selectorELNS0_4arch9wavefront6targetE1EEEvS12_,@function
_ZN7rocprim17ROCPRIM_400000_NS6detail17trampoline_kernelINS0_13select_configILj256ELj13ELNS0_17block_load_methodE3ELS4_3ELS4_3ELNS0_20block_scan_algorithmE0ELj4294967295EEENS1_25partition_config_selectorILNS1_17partition_subalgoE4EjNS0_10empty_typeEbEEZZNS1_14partition_implILS8_4ELb0ES6_15HIP_vector_typeIjLj2EENS0_17counting_iteratorIjlEEPS9_SG_NS0_5tupleIJPjSI_NS0_16reverse_iteratorISI_EEEEENSH_IJSG_SG_SG_EEES9_SI_JZNS1_25segmented_radix_sort_implINS0_14default_configELb0EPKbPbPKlPlN2at6native12_GLOBAL__N_18offset_tEEE10hipError_tPvRmT1_PNSt15iterator_traitsIS12_E10value_typeET2_T3_PNS13_IS18_E10value_typeET4_jRbjT5_S1E_jjP12ihipStream_tbEUljE_ZNSN_ISO_Lb0ESQ_SR_ST_SU_SY_EESZ_S10_S11_S12_S16_S17_S18_S1B_S1C_jS1D_jS1E_S1E_jjS1G_bEUljE0_EEESZ_S10_S11_S18_S1C_S1E_T6_T7_T9_mT8_S1G_bDpT10_ENKUlT_T0_E_clISt17integral_constantIbLb1EES1T_IbLb0EEEEDaS1P_S1Q_EUlS1P_E_NS1_11comp_targetILNS1_3genE5ELNS1_11target_archE942ELNS1_3gpuE9ELNS1_3repE0EEENS1_30default_config_static_selectorELNS0_4arch9wavefront6targetE1EEEvS12_: ; @_ZN7rocprim17ROCPRIM_400000_NS6detail17trampoline_kernelINS0_13select_configILj256ELj13ELNS0_17block_load_methodE3ELS4_3ELS4_3ELNS0_20block_scan_algorithmE0ELj4294967295EEENS1_25partition_config_selectorILNS1_17partition_subalgoE4EjNS0_10empty_typeEbEEZZNS1_14partition_implILS8_4ELb0ES6_15HIP_vector_typeIjLj2EENS0_17counting_iteratorIjlEEPS9_SG_NS0_5tupleIJPjSI_NS0_16reverse_iteratorISI_EEEEENSH_IJSG_SG_SG_EEES9_SI_JZNS1_25segmented_radix_sort_implINS0_14default_configELb0EPKbPbPKlPlN2at6native12_GLOBAL__N_18offset_tEEE10hipError_tPvRmT1_PNSt15iterator_traitsIS12_E10value_typeET2_T3_PNS13_IS18_E10value_typeET4_jRbjT5_S1E_jjP12ihipStream_tbEUljE_ZNSN_ISO_Lb0ESQ_SR_ST_SU_SY_EESZ_S10_S11_S12_S16_S17_S18_S1B_S1C_jS1D_jS1E_S1E_jjS1G_bEUljE0_EEESZ_S10_S11_S18_S1C_S1E_T6_T7_T9_mT8_S1G_bDpT10_ENKUlT_T0_E_clISt17integral_constantIbLb1EES1T_IbLb0EEEEDaS1P_S1Q_EUlS1P_E_NS1_11comp_targetILNS1_3genE5ELNS1_11target_archE942ELNS1_3gpuE9ELNS1_3repE0EEENS1_30default_config_static_selectorELNS0_4arch9wavefront6targetE1EEEvS12_
; %bb.0:
	.section	.rodata,"a",@progbits
	.p2align	6, 0x0
	.amdhsa_kernel _ZN7rocprim17ROCPRIM_400000_NS6detail17trampoline_kernelINS0_13select_configILj256ELj13ELNS0_17block_load_methodE3ELS4_3ELS4_3ELNS0_20block_scan_algorithmE0ELj4294967295EEENS1_25partition_config_selectorILNS1_17partition_subalgoE4EjNS0_10empty_typeEbEEZZNS1_14partition_implILS8_4ELb0ES6_15HIP_vector_typeIjLj2EENS0_17counting_iteratorIjlEEPS9_SG_NS0_5tupleIJPjSI_NS0_16reverse_iteratorISI_EEEEENSH_IJSG_SG_SG_EEES9_SI_JZNS1_25segmented_radix_sort_implINS0_14default_configELb0EPKbPbPKlPlN2at6native12_GLOBAL__N_18offset_tEEE10hipError_tPvRmT1_PNSt15iterator_traitsIS12_E10value_typeET2_T3_PNS13_IS18_E10value_typeET4_jRbjT5_S1E_jjP12ihipStream_tbEUljE_ZNSN_ISO_Lb0ESQ_SR_ST_SU_SY_EESZ_S10_S11_S12_S16_S17_S18_S1B_S1C_jS1D_jS1E_S1E_jjS1G_bEUljE0_EEESZ_S10_S11_S18_S1C_S1E_T6_T7_T9_mT8_S1G_bDpT10_ENKUlT_T0_E_clISt17integral_constantIbLb1EES1T_IbLb0EEEEDaS1P_S1Q_EUlS1P_E_NS1_11comp_targetILNS1_3genE5ELNS1_11target_archE942ELNS1_3gpuE9ELNS1_3repE0EEENS1_30default_config_static_selectorELNS0_4arch9wavefront6targetE1EEEvS12_
		.amdhsa_group_segment_fixed_size 0
		.amdhsa_private_segment_fixed_size 0
		.amdhsa_kernarg_size 176
		.amdhsa_user_sgpr_count 6
		.amdhsa_user_sgpr_private_segment_buffer 1
		.amdhsa_user_sgpr_dispatch_ptr 0
		.amdhsa_user_sgpr_queue_ptr 0
		.amdhsa_user_sgpr_kernarg_segment_ptr 1
		.amdhsa_user_sgpr_dispatch_id 0
		.amdhsa_user_sgpr_flat_scratch_init 0
		.amdhsa_user_sgpr_kernarg_preload_length 0
		.amdhsa_user_sgpr_kernarg_preload_offset 0
		.amdhsa_user_sgpr_private_segment_size 0
		.amdhsa_uses_dynamic_stack 0
		.amdhsa_system_sgpr_private_segment_wavefront_offset 0
		.amdhsa_system_sgpr_workgroup_id_x 1
		.amdhsa_system_sgpr_workgroup_id_y 0
		.amdhsa_system_sgpr_workgroup_id_z 0
		.amdhsa_system_sgpr_workgroup_info 0
		.amdhsa_system_vgpr_workitem_id 0
		.amdhsa_next_free_vgpr 1
		.amdhsa_next_free_sgpr 0
		.amdhsa_accum_offset 4
		.amdhsa_reserve_vcc 0
		.amdhsa_reserve_flat_scratch 0
		.amdhsa_float_round_mode_32 0
		.amdhsa_float_round_mode_16_64 0
		.amdhsa_float_denorm_mode_32 3
		.amdhsa_float_denorm_mode_16_64 3
		.amdhsa_dx10_clamp 1
		.amdhsa_ieee_mode 1
		.amdhsa_fp16_overflow 0
		.amdhsa_tg_split 0
		.amdhsa_exception_fp_ieee_invalid_op 0
		.amdhsa_exception_fp_denorm_src 0
		.amdhsa_exception_fp_ieee_div_zero 0
		.amdhsa_exception_fp_ieee_overflow 0
		.amdhsa_exception_fp_ieee_underflow 0
		.amdhsa_exception_fp_ieee_inexact 0
		.amdhsa_exception_int_div_zero 0
	.end_amdhsa_kernel
	.section	.text._ZN7rocprim17ROCPRIM_400000_NS6detail17trampoline_kernelINS0_13select_configILj256ELj13ELNS0_17block_load_methodE3ELS4_3ELS4_3ELNS0_20block_scan_algorithmE0ELj4294967295EEENS1_25partition_config_selectorILNS1_17partition_subalgoE4EjNS0_10empty_typeEbEEZZNS1_14partition_implILS8_4ELb0ES6_15HIP_vector_typeIjLj2EENS0_17counting_iteratorIjlEEPS9_SG_NS0_5tupleIJPjSI_NS0_16reverse_iteratorISI_EEEEENSH_IJSG_SG_SG_EEES9_SI_JZNS1_25segmented_radix_sort_implINS0_14default_configELb0EPKbPbPKlPlN2at6native12_GLOBAL__N_18offset_tEEE10hipError_tPvRmT1_PNSt15iterator_traitsIS12_E10value_typeET2_T3_PNS13_IS18_E10value_typeET4_jRbjT5_S1E_jjP12ihipStream_tbEUljE_ZNSN_ISO_Lb0ESQ_SR_ST_SU_SY_EESZ_S10_S11_S12_S16_S17_S18_S1B_S1C_jS1D_jS1E_S1E_jjS1G_bEUljE0_EEESZ_S10_S11_S18_S1C_S1E_T6_T7_T9_mT8_S1G_bDpT10_ENKUlT_T0_E_clISt17integral_constantIbLb1EES1T_IbLb0EEEEDaS1P_S1Q_EUlS1P_E_NS1_11comp_targetILNS1_3genE5ELNS1_11target_archE942ELNS1_3gpuE9ELNS1_3repE0EEENS1_30default_config_static_selectorELNS0_4arch9wavefront6targetE1EEEvS12_,"axG",@progbits,_ZN7rocprim17ROCPRIM_400000_NS6detail17trampoline_kernelINS0_13select_configILj256ELj13ELNS0_17block_load_methodE3ELS4_3ELS4_3ELNS0_20block_scan_algorithmE0ELj4294967295EEENS1_25partition_config_selectorILNS1_17partition_subalgoE4EjNS0_10empty_typeEbEEZZNS1_14partition_implILS8_4ELb0ES6_15HIP_vector_typeIjLj2EENS0_17counting_iteratorIjlEEPS9_SG_NS0_5tupleIJPjSI_NS0_16reverse_iteratorISI_EEEEENSH_IJSG_SG_SG_EEES9_SI_JZNS1_25segmented_radix_sort_implINS0_14default_configELb0EPKbPbPKlPlN2at6native12_GLOBAL__N_18offset_tEEE10hipError_tPvRmT1_PNSt15iterator_traitsIS12_E10value_typeET2_T3_PNS13_IS18_E10value_typeET4_jRbjT5_S1E_jjP12ihipStream_tbEUljE_ZNSN_ISO_Lb0ESQ_SR_ST_SU_SY_EESZ_S10_S11_S12_S16_S17_S18_S1B_S1C_jS1D_jS1E_S1E_jjS1G_bEUljE0_EEESZ_S10_S11_S18_S1C_S1E_T6_T7_T9_mT8_S1G_bDpT10_ENKUlT_T0_E_clISt17integral_constantIbLb1EES1T_IbLb0EEEEDaS1P_S1Q_EUlS1P_E_NS1_11comp_targetILNS1_3genE5ELNS1_11target_archE942ELNS1_3gpuE9ELNS1_3repE0EEENS1_30default_config_static_selectorELNS0_4arch9wavefront6targetE1EEEvS12_,comdat
.Lfunc_end1586:
	.size	_ZN7rocprim17ROCPRIM_400000_NS6detail17trampoline_kernelINS0_13select_configILj256ELj13ELNS0_17block_load_methodE3ELS4_3ELS4_3ELNS0_20block_scan_algorithmE0ELj4294967295EEENS1_25partition_config_selectorILNS1_17partition_subalgoE4EjNS0_10empty_typeEbEEZZNS1_14partition_implILS8_4ELb0ES6_15HIP_vector_typeIjLj2EENS0_17counting_iteratorIjlEEPS9_SG_NS0_5tupleIJPjSI_NS0_16reverse_iteratorISI_EEEEENSH_IJSG_SG_SG_EEES9_SI_JZNS1_25segmented_radix_sort_implINS0_14default_configELb0EPKbPbPKlPlN2at6native12_GLOBAL__N_18offset_tEEE10hipError_tPvRmT1_PNSt15iterator_traitsIS12_E10value_typeET2_T3_PNS13_IS18_E10value_typeET4_jRbjT5_S1E_jjP12ihipStream_tbEUljE_ZNSN_ISO_Lb0ESQ_SR_ST_SU_SY_EESZ_S10_S11_S12_S16_S17_S18_S1B_S1C_jS1D_jS1E_S1E_jjS1G_bEUljE0_EEESZ_S10_S11_S18_S1C_S1E_T6_T7_T9_mT8_S1G_bDpT10_ENKUlT_T0_E_clISt17integral_constantIbLb1EES1T_IbLb0EEEEDaS1P_S1Q_EUlS1P_E_NS1_11comp_targetILNS1_3genE5ELNS1_11target_archE942ELNS1_3gpuE9ELNS1_3repE0EEENS1_30default_config_static_selectorELNS0_4arch9wavefront6targetE1EEEvS12_, .Lfunc_end1586-_ZN7rocprim17ROCPRIM_400000_NS6detail17trampoline_kernelINS0_13select_configILj256ELj13ELNS0_17block_load_methodE3ELS4_3ELS4_3ELNS0_20block_scan_algorithmE0ELj4294967295EEENS1_25partition_config_selectorILNS1_17partition_subalgoE4EjNS0_10empty_typeEbEEZZNS1_14partition_implILS8_4ELb0ES6_15HIP_vector_typeIjLj2EENS0_17counting_iteratorIjlEEPS9_SG_NS0_5tupleIJPjSI_NS0_16reverse_iteratorISI_EEEEENSH_IJSG_SG_SG_EEES9_SI_JZNS1_25segmented_radix_sort_implINS0_14default_configELb0EPKbPbPKlPlN2at6native12_GLOBAL__N_18offset_tEEE10hipError_tPvRmT1_PNSt15iterator_traitsIS12_E10value_typeET2_T3_PNS13_IS18_E10value_typeET4_jRbjT5_S1E_jjP12ihipStream_tbEUljE_ZNSN_ISO_Lb0ESQ_SR_ST_SU_SY_EESZ_S10_S11_S12_S16_S17_S18_S1B_S1C_jS1D_jS1E_S1E_jjS1G_bEUljE0_EEESZ_S10_S11_S18_S1C_S1E_T6_T7_T9_mT8_S1G_bDpT10_ENKUlT_T0_E_clISt17integral_constantIbLb1EES1T_IbLb0EEEEDaS1P_S1Q_EUlS1P_E_NS1_11comp_targetILNS1_3genE5ELNS1_11target_archE942ELNS1_3gpuE9ELNS1_3repE0EEENS1_30default_config_static_selectorELNS0_4arch9wavefront6targetE1EEEvS12_
                                        ; -- End function
	.section	.AMDGPU.csdata,"",@progbits
; Kernel info:
; codeLenInByte = 0
; NumSgprs: 4
; NumVgprs: 0
; NumAgprs: 0
; TotalNumVgprs: 0
; ScratchSize: 0
; MemoryBound: 0
; FloatMode: 240
; IeeeMode: 1
; LDSByteSize: 0 bytes/workgroup (compile time only)
; SGPRBlocks: 0
; VGPRBlocks: 0
; NumSGPRsForWavesPerEU: 4
; NumVGPRsForWavesPerEU: 1
; AccumOffset: 4
; Occupancy: 8
; WaveLimiterHint : 0
; COMPUTE_PGM_RSRC2:SCRATCH_EN: 0
; COMPUTE_PGM_RSRC2:USER_SGPR: 6
; COMPUTE_PGM_RSRC2:TRAP_HANDLER: 0
; COMPUTE_PGM_RSRC2:TGID_X_EN: 1
; COMPUTE_PGM_RSRC2:TGID_Y_EN: 0
; COMPUTE_PGM_RSRC2:TGID_Z_EN: 0
; COMPUTE_PGM_RSRC2:TIDIG_COMP_CNT: 0
; COMPUTE_PGM_RSRC3_GFX90A:ACCUM_OFFSET: 0
; COMPUTE_PGM_RSRC3_GFX90A:TG_SPLIT: 0
	.section	.text._ZN7rocprim17ROCPRIM_400000_NS6detail17trampoline_kernelINS0_13select_configILj256ELj13ELNS0_17block_load_methodE3ELS4_3ELS4_3ELNS0_20block_scan_algorithmE0ELj4294967295EEENS1_25partition_config_selectorILNS1_17partition_subalgoE4EjNS0_10empty_typeEbEEZZNS1_14partition_implILS8_4ELb0ES6_15HIP_vector_typeIjLj2EENS0_17counting_iteratorIjlEEPS9_SG_NS0_5tupleIJPjSI_NS0_16reverse_iteratorISI_EEEEENSH_IJSG_SG_SG_EEES9_SI_JZNS1_25segmented_radix_sort_implINS0_14default_configELb0EPKbPbPKlPlN2at6native12_GLOBAL__N_18offset_tEEE10hipError_tPvRmT1_PNSt15iterator_traitsIS12_E10value_typeET2_T3_PNS13_IS18_E10value_typeET4_jRbjT5_S1E_jjP12ihipStream_tbEUljE_ZNSN_ISO_Lb0ESQ_SR_ST_SU_SY_EESZ_S10_S11_S12_S16_S17_S18_S1B_S1C_jS1D_jS1E_S1E_jjS1G_bEUljE0_EEESZ_S10_S11_S18_S1C_S1E_T6_T7_T9_mT8_S1G_bDpT10_ENKUlT_T0_E_clISt17integral_constantIbLb1EES1T_IbLb0EEEEDaS1P_S1Q_EUlS1P_E_NS1_11comp_targetILNS1_3genE4ELNS1_11target_archE910ELNS1_3gpuE8ELNS1_3repE0EEENS1_30default_config_static_selectorELNS0_4arch9wavefront6targetE1EEEvS12_,"axG",@progbits,_ZN7rocprim17ROCPRIM_400000_NS6detail17trampoline_kernelINS0_13select_configILj256ELj13ELNS0_17block_load_methodE3ELS4_3ELS4_3ELNS0_20block_scan_algorithmE0ELj4294967295EEENS1_25partition_config_selectorILNS1_17partition_subalgoE4EjNS0_10empty_typeEbEEZZNS1_14partition_implILS8_4ELb0ES6_15HIP_vector_typeIjLj2EENS0_17counting_iteratorIjlEEPS9_SG_NS0_5tupleIJPjSI_NS0_16reverse_iteratorISI_EEEEENSH_IJSG_SG_SG_EEES9_SI_JZNS1_25segmented_radix_sort_implINS0_14default_configELb0EPKbPbPKlPlN2at6native12_GLOBAL__N_18offset_tEEE10hipError_tPvRmT1_PNSt15iterator_traitsIS12_E10value_typeET2_T3_PNS13_IS18_E10value_typeET4_jRbjT5_S1E_jjP12ihipStream_tbEUljE_ZNSN_ISO_Lb0ESQ_SR_ST_SU_SY_EESZ_S10_S11_S12_S16_S17_S18_S1B_S1C_jS1D_jS1E_S1E_jjS1G_bEUljE0_EEESZ_S10_S11_S18_S1C_S1E_T6_T7_T9_mT8_S1G_bDpT10_ENKUlT_T0_E_clISt17integral_constantIbLb1EES1T_IbLb0EEEEDaS1P_S1Q_EUlS1P_E_NS1_11comp_targetILNS1_3genE4ELNS1_11target_archE910ELNS1_3gpuE8ELNS1_3repE0EEENS1_30default_config_static_selectorELNS0_4arch9wavefront6targetE1EEEvS12_,comdat
	.globl	_ZN7rocprim17ROCPRIM_400000_NS6detail17trampoline_kernelINS0_13select_configILj256ELj13ELNS0_17block_load_methodE3ELS4_3ELS4_3ELNS0_20block_scan_algorithmE0ELj4294967295EEENS1_25partition_config_selectorILNS1_17partition_subalgoE4EjNS0_10empty_typeEbEEZZNS1_14partition_implILS8_4ELb0ES6_15HIP_vector_typeIjLj2EENS0_17counting_iteratorIjlEEPS9_SG_NS0_5tupleIJPjSI_NS0_16reverse_iteratorISI_EEEEENSH_IJSG_SG_SG_EEES9_SI_JZNS1_25segmented_radix_sort_implINS0_14default_configELb0EPKbPbPKlPlN2at6native12_GLOBAL__N_18offset_tEEE10hipError_tPvRmT1_PNSt15iterator_traitsIS12_E10value_typeET2_T3_PNS13_IS18_E10value_typeET4_jRbjT5_S1E_jjP12ihipStream_tbEUljE_ZNSN_ISO_Lb0ESQ_SR_ST_SU_SY_EESZ_S10_S11_S12_S16_S17_S18_S1B_S1C_jS1D_jS1E_S1E_jjS1G_bEUljE0_EEESZ_S10_S11_S18_S1C_S1E_T6_T7_T9_mT8_S1G_bDpT10_ENKUlT_T0_E_clISt17integral_constantIbLb1EES1T_IbLb0EEEEDaS1P_S1Q_EUlS1P_E_NS1_11comp_targetILNS1_3genE4ELNS1_11target_archE910ELNS1_3gpuE8ELNS1_3repE0EEENS1_30default_config_static_selectorELNS0_4arch9wavefront6targetE1EEEvS12_ ; -- Begin function _ZN7rocprim17ROCPRIM_400000_NS6detail17trampoline_kernelINS0_13select_configILj256ELj13ELNS0_17block_load_methodE3ELS4_3ELS4_3ELNS0_20block_scan_algorithmE0ELj4294967295EEENS1_25partition_config_selectorILNS1_17partition_subalgoE4EjNS0_10empty_typeEbEEZZNS1_14partition_implILS8_4ELb0ES6_15HIP_vector_typeIjLj2EENS0_17counting_iteratorIjlEEPS9_SG_NS0_5tupleIJPjSI_NS0_16reverse_iteratorISI_EEEEENSH_IJSG_SG_SG_EEES9_SI_JZNS1_25segmented_radix_sort_implINS0_14default_configELb0EPKbPbPKlPlN2at6native12_GLOBAL__N_18offset_tEEE10hipError_tPvRmT1_PNSt15iterator_traitsIS12_E10value_typeET2_T3_PNS13_IS18_E10value_typeET4_jRbjT5_S1E_jjP12ihipStream_tbEUljE_ZNSN_ISO_Lb0ESQ_SR_ST_SU_SY_EESZ_S10_S11_S12_S16_S17_S18_S1B_S1C_jS1D_jS1E_S1E_jjS1G_bEUljE0_EEESZ_S10_S11_S18_S1C_S1E_T6_T7_T9_mT8_S1G_bDpT10_ENKUlT_T0_E_clISt17integral_constantIbLb1EES1T_IbLb0EEEEDaS1P_S1Q_EUlS1P_E_NS1_11comp_targetILNS1_3genE4ELNS1_11target_archE910ELNS1_3gpuE8ELNS1_3repE0EEENS1_30default_config_static_selectorELNS0_4arch9wavefront6targetE1EEEvS12_
	.p2align	8
	.type	_ZN7rocprim17ROCPRIM_400000_NS6detail17trampoline_kernelINS0_13select_configILj256ELj13ELNS0_17block_load_methodE3ELS4_3ELS4_3ELNS0_20block_scan_algorithmE0ELj4294967295EEENS1_25partition_config_selectorILNS1_17partition_subalgoE4EjNS0_10empty_typeEbEEZZNS1_14partition_implILS8_4ELb0ES6_15HIP_vector_typeIjLj2EENS0_17counting_iteratorIjlEEPS9_SG_NS0_5tupleIJPjSI_NS0_16reverse_iteratorISI_EEEEENSH_IJSG_SG_SG_EEES9_SI_JZNS1_25segmented_radix_sort_implINS0_14default_configELb0EPKbPbPKlPlN2at6native12_GLOBAL__N_18offset_tEEE10hipError_tPvRmT1_PNSt15iterator_traitsIS12_E10value_typeET2_T3_PNS13_IS18_E10value_typeET4_jRbjT5_S1E_jjP12ihipStream_tbEUljE_ZNSN_ISO_Lb0ESQ_SR_ST_SU_SY_EESZ_S10_S11_S12_S16_S17_S18_S1B_S1C_jS1D_jS1E_S1E_jjS1G_bEUljE0_EEESZ_S10_S11_S18_S1C_S1E_T6_T7_T9_mT8_S1G_bDpT10_ENKUlT_T0_E_clISt17integral_constantIbLb1EES1T_IbLb0EEEEDaS1P_S1Q_EUlS1P_E_NS1_11comp_targetILNS1_3genE4ELNS1_11target_archE910ELNS1_3gpuE8ELNS1_3repE0EEENS1_30default_config_static_selectorELNS0_4arch9wavefront6targetE1EEEvS12_,@function
_ZN7rocprim17ROCPRIM_400000_NS6detail17trampoline_kernelINS0_13select_configILj256ELj13ELNS0_17block_load_methodE3ELS4_3ELS4_3ELNS0_20block_scan_algorithmE0ELj4294967295EEENS1_25partition_config_selectorILNS1_17partition_subalgoE4EjNS0_10empty_typeEbEEZZNS1_14partition_implILS8_4ELb0ES6_15HIP_vector_typeIjLj2EENS0_17counting_iteratorIjlEEPS9_SG_NS0_5tupleIJPjSI_NS0_16reverse_iteratorISI_EEEEENSH_IJSG_SG_SG_EEES9_SI_JZNS1_25segmented_radix_sort_implINS0_14default_configELb0EPKbPbPKlPlN2at6native12_GLOBAL__N_18offset_tEEE10hipError_tPvRmT1_PNSt15iterator_traitsIS12_E10value_typeET2_T3_PNS13_IS18_E10value_typeET4_jRbjT5_S1E_jjP12ihipStream_tbEUljE_ZNSN_ISO_Lb0ESQ_SR_ST_SU_SY_EESZ_S10_S11_S12_S16_S17_S18_S1B_S1C_jS1D_jS1E_S1E_jjS1G_bEUljE0_EEESZ_S10_S11_S18_S1C_S1E_T6_T7_T9_mT8_S1G_bDpT10_ENKUlT_T0_E_clISt17integral_constantIbLb1EES1T_IbLb0EEEEDaS1P_S1Q_EUlS1P_E_NS1_11comp_targetILNS1_3genE4ELNS1_11target_archE910ELNS1_3gpuE8ELNS1_3repE0EEENS1_30default_config_static_selectorELNS0_4arch9wavefront6targetE1EEEvS12_: ; @_ZN7rocprim17ROCPRIM_400000_NS6detail17trampoline_kernelINS0_13select_configILj256ELj13ELNS0_17block_load_methodE3ELS4_3ELS4_3ELNS0_20block_scan_algorithmE0ELj4294967295EEENS1_25partition_config_selectorILNS1_17partition_subalgoE4EjNS0_10empty_typeEbEEZZNS1_14partition_implILS8_4ELb0ES6_15HIP_vector_typeIjLj2EENS0_17counting_iteratorIjlEEPS9_SG_NS0_5tupleIJPjSI_NS0_16reverse_iteratorISI_EEEEENSH_IJSG_SG_SG_EEES9_SI_JZNS1_25segmented_radix_sort_implINS0_14default_configELb0EPKbPbPKlPlN2at6native12_GLOBAL__N_18offset_tEEE10hipError_tPvRmT1_PNSt15iterator_traitsIS12_E10value_typeET2_T3_PNS13_IS18_E10value_typeET4_jRbjT5_S1E_jjP12ihipStream_tbEUljE_ZNSN_ISO_Lb0ESQ_SR_ST_SU_SY_EESZ_S10_S11_S12_S16_S17_S18_S1B_S1C_jS1D_jS1E_S1E_jjS1G_bEUljE0_EEESZ_S10_S11_S18_S1C_S1E_T6_T7_T9_mT8_S1G_bDpT10_ENKUlT_T0_E_clISt17integral_constantIbLb1EES1T_IbLb0EEEEDaS1P_S1Q_EUlS1P_E_NS1_11comp_targetILNS1_3genE4ELNS1_11target_archE910ELNS1_3gpuE8ELNS1_3repE0EEENS1_30default_config_static_selectorELNS0_4arch9wavefront6targetE1EEEvS12_
; %bb.0:
	s_load_dwordx2 s[0:1], s[4:5], 0x68
	s_load_dword s7, s[4:5], 0x8
	s_load_dwordx2 s[56:57], s[4:5], 0x10
	s_load_dwordx4 s[44:47], s[4:5], 0x58
	s_mul_i32 s33, s6, 0xd00
	s_waitcnt lgkmcnt(0)
	v_mov_b32_e32 v3, s1
	v_mov_b32_e32 v2, s0
	s_load_dword s1, s[4:5], 0x80
	s_load_dwordx2 s[60:61], s[4:5], 0xa8
	s_load_dwordx8 s[36:43], s[4:5], 0x88
	s_load_dwordx4 s[48:51], s[46:47], 0x0
	s_waitcnt lgkmcnt(0)
	s_add_i32 s8, s1, -1
	s_mulk_i32 s1, 0xd00
	s_add_u32 s2, s56, s1
	s_addc_u32 s3, s57, 0
	s_cmp_eq_u32 s6, s8
	s_cselect_b64 s[30:31], -1, 0
	s_cmp_lg_u32 s6, s8
	v_cmp_lt_u64_e32 vcc, s[2:3], v[2:3]
	s_cselect_b64 s[2:3], -1, 0
	s_add_i32 s7, s7, s33
	s_or_b64 s[2:3], s[2:3], vcc
	s_add_i32 s7, s7, s56
	v_add_u32_e32 v1, s7, v0
	s_mov_b64 s[8:9], -1
	s_and_b64 vcc, exec, s[2:3]
	s_cbranch_vccz .LBB1587_2
; %bb.1:
	v_add_u32_e32 v2, 0x100, v1
	v_lshlrev_b32_e32 v14, 2, v0
	v_add_u32_e32 v3, 0x200, v1
	v_add_u32_e32 v4, 0x300, v1
	;; [unrolled: 1-line block ×11, first 2 shown]
	ds_write2st64_b32 v14, v1, v2 offset1:4
	ds_write2st64_b32 v14, v3, v4 offset0:8 offset1:12
	ds_write2st64_b32 v14, v5, v6 offset0:16 offset1:20
	;; [unrolled: 1-line block ×5, first 2 shown]
	ds_write_b32 v14, v13 offset:12288
	s_waitcnt lgkmcnt(0)
	s_barrier
	s_mov_b64 s[8:9], 0
.LBB1587_2:
	s_andn2_b64 vcc, exec, s[8:9]
	s_add_i32 s1, s1, s56
	s_cbranch_vccnz .LBB1587_4
; %bb.3:
	v_add_u32_e32 v2, 0x100, v1
	v_lshlrev_b32_e32 v14, 2, v0
	v_add_u32_e32 v3, 0x200, v1
	v_add_u32_e32 v4, 0x300, v1
	;; [unrolled: 1-line block ×11, first 2 shown]
	ds_write2st64_b32 v14, v1, v2 offset1:4
	ds_write2st64_b32 v14, v3, v4 offset0:8 offset1:12
	ds_write2st64_b32 v14, v5, v6 offset0:16 offset1:20
	;; [unrolled: 1-line block ×5, first 2 shown]
	ds_write_b32 v14, v13 offset:12288
	s_waitcnt lgkmcnt(0)
	s_barrier
.LBB1587_4:
	v_mul_u32_u24_e32 v31, 13, v0
	v_lshlrev_b32_e32 v1, 2, v31
	s_load_dwordx4 s[52:55], s[4:5], 0x28
	s_load_dwordx2 s[34:35], s[4:5], 0x38
	s_waitcnt lgkmcnt(0)
	ds_read2_b32 v[18:19], v1 offset1:1
	ds_read2_b32 v[16:17], v1 offset0:2 offset1:3
	ds_read2_b32 v[14:15], v1 offset0:4 offset1:5
	;; [unrolled: 1-line block ×5, first 2 shown]
	ds_read_b32 v30, v1 offset:48
	v_cndmask_b32_e64 v1, 0, 1, s[2:3]
	s_sub_i32 s7, s0, s1
	v_cmp_ne_u32_e64 s[0:1], 1, v1
	s_andn2_b64 vcc, exec, s[2:3]
	s_waitcnt lgkmcnt(0)
	s_barrier
	s_cbranch_vccnz .LBB1587_32
; %bb.5:
	v_add_u32_e32 v1, s37, v18
	v_add_u32_e32 v2, s39, v18
	v_mul_lo_u32 v1, v1, s36
	v_mul_lo_u32 v2, v2, s38
	v_sub_u32_e32 v1, v1, v2
	v_cmp_lt_u32_e32 vcc, s40, v1
	v_cmp_ge_u32_e64 s[2:3], s40, v1
	s_mov_b64 s[64:65], 0
	s_mov_b64 s[62:63], 0
	s_and_saveexec_b64 s[8:9], s[2:3]
; %bb.6:
	v_add_u32_e32 v1, s42, v18
	v_add_u32_e32 v2, s60, v18
	v_mul_lo_u32 v1, v1, s41
	v_mul_lo_u32 v2, v2, s43
	v_sub_u32_e32 v1, v1, v2
	v_cmp_lt_u32_e64 s[2:3], s61, v1
	s_and_b64 s[62:63], s[2:3], exec
; %bb.7:
	s_or_b64 exec, exec, s[8:9]
	v_add_u32_e32 v1, s37, v19
	v_add_u32_e32 v2, s39, v19
	v_mul_lo_u32 v1, v1, s36
	v_mul_lo_u32 v2, v2, s38
	v_sub_u32_e32 v1, v1, v2
	v_cmp_lt_u32_e64 s[2:3], s40, v1
	v_cmp_ge_u32_e64 s[8:9], s40, v1
	s_and_saveexec_b64 s[10:11], s[8:9]
; %bb.8:
	v_add_u32_e32 v1, s42, v19
	v_add_u32_e32 v2, s60, v19
	v_mul_lo_u32 v1, v1, s41
	v_mul_lo_u32 v2, v2, s43
	v_sub_u32_e32 v1, v1, v2
	v_cmp_lt_u32_e64 s[8:9], s61, v1
	s_and_b64 s[64:65], s[8:9], exec
; %bb.9:
	s_or_b64 exec, exec, s[10:11]
	v_add_u32_e32 v1, s37, v16
	v_add_u32_e32 v2, s39, v16
	v_mul_lo_u32 v1, v1, s36
	v_mul_lo_u32 v2, v2, s38
	v_sub_u32_e32 v1, v1, v2
	v_cmp_lt_u32_e64 s[26:27], s40, v1
	v_cmp_ge_u32_e64 s[8:9], s40, v1
	s_mov_b64 s[68:69], 0
	s_mov_b64 s[66:67], 0
	s_and_saveexec_b64 s[10:11], s[8:9]
; %bb.10:
	v_add_u32_e32 v1, s42, v16
	v_add_u32_e32 v2, s60, v16
	v_mul_lo_u32 v1, v1, s41
	v_mul_lo_u32 v2, v2, s43
	v_sub_u32_e32 v1, v1, v2
	v_cmp_lt_u32_e64 s[8:9], s61, v1
	s_and_b64 s[66:67], s[8:9], exec
; %bb.11:
	s_or_b64 exec, exec, s[10:11]
	v_add_u32_e32 v1, s37, v17
	v_add_u32_e32 v2, s39, v17
	v_mul_lo_u32 v1, v1, s36
	v_mul_lo_u32 v2, v2, s38
	v_sub_u32_e32 v1, v1, v2
	v_cmp_lt_u32_e64 s[8:9], s40, v1
	v_cmp_ge_u32_e64 s[10:11], s40, v1
	s_and_saveexec_b64 s[12:13], s[10:11]
; %bb.12:
	v_add_u32_e32 v1, s42, v17
	v_add_u32_e32 v2, s60, v17
	v_mul_lo_u32 v1, v1, s41
	v_mul_lo_u32 v2, v2, s43
	v_sub_u32_e32 v1, v1, v2
	v_cmp_lt_u32_e64 s[10:11], s61, v1
	s_and_b64 s[68:69], s[10:11], exec
; %bb.13:
	s_or_b64 exec, exec, s[12:13]
	v_add_u32_e32 v1, s37, v14
	v_add_u32_e32 v2, s39, v14
	v_mul_lo_u32 v1, v1, s36
	v_mul_lo_u32 v2, v2, s38
	v_sub_u32_e32 v1, v1, v2
	v_cmp_lt_u32_e64 s[10:11], s40, v1
	;; [unrolled: 38-line block ×5, first 2 shown]
	v_cmp_ge_u32_e64 s[24:25], s40, v1
	s_mov_b64 s[84:85], 0
	s_mov_b64 s[86:87], 0
	s_and_saveexec_b64 s[28:29], s[24:25]
; %bb.26:
	v_add_u32_e32 v1, s42, v8
	v_add_u32_e32 v2, s60, v8
	v_mul_lo_u32 v1, v1, s41
	v_mul_lo_u32 v2, v2, s43
	v_sub_u32_e32 v1, v1, v2
	v_cmp_lt_u32_e64 s[24:25], s61, v1
	s_and_b64 s[86:87], s[24:25], exec
; %bb.27:
	s_or_b64 exec, exec, s[28:29]
	v_add_u32_e32 v1, s37, v9
	v_add_u32_e32 v2, s39, v9
	v_mul_lo_u32 v1, v1, s36
	v_mul_lo_u32 v2, v2, s38
	v_sub_u32_e32 v1, v1, v2
	v_cmp_lt_u32_e64 s[24:25], s40, v1
	v_cmp_ge_u32_e64 s[28:29], s40, v1
	s_and_saveexec_b64 s[46:47], s[28:29]
; %bb.28:
	v_add_u32_e32 v1, s42, v9
	v_add_u32_e32 v2, s60, v9
	v_mul_lo_u32 v1, v1, s41
	v_mul_lo_u32 v2, v2, s43
	v_sub_u32_e32 v1, v1, v2
	v_cmp_lt_u32_e64 s[28:29], s61, v1
	s_and_b64 s[84:85], s[28:29], exec
; %bb.29:
	s_or_b64 exec, exec, s[46:47]
	v_add_u32_e32 v1, s37, v30
	v_add_u32_e32 v2, s39, v30
	v_mul_lo_u32 v1, v1, s36
	v_mul_lo_u32 v2, v2, s38
	v_sub_u32_e32 v1, v1, v2
	v_cmp_ge_u32_e64 s[28:29], s40, v1
	s_mov_b64 s[46:47], -1
	s_mov_b64 s[78:79], 0
	s_mov_b64 s[58:59], 0
	s_and_saveexec_b64 s[88:89], s[28:29]
; %bb.30:
	v_add_u32_e32 v1, s42, v30
	v_add_u32_e32 v2, s60, v30
	v_mul_lo_u32 v1, v1, s41
	v_mul_lo_u32 v2, v2, s43
	v_sub_u32_e32 v1, v1, v2
	v_cmp_lt_u32_e64 s[28:29], s61, v1
	s_and_b64 s[58:59], s[28:29], exec
	s_xor_b64 s[46:47], exec, -1
; %bb.31:
	s_or_b64 exec, exec, s[88:89]
	v_cndmask_b32_e64 v52, 0, 1, s[86:87]
	v_cndmask_b32_e64 v55, 0, 1, s[24:25]
	;; [unrolled: 1-line block ×22, first 2 shown]
	v_cndmask_b32_e64 v32, 0, 1, vcc
	v_cndmask_b32_e64 v54, 0, 1, s[84:85]
	s_load_dwordx2 s[12:13], s[4:5], 0x78
	s_add_i32 s18, s7, 0xd00
	s_and_b64 vcc, exec, s[78:79]
	s_cbranch_vccnz .LBB1587_33
	s_branch .LBB1587_86
.LBB1587_32:
                                        ; implicit-def: $sgpr46_sgpr47
                                        ; implicit-def: $sgpr58_sgpr59
                                        ; implicit-def: $vgpr54
                                        ; implicit-def: $vgpr52
                                        ; implicit-def: $vgpr50
                                        ; implicit-def: $vgpr48
                                        ; implicit-def: $vgpr46
                                        ; implicit-def: $vgpr44
                                        ; implicit-def: $vgpr42
                                        ; implicit-def: $vgpr40
                                        ; implicit-def: $vgpr38
                                        ; implicit-def: $vgpr32
                                        ; implicit-def: $vgpr34
                                        ; implicit-def: $vgpr36
                                        ; implicit-def: $vgpr39
                                        ; implicit-def: $vgpr41
                                        ; implicit-def: $vgpr43
                                        ; implicit-def: $vgpr45
                                        ; implicit-def: $vgpr47
                                        ; implicit-def: $vgpr49
                                        ; implicit-def: $vgpr51
                                        ; implicit-def: $vgpr53
                                        ; implicit-def: $vgpr55
                                        ; implicit-def: $vgpr33
                                        ; implicit-def: $vgpr35
                                        ; implicit-def: $vgpr37
	s_load_dwordx2 s[12:13], s[4:5], 0x78
	s_add_i32 s18, s7, 0xd00
	s_cbranch_execz .LBB1587_86
.LBB1587_33:
	v_cmp_gt_u32_e32 vcc, s18, v31
	v_mov_b32_e32 v33, 0
	v_mov_b32_e32 v32, 0
	s_and_saveexec_b64 s[4:5], vcc
	s_cbranch_execz .LBB1587_37
; %bb.34:
	v_add_u32_e32 v1, s37, v18
	v_add_u32_e32 v2, s39, v18
	v_mul_lo_u32 v1, v1, s36
	v_mul_lo_u32 v2, v2, s38
	v_sub_u32_e32 v1, v1, v2
	v_cmp_lt_u32_e32 vcc, s40, v1
	v_cmp_ge_u32_e64 s[2:3], s40, v1
	s_mov_b64 s[10:11], 0
	s_and_saveexec_b64 s[8:9], s[2:3]
; %bb.35:
	v_add_u32_e32 v1, s42, v18
	v_add_u32_e32 v2, s60, v18
	v_mul_lo_u32 v1, v1, s41
	v_mul_lo_u32 v2, v2, s43
	v_sub_u32_e32 v1, v1, v2
	v_cmp_lt_u32_e64 s[2:3], s61, v1
	s_and_b64 s[10:11], s[2:3], exec
; %bb.36:
	s_or_b64 exec, exec, s[8:9]
	v_cndmask_b32_e64 v32, 0, 1, vcc
	v_cndmask_b32_e64 v33, 0, 1, s[10:11]
.LBB1587_37:
	s_or_b64 exec, exec, s[4:5]
	v_add_u32_e32 v1, 1, v31
	v_cmp_gt_u32_e32 vcc, s18, v1
	v_mov_b32_e32 v34, 0
	v_mov_b32_e32 v35, 0
	s_and_saveexec_b64 s[4:5], vcc
	s_cbranch_execz .LBB1587_41
; %bb.38:
	v_add_u32_e32 v1, s37, v19
	v_add_u32_e32 v2, s39, v19
	v_mul_lo_u32 v1, v1, s36
	v_mul_lo_u32 v2, v2, s38
	v_sub_u32_e32 v1, v1, v2
	v_cmp_lt_u32_e32 vcc, s40, v1
	v_cmp_ge_u32_e64 s[2:3], s40, v1
	s_mov_b64 s[10:11], 0
	s_and_saveexec_b64 s[8:9], s[2:3]
; %bb.39:
	v_add_u32_e32 v1, s42, v19
	v_add_u32_e32 v2, s60, v19
	v_mul_lo_u32 v1, v1, s41
	v_mul_lo_u32 v2, v2, s43
	v_sub_u32_e32 v1, v1, v2
	v_cmp_lt_u32_e64 s[2:3], s61, v1
	s_and_b64 s[10:11], s[2:3], exec
; %bb.40:
	s_or_b64 exec, exec, s[8:9]
	v_cndmask_b32_e64 v34, 0, 1, vcc
	v_cndmask_b32_e64 v35, 0, 1, s[10:11]
.LBB1587_41:
	s_or_b64 exec, exec, s[4:5]
	v_add_u32_e32 v1, 2, v31
	;; [unrolled: 30-line block ×12, first 2 shown]
	v_cmp_gt_u32_e32 vcc, s18, v1
	s_mov_b64 s[46:47], 0
	s_mov_b64 s[58:59], 0
	s_and_saveexec_b64 s[2:3], vcc
	s_cbranch_execz .LBB1587_85
; %bb.82:
	v_add_u32_e32 v1, s37, v30
	v_add_u32_e32 v2, s39, v30
	v_mul_lo_u32 v1, v1, s36
	v_mul_lo_u32 v2, v2, s38
	v_sub_u32_e32 v1, v1, v2
	v_cmp_ge_u32_e32 vcc, s40, v1
	s_mov_b64 s[8:9], -1
	s_mov_b64 s[10:11], 0
	s_and_saveexec_b64 s[4:5], vcc
; %bb.83:
	v_add_u32_e32 v1, s42, v30
	v_add_u32_e32 v2, s60, v30
	v_mul_lo_u32 v1, v1, s41
	v_mul_lo_u32 v2, v2, s43
	v_sub_u32_e32 v1, v1, v2
	v_cmp_lt_u32_e32 vcc, s61, v1
	s_and_b64 s[10:11], vcc, exec
	s_xor_b64 s[8:9], exec, -1
; %bb.84:
	s_or_b64 exec, exec, s[4:5]
	s_and_b64 s[58:59], s[10:11], exec
	s_and_b64 s[46:47], s[8:9], exec
.LBB1587_85:
	s_or_b64 exec, exec, s[2:3]
.LBB1587_86:
	v_and_b32_e32 v63, 0xff, v33
	v_and_b32_e32 v74, 0xff, v35
	;; [unrolled: 1-line block ×5, first 2 shown]
	v_add3_u32 v2, v74, v65, v63
	v_and_b32_e32 v76, 0xff, v42
	v_and_b32_e32 v69, 0xff, v44
	v_add3_u32 v2, v2, v75, v67
	v_and_b32_e32 v62, 0xff, v32
	v_and_b32_e32 v56, 0xff, v34
	;; [unrolled: 1-line block ×5, first 2 shown]
	v_add3_u32 v2, v2, v76, v69
	v_and_b32_e32 v57, 0xff, v39
	v_and_b32_e32 v66, 0xff, v41
	;; [unrolled: 1-line block ×4, first 2 shown]
	v_add3_u32 v3, v56, v64, v62
	v_add3_u32 v2, v2, v77, v71
	v_and_b32_e32 v58, 0xff, v43
	v_and_b32_e32 v68, 0xff, v45
	;; [unrolled: 1-line block ×3, first 2 shown]
	v_cndmask_b32_e64 v1, 0, 1, s[58:59]
	v_add3_u32 v3, v3, v57, v66
	v_add3_u32 v2, v2, v78, v73
	v_and_b32_e32 v59, 0xff, v47
	v_and_b32_e32 v70, 0xff, v49
	v_add3_u32 v3, v3, v58, v68
	v_add3_u32 v86, v2, v79, v1
	v_mbcnt_lo_u32_b32 v1, -1, 0
	v_and_b32_e32 v60, 0xff, v51
	v_and_b32_e32 v72, 0xff, v53
	v_add3_u32 v3, v3, v59, v70
	v_mbcnt_hi_u32_b32 v80, -1, v1
	v_and_b32_e32 v61, 0xff, v55
	v_add3_u32 v3, v3, v60, v72
	v_cndmask_b32_e64 v4, 0, 1, s[46:47]
	v_and_b32_e32 v84, 15, v80
	s_cmp_lg_u32 s6, 0
	v_add3_u32 v85, v3, v61, v4
	v_cmp_eq_u32_e64 s[4:5], 0, v84
	v_cmp_lt_u32_e64 s[2:3], 1, v84
	v_cmp_lt_u32_e64 s[8:9], 3, v84
	;; [unrolled: 1-line block ×3, first 2 shown]
	v_and_b32_e32 v83, 16, v80
	v_cmp_lt_u32_e32 vcc, 31, v80
	v_lshrrev_b32_e32 v81, 6, v0
	v_or_b32_e32 v82, 63, v0
	s_cbranch_scc0 .LBB1587_119
; %bb.87:
	v_mov_b32_dpp v1, v85 row_shr:1 row_mask:0xf bank_mask:0xf
	v_mov_b32_dpp v2, v86 row_shr:1 row_mask:0xf bank_mask:0xf
	v_add_u32_e32 v1, v1, v85
	v_add_u32_e32 v2, v2, v86
	v_cndmask_b32_e64 v2, v2, v86, s[4:5]
	v_cndmask_b32_e64 v1, v1, v85, s[4:5]
	s_nop 0
	v_mov_b32_dpp v4, v2 row_shr:2 row_mask:0xf bank_mask:0xf
	v_mov_b32_dpp v3, v1 row_shr:2 row_mask:0xf bank_mask:0xf
	v_add_u32_e32 v3, v1, v3
	v_add_u32_e32 v4, v2, v4
	v_cndmask_b32_e64 v2, v2, v4, s[2:3]
	v_cndmask_b32_e64 v1, v1, v3, s[2:3]
	s_nop 0
	v_mov_b32_dpp v4, v2 row_shr:4 row_mask:0xf bank_mask:0xf
	v_mov_b32_dpp v3, v1 row_shr:4 row_mask:0xf bank_mask:0xf
	v_add_u32_e32 v3, v1, v3
	v_add_u32_e32 v4, v2, v4
	v_cndmask_b32_e64 v2, v2, v4, s[8:9]
	v_cndmask_b32_e64 v1, v1, v3, s[8:9]
	v_cmp_eq_u32_e64 s[8:9], 0, v83
	v_mov_b32_dpp v4, v2 row_shr:8 row_mask:0xf bank_mask:0xf
	v_mov_b32_dpp v3, v1 row_shr:8 row_mask:0xf bank_mask:0xf
	v_add_u32_e32 v3, v1, v3
	v_add_u32_e32 v4, v2, v4
	v_cndmask_b32_e64 v2, v2, v4, s[10:11]
	v_cndmask_b32_e64 v1, v1, v3, s[10:11]
	s_nop 0
	v_mov_b32_dpp v4, v2 row_bcast:15 row_mask:0xf bank_mask:0xf
	v_mov_b32_dpp v3, v1 row_bcast:15 row_mask:0xf bank_mask:0xf
	v_add_u32_e32 v3, v1, v3
	v_add_u32_e32 v4, v2, v4
	v_cndmask_b32_e64 v2, v4, v2, s[8:9]
	v_cndmask_b32_e64 v1, v3, v1, s[8:9]
	s_nop 0
	v_mov_b32_dpp v4, v2 row_bcast:31 row_mask:0xf bank_mask:0xf
	v_mov_b32_dpp v3, v1 row_bcast:31 row_mask:0xf bank_mask:0xf
	v_add_u32_e32 v4, v2, v4
	v_add_u32_e32 v5, v1, v3
	v_cndmask_b32_e32 v3, v2, v4, vcc
	v_cndmask_b32_e32 v2, v1, v5, vcc
	v_cmp_eq_u32_e32 vcc, v82, v0
	s_and_saveexec_b64 s[8:9], vcc
	s_cbranch_execz .LBB1587_89
; %bb.88:
	v_lshlrev_b32_e32 v1, 3, v81
	ds_write_b64 v1, v[2:3]
.LBB1587_89:
	s_or_b64 exec, exec, s[8:9]
	v_cmp_gt_u32_e32 vcc, 4, v0
	s_waitcnt lgkmcnt(0)
	s_barrier
	s_and_saveexec_b64 s[8:9], vcc
	s_cbranch_execz .LBB1587_91
; %bb.90:
	v_lshlrev_b32_e32 v1, 3, v0
	ds_read_b64 v[4:5], v1
	v_and_b32_e32 v6, 3, v80
	v_cmp_eq_u32_e32 vcc, 0, v6
	s_waitcnt lgkmcnt(0)
	v_mov_b32_dpp v7, v4 row_shr:1 row_mask:0xf bank_mask:0xf
	v_mov_b32_dpp v20, v5 row_shr:1 row_mask:0xf bank_mask:0xf
	v_add_u32_e32 v7, v7, v4
	v_add_u32_e32 v20, v20, v5
	v_cndmask_b32_e32 v5, v20, v5, vcc
	v_cndmask_b32_e32 v4, v7, v4, vcc
	v_cmp_lt_u32_e32 vcc, 1, v6
	v_mov_b32_dpp v20, v5 row_shr:2 row_mask:0xf bank_mask:0xf
	v_mov_b32_dpp v7, v4 row_shr:2 row_mask:0xf bank_mask:0xf
	v_cndmask_b32_e32 v6, 0, v7, vcc
	v_cndmask_b32_e32 v7, 0, v20, vcc
	v_add_u32_e32 v5, v7, v5
	v_add_u32_e32 v4, v6, v4
	ds_write_b64 v1, v[4:5]
.LBB1587_91:
	s_or_b64 exec, exec, s[8:9]
	v_cmp_gt_u32_e32 vcc, 64, v0
	v_cmp_lt_u32_e64 s[8:9], 63, v0
	s_waitcnt lgkmcnt(0)
	s_barrier
	s_waitcnt lgkmcnt(0)
                                        ; implicit-def: $vgpr21
	s_and_saveexec_b64 s[10:11], s[8:9]
	s_xor_b64 s[8:9], exec, s[10:11]
	s_cbranch_execz .LBB1587_93
; %bb.92:
	v_lshl_add_u32 v1, v81, 3, -8
	ds_read_b64 v[20:21], v1
	s_waitcnt lgkmcnt(0)
	v_add_u32_e32 v3, v21, v3
	v_add_u32_e32 v2, v20, v2
.LBB1587_93:
	s_andn2_saveexec_b64 s[8:9], s[8:9]
; %bb.94:
                                        ; implicit-def: $vgpr20
; %bb.95:
	s_or_b64 exec, exec, s[8:9]
	v_add_u32_e32 v1, -1, v80
	v_and_b32_e32 v4, 64, v80
	v_cmp_lt_i32_e64 s[8:9], v1, v4
	v_cndmask_b32_e64 v1, v1, v80, s[8:9]
	v_lshlrev_b32_e32 v4, 2, v1
	ds_bpermute_b32 v1, v4, v2
	ds_bpermute_b32 v87, v4, v3
	v_cmp_eq_u32_e64 s[8:9], 0, v80
	s_and_saveexec_b64 s[10:11], vcc
	s_cbranch_execz .LBB1587_118
; %bb.96:
	v_mov_b32_e32 v7, 0
	ds_read_b64 v[22:23], v7 offset:24
	s_and_saveexec_b64 s[14:15], s[8:9]
	s_cbranch_execz .LBB1587_98
; %bb.97:
	s_add_i32 s16, s6, 64
	s_mov_b32 s17, 0
	s_lshl_b64 s[16:17], s[16:17], 4
	s_waitcnt lgkmcnt(0)
	v_and_b32_e32 v2, 0xff000000, v23
	v_and_b32_e32 v3, 0xff0000, v23
	s_add_u32 s16, s12, s16
	v_or_b32_e32 v2, v3, v2
	v_and_b32_e32 v3, 0xff00, v23
	s_addc_u32 s17, s13, s17
	v_or_b32_e32 v2, v2, v3
	v_or_b32_sdwa v5, v2, v23 dst_sel:DWORD dst_unused:UNUSED_PAD src0_sel:DWORD src1_sel:BYTE_0
	v_mov_b32_e32 v6, 1
	v_mov_b32_e32 v4, v22
	v_pk_mov_b32 v[2:3], s[16:17], s[16:17] op_sel:[0,1]
	;;#ASMSTART
	global_store_dwordx4 v[2:3], v[4:7] off	
s_waitcnt vmcnt(0)
	;;#ASMEND
.LBB1587_98:
	s_or_b64 exec, exec, s[14:15]
	v_xad_u32 v24, v80, -1, s6
	v_add_u32_e32 v6, 64, v24
	v_lshlrev_b64 v[2:3], 4, v[6:7]
	v_mov_b32_e32 v4, s13
	v_add_co_u32_e32 v26, vcc, s12, v2
	v_addc_co_u32_e32 v27, vcc, v4, v3, vcc
	;;#ASMSTART
	global_load_dwordx4 v[2:5], v[26:27] off glc	
s_waitcnt vmcnt(0)
	;;#ASMEND
	v_and_b32_e32 v5, 0xff, v3
	v_and_b32_e32 v6, 0xff00, v3
	v_or3_b32 v5, 0, v5, v6
	v_or3_b32 v2, v2, 0, 0
	v_and_b32_e32 v6, 0xff000000, v3
	v_and_b32_e32 v3, 0xff0000, v3
	v_or3_b32 v3, v5, v3, v6
	v_or3_b32 v2, v2, 0, 0
	v_cmp_eq_u16_sdwa s[16:17], v4, v7 src0_sel:BYTE_0 src1_sel:DWORD
	s_and_saveexec_b64 s[14:15], s[16:17]
	s_cbranch_execz .LBB1587_104
; %bb.99:
	s_mov_b32 s7, 1
	s_mov_b64 s[16:17], 0
	v_mov_b32_e32 v6, 0
.LBB1587_100:                           ; =>This Loop Header: Depth=1
                                        ;     Child Loop BB1587_101 Depth 2
	s_max_u32 s19, s7, 1
.LBB1587_101:                           ;   Parent Loop BB1587_100 Depth=1
                                        ; =>  This Inner Loop Header: Depth=2
	s_add_i32 s19, s19, -1
	s_cmp_eq_u32 s19, 0
	s_sleep 1
	s_cbranch_scc0 .LBB1587_101
; %bb.102:                              ;   in Loop: Header=BB1587_100 Depth=1
	s_cmp_lt_u32 s7, 32
	s_cselect_b64 s[20:21], -1, 0
	s_cmp_lg_u64 s[20:21], 0
	s_addc_u32 s7, s7, 0
	;;#ASMSTART
	global_load_dwordx4 v[2:5], v[26:27] off glc	
s_waitcnt vmcnt(0)
	;;#ASMEND
	v_cmp_ne_u16_sdwa s[20:21], v4, v6 src0_sel:BYTE_0 src1_sel:DWORD
	s_or_b64 s[16:17], s[20:21], s[16:17]
	s_andn2_b64 exec, exec, s[16:17]
	s_cbranch_execnz .LBB1587_100
; %bb.103:
	s_or_b64 exec, exec, s[16:17]
.LBB1587_104:
	s_or_b64 exec, exec, s[14:15]
	v_and_b32_e32 v89, 63, v80
	v_cmp_ne_u32_e32 vcc, 63, v89
	v_mov_b32_e32 v88, 2
	v_addc_co_u32_e32 v26, vcc, 0, v80, vcc
	v_cmp_eq_u16_sdwa s[14:15], v4, v88 src0_sel:BYTE_0 src1_sel:DWORD
	v_lshlrev_b64 v[6:7], v80, -1
	v_lshlrev_b32_e32 v90, 2, v26
	v_and_b32_e32 v5, s15, v7
	ds_bpermute_b32 v26, v90, v2
	ds_bpermute_b32 v27, v90, v3
	v_or_b32_e32 v5, 0x80000000, v5
	v_and_b32_e32 v25, s14, v6
	v_ffbl_b32_e32 v5, v5
	v_add_u32_e32 v5, 32, v5
	v_ffbl_b32_e32 v25, v25
	v_min_u32_e32 v5, v25, v5
	s_waitcnt lgkmcnt(1)
	v_add_u32_e32 v25, v26, v2
	s_waitcnt lgkmcnt(0)
	v_add_u32_e32 v26, v27, v3
	v_cmp_lt_u32_e32 vcc, v89, v5
	v_cndmask_b32_e32 v3, v3, v26, vcc
	v_cndmask_b32_e32 v2, v2, v25, vcc
	v_cmp_gt_u32_e32 vcc, 62, v89
	v_cndmask_b32_e64 v25, 0, 1, vcc
	v_lshlrev_b32_e32 v25, 1, v25
	v_add_lshl_u32 v91, v25, v80, 2
	ds_bpermute_b32 v25, v91, v2
	ds_bpermute_b32 v26, v91, v3
	v_add_u32_e32 v92, 2, v89
	v_cmp_gt_u32_e32 vcc, v92, v5
	v_add_u32_e32 v94, 4, v89
	s_waitcnt lgkmcnt(1)
	v_add_u32_e32 v25, v2, v25
	s_waitcnt lgkmcnt(0)
	v_add_u32_e32 v26, v3, v26
	v_cndmask_b32_e32 v3, v26, v3, vcc
	v_cndmask_b32_e32 v2, v25, v2, vcc
	v_cmp_gt_u32_e32 vcc, 60, v89
	v_cndmask_b32_e64 v25, 0, 1, vcc
	v_lshlrev_b32_e32 v25, 2, v25
	v_add_lshl_u32 v93, v25, v80, 2
	ds_bpermute_b32 v25, v93, v2
	ds_bpermute_b32 v26, v93, v3
	v_cmp_gt_u32_e32 vcc, v94, v5
	v_add_u32_e32 v96, 8, v89
	v_add_u32_e32 v98, 16, v89
	s_waitcnt lgkmcnt(1)
	v_add_u32_e32 v25, v2, v25
	s_waitcnt lgkmcnt(0)
	v_add_u32_e32 v26, v3, v26
	v_cndmask_b32_e32 v3, v26, v3, vcc
	v_cndmask_b32_e32 v2, v25, v2, vcc
	v_cmp_gt_u32_e32 vcc, 56, v89
	v_cndmask_b32_e64 v25, 0, 1, vcc
	v_lshlrev_b32_e32 v25, 3, v25
	v_add_lshl_u32 v95, v25, v80, 2
	ds_bpermute_b32 v25, v95, v2
	ds_bpermute_b32 v26, v95, v3
	v_cmp_gt_u32_e32 vcc, v96, v5
	v_add_u32_e32 v100, 32, v89
	s_waitcnt lgkmcnt(1)
	v_add_u32_e32 v25, v2, v25
	s_waitcnt lgkmcnt(0)
	v_add_u32_e32 v26, v3, v26
	v_cndmask_b32_e32 v3, v26, v3, vcc
	v_cndmask_b32_e32 v2, v25, v2, vcc
	v_cmp_gt_u32_e32 vcc, 48, v89
	v_cndmask_b32_e64 v25, 0, 1, vcc
	v_lshlrev_b32_e32 v25, 4, v25
	v_add_lshl_u32 v97, v25, v80, 2
	ds_bpermute_b32 v25, v97, v2
	ds_bpermute_b32 v26, v97, v3
	v_cmp_gt_u32_e32 vcc, v98, v5
	s_waitcnt lgkmcnt(1)
	v_add_u32_e32 v25, v2, v25
	s_waitcnt lgkmcnt(0)
	v_add_u32_e32 v26, v3, v26
	v_cndmask_b32_e32 v3, v26, v3, vcc
	v_cndmask_b32_e32 v2, v25, v2, vcc
	v_cmp_gt_u32_e32 vcc, 32, v89
	v_cndmask_b32_e64 v25, 0, 1, vcc
	v_lshlrev_b32_e32 v25, 5, v25
	v_add_lshl_u32 v99, v25, v80, 2
	ds_bpermute_b32 v25, v99, v2
	ds_bpermute_b32 v26, v99, v3
	v_cmp_le_u32_e32 vcc, v100, v5
	s_waitcnt lgkmcnt(1)
	v_cndmask_b32_e32 v5, 0, v25, vcc
	s_waitcnt lgkmcnt(0)
	v_cndmask_b32_e32 v25, 0, v26, vcc
	v_add_u32_e32 v3, v3, v25
	v_add_u32_e32 v2, v2, v5
	v_mov_b32_e32 v25, 0
	s_branch .LBB1587_106
.LBB1587_105:                           ;   in Loop: Header=BB1587_106 Depth=1
	s_or_b64 exec, exec, s[14:15]
	v_cmp_eq_u16_sdwa s[14:15], v4, v88 src0_sel:BYTE_0 src1_sel:DWORD
	v_and_b32_e32 v5, s15, v7
	ds_bpermute_b32 v29, v90, v2
	ds_bpermute_b32 v101, v90, v3
	v_or_b32_e32 v5, 0x80000000, v5
	v_and_b32_e32 v28, s14, v6
	v_ffbl_b32_e32 v5, v5
	v_add_u32_e32 v5, 32, v5
	v_ffbl_b32_e32 v28, v28
	v_min_u32_e32 v5, v28, v5
	s_waitcnt lgkmcnt(1)
	v_add_u32_e32 v28, v29, v2
	s_waitcnt lgkmcnt(0)
	v_add_u32_e32 v29, v101, v3
	v_cmp_lt_u32_e32 vcc, v89, v5
	v_cndmask_b32_e32 v3, v3, v29, vcc
	v_cndmask_b32_e32 v2, v2, v28, vcc
	ds_bpermute_b32 v28, v91, v2
	ds_bpermute_b32 v29, v91, v3
	v_cmp_gt_u32_e32 vcc, v92, v5
	v_subrev_u32_e32 v24, 64, v24
	s_waitcnt lgkmcnt(1)
	v_add_u32_e32 v28, v2, v28
	s_waitcnt lgkmcnt(0)
	v_add_u32_e32 v29, v3, v29
	v_cndmask_b32_e32 v3, v29, v3, vcc
	v_cndmask_b32_e32 v2, v28, v2, vcc
	ds_bpermute_b32 v28, v93, v2
	ds_bpermute_b32 v29, v93, v3
	v_cmp_gt_u32_e32 vcc, v94, v5
	s_waitcnt lgkmcnt(1)
	v_add_u32_e32 v28, v2, v28
	s_waitcnt lgkmcnt(0)
	v_add_u32_e32 v29, v3, v29
	v_cndmask_b32_e32 v3, v29, v3, vcc
	v_cndmask_b32_e32 v2, v28, v2, vcc
	ds_bpermute_b32 v28, v95, v2
	ds_bpermute_b32 v29, v95, v3
	v_cmp_gt_u32_e32 vcc, v96, v5
	;; [unrolled: 9-line block ×3, first 2 shown]
	s_waitcnt lgkmcnt(1)
	v_add_u32_e32 v28, v2, v28
	s_waitcnt lgkmcnt(0)
	v_add_u32_e32 v29, v3, v29
	v_cndmask_b32_e32 v3, v29, v3, vcc
	v_cndmask_b32_e32 v2, v28, v2, vcc
	ds_bpermute_b32 v28, v99, v2
	ds_bpermute_b32 v29, v99, v3
	v_cmp_le_u32_e32 vcc, v100, v5
	s_waitcnt lgkmcnt(1)
	v_cndmask_b32_e32 v5, 0, v28, vcc
	s_waitcnt lgkmcnt(0)
	v_cndmask_b32_e32 v28, 0, v29, vcc
	v_add3_u32 v3, v28, v27, v3
	v_add3_u32 v2, v5, v26, v2
.LBB1587_106:                           ; =>This Loop Header: Depth=1
                                        ;     Child Loop BB1587_109 Depth 2
                                        ;       Child Loop BB1587_110 Depth 3
	v_cmp_ne_u16_sdwa s[14:15], v4, v88 src0_sel:BYTE_0 src1_sel:DWORD
	v_cndmask_b32_e64 v4, 0, 1, s[14:15]
	;;#ASMSTART
	;;#ASMEND
	v_cmp_ne_u32_e32 vcc, 0, v4
	s_cmp_lg_u64 vcc, exec
	v_pk_mov_b32 v[26:27], v[2:3], v[2:3] op_sel:[0,1]
	s_cbranch_scc1 .LBB1587_113
; %bb.107:                              ;   in Loop: Header=BB1587_106 Depth=1
	v_lshlrev_b64 v[2:3], 4, v[24:25]
	v_mov_b32_e32 v4, s13
	v_add_co_u32_e32 v28, vcc, s12, v2
	v_addc_co_u32_e32 v29, vcc, v4, v3, vcc
	;;#ASMSTART
	global_load_dwordx4 v[2:5], v[28:29] off glc	
s_waitcnt vmcnt(0)
	;;#ASMEND
	v_and_b32_e32 v5, 0xff, v3
	v_and_b32_e32 v101, 0xff00, v3
	v_or3_b32 v5, 0, v5, v101
	v_or3_b32 v2, v2, 0, 0
	v_and_b32_e32 v101, 0xff000000, v3
	v_and_b32_e32 v3, 0xff0000, v3
	v_or3_b32 v3, v5, v3, v101
	v_or3_b32 v2, v2, 0, 0
	v_cmp_eq_u16_sdwa s[16:17], v4, v25 src0_sel:BYTE_0 src1_sel:DWORD
	s_and_saveexec_b64 s[14:15], s[16:17]
	s_cbranch_execz .LBB1587_105
; %bb.108:                              ;   in Loop: Header=BB1587_106 Depth=1
	s_mov_b32 s7, 1
	s_mov_b64 s[16:17], 0
.LBB1587_109:                           ;   Parent Loop BB1587_106 Depth=1
                                        ; =>  This Loop Header: Depth=2
                                        ;       Child Loop BB1587_110 Depth 3
	s_max_u32 s19, s7, 1
.LBB1587_110:                           ;   Parent Loop BB1587_106 Depth=1
                                        ;     Parent Loop BB1587_109 Depth=2
                                        ; =>    This Inner Loop Header: Depth=3
	s_add_i32 s19, s19, -1
	s_cmp_eq_u32 s19, 0
	s_sleep 1
	s_cbranch_scc0 .LBB1587_110
; %bb.111:                              ;   in Loop: Header=BB1587_109 Depth=2
	s_cmp_lt_u32 s7, 32
	s_cselect_b64 s[20:21], -1, 0
	s_cmp_lg_u64 s[20:21], 0
	s_addc_u32 s7, s7, 0
	;;#ASMSTART
	global_load_dwordx4 v[2:5], v[28:29] off glc	
s_waitcnt vmcnt(0)
	;;#ASMEND
	v_cmp_ne_u16_sdwa s[20:21], v4, v25 src0_sel:BYTE_0 src1_sel:DWORD
	s_or_b64 s[16:17], s[20:21], s[16:17]
	s_andn2_b64 exec, exec, s[16:17]
	s_cbranch_execnz .LBB1587_109
; %bb.112:                              ;   in Loop: Header=BB1587_106 Depth=1
	s_or_b64 exec, exec, s[16:17]
	s_branch .LBB1587_105
.LBB1587_113:                           ;   in Loop: Header=BB1587_106 Depth=1
                                        ; implicit-def: $vgpr4
                                        ; implicit-def: $vgpr2_vgpr3
	s_cbranch_execz .LBB1587_106
; %bb.114:
	s_and_saveexec_b64 s[14:15], s[8:9]
	s_cbranch_execz .LBB1587_116
; %bb.115:
	s_add_i32 s6, s6, 64
	s_mov_b32 s7, 0
	v_add_u32_e32 v3, v27, v23
	s_lshl_b64 s[6:7], s[6:7], 4
	s_add_u32 s6, s12, s6
	v_and_b32_e32 v4, 0xff000000, v3
	v_and_b32_e32 v6, 0xff0000, v3
	s_addc_u32 s7, s13, s7
	v_or_b32_e32 v4, v6, v4
	v_and_b32_e32 v6, 0xff00, v3
	v_and_b32_e32 v3, 0xff, v3
	v_add_u32_e32 v2, v26, v22
	v_mov_b32_e32 v5, 0
	v_or3_b32 v3, v4, v6, v3
	v_mov_b32_e32 v4, 2
	v_pk_mov_b32 v[6:7], s[6:7], s[6:7] op_sel:[0,1]
	;;#ASMSTART
	global_store_dwordx4 v[6:7], v[2:5] off	
s_waitcnt vmcnt(0)
	;;#ASMEND
	s_movk_i32 s6, 0x3400
	v_add_u32_e64 v2, s6, 0
	ds_write2_b32 v2, v22, v23 offset1:2
	ds_write2_b32 v2, v26, v27 offset0:4 offset1:6
.LBB1587_116:
	s_or_b64 exec, exec, s[14:15]
	v_cmp_eq_u32_e32 vcc, 0, v0
	s_and_b64 exec, exec, vcc
	s_cbranch_execz .LBB1587_118
; %bb.117:
	v_mov_b32_e32 v2, 0
	ds_write_b64 v2, v[26:27] offset:24
.LBB1587_118:
	s_or_b64 exec, exec, s[10:11]
	v_mov_b32_e32 v2, 0
	s_waitcnt lgkmcnt(0)
	s_barrier
	ds_read_b64 v[6:7], v2 offset:24
	s_movk_i32 s6, 0x3400
	v_cndmask_b32_e64 v2, v87, v21, s[8:9]
	v_cndmask_b32_e64 v1, v1, v20, s[8:9]
	v_add_u32_e64 v4, s6, 0
	s_waitcnt lgkmcnt(0)
	v_add_u32_e32 v20, v6, v1
	v_add_u32_e32 v1, v7, v2
	s_barrier
	ds_read2_b32 v[2:3], v4 offset1:2
	ds_read2_b32 v[4:5], v4 offset0:4 offset1:6
	v_cmp_eq_u32_e32 vcc, 0, v0
	v_cndmask_b32_e32 v1, v1, v7, vcc
	v_cndmask_b32_e32 v20, v20, v6, vcc
	s_branch .LBB1587_129
.LBB1587_119:
                                        ; implicit-def: $vgpr1
                                        ; implicit-def: $vgpr4
                                        ; implicit-def: $vgpr2
                                        ; implicit-def: $vgpr20_vgpr21
	s_cbranch_execz .LBB1587_129
; %bb.120:
	s_nop 0
	v_mov_b32_dpp v1, v85 row_shr:1 row_mask:0xf bank_mask:0xf
	s_waitcnt lgkmcnt(0)
	v_mov_b32_dpp v2, v86 row_shr:1 row_mask:0xf bank_mask:0xf
	v_add_u32_e32 v1, v1, v85
	v_add_u32_e32 v2, v2, v86
	v_cndmask_b32_e64 v2, v2, v86, s[4:5]
	v_cndmask_b32_e64 v1, v1, v85, s[4:5]
	v_cmp_lt_u32_e32 vcc, 3, v84
	v_mov_b32_dpp v4, v2 row_shr:2 row_mask:0xf bank_mask:0xf
	v_mov_b32_dpp v3, v1 row_shr:2 row_mask:0xf bank_mask:0xf
	v_add_u32_e32 v3, v1, v3
	v_add_u32_e32 v4, v2, v4
	v_cndmask_b32_e64 v2, v2, v4, s[2:3]
	v_cndmask_b32_e64 v1, v1, v3, s[2:3]
	s_nop 0
	v_mov_b32_dpp v4, v2 row_shr:4 row_mask:0xf bank_mask:0xf
	v_mov_b32_dpp v3, v1 row_shr:4 row_mask:0xf bank_mask:0xf
	v_add_u32_e32 v3, v1, v3
	v_add_u32_e32 v4, v2, v4
	v_cndmask_b32_e32 v2, v2, v4, vcc
	v_cndmask_b32_e32 v1, v1, v3, vcc
	v_cmp_lt_u32_e32 vcc, 7, v84
	v_mov_b32_dpp v4, v2 row_shr:8 row_mask:0xf bank_mask:0xf
	v_mov_b32_dpp v3, v1 row_shr:8 row_mask:0xf bank_mask:0xf
	v_add_u32_e32 v3, v1, v3
	v_add_u32_e32 v4, v2, v4
	v_cndmask_b32_e32 v2, v2, v4, vcc
	v_cndmask_b32_e32 v1, v1, v3, vcc
	v_cmp_eq_u32_e32 vcc, 0, v83
	v_mov_b32_dpp v4, v2 row_bcast:15 row_mask:0xf bank_mask:0xf
	v_mov_b32_dpp v3, v1 row_bcast:15 row_mask:0xf bank_mask:0xf
	v_add_u32_e32 v3, v1, v3
	v_add_u32_e32 v4, v2, v4
	v_cndmask_b32_e32 v2, v4, v2, vcc
	v_cndmask_b32_e32 v1, v3, v1, vcc
	v_cmp_lt_u32_e32 vcc, 31, v80
	v_mov_b32_dpp v4, v2 row_bcast:31 row_mask:0xf bank_mask:0xf
	v_mov_b32_dpp v3, v1 row_bcast:31 row_mask:0xf bank_mask:0xf
	v_add_u32_e32 v4, v2, v4
	v_add_u32_e32 v5, v1, v3
	v_cndmask_b32_e32 v3, v2, v4, vcc
	v_cndmask_b32_e32 v2, v1, v5, vcc
	v_cmp_eq_u32_e32 vcc, v82, v0
	s_and_saveexec_b64 s[2:3], vcc
	s_cbranch_execz .LBB1587_122
; %bb.121:
	v_lshlrev_b32_e32 v1, 3, v81
	ds_write_b64 v1, v[2:3]
.LBB1587_122:
	s_or_b64 exec, exec, s[2:3]
	v_cmp_gt_u32_e32 vcc, 4, v0
	s_waitcnt lgkmcnt(0)
	s_barrier
	s_and_saveexec_b64 s[2:3], vcc
	s_cbranch_execz .LBB1587_124
; %bb.123:
	v_lshlrev_b32_e32 v1, 3, v0
	ds_read_b64 v[4:5], v1
	v_and_b32_e32 v6, 3, v80
	v_cmp_eq_u32_e32 vcc, 0, v6
	s_waitcnt lgkmcnt(0)
	v_mov_b32_dpp v7, v4 row_shr:1 row_mask:0xf bank_mask:0xf
	v_mov_b32_dpp v20, v5 row_shr:1 row_mask:0xf bank_mask:0xf
	v_add_u32_e32 v7, v7, v4
	v_add_u32_e32 v20, v20, v5
	v_cndmask_b32_e32 v5, v20, v5, vcc
	v_cndmask_b32_e32 v4, v7, v4, vcc
	v_cmp_lt_u32_e32 vcc, 1, v6
	v_mov_b32_dpp v20, v5 row_shr:2 row_mask:0xf bank_mask:0xf
	v_mov_b32_dpp v7, v4 row_shr:2 row_mask:0xf bank_mask:0xf
	v_cndmask_b32_e32 v6, 0, v7, vcc
	v_cndmask_b32_e32 v7, 0, v20, vcc
	v_add_u32_e32 v5, v7, v5
	v_add_u32_e32 v4, v6, v4
	ds_write_b64 v1, v[4:5]
.LBB1587_124:
	s_or_b64 exec, exec, s[2:3]
	v_cmp_lt_u32_e32 vcc, 63, v0
	v_mov_b32_e32 v4, 0
	v_mov_b32_e32 v6, 0
	v_mov_b32_e32 v7, 0
	s_waitcnt lgkmcnt(0)
	s_barrier
	s_and_saveexec_b64 s[2:3], vcc
	s_cbranch_execz .LBB1587_126
; %bb.125:
	v_lshl_add_u32 v1, v81, 3, -8
	ds_read_b64 v[6:7], v1
.LBB1587_126:
	s_or_b64 exec, exec, s[2:3]
	s_waitcnt lgkmcnt(0)
	v_add_u32_e32 v5, v7, v3
	v_add_u32_e32 v1, v6, v2
	v_add_u32_e32 v2, -1, v80
	v_and_b32_e32 v3, 64, v80
	v_cmp_lt_i32_e32 vcc, v2, v3
	v_cndmask_b32_e32 v2, v2, v80, vcc
	v_lshlrev_b32_e32 v20, 2, v2
	ds_read_b64 v[2:3], v4 offset:24
	ds_bpermute_b32 v1, v20, v1
	ds_bpermute_b32 v20, v20, v5
	v_cmp_eq_u32_e32 vcc, 0, v0
	s_waitcnt lgkmcnt(2)
	v_readfirstlane_b32 s4, v3
	s_and_saveexec_b64 s[2:3], vcc
	s_cbranch_execz .LBB1587_128
; %bb.127:
	s_add_u32 s6, s12, 0x400
	s_mov_b32 s8, 0
	s_addc_u32 s7, s13, 0
	s_and_b32 s9, s4, 0xff000000
	s_and_b32 s11, s4, 0xff0000
	s_mov_b32 s10, s8
	s_or_b64 s[10:11], s[10:11], s[8:9]
	s_and_b32 s9, s4, 0xff00
	s_or_b64 s[10:11], s[10:11], s[8:9]
	s_and_b32 s9, s4, 0xff
	s_or_b64 s[8:9], s[10:11], s[8:9]
	v_mov_b32_e32 v3, s9
	v_mov_b32_e32 v4, 2
	;; [unrolled: 1-line block ×3, first 2 shown]
	v_pk_mov_b32 v[22:23], s[6:7], s[6:7] op_sel:[0,1]
	;;#ASMSTART
	global_store_dwordx4 v[22:23], v[2:5] off	
s_waitcnt vmcnt(0)
	;;#ASMEND
.LBB1587_128:
	s_or_b64 exec, exec, s[2:3]
	v_cmp_eq_u32_e64 s[2:3], 0, v80
	s_waitcnt lgkmcnt(1)
	v_cndmask_b32_e64 v3, v1, v6, s[2:3]
	s_waitcnt lgkmcnt(0)
	v_cndmask_b32_e64 v1, v20, v7, s[2:3]
	v_mov_b32_e32 v4, 0
	v_cndmask_b32_e64 v1, v1, 0, vcc
	v_cndmask_b32_e64 v20, v3, 0, vcc
	s_barrier
	v_mov_b32_e32 v3, s4
	v_mov_b32_e32 v5, 0
.LBB1587_129:
	v_add_u32_e32 v24, v1, v63
	v_add_u32_e32 v25, v24, v74
	;; [unrolled: 1-line block ×14, first 2 shown]
	v_mov_b32_e32 v7, s49
	s_waitcnt lgkmcnt(0)
	v_add_co_u32_e32 v6, vcc, s48, v4
	v_add_u32_e32 v64, v58, v68
	v_add_u32_e32 v68, v66, v71
	v_addc_co_u32_e32 v7, vcc, 0, v7, vcc
	v_add_u32_e32 v69, v68, v78
	v_mov_b32_e32 v22, s51
	v_sub_co_u32_e32 v23, vcc, s50, v2
	v_add_u32_e32 v71, v69, v73
	v_subbrev_co_u32_e32 v73, vcc, 0, v22, vcc
	v_add_co_u32_e32 v22, vcc, v23, v5
	v_addc_co_u32_e32 v23, vcc, 0, v73, vcc
	v_lshlrev_b32_e32 v73, 1, v2
	v_sub_u32_e32 v1, v1, v5
	v_add_u32_e32 v74, v73, v3
	v_sub_u32_e32 v20, v20, v4
	v_add_u32_e32 v1, v1, v2
	v_add_u32_e32 v31, v74, v31
	v_and_b32_e32 v33, 1, v33
	v_add_u32_e32 v74, v20, v1
	v_and_b32_e32 v32, 1, v32
	v_sub_u32_e32 v74, v31, v74
	v_cmp_eq_u32_e32 vcc, 1, v33
	v_cndmask_b32_e32 v1, v74, v1, vcc
	v_cmp_eq_u32_e32 vcc, 1, v32
	v_cndmask_b32_e32 v1, v1, v20, vcc
	v_lshlrev_b32_e32 v1, 2, v1
	v_sub_u32_e32 v20, v24, v5
	ds_write_b32 v1, v18
	v_sub_u32_e32 v1, v21, v4
	v_add_u32_e32 v20, v20, v2
	v_add_u32_e32 v24, v20, v1
	v_and_b32_e32 v21, 1, v35
	v_sub_u32_e32 v24, v31, v24
	v_and_b32_e32 v18, 1, v34
	v_add_u32_e32 v24, 1, v24
	v_cmp_eq_u32_e32 vcc, 1, v21
	v_cndmask_b32_e32 v20, v24, v20, vcc
	v_cmp_eq_u32_e32 vcc, 1, v18
	v_cndmask_b32_e32 v1, v20, v1, vcc
	v_lshlrev_b32_e32 v1, 2, v1
	ds_write_b32 v1, v19
	v_sub_u32_e32 v19, v25, v5
	v_sub_u32_e32 v1, v26, v4
	v_add_u32_e32 v19, v19, v2
	v_add_u32_e32 v21, v19, v1
	v_and_b32_e32 v20, 1, v37
	v_sub_u32_e32 v21, v31, v21
	v_and_b32_e32 v18, 1, v36
	v_add_u32_e32 v21, 2, v21
	v_cmp_eq_u32_e32 vcc, 1, v20
	v_cndmask_b32_e32 v19, v21, v19, vcc
	v_cmp_eq_u32_e32 vcc, 1, v18
	v_cndmask_b32_e32 v1, v19, v1, vcc
	v_lshlrev_b32_e32 v1, 2, v1
	v_sub_u32_e32 v18, v28, v5
	ds_write_b32 v1, v16
	v_sub_u32_e32 v1, v27, v4
	v_add_u32_e32 v18, v18, v2
	v_add_u32_e32 v20, v1, v18
	v_and_b32_e32 v19, 1, v38
	v_sub_u32_e32 v20, v31, v20
	v_and_b32_e32 v16, 1, v39
	v_add_u32_e32 v20, 3, v20
	v_cmp_eq_u32_e32 vcc, 1, v19
	v_cndmask_b32_e32 v18, v20, v18, vcc
	v_cmp_eq_u32_e32 vcc, 1, v16
	v_cndmask_b32_e32 v1, v18, v1, vcc
	v_lshlrev_b32_e32 v1, 2, v1
	ds_write_b32 v1, v17
	v_sub_u32_e32 v17, v29, v5
	v_sub_u32_e32 v1, v56, v4
	v_add_u32_e32 v17, v17, v2
	v_add_u32_e32 v19, v1, v17
	v_and_b32_e32 v18, 1, v40
	v_sub_u32_e32 v19, v31, v19
	v_and_b32_e32 v16, 1, v41
	v_add_u32_e32 v19, 4, v19
	;; [unrolled: 28-line block ×3, first 2 shown]
	v_cmp_eq_u32_e32 vcc, 1, v16
	v_cndmask_b32_e32 v15, v17, v15, vcc
	v_cmp_eq_u32_e32 vcc, 1, v14
	v_cndmask_b32_e32 v1, v15, v1, vcc
	v_lshlrev_b32_e32 v1, 2, v1
	v_sub_u32_e32 v14, v65, v5
	ds_write_b32 v1, v12
	v_sub_u32_e32 v1, v64, v4
	v_add_u32_e32 v14, v14, v2
	v_add_u32_e32 v16, v1, v14
	v_and_b32_e32 v15, 1, v46
	v_sub_u32_e32 v16, v31, v16
	v_and_b32_e32 v12, 1, v47
	v_add_u32_e32 v16, 7, v16
	v_cmp_eq_u32_e32 vcc, 1, v15
	v_cndmask_b32_e32 v14, v16, v14, vcc
	v_cmp_eq_u32_e32 vcc, 1, v12
	v_cndmask_b32_e32 v1, v14, v1, vcc
	v_lshlrev_b32_e32 v1, 2, v1
	v_add_u32_e32 v59, v64, v59
	ds_write_b32 v1, v13
	v_sub_u32_e32 v13, v66, v5
	v_sub_u32_e32 v1, v59, v4
	v_add_u32_e32 v13, v13, v2
	v_add_u32_e32 v15, v1, v13
	v_and_b32_e32 v14, 1, v48
	v_sub_u32_e32 v15, v31, v15
	v_and_b32_e32 v12, 1, v49
	v_add_u32_e32 v15, 8, v15
	v_cmp_eq_u32_e32 vcc, 1, v14
	v_cndmask_b32_e32 v13, v15, v13, vcc
	v_cmp_eq_u32_e32 vcc, 1, v12
	v_cndmask_b32_e32 v1, v13, v1, vcc
	v_add_u32_e32 v67, v59, v70
	v_lshlrev_b32_e32 v1, 2, v1
	v_sub_u32_e32 v12, v68, v5
	ds_write_b32 v1, v10
	v_sub_u32_e32 v1, v67, v4
	v_add_u32_e32 v12, v12, v2
	v_add_u32_e32 v14, v1, v12
	v_and_b32_e32 v13, 1, v50
	v_sub_u32_e32 v14, v31, v14
	v_and_b32_e32 v10, 1, v51
	v_add_u32_e32 v14, 9, v14
	v_cmp_eq_u32_e32 vcc, 1, v13
	v_cndmask_b32_e32 v12, v14, v12, vcc
	v_cmp_eq_u32_e32 vcc, 1, v10
	v_cndmask_b32_e32 v1, v12, v1, vcc
	v_lshlrev_b32_e32 v1, 2, v1
	v_add_u32_e32 v60, v67, v60
	ds_write_b32 v1, v11
	v_sub_u32_e32 v11, v69, v5
	v_sub_u32_e32 v1, v60, v4
	v_add_u32_e32 v11, v11, v2
	v_add_u32_e32 v13, v1, v11
	v_and_b32_e32 v12, 1, v52
	v_sub_u32_e32 v13, v31, v13
	v_and_b32_e32 v10, 1, v53
	v_add_u32_e32 v13, 10, v13
	v_cmp_eq_u32_e32 vcc, 1, v12
	v_cndmask_b32_e32 v11, v13, v11, vcc
	v_cmp_eq_u32_e32 vcc, 1, v10
	v_cndmask_b32_e32 v1, v11, v1, vcc
	v_add_u32_e32 v70, v60, v72
	v_lshlrev_b32_e32 v1, 2, v1
	v_sub_u32_e32 v10, v71, v5
	ds_write_b32 v1, v8
	v_sub_u32_e32 v1, v70, v4
	v_add_u32_e32 v10, v10, v2
	v_add_u32_e32 v12, v1, v10
	v_and_b32_e32 v11, 1, v54
	v_sub_u32_e32 v12, v31, v12
	v_and_b32_e32 v8, 1, v55
	v_add_u32_e32 v12, 11, v12
	v_cmp_eq_u32_e32 vcc, 1, v11
	v_cndmask_b32_e32 v10, v12, v10, vcc
	v_cmp_eq_u32_e32 vcc, 1, v8
	v_cndmask_b32_e32 v1, v10, v1, vcc
	v_add_u32_e32 v72, v71, v79
	v_add_u32_e32 v61, v70, v61
	v_lshlrev_b32_e32 v1, 2, v1
	ds_write_b32 v1, v9
	v_sub_u32_e32 v1, v61, v4
	v_sub_u32_e32 v4, v72, v5
	v_add_u32_e32 v4, v4, v2
	v_add_u32_e32 v8, v1, v4
	v_sub_u32_e32 v8, v31, v8
	v_add_u32_e32 v8, 12, v8
	v_cndmask_b32_e64 v4, v8, v4, s[58:59]
	v_cndmask_b32_e64 v1, v4, v1, s[46:47]
	v_lshlrev_b32_e32 v1, 2, v1
	ds_write_b32 v1, v30
	v_add_co_u32_e32 v1, vcc, v3, v73
	v_addc_co_u32_e64 v4, s[2:3], 0, 0, vcc
	v_add_co_u32_e32 v1, vcc, v1, v22
	v_addc_co_u32_e32 v4, vcc, v4, v23, vcc
	s_add_u32 s4, s56, s33
	v_add_co_u32_e32 v1, vcc, v1, v6
	s_addc_u32 s5, s57, 0
	v_addc_co_u32_e32 v4, vcc, v4, v7, vcc
	v_mov_b32_e32 v8, s5
	v_sub_co_u32_e32 v1, vcc, s4, v1
	v_subb_co_u32_e32 v4, vcc, v8, v4, vcc
	v_lshlrev_b64 v[8:9], 2, v[22:23]
	v_mov_b32_e32 v10, s55
	v_add_co_u32_e32 v8, vcc, s54, v8
	v_addc_co_u32_e32 v9, vcc, v10, v9, vcc
	v_lshlrev_b64 v[10:11], 2, v[6:7]
	v_mov_b32_e32 v13, s53
	v_add_co_u32_e32 v10, vcc, s52, v10
	s_add_u32 s6, s34, -4
	v_addc_co_u32_e32 v11, vcc, v13, v11, vcc
	s_addc_u32 s7, s35, -1
	v_add_u32_e32 v12, v2, v3
	s_and_b64 vcc, exec, s[0:1]
	s_mov_b64 s[0:1], -1
	s_waitcnt lgkmcnt(0)
	s_barrier
	s_cbranch_vccz .LBB1587_133
; %bb.130:
	s_and_b64 vcc, exec, s[0:1]
	s_cbranch_vccnz .LBB1587_238
.LBB1587_131:
	v_cmp_eq_u32_e32 vcc, 0, v0
	s_and_b64 s[0:1], vcc, s[30:31]
	s_and_saveexec_b64 s[2:3], s[0:1]
	s_cbranch_execnz .LBB1587_356
.LBB1587_132:
	s_endpgm
.LBB1587_133:
	v_cmp_le_u32_e32 vcc, v2, v0
	s_and_saveexec_b64 s[0:1], vcc
	s_xor_b64 s[0:1], exec, s[0:1]
	s_cbranch_execz .LBB1587_139
; %bb.134:
	v_cmp_le_u32_e32 vcc, v12, v0
	s_and_saveexec_b64 s[2:3], vcc
	s_xor_b64 s[2:3], exec, s[2:3]
	s_cbranch_execz .LBB1587_136
; %bb.135:
	v_lshlrev_b32_e32 v13, 2, v0
	v_add_co_u32_e32 v14, vcc, v1, v0
	ds_read_b32 v13, v13
	v_addc_co_u32_e32 v15, vcc, 0, v4, vcc
	v_lshlrev_b64 v[14:15], 2, v[14:15]
	v_mov_b32_e32 v16, s35
	v_sub_co_u32_e32 v14, vcc, s34, v14
	v_subb_co_u32_e32 v15, vcc, v16, v15, vcc
	s_waitcnt lgkmcnt(0)
	global_store_dword v[14:15], v13, off offset:-4
.LBB1587_136:
	s_andn2_saveexec_b64 s[2:3], s[2:3]
	s_cbranch_execz .LBB1587_138
; %bb.137:
	v_lshlrev_b32_e32 v13, 2, v0
	ds_read_b32 v14, v13
	v_readfirstlane_b32 s4, v8
	v_readfirstlane_b32 s5, v9
	s_waitcnt lgkmcnt(0)
	s_nop 3
	global_store_dword v13, v14, s[4:5]
.LBB1587_138:
	s_or_b64 exec, exec, s[2:3]
.LBB1587_139:
	s_andn2_saveexec_b64 s[0:1], s[0:1]
	s_cbranch_execz .LBB1587_141
; %bb.140:
	v_lshlrev_b32_e32 v13, 2, v0
	ds_read_b32 v14, v13
	v_readfirstlane_b32 s2, v10
	v_readfirstlane_b32 s3, v11
	s_waitcnt lgkmcnt(0)
	s_nop 3
	global_store_dword v13, v14, s[2:3]
.LBB1587_141:
	s_or_b64 exec, exec, s[0:1]
	v_or_b32_e32 v13, 0x100, v0
	v_cmp_le_u32_e32 vcc, v2, v13
	s_and_saveexec_b64 s[0:1], vcc
	s_xor_b64 s[0:1], exec, s[0:1]
	s_cbranch_execz .LBB1587_147
; %bb.142:
	v_cmp_le_u32_e32 vcc, v12, v13
	s_and_saveexec_b64 s[2:3], vcc
	s_xor_b64 s[2:3], exec, s[2:3]
	s_cbranch_execz .LBB1587_144
; %bb.143:
	v_lshlrev_b32_e32 v13, 2, v0
	ds_read_b32 v13, v13 offset:1024
	v_add_co_u32_e32 v14, vcc, v1, v0
	v_addc_co_u32_e32 v15, vcc, 0, v4, vcc
	v_lshlrev_b64 v[14:15], 2, v[14:15]
	v_mov_b32_e32 v16, s7
	v_sub_co_u32_e32 v14, vcc, s6, v14
	v_subb_co_u32_e32 v15, vcc, v16, v15, vcc
	s_waitcnt lgkmcnt(0)
	global_store_dword v[14:15], v13, off offset:-1024
.LBB1587_144:
	s_andn2_saveexec_b64 s[2:3], s[2:3]
	s_cbranch_execz .LBB1587_146
; %bb.145:
	v_lshlrev_b32_e32 v13, 2, v0
	ds_read_b32 v14, v13 offset:1024
	v_readfirstlane_b32 s4, v8
	v_readfirstlane_b32 s5, v9
	s_waitcnt lgkmcnt(0)
	s_nop 3
	global_store_dword v13, v14, s[4:5] offset:1024
.LBB1587_146:
	s_or_b64 exec, exec, s[2:3]
.LBB1587_147:
	s_andn2_saveexec_b64 s[0:1], s[0:1]
	s_cbranch_execz .LBB1587_149
; %bb.148:
	v_lshlrev_b32_e32 v13, 2, v0
	ds_read_b32 v14, v13 offset:1024
	v_readfirstlane_b32 s2, v10
	v_readfirstlane_b32 s3, v11
	s_waitcnt lgkmcnt(0)
	s_nop 3
	global_store_dword v13, v14, s[2:3] offset:1024
.LBB1587_149:
	s_or_b64 exec, exec, s[0:1]
	v_or_b32_e32 v13, 0x200, v0
	v_cmp_le_u32_e32 vcc, v2, v13
	s_and_saveexec_b64 s[0:1], vcc
	s_xor_b64 s[0:1], exec, s[0:1]
	s_cbranch_execz .LBB1587_155
; %bb.150:
	v_cmp_le_u32_e32 vcc, v12, v13
	s_and_saveexec_b64 s[2:3], vcc
	s_xor_b64 s[2:3], exec, s[2:3]
	s_cbranch_execz .LBB1587_152
; %bb.151:
	v_lshlrev_b32_e32 v13, 2, v0
	ds_read_b32 v13, v13 offset:2048
	v_add_co_u32_e32 v14, vcc, v1, v0
	v_addc_co_u32_e32 v15, vcc, 0, v4, vcc
	v_lshlrev_b64 v[14:15], 2, v[14:15]
	v_mov_b32_e32 v16, s7
	v_sub_co_u32_e32 v14, vcc, s6, v14
	v_subb_co_u32_e32 v15, vcc, v16, v15, vcc
	s_waitcnt lgkmcnt(0)
	global_store_dword v[14:15], v13, off offset:-2048
.LBB1587_152:
	s_andn2_saveexec_b64 s[2:3], s[2:3]
	s_cbranch_execz .LBB1587_154
; %bb.153:
	v_lshlrev_b32_e32 v13, 2, v0
	ds_read_b32 v14, v13 offset:2048
	v_readfirstlane_b32 s4, v8
	v_readfirstlane_b32 s5, v9
	s_waitcnt lgkmcnt(0)
	s_nop 3
	global_store_dword v13, v14, s[4:5] offset:2048
.LBB1587_154:
	s_or_b64 exec, exec, s[2:3]
.LBB1587_155:
	s_andn2_saveexec_b64 s[0:1], s[0:1]
	s_cbranch_execz .LBB1587_157
; %bb.156:
	v_lshlrev_b32_e32 v13, 2, v0
	ds_read_b32 v14, v13 offset:2048
	v_readfirstlane_b32 s2, v10
	v_readfirstlane_b32 s3, v11
	s_waitcnt lgkmcnt(0)
	s_nop 3
	global_store_dword v13, v14, s[2:3] offset:2048
.LBB1587_157:
	;; [unrolled: 47-line block ×3, first 2 shown]
	s_or_b64 exec, exec, s[0:1]
	v_or_b32_e32 v13, 0x400, v0
	v_cmp_le_u32_e32 vcc, v2, v13
	s_and_saveexec_b64 s[0:1], vcc
	s_xor_b64 s[0:1], exec, s[0:1]
	s_cbranch_execz .LBB1587_171
; %bb.166:
	v_cmp_le_u32_e32 vcc, v12, v13
	s_and_saveexec_b64 s[2:3], vcc
	s_xor_b64 s[2:3], exec, s[2:3]
	s_cbranch_execz .LBB1587_168
; %bb.167:
	v_lshlrev_b32_e32 v13, 2, v0
	ds_read_b32 v13, v13 offset:4096
	v_add_co_u32_e32 v14, vcc, v1, v0
	v_addc_co_u32_e32 v15, vcc, 0, v4, vcc
	v_lshlrev_b64 v[14:15], 2, v[14:15]
	v_mov_b32_e32 v16, s7
	v_sub_co_u32_e32 v14, vcc, s6, v14
	v_subb_co_u32_e32 v15, vcc, v16, v15, vcc
	s_waitcnt lgkmcnt(0)
	global_store_dword v[14:15], v13, off offset:-4096
                                        ; implicit-def: $vgpr13
.LBB1587_168:
	s_andn2_saveexec_b64 s[2:3], s[2:3]
	s_cbranch_execz .LBB1587_170
; %bb.169:
	v_lshlrev_b32_e32 v14, 2, v0
	ds_read_b32 v14, v14 offset:4096
	v_lshlrev_b32_e32 v13, 2, v13
	v_readfirstlane_b32 s4, v8
	v_readfirstlane_b32 s5, v9
	s_waitcnt lgkmcnt(0)
	s_nop 3
	global_store_dword v13, v14, s[4:5]
.LBB1587_170:
	s_or_b64 exec, exec, s[2:3]
                                        ; implicit-def: $vgpr13
.LBB1587_171:
	s_andn2_saveexec_b64 s[0:1], s[0:1]
	s_cbranch_execz .LBB1587_173
; %bb.172:
	v_lshlrev_b32_e32 v14, 2, v0
	ds_read_b32 v14, v14 offset:4096
	v_lshlrev_b32_e32 v13, 2, v13
	v_readfirstlane_b32 s2, v10
	v_readfirstlane_b32 s3, v11
	s_waitcnt lgkmcnt(0)
	s_nop 3
	global_store_dword v13, v14, s[2:3]
.LBB1587_173:
	s_or_b64 exec, exec, s[0:1]
	v_or_b32_e32 v13, 0x500, v0
	v_cmp_le_u32_e32 vcc, v2, v13
	s_and_saveexec_b64 s[0:1], vcc
	s_xor_b64 s[0:1], exec, s[0:1]
	s_cbranch_execz .LBB1587_179
; %bb.174:
	v_cmp_le_u32_e32 vcc, v12, v13
	s_and_saveexec_b64 s[2:3], vcc
	s_xor_b64 s[2:3], exec, s[2:3]
	s_cbranch_execz .LBB1587_176
; %bb.175:
	v_add_co_u32_e32 v14, vcc, v1, v13
	v_lshlrev_b32_e32 v13, 2, v0
	ds_read_b32 v13, v13 offset:5120
	v_addc_co_u32_e32 v15, vcc, 0, v4, vcc
	v_lshlrev_b64 v[14:15], 2, v[14:15]
	v_mov_b32_e32 v16, s7
	v_sub_co_u32_e32 v14, vcc, s6, v14
	v_subb_co_u32_e32 v15, vcc, v16, v15, vcc
	s_waitcnt lgkmcnt(0)
	global_store_dword v[14:15], v13, off
                                        ; implicit-def: $vgpr13
.LBB1587_176:
	s_andn2_saveexec_b64 s[2:3], s[2:3]
	s_cbranch_execz .LBB1587_178
; %bb.177:
	v_lshlrev_b32_e32 v14, 2, v0
	ds_read_b32 v14, v14 offset:5120
	v_lshlrev_b32_e32 v13, 2, v13
	v_readfirstlane_b32 s4, v8
	v_readfirstlane_b32 s5, v9
	s_waitcnt lgkmcnt(0)
	s_nop 3
	global_store_dword v13, v14, s[4:5]
.LBB1587_178:
	s_or_b64 exec, exec, s[2:3]
                                        ; implicit-def: $vgpr13
.LBB1587_179:
	s_andn2_saveexec_b64 s[0:1], s[0:1]
	s_cbranch_execz .LBB1587_181
; %bb.180:
	v_lshlrev_b32_e32 v14, 2, v0
	ds_read_b32 v14, v14 offset:5120
	v_lshlrev_b32_e32 v13, 2, v13
	v_readfirstlane_b32 s2, v10
	v_readfirstlane_b32 s3, v11
	s_waitcnt lgkmcnt(0)
	s_nop 3
	global_store_dword v13, v14, s[2:3]
.LBB1587_181:
	s_or_b64 exec, exec, s[0:1]
	v_or_b32_e32 v13, 0x600, v0
	v_cmp_le_u32_e32 vcc, v2, v13
	s_and_saveexec_b64 s[0:1], vcc
	s_xor_b64 s[0:1], exec, s[0:1]
	s_cbranch_execz .LBB1587_187
; %bb.182:
	v_cmp_le_u32_e32 vcc, v12, v13
	s_and_saveexec_b64 s[2:3], vcc
	s_xor_b64 s[2:3], exec, s[2:3]
	s_cbranch_execz .LBB1587_184
; %bb.183:
	v_add_co_u32_e32 v14, vcc, v1, v13
	v_lshlrev_b32_e32 v13, 2, v0
	ds_read_b32 v13, v13 offset:6144
	v_addc_co_u32_e32 v15, vcc, 0, v4, vcc
	v_lshlrev_b64 v[14:15], 2, v[14:15]
	v_mov_b32_e32 v16, s7
	v_sub_co_u32_e32 v14, vcc, s6, v14
	v_subb_co_u32_e32 v15, vcc, v16, v15, vcc
	s_waitcnt lgkmcnt(0)
	global_store_dword v[14:15], v13, off
                                        ; implicit-def: $vgpr13
.LBB1587_184:
	s_andn2_saveexec_b64 s[2:3], s[2:3]
	s_cbranch_execz .LBB1587_186
; %bb.185:
	v_lshlrev_b32_e32 v14, 2, v0
	ds_read_b32 v14, v14 offset:6144
	v_lshlrev_b32_e32 v13, 2, v13
	v_readfirstlane_b32 s4, v8
	v_readfirstlane_b32 s5, v9
	s_waitcnt lgkmcnt(0)
	s_nop 3
	global_store_dword v13, v14, s[4:5]
.LBB1587_186:
	s_or_b64 exec, exec, s[2:3]
                                        ; implicit-def: $vgpr13
.LBB1587_187:
	;; [unrolled: 51-line block ×8, first 2 shown]
	s_andn2_saveexec_b64 s[0:1], s[0:1]
	s_cbranch_execz .LBB1587_237
; %bb.236:
	v_lshlrev_b32_e32 v14, 2, v0
	ds_read_b32 v14, v14 offset:12288
	v_lshlrev_b32_e32 v13, 2, v13
	v_readfirstlane_b32 s2, v10
	v_readfirstlane_b32 s3, v11
	s_waitcnt lgkmcnt(0)
	s_nop 3
	global_store_dword v13, v14, s[2:3]
.LBB1587_237:
	s_or_b64 exec, exec, s[0:1]
	s_branch .LBB1587_131
.LBB1587_238:
	v_cmp_gt_u32_e32 vcc, s18, v0
	s_and_saveexec_b64 s[0:1], vcc
	s_cbranch_execz .LBB1587_247
; %bb.239:
	v_cmp_le_u32_e32 vcc, v2, v0
	s_and_saveexec_b64 s[2:3], vcc
	s_xor_b64 s[2:3], exec, s[2:3]
	s_cbranch_execz .LBB1587_245
; %bb.240:
	v_cmp_le_u32_e32 vcc, v12, v0
	s_and_saveexec_b64 s[4:5], vcc
	s_xor_b64 s[4:5], exec, s[4:5]
	s_cbranch_execz .LBB1587_242
; %bb.241:
	v_lshlrev_b32_e32 v13, 2, v0
	v_add_co_u32_e32 v14, vcc, v1, v0
	ds_read_b32 v13, v13
	v_addc_co_u32_e32 v15, vcc, 0, v4, vcc
	v_lshlrev_b64 v[14:15], 2, v[14:15]
	v_mov_b32_e32 v16, s35
	v_sub_co_u32_e32 v14, vcc, s34, v14
	v_subb_co_u32_e32 v15, vcc, v16, v15, vcc
	s_waitcnt lgkmcnt(0)
	global_store_dword v[14:15], v13, off offset:-4
.LBB1587_242:
	s_andn2_saveexec_b64 s[4:5], s[4:5]
	s_cbranch_execz .LBB1587_244
; %bb.243:
	v_lshlrev_b32_e32 v13, 2, v0
	ds_read_b32 v14, v13
	v_readfirstlane_b32 s8, v8
	v_readfirstlane_b32 s9, v9
	s_waitcnt lgkmcnt(0)
	s_nop 3
	global_store_dword v13, v14, s[8:9]
.LBB1587_244:
	s_or_b64 exec, exec, s[4:5]
.LBB1587_245:
	s_andn2_saveexec_b64 s[2:3], s[2:3]
	s_cbranch_execz .LBB1587_247
; %bb.246:
	v_lshlrev_b32_e32 v13, 2, v0
	ds_read_b32 v14, v13
	v_readfirstlane_b32 s2, v10
	v_readfirstlane_b32 s3, v11
	s_waitcnt lgkmcnt(0)
	s_nop 3
	global_store_dword v13, v14, s[2:3]
.LBB1587_247:
	s_or_b64 exec, exec, s[0:1]
	v_or_b32_e32 v13, 0x100, v0
	v_cmp_gt_u32_e32 vcc, s18, v13
	s_and_saveexec_b64 s[0:1], vcc
	s_cbranch_execz .LBB1587_256
; %bb.248:
	v_cmp_le_u32_e32 vcc, v2, v13
	s_and_saveexec_b64 s[2:3], vcc
	s_xor_b64 s[2:3], exec, s[2:3]
	s_cbranch_execz .LBB1587_254
; %bb.249:
	v_cmp_le_u32_e32 vcc, v12, v13
	s_and_saveexec_b64 s[4:5], vcc
	s_xor_b64 s[4:5], exec, s[4:5]
	s_cbranch_execz .LBB1587_251
; %bb.250:
	v_lshlrev_b32_e32 v13, 2, v0
	ds_read_b32 v13, v13 offset:1024
	v_add_co_u32_e32 v14, vcc, v1, v0
	v_addc_co_u32_e32 v15, vcc, 0, v4, vcc
	v_lshlrev_b64 v[14:15], 2, v[14:15]
	v_mov_b32_e32 v16, s7
	v_sub_co_u32_e32 v14, vcc, s6, v14
	v_subb_co_u32_e32 v15, vcc, v16, v15, vcc
	s_waitcnt lgkmcnt(0)
	global_store_dword v[14:15], v13, off offset:-1024
.LBB1587_251:
	s_andn2_saveexec_b64 s[4:5], s[4:5]
	s_cbranch_execz .LBB1587_253
; %bb.252:
	v_lshlrev_b32_e32 v13, 2, v0
	ds_read_b32 v14, v13 offset:1024
	v_readfirstlane_b32 s8, v8
	v_readfirstlane_b32 s9, v9
	s_waitcnt lgkmcnt(0)
	s_nop 3
	global_store_dword v13, v14, s[8:9] offset:1024
.LBB1587_253:
	s_or_b64 exec, exec, s[4:5]
.LBB1587_254:
	s_andn2_saveexec_b64 s[2:3], s[2:3]
	s_cbranch_execz .LBB1587_256
; %bb.255:
	v_lshlrev_b32_e32 v13, 2, v0
	ds_read_b32 v14, v13 offset:1024
	v_readfirstlane_b32 s2, v10
	v_readfirstlane_b32 s3, v11
	s_waitcnt lgkmcnt(0)
	s_nop 3
	global_store_dword v13, v14, s[2:3] offset:1024
.LBB1587_256:
	s_or_b64 exec, exec, s[0:1]
	v_or_b32_e32 v13, 0x200, v0
	v_cmp_gt_u32_e32 vcc, s18, v13
	s_and_saveexec_b64 s[0:1], vcc
	s_cbranch_execz .LBB1587_265
; %bb.257:
	v_cmp_le_u32_e32 vcc, v2, v13
	s_and_saveexec_b64 s[2:3], vcc
	s_xor_b64 s[2:3], exec, s[2:3]
	s_cbranch_execz .LBB1587_263
; %bb.258:
	v_cmp_le_u32_e32 vcc, v12, v13
	s_and_saveexec_b64 s[4:5], vcc
	s_xor_b64 s[4:5], exec, s[4:5]
	s_cbranch_execz .LBB1587_260
; %bb.259:
	v_lshlrev_b32_e32 v13, 2, v0
	ds_read_b32 v13, v13 offset:2048
	v_add_co_u32_e32 v14, vcc, v1, v0
	v_addc_co_u32_e32 v15, vcc, 0, v4, vcc
	v_lshlrev_b64 v[14:15], 2, v[14:15]
	v_mov_b32_e32 v16, s7
	v_sub_co_u32_e32 v14, vcc, s6, v14
	v_subb_co_u32_e32 v15, vcc, v16, v15, vcc
	s_waitcnt lgkmcnt(0)
	global_store_dword v[14:15], v13, off offset:-2048
.LBB1587_260:
	s_andn2_saveexec_b64 s[4:5], s[4:5]
	s_cbranch_execz .LBB1587_262
; %bb.261:
	v_lshlrev_b32_e32 v13, 2, v0
	ds_read_b32 v14, v13 offset:2048
	v_readfirstlane_b32 s8, v8
	v_readfirstlane_b32 s9, v9
	s_waitcnt lgkmcnt(0)
	s_nop 3
	global_store_dword v13, v14, s[8:9] offset:2048
.LBB1587_262:
	s_or_b64 exec, exec, s[4:5]
.LBB1587_263:
	s_andn2_saveexec_b64 s[2:3], s[2:3]
	s_cbranch_execz .LBB1587_265
; %bb.264:
	v_lshlrev_b32_e32 v13, 2, v0
	ds_read_b32 v14, v13 offset:2048
	v_readfirstlane_b32 s2, v10
	v_readfirstlane_b32 s3, v11
	s_waitcnt lgkmcnt(0)
	s_nop 3
	global_store_dword v13, v14, s[2:3] offset:2048
.LBB1587_265:
	;; [unrolled: 51-line block ×3, first 2 shown]
	s_or_b64 exec, exec, s[0:1]
	v_or_b32_e32 v13, 0x400, v0
	v_cmp_gt_u32_e32 vcc, s18, v13
	s_and_saveexec_b64 s[0:1], vcc
	s_cbranch_execz .LBB1587_283
; %bb.275:
	v_cmp_le_u32_e32 vcc, v2, v13
	s_and_saveexec_b64 s[2:3], vcc
	s_xor_b64 s[2:3], exec, s[2:3]
	s_cbranch_execz .LBB1587_281
; %bb.276:
	v_cmp_le_u32_e32 vcc, v12, v13
	s_and_saveexec_b64 s[4:5], vcc
	s_xor_b64 s[4:5], exec, s[4:5]
	s_cbranch_execz .LBB1587_278
; %bb.277:
	v_lshlrev_b32_e32 v13, 2, v0
	ds_read_b32 v13, v13 offset:4096
	v_add_co_u32_e32 v14, vcc, v1, v0
	v_addc_co_u32_e32 v15, vcc, 0, v4, vcc
	v_lshlrev_b64 v[14:15], 2, v[14:15]
	v_mov_b32_e32 v16, s7
	v_sub_co_u32_e32 v14, vcc, s6, v14
	v_subb_co_u32_e32 v15, vcc, v16, v15, vcc
	s_waitcnt lgkmcnt(0)
	global_store_dword v[14:15], v13, off offset:-4096
                                        ; implicit-def: $vgpr13
.LBB1587_278:
	s_andn2_saveexec_b64 s[4:5], s[4:5]
	s_cbranch_execz .LBB1587_280
; %bb.279:
	v_lshlrev_b32_e32 v14, 2, v0
	ds_read_b32 v14, v14 offset:4096
	v_lshlrev_b32_e32 v13, 2, v13
	v_readfirstlane_b32 s8, v8
	v_readfirstlane_b32 s9, v9
	s_waitcnt lgkmcnt(0)
	s_nop 3
	global_store_dword v13, v14, s[8:9]
.LBB1587_280:
	s_or_b64 exec, exec, s[4:5]
                                        ; implicit-def: $vgpr13
.LBB1587_281:
	s_andn2_saveexec_b64 s[2:3], s[2:3]
	s_cbranch_execz .LBB1587_283
; %bb.282:
	v_lshlrev_b32_e32 v14, 2, v0
	ds_read_b32 v14, v14 offset:4096
	v_lshlrev_b32_e32 v13, 2, v13
	v_readfirstlane_b32 s2, v10
	v_readfirstlane_b32 s3, v11
	s_waitcnt lgkmcnt(0)
	s_nop 3
	global_store_dword v13, v14, s[2:3]
.LBB1587_283:
	s_or_b64 exec, exec, s[0:1]
	v_or_b32_e32 v13, 0x500, v0
	v_cmp_gt_u32_e32 vcc, s18, v13
	s_and_saveexec_b64 s[0:1], vcc
	s_cbranch_execz .LBB1587_292
; %bb.284:
	v_cmp_le_u32_e32 vcc, v2, v13
	s_and_saveexec_b64 s[2:3], vcc
	s_xor_b64 s[2:3], exec, s[2:3]
	s_cbranch_execz .LBB1587_290
; %bb.285:
	v_cmp_le_u32_e32 vcc, v12, v13
	s_and_saveexec_b64 s[4:5], vcc
	s_xor_b64 s[4:5], exec, s[4:5]
	s_cbranch_execz .LBB1587_287
; %bb.286:
	v_add_co_u32_e32 v14, vcc, v1, v13
	v_lshlrev_b32_e32 v13, 2, v0
	ds_read_b32 v13, v13 offset:5120
	v_addc_co_u32_e32 v15, vcc, 0, v4, vcc
	v_lshlrev_b64 v[14:15], 2, v[14:15]
	v_mov_b32_e32 v16, s7
	v_sub_co_u32_e32 v14, vcc, s6, v14
	v_subb_co_u32_e32 v15, vcc, v16, v15, vcc
	s_waitcnt lgkmcnt(0)
	global_store_dword v[14:15], v13, off
                                        ; implicit-def: $vgpr13
.LBB1587_287:
	s_andn2_saveexec_b64 s[4:5], s[4:5]
	s_cbranch_execz .LBB1587_289
; %bb.288:
	v_lshlrev_b32_e32 v14, 2, v0
	ds_read_b32 v14, v14 offset:5120
	v_lshlrev_b32_e32 v13, 2, v13
	v_readfirstlane_b32 s8, v8
	v_readfirstlane_b32 s9, v9
	s_waitcnt lgkmcnt(0)
	s_nop 3
	global_store_dword v13, v14, s[8:9]
.LBB1587_289:
	s_or_b64 exec, exec, s[4:5]
                                        ; implicit-def: $vgpr13
.LBB1587_290:
	s_andn2_saveexec_b64 s[2:3], s[2:3]
	s_cbranch_execz .LBB1587_292
; %bb.291:
	v_lshlrev_b32_e32 v14, 2, v0
	ds_read_b32 v14, v14 offset:5120
	v_lshlrev_b32_e32 v13, 2, v13
	v_readfirstlane_b32 s2, v10
	v_readfirstlane_b32 s3, v11
	s_waitcnt lgkmcnt(0)
	s_nop 3
	global_store_dword v13, v14, s[2:3]
.LBB1587_292:
	s_or_b64 exec, exec, s[0:1]
	v_or_b32_e32 v13, 0x600, v0
	v_cmp_gt_u32_e32 vcc, s18, v13
	s_and_saveexec_b64 s[0:1], vcc
	s_cbranch_execz .LBB1587_301
; %bb.293:
	v_cmp_le_u32_e32 vcc, v2, v13
	s_and_saveexec_b64 s[2:3], vcc
	s_xor_b64 s[2:3], exec, s[2:3]
	s_cbranch_execz .LBB1587_299
; %bb.294:
	v_cmp_le_u32_e32 vcc, v12, v13
	s_and_saveexec_b64 s[4:5], vcc
	s_xor_b64 s[4:5], exec, s[4:5]
	s_cbranch_execz .LBB1587_296
; %bb.295:
	v_add_co_u32_e32 v14, vcc, v1, v13
	v_lshlrev_b32_e32 v13, 2, v0
	ds_read_b32 v13, v13 offset:6144
	v_addc_co_u32_e32 v15, vcc, 0, v4, vcc
	v_lshlrev_b64 v[14:15], 2, v[14:15]
	v_mov_b32_e32 v16, s7
	v_sub_co_u32_e32 v14, vcc, s6, v14
	v_subb_co_u32_e32 v15, vcc, v16, v15, vcc
	s_waitcnt lgkmcnt(0)
	global_store_dword v[14:15], v13, off
                                        ; implicit-def: $vgpr13
.LBB1587_296:
	s_andn2_saveexec_b64 s[4:5], s[4:5]
	s_cbranch_execz .LBB1587_298
; %bb.297:
	v_lshlrev_b32_e32 v14, 2, v0
	ds_read_b32 v14, v14 offset:6144
	v_lshlrev_b32_e32 v13, 2, v13
	v_readfirstlane_b32 s8, v8
	v_readfirstlane_b32 s9, v9
	s_waitcnt lgkmcnt(0)
	s_nop 3
	global_store_dword v13, v14, s[8:9]
.LBB1587_298:
	s_or_b64 exec, exec, s[4:5]
                                        ; implicit-def: $vgpr13
.LBB1587_299:
	s_andn2_saveexec_b64 s[2:3], s[2:3]
	s_cbranch_execz .LBB1587_301
; %bb.300:
	v_lshlrev_b32_e32 v14, 2, v0
	ds_read_b32 v14, v14 offset:6144
	v_lshlrev_b32_e32 v13, 2, v13
	v_readfirstlane_b32 s2, v10
	v_readfirstlane_b32 s3, v11
	s_waitcnt lgkmcnt(0)
	s_nop 3
	global_store_dword v13, v14, s[2:3]
.LBB1587_301:
	s_or_b64 exec, exec, s[0:1]
	v_or_b32_e32 v13, 0x700, v0
	v_cmp_gt_u32_e32 vcc, s18, v13
	s_and_saveexec_b64 s[0:1], vcc
	s_cbranch_execz .LBB1587_310
; %bb.302:
	v_cmp_le_u32_e32 vcc, v2, v13
	s_and_saveexec_b64 s[2:3], vcc
	s_xor_b64 s[2:3], exec, s[2:3]
	s_cbranch_execz .LBB1587_308
; %bb.303:
	v_cmp_le_u32_e32 vcc, v12, v13
	s_and_saveexec_b64 s[4:5], vcc
	s_xor_b64 s[4:5], exec, s[4:5]
	s_cbranch_execz .LBB1587_305
; %bb.304:
	v_add_co_u32_e32 v14, vcc, v1, v13
	v_lshlrev_b32_e32 v13, 2, v0
	ds_read_b32 v13, v13 offset:7168
	v_addc_co_u32_e32 v15, vcc, 0, v4, vcc
	v_lshlrev_b64 v[14:15], 2, v[14:15]
	v_mov_b32_e32 v16, s7
	v_sub_co_u32_e32 v14, vcc, s6, v14
	v_subb_co_u32_e32 v15, vcc, v16, v15, vcc
	s_waitcnt lgkmcnt(0)
	global_store_dword v[14:15], v13, off
                                        ; implicit-def: $vgpr13
.LBB1587_305:
	s_andn2_saveexec_b64 s[4:5], s[4:5]
	s_cbranch_execz .LBB1587_307
; %bb.306:
	v_lshlrev_b32_e32 v14, 2, v0
	ds_read_b32 v14, v14 offset:7168
	v_lshlrev_b32_e32 v13, 2, v13
	v_readfirstlane_b32 s8, v8
	v_readfirstlane_b32 s9, v9
	s_waitcnt lgkmcnt(0)
	s_nop 3
	global_store_dword v13, v14, s[8:9]
.LBB1587_307:
	s_or_b64 exec, exec, s[4:5]
                                        ; implicit-def: $vgpr13
.LBB1587_308:
	s_andn2_saveexec_b64 s[2:3], s[2:3]
	s_cbranch_execz .LBB1587_310
; %bb.309:
	v_lshlrev_b32_e32 v14, 2, v0
	ds_read_b32 v14, v14 offset:7168
	v_lshlrev_b32_e32 v13, 2, v13
	v_readfirstlane_b32 s2, v10
	v_readfirstlane_b32 s3, v11
	s_waitcnt lgkmcnt(0)
	s_nop 3
	global_store_dword v13, v14, s[2:3]
.LBB1587_310:
	s_or_b64 exec, exec, s[0:1]
	v_or_b32_e32 v13, 0x800, v0
	v_cmp_gt_u32_e32 vcc, s18, v13
	s_and_saveexec_b64 s[0:1], vcc
	s_cbranch_execz .LBB1587_319
; %bb.311:
	v_cmp_le_u32_e32 vcc, v2, v13
	s_and_saveexec_b64 s[2:3], vcc
	s_xor_b64 s[2:3], exec, s[2:3]
	s_cbranch_execz .LBB1587_317
; %bb.312:
	v_cmp_le_u32_e32 vcc, v12, v13
	s_and_saveexec_b64 s[4:5], vcc
	s_xor_b64 s[4:5], exec, s[4:5]
	s_cbranch_execz .LBB1587_314
; %bb.313:
	v_add_co_u32_e32 v14, vcc, v1, v13
	v_lshlrev_b32_e32 v13, 2, v0
	ds_read_b32 v13, v13 offset:8192
	v_addc_co_u32_e32 v15, vcc, 0, v4, vcc
	v_lshlrev_b64 v[14:15], 2, v[14:15]
	v_mov_b32_e32 v16, s7
	v_sub_co_u32_e32 v14, vcc, s6, v14
	v_subb_co_u32_e32 v15, vcc, v16, v15, vcc
	s_waitcnt lgkmcnt(0)
	global_store_dword v[14:15], v13, off
                                        ; implicit-def: $vgpr13
.LBB1587_314:
	s_andn2_saveexec_b64 s[4:5], s[4:5]
	s_cbranch_execz .LBB1587_316
; %bb.315:
	v_lshlrev_b32_e32 v14, 2, v0
	ds_read_b32 v14, v14 offset:8192
	v_lshlrev_b32_e32 v13, 2, v13
	v_readfirstlane_b32 s8, v8
	v_readfirstlane_b32 s9, v9
	s_waitcnt lgkmcnt(0)
	s_nop 3
	global_store_dword v13, v14, s[8:9]
.LBB1587_316:
	s_or_b64 exec, exec, s[4:5]
                                        ; implicit-def: $vgpr13
.LBB1587_317:
	s_andn2_saveexec_b64 s[2:3], s[2:3]
	s_cbranch_execz .LBB1587_319
; %bb.318:
	v_lshlrev_b32_e32 v14, 2, v0
	ds_read_b32 v14, v14 offset:8192
	v_lshlrev_b32_e32 v13, 2, v13
	v_readfirstlane_b32 s2, v10
	v_readfirstlane_b32 s3, v11
	s_waitcnt lgkmcnt(0)
	s_nop 3
	global_store_dword v13, v14, s[2:3]
.LBB1587_319:
	s_or_b64 exec, exec, s[0:1]
	v_or_b32_e32 v13, 0x900, v0
	v_cmp_gt_u32_e32 vcc, s18, v13
	s_and_saveexec_b64 s[0:1], vcc
	s_cbranch_execz .LBB1587_328
; %bb.320:
	v_cmp_le_u32_e32 vcc, v2, v13
	s_and_saveexec_b64 s[2:3], vcc
	s_xor_b64 s[2:3], exec, s[2:3]
	s_cbranch_execz .LBB1587_326
; %bb.321:
	v_cmp_le_u32_e32 vcc, v12, v13
	s_and_saveexec_b64 s[4:5], vcc
	s_xor_b64 s[4:5], exec, s[4:5]
	s_cbranch_execz .LBB1587_323
; %bb.322:
	v_add_co_u32_e32 v14, vcc, v1, v13
	v_lshlrev_b32_e32 v13, 2, v0
	ds_read_b32 v13, v13 offset:9216
	v_addc_co_u32_e32 v15, vcc, 0, v4, vcc
	v_lshlrev_b64 v[14:15], 2, v[14:15]
	v_mov_b32_e32 v16, s7
	v_sub_co_u32_e32 v14, vcc, s6, v14
	v_subb_co_u32_e32 v15, vcc, v16, v15, vcc
	s_waitcnt lgkmcnt(0)
	global_store_dword v[14:15], v13, off
                                        ; implicit-def: $vgpr13
.LBB1587_323:
	s_andn2_saveexec_b64 s[4:5], s[4:5]
	s_cbranch_execz .LBB1587_325
; %bb.324:
	v_lshlrev_b32_e32 v14, 2, v0
	ds_read_b32 v14, v14 offset:9216
	v_lshlrev_b32_e32 v13, 2, v13
	v_readfirstlane_b32 s8, v8
	v_readfirstlane_b32 s9, v9
	s_waitcnt lgkmcnt(0)
	s_nop 3
	global_store_dword v13, v14, s[8:9]
.LBB1587_325:
	s_or_b64 exec, exec, s[4:5]
                                        ; implicit-def: $vgpr13
.LBB1587_326:
	s_andn2_saveexec_b64 s[2:3], s[2:3]
	s_cbranch_execz .LBB1587_328
; %bb.327:
	v_lshlrev_b32_e32 v14, 2, v0
	ds_read_b32 v14, v14 offset:9216
	v_lshlrev_b32_e32 v13, 2, v13
	v_readfirstlane_b32 s2, v10
	v_readfirstlane_b32 s3, v11
	s_waitcnt lgkmcnt(0)
	s_nop 3
	global_store_dword v13, v14, s[2:3]
.LBB1587_328:
	s_or_b64 exec, exec, s[0:1]
	v_or_b32_e32 v13, 0xa00, v0
	v_cmp_gt_u32_e32 vcc, s18, v13
	s_and_saveexec_b64 s[0:1], vcc
	s_cbranch_execz .LBB1587_337
; %bb.329:
	v_cmp_le_u32_e32 vcc, v2, v13
	s_and_saveexec_b64 s[2:3], vcc
	s_xor_b64 s[2:3], exec, s[2:3]
	s_cbranch_execz .LBB1587_335
; %bb.330:
	v_cmp_le_u32_e32 vcc, v12, v13
	s_and_saveexec_b64 s[4:5], vcc
	s_xor_b64 s[4:5], exec, s[4:5]
	s_cbranch_execz .LBB1587_332
; %bb.331:
	v_add_co_u32_e32 v14, vcc, v1, v13
	v_lshlrev_b32_e32 v13, 2, v0
	ds_read_b32 v13, v13 offset:10240
	v_addc_co_u32_e32 v15, vcc, 0, v4, vcc
	v_lshlrev_b64 v[14:15], 2, v[14:15]
	v_mov_b32_e32 v16, s7
	v_sub_co_u32_e32 v14, vcc, s6, v14
	v_subb_co_u32_e32 v15, vcc, v16, v15, vcc
	s_waitcnt lgkmcnt(0)
	global_store_dword v[14:15], v13, off
                                        ; implicit-def: $vgpr13
.LBB1587_332:
	s_andn2_saveexec_b64 s[4:5], s[4:5]
	s_cbranch_execz .LBB1587_334
; %bb.333:
	v_lshlrev_b32_e32 v14, 2, v0
	ds_read_b32 v14, v14 offset:10240
	v_lshlrev_b32_e32 v13, 2, v13
	v_readfirstlane_b32 s8, v8
	v_readfirstlane_b32 s9, v9
	s_waitcnt lgkmcnt(0)
	s_nop 3
	global_store_dword v13, v14, s[8:9]
.LBB1587_334:
	s_or_b64 exec, exec, s[4:5]
                                        ; implicit-def: $vgpr13
.LBB1587_335:
	s_andn2_saveexec_b64 s[2:3], s[2:3]
	s_cbranch_execz .LBB1587_337
; %bb.336:
	v_lshlrev_b32_e32 v14, 2, v0
	ds_read_b32 v14, v14 offset:10240
	v_lshlrev_b32_e32 v13, 2, v13
	v_readfirstlane_b32 s2, v10
	v_readfirstlane_b32 s3, v11
	s_waitcnt lgkmcnt(0)
	s_nop 3
	global_store_dword v13, v14, s[2:3]
.LBB1587_337:
	s_or_b64 exec, exec, s[0:1]
	v_or_b32_e32 v13, 0xb00, v0
	v_cmp_gt_u32_e32 vcc, s18, v13
	s_and_saveexec_b64 s[0:1], vcc
	s_cbranch_execz .LBB1587_346
; %bb.338:
	v_cmp_le_u32_e32 vcc, v2, v13
	s_and_saveexec_b64 s[2:3], vcc
	s_xor_b64 s[2:3], exec, s[2:3]
	s_cbranch_execz .LBB1587_344
; %bb.339:
	v_cmp_le_u32_e32 vcc, v12, v13
	s_and_saveexec_b64 s[4:5], vcc
	s_xor_b64 s[4:5], exec, s[4:5]
	s_cbranch_execz .LBB1587_341
; %bb.340:
	v_add_co_u32_e32 v14, vcc, v1, v13
	v_lshlrev_b32_e32 v13, 2, v0
	ds_read_b32 v13, v13 offset:11264
	v_addc_co_u32_e32 v15, vcc, 0, v4, vcc
	v_lshlrev_b64 v[14:15], 2, v[14:15]
	v_mov_b32_e32 v16, s7
	v_sub_co_u32_e32 v14, vcc, s6, v14
	v_subb_co_u32_e32 v15, vcc, v16, v15, vcc
	s_waitcnt lgkmcnt(0)
	global_store_dword v[14:15], v13, off
                                        ; implicit-def: $vgpr13
.LBB1587_341:
	s_andn2_saveexec_b64 s[4:5], s[4:5]
	s_cbranch_execz .LBB1587_343
; %bb.342:
	v_lshlrev_b32_e32 v14, 2, v0
	ds_read_b32 v14, v14 offset:11264
	v_lshlrev_b32_e32 v13, 2, v13
	v_readfirstlane_b32 s8, v8
	v_readfirstlane_b32 s9, v9
	s_waitcnt lgkmcnt(0)
	s_nop 3
	global_store_dword v13, v14, s[8:9]
.LBB1587_343:
	s_or_b64 exec, exec, s[4:5]
                                        ; implicit-def: $vgpr13
.LBB1587_344:
	s_andn2_saveexec_b64 s[2:3], s[2:3]
	s_cbranch_execz .LBB1587_346
; %bb.345:
	v_lshlrev_b32_e32 v14, 2, v0
	ds_read_b32 v14, v14 offset:11264
	v_lshlrev_b32_e32 v13, 2, v13
	v_readfirstlane_b32 s2, v10
	v_readfirstlane_b32 s3, v11
	s_waitcnt lgkmcnt(0)
	s_nop 3
	global_store_dword v13, v14, s[2:3]
.LBB1587_346:
	s_or_b64 exec, exec, s[0:1]
	v_or_b32_e32 v13, 0xc00, v0
	v_cmp_gt_u32_e32 vcc, s18, v13
	s_and_saveexec_b64 s[0:1], vcc
	s_cbranch_execz .LBB1587_355
; %bb.347:
	v_cmp_le_u32_e32 vcc, v2, v13
	s_and_saveexec_b64 s[2:3], vcc
	s_xor_b64 s[2:3], exec, s[2:3]
	s_cbranch_execz .LBB1587_353
; %bb.348:
	v_cmp_le_u32_e32 vcc, v12, v13
	s_and_saveexec_b64 s[4:5], vcc
	s_xor_b64 s[4:5], exec, s[4:5]
	s_cbranch_execz .LBB1587_350
; %bb.349:
	v_add_co_u32_e32 v8, vcc, v1, v13
	v_lshlrev_b32_e32 v1, 2, v0
	ds_read_b32 v1, v1 offset:12288
	v_addc_co_u32_e32 v9, vcc, 0, v4, vcc
	v_lshlrev_b64 v[8:9], 2, v[8:9]
	v_mov_b32_e32 v4, s7
	v_sub_co_u32_e32 v8, vcc, s6, v8
	v_subb_co_u32_e32 v9, vcc, v4, v9, vcc
	s_waitcnt lgkmcnt(0)
	global_store_dword v[8:9], v1, off
                                        ; implicit-def: $vgpr13
                                        ; implicit-def: $vgpr8_vgpr9
.LBB1587_350:
	s_andn2_saveexec_b64 s[4:5], s[4:5]
	s_cbranch_execz .LBB1587_352
; %bb.351:
	v_lshlrev_b32_e32 v1, 2, v0
	ds_read_b32 v1, v1 offset:12288
	v_lshlrev_b32_e32 v4, 2, v13
	v_readfirstlane_b32 s6, v8
	v_readfirstlane_b32 s7, v9
	s_waitcnt lgkmcnt(0)
	s_nop 3
	global_store_dword v4, v1, s[6:7]
.LBB1587_352:
	s_or_b64 exec, exec, s[4:5]
                                        ; implicit-def: $vgpr13
                                        ; implicit-def: $vgpr10_vgpr11
.LBB1587_353:
	s_andn2_saveexec_b64 s[2:3], s[2:3]
	s_cbranch_execz .LBB1587_355
; %bb.354:
	v_lshlrev_b32_e32 v1, 2, v0
	ds_read_b32 v1, v1 offset:12288
	v_lshlrev_b32_e32 v4, 2, v13
	v_readfirstlane_b32 s2, v10
	v_readfirstlane_b32 s3, v11
	s_waitcnt lgkmcnt(0)
	s_nop 3
	global_store_dword v4, v1, s[2:3]
.LBB1587_355:
	s_or_b64 exec, exec, s[0:1]
	v_cmp_eq_u32_e32 vcc, 0, v0
	s_and_b64 s[0:1], vcc, s[30:31]
	s_and_saveexec_b64 s[2:3], s[0:1]
	s_cbranch_execz .LBB1587_132
.LBB1587_356:
	v_add_co_u32_e32 v0, vcc, v6, v2
	v_addc_co_u32_e32 v1, vcc, 0, v7, vcc
	v_mov_b32_e32 v2, s51
	v_add_co_u32_e32 v3, vcc, s50, v3
	v_addc_co_u32_e32 v6, vcc, 0, v2, vcc
	v_add_co_u32_e32 v2, vcc, v3, v5
	v_mov_b32_e32 v4, 0
	v_addc_co_u32_e32 v3, vcc, 0, v6, vcc
	global_store_dwordx4 v4, v[0:3], s[44:45]
	s_endpgm
	.section	.rodata,"a",@progbits
	.p2align	6, 0x0
	.amdhsa_kernel _ZN7rocprim17ROCPRIM_400000_NS6detail17trampoline_kernelINS0_13select_configILj256ELj13ELNS0_17block_load_methodE3ELS4_3ELS4_3ELNS0_20block_scan_algorithmE0ELj4294967295EEENS1_25partition_config_selectorILNS1_17partition_subalgoE4EjNS0_10empty_typeEbEEZZNS1_14partition_implILS8_4ELb0ES6_15HIP_vector_typeIjLj2EENS0_17counting_iteratorIjlEEPS9_SG_NS0_5tupleIJPjSI_NS0_16reverse_iteratorISI_EEEEENSH_IJSG_SG_SG_EEES9_SI_JZNS1_25segmented_radix_sort_implINS0_14default_configELb0EPKbPbPKlPlN2at6native12_GLOBAL__N_18offset_tEEE10hipError_tPvRmT1_PNSt15iterator_traitsIS12_E10value_typeET2_T3_PNS13_IS18_E10value_typeET4_jRbjT5_S1E_jjP12ihipStream_tbEUljE_ZNSN_ISO_Lb0ESQ_SR_ST_SU_SY_EESZ_S10_S11_S12_S16_S17_S18_S1B_S1C_jS1D_jS1E_S1E_jjS1G_bEUljE0_EEESZ_S10_S11_S18_S1C_S1E_T6_T7_T9_mT8_S1G_bDpT10_ENKUlT_T0_E_clISt17integral_constantIbLb1EES1T_IbLb0EEEEDaS1P_S1Q_EUlS1P_E_NS1_11comp_targetILNS1_3genE4ELNS1_11target_archE910ELNS1_3gpuE8ELNS1_3repE0EEENS1_30default_config_static_selectorELNS0_4arch9wavefront6targetE1EEEvS12_
		.amdhsa_group_segment_fixed_size 13340
		.amdhsa_private_segment_fixed_size 0
		.amdhsa_kernarg_size 176
		.amdhsa_user_sgpr_count 6
		.amdhsa_user_sgpr_private_segment_buffer 1
		.amdhsa_user_sgpr_dispatch_ptr 0
		.amdhsa_user_sgpr_queue_ptr 0
		.amdhsa_user_sgpr_kernarg_segment_ptr 1
		.amdhsa_user_sgpr_dispatch_id 0
		.amdhsa_user_sgpr_flat_scratch_init 0
		.amdhsa_user_sgpr_kernarg_preload_length 0
		.amdhsa_user_sgpr_kernarg_preload_offset 0
		.amdhsa_user_sgpr_private_segment_size 0
		.amdhsa_uses_dynamic_stack 0
		.amdhsa_system_sgpr_private_segment_wavefront_offset 0
		.amdhsa_system_sgpr_workgroup_id_x 1
		.amdhsa_system_sgpr_workgroup_id_y 0
		.amdhsa_system_sgpr_workgroup_id_z 0
		.amdhsa_system_sgpr_workgroup_info 0
		.amdhsa_system_vgpr_workitem_id 0
		.amdhsa_next_free_vgpr 102
		.amdhsa_next_free_sgpr 90
		.amdhsa_accum_offset 104
		.amdhsa_reserve_vcc 1
		.amdhsa_reserve_flat_scratch 0
		.amdhsa_float_round_mode_32 0
		.amdhsa_float_round_mode_16_64 0
		.amdhsa_float_denorm_mode_32 3
		.amdhsa_float_denorm_mode_16_64 3
		.amdhsa_dx10_clamp 1
		.amdhsa_ieee_mode 1
		.amdhsa_fp16_overflow 0
		.amdhsa_tg_split 0
		.amdhsa_exception_fp_ieee_invalid_op 0
		.amdhsa_exception_fp_denorm_src 0
		.amdhsa_exception_fp_ieee_div_zero 0
		.amdhsa_exception_fp_ieee_overflow 0
		.amdhsa_exception_fp_ieee_underflow 0
		.amdhsa_exception_fp_ieee_inexact 0
		.amdhsa_exception_int_div_zero 0
	.end_amdhsa_kernel
	.section	.text._ZN7rocprim17ROCPRIM_400000_NS6detail17trampoline_kernelINS0_13select_configILj256ELj13ELNS0_17block_load_methodE3ELS4_3ELS4_3ELNS0_20block_scan_algorithmE0ELj4294967295EEENS1_25partition_config_selectorILNS1_17partition_subalgoE4EjNS0_10empty_typeEbEEZZNS1_14partition_implILS8_4ELb0ES6_15HIP_vector_typeIjLj2EENS0_17counting_iteratorIjlEEPS9_SG_NS0_5tupleIJPjSI_NS0_16reverse_iteratorISI_EEEEENSH_IJSG_SG_SG_EEES9_SI_JZNS1_25segmented_radix_sort_implINS0_14default_configELb0EPKbPbPKlPlN2at6native12_GLOBAL__N_18offset_tEEE10hipError_tPvRmT1_PNSt15iterator_traitsIS12_E10value_typeET2_T3_PNS13_IS18_E10value_typeET4_jRbjT5_S1E_jjP12ihipStream_tbEUljE_ZNSN_ISO_Lb0ESQ_SR_ST_SU_SY_EESZ_S10_S11_S12_S16_S17_S18_S1B_S1C_jS1D_jS1E_S1E_jjS1G_bEUljE0_EEESZ_S10_S11_S18_S1C_S1E_T6_T7_T9_mT8_S1G_bDpT10_ENKUlT_T0_E_clISt17integral_constantIbLb1EES1T_IbLb0EEEEDaS1P_S1Q_EUlS1P_E_NS1_11comp_targetILNS1_3genE4ELNS1_11target_archE910ELNS1_3gpuE8ELNS1_3repE0EEENS1_30default_config_static_selectorELNS0_4arch9wavefront6targetE1EEEvS12_,"axG",@progbits,_ZN7rocprim17ROCPRIM_400000_NS6detail17trampoline_kernelINS0_13select_configILj256ELj13ELNS0_17block_load_methodE3ELS4_3ELS4_3ELNS0_20block_scan_algorithmE0ELj4294967295EEENS1_25partition_config_selectorILNS1_17partition_subalgoE4EjNS0_10empty_typeEbEEZZNS1_14partition_implILS8_4ELb0ES6_15HIP_vector_typeIjLj2EENS0_17counting_iteratorIjlEEPS9_SG_NS0_5tupleIJPjSI_NS0_16reverse_iteratorISI_EEEEENSH_IJSG_SG_SG_EEES9_SI_JZNS1_25segmented_radix_sort_implINS0_14default_configELb0EPKbPbPKlPlN2at6native12_GLOBAL__N_18offset_tEEE10hipError_tPvRmT1_PNSt15iterator_traitsIS12_E10value_typeET2_T3_PNS13_IS18_E10value_typeET4_jRbjT5_S1E_jjP12ihipStream_tbEUljE_ZNSN_ISO_Lb0ESQ_SR_ST_SU_SY_EESZ_S10_S11_S12_S16_S17_S18_S1B_S1C_jS1D_jS1E_S1E_jjS1G_bEUljE0_EEESZ_S10_S11_S18_S1C_S1E_T6_T7_T9_mT8_S1G_bDpT10_ENKUlT_T0_E_clISt17integral_constantIbLb1EES1T_IbLb0EEEEDaS1P_S1Q_EUlS1P_E_NS1_11comp_targetILNS1_3genE4ELNS1_11target_archE910ELNS1_3gpuE8ELNS1_3repE0EEENS1_30default_config_static_selectorELNS0_4arch9wavefront6targetE1EEEvS12_,comdat
.Lfunc_end1587:
	.size	_ZN7rocprim17ROCPRIM_400000_NS6detail17trampoline_kernelINS0_13select_configILj256ELj13ELNS0_17block_load_methodE3ELS4_3ELS4_3ELNS0_20block_scan_algorithmE0ELj4294967295EEENS1_25partition_config_selectorILNS1_17partition_subalgoE4EjNS0_10empty_typeEbEEZZNS1_14partition_implILS8_4ELb0ES6_15HIP_vector_typeIjLj2EENS0_17counting_iteratorIjlEEPS9_SG_NS0_5tupleIJPjSI_NS0_16reverse_iteratorISI_EEEEENSH_IJSG_SG_SG_EEES9_SI_JZNS1_25segmented_radix_sort_implINS0_14default_configELb0EPKbPbPKlPlN2at6native12_GLOBAL__N_18offset_tEEE10hipError_tPvRmT1_PNSt15iterator_traitsIS12_E10value_typeET2_T3_PNS13_IS18_E10value_typeET4_jRbjT5_S1E_jjP12ihipStream_tbEUljE_ZNSN_ISO_Lb0ESQ_SR_ST_SU_SY_EESZ_S10_S11_S12_S16_S17_S18_S1B_S1C_jS1D_jS1E_S1E_jjS1G_bEUljE0_EEESZ_S10_S11_S18_S1C_S1E_T6_T7_T9_mT8_S1G_bDpT10_ENKUlT_T0_E_clISt17integral_constantIbLb1EES1T_IbLb0EEEEDaS1P_S1Q_EUlS1P_E_NS1_11comp_targetILNS1_3genE4ELNS1_11target_archE910ELNS1_3gpuE8ELNS1_3repE0EEENS1_30default_config_static_selectorELNS0_4arch9wavefront6targetE1EEEvS12_, .Lfunc_end1587-_ZN7rocprim17ROCPRIM_400000_NS6detail17trampoline_kernelINS0_13select_configILj256ELj13ELNS0_17block_load_methodE3ELS4_3ELS4_3ELNS0_20block_scan_algorithmE0ELj4294967295EEENS1_25partition_config_selectorILNS1_17partition_subalgoE4EjNS0_10empty_typeEbEEZZNS1_14partition_implILS8_4ELb0ES6_15HIP_vector_typeIjLj2EENS0_17counting_iteratorIjlEEPS9_SG_NS0_5tupleIJPjSI_NS0_16reverse_iteratorISI_EEEEENSH_IJSG_SG_SG_EEES9_SI_JZNS1_25segmented_radix_sort_implINS0_14default_configELb0EPKbPbPKlPlN2at6native12_GLOBAL__N_18offset_tEEE10hipError_tPvRmT1_PNSt15iterator_traitsIS12_E10value_typeET2_T3_PNS13_IS18_E10value_typeET4_jRbjT5_S1E_jjP12ihipStream_tbEUljE_ZNSN_ISO_Lb0ESQ_SR_ST_SU_SY_EESZ_S10_S11_S12_S16_S17_S18_S1B_S1C_jS1D_jS1E_S1E_jjS1G_bEUljE0_EEESZ_S10_S11_S18_S1C_S1E_T6_T7_T9_mT8_S1G_bDpT10_ENKUlT_T0_E_clISt17integral_constantIbLb1EES1T_IbLb0EEEEDaS1P_S1Q_EUlS1P_E_NS1_11comp_targetILNS1_3genE4ELNS1_11target_archE910ELNS1_3gpuE8ELNS1_3repE0EEENS1_30default_config_static_selectorELNS0_4arch9wavefront6targetE1EEEvS12_
                                        ; -- End function
	.section	.AMDGPU.csdata,"",@progbits
; Kernel info:
; codeLenInByte = 13412
; NumSgprs: 94
; NumVgprs: 102
; NumAgprs: 0
; TotalNumVgprs: 102
; ScratchSize: 0
; MemoryBound: 0
; FloatMode: 240
; IeeeMode: 1
; LDSByteSize: 13340 bytes/workgroup (compile time only)
; SGPRBlocks: 11
; VGPRBlocks: 12
; NumSGPRsForWavesPerEU: 94
; NumVGPRsForWavesPerEU: 102
; AccumOffset: 104
; Occupancy: 4
; WaveLimiterHint : 1
; COMPUTE_PGM_RSRC2:SCRATCH_EN: 0
; COMPUTE_PGM_RSRC2:USER_SGPR: 6
; COMPUTE_PGM_RSRC2:TRAP_HANDLER: 0
; COMPUTE_PGM_RSRC2:TGID_X_EN: 1
; COMPUTE_PGM_RSRC2:TGID_Y_EN: 0
; COMPUTE_PGM_RSRC2:TGID_Z_EN: 0
; COMPUTE_PGM_RSRC2:TIDIG_COMP_CNT: 0
; COMPUTE_PGM_RSRC3_GFX90A:ACCUM_OFFSET: 25
; COMPUTE_PGM_RSRC3_GFX90A:TG_SPLIT: 0
	.section	.text._ZN7rocprim17ROCPRIM_400000_NS6detail17trampoline_kernelINS0_13select_configILj256ELj13ELNS0_17block_load_methodE3ELS4_3ELS4_3ELNS0_20block_scan_algorithmE0ELj4294967295EEENS1_25partition_config_selectorILNS1_17partition_subalgoE4EjNS0_10empty_typeEbEEZZNS1_14partition_implILS8_4ELb0ES6_15HIP_vector_typeIjLj2EENS0_17counting_iteratorIjlEEPS9_SG_NS0_5tupleIJPjSI_NS0_16reverse_iteratorISI_EEEEENSH_IJSG_SG_SG_EEES9_SI_JZNS1_25segmented_radix_sort_implINS0_14default_configELb0EPKbPbPKlPlN2at6native12_GLOBAL__N_18offset_tEEE10hipError_tPvRmT1_PNSt15iterator_traitsIS12_E10value_typeET2_T3_PNS13_IS18_E10value_typeET4_jRbjT5_S1E_jjP12ihipStream_tbEUljE_ZNSN_ISO_Lb0ESQ_SR_ST_SU_SY_EESZ_S10_S11_S12_S16_S17_S18_S1B_S1C_jS1D_jS1E_S1E_jjS1G_bEUljE0_EEESZ_S10_S11_S18_S1C_S1E_T6_T7_T9_mT8_S1G_bDpT10_ENKUlT_T0_E_clISt17integral_constantIbLb1EES1T_IbLb0EEEEDaS1P_S1Q_EUlS1P_E_NS1_11comp_targetILNS1_3genE3ELNS1_11target_archE908ELNS1_3gpuE7ELNS1_3repE0EEENS1_30default_config_static_selectorELNS0_4arch9wavefront6targetE1EEEvS12_,"axG",@progbits,_ZN7rocprim17ROCPRIM_400000_NS6detail17trampoline_kernelINS0_13select_configILj256ELj13ELNS0_17block_load_methodE3ELS4_3ELS4_3ELNS0_20block_scan_algorithmE0ELj4294967295EEENS1_25partition_config_selectorILNS1_17partition_subalgoE4EjNS0_10empty_typeEbEEZZNS1_14partition_implILS8_4ELb0ES6_15HIP_vector_typeIjLj2EENS0_17counting_iteratorIjlEEPS9_SG_NS0_5tupleIJPjSI_NS0_16reverse_iteratorISI_EEEEENSH_IJSG_SG_SG_EEES9_SI_JZNS1_25segmented_radix_sort_implINS0_14default_configELb0EPKbPbPKlPlN2at6native12_GLOBAL__N_18offset_tEEE10hipError_tPvRmT1_PNSt15iterator_traitsIS12_E10value_typeET2_T3_PNS13_IS18_E10value_typeET4_jRbjT5_S1E_jjP12ihipStream_tbEUljE_ZNSN_ISO_Lb0ESQ_SR_ST_SU_SY_EESZ_S10_S11_S12_S16_S17_S18_S1B_S1C_jS1D_jS1E_S1E_jjS1G_bEUljE0_EEESZ_S10_S11_S18_S1C_S1E_T6_T7_T9_mT8_S1G_bDpT10_ENKUlT_T0_E_clISt17integral_constantIbLb1EES1T_IbLb0EEEEDaS1P_S1Q_EUlS1P_E_NS1_11comp_targetILNS1_3genE3ELNS1_11target_archE908ELNS1_3gpuE7ELNS1_3repE0EEENS1_30default_config_static_selectorELNS0_4arch9wavefront6targetE1EEEvS12_,comdat
	.globl	_ZN7rocprim17ROCPRIM_400000_NS6detail17trampoline_kernelINS0_13select_configILj256ELj13ELNS0_17block_load_methodE3ELS4_3ELS4_3ELNS0_20block_scan_algorithmE0ELj4294967295EEENS1_25partition_config_selectorILNS1_17partition_subalgoE4EjNS0_10empty_typeEbEEZZNS1_14partition_implILS8_4ELb0ES6_15HIP_vector_typeIjLj2EENS0_17counting_iteratorIjlEEPS9_SG_NS0_5tupleIJPjSI_NS0_16reverse_iteratorISI_EEEEENSH_IJSG_SG_SG_EEES9_SI_JZNS1_25segmented_radix_sort_implINS0_14default_configELb0EPKbPbPKlPlN2at6native12_GLOBAL__N_18offset_tEEE10hipError_tPvRmT1_PNSt15iterator_traitsIS12_E10value_typeET2_T3_PNS13_IS18_E10value_typeET4_jRbjT5_S1E_jjP12ihipStream_tbEUljE_ZNSN_ISO_Lb0ESQ_SR_ST_SU_SY_EESZ_S10_S11_S12_S16_S17_S18_S1B_S1C_jS1D_jS1E_S1E_jjS1G_bEUljE0_EEESZ_S10_S11_S18_S1C_S1E_T6_T7_T9_mT8_S1G_bDpT10_ENKUlT_T0_E_clISt17integral_constantIbLb1EES1T_IbLb0EEEEDaS1P_S1Q_EUlS1P_E_NS1_11comp_targetILNS1_3genE3ELNS1_11target_archE908ELNS1_3gpuE7ELNS1_3repE0EEENS1_30default_config_static_selectorELNS0_4arch9wavefront6targetE1EEEvS12_ ; -- Begin function _ZN7rocprim17ROCPRIM_400000_NS6detail17trampoline_kernelINS0_13select_configILj256ELj13ELNS0_17block_load_methodE3ELS4_3ELS4_3ELNS0_20block_scan_algorithmE0ELj4294967295EEENS1_25partition_config_selectorILNS1_17partition_subalgoE4EjNS0_10empty_typeEbEEZZNS1_14partition_implILS8_4ELb0ES6_15HIP_vector_typeIjLj2EENS0_17counting_iteratorIjlEEPS9_SG_NS0_5tupleIJPjSI_NS0_16reverse_iteratorISI_EEEEENSH_IJSG_SG_SG_EEES9_SI_JZNS1_25segmented_radix_sort_implINS0_14default_configELb0EPKbPbPKlPlN2at6native12_GLOBAL__N_18offset_tEEE10hipError_tPvRmT1_PNSt15iterator_traitsIS12_E10value_typeET2_T3_PNS13_IS18_E10value_typeET4_jRbjT5_S1E_jjP12ihipStream_tbEUljE_ZNSN_ISO_Lb0ESQ_SR_ST_SU_SY_EESZ_S10_S11_S12_S16_S17_S18_S1B_S1C_jS1D_jS1E_S1E_jjS1G_bEUljE0_EEESZ_S10_S11_S18_S1C_S1E_T6_T7_T9_mT8_S1G_bDpT10_ENKUlT_T0_E_clISt17integral_constantIbLb1EES1T_IbLb0EEEEDaS1P_S1Q_EUlS1P_E_NS1_11comp_targetILNS1_3genE3ELNS1_11target_archE908ELNS1_3gpuE7ELNS1_3repE0EEENS1_30default_config_static_selectorELNS0_4arch9wavefront6targetE1EEEvS12_
	.p2align	8
	.type	_ZN7rocprim17ROCPRIM_400000_NS6detail17trampoline_kernelINS0_13select_configILj256ELj13ELNS0_17block_load_methodE3ELS4_3ELS4_3ELNS0_20block_scan_algorithmE0ELj4294967295EEENS1_25partition_config_selectorILNS1_17partition_subalgoE4EjNS0_10empty_typeEbEEZZNS1_14partition_implILS8_4ELb0ES6_15HIP_vector_typeIjLj2EENS0_17counting_iteratorIjlEEPS9_SG_NS0_5tupleIJPjSI_NS0_16reverse_iteratorISI_EEEEENSH_IJSG_SG_SG_EEES9_SI_JZNS1_25segmented_radix_sort_implINS0_14default_configELb0EPKbPbPKlPlN2at6native12_GLOBAL__N_18offset_tEEE10hipError_tPvRmT1_PNSt15iterator_traitsIS12_E10value_typeET2_T3_PNS13_IS18_E10value_typeET4_jRbjT5_S1E_jjP12ihipStream_tbEUljE_ZNSN_ISO_Lb0ESQ_SR_ST_SU_SY_EESZ_S10_S11_S12_S16_S17_S18_S1B_S1C_jS1D_jS1E_S1E_jjS1G_bEUljE0_EEESZ_S10_S11_S18_S1C_S1E_T6_T7_T9_mT8_S1G_bDpT10_ENKUlT_T0_E_clISt17integral_constantIbLb1EES1T_IbLb0EEEEDaS1P_S1Q_EUlS1P_E_NS1_11comp_targetILNS1_3genE3ELNS1_11target_archE908ELNS1_3gpuE7ELNS1_3repE0EEENS1_30default_config_static_selectorELNS0_4arch9wavefront6targetE1EEEvS12_,@function
_ZN7rocprim17ROCPRIM_400000_NS6detail17trampoline_kernelINS0_13select_configILj256ELj13ELNS0_17block_load_methodE3ELS4_3ELS4_3ELNS0_20block_scan_algorithmE0ELj4294967295EEENS1_25partition_config_selectorILNS1_17partition_subalgoE4EjNS0_10empty_typeEbEEZZNS1_14partition_implILS8_4ELb0ES6_15HIP_vector_typeIjLj2EENS0_17counting_iteratorIjlEEPS9_SG_NS0_5tupleIJPjSI_NS0_16reverse_iteratorISI_EEEEENSH_IJSG_SG_SG_EEES9_SI_JZNS1_25segmented_radix_sort_implINS0_14default_configELb0EPKbPbPKlPlN2at6native12_GLOBAL__N_18offset_tEEE10hipError_tPvRmT1_PNSt15iterator_traitsIS12_E10value_typeET2_T3_PNS13_IS18_E10value_typeET4_jRbjT5_S1E_jjP12ihipStream_tbEUljE_ZNSN_ISO_Lb0ESQ_SR_ST_SU_SY_EESZ_S10_S11_S12_S16_S17_S18_S1B_S1C_jS1D_jS1E_S1E_jjS1G_bEUljE0_EEESZ_S10_S11_S18_S1C_S1E_T6_T7_T9_mT8_S1G_bDpT10_ENKUlT_T0_E_clISt17integral_constantIbLb1EES1T_IbLb0EEEEDaS1P_S1Q_EUlS1P_E_NS1_11comp_targetILNS1_3genE3ELNS1_11target_archE908ELNS1_3gpuE7ELNS1_3repE0EEENS1_30default_config_static_selectorELNS0_4arch9wavefront6targetE1EEEvS12_: ; @_ZN7rocprim17ROCPRIM_400000_NS6detail17trampoline_kernelINS0_13select_configILj256ELj13ELNS0_17block_load_methodE3ELS4_3ELS4_3ELNS0_20block_scan_algorithmE0ELj4294967295EEENS1_25partition_config_selectorILNS1_17partition_subalgoE4EjNS0_10empty_typeEbEEZZNS1_14partition_implILS8_4ELb0ES6_15HIP_vector_typeIjLj2EENS0_17counting_iteratorIjlEEPS9_SG_NS0_5tupleIJPjSI_NS0_16reverse_iteratorISI_EEEEENSH_IJSG_SG_SG_EEES9_SI_JZNS1_25segmented_radix_sort_implINS0_14default_configELb0EPKbPbPKlPlN2at6native12_GLOBAL__N_18offset_tEEE10hipError_tPvRmT1_PNSt15iterator_traitsIS12_E10value_typeET2_T3_PNS13_IS18_E10value_typeET4_jRbjT5_S1E_jjP12ihipStream_tbEUljE_ZNSN_ISO_Lb0ESQ_SR_ST_SU_SY_EESZ_S10_S11_S12_S16_S17_S18_S1B_S1C_jS1D_jS1E_S1E_jjS1G_bEUljE0_EEESZ_S10_S11_S18_S1C_S1E_T6_T7_T9_mT8_S1G_bDpT10_ENKUlT_T0_E_clISt17integral_constantIbLb1EES1T_IbLb0EEEEDaS1P_S1Q_EUlS1P_E_NS1_11comp_targetILNS1_3genE3ELNS1_11target_archE908ELNS1_3gpuE7ELNS1_3repE0EEENS1_30default_config_static_selectorELNS0_4arch9wavefront6targetE1EEEvS12_
; %bb.0:
	.section	.rodata,"a",@progbits
	.p2align	6, 0x0
	.amdhsa_kernel _ZN7rocprim17ROCPRIM_400000_NS6detail17trampoline_kernelINS0_13select_configILj256ELj13ELNS0_17block_load_methodE3ELS4_3ELS4_3ELNS0_20block_scan_algorithmE0ELj4294967295EEENS1_25partition_config_selectorILNS1_17partition_subalgoE4EjNS0_10empty_typeEbEEZZNS1_14partition_implILS8_4ELb0ES6_15HIP_vector_typeIjLj2EENS0_17counting_iteratorIjlEEPS9_SG_NS0_5tupleIJPjSI_NS0_16reverse_iteratorISI_EEEEENSH_IJSG_SG_SG_EEES9_SI_JZNS1_25segmented_radix_sort_implINS0_14default_configELb0EPKbPbPKlPlN2at6native12_GLOBAL__N_18offset_tEEE10hipError_tPvRmT1_PNSt15iterator_traitsIS12_E10value_typeET2_T3_PNS13_IS18_E10value_typeET4_jRbjT5_S1E_jjP12ihipStream_tbEUljE_ZNSN_ISO_Lb0ESQ_SR_ST_SU_SY_EESZ_S10_S11_S12_S16_S17_S18_S1B_S1C_jS1D_jS1E_S1E_jjS1G_bEUljE0_EEESZ_S10_S11_S18_S1C_S1E_T6_T7_T9_mT8_S1G_bDpT10_ENKUlT_T0_E_clISt17integral_constantIbLb1EES1T_IbLb0EEEEDaS1P_S1Q_EUlS1P_E_NS1_11comp_targetILNS1_3genE3ELNS1_11target_archE908ELNS1_3gpuE7ELNS1_3repE0EEENS1_30default_config_static_selectorELNS0_4arch9wavefront6targetE1EEEvS12_
		.amdhsa_group_segment_fixed_size 0
		.amdhsa_private_segment_fixed_size 0
		.amdhsa_kernarg_size 176
		.amdhsa_user_sgpr_count 6
		.amdhsa_user_sgpr_private_segment_buffer 1
		.amdhsa_user_sgpr_dispatch_ptr 0
		.amdhsa_user_sgpr_queue_ptr 0
		.amdhsa_user_sgpr_kernarg_segment_ptr 1
		.amdhsa_user_sgpr_dispatch_id 0
		.amdhsa_user_sgpr_flat_scratch_init 0
		.amdhsa_user_sgpr_kernarg_preload_length 0
		.amdhsa_user_sgpr_kernarg_preload_offset 0
		.amdhsa_user_sgpr_private_segment_size 0
		.amdhsa_uses_dynamic_stack 0
		.amdhsa_system_sgpr_private_segment_wavefront_offset 0
		.amdhsa_system_sgpr_workgroup_id_x 1
		.amdhsa_system_sgpr_workgroup_id_y 0
		.amdhsa_system_sgpr_workgroup_id_z 0
		.amdhsa_system_sgpr_workgroup_info 0
		.amdhsa_system_vgpr_workitem_id 0
		.amdhsa_next_free_vgpr 1
		.amdhsa_next_free_sgpr 0
		.amdhsa_accum_offset 4
		.amdhsa_reserve_vcc 0
		.amdhsa_reserve_flat_scratch 0
		.amdhsa_float_round_mode_32 0
		.amdhsa_float_round_mode_16_64 0
		.amdhsa_float_denorm_mode_32 3
		.amdhsa_float_denorm_mode_16_64 3
		.amdhsa_dx10_clamp 1
		.amdhsa_ieee_mode 1
		.amdhsa_fp16_overflow 0
		.amdhsa_tg_split 0
		.amdhsa_exception_fp_ieee_invalid_op 0
		.amdhsa_exception_fp_denorm_src 0
		.amdhsa_exception_fp_ieee_div_zero 0
		.amdhsa_exception_fp_ieee_overflow 0
		.amdhsa_exception_fp_ieee_underflow 0
		.amdhsa_exception_fp_ieee_inexact 0
		.amdhsa_exception_int_div_zero 0
	.end_amdhsa_kernel
	.section	.text._ZN7rocprim17ROCPRIM_400000_NS6detail17trampoline_kernelINS0_13select_configILj256ELj13ELNS0_17block_load_methodE3ELS4_3ELS4_3ELNS0_20block_scan_algorithmE0ELj4294967295EEENS1_25partition_config_selectorILNS1_17partition_subalgoE4EjNS0_10empty_typeEbEEZZNS1_14partition_implILS8_4ELb0ES6_15HIP_vector_typeIjLj2EENS0_17counting_iteratorIjlEEPS9_SG_NS0_5tupleIJPjSI_NS0_16reverse_iteratorISI_EEEEENSH_IJSG_SG_SG_EEES9_SI_JZNS1_25segmented_radix_sort_implINS0_14default_configELb0EPKbPbPKlPlN2at6native12_GLOBAL__N_18offset_tEEE10hipError_tPvRmT1_PNSt15iterator_traitsIS12_E10value_typeET2_T3_PNS13_IS18_E10value_typeET4_jRbjT5_S1E_jjP12ihipStream_tbEUljE_ZNSN_ISO_Lb0ESQ_SR_ST_SU_SY_EESZ_S10_S11_S12_S16_S17_S18_S1B_S1C_jS1D_jS1E_S1E_jjS1G_bEUljE0_EEESZ_S10_S11_S18_S1C_S1E_T6_T7_T9_mT8_S1G_bDpT10_ENKUlT_T0_E_clISt17integral_constantIbLb1EES1T_IbLb0EEEEDaS1P_S1Q_EUlS1P_E_NS1_11comp_targetILNS1_3genE3ELNS1_11target_archE908ELNS1_3gpuE7ELNS1_3repE0EEENS1_30default_config_static_selectorELNS0_4arch9wavefront6targetE1EEEvS12_,"axG",@progbits,_ZN7rocprim17ROCPRIM_400000_NS6detail17trampoline_kernelINS0_13select_configILj256ELj13ELNS0_17block_load_methodE3ELS4_3ELS4_3ELNS0_20block_scan_algorithmE0ELj4294967295EEENS1_25partition_config_selectorILNS1_17partition_subalgoE4EjNS0_10empty_typeEbEEZZNS1_14partition_implILS8_4ELb0ES6_15HIP_vector_typeIjLj2EENS0_17counting_iteratorIjlEEPS9_SG_NS0_5tupleIJPjSI_NS0_16reverse_iteratorISI_EEEEENSH_IJSG_SG_SG_EEES9_SI_JZNS1_25segmented_radix_sort_implINS0_14default_configELb0EPKbPbPKlPlN2at6native12_GLOBAL__N_18offset_tEEE10hipError_tPvRmT1_PNSt15iterator_traitsIS12_E10value_typeET2_T3_PNS13_IS18_E10value_typeET4_jRbjT5_S1E_jjP12ihipStream_tbEUljE_ZNSN_ISO_Lb0ESQ_SR_ST_SU_SY_EESZ_S10_S11_S12_S16_S17_S18_S1B_S1C_jS1D_jS1E_S1E_jjS1G_bEUljE0_EEESZ_S10_S11_S18_S1C_S1E_T6_T7_T9_mT8_S1G_bDpT10_ENKUlT_T0_E_clISt17integral_constantIbLb1EES1T_IbLb0EEEEDaS1P_S1Q_EUlS1P_E_NS1_11comp_targetILNS1_3genE3ELNS1_11target_archE908ELNS1_3gpuE7ELNS1_3repE0EEENS1_30default_config_static_selectorELNS0_4arch9wavefront6targetE1EEEvS12_,comdat
.Lfunc_end1588:
	.size	_ZN7rocprim17ROCPRIM_400000_NS6detail17trampoline_kernelINS0_13select_configILj256ELj13ELNS0_17block_load_methodE3ELS4_3ELS4_3ELNS0_20block_scan_algorithmE0ELj4294967295EEENS1_25partition_config_selectorILNS1_17partition_subalgoE4EjNS0_10empty_typeEbEEZZNS1_14partition_implILS8_4ELb0ES6_15HIP_vector_typeIjLj2EENS0_17counting_iteratorIjlEEPS9_SG_NS0_5tupleIJPjSI_NS0_16reverse_iteratorISI_EEEEENSH_IJSG_SG_SG_EEES9_SI_JZNS1_25segmented_radix_sort_implINS0_14default_configELb0EPKbPbPKlPlN2at6native12_GLOBAL__N_18offset_tEEE10hipError_tPvRmT1_PNSt15iterator_traitsIS12_E10value_typeET2_T3_PNS13_IS18_E10value_typeET4_jRbjT5_S1E_jjP12ihipStream_tbEUljE_ZNSN_ISO_Lb0ESQ_SR_ST_SU_SY_EESZ_S10_S11_S12_S16_S17_S18_S1B_S1C_jS1D_jS1E_S1E_jjS1G_bEUljE0_EEESZ_S10_S11_S18_S1C_S1E_T6_T7_T9_mT8_S1G_bDpT10_ENKUlT_T0_E_clISt17integral_constantIbLb1EES1T_IbLb0EEEEDaS1P_S1Q_EUlS1P_E_NS1_11comp_targetILNS1_3genE3ELNS1_11target_archE908ELNS1_3gpuE7ELNS1_3repE0EEENS1_30default_config_static_selectorELNS0_4arch9wavefront6targetE1EEEvS12_, .Lfunc_end1588-_ZN7rocprim17ROCPRIM_400000_NS6detail17trampoline_kernelINS0_13select_configILj256ELj13ELNS0_17block_load_methodE3ELS4_3ELS4_3ELNS0_20block_scan_algorithmE0ELj4294967295EEENS1_25partition_config_selectorILNS1_17partition_subalgoE4EjNS0_10empty_typeEbEEZZNS1_14partition_implILS8_4ELb0ES6_15HIP_vector_typeIjLj2EENS0_17counting_iteratorIjlEEPS9_SG_NS0_5tupleIJPjSI_NS0_16reverse_iteratorISI_EEEEENSH_IJSG_SG_SG_EEES9_SI_JZNS1_25segmented_radix_sort_implINS0_14default_configELb0EPKbPbPKlPlN2at6native12_GLOBAL__N_18offset_tEEE10hipError_tPvRmT1_PNSt15iterator_traitsIS12_E10value_typeET2_T3_PNS13_IS18_E10value_typeET4_jRbjT5_S1E_jjP12ihipStream_tbEUljE_ZNSN_ISO_Lb0ESQ_SR_ST_SU_SY_EESZ_S10_S11_S12_S16_S17_S18_S1B_S1C_jS1D_jS1E_S1E_jjS1G_bEUljE0_EEESZ_S10_S11_S18_S1C_S1E_T6_T7_T9_mT8_S1G_bDpT10_ENKUlT_T0_E_clISt17integral_constantIbLb1EES1T_IbLb0EEEEDaS1P_S1Q_EUlS1P_E_NS1_11comp_targetILNS1_3genE3ELNS1_11target_archE908ELNS1_3gpuE7ELNS1_3repE0EEENS1_30default_config_static_selectorELNS0_4arch9wavefront6targetE1EEEvS12_
                                        ; -- End function
	.section	.AMDGPU.csdata,"",@progbits
; Kernel info:
; codeLenInByte = 0
; NumSgprs: 4
; NumVgprs: 0
; NumAgprs: 0
; TotalNumVgprs: 0
; ScratchSize: 0
; MemoryBound: 0
; FloatMode: 240
; IeeeMode: 1
; LDSByteSize: 0 bytes/workgroup (compile time only)
; SGPRBlocks: 0
; VGPRBlocks: 0
; NumSGPRsForWavesPerEU: 4
; NumVGPRsForWavesPerEU: 1
; AccumOffset: 4
; Occupancy: 8
; WaveLimiterHint : 0
; COMPUTE_PGM_RSRC2:SCRATCH_EN: 0
; COMPUTE_PGM_RSRC2:USER_SGPR: 6
; COMPUTE_PGM_RSRC2:TRAP_HANDLER: 0
; COMPUTE_PGM_RSRC2:TGID_X_EN: 1
; COMPUTE_PGM_RSRC2:TGID_Y_EN: 0
; COMPUTE_PGM_RSRC2:TGID_Z_EN: 0
; COMPUTE_PGM_RSRC2:TIDIG_COMP_CNT: 0
; COMPUTE_PGM_RSRC3_GFX90A:ACCUM_OFFSET: 0
; COMPUTE_PGM_RSRC3_GFX90A:TG_SPLIT: 0
	.section	.text._ZN7rocprim17ROCPRIM_400000_NS6detail17trampoline_kernelINS0_13select_configILj256ELj13ELNS0_17block_load_methodE3ELS4_3ELS4_3ELNS0_20block_scan_algorithmE0ELj4294967295EEENS1_25partition_config_selectorILNS1_17partition_subalgoE4EjNS0_10empty_typeEbEEZZNS1_14partition_implILS8_4ELb0ES6_15HIP_vector_typeIjLj2EENS0_17counting_iteratorIjlEEPS9_SG_NS0_5tupleIJPjSI_NS0_16reverse_iteratorISI_EEEEENSH_IJSG_SG_SG_EEES9_SI_JZNS1_25segmented_radix_sort_implINS0_14default_configELb0EPKbPbPKlPlN2at6native12_GLOBAL__N_18offset_tEEE10hipError_tPvRmT1_PNSt15iterator_traitsIS12_E10value_typeET2_T3_PNS13_IS18_E10value_typeET4_jRbjT5_S1E_jjP12ihipStream_tbEUljE_ZNSN_ISO_Lb0ESQ_SR_ST_SU_SY_EESZ_S10_S11_S12_S16_S17_S18_S1B_S1C_jS1D_jS1E_S1E_jjS1G_bEUljE0_EEESZ_S10_S11_S18_S1C_S1E_T6_T7_T9_mT8_S1G_bDpT10_ENKUlT_T0_E_clISt17integral_constantIbLb1EES1T_IbLb0EEEEDaS1P_S1Q_EUlS1P_E_NS1_11comp_targetILNS1_3genE2ELNS1_11target_archE906ELNS1_3gpuE6ELNS1_3repE0EEENS1_30default_config_static_selectorELNS0_4arch9wavefront6targetE1EEEvS12_,"axG",@progbits,_ZN7rocprim17ROCPRIM_400000_NS6detail17trampoline_kernelINS0_13select_configILj256ELj13ELNS0_17block_load_methodE3ELS4_3ELS4_3ELNS0_20block_scan_algorithmE0ELj4294967295EEENS1_25partition_config_selectorILNS1_17partition_subalgoE4EjNS0_10empty_typeEbEEZZNS1_14partition_implILS8_4ELb0ES6_15HIP_vector_typeIjLj2EENS0_17counting_iteratorIjlEEPS9_SG_NS0_5tupleIJPjSI_NS0_16reverse_iteratorISI_EEEEENSH_IJSG_SG_SG_EEES9_SI_JZNS1_25segmented_radix_sort_implINS0_14default_configELb0EPKbPbPKlPlN2at6native12_GLOBAL__N_18offset_tEEE10hipError_tPvRmT1_PNSt15iterator_traitsIS12_E10value_typeET2_T3_PNS13_IS18_E10value_typeET4_jRbjT5_S1E_jjP12ihipStream_tbEUljE_ZNSN_ISO_Lb0ESQ_SR_ST_SU_SY_EESZ_S10_S11_S12_S16_S17_S18_S1B_S1C_jS1D_jS1E_S1E_jjS1G_bEUljE0_EEESZ_S10_S11_S18_S1C_S1E_T6_T7_T9_mT8_S1G_bDpT10_ENKUlT_T0_E_clISt17integral_constantIbLb1EES1T_IbLb0EEEEDaS1P_S1Q_EUlS1P_E_NS1_11comp_targetILNS1_3genE2ELNS1_11target_archE906ELNS1_3gpuE6ELNS1_3repE0EEENS1_30default_config_static_selectorELNS0_4arch9wavefront6targetE1EEEvS12_,comdat
	.globl	_ZN7rocprim17ROCPRIM_400000_NS6detail17trampoline_kernelINS0_13select_configILj256ELj13ELNS0_17block_load_methodE3ELS4_3ELS4_3ELNS0_20block_scan_algorithmE0ELj4294967295EEENS1_25partition_config_selectorILNS1_17partition_subalgoE4EjNS0_10empty_typeEbEEZZNS1_14partition_implILS8_4ELb0ES6_15HIP_vector_typeIjLj2EENS0_17counting_iteratorIjlEEPS9_SG_NS0_5tupleIJPjSI_NS0_16reverse_iteratorISI_EEEEENSH_IJSG_SG_SG_EEES9_SI_JZNS1_25segmented_radix_sort_implINS0_14default_configELb0EPKbPbPKlPlN2at6native12_GLOBAL__N_18offset_tEEE10hipError_tPvRmT1_PNSt15iterator_traitsIS12_E10value_typeET2_T3_PNS13_IS18_E10value_typeET4_jRbjT5_S1E_jjP12ihipStream_tbEUljE_ZNSN_ISO_Lb0ESQ_SR_ST_SU_SY_EESZ_S10_S11_S12_S16_S17_S18_S1B_S1C_jS1D_jS1E_S1E_jjS1G_bEUljE0_EEESZ_S10_S11_S18_S1C_S1E_T6_T7_T9_mT8_S1G_bDpT10_ENKUlT_T0_E_clISt17integral_constantIbLb1EES1T_IbLb0EEEEDaS1P_S1Q_EUlS1P_E_NS1_11comp_targetILNS1_3genE2ELNS1_11target_archE906ELNS1_3gpuE6ELNS1_3repE0EEENS1_30default_config_static_selectorELNS0_4arch9wavefront6targetE1EEEvS12_ ; -- Begin function _ZN7rocprim17ROCPRIM_400000_NS6detail17trampoline_kernelINS0_13select_configILj256ELj13ELNS0_17block_load_methodE3ELS4_3ELS4_3ELNS0_20block_scan_algorithmE0ELj4294967295EEENS1_25partition_config_selectorILNS1_17partition_subalgoE4EjNS0_10empty_typeEbEEZZNS1_14partition_implILS8_4ELb0ES6_15HIP_vector_typeIjLj2EENS0_17counting_iteratorIjlEEPS9_SG_NS0_5tupleIJPjSI_NS0_16reverse_iteratorISI_EEEEENSH_IJSG_SG_SG_EEES9_SI_JZNS1_25segmented_radix_sort_implINS0_14default_configELb0EPKbPbPKlPlN2at6native12_GLOBAL__N_18offset_tEEE10hipError_tPvRmT1_PNSt15iterator_traitsIS12_E10value_typeET2_T3_PNS13_IS18_E10value_typeET4_jRbjT5_S1E_jjP12ihipStream_tbEUljE_ZNSN_ISO_Lb0ESQ_SR_ST_SU_SY_EESZ_S10_S11_S12_S16_S17_S18_S1B_S1C_jS1D_jS1E_S1E_jjS1G_bEUljE0_EEESZ_S10_S11_S18_S1C_S1E_T6_T7_T9_mT8_S1G_bDpT10_ENKUlT_T0_E_clISt17integral_constantIbLb1EES1T_IbLb0EEEEDaS1P_S1Q_EUlS1P_E_NS1_11comp_targetILNS1_3genE2ELNS1_11target_archE906ELNS1_3gpuE6ELNS1_3repE0EEENS1_30default_config_static_selectorELNS0_4arch9wavefront6targetE1EEEvS12_
	.p2align	8
	.type	_ZN7rocprim17ROCPRIM_400000_NS6detail17trampoline_kernelINS0_13select_configILj256ELj13ELNS0_17block_load_methodE3ELS4_3ELS4_3ELNS0_20block_scan_algorithmE0ELj4294967295EEENS1_25partition_config_selectorILNS1_17partition_subalgoE4EjNS0_10empty_typeEbEEZZNS1_14partition_implILS8_4ELb0ES6_15HIP_vector_typeIjLj2EENS0_17counting_iteratorIjlEEPS9_SG_NS0_5tupleIJPjSI_NS0_16reverse_iteratorISI_EEEEENSH_IJSG_SG_SG_EEES9_SI_JZNS1_25segmented_radix_sort_implINS0_14default_configELb0EPKbPbPKlPlN2at6native12_GLOBAL__N_18offset_tEEE10hipError_tPvRmT1_PNSt15iterator_traitsIS12_E10value_typeET2_T3_PNS13_IS18_E10value_typeET4_jRbjT5_S1E_jjP12ihipStream_tbEUljE_ZNSN_ISO_Lb0ESQ_SR_ST_SU_SY_EESZ_S10_S11_S12_S16_S17_S18_S1B_S1C_jS1D_jS1E_S1E_jjS1G_bEUljE0_EEESZ_S10_S11_S18_S1C_S1E_T6_T7_T9_mT8_S1G_bDpT10_ENKUlT_T0_E_clISt17integral_constantIbLb1EES1T_IbLb0EEEEDaS1P_S1Q_EUlS1P_E_NS1_11comp_targetILNS1_3genE2ELNS1_11target_archE906ELNS1_3gpuE6ELNS1_3repE0EEENS1_30default_config_static_selectorELNS0_4arch9wavefront6targetE1EEEvS12_,@function
_ZN7rocprim17ROCPRIM_400000_NS6detail17trampoline_kernelINS0_13select_configILj256ELj13ELNS0_17block_load_methodE3ELS4_3ELS4_3ELNS0_20block_scan_algorithmE0ELj4294967295EEENS1_25partition_config_selectorILNS1_17partition_subalgoE4EjNS0_10empty_typeEbEEZZNS1_14partition_implILS8_4ELb0ES6_15HIP_vector_typeIjLj2EENS0_17counting_iteratorIjlEEPS9_SG_NS0_5tupleIJPjSI_NS0_16reverse_iteratorISI_EEEEENSH_IJSG_SG_SG_EEES9_SI_JZNS1_25segmented_radix_sort_implINS0_14default_configELb0EPKbPbPKlPlN2at6native12_GLOBAL__N_18offset_tEEE10hipError_tPvRmT1_PNSt15iterator_traitsIS12_E10value_typeET2_T3_PNS13_IS18_E10value_typeET4_jRbjT5_S1E_jjP12ihipStream_tbEUljE_ZNSN_ISO_Lb0ESQ_SR_ST_SU_SY_EESZ_S10_S11_S12_S16_S17_S18_S1B_S1C_jS1D_jS1E_S1E_jjS1G_bEUljE0_EEESZ_S10_S11_S18_S1C_S1E_T6_T7_T9_mT8_S1G_bDpT10_ENKUlT_T0_E_clISt17integral_constantIbLb1EES1T_IbLb0EEEEDaS1P_S1Q_EUlS1P_E_NS1_11comp_targetILNS1_3genE2ELNS1_11target_archE906ELNS1_3gpuE6ELNS1_3repE0EEENS1_30default_config_static_selectorELNS0_4arch9wavefront6targetE1EEEvS12_: ; @_ZN7rocprim17ROCPRIM_400000_NS6detail17trampoline_kernelINS0_13select_configILj256ELj13ELNS0_17block_load_methodE3ELS4_3ELS4_3ELNS0_20block_scan_algorithmE0ELj4294967295EEENS1_25partition_config_selectorILNS1_17partition_subalgoE4EjNS0_10empty_typeEbEEZZNS1_14partition_implILS8_4ELb0ES6_15HIP_vector_typeIjLj2EENS0_17counting_iteratorIjlEEPS9_SG_NS0_5tupleIJPjSI_NS0_16reverse_iteratorISI_EEEEENSH_IJSG_SG_SG_EEES9_SI_JZNS1_25segmented_radix_sort_implINS0_14default_configELb0EPKbPbPKlPlN2at6native12_GLOBAL__N_18offset_tEEE10hipError_tPvRmT1_PNSt15iterator_traitsIS12_E10value_typeET2_T3_PNS13_IS18_E10value_typeET4_jRbjT5_S1E_jjP12ihipStream_tbEUljE_ZNSN_ISO_Lb0ESQ_SR_ST_SU_SY_EESZ_S10_S11_S12_S16_S17_S18_S1B_S1C_jS1D_jS1E_S1E_jjS1G_bEUljE0_EEESZ_S10_S11_S18_S1C_S1E_T6_T7_T9_mT8_S1G_bDpT10_ENKUlT_T0_E_clISt17integral_constantIbLb1EES1T_IbLb0EEEEDaS1P_S1Q_EUlS1P_E_NS1_11comp_targetILNS1_3genE2ELNS1_11target_archE906ELNS1_3gpuE6ELNS1_3repE0EEENS1_30default_config_static_selectorELNS0_4arch9wavefront6targetE1EEEvS12_
; %bb.0:
	.section	.rodata,"a",@progbits
	.p2align	6, 0x0
	.amdhsa_kernel _ZN7rocprim17ROCPRIM_400000_NS6detail17trampoline_kernelINS0_13select_configILj256ELj13ELNS0_17block_load_methodE3ELS4_3ELS4_3ELNS0_20block_scan_algorithmE0ELj4294967295EEENS1_25partition_config_selectorILNS1_17partition_subalgoE4EjNS0_10empty_typeEbEEZZNS1_14partition_implILS8_4ELb0ES6_15HIP_vector_typeIjLj2EENS0_17counting_iteratorIjlEEPS9_SG_NS0_5tupleIJPjSI_NS0_16reverse_iteratorISI_EEEEENSH_IJSG_SG_SG_EEES9_SI_JZNS1_25segmented_radix_sort_implINS0_14default_configELb0EPKbPbPKlPlN2at6native12_GLOBAL__N_18offset_tEEE10hipError_tPvRmT1_PNSt15iterator_traitsIS12_E10value_typeET2_T3_PNS13_IS18_E10value_typeET4_jRbjT5_S1E_jjP12ihipStream_tbEUljE_ZNSN_ISO_Lb0ESQ_SR_ST_SU_SY_EESZ_S10_S11_S12_S16_S17_S18_S1B_S1C_jS1D_jS1E_S1E_jjS1G_bEUljE0_EEESZ_S10_S11_S18_S1C_S1E_T6_T7_T9_mT8_S1G_bDpT10_ENKUlT_T0_E_clISt17integral_constantIbLb1EES1T_IbLb0EEEEDaS1P_S1Q_EUlS1P_E_NS1_11comp_targetILNS1_3genE2ELNS1_11target_archE906ELNS1_3gpuE6ELNS1_3repE0EEENS1_30default_config_static_selectorELNS0_4arch9wavefront6targetE1EEEvS12_
		.amdhsa_group_segment_fixed_size 0
		.amdhsa_private_segment_fixed_size 0
		.amdhsa_kernarg_size 176
		.amdhsa_user_sgpr_count 6
		.amdhsa_user_sgpr_private_segment_buffer 1
		.amdhsa_user_sgpr_dispatch_ptr 0
		.amdhsa_user_sgpr_queue_ptr 0
		.amdhsa_user_sgpr_kernarg_segment_ptr 1
		.amdhsa_user_sgpr_dispatch_id 0
		.amdhsa_user_sgpr_flat_scratch_init 0
		.amdhsa_user_sgpr_kernarg_preload_length 0
		.amdhsa_user_sgpr_kernarg_preload_offset 0
		.amdhsa_user_sgpr_private_segment_size 0
		.amdhsa_uses_dynamic_stack 0
		.amdhsa_system_sgpr_private_segment_wavefront_offset 0
		.amdhsa_system_sgpr_workgroup_id_x 1
		.amdhsa_system_sgpr_workgroup_id_y 0
		.amdhsa_system_sgpr_workgroup_id_z 0
		.amdhsa_system_sgpr_workgroup_info 0
		.amdhsa_system_vgpr_workitem_id 0
		.amdhsa_next_free_vgpr 1
		.amdhsa_next_free_sgpr 0
		.amdhsa_accum_offset 4
		.amdhsa_reserve_vcc 0
		.amdhsa_reserve_flat_scratch 0
		.amdhsa_float_round_mode_32 0
		.amdhsa_float_round_mode_16_64 0
		.amdhsa_float_denorm_mode_32 3
		.amdhsa_float_denorm_mode_16_64 3
		.amdhsa_dx10_clamp 1
		.amdhsa_ieee_mode 1
		.amdhsa_fp16_overflow 0
		.amdhsa_tg_split 0
		.amdhsa_exception_fp_ieee_invalid_op 0
		.amdhsa_exception_fp_denorm_src 0
		.amdhsa_exception_fp_ieee_div_zero 0
		.amdhsa_exception_fp_ieee_overflow 0
		.amdhsa_exception_fp_ieee_underflow 0
		.amdhsa_exception_fp_ieee_inexact 0
		.amdhsa_exception_int_div_zero 0
	.end_amdhsa_kernel
	.section	.text._ZN7rocprim17ROCPRIM_400000_NS6detail17trampoline_kernelINS0_13select_configILj256ELj13ELNS0_17block_load_methodE3ELS4_3ELS4_3ELNS0_20block_scan_algorithmE0ELj4294967295EEENS1_25partition_config_selectorILNS1_17partition_subalgoE4EjNS0_10empty_typeEbEEZZNS1_14partition_implILS8_4ELb0ES6_15HIP_vector_typeIjLj2EENS0_17counting_iteratorIjlEEPS9_SG_NS0_5tupleIJPjSI_NS0_16reverse_iteratorISI_EEEEENSH_IJSG_SG_SG_EEES9_SI_JZNS1_25segmented_radix_sort_implINS0_14default_configELb0EPKbPbPKlPlN2at6native12_GLOBAL__N_18offset_tEEE10hipError_tPvRmT1_PNSt15iterator_traitsIS12_E10value_typeET2_T3_PNS13_IS18_E10value_typeET4_jRbjT5_S1E_jjP12ihipStream_tbEUljE_ZNSN_ISO_Lb0ESQ_SR_ST_SU_SY_EESZ_S10_S11_S12_S16_S17_S18_S1B_S1C_jS1D_jS1E_S1E_jjS1G_bEUljE0_EEESZ_S10_S11_S18_S1C_S1E_T6_T7_T9_mT8_S1G_bDpT10_ENKUlT_T0_E_clISt17integral_constantIbLb1EES1T_IbLb0EEEEDaS1P_S1Q_EUlS1P_E_NS1_11comp_targetILNS1_3genE2ELNS1_11target_archE906ELNS1_3gpuE6ELNS1_3repE0EEENS1_30default_config_static_selectorELNS0_4arch9wavefront6targetE1EEEvS12_,"axG",@progbits,_ZN7rocprim17ROCPRIM_400000_NS6detail17trampoline_kernelINS0_13select_configILj256ELj13ELNS0_17block_load_methodE3ELS4_3ELS4_3ELNS0_20block_scan_algorithmE0ELj4294967295EEENS1_25partition_config_selectorILNS1_17partition_subalgoE4EjNS0_10empty_typeEbEEZZNS1_14partition_implILS8_4ELb0ES6_15HIP_vector_typeIjLj2EENS0_17counting_iteratorIjlEEPS9_SG_NS0_5tupleIJPjSI_NS0_16reverse_iteratorISI_EEEEENSH_IJSG_SG_SG_EEES9_SI_JZNS1_25segmented_radix_sort_implINS0_14default_configELb0EPKbPbPKlPlN2at6native12_GLOBAL__N_18offset_tEEE10hipError_tPvRmT1_PNSt15iterator_traitsIS12_E10value_typeET2_T3_PNS13_IS18_E10value_typeET4_jRbjT5_S1E_jjP12ihipStream_tbEUljE_ZNSN_ISO_Lb0ESQ_SR_ST_SU_SY_EESZ_S10_S11_S12_S16_S17_S18_S1B_S1C_jS1D_jS1E_S1E_jjS1G_bEUljE0_EEESZ_S10_S11_S18_S1C_S1E_T6_T7_T9_mT8_S1G_bDpT10_ENKUlT_T0_E_clISt17integral_constantIbLb1EES1T_IbLb0EEEEDaS1P_S1Q_EUlS1P_E_NS1_11comp_targetILNS1_3genE2ELNS1_11target_archE906ELNS1_3gpuE6ELNS1_3repE0EEENS1_30default_config_static_selectorELNS0_4arch9wavefront6targetE1EEEvS12_,comdat
.Lfunc_end1589:
	.size	_ZN7rocprim17ROCPRIM_400000_NS6detail17trampoline_kernelINS0_13select_configILj256ELj13ELNS0_17block_load_methodE3ELS4_3ELS4_3ELNS0_20block_scan_algorithmE0ELj4294967295EEENS1_25partition_config_selectorILNS1_17partition_subalgoE4EjNS0_10empty_typeEbEEZZNS1_14partition_implILS8_4ELb0ES6_15HIP_vector_typeIjLj2EENS0_17counting_iteratorIjlEEPS9_SG_NS0_5tupleIJPjSI_NS0_16reverse_iteratorISI_EEEEENSH_IJSG_SG_SG_EEES9_SI_JZNS1_25segmented_radix_sort_implINS0_14default_configELb0EPKbPbPKlPlN2at6native12_GLOBAL__N_18offset_tEEE10hipError_tPvRmT1_PNSt15iterator_traitsIS12_E10value_typeET2_T3_PNS13_IS18_E10value_typeET4_jRbjT5_S1E_jjP12ihipStream_tbEUljE_ZNSN_ISO_Lb0ESQ_SR_ST_SU_SY_EESZ_S10_S11_S12_S16_S17_S18_S1B_S1C_jS1D_jS1E_S1E_jjS1G_bEUljE0_EEESZ_S10_S11_S18_S1C_S1E_T6_T7_T9_mT8_S1G_bDpT10_ENKUlT_T0_E_clISt17integral_constantIbLb1EES1T_IbLb0EEEEDaS1P_S1Q_EUlS1P_E_NS1_11comp_targetILNS1_3genE2ELNS1_11target_archE906ELNS1_3gpuE6ELNS1_3repE0EEENS1_30default_config_static_selectorELNS0_4arch9wavefront6targetE1EEEvS12_, .Lfunc_end1589-_ZN7rocprim17ROCPRIM_400000_NS6detail17trampoline_kernelINS0_13select_configILj256ELj13ELNS0_17block_load_methodE3ELS4_3ELS4_3ELNS0_20block_scan_algorithmE0ELj4294967295EEENS1_25partition_config_selectorILNS1_17partition_subalgoE4EjNS0_10empty_typeEbEEZZNS1_14partition_implILS8_4ELb0ES6_15HIP_vector_typeIjLj2EENS0_17counting_iteratorIjlEEPS9_SG_NS0_5tupleIJPjSI_NS0_16reverse_iteratorISI_EEEEENSH_IJSG_SG_SG_EEES9_SI_JZNS1_25segmented_radix_sort_implINS0_14default_configELb0EPKbPbPKlPlN2at6native12_GLOBAL__N_18offset_tEEE10hipError_tPvRmT1_PNSt15iterator_traitsIS12_E10value_typeET2_T3_PNS13_IS18_E10value_typeET4_jRbjT5_S1E_jjP12ihipStream_tbEUljE_ZNSN_ISO_Lb0ESQ_SR_ST_SU_SY_EESZ_S10_S11_S12_S16_S17_S18_S1B_S1C_jS1D_jS1E_S1E_jjS1G_bEUljE0_EEESZ_S10_S11_S18_S1C_S1E_T6_T7_T9_mT8_S1G_bDpT10_ENKUlT_T0_E_clISt17integral_constantIbLb1EES1T_IbLb0EEEEDaS1P_S1Q_EUlS1P_E_NS1_11comp_targetILNS1_3genE2ELNS1_11target_archE906ELNS1_3gpuE6ELNS1_3repE0EEENS1_30default_config_static_selectorELNS0_4arch9wavefront6targetE1EEEvS12_
                                        ; -- End function
	.section	.AMDGPU.csdata,"",@progbits
; Kernel info:
; codeLenInByte = 0
; NumSgprs: 4
; NumVgprs: 0
; NumAgprs: 0
; TotalNumVgprs: 0
; ScratchSize: 0
; MemoryBound: 0
; FloatMode: 240
; IeeeMode: 1
; LDSByteSize: 0 bytes/workgroup (compile time only)
; SGPRBlocks: 0
; VGPRBlocks: 0
; NumSGPRsForWavesPerEU: 4
; NumVGPRsForWavesPerEU: 1
; AccumOffset: 4
; Occupancy: 8
; WaveLimiterHint : 0
; COMPUTE_PGM_RSRC2:SCRATCH_EN: 0
; COMPUTE_PGM_RSRC2:USER_SGPR: 6
; COMPUTE_PGM_RSRC2:TRAP_HANDLER: 0
; COMPUTE_PGM_RSRC2:TGID_X_EN: 1
; COMPUTE_PGM_RSRC2:TGID_Y_EN: 0
; COMPUTE_PGM_RSRC2:TGID_Z_EN: 0
; COMPUTE_PGM_RSRC2:TIDIG_COMP_CNT: 0
; COMPUTE_PGM_RSRC3_GFX90A:ACCUM_OFFSET: 0
; COMPUTE_PGM_RSRC3_GFX90A:TG_SPLIT: 0
	.section	.text._ZN7rocprim17ROCPRIM_400000_NS6detail17trampoline_kernelINS0_13select_configILj256ELj13ELNS0_17block_load_methodE3ELS4_3ELS4_3ELNS0_20block_scan_algorithmE0ELj4294967295EEENS1_25partition_config_selectorILNS1_17partition_subalgoE4EjNS0_10empty_typeEbEEZZNS1_14partition_implILS8_4ELb0ES6_15HIP_vector_typeIjLj2EENS0_17counting_iteratorIjlEEPS9_SG_NS0_5tupleIJPjSI_NS0_16reverse_iteratorISI_EEEEENSH_IJSG_SG_SG_EEES9_SI_JZNS1_25segmented_radix_sort_implINS0_14default_configELb0EPKbPbPKlPlN2at6native12_GLOBAL__N_18offset_tEEE10hipError_tPvRmT1_PNSt15iterator_traitsIS12_E10value_typeET2_T3_PNS13_IS18_E10value_typeET4_jRbjT5_S1E_jjP12ihipStream_tbEUljE_ZNSN_ISO_Lb0ESQ_SR_ST_SU_SY_EESZ_S10_S11_S12_S16_S17_S18_S1B_S1C_jS1D_jS1E_S1E_jjS1G_bEUljE0_EEESZ_S10_S11_S18_S1C_S1E_T6_T7_T9_mT8_S1G_bDpT10_ENKUlT_T0_E_clISt17integral_constantIbLb1EES1T_IbLb0EEEEDaS1P_S1Q_EUlS1P_E_NS1_11comp_targetILNS1_3genE10ELNS1_11target_archE1200ELNS1_3gpuE4ELNS1_3repE0EEENS1_30default_config_static_selectorELNS0_4arch9wavefront6targetE1EEEvS12_,"axG",@progbits,_ZN7rocprim17ROCPRIM_400000_NS6detail17trampoline_kernelINS0_13select_configILj256ELj13ELNS0_17block_load_methodE3ELS4_3ELS4_3ELNS0_20block_scan_algorithmE0ELj4294967295EEENS1_25partition_config_selectorILNS1_17partition_subalgoE4EjNS0_10empty_typeEbEEZZNS1_14partition_implILS8_4ELb0ES6_15HIP_vector_typeIjLj2EENS0_17counting_iteratorIjlEEPS9_SG_NS0_5tupleIJPjSI_NS0_16reverse_iteratorISI_EEEEENSH_IJSG_SG_SG_EEES9_SI_JZNS1_25segmented_radix_sort_implINS0_14default_configELb0EPKbPbPKlPlN2at6native12_GLOBAL__N_18offset_tEEE10hipError_tPvRmT1_PNSt15iterator_traitsIS12_E10value_typeET2_T3_PNS13_IS18_E10value_typeET4_jRbjT5_S1E_jjP12ihipStream_tbEUljE_ZNSN_ISO_Lb0ESQ_SR_ST_SU_SY_EESZ_S10_S11_S12_S16_S17_S18_S1B_S1C_jS1D_jS1E_S1E_jjS1G_bEUljE0_EEESZ_S10_S11_S18_S1C_S1E_T6_T7_T9_mT8_S1G_bDpT10_ENKUlT_T0_E_clISt17integral_constantIbLb1EES1T_IbLb0EEEEDaS1P_S1Q_EUlS1P_E_NS1_11comp_targetILNS1_3genE10ELNS1_11target_archE1200ELNS1_3gpuE4ELNS1_3repE0EEENS1_30default_config_static_selectorELNS0_4arch9wavefront6targetE1EEEvS12_,comdat
	.globl	_ZN7rocprim17ROCPRIM_400000_NS6detail17trampoline_kernelINS0_13select_configILj256ELj13ELNS0_17block_load_methodE3ELS4_3ELS4_3ELNS0_20block_scan_algorithmE0ELj4294967295EEENS1_25partition_config_selectorILNS1_17partition_subalgoE4EjNS0_10empty_typeEbEEZZNS1_14partition_implILS8_4ELb0ES6_15HIP_vector_typeIjLj2EENS0_17counting_iteratorIjlEEPS9_SG_NS0_5tupleIJPjSI_NS0_16reverse_iteratorISI_EEEEENSH_IJSG_SG_SG_EEES9_SI_JZNS1_25segmented_radix_sort_implINS0_14default_configELb0EPKbPbPKlPlN2at6native12_GLOBAL__N_18offset_tEEE10hipError_tPvRmT1_PNSt15iterator_traitsIS12_E10value_typeET2_T3_PNS13_IS18_E10value_typeET4_jRbjT5_S1E_jjP12ihipStream_tbEUljE_ZNSN_ISO_Lb0ESQ_SR_ST_SU_SY_EESZ_S10_S11_S12_S16_S17_S18_S1B_S1C_jS1D_jS1E_S1E_jjS1G_bEUljE0_EEESZ_S10_S11_S18_S1C_S1E_T6_T7_T9_mT8_S1G_bDpT10_ENKUlT_T0_E_clISt17integral_constantIbLb1EES1T_IbLb0EEEEDaS1P_S1Q_EUlS1P_E_NS1_11comp_targetILNS1_3genE10ELNS1_11target_archE1200ELNS1_3gpuE4ELNS1_3repE0EEENS1_30default_config_static_selectorELNS0_4arch9wavefront6targetE1EEEvS12_ ; -- Begin function _ZN7rocprim17ROCPRIM_400000_NS6detail17trampoline_kernelINS0_13select_configILj256ELj13ELNS0_17block_load_methodE3ELS4_3ELS4_3ELNS0_20block_scan_algorithmE0ELj4294967295EEENS1_25partition_config_selectorILNS1_17partition_subalgoE4EjNS0_10empty_typeEbEEZZNS1_14partition_implILS8_4ELb0ES6_15HIP_vector_typeIjLj2EENS0_17counting_iteratorIjlEEPS9_SG_NS0_5tupleIJPjSI_NS0_16reverse_iteratorISI_EEEEENSH_IJSG_SG_SG_EEES9_SI_JZNS1_25segmented_radix_sort_implINS0_14default_configELb0EPKbPbPKlPlN2at6native12_GLOBAL__N_18offset_tEEE10hipError_tPvRmT1_PNSt15iterator_traitsIS12_E10value_typeET2_T3_PNS13_IS18_E10value_typeET4_jRbjT5_S1E_jjP12ihipStream_tbEUljE_ZNSN_ISO_Lb0ESQ_SR_ST_SU_SY_EESZ_S10_S11_S12_S16_S17_S18_S1B_S1C_jS1D_jS1E_S1E_jjS1G_bEUljE0_EEESZ_S10_S11_S18_S1C_S1E_T6_T7_T9_mT8_S1G_bDpT10_ENKUlT_T0_E_clISt17integral_constantIbLb1EES1T_IbLb0EEEEDaS1P_S1Q_EUlS1P_E_NS1_11comp_targetILNS1_3genE10ELNS1_11target_archE1200ELNS1_3gpuE4ELNS1_3repE0EEENS1_30default_config_static_selectorELNS0_4arch9wavefront6targetE1EEEvS12_
	.p2align	8
	.type	_ZN7rocprim17ROCPRIM_400000_NS6detail17trampoline_kernelINS0_13select_configILj256ELj13ELNS0_17block_load_methodE3ELS4_3ELS4_3ELNS0_20block_scan_algorithmE0ELj4294967295EEENS1_25partition_config_selectorILNS1_17partition_subalgoE4EjNS0_10empty_typeEbEEZZNS1_14partition_implILS8_4ELb0ES6_15HIP_vector_typeIjLj2EENS0_17counting_iteratorIjlEEPS9_SG_NS0_5tupleIJPjSI_NS0_16reverse_iteratorISI_EEEEENSH_IJSG_SG_SG_EEES9_SI_JZNS1_25segmented_radix_sort_implINS0_14default_configELb0EPKbPbPKlPlN2at6native12_GLOBAL__N_18offset_tEEE10hipError_tPvRmT1_PNSt15iterator_traitsIS12_E10value_typeET2_T3_PNS13_IS18_E10value_typeET4_jRbjT5_S1E_jjP12ihipStream_tbEUljE_ZNSN_ISO_Lb0ESQ_SR_ST_SU_SY_EESZ_S10_S11_S12_S16_S17_S18_S1B_S1C_jS1D_jS1E_S1E_jjS1G_bEUljE0_EEESZ_S10_S11_S18_S1C_S1E_T6_T7_T9_mT8_S1G_bDpT10_ENKUlT_T0_E_clISt17integral_constantIbLb1EES1T_IbLb0EEEEDaS1P_S1Q_EUlS1P_E_NS1_11comp_targetILNS1_3genE10ELNS1_11target_archE1200ELNS1_3gpuE4ELNS1_3repE0EEENS1_30default_config_static_selectorELNS0_4arch9wavefront6targetE1EEEvS12_,@function
_ZN7rocprim17ROCPRIM_400000_NS6detail17trampoline_kernelINS0_13select_configILj256ELj13ELNS0_17block_load_methodE3ELS4_3ELS4_3ELNS0_20block_scan_algorithmE0ELj4294967295EEENS1_25partition_config_selectorILNS1_17partition_subalgoE4EjNS0_10empty_typeEbEEZZNS1_14partition_implILS8_4ELb0ES6_15HIP_vector_typeIjLj2EENS0_17counting_iteratorIjlEEPS9_SG_NS0_5tupleIJPjSI_NS0_16reverse_iteratorISI_EEEEENSH_IJSG_SG_SG_EEES9_SI_JZNS1_25segmented_radix_sort_implINS0_14default_configELb0EPKbPbPKlPlN2at6native12_GLOBAL__N_18offset_tEEE10hipError_tPvRmT1_PNSt15iterator_traitsIS12_E10value_typeET2_T3_PNS13_IS18_E10value_typeET4_jRbjT5_S1E_jjP12ihipStream_tbEUljE_ZNSN_ISO_Lb0ESQ_SR_ST_SU_SY_EESZ_S10_S11_S12_S16_S17_S18_S1B_S1C_jS1D_jS1E_S1E_jjS1G_bEUljE0_EEESZ_S10_S11_S18_S1C_S1E_T6_T7_T9_mT8_S1G_bDpT10_ENKUlT_T0_E_clISt17integral_constantIbLb1EES1T_IbLb0EEEEDaS1P_S1Q_EUlS1P_E_NS1_11comp_targetILNS1_3genE10ELNS1_11target_archE1200ELNS1_3gpuE4ELNS1_3repE0EEENS1_30default_config_static_selectorELNS0_4arch9wavefront6targetE1EEEvS12_: ; @_ZN7rocprim17ROCPRIM_400000_NS6detail17trampoline_kernelINS0_13select_configILj256ELj13ELNS0_17block_load_methodE3ELS4_3ELS4_3ELNS0_20block_scan_algorithmE0ELj4294967295EEENS1_25partition_config_selectorILNS1_17partition_subalgoE4EjNS0_10empty_typeEbEEZZNS1_14partition_implILS8_4ELb0ES6_15HIP_vector_typeIjLj2EENS0_17counting_iteratorIjlEEPS9_SG_NS0_5tupleIJPjSI_NS0_16reverse_iteratorISI_EEEEENSH_IJSG_SG_SG_EEES9_SI_JZNS1_25segmented_radix_sort_implINS0_14default_configELb0EPKbPbPKlPlN2at6native12_GLOBAL__N_18offset_tEEE10hipError_tPvRmT1_PNSt15iterator_traitsIS12_E10value_typeET2_T3_PNS13_IS18_E10value_typeET4_jRbjT5_S1E_jjP12ihipStream_tbEUljE_ZNSN_ISO_Lb0ESQ_SR_ST_SU_SY_EESZ_S10_S11_S12_S16_S17_S18_S1B_S1C_jS1D_jS1E_S1E_jjS1G_bEUljE0_EEESZ_S10_S11_S18_S1C_S1E_T6_T7_T9_mT8_S1G_bDpT10_ENKUlT_T0_E_clISt17integral_constantIbLb1EES1T_IbLb0EEEEDaS1P_S1Q_EUlS1P_E_NS1_11comp_targetILNS1_3genE10ELNS1_11target_archE1200ELNS1_3gpuE4ELNS1_3repE0EEENS1_30default_config_static_selectorELNS0_4arch9wavefront6targetE1EEEvS12_
; %bb.0:
	.section	.rodata,"a",@progbits
	.p2align	6, 0x0
	.amdhsa_kernel _ZN7rocprim17ROCPRIM_400000_NS6detail17trampoline_kernelINS0_13select_configILj256ELj13ELNS0_17block_load_methodE3ELS4_3ELS4_3ELNS0_20block_scan_algorithmE0ELj4294967295EEENS1_25partition_config_selectorILNS1_17partition_subalgoE4EjNS0_10empty_typeEbEEZZNS1_14partition_implILS8_4ELb0ES6_15HIP_vector_typeIjLj2EENS0_17counting_iteratorIjlEEPS9_SG_NS0_5tupleIJPjSI_NS0_16reverse_iteratorISI_EEEEENSH_IJSG_SG_SG_EEES9_SI_JZNS1_25segmented_radix_sort_implINS0_14default_configELb0EPKbPbPKlPlN2at6native12_GLOBAL__N_18offset_tEEE10hipError_tPvRmT1_PNSt15iterator_traitsIS12_E10value_typeET2_T3_PNS13_IS18_E10value_typeET4_jRbjT5_S1E_jjP12ihipStream_tbEUljE_ZNSN_ISO_Lb0ESQ_SR_ST_SU_SY_EESZ_S10_S11_S12_S16_S17_S18_S1B_S1C_jS1D_jS1E_S1E_jjS1G_bEUljE0_EEESZ_S10_S11_S18_S1C_S1E_T6_T7_T9_mT8_S1G_bDpT10_ENKUlT_T0_E_clISt17integral_constantIbLb1EES1T_IbLb0EEEEDaS1P_S1Q_EUlS1P_E_NS1_11comp_targetILNS1_3genE10ELNS1_11target_archE1200ELNS1_3gpuE4ELNS1_3repE0EEENS1_30default_config_static_selectorELNS0_4arch9wavefront6targetE1EEEvS12_
		.amdhsa_group_segment_fixed_size 0
		.amdhsa_private_segment_fixed_size 0
		.amdhsa_kernarg_size 176
		.amdhsa_user_sgpr_count 6
		.amdhsa_user_sgpr_private_segment_buffer 1
		.amdhsa_user_sgpr_dispatch_ptr 0
		.amdhsa_user_sgpr_queue_ptr 0
		.amdhsa_user_sgpr_kernarg_segment_ptr 1
		.amdhsa_user_sgpr_dispatch_id 0
		.amdhsa_user_sgpr_flat_scratch_init 0
		.amdhsa_user_sgpr_kernarg_preload_length 0
		.amdhsa_user_sgpr_kernarg_preload_offset 0
		.amdhsa_user_sgpr_private_segment_size 0
		.amdhsa_uses_dynamic_stack 0
		.amdhsa_system_sgpr_private_segment_wavefront_offset 0
		.amdhsa_system_sgpr_workgroup_id_x 1
		.amdhsa_system_sgpr_workgroup_id_y 0
		.amdhsa_system_sgpr_workgroup_id_z 0
		.amdhsa_system_sgpr_workgroup_info 0
		.amdhsa_system_vgpr_workitem_id 0
		.amdhsa_next_free_vgpr 1
		.amdhsa_next_free_sgpr 0
		.amdhsa_accum_offset 4
		.amdhsa_reserve_vcc 0
		.amdhsa_reserve_flat_scratch 0
		.amdhsa_float_round_mode_32 0
		.amdhsa_float_round_mode_16_64 0
		.amdhsa_float_denorm_mode_32 3
		.amdhsa_float_denorm_mode_16_64 3
		.amdhsa_dx10_clamp 1
		.amdhsa_ieee_mode 1
		.amdhsa_fp16_overflow 0
		.amdhsa_tg_split 0
		.amdhsa_exception_fp_ieee_invalid_op 0
		.amdhsa_exception_fp_denorm_src 0
		.amdhsa_exception_fp_ieee_div_zero 0
		.amdhsa_exception_fp_ieee_overflow 0
		.amdhsa_exception_fp_ieee_underflow 0
		.amdhsa_exception_fp_ieee_inexact 0
		.amdhsa_exception_int_div_zero 0
	.end_amdhsa_kernel
	.section	.text._ZN7rocprim17ROCPRIM_400000_NS6detail17trampoline_kernelINS0_13select_configILj256ELj13ELNS0_17block_load_methodE3ELS4_3ELS4_3ELNS0_20block_scan_algorithmE0ELj4294967295EEENS1_25partition_config_selectorILNS1_17partition_subalgoE4EjNS0_10empty_typeEbEEZZNS1_14partition_implILS8_4ELb0ES6_15HIP_vector_typeIjLj2EENS0_17counting_iteratorIjlEEPS9_SG_NS0_5tupleIJPjSI_NS0_16reverse_iteratorISI_EEEEENSH_IJSG_SG_SG_EEES9_SI_JZNS1_25segmented_radix_sort_implINS0_14default_configELb0EPKbPbPKlPlN2at6native12_GLOBAL__N_18offset_tEEE10hipError_tPvRmT1_PNSt15iterator_traitsIS12_E10value_typeET2_T3_PNS13_IS18_E10value_typeET4_jRbjT5_S1E_jjP12ihipStream_tbEUljE_ZNSN_ISO_Lb0ESQ_SR_ST_SU_SY_EESZ_S10_S11_S12_S16_S17_S18_S1B_S1C_jS1D_jS1E_S1E_jjS1G_bEUljE0_EEESZ_S10_S11_S18_S1C_S1E_T6_T7_T9_mT8_S1G_bDpT10_ENKUlT_T0_E_clISt17integral_constantIbLb1EES1T_IbLb0EEEEDaS1P_S1Q_EUlS1P_E_NS1_11comp_targetILNS1_3genE10ELNS1_11target_archE1200ELNS1_3gpuE4ELNS1_3repE0EEENS1_30default_config_static_selectorELNS0_4arch9wavefront6targetE1EEEvS12_,"axG",@progbits,_ZN7rocprim17ROCPRIM_400000_NS6detail17trampoline_kernelINS0_13select_configILj256ELj13ELNS0_17block_load_methodE3ELS4_3ELS4_3ELNS0_20block_scan_algorithmE0ELj4294967295EEENS1_25partition_config_selectorILNS1_17partition_subalgoE4EjNS0_10empty_typeEbEEZZNS1_14partition_implILS8_4ELb0ES6_15HIP_vector_typeIjLj2EENS0_17counting_iteratorIjlEEPS9_SG_NS0_5tupleIJPjSI_NS0_16reverse_iteratorISI_EEEEENSH_IJSG_SG_SG_EEES9_SI_JZNS1_25segmented_radix_sort_implINS0_14default_configELb0EPKbPbPKlPlN2at6native12_GLOBAL__N_18offset_tEEE10hipError_tPvRmT1_PNSt15iterator_traitsIS12_E10value_typeET2_T3_PNS13_IS18_E10value_typeET4_jRbjT5_S1E_jjP12ihipStream_tbEUljE_ZNSN_ISO_Lb0ESQ_SR_ST_SU_SY_EESZ_S10_S11_S12_S16_S17_S18_S1B_S1C_jS1D_jS1E_S1E_jjS1G_bEUljE0_EEESZ_S10_S11_S18_S1C_S1E_T6_T7_T9_mT8_S1G_bDpT10_ENKUlT_T0_E_clISt17integral_constantIbLb1EES1T_IbLb0EEEEDaS1P_S1Q_EUlS1P_E_NS1_11comp_targetILNS1_3genE10ELNS1_11target_archE1200ELNS1_3gpuE4ELNS1_3repE0EEENS1_30default_config_static_selectorELNS0_4arch9wavefront6targetE1EEEvS12_,comdat
.Lfunc_end1590:
	.size	_ZN7rocprim17ROCPRIM_400000_NS6detail17trampoline_kernelINS0_13select_configILj256ELj13ELNS0_17block_load_methodE3ELS4_3ELS4_3ELNS0_20block_scan_algorithmE0ELj4294967295EEENS1_25partition_config_selectorILNS1_17partition_subalgoE4EjNS0_10empty_typeEbEEZZNS1_14partition_implILS8_4ELb0ES6_15HIP_vector_typeIjLj2EENS0_17counting_iteratorIjlEEPS9_SG_NS0_5tupleIJPjSI_NS0_16reverse_iteratorISI_EEEEENSH_IJSG_SG_SG_EEES9_SI_JZNS1_25segmented_radix_sort_implINS0_14default_configELb0EPKbPbPKlPlN2at6native12_GLOBAL__N_18offset_tEEE10hipError_tPvRmT1_PNSt15iterator_traitsIS12_E10value_typeET2_T3_PNS13_IS18_E10value_typeET4_jRbjT5_S1E_jjP12ihipStream_tbEUljE_ZNSN_ISO_Lb0ESQ_SR_ST_SU_SY_EESZ_S10_S11_S12_S16_S17_S18_S1B_S1C_jS1D_jS1E_S1E_jjS1G_bEUljE0_EEESZ_S10_S11_S18_S1C_S1E_T6_T7_T9_mT8_S1G_bDpT10_ENKUlT_T0_E_clISt17integral_constantIbLb1EES1T_IbLb0EEEEDaS1P_S1Q_EUlS1P_E_NS1_11comp_targetILNS1_3genE10ELNS1_11target_archE1200ELNS1_3gpuE4ELNS1_3repE0EEENS1_30default_config_static_selectorELNS0_4arch9wavefront6targetE1EEEvS12_, .Lfunc_end1590-_ZN7rocprim17ROCPRIM_400000_NS6detail17trampoline_kernelINS0_13select_configILj256ELj13ELNS0_17block_load_methodE3ELS4_3ELS4_3ELNS0_20block_scan_algorithmE0ELj4294967295EEENS1_25partition_config_selectorILNS1_17partition_subalgoE4EjNS0_10empty_typeEbEEZZNS1_14partition_implILS8_4ELb0ES6_15HIP_vector_typeIjLj2EENS0_17counting_iteratorIjlEEPS9_SG_NS0_5tupleIJPjSI_NS0_16reverse_iteratorISI_EEEEENSH_IJSG_SG_SG_EEES9_SI_JZNS1_25segmented_radix_sort_implINS0_14default_configELb0EPKbPbPKlPlN2at6native12_GLOBAL__N_18offset_tEEE10hipError_tPvRmT1_PNSt15iterator_traitsIS12_E10value_typeET2_T3_PNS13_IS18_E10value_typeET4_jRbjT5_S1E_jjP12ihipStream_tbEUljE_ZNSN_ISO_Lb0ESQ_SR_ST_SU_SY_EESZ_S10_S11_S12_S16_S17_S18_S1B_S1C_jS1D_jS1E_S1E_jjS1G_bEUljE0_EEESZ_S10_S11_S18_S1C_S1E_T6_T7_T9_mT8_S1G_bDpT10_ENKUlT_T0_E_clISt17integral_constantIbLb1EES1T_IbLb0EEEEDaS1P_S1Q_EUlS1P_E_NS1_11comp_targetILNS1_3genE10ELNS1_11target_archE1200ELNS1_3gpuE4ELNS1_3repE0EEENS1_30default_config_static_selectorELNS0_4arch9wavefront6targetE1EEEvS12_
                                        ; -- End function
	.section	.AMDGPU.csdata,"",@progbits
; Kernel info:
; codeLenInByte = 0
; NumSgprs: 4
; NumVgprs: 0
; NumAgprs: 0
; TotalNumVgprs: 0
; ScratchSize: 0
; MemoryBound: 0
; FloatMode: 240
; IeeeMode: 1
; LDSByteSize: 0 bytes/workgroup (compile time only)
; SGPRBlocks: 0
; VGPRBlocks: 0
; NumSGPRsForWavesPerEU: 4
; NumVGPRsForWavesPerEU: 1
; AccumOffset: 4
; Occupancy: 8
; WaveLimiterHint : 0
; COMPUTE_PGM_RSRC2:SCRATCH_EN: 0
; COMPUTE_PGM_RSRC2:USER_SGPR: 6
; COMPUTE_PGM_RSRC2:TRAP_HANDLER: 0
; COMPUTE_PGM_RSRC2:TGID_X_EN: 1
; COMPUTE_PGM_RSRC2:TGID_Y_EN: 0
; COMPUTE_PGM_RSRC2:TGID_Z_EN: 0
; COMPUTE_PGM_RSRC2:TIDIG_COMP_CNT: 0
; COMPUTE_PGM_RSRC3_GFX90A:ACCUM_OFFSET: 0
; COMPUTE_PGM_RSRC3_GFX90A:TG_SPLIT: 0
	.section	.text._ZN7rocprim17ROCPRIM_400000_NS6detail17trampoline_kernelINS0_13select_configILj256ELj13ELNS0_17block_load_methodE3ELS4_3ELS4_3ELNS0_20block_scan_algorithmE0ELj4294967295EEENS1_25partition_config_selectorILNS1_17partition_subalgoE4EjNS0_10empty_typeEbEEZZNS1_14partition_implILS8_4ELb0ES6_15HIP_vector_typeIjLj2EENS0_17counting_iteratorIjlEEPS9_SG_NS0_5tupleIJPjSI_NS0_16reverse_iteratorISI_EEEEENSH_IJSG_SG_SG_EEES9_SI_JZNS1_25segmented_radix_sort_implINS0_14default_configELb0EPKbPbPKlPlN2at6native12_GLOBAL__N_18offset_tEEE10hipError_tPvRmT1_PNSt15iterator_traitsIS12_E10value_typeET2_T3_PNS13_IS18_E10value_typeET4_jRbjT5_S1E_jjP12ihipStream_tbEUljE_ZNSN_ISO_Lb0ESQ_SR_ST_SU_SY_EESZ_S10_S11_S12_S16_S17_S18_S1B_S1C_jS1D_jS1E_S1E_jjS1G_bEUljE0_EEESZ_S10_S11_S18_S1C_S1E_T6_T7_T9_mT8_S1G_bDpT10_ENKUlT_T0_E_clISt17integral_constantIbLb1EES1T_IbLb0EEEEDaS1P_S1Q_EUlS1P_E_NS1_11comp_targetILNS1_3genE9ELNS1_11target_archE1100ELNS1_3gpuE3ELNS1_3repE0EEENS1_30default_config_static_selectorELNS0_4arch9wavefront6targetE1EEEvS12_,"axG",@progbits,_ZN7rocprim17ROCPRIM_400000_NS6detail17trampoline_kernelINS0_13select_configILj256ELj13ELNS0_17block_load_methodE3ELS4_3ELS4_3ELNS0_20block_scan_algorithmE0ELj4294967295EEENS1_25partition_config_selectorILNS1_17partition_subalgoE4EjNS0_10empty_typeEbEEZZNS1_14partition_implILS8_4ELb0ES6_15HIP_vector_typeIjLj2EENS0_17counting_iteratorIjlEEPS9_SG_NS0_5tupleIJPjSI_NS0_16reverse_iteratorISI_EEEEENSH_IJSG_SG_SG_EEES9_SI_JZNS1_25segmented_radix_sort_implINS0_14default_configELb0EPKbPbPKlPlN2at6native12_GLOBAL__N_18offset_tEEE10hipError_tPvRmT1_PNSt15iterator_traitsIS12_E10value_typeET2_T3_PNS13_IS18_E10value_typeET4_jRbjT5_S1E_jjP12ihipStream_tbEUljE_ZNSN_ISO_Lb0ESQ_SR_ST_SU_SY_EESZ_S10_S11_S12_S16_S17_S18_S1B_S1C_jS1D_jS1E_S1E_jjS1G_bEUljE0_EEESZ_S10_S11_S18_S1C_S1E_T6_T7_T9_mT8_S1G_bDpT10_ENKUlT_T0_E_clISt17integral_constantIbLb1EES1T_IbLb0EEEEDaS1P_S1Q_EUlS1P_E_NS1_11comp_targetILNS1_3genE9ELNS1_11target_archE1100ELNS1_3gpuE3ELNS1_3repE0EEENS1_30default_config_static_selectorELNS0_4arch9wavefront6targetE1EEEvS12_,comdat
	.globl	_ZN7rocprim17ROCPRIM_400000_NS6detail17trampoline_kernelINS0_13select_configILj256ELj13ELNS0_17block_load_methodE3ELS4_3ELS4_3ELNS0_20block_scan_algorithmE0ELj4294967295EEENS1_25partition_config_selectorILNS1_17partition_subalgoE4EjNS0_10empty_typeEbEEZZNS1_14partition_implILS8_4ELb0ES6_15HIP_vector_typeIjLj2EENS0_17counting_iteratorIjlEEPS9_SG_NS0_5tupleIJPjSI_NS0_16reverse_iteratorISI_EEEEENSH_IJSG_SG_SG_EEES9_SI_JZNS1_25segmented_radix_sort_implINS0_14default_configELb0EPKbPbPKlPlN2at6native12_GLOBAL__N_18offset_tEEE10hipError_tPvRmT1_PNSt15iterator_traitsIS12_E10value_typeET2_T3_PNS13_IS18_E10value_typeET4_jRbjT5_S1E_jjP12ihipStream_tbEUljE_ZNSN_ISO_Lb0ESQ_SR_ST_SU_SY_EESZ_S10_S11_S12_S16_S17_S18_S1B_S1C_jS1D_jS1E_S1E_jjS1G_bEUljE0_EEESZ_S10_S11_S18_S1C_S1E_T6_T7_T9_mT8_S1G_bDpT10_ENKUlT_T0_E_clISt17integral_constantIbLb1EES1T_IbLb0EEEEDaS1P_S1Q_EUlS1P_E_NS1_11comp_targetILNS1_3genE9ELNS1_11target_archE1100ELNS1_3gpuE3ELNS1_3repE0EEENS1_30default_config_static_selectorELNS0_4arch9wavefront6targetE1EEEvS12_ ; -- Begin function _ZN7rocprim17ROCPRIM_400000_NS6detail17trampoline_kernelINS0_13select_configILj256ELj13ELNS0_17block_load_methodE3ELS4_3ELS4_3ELNS0_20block_scan_algorithmE0ELj4294967295EEENS1_25partition_config_selectorILNS1_17partition_subalgoE4EjNS0_10empty_typeEbEEZZNS1_14partition_implILS8_4ELb0ES6_15HIP_vector_typeIjLj2EENS0_17counting_iteratorIjlEEPS9_SG_NS0_5tupleIJPjSI_NS0_16reverse_iteratorISI_EEEEENSH_IJSG_SG_SG_EEES9_SI_JZNS1_25segmented_radix_sort_implINS0_14default_configELb0EPKbPbPKlPlN2at6native12_GLOBAL__N_18offset_tEEE10hipError_tPvRmT1_PNSt15iterator_traitsIS12_E10value_typeET2_T3_PNS13_IS18_E10value_typeET4_jRbjT5_S1E_jjP12ihipStream_tbEUljE_ZNSN_ISO_Lb0ESQ_SR_ST_SU_SY_EESZ_S10_S11_S12_S16_S17_S18_S1B_S1C_jS1D_jS1E_S1E_jjS1G_bEUljE0_EEESZ_S10_S11_S18_S1C_S1E_T6_T7_T9_mT8_S1G_bDpT10_ENKUlT_T0_E_clISt17integral_constantIbLb1EES1T_IbLb0EEEEDaS1P_S1Q_EUlS1P_E_NS1_11comp_targetILNS1_3genE9ELNS1_11target_archE1100ELNS1_3gpuE3ELNS1_3repE0EEENS1_30default_config_static_selectorELNS0_4arch9wavefront6targetE1EEEvS12_
	.p2align	8
	.type	_ZN7rocprim17ROCPRIM_400000_NS6detail17trampoline_kernelINS0_13select_configILj256ELj13ELNS0_17block_load_methodE3ELS4_3ELS4_3ELNS0_20block_scan_algorithmE0ELj4294967295EEENS1_25partition_config_selectorILNS1_17partition_subalgoE4EjNS0_10empty_typeEbEEZZNS1_14partition_implILS8_4ELb0ES6_15HIP_vector_typeIjLj2EENS0_17counting_iteratorIjlEEPS9_SG_NS0_5tupleIJPjSI_NS0_16reverse_iteratorISI_EEEEENSH_IJSG_SG_SG_EEES9_SI_JZNS1_25segmented_radix_sort_implINS0_14default_configELb0EPKbPbPKlPlN2at6native12_GLOBAL__N_18offset_tEEE10hipError_tPvRmT1_PNSt15iterator_traitsIS12_E10value_typeET2_T3_PNS13_IS18_E10value_typeET4_jRbjT5_S1E_jjP12ihipStream_tbEUljE_ZNSN_ISO_Lb0ESQ_SR_ST_SU_SY_EESZ_S10_S11_S12_S16_S17_S18_S1B_S1C_jS1D_jS1E_S1E_jjS1G_bEUljE0_EEESZ_S10_S11_S18_S1C_S1E_T6_T7_T9_mT8_S1G_bDpT10_ENKUlT_T0_E_clISt17integral_constantIbLb1EES1T_IbLb0EEEEDaS1P_S1Q_EUlS1P_E_NS1_11comp_targetILNS1_3genE9ELNS1_11target_archE1100ELNS1_3gpuE3ELNS1_3repE0EEENS1_30default_config_static_selectorELNS0_4arch9wavefront6targetE1EEEvS12_,@function
_ZN7rocprim17ROCPRIM_400000_NS6detail17trampoline_kernelINS0_13select_configILj256ELj13ELNS0_17block_load_methodE3ELS4_3ELS4_3ELNS0_20block_scan_algorithmE0ELj4294967295EEENS1_25partition_config_selectorILNS1_17partition_subalgoE4EjNS0_10empty_typeEbEEZZNS1_14partition_implILS8_4ELb0ES6_15HIP_vector_typeIjLj2EENS0_17counting_iteratorIjlEEPS9_SG_NS0_5tupleIJPjSI_NS0_16reverse_iteratorISI_EEEEENSH_IJSG_SG_SG_EEES9_SI_JZNS1_25segmented_radix_sort_implINS0_14default_configELb0EPKbPbPKlPlN2at6native12_GLOBAL__N_18offset_tEEE10hipError_tPvRmT1_PNSt15iterator_traitsIS12_E10value_typeET2_T3_PNS13_IS18_E10value_typeET4_jRbjT5_S1E_jjP12ihipStream_tbEUljE_ZNSN_ISO_Lb0ESQ_SR_ST_SU_SY_EESZ_S10_S11_S12_S16_S17_S18_S1B_S1C_jS1D_jS1E_S1E_jjS1G_bEUljE0_EEESZ_S10_S11_S18_S1C_S1E_T6_T7_T9_mT8_S1G_bDpT10_ENKUlT_T0_E_clISt17integral_constantIbLb1EES1T_IbLb0EEEEDaS1P_S1Q_EUlS1P_E_NS1_11comp_targetILNS1_3genE9ELNS1_11target_archE1100ELNS1_3gpuE3ELNS1_3repE0EEENS1_30default_config_static_selectorELNS0_4arch9wavefront6targetE1EEEvS12_: ; @_ZN7rocprim17ROCPRIM_400000_NS6detail17trampoline_kernelINS0_13select_configILj256ELj13ELNS0_17block_load_methodE3ELS4_3ELS4_3ELNS0_20block_scan_algorithmE0ELj4294967295EEENS1_25partition_config_selectorILNS1_17partition_subalgoE4EjNS0_10empty_typeEbEEZZNS1_14partition_implILS8_4ELb0ES6_15HIP_vector_typeIjLj2EENS0_17counting_iteratorIjlEEPS9_SG_NS0_5tupleIJPjSI_NS0_16reverse_iteratorISI_EEEEENSH_IJSG_SG_SG_EEES9_SI_JZNS1_25segmented_radix_sort_implINS0_14default_configELb0EPKbPbPKlPlN2at6native12_GLOBAL__N_18offset_tEEE10hipError_tPvRmT1_PNSt15iterator_traitsIS12_E10value_typeET2_T3_PNS13_IS18_E10value_typeET4_jRbjT5_S1E_jjP12ihipStream_tbEUljE_ZNSN_ISO_Lb0ESQ_SR_ST_SU_SY_EESZ_S10_S11_S12_S16_S17_S18_S1B_S1C_jS1D_jS1E_S1E_jjS1G_bEUljE0_EEESZ_S10_S11_S18_S1C_S1E_T6_T7_T9_mT8_S1G_bDpT10_ENKUlT_T0_E_clISt17integral_constantIbLb1EES1T_IbLb0EEEEDaS1P_S1Q_EUlS1P_E_NS1_11comp_targetILNS1_3genE9ELNS1_11target_archE1100ELNS1_3gpuE3ELNS1_3repE0EEENS1_30default_config_static_selectorELNS0_4arch9wavefront6targetE1EEEvS12_
; %bb.0:
	.section	.rodata,"a",@progbits
	.p2align	6, 0x0
	.amdhsa_kernel _ZN7rocprim17ROCPRIM_400000_NS6detail17trampoline_kernelINS0_13select_configILj256ELj13ELNS0_17block_load_methodE3ELS4_3ELS4_3ELNS0_20block_scan_algorithmE0ELj4294967295EEENS1_25partition_config_selectorILNS1_17partition_subalgoE4EjNS0_10empty_typeEbEEZZNS1_14partition_implILS8_4ELb0ES6_15HIP_vector_typeIjLj2EENS0_17counting_iteratorIjlEEPS9_SG_NS0_5tupleIJPjSI_NS0_16reverse_iteratorISI_EEEEENSH_IJSG_SG_SG_EEES9_SI_JZNS1_25segmented_radix_sort_implINS0_14default_configELb0EPKbPbPKlPlN2at6native12_GLOBAL__N_18offset_tEEE10hipError_tPvRmT1_PNSt15iterator_traitsIS12_E10value_typeET2_T3_PNS13_IS18_E10value_typeET4_jRbjT5_S1E_jjP12ihipStream_tbEUljE_ZNSN_ISO_Lb0ESQ_SR_ST_SU_SY_EESZ_S10_S11_S12_S16_S17_S18_S1B_S1C_jS1D_jS1E_S1E_jjS1G_bEUljE0_EEESZ_S10_S11_S18_S1C_S1E_T6_T7_T9_mT8_S1G_bDpT10_ENKUlT_T0_E_clISt17integral_constantIbLb1EES1T_IbLb0EEEEDaS1P_S1Q_EUlS1P_E_NS1_11comp_targetILNS1_3genE9ELNS1_11target_archE1100ELNS1_3gpuE3ELNS1_3repE0EEENS1_30default_config_static_selectorELNS0_4arch9wavefront6targetE1EEEvS12_
		.amdhsa_group_segment_fixed_size 0
		.amdhsa_private_segment_fixed_size 0
		.amdhsa_kernarg_size 176
		.amdhsa_user_sgpr_count 6
		.amdhsa_user_sgpr_private_segment_buffer 1
		.amdhsa_user_sgpr_dispatch_ptr 0
		.amdhsa_user_sgpr_queue_ptr 0
		.amdhsa_user_sgpr_kernarg_segment_ptr 1
		.amdhsa_user_sgpr_dispatch_id 0
		.amdhsa_user_sgpr_flat_scratch_init 0
		.amdhsa_user_sgpr_kernarg_preload_length 0
		.amdhsa_user_sgpr_kernarg_preload_offset 0
		.amdhsa_user_sgpr_private_segment_size 0
		.amdhsa_uses_dynamic_stack 0
		.amdhsa_system_sgpr_private_segment_wavefront_offset 0
		.amdhsa_system_sgpr_workgroup_id_x 1
		.amdhsa_system_sgpr_workgroup_id_y 0
		.amdhsa_system_sgpr_workgroup_id_z 0
		.amdhsa_system_sgpr_workgroup_info 0
		.amdhsa_system_vgpr_workitem_id 0
		.amdhsa_next_free_vgpr 1
		.amdhsa_next_free_sgpr 0
		.amdhsa_accum_offset 4
		.amdhsa_reserve_vcc 0
		.amdhsa_reserve_flat_scratch 0
		.amdhsa_float_round_mode_32 0
		.amdhsa_float_round_mode_16_64 0
		.amdhsa_float_denorm_mode_32 3
		.amdhsa_float_denorm_mode_16_64 3
		.amdhsa_dx10_clamp 1
		.amdhsa_ieee_mode 1
		.amdhsa_fp16_overflow 0
		.amdhsa_tg_split 0
		.amdhsa_exception_fp_ieee_invalid_op 0
		.amdhsa_exception_fp_denorm_src 0
		.amdhsa_exception_fp_ieee_div_zero 0
		.amdhsa_exception_fp_ieee_overflow 0
		.amdhsa_exception_fp_ieee_underflow 0
		.amdhsa_exception_fp_ieee_inexact 0
		.amdhsa_exception_int_div_zero 0
	.end_amdhsa_kernel
	.section	.text._ZN7rocprim17ROCPRIM_400000_NS6detail17trampoline_kernelINS0_13select_configILj256ELj13ELNS0_17block_load_methodE3ELS4_3ELS4_3ELNS0_20block_scan_algorithmE0ELj4294967295EEENS1_25partition_config_selectorILNS1_17partition_subalgoE4EjNS0_10empty_typeEbEEZZNS1_14partition_implILS8_4ELb0ES6_15HIP_vector_typeIjLj2EENS0_17counting_iteratorIjlEEPS9_SG_NS0_5tupleIJPjSI_NS0_16reverse_iteratorISI_EEEEENSH_IJSG_SG_SG_EEES9_SI_JZNS1_25segmented_radix_sort_implINS0_14default_configELb0EPKbPbPKlPlN2at6native12_GLOBAL__N_18offset_tEEE10hipError_tPvRmT1_PNSt15iterator_traitsIS12_E10value_typeET2_T3_PNS13_IS18_E10value_typeET4_jRbjT5_S1E_jjP12ihipStream_tbEUljE_ZNSN_ISO_Lb0ESQ_SR_ST_SU_SY_EESZ_S10_S11_S12_S16_S17_S18_S1B_S1C_jS1D_jS1E_S1E_jjS1G_bEUljE0_EEESZ_S10_S11_S18_S1C_S1E_T6_T7_T9_mT8_S1G_bDpT10_ENKUlT_T0_E_clISt17integral_constantIbLb1EES1T_IbLb0EEEEDaS1P_S1Q_EUlS1P_E_NS1_11comp_targetILNS1_3genE9ELNS1_11target_archE1100ELNS1_3gpuE3ELNS1_3repE0EEENS1_30default_config_static_selectorELNS0_4arch9wavefront6targetE1EEEvS12_,"axG",@progbits,_ZN7rocprim17ROCPRIM_400000_NS6detail17trampoline_kernelINS0_13select_configILj256ELj13ELNS0_17block_load_methodE3ELS4_3ELS4_3ELNS0_20block_scan_algorithmE0ELj4294967295EEENS1_25partition_config_selectorILNS1_17partition_subalgoE4EjNS0_10empty_typeEbEEZZNS1_14partition_implILS8_4ELb0ES6_15HIP_vector_typeIjLj2EENS0_17counting_iteratorIjlEEPS9_SG_NS0_5tupleIJPjSI_NS0_16reverse_iteratorISI_EEEEENSH_IJSG_SG_SG_EEES9_SI_JZNS1_25segmented_radix_sort_implINS0_14default_configELb0EPKbPbPKlPlN2at6native12_GLOBAL__N_18offset_tEEE10hipError_tPvRmT1_PNSt15iterator_traitsIS12_E10value_typeET2_T3_PNS13_IS18_E10value_typeET4_jRbjT5_S1E_jjP12ihipStream_tbEUljE_ZNSN_ISO_Lb0ESQ_SR_ST_SU_SY_EESZ_S10_S11_S12_S16_S17_S18_S1B_S1C_jS1D_jS1E_S1E_jjS1G_bEUljE0_EEESZ_S10_S11_S18_S1C_S1E_T6_T7_T9_mT8_S1G_bDpT10_ENKUlT_T0_E_clISt17integral_constantIbLb1EES1T_IbLb0EEEEDaS1P_S1Q_EUlS1P_E_NS1_11comp_targetILNS1_3genE9ELNS1_11target_archE1100ELNS1_3gpuE3ELNS1_3repE0EEENS1_30default_config_static_selectorELNS0_4arch9wavefront6targetE1EEEvS12_,comdat
.Lfunc_end1591:
	.size	_ZN7rocprim17ROCPRIM_400000_NS6detail17trampoline_kernelINS0_13select_configILj256ELj13ELNS0_17block_load_methodE3ELS4_3ELS4_3ELNS0_20block_scan_algorithmE0ELj4294967295EEENS1_25partition_config_selectorILNS1_17partition_subalgoE4EjNS0_10empty_typeEbEEZZNS1_14partition_implILS8_4ELb0ES6_15HIP_vector_typeIjLj2EENS0_17counting_iteratorIjlEEPS9_SG_NS0_5tupleIJPjSI_NS0_16reverse_iteratorISI_EEEEENSH_IJSG_SG_SG_EEES9_SI_JZNS1_25segmented_radix_sort_implINS0_14default_configELb0EPKbPbPKlPlN2at6native12_GLOBAL__N_18offset_tEEE10hipError_tPvRmT1_PNSt15iterator_traitsIS12_E10value_typeET2_T3_PNS13_IS18_E10value_typeET4_jRbjT5_S1E_jjP12ihipStream_tbEUljE_ZNSN_ISO_Lb0ESQ_SR_ST_SU_SY_EESZ_S10_S11_S12_S16_S17_S18_S1B_S1C_jS1D_jS1E_S1E_jjS1G_bEUljE0_EEESZ_S10_S11_S18_S1C_S1E_T6_T7_T9_mT8_S1G_bDpT10_ENKUlT_T0_E_clISt17integral_constantIbLb1EES1T_IbLb0EEEEDaS1P_S1Q_EUlS1P_E_NS1_11comp_targetILNS1_3genE9ELNS1_11target_archE1100ELNS1_3gpuE3ELNS1_3repE0EEENS1_30default_config_static_selectorELNS0_4arch9wavefront6targetE1EEEvS12_, .Lfunc_end1591-_ZN7rocprim17ROCPRIM_400000_NS6detail17trampoline_kernelINS0_13select_configILj256ELj13ELNS0_17block_load_methodE3ELS4_3ELS4_3ELNS0_20block_scan_algorithmE0ELj4294967295EEENS1_25partition_config_selectorILNS1_17partition_subalgoE4EjNS0_10empty_typeEbEEZZNS1_14partition_implILS8_4ELb0ES6_15HIP_vector_typeIjLj2EENS0_17counting_iteratorIjlEEPS9_SG_NS0_5tupleIJPjSI_NS0_16reverse_iteratorISI_EEEEENSH_IJSG_SG_SG_EEES9_SI_JZNS1_25segmented_radix_sort_implINS0_14default_configELb0EPKbPbPKlPlN2at6native12_GLOBAL__N_18offset_tEEE10hipError_tPvRmT1_PNSt15iterator_traitsIS12_E10value_typeET2_T3_PNS13_IS18_E10value_typeET4_jRbjT5_S1E_jjP12ihipStream_tbEUljE_ZNSN_ISO_Lb0ESQ_SR_ST_SU_SY_EESZ_S10_S11_S12_S16_S17_S18_S1B_S1C_jS1D_jS1E_S1E_jjS1G_bEUljE0_EEESZ_S10_S11_S18_S1C_S1E_T6_T7_T9_mT8_S1G_bDpT10_ENKUlT_T0_E_clISt17integral_constantIbLb1EES1T_IbLb0EEEEDaS1P_S1Q_EUlS1P_E_NS1_11comp_targetILNS1_3genE9ELNS1_11target_archE1100ELNS1_3gpuE3ELNS1_3repE0EEENS1_30default_config_static_selectorELNS0_4arch9wavefront6targetE1EEEvS12_
                                        ; -- End function
	.section	.AMDGPU.csdata,"",@progbits
; Kernel info:
; codeLenInByte = 0
; NumSgprs: 4
; NumVgprs: 0
; NumAgprs: 0
; TotalNumVgprs: 0
; ScratchSize: 0
; MemoryBound: 0
; FloatMode: 240
; IeeeMode: 1
; LDSByteSize: 0 bytes/workgroup (compile time only)
; SGPRBlocks: 0
; VGPRBlocks: 0
; NumSGPRsForWavesPerEU: 4
; NumVGPRsForWavesPerEU: 1
; AccumOffset: 4
; Occupancy: 8
; WaveLimiterHint : 0
; COMPUTE_PGM_RSRC2:SCRATCH_EN: 0
; COMPUTE_PGM_RSRC2:USER_SGPR: 6
; COMPUTE_PGM_RSRC2:TRAP_HANDLER: 0
; COMPUTE_PGM_RSRC2:TGID_X_EN: 1
; COMPUTE_PGM_RSRC2:TGID_Y_EN: 0
; COMPUTE_PGM_RSRC2:TGID_Z_EN: 0
; COMPUTE_PGM_RSRC2:TIDIG_COMP_CNT: 0
; COMPUTE_PGM_RSRC3_GFX90A:ACCUM_OFFSET: 0
; COMPUTE_PGM_RSRC3_GFX90A:TG_SPLIT: 0
	.section	.text._ZN7rocprim17ROCPRIM_400000_NS6detail17trampoline_kernelINS0_13select_configILj256ELj13ELNS0_17block_load_methodE3ELS4_3ELS4_3ELNS0_20block_scan_algorithmE0ELj4294967295EEENS1_25partition_config_selectorILNS1_17partition_subalgoE4EjNS0_10empty_typeEbEEZZNS1_14partition_implILS8_4ELb0ES6_15HIP_vector_typeIjLj2EENS0_17counting_iteratorIjlEEPS9_SG_NS0_5tupleIJPjSI_NS0_16reverse_iteratorISI_EEEEENSH_IJSG_SG_SG_EEES9_SI_JZNS1_25segmented_radix_sort_implINS0_14default_configELb0EPKbPbPKlPlN2at6native12_GLOBAL__N_18offset_tEEE10hipError_tPvRmT1_PNSt15iterator_traitsIS12_E10value_typeET2_T3_PNS13_IS18_E10value_typeET4_jRbjT5_S1E_jjP12ihipStream_tbEUljE_ZNSN_ISO_Lb0ESQ_SR_ST_SU_SY_EESZ_S10_S11_S12_S16_S17_S18_S1B_S1C_jS1D_jS1E_S1E_jjS1G_bEUljE0_EEESZ_S10_S11_S18_S1C_S1E_T6_T7_T9_mT8_S1G_bDpT10_ENKUlT_T0_E_clISt17integral_constantIbLb1EES1T_IbLb0EEEEDaS1P_S1Q_EUlS1P_E_NS1_11comp_targetILNS1_3genE8ELNS1_11target_archE1030ELNS1_3gpuE2ELNS1_3repE0EEENS1_30default_config_static_selectorELNS0_4arch9wavefront6targetE1EEEvS12_,"axG",@progbits,_ZN7rocprim17ROCPRIM_400000_NS6detail17trampoline_kernelINS0_13select_configILj256ELj13ELNS0_17block_load_methodE3ELS4_3ELS4_3ELNS0_20block_scan_algorithmE0ELj4294967295EEENS1_25partition_config_selectorILNS1_17partition_subalgoE4EjNS0_10empty_typeEbEEZZNS1_14partition_implILS8_4ELb0ES6_15HIP_vector_typeIjLj2EENS0_17counting_iteratorIjlEEPS9_SG_NS0_5tupleIJPjSI_NS0_16reverse_iteratorISI_EEEEENSH_IJSG_SG_SG_EEES9_SI_JZNS1_25segmented_radix_sort_implINS0_14default_configELb0EPKbPbPKlPlN2at6native12_GLOBAL__N_18offset_tEEE10hipError_tPvRmT1_PNSt15iterator_traitsIS12_E10value_typeET2_T3_PNS13_IS18_E10value_typeET4_jRbjT5_S1E_jjP12ihipStream_tbEUljE_ZNSN_ISO_Lb0ESQ_SR_ST_SU_SY_EESZ_S10_S11_S12_S16_S17_S18_S1B_S1C_jS1D_jS1E_S1E_jjS1G_bEUljE0_EEESZ_S10_S11_S18_S1C_S1E_T6_T7_T9_mT8_S1G_bDpT10_ENKUlT_T0_E_clISt17integral_constantIbLb1EES1T_IbLb0EEEEDaS1P_S1Q_EUlS1P_E_NS1_11comp_targetILNS1_3genE8ELNS1_11target_archE1030ELNS1_3gpuE2ELNS1_3repE0EEENS1_30default_config_static_selectorELNS0_4arch9wavefront6targetE1EEEvS12_,comdat
	.globl	_ZN7rocprim17ROCPRIM_400000_NS6detail17trampoline_kernelINS0_13select_configILj256ELj13ELNS0_17block_load_methodE3ELS4_3ELS4_3ELNS0_20block_scan_algorithmE0ELj4294967295EEENS1_25partition_config_selectorILNS1_17partition_subalgoE4EjNS0_10empty_typeEbEEZZNS1_14partition_implILS8_4ELb0ES6_15HIP_vector_typeIjLj2EENS0_17counting_iteratorIjlEEPS9_SG_NS0_5tupleIJPjSI_NS0_16reverse_iteratorISI_EEEEENSH_IJSG_SG_SG_EEES9_SI_JZNS1_25segmented_radix_sort_implINS0_14default_configELb0EPKbPbPKlPlN2at6native12_GLOBAL__N_18offset_tEEE10hipError_tPvRmT1_PNSt15iterator_traitsIS12_E10value_typeET2_T3_PNS13_IS18_E10value_typeET4_jRbjT5_S1E_jjP12ihipStream_tbEUljE_ZNSN_ISO_Lb0ESQ_SR_ST_SU_SY_EESZ_S10_S11_S12_S16_S17_S18_S1B_S1C_jS1D_jS1E_S1E_jjS1G_bEUljE0_EEESZ_S10_S11_S18_S1C_S1E_T6_T7_T9_mT8_S1G_bDpT10_ENKUlT_T0_E_clISt17integral_constantIbLb1EES1T_IbLb0EEEEDaS1P_S1Q_EUlS1P_E_NS1_11comp_targetILNS1_3genE8ELNS1_11target_archE1030ELNS1_3gpuE2ELNS1_3repE0EEENS1_30default_config_static_selectorELNS0_4arch9wavefront6targetE1EEEvS12_ ; -- Begin function _ZN7rocprim17ROCPRIM_400000_NS6detail17trampoline_kernelINS0_13select_configILj256ELj13ELNS0_17block_load_methodE3ELS4_3ELS4_3ELNS0_20block_scan_algorithmE0ELj4294967295EEENS1_25partition_config_selectorILNS1_17partition_subalgoE4EjNS0_10empty_typeEbEEZZNS1_14partition_implILS8_4ELb0ES6_15HIP_vector_typeIjLj2EENS0_17counting_iteratorIjlEEPS9_SG_NS0_5tupleIJPjSI_NS0_16reverse_iteratorISI_EEEEENSH_IJSG_SG_SG_EEES9_SI_JZNS1_25segmented_radix_sort_implINS0_14default_configELb0EPKbPbPKlPlN2at6native12_GLOBAL__N_18offset_tEEE10hipError_tPvRmT1_PNSt15iterator_traitsIS12_E10value_typeET2_T3_PNS13_IS18_E10value_typeET4_jRbjT5_S1E_jjP12ihipStream_tbEUljE_ZNSN_ISO_Lb0ESQ_SR_ST_SU_SY_EESZ_S10_S11_S12_S16_S17_S18_S1B_S1C_jS1D_jS1E_S1E_jjS1G_bEUljE0_EEESZ_S10_S11_S18_S1C_S1E_T6_T7_T9_mT8_S1G_bDpT10_ENKUlT_T0_E_clISt17integral_constantIbLb1EES1T_IbLb0EEEEDaS1P_S1Q_EUlS1P_E_NS1_11comp_targetILNS1_3genE8ELNS1_11target_archE1030ELNS1_3gpuE2ELNS1_3repE0EEENS1_30default_config_static_selectorELNS0_4arch9wavefront6targetE1EEEvS12_
	.p2align	8
	.type	_ZN7rocprim17ROCPRIM_400000_NS6detail17trampoline_kernelINS0_13select_configILj256ELj13ELNS0_17block_load_methodE3ELS4_3ELS4_3ELNS0_20block_scan_algorithmE0ELj4294967295EEENS1_25partition_config_selectorILNS1_17partition_subalgoE4EjNS0_10empty_typeEbEEZZNS1_14partition_implILS8_4ELb0ES6_15HIP_vector_typeIjLj2EENS0_17counting_iteratorIjlEEPS9_SG_NS0_5tupleIJPjSI_NS0_16reverse_iteratorISI_EEEEENSH_IJSG_SG_SG_EEES9_SI_JZNS1_25segmented_radix_sort_implINS0_14default_configELb0EPKbPbPKlPlN2at6native12_GLOBAL__N_18offset_tEEE10hipError_tPvRmT1_PNSt15iterator_traitsIS12_E10value_typeET2_T3_PNS13_IS18_E10value_typeET4_jRbjT5_S1E_jjP12ihipStream_tbEUljE_ZNSN_ISO_Lb0ESQ_SR_ST_SU_SY_EESZ_S10_S11_S12_S16_S17_S18_S1B_S1C_jS1D_jS1E_S1E_jjS1G_bEUljE0_EEESZ_S10_S11_S18_S1C_S1E_T6_T7_T9_mT8_S1G_bDpT10_ENKUlT_T0_E_clISt17integral_constantIbLb1EES1T_IbLb0EEEEDaS1P_S1Q_EUlS1P_E_NS1_11comp_targetILNS1_3genE8ELNS1_11target_archE1030ELNS1_3gpuE2ELNS1_3repE0EEENS1_30default_config_static_selectorELNS0_4arch9wavefront6targetE1EEEvS12_,@function
_ZN7rocprim17ROCPRIM_400000_NS6detail17trampoline_kernelINS0_13select_configILj256ELj13ELNS0_17block_load_methodE3ELS4_3ELS4_3ELNS0_20block_scan_algorithmE0ELj4294967295EEENS1_25partition_config_selectorILNS1_17partition_subalgoE4EjNS0_10empty_typeEbEEZZNS1_14partition_implILS8_4ELb0ES6_15HIP_vector_typeIjLj2EENS0_17counting_iteratorIjlEEPS9_SG_NS0_5tupleIJPjSI_NS0_16reverse_iteratorISI_EEEEENSH_IJSG_SG_SG_EEES9_SI_JZNS1_25segmented_radix_sort_implINS0_14default_configELb0EPKbPbPKlPlN2at6native12_GLOBAL__N_18offset_tEEE10hipError_tPvRmT1_PNSt15iterator_traitsIS12_E10value_typeET2_T3_PNS13_IS18_E10value_typeET4_jRbjT5_S1E_jjP12ihipStream_tbEUljE_ZNSN_ISO_Lb0ESQ_SR_ST_SU_SY_EESZ_S10_S11_S12_S16_S17_S18_S1B_S1C_jS1D_jS1E_S1E_jjS1G_bEUljE0_EEESZ_S10_S11_S18_S1C_S1E_T6_T7_T9_mT8_S1G_bDpT10_ENKUlT_T0_E_clISt17integral_constantIbLb1EES1T_IbLb0EEEEDaS1P_S1Q_EUlS1P_E_NS1_11comp_targetILNS1_3genE8ELNS1_11target_archE1030ELNS1_3gpuE2ELNS1_3repE0EEENS1_30default_config_static_selectorELNS0_4arch9wavefront6targetE1EEEvS12_: ; @_ZN7rocprim17ROCPRIM_400000_NS6detail17trampoline_kernelINS0_13select_configILj256ELj13ELNS0_17block_load_methodE3ELS4_3ELS4_3ELNS0_20block_scan_algorithmE0ELj4294967295EEENS1_25partition_config_selectorILNS1_17partition_subalgoE4EjNS0_10empty_typeEbEEZZNS1_14partition_implILS8_4ELb0ES6_15HIP_vector_typeIjLj2EENS0_17counting_iteratorIjlEEPS9_SG_NS0_5tupleIJPjSI_NS0_16reverse_iteratorISI_EEEEENSH_IJSG_SG_SG_EEES9_SI_JZNS1_25segmented_radix_sort_implINS0_14default_configELb0EPKbPbPKlPlN2at6native12_GLOBAL__N_18offset_tEEE10hipError_tPvRmT1_PNSt15iterator_traitsIS12_E10value_typeET2_T3_PNS13_IS18_E10value_typeET4_jRbjT5_S1E_jjP12ihipStream_tbEUljE_ZNSN_ISO_Lb0ESQ_SR_ST_SU_SY_EESZ_S10_S11_S12_S16_S17_S18_S1B_S1C_jS1D_jS1E_S1E_jjS1G_bEUljE0_EEESZ_S10_S11_S18_S1C_S1E_T6_T7_T9_mT8_S1G_bDpT10_ENKUlT_T0_E_clISt17integral_constantIbLb1EES1T_IbLb0EEEEDaS1P_S1Q_EUlS1P_E_NS1_11comp_targetILNS1_3genE8ELNS1_11target_archE1030ELNS1_3gpuE2ELNS1_3repE0EEENS1_30default_config_static_selectorELNS0_4arch9wavefront6targetE1EEEvS12_
; %bb.0:
	.section	.rodata,"a",@progbits
	.p2align	6, 0x0
	.amdhsa_kernel _ZN7rocprim17ROCPRIM_400000_NS6detail17trampoline_kernelINS0_13select_configILj256ELj13ELNS0_17block_load_methodE3ELS4_3ELS4_3ELNS0_20block_scan_algorithmE0ELj4294967295EEENS1_25partition_config_selectorILNS1_17partition_subalgoE4EjNS0_10empty_typeEbEEZZNS1_14partition_implILS8_4ELb0ES6_15HIP_vector_typeIjLj2EENS0_17counting_iteratorIjlEEPS9_SG_NS0_5tupleIJPjSI_NS0_16reverse_iteratorISI_EEEEENSH_IJSG_SG_SG_EEES9_SI_JZNS1_25segmented_radix_sort_implINS0_14default_configELb0EPKbPbPKlPlN2at6native12_GLOBAL__N_18offset_tEEE10hipError_tPvRmT1_PNSt15iterator_traitsIS12_E10value_typeET2_T3_PNS13_IS18_E10value_typeET4_jRbjT5_S1E_jjP12ihipStream_tbEUljE_ZNSN_ISO_Lb0ESQ_SR_ST_SU_SY_EESZ_S10_S11_S12_S16_S17_S18_S1B_S1C_jS1D_jS1E_S1E_jjS1G_bEUljE0_EEESZ_S10_S11_S18_S1C_S1E_T6_T7_T9_mT8_S1G_bDpT10_ENKUlT_T0_E_clISt17integral_constantIbLb1EES1T_IbLb0EEEEDaS1P_S1Q_EUlS1P_E_NS1_11comp_targetILNS1_3genE8ELNS1_11target_archE1030ELNS1_3gpuE2ELNS1_3repE0EEENS1_30default_config_static_selectorELNS0_4arch9wavefront6targetE1EEEvS12_
		.amdhsa_group_segment_fixed_size 0
		.amdhsa_private_segment_fixed_size 0
		.amdhsa_kernarg_size 176
		.amdhsa_user_sgpr_count 6
		.amdhsa_user_sgpr_private_segment_buffer 1
		.amdhsa_user_sgpr_dispatch_ptr 0
		.amdhsa_user_sgpr_queue_ptr 0
		.amdhsa_user_sgpr_kernarg_segment_ptr 1
		.amdhsa_user_sgpr_dispatch_id 0
		.amdhsa_user_sgpr_flat_scratch_init 0
		.amdhsa_user_sgpr_kernarg_preload_length 0
		.amdhsa_user_sgpr_kernarg_preload_offset 0
		.amdhsa_user_sgpr_private_segment_size 0
		.amdhsa_uses_dynamic_stack 0
		.amdhsa_system_sgpr_private_segment_wavefront_offset 0
		.amdhsa_system_sgpr_workgroup_id_x 1
		.amdhsa_system_sgpr_workgroup_id_y 0
		.amdhsa_system_sgpr_workgroup_id_z 0
		.amdhsa_system_sgpr_workgroup_info 0
		.amdhsa_system_vgpr_workitem_id 0
		.amdhsa_next_free_vgpr 1
		.amdhsa_next_free_sgpr 0
		.amdhsa_accum_offset 4
		.amdhsa_reserve_vcc 0
		.amdhsa_reserve_flat_scratch 0
		.amdhsa_float_round_mode_32 0
		.amdhsa_float_round_mode_16_64 0
		.amdhsa_float_denorm_mode_32 3
		.amdhsa_float_denorm_mode_16_64 3
		.amdhsa_dx10_clamp 1
		.amdhsa_ieee_mode 1
		.amdhsa_fp16_overflow 0
		.amdhsa_tg_split 0
		.amdhsa_exception_fp_ieee_invalid_op 0
		.amdhsa_exception_fp_denorm_src 0
		.amdhsa_exception_fp_ieee_div_zero 0
		.amdhsa_exception_fp_ieee_overflow 0
		.amdhsa_exception_fp_ieee_underflow 0
		.amdhsa_exception_fp_ieee_inexact 0
		.amdhsa_exception_int_div_zero 0
	.end_amdhsa_kernel
	.section	.text._ZN7rocprim17ROCPRIM_400000_NS6detail17trampoline_kernelINS0_13select_configILj256ELj13ELNS0_17block_load_methodE3ELS4_3ELS4_3ELNS0_20block_scan_algorithmE0ELj4294967295EEENS1_25partition_config_selectorILNS1_17partition_subalgoE4EjNS0_10empty_typeEbEEZZNS1_14partition_implILS8_4ELb0ES6_15HIP_vector_typeIjLj2EENS0_17counting_iteratorIjlEEPS9_SG_NS0_5tupleIJPjSI_NS0_16reverse_iteratorISI_EEEEENSH_IJSG_SG_SG_EEES9_SI_JZNS1_25segmented_radix_sort_implINS0_14default_configELb0EPKbPbPKlPlN2at6native12_GLOBAL__N_18offset_tEEE10hipError_tPvRmT1_PNSt15iterator_traitsIS12_E10value_typeET2_T3_PNS13_IS18_E10value_typeET4_jRbjT5_S1E_jjP12ihipStream_tbEUljE_ZNSN_ISO_Lb0ESQ_SR_ST_SU_SY_EESZ_S10_S11_S12_S16_S17_S18_S1B_S1C_jS1D_jS1E_S1E_jjS1G_bEUljE0_EEESZ_S10_S11_S18_S1C_S1E_T6_T7_T9_mT8_S1G_bDpT10_ENKUlT_T0_E_clISt17integral_constantIbLb1EES1T_IbLb0EEEEDaS1P_S1Q_EUlS1P_E_NS1_11comp_targetILNS1_3genE8ELNS1_11target_archE1030ELNS1_3gpuE2ELNS1_3repE0EEENS1_30default_config_static_selectorELNS0_4arch9wavefront6targetE1EEEvS12_,"axG",@progbits,_ZN7rocprim17ROCPRIM_400000_NS6detail17trampoline_kernelINS0_13select_configILj256ELj13ELNS0_17block_load_methodE3ELS4_3ELS4_3ELNS0_20block_scan_algorithmE0ELj4294967295EEENS1_25partition_config_selectorILNS1_17partition_subalgoE4EjNS0_10empty_typeEbEEZZNS1_14partition_implILS8_4ELb0ES6_15HIP_vector_typeIjLj2EENS0_17counting_iteratorIjlEEPS9_SG_NS0_5tupleIJPjSI_NS0_16reverse_iteratorISI_EEEEENSH_IJSG_SG_SG_EEES9_SI_JZNS1_25segmented_radix_sort_implINS0_14default_configELb0EPKbPbPKlPlN2at6native12_GLOBAL__N_18offset_tEEE10hipError_tPvRmT1_PNSt15iterator_traitsIS12_E10value_typeET2_T3_PNS13_IS18_E10value_typeET4_jRbjT5_S1E_jjP12ihipStream_tbEUljE_ZNSN_ISO_Lb0ESQ_SR_ST_SU_SY_EESZ_S10_S11_S12_S16_S17_S18_S1B_S1C_jS1D_jS1E_S1E_jjS1G_bEUljE0_EEESZ_S10_S11_S18_S1C_S1E_T6_T7_T9_mT8_S1G_bDpT10_ENKUlT_T0_E_clISt17integral_constantIbLb1EES1T_IbLb0EEEEDaS1P_S1Q_EUlS1P_E_NS1_11comp_targetILNS1_3genE8ELNS1_11target_archE1030ELNS1_3gpuE2ELNS1_3repE0EEENS1_30default_config_static_selectorELNS0_4arch9wavefront6targetE1EEEvS12_,comdat
.Lfunc_end1592:
	.size	_ZN7rocprim17ROCPRIM_400000_NS6detail17trampoline_kernelINS0_13select_configILj256ELj13ELNS0_17block_load_methodE3ELS4_3ELS4_3ELNS0_20block_scan_algorithmE0ELj4294967295EEENS1_25partition_config_selectorILNS1_17partition_subalgoE4EjNS0_10empty_typeEbEEZZNS1_14partition_implILS8_4ELb0ES6_15HIP_vector_typeIjLj2EENS0_17counting_iteratorIjlEEPS9_SG_NS0_5tupleIJPjSI_NS0_16reverse_iteratorISI_EEEEENSH_IJSG_SG_SG_EEES9_SI_JZNS1_25segmented_radix_sort_implINS0_14default_configELb0EPKbPbPKlPlN2at6native12_GLOBAL__N_18offset_tEEE10hipError_tPvRmT1_PNSt15iterator_traitsIS12_E10value_typeET2_T3_PNS13_IS18_E10value_typeET4_jRbjT5_S1E_jjP12ihipStream_tbEUljE_ZNSN_ISO_Lb0ESQ_SR_ST_SU_SY_EESZ_S10_S11_S12_S16_S17_S18_S1B_S1C_jS1D_jS1E_S1E_jjS1G_bEUljE0_EEESZ_S10_S11_S18_S1C_S1E_T6_T7_T9_mT8_S1G_bDpT10_ENKUlT_T0_E_clISt17integral_constantIbLb1EES1T_IbLb0EEEEDaS1P_S1Q_EUlS1P_E_NS1_11comp_targetILNS1_3genE8ELNS1_11target_archE1030ELNS1_3gpuE2ELNS1_3repE0EEENS1_30default_config_static_selectorELNS0_4arch9wavefront6targetE1EEEvS12_, .Lfunc_end1592-_ZN7rocprim17ROCPRIM_400000_NS6detail17trampoline_kernelINS0_13select_configILj256ELj13ELNS0_17block_load_methodE3ELS4_3ELS4_3ELNS0_20block_scan_algorithmE0ELj4294967295EEENS1_25partition_config_selectorILNS1_17partition_subalgoE4EjNS0_10empty_typeEbEEZZNS1_14partition_implILS8_4ELb0ES6_15HIP_vector_typeIjLj2EENS0_17counting_iteratorIjlEEPS9_SG_NS0_5tupleIJPjSI_NS0_16reverse_iteratorISI_EEEEENSH_IJSG_SG_SG_EEES9_SI_JZNS1_25segmented_radix_sort_implINS0_14default_configELb0EPKbPbPKlPlN2at6native12_GLOBAL__N_18offset_tEEE10hipError_tPvRmT1_PNSt15iterator_traitsIS12_E10value_typeET2_T3_PNS13_IS18_E10value_typeET4_jRbjT5_S1E_jjP12ihipStream_tbEUljE_ZNSN_ISO_Lb0ESQ_SR_ST_SU_SY_EESZ_S10_S11_S12_S16_S17_S18_S1B_S1C_jS1D_jS1E_S1E_jjS1G_bEUljE0_EEESZ_S10_S11_S18_S1C_S1E_T6_T7_T9_mT8_S1G_bDpT10_ENKUlT_T0_E_clISt17integral_constantIbLb1EES1T_IbLb0EEEEDaS1P_S1Q_EUlS1P_E_NS1_11comp_targetILNS1_3genE8ELNS1_11target_archE1030ELNS1_3gpuE2ELNS1_3repE0EEENS1_30default_config_static_selectorELNS0_4arch9wavefront6targetE1EEEvS12_
                                        ; -- End function
	.section	.AMDGPU.csdata,"",@progbits
; Kernel info:
; codeLenInByte = 0
; NumSgprs: 4
; NumVgprs: 0
; NumAgprs: 0
; TotalNumVgprs: 0
; ScratchSize: 0
; MemoryBound: 0
; FloatMode: 240
; IeeeMode: 1
; LDSByteSize: 0 bytes/workgroup (compile time only)
; SGPRBlocks: 0
; VGPRBlocks: 0
; NumSGPRsForWavesPerEU: 4
; NumVGPRsForWavesPerEU: 1
; AccumOffset: 4
; Occupancy: 8
; WaveLimiterHint : 0
; COMPUTE_PGM_RSRC2:SCRATCH_EN: 0
; COMPUTE_PGM_RSRC2:USER_SGPR: 6
; COMPUTE_PGM_RSRC2:TRAP_HANDLER: 0
; COMPUTE_PGM_RSRC2:TGID_X_EN: 1
; COMPUTE_PGM_RSRC2:TGID_Y_EN: 0
; COMPUTE_PGM_RSRC2:TGID_Z_EN: 0
; COMPUTE_PGM_RSRC2:TIDIG_COMP_CNT: 0
; COMPUTE_PGM_RSRC3_GFX90A:ACCUM_OFFSET: 0
; COMPUTE_PGM_RSRC3_GFX90A:TG_SPLIT: 0
	.section	.text._ZN7rocprim17ROCPRIM_400000_NS6detail17trampoline_kernelINS0_13select_configILj256ELj13ELNS0_17block_load_methodE3ELS4_3ELS4_3ELNS0_20block_scan_algorithmE0ELj4294967295EEENS1_25partition_config_selectorILNS1_17partition_subalgoE4EjNS0_10empty_typeEbEEZZNS1_14partition_implILS8_4ELb0ES6_15HIP_vector_typeIjLj2EENS0_17counting_iteratorIjlEEPS9_SG_NS0_5tupleIJPjSI_NS0_16reverse_iteratorISI_EEEEENSH_IJSG_SG_SG_EEES9_SI_JZNS1_25segmented_radix_sort_implINS0_14default_configELb0EPKbPbPKlPlN2at6native12_GLOBAL__N_18offset_tEEE10hipError_tPvRmT1_PNSt15iterator_traitsIS12_E10value_typeET2_T3_PNS13_IS18_E10value_typeET4_jRbjT5_S1E_jjP12ihipStream_tbEUljE_ZNSN_ISO_Lb0ESQ_SR_ST_SU_SY_EESZ_S10_S11_S12_S16_S17_S18_S1B_S1C_jS1D_jS1E_S1E_jjS1G_bEUljE0_EEESZ_S10_S11_S18_S1C_S1E_T6_T7_T9_mT8_S1G_bDpT10_ENKUlT_T0_E_clISt17integral_constantIbLb0EES1T_IbLb1EEEEDaS1P_S1Q_EUlS1P_E_NS1_11comp_targetILNS1_3genE0ELNS1_11target_archE4294967295ELNS1_3gpuE0ELNS1_3repE0EEENS1_30default_config_static_selectorELNS0_4arch9wavefront6targetE1EEEvS12_,"axG",@progbits,_ZN7rocprim17ROCPRIM_400000_NS6detail17trampoline_kernelINS0_13select_configILj256ELj13ELNS0_17block_load_methodE3ELS4_3ELS4_3ELNS0_20block_scan_algorithmE0ELj4294967295EEENS1_25partition_config_selectorILNS1_17partition_subalgoE4EjNS0_10empty_typeEbEEZZNS1_14partition_implILS8_4ELb0ES6_15HIP_vector_typeIjLj2EENS0_17counting_iteratorIjlEEPS9_SG_NS0_5tupleIJPjSI_NS0_16reverse_iteratorISI_EEEEENSH_IJSG_SG_SG_EEES9_SI_JZNS1_25segmented_radix_sort_implINS0_14default_configELb0EPKbPbPKlPlN2at6native12_GLOBAL__N_18offset_tEEE10hipError_tPvRmT1_PNSt15iterator_traitsIS12_E10value_typeET2_T3_PNS13_IS18_E10value_typeET4_jRbjT5_S1E_jjP12ihipStream_tbEUljE_ZNSN_ISO_Lb0ESQ_SR_ST_SU_SY_EESZ_S10_S11_S12_S16_S17_S18_S1B_S1C_jS1D_jS1E_S1E_jjS1G_bEUljE0_EEESZ_S10_S11_S18_S1C_S1E_T6_T7_T9_mT8_S1G_bDpT10_ENKUlT_T0_E_clISt17integral_constantIbLb0EES1T_IbLb1EEEEDaS1P_S1Q_EUlS1P_E_NS1_11comp_targetILNS1_3genE0ELNS1_11target_archE4294967295ELNS1_3gpuE0ELNS1_3repE0EEENS1_30default_config_static_selectorELNS0_4arch9wavefront6targetE1EEEvS12_,comdat
	.globl	_ZN7rocprim17ROCPRIM_400000_NS6detail17trampoline_kernelINS0_13select_configILj256ELj13ELNS0_17block_load_methodE3ELS4_3ELS4_3ELNS0_20block_scan_algorithmE0ELj4294967295EEENS1_25partition_config_selectorILNS1_17partition_subalgoE4EjNS0_10empty_typeEbEEZZNS1_14partition_implILS8_4ELb0ES6_15HIP_vector_typeIjLj2EENS0_17counting_iteratorIjlEEPS9_SG_NS0_5tupleIJPjSI_NS0_16reverse_iteratorISI_EEEEENSH_IJSG_SG_SG_EEES9_SI_JZNS1_25segmented_radix_sort_implINS0_14default_configELb0EPKbPbPKlPlN2at6native12_GLOBAL__N_18offset_tEEE10hipError_tPvRmT1_PNSt15iterator_traitsIS12_E10value_typeET2_T3_PNS13_IS18_E10value_typeET4_jRbjT5_S1E_jjP12ihipStream_tbEUljE_ZNSN_ISO_Lb0ESQ_SR_ST_SU_SY_EESZ_S10_S11_S12_S16_S17_S18_S1B_S1C_jS1D_jS1E_S1E_jjS1G_bEUljE0_EEESZ_S10_S11_S18_S1C_S1E_T6_T7_T9_mT8_S1G_bDpT10_ENKUlT_T0_E_clISt17integral_constantIbLb0EES1T_IbLb1EEEEDaS1P_S1Q_EUlS1P_E_NS1_11comp_targetILNS1_3genE0ELNS1_11target_archE4294967295ELNS1_3gpuE0ELNS1_3repE0EEENS1_30default_config_static_selectorELNS0_4arch9wavefront6targetE1EEEvS12_ ; -- Begin function _ZN7rocprim17ROCPRIM_400000_NS6detail17trampoline_kernelINS0_13select_configILj256ELj13ELNS0_17block_load_methodE3ELS4_3ELS4_3ELNS0_20block_scan_algorithmE0ELj4294967295EEENS1_25partition_config_selectorILNS1_17partition_subalgoE4EjNS0_10empty_typeEbEEZZNS1_14partition_implILS8_4ELb0ES6_15HIP_vector_typeIjLj2EENS0_17counting_iteratorIjlEEPS9_SG_NS0_5tupleIJPjSI_NS0_16reverse_iteratorISI_EEEEENSH_IJSG_SG_SG_EEES9_SI_JZNS1_25segmented_radix_sort_implINS0_14default_configELb0EPKbPbPKlPlN2at6native12_GLOBAL__N_18offset_tEEE10hipError_tPvRmT1_PNSt15iterator_traitsIS12_E10value_typeET2_T3_PNS13_IS18_E10value_typeET4_jRbjT5_S1E_jjP12ihipStream_tbEUljE_ZNSN_ISO_Lb0ESQ_SR_ST_SU_SY_EESZ_S10_S11_S12_S16_S17_S18_S1B_S1C_jS1D_jS1E_S1E_jjS1G_bEUljE0_EEESZ_S10_S11_S18_S1C_S1E_T6_T7_T9_mT8_S1G_bDpT10_ENKUlT_T0_E_clISt17integral_constantIbLb0EES1T_IbLb1EEEEDaS1P_S1Q_EUlS1P_E_NS1_11comp_targetILNS1_3genE0ELNS1_11target_archE4294967295ELNS1_3gpuE0ELNS1_3repE0EEENS1_30default_config_static_selectorELNS0_4arch9wavefront6targetE1EEEvS12_
	.p2align	8
	.type	_ZN7rocprim17ROCPRIM_400000_NS6detail17trampoline_kernelINS0_13select_configILj256ELj13ELNS0_17block_load_methodE3ELS4_3ELS4_3ELNS0_20block_scan_algorithmE0ELj4294967295EEENS1_25partition_config_selectorILNS1_17partition_subalgoE4EjNS0_10empty_typeEbEEZZNS1_14partition_implILS8_4ELb0ES6_15HIP_vector_typeIjLj2EENS0_17counting_iteratorIjlEEPS9_SG_NS0_5tupleIJPjSI_NS0_16reverse_iteratorISI_EEEEENSH_IJSG_SG_SG_EEES9_SI_JZNS1_25segmented_radix_sort_implINS0_14default_configELb0EPKbPbPKlPlN2at6native12_GLOBAL__N_18offset_tEEE10hipError_tPvRmT1_PNSt15iterator_traitsIS12_E10value_typeET2_T3_PNS13_IS18_E10value_typeET4_jRbjT5_S1E_jjP12ihipStream_tbEUljE_ZNSN_ISO_Lb0ESQ_SR_ST_SU_SY_EESZ_S10_S11_S12_S16_S17_S18_S1B_S1C_jS1D_jS1E_S1E_jjS1G_bEUljE0_EEESZ_S10_S11_S18_S1C_S1E_T6_T7_T9_mT8_S1G_bDpT10_ENKUlT_T0_E_clISt17integral_constantIbLb0EES1T_IbLb1EEEEDaS1P_S1Q_EUlS1P_E_NS1_11comp_targetILNS1_3genE0ELNS1_11target_archE4294967295ELNS1_3gpuE0ELNS1_3repE0EEENS1_30default_config_static_selectorELNS0_4arch9wavefront6targetE1EEEvS12_,@function
_ZN7rocprim17ROCPRIM_400000_NS6detail17trampoline_kernelINS0_13select_configILj256ELj13ELNS0_17block_load_methodE3ELS4_3ELS4_3ELNS0_20block_scan_algorithmE0ELj4294967295EEENS1_25partition_config_selectorILNS1_17partition_subalgoE4EjNS0_10empty_typeEbEEZZNS1_14partition_implILS8_4ELb0ES6_15HIP_vector_typeIjLj2EENS0_17counting_iteratorIjlEEPS9_SG_NS0_5tupleIJPjSI_NS0_16reverse_iteratorISI_EEEEENSH_IJSG_SG_SG_EEES9_SI_JZNS1_25segmented_radix_sort_implINS0_14default_configELb0EPKbPbPKlPlN2at6native12_GLOBAL__N_18offset_tEEE10hipError_tPvRmT1_PNSt15iterator_traitsIS12_E10value_typeET2_T3_PNS13_IS18_E10value_typeET4_jRbjT5_S1E_jjP12ihipStream_tbEUljE_ZNSN_ISO_Lb0ESQ_SR_ST_SU_SY_EESZ_S10_S11_S12_S16_S17_S18_S1B_S1C_jS1D_jS1E_S1E_jjS1G_bEUljE0_EEESZ_S10_S11_S18_S1C_S1E_T6_T7_T9_mT8_S1G_bDpT10_ENKUlT_T0_E_clISt17integral_constantIbLb0EES1T_IbLb1EEEEDaS1P_S1Q_EUlS1P_E_NS1_11comp_targetILNS1_3genE0ELNS1_11target_archE4294967295ELNS1_3gpuE0ELNS1_3repE0EEENS1_30default_config_static_selectorELNS0_4arch9wavefront6targetE1EEEvS12_: ; @_ZN7rocprim17ROCPRIM_400000_NS6detail17trampoline_kernelINS0_13select_configILj256ELj13ELNS0_17block_load_methodE3ELS4_3ELS4_3ELNS0_20block_scan_algorithmE0ELj4294967295EEENS1_25partition_config_selectorILNS1_17partition_subalgoE4EjNS0_10empty_typeEbEEZZNS1_14partition_implILS8_4ELb0ES6_15HIP_vector_typeIjLj2EENS0_17counting_iteratorIjlEEPS9_SG_NS0_5tupleIJPjSI_NS0_16reverse_iteratorISI_EEEEENSH_IJSG_SG_SG_EEES9_SI_JZNS1_25segmented_radix_sort_implINS0_14default_configELb0EPKbPbPKlPlN2at6native12_GLOBAL__N_18offset_tEEE10hipError_tPvRmT1_PNSt15iterator_traitsIS12_E10value_typeET2_T3_PNS13_IS18_E10value_typeET4_jRbjT5_S1E_jjP12ihipStream_tbEUljE_ZNSN_ISO_Lb0ESQ_SR_ST_SU_SY_EESZ_S10_S11_S12_S16_S17_S18_S1B_S1C_jS1D_jS1E_S1E_jjS1G_bEUljE0_EEESZ_S10_S11_S18_S1C_S1E_T6_T7_T9_mT8_S1G_bDpT10_ENKUlT_T0_E_clISt17integral_constantIbLb0EES1T_IbLb1EEEEDaS1P_S1Q_EUlS1P_E_NS1_11comp_targetILNS1_3genE0ELNS1_11target_archE4294967295ELNS1_3gpuE0ELNS1_3repE0EEENS1_30default_config_static_selectorELNS0_4arch9wavefront6targetE1EEEvS12_
; %bb.0:
	.section	.rodata,"a",@progbits
	.p2align	6, 0x0
	.amdhsa_kernel _ZN7rocprim17ROCPRIM_400000_NS6detail17trampoline_kernelINS0_13select_configILj256ELj13ELNS0_17block_load_methodE3ELS4_3ELS4_3ELNS0_20block_scan_algorithmE0ELj4294967295EEENS1_25partition_config_selectorILNS1_17partition_subalgoE4EjNS0_10empty_typeEbEEZZNS1_14partition_implILS8_4ELb0ES6_15HIP_vector_typeIjLj2EENS0_17counting_iteratorIjlEEPS9_SG_NS0_5tupleIJPjSI_NS0_16reverse_iteratorISI_EEEEENSH_IJSG_SG_SG_EEES9_SI_JZNS1_25segmented_radix_sort_implINS0_14default_configELb0EPKbPbPKlPlN2at6native12_GLOBAL__N_18offset_tEEE10hipError_tPvRmT1_PNSt15iterator_traitsIS12_E10value_typeET2_T3_PNS13_IS18_E10value_typeET4_jRbjT5_S1E_jjP12ihipStream_tbEUljE_ZNSN_ISO_Lb0ESQ_SR_ST_SU_SY_EESZ_S10_S11_S12_S16_S17_S18_S1B_S1C_jS1D_jS1E_S1E_jjS1G_bEUljE0_EEESZ_S10_S11_S18_S1C_S1E_T6_T7_T9_mT8_S1G_bDpT10_ENKUlT_T0_E_clISt17integral_constantIbLb0EES1T_IbLb1EEEEDaS1P_S1Q_EUlS1P_E_NS1_11comp_targetILNS1_3genE0ELNS1_11target_archE4294967295ELNS1_3gpuE0ELNS1_3repE0EEENS1_30default_config_static_selectorELNS0_4arch9wavefront6targetE1EEEvS12_
		.amdhsa_group_segment_fixed_size 0
		.amdhsa_private_segment_fixed_size 0
		.amdhsa_kernarg_size 184
		.amdhsa_user_sgpr_count 6
		.amdhsa_user_sgpr_private_segment_buffer 1
		.amdhsa_user_sgpr_dispatch_ptr 0
		.amdhsa_user_sgpr_queue_ptr 0
		.amdhsa_user_sgpr_kernarg_segment_ptr 1
		.amdhsa_user_sgpr_dispatch_id 0
		.amdhsa_user_sgpr_flat_scratch_init 0
		.amdhsa_user_sgpr_kernarg_preload_length 0
		.amdhsa_user_sgpr_kernarg_preload_offset 0
		.amdhsa_user_sgpr_private_segment_size 0
		.amdhsa_uses_dynamic_stack 0
		.amdhsa_system_sgpr_private_segment_wavefront_offset 0
		.amdhsa_system_sgpr_workgroup_id_x 1
		.amdhsa_system_sgpr_workgroup_id_y 0
		.amdhsa_system_sgpr_workgroup_id_z 0
		.amdhsa_system_sgpr_workgroup_info 0
		.amdhsa_system_vgpr_workitem_id 0
		.amdhsa_next_free_vgpr 1
		.amdhsa_next_free_sgpr 0
		.amdhsa_accum_offset 4
		.amdhsa_reserve_vcc 0
		.amdhsa_reserve_flat_scratch 0
		.amdhsa_float_round_mode_32 0
		.amdhsa_float_round_mode_16_64 0
		.amdhsa_float_denorm_mode_32 3
		.amdhsa_float_denorm_mode_16_64 3
		.amdhsa_dx10_clamp 1
		.amdhsa_ieee_mode 1
		.amdhsa_fp16_overflow 0
		.amdhsa_tg_split 0
		.amdhsa_exception_fp_ieee_invalid_op 0
		.amdhsa_exception_fp_denorm_src 0
		.amdhsa_exception_fp_ieee_div_zero 0
		.amdhsa_exception_fp_ieee_overflow 0
		.amdhsa_exception_fp_ieee_underflow 0
		.amdhsa_exception_fp_ieee_inexact 0
		.amdhsa_exception_int_div_zero 0
	.end_amdhsa_kernel
	.section	.text._ZN7rocprim17ROCPRIM_400000_NS6detail17trampoline_kernelINS0_13select_configILj256ELj13ELNS0_17block_load_methodE3ELS4_3ELS4_3ELNS0_20block_scan_algorithmE0ELj4294967295EEENS1_25partition_config_selectorILNS1_17partition_subalgoE4EjNS0_10empty_typeEbEEZZNS1_14partition_implILS8_4ELb0ES6_15HIP_vector_typeIjLj2EENS0_17counting_iteratorIjlEEPS9_SG_NS0_5tupleIJPjSI_NS0_16reverse_iteratorISI_EEEEENSH_IJSG_SG_SG_EEES9_SI_JZNS1_25segmented_radix_sort_implINS0_14default_configELb0EPKbPbPKlPlN2at6native12_GLOBAL__N_18offset_tEEE10hipError_tPvRmT1_PNSt15iterator_traitsIS12_E10value_typeET2_T3_PNS13_IS18_E10value_typeET4_jRbjT5_S1E_jjP12ihipStream_tbEUljE_ZNSN_ISO_Lb0ESQ_SR_ST_SU_SY_EESZ_S10_S11_S12_S16_S17_S18_S1B_S1C_jS1D_jS1E_S1E_jjS1G_bEUljE0_EEESZ_S10_S11_S18_S1C_S1E_T6_T7_T9_mT8_S1G_bDpT10_ENKUlT_T0_E_clISt17integral_constantIbLb0EES1T_IbLb1EEEEDaS1P_S1Q_EUlS1P_E_NS1_11comp_targetILNS1_3genE0ELNS1_11target_archE4294967295ELNS1_3gpuE0ELNS1_3repE0EEENS1_30default_config_static_selectorELNS0_4arch9wavefront6targetE1EEEvS12_,"axG",@progbits,_ZN7rocprim17ROCPRIM_400000_NS6detail17trampoline_kernelINS0_13select_configILj256ELj13ELNS0_17block_load_methodE3ELS4_3ELS4_3ELNS0_20block_scan_algorithmE0ELj4294967295EEENS1_25partition_config_selectorILNS1_17partition_subalgoE4EjNS0_10empty_typeEbEEZZNS1_14partition_implILS8_4ELb0ES6_15HIP_vector_typeIjLj2EENS0_17counting_iteratorIjlEEPS9_SG_NS0_5tupleIJPjSI_NS0_16reverse_iteratorISI_EEEEENSH_IJSG_SG_SG_EEES9_SI_JZNS1_25segmented_radix_sort_implINS0_14default_configELb0EPKbPbPKlPlN2at6native12_GLOBAL__N_18offset_tEEE10hipError_tPvRmT1_PNSt15iterator_traitsIS12_E10value_typeET2_T3_PNS13_IS18_E10value_typeET4_jRbjT5_S1E_jjP12ihipStream_tbEUljE_ZNSN_ISO_Lb0ESQ_SR_ST_SU_SY_EESZ_S10_S11_S12_S16_S17_S18_S1B_S1C_jS1D_jS1E_S1E_jjS1G_bEUljE0_EEESZ_S10_S11_S18_S1C_S1E_T6_T7_T9_mT8_S1G_bDpT10_ENKUlT_T0_E_clISt17integral_constantIbLb0EES1T_IbLb1EEEEDaS1P_S1Q_EUlS1P_E_NS1_11comp_targetILNS1_3genE0ELNS1_11target_archE4294967295ELNS1_3gpuE0ELNS1_3repE0EEENS1_30default_config_static_selectorELNS0_4arch9wavefront6targetE1EEEvS12_,comdat
.Lfunc_end1593:
	.size	_ZN7rocprim17ROCPRIM_400000_NS6detail17trampoline_kernelINS0_13select_configILj256ELj13ELNS0_17block_load_methodE3ELS4_3ELS4_3ELNS0_20block_scan_algorithmE0ELj4294967295EEENS1_25partition_config_selectorILNS1_17partition_subalgoE4EjNS0_10empty_typeEbEEZZNS1_14partition_implILS8_4ELb0ES6_15HIP_vector_typeIjLj2EENS0_17counting_iteratorIjlEEPS9_SG_NS0_5tupleIJPjSI_NS0_16reverse_iteratorISI_EEEEENSH_IJSG_SG_SG_EEES9_SI_JZNS1_25segmented_radix_sort_implINS0_14default_configELb0EPKbPbPKlPlN2at6native12_GLOBAL__N_18offset_tEEE10hipError_tPvRmT1_PNSt15iterator_traitsIS12_E10value_typeET2_T3_PNS13_IS18_E10value_typeET4_jRbjT5_S1E_jjP12ihipStream_tbEUljE_ZNSN_ISO_Lb0ESQ_SR_ST_SU_SY_EESZ_S10_S11_S12_S16_S17_S18_S1B_S1C_jS1D_jS1E_S1E_jjS1G_bEUljE0_EEESZ_S10_S11_S18_S1C_S1E_T6_T7_T9_mT8_S1G_bDpT10_ENKUlT_T0_E_clISt17integral_constantIbLb0EES1T_IbLb1EEEEDaS1P_S1Q_EUlS1P_E_NS1_11comp_targetILNS1_3genE0ELNS1_11target_archE4294967295ELNS1_3gpuE0ELNS1_3repE0EEENS1_30default_config_static_selectorELNS0_4arch9wavefront6targetE1EEEvS12_, .Lfunc_end1593-_ZN7rocprim17ROCPRIM_400000_NS6detail17trampoline_kernelINS0_13select_configILj256ELj13ELNS0_17block_load_methodE3ELS4_3ELS4_3ELNS0_20block_scan_algorithmE0ELj4294967295EEENS1_25partition_config_selectorILNS1_17partition_subalgoE4EjNS0_10empty_typeEbEEZZNS1_14partition_implILS8_4ELb0ES6_15HIP_vector_typeIjLj2EENS0_17counting_iteratorIjlEEPS9_SG_NS0_5tupleIJPjSI_NS0_16reverse_iteratorISI_EEEEENSH_IJSG_SG_SG_EEES9_SI_JZNS1_25segmented_radix_sort_implINS0_14default_configELb0EPKbPbPKlPlN2at6native12_GLOBAL__N_18offset_tEEE10hipError_tPvRmT1_PNSt15iterator_traitsIS12_E10value_typeET2_T3_PNS13_IS18_E10value_typeET4_jRbjT5_S1E_jjP12ihipStream_tbEUljE_ZNSN_ISO_Lb0ESQ_SR_ST_SU_SY_EESZ_S10_S11_S12_S16_S17_S18_S1B_S1C_jS1D_jS1E_S1E_jjS1G_bEUljE0_EEESZ_S10_S11_S18_S1C_S1E_T6_T7_T9_mT8_S1G_bDpT10_ENKUlT_T0_E_clISt17integral_constantIbLb0EES1T_IbLb1EEEEDaS1P_S1Q_EUlS1P_E_NS1_11comp_targetILNS1_3genE0ELNS1_11target_archE4294967295ELNS1_3gpuE0ELNS1_3repE0EEENS1_30default_config_static_selectorELNS0_4arch9wavefront6targetE1EEEvS12_
                                        ; -- End function
	.section	.AMDGPU.csdata,"",@progbits
; Kernel info:
; codeLenInByte = 0
; NumSgprs: 4
; NumVgprs: 0
; NumAgprs: 0
; TotalNumVgprs: 0
; ScratchSize: 0
; MemoryBound: 0
; FloatMode: 240
; IeeeMode: 1
; LDSByteSize: 0 bytes/workgroup (compile time only)
; SGPRBlocks: 0
; VGPRBlocks: 0
; NumSGPRsForWavesPerEU: 4
; NumVGPRsForWavesPerEU: 1
; AccumOffset: 4
; Occupancy: 8
; WaveLimiterHint : 0
; COMPUTE_PGM_RSRC2:SCRATCH_EN: 0
; COMPUTE_PGM_RSRC2:USER_SGPR: 6
; COMPUTE_PGM_RSRC2:TRAP_HANDLER: 0
; COMPUTE_PGM_RSRC2:TGID_X_EN: 1
; COMPUTE_PGM_RSRC2:TGID_Y_EN: 0
; COMPUTE_PGM_RSRC2:TGID_Z_EN: 0
; COMPUTE_PGM_RSRC2:TIDIG_COMP_CNT: 0
; COMPUTE_PGM_RSRC3_GFX90A:ACCUM_OFFSET: 0
; COMPUTE_PGM_RSRC3_GFX90A:TG_SPLIT: 0
	.section	.text._ZN7rocprim17ROCPRIM_400000_NS6detail17trampoline_kernelINS0_13select_configILj256ELj13ELNS0_17block_load_methodE3ELS4_3ELS4_3ELNS0_20block_scan_algorithmE0ELj4294967295EEENS1_25partition_config_selectorILNS1_17partition_subalgoE4EjNS0_10empty_typeEbEEZZNS1_14partition_implILS8_4ELb0ES6_15HIP_vector_typeIjLj2EENS0_17counting_iteratorIjlEEPS9_SG_NS0_5tupleIJPjSI_NS0_16reverse_iteratorISI_EEEEENSH_IJSG_SG_SG_EEES9_SI_JZNS1_25segmented_radix_sort_implINS0_14default_configELb0EPKbPbPKlPlN2at6native12_GLOBAL__N_18offset_tEEE10hipError_tPvRmT1_PNSt15iterator_traitsIS12_E10value_typeET2_T3_PNS13_IS18_E10value_typeET4_jRbjT5_S1E_jjP12ihipStream_tbEUljE_ZNSN_ISO_Lb0ESQ_SR_ST_SU_SY_EESZ_S10_S11_S12_S16_S17_S18_S1B_S1C_jS1D_jS1E_S1E_jjS1G_bEUljE0_EEESZ_S10_S11_S18_S1C_S1E_T6_T7_T9_mT8_S1G_bDpT10_ENKUlT_T0_E_clISt17integral_constantIbLb0EES1T_IbLb1EEEEDaS1P_S1Q_EUlS1P_E_NS1_11comp_targetILNS1_3genE5ELNS1_11target_archE942ELNS1_3gpuE9ELNS1_3repE0EEENS1_30default_config_static_selectorELNS0_4arch9wavefront6targetE1EEEvS12_,"axG",@progbits,_ZN7rocprim17ROCPRIM_400000_NS6detail17trampoline_kernelINS0_13select_configILj256ELj13ELNS0_17block_load_methodE3ELS4_3ELS4_3ELNS0_20block_scan_algorithmE0ELj4294967295EEENS1_25partition_config_selectorILNS1_17partition_subalgoE4EjNS0_10empty_typeEbEEZZNS1_14partition_implILS8_4ELb0ES6_15HIP_vector_typeIjLj2EENS0_17counting_iteratorIjlEEPS9_SG_NS0_5tupleIJPjSI_NS0_16reverse_iteratorISI_EEEEENSH_IJSG_SG_SG_EEES9_SI_JZNS1_25segmented_radix_sort_implINS0_14default_configELb0EPKbPbPKlPlN2at6native12_GLOBAL__N_18offset_tEEE10hipError_tPvRmT1_PNSt15iterator_traitsIS12_E10value_typeET2_T3_PNS13_IS18_E10value_typeET4_jRbjT5_S1E_jjP12ihipStream_tbEUljE_ZNSN_ISO_Lb0ESQ_SR_ST_SU_SY_EESZ_S10_S11_S12_S16_S17_S18_S1B_S1C_jS1D_jS1E_S1E_jjS1G_bEUljE0_EEESZ_S10_S11_S18_S1C_S1E_T6_T7_T9_mT8_S1G_bDpT10_ENKUlT_T0_E_clISt17integral_constantIbLb0EES1T_IbLb1EEEEDaS1P_S1Q_EUlS1P_E_NS1_11comp_targetILNS1_3genE5ELNS1_11target_archE942ELNS1_3gpuE9ELNS1_3repE0EEENS1_30default_config_static_selectorELNS0_4arch9wavefront6targetE1EEEvS12_,comdat
	.globl	_ZN7rocprim17ROCPRIM_400000_NS6detail17trampoline_kernelINS0_13select_configILj256ELj13ELNS0_17block_load_methodE3ELS4_3ELS4_3ELNS0_20block_scan_algorithmE0ELj4294967295EEENS1_25partition_config_selectorILNS1_17partition_subalgoE4EjNS0_10empty_typeEbEEZZNS1_14partition_implILS8_4ELb0ES6_15HIP_vector_typeIjLj2EENS0_17counting_iteratorIjlEEPS9_SG_NS0_5tupleIJPjSI_NS0_16reverse_iteratorISI_EEEEENSH_IJSG_SG_SG_EEES9_SI_JZNS1_25segmented_radix_sort_implINS0_14default_configELb0EPKbPbPKlPlN2at6native12_GLOBAL__N_18offset_tEEE10hipError_tPvRmT1_PNSt15iterator_traitsIS12_E10value_typeET2_T3_PNS13_IS18_E10value_typeET4_jRbjT5_S1E_jjP12ihipStream_tbEUljE_ZNSN_ISO_Lb0ESQ_SR_ST_SU_SY_EESZ_S10_S11_S12_S16_S17_S18_S1B_S1C_jS1D_jS1E_S1E_jjS1G_bEUljE0_EEESZ_S10_S11_S18_S1C_S1E_T6_T7_T9_mT8_S1G_bDpT10_ENKUlT_T0_E_clISt17integral_constantIbLb0EES1T_IbLb1EEEEDaS1P_S1Q_EUlS1P_E_NS1_11comp_targetILNS1_3genE5ELNS1_11target_archE942ELNS1_3gpuE9ELNS1_3repE0EEENS1_30default_config_static_selectorELNS0_4arch9wavefront6targetE1EEEvS12_ ; -- Begin function _ZN7rocprim17ROCPRIM_400000_NS6detail17trampoline_kernelINS0_13select_configILj256ELj13ELNS0_17block_load_methodE3ELS4_3ELS4_3ELNS0_20block_scan_algorithmE0ELj4294967295EEENS1_25partition_config_selectorILNS1_17partition_subalgoE4EjNS0_10empty_typeEbEEZZNS1_14partition_implILS8_4ELb0ES6_15HIP_vector_typeIjLj2EENS0_17counting_iteratorIjlEEPS9_SG_NS0_5tupleIJPjSI_NS0_16reverse_iteratorISI_EEEEENSH_IJSG_SG_SG_EEES9_SI_JZNS1_25segmented_radix_sort_implINS0_14default_configELb0EPKbPbPKlPlN2at6native12_GLOBAL__N_18offset_tEEE10hipError_tPvRmT1_PNSt15iterator_traitsIS12_E10value_typeET2_T3_PNS13_IS18_E10value_typeET4_jRbjT5_S1E_jjP12ihipStream_tbEUljE_ZNSN_ISO_Lb0ESQ_SR_ST_SU_SY_EESZ_S10_S11_S12_S16_S17_S18_S1B_S1C_jS1D_jS1E_S1E_jjS1G_bEUljE0_EEESZ_S10_S11_S18_S1C_S1E_T6_T7_T9_mT8_S1G_bDpT10_ENKUlT_T0_E_clISt17integral_constantIbLb0EES1T_IbLb1EEEEDaS1P_S1Q_EUlS1P_E_NS1_11comp_targetILNS1_3genE5ELNS1_11target_archE942ELNS1_3gpuE9ELNS1_3repE0EEENS1_30default_config_static_selectorELNS0_4arch9wavefront6targetE1EEEvS12_
	.p2align	8
	.type	_ZN7rocprim17ROCPRIM_400000_NS6detail17trampoline_kernelINS0_13select_configILj256ELj13ELNS0_17block_load_methodE3ELS4_3ELS4_3ELNS0_20block_scan_algorithmE0ELj4294967295EEENS1_25partition_config_selectorILNS1_17partition_subalgoE4EjNS0_10empty_typeEbEEZZNS1_14partition_implILS8_4ELb0ES6_15HIP_vector_typeIjLj2EENS0_17counting_iteratorIjlEEPS9_SG_NS0_5tupleIJPjSI_NS0_16reverse_iteratorISI_EEEEENSH_IJSG_SG_SG_EEES9_SI_JZNS1_25segmented_radix_sort_implINS0_14default_configELb0EPKbPbPKlPlN2at6native12_GLOBAL__N_18offset_tEEE10hipError_tPvRmT1_PNSt15iterator_traitsIS12_E10value_typeET2_T3_PNS13_IS18_E10value_typeET4_jRbjT5_S1E_jjP12ihipStream_tbEUljE_ZNSN_ISO_Lb0ESQ_SR_ST_SU_SY_EESZ_S10_S11_S12_S16_S17_S18_S1B_S1C_jS1D_jS1E_S1E_jjS1G_bEUljE0_EEESZ_S10_S11_S18_S1C_S1E_T6_T7_T9_mT8_S1G_bDpT10_ENKUlT_T0_E_clISt17integral_constantIbLb0EES1T_IbLb1EEEEDaS1P_S1Q_EUlS1P_E_NS1_11comp_targetILNS1_3genE5ELNS1_11target_archE942ELNS1_3gpuE9ELNS1_3repE0EEENS1_30default_config_static_selectorELNS0_4arch9wavefront6targetE1EEEvS12_,@function
_ZN7rocprim17ROCPRIM_400000_NS6detail17trampoline_kernelINS0_13select_configILj256ELj13ELNS0_17block_load_methodE3ELS4_3ELS4_3ELNS0_20block_scan_algorithmE0ELj4294967295EEENS1_25partition_config_selectorILNS1_17partition_subalgoE4EjNS0_10empty_typeEbEEZZNS1_14partition_implILS8_4ELb0ES6_15HIP_vector_typeIjLj2EENS0_17counting_iteratorIjlEEPS9_SG_NS0_5tupleIJPjSI_NS0_16reverse_iteratorISI_EEEEENSH_IJSG_SG_SG_EEES9_SI_JZNS1_25segmented_radix_sort_implINS0_14default_configELb0EPKbPbPKlPlN2at6native12_GLOBAL__N_18offset_tEEE10hipError_tPvRmT1_PNSt15iterator_traitsIS12_E10value_typeET2_T3_PNS13_IS18_E10value_typeET4_jRbjT5_S1E_jjP12ihipStream_tbEUljE_ZNSN_ISO_Lb0ESQ_SR_ST_SU_SY_EESZ_S10_S11_S12_S16_S17_S18_S1B_S1C_jS1D_jS1E_S1E_jjS1G_bEUljE0_EEESZ_S10_S11_S18_S1C_S1E_T6_T7_T9_mT8_S1G_bDpT10_ENKUlT_T0_E_clISt17integral_constantIbLb0EES1T_IbLb1EEEEDaS1P_S1Q_EUlS1P_E_NS1_11comp_targetILNS1_3genE5ELNS1_11target_archE942ELNS1_3gpuE9ELNS1_3repE0EEENS1_30default_config_static_selectorELNS0_4arch9wavefront6targetE1EEEvS12_: ; @_ZN7rocprim17ROCPRIM_400000_NS6detail17trampoline_kernelINS0_13select_configILj256ELj13ELNS0_17block_load_methodE3ELS4_3ELS4_3ELNS0_20block_scan_algorithmE0ELj4294967295EEENS1_25partition_config_selectorILNS1_17partition_subalgoE4EjNS0_10empty_typeEbEEZZNS1_14partition_implILS8_4ELb0ES6_15HIP_vector_typeIjLj2EENS0_17counting_iteratorIjlEEPS9_SG_NS0_5tupleIJPjSI_NS0_16reverse_iteratorISI_EEEEENSH_IJSG_SG_SG_EEES9_SI_JZNS1_25segmented_radix_sort_implINS0_14default_configELb0EPKbPbPKlPlN2at6native12_GLOBAL__N_18offset_tEEE10hipError_tPvRmT1_PNSt15iterator_traitsIS12_E10value_typeET2_T3_PNS13_IS18_E10value_typeET4_jRbjT5_S1E_jjP12ihipStream_tbEUljE_ZNSN_ISO_Lb0ESQ_SR_ST_SU_SY_EESZ_S10_S11_S12_S16_S17_S18_S1B_S1C_jS1D_jS1E_S1E_jjS1G_bEUljE0_EEESZ_S10_S11_S18_S1C_S1E_T6_T7_T9_mT8_S1G_bDpT10_ENKUlT_T0_E_clISt17integral_constantIbLb0EES1T_IbLb1EEEEDaS1P_S1Q_EUlS1P_E_NS1_11comp_targetILNS1_3genE5ELNS1_11target_archE942ELNS1_3gpuE9ELNS1_3repE0EEENS1_30default_config_static_selectorELNS0_4arch9wavefront6targetE1EEEvS12_
; %bb.0:
	.section	.rodata,"a",@progbits
	.p2align	6, 0x0
	.amdhsa_kernel _ZN7rocprim17ROCPRIM_400000_NS6detail17trampoline_kernelINS0_13select_configILj256ELj13ELNS0_17block_load_methodE3ELS4_3ELS4_3ELNS0_20block_scan_algorithmE0ELj4294967295EEENS1_25partition_config_selectorILNS1_17partition_subalgoE4EjNS0_10empty_typeEbEEZZNS1_14partition_implILS8_4ELb0ES6_15HIP_vector_typeIjLj2EENS0_17counting_iteratorIjlEEPS9_SG_NS0_5tupleIJPjSI_NS0_16reverse_iteratorISI_EEEEENSH_IJSG_SG_SG_EEES9_SI_JZNS1_25segmented_radix_sort_implINS0_14default_configELb0EPKbPbPKlPlN2at6native12_GLOBAL__N_18offset_tEEE10hipError_tPvRmT1_PNSt15iterator_traitsIS12_E10value_typeET2_T3_PNS13_IS18_E10value_typeET4_jRbjT5_S1E_jjP12ihipStream_tbEUljE_ZNSN_ISO_Lb0ESQ_SR_ST_SU_SY_EESZ_S10_S11_S12_S16_S17_S18_S1B_S1C_jS1D_jS1E_S1E_jjS1G_bEUljE0_EEESZ_S10_S11_S18_S1C_S1E_T6_T7_T9_mT8_S1G_bDpT10_ENKUlT_T0_E_clISt17integral_constantIbLb0EES1T_IbLb1EEEEDaS1P_S1Q_EUlS1P_E_NS1_11comp_targetILNS1_3genE5ELNS1_11target_archE942ELNS1_3gpuE9ELNS1_3repE0EEENS1_30default_config_static_selectorELNS0_4arch9wavefront6targetE1EEEvS12_
		.amdhsa_group_segment_fixed_size 0
		.amdhsa_private_segment_fixed_size 0
		.amdhsa_kernarg_size 184
		.amdhsa_user_sgpr_count 6
		.amdhsa_user_sgpr_private_segment_buffer 1
		.amdhsa_user_sgpr_dispatch_ptr 0
		.amdhsa_user_sgpr_queue_ptr 0
		.amdhsa_user_sgpr_kernarg_segment_ptr 1
		.amdhsa_user_sgpr_dispatch_id 0
		.amdhsa_user_sgpr_flat_scratch_init 0
		.amdhsa_user_sgpr_kernarg_preload_length 0
		.amdhsa_user_sgpr_kernarg_preload_offset 0
		.amdhsa_user_sgpr_private_segment_size 0
		.amdhsa_uses_dynamic_stack 0
		.amdhsa_system_sgpr_private_segment_wavefront_offset 0
		.amdhsa_system_sgpr_workgroup_id_x 1
		.amdhsa_system_sgpr_workgroup_id_y 0
		.amdhsa_system_sgpr_workgroup_id_z 0
		.amdhsa_system_sgpr_workgroup_info 0
		.amdhsa_system_vgpr_workitem_id 0
		.amdhsa_next_free_vgpr 1
		.amdhsa_next_free_sgpr 0
		.amdhsa_accum_offset 4
		.amdhsa_reserve_vcc 0
		.amdhsa_reserve_flat_scratch 0
		.amdhsa_float_round_mode_32 0
		.amdhsa_float_round_mode_16_64 0
		.amdhsa_float_denorm_mode_32 3
		.amdhsa_float_denorm_mode_16_64 3
		.amdhsa_dx10_clamp 1
		.amdhsa_ieee_mode 1
		.amdhsa_fp16_overflow 0
		.amdhsa_tg_split 0
		.amdhsa_exception_fp_ieee_invalid_op 0
		.amdhsa_exception_fp_denorm_src 0
		.amdhsa_exception_fp_ieee_div_zero 0
		.amdhsa_exception_fp_ieee_overflow 0
		.amdhsa_exception_fp_ieee_underflow 0
		.amdhsa_exception_fp_ieee_inexact 0
		.amdhsa_exception_int_div_zero 0
	.end_amdhsa_kernel
	.section	.text._ZN7rocprim17ROCPRIM_400000_NS6detail17trampoline_kernelINS0_13select_configILj256ELj13ELNS0_17block_load_methodE3ELS4_3ELS4_3ELNS0_20block_scan_algorithmE0ELj4294967295EEENS1_25partition_config_selectorILNS1_17partition_subalgoE4EjNS0_10empty_typeEbEEZZNS1_14partition_implILS8_4ELb0ES6_15HIP_vector_typeIjLj2EENS0_17counting_iteratorIjlEEPS9_SG_NS0_5tupleIJPjSI_NS0_16reverse_iteratorISI_EEEEENSH_IJSG_SG_SG_EEES9_SI_JZNS1_25segmented_radix_sort_implINS0_14default_configELb0EPKbPbPKlPlN2at6native12_GLOBAL__N_18offset_tEEE10hipError_tPvRmT1_PNSt15iterator_traitsIS12_E10value_typeET2_T3_PNS13_IS18_E10value_typeET4_jRbjT5_S1E_jjP12ihipStream_tbEUljE_ZNSN_ISO_Lb0ESQ_SR_ST_SU_SY_EESZ_S10_S11_S12_S16_S17_S18_S1B_S1C_jS1D_jS1E_S1E_jjS1G_bEUljE0_EEESZ_S10_S11_S18_S1C_S1E_T6_T7_T9_mT8_S1G_bDpT10_ENKUlT_T0_E_clISt17integral_constantIbLb0EES1T_IbLb1EEEEDaS1P_S1Q_EUlS1P_E_NS1_11comp_targetILNS1_3genE5ELNS1_11target_archE942ELNS1_3gpuE9ELNS1_3repE0EEENS1_30default_config_static_selectorELNS0_4arch9wavefront6targetE1EEEvS12_,"axG",@progbits,_ZN7rocprim17ROCPRIM_400000_NS6detail17trampoline_kernelINS0_13select_configILj256ELj13ELNS0_17block_load_methodE3ELS4_3ELS4_3ELNS0_20block_scan_algorithmE0ELj4294967295EEENS1_25partition_config_selectorILNS1_17partition_subalgoE4EjNS0_10empty_typeEbEEZZNS1_14partition_implILS8_4ELb0ES6_15HIP_vector_typeIjLj2EENS0_17counting_iteratorIjlEEPS9_SG_NS0_5tupleIJPjSI_NS0_16reverse_iteratorISI_EEEEENSH_IJSG_SG_SG_EEES9_SI_JZNS1_25segmented_radix_sort_implINS0_14default_configELb0EPKbPbPKlPlN2at6native12_GLOBAL__N_18offset_tEEE10hipError_tPvRmT1_PNSt15iterator_traitsIS12_E10value_typeET2_T3_PNS13_IS18_E10value_typeET4_jRbjT5_S1E_jjP12ihipStream_tbEUljE_ZNSN_ISO_Lb0ESQ_SR_ST_SU_SY_EESZ_S10_S11_S12_S16_S17_S18_S1B_S1C_jS1D_jS1E_S1E_jjS1G_bEUljE0_EEESZ_S10_S11_S18_S1C_S1E_T6_T7_T9_mT8_S1G_bDpT10_ENKUlT_T0_E_clISt17integral_constantIbLb0EES1T_IbLb1EEEEDaS1P_S1Q_EUlS1P_E_NS1_11comp_targetILNS1_3genE5ELNS1_11target_archE942ELNS1_3gpuE9ELNS1_3repE0EEENS1_30default_config_static_selectorELNS0_4arch9wavefront6targetE1EEEvS12_,comdat
.Lfunc_end1594:
	.size	_ZN7rocprim17ROCPRIM_400000_NS6detail17trampoline_kernelINS0_13select_configILj256ELj13ELNS0_17block_load_methodE3ELS4_3ELS4_3ELNS0_20block_scan_algorithmE0ELj4294967295EEENS1_25partition_config_selectorILNS1_17partition_subalgoE4EjNS0_10empty_typeEbEEZZNS1_14partition_implILS8_4ELb0ES6_15HIP_vector_typeIjLj2EENS0_17counting_iteratorIjlEEPS9_SG_NS0_5tupleIJPjSI_NS0_16reverse_iteratorISI_EEEEENSH_IJSG_SG_SG_EEES9_SI_JZNS1_25segmented_radix_sort_implINS0_14default_configELb0EPKbPbPKlPlN2at6native12_GLOBAL__N_18offset_tEEE10hipError_tPvRmT1_PNSt15iterator_traitsIS12_E10value_typeET2_T3_PNS13_IS18_E10value_typeET4_jRbjT5_S1E_jjP12ihipStream_tbEUljE_ZNSN_ISO_Lb0ESQ_SR_ST_SU_SY_EESZ_S10_S11_S12_S16_S17_S18_S1B_S1C_jS1D_jS1E_S1E_jjS1G_bEUljE0_EEESZ_S10_S11_S18_S1C_S1E_T6_T7_T9_mT8_S1G_bDpT10_ENKUlT_T0_E_clISt17integral_constantIbLb0EES1T_IbLb1EEEEDaS1P_S1Q_EUlS1P_E_NS1_11comp_targetILNS1_3genE5ELNS1_11target_archE942ELNS1_3gpuE9ELNS1_3repE0EEENS1_30default_config_static_selectorELNS0_4arch9wavefront6targetE1EEEvS12_, .Lfunc_end1594-_ZN7rocprim17ROCPRIM_400000_NS6detail17trampoline_kernelINS0_13select_configILj256ELj13ELNS0_17block_load_methodE3ELS4_3ELS4_3ELNS0_20block_scan_algorithmE0ELj4294967295EEENS1_25partition_config_selectorILNS1_17partition_subalgoE4EjNS0_10empty_typeEbEEZZNS1_14partition_implILS8_4ELb0ES6_15HIP_vector_typeIjLj2EENS0_17counting_iteratorIjlEEPS9_SG_NS0_5tupleIJPjSI_NS0_16reverse_iteratorISI_EEEEENSH_IJSG_SG_SG_EEES9_SI_JZNS1_25segmented_radix_sort_implINS0_14default_configELb0EPKbPbPKlPlN2at6native12_GLOBAL__N_18offset_tEEE10hipError_tPvRmT1_PNSt15iterator_traitsIS12_E10value_typeET2_T3_PNS13_IS18_E10value_typeET4_jRbjT5_S1E_jjP12ihipStream_tbEUljE_ZNSN_ISO_Lb0ESQ_SR_ST_SU_SY_EESZ_S10_S11_S12_S16_S17_S18_S1B_S1C_jS1D_jS1E_S1E_jjS1G_bEUljE0_EEESZ_S10_S11_S18_S1C_S1E_T6_T7_T9_mT8_S1G_bDpT10_ENKUlT_T0_E_clISt17integral_constantIbLb0EES1T_IbLb1EEEEDaS1P_S1Q_EUlS1P_E_NS1_11comp_targetILNS1_3genE5ELNS1_11target_archE942ELNS1_3gpuE9ELNS1_3repE0EEENS1_30default_config_static_selectorELNS0_4arch9wavefront6targetE1EEEvS12_
                                        ; -- End function
	.section	.AMDGPU.csdata,"",@progbits
; Kernel info:
; codeLenInByte = 0
; NumSgprs: 4
; NumVgprs: 0
; NumAgprs: 0
; TotalNumVgprs: 0
; ScratchSize: 0
; MemoryBound: 0
; FloatMode: 240
; IeeeMode: 1
; LDSByteSize: 0 bytes/workgroup (compile time only)
; SGPRBlocks: 0
; VGPRBlocks: 0
; NumSGPRsForWavesPerEU: 4
; NumVGPRsForWavesPerEU: 1
; AccumOffset: 4
; Occupancy: 8
; WaveLimiterHint : 0
; COMPUTE_PGM_RSRC2:SCRATCH_EN: 0
; COMPUTE_PGM_RSRC2:USER_SGPR: 6
; COMPUTE_PGM_RSRC2:TRAP_HANDLER: 0
; COMPUTE_PGM_RSRC2:TGID_X_EN: 1
; COMPUTE_PGM_RSRC2:TGID_Y_EN: 0
; COMPUTE_PGM_RSRC2:TGID_Z_EN: 0
; COMPUTE_PGM_RSRC2:TIDIG_COMP_CNT: 0
; COMPUTE_PGM_RSRC3_GFX90A:ACCUM_OFFSET: 0
; COMPUTE_PGM_RSRC3_GFX90A:TG_SPLIT: 0
	.section	.text._ZN7rocprim17ROCPRIM_400000_NS6detail17trampoline_kernelINS0_13select_configILj256ELj13ELNS0_17block_load_methodE3ELS4_3ELS4_3ELNS0_20block_scan_algorithmE0ELj4294967295EEENS1_25partition_config_selectorILNS1_17partition_subalgoE4EjNS0_10empty_typeEbEEZZNS1_14partition_implILS8_4ELb0ES6_15HIP_vector_typeIjLj2EENS0_17counting_iteratorIjlEEPS9_SG_NS0_5tupleIJPjSI_NS0_16reverse_iteratorISI_EEEEENSH_IJSG_SG_SG_EEES9_SI_JZNS1_25segmented_radix_sort_implINS0_14default_configELb0EPKbPbPKlPlN2at6native12_GLOBAL__N_18offset_tEEE10hipError_tPvRmT1_PNSt15iterator_traitsIS12_E10value_typeET2_T3_PNS13_IS18_E10value_typeET4_jRbjT5_S1E_jjP12ihipStream_tbEUljE_ZNSN_ISO_Lb0ESQ_SR_ST_SU_SY_EESZ_S10_S11_S12_S16_S17_S18_S1B_S1C_jS1D_jS1E_S1E_jjS1G_bEUljE0_EEESZ_S10_S11_S18_S1C_S1E_T6_T7_T9_mT8_S1G_bDpT10_ENKUlT_T0_E_clISt17integral_constantIbLb0EES1T_IbLb1EEEEDaS1P_S1Q_EUlS1P_E_NS1_11comp_targetILNS1_3genE4ELNS1_11target_archE910ELNS1_3gpuE8ELNS1_3repE0EEENS1_30default_config_static_selectorELNS0_4arch9wavefront6targetE1EEEvS12_,"axG",@progbits,_ZN7rocprim17ROCPRIM_400000_NS6detail17trampoline_kernelINS0_13select_configILj256ELj13ELNS0_17block_load_methodE3ELS4_3ELS4_3ELNS0_20block_scan_algorithmE0ELj4294967295EEENS1_25partition_config_selectorILNS1_17partition_subalgoE4EjNS0_10empty_typeEbEEZZNS1_14partition_implILS8_4ELb0ES6_15HIP_vector_typeIjLj2EENS0_17counting_iteratorIjlEEPS9_SG_NS0_5tupleIJPjSI_NS0_16reverse_iteratorISI_EEEEENSH_IJSG_SG_SG_EEES9_SI_JZNS1_25segmented_radix_sort_implINS0_14default_configELb0EPKbPbPKlPlN2at6native12_GLOBAL__N_18offset_tEEE10hipError_tPvRmT1_PNSt15iterator_traitsIS12_E10value_typeET2_T3_PNS13_IS18_E10value_typeET4_jRbjT5_S1E_jjP12ihipStream_tbEUljE_ZNSN_ISO_Lb0ESQ_SR_ST_SU_SY_EESZ_S10_S11_S12_S16_S17_S18_S1B_S1C_jS1D_jS1E_S1E_jjS1G_bEUljE0_EEESZ_S10_S11_S18_S1C_S1E_T6_T7_T9_mT8_S1G_bDpT10_ENKUlT_T0_E_clISt17integral_constantIbLb0EES1T_IbLb1EEEEDaS1P_S1Q_EUlS1P_E_NS1_11comp_targetILNS1_3genE4ELNS1_11target_archE910ELNS1_3gpuE8ELNS1_3repE0EEENS1_30default_config_static_selectorELNS0_4arch9wavefront6targetE1EEEvS12_,comdat
	.globl	_ZN7rocprim17ROCPRIM_400000_NS6detail17trampoline_kernelINS0_13select_configILj256ELj13ELNS0_17block_load_methodE3ELS4_3ELS4_3ELNS0_20block_scan_algorithmE0ELj4294967295EEENS1_25partition_config_selectorILNS1_17partition_subalgoE4EjNS0_10empty_typeEbEEZZNS1_14partition_implILS8_4ELb0ES6_15HIP_vector_typeIjLj2EENS0_17counting_iteratorIjlEEPS9_SG_NS0_5tupleIJPjSI_NS0_16reverse_iteratorISI_EEEEENSH_IJSG_SG_SG_EEES9_SI_JZNS1_25segmented_radix_sort_implINS0_14default_configELb0EPKbPbPKlPlN2at6native12_GLOBAL__N_18offset_tEEE10hipError_tPvRmT1_PNSt15iterator_traitsIS12_E10value_typeET2_T3_PNS13_IS18_E10value_typeET4_jRbjT5_S1E_jjP12ihipStream_tbEUljE_ZNSN_ISO_Lb0ESQ_SR_ST_SU_SY_EESZ_S10_S11_S12_S16_S17_S18_S1B_S1C_jS1D_jS1E_S1E_jjS1G_bEUljE0_EEESZ_S10_S11_S18_S1C_S1E_T6_T7_T9_mT8_S1G_bDpT10_ENKUlT_T0_E_clISt17integral_constantIbLb0EES1T_IbLb1EEEEDaS1P_S1Q_EUlS1P_E_NS1_11comp_targetILNS1_3genE4ELNS1_11target_archE910ELNS1_3gpuE8ELNS1_3repE0EEENS1_30default_config_static_selectorELNS0_4arch9wavefront6targetE1EEEvS12_ ; -- Begin function _ZN7rocprim17ROCPRIM_400000_NS6detail17trampoline_kernelINS0_13select_configILj256ELj13ELNS0_17block_load_methodE3ELS4_3ELS4_3ELNS0_20block_scan_algorithmE0ELj4294967295EEENS1_25partition_config_selectorILNS1_17partition_subalgoE4EjNS0_10empty_typeEbEEZZNS1_14partition_implILS8_4ELb0ES6_15HIP_vector_typeIjLj2EENS0_17counting_iteratorIjlEEPS9_SG_NS0_5tupleIJPjSI_NS0_16reverse_iteratorISI_EEEEENSH_IJSG_SG_SG_EEES9_SI_JZNS1_25segmented_radix_sort_implINS0_14default_configELb0EPKbPbPKlPlN2at6native12_GLOBAL__N_18offset_tEEE10hipError_tPvRmT1_PNSt15iterator_traitsIS12_E10value_typeET2_T3_PNS13_IS18_E10value_typeET4_jRbjT5_S1E_jjP12ihipStream_tbEUljE_ZNSN_ISO_Lb0ESQ_SR_ST_SU_SY_EESZ_S10_S11_S12_S16_S17_S18_S1B_S1C_jS1D_jS1E_S1E_jjS1G_bEUljE0_EEESZ_S10_S11_S18_S1C_S1E_T6_T7_T9_mT8_S1G_bDpT10_ENKUlT_T0_E_clISt17integral_constantIbLb0EES1T_IbLb1EEEEDaS1P_S1Q_EUlS1P_E_NS1_11comp_targetILNS1_3genE4ELNS1_11target_archE910ELNS1_3gpuE8ELNS1_3repE0EEENS1_30default_config_static_selectorELNS0_4arch9wavefront6targetE1EEEvS12_
	.p2align	8
	.type	_ZN7rocprim17ROCPRIM_400000_NS6detail17trampoline_kernelINS0_13select_configILj256ELj13ELNS0_17block_load_methodE3ELS4_3ELS4_3ELNS0_20block_scan_algorithmE0ELj4294967295EEENS1_25partition_config_selectorILNS1_17partition_subalgoE4EjNS0_10empty_typeEbEEZZNS1_14partition_implILS8_4ELb0ES6_15HIP_vector_typeIjLj2EENS0_17counting_iteratorIjlEEPS9_SG_NS0_5tupleIJPjSI_NS0_16reverse_iteratorISI_EEEEENSH_IJSG_SG_SG_EEES9_SI_JZNS1_25segmented_radix_sort_implINS0_14default_configELb0EPKbPbPKlPlN2at6native12_GLOBAL__N_18offset_tEEE10hipError_tPvRmT1_PNSt15iterator_traitsIS12_E10value_typeET2_T3_PNS13_IS18_E10value_typeET4_jRbjT5_S1E_jjP12ihipStream_tbEUljE_ZNSN_ISO_Lb0ESQ_SR_ST_SU_SY_EESZ_S10_S11_S12_S16_S17_S18_S1B_S1C_jS1D_jS1E_S1E_jjS1G_bEUljE0_EEESZ_S10_S11_S18_S1C_S1E_T6_T7_T9_mT8_S1G_bDpT10_ENKUlT_T0_E_clISt17integral_constantIbLb0EES1T_IbLb1EEEEDaS1P_S1Q_EUlS1P_E_NS1_11comp_targetILNS1_3genE4ELNS1_11target_archE910ELNS1_3gpuE8ELNS1_3repE0EEENS1_30default_config_static_selectorELNS0_4arch9wavefront6targetE1EEEvS12_,@function
_ZN7rocprim17ROCPRIM_400000_NS6detail17trampoline_kernelINS0_13select_configILj256ELj13ELNS0_17block_load_methodE3ELS4_3ELS4_3ELNS0_20block_scan_algorithmE0ELj4294967295EEENS1_25partition_config_selectorILNS1_17partition_subalgoE4EjNS0_10empty_typeEbEEZZNS1_14partition_implILS8_4ELb0ES6_15HIP_vector_typeIjLj2EENS0_17counting_iteratorIjlEEPS9_SG_NS0_5tupleIJPjSI_NS0_16reverse_iteratorISI_EEEEENSH_IJSG_SG_SG_EEES9_SI_JZNS1_25segmented_radix_sort_implINS0_14default_configELb0EPKbPbPKlPlN2at6native12_GLOBAL__N_18offset_tEEE10hipError_tPvRmT1_PNSt15iterator_traitsIS12_E10value_typeET2_T3_PNS13_IS18_E10value_typeET4_jRbjT5_S1E_jjP12ihipStream_tbEUljE_ZNSN_ISO_Lb0ESQ_SR_ST_SU_SY_EESZ_S10_S11_S12_S16_S17_S18_S1B_S1C_jS1D_jS1E_S1E_jjS1G_bEUljE0_EEESZ_S10_S11_S18_S1C_S1E_T6_T7_T9_mT8_S1G_bDpT10_ENKUlT_T0_E_clISt17integral_constantIbLb0EES1T_IbLb1EEEEDaS1P_S1Q_EUlS1P_E_NS1_11comp_targetILNS1_3genE4ELNS1_11target_archE910ELNS1_3gpuE8ELNS1_3repE0EEENS1_30default_config_static_selectorELNS0_4arch9wavefront6targetE1EEEvS12_: ; @_ZN7rocprim17ROCPRIM_400000_NS6detail17trampoline_kernelINS0_13select_configILj256ELj13ELNS0_17block_load_methodE3ELS4_3ELS4_3ELNS0_20block_scan_algorithmE0ELj4294967295EEENS1_25partition_config_selectorILNS1_17partition_subalgoE4EjNS0_10empty_typeEbEEZZNS1_14partition_implILS8_4ELb0ES6_15HIP_vector_typeIjLj2EENS0_17counting_iteratorIjlEEPS9_SG_NS0_5tupleIJPjSI_NS0_16reverse_iteratorISI_EEEEENSH_IJSG_SG_SG_EEES9_SI_JZNS1_25segmented_radix_sort_implINS0_14default_configELb0EPKbPbPKlPlN2at6native12_GLOBAL__N_18offset_tEEE10hipError_tPvRmT1_PNSt15iterator_traitsIS12_E10value_typeET2_T3_PNS13_IS18_E10value_typeET4_jRbjT5_S1E_jjP12ihipStream_tbEUljE_ZNSN_ISO_Lb0ESQ_SR_ST_SU_SY_EESZ_S10_S11_S12_S16_S17_S18_S1B_S1C_jS1D_jS1E_S1E_jjS1G_bEUljE0_EEESZ_S10_S11_S18_S1C_S1E_T6_T7_T9_mT8_S1G_bDpT10_ENKUlT_T0_E_clISt17integral_constantIbLb0EES1T_IbLb1EEEEDaS1P_S1Q_EUlS1P_E_NS1_11comp_targetILNS1_3genE4ELNS1_11target_archE910ELNS1_3gpuE8ELNS1_3repE0EEENS1_30default_config_static_selectorELNS0_4arch9wavefront6targetE1EEEvS12_
; %bb.0:
	s_load_dwordx2 s[48:49], s[4:5], 0x10
	s_load_dwordx4 s[44:47], s[4:5], 0x28
	s_load_dwordx2 s[34:35], s[4:5], 0x38
	s_load_dwordx4 s[28:31], s[4:5], 0x58
	s_load_dwordx2 s[2:3], s[4:5], 0x68
	s_load_dwordx2 s[50:51], s[4:5], 0x78
	;; [unrolled: 1-line block ×3, first 2 shown]
	s_load_dwordx8 s[36:43], s[4:5], 0x90
	v_cmp_eq_u32_e64 s[0:1], 0, v0
	s_and_saveexec_b64 s[6:7], s[0:1]
	s_cbranch_execz .LBB1595_4
; %bb.1:
	s_mov_b64 s[10:11], exec
	v_mbcnt_lo_u32_b32 v1, s10, 0
	v_mbcnt_hi_u32_b32 v1, s11, v1
	v_cmp_eq_u32_e32 vcc, 0, v1
                                        ; implicit-def: $vgpr2
	s_and_saveexec_b64 s[8:9], vcc
	s_cbranch_execz .LBB1595_3
; %bb.2:
	s_load_dwordx2 s[12:13], s[4:5], 0x88
	s_bcnt1_i32_b64 s10, s[10:11]
	v_mov_b32_e32 v2, 0
	v_mov_b32_e32 v3, s10
	s_waitcnt lgkmcnt(0)
	global_atomic_add v2, v2, v3, s[12:13] glc
.LBB1595_3:
	s_or_b64 exec, exec, s[8:9]
	s_waitcnt vmcnt(0)
	v_readfirstlane_b32 s8, v2
	v_add_u32_e32 v1, s8, v1
	v_mov_b32_e32 v2, 0
	ds_write_b32 v2, v1
.LBB1595_4:
	s_or_b64 exec, exec, s[6:7]
	v_mov_b32_e32 v1, 0
	s_load_dword s7, s[4:5], 0x8
	s_load_dword s6, s[4:5], 0x80
	s_waitcnt lgkmcnt(0)
	s_barrier
	ds_read_b32 v8, v1
	s_waitcnt lgkmcnt(0)
	s_barrier
	global_load_dwordx4 v[2:5], v1, s[30:31]
	v_mov_b32_e32 v7, s3
	s_movk_i32 s3, 0xd00
	s_add_i32 s8, s7, s48
	v_mul_lo_u32 v34, v8, s3
	s_add_i32 s7, s6, -1
	s_mul_i32 s3, s6, 0xd00
	s_add_u32 s4, s48, s3
	v_readfirstlane_b32 s33, v8
	s_addc_u32 s5, s49, 0
	s_cmp_eq_u32 s33, s7
	v_mov_b32_e32 v6, s2
	s_cselect_b64 s[30:31], -1, 0
	s_cmp_lg_u32 s33, s7
	v_cmp_lt_u64_e32 vcc, s[4:5], v[6:7]
	s_cselect_b64 s[4:5], -1, 0
	s_or_b64 s[4:5], vcc, s[4:5]
	v_add_u32_e32 v1, s8, v34
	s_mov_b64 s[6:7], -1
	s_and_b64 vcc, exec, s[4:5]
	v_add_u32_e32 v1, v1, v0
	s_cbranch_vccz .LBB1595_6
; %bb.5:
	v_add_u32_e32 v6, 0x100, v1
	v_lshlrev_b32_e32 v18, 2, v0
	v_add_u32_e32 v7, 0x200, v1
	v_add_u32_e32 v8, 0x300, v1
	;; [unrolled: 1-line block ×11, first 2 shown]
	ds_write2st64_b32 v18, v1, v6 offset1:4
	ds_write2st64_b32 v18, v7, v8 offset0:8 offset1:12
	ds_write2st64_b32 v18, v9, v10 offset0:16 offset1:20
	;; [unrolled: 1-line block ×5, first 2 shown]
	ds_write_b32 v18, v17 offset:12288
	s_waitcnt lgkmcnt(0)
	s_barrier
	s_mov_b64 s[6:7], 0
.LBB1595_6:
	s_andn2_b64 vcc, exec, s[6:7]
	s_add_i32 s3, s3, s48
	s_cbranch_vccnz .LBB1595_8
; %bb.7:
	v_add_u32_e32 v6, 0x100, v1
	v_lshlrev_b32_e32 v18, 2, v0
	v_add_u32_e32 v7, 0x200, v1
	v_add_u32_e32 v8, 0x300, v1
	;; [unrolled: 1-line block ×11, first 2 shown]
	ds_write2st64_b32 v18, v1, v6 offset1:4
	ds_write2st64_b32 v18, v7, v8 offset0:8 offset1:12
	ds_write2st64_b32 v18, v9, v10 offset0:16 offset1:20
	;; [unrolled: 1-line block ×5, first 2 shown]
	ds_write_b32 v18, v17 offset:12288
	s_waitcnt lgkmcnt(0)
	s_barrier
.LBB1595_8:
	v_mul_u32_u24_e32 v36, 13, v0
	v_lshlrev_b32_e32 v1, 2, v36
	ds_read2_b32 v[22:23], v1 offset1:1
	ds_read2_b32 v[20:21], v1 offset0:2 offset1:3
	ds_read2_b32 v[18:19], v1 offset0:4 offset1:5
	;; [unrolled: 1-line block ×5, first 2 shown]
	ds_read_b32 v35, v1 offset:48
	v_cndmask_b32_e64 v1, 0, 1, s[4:5]
	s_sub_i32 s86, s2, s3
	v_cmp_ne_u32_e64 s[2:3], 1, v1
	s_andn2_b64 vcc, exec, s[4:5]
	s_waitcnt lgkmcnt(0)
	s_barrier
	s_cbranch_vccnz .LBB1595_36
; %bb.9:
	v_add_u32_e32 v1, s37, v22
	v_add_u32_e32 v6, s39, v22
	v_mul_lo_u32 v1, v1, s36
	v_mul_lo_u32 v6, v6, s38
	v_sub_u32_e32 v1, v1, v6
	v_cmp_lt_u32_e32 vcc, s40, v1
	v_cmp_ge_u32_e64 s[4:5], s40, v1
	s_mov_b64 s[60:61], 0
	s_mov_b64 s[58:59], 0
	s_and_saveexec_b64 s[6:7], s[4:5]
; %bb.10:
	v_add_u32_e32 v1, s42, v22
	v_add_u32_e32 v6, s56, v22
	v_mul_lo_u32 v1, v1, s41
	v_mul_lo_u32 v6, v6, s43
	v_sub_u32_e32 v1, v1, v6
	v_cmp_lt_u32_e64 s[4:5], s57, v1
	s_and_b64 s[58:59], s[4:5], exec
; %bb.11:
	s_or_b64 exec, exec, s[6:7]
	v_add_u32_e32 v1, s37, v23
	v_add_u32_e32 v6, s39, v23
	v_mul_lo_u32 v1, v1, s36
	v_mul_lo_u32 v6, v6, s38
	v_sub_u32_e32 v1, v1, v6
	v_cmp_lt_u32_e64 s[4:5], s40, v1
	v_cmp_ge_u32_e64 s[6:7], s40, v1
	s_and_saveexec_b64 s[8:9], s[6:7]
; %bb.12:
	v_add_u32_e32 v1, s42, v23
	v_add_u32_e32 v6, s56, v23
	v_mul_lo_u32 v1, v1, s41
	v_mul_lo_u32 v6, v6, s43
	v_sub_u32_e32 v1, v1, v6
	v_cmp_lt_u32_e64 s[6:7], s57, v1
	s_and_b64 s[60:61], s[6:7], exec
; %bb.13:
	s_or_b64 exec, exec, s[8:9]
	v_add_u32_e32 v1, s37, v20
	v_add_u32_e32 v6, s39, v20
	v_mul_lo_u32 v1, v1, s36
	v_mul_lo_u32 v6, v6, s38
	v_sub_u32_e32 v1, v1, v6
	v_cmp_lt_u32_e64 s[6:7], s40, v1
	v_cmp_ge_u32_e64 s[8:9], s40, v1
	s_mov_b64 s[64:65], 0
	s_mov_b64 s[62:63], 0
	s_and_saveexec_b64 s[10:11], s[8:9]
; %bb.14:
	v_add_u32_e32 v1, s42, v20
	v_add_u32_e32 v6, s56, v20
	v_mul_lo_u32 v1, v1, s41
	v_mul_lo_u32 v6, v6, s43
	v_sub_u32_e32 v1, v1, v6
	v_cmp_lt_u32_e64 s[8:9], s57, v1
	s_and_b64 s[62:63], s[8:9], exec
; %bb.15:
	s_or_b64 exec, exec, s[10:11]
	v_add_u32_e32 v1, s37, v21
	v_add_u32_e32 v6, s39, v21
	v_mul_lo_u32 v1, v1, s36
	v_mul_lo_u32 v6, v6, s38
	v_sub_u32_e32 v1, v1, v6
	v_cmp_lt_u32_e64 s[8:9], s40, v1
	v_cmp_ge_u32_e64 s[10:11], s40, v1
	s_and_saveexec_b64 s[12:13], s[10:11]
; %bb.16:
	v_add_u32_e32 v1, s42, v21
	v_add_u32_e32 v6, s56, v21
	v_mul_lo_u32 v1, v1, s41
	v_mul_lo_u32 v6, v6, s43
	v_sub_u32_e32 v1, v1, v6
	v_cmp_lt_u32_e64 s[10:11], s57, v1
	s_and_b64 s[64:65], s[10:11], exec
; %bb.17:
	s_or_b64 exec, exec, s[12:13]
	v_add_u32_e32 v1, s37, v18
	v_add_u32_e32 v6, s39, v18
	v_mul_lo_u32 v1, v1, s36
	v_mul_lo_u32 v6, v6, s38
	v_sub_u32_e32 v1, v1, v6
	v_cmp_lt_u32_e64 s[10:11], s40, v1
	;; [unrolled: 38-line block ×5, first 2 shown]
	v_cmp_ge_u32_e64 s[24:25], s40, v1
	s_mov_b64 s[80:81], 0
	s_mov_b64 s[82:83], 0
	s_and_saveexec_b64 s[26:27], s[24:25]
; %bb.30:
	v_add_u32_e32 v1, s42, v12
	v_add_u32_e32 v6, s56, v12
	v_mul_lo_u32 v1, v1, s41
	v_mul_lo_u32 v6, v6, s43
	v_sub_u32_e32 v1, v1, v6
	v_cmp_lt_u32_e64 s[24:25], s57, v1
	s_and_b64 s[82:83], s[24:25], exec
; %bb.31:
	s_or_b64 exec, exec, s[26:27]
	v_add_u32_e32 v1, s37, v13
	v_add_u32_e32 v6, s39, v13
	v_mul_lo_u32 v1, v1, s36
	v_mul_lo_u32 v6, v6, s38
	v_sub_u32_e32 v1, v1, v6
	v_cmp_lt_u32_e64 s[24:25], s40, v1
	v_cmp_ge_u32_e64 s[26:27], s40, v1
	s_and_saveexec_b64 s[52:53], s[26:27]
; %bb.32:
	v_add_u32_e32 v1, s42, v13
	v_add_u32_e32 v6, s56, v13
	v_mul_lo_u32 v1, v1, s41
	v_mul_lo_u32 v6, v6, s43
	v_sub_u32_e32 v1, v1, v6
	v_cmp_lt_u32_e64 s[26:27], s57, v1
	s_and_b64 s[80:81], s[26:27], exec
; %bb.33:
	s_or_b64 exec, exec, s[52:53]
	v_add_u32_e32 v1, s37, v35
	v_add_u32_e32 v6, s39, v35
	v_mul_lo_u32 v1, v1, s36
	v_mul_lo_u32 v6, v6, s38
	v_sub_u32_e32 v1, v1, v6
	v_cmp_ge_u32_e64 s[26:27], s40, v1
	s_mov_b64 s[52:53], -1
	s_mov_b64 s[74:75], 0
	s_mov_b64 s[54:55], 0
	s_and_saveexec_b64 s[84:85], s[26:27]
; %bb.34:
	v_add_u32_e32 v1, s42, v35
	v_add_u32_e32 v6, s56, v35
	v_mul_lo_u32 v1, v1, s41
	v_mul_lo_u32 v6, v6, s43
	v_sub_u32_e32 v1, v1, v6
	v_cmp_lt_u32_e64 s[26:27], s57, v1
	s_and_b64 s[54:55], s[26:27], exec
	s_xor_b64 s[52:53], exec, -1
; %bb.35:
	s_or_b64 exec, exec, s[84:85]
	v_cndmask_b32_e64 v57, 0, 1, s[82:83]
	v_cndmask_b32_e64 v60, 0, 1, s[24:25]
	v_cndmask_b32_e64 v55, 0, 1, s[78:79]
	v_cndmask_b32_e64 v58, 0, 1, s[22:23]
	v_cndmask_b32_e64 v53, 0, 1, s[76:77]
	v_cndmask_b32_e64 v56, 0, 1, s[20:21]
	v_cndmask_b32_e64 v51, 0, 1, s[72:73]
	v_cndmask_b32_e64 v54, 0, 1, s[18:19]
	v_cndmask_b32_e64 v49, 0, 1, s[70:71]
	v_cndmask_b32_e64 v52, 0, 1, s[16:17]
	v_cndmask_b32_e64 v47, 0, 1, s[68:69]
	v_cndmask_b32_e64 v50, 0, 1, s[14:15]
	v_cndmask_b32_e64 v45, 0, 1, s[66:67]
	v_cndmask_b32_e64 v48, 0, 1, s[12:13]
	v_cndmask_b32_e64 v43, 0, 1, s[64:65]
	v_cndmask_b32_e64 v46, 0, 1, s[10:11]
	v_cndmask_b32_e64 v42, 0, 1, s[62:63]
	v_cndmask_b32_e64 v44, 0, 1, s[8:9]
	v_cndmask_b32_e64 v40, 0, 1, s[60:61]
	v_cndmask_b32_e64 v41, 0, 1, s[6:7]
	v_cndmask_b32_e64 v38, 0, 1, s[58:59]
	v_cndmask_b32_e64 v39, 0, 1, s[4:5]
	v_cndmask_b32_e64 v37, 0, 1, vcc
	v_cndmask_b32_e64 v59, 0, 1, s[80:81]
	s_add_i32 s16, s86, 0xd00
	s_and_b64 vcc, exec, s[74:75]
	s_cbranch_vccnz .LBB1595_37
	s_branch .LBB1595_90
.LBB1595_36:
                                        ; implicit-def: $sgpr52_sgpr53
                                        ; implicit-def: $sgpr54_sgpr55
                                        ; implicit-def: $vgpr59
                                        ; implicit-def: $vgpr57
                                        ; implicit-def: $vgpr55
                                        ; implicit-def: $vgpr53
                                        ; implicit-def: $vgpr51
                                        ; implicit-def: $vgpr49
                                        ; implicit-def: $vgpr47
                                        ; implicit-def: $vgpr45
                                        ; implicit-def: $vgpr43
                                        ; implicit-def: $vgpr37
                                        ; implicit-def: $vgpr39
                                        ; implicit-def: $vgpr41
                                        ; implicit-def: $vgpr44
                                        ; implicit-def: $vgpr46
                                        ; implicit-def: $vgpr48
                                        ; implicit-def: $vgpr50
                                        ; implicit-def: $vgpr52
                                        ; implicit-def: $vgpr54
                                        ; implicit-def: $vgpr56
                                        ; implicit-def: $vgpr58
                                        ; implicit-def: $vgpr60
                                        ; implicit-def: $vgpr38
                                        ; implicit-def: $vgpr40
                                        ; implicit-def: $vgpr42
	s_add_i32 s16, s86, 0xd00
	s_cbranch_execz .LBB1595_90
.LBB1595_37:
	v_cmp_gt_u32_e32 vcc, s16, v36
	v_mov_b32_e32 v38, 0
	v_mov_b32_e32 v37, 0
	s_and_saveexec_b64 s[6:7], vcc
	s_cbranch_execz .LBB1595_41
; %bb.38:
	v_add_u32_e32 v1, s37, v22
	v_add_u32_e32 v6, s39, v22
	v_mul_lo_u32 v1, v1, s36
	v_mul_lo_u32 v6, v6, s38
	v_sub_u32_e32 v1, v1, v6
	v_cmp_lt_u32_e32 vcc, s40, v1
	v_cmp_ge_u32_e64 s[4:5], s40, v1
	s_mov_b64 s[10:11], 0
	s_and_saveexec_b64 s[8:9], s[4:5]
; %bb.39:
	v_add_u32_e32 v1, s42, v22
	v_add_u32_e32 v6, s56, v22
	v_mul_lo_u32 v1, v1, s41
	v_mul_lo_u32 v6, v6, s43
	v_sub_u32_e32 v1, v1, v6
	v_cmp_lt_u32_e64 s[4:5], s57, v1
	s_and_b64 s[10:11], s[4:5], exec
; %bb.40:
	s_or_b64 exec, exec, s[8:9]
	v_cndmask_b32_e64 v37, 0, 1, vcc
	v_cndmask_b32_e64 v38, 0, 1, s[10:11]
.LBB1595_41:
	s_or_b64 exec, exec, s[6:7]
	v_add_u32_e32 v1, 1, v36
	v_cmp_gt_u32_e32 vcc, s16, v1
	v_mov_b32_e32 v39, 0
	v_mov_b32_e32 v40, 0
	s_and_saveexec_b64 s[6:7], vcc
	s_cbranch_execz .LBB1595_45
; %bb.42:
	v_add_u32_e32 v1, s37, v23
	v_add_u32_e32 v6, s39, v23
	v_mul_lo_u32 v1, v1, s36
	v_mul_lo_u32 v6, v6, s38
	v_sub_u32_e32 v1, v1, v6
	v_cmp_lt_u32_e32 vcc, s40, v1
	v_cmp_ge_u32_e64 s[4:5], s40, v1
	s_mov_b64 s[10:11], 0
	s_and_saveexec_b64 s[8:9], s[4:5]
; %bb.43:
	v_add_u32_e32 v1, s42, v23
	v_add_u32_e32 v6, s56, v23
	v_mul_lo_u32 v1, v1, s41
	v_mul_lo_u32 v6, v6, s43
	v_sub_u32_e32 v1, v1, v6
	v_cmp_lt_u32_e64 s[4:5], s57, v1
	s_and_b64 s[10:11], s[4:5], exec
; %bb.44:
	s_or_b64 exec, exec, s[8:9]
	v_cndmask_b32_e64 v39, 0, 1, vcc
	v_cndmask_b32_e64 v40, 0, 1, s[10:11]
.LBB1595_45:
	s_or_b64 exec, exec, s[6:7]
	v_add_u32_e32 v1, 2, v36
	;; [unrolled: 30-line block ×12, first 2 shown]
	v_cmp_gt_u32_e32 vcc, s16, v1
	s_mov_b64 s[52:53], 0
	s_mov_b64 s[54:55], 0
	s_and_saveexec_b64 s[4:5], vcc
	s_cbranch_execz .LBB1595_89
; %bb.86:
	v_add_u32_e32 v1, s37, v35
	v_add_u32_e32 v6, s39, v35
	v_mul_lo_u32 v1, v1, s36
	v_mul_lo_u32 v6, v6, s38
	v_sub_u32_e32 v1, v1, v6
	v_cmp_ge_u32_e32 vcc, s40, v1
	s_mov_b64 s[8:9], -1
	s_mov_b64 s[10:11], 0
	s_and_saveexec_b64 s[6:7], vcc
; %bb.87:
	v_add_u32_e32 v1, s42, v35
	v_add_u32_e32 v6, s56, v35
	v_mul_lo_u32 v1, v1, s41
	v_mul_lo_u32 v6, v6, s43
	v_sub_u32_e32 v1, v1, v6
	v_cmp_lt_u32_e32 vcc, s57, v1
	s_and_b64 s[10:11], vcc, exec
	s_xor_b64 s[8:9], exec, -1
; %bb.88:
	s_or_b64 exec, exec, s[6:7]
	s_and_b64 s[54:55], s[10:11], exec
	s_and_b64 s[52:53], s[8:9], exec
.LBB1595_89:
	s_or_b64 exec, exec, s[4:5]
.LBB1595_90:
	v_and_b32_e32 v68, 0xff, v38
	v_and_b32_e32 v79, 0xff, v40
	;; [unrolled: 1-line block ×5, first 2 shown]
	v_add3_u32 v6, v79, v70, v68
	v_and_b32_e32 v81, 0xff, v47
	v_and_b32_e32 v74, 0xff, v49
	v_add3_u32 v6, v6, v80, v72
	v_and_b32_e32 v67, 0xff, v37
	v_and_b32_e32 v61, 0xff, v39
	;; [unrolled: 1-line block ×5, first 2 shown]
	v_add3_u32 v6, v6, v81, v74
	v_and_b32_e32 v62, 0xff, v44
	v_and_b32_e32 v71, 0xff, v46
	;; [unrolled: 1-line block ×4, first 2 shown]
	v_add3_u32 v7, v61, v69, v67
	v_add3_u32 v6, v6, v82, v76
	v_and_b32_e32 v63, 0xff, v48
	v_and_b32_e32 v73, 0xff, v50
	;; [unrolled: 1-line block ×3, first 2 shown]
	v_cndmask_b32_e64 v1, 0, 1, s[54:55]
	v_add3_u32 v7, v7, v62, v71
	v_add3_u32 v6, v6, v83, v78
	v_and_b32_e32 v64, 0xff, v52
	v_and_b32_e32 v75, 0xff, v54
	v_add3_u32 v7, v7, v63, v73
	v_add3_u32 v91, v6, v84, v1
	v_mbcnt_lo_u32_b32 v1, -1, 0
	v_and_b32_e32 v65, 0xff, v56
	v_and_b32_e32 v77, 0xff, v58
	v_add3_u32 v7, v7, v64, v75
	v_mbcnt_hi_u32_b32 v85, -1, v1
	v_and_b32_e32 v66, 0xff, v60
	v_add3_u32 v7, v7, v65, v77
	v_cndmask_b32_e64 v8, 0, 1, s[52:53]
	v_and_b32_e32 v89, 15, v85
	s_cmp_lg_u32 s33, 0
	v_add3_u32 v90, v7, v66, v8
	v_cmp_eq_u32_e64 s[6:7], 0, v89
	v_cmp_lt_u32_e64 s[4:5], 1, v89
	v_cmp_lt_u32_e64 s[10:11], 3, v89
	;; [unrolled: 1-line block ×3, first 2 shown]
	v_and_b32_e32 v88, 16, v85
	v_cmp_lt_u32_e32 vcc, 31, v85
	v_lshrrev_b32_e32 v86, 6, v0
	v_or_b32_e32 v87, 63, v0
	s_cbranch_scc0 .LBB1595_119
; %bb.91:
	v_mov_b32_dpp v1, v90 row_shr:1 row_mask:0xf bank_mask:0xf
	v_mov_b32_dpp v6, v91 row_shr:1 row_mask:0xf bank_mask:0xf
	v_add_u32_e32 v1, v1, v90
	v_add_u32_e32 v6, v6, v91
	v_cndmask_b32_e64 v6, v6, v91, s[6:7]
	v_cndmask_b32_e64 v1, v1, v90, s[6:7]
	s_nop 0
	v_mov_b32_dpp v8, v6 row_shr:2 row_mask:0xf bank_mask:0xf
	v_mov_b32_dpp v7, v1 row_shr:2 row_mask:0xf bank_mask:0xf
	v_add_u32_e32 v7, v1, v7
	v_add_u32_e32 v8, v6, v8
	v_cndmask_b32_e64 v6, v6, v8, s[4:5]
	v_cndmask_b32_e64 v1, v1, v7, s[4:5]
	s_nop 0
	;; [unrolled: 7-line block ×3, first 2 shown]
	v_mov_b32_dpp v8, v6 row_shr:8 row_mask:0xf bank_mask:0xf
	v_mov_b32_dpp v7, v1 row_shr:8 row_mask:0xf bank_mask:0xf
	v_add_u32_e32 v7, v1, v7
	v_add_u32_e32 v8, v6, v8
	v_cndmask_b32_e64 v6, v6, v8, s[8:9]
	v_cndmask_b32_e64 v1, v1, v7, s[8:9]
	v_cmp_eq_u32_e64 s[8:9], 0, v88
	v_mov_b32_dpp v8, v6 row_bcast:15 row_mask:0xf bank_mask:0xf
	v_mov_b32_dpp v7, v1 row_bcast:15 row_mask:0xf bank_mask:0xf
	v_add_u32_e32 v7, v1, v7
	v_add_u32_e32 v8, v6, v8
	v_cndmask_b32_e64 v6, v8, v6, s[8:9]
	v_cndmask_b32_e64 v1, v7, v1, s[8:9]
	s_nop 0
	v_mov_b32_dpp v8, v6 row_bcast:31 row_mask:0xf bank_mask:0xf
	v_mov_b32_dpp v7, v1 row_bcast:31 row_mask:0xf bank_mask:0xf
	v_add_u32_e32 v8, v6, v8
	v_add_u32_e32 v9, v1, v7
	v_cndmask_b32_e32 v7, v6, v8, vcc
	v_cndmask_b32_e32 v6, v1, v9, vcc
	v_cmp_eq_u32_e32 vcc, v87, v0
	s_and_saveexec_b64 s[8:9], vcc
	s_cbranch_execz .LBB1595_93
; %bb.92:
	v_lshlrev_b32_e32 v1, 3, v86
	ds_write_b64 v1, v[6:7]
.LBB1595_93:
	s_or_b64 exec, exec, s[8:9]
	v_cmp_gt_u32_e32 vcc, 4, v0
	s_waitcnt lgkmcnt(0)
	s_barrier
	s_and_saveexec_b64 s[8:9], vcc
	s_cbranch_execz .LBB1595_95
; %bb.94:
	v_lshlrev_b32_e32 v1, 3, v0
	ds_read_b64 v[8:9], v1
	v_and_b32_e32 v10, 3, v85
	v_cmp_eq_u32_e32 vcc, 0, v10
	s_waitcnt lgkmcnt(0)
	v_mov_b32_dpp v11, v8 row_shr:1 row_mask:0xf bank_mask:0xf
	v_mov_b32_dpp v24, v9 row_shr:1 row_mask:0xf bank_mask:0xf
	v_add_u32_e32 v11, v11, v8
	v_add_u32_e32 v24, v24, v9
	v_cndmask_b32_e32 v9, v24, v9, vcc
	v_cndmask_b32_e32 v8, v11, v8, vcc
	v_cmp_lt_u32_e32 vcc, 1, v10
	v_mov_b32_dpp v24, v9 row_shr:2 row_mask:0xf bank_mask:0xf
	v_mov_b32_dpp v11, v8 row_shr:2 row_mask:0xf bank_mask:0xf
	v_cndmask_b32_e32 v10, 0, v11, vcc
	v_cndmask_b32_e32 v11, 0, v24, vcc
	v_add_u32_e32 v9, v11, v9
	v_add_u32_e32 v8, v10, v8
	ds_write_b64 v1, v[8:9]
.LBB1595_95:
	s_or_b64 exec, exec, s[8:9]
	v_cmp_gt_u32_e32 vcc, 64, v0
	v_cmp_lt_u32_e64 s[8:9], 63, v0
	s_waitcnt lgkmcnt(0)
	s_barrier
	s_waitcnt lgkmcnt(0)
                                        ; implicit-def: $vgpr25
	s_and_saveexec_b64 s[10:11], s[8:9]
	s_xor_b64 s[8:9], exec, s[10:11]
	s_cbranch_execz .LBB1595_97
; %bb.96:
	v_lshl_add_u32 v1, v86, 3, -8
	ds_read_b64 v[24:25], v1
	s_waitcnt lgkmcnt(0)
	v_add_u32_e32 v7, v25, v7
	v_add_u32_e32 v6, v24, v6
.LBB1595_97:
	s_andn2_saveexec_b64 s[8:9], s[8:9]
; %bb.98:
                                        ; implicit-def: $vgpr24
; %bb.99:
	s_or_b64 exec, exec, s[8:9]
	v_add_u32_e32 v1, -1, v85
	v_and_b32_e32 v8, 64, v85
	v_cmp_lt_i32_e64 s[8:9], v1, v8
	v_cndmask_b32_e64 v1, v1, v85, s[8:9]
	v_lshlrev_b32_e32 v8, 2, v1
	ds_bpermute_b32 v1, v8, v6
	ds_bpermute_b32 v92, v8, v7
	v_cmp_eq_u32_e64 s[8:9], 0, v85
	s_and_saveexec_b64 s[10:11], vcc
	s_cbranch_execz .LBB1595_118
; %bb.100:
	v_mov_b32_e32 v11, 0
	ds_read_b64 v[26:27], v11 offset:24
	s_and_saveexec_b64 s[12:13], s[8:9]
	s_cbranch_execz .LBB1595_102
; %bb.101:
	s_add_i32 s14, s33, 64
	s_mov_b32 s15, 0
	s_lshl_b64 s[14:15], s[14:15], 4
	s_waitcnt lgkmcnt(0)
	v_and_b32_e32 v6, 0xff000000, v27
	v_and_b32_e32 v7, 0xff0000, v27
	s_add_u32 s14, s50, s14
	v_or_b32_e32 v6, v7, v6
	v_and_b32_e32 v7, 0xff00, v27
	s_addc_u32 s15, s51, s15
	v_or_b32_e32 v6, v6, v7
	v_or_b32_sdwa v9, v6, v27 dst_sel:DWORD dst_unused:UNUSED_PAD src0_sel:DWORD src1_sel:BYTE_0
	v_mov_b32_e32 v10, 1
	v_mov_b32_e32 v8, v26
	v_pk_mov_b32 v[6:7], s[14:15], s[14:15] op_sel:[0,1]
	;;#ASMSTART
	global_store_dwordx4 v[6:7], v[8:11] off	
s_waitcnt vmcnt(0)
	;;#ASMEND
.LBB1595_102:
	s_or_b64 exec, exec, s[12:13]
	v_xad_u32 v28, v85, -1, s33
	v_add_u32_e32 v10, 64, v28
	v_lshlrev_b64 v[6:7], 4, v[10:11]
	v_mov_b32_e32 v8, s51
	v_add_co_u32_e32 v30, vcc, s50, v6
	v_addc_co_u32_e32 v31, vcc, v8, v7, vcc
	;;#ASMSTART
	global_load_dwordx4 v[6:9], v[30:31] off glc	
s_waitcnt vmcnt(0)
	;;#ASMEND
	v_and_b32_e32 v9, 0xff, v7
	v_and_b32_e32 v10, 0xff00, v7
	v_or3_b32 v9, 0, v9, v10
	v_or3_b32 v6, v6, 0, 0
	v_and_b32_e32 v10, 0xff000000, v7
	v_and_b32_e32 v7, 0xff0000, v7
	v_or3_b32 v7, v9, v7, v10
	v_or3_b32 v6, v6, 0, 0
	v_cmp_eq_u16_sdwa s[14:15], v8, v11 src0_sel:BYTE_0 src1_sel:DWORD
	s_and_saveexec_b64 s[12:13], s[14:15]
	s_cbranch_execz .LBB1595_106
; %bb.103:
	s_mov_b64 s[14:15], 0
	v_mov_b32_e32 v10, 0
.LBB1595_104:                           ; =>This Inner Loop Header: Depth=1
	;;#ASMSTART
	global_load_dwordx4 v[6:9], v[30:31] off glc	
s_waitcnt vmcnt(0)
	;;#ASMEND
	v_cmp_ne_u16_sdwa s[18:19], v8, v10 src0_sel:BYTE_0 src1_sel:DWORD
	s_or_b64 s[14:15], s[18:19], s[14:15]
	s_andn2_b64 exec, exec, s[14:15]
	s_cbranch_execnz .LBB1595_104
; %bb.105:
	s_or_b64 exec, exec, s[14:15]
.LBB1595_106:
	s_or_b64 exec, exec, s[12:13]
	v_and_b32_e32 v94, 63, v85
	v_cmp_ne_u32_e32 vcc, 63, v94
	v_mov_b32_e32 v93, 2
	v_addc_co_u32_e32 v30, vcc, 0, v85, vcc
	v_cmp_eq_u16_sdwa s[12:13], v8, v93 src0_sel:BYTE_0 src1_sel:DWORD
	v_lshlrev_b64 v[10:11], v85, -1
	v_lshlrev_b32_e32 v95, 2, v30
	v_and_b32_e32 v9, s13, v11
	ds_bpermute_b32 v30, v95, v6
	ds_bpermute_b32 v31, v95, v7
	v_or_b32_e32 v9, 0x80000000, v9
	v_and_b32_e32 v29, s12, v10
	v_ffbl_b32_e32 v9, v9
	v_add_u32_e32 v9, 32, v9
	v_ffbl_b32_e32 v29, v29
	v_min_u32_e32 v9, v29, v9
	s_waitcnt lgkmcnt(1)
	v_add_u32_e32 v29, v30, v6
	s_waitcnt lgkmcnt(0)
	v_add_u32_e32 v30, v31, v7
	v_cmp_lt_u32_e32 vcc, v94, v9
	v_cndmask_b32_e32 v7, v7, v30, vcc
	v_cndmask_b32_e32 v6, v6, v29, vcc
	v_cmp_gt_u32_e32 vcc, 62, v94
	v_cndmask_b32_e64 v29, 0, 1, vcc
	v_lshlrev_b32_e32 v29, 1, v29
	v_add_lshl_u32 v96, v29, v85, 2
	ds_bpermute_b32 v29, v96, v6
	ds_bpermute_b32 v30, v96, v7
	v_add_u32_e32 v97, 2, v94
	v_cmp_gt_u32_e32 vcc, v97, v9
	v_add_u32_e32 v99, 4, v94
	s_waitcnt lgkmcnt(1)
	v_add_u32_e32 v29, v6, v29
	s_waitcnt lgkmcnt(0)
	v_add_u32_e32 v30, v7, v30
	v_cndmask_b32_e32 v7, v30, v7, vcc
	v_cndmask_b32_e32 v6, v29, v6, vcc
	v_cmp_gt_u32_e32 vcc, 60, v94
	v_cndmask_b32_e64 v29, 0, 1, vcc
	v_lshlrev_b32_e32 v29, 2, v29
	v_add_lshl_u32 v98, v29, v85, 2
	ds_bpermute_b32 v29, v98, v6
	ds_bpermute_b32 v30, v98, v7
	v_cmp_gt_u32_e32 vcc, v99, v9
	v_add_u32_e32 v101, 8, v94
	v_add_u32_e32 v103, 16, v94
	s_waitcnt lgkmcnt(1)
	v_add_u32_e32 v29, v6, v29
	s_waitcnt lgkmcnt(0)
	v_add_u32_e32 v30, v7, v30
	v_cndmask_b32_e32 v7, v30, v7, vcc
	v_cndmask_b32_e32 v6, v29, v6, vcc
	v_cmp_gt_u32_e32 vcc, 56, v94
	v_cndmask_b32_e64 v29, 0, 1, vcc
	v_lshlrev_b32_e32 v29, 3, v29
	v_add_lshl_u32 v100, v29, v85, 2
	ds_bpermute_b32 v29, v100, v6
	ds_bpermute_b32 v30, v100, v7
	v_cmp_gt_u32_e32 vcc, v101, v9
	v_add_u32_e32 v105, 32, v94
	s_waitcnt lgkmcnt(1)
	v_add_u32_e32 v29, v6, v29
	s_waitcnt lgkmcnt(0)
	v_add_u32_e32 v30, v7, v30
	v_cndmask_b32_e32 v7, v30, v7, vcc
	v_cndmask_b32_e32 v6, v29, v6, vcc
	v_cmp_gt_u32_e32 vcc, 48, v94
	v_cndmask_b32_e64 v29, 0, 1, vcc
	v_lshlrev_b32_e32 v29, 4, v29
	v_add_lshl_u32 v102, v29, v85, 2
	ds_bpermute_b32 v29, v102, v6
	ds_bpermute_b32 v30, v102, v7
	v_cmp_gt_u32_e32 vcc, v103, v9
	s_waitcnt lgkmcnt(1)
	v_add_u32_e32 v29, v6, v29
	s_waitcnt lgkmcnt(0)
	v_add_u32_e32 v30, v7, v30
	v_cndmask_b32_e32 v7, v30, v7, vcc
	v_cndmask_b32_e32 v6, v29, v6, vcc
	v_cmp_gt_u32_e32 vcc, 32, v94
	v_cndmask_b32_e64 v29, 0, 1, vcc
	v_lshlrev_b32_e32 v29, 5, v29
	v_add_lshl_u32 v104, v29, v85, 2
	ds_bpermute_b32 v29, v104, v6
	ds_bpermute_b32 v30, v104, v7
	v_cmp_le_u32_e32 vcc, v105, v9
	s_waitcnt lgkmcnt(1)
	v_cndmask_b32_e32 v9, 0, v29, vcc
	s_waitcnt lgkmcnt(0)
	v_cndmask_b32_e32 v29, 0, v30, vcc
	v_add_u32_e32 v7, v7, v29
	v_add_u32_e32 v6, v6, v9
	v_mov_b32_e32 v29, 0
	s_branch .LBB1595_108
.LBB1595_107:                           ;   in Loop: Header=BB1595_108 Depth=1
	s_or_b64 exec, exec, s[12:13]
	v_cmp_eq_u16_sdwa s[12:13], v8, v93 src0_sel:BYTE_0 src1_sel:DWORD
	v_and_b32_e32 v9, s13, v11
	ds_bpermute_b32 v33, v95, v6
	ds_bpermute_b32 v106, v95, v7
	v_or_b32_e32 v9, 0x80000000, v9
	v_and_b32_e32 v32, s12, v10
	v_ffbl_b32_e32 v9, v9
	v_add_u32_e32 v9, 32, v9
	v_ffbl_b32_e32 v32, v32
	v_min_u32_e32 v9, v32, v9
	s_waitcnt lgkmcnt(1)
	v_add_u32_e32 v32, v33, v6
	s_waitcnt lgkmcnt(0)
	v_add_u32_e32 v33, v106, v7
	v_cmp_lt_u32_e32 vcc, v94, v9
	v_cndmask_b32_e32 v7, v7, v33, vcc
	v_cndmask_b32_e32 v6, v6, v32, vcc
	ds_bpermute_b32 v32, v96, v6
	ds_bpermute_b32 v33, v96, v7
	v_cmp_gt_u32_e32 vcc, v97, v9
	v_subrev_u32_e32 v28, 64, v28
	s_waitcnt lgkmcnt(1)
	v_add_u32_e32 v32, v6, v32
	s_waitcnt lgkmcnt(0)
	v_add_u32_e32 v33, v7, v33
	v_cndmask_b32_e32 v7, v33, v7, vcc
	v_cndmask_b32_e32 v6, v32, v6, vcc
	ds_bpermute_b32 v32, v98, v6
	ds_bpermute_b32 v33, v98, v7
	v_cmp_gt_u32_e32 vcc, v99, v9
	s_waitcnt lgkmcnt(1)
	v_add_u32_e32 v32, v6, v32
	s_waitcnt lgkmcnt(0)
	v_add_u32_e32 v33, v7, v33
	v_cndmask_b32_e32 v7, v33, v7, vcc
	v_cndmask_b32_e32 v6, v32, v6, vcc
	ds_bpermute_b32 v32, v100, v6
	ds_bpermute_b32 v33, v100, v7
	v_cmp_gt_u32_e32 vcc, v101, v9
	;; [unrolled: 9-line block ×3, first 2 shown]
	s_waitcnt lgkmcnt(1)
	v_add_u32_e32 v32, v6, v32
	s_waitcnt lgkmcnt(0)
	v_add_u32_e32 v33, v7, v33
	v_cndmask_b32_e32 v7, v33, v7, vcc
	v_cndmask_b32_e32 v6, v32, v6, vcc
	ds_bpermute_b32 v32, v104, v6
	ds_bpermute_b32 v33, v104, v7
	v_cmp_le_u32_e32 vcc, v105, v9
	s_waitcnt lgkmcnt(1)
	v_cndmask_b32_e32 v9, 0, v32, vcc
	s_waitcnt lgkmcnt(0)
	v_cndmask_b32_e32 v32, 0, v33, vcc
	v_add3_u32 v7, v32, v31, v7
	v_add3_u32 v6, v9, v30, v6
.LBB1595_108:                           ; =>This Loop Header: Depth=1
                                        ;     Child Loop BB1595_111 Depth 2
	v_cmp_ne_u16_sdwa s[12:13], v8, v93 src0_sel:BYTE_0 src1_sel:DWORD
	v_cndmask_b32_e64 v8, 0, 1, s[12:13]
	;;#ASMSTART
	;;#ASMEND
	v_cmp_ne_u32_e32 vcc, 0, v8
	s_cmp_lg_u64 vcc, exec
	v_pk_mov_b32 v[30:31], v[6:7], v[6:7] op_sel:[0,1]
	s_cbranch_scc1 .LBB1595_113
; %bb.109:                              ;   in Loop: Header=BB1595_108 Depth=1
	v_lshlrev_b64 v[6:7], 4, v[28:29]
	v_mov_b32_e32 v8, s51
	v_add_co_u32_e32 v32, vcc, s50, v6
	v_addc_co_u32_e32 v33, vcc, v8, v7, vcc
	;;#ASMSTART
	global_load_dwordx4 v[6:9], v[32:33] off glc	
s_waitcnt vmcnt(0)
	;;#ASMEND
	v_and_b32_e32 v9, 0xff, v7
	v_and_b32_e32 v106, 0xff00, v7
	v_or3_b32 v9, 0, v9, v106
	v_or3_b32 v6, v6, 0, 0
	v_and_b32_e32 v106, 0xff000000, v7
	v_and_b32_e32 v7, 0xff0000, v7
	v_or3_b32 v7, v9, v7, v106
	v_or3_b32 v6, v6, 0, 0
	v_cmp_eq_u16_sdwa s[14:15], v8, v29 src0_sel:BYTE_0 src1_sel:DWORD
	s_and_saveexec_b64 s[12:13], s[14:15]
	s_cbranch_execz .LBB1595_107
; %bb.110:                              ;   in Loop: Header=BB1595_108 Depth=1
	s_mov_b64 s[14:15], 0
.LBB1595_111:                           ;   Parent Loop BB1595_108 Depth=1
                                        ; =>  This Inner Loop Header: Depth=2
	;;#ASMSTART
	global_load_dwordx4 v[6:9], v[32:33] off glc	
s_waitcnt vmcnt(0)
	;;#ASMEND
	v_cmp_ne_u16_sdwa s[18:19], v8, v29 src0_sel:BYTE_0 src1_sel:DWORD
	s_or_b64 s[14:15], s[18:19], s[14:15]
	s_andn2_b64 exec, exec, s[14:15]
	s_cbranch_execnz .LBB1595_111
; %bb.112:                              ;   in Loop: Header=BB1595_108 Depth=1
	s_or_b64 exec, exec, s[14:15]
	s_branch .LBB1595_107
.LBB1595_113:                           ;   in Loop: Header=BB1595_108 Depth=1
                                        ; implicit-def: $vgpr8
                                        ; implicit-def: $vgpr6_vgpr7
	s_cbranch_execz .LBB1595_108
; %bb.114:
	s_and_saveexec_b64 s[12:13], s[8:9]
	s_cbranch_execz .LBB1595_116
; %bb.115:
	s_add_i32 s14, s33, 64
	s_mov_b32 s15, 0
	v_add_u32_e32 v7, v31, v27
	s_lshl_b64 s[14:15], s[14:15], 4
	s_add_u32 s14, s50, s14
	v_and_b32_e32 v8, 0xff000000, v7
	v_and_b32_e32 v10, 0xff0000, v7
	s_addc_u32 s15, s51, s15
	v_or_b32_e32 v8, v10, v8
	v_and_b32_e32 v10, 0xff00, v7
	v_and_b32_e32 v7, 0xff, v7
	v_add_u32_e32 v6, v30, v26
	v_mov_b32_e32 v9, 0
	v_or3_b32 v7, v8, v10, v7
	v_mov_b32_e32 v8, 2
	v_pk_mov_b32 v[10:11], s[14:15], s[14:15] op_sel:[0,1]
	;;#ASMSTART
	global_store_dwordx4 v[10:11], v[6:9] off	
s_waitcnt vmcnt(0)
	;;#ASMEND
	s_movk_i32 s14, 0x3400
	v_add_u32_e64 v6, s14, 0
	ds_write2_b32 v6, v26, v27 offset1:2
	ds_write2_b32 v6, v30, v31 offset0:4 offset1:6
.LBB1595_116:
	s_or_b64 exec, exec, s[12:13]
	s_and_b64 exec, exec, s[0:1]
	s_cbranch_execz .LBB1595_118
; %bb.117:
	v_mov_b32_e32 v6, 0
	ds_write_b64 v6, v[30:31] offset:24
.LBB1595_118:
	s_or_b64 exec, exec, s[10:11]
	v_mov_b32_e32 v6, 0
	s_waitcnt lgkmcnt(0)
	s_barrier
	ds_read_b64 v[10:11], v6 offset:24
	v_cndmask_b32_e64 v25, v92, v25, s[8:9]
	v_cndmask_b32_e64 v1, v1, v24, s[8:9]
	s_movk_i32 s8, 0x3400
	s_waitcnt lgkmcnt(0)
	v_add_u32_e32 v24, v10, v1
	v_add_u32_e64 v1, s8, 0
	s_barrier
	ds_read2_b32 v[6:7], v1 offset1:2
	ds_read2_b32 v[8:9], v1 offset0:4 offset1:6
	v_add_u32_e32 v1, v11, v25
	v_cndmask_b32_e64 v1, v1, v11, s[0:1]
	v_cndmask_b32_e64 v10, v24, v10, s[0:1]
	s_branch .LBB1595_129
.LBB1595_119:
                                        ; implicit-def: $vgpr1
                                        ; implicit-def: $vgpr8
                                        ; implicit-def: $vgpr6
                                        ; implicit-def: $vgpr10_vgpr11
	s_cbranch_execz .LBB1595_129
; %bb.120:
	s_nop 0
	v_mov_b32_dpp v1, v90 row_shr:1 row_mask:0xf bank_mask:0xf
	s_waitcnt lgkmcnt(1)
	v_mov_b32_dpp v6, v91 row_shr:1 row_mask:0xf bank_mask:0xf
	v_add_u32_e32 v1, v1, v90
	v_add_u32_e32 v6, v6, v91
	v_cndmask_b32_e64 v6, v6, v91, s[6:7]
	v_cndmask_b32_e64 v1, v1, v90, s[6:7]
	v_cmp_lt_u32_e32 vcc, 3, v89
	s_waitcnt lgkmcnt(0)
	v_mov_b32_dpp v8, v6 row_shr:2 row_mask:0xf bank_mask:0xf
	v_mov_b32_dpp v7, v1 row_shr:2 row_mask:0xf bank_mask:0xf
	v_add_u32_e32 v7, v1, v7
	v_add_u32_e32 v8, v6, v8
	v_cndmask_b32_e64 v6, v6, v8, s[4:5]
	v_cndmask_b32_e64 v1, v1, v7, s[4:5]
	s_nop 0
	v_mov_b32_dpp v8, v6 row_shr:4 row_mask:0xf bank_mask:0xf
	v_mov_b32_dpp v7, v1 row_shr:4 row_mask:0xf bank_mask:0xf
	v_add_u32_e32 v7, v1, v7
	v_add_u32_e32 v8, v6, v8
	v_cndmask_b32_e32 v6, v6, v8, vcc
	v_cndmask_b32_e32 v1, v1, v7, vcc
	v_cmp_lt_u32_e32 vcc, 7, v89
	v_mov_b32_dpp v8, v6 row_shr:8 row_mask:0xf bank_mask:0xf
	v_mov_b32_dpp v7, v1 row_shr:8 row_mask:0xf bank_mask:0xf
	v_add_u32_e32 v7, v1, v7
	v_add_u32_e32 v8, v6, v8
	v_cndmask_b32_e32 v6, v6, v8, vcc
	v_cndmask_b32_e32 v1, v1, v7, vcc
	v_cmp_eq_u32_e32 vcc, 0, v88
	v_mov_b32_dpp v8, v6 row_bcast:15 row_mask:0xf bank_mask:0xf
	v_mov_b32_dpp v7, v1 row_bcast:15 row_mask:0xf bank_mask:0xf
	v_add_u32_e32 v7, v1, v7
	v_add_u32_e32 v8, v6, v8
	v_cndmask_b32_e32 v6, v8, v6, vcc
	v_cndmask_b32_e32 v1, v7, v1, vcc
	v_cmp_lt_u32_e32 vcc, 31, v85
	v_mov_b32_dpp v8, v6 row_bcast:31 row_mask:0xf bank_mask:0xf
	v_mov_b32_dpp v7, v1 row_bcast:31 row_mask:0xf bank_mask:0xf
	v_add_u32_e32 v8, v6, v8
	v_add_u32_e32 v9, v1, v7
	v_cndmask_b32_e32 v7, v6, v8, vcc
	v_cndmask_b32_e32 v6, v1, v9, vcc
	v_cmp_eq_u32_e32 vcc, v87, v0
	s_and_saveexec_b64 s[4:5], vcc
	s_cbranch_execz .LBB1595_122
; %bb.121:
	v_lshlrev_b32_e32 v1, 3, v86
	ds_write_b64 v1, v[6:7]
.LBB1595_122:
	s_or_b64 exec, exec, s[4:5]
	v_cmp_gt_u32_e32 vcc, 4, v0
	s_waitcnt lgkmcnt(0)
	s_barrier
	s_and_saveexec_b64 s[4:5], vcc
	s_cbranch_execz .LBB1595_124
; %bb.123:
	v_lshlrev_b32_e32 v1, 3, v0
	ds_read_b64 v[8:9], v1
	v_and_b32_e32 v10, 3, v85
	v_cmp_eq_u32_e32 vcc, 0, v10
	s_waitcnt lgkmcnt(0)
	v_mov_b32_dpp v11, v8 row_shr:1 row_mask:0xf bank_mask:0xf
	v_mov_b32_dpp v24, v9 row_shr:1 row_mask:0xf bank_mask:0xf
	v_add_u32_e32 v11, v11, v8
	v_add_u32_e32 v24, v24, v9
	v_cndmask_b32_e32 v9, v24, v9, vcc
	v_cndmask_b32_e32 v8, v11, v8, vcc
	v_cmp_lt_u32_e32 vcc, 1, v10
	v_mov_b32_dpp v24, v9 row_shr:2 row_mask:0xf bank_mask:0xf
	v_mov_b32_dpp v11, v8 row_shr:2 row_mask:0xf bank_mask:0xf
	v_cndmask_b32_e32 v10, 0, v11, vcc
	v_cndmask_b32_e32 v11, 0, v24, vcc
	v_add_u32_e32 v9, v11, v9
	v_add_u32_e32 v8, v10, v8
	ds_write_b64 v1, v[8:9]
.LBB1595_124:
	s_or_b64 exec, exec, s[4:5]
	v_cmp_lt_u32_e32 vcc, 63, v0
	v_mov_b32_e32 v8, 0
	v_mov_b32_e32 v10, 0
	;; [unrolled: 1-line block ×3, first 2 shown]
	s_waitcnt lgkmcnt(0)
	s_barrier
	s_and_saveexec_b64 s[4:5], vcc
	s_cbranch_execz .LBB1595_126
; %bb.125:
	v_lshl_add_u32 v1, v86, 3, -8
	ds_read_b64 v[10:11], v1
.LBB1595_126:
	s_or_b64 exec, exec, s[4:5]
	s_waitcnt lgkmcnt(0)
	v_add_u32_e32 v9, v11, v7
	v_add_u32_e32 v1, v10, v6
	v_add_u32_e32 v6, -1, v85
	v_and_b32_e32 v7, 64, v85
	v_cmp_lt_i32_e32 vcc, v6, v7
	v_cndmask_b32_e32 v6, v6, v85, vcc
	v_lshlrev_b32_e32 v24, 2, v6
	ds_read_b64 v[6:7], v8 offset:24
	ds_bpermute_b32 v1, v24, v1
	ds_bpermute_b32 v24, v24, v9
	s_waitcnt lgkmcnt(2)
	v_readfirstlane_b32 s6, v7
	s_and_saveexec_b64 s[4:5], s[0:1]
	s_cbranch_execz .LBB1595_128
; %bb.127:
	s_add_u32 s8, s50, 0x400
	s_mov_b32 s10, 0
	s_addc_u32 s9, s51, 0
	s_and_b32 s11, s6, 0xff000000
	s_and_b32 s13, s6, 0xff0000
	s_mov_b32 s12, s10
	s_or_b64 s[12:13], s[12:13], s[10:11]
	s_and_b32 s11, s6, 0xff00
	s_or_b64 s[12:13], s[12:13], s[10:11]
	s_and_b32 s11, s6, 0xff
	s_or_b64 s[10:11], s[12:13], s[10:11]
	v_mov_b32_e32 v7, s11
	v_mov_b32_e32 v8, 2
	;; [unrolled: 1-line block ×3, first 2 shown]
	v_pk_mov_b32 v[26:27], s[8:9], s[8:9] op_sel:[0,1]
	;;#ASMSTART
	global_store_dwordx4 v[26:27], v[6:9] off	
s_waitcnt vmcnt(0)
	;;#ASMEND
.LBB1595_128:
	s_or_b64 exec, exec, s[4:5]
	v_cmp_eq_u32_e32 vcc, 0, v85
	s_waitcnt lgkmcnt(1)
	v_cndmask_b32_e32 v7, v1, v10, vcc
	s_waitcnt lgkmcnt(0)
	v_cndmask_b32_e32 v1, v24, v11, vcc
	v_mov_b32_e32 v8, 0
	v_cndmask_b32_e64 v1, v1, 0, s[0:1]
	v_cndmask_b32_e64 v10, v7, 0, s[0:1]
	s_barrier
	v_mov_b32_e32 v7, s6
	v_mov_b32_e32 v9, 0
.LBB1595_129:
	v_add_u32_e32 v11, v10, v67
	v_add_u32_e32 v26, v1, v68
	;; [unrolled: 1-line block ×13, first 2 shown]
	s_waitcnt vmcnt(0) lgkmcnt(0)
	v_add_co_u32_e32 v2, vcc, v2, v8
	v_add_u32_e32 v68, v62, v74
	v_add_u32_e32 v64, v67, v64
	v_addc_co_u32_e32 v3, vcc, 0, v3, vcc
	v_add_u32_e32 v69, v68, v82
	v_add_u32_e32 v70, v64, v75
	v_sub_co_u32_e32 v24, vcc, v4, v6
	v_add_u32_e32 v71, v69, v76
	v_add_u32_e32 v65, v70, v65
	v_subbrev_co_u32_e32 v25, vcc, 0, v5, vcc
	v_lshlrev_b32_e32 v76, 1, v6
	v_sub_u32_e32 v1, v1, v9
	v_add_u32_e32 v73, v65, v77
	v_add_co_u32_e32 v24, vcc, v24, v9
	v_add_u32_e32 v77, v76, v7
	v_sub_u32_e32 v10, v10, v8
	v_add_u32_e32 v1, v1, v6
	v_addc_co_u32_e32 v25, vcc, 0, v25, vcc
	v_add_u32_e32 v36, v77, v36
	v_and_b32_e32 v38, 1, v38
	v_add_u32_e32 v77, v10, v1
	v_and_b32_e32 v37, 1, v37
	v_sub_u32_e32 v77, v36, v77
	v_cmp_eq_u32_e32 vcc, 1, v38
	v_cndmask_b32_e32 v1, v77, v1, vcc
	v_cmp_eq_u32_e32 vcc, 1, v37
	v_cndmask_b32_e32 v1, v1, v10, vcc
	v_lshlrev_b32_e32 v1, 2, v1
	ds_write_b32 v1, v22
	v_sub_u32_e32 v1, v11, v8
	v_sub_u32_e32 v11, v26, v9
	v_add_u32_e32 v11, v11, v6
	v_add_u32_e32 v26, v11, v1
	v_and_b32_e32 v22, 1, v40
	v_sub_u32_e32 v26, v36, v26
	v_and_b32_e32 v10, 1, v39
	v_add_u32_e32 v26, 1, v26
	v_cmp_eq_u32_e32 vcc, 1, v22
	v_cndmask_b32_e32 v11, v26, v11, vcc
	v_cmp_eq_u32_e32 vcc, 1, v10
	v_cndmask_b32_e32 v1, v11, v1, vcc
	v_lshlrev_b32_e32 v1, 2, v1
	v_sub_u32_e32 v11, v27, v9
	ds_write_b32 v1, v23
	v_sub_u32_e32 v1, v28, v8
	v_add_u32_e32 v11, v11, v6
	v_add_u32_e32 v23, v11, v1
	v_and_b32_e32 v22, 1, v42
	v_sub_u32_e32 v23, v36, v23
	v_and_b32_e32 v10, 1, v41
	v_add_u32_e32 v23, 2, v23
	v_cmp_eq_u32_e32 vcc, 1, v22
	v_cndmask_b32_e32 v11, v23, v11, vcc
	v_cmp_eq_u32_e32 vcc, 1, v10
	v_cndmask_b32_e32 v1, v11, v1, vcc
	v_lshlrev_b32_e32 v1, 2, v1
	v_sub_u32_e32 v11, v30, v9
	ds_write_b32 v1, v20
	;; [unrolled: 14-line block ×8, first 2 shown]
	v_sub_u32_e32 v1, v70, v8
	v_add_u32_e32 v11, v11, v6
	v_add_u32_e32 v16, v1, v11
	v_and_b32_e32 v14, 1, v55
	v_sub_u32_e32 v16, v36, v16
	v_and_b32_e32 v10, 1, v56
	v_add_u32_e32 v16, 9, v16
	v_cmp_eq_u32_e32 vcc, 1, v14
	v_cndmask_b32_e32 v11, v16, v11, vcc
	v_cmp_eq_u32_e32 vcc, 1, v10
	v_add_u32_e32 v72, v71, v83
	v_cndmask_b32_e32 v1, v11, v1, vcc
	v_lshlrev_b32_e32 v1, 2, v1
	v_sub_u32_e32 v11, v72, v9
	ds_write_b32 v1, v15
	v_sub_u32_e32 v1, v65, v8
	v_add_u32_e32 v11, v11, v6
	v_add_u32_e32 v15, v1, v11
	v_and_b32_e32 v14, 1, v57
	v_sub_u32_e32 v15, v36, v15
	v_and_b32_e32 v10, 1, v58
	v_add_u32_e32 v15, 10, v15
	v_cmp_eq_u32_e32 vcc, 1, v14
	v_cndmask_b32_e32 v11, v15, v11, vcc
	v_cmp_eq_u32_e32 vcc, 1, v10
	v_add_u32_e32 v74, v72, v78
	v_cndmask_b32_e32 v1, v11, v1, vcc
	v_lshlrev_b32_e32 v1, 2, v1
	v_sub_u32_e32 v11, v74, v9
	ds_write_b32 v1, v12
	v_sub_u32_e32 v1, v73, v8
	v_add_u32_e32 v11, v11, v6
	v_add_u32_e32 v14, v1, v11
	v_and_b32_e32 v12, 1, v59
	v_sub_u32_e32 v14, v36, v14
	v_and_b32_e32 v10, 1, v60
	v_add_u32_e32 v14, 11, v14
	v_cmp_eq_u32_e32 vcc, 1, v12
	v_cndmask_b32_e32 v11, v14, v11, vcc
	v_cmp_eq_u32_e32 vcc, 1, v10
	v_cndmask_b32_e32 v1, v11, v1, vcc
	v_add_u32_e32 v75, v74, v84
	v_add_u32_e32 v66, v73, v66
	v_lshlrev_b32_e32 v1, 2, v1
	ds_write_b32 v1, v13
	v_sub_u32_e32 v1, v66, v8
	v_sub_u32_e32 v8, v75, v9
	v_add_u32_e32 v8, v8, v6
	v_add_u32_e32 v10, v1, v8
	v_sub_u32_e32 v10, v36, v10
	v_add_u32_e32 v10, 12, v10
	v_cndmask_b32_e64 v8, v10, v8, s[54:55]
	v_cndmask_b32_e64 v1, v8, v1, s[52:53]
	v_lshlrev_b32_e32 v1, 2, v1
	ds_write_b32 v1, v35
	v_mov_b32_e32 v1, s49
	v_add_co_u32_e32 v8, vcc, s48, v34
	v_addc_co_u32_e32 v10, vcc, 0, v1, vcc
	v_add_co_u32_e32 v1, vcc, v7, v76
	v_addc_co_u32_e64 v11, s[4:5], 0, 0, vcc
	v_add_co_u32_e32 v1, vcc, v1, v24
	v_addc_co_u32_e32 v11, vcc, v11, v25, vcc
	v_add_co_u32_e32 v1, vcc, v1, v2
	v_addc_co_u32_e32 v11, vcc, v11, v3, vcc
	v_sub_co_u32_e32 v1, vcc, v8, v1
	v_subb_co_u32_e32 v8, vcc, v10, v11, vcc
	v_lshlrev_b64 v[10:11], 2, v[24:25]
	v_mov_b32_e32 v12, s47
	v_add_co_u32_e32 v10, vcc, s46, v10
	v_addc_co_u32_e32 v11, vcc, v12, v11, vcc
	v_lshlrev_b64 v[12:13], 2, v[2:3]
	v_mov_b32_e32 v15, s45
	v_add_co_u32_e32 v12, vcc, s44, v12
	s_add_u32 s8, s34, -4
	v_addc_co_u32_e32 v13, vcc, v15, v13, vcc
	s_addc_u32 s9, s35, -1
	v_add_u32_e32 v14, v6, v7
	s_and_b64 vcc, exec, s[2:3]
	s_mov_b64 s[2:3], -1
	s_waitcnt lgkmcnt(0)
	s_barrier
	s_cbranch_vccz .LBB1595_133
; %bb.130:
	s_and_b64 vcc, exec, s[2:3]
	s_cbranch_vccnz .LBB1595_238
.LBB1595_131:
	s_and_b64 s[0:1], s[0:1], s[30:31]
	s_and_saveexec_b64 s[2:3], s[0:1]
	s_cbranch_execnz .LBB1595_356
.LBB1595_132:
	s_endpgm
.LBB1595_133:
	v_cmp_le_u32_e32 vcc, v6, v0
	s_and_saveexec_b64 s[2:3], vcc
	s_xor_b64 s[2:3], exec, s[2:3]
	s_cbranch_execz .LBB1595_139
; %bb.134:
	v_cmp_le_u32_e32 vcc, v14, v0
	s_and_saveexec_b64 s[4:5], vcc
	s_xor_b64 s[4:5], exec, s[4:5]
	s_cbranch_execz .LBB1595_136
; %bb.135:
	v_lshlrev_b32_e32 v15, 2, v0
	v_add_co_u32_e32 v16, vcc, v1, v0
	ds_read_b32 v15, v15
	v_addc_co_u32_e32 v17, vcc, 0, v8, vcc
	v_lshlrev_b64 v[16:17], 2, v[16:17]
	v_mov_b32_e32 v18, s35
	v_sub_co_u32_e32 v16, vcc, s34, v16
	v_subb_co_u32_e32 v17, vcc, v18, v17, vcc
	s_waitcnt lgkmcnt(0)
	global_store_dword v[16:17], v15, off offset:-4
.LBB1595_136:
	s_andn2_saveexec_b64 s[4:5], s[4:5]
	s_cbranch_execz .LBB1595_138
; %bb.137:
	v_lshlrev_b32_e32 v15, 2, v0
	ds_read_b32 v16, v15
	v_readfirstlane_b32 s6, v10
	v_readfirstlane_b32 s7, v11
	s_waitcnt lgkmcnt(0)
	s_nop 3
	global_store_dword v15, v16, s[6:7]
.LBB1595_138:
	s_or_b64 exec, exec, s[4:5]
.LBB1595_139:
	s_andn2_saveexec_b64 s[2:3], s[2:3]
	s_cbranch_execz .LBB1595_141
; %bb.140:
	v_lshlrev_b32_e32 v15, 2, v0
	ds_read_b32 v16, v15
	v_readfirstlane_b32 s4, v12
	v_readfirstlane_b32 s5, v13
	s_waitcnt lgkmcnt(0)
	s_nop 3
	global_store_dword v15, v16, s[4:5]
.LBB1595_141:
	s_or_b64 exec, exec, s[2:3]
	v_or_b32_e32 v15, 0x100, v0
	v_cmp_le_u32_e32 vcc, v6, v15
	s_and_saveexec_b64 s[2:3], vcc
	s_xor_b64 s[2:3], exec, s[2:3]
	s_cbranch_execz .LBB1595_147
; %bb.142:
	v_cmp_le_u32_e32 vcc, v14, v15
	s_and_saveexec_b64 s[4:5], vcc
	s_xor_b64 s[4:5], exec, s[4:5]
	s_cbranch_execz .LBB1595_144
; %bb.143:
	v_lshlrev_b32_e32 v15, 2, v0
	ds_read_b32 v15, v15 offset:1024
	v_add_co_u32_e32 v16, vcc, v1, v0
	v_addc_co_u32_e32 v17, vcc, 0, v8, vcc
	v_lshlrev_b64 v[16:17], 2, v[16:17]
	v_mov_b32_e32 v18, s9
	v_sub_co_u32_e32 v16, vcc, s8, v16
	v_subb_co_u32_e32 v17, vcc, v18, v17, vcc
	s_waitcnt lgkmcnt(0)
	global_store_dword v[16:17], v15, off offset:-1024
.LBB1595_144:
	s_andn2_saveexec_b64 s[4:5], s[4:5]
	s_cbranch_execz .LBB1595_146
; %bb.145:
	v_lshlrev_b32_e32 v15, 2, v0
	ds_read_b32 v16, v15 offset:1024
	v_readfirstlane_b32 s6, v10
	v_readfirstlane_b32 s7, v11
	s_waitcnt lgkmcnt(0)
	s_nop 3
	global_store_dword v15, v16, s[6:7] offset:1024
.LBB1595_146:
	s_or_b64 exec, exec, s[4:5]
.LBB1595_147:
	s_andn2_saveexec_b64 s[2:3], s[2:3]
	s_cbranch_execz .LBB1595_149
; %bb.148:
	v_lshlrev_b32_e32 v15, 2, v0
	ds_read_b32 v16, v15 offset:1024
	v_readfirstlane_b32 s4, v12
	v_readfirstlane_b32 s5, v13
	s_waitcnt lgkmcnt(0)
	s_nop 3
	global_store_dword v15, v16, s[4:5] offset:1024
.LBB1595_149:
	s_or_b64 exec, exec, s[2:3]
	v_or_b32_e32 v15, 0x200, v0
	v_cmp_le_u32_e32 vcc, v6, v15
	s_and_saveexec_b64 s[2:3], vcc
	s_xor_b64 s[2:3], exec, s[2:3]
	s_cbranch_execz .LBB1595_155
; %bb.150:
	v_cmp_le_u32_e32 vcc, v14, v15
	s_and_saveexec_b64 s[4:5], vcc
	s_xor_b64 s[4:5], exec, s[4:5]
	s_cbranch_execz .LBB1595_152
; %bb.151:
	v_lshlrev_b32_e32 v15, 2, v0
	ds_read_b32 v15, v15 offset:2048
	v_add_co_u32_e32 v16, vcc, v1, v0
	v_addc_co_u32_e32 v17, vcc, 0, v8, vcc
	v_lshlrev_b64 v[16:17], 2, v[16:17]
	v_mov_b32_e32 v18, s9
	v_sub_co_u32_e32 v16, vcc, s8, v16
	v_subb_co_u32_e32 v17, vcc, v18, v17, vcc
	s_waitcnt lgkmcnt(0)
	global_store_dword v[16:17], v15, off offset:-2048
.LBB1595_152:
	s_andn2_saveexec_b64 s[4:5], s[4:5]
	s_cbranch_execz .LBB1595_154
; %bb.153:
	v_lshlrev_b32_e32 v15, 2, v0
	ds_read_b32 v16, v15 offset:2048
	v_readfirstlane_b32 s6, v10
	v_readfirstlane_b32 s7, v11
	s_waitcnt lgkmcnt(0)
	s_nop 3
	global_store_dword v15, v16, s[6:7] offset:2048
.LBB1595_154:
	s_or_b64 exec, exec, s[4:5]
.LBB1595_155:
	s_andn2_saveexec_b64 s[2:3], s[2:3]
	s_cbranch_execz .LBB1595_157
; %bb.156:
	v_lshlrev_b32_e32 v15, 2, v0
	ds_read_b32 v16, v15 offset:2048
	v_readfirstlane_b32 s4, v12
	v_readfirstlane_b32 s5, v13
	s_waitcnt lgkmcnt(0)
	s_nop 3
	global_store_dword v15, v16, s[4:5] offset:2048
.LBB1595_157:
	;; [unrolled: 47-line block ×3, first 2 shown]
	s_or_b64 exec, exec, s[2:3]
	v_or_b32_e32 v15, 0x400, v0
	v_cmp_le_u32_e32 vcc, v6, v15
	s_and_saveexec_b64 s[2:3], vcc
	s_xor_b64 s[2:3], exec, s[2:3]
	s_cbranch_execz .LBB1595_171
; %bb.166:
	v_cmp_le_u32_e32 vcc, v14, v15
	s_and_saveexec_b64 s[4:5], vcc
	s_xor_b64 s[4:5], exec, s[4:5]
	s_cbranch_execz .LBB1595_168
; %bb.167:
	v_lshlrev_b32_e32 v15, 2, v0
	ds_read_b32 v15, v15 offset:4096
	v_add_co_u32_e32 v16, vcc, v1, v0
	v_addc_co_u32_e32 v17, vcc, 0, v8, vcc
	v_lshlrev_b64 v[16:17], 2, v[16:17]
	v_mov_b32_e32 v18, s9
	v_sub_co_u32_e32 v16, vcc, s8, v16
	v_subb_co_u32_e32 v17, vcc, v18, v17, vcc
	s_waitcnt lgkmcnt(0)
	global_store_dword v[16:17], v15, off offset:-4096
                                        ; implicit-def: $vgpr15
.LBB1595_168:
	s_andn2_saveexec_b64 s[4:5], s[4:5]
	s_cbranch_execz .LBB1595_170
; %bb.169:
	v_lshlrev_b32_e32 v16, 2, v0
	ds_read_b32 v16, v16 offset:4096
	v_lshlrev_b32_e32 v15, 2, v15
	v_readfirstlane_b32 s6, v10
	v_readfirstlane_b32 s7, v11
	s_waitcnt lgkmcnt(0)
	s_nop 3
	global_store_dword v15, v16, s[6:7]
.LBB1595_170:
	s_or_b64 exec, exec, s[4:5]
                                        ; implicit-def: $vgpr15
.LBB1595_171:
	s_andn2_saveexec_b64 s[2:3], s[2:3]
	s_cbranch_execz .LBB1595_173
; %bb.172:
	v_lshlrev_b32_e32 v16, 2, v0
	ds_read_b32 v16, v16 offset:4096
	v_lshlrev_b32_e32 v15, 2, v15
	v_readfirstlane_b32 s4, v12
	v_readfirstlane_b32 s5, v13
	s_waitcnt lgkmcnt(0)
	s_nop 3
	global_store_dword v15, v16, s[4:5]
.LBB1595_173:
	s_or_b64 exec, exec, s[2:3]
	v_or_b32_e32 v15, 0x500, v0
	v_cmp_le_u32_e32 vcc, v6, v15
	s_and_saveexec_b64 s[2:3], vcc
	s_xor_b64 s[2:3], exec, s[2:3]
	s_cbranch_execz .LBB1595_179
; %bb.174:
	v_cmp_le_u32_e32 vcc, v14, v15
	s_and_saveexec_b64 s[4:5], vcc
	s_xor_b64 s[4:5], exec, s[4:5]
	s_cbranch_execz .LBB1595_176
; %bb.175:
	v_add_co_u32_e32 v16, vcc, v1, v15
	v_lshlrev_b32_e32 v15, 2, v0
	ds_read_b32 v15, v15 offset:5120
	v_addc_co_u32_e32 v17, vcc, 0, v8, vcc
	v_lshlrev_b64 v[16:17], 2, v[16:17]
	v_mov_b32_e32 v18, s9
	v_sub_co_u32_e32 v16, vcc, s8, v16
	v_subb_co_u32_e32 v17, vcc, v18, v17, vcc
	s_waitcnt lgkmcnt(0)
	global_store_dword v[16:17], v15, off
                                        ; implicit-def: $vgpr15
.LBB1595_176:
	s_andn2_saveexec_b64 s[4:5], s[4:5]
	s_cbranch_execz .LBB1595_178
; %bb.177:
	v_lshlrev_b32_e32 v16, 2, v0
	ds_read_b32 v16, v16 offset:5120
	v_lshlrev_b32_e32 v15, 2, v15
	v_readfirstlane_b32 s6, v10
	v_readfirstlane_b32 s7, v11
	s_waitcnt lgkmcnt(0)
	s_nop 3
	global_store_dword v15, v16, s[6:7]
.LBB1595_178:
	s_or_b64 exec, exec, s[4:5]
                                        ; implicit-def: $vgpr15
.LBB1595_179:
	s_andn2_saveexec_b64 s[2:3], s[2:3]
	s_cbranch_execz .LBB1595_181
; %bb.180:
	v_lshlrev_b32_e32 v16, 2, v0
	ds_read_b32 v16, v16 offset:5120
	v_lshlrev_b32_e32 v15, 2, v15
	v_readfirstlane_b32 s4, v12
	v_readfirstlane_b32 s5, v13
	s_waitcnt lgkmcnt(0)
	s_nop 3
	global_store_dword v15, v16, s[4:5]
.LBB1595_181:
	s_or_b64 exec, exec, s[2:3]
	v_or_b32_e32 v15, 0x600, v0
	v_cmp_le_u32_e32 vcc, v6, v15
	s_and_saveexec_b64 s[2:3], vcc
	s_xor_b64 s[2:3], exec, s[2:3]
	s_cbranch_execz .LBB1595_187
; %bb.182:
	v_cmp_le_u32_e32 vcc, v14, v15
	s_and_saveexec_b64 s[4:5], vcc
	s_xor_b64 s[4:5], exec, s[4:5]
	s_cbranch_execz .LBB1595_184
; %bb.183:
	v_add_co_u32_e32 v16, vcc, v1, v15
	v_lshlrev_b32_e32 v15, 2, v0
	ds_read_b32 v15, v15 offset:6144
	v_addc_co_u32_e32 v17, vcc, 0, v8, vcc
	v_lshlrev_b64 v[16:17], 2, v[16:17]
	v_mov_b32_e32 v18, s9
	v_sub_co_u32_e32 v16, vcc, s8, v16
	v_subb_co_u32_e32 v17, vcc, v18, v17, vcc
	s_waitcnt lgkmcnt(0)
	global_store_dword v[16:17], v15, off
                                        ; implicit-def: $vgpr15
.LBB1595_184:
	s_andn2_saveexec_b64 s[4:5], s[4:5]
	s_cbranch_execz .LBB1595_186
; %bb.185:
	v_lshlrev_b32_e32 v16, 2, v0
	ds_read_b32 v16, v16 offset:6144
	v_lshlrev_b32_e32 v15, 2, v15
	v_readfirstlane_b32 s6, v10
	v_readfirstlane_b32 s7, v11
	s_waitcnt lgkmcnt(0)
	s_nop 3
	global_store_dword v15, v16, s[6:7]
.LBB1595_186:
	s_or_b64 exec, exec, s[4:5]
                                        ; implicit-def: $vgpr15
.LBB1595_187:
	;; [unrolled: 51-line block ×8, first 2 shown]
	s_andn2_saveexec_b64 s[2:3], s[2:3]
	s_cbranch_execz .LBB1595_237
; %bb.236:
	v_lshlrev_b32_e32 v16, 2, v0
	ds_read_b32 v16, v16 offset:12288
	v_lshlrev_b32_e32 v15, 2, v15
	v_readfirstlane_b32 s4, v12
	v_readfirstlane_b32 s5, v13
	s_waitcnt lgkmcnt(0)
	s_nop 3
	global_store_dword v15, v16, s[4:5]
.LBB1595_237:
	s_or_b64 exec, exec, s[2:3]
	s_branch .LBB1595_131
.LBB1595_238:
	v_cmp_gt_u32_e32 vcc, s16, v0
	s_and_saveexec_b64 s[2:3], vcc
	s_cbranch_execz .LBB1595_247
; %bb.239:
	v_cmp_le_u32_e32 vcc, v6, v0
	s_and_saveexec_b64 s[4:5], vcc
	s_xor_b64 s[4:5], exec, s[4:5]
	s_cbranch_execz .LBB1595_245
; %bb.240:
	v_cmp_le_u32_e32 vcc, v14, v0
	s_and_saveexec_b64 s[6:7], vcc
	s_xor_b64 s[6:7], exec, s[6:7]
	s_cbranch_execz .LBB1595_242
; %bb.241:
	v_lshlrev_b32_e32 v15, 2, v0
	v_add_co_u32_e32 v16, vcc, v1, v0
	ds_read_b32 v15, v15
	v_addc_co_u32_e32 v17, vcc, 0, v8, vcc
	v_lshlrev_b64 v[16:17], 2, v[16:17]
	v_mov_b32_e32 v18, s35
	v_sub_co_u32_e32 v16, vcc, s34, v16
	v_subb_co_u32_e32 v17, vcc, v18, v17, vcc
	s_waitcnt lgkmcnt(0)
	global_store_dword v[16:17], v15, off offset:-4
.LBB1595_242:
	s_andn2_saveexec_b64 s[6:7], s[6:7]
	s_cbranch_execz .LBB1595_244
; %bb.243:
	v_lshlrev_b32_e32 v15, 2, v0
	ds_read_b32 v16, v15
	v_readfirstlane_b32 s10, v10
	v_readfirstlane_b32 s11, v11
	s_waitcnt lgkmcnt(0)
	s_nop 3
	global_store_dword v15, v16, s[10:11]
.LBB1595_244:
	s_or_b64 exec, exec, s[6:7]
.LBB1595_245:
	s_andn2_saveexec_b64 s[4:5], s[4:5]
	s_cbranch_execz .LBB1595_247
; %bb.246:
	v_lshlrev_b32_e32 v15, 2, v0
	ds_read_b32 v16, v15
	v_readfirstlane_b32 s4, v12
	v_readfirstlane_b32 s5, v13
	s_waitcnt lgkmcnt(0)
	s_nop 3
	global_store_dword v15, v16, s[4:5]
.LBB1595_247:
	s_or_b64 exec, exec, s[2:3]
	v_or_b32_e32 v15, 0x100, v0
	v_cmp_gt_u32_e32 vcc, s16, v15
	s_and_saveexec_b64 s[2:3], vcc
	s_cbranch_execz .LBB1595_256
; %bb.248:
	v_cmp_le_u32_e32 vcc, v6, v15
	s_and_saveexec_b64 s[4:5], vcc
	s_xor_b64 s[4:5], exec, s[4:5]
	s_cbranch_execz .LBB1595_254
; %bb.249:
	v_cmp_le_u32_e32 vcc, v14, v15
	s_and_saveexec_b64 s[6:7], vcc
	s_xor_b64 s[6:7], exec, s[6:7]
	s_cbranch_execz .LBB1595_251
; %bb.250:
	v_lshlrev_b32_e32 v15, 2, v0
	ds_read_b32 v15, v15 offset:1024
	v_add_co_u32_e32 v16, vcc, v1, v0
	v_addc_co_u32_e32 v17, vcc, 0, v8, vcc
	v_lshlrev_b64 v[16:17], 2, v[16:17]
	v_mov_b32_e32 v18, s9
	v_sub_co_u32_e32 v16, vcc, s8, v16
	v_subb_co_u32_e32 v17, vcc, v18, v17, vcc
	s_waitcnt lgkmcnt(0)
	global_store_dword v[16:17], v15, off offset:-1024
.LBB1595_251:
	s_andn2_saveexec_b64 s[6:7], s[6:7]
	s_cbranch_execz .LBB1595_253
; %bb.252:
	v_lshlrev_b32_e32 v15, 2, v0
	ds_read_b32 v16, v15 offset:1024
	v_readfirstlane_b32 s10, v10
	v_readfirstlane_b32 s11, v11
	s_waitcnt lgkmcnt(0)
	s_nop 3
	global_store_dword v15, v16, s[10:11] offset:1024
.LBB1595_253:
	s_or_b64 exec, exec, s[6:7]
.LBB1595_254:
	s_andn2_saveexec_b64 s[4:5], s[4:5]
	s_cbranch_execz .LBB1595_256
; %bb.255:
	v_lshlrev_b32_e32 v15, 2, v0
	ds_read_b32 v16, v15 offset:1024
	v_readfirstlane_b32 s4, v12
	v_readfirstlane_b32 s5, v13
	s_waitcnt lgkmcnt(0)
	s_nop 3
	global_store_dword v15, v16, s[4:5] offset:1024
.LBB1595_256:
	s_or_b64 exec, exec, s[2:3]
	v_or_b32_e32 v15, 0x200, v0
	v_cmp_gt_u32_e32 vcc, s16, v15
	s_and_saveexec_b64 s[2:3], vcc
	s_cbranch_execz .LBB1595_265
; %bb.257:
	v_cmp_le_u32_e32 vcc, v6, v15
	s_and_saveexec_b64 s[4:5], vcc
	s_xor_b64 s[4:5], exec, s[4:5]
	s_cbranch_execz .LBB1595_263
; %bb.258:
	v_cmp_le_u32_e32 vcc, v14, v15
	s_and_saveexec_b64 s[6:7], vcc
	s_xor_b64 s[6:7], exec, s[6:7]
	s_cbranch_execz .LBB1595_260
; %bb.259:
	v_lshlrev_b32_e32 v15, 2, v0
	ds_read_b32 v15, v15 offset:2048
	v_add_co_u32_e32 v16, vcc, v1, v0
	v_addc_co_u32_e32 v17, vcc, 0, v8, vcc
	v_lshlrev_b64 v[16:17], 2, v[16:17]
	v_mov_b32_e32 v18, s9
	v_sub_co_u32_e32 v16, vcc, s8, v16
	v_subb_co_u32_e32 v17, vcc, v18, v17, vcc
	s_waitcnt lgkmcnt(0)
	global_store_dword v[16:17], v15, off offset:-2048
.LBB1595_260:
	s_andn2_saveexec_b64 s[6:7], s[6:7]
	s_cbranch_execz .LBB1595_262
; %bb.261:
	v_lshlrev_b32_e32 v15, 2, v0
	ds_read_b32 v16, v15 offset:2048
	v_readfirstlane_b32 s10, v10
	v_readfirstlane_b32 s11, v11
	s_waitcnt lgkmcnt(0)
	s_nop 3
	global_store_dword v15, v16, s[10:11] offset:2048
.LBB1595_262:
	s_or_b64 exec, exec, s[6:7]
.LBB1595_263:
	s_andn2_saveexec_b64 s[4:5], s[4:5]
	s_cbranch_execz .LBB1595_265
; %bb.264:
	v_lshlrev_b32_e32 v15, 2, v0
	ds_read_b32 v16, v15 offset:2048
	v_readfirstlane_b32 s4, v12
	v_readfirstlane_b32 s5, v13
	s_waitcnt lgkmcnt(0)
	s_nop 3
	global_store_dword v15, v16, s[4:5] offset:2048
.LBB1595_265:
	;; [unrolled: 51-line block ×3, first 2 shown]
	s_or_b64 exec, exec, s[2:3]
	v_or_b32_e32 v15, 0x400, v0
	v_cmp_gt_u32_e32 vcc, s16, v15
	s_and_saveexec_b64 s[2:3], vcc
	s_cbranch_execz .LBB1595_283
; %bb.275:
	v_cmp_le_u32_e32 vcc, v6, v15
	s_and_saveexec_b64 s[4:5], vcc
	s_xor_b64 s[4:5], exec, s[4:5]
	s_cbranch_execz .LBB1595_281
; %bb.276:
	v_cmp_le_u32_e32 vcc, v14, v15
	s_and_saveexec_b64 s[6:7], vcc
	s_xor_b64 s[6:7], exec, s[6:7]
	s_cbranch_execz .LBB1595_278
; %bb.277:
	v_lshlrev_b32_e32 v15, 2, v0
	ds_read_b32 v15, v15 offset:4096
	v_add_co_u32_e32 v16, vcc, v1, v0
	v_addc_co_u32_e32 v17, vcc, 0, v8, vcc
	v_lshlrev_b64 v[16:17], 2, v[16:17]
	v_mov_b32_e32 v18, s9
	v_sub_co_u32_e32 v16, vcc, s8, v16
	v_subb_co_u32_e32 v17, vcc, v18, v17, vcc
	s_waitcnt lgkmcnt(0)
	global_store_dword v[16:17], v15, off offset:-4096
                                        ; implicit-def: $vgpr15
.LBB1595_278:
	s_andn2_saveexec_b64 s[6:7], s[6:7]
	s_cbranch_execz .LBB1595_280
; %bb.279:
	v_lshlrev_b32_e32 v16, 2, v0
	ds_read_b32 v16, v16 offset:4096
	v_lshlrev_b32_e32 v15, 2, v15
	v_readfirstlane_b32 s10, v10
	v_readfirstlane_b32 s11, v11
	s_waitcnt lgkmcnt(0)
	s_nop 3
	global_store_dword v15, v16, s[10:11]
.LBB1595_280:
	s_or_b64 exec, exec, s[6:7]
                                        ; implicit-def: $vgpr15
.LBB1595_281:
	s_andn2_saveexec_b64 s[4:5], s[4:5]
	s_cbranch_execz .LBB1595_283
; %bb.282:
	v_lshlrev_b32_e32 v16, 2, v0
	ds_read_b32 v16, v16 offset:4096
	v_lshlrev_b32_e32 v15, 2, v15
	v_readfirstlane_b32 s4, v12
	v_readfirstlane_b32 s5, v13
	s_waitcnt lgkmcnt(0)
	s_nop 3
	global_store_dword v15, v16, s[4:5]
.LBB1595_283:
	s_or_b64 exec, exec, s[2:3]
	v_or_b32_e32 v15, 0x500, v0
	v_cmp_gt_u32_e32 vcc, s16, v15
	s_and_saveexec_b64 s[2:3], vcc
	s_cbranch_execz .LBB1595_292
; %bb.284:
	v_cmp_le_u32_e32 vcc, v6, v15
	s_and_saveexec_b64 s[4:5], vcc
	s_xor_b64 s[4:5], exec, s[4:5]
	s_cbranch_execz .LBB1595_290
; %bb.285:
	v_cmp_le_u32_e32 vcc, v14, v15
	s_and_saveexec_b64 s[6:7], vcc
	s_xor_b64 s[6:7], exec, s[6:7]
	s_cbranch_execz .LBB1595_287
; %bb.286:
	v_add_co_u32_e32 v16, vcc, v1, v15
	v_lshlrev_b32_e32 v15, 2, v0
	ds_read_b32 v15, v15 offset:5120
	v_addc_co_u32_e32 v17, vcc, 0, v8, vcc
	v_lshlrev_b64 v[16:17], 2, v[16:17]
	v_mov_b32_e32 v18, s9
	v_sub_co_u32_e32 v16, vcc, s8, v16
	v_subb_co_u32_e32 v17, vcc, v18, v17, vcc
	s_waitcnt lgkmcnt(0)
	global_store_dword v[16:17], v15, off
                                        ; implicit-def: $vgpr15
.LBB1595_287:
	s_andn2_saveexec_b64 s[6:7], s[6:7]
	s_cbranch_execz .LBB1595_289
; %bb.288:
	v_lshlrev_b32_e32 v16, 2, v0
	ds_read_b32 v16, v16 offset:5120
	v_lshlrev_b32_e32 v15, 2, v15
	v_readfirstlane_b32 s10, v10
	v_readfirstlane_b32 s11, v11
	s_waitcnt lgkmcnt(0)
	s_nop 3
	global_store_dword v15, v16, s[10:11]
.LBB1595_289:
	s_or_b64 exec, exec, s[6:7]
                                        ; implicit-def: $vgpr15
.LBB1595_290:
	s_andn2_saveexec_b64 s[4:5], s[4:5]
	s_cbranch_execz .LBB1595_292
; %bb.291:
	v_lshlrev_b32_e32 v16, 2, v0
	ds_read_b32 v16, v16 offset:5120
	v_lshlrev_b32_e32 v15, 2, v15
	v_readfirstlane_b32 s4, v12
	v_readfirstlane_b32 s5, v13
	s_waitcnt lgkmcnt(0)
	s_nop 3
	global_store_dword v15, v16, s[4:5]
.LBB1595_292:
	s_or_b64 exec, exec, s[2:3]
	v_or_b32_e32 v15, 0x600, v0
	v_cmp_gt_u32_e32 vcc, s16, v15
	s_and_saveexec_b64 s[2:3], vcc
	s_cbranch_execz .LBB1595_301
; %bb.293:
	v_cmp_le_u32_e32 vcc, v6, v15
	s_and_saveexec_b64 s[4:5], vcc
	s_xor_b64 s[4:5], exec, s[4:5]
	s_cbranch_execz .LBB1595_299
; %bb.294:
	v_cmp_le_u32_e32 vcc, v14, v15
	s_and_saveexec_b64 s[6:7], vcc
	s_xor_b64 s[6:7], exec, s[6:7]
	s_cbranch_execz .LBB1595_296
; %bb.295:
	v_add_co_u32_e32 v16, vcc, v1, v15
	v_lshlrev_b32_e32 v15, 2, v0
	ds_read_b32 v15, v15 offset:6144
	v_addc_co_u32_e32 v17, vcc, 0, v8, vcc
	v_lshlrev_b64 v[16:17], 2, v[16:17]
	v_mov_b32_e32 v18, s9
	v_sub_co_u32_e32 v16, vcc, s8, v16
	v_subb_co_u32_e32 v17, vcc, v18, v17, vcc
	s_waitcnt lgkmcnt(0)
	global_store_dword v[16:17], v15, off
                                        ; implicit-def: $vgpr15
.LBB1595_296:
	s_andn2_saveexec_b64 s[6:7], s[6:7]
	s_cbranch_execz .LBB1595_298
; %bb.297:
	v_lshlrev_b32_e32 v16, 2, v0
	ds_read_b32 v16, v16 offset:6144
	v_lshlrev_b32_e32 v15, 2, v15
	v_readfirstlane_b32 s10, v10
	v_readfirstlane_b32 s11, v11
	s_waitcnt lgkmcnt(0)
	s_nop 3
	global_store_dword v15, v16, s[10:11]
.LBB1595_298:
	s_or_b64 exec, exec, s[6:7]
                                        ; implicit-def: $vgpr15
.LBB1595_299:
	s_andn2_saveexec_b64 s[4:5], s[4:5]
	s_cbranch_execz .LBB1595_301
; %bb.300:
	v_lshlrev_b32_e32 v16, 2, v0
	ds_read_b32 v16, v16 offset:6144
	v_lshlrev_b32_e32 v15, 2, v15
	v_readfirstlane_b32 s4, v12
	v_readfirstlane_b32 s5, v13
	s_waitcnt lgkmcnt(0)
	s_nop 3
	global_store_dword v15, v16, s[4:5]
.LBB1595_301:
	s_or_b64 exec, exec, s[2:3]
	v_or_b32_e32 v15, 0x700, v0
	v_cmp_gt_u32_e32 vcc, s16, v15
	s_and_saveexec_b64 s[2:3], vcc
	s_cbranch_execz .LBB1595_310
; %bb.302:
	v_cmp_le_u32_e32 vcc, v6, v15
	s_and_saveexec_b64 s[4:5], vcc
	s_xor_b64 s[4:5], exec, s[4:5]
	s_cbranch_execz .LBB1595_308
; %bb.303:
	v_cmp_le_u32_e32 vcc, v14, v15
	s_and_saveexec_b64 s[6:7], vcc
	s_xor_b64 s[6:7], exec, s[6:7]
	s_cbranch_execz .LBB1595_305
; %bb.304:
	v_add_co_u32_e32 v16, vcc, v1, v15
	v_lshlrev_b32_e32 v15, 2, v0
	ds_read_b32 v15, v15 offset:7168
	v_addc_co_u32_e32 v17, vcc, 0, v8, vcc
	v_lshlrev_b64 v[16:17], 2, v[16:17]
	v_mov_b32_e32 v18, s9
	v_sub_co_u32_e32 v16, vcc, s8, v16
	v_subb_co_u32_e32 v17, vcc, v18, v17, vcc
	s_waitcnt lgkmcnt(0)
	global_store_dword v[16:17], v15, off
                                        ; implicit-def: $vgpr15
.LBB1595_305:
	s_andn2_saveexec_b64 s[6:7], s[6:7]
	s_cbranch_execz .LBB1595_307
; %bb.306:
	v_lshlrev_b32_e32 v16, 2, v0
	ds_read_b32 v16, v16 offset:7168
	v_lshlrev_b32_e32 v15, 2, v15
	v_readfirstlane_b32 s10, v10
	v_readfirstlane_b32 s11, v11
	s_waitcnt lgkmcnt(0)
	s_nop 3
	global_store_dword v15, v16, s[10:11]
.LBB1595_307:
	s_or_b64 exec, exec, s[6:7]
                                        ; implicit-def: $vgpr15
.LBB1595_308:
	s_andn2_saveexec_b64 s[4:5], s[4:5]
	s_cbranch_execz .LBB1595_310
; %bb.309:
	v_lshlrev_b32_e32 v16, 2, v0
	ds_read_b32 v16, v16 offset:7168
	v_lshlrev_b32_e32 v15, 2, v15
	v_readfirstlane_b32 s4, v12
	v_readfirstlane_b32 s5, v13
	s_waitcnt lgkmcnt(0)
	s_nop 3
	global_store_dword v15, v16, s[4:5]
.LBB1595_310:
	s_or_b64 exec, exec, s[2:3]
	v_or_b32_e32 v15, 0x800, v0
	v_cmp_gt_u32_e32 vcc, s16, v15
	s_and_saveexec_b64 s[2:3], vcc
	s_cbranch_execz .LBB1595_319
; %bb.311:
	v_cmp_le_u32_e32 vcc, v6, v15
	s_and_saveexec_b64 s[4:5], vcc
	s_xor_b64 s[4:5], exec, s[4:5]
	s_cbranch_execz .LBB1595_317
; %bb.312:
	v_cmp_le_u32_e32 vcc, v14, v15
	s_and_saveexec_b64 s[6:7], vcc
	s_xor_b64 s[6:7], exec, s[6:7]
	s_cbranch_execz .LBB1595_314
; %bb.313:
	v_add_co_u32_e32 v16, vcc, v1, v15
	v_lshlrev_b32_e32 v15, 2, v0
	ds_read_b32 v15, v15 offset:8192
	v_addc_co_u32_e32 v17, vcc, 0, v8, vcc
	v_lshlrev_b64 v[16:17], 2, v[16:17]
	v_mov_b32_e32 v18, s9
	v_sub_co_u32_e32 v16, vcc, s8, v16
	v_subb_co_u32_e32 v17, vcc, v18, v17, vcc
	s_waitcnt lgkmcnt(0)
	global_store_dword v[16:17], v15, off
                                        ; implicit-def: $vgpr15
.LBB1595_314:
	s_andn2_saveexec_b64 s[6:7], s[6:7]
	s_cbranch_execz .LBB1595_316
; %bb.315:
	v_lshlrev_b32_e32 v16, 2, v0
	ds_read_b32 v16, v16 offset:8192
	v_lshlrev_b32_e32 v15, 2, v15
	v_readfirstlane_b32 s10, v10
	v_readfirstlane_b32 s11, v11
	s_waitcnt lgkmcnt(0)
	s_nop 3
	global_store_dword v15, v16, s[10:11]
.LBB1595_316:
	s_or_b64 exec, exec, s[6:7]
                                        ; implicit-def: $vgpr15
.LBB1595_317:
	s_andn2_saveexec_b64 s[4:5], s[4:5]
	s_cbranch_execz .LBB1595_319
; %bb.318:
	v_lshlrev_b32_e32 v16, 2, v0
	ds_read_b32 v16, v16 offset:8192
	v_lshlrev_b32_e32 v15, 2, v15
	v_readfirstlane_b32 s4, v12
	v_readfirstlane_b32 s5, v13
	s_waitcnt lgkmcnt(0)
	s_nop 3
	global_store_dword v15, v16, s[4:5]
.LBB1595_319:
	s_or_b64 exec, exec, s[2:3]
	v_or_b32_e32 v15, 0x900, v0
	v_cmp_gt_u32_e32 vcc, s16, v15
	s_and_saveexec_b64 s[2:3], vcc
	s_cbranch_execz .LBB1595_328
; %bb.320:
	v_cmp_le_u32_e32 vcc, v6, v15
	s_and_saveexec_b64 s[4:5], vcc
	s_xor_b64 s[4:5], exec, s[4:5]
	s_cbranch_execz .LBB1595_326
; %bb.321:
	v_cmp_le_u32_e32 vcc, v14, v15
	s_and_saveexec_b64 s[6:7], vcc
	s_xor_b64 s[6:7], exec, s[6:7]
	s_cbranch_execz .LBB1595_323
; %bb.322:
	v_add_co_u32_e32 v16, vcc, v1, v15
	v_lshlrev_b32_e32 v15, 2, v0
	ds_read_b32 v15, v15 offset:9216
	v_addc_co_u32_e32 v17, vcc, 0, v8, vcc
	v_lshlrev_b64 v[16:17], 2, v[16:17]
	v_mov_b32_e32 v18, s9
	v_sub_co_u32_e32 v16, vcc, s8, v16
	v_subb_co_u32_e32 v17, vcc, v18, v17, vcc
	s_waitcnt lgkmcnt(0)
	global_store_dword v[16:17], v15, off
                                        ; implicit-def: $vgpr15
.LBB1595_323:
	s_andn2_saveexec_b64 s[6:7], s[6:7]
	s_cbranch_execz .LBB1595_325
; %bb.324:
	v_lshlrev_b32_e32 v16, 2, v0
	ds_read_b32 v16, v16 offset:9216
	v_lshlrev_b32_e32 v15, 2, v15
	v_readfirstlane_b32 s10, v10
	v_readfirstlane_b32 s11, v11
	s_waitcnt lgkmcnt(0)
	s_nop 3
	global_store_dword v15, v16, s[10:11]
.LBB1595_325:
	s_or_b64 exec, exec, s[6:7]
                                        ; implicit-def: $vgpr15
.LBB1595_326:
	s_andn2_saveexec_b64 s[4:5], s[4:5]
	s_cbranch_execz .LBB1595_328
; %bb.327:
	v_lshlrev_b32_e32 v16, 2, v0
	ds_read_b32 v16, v16 offset:9216
	v_lshlrev_b32_e32 v15, 2, v15
	v_readfirstlane_b32 s4, v12
	v_readfirstlane_b32 s5, v13
	s_waitcnt lgkmcnt(0)
	s_nop 3
	global_store_dword v15, v16, s[4:5]
.LBB1595_328:
	s_or_b64 exec, exec, s[2:3]
	v_or_b32_e32 v15, 0xa00, v0
	v_cmp_gt_u32_e32 vcc, s16, v15
	s_and_saveexec_b64 s[2:3], vcc
	s_cbranch_execz .LBB1595_337
; %bb.329:
	v_cmp_le_u32_e32 vcc, v6, v15
	s_and_saveexec_b64 s[4:5], vcc
	s_xor_b64 s[4:5], exec, s[4:5]
	s_cbranch_execz .LBB1595_335
; %bb.330:
	v_cmp_le_u32_e32 vcc, v14, v15
	s_and_saveexec_b64 s[6:7], vcc
	s_xor_b64 s[6:7], exec, s[6:7]
	s_cbranch_execz .LBB1595_332
; %bb.331:
	v_add_co_u32_e32 v16, vcc, v1, v15
	v_lshlrev_b32_e32 v15, 2, v0
	ds_read_b32 v15, v15 offset:10240
	v_addc_co_u32_e32 v17, vcc, 0, v8, vcc
	v_lshlrev_b64 v[16:17], 2, v[16:17]
	v_mov_b32_e32 v18, s9
	v_sub_co_u32_e32 v16, vcc, s8, v16
	v_subb_co_u32_e32 v17, vcc, v18, v17, vcc
	s_waitcnt lgkmcnt(0)
	global_store_dword v[16:17], v15, off
                                        ; implicit-def: $vgpr15
.LBB1595_332:
	s_andn2_saveexec_b64 s[6:7], s[6:7]
	s_cbranch_execz .LBB1595_334
; %bb.333:
	v_lshlrev_b32_e32 v16, 2, v0
	ds_read_b32 v16, v16 offset:10240
	v_lshlrev_b32_e32 v15, 2, v15
	v_readfirstlane_b32 s10, v10
	v_readfirstlane_b32 s11, v11
	s_waitcnt lgkmcnt(0)
	s_nop 3
	global_store_dword v15, v16, s[10:11]
.LBB1595_334:
	s_or_b64 exec, exec, s[6:7]
                                        ; implicit-def: $vgpr15
.LBB1595_335:
	s_andn2_saveexec_b64 s[4:5], s[4:5]
	s_cbranch_execz .LBB1595_337
; %bb.336:
	v_lshlrev_b32_e32 v16, 2, v0
	ds_read_b32 v16, v16 offset:10240
	v_lshlrev_b32_e32 v15, 2, v15
	v_readfirstlane_b32 s4, v12
	v_readfirstlane_b32 s5, v13
	s_waitcnt lgkmcnt(0)
	s_nop 3
	global_store_dword v15, v16, s[4:5]
.LBB1595_337:
	s_or_b64 exec, exec, s[2:3]
	v_or_b32_e32 v15, 0xb00, v0
	v_cmp_gt_u32_e32 vcc, s16, v15
	s_and_saveexec_b64 s[2:3], vcc
	s_cbranch_execz .LBB1595_346
; %bb.338:
	v_cmp_le_u32_e32 vcc, v6, v15
	s_and_saveexec_b64 s[4:5], vcc
	s_xor_b64 s[4:5], exec, s[4:5]
	s_cbranch_execz .LBB1595_344
; %bb.339:
	v_cmp_le_u32_e32 vcc, v14, v15
	s_and_saveexec_b64 s[6:7], vcc
	s_xor_b64 s[6:7], exec, s[6:7]
	s_cbranch_execz .LBB1595_341
; %bb.340:
	v_add_co_u32_e32 v16, vcc, v1, v15
	v_lshlrev_b32_e32 v15, 2, v0
	ds_read_b32 v15, v15 offset:11264
	v_addc_co_u32_e32 v17, vcc, 0, v8, vcc
	v_lshlrev_b64 v[16:17], 2, v[16:17]
	v_mov_b32_e32 v18, s9
	v_sub_co_u32_e32 v16, vcc, s8, v16
	v_subb_co_u32_e32 v17, vcc, v18, v17, vcc
	s_waitcnt lgkmcnt(0)
	global_store_dword v[16:17], v15, off
                                        ; implicit-def: $vgpr15
.LBB1595_341:
	s_andn2_saveexec_b64 s[6:7], s[6:7]
	s_cbranch_execz .LBB1595_343
; %bb.342:
	v_lshlrev_b32_e32 v16, 2, v0
	ds_read_b32 v16, v16 offset:11264
	v_lshlrev_b32_e32 v15, 2, v15
	v_readfirstlane_b32 s10, v10
	v_readfirstlane_b32 s11, v11
	s_waitcnt lgkmcnt(0)
	s_nop 3
	global_store_dword v15, v16, s[10:11]
.LBB1595_343:
	s_or_b64 exec, exec, s[6:7]
                                        ; implicit-def: $vgpr15
.LBB1595_344:
	s_andn2_saveexec_b64 s[4:5], s[4:5]
	s_cbranch_execz .LBB1595_346
; %bb.345:
	v_lshlrev_b32_e32 v16, 2, v0
	ds_read_b32 v16, v16 offset:11264
	v_lshlrev_b32_e32 v15, 2, v15
	v_readfirstlane_b32 s4, v12
	v_readfirstlane_b32 s5, v13
	s_waitcnt lgkmcnt(0)
	s_nop 3
	global_store_dword v15, v16, s[4:5]
.LBB1595_346:
	s_or_b64 exec, exec, s[2:3]
	v_or_b32_e32 v15, 0xc00, v0
	v_cmp_gt_u32_e32 vcc, s16, v15
	s_and_saveexec_b64 s[2:3], vcc
	s_cbranch_execz .LBB1595_355
; %bb.347:
	v_cmp_le_u32_e32 vcc, v6, v15
	s_and_saveexec_b64 s[4:5], vcc
	s_xor_b64 s[4:5], exec, s[4:5]
	s_cbranch_execz .LBB1595_353
; %bb.348:
	v_cmp_le_u32_e32 vcc, v14, v15
	s_and_saveexec_b64 s[6:7], vcc
	s_xor_b64 s[6:7], exec, s[6:7]
	s_cbranch_execz .LBB1595_350
; %bb.349:
	v_add_co_u32_e32 v10, vcc, v1, v15
	v_lshlrev_b32_e32 v0, 2, v0
	v_addc_co_u32_e32 v11, vcc, 0, v8, vcc
	ds_read_b32 v8, v0 offset:12288
	v_lshlrev_b64 v[0:1], 2, v[10:11]
	v_mov_b32_e32 v10, s9
	v_sub_co_u32_e32 v0, vcc, s8, v0
	v_subb_co_u32_e32 v1, vcc, v10, v1, vcc
	s_waitcnt lgkmcnt(0)
	global_store_dword v[0:1], v8, off
                                        ; implicit-def: $vgpr0
                                        ; implicit-def: $vgpr15
                                        ; implicit-def: $vgpr10_vgpr11
.LBB1595_350:
	s_andn2_saveexec_b64 s[6:7], s[6:7]
	s_cbranch_execz .LBB1595_352
; %bb.351:
	v_lshlrev_b32_e32 v0, 2, v0
	ds_read_b32 v0, v0 offset:12288
	v_lshlrev_b32_e32 v1, 2, v15
	v_readfirstlane_b32 s8, v10
	v_readfirstlane_b32 s9, v11
	s_waitcnt lgkmcnt(0)
	s_nop 3
	global_store_dword v1, v0, s[8:9]
.LBB1595_352:
	s_or_b64 exec, exec, s[6:7]
                                        ; implicit-def: $vgpr0
                                        ; implicit-def: $vgpr15
                                        ; implicit-def: $vgpr12_vgpr13
.LBB1595_353:
	s_andn2_saveexec_b64 s[4:5], s[4:5]
	s_cbranch_execz .LBB1595_355
; %bb.354:
	v_lshlrev_b32_e32 v0, 2, v0
	ds_read_b32 v0, v0 offset:12288
	v_lshlrev_b32_e32 v1, 2, v15
	v_readfirstlane_b32 s4, v12
	v_readfirstlane_b32 s5, v13
	s_waitcnt lgkmcnt(0)
	s_nop 3
	global_store_dword v1, v0, s[4:5]
.LBB1595_355:
	s_or_b64 exec, exec, s[2:3]
	s_and_b64 s[0:1], s[0:1], s[30:31]
	s_and_saveexec_b64 s[2:3], s[0:1]
	s_cbranch_execz .LBB1595_132
.LBB1595_356:
	v_add_co_u32_e32 v0, vcc, v2, v6
	v_addc_co_u32_e32 v1, vcc, 0, v3, vcc
	v_add_co_u32_e32 v2, vcc, v4, v7
	v_addc_co_u32_e32 v3, vcc, 0, v5, vcc
	v_add_co_u32_e32 v2, vcc, v2, v9
	v_mov_b32_e32 v8, 0
	v_addc_co_u32_e32 v3, vcc, 0, v3, vcc
	global_store_dwordx4 v8, v[0:3], s[28:29]
	s_endpgm
	.section	.rodata,"a",@progbits
	.p2align	6, 0x0
	.amdhsa_kernel _ZN7rocprim17ROCPRIM_400000_NS6detail17trampoline_kernelINS0_13select_configILj256ELj13ELNS0_17block_load_methodE3ELS4_3ELS4_3ELNS0_20block_scan_algorithmE0ELj4294967295EEENS1_25partition_config_selectorILNS1_17partition_subalgoE4EjNS0_10empty_typeEbEEZZNS1_14partition_implILS8_4ELb0ES6_15HIP_vector_typeIjLj2EENS0_17counting_iteratorIjlEEPS9_SG_NS0_5tupleIJPjSI_NS0_16reverse_iteratorISI_EEEEENSH_IJSG_SG_SG_EEES9_SI_JZNS1_25segmented_radix_sort_implINS0_14default_configELb0EPKbPbPKlPlN2at6native12_GLOBAL__N_18offset_tEEE10hipError_tPvRmT1_PNSt15iterator_traitsIS12_E10value_typeET2_T3_PNS13_IS18_E10value_typeET4_jRbjT5_S1E_jjP12ihipStream_tbEUljE_ZNSN_ISO_Lb0ESQ_SR_ST_SU_SY_EESZ_S10_S11_S12_S16_S17_S18_S1B_S1C_jS1D_jS1E_S1E_jjS1G_bEUljE0_EEESZ_S10_S11_S18_S1C_S1E_T6_T7_T9_mT8_S1G_bDpT10_ENKUlT_T0_E_clISt17integral_constantIbLb0EES1T_IbLb1EEEEDaS1P_S1Q_EUlS1P_E_NS1_11comp_targetILNS1_3genE4ELNS1_11target_archE910ELNS1_3gpuE8ELNS1_3repE0EEENS1_30default_config_static_selectorELNS0_4arch9wavefront6targetE1EEEvS12_
		.amdhsa_group_segment_fixed_size 13340
		.amdhsa_private_segment_fixed_size 0
		.amdhsa_kernarg_size 184
		.amdhsa_user_sgpr_count 6
		.amdhsa_user_sgpr_private_segment_buffer 1
		.amdhsa_user_sgpr_dispatch_ptr 0
		.amdhsa_user_sgpr_queue_ptr 0
		.amdhsa_user_sgpr_kernarg_segment_ptr 1
		.amdhsa_user_sgpr_dispatch_id 0
		.amdhsa_user_sgpr_flat_scratch_init 0
		.amdhsa_user_sgpr_kernarg_preload_length 0
		.amdhsa_user_sgpr_kernarg_preload_offset 0
		.amdhsa_user_sgpr_private_segment_size 0
		.amdhsa_uses_dynamic_stack 0
		.amdhsa_system_sgpr_private_segment_wavefront_offset 0
		.amdhsa_system_sgpr_workgroup_id_x 1
		.amdhsa_system_sgpr_workgroup_id_y 0
		.amdhsa_system_sgpr_workgroup_id_z 0
		.amdhsa_system_sgpr_workgroup_info 0
		.amdhsa_system_vgpr_workitem_id 0
		.amdhsa_next_free_vgpr 107
		.amdhsa_next_free_sgpr 87
		.amdhsa_accum_offset 108
		.amdhsa_reserve_vcc 1
		.amdhsa_reserve_flat_scratch 0
		.amdhsa_float_round_mode_32 0
		.amdhsa_float_round_mode_16_64 0
		.amdhsa_float_denorm_mode_32 3
		.amdhsa_float_denorm_mode_16_64 3
		.amdhsa_dx10_clamp 1
		.amdhsa_ieee_mode 1
		.amdhsa_fp16_overflow 0
		.amdhsa_tg_split 0
		.amdhsa_exception_fp_ieee_invalid_op 0
		.amdhsa_exception_fp_denorm_src 0
		.amdhsa_exception_fp_ieee_div_zero 0
		.amdhsa_exception_fp_ieee_overflow 0
		.amdhsa_exception_fp_ieee_underflow 0
		.amdhsa_exception_fp_ieee_inexact 0
		.amdhsa_exception_int_div_zero 0
	.end_amdhsa_kernel
	.section	.text._ZN7rocprim17ROCPRIM_400000_NS6detail17trampoline_kernelINS0_13select_configILj256ELj13ELNS0_17block_load_methodE3ELS4_3ELS4_3ELNS0_20block_scan_algorithmE0ELj4294967295EEENS1_25partition_config_selectorILNS1_17partition_subalgoE4EjNS0_10empty_typeEbEEZZNS1_14partition_implILS8_4ELb0ES6_15HIP_vector_typeIjLj2EENS0_17counting_iteratorIjlEEPS9_SG_NS0_5tupleIJPjSI_NS0_16reverse_iteratorISI_EEEEENSH_IJSG_SG_SG_EEES9_SI_JZNS1_25segmented_radix_sort_implINS0_14default_configELb0EPKbPbPKlPlN2at6native12_GLOBAL__N_18offset_tEEE10hipError_tPvRmT1_PNSt15iterator_traitsIS12_E10value_typeET2_T3_PNS13_IS18_E10value_typeET4_jRbjT5_S1E_jjP12ihipStream_tbEUljE_ZNSN_ISO_Lb0ESQ_SR_ST_SU_SY_EESZ_S10_S11_S12_S16_S17_S18_S1B_S1C_jS1D_jS1E_S1E_jjS1G_bEUljE0_EEESZ_S10_S11_S18_S1C_S1E_T6_T7_T9_mT8_S1G_bDpT10_ENKUlT_T0_E_clISt17integral_constantIbLb0EES1T_IbLb1EEEEDaS1P_S1Q_EUlS1P_E_NS1_11comp_targetILNS1_3genE4ELNS1_11target_archE910ELNS1_3gpuE8ELNS1_3repE0EEENS1_30default_config_static_selectorELNS0_4arch9wavefront6targetE1EEEvS12_,"axG",@progbits,_ZN7rocprim17ROCPRIM_400000_NS6detail17trampoline_kernelINS0_13select_configILj256ELj13ELNS0_17block_load_methodE3ELS4_3ELS4_3ELNS0_20block_scan_algorithmE0ELj4294967295EEENS1_25partition_config_selectorILNS1_17partition_subalgoE4EjNS0_10empty_typeEbEEZZNS1_14partition_implILS8_4ELb0ES6_15HIP_vector_typeIjLj2EENS0_17counting_iteratorIjlEEPS9_SG_NS0_5tupleIJPjSI_NS0_16reverse_iteratorISI_EEEEENSH_IJSG_SG_SG_EEES9_SI_JZNS1_25segmented_radix_sort_implINS0_14default_configELb0EPKbPbPKlPlN2at6native12_GLOBAL__N_18offset_tEEE10hipError_tPvRmT1_PNSt15iterator_traitsIS12_E10value_typeET2_T3_PNS13_IS18_E10value_typeET4_jRbjT5_S1E_jjP12ihipStream_tbEUljE_ZNSN_ISO_Lb0ESQ_SR_ST_SU_SY_EESZ_S10_S11_S12_S16_S17_S18_S1B_S1C_jS1D_jS1E_S1E_jjS1G_bEUljE0_EEESZ_S10_S11_S18_S1C_S1E_T6_T7_T9_mT8_S1G_bDpT10_ENKUlT_T0_E_clISt17integral_constantIbLb0EES1T_IbLb1EEEEDaS1P_S1Q_EUlS1P_E_NS1_11comp_targetILNS1_3genE4ELNS1_11target_archE910ELNS1_3gpuE8ELNS1_3repE0EEENS1_30default_config_static_selectorELNS0_4arch9wavefront6targetE1EEEvS12_,comdat
.Lfunc_end1595:
	.size	_ZN7rocprim17ROCPRIM_400000_NS6detail17trampoline_kernelINS0_13select_configILj256ELj13ELNS0_17block_load_methodE3ELS4_3ELS4_3ELNS0_20block_scan_algorithmE0ELj4294967295EEENS1_25partition_config_selectorILNS1_17partition_subalgoE4EjNS0_10empty_typeEbEEZZNS1_14partition_implILS8_4ELb0ES6_15HIP_vector_typeIjLj2EENS0_17counting_iteratorIjlEEPS9_SG_NS0_5tupleIJPjSI_NS0_16reverse_iteratorISI_EEEEENSH_IJSG_SG_SG_EEES9_SI_JZNS1_25segmented_radix_sort_implINS0_14default_configELb0EPKbPbPKlPlN2at6native12_GLOBAL__N_18offset_tEEE10hipError_tPvRmT1_PNSt15iterator_traitsIS12_E10value_typeET2_T3_PNS13_IS18_E10value_typeET4_jRbjT5_S1E_jjP12ihipStream_tbEUljE_ZNSN_ISO_Lb0ESQ_SR_ST_SU_SY_EESZ_S10_S11_S12_S16_S17_S18_S1B_S1C_jS1D_jS1E_S1E_jjS1G_bEUljE0_EEESZ_S10_S11_S18_S1C_S1E_T6_T7_T9_mT8_S1G_bDpT10_ENKUlT_T0_E_clISt17integral_constantIbLb0EES1T_IbLb1EEEEDaS1P_S1Q_EUlS1P_E_NS1_11comp_targetILNS1_3genE4ELNS1_11target_archE910ELNS1_3gpuE8ELNS1_3repE0EEENS1_30default_config_static_selectorELNS0_4arch9wavefront6targetE1EEEvS12_, .Lfunc_end1595-_ZN7rocprim17ROCPRIM_400000_NS6detail17trampoline_kernelINS0_13select_configILj256ELj13ELNS0_17block_load_methodE3ELS4_3ELS4_3ELNS0_20block_scan_algorithmE0ELj4294967295EEENS1_25partition_config_selectorILNS1_17partition_subalgoE4EjNS0_10empty_typeEbEEZZNS1_14partition_implILS8_4ELb0ES6_15HIP_vector_typeIjLj2EENS0_17counting_iteratorIjlEEPS9_SG_NS0_5tupleIJPjSI_NS0_16reverse_iteratorISI_EEEEENSH_IJSG_SG_SG_EEES9_SI_JZNS1_25segmented_radix_sort_implINS0_14default_configELb0EPKbPbPKlPlN2at6native12_GLOBAL__N_18offset_tEEE10hipError_tPvRmT1_PNSt15iterator_traitsIS12_E10value_typeET2_T3_PNS13_IS18_E10value_typeET4_jRbjT5_S1E_jjP12ihipStream_tbEUljE_ZNSN_ISO_Lb0ESQ_SR_ST_SU_SY_EESZ_S10_S11_S12_S16_S17_S18_S1B_S1C_jS1D_jS1E_S1E_jjS1G_bEUljE0_EEESZ_S10_S11_S18_S1C_S1E_T6_T7_T9_mT8_S1G_bDpT10_ENKUlT_T0_E_clISt17integral_constantIbLb0EES1T_IbLb1EEEEDaS1P_S1Q_EUlS1P_E_NS1_11comp_targetILNS1_3genE4ELNS1_11target_archE910ELNS1_3gpuE8ELNS1_3repE0EEENS1_30default_config_static_selectorELNS0_4arch9wavefront6targetE1EEEvS12_
                                        ; -- End function
	.section	.AMDGPU.csdata,"",@progbits
; Kernel info:
; codeLenInByte = 13432
; NumSgprs: 91
; NumVgprs: 107
; NumAgprs: 0
; TotalNumVgprs: 107
; ScratchSize: 0
; MemoryBound: 0
; FloatMode: 240
; IeeeMode: 1
; LDSByteSize: 13340 bytes/workgroup (compile time only)
; SGPRBlocks: 11
; VGPRBlocks: 13
; NumSGPRsForWavesPerEU: 91
; NumVGPRsForWavesPerEU: 107
; AccumOffset: 108
; Occupancy: 4
; WaveLimiterHint : 1
; COMPUTE_PGM_RSRC2:SCRATCH_EN: 0
; COMPUTE_PGM_RSRC2:USER_SGPR: 6
; COMPUTE_PGM_RSRC2:TRAP_HANDLER: 0
; COMPUTE_PGM_RSRC2:TGID_X_EN: 1
; COMPUTE_PGM_RSRC2:TGID_Y_EN: 0
; COMPUTE_PGM_RSRC2:TGID_Z_EN: 0
; COMPUTE_PGM_RSRC2:TIDIG_COMP_CNT: 0
; COMPUTE_PGM_RSRC3_GFX90A:ACCUM_OFFSET: 26
; COMPUTE_PGM_RSRC3_GFX90A:TG_SPLIT: 0
	.section	.text._ZN7rocprim17ROCPRIM_400000_NS6detail17trampoline_kernelINS0_13select_configILj256ELj13ELNS0_17block_load_methodE3ELS4_3ELS4_3ELNS0_20block_scan_algorithmE0ELj4294967295EEENS1_25partition_config_selectorILNS1_17partition_subalgoE4EjNS0_10empty_typeEbEEZZNS1_14partition_implILS8_4ELb0ES6_15HIP_vector_typeIjLj2EENS0_17counting_iteratorIjlEEPS9_SG_NS0_5tupleIJPjSI_NS0_16reverse_iteratorISI_EEEEENSH_IJSG_SG_SG_EEES9_SI_JZNS1_25segmented_radix_sort_implINS0_14default_configELb0EPKbPbPKlPlN2at6native12_GLOBAL__N_18offset_tEEE10hipError_tPvRmT1_PNSt15iterator_traitsIS12_E10value_typeET2_T3_PNS13_IS18_E10value_typeET4_jRbjT5_S1E_jjP12ihipStream_tbEUljE_ZNSN_ISO_Lb0ESQ_SR_ST_SU_SY_EESZ_S10_S11_S12_S16_S17_S18_S1B_S1C_jS1D_jS1E_S1E_jjS1G_bEUljE0_EEESZ_S10_S11_S18_S1C_S1E_T6_T7_T9_mT8_S1G_bDpT10_ENKUlT_T0_E_clISt17integral_constantIbLb0EES1T_IbLb1EEEEDaS1P_S1Q_EUlS1P_E_NS1_11comp_targetILNS1_3genE3ELNS1_11target_archE908ELNS1_3gpuE7ELNS1_3repE0EEENS1_30default_config_static_selectorELNS0_4arch9wavefront6targetE1EEEvS12_,"axG",@progbits,_ZN7rocprim17ROCPRIM_400000_NS6detail17trampoline_kernelINS0_13select_configILj256ELj13ELNS0_17block_load_methodE3ELS4_3ELS4_3ELNS0_20block_scan_algorithmE0ELj4294967295EEENS1_25partition_config_selectorILNS1_17partition_subalgoE4EjNS0_10empty_typeEbEEZZNS1_14partition_implILS8_4ELb0ES6_15HIP_vector_typeIjLj2EENS0_17counting_iteratorIjlEEPS9_SG_NS0_5tupleIJPjSI_NS0_16reverse_iteratorISI_EEEEENSH_IJSG_SG_SG_EEES9_SI_JZNS1_25segmented_radix_sort_implINS0_14default_configELb0EPKbPbPKlPlN2at6native12_GLOBAL__N_18offset_tEEE10hipError_tPvRmT1_PNSt15iterator_traitsIS12_E10value_typeET2_T3_PNS13_IS18_E10value_typeET4_jRbjT5_S1E_jjP12ihipStream_tbEUljE_ZNSN_ISO_Lb0ESQ_SR_ST_SU_SY_EESZ_S10_S11_S12_S16_S17_S18_S1B_S1C_jS1D_jS1E_S1E_jjS1G_bEUljE0_EEESZ_S10_S11_S18_S1C_S1E_T6_T7_T9_mT8_S1G_bDpT10_ENKUlT_T0_E_clISt17integral_constantIbLb0EES1T_IbLb1EEEEDaS1P_S1Q_EUlS1P_E_NS1_11comp_targetILNS1_3genE3ELNS1_11target_archE908ELNS1_3gpuE7ELNS1_3repE0EEENS1_30default_config_static_selectorELNS0_4arch9wavefront6targetE1EEEvS12_,comdat
	.globl	_ZN7rocprim17ROCPRIM_400000_NS6detail17trampoline_kernelINS0_13select_configILj256ELj13ELNS0_17block_load_methodE3ELS4_3ELS4_3ELNS0_20block_scan_algorithmE0ELj4294967295EEENS1_25partition_config_selectorILNS1_17partition_subalgoE4EjNS0_10empty_typeEbEEZZNS1_14partition_implILS8_4ELb0ES6_15HIP_vector_typeIjLj2EENS0_17counting_iteratorIjlEEPS9_SG_NS0_5tupleIJPjSI_NS0_16reverse_iteratorISI_EEEEENSH_IJSG_SG_SG_EEES9_SI_JZNS1_25segmented_radix_sort_implINS0_14default_configELb0EPKbPbPKlPlN2at6native12_GLOBAL__N_18offset_tEEE10hipError_tPvRmT1_PNSt15iterator_traitsIS12_E10value_typeET2_T3_PNS13_IS18_E10value_typeET4_jRbjT5_S1E_jjP12ihipStream_tbEUljE_ZNSN_ISO_Lb0ESQ_SR_ST_SU_SY_EESZ_S10_S11_S12_S16_S17_S18_S1B_S1C_jS1D_jS1E_S1E_jjS1G_bEUljE0_EEESZ_S10_S11_S18_S1C_S1E_T6_T7_T9_mT8_S1G_bDpT10_ENKUlT_T0_E_clISt17integral_constantIbLb0EES1T_IbLb1EEEEDaS1P_S1Q_EUlS1P_E_NS1_11comp_targetILNS1_3genE3ELNS1_11target_archE908ELNS1_3gpuE7ELNS1_3repE0EEENS1_30default_config_static_selectorELNS0_4arch9wavefront6targetE1EEEvS12_ ; -- Begin function _ZN7rocprim17ROCPRIM_400000_NS6detail17trampoline_kernelINS0_13select_configILj256ELj13ELNS0_17block_load_methodE3ELS4_3ELS4_3ELNS0_20block_scan_algorithmE0ELj4294967295EEENS1_25partition_config_selectorILNS1_17partition_subalgoE4EjNS0_10empty_typeEbEEZZNS1_14partition_implILS8_4ELb0ES6_15HIP_vector_typeIjLj2EENS0_17counting_iteratorIjlEEPS9_SG_NS0_5tupleIJPjSI_NS0_16reverse_iteratorISI_EEEEENSH_IJSG_SG_SG_EEES9_SI_JZNS1_25segmented_radix_sort_implINS0_14default_configELb0EPKbPbPKlPlN2at6native12_GLOBAL__N_18offset_tEEE10hipError_tPvRmT1_PNSt15iterator_traitsIS12_E10value_typeET2_T3_PNS13_IS18_E10value_typeET4_jRbjT5_S1E_jjP12ihipStream_tbEUljE_ZNSN_ISO_Lb0ESQ_SR_ST_SU_SY_EESZ_S10_S11_S12_S16_S17_S18_S1B_S1C_jS1D_jS1E_S1E_jjS1G_bEUljE0_EEESZ_S10_S11_S18_S1C_S1E_T6_T7_T9_mT8_S1G_bDpT10_ENKUlT_T0_E_clISt17integral_constantIbLb0EES1T_IbLb1EEEEDaS1P_S1Q_EUlS1P_E_NS1_11comp_targetILNS1_3genE3ELNS1_11target_archE908ELNS1_3gpuE7ELNS1_3repE0EEENS1_30default_config_static_selectorELNS0_4arch9wavefront6targetE1EEEvS12_
	.p2align	8
	.type	_ZN7rocprim17ROCPRIM_400000_NS6detail17trampoline_kernelINS0_13select_configILj256ELj13ELNS0_17block_load_methodE3ELS4_3ELS4_3ELNS0_20block_scan_algorithmE0ELj4294967295EEENS1_25partition_config_selectorILNS1_17partition_subalgoE4EjNS0_10empty_typeEbEEZZNS1_14partition_implILS8_4ELb0ES6_15HIP_vector_typeIjLj2EENS0_17counting_iteratorIjlEEPS9_SG_NS0_5tupleIJPjSI_NS0_16reverse_iteratorISI_EEEEENSH_IJSG_SG_SG_EEES9_SI_JZNS1_25segmented_radix_sort_implINS0_14default_configELb0EPKbPbPKlPlN2at6native12_GLOBAL__N_18offset_tEEE10hipError_tPvRmT1_PNSt15iterator_traitsIS12_E10value_typeET2_T3_PNS13_IS18_E10value_typeET4_jRbjT5_S1E_jjP12ihipStream_tbEUljE_ZNSN_ISO_Lb0ESQ_SR_ST_SU_SY_EESZ_S10_S11_S12_S16_S17_S18_S1B_S1C_jS1D_jS1E_S1E_jjS1G_bEUljE0_EEESZ_S10_S11_S18_S1C_S1E_T6_T7_T9_mT8_S1G_bDpT10_ENKUlT_T0_E_clISt17integral_constantIbLb0EES1T_IbLb1EEEEDaS1P_S1Q_EUlS1P_E_NS1_11comp_targetILNS1_3genE3ELNS1_11target_archE908ELNS1_3gpuE7ELNS1_3repE0EEENS1_30default_config_static_selectorELNS0_4arch9wavefront6targetE1EEEvS12_,@function
_ZN7rocprim17ROCPRIM_400000_NS6detail17trampoline_kernelINS0_13select_configILj256ELj13ELNS0_17block_load_methodE3ELS4_3ELS4_3ELNS0_20block_scan_algorithmE0ELj4294967295EEENS1_25partition_config_selectorILNS1_17partition_subalgoE4EjNS0_10empty_typeEbEEZZNS1_14partition_implILS8_4ELb0ES6_15HIP_vector_typeIjLj2EENS0_17counting_iteratorIjlEEPS9_SG_NS0_5tupleIJPjSI_NS0_16reverse_iteratorISI_EEEEENSH_IJSG_SG_SG_EEES9_SI_JZNS1_25segmented_radix_sort_implINS0_14default_configELb0EPKbPbPKlPlN2at6native12_GLOBAL__N_18offset_tEEE10hipError_tPvRmT1_PNSt15iterator_traitsIS12_E10value_typeET2_T3_PNS13_IS18_E10value_typeET4_jRbjT5_S1E_jjP12ihipStream_tbEUljE_ZNSN_ISO_Lb0ESQ_SR_ST_SU_SY_EESZ_S10_S11_S12_S16_S17_S18_S1B_S1C_jS1D_jS1E_S1E_jjS1G_bEUljE0_EEESZ_S10_S11_S18_S1C_S1E_T6_T7_T9_mT8_S1G_bDpT10_ENKUlT_T0_E_clISt17integral_constantIbLb0EES1T_IbLb1EEEEDaS1P_S1Q_EUlS1P_E_NS1_11comp_targetILNS1_3genE3ELNS1_11target_archE908ELNS1_3gpuE7ELNS1_3repE0EEENS1_30default_config_static_selectorELNS0_4arch9wavefront6targetE1EEEvS12_: ; @_ZN7rocprim17ROCPRIM_400000_NS6detail17trampoline_kernelINS0_13select_configILj256ELj13ELNS0_17block_load_methodE3ELS4_3ELS4_3ELNS0_20block_scan_algorithmE0ELj4294967295EEENS1_25partition_config_selectorILNS1_17partition_subalgoE4EjNS0_10empty_typeEbEEZZNS1_14partition_implILS8_4ELb0ES6_15HIP_vector_typeIjLj2EENS0_17counting_iteratorIjlEEPS9_SG_NS0_5tupleIJPjSI_NS0_16reverse_iteratorISI_EEEEENSH_IJSG_SG_SG_EEES9_SI_JZNS1_25segmented_radix_sort_implINS0_14default_configELb0EPKbPbPKlPlN2at6native12_GLOBAL__N_18offset_tEEE10hipError_tPvRmT1_PNSt15iterator_traitsIS12_E10value_typeET2_T3_PNS13_IS18_E10value_typeET4_jRbjT5_S1E_jjP12ihipStream_tbEUljE_ZNSN_ISO_Lb0ESQ_SR_ST_SU_SY_EESZ_S10_S11_S12_S16_S17_S18_S1B_S1C_jS1D_jS1E_S1E_jjS1G_bEUljE0_EEESZ_S10_S11_S18_S1C_S1E_T6_T7_T9_mT8_S1G_bDpT10_ENKUlT_T0_E_clISt17integral_constantIbLb0EES1T_IbLb1EEEEDaS1P_S1Q_EUlS1P_E_NS1_11comp_targetILNS1_3genE3ELNS1_11target_archE908ELNS1_3gpuE7ELNS1_3repE0EEENS1_30default_config_static_selectorELNS0_4arch9wavefront6targetE1EEEvS12_
; %bb.0:
	.section	.rodata,"a",@progbits
	.p2align	6, 0x0
	.amdhsa_kernel _ZN7rocprim17ROCPRIM_400000_NS6detail17trampoline_kernelINS0_13select_configILj256ELj13ELNS0_17block_load_methodE3ELS4_3ELS4_3ELNS0_20block_scan_algorithmE0ELj4294967295EEENS1_25partition_config_selectorILNS1_17partition_subalgoE4EjNS0_10empty_typeEbEEZZNS1_14partition_implILS8_4ELb0ES6_15HIP_vector_typeIjLj2EENS0_17counting_iteratorIjlEEPS9_SG_NS0_5tupleIJPjSI_NS0_16reverse_iteratorISI_EEEEENSH_IJSG_SG_SG_EEES9_SI_JZNS1_25segmented_radix_sort_implINS0_14default_configELb0EPKbPbPKlPlN2at6native12_GLOBAL__N_18offset_tEEE10hipError_tPvRmT1_PNSt15iterator_traitsIS12_E10value_typeET2_T3_PNS13_IS18_E10value_typeET4_jRbjT5_S1E_jjP12ihipStream_tbEUljE_ZNSN_ISO_Lb0ESQ_SR_ST_SU_SY_EESZ_S10_S11_S12_S16_S17_S18_S1B_S1C_jS1D_jS1E_S1E_jjS1G_bEUljE0_EEESZ_S10_S11_S18_S1C_S1E_T6_T7_T9_mT8_S1G_bDpT10_ENKUlT_T0_E_clISt17integral_constantIbLb0EES1T_IbLb1EEEEDaS1P_S1Q_EUlS1P_E_NS1_11comp_targetILNS1_3genE3ELNS1_11target_archE908ELNS1_3gpuE7ELNS1_3repE0EEENS1_30default_config_static_selectorELNS0_4arch9wavefront6targetE1EEEvS12_
		.amdhsa_group_segment_fixed_size 0
		.amdhsa_private_segment_fixed_size 0
		.amdhsa_kernarg_size 184
		.amdhsa_user_sgpr_count 6
		.amdhsa_user_sgpr_private_segment_buffer 1
		.amdhsa_user_sgpr_dispatch_ptr 0
		.amdhsa_user_sgpr_queue_ptr 0
		.amdhsa_user_sgpr_kernarg_segment_ptr 1
		.amdhsa_user_sgpr_dispatch_id 0
		.amdhsa_user_sgpr_flat_scratch_init 0
		.amdhsa_user_sgpr_kernarg_preload_length 0
		.amdhsa_user_sgpr_kernarg_preload_offset 0
		.amdhsa_user_sgpr_private_segment_size 0
		.amdhsa_uses_dynamic_stack 0
		.amdhsa_system_sgpr_private_segment_wavefront_offset 0
		.amdhsa_system_sgpr_workgroup_id_x 1
		.amdhsa_system_sgpr_workgroup_id_y 0
		.amdhsa_system_sgpr_workgroup_id_z 0
		.amdhsa_system_sgpr_workgroup_info 0
		.amdhsa_system_vgpr_workitem_id 0
		.amdhsa_next_free_vgpr 1
		.amdhsa_next_free_sgpr 0
		.amdhsa_accum_offset 4
		.amdhsa_reserve_vcc 0
		.amdhsa_reserve_flat_scratch 0
		.amdhsa_float_round_mode_32 0
		.amdhsa_float_round_mode_16_64 0
		.amdhsa_float_denorm_mode_32 3
		.amdhsa_float_denorm_mode_16_64 3
		.amdhsa_dx10_clamp 1
		.amdhsa_ieee_mode 1
		.amdhsa_fp16_overflow 0
		.amdhsa_tg_split 0
		.amdhsa_exception_fp_ieee_invalid_op 0
		.amdhsa_exception_fp_denorm_src 0
		.amdhsa_exception_fp_ieee_div_zero 0
		.amdhsa_exception_fp_ieee_overflow 0
		.amdhsa_exception_fp_ieee_underflow 0
		.amdhsa_exception_fp_ieee_inexact 0
		.amdhsa_exception_int_div_zero 0
	.end_amdhsa_kernel
	.section	.text._ZN7rocprim17ROCPRIM_400000_NS6detail17trampoline_kernelINS0_13select_configILj256ELj13ELNS0_17block_load_methodE3ELS4_3ELS4_3ELNS0_20block_scan_algorithmE0ELj4294967295EEENS1_25partition_config_selectorILNS1_17partition_subalgoE4EjNS0_10empty_typeEbEEZZNS1_14partition_implILS8_4ELb0ES6_15HIP_vector_typeIjLj2EENS0_17counting_iteratorIjlEEPS9_SG_NS0_5tupleIJPjSI_NS0_16reverse_iteratorISI_EEEEENSH_IJSG_SG_SG_EEES9_SI_JZNS1_25segmented_radix_sort_implINS0_14default_configELb0EPKbPbPKlPlN2at6native12_GLOBAL__N_18offset_tEEE10hipError_tPvRmT1_PNSt15iterator_traitsIS12_E10value_typeET2_T3_PNS13_IS18_E10value_typeET4_jRbjT5_S1E_jjP12ihipStream_tbEUljE_ZNSN_ISO_Lb0ESQ_SR_ST_SU_SY_EESZ_S10_S11_S12_S16_S17_S18_S1B_S1C_jS1D_jS1E_S1E_jjS1G_bEUljE0_EEESZ_S10_S11_S18_S1C_S1E_T6_T7_T9_mT8_S1G_bDpT10_ENKUlT_T0_E_clISt17integral_constantIbLb0EES1T_IbLb1EEEEDaS1P_S1Q_EUlS1P_E_NS1_11comp_targetILNS1_3genE3ELNS1_11target_archE908ELNS1_3gpuE7ELNS1_3repE0EEENS1_30default_config_static_selectorELNS0_4arch9wavefront6targetE1EEEvS12_,"axG",@progbits,_ZN7rocprim17ROCPRIM_400000_NS6detail17trampoline_kernelINS0_13select_configILj256ELj13ELNS0_17block_load_methodE3ELS4_3ELS4_3ELNS0_20block_scan_algorithmE0ELj4294967295EEENS1_25partition_config_selectorILNS1_17partition_subalgoE4EjNS0_10empty_typeEbEEZZNS1_14partition_implILS8_4ELb0ES6_15HIP_vector_typeIjLj2EENS0_17counting_iteratorIjlEEPS9_SG_NS0_5tupleIJPjSI_NS0_16reverse_iteratorISI_EEEEENSH_IJSG_SG_SG_EEES9_SI_JZNS1_25segmented_radix_sort_implINS0_14default_configELb0EPKbPbPKlPlN2at6native12_GLOBAL__N_18offset_tEEE10hipError_tPvRmT1_PNSt15iterator_traitsIS12_E10value_typeET2_T3_PNS13_IS18_E10value_typeET4_jRbjT5_S1E_jjP12ihipStream_tbEUljE_ZNSN_ISO_Lb0ESQ_SR_ST_SU_SY_EESZ_S10_S11_S12_S16_S17_S18_S1B_S1C_jS1D_jS1E_S1E_jjS1G_bEUljE0_EEESZ_S10_S11_S18_S1C_S1E_T6_T7_T9_mT8_S1G_bDpT10_ENKUlT_T0_E_clISt17integral_constantIbLb0EES1T_IbLb1EEEEDaS1P_S1Q_EUlS1P_E_NS1_11comp_targetILNS1_3genE3ELNS1_11target_archE908ELNS1_3gpuE7ELNS1_3repE0EEENS1_30default_config_static_selectorELNS0_4arch9wavefront6targetE1EEEvS12_,comdat
.Lfunc_end1596:
	.size	_ZN7rocprim17ROCPRIM_400000_NS6detail17trampoline_kernelINS0_13select_configILj256ELj13ELNS0_17block_load_methodE3ELS4_3ELS4_3ELNS0_20block_scan_algorithmE0ELj4294967295EEENS1_25partition_config_selectorILNS1_17partition_subalgoE4EjNS0_10empty_typeEbEEZZNS1_14partition_implILS8_4ELb0ES6_15HIP_vector_typeIjLj2EENS0_17counting_iteratorIjlEEPS9_SG_NS0_5tupleIJPjSI_NS0_16reverse_iteratorISI_EEEEENSH_IJSG_SG_SG_EEES9_SI_JZNS1_25segmented_radix_sort_implINS0_14default_configELb0EPKbPbPKlPlN2at6native12_GLOBAL__N_18offset_tEEE10hipError_tPvRmT1_PNSt15iterator_traitsIS12_E10value_typeET2_T3_PNS13_IS18_E10value_typeET4_jRbjT5_S1E_jjP12ihipStream_tbEUljE_ZNSN_ISO_Lb0ESQ_SR_ST_SU_SY_EESZ_S10_S11_S12_S16_S17_S18_S1B_S1C_jS1D_jS1E_S1E_jjS1G_bEUljE0_EEESZ_S10_S11_S18_S1C_S1E_T6_T7_T9_mT8_S1G_bDpT10_ENKUlT_T0_E_clISt17integral_constantIbLb0EES1T_IbLb1EEEEDaS1P_S1Q_EUlS1P_E_NS1_11comp_targetILNS1_3genE3ELNS1_11target_archE908ELNS1_3gpuE7ELNS1_3repE0EEENS1_30default_config_static_selectorELNS0_4arch9wavefront6targetE1EEEvS12_, .Lfunc_end1596-_ZN7rocprim17ROCPRIM_400000_NS6detail17trampoline_kernelINS0_13select_configILj256ELj13ELNS0_17block_load_methodE3ELS4_3ELS4_3ELNS0_20block_scan_algorithmE0ELj4294967295EEENS1_25partition_config_selectorILNS1_17partition_subalgoE4EjNS0_10empty_typeEbEEZZNS1_14partition_implILS8_4ELb0ES6_15HIP_vector_typeIjLj2EENS0_17counting_iteratorIjlEEPS9_SG_NS0_5tupleIJPjSI_NS0_16reverse_iteratorISI_EEEEENSH_IJSG_SG_SG_EEES9_SI_JZNS1_25segmented_radix_sort_implINS0_14default_configELb0EPKbPbPKlPlN2at6native12_GLOBAL__N_18offset_tEEE10hipError_tPvRmT1_PNSt15iterator_traitsIS12_E10value_typeET2_T3_PNS13_IS18_E10value_typeET4_jRbjT5_S1E_jjP12ihipStream_tbEUljE_ZNSN_ISO_Lb0ESQ_SR_ST_SU_SY_EESZ_S10_S11_S12_S16_S17_S18_S1B_S1C_jS1D_jS1E_S1E_jjS1G_bEUljE0_EEESZ_S10_S11_S18_S1C_S1E_T6_T7_T9_mT8_S1G_bDpT10_ENKUlT_T0_E_clISt17integral_constantIbLb0EES1T_IbLb1EEEEDaS1P_S1Q_EUlS1P_E_NS1_11comp_targetILNS1_3genE3ELNS1_11target_archE908ELNS1_3gpuE7ELNS1_3repE0EEENS1_30default_config_static_selectorELNS0_4arch9wavefront6targetE1EEEvS12_
                                        ; -- End function
	.section	.AMDGPU.csdata,"",@progbits
; Kernel info:
; codeLenInByte = 0
; NumSgprs: 4
; NumVgprs: 0
; NumAgprs: 0
; TotalNumVgprs: 0
; ScratchSize: 0
; MemoryBound: 0
; FloatMode: 240
; IeeeMode: 1
; LDSByteSize: 0 bytes/workgroup (compile time only)
; SGPRBlocks: 0
; VGPRBlocks: 0
; NumSGPRsForWavesPerEU: 4
; NumVGPRsForWavesPerEU: 1
; AccumOffset: 4
; Occupancy: 8
; WaveLimiterHint : 0
; COMPUTE_PGM_RSRC2:SCRATCH_EN: 0
; COMPUTE_PGM_RSRC2:USER_SGPR: 6
; COMPUTE_PGM_RSRC2:TRAP_HANDLER: 0
; COMPUTE_PGM_RSRC2:TGID_X_EN: 1
; COMPUTE_PGM_RSRC2:TGID_Y_EN: 0
; COMPUTE_PGM_RSRC2:TGID_Z_EN: 0
; COMPUTE_PGM_RSRC2:TIDIG_COMP_CNT: 0
; COMPUTE_PGM_RSRC3_GFX90A:ACCUM_OFFSET: 0
; COMPUTE_PGM_RSRC3_GFX90A:TG_SPLIT: 0
	.section	.text._ZN7rocprim17ROCPRIM_400000_NS6detail17trampoline_kernelINS0_13select_configILj256ELj13ELNS0_17block_load_methodE3ELS4_3ELS4_3ELNS0_20block_scan_algorithmE0ELj4294967295EEENS1_25partition_config_selectorILNS1_17partition_subalgoE4EjNS0_10empty_typeEbEEZZNS1_14partition_implILS8_4ELb0ES6_15HIP_vector_typeIjLj2EENS0_17counting_iteratorIjlEEPS9_SG_NS0_5tupleIJPjSI_NS0_16reverse_iteratorISI_EEEEENSH_IJSG_SG_SG_EEES9_SI_JZNS1_25segmented_radix_sort_implINS0_14default_configELb0EPKbPbPKlPlN2at6native12_GLOBAL__N_18offset_tEEE10hipError_tPvRmT1_PNSt15iterator_traitsIS12_E10value_typeET2_T3_PNS13_IS18_E10value_typeET4_jRbjT5_S1E_jjP12ihipStream_tbEUljE_ZNSN_ISO_Lb0ESQ_SR_ST_SU_SY_EESZ_S10_S11_S12_S16_S17_S18_S1B_S1C_jS1D_jS1E_S1E_jjS1G_bEUljE0_EEESZ_S10_S11_S18_S1C_S1E_T6_T7_T9_mT8_S1G_bDpT10_ENKUlT_T0_E_clISt17integral_constantIbLb0EES1T_IbLb1EEEEDaS1P_S1Q_EUlS1P_E_NS1_11comp_targetILNS1_3genE2ELNS1_11target_archE906ELNS1_3gpuE6ELNS1_3repE0EEENS1_30default_config_static_selectorELNS0_4arch9wavefront6targetE1EEEvS12_,"axG",@progbits,_ZN7rocprim17ROCPRIM_400000_NS6detail17trampoline_kernelINS0_13select_configILj256ELj13ELNS0_17block_load_methodE3ELS4_3ELS4_3ELNS0_20block_scan_algorithmE0ELj4294967295EEENS1_25partition_config_selectorILNS1_17partition_subalgoE4EjNS0_10empty_typeEbEEZZNS1_14partition_implILS8_4ELb0ES6_15HIP_vector_typeIjLj2EENS0_17counting_iteratorIjlEEPS9_SG_NS0_5tupleIJPjSI_NS0_16reverse_iteratorISI_EEEEENSH_IJSG_SG_SG_EEES9_SI_JZNS1_25segmented_radix_sort_implINS0_14default_configELb0EPKbPbPKlPlN2at6native12_GLOBAL__N_18offset_tEEE10hipError_tPvRmT1_PNSt15iterator_traitsIS12_E10value_typeET2_T3_PNS13_IS18_E10value_typeET4_jRbjT5_S1E_jjP12ihipStream_tbEUljE_ZNSN_ISO_Lb0ESQ_SR_ST_SU_SY_EESZ_S10_S11_S12_S16_S17_S18_S1B_S1C_jS1D_jS1E_S1E_jjS1G_bEUljE0_EEESZ_S10_S11_S18_S1C_S1E_T6_T7_T9_mT8_S1G_bDpT10_ENKUlT_T0_E_clISt17integral_constantIbLb0EES1T_IbLb1EEEEDaS1P_S1Q_EUlS1P_E_NS1_11comp_targetILNS1_3genE2ELNS1_11target_archE906ELNS1_3gpuE6ELNS1_3repE0EEENS1_30default_config_static_selectorELNS0_4arch9wavefront6targetE1EEEvS12_,comdat
	.globl	_ZN7rocprim17ROCPRIM_400000_NS6detail17trampoline_kernelINS0_13select_configILj256ELj13ELNS0_17block_load_methodE3ELS4_3ELS4_3ELNS0_20block_scan_algorithmE0ELj4294967295EEENS1_25partition_config_selectorILNS1_17partition_subalgoE4EjNS0_10empty_typeEbEEZZNS1_14partition_implILS8_4ELb0ES6_15HIP_vector_typeIjLj2EENS0_17counting_iteratorIjlEEPS9_SG_NS0_5tupleIJPjSI_NS0_16reverse_iteratorISI_EEEEENSH_IJSG_SG_SG_EEES9_SI_JZNS1_25segmented_radix_sort_implINS0_14default_configELb0EPKbPbPKlPlN2at6native12_GLOBAL__N_18offset_tEEE10hipError_tPvRmT1_PNSt15iterator_traitsIS12_E10value_typeET2_T3_PNS13_IS18_E10value_typeET4_jRbjT5_S1E_jjP12ihipStream_tbEUljE_ZNSN_ISO_Lb0ESQ_SR_ST_SU_SY_EESZ_S10_S11_S12_S16_S17_S18_S1B_S1C_jS1D_jS1E_S1E_jjS1G_bEUljE0_EEESZ_S10_S11_S18_S1C_S1E_T6_T7_T9_mT8_S1G_bDpT10_ENKUlT_T0_E_clISt17integral_constantIbLb0EES1T_IbLb1EEEEDaS1P_S1Q_EUlS1P_E_NS1_11comp_targetILNS1_3genE2ELNS1_11target_archE906ELNS1_3gpuE6ELNS1_3repE0EEENS1_30default_config_static_selectorELNS0_4arch9wavefront6targetE1EEEvS12_ ; -- Begin function _ZN7rocprim17ROCPRIM_400000_NS6detail17trampoline_kernelINS0_13select_configILj256ELj13ELNS0_17block_load_methodE3ELS4_3ELS4_3ELNS0_20block_scan_algorithmE0ELj4294967295EEENS1_25partition_config_selectorILNS1_17partition_subalgoE4EjNS0_10empty_typeEbEEZZNS1_14partition_implILS8_4ELb0ES6_15HIP_vector_typeIjLj2EENS0_17counting_iteratorIjlEEPS9_SG_NS0_5tupleIJPjSI_NS0_16reverse_iteratorISI_EEEEENSH_IJSG_SG_SG_EEES9_SI_JZNS1_25segmented_radix_sort_implINS0_14default_configELb0EPKbPbPKlPlN2at6native12_GLOBAL__N_18offset_tEEE10hipError_tPvRmT1_PNSt15iterator_traitsIS12_E10value_typeET2_T3_PNS13_IS18_E10value_typeET4_jRbjT5_S1E_jjP12ihipStream_tbEUljE_ZNSN_ISO_Lb0ESQ_SR_ST_SU_SY_EESZ_S10_S11_S12_S16_S17_S18_S1B_S1C_jS1D_jS1E_S1E_jjS1G_bEUljE0_EEESZ_S10_S11_S18_S1C_S1E_T6_T7_T9_mT8_S1G_bDpT10_ENKUlT_T0_E_clISt17integral_constantIbLb0EES1T_IbLb1EEEEDaS1P_S1Q_EUlS1P_E_NS1_11comp_targetILNS1_3genE2ELNS1_11target_archE906ELNS1_3gpuE6ELNS1_3repE0EEENS1_30default_config_static_selectorELNS0_4arch9wavefront6targetE1EEEvS12_
	.p2align	8
	.type	_ZN7rocprim17ROCPRIM_400000_NS6detail17trampoline_kernelINS0_13select_configILj256ELj13ELNS0_17block_load_methodE3ELS4_3ELS4_3ELNS0_20block_scan_algorithmE0ELj4294967295EEENS1_25partition_config_selectorILNS1_17partition_subalgoE4EjNS0_10empty_typeEbEEZZNS1_14partition_implILS8_4ELb0ES6_15HIP_vector_typeIjLj2EENS0_17counting_iteratorIjlEEPS9_SG_NS0_5tupleIJPjSI_NS0_16reverse_iteratorISI_EEEEENSH_IJSG_SG_SG_EEES9_SI_JZNS1_25segmented_radix_sort_implINS0_14default_configELb0EPKbPbPKlPlN2at6native12_GLOBAL__N_18offset_tEEE10hipError_tPvRmT1_PNSt15iterator_traitsIS12_E10value_typeET2_T3_PNS13_IS18_E10value_typeET4_jRbjT5_S1E_jjP12ihipStream_tbEUljE_ZNSN_ISO_Lb0ESQ_SR_ST_SU_SY_EESZ_S10_S11_S12_S16_S17_S18_S1B_S1C_jS1D_jS1E_S1E_jjS1G_bEUljE0_EEESZ_S10_S11_S18_S1C_S1E_T6_T7_T9_mT8_S1G_bDpT10_ENKUlT_T0_E_clISt17integral_constantIbLb0EES1T_IbLb1EEEEDaS1P_S1Q_EUlS1P_E_NS1_11comp_targetILNS1_3genE2ELNS1_11target_archE906ELNS1_3gpuE6ELNS1_3repE0EEENS1_30default_config_static_selectorELNS0_4arch9wavefront6targetE1EEEvS12_,@function
_ZN7rocprim17ROCPRIM_400000_NS6detail17trampoline_kernelINS0_13select_configILj256ELj13ELNS0_17block_load_methodE3ELS4_3ELS4_3ELNS0_20block_scan_algorithmE0ELj4294967295EEENS1_25partition_config_selectorILNS1_17partition_subalgoE4EjNS0_10empty_typeEbEEZZNS1_14partition_implILS8_4ELb0ES6_15HIP_vector_typeIjLj2EENS0_17counting_iteratorIjlEEPS9_SG_NS0_5tupleIJPjSI_NS0_16reverse_iteratorISI_EEEEENSH_IJSG_SG_SG_EEES9_SI_JZNS1_25segmented_radix_sort_implINS0_14default_configELb0EPKbPbPKlPlN2at6native12_GLOBAL__N_18offset_tEEE10hipError_tPvRmT1_PNSt15iterator_traitsIS12_E10value_typeET2_T3_PNS13_IS18_E10value_typeET4_jRbjT5_S1E_jjP12ihipStream_tbEUljE_ZNSN_ISO_Lb0ESQ_SR_ST_SU_SY_EESZ_S10_S11_S12_S16_S17_S18_S1B_S1C_jS1D_jS1E_S1E_jjS1G_bEUljE0_EEESZ_S10_S11_S18_S1C_S1E_T6_T7_T9_mT8_S1G_bDpT10_ENKUlT_T0_E_clISt17integral_constantIbLb0EES1T_IbLb1EEEEDaS1P_S1Q_EUlS1P_E_NS1_11comp_targetILNS1_3genE2ELNS1_11target_archE906ELNS1_3gpuE6ELNS1_3repE0EEENS1_30default_config_static_selectorELNS0_4arch9wavefront6targetE1EEEvS12_: ; @_ZN7rocprim17ROCPRIM_400000_NS6detail17trampoline_kernelINS0_13select_configILj256ELj13ELNS0_17block_load_methodE3ELS4_3ELS4_3ELNS0_20block_scan_algorithmE0ELj4294967295EEENS1_25partition_config_selectorILNS1_17partition_subalgoE4EjNS0_10empty_typeEbEEZZNS1_14partition_implILS8_4ELb0ES6_15HIP_vector_typeIjLj2EENS0_17counting_iteratorIjlEEPS9_SG_NS0_5tupleIJPjSI_NS0_16reverse_iteratorISI_EEEEENSH_IJSG_SG_SG_EEES9_SI_JZNS1_25segmented_radix_sort_implINS0_14default_configELb0EPKbPbPKlPlN2at6native12_GLOBAL__N_18offset_tEEE10hipError_tPvRmT1_PNSt15iterator_traitsIS12_E10value_typeET2_T3_PNS13_IS18_E10value_typeET4_jRbjT5_S1E_jjP12ihipStream_tbEUljE_ZNSN_ISO_Lb0ESQ_SR_ST_SU_SY_EESZ_S10_S11_S12_S16_S17_S18_S1B_S1C_jS1D_jS1E_S1E_jjS1G_bEUljE0_EEESZ_S10_S11_S18_S1C_S1E_T6_T7_T9_mT8_S1G_bDpT10_ENKUlT_T0_E_clISt17integral_constantIbLb0EES1T_IbLb1EEEEDaS1P_S1Q_EUlS1P_E_NS1_11comp_targetILNS1_3genE2ELNS1_11target_archE906ELNS1_3gpuE6ELNS1_3repE0EEENS1_30default_config_static_selectorELNS0_4arch9wavefront6targetE1EEEvS12_
; %bb.0:
	.section	.rodata,"a",@progbits
	.p2align	6, 0x0
	.amdhsa_kernel _ZN7rocprim17ROCPRIM_400000_NS6detail17trampoline_kernelINS0_13select_configILj256ELj13ELNS0_17block_load_methodE3ELS4_3ELS4_3ELNS0_20block_scan_algorithmE0ELj4294967295EEENS1_25partition_config_selectorILNS1_17partition_subalgoE4EjNS0_10empty_typeEbEEZZNS1_14partition_implILS8_4ELb0ES6_15HIP_vector_typeIjLj2EENS0_17counting_iteratorIjlEEPS9_SG_NS0_5tupleIJPjSI_NS0_16reverse_iteratorISI_EEEEENSH_IJSG_SG_SG_EEES9_SI_JZNS1_25segmented_radix_sort_implINS0_14default_configELb0EPKbPbPKlPlN2at6native12_GLOBAL__N_18offset_tEEE10hipError_tPvRmT1_PNSt15iterator_traitsIS12_E10value_typeET2_T3_PNS13_IS18_E10value_typeET4_jRbjT5_S1E_jjP12ihipStream_tbEUljE_ZNSN_ISO_Lb0ESQ_SR_ST_SU_SY_EESZ_S10_S11_S12_S16_S17_S18_S1B_S1C_jS1D_jS1E_S1E_jjS1G_bEUljE0_EEESZ_S10_S11_S18_S1C_S1E_T6_T7_T9_mT8_S1G_bDpT10_ENKUlT_T0_E_clISt17integral_constantIbLb0EES1T_IbLb1EEEEDaS1P_S1Q_EUlS1P_E_NS1_11comp_targetILNS1_3genE2ELNS1_11target_archE906ELNS1_3gpuE6ELNS1_3repE0EEENS1_30default_config_static_selectorELNS0_4arch9wavefront6targetE1EEEvS12_
		.amdhsa_group_segment_fixed_size 0
		.amdhsa_private_segment_fixed_size 0
		.amdhsa_kernarg_size 184
		.amdhsa_user_sgpr_count 6
		.amdhsa_user_sgpr_private_segment_buffer 1
		.amdhsa_user_sgpr_dispatch_ptr 0
		.amdhsa_user_sgpr_queue_ptr 0
		.amdhsa_user_sgpr_kernarg_segment_ptr 1
		.amdhsa_user_sgpr_dispatch_id 0
		.amdhsa_user_sgpr_flat_scratch_init 0
		.amdhsa_user_sgpr_kernarg_preload_length 0
		.amdhsa_user_sgpr_kernarg_preload_offset 0
		.amdhsa_user_sgpr_private_segment_size 0
		.amdhsa_uses_dynamic_stack 0
		.amdhsa_system_sgpr_private_segment_wavefront_offset 0
		.amdhsa_system_sgpr_workgroup_id_x 1
		.amdhsa_system_sgpr_workgroup_id_y 0
		.amdhsa_system_sgpr_workgroup_id_z 0
		.amdhsa_system_sgpr_workgroup_info 0
		.amdhsa_system_vgpr_workitem_id 0
		.amdhsa_next_free_vgpr 1
		.amdhsa_next_free_sgpr 0
		.amdhsa_accum_offset 4
		.amdhsa_reserve_vcc 0
		.amdhsa_reserve_flat_scratch 0
		.amdhsa_float_round_mode_32 0
		.amdhsa_float_round_mode_16_64 0
		.amdhsa_float_denorm_mode_32 3
		.amdhsa_float_denorm_mode_16_64 3
		.amdhsa_dx10_clamp 1
		.amdhsa_ieee_mode 1
		.amdhsa_fp16_overflow 0
		.amdhsa_tg_split 0
		.amdhsa_exception_fp_ieee_invalid_op 0
		.amdhsa_exception_fp_denorm_src 0
		.amdhsa_exception_fp_ieee_div_zero 0
		.amdhsa_exception_fp_ieee_overflow 0
		.amdhsa_exception_fp_ieee_underflow 0
		.amdhsa_exception_fp_ieee_inexact 0
		.amdhsa_exception_int_div_zero 0
	.end_amdhsa_kernel
	.section	.text._ZN7rocprim17ROCPRIM_400000_NS6detail17trampoline_kernelINS0_13select_configILj256ELj13ELNS0_17block_load_methodE3ELS4_3ELS4_3ELNS0_20block_scan_algorithmE0ELj4294967295EEENS1_25partition_config_selectorILNS1_17partition_subalgoE4EjNS0_10empty_typeEbEEZZNS1_14partition_implILS8_4ELb0ES6_15HIP_vector_typeIjLj2EENS0_17counting_iteratorIjlEEPS9_SG_NS0_5tupleIJPjSI_NS0_16reverse_iteratorISI_EEEEENSH_IJSG_SG_SG_EEES9_SI_JZNS1_25segmented_radix_sort_implINS0_14default_configELb0EPKbPbPKlPlN2at6native12_GLOBAL__N_18offset_tEEE10hipError_tPvRmT1_PNSt15iterator_traitsIS12_E10value_typeET2_T3_PNS13_IS18_E10value_typeET4_jRbjT5_S1E_jjP12ihipStream_tbEUljE_ZNSN_ISO_Lb0ESQ_SR_ST_SU_SY_EESZ_S10_S11_S12_S16_S17_S18_S1B_S1C_jS1D_jS1E_S1E_jjS1G_bEUljE0_EEESZ_S10_S11_S18_S1C_S1E_T6_T7_T9_mT8_S1G_bDpT10_ENKUlT_T0_E_clISt17integral_constantIbLb0EES1T_IbLb1EEEEDaS1P_S1Q_EUlS1P_E_NS1_11comp_targetILNS1_3genE2ELNS1_11target_archE906ELNS1_3gpuE6ELNS1_3repE0EEENS1_30default_config_static_selectorELNS0_4arch9wavefront6targetE1EEEvS12_,"axG",@progbits,_ZN7rocprim17ROCPRIM_400000_NS6detail17trampoline_kernelINS0_13select_configILj256ELj13ELNS0_17block_load_methodE3ELS4_3ELS4_3ELNS0_20block_scan_algorithmE0ELj4294967295EEENS1_25partition_config_selectorILNS1_17partition_subalgoE4EjNS0_10empty_typeEbEEZZNS1_14partition_implILS8_4ELb0ES6_15HIP_vector_typeIjLj2EENS0_17counting_iteratorIjlEEPS9_SG_NS0_5tupleIJPjSI_NS0_16reverse_iteratorISI_EEEEENSH_IJSG_SG_SG_EEES9_SI_JZNS1_25segmented_radix_sort_implINS0_14default_configELb0EPKbPbPKlPlN2at6native12_GLOBAL__N_18offset_tEEE10hipError_tPvRmT1_PNSt15iterator_traitsIS12_E10value_typeET2_T3_PNS13_IS18_E10value_typeET4_jRbjT5_S1E_jjP12ihipStream_tbEUljE_ZNSN_ISO_Lb0ESQ_SR_ST_SU_SY_EESZ_S10_S11_S12_S16_S17_S18_S1B_S1C_jS1D_jS1E_S1E_jjS1G_bEUljE0_EEESZ_S10_S11_S18_S1C_S1E_T6_T7_T9_mT8_S1G_bDpT10_ENKUlT_T0_E_clISt17integral_constantIbLb0EES1T_IbLb1EEEEDaS1P_S1Q_EUlS1P_E_NS1_11comp_targetILNS1_3genE2ELNS1_11target_archE906ELNS1_3gpuE6ELNS1_3repE0EEENS1_30default_config_static_selectorELNS0_4arch9wavefront6targetE1EEEvS12_,comdat
.Lfunc_end1597:
	.size	_ZN7rocprim17ROCPRIM_400000_NS6detail17trampoline_kernelINS0_13select_configILj256ELj13ELNS0_17block_load_methodE3ELS4_3ELS4_3ELNS0_20block_scan_algorithmE0ELj4294967295EEENS1_25partition_config_selectorILNS1_17partition_subalgoE4EjNS0_10empty_typeEbEEZZNS1_14partition_implILS8_4ELb0ES6_15HIP_vector_typeIjLj2EENS0_17counting_iteratorIjlEEPS9_SG_NS0_5tupleIJPjSI_NS0_16reverse_iteratorISI_EEEEENSH_IJSG_SG_SG_EEES9_SI_JZNS1_25segmented_radix_sort_implINS0_14default_configELb0EPKbPbPKlPlN2at6native12_GLOBAL__N_18offset_tEEE10hipError_tPvRmT1_PNSt15iterator_traitsIS12_E10value_typeET2_T3_PNS13_IS18_E10value_typeET4_jRbjT5_S1E_jjP12ihipStream_tbEUljE_ZNSN_ISO_Lb0ESQ_SR_ST_SU_SY_EESZ_S10_S11_S12_S16_S17_S18_S1B_S1C_jS1D_jS1E_S1E_jjS1G_bEUljE0_EEESZ_S10_S11_S18_S1C_S1E_T6_T7_T9_mT8_S1G_bDpT10_ENKUlT_T0_E_clISt17integral_constantIbLb0EES1T_IbLb1EEEEDaS1P_S1Q_EUlS1P_E_NS1_11comp_targetILNS1_3genE2ELNS1_11target_archE906ELNS1_3gpuE6ELNS1_3repE0EEENS1_30default_config_static_selectorELNS0_4arch9wavefront6targetE1EEEvS12_, .Lfunc_end1597-_ZN7rocprim17ROCPRIM_400000_NS6detail17trampoline_kernelINS0_13select_configILj256ELj13ELNS0_17block_load_methodE3ELS4_3ELS4_3ELNS0_20block_scan_algorithmE0ELj4294967295EEENS1_25partition_config_selectorILNS1_17partition_subalgoE4EjNS0_10empty_typeEbEEZZNS1_14partition_implILS8_4ELb0ES6_15HIP_vector_typeIjLj2EENS0_17counting_iteratorIjlEEPS9_SG_NS0_5tupleIJPjSI_NS0_16reverse_iteratorISI_EEEEENSH_IJSG_SG_SG_EEES9_SI_JZNS1_25segmented_radix_sort_implINS0_14default_configELb0EPKbPbPKlPlN2at6native12_GLOBAL__N_18offset_tEEE10hipError_tPvRmT1_PNSt15iterator_traitsIS12_E10value_typeET2_T3_PNS13_IS18_E10value_typeET4_jRbjT5_S1E_jjP12ihipStream_tbEUljE_ZNSN_ISO_Lb0ESQ_SR_ST_SU_SY_EESZ_S10_S11_S12_S16_S17_S18_S1B_S1C_jS1D_jS1E_S1E_jjS1G_bEUljE0_EEESZ_S10_S11_S18_S1C_S1E_T6_T7_T9_mT8_S1G_bDpT10_ENKUlT_T0_E_clISt17integral_constantIbLb0EES1T_IbLb1EEEEDaS1P_S1Q_EUlS1P_E_NS1_11comp_targetILNS1_3genE2ELNS1_11target_archE906ELNS1_3gpuE6ELNS1_3repE0EEENS1_30default_config_static_selectorELNS0_4arch9wavefront6targetE1EEEvS12_
                                        ; -- End function
	.section	.AMDGPU.csdata,"",@progbits
; Kernel info:
; codeLenInByte = 0
; NumSgprs: 4
; NumVgprs: 0
; NumAgprs: 0
; TotalNumVgprs: 0
; ScratchSize: 0
; MemoryBound: 0
; FloatMode: 240
; IeeeMode: 1
; LDSByteSize: 0 bytes/workgroup (compile time only)
; SGPRBlocks: 0
; VGPRBlocks: 0
; NumSGPRsForWavesPerEU: 4
; NumVGPRsForWavesPerEU: 1
; AccumOffset: 4
; Occupancy: 8
; WaveLimiterHint : 0
; COMPUTE_PGM_RSRC2:SCRATCH_EN: 0
; COMPUTE_PGM_RSRC2:USER_SGPR: 6
; COMPUTE_PGM_RSRC2:TRAP_HANDLER: 0
; COMPUTE_PGM_RSRC2:TGID_X_EN: 1
; COMPUTE_PGM_RSRC2:TGID_Y_EN: 0
; COMPUTE_PGM_RSRC2:TGID_Z_EN: 0
; COMPUTE_PGM_RSRC2:TIDIG_COMP_CNT: 0
; COMPUTE_PGM_RSRC3_GFX90A:ACCUM_OFFSET: 0
; COMPUTE_PGM_RSRC3_GFX90A:TG_SPLIT: 0
	.section	.text._ZN7rocprim17ROCPRIM_400000_NS6detail17trampoline_kernelINS0_13select_configILj256ELj13ELNS0_17block_load_methodE3ELS4_3ELS4_3ELNS0_20block_scan_algorithmE0ELj4294967295EEENS1_25partition_config_selectorILNS1_17partition_subalgoE4EjNS0_10empty_typeEbEEZZNS1_14partition_implILS8_4ELb0ES6_15HIP_vector_typeIjLj2EENS0_17counting_iteratorIjlEEPS9_SG_NS0_5tupleIJPjSI_NS0_16reverse_iteratorISI_EEEEENSH_IJSG_SG_SG_EEES9_SI_JZNS1_25segmented_radix_sort_implINS0_14default_configELb0EPKbPbPKlPlN2at6native12_GLOBAL__N_18offset_tEEE10hipError_tPvRmT1_PNSt15iterator_traitsIS12_E10value_typeET2_T3_PNS13_IS18_E10value_typeET4_jRbjT5_S1E_jjP12ihipStream_tbEUljE_ZNSN_ISO_Lb0ESQ_SR_ST_SU_SY_EESZ_S10_S11_S12_S16_S17_S18_S1B_S1C_jS1D_jS1E_S1E_jjS1G_bEUljE0_EEESZ_S10_S11_S18_S1C_S1E_T6_T7_T9_mT8_S1G_bDpT10_ENKUlT_T0_E_clISt17integral_constantIbLb0EES1T_IbLb1EEEEDaS1P_S1Q_EUlS1P_E_NS1_11comp_targetILNS1_3genE10ELNS1_11target_archE1200ELNS1_3gpuE4ELNS1_3repE0EEENS1_30default_config_static_selectorELNS0_4arch9wavefront6targetE1EEEvS12_,"axG",@progbits,_ZN7rocprim17ROCPRIM_400000_NS6detail17trampoline_kernelINS0_13select_configILj256ELj13ELNS0_17block_load_methodE3ELS4_3ELS4_3ELNS0_20block_scan_algorithmE0ELj4294967295EEENS1_25partition_config_selectorILNS1_17partition_subalgoE4EjNS0_10empty_typeEbEEZZNS1_14partition_implILS8_4ELb0ES6_15HIP_vector_typeIjLj2EENS0_17counting_iteratorIjlEEPS9_SG_NS0_5tupleIJPjSI_NS0_16reverse_iteratorISI_EEEEENSH_IJSG_SG_SG_EEES9_SI_JZNS1_25segmented_radix_sort_implINS0_14default_configELb0EPKbPbPKlPlN2at6native12_GLOBAL__N_18offset_tEEE10hipError_tPvRmT1_PNSt15iterator_traitsIS12_E10value_typeET2_T3_PNS13_IS18_E10value_typeET4_jRbjT5_S1E_jjP12ihipStream_tbEUljE_ZNSN_ISO_Lb0ESQ_SR_ST_SU_SY_EESZ_S10_S11_S12_S16_S17_S18_S1B_S1C_jS1D_jS1E_S1E_jjS1G_bEUljE0_EEESZ_S10_S11_S18_S1C_S1E_T6_T7_T9_mT8_S1G_bDpT10_ENKUlT_T0_E_clISt17integral_constantIbLb0EES1T_IbLb1EEEEDaS1P_S1Q_EUlS1P_E_NS1_11comp_targetILNS1_3genE10ELNS1_11target_archE1200ELNS1_3gpuE4ELNS1_3repE0EEENS1_30default_config_static_selectorELNS0_4arch9wavefront6targetE1EEEvS12_,comdat
	.globl	_ZN7rocprim17ROCPRIM_400000_NS6detail17trampoline_kernelINS0_13select_configILj256ELj13ELNS0_17block_load_methodE3ELS4_3ELS4_3ELNS0_20block_scan_algorithmE0ELj4294967295EEENS1_25partition_config_selectorILNS1_17partition_subalgoE4EjNS0_10empty_typeEbEEZZNS1_14partition_implILS8_4ELb0ES6_15HIP_vector_typeIjLj2EENS0_17counting_iteratorIjlEEPS9_SG_NS0_5tupleIJPjSI_NS0_16reverse_iteratorISI_EEEEENSH_IJSG_SG_SG_EEES9_SI_JZNS1_25segmented_radix_sort_implINS0_14default_configELb0EPKbPbPKlPlN2at6native12_GLOBAL__N_18offset_tEEE10hipError_tPvRmT1_PNSt15iterator_traitsIS12_E10value_typeET2_T3_PNS13_IS18_E10value_typeET4_jRbjT5_S1E_jjP12ihipStream_tbEUljE_ZNSN_ISO_Lb0ESQ_SR_ST_SU_SY_EESZ_S10_S11_S12_S16_S17_S18_S1B_S1C_jS1D_jS1E_S1E_jjS1G_bEUljE0_EEESZ_S10_S11_S18_S1C_S1E_T6_T7_T9_mT8_S1G_bDpT10_ENKUlT_T0_E_clISt17integral_constantIbLb0EES1T_IbLb1EEEEDaS1P_S1Q_EUlS1P_E_NS1_11comp_targetILNS1_3genE10ELNS1_11target_archE1200ELNS1_3gpuE4ELNS1_3repE0EEENS1_30default_config_static_selectorELNS0_4arch9wavefront6targetE1EEEvS12_ ; -- Begin function _ZN7rocprim17ROCPRIM_400000_NS6detail17trampoline_kernelINS0_13select_configILj256ELj13ELNS0_17block_load_methodE3ELS4_3ELS4_3ELNS0_20block_scan_algorithmE0ELj4294967295EEENS1_25partition_config_selectorILNS1_17partition_subalgoE4EjNS0_10empty_typeEbEEZZNS1_14partition_implILS8_4ELb0ES6_15HIP_vector_typeIjLj2EENS0_17counting_iteratorIjlEEPS9_SG_NS0_5tupleIJPjSI_NS0_16reverse_iteratorISI_EEEEENSH_IJSG_SG_SG_EEES9_SI_JZNS1_25segmented_radix_sort_implINS0_14default_configELb0EPKbPbPKlPlN2at6native12_GLOBAL__N_18offset_tEEE10hipError_tPvRmT1_PNSt15iterator_traitsIS12_E10value_typeET2_T3_PNS13_IS18_E10value_typeET4_jRbjT5_S1E_jjP12ihipStream_tbEUljE_ZNSN_ISO_Lb0ESQ_SR_ST_SU_SY_EESZ_S10_S11_S12_S16_S17_S18_S1B_S1C_jS1D_jS1E_S1E_jjS1G_bEUljE0_EEESZ_S10_S11_S18_S1C_S1E_T6_T7_T9_mT8_S1G_bDpT10_ENKUlT_T0_E_clISt17integral_constantIbLb0EES1T_IbLb1EEEEDaS1P_S1Q_EUlS1P_E_NS1_11comp_targetILNS1_3genE10ELNS1_11target_archE1200ELNS1_3gpuE4ELNS1_3repE0EEENS1_30default_config_static_selectorELNS0_4arch9wavefront6targetE1EEEvS12_
	.p2align	8
	.type	_ZN7rocprim17ROCPRIM_400000_NS6detail17trampoline_kernelINS0_13select_configILj256ELj13ELNS0_17block_load_methodE3ELS4_3ELS4_3ELNS0_20block_scan_algorithmE0ELj4294967295EEENS1_25partition_config_selectorILNS1_17partition_subalgoE4EjNS0_10empty_typeEbEEZZNS1_14partition_implILS8_4ELb0ES6_15HIP_vector_typeIjLj2EENS0_17counting_iteratorIjlEEPS9_SG_NS0_5tupleIJPjSI_NS0_16reverse_iteratorISI_EEEEENSH_IJSG_SG_SG_EEES9_SI_JZNS1_25segmented_radix_sort_implINS0_14default_configELb0EPKbPbPKlPlN2at6native12_GLOBAL__N_18offset_tEEE10hipError_tPvRmT1_PNSt15iterator_traitsIS12_E10value_typeET2_T3_PNS13_IS18_E10value_typeET4_jRbjT5_S1E_jjP12ihipStream_tbEUljE_ZNSN_ISO_Lb0ESQ_SR_ST_SU_SY_EESZ_S10_S11_S12_S16_S17_S18_S1B_S1C_jS1D_jS1E_S1E_jjS1G_bEUljE0_EEESZ_S10_S11_S18_S1C_S1E_T6_T7_T9_mT8_S1G_bDpT10_ENKUlT_T0_E_clISt17integral_constantIbLb0EES1T_IbLb1EEEEDaS1P_S1Q_EUlS1P_E_NS1_11comp_targetILNS1_3genE10ELNS1_11target_archE1200ELNS1_3gpuE4ELNS1_3repE0EEENS1_30default_config_static_selectorELNS0_4arch9wavefront6targetE1EEEvS12_,@function
_ZN7rocprim17ROCPRIM_400000_NS6detail17trampoline_kernelINS0_13select_configILj256ELj13ELNS0_17block_load_methodE3ELS4_3ELS4_3ELNS0_20block_scan_algorithmE0ELj4294967295EEENS1_25partition_config_selectorILNS1_17partition_subalgoE4EjNS0_10empty_typeEbEEZZNS1_14partition_implILS8_4ELb0ES6_15HIP_vector_typeIjLj2EENS0_17counting_iteratorIjlEEPS9_SG_NS0_5tupleIJPjSI_NS0_16reverse_iteratorISI_EEEEENSH_IJSG_SG_SG_EEES9_SI_JZNS1_25segmented_radix_sort_implINS0_14default_configELb0EPKbPbPKlPlN2at6native12_GLOBAL__N_18offset_tEEE10hipError_tPvRmT1_PNSt15iterator_traitsIS12_E10value_typeET2_T3_PNS13_IS18_E10value_typeET4_jRbjT5_S1E_jjP12ihipStream_tbEUljE_ZNSN_ISO_Lb0ESQ_SR_ST_SU_SY_EESZ_S10_S11_S12_S16_S17_S18_S1B_S1C_jS1D_jS1E_S1E_jjS1G_bEUljE0_EEESZ_S10_S11_S18_S1C_S1E_T6_T7_T9_mT8_S1G_bDpT10_ENKUlT_T0_E_clISt17integral_constantIbLb0EES1T_IbLb1EEEEDaS1P_S1Q_EUlS1P_E_NS1_11comp_targetILNS1_3genE10ELNS1_11target_archE1200ELNS1_3gpuE4ELNS1_3repE0EEENS1_30default_config_static_selectorELNS0_4arch9wavefront6targetE1EEEvS12_: ; @_ZN7rocprim17ROCPRIM_400000_NS6detail17trampoline_kernelINS0_13select_configILj256ELj13ELNS0_17block_load_methodE3ELS4_3ELS4_3ELNS0_20block_scan_algorithmE0ELj4294967295EEENS1_25partition_config_selectorILNS1_17partition_subalgoE4EjNS0_10empty_typeEbEEZZNS1_14partition_implILS8_4ELb0ES6_15HIP_vector_typeIjLj2EENS0_17counting_iteratorIjlEEPS9_SG_NS0_5tupleIJPjSI_NS0_16reverse_iteratorISI_EEEEENSH_IJSG_SG_SG_EEES9_SI_JZNS1_25segmented_radix_sort_implINS0_14default_configELb0EPKbPbPKlPlN2at6native12_GLOBAL__N_18offset_tEEE10hipError_tPvRmT1_PNSt15iterator_traitsIS12_E10value_typeET2_T3_PNS13_IS18_E10value_typeET4_jRbjT5_S1E_jjP12ihipStream_tbEUljE_ZNSN_ISO_Lb0ESQ_SR_ST_SU_SY_EESZ_S10_S11_S12_S16_S17_S18_S1B_S1C_jS1D_jS1E_S1E_jjS1G_bEUljE0_EEESZ_S10_S11_S18_S1C_S1E_T6_T7_T9_mT8_S1G_bDpT10_ENKUlT_T0_E_clISt17integral_constantIbLb0EES1T_IbLb1EEEEDaS1P_S1Q_EUlS1P_E_NS1_11comp_targetILNS1_3genE10ELNS1_11target_archE1200ELNS1_3gpuE4ELNS1_3repE0EEENS1_30default_config_static_selectorELNS0_4arch9wavefront6targetE1EEEvS12_
; %bb.0:
	.section	.rodata,"a",@progbits
	.p2align	6, 0x0
	.amdhsa_kernel _ZN7rocprim17ROCPRIM_400000_NS6detail17trampoline_kernelINS0_13select_configILj256ELj13ELNS0_17block_load_methodE3ELS4_3ELS4_3ELNS0_20block_scan_algorithmE0ELj4294967295EEENS1_25partition_config_selectorILNS1_17partition_subalgoE4EjNS0_10empty_typeEbEEZZNS1_14partition_implILS8_4ELb0ES6_15HIP_vector_typeIjLj2EENS0_17counting_iteratorIjlEEPS9_SG_NS0_5tupleIJPjSI_NS0_16reverse_iteratorISI_EEEEENSH_IJSG_SG_SG_EEES9_SI_JZNS1_25segmented_radix_sort_implINS0_14default_configELb0EPKbPbPKlPlN2at6native12_GLOBAL__N_18offset_tEEE10hipError_tPvRmT1_PNSt15iterator_traitsIS12_E10value_typeET2_T3_PNS13_IS18_E10value_typeET4_jRbjT5_S1E_jjP12ihipStream_tbEUljE_ZNSN_ISO_Lb0ESQ_SR_ST_SU_SY_EESZ_S10_S11_S12_S16_S17_S18_S1B_S1C_jS1D_jS1E_S1E_jjS1G_bEUljE0_EEESZ_S10_S11_S18_S1C_S1E_T6_T7_T9_mT8_S1G_bDpT10_ENKUlT_T0_E_clISt17integral_constantIbLb0EES1T_IbLb1EEEEDaS1P_S1Q_EUlS1P_E_NS1_11comp_targetILNS1_3genE10ELNS1_11target_archE1200ELNS1_3gpuE4ELNS1_3repE0EEENS1_30default_config_static_selectorELNS0_4arch9wavefront6targetE1EEEvS12_
		.amdhsa_group_segment_fixed_size 0
		.amdhsa_private_segment_fixed_size 0
		.amdhsa_kernarg_size 184
		.amdhsa_user_sgpr_count 6
		.amdhsa_user_sgpr_private_segment_buffer 1
		.amdhsa_user_sgpr_dispatch_ptr 0
		.amdhsa_user_sgpr_queue_ptr 0
		.amdhsa_user_sgpr_kernarg_segment_ptr 1
		.amdhsa_user_sgpr_dispatch_id 0
		.amdhsa_user_sgpr_flat_scratch_init 0
		.amdhsa_user_sgpr_kernarg_preload_length 0
		.amdhsa_user_sgpr_kernarg_preload_offset 0
		.amdhsa_user_sgpr_private_segment_size 0
		.amdhsa_uses_dynamic_stack 0
		.amdhsa_system_sgpr_private_segment_wavefront_offset 0
		.amdhsa_system_sgpr_workgroup_id_x 1
		.amdhsa_system_sgpr_workgroup_id_y 0
		.amdhsa_system_sgpr_workgroup_id_z 0
		.amdhsa_system_sgpr_workgroup_info 0
		.amdhsa_system_vgpr_workitem_id 0
		.amdhsa_next_free_vgpr 1
		.amdhsa_next_free_sgpr 0
		.amdhsa_accum_offset 4
		.amdhsa_reserve_vcc 0
		.amdhsa_reserve_flat_scratch 0
		.amdhsa_float_round_mode_32 0
		.amdhsa_float_round_mode_16_64 0
		.amdhsa_float_denorm_mode_32 3
		.amdhsa_float_denorm_mode_16_64 3
		.amdhsa_dx10_clamp 1
		.amdhsa_ieee_mode 1
		.amdhsa_fp16_overflow 0
		.amdhsa_tg_split 0
		.amdhsa_exception_fp_ieee_invalid_op 0
		.amdhsa_exception_fp_denorm_src 0
		.amdhsa_exception_fp_ieee_div_zero 0
		.amdhsa_exception_fp_ieee_overflow 0
		.amdhsa_exception_fp_ieee_underflow 0
		.amdhsa_exception_fp_ieee_inexact 0
		.amdhsa_exception_int_div_zero 0
	.end_amdhsa_kernel
	.section	.text._ZN7rocprim17ROCPRIM_400000_NS6detail17trampoline_kernelINS0_13select_configILj256ELj13ELNS0_17block_load_methodE3ELS4_3ELS4_3ELNS0_20block_scan_algorithmE0ELj4294967295EEENS1_25partition_config_selectorILNS1_17partition_subalgoE4EjNS0_10empty_typeEbEEZZNS1_14partition_implILS8_4ELb0ES6_15HIP_vector_typeIjLj2EENS0_17counting_iteratorIjlEEPS9_SG_NS0_5tupleIJPjSI_NS0_16reverse_iteratorISI_EEEEENSH_IJSG_SG_SG_EEES9_SI_JZNS1_25segmented_radix_sort_implINS0_14default_configELb0EPKbPbPKlPlN2at6native12_GLOBAL__N_18offset_tEEE10hipError_tPvRmT1_PNSt15iterator_traitsIS12_E10value_typeET2_T3_PNS13_IS18_E10value_typeET4_jRbjT5_S1E_jjP12ihipStream_tbEUljE_ZNSN_ISO_Lb0ESQ_SR_ST_SU_SY_EESZ_S10_S11_S12_S16_S17_S18_S1B_S1C_jS1D_jS1E_S1E_jjS1G_bEUljE0_EEESZ_S10_S11_S18_S1C_S1E_T6_T7_T9_mT8_S1G_bDpT10_ENKUlT_T0_E_clISt17integral_constantIbLb0EES1T_IbLb1EEEEDaS1P_S1Q_EUlS1P_E_NS1_11comp_targetILNS1_3genE10ELNS1_11target_archE1200ELNS1_3gpuE4ELNS1_3repE0EEENS1_30default_config_static_selectorELNS0_4arch9wavefront6targetE1EEEvS12_,"axG",@progbits,_ZN7rocprim17ROCPRIM_400000_NS6detail17trampoline_kernelINS0_13select_configILj256ELj13ELNS0_17block_load_methodE3ELS4_3ELS4_3ELNS0_20block_scan_algorithmE0ELj4294967295EEENS1_25partition_config_selectorILNS1_17partition_subalgoE4EjNS0_10empty_typeEbEEZZNS1_14partition_implILS8_4ELb0ES6_15HIP_vector_typeIjLj2EENS0_17counting_iteratorIjlEEPS9_SG_NS0_5tupleIJPjSI_NS0_16reverse_iteratorISI_EEEEENSH_IJSG_SG_SG_EEES9_SI_JZNS1_25segmented_radix_sort_implINS0_14default_configELb0EPKbPbPKlPlN2at6native12_GLOBAL__N_18offset_tEEE10hipError_tPvRmT1_PNSt15iterator_traitsIS12_E10value_typeET2_T3_PNS13_IS18_E10value_typeET4_jRbjT5_S1E_jjP12ihipStream_tbEUljE_ZNSN_ISO_Lb0ESQ_SR_ST_SU_SY_EESZ_S10_S11_S12_S16_S17_S18_S1B_S1C_jS1D_jS1E_S1E_jjS1G_bEUljE0_EEESZ_S10_S11_S18_S1C_S1E_T6_T7_T9_mT8_S1G_bDpT10_ENKUlT_T0_E_clISt17integral_constantIbLb0EES1T_IbLb1EEEEDaS1P_S1Q_EUlS1P_E_NS1_11comp_targetILNS1_3genE10ELNS1_11target_archE1200ELNS1_3gpuE4ELNS1_3repE0EEENS1_30default_config_static_selectorELNS0_4arch9wavefront6targetE1EEEvS12_,comdat
.Lfunc_end1598:
	.size	_ZN7rocprim17ROCPRIM_400000_NS6detail17trampoline_kernelINS0_13select_configILj256ELj13ELNS0_17block_load_methodE3ELS4_3ELS4_3ELNS0_20block_scan_algorithmE0ELj4294967295EEENS1_25partition_config_selectorILNS1_17partition_subalgoE4EjNS0_10empty_typeEbEEZZNS1_14partition_implILS8_4ELb0ES6_15HIP_vector_typeIjLj2EENS0_17counting_iteratorIjlEEPS9_SG_NS0_5tupleIJPjSI_NS0_16reverse_iteratorISI_EEEEENSH_IJSG_SG_SG_EEES9_SI_JZNS1_25segmented_radix_sort_implINS0_14default_configELb0EPKbPbPKlPlN2at6native12_GLOBAL__N_18offset_tEEE10hipError_tPvRmT1_PNSt15iterator_traitsIS12_E10value_typeET2_T3_PNS13_IS18_E10value_typeET4_jRbjT5_S1E_jjP12ihipStream_tbEUljE_ZNSN_ISO_Lb0ESQ_SR_ST_SU_SY_EESZ_S10_S11_S12_S16_S17_S18_S1B_S1C_jS1D_jS1E_S1E_jjS1G_bEUljE0_EEESZ_S10_S11_S18_S1C_S1E_T6_T7_T9_mT8_S1G_bDpT10_ENKUlT_T0_E_clISt17integral_constantIbLb0EES1T_IbLb1EEEEDaS1P_S1Q_EUlS1P_E_NS1_11comp_targetILNS1_3genE10ELNS1_11target_archE1200ELNS1_3gpuE4ELNS1_3repE0EEENS1_30default_config_static_selectorELNS0_4arch9wavefront6targetE1EEEvS12_, .Lfunc_end1598-_ZN7rocprim17ROCPRIM_400000_NS6detail17trampoline_kernelINS0_13select_configILj256ELj13ELNS0_17block_load_methodE3ELS4_3ELS4_3ELNS0_20block_scan_algorithmE0ELj4294967295EEENS1_25partition_config_selectorILNS1_17partition_subalgoE4EjNS0_10empty_typeEbEEZZNS1_14partition_implILS8_4ELb0ES6_15HIP_vector_typeIjLj2EENS0_17counting_iteratorIjlEEPS9_SG_NS0_5tupleIJPjSI_NS0_16reverse_iteratorISI_EEEEENSH_IJSG_SG_SG_EEES9_SI_JZNS1_25segmented_radix_sort_implINS0_14default_configELb0EPKbPbPKlPlN2at6native12_GLOBAL__N_18offset_tEEE10hipError_tPvRmT1_PNSt15iterator_traitsIS12_E10value_typeET2_T3_PNS13_IS18_E10value_typeET4_jRbjT5_S1E_jjP12ihipStream_tbEUljE_ZNSN_ISO_Lb0ESQ_SR_ST_SU_SY_EESZ_S10_S11_S12_S16_S17_S18_S1B_S1C_jS1D_jS1E_S1E_jjS1G_bEUljE0_EEESZ_S10_S11_S18_S1C_S1E_T6_T7_T9_mT8_S1G_bDpT10_ENKUlT_T0_E_clISt17integral_constantIbLb0EES1T_IbLb1EEEEDaS1P_S1Q_EUlS1P_E_NS1_11comp_targetILNS1_3genE10ELNS1_11target_archE1200ELNS1_3gpuE4ELNS1_3repE0EEENS1_30default_config_static_selectorELNS0_4arch9wavefront6targetE1EEEvS12_
                                        ; -- End function
	.section	.AMDGPU.csdata,"",@progbits
; Kernel info:
; codeLenInByte = 0
; NumSgprs: 4
; NumVgprs: 0
; NumAgprs: 0
; TotalNumVgprs: 0
; ScratchSize: 0
; MemoryBound: 0
; FloatMode: 240
; IeeeMode: 1
; LDSByteSize: 0 bytes/workgroup (compile time only)
; SGPRBlocks: 0
; VGPRBlocks: 0
; NumSGPRsForWavesPerEU: 4
; NumVGPRsForWavesPerEU: 1
; AccumOffset: 4
; Occupancy: 8
; WaveLimiterHint : 0
; COMPUTE_PGM_RSRC2:SCRATCH_EN: 0
; COMPUTE_PGM_RSRC2:USER_SGPR: 6
; COMPUTE_PGM_RSRC2:TRAP_HANDLER: 0
; COMPUTE_PGM_RSRC2:TGID_X_EN: 1
; COMPUTE_PGM_RSRC2:TGID_Y_EN: 0
; COMPUTE_PGM_RSRC2:TGID_Z_EN: 0
; COMPUTE_PGM_RSRC2:TIDIG_COMP_CNT: 0
; COMPUTE_PGM_RSRC3_GFX90A:ACCUM_OFFSET: 0
; COMPUTE_PGM_RSRC3_GFX90A:TG_SPLIT: 0
	.section	.text._ZN7rocprim17ROCPRIM_400000_NS6detail17trampoline_kernelINS0_13select_configILj256ELj13ELNS0_17block_load_methodE3ELS4_3ELS4_3ELNS0_20block_scan_algorithmE0ELj4294967295EEENS1_25partition_config_selectorILNS1_17partition_subalgoE4EjNS0_10empty_typeEbEEZZNS1_14partition_implILS8_4ELb0ES6_15HIP_vector_typeIjLj2EENS0_17counting_iteratorIjlEEPS9_SG_NS0_5tupleIJPjSI_NS0_16reverse_iteratorISI_EEEEENSH_IJSG_SG_SG_EEES9_SI_JZNS1_25segmented_radix_sort_implINS0_14default_configELb0EPKbPbPKlPlN2at6native12_GLOBAL__N_18offset_tEEE10hipError_tPvRmT1_PNSt15iterator_traitsIS12_E10value_typeET2_T3_PNS13_IS18_E10value_typeET4_jRbjT5_S1E_jjP12ihipStream_tbEUljE_ZNSN_ISO_Lb0ESQ_SR_ST_SU_SY_EESZ_S10_S11_S12_S16_S17_S18_S1B_S1C_jS1D_jS1E_S1E_jjS1G_bEUljE0_EEESZ_S10_S11_S18_S1C_S1E_T6_T7_T9_mT8_S1G_bDpT10_ENKUlT_T0_E_clISt17integral_constantIbLb0EES1T_IbLb1EEEEDaS1P_S1Q_EUlS1P_E_NS1_11comp_targetILNS1_3genE9ELNS1_11target_archE1100ELNS1_3gpuE3ELNS1_3repE0EEENS1_30default_config_static_selectorELNS0_4arch9wavefront6targetE1EEEvS12_,"axG",@progbits,_ZN7rocprim17ROCPRIM_400000_NS6detail17trampoline_kernelINS0_13select_configILj256ELj13ELNS0_17block_load_methodE3ELS4_3ELS4_3ELNS0_20block_scan_algorithmE0ELj4294967295EEENS1_25partition_config_selectorILNS1_17partition_subalgoE4EjNS0_10empty_typeEbEEZZNS1_14partition_implILS8_4ELb0ES6_15HIP_vector_typeIjLj2EENS0_17counting_iteratorIjlEEPS9_SG_NS0_5tupleIJPjSI_NS0_16reverse_iteratorISI_EEEEENSH_IJSG_SG_SG_EEES9_SI_JZNS1_25segmented_radix_sort_implINS0_14default_configELb0EPKbPbPKlPlN2at6native12_GLOBAL__N_18offset_tEEE10hipError_tPvRmT1_PNSt15iterator_traitsIS12_E10value_typeET2_T3_PNS13_IS18_E10value_typeET4_jRbjT5_S1E_jjP12ihipStream_tbEUljE_ZNSN_ISO_Lb0ESQ_SR_ST_SU_SY_EESZ_S10_S11_S12_S16_S17_S18_S1B_S1C_jS1D_jS1E_S1E_jjS1G_bEUljE0_EEESZ_S10_S11_S18_S1C_S1E_T6_T7_T9_mT8_S1G_bDpT10_ENKUlT_T0_E_clISt17integral_constantIbLb0EES1T_IbLb1EEEEDaS1P_S1Q_EUlS1P_E_NS1_11comp_targetILNS1_3genE9ELNS1_11target_archE1100ELNS1_3gpuE3ELNS1_3repE0EEENS1_30default_config_static_selectorELNS0_4arch9wavefront6targetE1EEEvS12_,comdat
	.globl	_ZN7rocprim17ROCPRIM_400000_NS6detail17trampoline_kernelINS0_13select_configILj256ELj13ELNS0_17block_load_methodE3ELS4_3ELS4_3ELNS0_20block_scan_algorithmE0ELj4294967295EEENS1_25partition_config_selectorILNS1_17partition_subalgoE4EjNS0_10empty_typeEbEEZZNS1_14partition_implILS8_4ELb0ES6_15HIP_vector_typeIjLj2EENS0_17counting_iteratorIjlEEPS9_SG_NS0_5tupleIJPjSI_NS0_16reverse_iteratorISI_EEEEENSH_IJSG_SG_SG_EEES9_SI_JZNS1_25segmented_radix_sort_implINS0_14default_configELb0EPKbPbPKlPlN2at6native12_GLOBAL__N_18offset_tEEE10hipError_tPvRmT1_PNSt15iterator_traitsIS12_E10value_typeET2_T3_PNS13_IS18_E10value_typeET4_jRbjT5_S1E_jjP12ihipStream_tbEUljE_ZNSN_ISO_Lb0ESQ_SR_ST_SU_SY_EESZ_S10_S11_S12_S16_S17_S18_S1B_S1C_jS1D_jS1E_S1E_jjS1G_bEUljE0_EEESZ_S10_S11_S18_S1C_S1E_T6_T7_T9_mT8_S1G_bDpT10_ENKUlT_T0_E_clISt17integral_constantIbLb0EES1T_IbLb1EEEEDaS1P_S1Q_EUlS1P_E_NS1_11comp_targetILNS1_3genE9ELNS1_11target_archE1100ELNS1_3gpuE3ELNS1_3repE0EEENS1_30default_config_static_selectorELNS0_4arch9wavefront6targetE1EEEvS12_ ; -- Begin function _ZN7rocprim17ROCPRIM_400000_NS6detail17trampoline_kernelINS0_13select_configILj256ELj13ELNS0_17block_load_methodE3ELS4_3ELS4_3ELNS0_20block_scan_algorithmE0ELj4294967295EEENS1_25partition_config_selectorILNS1_17partition_subalgoE4EjNS0_10empty_typeEbEEZZNS1_14partition_implILS8_4ELb0ES6_15HIP_vector_typeIjLj2EENS0_17counting_iteratorIjlEEPS9_SG_NS0_5tupleIJPjSI_NS0_16reverse_iteratorISI_EEEEENSH_IJSG_SG_SG_EEES9_SI_JZNS1_25segmented_radix_sort_implINS0_14default_configELb0EPKbPbPKlPlN2at6native12_GLOBAL__N_18offset_tEEE10hipError_tPvRmT1_PNSt15iterator_traitsIS12_E10value_typeET2_T3_PNS13_IS18_E10value_typeET4_jRbjT5_S1E_jjP12ihipStream_tbEUljE_ZNSN_ISO_Lb0ESQ_SR_ST_SU_SY_EESZ_S10_S11_S12_S16_S17_S18_S1B_S1C_jS1D_jS1E_S1E_jjS1G_bEUljE0_EEESZ_S10_S11_S18_S1C_S1E_T6_T7_T9_mT8_S1G_bDpT10_ENKUlT_T0_E_clISt17integral_constantIbLb0EES1T_IbLb1EEEEDaS1P_S1Q_EUlS1P_E_NS1_11comp_targetILNS1_3genE9ELNS1_11target_archE1100ELNS1_3gpuE3ELNS1_3repE0EEENS1_30default_config_static_selectorELNS0_4arch9wavefront6targetE1EEEvS12_
	.p2align	8
	.type	_ZN7rocprim17ROCPRIM_400000_NS6detail17trampoline_kernelINS0_13select_configILj256ELj13ELNS0_17block_load_methodE3ELS4_3ELS4_3ELNS0_20block_scan_algorithmE0ELj4294967295EEENS1_25partition_config_selectorILNS1_17partition_subalgoE4EjNS0_10empty_typeEbEEZZNS1_14partition_implILS8_4ELb0ES6_15HIP_vector_typeIjLj2EENS0_17counting_iteratorIjlEEPS9_SG_NS0_5tupleIJPjSI_NS0_16reverse_iteratorISI_EEEEENSH_IJSG_SG_SG_EEES9_SI_JZNS1_25segmented_radix_sort_implINS0_14default_configELb0EPKbPbPKlPlN2at6native12_GLOBAL__N_18offset_tEEE10hipError_tPvRmT1_PNSt15iterator_traitsIS12_E10value_typeET2_T3_PNS13_IS18_E10value_typeET4_jRbjT5_S1E_jjP12ihipStream_tbEUljE_ZNSN_ISO_Lb0ESQ_SR_ST_SU_SY_EESZ_S10_S11_S12_S16_S17_S18_S1B_S1C_jS1D_jS1E_S1E_jjS1G_bEUljE0_EEESZ_S10_S11_S18_S1C_S1E_T6_T7_T9_mT8_S1G_bDpT10_ENKUlT_T0_E_clISt17integral_constantIbLb0EES1T_IbLb1EEEEDaS1P_S1Q_EUlS1P_E_NS1_11comp_targetILNS1_3genE9ELNS1_11target_archE1100ELNS1_3gpuE3ELNS1_3repE0EEENS1_30default_config_static_selectorELNS0_4arch9wavefront6targetE1EEEvS12_,@function
_ZN7rocprim17ROCPRIM_400000_NS6detail17trampoline_kernelINS0_13select_configILj256ELj13ELNS0_17block_load_methodE3ELS4_3ELS4_3ELNS0_20block_scan_algorithmE0ELj4294967295EEENS1_25partition_config_selectorILNS1_17partition_subalgoE4EjNS0_10empty_typeEbEEZZNS1_14partition_implILS8_4ELb0ES6_15HIP_vector_typeIjLj2EENS0_17counting_iteratorIjlEEPS9_SG_NS0_5tupleIJPjSI_NS0_16reverse_iteratorISI_EEEEENSH_IJSG_SG_SG_EEES9_SI_JZNS1_25segmented_radix_sort_implINS0_14default_configELb0EPKbPbPKlPlN2at6native12_GLOBAL__N_18offset_tEEE10hipError_tPvRmT1_PNSt15iterator_traitsIS12_E10value_typeET2_T3_PNS13_IS18_E10value_typeET4_jRbjT5_S1E_jjP12ihipStream_tbEUljE_ZNSN_ISO_Lb0ESQ_SR_ST_SU_SY_EESZ_S10_S11_S12_S16_S17_S18_S1B_S1C_jS1D_jS1E_S1E_jjS1G_bEUljE0_EEESZ_S10_S11_S18_S1C_S1E_T6_T7_T9_mT8_S1G_bDpT10_ENKUlT_T0_E_clISt17integral_constantIbLb0EES1T_IbLb1EEEEDaS1P_S1Q_EUlS1P_E_NS1_11comp_targetILNS1_3genE9ELNS1_11target_archE1100ELNS1_3gpuE3ELNS1_3repE0EEENS1_30default_config_static_selectorELNS0_4arch9wavefront6targetE1EEEvS12_: ; @_ZN7rocprim17ROCPRIM_400000_NS6detail17trampoline_kernelINS0_13select_configILj256ELj13ELNS0_17block_load_methodE3ELS4_3ELS4_3ELNS0_20block_scan_algorithmE0ELj4294967295EEENS1_25partition_config_selectorILNS1_17partition_subalgoE4EjNS0_10empty_typeEbEEZZNS1_14partition_implILS8_4ELb0ES6_15HIP_vector_typeIjLj2EENS0_17counting_iteratorIjlEEPS9_SG_NS0_5tupleIJPjSI_NS0_16reverse_iteratorISI_EEEEENSH_IJSG_SG_SG_EEES9_SI_JZNS1_25segmented_radix_sort_implINS0_14default_configELb0EPKbPbPKlPlN2at6native12_GLOBAL__N_18offset_tEEE10hipError_tPvRmT1_PNSt15iterator_traitsIS12_E10value_typeET2_T3_PNS13_IS18_E10value_typeET4_jRbjT5_S1E_jjP12ihipStream_tbEUljE_ZNSN_ISO_Lb0ESQ_SR_ST_SU_SY_EESZ_S10_S11_S12_S16_S17_S18_S1B_S1C_jS1D_jS1E_S1E_jjS1G_bEUljE0_EEESZ_S10_S11_S18_S1C_S1E_T6_T7_T9_mT8_S1G_bDpT10_ENKUlT_T0_E_clISt17integral_constantIbLb0EES1T_IbLb1EEEEDaS1P_S1Q_EUlS1P_E_NS1_11comp_targetILNS1_3genE9ELNS1_11target_archE1100ELNS1_3gpuE3ELNS1_3repE0EEENS1_30default_config_static_selectorELNS0_4arch9wavefront6targetE1EEEvS12_
; %bb.0:
	.section	.rodata,"a",@progbits
	.p2align	6, 0x0
	.amdhsa_kernel _ZN7rocprim17ROCPRIM_400000_NS6detail17trampoline_kernelINS0_13select_configILj256ELj13ELNS0_17block_load_methodE3ELS4_3ELS4_3ELNS0_20block_scan_algorithmE0ELj4294967295EEENS1_25partition_config_selectorILNS1_17partition_subalgoE4EjNS0_10empty_typeEbEEZZNS1_14partition_implILS8_4ELb0ES6_15HIP_vector_typeIjLj2EENS0_17counting_iteratorIjlEEPS9_SG_NS0_5tupleIJPjSI_NS0_16reverse_iteratorISI_EEEEENSH_IJSG_SG_SG_EEES9_SI_JZNS1_25segmented_radix_sort_implINS0_14default_configELb0EPKbPbPKlPlN2at6native12_GLOBAL__N_18offset_tEEE10hipError_tPvRmT1_PNSt15iterator_traitsIS12_E10value_typeET2_T3_PNS13_IS18_E10value_typeET4_jRbjT5_S1E_jjP12ihipStream_tbEUljE_ZNSN_ISO_Lb0ESQ_SR_ST_SU_SY_EESZ_S10_S11_S12_S16_S17_S18_S1B_S1C_jS1D_jS1E_S1E_jjS1G_bEUljE0_EEESZ_S10_S11_S18_S1C_S1E_T6_T7_T9_mT8_S1G_bDpT10_ENKUlT_T0_E_clISt17integral_constantIbLb0EES1T_IbLb1EEEEDaS1P_S1Q_EUlS1P_E_NS1_11comp_targetILNS1_3genE9ELNS1_11target_archE1100ELNS1_3gpuE3ELNS1_3repE0EEENS1_30default_config_static_selectorELNS0_4arch9wavefront6targetE1EEEvS12_
		.amdhsa_group_segment_fixed_size 0
		.amdhsa_private_segment_fixed_size 0
		.amdhsa_kernarg_size 184
		.amdhsa_user_sgpr_count 6
		.amdhsa_user_sgpr_private_segment_buffer 1
		.amdhsa_user_sgpr_dispatch_ptr 0
		.amdhsa_user_sgpr_queue_ptr 0
		.amdhsa_user_sgpr_kernarg_segment_ptr 1
		.amdhsa_user_sgpr_dispatch_id 0
		.amdhsa_user_sgpr_flat_scratch_init 0
		.amdhsa_user_sgpr_kernarg_preload_length 0
		.amdhsa_user_sgpr_kernarg_preload_offset 0
		.amdhsa_user_sgpr_private_segment_size 0
		.amdhsa_uses_dynamic_stack 0
		.amdhsa_system_sgpr_private_segment_wavefront_offset 0
		.amdhsa_system_sgpr_workgroup_id_x 1
		.amdhsa_system_sgpr_workgroup_id_y 0
		.amdhsa_system_sgpr_workgroup_id_z 0
		.amdhsa_system_sgpr_workgroup_info 0
		.amdhsa_system_vgpr_workitem_id 0
		.amdhsa_next_free_vgpr 1
		.amdhsa_next_free_sgpr 0
		.amdhsa_accum_offset 4
		.amdhsa_reserve_vcc 0
		.amdhsa_reserve_flat_scratch 0
		.amdhsa_float_round_mode_32 0
		.amdhsa_float_round_mode_16_64 0
		.amdhsa_float_denorm_mode_32 3
		.amdhsa_float_denorm_mode_16_64 3
		.amdhsa_dx10_clamp 1
		.amdhsa_ieee_mode 1
		.amdhsa_fp16_overflow 0
		.amdhsa_tg_split 0
		.amdhsa_exception_fp_ieee_invalid_op 0
		.amdhsa_exception_fp_denorm_src 0
		.amdhsa_exception_fp_ieee_div_zero 0
		.amdhsa_exception_fp_ieee_overflow 0
		.amdhsa_exception_fp_ieee_underflow 0
		.amdhsa_exception_fp_ieee_inexact 0
		.amdhsa_exception_int_div_zero 0
	.end_amdhsa_kernel
	.section	.text._ZN7rocprim17ROCPRIM_400000_NS6detail17trampoline_kernelINS0_13select_configILj256ELj13ELNS0_17block_load_methodE3ELS4_3ELS4_3ELNS0_20block_scan_algorithmE0ELj4294967295EEENS1_25partition_config_selectorILNS1_17partition_subalgoE4EjNS0_10empty_typeEbEEZZNS1_14partition_implILS8_4ELb0ES6_15HIP_vector_typeIjLj2EENS0_17counting_iteratorIjlEEPS9_SG_NS0_5tupleIJPjSI_NS0_16reverse_iteratorISI_EEEEENSH_IJSG_SG_SG_EEES9_SI_JZNS1_25segmented_radix_sort_implINS0_14default_configELb0EPKbPbPKlPlN2at6native12_GLOBAL__N_18offset_tEEE10hipError_tPvRmT1_PNSt15iterator_traitsIS12_E10value_typeET2_T3_PNS13_IS18_E10value_typeET4_jRbjT5_S1E_jjP12ihipStream_tbEUljE_ZNSN_ISO_Lb0ESQ_SR_ST_SU_SY_EESZ_S10_S11_S12_S16_S17_S18_S1B_S1C_jS1D_jS1E_S1E_jjS1G_bEUljE0_EEESZ_S10_S11_S18_S1C_S1E_T6_T7_T9_mT8_S1G_bDpT10_ENKUlT_T0_E_clISt17integral_constantIbLb0EES1T_IbLb1EEEEDaS1P_S1Q_EUlS1P_E_NS1_11comp_targetILNS1_3genE9ELNS1_11target_archE1100ELNS1_3gpuE3ELNS1_3repE0EEENS1_30default_config_static_selectorELNS0_4arch9wavefront6targetE1EEEvS12_,"axG",@progbits,_ZN7rocprim17ROCPRIM_400000_NS6detail17trampoline_kernelINS0_13select_configILj256ELj13ELNS0_17block_load_methodE3ELS4_3ELS4_3ELNS0_20block_scan_algorithmE0ELj4294967295EEENS1_25partition_config_selectorILNS1_17partition_subalgoE4EjNS0_10empty_typeEbEEZZNS1_14partition_implILS8_4ELb0ES6_15HIP_vector_typeIjLj2EENS0_17counting_iteratorIjlEEPS9_SG_NS0_5tupleIJPjSI_NS0_16reverse_iteratorISI_EEEEENSH_IJSG_SG_SG_EEES9_SI_JZNS1_25segmented_radix_sort_implINS0_14default_configELb0EPKbPbPKlPlN2at6native12_GLOBAL__N_18offset_tEEE10hipError_tPvRmT1_PNSt15iterator_traitsIS12_E10value_typeET2_T3_PNS13_IS18_E10value_typeET4_jRbjT5_S1E_jjP12ihipStream_tbEUljE_ZNSN_ISO_Lb0ESQ_SR_ST_SU_SY_EESZ_S10_S11_S12_S16_S17_S18_S1B_S1C_jS1D_jS1E_S1E_jjS1G_bEUljE0_EEESZ_S10_S11_S18_S1C_S1E_T6_T7_T9_mT8_S1G_bDpT10_ENKUlT_T0_E_clISt17integral_constantIbLb0EES1T_IbLb1EEEEDaS1P_S1Q_EUlS1P_E_NS1_11comp_targetILNS1_3genE9ELNS1_11target_archE1100ELNS1_3gpuE3ELNS1_3repE0EEENS1_30default_config_static_selectorELNS0_4arch9wavefront6targetE1EEEvS12_,comdat
.Lfunc_end1599:
	.size	_ZN7rocprim17ROCPRIM_400000_NS6detail17trampoline_kernelINS0_13select_configILj256ELj13ELNS0_17block_load_methodE3ELS4_3ELS4_3ELNS0_20block_scan_algorithmE0ELj4294967295EEENS1_25partition_config_selectorILNS1_17partition_subalgoE4EjNS0_10empty_typeEbEEZZNS1_14partition_implILS8_4ELb0ES6_15HIP_vector_typeIjLj2EENS0_17counting_iteratorIjlEEPS9_SG_NS0_5tupleIJPjSI_NS0_16reverse_iteratorISI_EEEEENSH_IJSG_SG_SG_EEES9_SI_JZNS1_25segmented_radix_sort_implINS0_14default_configELb0EPKbPbPKlPlN2at6native12_GLOBAL__N_18offset_tEEE10hipError_tPvRmT1_PNSt15iterator_traitsIS12_E10value_typeET2_T3_PNS13_IS18_E10value_typeET4_jRbjT5_S1E_jjP12ihipStream_tbEUljE_ZNSN_ISO_Lb0ESQ_SR_ST_SU_SY_EESZ_S10_S11_S12_S16_S17_S18_S1B_S1C_jS1D_jS1E_S1E_jjS1G_bEUljE0_EEESZ_S10_S11_S18_S1C_S1E_T6_T7_T9_mT8_S1G_bDpT10_ENKUlT_T0_E_clISt17integral_constantIbLb0EES1T_IbLb1EEEEDaS1P_S1Q_EUlS1P_E_NS1_11comp_targetILNS1_3genE9ELNS1_11target_archE1100ELNS1_3gpuE3ELNS1_3repE0EEENS1_30default_config_static_selectorELNS0_4arch9wavefront6targetE1EEEvS12_, .Lfunc_end1599-_ZN7rocprim17ROCPRIM_400000_NS6detail17trampoline_kernelINS0_13select_configILj256ELj13ELNS0_17block_load_methodE3ELS4_3ELS4_3ELNS0_20block_scan_algorithmE0ELj4294967295EEENS1_25partition_config_selectorILNS1_17partition_subalgoE4EjNS0_10empty_typeEbEEZZNS1_14partition_implILS8_4ELb0ES6_15HIP_vector_typeIjLj2EENS0_17counting_iteratorIjlEEPS9_SG_NS0_5tupleIJPjSI_NS0_16reverse_iteratorISI_EEEEENSH_IJSG_SG_SG_EEES9_SI_JZNS1_25segmented_radix_sort_implINS0_14default_configELb0EPKbPbPKlPlN2at6native12_GLOBAL__N_18offset_tEEE10hipError_tPvRmT1_PNSt15iterator_traitsIS12_E10value_typeET2_T3_PNS13_IS18_E10value_typeET4_jRbjT5_S1E_jjP12ihipStream_tbEUljE_ZNSN_ISO_Lb0ESQ_SR_ST_SU_SY_EESZ_S10_S11_S12_S16_S17_S18_S1B_S1C_jS1D_jS1E_S1E_jjS1G_bEUljE0_EEESZ_S10_S11_S18_S1C_S1E_T6_T7_T9_mT8_S1G_bDpT10_ENKUlT_T0_E_clISt17integral_constantIbLb0EES1T_IbLb1EEEEDaS1P_S1Q_EUlS1P_E_NS1_11comp_targetILNS1_3genE9ELNS1_11target_archE1100ELNS1_3gpuE3ELNS1_3repE0EEENS1_30default_config_static_selectorELNS0_4arch9wavefront6targetE1EEEvS12_
                                        ; -- End function
	.section	.AMDGPU.csdata,"",@progbits
; Kernel info:
; codeLenInByte = 0
; NumSgprs: 4
; NumVgprs: 0
; NumAgprs: 0
; TotalNumVgprs: 0
; ScratchSize: 0
; MemoryBound: 0
; FloatMode: 240
; IeeeMode: 1
; LDSByteSize: 0 bytes/workgroup (compile time only)
; SGPRBlocks: 0
; VGPRBlocks: 0
; NumSGPRsForWavesPerEU: 4
; NumVGPRsForWavesPerEU: 1
; AccumOffset: 4
; Occupancy: 8
; WaveLimiterHint : 0
; COMPUTE_PGM_RSRC2:SCRATCH_EN: 0
; COMPUTE_PGM_RSRC2:USER_SGPR: 6
; COMPUTE_PGM_RSRC2:TRAP_HANDLER: 0
; COMPUTE_PGM_RSRC2:TGID_X_EN: 1
; COMPUTE_PGM_RSRC2:TGID_Y_EN: 0
; COMPUTE_PGM_RSRC2:TGID_Z_EN: 0
; COMPUTE_PGM_RSRC2:TIDIG_COMP_CNT: 0
; COMPUTE_PGM_RSRC3_GFX90A:ACCUM_OFFSET: 0
; COMPUTE_PGM_RSRC3_GFX90A:TG_SPLIT: 0
	.section	.text._ZN7rocprim17ROCPRIM_400000_NS6detail17trampoline_kernelINS0_13select_configILj256ELj13ELNS0_17block_load_methodE3ELS4_3ELS4_3ELNS0_20block_scan_algorithmE0ELj4294967295EEENS1_25partition_config_selectorILNS1_17partition_subalgoE4EjNS0_10empty_typeEbEEZZNS1_14partition_implILS8_4ELb0ES6_15HIP_vector_typeIjLj2EENS0_17counting_iteratorIjlEEPS9_SG_NS0_5tupleIJPjSI_NS0_16reverse_iteratorISI_EEEEENSH_IJSG_SG_SG_EEES9_SI_JZNS1_25segmented_radix_sort_implINS0_14default_configELb0EPKbPbPKlPlN2at6native12_GLOBAL__N_18offset_tEEE10hipError_tPvRmT1_PNSt15iterator_traitsIS12_E10value_typeET2_T3_PNS13_IS18_E10value_typeET4_jRbjT5_S1E_jjP12ihipStream_tbEUljE_ZNSN_ISO_Lb0ESQ_SR_ST_SU_SY_EESZ_S10_S11_S12_S16_S17_S18_S1B_S1C_jS1D_jS1E_S1E_jjS1G_bEUljE0_EEESZ_S10_S11_S18_S1C_S1E_T6_T7_T9_mT8_S1G_bDpT10_ENKUlT_T0_E_clISt17integral_constantIbLb0EES1T_IbLb1EEEEDaS1P_S1Q_EUlS1P_E_NS1_11comp_targetILNS1_3genE8ELNS1_11target_archE1030ELNS1_3gpuE2ELNS1_3repE0EEENS1_30default_config_static_selectorELNS0_4arch9wavefront6targetE1EEEvS12_,"axG",@progbits,_ZN7rocprim17ROCPRIM_400000_NS6detail17trampoline_kernelINS0_13select_configILj256ELj13ELNS0_17block_load_methodE3ELS4_3ELS4_3ELNS0_20block_scan_algorithmE0ELj4294967295EEENS1_25partition_config_selectorILNS1_17partition_subalgoE4EjNS0_10empty_typeEbEEZZNS1_14partition_implILS8_4ELb0ES6_15HIP_vector_typeIjLj2EENS0_17counting_iteratorIjlEEPS9_SG_NS0_5tupleIJPjSI_NS0_16reverse_iteratorISI_EEEEENSH_IJSG_SG_SG_EEES9_SI_JZNS1_25segmented_radix_sort_implINS0_14default_configELb0EPKbPbPKlPlN2at6native12_GLOBAL__N_18offset_tEEE10hipError_tPvRmT1_PNSt15iterator_traitsIS12_E10value_typeET2_T3_PNS13_IS18_E10value_typeET4_jRbjT5_S1E_jjP12ihipStream_tbEUljE_ZNSN_ISO_Lb0ESQ_SR_ST_SU_SY_EESZ_S10_S11_S12_S16_S17_S18_S1B_S1C_jS1D_jS1E_S1E_jjS1G_bEUljE0_EEESZ_S10_S11_S18_S1C_S1E_T6_T7_T9_mT8_S1G_bDpT10_ENKUlT_T0_E_clISt17integral_constantIbLb0EES1T_IbLb1EEEEDaS1P_S1Q_EUlS1P_E_NS1_11comp_targetILNS1_3genE8ELNS1_11target_archE1030ELNS1_3gpuE2ELNS1_3repE0EEENS1_30default_config_static_selectorELNS0_4arch9wavefront6targetE1EEEvS12_,comdat
	.globl	_ZN7rocprim17ROCPRIM_400000_NS6detail17trampoline_kernelINS0_13select_configILj256ELj13ELNS0_17block_load_methodE3ELS4_3ELS4_3ELNS0_20block_scan_algorithmE0ELj4294967295EEENS1_25partition_config_selectorILNS1_17partition_subalgoE4EjNS0_10empty_typeEbEEZZNS1_14partition_implILS8_4ELb0ES6_15HIP_vector_typeIjLj2EENS0_17counting_iteratorIjlEEPS9_SG_NS0_5tupleIJPjSI_NS0_16reverse_iteratorISI_EEEEENSH_IJSG_SG_SG_EEES9_SI_JZNS1_25segmented_radix_sort_implINS0_14default_configELb0EPKbPbPKlPlN2at6native12_GLOBAL__N_18offset_tEEE10hipError_tPvRmT1_PNSt15iterator_traitsIS12_E10value_typeET2_T3_PNS13_IS18_E10value_typeET4_jRbjT5_S1E_jjP12ihipStream_tbEUljE_ZNSN_ISO_Lb0ESQ_SR_ST_SU_SY_EESZ_S10_S11_S12_S16_S17_S18_S1B_S1C_jS1D_jS1E_S1E_jjS1G_bEUljE0_EEESZ_S10_S11_S18_S1C_S1E_T6_T7_T9_mT8_S1G_bDpT10_ENKUlT_T0_E_clISt17integral_constantIbLb0EES1T_IbLb1EEEEDaS1P_S1Q_EUlS1P_E_NS1_11comp_targetILNS1_3genE8ELNS1_11target_archE1030ELNS1_3gpuE2ELNS1_3repE0EEENS1_30default_config_static_selectorELNS0_4arch9wavefront6targetE1EEEvS12_ ; -- Begin function _ZN7rocprim17ROCPRIM_400000_NS6detail17trampoline_kernelINS0_13select_configILj256ELj13ELNS0_17block_load_methodE3ELS4_3ELS4_3ELNS0_20block_scan_algorithmE0ELj4294967295EEENS1_25partition_config_selectorILNS1_17partition_subalgoE4EjNS0_10empty_typeEbEEZZNS1_14partition_implILS8_4ELb0ES6_15HIP_vector_typeIjLj2EENS0_17counting_iteratorIjlEEPS9_SG_NS0_5tupleIJPjSI_NS0_16reverse_iteratorISI_EEEEENSH_IJSG_SG_SG_EEES9_SI_JZNS1_25segmented_radix_sort_implINS0_14default_configELb0EPKbPbPKlPlN2at6native12_GLOBAL__N_18offset_tEEE10hipError_tPvRmT1_PNSt15iterator_traitsIS12_E10value_typeET2_T3_PNS13_IS18_E10value_typeET4_jRbjT5_S1E_jjP12ihipStream_tbEUljE_ZNSN_ISO_Lb0ESQ_SR_ST_SU_SY_EESZ_S10_S11_S12_S16_S17_S18_S1B_S1C_jS1D_jS1E_S1E_jjS1G_bEUljE0_EEESZ_S10_S11_S18_S1C_S1E_T6_T7_T9_mT8_S1G_bDpT10_ENKUlT_T0_E_clISt17integral_constantIbLb0EES1T_IbLb1EEEEDaS1P_S1Q_EUlS1P_E_NS1_11comp_targetILNS1_3genE8ELNS1_11target_archE1030ELNS1_3gpuE2ELNS1_3repE0EEENS1_30default_config_static_selectorELNS0_4arch9wavefront6targetE1EEEvS12_
	.p2align	8
	.type	_ZN7rocprim17ROCPRIM_400000_NS6detail17trampoline_kernelINS0_13select_configILj256ELj13ELNS0_17block_load_methodE3ELS4_3ELS4_3ELNS0_20block_scan_algorithmE0ELj4294967295EEENS1_25partition_config_selectorILNS1_17partition_subalgoE4EjNS0_10empty_typeEbEEZZNS1_14partition_implILS8_4ELb0ES6_15HIP_vector_typeIjLj2EENS0_17counting_iteratorIjlEEPS9_SG_NS0_5tupleIJPjSI_NS0_16reverse_iteratorISI_EEEEENSH_IJSG_SG_SG_EEES9_SI_JZNS1_25segmented_radix_sort_implINS0_14default_configELb0EPKbPbPKlPlN2at6native12_GLOBAL__N_18offset_tEEE10hipError_tPvRmT1_PNSt15iterator_traitsIS12_E10value_typeET2_T3_PNS13_IS18_E10value_typeET4_jRbjT5_S1E_jjP12ihipStream_tbEUljE_ZNSN_ISO_Lb0ESQ_SR_ST_SU_SY_EESZ_S10_S11_S12_S16_S17_S18_S1B_S1C_jS1D_jS1E_S1E_jjS1G_bEUljE0_EEESZ_S10_S11_S18_S1C_S1E_T6_T7_T9_mT8_S1G_bDpT10_ENKUlT_T0_E_clISt17integral_constantIbLb0EES1T_IbLb1EEEEDaS1P_S1Q_EUlS1P_E_NS1_11comp_targetILNS1_3genE8ELNS1_11target_archE1030ELNS1_3gpuE2ELNS1_3repE0EEENS1_30default_config_static_selectorELNS0_4arch9wavefront6targetE1EEEvS12_,@function
_ZN7rocprim17ROCPRIM_400000_NS6detail17trampoline_kernelINS0_13select_configILj256ELj13ELNS0_17block_load_methodE3ELS4_3ELS4_3ELNS0_20block_scan_algorithmE0ELj4294967295EEENS1_25partition_config_selectorILNS1_17partition_subalgoE4EjNS0_10empty_typeEbEEZZNS1_14partition_implILS8_4ELb0ES6_15HIP_vector_typeIjLj2EENS0_17counting_iteratorIjlEEPS9_SG_NS0_5tupleIJPjSI_NS0_16reverse_iteratorISI_EEEEENSH_IJSG_SG_SG_EEES9_SI_JZNS1_25segmented_radix_sort_implINS0_14default_configELb0EPKbPbPKlPlN2at6native12_GLOBAL__N_18offset_tEEE10hipError_tPvRmT1_PNSt15iterator_traitsIS12_E10value_typeET2_T3_PNS13_IS18_E10value_typeET4_jRbjT5_S1E_jjP12ihipStream_tbEUljE_ZNSN_ISO_Lb0ESQ_SR_ST_SU_SY_EESZ_S10_S11_S12_S16_S17_S18_S1B_S1C_jS1D_jS1E_S1E_jjS1G_bEUljE0_EEESZ_S10_S11_S18_S1C_S1E_T6_T7_T9_mT8_S1G_bDpT10_ENKUlT_T0_E_clISt17integral_constantIbLb0EES1T_IbLb1EEEEDaS1P_S1Q_EUlS1P_E_NS1_11comp_targetILNS1_3genE8ELNS1_11target_archE1030ELNS1_3gpuE2ELNS1_3repE0EEENS1_30default_config_static_selectorELNS0_4arch9wavefront6targetE1EEEvS12_: ; @_ZN7rocprim17ROCPRIM_400000_NS6detail17trampoline_kernelINS0_13select_configILj256ELj13ELNS0_17block_load_methodE3ELS4_3ELS4_3ELNS0_20block_scan_algorithmE0ELj4294967295EEENS1_25partition_config_selectorILNS1_17partition_subalgoE4EjNS0_10empty_typeEbEEZZNS1_14partition_implILS8_4ELb0ES6_15HIP_vector_typeIjLj2EENS0_17counting_iteratorIjlEEPS9_SG_NS0_5tupleIJPjSI_NS0_16reverse_iteratorISI_EEEEENSH_IJSG_SG_SG_EEES9_SI_JZNS1_25segmented_radix_sort_implINS0_14default_configELb0EPKbPbPKlPlN2at6native12_GLOBAL__N_18offset_tEEE10hipError_tPvRmT1_PNSt15iterator_traitsIS12_E10value_typeET2_T3_PNS13_IS18_E10value_typeET4_jRbjT5_S1E_jjP12ihipStream_tbEUljE_ZNSN_ISO_Lb0ESQ_SR_ST_SU_SY_EESZ_S10_S11_S12_S16_S17_S18_S1B_S1C_jS1D_jS1E_S1E_jjS1G_bEUljE0_EEESZ_S10_S11_S18_S1C_S1E_T6_T7_T9_mT8_S1G_bDpT10_ENKUlT_T0_E_clISt17integral_constantIbLb0EES1T_IbLb1EEEEDaS1P_S1Q_EUlS1P_E_NS1_11comp_targetILNS1_3genE8ELNS1_11target_archE1030ELNS1_3gpuE2ELNS1_3repE0EEENS1_30default_config_static_selectorELNS0_4arch9wavefront6targetE1EEEvS12_
; %bb.0:
	.section	.rodata,"a",@progbits
	.p2align	6, 0x0
	.amdhsa_kernel _ZN7rocprim17ROCPRIM_400000_NS6detail17trampoline_kernelINS0_13select_configILj256ELj13ELNS0_17block_load_methodE3ELS4_3ELS4_3ELNS0_20block_scan_algorithmE0ELj4294967295EEENS1_25partition_config_selectorILNS1_17partition_subalgoE4EjNS0_10empty_typeEbEEZZNS1_14partition_implILS8_4ELb0ES6_15HIP_vector_typeIjLj2EENS0_17counting_iteratorIjlEEPS9_SG_NS0_5tupleIJPjSI_NS0_16reverse_iteratorISI_EEEEENSH_IJSG_SG_SG_EEES9_SI_JZNS1_25segmented_radix_sort_implINS0_14default_configELb0EPKbPbPKlPlN2at6native12_GLOBAL__N_18offset_tEEE10hipError_tPvRmT1_PNSt15iterator_traitsIS12_E10value_typeET2_T3_PNS13_IS18_E10value_typeET4_jRbjT5_S1E_jjP12ihipStream_tbEUljE_ZNSN_ISO_Lb0ESQ_SR_ST_SU_SY_EESZ_S10_S11_S12_S16_S17_S18_S1B_S1C_jS1D_jS1E_S1E_jjS1G_bEUljE0_EEESZ_S10_S11_S18_S1C_S1E_T6_T7_T9_mT8_S1G_bDpT10_ENKUlT_T0_E_clISt17integral_constantIbLb0EES1T_IbLb1EEEEDaS1P_S1Q_EUlS1P_E_NS1_11comp_targetILNS1_3genE8ELNS1_11target_archE1030ELNS1_3gpuE2ELNS1_3repE0EEENS1_30default_config_static_selectorELNS0_4arch9wavefront6targetE1EEEvS12_
		.amdhsa_group_segment_fixed_size 0
		.amdhsa_private_segment_fixed_size 0
		.amdhsa_kernarg_size 184
		.amdhsa_user_sgpr_count 6
		.amdhsa_user_sgpr_private_segment_buffer 1
		.amdhsa_user_sgpr_dispatch_ptr 0
		.amdhsa_user_sgpr_queue_ptr 0
		.amdhsa_user_sgpr_kernarg_segment_ptr 1
		.amdhsa_user_sgpr_dispatch_id 0
		.amdhsa_user_sgpr_flat_scratch_init 0
		.amdhsa_user_sgpr_kernarg_preload_length 0
		.amdhsa_user_sgpr_kernarg_preload_offset 0
		.amdhsa_user_sgpr_private_segment_size 0
		.amdhsa_uses_dynamic_stack 0
		.amdhsa_system_sgpr_private_segment_wavefront_offset 0
		.amdhsa_system_sgpr_workgroup_id_x 1
		.amdhsa_system_sgpr_workgroup_id_y 0
		.amdhsa_system_sgpr_workgroup_id_z 0
		.amdhsa_system_sgpr_workgroup_info 0
		.amdhsa_system_vgpr_workitem_id 0
		.amdhsa_next_free_vgpr 1
		.amdhsa_next_free_sgpr 0
		.amdhsa_accum_offset 4
		.amdhsa_reserve_vcc 0
		.amdhsa_reserve_flat_scratch 0
		.amdhsa_float_round_mode_32 0
		.amdhsa_float_round_mode_16_64 0
		.amdhsa_float_denorm_mode_32 3
		.amdhsa_float_denorm_mode_16_64 3
		.amdhsa_dx10_clamp 1
		.amdhsa_ieee_mode 1
		.amdhsa_fp16_overflow 0
		.amdhsa_tg_split 0
		.amdhsa_exception_fp_ieee_invalid_op 0
		.amdhsa_exception_fp_denorm_src 0
		.amdhsa_exception_fp_ieee_div_zero 0
		.amdhsa_exception_fp_ieee_overflow 0
		.amdhsa_exception_fp_ieee_underflow 0
		.amdhsa_exception_fp_ieee_inexact 0
		.amdhsa_exception_int_div_zero 0
	.end_amdhsa_kernel
	.section	.text._ZN7rocprim17ROCPRIM_400000_NS6detail17trampoline_kernelINS0_13select_configILj256ELj13ELNS0_17block_load_methodE3ELS4_3ELS4_3ELNS0_20block_scan_algorithmE0ELj4294967295EEENS1_25partition_config_selectorILNS1_17partition_subalgoE4EjNS0_10empty_typeEbEEZZNS1_14partition_implILS8_4ELb0ES6_15HIP_vector_typeIjLj2EENS0_17counting_iteratorIjlEEPS9_SG_NS0_5tupleIJPjSI_NS0_16reverse_iteratorISI_EEEEENSH_IJSG_SG_SG_EEES9_SI_JZNS1_25segmented_radix_sort_implINS0_14default_configELb0EPKbPbPKlPlN2at6native12_GLOBAL__N_18offset_tEEE10hipError_tPvRmT1_PNSt15iterator_traitsIS12_E10value_typeET2_T3_PNS13_IS18_E10value_typeET4_jRbjT5_S1E_jjP12ihipStream_tbEUljE_ZNSN_ISO_Lb0ESQ_SR_ST_SU_SY_EESZ_S10_S11_S12_S16_S17_S18_S1B_S1C_jS1D_jS1E_S1E_jjS1G_bEUljE0_EEESZ_S10_S11_S18_S1C_S1E_T6_T7_T9_mT8_S1G_bDpT10_ENKUlT_T0_E_clISt17integral_constantIbLb0EES1T_IbLb1EEEEDaS1P_S1Q_EUlS1P_E_NS1_11comp_targetILNS1_3genE8ELNS1_11target_archE1030ELNS1_3gpuE2ELNS1_3repE0EEENS1_30default_config_static_selectorELNS0_4arch9wavefront6targetE1EEEvS12_,"axG",@progbits,_ZN7rocprim17ROCPRIM_400000_NS6detail17trampoline_kernelINS0_13select_configILj256ELj13ELNS0_17block_load_methodE3ELS4_3ELS4_3ELNS0_20block_scan_algorithmE0ELj4294967295EEENS1_25partition_config_selectorILNS1_17partition_subalgoE4EjNS0_10empty_typeEbEEZZNS1_14partition_implILS8_4ELb0ES6_15HIP_vector_typeIjLj2EENS0_17counting_iteratorIjlEEPS9_SG_NS0_5tupleIJPjSI_NS0_16reverse_iteratorISI_EEEEENSH_IJSG_SG_SG_EEES9_SI_JZNS1_25segmented_radix_sort_implINS0_14default_configELb0EPKbPbPKlPlN2at6native12_GLOBAL__N_18offset_tEEE10hipError_tPvRmT1_PNSt15iterator_traitsIS12_E10value_typeET2_T3_PNS13_IS18_E10value_typeET4_jRbjT5_S1E_jjP12ihipStream_tbEUljE_ZNSN_ISO_Lb0ESQ_SR_ST_SU_SY_EESZ_S10_S11_S12_S16_S17_S18_S1B_S1C_jS1D_jS1E_S1E_jjS1G_bEUljE0_EEESZ_S10_S11_S18_S1C_S1E_T6_T7_T9_mT8_S1G_bDpT10_ENKUlT_T0_E_clISt17integral_constantIbLb0EES1T_IbLb1EEEEDaS1P_S1Q_EUlS1P_E_NS1_11comp_targetILNS1_3genE8ELNS1_11target_archE1030ELNS1_3gpuE2ELNS1_3repE0EEENS1_30default_config_static_selectorELNS0_4arch9wavefront6targetE1EEEvS12_,comdat
.Lfunc_end1600:
	.size	_ZN7rocprim17ROCPRIM_400000_NS6detail17trampoline_kernelINS0_13select_configILj256ELj13ELNS0_17block_load_methodE3ELS4_3ELS4_3ELNS0_20block_scan_algorithmE0ELj4294967295EEENS1_25partition_config_selectorILNS1_17partition_subalgoE4EjNS0_10empty_typeEbEEZZNS1_14partition_implILS8_4ELb0ES6_15HIP_vector_typeIjLj2EENS0_17counting_iteratorIjlEEPS9_SG_NS0_5tupleIJPjSI_NS0_16reverse_iteratorISI_EEEEENSH_IJSG_SG_SG_EEES9_SI_JZNS1_25segmented_radix_sort_implINS0_14default_configELb0EPKbPbPKlPlN2at6native12_GLOBAL__N_18offset_tEEE10hipError_tPvRmT1_PNSt15iterator_traitsIS12_E10value_typeET2_T3_PNS13_IS18_E10value_typeET4_jRbjT5_S1E_jjP12ihipStream_tbEUljE_ZNSN_ISO_Lb0ESQ_SR_ST_SU_SY_EESZ_S10_S11_S12_S16_S17_S18_S1B_S1C_jS1D_jS1E_S1E_jjS1G_bEUljE0_EEESZ_S10_S11_S18_S1C_S1E_T6_T7_T9_mT8_S1G_bDpT10_ENKUlT_T0_E_clISt17integral_constantIbLb0EES1T_IbLb1EEEEDaS1P_S1Q_EUlS1P_E_NS1_11comp_targetILNS1_3genE8ELNS1_11target_archE1030ELNS1_3gpuE2ELNS1_3repE0EEENS1_30default_config_static_selectorELNS0_4arch9wavefront6targetE1EEEvS12_, .Lfunc_end1600-_ZN7rocprim17ROCPRIM_400000_NS6detail17trampoline_kernelINS0_13select_configILj256ELj13ELNS0_17block_load_methodE3ELS4_3ELS4_3ELNS0_20block_scan_algorithmE0ELj4294967295EEENS1_25partition_config_selectorILNS1_17partition_subalgoE4EjNS0_10empty_typeEbEEZZNS1_14partition_implILS8_4ELb0ES6_15HIP_vector_typeIjLj2EENS0_17counting_iteratorIjlEEPS9_SG_NS0_5tupleIJPjSI_NS0_16reverse_iteratorISI_EEEEENSH_IJSG_SG_SG_EEES9_SI_JZNS1_25segmented_radix_sort_implINS0_14default_configELb0EPKbPbPKlPlN2at6native12_GLOBAL__N_18offset_tEEE10hipError_tPvRmT1_PNSt15iterator_traitsIS12_E10value_typeET2_T3_PNS13_IS18_E10value_typeET4_jRbjT5_S1E_jjP12ihipStream_tbEUljE_ZNSN_ISO_Lb0ESQ_SR_ST_SU_SY_EESZ_S10_S11_S12_S16_S17_S18_S1B_S1C_jS1D_jS1E_S1E_jjS1G_bEUljE0_EEESZ_S10_S11_S18_S1C_S1E_T6_T7_T9_mT8_S1G_bDpT10_ENKUlT_T0_E_clISt17integral_constantIbLb0EES1T_IbLb1EEEEDaS1P_S1Q_EUlS1P_E_NS1_11comp_targetILNS1_3genE8ELNS1_11target_archE1030ELNS1_3gpuE2ELNS1_3repE0EEENS1_30default_config_static_selectorELNS0_4arch9wavefront6targetE1EEEvS12_
                                        ; -- End function
	.section	.AMDGPU.csdata,"",@progbits
; Kernel info:
; codeLenInByte = 0
; NumSgprs: 4
; NumVgprs: 0
; NumAgprs: 0
; TotalNumVgprs: 0
; ScratchSize: 0
; MemoryBound: 0
; FloatMode: 240
; IeeeMode: 1
; LDSByteSize: 0 bytes/workgroup (compile time only)
; SGPRBlocks: 0
; VGPRBlocks: 0
; NumSGPRsForWavesPerEU: 4
; NumVGPRsForWavesPerEU: 1
; AccumOffset: 4
; Occupancy: 8
; WaveLimiterHint : 0
; COMPUTE_PGM_RSRC2:SCRATCH_EN: 0
; COMPUTE_PGM_RSRC2:USER_SGPR: 6
; COMPUTE_PGM_RSRC2:TRAP_HANDLER: 0
; COMPUTE_PGM_RSRC2:TGID_X_EN: 1
; COMPUTE_PGM_RSRC2:TGID_Y_EN: 0
; COMPUTE_PGM_RSRC2:TGID_Z_EN: 0
; COMPUTE_PGM_RSRC2:TIDIG_COMP_CNT: 0
; COMPUTE_PGM_RSRC3_GFX90A:ACCUM_OFFSET: 0
; COMPUTE_PGM_RSRC3_GFX90A:TG_SPLIT: 0
	.section	.text._ZN7rocprim17ROCPRIM_400000_NS6detail17trampoline_kernelINS0_13select_configILj256ELj13ELNS0_17block_load_methodE3ELS4_3ELS4_3ELNS0_20block_scan_algorithmE0ELj4294967295EEENS1_25partition_config_selectorILNS1_17partition_subalgoE3EjNS0_10empty_typeEbEEZZNS1_14partition_implILS8_3ELb0ES6_jNS0_17counting_iteratorIjlEEPS9_SE_NS0_5tupleIJPjSE_EEENSF_IJSE_SE_EEES9_SG_JZNS1_25segmented_radix_sort_implINS0_14default_configELb0EPKbPbPKlPlN2at6native12_GLOBAL__N_18offset_tEEE10hipError_tPvRmT1_PNSt15iterator_traitsISY_E10value_typeET2_T3_PNSZ_IS14_E10value_typeET4_jRbjT5_S1A_jjP12ihipStream_tbEUljE_EEESV_SW_SX_S14_S18_S1A_T6_T7_T9_mT8_S1C_bDpT10_ENKUlT_T0_E_clISt17integral_constantIbLb0EES1P_EEDaS1K_S1L_EUlS1K_E_NS1_11comp_targetILNS1_3genE0ELNS1_11target_archE4294967295ELNS1_3gpuE0ELNS1_3repE0EEENS1_30default_config_static_selectorELNS0_4arch9wavefront6targetE1EEEvSY_,"axG",@progbits,_ZN7rocprim17ROCPRIM_400000_NS6detail17trampoline_kernelINS0_13select_configILj256ELj13ELNS0_17block_load_methodE3ELS4_3ELS4_3ELNS0_20block_scan_algorithmE0ELj4294967295EEENS1_25partition_config_selectorILNS1_17partition_subalgoE3EjNS0_10empty_typeEbEEZZNS1_14partition_implILS8_3ELb0ES6_jNS0_17counting_iteratorIjlEEPS9_SE_NS0_5tupleIJPjSE_EEENSF_IJSE_SE_EEES9_SG_JZNS1_25segmented_radix_sort_implINS0_14default_configELb0EPKbPbPKlPlN2at6native12_GLOBAL__N_18offset_tEEE10hipError_tPvRmT1_PNSt15iterator_traitsISY_E10value_typeET2_T3_PNSZ_IS14_E10value_typeET4_jRbjT5_S1A_jjP12ihipStream_tbEUljE_EEESV_SW_SX_S14_S18_S1A_T6_T7_T9_mT8_S1C_bDpT10_ENKUlT_T0_E_clISt17integral_constantIbLb0EES1P_EEDaS1K_S1L_EUlS1K_E_NS1_11comp_targetILNS1_3genE0ELNS1_11target_archE4294967295ELNS1_3gpuE0ELNS1_3repE0EEENS1_30default_config_static_selectorELNS0_4arch9wavefront6targetE1EEEvSY_,comdat
	.globl	_ZN7rocprim17ROCPRIM_400000_NS6detail17trampoline_kernelINS0_13select_configILj256ELj13ELNS0_17block_load_methodE3ELS4_3ELS4_3ELNS0_20block_scan_algorithmE0ELj4294967295EEENS1_25partition_config_selectorILNS1_17partition_subalgoE3EjNS0_10empty_typeEbEEZZNS1_14partition_implILS8_3ELb0ES6_jNS0_17counting_iteratorIjlEEPS9_SE_NS0_5tupleIJPjSE_EEENSF_IJSE_SE_EEES9_SG_JZNS1_25segmented_radix_sort_implINS0_14default_configELb0EPKbPbPKlPlN2at6native12_GLOBAL__N_18offset_tEEE10hipError_tPvRmT1_PNSt15iterator_traitsISY_E10value_typeET2_T3_PNSZ_IS14_E10value_typeET4_jRbjT5_S1A_jjP12ihipStream_tbEUljE_EEESV_SW_SX_S14_S18_S1A_T6_T7_T9_mT8_S1C_bDpT10_ENKUlT_T0_E_clISt17integral_constantIbLb0EES1P_EEDaS1K_S1L_EUlS1K_E_NS1_11comp_targetILNS1_3genE0ELNS1_11target_archE4294967295ELNS1_3gpuE0ELNS1_3repE0EEENS1_30default_config_static_selectorELNS0_4arch9wavefront6targetE1EEEvSY_ ; -- Begin function _ZN7rocprim17ROCPRIM_400000_NS6detail17trampoline_kernelINS0_13select_configILj256ELj13ELNS0_17block_load_methodE3ELS4_3ELS4_3ELNS0_20block_scan_algorithmE0ELj4294967295EEENS1_25partition_config_selectorILNS1_17partition_subalgoE3EjNS0_10empty_typeEbEEZZNS1_14partition_implILS8_3ELb0ES6_jNS0_17counting_iteratorIjlEEPS9_SE_NS0_5tupleIJPjSE_EEENSF_IJSE_SE_EEES9_SG_JZNS1_25segmented_radix_sort_implINS0_14default_configELb0EPKbPbPKlPlN2at6native12_GLOBAL__N_18offset_tEEE10hipError_tPvRmT1_PNSt15iterator_traitsISY_E10value_typeET2_T3_PNSZ_IS14_E10value_typeET4_jRbjT5_S1A_jjP12ihipStream_tbEUljE_EEESV_SW_SX_S14_S18_S1A_T6_T7_T9_mT8_S1C_bDpT10_ENKUlT_T0_E_clISt17integral_constantIbLb0EES1P_EEDaS1K_S1L_EUlS1K_E_NS1_11comp_targetILNS1_3genE0ELNS1_11target_archE4294967295ELNS1_3gpuE0ELNS1_3repE0EEENS1_30default_config_static_selectorELNS0_4arch9wavefront6targetE1EEEvSY_
	.p2align	8
	.type	_ZN7rocprim17ROCPRIM_400000_NS6detail17trampoline_kernelINS0_13select_configILj256ELj13ELNS0_17block_load_methodE3ELS4_3ELS4_3ELNS0_20block_scan_algorithmE0ELj4294967295EEENS1_25partition_config_selectorILNS1_17partition_subalgoE3EjNS0_10empty_typeEbEEZZNS1_14partition_implILS8_3ELb0ES6_jNS0_17counting_iteratorIjlEEPS9_SE_NS0_5tupleIJPjSE_EEENSF_IJSE_SE_EEES9_SG_JZNS1_25segmented_radix_sort_implINS0_14default_configELb0EPKbPbPKlPlN2at6native12_GLOBAL__N_18offset_tEEE10hipError_tPvRmT1_PNSt15iterator_traitsISY_E10value_typeET2_T3_PNSZ_IS14_E10value_typeET4_jRbjT5_S1A_jjP12ihipStream_tbEUljE_EEESV_SW_SX_S14_S18_S1A_T6_T7_T9_mT8_S1C_bDpT10_ENKUlT_T0_E_clISt17integral_constantIbLb0EES1P_EEDaS1K_S1L_EUlS1K_E_NS1_11comp_targetILNS1_3genE0ELNS1_11target_archE4294967295ELNS1_3gpuE0ELNS1_3repE0EEENS1_30default_config_static_selectorELNS0_4arch9wavefront6targetE1EEEvSY_,@function
_ZN7rocprim17ROCPRIM_400000_NS6detail17trampoline_kernelINS0_13select_configILj256ELj13ELNS0_17block_load_methodE3ELS4_3ELS4_3ELNS0_20block_scan_algorithmE0ELj4294967295EEENS1_25partition_config_selectorILNS1_17partition_subalgoE3EjNS0_10empty_typeEbEEZZNS1_14partition_implILS8_3ELb0ES6_jNS0_17counting_iteratorIjlEEPS9_SE_NS0_5tupleIJPjSE_EEENSF_IJSE_SE_EEES9_SG_JZNS1_25segmented_radix_sort_implINS0_14default_configELb0EPKbPbPKlPlN2at6native12_GLOBAL__N_18offset_tEEE10hipError_tPvRmT1_PNSt15iterator_traitsISY_E10value_typeET2_T3_PNSZ_IS14_E10value_typeET4_jRbjT5_S1A_jjP12ihipStream_tbEUljE_EEESV_SW_SX_S14_S18_S1A_T6_T7_T9_mT8_S1C_bDpT10_ENKUlT_T0_E_clISt17integral_constantIbLb0EES1P_EEDaS1K_S1L_EUlS1K_E_NS1_11comp_targetILNS1_3genE0ELNS1_11target_archE4294967295ELNS1_3gpuE0ELNS1_3repE0EEENS1_30default_config_static_selectorELNS0_4arch9wavefront6targetE1EEEvSY_: ; @_ZN7rocprim17ROCPRIM_400000_NS6detail17trampoline_kernelINS0_13select_configILj256ELj13ELNS0_17block_load_methodE3ELS4_3ELS4_3ELNS0_20block_scan_algorithmE0ELj4294967295EEENS1_25partition_config_selectorILNS1_17partition_subalgoE3EjNS0_10empty_typeEbEEZZNS1_14partition_implILS8_3ELb0ES6_jNS0_17counting_iteratorIjlEEPS9_SE_NS0_5tupleIJPjSE_EEENSF_IJSE_SE_EEES9_SG_JZNS1_25segmented_radix_sort_implINS0_14default_configELb0EPKbPbPKlPlN2at6native12_GLOBAL__N_18offset_tEEE10hipError_tPvRmT1_PNSt15iterator_traitsISY_E10value_typeET2_T3_PNSZ_IS14_E10value_typeET4_jRbjT5_S1A_jjP12ihipStream_tbEUljE_EEESV_SW_SX_S14_S18_S1A_T6_T7_T9_mT8_S1C_bDpT10_ENKUlT_T0_E_clISt17integral_constantIbLb0EES1P_EEDaS1K_S1L_EUlS1K_E_NS1_11comp_targetILNS1_3genE0ELNS1_11target_archE4294967295ELNS1_3gpuE0ELNS1_3repE0EEENS1_30default_config_static_selectorELNS0_4arch9wavefront6targetE1EEEvSY_
; %bb.0:
	.section	.rodata,"a",@progbits
	.p2align	6, 0x0
	.amdhsa_kernel _ZN7rocprim17ROCPRIM_400000_NS6detail17trampoline_kernelINS0_13select_configILj256ELj13ELNS0_17block_load_methodE3ELS4_3ELS4_3ELNS0_20block_scan_algorithmE0ELj4294967295EEENS1_25partition_config_selectorILNS1_17partition_subalgoE3EjNS0_10empty_typeEbEEZZNS1_14partition_implILS8_3ELb0ES6_jNS0_17counting_iteratorIjlEEPS9_SE_NS0_5tupleIJPjSE_EEENSF_IJSE_SE_EEES9_SG_JZNS1_25segmented_radix_sort_implINS0_14default_configELb0EPKbPbPKlPlN2at6native12_GLOBAL__N_18offset_tEEE10hipError_tPvRmT1_PNSt15iterator_traitsISY_E10value_typeET2_T3_PNSZ_IS14_E10value_typeET4_jRbjT5_S1A_jjP12ihipStream_tbEUljE_EEESV_SW_SX_S14_S18_S1A_T6_T7_T9_mT8_S1C_bDpT10_ENKUlT_T0_E_clISt17integral_constantIbLb0EES1P_EEDaS1K_S1L_EUlS1K_E_NS1_11comp_targetILNS1_3genE0ELNS1_11target_archE4294967295ELNS1_3gpuE0ELNS1_3repE0EEENS1_30default_config_static_selectorELNS0_4arch9wavefront6targetE1EEEvSY_
		.amdhsa_group_segment_fixed_size 0
		.amdhsa_private_segment_fixed_size 0
		.amdhsa_kernarg_size 144
		.amdhsa_user_sgpr_count 6
		.amdhsa_user_sgpr_private_segment_buffer 1
		.amdhsa_user_sgpr_dispatch_ptr 0
		.amdhsa_user_sgpr_queue_ptr 0
		.amdhsa_user_sgpr_kernarg_segment_ptr 1
		.amdhsa_user_sgpr_dispatch_id 0
		.amdhsa_user_sgpr_flat_scratch_init 0
		.amdhsa_user_sgpr_kernarg_preload_length 0
		.amdhsa_user_sgpr_kernarg_preload_offset 0
		.amdhsa_user_sgpr_private_segment_size 0
		.amdhsa_uses_dynamic_stack 0
		.amdhsa_system_sgpr_private_segment_wavefront_offset 0
		.amdhsa_system_sgpr_workgroup_id_x 1
		.amdhsa_system_sgpr_workgroup_id_y 0
		.amdhsa_system_sgpr_workgroup_id_z 0
		.amdhsa_system_sgpr_workgroup_info 0
		.amdhsa_system_vgpr_workitem_id 0
		.amdhsa_next_free_vgpr 1
		.amdhsa_next_free_sgpr 0
		.amdhsa_accum_offset 4
		.amdhsa_reserve_vcc 0
		.amdhsa_reserve_flat_scratch 0
		.amdhsa_float_round_mode_32 0
		.amdhsa_float_round_mode_16_64 0
		.amdhsa_float_denorm_mode_32 3
		.amdhsa_float_denorm_mode_16_64 3
		.amdhsa_dx10_clamp 1
		.amdhsa_ieee_mode 1
		.amdhsa_fp16_overflow 0
		.amdhsa_tg_split 0
		.amdhsa_exception_fp_ieee_invalid_op 0
		.amdhsa_exception_fp_denorm_src 0
		.amdhsa_exception_fp_ieee_div_zero 0
		.amdhsa_exception_fp_ieee_overflow 0
		.amdhsa_exception_fp_ieee_underflow 0
		.amdhsa_exception_fp_ieee_inexact 0
		.amdhsa_exception_int_div_zero 0
	.end_amdhsa_kernel
	.section	.text._ZN7rocprim17ROCPRIM_400000_NS6detail17trampoline_kernelINS0_13select_configILj256ELj13ELNS0_17block_load_methodE3ELS4_3ELS4_3ELNS0_20block_scan_algorithmE0ELj4294967295EEENS1_25partition_config_selectorILNS1_17partition_subalgoE3EjNS0_10empty_typeEbEEZZNS1_14partition_implILS8_3ELb0ES6_jNS0_17counting_iteratorIjlEEPS9_SE_NS0_5tupleIJPjSE_EEENSF_IJSE_SE_EEES9_SG_JZNS1_25segmented_radix_sort_implINS0_14default_configELb0EPKbPbPKlPlN2at6native12_GLOBAL__N_18offset_tEEE10hipError_tPvRmT1_PNSt15iterator_traitsISY_E10value_typeET2_T3_PNSZ_IS14_E10value_typeET4_jRbjT5_S1A_jjP12ihipStream_tbEUljE_EEESV_SW_SX_S14_S18_S1A_T6_T7_T9_mT8_S1C_bDpT10_ENKUlT_T0_E_clISt17integral_constantIbLb0EES1P_EEDaS1K_S1L_EUlS1K_E_NS1_11comp_targetILNS1_3genE0ELNS1_11target_archE4294967295ELNS1_3gpuE0ELNS1_3repE0EEENS1_30default_config_static_selectorELNS0_4arch9wavefront6targetE1EEEvSY_,"axG",@progbits,_ZN7rocprim17ROCPRIM_400000_NS6detail17trampoline_kernelINS0_13select_configILj256ELj13ELNS0_17block_load_methodE3ELS4_3ELS4_3ELNS0_20block_scan_algorithmE0ELj4294967295EEENS1_25partition_config_selectorILNS1_17partition_subalgoE3EjNS0_10empty_typeEbEEZZNS1_14partition_implILS8_3ELb0ES6_jNS0_17counting_iteratorIjlEEPS9_SE_NS0_5tupleIJPjSE_EEENSF_IJSE_SE_EEES9_SG_JZNS1_25segmented_radix_sort_implINS0_14default_configELb0EPKbPbPKlPlN2at6native12_GLOBAL__N_18offset_tEEE10hipError_tPvRmT1_PNSt15iterator_traitsISY_E10value_typeET2_T3_PNSZ_IS14_E10value_typeET4_jRbjT5_S1A_jjP12ihipStream_tbEUljE_EEESV_SW_SX_S14_S18_S1A_T6_T7_T9_mT8_S1C_bDpT10_ENKUlT_T0_E_clISt17integral_constantIbLb0EES1P_EEDaS1K_S1L_EUlS1K_E_NS1_11comp_targetILNS1_3genE0ELNS1_11target_archE4294967295ELNS1_3gpuE0ELNS1_3repE0EEENS1_30default_config_static_selectorELNS0_4arch9wavefront6targetE1EEEvSY_,comdat
.Lfunc_end1601:
	.size	_ZN7rocprim17ROCPRIM_400000_NS6detail17trampoline_kernelINS0_13select_configILj256ELj13ELNS0_17block_load_methodE3ELS4_3ELS4_3ELNS0_20block_scan_algorithmE0ELj4294967295EEENS1_25partition_config_selectorILNS1_17partition_subalgoE3EjNS0_10empty_typeEbEEZZNS1_14partition_implILS8_3ELb0ES6_jNS0_17counting_iteratorIjlEEPS9_SE_NS0_5tupleIJPjSE_EEENSF_IJSE_SE_EEES9_SG_JZNS1_25segmented_radix_sort_implINS0_14default_configELb0EPKbPbPKlPlN2at6native12_GLOBAL__N_18offset_tEEE10hipError_tPvRmT1_PNSt15iterator_traitsISY_E10value_typeET2_T3_PNSZ_IS14_E10value_typeET4_jRbjT5_S1A_jjP12ihipStream_tbEUljE_EEESV_SW_SX_S14_S18_S1A_T6_T7_T9_mT8_S1C_bDpT10_ENKUlT_T0_E_clISt17integral_constantIbLb0EES1P_EEDaS1K_S1L_EUlS1K_E_NS1_11comp_targetILNS1_3genE0ELNS1_11target_archE4294967295ELNS1_3gpuE0ELNS1_3repE0EEENS1_30default_config_static_selectorELNS0_4arch9wavefront6targetE1EEEvSY_, .Lfunc_end1601-_ZN7rocprim17ROCPRIM_400000_NS6detail17trampoline_kernelINS0_13select_configILj256ELj13ELNS0_17block_load_methodE3ELS4_3ELS4_3ELNS0_20block_scan_algorithmE0ELj4294967295EEENS1_25partition_config_selectorILNS1_17partition_subalgoE3EjNS0_10empty_typeEbEEZZNS1_14partition_implILS8_3ELb0ES6_jNS0_17counting_iteratorIjlEEPS9_SE_NS0_5tupleIJPjSE_EEENSF_IJSE_SE_EEES9_SG_JZNS1_25segmented_radix_sort_implINS0_14default_configELb0EPKbPbPKlPlN2at6native12_GLOBAL__N_18offset_tEEE10hipError_tPvRmT1_PNSt15iterator_traitsISY_E10value_typeET2_T3_PNSZ_IS14_E10value_typeET4_jRbjT5_S1A_jjP12ihipStream_tbEUljE_EEESV_SW_SX_S14_S18_S1A_T6_T7_T9_mT8_S1C_bDpT10_ENKUlT_T0_E_clISt17integral_constantIbLb0EES1P_EEDaS1K_S1L_EUlS1K_E_NS1_11comp_targetILNS1_3genE0ELNS1_11target_archE4294967295ELNS1_3gpuE0ELNS1_3repE0EEENS1_30default_config_static_selectorELNS0_4arch9wavefront6targetE1EEEvSY_
                                        ; -- End function
	.section	.AMDGPU.csdata,"",@progbits
; Kernel info:
; codeLenInByte = 0
; NumSgprs: 4
; NumVgprs: 0
; NumAgprs: 0
; TotalNumVgprs: 0
; ScratchSize: 0
; MemoryBound: 0
; FloatMode: 240
; IeeeMode: 1
; LDSByteSize: 0 bytes/workgroup (compile time only)
; SGPRBlocks: 0
; VGPRBlocks: 0
; NumSGPRsForWavesPerEU: 4
; NumVGPRsForWavesPerEU: 1
; AccumOffset: 4
; Occupancy: 8
; WaveLimiterHint : 0
; COMPUTE_PGM_RSRC2:SCRATCH_EN: 0
; COMPUTE_PGM_RSRC2:USER_SGPR: 6
; COMPUTE_PGM_RSRC2:TRAP_HANDLER: 0
; COMPUTE_PGM_RSRC2:TGID_X_EN: 1
; COMPUTE_PGM_RSRC2:TGID_Y_EN: 0
; COMPUTE_PGM_RSRC2:TGID_Z_EN: 0
; COMPUTE_PGM_RSRC2:TIDIG_COMP_CNT: 0
; COMPUTE_PGM_RSRC3_GFX90A:ACCUM_OFFSET: 0
; COMPUTE_PGM_RSRC3_GFX90A:TG_SPLIT: 0
	.section	.text._ZN7rocprim17ROCPRIM_400000_NS6detail17trampoline_kernelINS0_13select_configILj256ELj13ELNS0_17block_load_methodE3ELS4_3ELS4_3ELNS0_20block_scan_algorithmE0ELj4294967295EEENS1_25partition_config_selectorILNS1_17partition_subalgoE3EjNS0_10empty_typeEbEEZZNS1_14partition_implILS8_3ELb0ES6_jNS0_17counting_iteratorIjlEEPS9_SE_NS0_5tupleIJPjSE_EEENSF_IJSE_SE_EEES9_SG_JZNS1_25segmented_radix_sort_implINS0_14default_configELb0EPKbPbPKlPlN2at6native12_GLOBAL__N_18offset_tEEE10hipError_tPvRmT1_PNSt15iterator_traitsISY_E10value_typeET2_T3_PNSZ_IS14_E10value_typeET4_jRbjT5_S1A_jjP12ihipStream_tbEUljE_EEESV_SW_SX_S14_S18_S1A_T6_T7_T9_mT8_S1C_bDpT10_ENKUlT_T0_E_clISt17integral_constantIbLb0EES1P_EEDaS1K_S1L_EUlS1K_E_NS1_11comp_targetILNS1_3genE5ELNS1_11target_archE942ELNS1_3gpuE9ELNS1_3repE0EEENS1_30default_config_static_selectorELNS0_4arch9wavefront6targetE1EEEvSY_,"axG",@progbits,_ZN7rocprim17ROCPRIM_400000_NS6detail17trampoline_kernelINS0_13select_configILj256ELj13ELNS0_17block_load_methodE3ELS4_3ELS4_3ELNS0_20block_scan_algorithmE0ELj4294967295EEENS1_25partition_config_selectorILNS1_17partition_subalgoE3EjNS0_10empty_typeEbEEZZNS1_14partition_implILS8_3ELb0ES6_jNS0_17counting_iteratorIjlEEPS9_SE_NS0_5tupleIJPjSE_EEENSF_IJSE_SE_EEES9_SG_JZNS1_25segmented_radix_sort_implINS0_14default_configELb0EPKbPbPKlPlN2at6native12_GLOBAL__N_18offset_tEEE10hipError_tPvRmT1_PNSt15iterator_traitsISY_E10value_typeET2_T3_PNSZ_IS14_E10value_typeET4_jRbjT5_S1A_jjP12ihipStream_tbEUljE_EEESV_SW_SX_S14_S18_S1A_T6_T7_T9_mT8_S1C_bDpT10_ENKUlT_T0_E_clISt17integral_constantIbLb0EES1P_EEDaS1K_S1L_EUlS1K_E_NS1_11comp_targetILNS1_3genE5ELNS1_11target_archE942ELNS1_3gpuE9ELNS1_3repE0EEENS1_30default_config_static_selectorELNS0_4arch9wavefront6targetE1EEEvSY_,comdat
	.globl	_ZN7rocprim17ROCPRIM_400000_NS6detail17trampoline_kernelINS0_13select_configILj256ELj13ELNS0_17block_load_methodE3ELS4_3ELS4_3ELNS0_20block_scan_algorithmE0ELj4294967295EEENS1_25partition_config_selectorILNS1_17partition_subalgoE3EjNS0_10empty_typeEbEEZZNS1_14partition_implILS8_3ELb0ES6_jNS0_17counting_iteratorIjlEEPS9_SE_NS0_5tupleIJPjSE_EEENSF_IJSE_SE_EEES9_SG_JZNS1_25segmented_radix_sort_implINS0_14default_configELb0EPKbPbPKlPlN2at6native12_GLOBAL__N_18offset_tEEE10hipError_tPvRmT1_PNSt15iterator_traitsISY_E10value_typeET2_T3_PNSZ_IS14_E10value_typeET4_jRbjT5_S1A_jjP12ihipStream_tbEUljE_EEESV_SW_SX_S14_S18_S1A_T6_T7_T9_mT8_S1C_bDpT10_ENKUlT_T0_E_clISt17integral_constantIbLb0EES1P_EEDaS1K_S1L_EUlS1K_E_NS1_11comp_targetILNS1_3genE5ELNS1_11target_archE942ELNS1_3gpuE9ELNS1_3repE0EEENS1_30default_config_static_selectorELNS0_4arch9wavefront6targetE1EEEvSY_ ; -- Begin function _ZN7rocprim17ROCPRIM_400000_NS6detail17trampoline_kernelINS0_13select_configILj256ELj13ELNS0_17block_load_methodE3ELS4_3ELS4_3ELNS0_20block_scan_algorithmE0ELj4294967295EEENS1_25partition_config_selectorILNS1_17partition_subalgoE3EjNS0_10empty_typeEbEEZZNS1_14partition_implILS8_3ELb0ES6_jNS0_17counting_iteratorIjlEEPS9_SE_NS0_5tupleIJPjSE_EEENSF_IJSE_SE_EEES9_SG_JZNS1_25segmented_radix_sort_implINS0_14default_configELb0EPKbPbPKlPlN2at6native12_GLOBAL__N_18offset_tEEE10hipError_tPvRmT1_PNSt15iterator_traitsISY_E10value_typeET2_T3_PNSZ_IS14_E10value_typeET4_jRbjT5_S1A_jjP12ihipStream_tbEUljE_EEESV_SW_SX_S14_S18_S1A_T6_T7_T9_mT8_S1C_bDpT10_ENKUlT_T0_E_clISt17integral_constantIbLb0EES1P_EEDaS1K_S1L_EUlS1K_E_NS1_11comp_targetILNS1_3genE5ELNS1_11target_archE942ELNS1_3gpuE9ELNS1_3repE0EEENS1_30default_config_static_selectorELNS0_4arch9wavefront6targetE1EEEvSY_
	.p2align	8
	.type	_ZN7rocprim17ROCPRIM_400000_NS6detail17trampoline_kernelINS0_13select_configILj256ELj13ELNS0_17block_load_methodE3ELS4_3ELS4_3ELNS0_20block_scan_algorithmE0ELj4294967295EEENS1_25partition_config_selectorILNS1_17partition_subalgoE3EjNS0_10empty_typeEbEEZZNS1_14partition_implILS8_3ELb0ES6_jNS0_17counting_iteratorIjlEEPS9_SE_NS0_5tupleIJPjSE_EEENSF_IJSE_SE_EEES9_SG_JZNS1_25segmented_radix_sort_implINS0_14default_configELb0EPKbPbPKlPlN2at6native12_GLOBAL__N_18offset_tEEE10hipError_tPvRmT1_PNSt15iterator_traitsISY_E10value_typeET2_T3_PNSZ_IS14_E10value_typeET4_jRbjT5_S1A_jjP12ihipStream_tbEUljE_EEESV_SW_SX_S14_S18_S1A_T6_T7_T9_mT8_S1C_bDpT10_ENKUlT_T0_E_clISt17integral_constantIbLb0EES1P_EEDaS1K_S1L_EUlS1K_E_NS1_11comp_targetILNS1_3genE5ELNS1_11target_archE942ELNS1_3gpuE9ELNS1_3repE0EEENS1_30default_config_static_selectorELNS0_4arch9wavefront6targetE1EEEvSY_,@function
_ZN7rocprim17ROCPRIM_400000_NS6detail17trampoline_kernelINS0_13select_configILj256ELj13ELNS0_17block_load_methodE3ELS4_3ELS4_3ELNS0_20block_scan_algorithmE0ELj4294967295EEENS1_25partition_config_selectorILNS1_17partition_subalgoE3EjNS0_10empty_typeEbEEZZNS1_14partition_implILS8_3ELb0ES6_jNS0_17counting_iteratorIjlEEPS9_SE_NS0_5tupleIJPjSE_EEENSF_IJSE_SE_EEES9_SG_JZNS1_25segmented_radix_sort_implINS0_14default_configELb0EPKbPbPKlPlN2at6native12_GLOBAL__N_18offset_tEEE10hipError_tPvRmT1_PNSt15iterator_traitsISY_E10value_typeET2_T3_PNSZ_IS14_E10value_typeET4_jRbjT5_S1A_jjP12ihipStream_tbEUljE_EEESV_SW_SX_S14_S18_S1A_T6_T7_T9_mT8_S1C_bDpT10_ENKUlT_T0_E_clISt17integral_constantIbLb0EES1P_EEDaS1K_S1L_EUlS1K_E_NS1_11comp_targetILNS1_3genE5ELNS1_11target_archE942ELNS1_3gpuE9ELNS1_3repE0EEENS1_30default_config_static_selectorELNS0_4arch9wavefront6targetE1EEEvSY_: ; @_ZN7rocprim17ROCPRIM_400000_NS6detail17trampoline_kernelINS0_13select_configILj256ELj13ELNS0_17block_load_methodE3ELS4_3ELS4_3ELNS0_20block_scan_algorithmE0ELj4294967295EEENS1_25partition_config_selectorILNS1_17partition_subalgoE3EjNS0_10empty_typeEbEEZZNS1_14partition_implILS8_3ELb0ES6_jNS0_17counting_iteratorIjlEEPS9_SE_NS0_5tupleIJPjSE_EEENSF_IJSE_SE_EEES9_SG_JZNS1_25segmented_radix_sort_implINS0_14default_configELb0EPKbPbPKlPlN2at6native12_GLOBAL__N_18offset_tEEE10hipError_tPvRmT1_PNSt15iterator_traitsISY_E10value_typeET2_T3_PNSZ_IS14_E10value_typeET4_jRbjT5_S1A_jjP12ihipStream_tbEUljE_EEESV_SW_SX_S14_S18_S1A_T6_T7_T9_mT8_S1C_bDpT10_ENKUlT_T0_E_clISt17integral_constantIbLb0EES1P_EEDaS1K_S1L_EUlS1K_E_NS1_11comp_targetILNS1_3genE5ELNS1_11target_archE942ELNS1_3gpuE9ELNS1_3repE0EEENS1_30default_config_static_selectorELNS0_4arch9wavefront6targetE1EEEvSY_
; %bb.0:
	.section	.rodata,"a",@progbits
	.p2align	6, 0x0
	.amdhsa_kernel _ZN7rocprim17ROCPRIM_400000_NS6detail17trampoline_kernelINS0_13select_configILj256ELj13ELNS0_17block_load_methodE3ELS4_3ELS4_3ELNS0_20block_scan_algorithmE0ELj4294967295EEENS1_25partition_config_selectorILNS1_17partition_subalgoE3EjNS0_10empty_typeEbEEZZNS1_14partition_implILS8_3ELb0ES6_jNS0_17counting_iteratorIjlEEPS9_SE_NS0_5tupleIJPjSE_EEENSF_IJSE_SE_EEES9_SG_JZNS1_25segmented_radix_sort_implINS0_14default_configELb0EPKbPbPKlPlN2at6native12_GLOBAL__N_18offset_tEEE10hipError_tPvRmT1_PNSt15iterator_traitsISY_E10value_typeET2_T3_PNSZ_IS14_E10value_typeET4_jRbjT5_S1A_jjP12ihipStream_tbEUljE_EEESV_SW_SX_S14_S18_S1A_T6_T7_T9_mT8_S1C_bDpT10_ENKUlT_T0_E_clISt17integral_constantIbLb0EES1P_EEDaS1K_S1L_EUlS1K_E_NS1_11comp_targetILNS1_3genE5ELNS1_11target_archE942ELNS1_3gpuE9ELNS1_3repE0EEENS1_30default_config_static_selectorELNS0_4arch9wavefront6targetE1EEEvSY_
		.amdhsa_group_segment_fixed_size 0
		.amdhsa_private_segment_fixed_size 0
		.amdhsa_kernarg_size 144
		.amdhsa_user_sgpr_count 6
		.amdhsa_user_sgpr_private_segment_buffer 1
		.amdhsa_user_sgpr_dispatch_ptr 0
		.amdhsa_user_sgpr_queue_ptr 0
		.amdhsa_user_sgpr_kernarg_segment_ptr 1
		.amdhsa_user_sgpr_dispatch_id 0
		.amdhsa_user_sgpr_flat_scratch_init 0
		.amdhsa_user_sgpr_kernarg_preload_length 0
		.amdhsa_user_sgpr_kernarg_preload_offset 0
		.amdhsa_user_sgpr_private_segment_size 0
		.amdhsa_uses_dynamic_stack 0
		.amdhsa_system_sgpr_private_segment_wavefront_offset 0
		.amdhsa_system_sgpr_workgroup_id_x 1
		.amdhsa_system_sgpr_workgroup_id_y 0
		.amdhsa_system_sgpr_workgroup_id_z 0
		.amdhsa_system_sgpr_workgroup_info 0
		.amdhsa_system_vgpr_workitem_id 0
		.amdhsa_next_free_vgpr 1
		.amdhsa_next_free_sgpr 0
		.amdhsa_accum_offset 4
		.amdhsa_reserve_vcc 0
		.amdhsa_reserve_flat_scratch 0
		.amdhsa_float_round_mode_32 0
		.amdhsa_float_round_mode_16_64 0
		.amdhsa_float_denorm_mode_32 3
		.amdhsa_float_denorm_mode_16_64 3
		.amdhsa_dx10_clamp 1
		.amdhsa_ieee_mode 1
		.amdhsa_fp16_overflow 0
		.amdhsa_tg_split 0
		.amdhsa_exception_fp_ieee_invalid_op 0
		.amdhsa_exception_fp_denorm_src 0
		.amdhsa_exception_fp_ieee_div_zero 0
		.amdhsa_exception_fp_ieee_overflow 0
		.amdhsa_exception_fp_ieee_underflow 0
		.amdhsa_exception_fp_ieee_inexact 0
		.amdhsa_exception_int_div_zero 0
	.end_amdhsa_kernel
	.section	.text._ZN7rocprim17ROCPRIM_400000_NS6detail17trampoline_kernelINS0_13select_configILj256ELj13ELNS0_17block_load_methodE3ELS4_3ELS4_3ELNS0_20block_scan_algorithmE0ELj4294967295EEENS1_25partition_config_selectorILNS1_17partition_subalgoE3EjNS0_10empty_typeEbEEZZNS1_14partition_implILS8_3ELb0ES6_jNS0_17counting_iteratorIjlEEPS9_SE_NS0_5tupleIJPjSE_EEENSF_IJSE_SE_EEES9_SG_JZNS1_25segmented_radix_sort_implINS0_14default_configELb0EPKbPbPKlPlN2at6native12_GLOBAL__N_18offset_tEEE10hipError_tPvRmT1_PNSt15iterator_traitsISY_E10value_typeET2_T3_PNSZ_IS14_E10value_typeET4_jRbjT5_S1A_jjP12ihipStream_tbEUljE_EEESV_SW_SX_S14_S18_S1A_T6_T7_T9_mT8_S1C_bDpT10_ENKUlT_T0_E_clISt17integral_constantIbLb0EES1P_EEDaS1K_S1L_EUlS1K_E_NS1_11comp_targetILNS1_3genE5ELNS1_11target_archE942ELNS1_3gpuE9ELNS1_3repE0EEENS1_30default_config_static_selectorELNS0_4arch9wavefront6targetE1EEEvSY_,"axG",@progbits,_ZN7rocprim17ROCPRIM_400000_NS6detail17trampoline_kernelINS0_13select_configILj256ELj13ELNS0_17block_load_methodE3ELS4_3ELS4_3ELNS0_20block_scan_algorithmE0ELj4294967295EEENS1_25partition_config_selectorILNS1_17partition_subalgoE3EjNS0_10empty_typeEbEEZZNS1_14partition_implILS8_3ELb0ES6_jNS0_17counting_iteratorIjlEEPS9_SE_NS0_5tupleIJPjSE_EEENSF_IJSE_SE_EEES9_SG_JZNS1_25segmented_radix_sort_implINS0_14default_configELb0EPKbPbPKlPlN2at6native12_GLOBAL__N_18offset_tEEE10hipError_tPvRmT1_PNSt15iterator_traitsISY_E10value_typeET2_T3_PNSZ_IS14_E10value_typeET4_jRbjT5_S1A_jjP12ihipStream_tbEUljE_EEESV_SW_SX_S14_S18_S1A_T6_T7_T9_mT8_S1C_bDpT10_ENKUlT_T0_E_clISt17integral_constantIbLb0EES1P_EEDaS1K_S1L_EUlS1K_E_NS1_11comp_targetILNS1_3genE5ELNS1_11target_archE942ELNS1_3gpuE9ELNS1_3repE0EEENS1_30default_config_static_selectorELNS0_4arch9wavefront6targetE1EEEvSY_,comdat
.Lfunc_end1602:
	.size	_ZN7rocprim17ROCPRIM_400000_NS6detail17trampoline_kernelINS0_13select_configILj256ELj13ELNS0_17block_load_methodE3ELS4_3ELS4_3ELNS0_20block_scan_algorithmE0ELj4294967295EEENS1_25partition_config_selectorILNS1_17partition_subalgoE3EjNS0_10empty_typeEbEEZZNS1_14partition_implILS8_3ELb0ES6_jNS0_17counting_iteratorIjlEEPS9_SE_NS0_5tupleIJPjSE_EEENSF_IJSE_SE_EEES9_SG_JZNS1_25segmented_radix_sort_implINS0_14default_configELb0EPKbPbPKlPlN2at6native12_GLOBAL__N_18offset_tEEE10hipError_tPvRmT1_PNSt15iterator_traitsISY_E10value_typeET2_T3_PNSZ_IS14_E10value_typeET4_jRbjT5_S1A_jjP12ihipStream_tbEUljE_EEESV_SW_SX_S14_S18_S1A_T6_T7_T9_mT8_S1C_bDpT10_ENKUlT_T0_E_clISt17integral_constantIbLb0EES1P_EEDaS1K_S1L_EUlS1K_E_NS1_11comp_targetILNS1_3genE5ELNS1_11target_archE942ELNS1_3gpuE9ELNS1_3repE0EEENS1_30default_config_static_selectorELNS0_4arch9wavefront6targetE1EEEvSY_, .Lfunc_end1602-_ZN7rocprim17ROCPRIM_400000_NS6detail17trampoline_kernelINS0_13select_configILj256ELj13ELNS0_17block_load_methodE3ELS4_3ELS4_3ELNS0_20block_scan_algorithmE0ELj4294967295EEENS1_25partition_config_selectorILNS1_17partition_subalgoE3EjNS0_10empty_typeEbEEZZNS1_14partition_implILS8_3ELb0ES6_jNS0_17counting_iteratorIjlEEPS9_SE_NS0_5tupleIJPjSE_EEENSF_IJSE_SE_EEES9_SG_JZNS1_25segmented_radix_sort_implINS0_14default_configELb0EPKbPbPKlPlN2at6native12_GLOBAL__N_18offset_tEEE10hipError_tPvRmT1_PNSt15iterator_traitsISY_E10value_typeET2_T3_PNSZ_IS14_E10value_typeET4_jRbjT5_S1A_jjP12ihipStream_tbEUljE_EEESV_SW_SX_S14_S18_S1A_T6_T7_T9_mT8_S1C_bDpT10_ENKUlT_T0_E_clISt17integral_constantIbLb0EES1P_EEDaS1K_S1L_EUlS1K_E_NS1_11comp_targetILNS1_3genE5ELNS1_11target_archE942ELNS1_3gpuE9ELNS1_3repE0EEENS1_30default_config_static_selectorELNS0_4arch9wavefront6targetE1EEEvSY_
                                        ; -- End function
	.section	.AMDGPU.csdata,"",@progbits
; Kernel info:
; codeLenInByte = 0
; NumSgprs: 4
; NumVgprs: 0
; NumAgprs: 0
; TotalNumVgprs: 0
; ScratchSize: 0
; MemoryBound: 0
; FloatMode: 240
; IeeeMode: 1
; LDSByteSize: 0 bytes/workgroup (compile time only)
; SGPRBlocks: 0
; VGPRBlocks: 0
; NumSGPRsForWavesPerEU: 4
; NumVGPRsForWavesPerEU: 1
; AccumOffset: 4
; Occupancy: 8
; WaveLimiterHint : 0
; COMPUTE_PGM_RSRC2:SCRATCH_EN: 0
; COMPUTE_PGM_RSRC2:USER_SGPR: 6
; COMPUTE_PGM_RSRC2:TRAP_HANDLER: 0
; COMPUTE_PGM_RSRC2:TGID_X_EN: 1
; COMPUTE_PGM_RSRC2:TGID_Y_EN: 0
; COMPUTE_PGM_RSRC2:TGID_Z_EN: 0
; COMPUTE_PGM_RSRC2:TIDIG_COMP_CNT: 0
; COMPUTE_PGM_RSRC3_GFX90A:ACCUM_OFFSET: 0
; COMPUTE_PGM_RSRC3_GFX90A:TG_SPLIT: 0
	.section	.text._ZN7rocprim17ROCPRIM_400000_NS6detail17trampoline_kernelINS0_13select_configILj256ELj13ELNS0_17block_load_methodE3ELS4_3ELS4_3ELNS0_20block_scan_algorithmE0ELj4294967295EEENS1_25partition_config_selectorILNS1_17partition_subalgoE3EjNS0_10empty_typeEbEEZZNS1_14partition_implILS8_3ELb0ES6_jNS0_17counting_iteratorIjlEEPS9_SE_NS0_5tupleIJPjSE_EEENSF_IJSE_SE_EEES9_SG_JZNS1_25segmented_radix_sort_implINS0_14default_configELb0EPKbPbPKlPlN2at6native12_GLOBAL__N_18offset_tEEE10hipError_tPvRmT1_PNSt15iterator_traitsISY_E10value_typeET2_T3_PNSZ_IS14_E10value_typeET4_jRbjT5_S1A_jjP12ihipStream_tbEUljE_EEESV_SW_SX_S14_S18_S1A_T6_T7_T9_mT8_S1C_bDpT10_ENKUlT_T0_E_clISt17integral_constantIbLb0EES1P_EEDaS1K_S1L_EUlS1K_E_NS1_11comp_targetILNS1_3genE4ELNS1_11target_archE910ELNS1_3gpuE8ELNS1_3repE0EEENS1_30default_config_static_selectorELNS0_4arch9wavefront6targetE1EEEvSY_,"axG",@progbits,_ZN7rocprim17ROCPRIM_400000_NS6detail17trampoline_kernelINS0_13select_configILj256ELj13ELNS0_17block_load_methodE3ELS4_3ELS4_3ELNS0_20block_scan_algorithmE0ELj4294967295EEENS1_25partition_config_selectorILNS1_17partition_subalgoE3EjNS0_10empty_typeEbEEZZNS1_14partition_implILS8_3ELb0ES6_jNS0_17counting_iteratorIjlEEPS9_SE_NS0_5tupleIJPjSE_EEENSF_IJSE_SE_EEES9_SG_JZNS1_25segmented_radix_sort_implINS0_14default_configELb0EPKbPbPKlPlN2at6native12_GLOBAL__N_18offset_tEEE10hipError_tPvRmT1_PNSt15iterator_traitsISY_E10value_typeET2_T3_PNSZ_IS14_E10value_typeET4_jRbjT5_S1A_jjP12ihipStream_tbEUljE_EEESV_SW_SX_S14_S18_S1A_T6_T7_T9_mT8_S1C_bDpT10_ENKUlT_T0_E_clISt17integral_constantIbLb0EES1P_EEDaS1K_S1L_EUlS1K_E_NS1_11comp_targetILNS1_3genE4ELNS1_11target_archE910ELNS1_3gpuE8ELNS1_3repE0EEENS1_30default_config_static_selectorELNS0_4arch9wavefront6targetE1EEEvSY_,comdat
	.globl	_ZN7rocprim17ROCPRIM_400000_NS6detail17trampoline_kernelINS0_13select_configILj256ELj13ELNS0_17block_load_methodE3ELS4_3ELS4_3ELNS0_20block_scan_algorithmE0ELj4294967295EEENS1_25partition_config_selectorILNS1_17partition_subalgoE3EjNS0_10empty_typeEbEEZZNS1_14partition_implILS8_3ELb0ES6_jNS0_17counting_iteratorIjlEEPS9_SE_NS0_5tupleIJPjSE_EEENSF_IJSE_SE_EEES9_SG_JZNS1_25segmented_radix_sort_implINS0_14default_configELb0EPKbPbPKlPlN2at6native12_GLOBAL__N_18offset_tEEE10hipError_tPvRmT1_PNSt15iterator_traitsISY_E10value_typeET2_T3_PNSZ_IS14_E10value_typeET4_jRbjT5_S1A_jjP12ihipStream_tbEUljE_EEESV_SW_SX_S14_S18_S1A_T6_T7_T9_mT8_S1C_bDpT10_ENKUlT_T0_E_clISt17integral_constantIbLb0EES1P_EEDaS1K_S1L_EUlS1K_E_NS1_11comp_targetILNS1_3genE4ELNS1_11target_archE910ELNS1_3gpuE8ELNS1_3repE0EEENS1_30default_config_static_selectorELNS0_4arch9wavefront6targetE1EEEvSY_ ; -- Begin function _ZN7rocprim17ROCPRIM_400000_NS6detail17trampoline_kernelINS0_13select_configILj256ELj13ELNS0_17block_load_methodE3ELS4_3ELS4_3ELNS0_20block_scan_algorithmE0ELj4294967295EEENS1_25partition_config_selectorILNS1_17partition_subalgoE3EjNS0_10empty_typeEbEEZZNS1_14partition_implILS8_3ELb0ES6_jNS0_17counting_iteratorIjlEEPS9_SE_NS0_5tupleIJPjSE_EEENSF_IJSE_SE_EEES9_SG_JZNS1_25segmented_radix_sort_implINS0_14default_configELb0EPKbPbPKlPlN2at6native12_GLOBAL__N_18offset_tEEE10hipError_tPvRmT1_PNSt15iterator_traitsISY_E10value_typeET2_T3_PNSZ_IS14_E10value_typeET4_jRbjT5_S1A_jjP12ihipStream_tbEUljE_EEESV_SW_SX_S14_S18_S1A_T6_T7_T9_mT8_S1C_bDpT10_ENKUlT_T0_E_clISt17integral_constantIbLb0EES1P_EEDaS1K_S1L_EUlS1K_E_NS1_11comp_targetILNS1_3genE4ELNS1_11target_archE910ELNS1_3gpuE8ELNS1_3repE0EEENS1_30default_config_static_selectorELNS0_4arch9wavefront6targetE1EEEvSY_
	.p2align	8
	.type	_ZN7rocprim17ROCPRIM_400000_NS6detail17trampoline_kernelINS0_13select_configILj256ELj13ELNS0_17block_load_methodE3ELS4_3ELS4_3ELNS0_20block_scan_algorithmE0ELj4294967295EEENS1_25partition_config_selectorILNS1_17partition_subalgoE3EjNS0_10empty_typeEbEEZZNS1_14partition_implILS8_3ELb0ES6_jNS0_17counting_iteratorIjlEEPS9_SE_NS0_5tupleIJPjSE_EEENSF_IJSE_SE_EEES9_SG_JZNS1_25segmented_radix_sort_implINS0_14default_configELb0EPKbPbPKlPlN2at6native12_GLOBAL__N_18offset_tEEE10hipError_tPvRmT1_PNSt15iterator_traitsISY_E10value_typeET2_T3_PNSZ_IS14_E10value_typeET4_jRbjT5_S1A_jjP12ihipStream_tbEUljE_EEESV_SW_SX_S14_S18_S1A_T6_T7_T9_mT8_S1C_bDpT10_ENKUlT_T0_E_clISt17integral_constantIbLb0EES1P_EEDaS1K_S1L_EUlS1K_E_NS1_11comp_targetILNS1_3genE4ELNS1_11target_archE910ELNS1_3gpuE8ELNS1_3repE0EEENS1_30default_config_static_selectorELNS0_4arch9wavefront6targetE1EEEvSY_,@function
_ZN7rocprim17ROCPRIM_400000_NS6detail17trampoline_kernelINS0_13select_configILj256ELj13ELNS0_17block_load_methodE3ELS4_3ELS4_3ELNS0_20block_scan_algorithmE0ELj4294967295EEENS1_25partition_config_selectorILNS1_17partition_subalgoE3EjNS0_10empty_typeEbEEZZNS1_14partition_implILS8_3ELb0ES6_jNS0_17counting_iteratorIjlEEPS9_SE_NS0_5tupleIJPjSE_EEENSF_IJSE_SE_EEES9_SG_JZNS1_25segmented_radix_sort_implINS0_14default_configELb0EPKbPbPKlPlN2at6native12_GLOBAL__N_18offset_tEEE10hipError_tPvRmT1_PNSt15iterator_traitsISY_E10value_typeET2_T3_PNSZ_IS14_E10value_typeET4_jRbjT5_S1A_jjP12ihipStream_tbEUljE_EEESV_SW_SX_S14_S18_S1A_T6_T7_T9_mT8_S1C_bDpT10_ENKUlT_T0_E_clISt17integral_constantIbLb0EES1P_EEDaS1K_S1L_EUlS1K_E_NS1_11comp_targetILNS1_3genE4ELNS1_11target_archE910ELNS1_3gpuE8ELNS1_3repE0EEENS1_30default_config_static_selectorELNS0_4arch9wavefront6targetE1EEEvSY_: ; @_ZN7rocprim17ROCPRIM_400000_NS6detail17trampoline_kernelINS0_13select_configILj256ELj13ELNS0_17block_load_methodE3ELS4_3ELS4_3ELNS0_20block_scan_algorithmE0ELj4294967295EEENS1_25partition_config_selectorILNS1_17partition_subalgoE3EjNS0_10empty_typeEbEEZZNS1_14partition_implILS8_3ELb0ES6_jNS0_17counting_iteratorIjlEEPS9_SE_NS0_5tupleIJPjSE_EEENSF_IJSE_SE_EEES9_SG_JZNS1_25segmented_radix_sort_implINS0_14default_configELb0EPKbPbPKlPlN2at6native12_GLOBAL__N_18offset_tEEE10hipError_tPvRmT1_PNSt15iterator_traitsISY_E10value_typeET2_T3_PNSZ_IS14_E10value_typeET4_jRbjT5_S1A_jjP12ihipStream_tbEUljE_EEESV_SW_SX_S14_S18_S1A_T6_T7_T9_mT8_S1C_bDpT10_ENKUlT_T0_E_clISt17integral_constantIbLb0EES1P_EEDaS1K_S1L_EUlS1K_E_NS1_11comp_targetILNS1_3genE4ELNS1_11target_archE910ELNS1_3gpuE8ELNS1_3repE0EEENS1_30default_config_static_selectorELNS0_4arch9wavefront6targetE1EEEvSY_
; %bb.0:
	s_load_dwordx2 s[26:27], s[4:5], 0x58
	s_load_dwordx4 s[20:23], s[4:5], 0x48
	s_load_dword s13, s[4:5], 0x8
	s_load_dwordx2 s[28:29], s[4:5], 0x10
	s_load_dword s12, s[4:5], 0x70
	s_load_dword s7, s[4:5], 0x88
	s_load_dwordx4 s[8:11], s[4:5], 0x78
	s_waitcnt lgkmcnt(0)
	s_load_dwordx2 s[30:31], s[22:23], 0x0
	v_pk_mov_b32 v[2:3], s[26:27], s[26:27] op_sel:[0,1]
	s_add_i32 s2, s12, -1
	s_mulk_i32 s12, 0xd00
	s_add_u32 s0, s28, s12
	s_addc_u32 s1, s29, 0
	s_cmp_eq_u32 s6, s2
	s_cselect_b64 s[22:23], -1, 0
	s_cmp_lg_u32 s6, s2
	s_mul_i32 s42, s6, 0xd00
	v_cmp_lt_u64_e32 vcc, s[0:1], v[2:3]
	s_cselect_b64 s[0:1], -1, 0
	s_or_b64 s[2:3], s[0:1], vcc
	s_add_i32 s0, s13, s42
	s_add_i32 s0, s0, s28
	v_add_u32_e32 v2, s0, v0
	s_mov_b64 s[0:1], -1
	s_and_b64 vcc, exec, s[2:3]
	v_lshlrev_b32_e32 v1, 2, v0
	s_cbranch_vccz .LBB1603_2
; %bb.1:
	v_add_u32_e32 v3, 0x100, v2
	v_add_u32_e32 v4, 0x200, v2
	;; [unrolled: 1-line block ×12, first 2 shown]
	ds_write2st64_b32 v1, v2, v3 offset1:4
	ds_write2st64_b32 v1, v4, v5 offset0:8 offset1:12
	ds_write2st64_b32 v1, v6, v7 offset0:16 offset1:20
	;; [unrolled: 1-line block ×5, first 2 shown]
	ds_write_b32 v1, v14 offset:12288
	s_waitcnt lgkmcnt(0)
	s_barrier
	s_mov_b64 s[0:1], 0
.LBB1603_2:
	s_andn2_b64 vcc, exec, s[0:1]
	s_add_i32 s12, s12, s28
	s_cbranch_vccnz .LBB1603_4
; %bb.3:
	v_add_u32_e32 v3, 0x100, v2
	v_add_u32_e32 v4, 0x200, v2
	;; [unrolled: 1-line block ×12, first 2 shown]
	ds_write2st64_b32 v1, v2, v3 offset1:4
	ds_write2st64_b32 v1, v4, v5 offset0:8 offset1:12
	ds_write2st64_b32 v1, v6, v7 offset0:16 offset1:20
	;; [unrolled: 1-line block ×5, first 2 shown]
	ds_write_b32 v1, v14 offset:12288
	s_waitcnt lgkmcnt(0)
	s_barrier
.LBB1603_4:
	v_mul_u32_u24_e32 v33, 13, v0
	v_lshlrev_b32_e32 v2, 2, v33
	s_waitcnt lgkmcnt(0)
	ds_read2_b32 v[30:31], v2 offset1:1
	ds_read2_b32 v[28:29], v2 offset0:2 offset1:3
	ds_read2_b32 v[26:27], v2 offset0:4 offset1:5
	;; [unrolled: 1-line block ×5, first 2 shown]
	ds_read_b32 v32, v2 offset:48
	v_cndmask_b32_e64 v2, 0, 1, s[2:3]
	s_sub_i32 s33, s26, s12
	v_cmp_ne_u32_e64 s[0:1], 1, v2
	s_andn2_b64 vcc, exec, s[2:3]
	s_waitcnt lgkmcnt(0)
	s_barrier
	s_cbranch_vccnz .LBB1603_6
; %bb.5:
	v_add_u32_e32 v2, s9, v30
	v_add_u32_e32 v3, s11, v30
	v_mul_lo_u32 v2, v2, s8
	v_mul_lo_u32 v3, v3, s10
	v_sub_u32_e32 v2, v2, v3
	v_add_u32_e32 v3, s9, v31
	v_add_u32_e32 v4, s11, v31
	v_mul_lo_u32 v3, v3, s8
	v_mul_lo_u32 v4, v4, s10
	v_sub_u32_e32 v3, v3, v4
	;; [unrolled: 5-line block ×6, first 2 shown]
	v_add_u32_e32 v8, s9, v24
	v_add_u32_e32 v9, s11, v24
	v_mul_lo_u32 v8, v8, s8
	v_mul_lo_u32 v9, v9, s10
	v_cmp_lt_u32_e32 vcc, s7, v2
	v_sub_u32_e32 v8, v8, v9
	v_add_u32_e32 v9, s9, v25
	v_add_u32_e32 v10, s11, v25
	v_cndmask_b32_e64 v2, 0, 1, vcc
	v_cmp_lt_u32_e32 vcc, s7, v3
	v_mul_lo_u32 v9, v9, s8
	v_mul_lo_u32 v10, v10, s10
	v_cndmask_b32_e64 v3, 0, 1, vcc
	v_cmp_lt_u32_e32 vcc, s7, v4
	v_sub_u32_e32 v9, v9, v10
	v_add_u32_e32 v10, s9, v22
	v_add_u32_e32 v11, s11, v22
	v_cndmask_b32_e64 v4, 0, 1, vcc
	v_cmp_lt_u32_e32 vcc, s7, v5
	v_mul_lo_u32 v10, v10, s8
	v_mul_lo_u32 v11, v11, s10
	v_cndmask_b32_e64 v5, 0, 1, vcc
	;; [unrolled: 9-line block ×4, first 2 shown]
	v_cmp_lt_u32_e32 vcc, s7, v10
	v_sub_u32_e32 v12, v12, v13
	v_add_u32_e32 v13, s9, v21
	v_add_u32_e32 v14, s11, v21
	v_lshlrev_b16_e32 v3, 8, v3
	v_cndmask_b32_e64 v10, 0, 1, vcc
	v_cmp_lt_u32_e32 vcc, s7, v11
	v_mul_lo_u32 v13, v13, s8
	v_mul_lo_u32 v14, v14, s10
	v_or_b32_e32 v2, v2, v3
	v_lshlrev_b16_e32 v3, 8, v5
	v_cndmask_b32_e64 v11, 0, 1, vcc
	v_cmp_lt_u32_e32 vcc, s7, v12
	v_sub_u32_e32 v13, v13, v14
	v_or_b32_sdwa v3, v4, v3 dst_sel:WORD_1 dst_unused:UNUSED_PAD src0_sel:DWORD src1_sel:DWORD
	v_cndmask_b32_e64 v12, 0, 1, vcc
	v_cmp_lt_u32_e32 vcc, s7, v13
	v_add_u32_e32 v14, s9, v32
	v_add_u32_e32 v15, s11, v32
	v_or_b32_sdwa v37, v2, v3 dst_sel:DWORD dst_unused:UNUSED_PAD src0_sel:WORD_0 src1_sel:DWORD
	v_lshlrev_b16_e32 v2, 8, v7
	v_lshlrev_b16_e32 v3, 8, v9
	v_cndmask_b32_e64 v13, 0, 1, vcc
	v_mul_lo_u32 v14, v14, s8
	v_mul_lo_u32 v15, v15, s10
	v_or_b32_e32 v2, v6, v2
	v_or_b32_sdwa v3, v8, v3 dst_sel:WORD_1 dst_unused:UNUSED_PAD src0_sel:DWORD src1_sel:DWORD
	v_sub_u32_e32 v14, v14, v15
	v_or_b32_sdwa v36, v2, v3 dst_sel:DWORD dst_unused:UNUSED_PAD src0_sel:WORD_0 src1_sel:DWORD
	v_lshlrev_b16_e32 v2, 8, v11
	v_lshlrev_b16_e32 v3, 8, v13
	v_cmp_lt_u32_e32 vcc, s7, v14
	v_or_b32_e32 v2, v10, v2
	v_or_b32_sdwa v3, v12, v3 dst_sel:WORD_1 dst_unused:UNUSED_PAD src0_sel:DWORD src1_sel:DWORD
	v_cndmask_b32_e64 v34, 0, 1, vcc
	v_or_b32_sdwa v35, v2, v3 dst_sel:DWORD dst_unused:UNUSED_PAD src0_sel:WORD_0 src1_sel:DWORD
	s_mov_b64 s[2:3], 0
	s_branch .LBB1603_7
.LBB1603_6:
	s_mov_b64 s[2:3], -1
                                        ; implicit-def: $vgpr34
                                        ; implicit-def: $vgpr35
                                        ; implicit-def: $vgpr36
                                        ; implicit-def: $vgpr37
.LBB1603_7:
	s_load_dwordx2 s[24:25], s[4:5], 0x28
	s_load_dwordx2 s[34:35], s[4:5], 0x68
	s_andn2_b64 vcc, exec, s[2:3]
	s_addk_i32 s33, 0xd00
	s_cbranch_vccnz .LBB1603_35
; %bb.8:
	v_cmp_gt_u32_e32 vcc, s33, v33
	v_mov_b32_e32 v3, 0
	v_mov_b32_e32 v2, 0
	s_and_saveexec_b64 s[2:3], vcc
; %bb.9:
	v_add_u32_e32 v2, s9, v30
	v_add_u32_e32 v4, s11, v30
	v_mul_lo_u32 v2, v2, s8
	v_mul_lo_u32 v4, v4, s10
	v_sub_u32_e32 v2, v2, v4
	v_cmp_lt_u32_e32 vcc, s7, v2
	v_cndmask_b32_e64 v2, 0, 1, vcc
; %bb.10:
	s_or_b64 exec, exec, s[2:3]
	v_add_u32_e32 v4, 1, v33
	v_cmp_gt_u32_e32 vcc, s33, v4
	s_and_saveexec_b64 s[2:3], vcc
; %bb.11:
	v_add_u32_e32 v3, s9, v31
	v_add_u32_e32 v4, s11, v31
	v_mul_lo_u32 v3, v3, s8
	v_mul_lo_u32 v4, v4, s10
	v_sub_u32_e32 v3, v3, v4
	v_cmp_lt_u32_e32 vcc, s7, v3
	v_cndmask_b32_e64 v3, 0, 1, vcc
; %bb.12:
	s_or_b64 exec, exec, s[2:3]
	v_add_u32_e32 v4, 2, v33
	v_cmp_gt_u32_e32 vcc, s33, v4
	v_mov_b32_e32 v5, 0
	v_mov_b32_e32 v4, 0
	s_and_saveexec_b64 s[2:3], vcc
; %bb.13:
	v_add_u32_e32 v4, s9, v28
	v_add_u32_e32 v6, s11, v28
	v_mul_lo_u32 v4, v4, s8
	v_mul_lo_u32 v6, v6, s10
	v_sub_u32_e32 v4, v4, v6
	v_cmp_lt_u32_e32 vcc, s7, v4
	v_cndmask_b32_e64 v4, 0, 1, vcc
; %bb.14:
	s_or_b64 exec, exec, s[2:3]
	v_add_u32_e32 v6, 3, v33
	v_cmp_gt_u32_e32 vcc, s33, v6
	s_and_saveexec_b64 s[2:3], vcc
; %bb.15:
	v_add_u32_e32 v5, s9, v29
	v_add_u32_e32 v6, s11, v29
	v_mul_lo_u32 v5, v5, s8
	v_mul_lo_u32 v6, v6, s10
	v_sub_u32_e32 v5, v5, v6
	v_cmp_lt_u32_e32 vcc, s7, v5
	v_cndmask_b32_e64 v5, 0, 1, vcc
; %bb.16:
	s_or_b64 exec, exec, s[2:3]
	v_add_u32_e32 v6, 4, v33
	v_cmp_gt_u32_e32 vcc, s33, v6
	v_mov_b32_e32 v7, 0
	v_mov_b32_e32 v6, 0
	s_and_saveexec_b64 s[2:3], vcc
; %bb.17:
	v_add_u32_e32 v6, s9, v26
	v_add_u32_e32 v8, s11, v26
	v_mul_lo_u32 v6, v6, s8
	v_mul_lo_u32 v8, v8, s10
	v_sub_u32_e32 v6, v6, v8
	v_cmp_lt_u32_e32 vcc, s7, v6
	v_cndmask_b32_e64 v6, 0, 1, vcc
; %bb.18:
	s_or_b64 exec, exec, s[2:3]
	v_add_u32_e32 v8, 5, v33
	v_cmp_gt_u32_e32 vcc, s33, v8
	s_and_saveexec_b64 s[2:3], vcc
; %bb.19:
	v_add_u32_e32 v7, s9, v27
	v_add_u32_e32 v8, s11, v27
	v_mul_lo_u32 v7, v7, s8
	v_mul_lo_u32 v8, v8, s10
	v_sub_u32_e32 v7, v7, v8
	v_cmp_lt_u32_e32 vcc, s7, v7
	v_cndmask_b32_e64 v7, 0, 1, vcc
; %bb.20:
	s_or_b64 exec, exec, s[2:3]
	v_add_u32_e32 v8, 6, v33
	v_cmp_gt_u32_e32 vcc, s33, v8
	v_mov_b32_e32 v9, 0
	v_mov_b32_e32 v8, 0
	s_and_saveexec_b64 s[2:3], vcc
; %bb.21:
	v_add_u32_e32 v8, s9, v24
	v_add_u32_e32 v10, s11, v24
	v_mul_lo_u32 v8, v8, s8
	v_mul_lo_u32 v10, v10, s10
	v_sub_u32_e32 v8, v8, v10
	v_cmp_lt_u32_e32 vcc, s7, v8
	v_cndmask_b32_e64 v8, 0, 1, vcc
; %bb.22:
	s_or_b64 exec, exec, s[2:3]
	v_add_u32_e32 v10, 7, v33
	v_cmp_gt_u32_e32 vcc, s33, v10
	s_and_saveexec_b64 s[2:3], vcc
; %bb.23:
	v_add_u32_e32 v9, s9, v25
	v_add_u32_e32 v10, s11, v25
	v_mul_lo_u32 v9, v9, s8
	v_mul_lo_u32 v10, v10, s10
	v_sub_u32_e32 v9, v9, v10
	v_cmp_lt_u32_e32 vcc, s7, v9
	v_cndmask_b32_e64 v9, 0, 1, vcc
; %bb.24:
	s_or_b64 exec, exec, s[2:3]
	v_add_u32_e32 v10, 8, v33
	v_cmp_gt_u32_e32 vcc, s33, v10
	v_mov_b32_e32 v11, 0
	v_mov_b32_e32 v10, 0
	s_and_saveexec_b64 s[2:3], vcc
; %bb.25:
	v_add_u32_e32 v10, s9, v22
	v_add_u32_e32 v12, s11, v22
	v_mul_lo_u32 v10, v10, s8
	v_mul_lo_u32 v12, v12, s10
	v_sub_u32_e32 v10, v10, v12
	v_cmp_lt_u32_e32 vcc, s7, v10
	v_cndmask_b32_e64 v10, 0, 1, vcc
; %bb.26:
	s_or_b64 exec, exec, s[2:3]
	v_add_u32_e32 v12, 9, v33
	v_cmp_gt_u32_e32 vcc, s33, v12
	s_and_saveexec_b64 s[2:3], vcc
; %bb.27:
	v_add_u32_e32 v11, s9, v23
	v_add_u32_e32 v12, s11, v23
	v_mul_lo_u32 v11, v11, s8
	v_mul_lo_u32 v12, v12, s10
	v_sub_u32_e32 v11, v11, v12
	v_cmp_lt_u32_e32 vcc, s7, v11
	v_cndmask_b32_e64 v11, 0, 1, vcc
; %bb.28:
	s_or_b64 exec, exec, s[2:3]
	v_add_u32_e32 v12, 10, v33
	v_cmp_gt_u32_e32 vcc, s33, v12
	v_mov_b32_e32 v13, 0
	v_mov_b32_e32 v12, 0
	s_and_saveexec_b64 s[2:3], vcc
; %bb.29:
	v_add_u32_e32 v12, s9, v20
	v_add_u32_e32 v14, s11, v20
	v_mul_lo_u32 v12, v12, s8
	v_mul_lo_u32 v14, v14, s10
	v_sub_u32_e32 v12, v12, v14
	v_cmp_lt_u32_e32 vcc, s7, v12
	v_cndmask_b32_e64 v12, 0, 1, vcc
; %bb.30:
	s_or_b64 exec, exec, s[2:3]
	v_add_u32_e32 v14, 11, v33
	v_cmp_gt_u32_e32 vcc, s33, v14
	s_and_saveexec_b64 s[2:3], vcc
; %bb.31:
	v_add_u32_e32 v13, s9, v21
	v_add_u32_e32 v14, s11, v21
	v_mul_lo_u32 v13, v13, s8
	v_mul_lo_u32 v14, v14, s10
	v_sub_u32_e32 v13, v13, v14
	v_cmp_lt_u32_e32 vcc, s7, v13
	v_cndmask_b32_e64 v13, 0, 1, vcc
; %bb.32:
	s_or_b64 exec, exec, s[2:3]
	v_add_u32_e32 v14, 12, v33
	v_cmp_gt_u32_e32 vcc, s33, v14
	v_mov_b32_e32 v34, 0
	s_and_saveexec_b64 s[2:3], vcc
; %bb.33:
	v_add_u32_e32 v14, s9, v32
	v_add_u32_e32 v15, s11, v32
	v_mul_lo_u32 v14, v14, s8
	v_mul_lo_u32 v15, v15, s10
	v_sub_u32_e32 v14, v14, v15
	v_cmp_lt_u32_e32 vcc, s7, v14
	v_cndmask_b32_e64 v34, 0, 1, vcc
; %bb.34:
	s_or_b64 exec, exec, s[2:3]
	v_lshlrev_b16_e32 v3, 8, v3
	v_or_b32_e32 v2, v2, v3
	v_lshlrev_b16_e32 v3, 8, v5
	v_or_b32_sdwa v3, v4, v3 dst_sel:WORD_1 dst_unused:UNUSED_PAD src0_sel:DWORD src1_sel:DWORD
	v_or_b32_sdwa v37, v2, v3 dst_sel:DWORD dst_unused:UNUSED_PAD src0_sel:WORD_0 src1_sel:DWORD
	v_lshlrev_b16_e32 v2, 8, v7
	v_lshlrev_b16_e32 v3, 8, v9
	v_or_b32_e32 v2, v6, v2
	v_or_b32_sdwa v3, v8, v3 dst_sel:WORD_1 dst_unused:UNUSED_PAD src0_sel:DWORD src1_sel:DWORD
	v_or_b32_sdwa v36, v2, v3 dst_sel:DWORD dst_unused:UNUSED_PAD src0_sel:WORD_0 src1_sel:DWORD
	v_lshlrev_b16_e32 v2, 8, v11
	v_lshlrev_b16_e32 v3, 8, v13
	v_or_b32_e32 v2, v10, v2
	v_or_b32_sdwa v3, v12, v3 dst_sel:WORD_1 dst_unused:UNUSED_PAD src0_sel:DWORD src1_sel:DWORD
	v_or_b32_sdwa v35, v2, v3 dst_sel:DWORD dst_unused:UNUSED_PAD src0_sel:WORD_0 src1_sel:DWORD
.LBB1603_35:
	v_and_b32_e32 v41, 0xff, v37
	v_bfe_u32 v42, v37, 8, 8
	v_bfe_u32 v43, v37, 16, 8
	v_lshrrev_b32_e32 v40, 24, v37
	v_and_b32_e32 v44, 0xff, v36
	v_add3_u32 v3, v42, v41, v43
	v_bfe_u32 v45, v36, 8, 8
	v_bfe_u32 v46, v36, 16, 8
	v_add3_u32 v3, v3, v40, v44
	v_lshrrev_b32_e32 v39, 24, v36
	v_and_b32_e32 v47, 0xff, v35
	v_add3_u32 v3, v3, v45, v46
	v_bfe_u32 v48, v35, 8, 8
	v_bfe_u32 v49, v35, 16, 8
	v_add3_u32 v3, v3, v39, v47
	v_lshrrev_b32_e32 v38, 24, v35
	v_and_b32_e32 v2, 0xff, v34
	v_add3_u32 v3, v3, v48, v49
	v_add3_u32 v52, v3, v38, v2
	v_mbcnt_lo_u32_b32 v2, -1, 0
	v_mbcnt_hi_u32_b32 v50, -1, v2
	v_and_b32_e32 v2, 15, v50
	v_cmp_eq_u32_e64 s[14:15], 0, v2
	v_cmp_lt_u32_e64 s[12:13], 1, v2
	v_cmp_lt_u32_e64 s[10:11], 3, v2
	;; [unrolled: 1-line block ×3, first 2 shown]
	v_and_b32_e32 v2, 16, v50
	v_cmp_eq_u32_e64 s[18:19], 0, v2
	v_or_b32_e32 v2, 63, v0
	s_cmp_lg_u32 s6, 0
	v_cmp_lt_u32_e64 s[2:3], 31, v50
	v_lshrrev_b32_e32 v51, 6, v0
	v_cmp_eq_u32_e64 s[4:5], v2, v0
	s_cbranch_scc0 .LBB1603_62
; %bb.36:
	v_mov_b32_dpp v2, v52 row_shr:1 row_mask:0xf bank_mask:0xf
	v_cndmask_b32_e64 v2, v2, 0, s[14:15]
	v_add_u32_e32 v2, v2, v52
	s_nop 1
	v_mov_b32_dpp v3, v2 row_shr:2 row_mask:0xf bank_mask:0xf
	v_cndmask_b32_e64 v3, 0, v3, s[12:13]
	v_add_u32_e32 v2, v2, v3
	s_nop 1
	;; [unrolled: 4-line block ×4, first 2 shown]
	v_mov_b32_dpp v3, v2 row_bcast:15 row_mask:0xf bank_mask:0xf
	v_cndmask_b32_e64 v3, v3, 0, s[18:19]
	v_add_u32_e32 v2, v2, v3
	s_nop 1
	v_mov_b32_dpp v3, v2 row_bcast:31 row_mask:0xf bank_mask:0xf
	v_cndmask_b32_e64 v3, 0, v3, s[2:3]
	v_add_u32_e32 v2, v2, v3
	s_and_saveexec_b64 s[16:17], s[4:5]
	s_cbranch_execz .LBB1603_38
; %bb.37:
	v_lshlrev_b32_e32 v3, 2, v51
	ds_write_b32 v3, v2
.LBB1603_38:
	s_or_b64 exec, exec, s[16:17]
	v_cmp_gt_u32_e32 vcc, 4, v0
	s_waitcnt lgkmcnt(0)
	s_barrier
	s_and_saveexec_b64 s[16:17], vcc
	s_cbranch_execz .LBB1603_40
; %bb.39:
	ds_read_b32 v3, v1
	v_and_b32_e32 v4, 3, v50
	v_cmp_ne_u32_e32 vcc, 0, v4
	s_waitcnt lgkmcnt(0)
	v_mov_b32_dpp v5, v3 row_shr:1 row_mask:0xf bank_mask:0xf
	v_cndmask_b32_e32 v5, 0, v5, vcc
	v_add_u32_e32 v3, v5, v3
	v_cmp_lt_u32_e32 vcc, 1, v4
	s_nop 0
	v_mov_b32_dpp v5, v3 row_shr:2 row_mask:0xf bank_mask:0xf
	v_cndmask_b32_e32 v4, 0, v5, vcc
	v_add_u32_e32 v3, v3, v4
	ds_write_b32 v1, v3
.LBB1603_40:
	s_or_b64 exec, exec, s[16:17]
	v_cmp_gt_u32_e32 vcc, 64, v0
	v_cmp_lt_u32_e64 s[16:17], 63, v0
	s_waitcnt lgkmcnt(0)
	s_barrier
	s_waitcnt lgkmcnt(0)
                                        ; implicit-def: $vgpr12
	s_and_saveexec_b64 s[36:37], s[16:17]
	s_cbranch_execz .LBB1603_42
; %bb.41:
	v_lshl_add_u32 v3, v51, 2, -4
	ds_read_b32 v12, v3
	s_waitcnt lgkmcnt(0)
	v_add_u32_e32 v2, v12, v2
.LBB1603_42:
	s_or_b64 exec, exec, s[36:37]
	v_add_u32_e32 v3, -1, v50
	v_and_b32_e32 v4, 64, v50
	v_cmp_lt_i32_e64 s[16:17], v3, v4
	v_cndmask_b32_e64 v3, v3, v50, s[16:17]
	v_lshlrev_b32_e32 v3, 2, v3
	ds_bpermute_b32 v13, v3, v2
	v_cmp_eq_u32_e64 s[16:17], 0, v50
	s_and_saveexec_b64 s[36:37], vcc
	s_cbranch_execz .LBB1603_61
; %bb.43:
	v_mov_b32_e32 v9, 0
	ds_read_b32 v2, v9 offset:12
	s_and_saveexec_b64 s[38:39], s[16:17]
	s_cbranch_execz .LBB1603_45
; %bb.44:
	s_add_i32 s40, s6, 64
	s_mov_b32 s41, 0
	s_lshl_b64 s[40:41], s[40:41], 3
	s_add_u32 s40, s34, s40
	v_mov_b32_e32 v3, 1
	s_addc_u32 s41, s35, s41
	s_waitcnt lgkmcnt(0)
	global_store_dwordx2 v9, v[2:3], s[40:41]
.LBB1603_45:
	s_or_b64 exec, exec, s[38:39]
	v_xad_u32 v4, v50, -1, s6
	v_add_u32_e32 v8, 64, v4
	v_lshlrev_b64 v[6:7], 3, v[8:9]
	v_mov_b32_e32 v3, s35
	v_add_co_u32_e32 v10, vcc, s34, v6
	v_addc_co_u32_e32 v11, vcc, v3, v7, vcc
	global_load_dwordx2 v[6:7], v[10:11], off glc
	s_waitcnt vmcnt(0)
	v_cmp_eq_u16_sdwa s[40:41], v7, v9 src0_sel:BYTE_0 src1_sel:DWORD
	s_and_saveexec_b64 s[38:39], s[40:41]
	s_cbranch_execz .LBB1603_49
; %bb.46:
	s_mov_b64 s[40:41], 0
	v_mov_b32_e32 v3, 0
.LBB1603_47:                            ; =>This Inner Loop Header: Depth=1
	global_load_dwordx2 v[6:7], v[10:11], off glc
	s_waitcnt vmcnt(0)
	v_cmp_ne_u16_sdwa s[44:45], v7, v3 src0_sel:BYTE_0 src1_sel:DWORD
	s_or_b64 s[40:41], s[44:45], s[40:41]
	s_andn2_b64 exec, exec, s[40:41]
	s_cbranch_execnz .LBB1603_47
; %bb.48:
	s_or_b64 exec, exec, s[40:41]
.LBB1603_49:
	s_or_b64 exec, exec, s[38:39]
	v_and_b32_e32 v14, 63, v50
	v_mov_b32_e32 v3, 2
	v_cmp_ne_u32_e32 vcc, 63, v14
	v_cmp_eq_u16_sdwa s[38:39], v7, v3 src0_sel:BYTE_0 src1_sel:DWORD
	v_lshlrev_b64 v[8:9], v50, -1
	v_addc_co_u32_e32 v11, vcc, 0, v50, vcc
	v_and_b32_e32 v5, s39, v9
	v_lshlrev_b32_e32 v15, 2, v11
	v_or_b32_e32 v5, 0x80000000, v5
	ds_bpermute_b32 v11, v15, v6
	v_and_b32_e32 v10, s38, v8
	v_ffbl_b32_e32 v5, v5
	v_add_u32_e32 v5, 32, v5
	v_ffbl_b32_e32 v10, v10
	v_min_u32_e32 v5, v10, v5
	v_cmp_lt_u32_e32 vcc, v14, v5
	s_waitcnt lgkmcnt(0)
	v_cndmask_b32_e32 v10, 0, v11, vcc
	v_cmp_gt_u32_e32 vcc, 62, v14
	v_add_u32_e32 v6, v10, v6
	v_cndmask_b32_e64 v10, 0, 1, vcc
	v_lshlrev_b32_e32 v10, 1, v10
	v_add_lshl_u32 v16, v10, v50, 2
	ds_bpermute_b32 v10, v16, v6
	v_add_u32_e32 v17, 2, v14
	v_cmp_le_u32_e32 vcc, v17, v5
	v_add_u32_e32 v19, 4, v14
	v_add_u32_e32 v54, 8, v14
	s_waitcnt lgkmcnt(0)
	v_cndmask_b32_e32 v10, 0, v10, vcc
	v_cmp_gt_u32_e32 vcc, 60, v14
	v_add_u32_e32 v6, v6, v10
	v_cndmask_b32_e64 v10, 0, 1, vcc
	v_lshlrev_b32_e32 v10, 2, v10
	v_add_lshl_u32 v18, v10, v50, 2
	ds_bpermute_b32 v10, v18, v6
	v_cmp_le_u32_e32 vcc, v19, v5
	v_add_u32_e32 v57, 16, v14
	v_add_u32_e32 v59, 32, v14
	s_waitcnt lgkmcnt(0)
	v_cndmask_b32_e32 v10, 0, v10, vcc
	v_cmp_gt_u32_e32 vcc, 56, v14
	v_add_u32_e32 v6, v6, v10
	v_cndmask_b32_e64 v10, 0, 1, vcc
	v_lshlrev_b32_e32 v10, 3, v10
	v_add_lshl_u32 v53, v10, v50, 2
	ds_bpermute_b32 v10, v53, v6
	v_cmp_le_u32_e32 vcc, v54, v5
	s_waitcnt lgkmcnt(0)
	v_cndmask_b32_e32 v10, 0, v10, vcc
	v_cmp_gt_u32_e32 vcc, 48, v14
	v_add_u32_e32 v6, v6, v10
	v_cndmask_b32_e64 v10, 0, 1, vcc
	v_lshlrev_b32_e32 v10, 4, v10
	v_add_lshl_u32 v56, v10, v50, 2
	ds_bpermute_b32 v10, v56, v6
	v_cmp_le_u32_e32 vcc, v57, v5
	;; [unrolled: 9-line block ×3, first 2 shown]
	s_waitcnt lgkmcnt(0)
	v_cndmask_b32_e32 v5, 0, v10, vcc
	v_add_u32_e32 v6, v6, v5
	v_mov_b32_e32 v5, 0
	s_branch .LBB1603_51
.LBB1603_50:                            ;   in Loop: Header=BB1603_51 Depth=1
	s_or_b64 exec, exec, s[38:39]
	v_cmp_eq_u16_sdwa s[38:39], v7, v3 src0_sel:BYTE_0 src1_sel:DWORD
	v_and_b32_e32 v10, s39, v9
	v_or_b32_e32 v10, 0x80000000, v10
	ds_bpermute_b32 v60, v15, v6
	v_and_b32_e32 v11, s38, v8
	v_ffbl_b32_e32 v10, v10
	v_add_u32_e32 v10, 32, v10
	v_ffbl_b32_e32 v11, v11
	v_min_u32_e32 v10, v11, v10
	v_cmp_lt_u32_e32 vcc, v14, v10
	s_waitcnt lgkmcnt(0)
	v_cndmask_b32_e32 v11, 0, v60, vcc
	v_add_u32_e32 v6, v11, v6
	ds_bpermute_b32 v11, v16, v6
	v_cmp_le_u32_e32 vcc, v17, v10
	v_subrev_u32_e32 v4, 64, v4
	s_waitcnt lgkmcnt(0)
	v_cndmask_b32_e32 v11, 0, v11, vcc
	v_add_u32_e32 v6, v6, v11
	ds_bpermute_b32 v11, v18, v6
	v_cmp_le_u32_e32 vcc, v19, v10
	s_waitcnt lgkmcnt(0)
	v_cndmask_b32_e32 v11, 0, v11, vcc
	v_add_u32_e32 v6, v6, v11
	ds_bpermute_b32 v11, v53, v6
	v_cmp_le_u32_e32 vcc, v54, v10
	;; [unrolled: 5-line block ×4, first 2 shown]
	s_waitcnt lgkmcnt(0)
	v_cndmask_b32_e32 v10, 0, v11, vcc
	v_add3_u32 v6, v10, v55, v6
.LBB1603_51:                            ; =>This Loop Header: Depth=1
                                        ;     Child Loop BB1603_54 Depth 2
	v_cmp_ne_u16_sdwa s[38:39], v7, v3 src0_sel:BYTE_0 src1_sel:DWORD
	v_cndmask_b32_e64 v7, 0, 1, s[38:39]
	;;#ASMSTART
	;;#ASMEND
	v_cmp_ne_u32_e32 vcc, 0, v7
	s_cmp_lg_u64 vcc, exec
	v_mov_b32_e32 v55, v6
	s_cbranch_scc1 .LBB1603_56
; %bb.52:                               ;   in Loop: Header=BB1603_51 Depth=1
	v_lshlrev_b64 v[6:7], 3, v[4:5]
	v_mov_b32_e32 v11, s35
	v_add_co_u32_e32 v10, vcc, s34, v6
	v_addc_co_u32_e32 v11, vcc, v11, v7, vcc
	global_load_dwordx2 v[6:7], v[10:11], off glc
	s_waitcnt vmcnt(0)
	v_cmp_eq_u16_sdwa s[40:41], v7, v5 src0_sel:BYTE_0 src1_sel:DWORD
	s_and_saveexec_b64 s[38:39], s[40:41]
	s_cbranch_execz .LBB1603_50
; %bb.53:                               ;   in Loop: Header=BB1603_51 Depth=1
	s_mov_b64 s[40:41], 0
.LBB1603_54:                            ;   Parent Loop BB1603_51 Depth=1
                                        ; =>  This Inner Loop Header: Depth=2
	global_load_dwordx2 v[6:7], v[10:11], off glc
	s_waitcnt vmcnt(0)
	v_cmp_ne_u16_sdwa s[44:45], v7, v5 src0_sel:BYTE_0 src1_sel:DWORD
	s_or_b64 s[40:41], s[44:45], s[40:41]
	s_andn2_b64 exec, exec, s[40:41]
	s_cbranch_execnz .LBB1603_54
; %bb.55:                               ;   in Loop: Header=BB1603_51 Depth=1
	s_or_b64 exec, exec, s[40:41]
	s_branch .LBB1603_50
.LBB1603_56:                            ;   in Loop: Header=BB1603_51 Depth=1
                                        ; implicit-def: $vgpr6
                                        ; implicit-def: $vgpr7
	s_cbranch_execz .LBB1603_51
; %bb.57:
	s_and_saveexec_b64 s[38:39], s[16:17]
	s_cbranch_execz .LBB1603_59
; %bb.58:
	s_add_i32 s6, s6, 64
	s_mov_b32 s7, 0
	s_lshl_b64 s[6:7], s[6:7], 3
	s_add_u32 s6, s34, s6
	v_add_u32_e32 v4, v55, v2
	v_mov_b32_e32 v5, 2
	s_addc_u32 s7, s35, s7
	v_mov_b32_e32 v3, 0
	global_store_dwordx2 v3, v[4:5], s[6:7]
	s_movk_i32 s6, 0x3400
	v_add_u32_e64 v3, s6, 0
	ds_write2_b32 v3, v2, v55 offset1:2
.LBB1603_59:
	s_or_b64 exec, exec, s[38:39]
	v_cmp_eq_u32_e32 vcc, 0, v0
	s_and_b64 exec, exec, vcc
	s_cbranch_execz .LBB1603_61
; %bb.60:
	v_mov_b32_e32 v2, 0
	ds_write_b32 v2, v55 offset:12
.LBB1603_61:
	s_or_b64 exec, exec, s[36:37]
	v_mov_b32_e32 v2, 0
	s_waitcnt lgkmcnt(0)
	s_barrier
	ds_read_b32 v2, v2 offset:12
	v_cndmask_b32_e64 v3, v13, v12, s[16:17]
	v_cmp_ne_u32_e32 vcc, 0, v0
	v_cndmask_b32_e32 v3, 0, v3, vcc
	s_movk_i32 s6, 0x3400
	s_waitcnt lgkmcnt(0)
	v_add_u32_e32 v2, v2, v3
	v_add_u32_e32 v3, v2, v41
	;; [unrolled: 1-line block ×8, first 2 shown]
	v_add_u32_e64 v12, s6, 0
	v_add_u32_e32 v10, v9, v39
	s_barrier
	ds_read2_b32 v[18:19], v12 offset1:2
	v_add_u32_e32 v11, v10, v47
	v_add_u32_e32 v12, v11, v48
	v_add_u32_e32 v13, v12, v49
	v_add_u32_e32 v14, v13, v38
	s_branch .LBB1603_72
.LBB1603_62:
                                        ; implicit-def: $vgpr19
                                        ; implicit-def: $vgpr2_vgpr3_vgpr4_vgpr5_vgpr6_vgpr7_vgpr8_vgpr9_vgpr10_vgpr11_vgpr12_vgpr13_vgpr14_vgpr15_vgpr16_vgpr17
	s_cbranch_execz .LBB1603_72
; %bb.63:
	s_nop 0
	v_mov_b32_dpp v2, v52 row_shr:1 row_mask:0xf bank_mask:0xf
	v_cndmask_b32_e64 v2, v2, 0, s[14:15]
	v_add_u32_e32 v2, v2, v52
	s_nop 1
	v_mov_b32_dpp v3, v2 row_shr:2 row_mask:0xf bank_mask:0xf
	v_cndmask_b32_e64 v3, 0, v3, s[12:13]
	v_add_u32_e32 v2, v2, v3
	;; [unrolled: 4-line block ×4, first 2 shown]
	s_nop 1
	v_mov_b32_dpp v3, v2 row_bcast:15 row_mask:0xf bank_mask:0xf
	v_cndmask_b32_e64 v3, v3, 0, s[18:19]
	v_add_u32_e32 v2, v2, v3
	s_nop 1
	v_mov_b32_dpp v3, v2 row_bcast:31 row_mask:0xf bank_mask:0xf
	v_cndmask_b32_e64 v3, 0, v3, s[2:3]
	v_add_u32_e32 v2, v2, v3
	s_and_saveexec_b64 s[2:3], s[4:5]
	s_cbranch_execz .LBB1603_65
; %bb.64:
	v_lshlrev_b32_e32 v3, 2, v51
	ds_write_b32 v3, v2
.LBB1603_65:
	s_or_b64 exec, exec, s[2:3]
	v_cmp_gt_u32_e32 vcc, 4, v0
	s_waitcnt lgkmcnt(0)
	s_barrier
	s_and_saveexec_b64 s[2:3], vcc
	s_cbranch_execz .LBB1603_67
; %bb.66:
	ds_read_b32 v3, v1
	v_and_b32_e32 v4, 3, v50
	v_cmp_ne_u32_e32 vcc, 0, v4
	s_waitcnt lgkmcnt(0)
	v_mov_b32_dpp v5, v3 row_shr:1 row_mask:0xf bank_mask:0xf
	v_cndmask_b32_e32 v5, 0, v5, vcc
	v_add_u32_e32 v3, v5, v3
	v_cmp_lt_u32_e32 vcc, 1, v4
	s_nop 0
	v_mov_b32_dpp v5, v3 row_shr:2 row_mask:0xf bank_mask:0xf
	v_cndmask_b32_e32 v4, 0, v5, vcc
	v_add_u32_e32 v3, v3, v4
	ds_write_b32 v1, v3
.LBB1603_67:
	s_or_b64 exec, exec, s[2:3]
	v_cmp_lt_u32_e32 vcc, 63, v0
	v_mov_b32_e32 v4, 0
	v_mov_b32_e32 v3, 0
	s_waitcnt lgkmcnt(0)
	s_barrier
	s_and_saveexec_b64 s[2:3], vcc
	s_cbranch_execz .LBB1603_69
; %bb.68:
	v_lshl_add_u32 v3, v51, 2, -4
	ds_read_b32 v3, v3
.LBB1603_69:
	s_or_b64 exec, exec, s[2:3]
	v_add_u32_e32 v5, -1, v50
	v_and_b32_e32 v6, 64, v50
	v_cmp_lt_i32_e32 vcc, v5, v6
	v_cndmask_b32_e32 v5, v5, v50, vcc
	s_waitcnt lgkmcnt(0)
	v_add_u32_e32 v2, v3, v2
	v_lshlrev_b32_e32 v5, 2, v5
	ds_bpermute_b32 v2, v5, v2
	ds_read_b32 v18, v4 offset:12
	v_cmp_eq_u32_e32 vcc, 0, v0
	s_and_saveexec_b64 s[2:3], vcc
	s_cbranch_execz .LBB1603_71
; %bb.70:
	v_mov_b32_e32 v4, 0
	v_mov_b32_e32 v19, 2
	s_waitcnt lgkmcnt(0)
	global_store_dwordx2 v4, v[18:19], s[34:35] offset:512
.LBB1603_71:
	s_or_b64 exec, exec, s[2:3]
	v_cmp_eq_u32_e64 s[2:3], 0, v50
	s_waitcnt lgkmcnt(1)
	v_cndmask_b32_e64 v2, v2, v3, s[2:3]
	v_cndmask_b32_e64 v2, v2, 0, vcc
	v_add_u32_e32 v3, v2, v41
	v_add_u32_e32 v4, v3, v42
	;; [unrolled: 1-line block ×11, first 2 shown]
	v_mov_b32_e32 v19, 0
	v_add_u32_e32 v14, v13, v38
	s_waitcnt lgkmcnt(0)
	s_barrier
.LBB1603_72:
	s_waitcnt lgkmcnt(0)
	v_add_u32_e32 v33, v18, v33
	v_sub_u32_e32 v2, v2, v19
	v_and_b32_e32 v42, 1, v37
	v_sub_u32_e32 v41, v33, v2
	v_cmp_eq_u32_e32 vcc, 1, v42
	v_cndmask_b32_e32 v2, v41, v2, vcc
	v_lshlrev_b32_e32 v2, 2, v2
	v_lshrrev_b32_e32 v17, 8, v37
	ds_write_b32 v2, v30
	v_sub_u32_e32 v2, v3, v19
	v_sub_u32_e32 v3, v33, v2
	v_and_b32_e32 v17, 1, v17
	v_add_u32_e32 v3, 1, v3
	v_cmp_eq_u32_e32 vcc, 1, v17
	v_cndmask_b32_e32 v2, v3, v2, vcc
	v_lshlrev_b32_e32 v2, 2, v2
	ds_write_b32 v2, v31
	v_sub_u32_e32 v2, v4, v19
	v_mov_b32_e32 v4, 1
	v_sub_u32_e32 v3, v33, v2
	v_and_b32_sdwa v17, v4, v37 dst_sel:DWORD dst_unused:UNUSED_PAD src0_sel:DWORD src1_sel:WORD_1
	v_add_u32_e32 v3, 2, v3
	v_cmp_eq_u32_e32 vcc, 1, v17
	v_cndmask_b32_e32 v2, v3, v2, vcc
	v_lshlrev_b32_e32 v2, 2, v2
	ds_write_b32 v2, v28
	v_sub_u32_e32 v2, v5, v19
	v_sub_u32_e32 v3, v33, v2
	v_and_b32_e32 v5, 1, v40
	v_add_u32_e32 v3, 3, v3
	v_cmp_eq_u32_e32 vcc, 1, v5
	v_cndmask_b32_e32 v2, v3, v2, vcc
	v_lshlrev_b32_e32 v2, 2, v2
	ds_write_b32 v2, v29
	v_sub_u32_e32 v2, v6, v19
	v_sub_u32_e32 v3, v33, v2
	v_and_b32_e32 v5, 1, v36
	v_add_u32_e32 v3, 4, v3
	v_cmp_eq_u32_e32 vcc, 1, v5
	v_cndmask_b32_e32 v2, v3, v2, vcc
	v_lshlrev_b32_e32 v2, 2, v2
	v_lshrrev_b32_e32 v16, 8, v36
	ds_write_b32 v2, v26
	v_sub_u32_e32 v2, v7, v19
	v_sub_u32_e32 v3, v33, v2
	v_and_b32_e32 v5, 1, v16
	v_add_u32_e32 v3, 5, v3
	v_cmp_eq_u32_e32 vcc, 1, v5
	v_cndmask_b32_e32 v2, v3, v2, vcc
	v_lshlrev_b32_e32 v2, 2, v2
	ds_write_b32 v2, v27
	v_sub_u32_e32 v2, v8, v19
	v_sub_u32_e32 v3, v33, v2
	v_and_b32_sdwa v5, v4, v36 dst_sel:DWORD dst_unused:UNUSED_PAD src0_sel:DWORD src1_sel:WORD_1
	v_add_u32_e32 v3, 6, v3
	v_cmp_eq_u32_e32 vcc, 1, v5
	v_cndmask_b32_e32 v2, v3, v2, vcc
	v_lshlrev_b32_e32 v2, 2, v2
	ds_write_b32 v2, v24
	v_sub_u32_e32 v2, v9, v19
	v_sub_u32_e32 v3, v33, v2
	v_and_b32_e32 v5, 1, v39
	v_add_u32_e32 v3, 7, v3
	v_cmp_eq_u32_e32 vcc, 1, v5
	v_cndmask_b32_e32 v2, v3, v2, vcc
	v_lshlrev_b32_e32 v2, 2, v2
	ds_write_b32 v2, v25
	v_sub_u32_e32 v2, v10, v19
	v_sub_u32_e32 v3, v33, v2
	v_and_b32_e32 v5, 1, v35
	v_add_u32_e32 v3, 8, v3
	v_cmp_eq_u32_e32 vcc, 1, v5
	v_cndmask_b32_e32 v2, v3, v2, vcc
	v_lshlrev_b32_e32 v2, 2, v2
	v_lshrrev_b32_e32 v15, 8, v35
	ds_write_b32 v2, v22
	v_sub_u32_e32 v2, v11, v19
	v_sub_u32_e32 v3, v33, v2
	v_and_b32_e32 v5, 1, v15
	v_add_u32_e32 v3, 9, v3
	v_cmp_eq_u32_e32 vcc, 1, v5
	v_cndmask_b32_e32 v2, v3, v2, vcc
	v_lshlrev_b32_e32 v2, 2, v2
	ds_write_b32 v2, v23
	v_sub_u32_e32 v2, v12, v19
	v_sub_u32_e32 v3, v33, v2
	v_and_b32_sdwa v4, v4, v35 dst_sel:DWORD dst_unused:UNUSED_PAD src0_sel:DWORD src1_sel:WORD_1
	v_add_u32_e32 v3, 10, v3
	v_cmp_eq_u32_e32 vcc, 1, v4
	v_cndmask_b32_e32 v2, v3, v2, vcc
	v_lshlrev_b32_e32 v2, 2, v2
	ds_write_b32 v2, v20
	v_sub_u32_e32 v2, v13, v19
	v_sub_u32_e32 v3, v33, v2
	v_and_b32_e32 v4, 1, v38
	v_add_u32_e32 v3, 11, v3
	v_cmp_eq_u32_e32 vcc, 1, v4
	v_cndmask_b32_e32 v2, v3, v2, vcc
	v_lshlrev_b32_e32 v2, 2, v2
	ds_write_b32 v2, v21
	v_sub_u32_e32 v2, v14, v19
	v_sub_u32_e32 v3, v33, v2
	v_and_b32_e32 v4, 1, v34
	v_add_u32_e32 v3, 12, v3
	v_cmp_eq_u32_e32 vcc, 1, v4
	v_cndmask_b32_e32 v2, v3, v2, vcc
	s_add_u32 s2, s28, s42
	v_lshlrev_b32_e32 v2, 2, v2
	s_addc_u32 s3, s29, 0
	ds_write_b32 v2, v32
	s_waitcnt lgkmcnt(0)
	s_barrier
	ds_read2st64_b32 v[12:13], v1 offset1:4
	ds_read2st64_b32 v[10:11], v1 offset0:8 offset1:12
	ds_read2st64_b32 v[8:9], v1 offset0:16 offset1:20
	;; [unrolled: 1-line block ×5, first 2 shown]
	ds_read_b32 v17, v1 offset:12288
	v_mov_b32_e32 v14, s31
	v_add_co_u32_e32 v1, vcc, s30, v19
	s_sub_u32 s2, s26, s2
	v_addc_co_u32_e32 v16, vcc, 0, v14, vcc
	s_subb_u32 s3, s27, s3
	v_mov_b32_e32 v14, s3
	v_add_co_u32_e32 v15, vcc, s2, v18
	v_addc_co_u32_e32 v14, vcc, 0, v14, vcc
	s_and_b64 vcc, exec, s[0:1]
	v_add_co_u32_e64 v19, s[0:1], v15, v1
	v_or_b32_e32 v32, 0x100, v0
	v_or_b32_e32 v31, 0x200, v0
	;; [unrolled: 1-line block ×12, first 2 shown]
	v_addc_co_u32_e64 v21, s[0:1], v14, v16, s[0:1]
	s_cbranch_vccnz .LBB1603_126
; %bb.73:
	v_cmp_ge_u32_e32 vcc, v0, v18
                                        ; implicit-def: $vgpr14_vgpr15
	s_and_saveexec_b64 s[0:1], vcc
	s_xor_b64 s[0:1], exec, s[0:1]
; %bb.74:
	v_not_b32_e32 v14, v0
	v_ashrrev_i32_e32 v15, 31, v14
	v_add_co_u32_e32 v14, vcc, v19, v14
	v_addc_co_u32_e32 v15, vcc, v21, v15, vcc
; %bb.75:
	s_andn2_saveexec_b64 s[0:1], s[0:1]
; %bb.76:
	v_add_co_u32_e32 v14, vcc, v1, v0
	v_addc_co_u32_e32 v15, vcc, 0, v16, vcc
; %bb.77:
	s_or_b64 exec, exec, s[0:1]
	v_lshlrev_b64 v[14:15], 2, v[14:15]
	v_mov_b32_e32 v33, s25
	v_add_co_u32_e32 v14, vcc, s24, v14
	v_addc_co_u32_e32 v15, vcc, v33, v15, vcc
	v_cmp_ge_u32_e32 vcc, v32, v18
	s_waitcnt lgkmcnt(6)
	global_store_dword v[14:15], v12, off
                                        ; implicit-def: $vgpr14_vgpr15
	s_and_saveexec_b64 s[0:1], vcc
	s_xor_b64 s[0:1], exec, s[0:1]
; %bb.78:
	v_xor_b32_e32 v14, 0xfffffeff, v0
	v_ashrrev_i32_e32 v15, 31, v14
	v_add_co_u32_e32 v14, vcc, v19, v14
	v_addc_co_u32_e32 v15, vcc, v21, v15, vcc
; %bb.79:
	s_andn2_saveexec_b64 s[0:1], s[0:1]
; %bb.80:
	v_add_co_u32_e32 v14, vcc, v1, v32
	v_addc_co_u32_e32 v15, vcc, 0, v16, vcc
; %bb.81:
	s_or_b64 exec, exec, s[0:1]
	v_lshlrev_b64 v[14:15], 2, v[14:15]
	v_mov_b32_e32 v33, s25
	v_add_co_u32_e32 v14, vcc, s24, v14
	v_addc_co_u32_e32 v15, vcc, v33, v15, vcc
	v_cmp_ge_u32_e32 vcc, v31, v18
	global_store_dword v[14:15], v13, off
                                        ; implicit-def: $vgpr14_vgpr15
	s_and_saveexec_b64 s[0:1], vcc
	s_xor_b64 s[0:1], exec, s[0:1]
; %bb.82:
	v_xor_b32_e32 v14, 0xfffffdff, v0
	v_ashrrev_i32_e32 v15, 31, v14
	v_add_co_u32_e32 v14, vcc, v19, v14
	v_addc_co_u32_e32 v15, vcc, v21, v15, vcc
; %bb.83:
	s_andn2_saveexec_b64 s[0:1], s[0:1]
; %bb.84:
	v_add_co_u32_e32 v14, vcc, v1, v31
	v_addc_co_u32_e32 v15, vcc, 0, v16, vcc
; %bb.85:
	s_or_b64 exec, exec, s[0:1]
	v_lshlrev_b64 v[14:15], 2, v[14:15]
	v_mov_b32_e32 v33, s25
	v_add_co_u32_e32 v14, vcc, s24, v14
	v_addc_co_u32_e32 v15, vcc, v33, v15, vcc
	v_cmp_ge_u32_e32 vcc, v30, v18
	s_waitcnt lgkmcnt(5)
	global_store_dword v[14:15], v10, off
                                        ; implicit-def: $vgpr14_vgpr15
	s_and_saveexec_b64 s[0:1], vcc
	s_xor_b64 s[0:1], exec, s[0:1]
; %bb.86:
	v_xor_b32_e32 v14, 0xfffffcff, v0
	v_ashrrev_i32_e32 v15, 31, v14
	v_add_co_u32_e32 v14, vcc, v19, v14
	v_addc_co_u32_e32 v15, vcc, v21, v15, vcc
; %bb.87:
	s_andn2_saveexec_b64 s[0:1], s[0:1]
; %bb.88:
	v_add_co_u32_e32 v14, vcc, v1, v30
	v_addc_co_u32_e32 v15, vcc, 0, v16, vcc
; %bb.89:
	s_or_b64 exec, exec, s[0:1]
	v_lshlrev_b64 v[14:15], 2, v[14:15]
	v_mov_b32_e32 v33, s25
	v_add_co_u32_e32 v14, vcc, s24, v14
	v_addc_co_u32_e32 v15, vcc, v33, v15, vcc
	v_cmp_ge_u32_e32 vcc, v29, v18
	global_store_dword v[14:15], v11, off
                                        ; implicit-def: $vgpr14_vgpr15
	s_and_saveexec_b64 s[0:1], vcc
	s_xor_b64 s[0:1], exec, s[0:1]
; %bb.90:
	v_xor_b32_e32 v14, 0xfffffbff, v0
	;; [unrolled: 43-line block ×6, first 2 shown]
	v_ashrrev_i32_e32 v15, 31, v14
	v_add_co_u32_e32 v14, vcc, v19, v14
	v_addc_co_u32_e32 v15, vcc, v21, v15, vcc
; %bb.123:
	s_andn2_saveexec_b64 s[0:1], s[0:1]
; %bb.124:
	v_add_co_u32_e32 v14, vcc, v1, v20
	v_addc_co_u32_e32 v15, vcc, 0, v16, vcc
; %bb.125:
	s_or_b64 exec, exec, s[0:1]
	s_mov_b64 s[0:1], -1
	s_branch .LBB1603_206
.LBB1603_126:
	s_mov_b64 s[0:1], 0
                                        ; implicit-def: $vgpr14_vgpr15
	s_cbranch_execz .LBB1603_206
; %bb.127:
	v_cmp_gt_u32_e32 vcc, s33, v0
	s_and_saveexec_b64 s[2:3], vcc
	s_cbranch_execz .LBB1603_163
; %bb.128:
	v_cmp_ge_u32_e32 vcc, v0, v18
                                        ; implicit-def: $vgpr14_vgpr15
	s_and_saveexec_b64 s[4:5], vcc
	s_xor_b64 s[4:5], exec, s[4:5]
; %bb.129:
	v_not_b32_e32 v14, v0
	v_ashrrev_i32_e32 v15, 31, v14
	v_add_co_u32_e32 v14, vcc, v19, v14
	v_addc_co_u32_e32 v15, vcc, v21, v15, vcc
; %bb.130:
	s_andn2_saveexec_b64 s[4:5], s[4:5]
; %bb.131:
	v_add_co_u32_e32 v14, vcc, v1, v0
	v_addc_co_u32_e32 v15, vcc, 0, v16, vcc
; %bb.132:
	s_or_b64 exec, exec, s[4:5]
	v_lshlrev_b64 v[14:15], 2, v[14:15]
	v_mov_b32_e32 v33, s25
	v_add_co_u32_e32 v14, vcc, s24, v14
	v_addc_co_u32_e32 v15, vcc, v33, v15, vcc
	s_waitcnt lgkmcnt(6)
	global_store_dword v[14:15], v12, off
	s_or_b64 exec, exec, s[2:3]
	v_cmp_gt_u32_e32 vcc, s33, v32
	s_and_saveexec_b64 s[2:3], vcc
	s_cbranch_execnz .LBB1603_164
.LBB1603_133:
	s_or_b64 exec, exec, s[2:3]
	v_cmp_gt_u32_e32 vcc, s33, v31
	s_and_saveexec_b64 s[2:3], vcc
	s_cbranch_execz .LBB1603_169
.LBB1603_134:
	v_cmp_ge_u32_e32 vcc, v31, v18
                                        ; implicit-def: $vgpr12_vgpr13
	s_and_saveexec_b64 s[4:5], vcc
	s_xor_b64 s[4:5], exec, s[4:5]
	s_cbranch_execz .LBB1603_136
; %bb.135:
	s_waitcnt lgkmcnt(6)
	v_xor_b32_e32 v12, 0xfffffdff, v0
	v_ashrrev_i32_e32 v13, 31, v12
	v_add_co_u32_e32 v12, vcc, v19, v12
	v_addc_co_u32_e32 v13, vcc, v21, v13, vcc
                                        ; implicit-def: $vgpr31
.LBB1603_136:
	s_andn2_saveexec_b64 s[4:5], s[4:5]
	s_cbranch_execz .LBB1603_138
; %bb.137:
	s_waitcnt lgkmcnt(6)
	v_add_co_u32_e32 v12, vcc, v1, v31
	v_addc_co_u32_e32 v13, vcc, 0, v16, vcc
.LBB1603_138:
	s_or_b64 exec, exec, s[4:5]
	s_waitcnt lgkmcnt(6)
	v_lshlrev_b64 v[12:13], 2, v[12:13]
	v_mov_b32_e32 v14, s25
	v_add_co_u32_e32 v12, vcc, s24, v12
	v_addc_co_u32_e32 v13, vcc, v14, v13, vcc
	s_waitcnt lgkmcnt(5)
	global_store_dword v[12:13], v10, off
	s_or_b64 exec, exec, s[2:3]
	v_cmp_gt_u32_e32 vcc, s33, v30
	s_and_saveexec_b64 s[2:3], vcc
	s_cbranch_execnz .LBB1603_170
.LBB1603_139:
	s_or_b64 exec, exec, s[2:3]
	v_cmp_gt_u32_e32 vcc, s33, v29
	s_and_saveexec_b64 s[2:3], vcc
	s_cbranch_execz .LBB1603_175
.LBB1603_140:
	v_cmp_ge_u32_e32 vcc, v29, v18
                                        ; implicit-def: $vgpr10_vgpr11
	s_and_saveexec_b64 s[4:5], vcc
	s_xor_b64 s[4:5], exec, s[4:5]
	s_cbranch_execz .LBB1603_142
; %bb.141:
	s_waitcnt lgkmcnt(5)
	v_xor_b32_e32 v10, 0xfffffbff, v0
	v_ashrrev_i32_e32 v11, 31, v10
	v_add_co_u32_e32 v10, vcc, v19, v10
	v_addc_co_u32_e32 v11, vcc, v21, v11, vcc
                                        ; implicit-def: $vgpr29
.LBB1603_142:
	s_andn2_saveexec_b64 s[4:5], s[4:5]
	s_cbranch_execz .LBB1603_144
; %bb.143:
	s_waitcnt lgkmcnt(5)
	v_add_co_u32_e32 v10, vcc, v1, v29
	v_addc_co_u32_e32 v11, vcc, 0, v16, vcc
.LBB1603_144:
	s_or_b64 exec, exec, s[4:5]
	s_waitcnt lgkmcnt(5)
	v_lshlrev_b64 v[10:11], 2, v[10:11]
	v_mov_b32_e32 v12, s25
	v_add_co_u32_e32 v10, vcc, s24, v10
	v_addc_co_u32_e32 v11, vcc, v12, v11, vcc
	s_waitcnt lgkmcnt(4)
	global_store_dword v[10:11], v8, off
	s_or_b64 exec, exec, s[2:3]
	v_cmp_gt_u32_e32 vcc, s33, v28
	s_and_saveexec_b64 s[2:3], vcc
	s_cbranch_execnz .LBB1603_176
.LBB1603_145:
	s_or_b64 exec, exec, s[2:3]
	v_cmp_gt_u32_e32 vcc, s33, v27
	s_and_saveexec_b64 s[2:3], vcc
	s_cbranch_execz .LBB1603_181
.LBB1603_146:
	v_cmp_ge_u32_e32 vcc, v27, v18
                                        ; implicit-def: $vgpr8_vgpr9
	s_and_saveexec_b64 s[4:5], vcc
	s_xor_b64 s[4:5], exec, s[4:5]
	s_cbranch_execz .LBB1603_148
; %bb.147:
	s_waitcnt lgkmcnt(4)
	v_xor_b32_e32 v8, 0xfffff9ff, v0
	v_ashrrev_i32_e32 v9, 31, v8
	v_add_co_u32_e32 v8, vcc, v19, v8
	v_addc_co_u32_e32 v9, vcc, v21, v9, vcc
                                        ; implicit-def: $vgpr27
.LBB1603_148:
	s_andn2_saveexec_b64 s[4:5], s[4:5]
	s_cbranch_execz .LBB1603_150
; %bb.149:
	s_waitcnt lgkmcnt(4)
	v_add_co_u32_e32 v8, vcc, v1, v27
	v_addc_co_u32_e32 v9, vcc, 0, v16, vcc
.LBB1603_150:
	s_or_b64 exec, exec, s[4:5]
	s_waitcnt lgkmcnt(4)
	v_lshlrev_b64 v[8:9], 2, v[8:9]
	v_mov_b32_e32 v10, s25
	v_add_co_u32_e32 v8, vcc, s24, v8
	v_addc_co_u32_e32 v9, vcc, v10, v9, vcc
	s_waitcnt lgkmcnt(3)
	global_store_dword v[8:9], v6, off
	s_or_b64 exec, exec, s[2:3]
	v_cmp_gt_u32_e32 vcc, s33, v26
	s_and_saveexec_b64 s[2:3], vcc
	s_cbranch_execnz .LBB1603_182
.LBB1603_151:
	s_or_b64 exec, exec, s[2:3]
	v_cmp_gt_u32_e32 vcc, s33, v25
	s_and_saveexec_b64 s[2:3], vcc
	s_cbranch_execz .LBB1603_187
.LBB1603_152:
	v_cmp_ge_u32_e32 vcc, v25, v18
                                        ; implicit-def: $vgpr6_vgpr7
	s_and_saveexec_b64 s[4:5], vcc
	s_xor_b64 s[4:5], exec, s[4:5]
	s_cbranch_execz .LBB1603_154
; %bb.153:
	s_waitcnt lgkmcnt(3)
	v_xor_b32_e32 v6, 0xfffff7ff, v0
	v_ashrrev_i32_e32 v7, 31, v6
	v_add_co_u32_e32 v6, vcc, v19, v6
	v_addc_co_u32_e32 v7, vcc, v21, v7, vcc
                                        ; implicit-def: $vgpr25
.LBB1603_154:
	s_andn2_saveexec_b64 s[4:5], s[4:5]
	s_cbranch_execz .LBB1603_156
; %bb.155:
	s_waitcnt lgkmcnt(3)
	v_add_co_u32_e32 v6, vcc, v1, v25
	v_addc_co_u32_e32 v7, vcc, 0, v16, vcc
.LBB1603_156:
	s_or_b64 exec, exec, s[4:5]
	s_waitcnt lgkmcnt(3)
	v_lshlrev_b64 v[6:7], 2, v[6:7]
	v_mov_b32_e32 v8, s25
	v_add_co_u32_e32 v6, vcc, s24, v6
	v_addc_co_u32_e32 v7, vcc, v8, v7, vcc
	s_waitcnt lgkmcnt(2)
	global_store_dword v[6:7], v4, off
	s_or_b64 exec, exec, s[2:3]
	v_cmp_gt_u32_e32 vcc, s33, v24
	s_and_saveexec_b64 s[2:3], vcc
	s_cbranch_execnz .LBB1603_188
.LBB1603_157:
	s_or_b64 exec, exec, s[2:3]
	v_cmp_gt_u32_e32 vcc, s33, v23
	s_and_saveexec_b64 s[2:3], vcc
	s_cbranch_execz .LBB1603_193
.LBB1603_158:
	v_cmp_ge_u32_e32 vcc, v23, v18
                                        ; implicit-def: $vgpr4_vgpr5
	s_and_saveexec_b64 s[4:5], vcc
	s_xor_b64 s[4:5], exec, s[4:5]
	s_cbranch_execz .LBB1603_160
; %bb.159:
	s_waitcnt lgkmcnt(2)
	v_xor_b32_e32 v4, 0xfffff5ff, v0
	v_ashrrev_i32_e32 v5, 31, v4
	v_add_co_u32_e32 v4, vcc, v19, v4
	v_addc_co_u32_e32 v5, vcc, v21, v5, vcc
                                        ; implicit-def: $vgpr23
.LBB1603_160:
	s_andn2_saveexec_b64 s[4:5], s[4:5]
	s_cbranch_execz .LBB1603_162
; %bb.161:
	s_waitcnt lgkmcnt(2)
	v_add_co_u32_e32 v4, vcc, v1, v23
	v_addc_co_u32_e32 v5, vcc, 0, v16, vcc
.LBB1603_162:
	s_or_b64 exec, exec, s[4:5]
	s_waitcnt lgkmcnt(2)
	v_lshlrev_b64 v[4:5], 2, v[4:5]
	v_mov_b32_e32 v6, s25
	v_add_co_u32_e32 v4, vcc, s24, v4
	v_addc_co_u32_e32 v5, vcc, v6, v5, vcc
	s_waitcnt lgkmcnt(1)
	global_store_dword v[4:5], v2, off
	s_or_b64 exec, exec, s[2:3]
	v_cmp_gt_u32_e32 vcc, s33, v22
	s_and_saveexec_b64 s[2:3], vcc
	s_cbranch_execz .LBB1603_199
	s_branch .LBB1603_194
.LBB1603_163:
	s_or_b64 exec, exec, s[2:3]
	v_cmp_gt_u32_e32 vcc, s33, v32
	s_and_saveexec_b64 s[2:3], vcc
	s_cbranch_execz .LBB1603_133
.LBB1603_164:
	v_cmp_ge_u32_e32 vcc, v32, v18
                                        ; implicit-def: $vgpr14_vgpr15
	s_and_saveexec_b64 s[4:5], vcc
	s_xor_b64 s[4:5], exec, s[4:5]
	s_cbranch_execz .LBB1603_166
; %bb.165:
	s_waitcnt lgkmcnt(6)
	v_xor_b32_e32 v12, 0xfffffeff, v0
	v_ashrrev_i32_e32 v15, 31, v12
	v_add_co_u32_e32 v14, vcc, v19, v12
	v_addc_co_u32_e32 v15, vcc, v21, v15, vcc
                                        ; implicit-def: $vgpr32
.LBB1603_166:
	s_andn2_saveexec_b64 s[4:5], s[4:5]
; %bb.167:
	v_add_co_u32_e32 v14, vcc, v1, v32
	v_addc_co_u32_e32 v15, vcc, 0, v16, vcc
; %bb.168:
	s_or_b64 exec, exec, s[4:5]
	v_lshlrev_b64 v[14:15], 2, v[14:15]
	s_waitcnt lgkmcnt(6)
	v_mov_b32_e32 v12, s25
	v_add_co_u32_e32 v14, vcc, s24, v14
	v_addc_co_u32_e32 v15, vcc, v12, v15, vcc
	global_store_dword v[14:15], v13, off
	s_or_b64 exec, exec, s[2:3]
	v_cmp_gt_u32_e32 vcc, s33, v31
	s_and_saveexec_b64 s[2:3], vcc
	s_cbranch_execnz .LBB1603_134
.LBB1603_169:
	s_or_b64 exec, exec, s[2:3]
	v_cmp_gt_u32_e32 vcc, s33, v30
	s_and_saveexec_b64 s[2:3], vcc
	s_cbranch_execz .LBB1603_139
.LBB1603_170:
	v_cmp_ge_u32_e32 vcc, v30, v18
                                        ; implicit-def: $vgpr12_vgpr13
	s_and_saveexec_b64 s[4:5], vcc
	s_xor_b64 s[4:5], exec, s[4:5]
	s_cbranch_execz .LBB1603_172
; %bb.171:
	s_waitcnt lgkmcnt(5)
	v_xor_b32_e32 v10, 0xfffffcff, v0
	v_ashrrev_i32_e32 v13, 31, v10
	v_add_co_u32_e32 v12, vcc, v19, v10
	v_addc_co_u32_e32 v13, vcc, v21, v13, vcc
                                        ; implicit-def: $vgpr30
.LBB1603_172:
	s_andn2_saveexec_b64 s[4:5], s[4:5]
	s_cbranch_execz .LBB1603_174
; %bb.173:
	s_waitcnt lgkmcnt(6)
	v_add_co_u32_e32 v12, vcc, v1, v30
	v_addc_co_u32_e32 v13, vcc, 0, v16, vcc
.LBB1603_174:
	s_or_b64 exec, exec, s[4:5]
	s_waitcnt lgkmcnt(6)
	v_lshlrev_b64 v[12:13], 2, v[12:13]
	s_waitcnt lgkmcnt(5)
	v_mov_b32_e32 v10, s25
	v_add_co_u32_e32 v12, vcc, s24, v12
	v_addc_co_u32_e32 v13, vcc, v10, v13, vcc
	global_store_dword v[12:13], v11, off
	s_or_b64 exec, exec, s[2:3]
	v_cmp_gt_u32_e32 vcc, s33, v29
	s_and_saveexec_b64 s[2:3], vcc
	s_cbranch_execnz .LBB1603_140
.LBB1603_175:
	s_or_b64 exec, exec, s[2:3]
	v_cmp_gt_u32_e32 vcc, s33, v28
	s_and_saveexec_b64 s[2:3], vcc
	s_cbranch_execz .LBB1603_145
.LBB1603_176:
	v_cmp_ge_u32_e32 vcc, v28, v18
                                        ; implicit-def: $vgpr10_vgpr11
	s_and_saveexec_b64 s[4:5], vcc
	s_xor_b64 s[4:5], exec, s[4:5]
	s_cbranch_execz .LBB1603_178
; %bb.177:
	s_waitcnt lgkmcnt(4)
	v_xor_b32_e32 v8, 0xfffffaff, v0
	v_ashrrev_i32_e32 v11, 31, v8
	v_add_co_u32_e32 v10, vcc, v19, v8
	v_addc_co_u32_e32 v11, vcc, v21, v11, vcc
                                        ; implicit-def: $vgpr28
.LBB1603_178:
	s_andn2_saveexec_b64 s[4:5], s[4:5]
	s_cbranch_execz .LBB1603_180
; %bb.179:
	s_waitcnt lgkmcnt(5)
	v_add_co_u32_e32 v10, vcc, v1, v28
	v_addc_co_u32_e32 v11, vcc, 0, v16, vcc
.LBB1603_180:
	s_or_b64 exec, exec, s[4:5]
	s_waitcnt lgkmcnt(5)
	v_lshlrev_b64 v[10:11], 2, v[10:11]
	s_waitcnt lgkmcnt(4)
	v_mov_b32_e32 v8, s25
	v_add_co_u32_e32 v10, vcc, s24, v10
	v_addc_co_u32_e32 v11, vcc, v8, v11, vcc
	global_store_dword v[10:11], v9, off
	s_or_b64 exec, exec, s[2:3]
	v_cmp_gt_u32_e32 vcc, s33, v27
	s_and_saveexec_b64 s[2:3], vcc
	s_cbranch_execnz .LBB1603_146
.LBB1603_181:
	s_or_b64 exec, exec, s[2:3]
	v_cmp_gt_u32_e32 vcc, s33, v26
	s_and_saveexec_b64 s[2:3], vcc
	s_cbranch_execz .LBB1603_151
.LBB1603_182:
	v_cmp_ge_u32_e32 vcc, v26, v18
                                        ; implicit-def: $vgpr8_vgpr9
	s_and_saveexec_b64 s[4:5], vcc
	s_xor_b64 s[4:5], exec, s[4:5]
	s_cbranch_execz .LBB1603_184
; %bb.183:
	s_waitcnt lgkmcnt(3)
	v_xor_b32_e32 v6, 0xfffff8ff, v0
	v_ashrrev_i32_e32 v9, 31, v6
	v_add_co_u32_e32 v8, vcc, v19, v6
	v_addc_co_u32_e32 v9, vcc, v21, v9, vcc
                                        ; implicit-def: $vgpr26
.LBB1603_184:
	s_andn2_saveexec_b64 s[4:5], s[4:5]
	s_cbranch_execz .LBB1603_186
; %bb.185:
	s_waitcnt lgkmcnt(4)
	v_add_co_u32_e32 v8, vcc, v1, v26
	v_addc_co_u32_e32 v9, vcc, 0, v16, vcc
.LBB1603_186:
	s_or_b64 exec, exec, s[4:5]
	s_waitcnt lgkmcnt(4)
	v_lshlrev_b64 v[8:9], 2, v[8:9]
	s_waitcnt lgkmcnt(3)
	v_mov_b32_e32 v6, s25
	v_add_co_u32_e32 v8, vcc, s24, v8
	v_addc_co_u32_e32 v9, vcc, v6, v9, vcc
	global_store_dword v[8:9], v7, off
	s_or_b64 exec, exec, s[2:3]
	v_cmp_gt_u32_e32 vcc, s33, v25
	s_and_saveexec_b64 s[2:3], vcc
	s_cbranch_execnz .LBB1603_152
.LBB1603_187:
	s_or_b64 exec, exec, s[2:3]
	v_cmp_gt_u32_e32 vcc, s33, v24
	s_and_saveexec_b64 s[2:3], vcc
	s_cbranch_execz .LBB1603_157
.LBB1603_188:
	v_cmp_ge_u32_e32 vcc, v24, v18
                                        ; implicit-def: $vgpr6_vgpr7
	s_and_saveexec_b64 s[4:5], vcc
	s_xor_b64 s[4:5], exec, s[4:5]
	s_cbranch_execz .LBB1603_190
; %bb.189:
	s_waitcnt lgkmcnt(2)
	v_xor_b32_e32 v4, 0xfffff6ff, v0
	v_ashrrev_i32_e32 v7, 31, v4
	v_add_co_u32_e32 v6, vcc, v19, v4
	v_addc_co_u32_e32 v7, vcc, v21, v7, vcc
                                        ; implicit-def: $vgpr24
.LBB1603_190:
	s_andn2_saveexec_b64 s[4:5], s[4:5]
	s_cbranch_execz .LBB1603_192
; %bb.191:
	s_waitcnt lgkmcnt(3)
	v_add_co_u32_e32 v6, vcc, v1, v24
	v_addc_co_u32_e32 v7, vcc, 0, v16, vcc
.LBB1603_192:
	s_or_b64 exec, exec, s[4:5]
	s_waitcnt lgkmcnt(3)
	v_lshlrev_b64 v[6:7], 2, v[6:7]
	s_waitcnt lgkmcnt(2)
	v_mov_b32_e32 v4, s25
	v_add_co_u32_e32 v6, vcc, s24, v6
	v_addc_co_u32_e32 v7, vcc, v4, v7, vcc
	global_store_dword v[6:7], v5, off
	s_or_b64 exec, exec, s[2:3]
	v_cmp_gt_u32_e32 vcc, s33, v23
	s_and_saveexec_b64 s[2:3], vcc
	s_cbranch_execnz .LBB1603_158
.LBB1603_193:
	s_or_b64 exec, exec, s[2:3]
	v_cmp_gt_u32_e32 vcc, s33, v22
	s_and_saveexec_b64 s[2:3], vcc
	s_cbranch_execz .LBB1603_199
.LBB1603_194:
	v_cmp_ge_u32_e32 vcc, v22, v18
                                        ; implicit-def: $vgpr4_vgpr5
	s_and_saveexec_b64 s[4:5], vcc
	s_xor_b64 s[4:5], exec, s[4:5]
	s_cbranch_execz .LBB1603_196
; %bb.195:
	s_waitcnt lgkmcnt(1)
	v_xor_b32_e32 v2, 0xfffff4ff, v0
	v_ashrrev_i32_e32 v5, 31, v2
	v_add_co_u32_e32 v4, vcc, v19, v2
	v_addc_co_u32_e32 v5, vcc, v21, v5, vcc
                                        ; implicit-def: $vgpr22
.LBB1603_196:
	s_andn2_saveexec_b64 s[4:5], s[4:5]
	s_cbranch_execz .LBB1603_198
; %bb.197:
	s_waitcnt lgkmcnt(2)
	v_add_co_u32_e32 v4, vcc, v1, v22
	v_addc_co_u32_e32 v5, vcc, 0, v16, vcc
.LBB1603_198:
	s_or_b64 exec, exec, s[4:5]
	s_waitcnt lgkmcnt(2)
	v_lshlrev_b64 v[4:5], 2, v[4:5]
	s_waitcnt lgkmcnt(1)
	v_mov_b32_e32 v2, s25
	v_add_co_u32_e32 v4, vcc, s24, v4
	v_addc_co_u32_e32 v5, vcc, v2, v5, vcc
	global_store_dword v[4:5], v3, off
.LBB1603_199:
	s_or_b64 exec, exec, s[2:3]
	v_cmp_gt_u32_e32 vcc, s33, v20
                                        ; implicit-def: $vgpr14_vgpr15
	s_and_saveexec_b64 s[2:3], vcc
	s_cbranch_execz .LBB1603_205
; %bb.200:
	v_cmp_ge_u32_e32 vcc, v20, v18
                                        ; implicit-def: $vgpr14_vgpr15
	s_and_saveexec_b64 s[4:5], vcc
	s_xor_b64 s[4:5], exec, s[4:5]
	s_cbranch_execz .LBB1603_202
; %bb.201:
	s_waitcnt lgkmcnt(1)
	v_xor_b32_e32 v2, 0xfffff3ff, v0
	v_ashrrev_i32_e32 v3, 31, v2
	v_add_co_u32_e32 v14, vcc, v19, v2
	v_addc_co_u32_e32 v15, vcc, v21, v3, vcc
                                        ; implicit-def: $vgpr20
.LBB1603_202:
	s_andn2_saveexec_b64 s[4:5], s[4:5]
; %bb.203:
	v_add_co_u32_e32 v14, vcc, v1, v20
	v_addc_co_u32_e32 v15, vcc, 0, v16, vcc
; %bb.204:
	s_or_b64 exec, exec, s[4:5]
	s_or_b64 s[0:1], s[0:1], exec
.LBB1603_205:
	s_or_b64 exec, exec, s[2:3]
.LBB1603_206:
	s_and_saveexec_b64 s[2:3], s[0:1]
	s_cbranch_execz .LBB1603_208
; %bb.207:
	s_waitcnt lgkmcnt(1)
	v_lshlrev_b64 v[2:3], 2, v[14:15]
	v_mov_b32_e32 v4, s25
	v_add_co_u32_e32 v2, vcc, s24, v2
	v_addc_co_u32_e32 v3, vcc, v4, v3, vcc
	s_waitcnt lgkmcnt(0)
	global_store_dword v[2:3], v17, off
.LBB1603_208:
	s_or_b64 exec, exec, s[2:3]
	v_cmp_eq_u32_e32 vcc, 0, v0
	s_and_b64 s[0:1], vcc, s[22:23]
	s_and_saveexec_b64 s[2:3], s[0:1]
	s_cbranch_execz .LBB1603_210
; %bb.209:
	v_add_co_u32_e32 v0, vcc, v1, v18
	s_waitcnt lgkmcnt(1)
	v_mov_b32_e32 v2, 0
	v_addc_co_u32_e32 v1, vcc, 0, v16, vcc
	global_store_dwordx2 v2, v[0:1], s[20:21]
.LBB1603_210:
	s_endpgm
	.section	.rodata,"a",@progbits
	.p2align	6, 0x0
	.amdhsa_kernel _ZN7rocprim17ROCPRIM_400000_NS6detail17trampoline_kernelINS0_13select_configILj256ELj13ELNS0_17block_load_methodE3ELS4_3ELS4_3ELNS0_20block_scan_algorithmE0ELj4294967295EEENS1_25partition_config_selectorILNS1_17partition_subalgoE3EjNS0_10empty_typeEbEEZZNS1_14partition_implILS8_3ELb0ES6_jNS0_17counting_iteratorIjlEEPS9_SE_NS0_5tupleIJPjSE_EEENSF_IJSE_SE_EEES9_SG_JZNS1_25segmented_radix_sort_implINS0_14default_configELb0EPKbPbPKlPlN2at6native12_GLOBAL__N_18offset_tEEE10hipError_tPvRmT1_PNSt15iterator_traitsISY_E10value_typeET2_T3_PNSZ_IS14_E10value_typeET4_jRbjT5_S1A_jjP12ihipStream_tbEUljE_EEESV_SW_SX_S14_S18_S1A_T6_T7_T9_mT8_S1C_bDpT10_ENKUlT_T0_E_clISt17integral_constantIbLb0EES1P_EEDaS1K_S1L_EUlS1K_E_NS1_11comp_targetILNS1_3genE4ELNS1_11target_archE910ELNS1_3gpuE8ELNS1_3repE0EEENS1_30default_config_static_selectorELNS0_4arch9wavefront6targetE1EEEvSY_
		.amdhsa_group_segment_fixed_size 13324
		.amdhsa_private_segment_fixed_size 0
		.amdhsa_kernarg_size 144
		.amdhsa_user_sgpr_count 6
		.amdhsa_user_sgpr_private_segment_buffer 1
		.amdhsa_user_sgpr_dispatch_ptr 0
		.amdhsa_user_sgpr_queue_ptr 0
		.amdhsa_user_sgpr_kernarg_segment_ptr 1
		.amdhsa_user_sgpr_dispatch_id 0
		.amdhsa_user_sgpr_flat_scratch_init 0
		.amdhsa_user_sgpr_kernarg_preload_length 0
		.amdhsa_user_sgpr_kernarg_preload_offset 0
		.amdhsa_user_sgpr_private_segment_size 0
		.amdhsa_uses_dynamic_stack 0
		.amdhsa_system_sgpr_private_segment_wavefront_offset 0
		.amdhsa_system_sgpr_workgroup_id_x 1
		.amdhsa_system_sgpr_workgroup_id_y 0
		.amdhsa_system_sgpr_workgroup_id_z 0
		.amdhsa_system_sgpr_workgroup_info 0
		.amdhsa_system_vgpr_workitem_id 0
		.amdhsa_next_free_vgpr 61
		.amdhsa_next_free_sgpr 46
		.amdhsa_accum_offset 64
		.amdhsa_reserve_vcc 1
		.amdhsa_reserve_flat_scratch 0
		.amdhsa_float_round_mode_32 0
		.amdhsa_float_round_mode_16_64 0
		.amdhsa_float_denorm_mode_32 3
		.amdhsa_float_denorm_mode_16_64 3
		.amdhsa_dx10_clamp 1
		.amdhsa_ieee_mode 1
		.amdhsa_fp16_overflow 0
		.amdhsa_tg_split 0
		.amdhsa_exception_fp_ieee_invalid_op 0
		.amdhsa_exception_fp_denorm_src 0
		.amdhsa_exception_fp_ieee_div_zero 0
		.amdhsa_exception_fp_ieee_overflow 0
		.amdhsa_exception_fp_ieee_underflow 0
		.amdhsa_exception_fp_ieee_inexact 0
		.amdhsa_exception_int_div_zero 0
	.end_amdhsa_kernel
	.section	.text._ZN7rocprim17ROCPRIM_400000_NS6detail17trampoline_kernelINS0_13select_configILj256ELj13ELNS0_17block_load_methodE3ELS4_3ELS4_3ELNS0_20block_scan_algorithmE0ELj4294967295EEENS1_25partition_config_selectorILNS1_17partition_subalgoE3EjNS0_10empty_typeEbEEZZNS1_14partition_implILS8_3ELb0ES6_jNS0_17counting_iteratorIjlEEPS9_SE_NS0_5tupleIJPjSE_EEENSF_IJSE_SE_EEES9_SG_JZNS1_25segmented_radix_sort_implINS0_14default_configELb0EPKbPbPKlPlN2at6native12_GLOBAL__N_18offset_tEEE10hipError_tPvRmT1_PNSt15iterator_traitsISY_E10value_typeET2_T3_PNSZ_IS14_E10value_typeET4_jRbjT5_S1A_jjP12ihipStream_tbEUljE_EEESV_SW_SX_S14_S18_S1A_T6_T7_T9_mT8_S1C_bDpT10_ENKUlT_T0_E_clISt17integral_constantIbLb0EES1P_EEDaS1K_S1L_EUlS1K_E_NS1_11comp_targetILNS1_3genE4ELNS1_11target_archE910ELNS1_3gpuE8ELNS1_3repE0EEENS1_30default_config_static_selectorELNS0_4arch9wavefront6targetE1EEEvSY_,"axG",@progbits,_ZN7rocprim17ROCPRIM_400000_NS6detail17trampoline_kernelINS0_13select_configILj256ELj13ELNS0_17block_load_methodE3ELS4_3ELS4_3ELNS0_20block_scan_algorithmE0ELj4294967295EEENS1_25partition_config_selectorILNS1_17partition_subalgoE3EjNS0_10empty_typeEbEEZZNS1_14partition_implILS8_3ELb0ES6_jNS0_17counting_iteratorIjlEEPS9_SE_NS0_5tupleIJPjSE_EEENSF_IJSE_SE_EEES9_SG_JZNS1_25segmented_radix_sort_implINS0_14default_configELb0EPKbPbPKlPlN2at6native12_GLOBAL__N_18offset_tEEE10hipError_tPvRmT1_PNSt15iterator_traitsISY_E10value_typeET2_T3_PNSZ_IS14_E10value_typeET4_jRbjT5_S1A_jjP12ihipStream_tbEUljE_EEESV_SW_SX_S14_S18_S1A_T6_T7_T9_mT8_S1C_bDpT10_ENKUlT_T0_E_clISt17integral_constantIbLb0EES1P_EEDaS1K_S1L_EUlS1K_E_NS1_11comp_targetILNS1_3genE4ELNS1_11target_archE910ELNS1_3gpuE8ELNS1_3repE0EEENS1_30default_config_static_selectorELNS0_4arch9wavefront6targetE1EEEvSY_,comdat
.Lfunc_end1603:
	.size	_ZN7rocprim17ROCPRIM_400000_NS6detail17trampoline_kernelINS0_13select_configILj256ELj13ELNS0_17block_load_methodE3ELS4_3ELS4_3ELNS0_20block_scan_algorithmE0ELj4294967295EEENS1_25partition_config_selectorILNS1_17partition_subalgoE3EjNS0_10empty_typeEbEEZZNS1_14partition_implILS8_3ELb0ES6_jNS0_17counting_iteratorIjlEEPS9_SE_NS0_5tupleIJPjSE_EEENSF_IJSE_SE_EEES9_SG_JZNS1_25segmented_radix_sort_implINS0_14default_configELb0EPKbPbPKlPlN2at6native12_GLOBAL__N_18offset_tEEE10hipError_tPvRmT1_PNSt15iterator_traitsISY_E10value_typeET2_T3_PNSZ_IS14_E10value_typeET4_jRbjT5_S1A_jjP12ihipStream_tbEUljE_EEESV_SW_SX_S14_S18_S1A_T6_T7_T9_mT8_S1C_bDpT10_ENKUlT_T0_E_clISt17integral_constantIbLb0EES1P_EEDaS1K_S1L_EUlS1K_E_NS1_11comp_targetILNS1_3genE4ELNS1_11target_archE910ELNS1_3gpuE8ELNS1_3repE0EEENS1_30default_config_static_selectorELNS0_4arch9wavefront6targetE1EEEvSY_, .Lfunc_end1603-_ZN7rocprim17ROCPRIM_400000_NS6detail17trampoline_kernelINS0_13select_configILj256ELj13ELNS0_17block_load_methodE3ELS4_3ELS4_3ELNS0_20block_scan_algorithmE0ELj4294967295EEENS1_25partition_config_selectorILNS1_17partition_subalgoE3EjNS0_10empty_typeEbEEZZNS1_14partition_implILS8_3ELb0ES6_jNS0_17counting_iteratorIjlEEPS9_SE_NS0_5tupleIJPjSE_EEENSF_IJSE_SE_EEES9_SG_JZNS1_25segmented_radix_sort_implINS0_14default_configELb0EPKbPbPKlPlN2at6native12_GLOBAL__N_18offset_tEEE10hipError_tPvRmT1_PNSt15iterator_traitsISY_E10value_typeET2_T3_PNSZ_IS14_E10value_typeET4_jRbjT5_S1A_jjP12ihipStream_tbEUljE_EEESV_SW_SX_S14_S18_S1A_T6_T7_T9_mT8_S1C_bDpT10_ENKUlT_T0_E_clISt17integral_constantIbLb0EES1P_EEDaS1K_S1L_EUlS1K_E_NS1_11comp_targetILNS1_3genE4ELNS1_11target_archE910ELNS1_3gpuE8ELNS1_3repE0EEENS1_30default_config_static_selectorELNS0_4arch9wavefront6targetE1EEEvSY_
                                        ; -- End function
	.section	.AMDGPU.csdata,"",@progbits
; Kernel info:
; codeLenInByte = 7676
; NumSgprs: 50
; NumVgprs: 61
; NumAgprs: 0
; TotalNumVgprs: 61
; ScratchSize: 0
; MemoryBound: 0
; FloatMode: 240
; IeeeMode: 1
; LDSByteSize: 13324 bytes/workgroup (compile time only)
; SGPRBlocks: 6
; VGPRBlocks: 7
; NumSGPRsForWavesPerEU: 50
; NumVGPRsForWavesPerEU: 61
; AccumOffset: 64
; Occupancy: 4
; WaveLimiterHint : 0
; COMPUTE_PGM_RSRC2:SCRATCH_EN: 0
; COMPUTE_PGM_RSRC2:USER_SGPR: 6
; COMPUTE_PGM_RSRC2:TRAP_HANDLER: 0
; COMPUTE_PGM_RSRC2:TGID_X_EN: 1
; COMPUTE_PGM_RSRC2:TGID_Y_EN: 0
; COMPUTE_PGM_RSRC2:TGID_Z_EN: 0
; COMPUTE_PGM_RSRC2:TIDIG_COMP_CNT: 0
; COMPUTE_PGM_RSRC3_GFX90A:ACCUM_OFFSET: 15
; COMPUTE_PGM_RSRC3_GFX90A:TG_SPLIT: 0
	.section	.text._ZN7rocprim17ROCPRIM_400000_NS6detail17trampoline_kernelINS0_13select_configILj256ELj13ELNS0_17block_load_methodE3ELS4_3ELS4_3ELNS0_20block_scan_algorithmE0ELj4294967295EEENS1_25partition_config_selectorILNS1_17partition_subalgoE3EjNS0_10empty_typeEbEEZZNS1_14partition_implILS8_3ELb0ES6_jNS0_17counting_iteratorIjlEEPS9_SE_NS0_5tupleIJPjSE_EEENSF_IJSE_SE_EEES9_SG_JZNS1_25segmented_radix_sort_implINS0_14default_configELb0EPKbPbPKlPlN2at6native12_GLOBAL__N_18offset_tEEE10hipError_tPvRmT1_PNSt15iterator_traitsISY_E10value_typeET2_T3_PNSZ_IS14_E10value_typeET4_jRbjT5_S1A_jjP12ihipStream_tbEUljE_EEESV_SW_SX_S14_S18_S1A_T6_T7_T9_mT8_S1C_bDpT10_ENKUlT_T0_E_clISt17integral_constantIbLb0EES1P_EEDaS1K_S1L_EUlS1K_E_NS1_11comp_targetILNS1_3genE3ELNS1_11target_archE908ELNS1_3gpuE7ELNS1_3repE0EEENS1_30default_config_static_selectorELNS0_4arch9wavefront6targetE1EEEvSY_,"axG",@progbits,_ZN7rocprim17ROCPRIM_400000_NS6detail17trampoline_kernelINS0_13select_configILj256ELj13ELNS0_17block_load_methodE3ELS4_3ELS4_3ELNS0_20block_scan_algorithmE0ELj4294967295EEENS1_25partition_config_selectorILNS1_17partition_subalgoE3EjNS0_10empty_typeEbEEZZNS1_14partition_implILS8_3ELb0ES6_jNS0_17counting_iteratorIjlEEPS9_SE_NS0_5tupleIJPjSE_EEENSF_IJSE_SE_EEES9_SG_JZNS1_25segmented_radix_sort_implINS0_14default_configELb0EPKbPbPKlPlN2at6native12_GLOBAL__N_18offset_tEEE10hipError_tPvRmT1_PNSt15iterator_traitsISY_E10value_typeET2_T3_PNSZ_IS14_E10value_typeET4_jRbjT5_S1A_jjP12ihipStream_tbEUljE_EEESV_SW_SX_S14_S18_S1A_T6_T7_T9_mT8_S1C_bDpT10_ENKUlT_T0_E_clISt17integral_constantIbLb0EES1P_EEDaS1K_S1L_EUlS1K_E_NS1_11comp_targetILNS1_3genE3ELNS1_11target_archE908ELNS1_3gpuE7ELNS1_3repE0EEENS1_30default_config_static_selectorELNS0_4arch9wavefront6targetE1EEEvSY_,comdat
	.globl	_ZN7rocprim17ROCPRIM_400000_NS6detail17trampoline_kernelINS0_13select_configILj256ELj13ELNS0_17block_load_methodE3ELS4_3ELS4_3ELNS0_20block_scan_algorithmE0ELj4294967295EEENS1_25partition_config_selectorILNS1_17partition_subalgoE3EjNS0_10empty_typeEbEEZZNS1_14partition_implILS8_3ELb0ES6_jNS0_17counting_iteratorIjlEEPS9_SE_NS0_5tupleIJPjSE_EEENSF_IJSE_SE_EEES9_SG_JZNS1_25segmented_radix_sort_implINS0_14default_configELb0EPKbPbPKlPlN2at6native12_GLOBAL__N_18offset_tEEE10hipError_tPvRmT1_PNSt15iterator_traitsISY_E10value_typeET2_T3_PNSZ_IS14_E10value_typeET4_jRbjT5_S1A_jjP12ihipStream_tbEUljE_EEESV_SW_SX_S14_S18_S1A_T6_T7_T9_mT8_S1C_bDpT10_ENKUlT_T0_E_clISt17integral_constantIbLb0EES1P_EEDaS1K_S1L_EUlS1K_E_NS1_11comp_targetILNS1_3genE3ELNS1_11target_archE908ELNS1_3gpuE7ELNS1_3repE0EEENS1_30default_config_static_selectorELNS0_4arch9wavefront6targetE1EEEvSY_ ; -- Begin function _ZN7rocprim17ROCPRIM_400000_NS6detail17trampoline_kernelINS0_13select_configILj256ELj13ELNS0_17block_load_methodE3ELS4_3ELS4_3ELNS0_20block_scan_algorithmE0ELj4294967295EEENS1_25partition_config_selectorILNS1_17partition_subalgoE3EjNS0_10empty_typeEbEEZZNS1_14partition_implILS8_3ELb0ES6_jNS0_17counting_iteratorIjlEEPS9_SE_NS0_5tupleIJPjSE_EEENSF_IJSE_SE_EEES9_SG_JZNS1_25segmented_radix_sort_implINS0_14default_configELb0EPKbPbPKlPlN2at6native12_GLOBAL__N_18offset_tEEE10hipError_tPvRmT1_PNSt15iterator_traitsISY_E10value_typeET2_T3_PNSZ_IS14_E10value_typeET4_jRbjT5_S1A_jjP12ihipStream_tbEUljE_EEESV_SW_SX_S14_S18_S1A_T6_T7_T9_mT8_S1C_bDpT10_ENKUlT_T0_E_clISt17integral_constantIbLb0EES1P_EEDaS1K_S1L_EUlS1K_E_NS1_11comp_targetILNS1_3genE3ELNS1_11target_archE908ELNS1_3gpuE7ELNS1_3repE0EEENS1_30default_config_static_selectorELNS0_4arch9wavefront6targetE1EEEvSY_
	.p2align	8
	.type	_ZN7rocprim17ROCPRIM_400000_NS6detail17trampoline_kernelINS0_13select_configILj256ELj13ELNS0_17block_load_methodE3ELS4_3ELS4_3ELNS0_20block_scan_algorithmE0ELj4294967295EEENS1_25partition_config_selectorILNS1_17partition_subalgoE3EjNS0_10empty_typeEbEEZZNS1_14partition_implILS8_3ELb0ES6_jNS0_17counting_iteratorIjlEEPS9_SE_NS0_5tupleIJPjSE_EEENSF_IJSE_SE_EEES9_SG_JZNS1_25segmented_radix_sort_implINS0_14default_configELb0EPKbPbPKlPlN2at6native12_GLOBAL__N_18offset_tEEE10hipError_tPvRmT1_PNSt15iterator_traitsISY_E10value_typeET2_T3_PNSZ_IS14_E10value_typeET4_jRbjT5_S1A_jjP12ihipStream_tbEUljE_EEESV_SW_SX_S14_S18_S1A_T6_T7_T9_mT8_S1C_bDpT10_ENKUlT_T0_E_clISt17integral_constantIbLb0EES1P_EEDaS1K_S1L_EUlS1K_E_NS1_11comp_targetILNS1_3genE3ELNS1_11target_archE908ELNS1_3gpuE7ELNS1_3repE0EEENS1_30default_config_static_selectorELNS0_4arch9wavefront6targetE1EEEvSY_,@function
_ZN7rocprim17ROCPRIM_400000_NS6detail17trampoline_kernelINS0_13select_configILj256ELj13ELNS0_17block_load_methodE3ELS4_3ELS4_3ELNS0_20block_scan_algorithmE0ELj4294967295EEENS1_25partition_config_selectorILNS1_17partition_subalgoE3EjNS0_10empty_typeEbEEZZNS1_14partition_implILS8_3ELb0ES6_jNS0_17counting_iteratorIjlEEPS9_SE_NS0_5tupleIJPjSE_EEENSF_IJSE_SE_EEES9_SG_JZNS1_25segmented_radix_sort_implINS0_14default_configELb0EPKbPbPKlPlN2at6native12_GLOBAL__N_18offset_tEEE10hipError_tPvRmT1_PNSt15iterator_traitsISY_E10value_typeET2_T3_PNSZ_IS14_E10value_typeET4_jRbjT5_S1A_jjP12ihipStream_tbEUljE_EEESV_SW_SX_S14_S18_S1A_T6_T7_T9_mT8_S1C_bDpT10_ENKUlT_T0_E_clISt17integral_constantIbLb0EES1P_EEDaS1K_S1L_EUlS1K_E_NS1_11comp_targetILNS1_3genE3ELNS1_11target_archE908ELNS1_3gpuE7ELNS1_3repE0EEENS1_30default_config_static_selectorELNS0_4arch9wavefront6targetE1EEEvSY_: ; @_ZN7rocprim17ROCPRIM_400000_NS6detail17trampoline_kernelINS0_13select_configILj256ELj13ELNS0_17block_load_methodE3ELS4_3ELS4_3ELNS0_20block_scan_algorithmE0ELj4294967295EEENS1_25partition_config_selectorILNS1_17partition_subalgoE3EjNS0_10empty_typeEbEEZZNS1_14partition_implILS8_3ELb0ES6_jNS0_17counting_iteratorIjlEEPS9_SE_NS0_5tupleIJPjSE_EEENSF_IJSE_SE_EEES9_SG_JZNS1_25segmented_radix_sort_implINS0_14default_configELb0EPKbPbPKlPlN2at6native12_GLOBAL__N_18offset_tEEE10hipError_tPvRmT1_PNSt15iterator_traitsISY_E10value_typeET2_T3_PNSZ_IS14_E10value_typeET4_jRbjT5_S1A_jjP12ihipStream_tbEUljE_EEESV_SW_SX_S14_S18_S1A_T6_T7_T9_mT8_S1C_bDpT10_ENKUlT_T0_E_clISt17integral_constantIbLb0EES1P_EEDaS1K_S1L_EUlS1K_E_NS1_11comp_targetILNS1_3genE3ELNS1_11target_archE908ELNS1_3gpuE7ELNS1_3repE0EEENS1_30default_config_static_selectorELNS0_4arch9wavefront6targetE1EEEvSY_
; %bb.0:
	.section	.rodata,"a",@progbits
	.p2align	6, 0x0
	.amdhsa_kernel _ZN7rocprim17ROCPRIM_400000_NS6detail17trampoline_kernelINS0_13select_configILj256ELj13ELNS0_17block_load_methodE3ELS4_3ELS4_3ELNS0_20block_scan_algorithmE0ELj4294967295EEENS1_25partition_config_selectorILNS1_17partition_subalgoE3EjNS0_10empty_typeEbEEZZNS1_14partition_implILS8_3ELb0ES6_jNS0_17counting_iteratorIjlEEPS9_SE_NS0_5tupleIJPjSE_EEENSF_IJSE_SE_EEES9_SG_JZNS1_25segmented_radix_sort_implINS0_14default_configELb0EPKbPbPKlPlN2at6native12_GLOBAL__N_18offset_tEEE10hipError_tPvRmT1_PNSt15iterator_traitsISY_E10value_typeET2_T3_PNSZ_IS14_E10value_typeET4_jRbjT5_S1A_jjP12ihipStream_tbEUljE_EEESV_SW_SX_S14_S18_S1A_T6_T7_T9_mT8_S1C_bDpT10_ENKUlT_T0_E_clISt17integral_constantIbLb0EES1P_EEDaS1K_S1L_EUlS1K_E_NS1_11comp_targetILNS1_3genE3ELNS1_11target_archE908ELNS1_3gpuE7ELNS1_3repE0EEENS1_30default_config_static_selectorELNS0_4arch9wavefront6targetE1EEEvSY_
		.amdhsa_group_segment_fixed_size 0
		.amdhsa_private_segment_fixed_size 0
		.amdhsa_kernarg_size 144
		.amdhsa_user_sgpr_count 6
		.amdhsa_user_sgpr_private_segment_buffer 1
		.amdhsa_user_sgpr_dispatch_ptr 0
		.amdhsa_user_sgpr_queue_ptr 0
		.amdhsa_user_sgpr_kernarg_segment_ptr 1
		.amdhsa_user_sgpr_dispatch_id 0
		.amdhsa_user_sgpr_flat_scratch_init 0
		.amdhsa_user_sgpr_kernarg_preload_length 0
		.amdhsa_user_sgpr_kernarg_preload_offset 0
		.amdhsa_user_sgpr_private_segment_size 0
		.amdhsa_uses_dynamic_stack 0
		.amdhsa_system_sgpr_private_segment_wavefront_offset 0
		.amdhsa_system_sgpr_workgroup_id_x 1
		.amdhsa_system_sgpr_workgroup_id_y 0
		.amdhsa_system_sgpr_workgroup_id_z 0
		.amdhsa_system_sgpr_workgroup_info 0
		.amdhsa_system_vgpr_workitem_id 0
		.amdhsa_next_free_vgpr 1
		.amdhsa_next_free_sgpr 0
		.amdhsa_accum_offset 4
		.amdhsa_reserve_vcc 0
		.amdhsa_reserve_flat_scratch 0
		.amdhsa_float_round_mode_32 0
		.amdhsa_float_round_mode_16_64 0
		.amdhsa_float_denorm_mode_32 3
		.amdhsa_float_denorm_mode_16_64 3
		.amdhsa_dx10_clamp 1
		.amdhsa_ieee_mode 1
		.amdhsa_fp16_overflow 0
		.amdhsa_tg_split 0
		.amdhsa_exception_fp_ieee_invalid_op 0
		.amdhsa_exception_fp_denorm_src 0
		.amdhsa_exception_fp_ieee_div_zero 0
		.amdhsa_exception_fp_ieee_overflow 0
		.amdhsa_exception_fp_ieee_underflow 0
		.amdhsa_exception_fp_ieee_inexact 0
		.amdhsa_exception_int_div_zero 0
	.end_amdhsa_kernel
	.section	.text._ZN7rocprim17ROCPRIM_400000_NS6detail17trampoline_kernelINS0_13select_configILj256ELj13ELNS0_17block_load_methodE3ELS4_3ELS4_3ELNS0_20block_scan_algorithmE0ELj4294967295EEENS1_25partition_config_selectorILNS1_17partition_subalgoE3EjNS0_10empty_typeEbEEZZNS1_14partition_implILS8_3ELb0ES6_jNS0_17counting_iteratorIjlEEPS9_SE_NS0_5tupleIJPjSE_EEENSF_IJSE_SE_EEES9_SG_JZNS1_25segmented_radix_sort_implINS0_14default_configELb0EPKbPbPKlPlN2at6native12_GLOBAL__N_18offset_tEEE10hipError_tPvRmT1_PNSt15iterator_traitsISY_E10value_typeET2_T3_PNSZ_IS14_E10value_typeET4_jRbjT5_S1A_jjP12ihipStream_tbEUljE_EEESV_SW_SX_S14_S18_S1A_T6_T7_T9_mT8_S1C_bDpT10_ENKUlT_T0_E_clISt17integral_constantIbLb0EES1P_EEDaS1K_S1L_EUlS1K_E_NS1_11comp_targetILNS1_3genE3ELNS1_11target_archE908ELNS1_3gpuE7ELNS1_3repE0EEENS1_30default_config_static_selectorELNS0_4arch9wavefront6targetE1EEEvSY_,"axG",@progbits,_ZN7rocprim17ROCPRIM_400000_NS6detail17trampoline_kernelINS0_13select_configILj256ELj13ELNS0_17block_load_methodE3ELS4_3ELS4_3ELNS0_20block_scan_algorithmE0ELj4294967295EEENS1_25partition_config_selectorILNS1_17partition_subalgoE3EjNS0_10empty_typeEbEEZZNS1_14partition_implILS8_3ELb0ES6_jNS0_17counting_iteratorIjlEEPS9_SE_NS0_5tupleIJPjSE_EEENSF_IJSE_SE_EEES9_SG_JZNS1_25segmented_radix_sort_implINS0_14default_configELb0EPKbPbPKlPlN2at6native12_GLOBAL__N_18offset_tEEE10hipError_tPvRmT1_PNSt15iterator_traitsISY_E10value_typeET2_T3_PNSZ_IS14_E10value_typeET4_jRbjT5_S1A_jjP12ihipStream_tbEUljE_EEESV_SW_SX_S14_S18_S1A_T6_T7_T9_mT8_S1C_bDpT10_ENKUlT_T0_E_clISt17integral_constantIbLb0EES1P_EEDaS1K_S1L_EUlS1K_E_NS1_11comp_targetILNS1_3genE3ELNS1_11target_archE908ELNS1_3gpuE7ELNS1_3repE0EEENS1_30default_config_static_selectorELNS0_4arch9wavefront6targetE1EEEvSY_,comdat
.Lfunc_end1604:
	.size	_ZN7rocprim17ROCPRIM_400000_NS6detail17trampoline_kernelINS0_13select_configILj256ELj13ELNS0_17block_load_methodE3ELS4_3ELS4_3ELNS0_20block_scan_algorithmE0ELj4294967295EEENS1_25partition_config_selectorILNS1_17partition_subalgoE3EjNS0_10empty_typeEbEEZZNS1_14partition_implILS8_3ELb0ES6_jNS0_17counting_iteratorIjlEEPS9_SE_NS0_5tupleIJPjSE_EEENSF_IJSE_SE_EEES9_SG_JZNS1_25segmented_radix_sort_implINS0_14default_configELb0EPKbPbPKlPlN2at6native12_GLOBAL__N_18offset_tEEE10hipError_tPvRmT1_PNSt15iterator_traitsISY_E10value_typeET2_T3_PNSZ_IS14_E10value_typeET4_jRbjT5_S1A_jjP12ihipStream_tbEUljE_EEESV_SW_SX_S14_S18_S1A_T6_T7_T9_mT8_S1C_bDpT10_ENKUlT_T0_E_clISt17integral_constantIbLb0EES1P_EEDaS1K_S1L_EUlS1K_E_NS1_11comp_targetILNS1_3genE3ELNS1_11target_archE908ELNS1_3gpuE7ELNS1_3repE0EEENS1_30default_config_static_selectorELNS0_4arch9wavefront6targetE1EEEvSY_, .Lfunc_end1604-_ZN7rocprim17ROCPRIM_400000_NS6detail17trampoline_kernelINS0_13select_configILj256ELj13ELNS0_17block_load_methodE3ELS4_3ELS4_3ELNS0_20block_scan_algorithmE0ELj4294967295EEENS1_25partition_config_selectorILNS1_17partition_subalgoE3EjNS0_10empty_typeEbEEZZNS1_14partition_implILS8_3ELb0ES6_jNS0_17counting_iteratorIjlEEPS9_SE_NS0_5tupleIJPjSE_EEENSF_IJSE_SE_EEES9_SG_JZNS1_25segmented_radix_sort_implINS0_14default_configELb0EPKbPbPKlPlN2at6native12_GLOBAL__N_18offset_tEEE10hipError_tPvRmT1_PNSt15iterator_traitsISY_E10value_typeET2_T3_PNSZ_IS14_E10value_typeET4_jRbjT5_S1A_jjP12ihipStream_tbEUljE_EEESV_SW_SX_S14_S18_S1A_T6_T7_T9_mT8_S1C_bDpT10_ENKUlT_T0_E_clISt17integral_constantIbLb0EES1P_EEDaS1K_S1L_EUlS1K_E_NS1_11comp_targetILNS1_3genE3ELNS1_11target_archE908ELNS1_3gpuE7ELNS1_3repE0EEENS1_30default_config_static_selectorELNS0_4arch9wavefront6targetE1EEEvSY_
                                        ; -- End function
	.section	.AMDGPU.csdata,"",@progbits
; Kernel info:
; codeLenInByte = 0
; NumSgprs: 4
; NumVgprs: 0
; NumAgprs: 0
; TotalNumVgprs: 0
; ScratchSize: 0
; MemoryBound: 0
; FloatMode: 240
; IeeeMode: 1
; LDSByteSize: 0 bytes/workgroup (compile time only)
; SGPRBlocks: 0
; VGPRBlocks: 0
; NumSGPRsForWavesPerEU: 4
; NumVGPRsForWavesPerEU: 1
; AccumOffset: 4
; Occupancy: 8
; WaveLimiterHint : 0
; COMPUTE_PGM_RSRC2:SCRATCH_EN: 0
; COMPUTE_PGM_RSRC2:USER_SGPR: 6
; COMPUTE_PGM_RSRC2:TRAP_HANDLER: 0
; COMPUTE_PGM_RSRC2:TGID_X_EN: 1
; COMPUTE_PGM_RSRC2:TGID_Y_EN: 0
; COMPUTE_PGM_RSRC2:TGID_Z_EN: 0
; COMPUTE_PGM_RSRC2:TIDIG_COMP_CNT: 0
; COMPUTE_PGM_RSRC3_GFX90A:ACCUM_OFFSET: 0
; COMPUTE_PGM_RSRC3_GFX90A:TG_SPLIT: 0
	.section	.text._ZN7rocprim17ROCPRIM_400000_NS6detail17trampoline_kernelINS0_13select_configILj256ELj13ELNS0_17block_load_methodE3ELS4_3ELS4_3ELNS0_20block_scan_algorithmE0ELj4294967295EEENS1_25partition_config_selectorILNS1_17partition_subalgoE3EjNS0_10empty_typeEbEEZZNS1_14partition_implILS8_3ELb0ES6_jNS0_17counting_iteratorIjlEEPS9_SE_NS0_5tupleIJPjSE_EEENSF_IJSE_SE_EEES9_SG_JZNS1_25segmented_radix_sort_implINS0_14default_configELb0EPKbPbPKlPlN2at6native12_GLOBAL__N_18offset_tEEE10hipError_tPvRmT1_PNSt15iterator_traitsISY_E10value_typeET2_T3_PNSZ_IS14_E10value_typeET4_jRbjT5_S1A_jjP12ihipStream_tbEUljE_EEESV_SW_SX_S14_S18_S1A_T6_T7_T9_mT8_S1C_bDpT10_ENKUlT_T0_E_clISt17integral_constantIbLb0EES1P_EEDaS1K_S1L_EUlS1K_E_NS1_11comp_targetILNS1_3genE2ELNS1_11target_archE906ELNS1_3gpuE6ELNS1_3repE0EEENS1_30default_config_static_selectorELNS0_4arch9wavefront6targetE1EEEvSY_,"axG",@progbits,_ZN7rocprim17ROCPRIM_400000_NS6detail17trampoline_kernelINS0_13select_configILj256ELj13ELNS0_17block_load_methodE3ELS4_3ELS4_3ELNS0_20block_scan_algorithmE0ELj4294967295EEENS1_25partition_config_selectorILNS1_17partition_subalgoE3EjNS0_10empty_typeEbEEZZNS1_14partition_implILS8_3ELb0ES6_jNS0_17counting_iteratorIjlEEPS9_SE_NS0_5tupleIJPjSE_EEENSF_IJSE_SE_EEES9_SG_JZNS1_25segmented_radix_sort_implINS0_14default_configELb0EPKbPbPKlPlN2at6native12_GLOBAL__N_18offset_tEEE10hipError_tPvRmT1_PNSt15iterator_traitsISY_E10value_typeET2_T3_PNSZ_IS14_E10value_typeET4_jRbjT5_S1A_jjP12ihipStream_tbEUljE_EEESV_SW_SX_S14_S18_S1A_T6_T7_T9_mT8_S1C_bDpT10_ENKUlT_T0_E_clISt17integral_constantIbLb0EES1P_EEDaS1K_S1L_EUlS1K_E_NS1_11comp_targetILNS1_3genE2ELNS1_11target_archE906ELNS1_3gpuE6ELNS1_3repE0EEENS1_30default_config_static_selectorELNS0_4arch9wavefront6targetE1EEEvSY_,comdat
	.globl	_ZN7rocprim17ROCPRIM_400000_NS6detail17trampoline_kernelINS0_13select_configILj256ELj13ELNS0_17block_load_methodE3ELS4_3ELS4_3ELNS0_20block_scan_algorithmE0ELj4294967295EEENS1_25partition_config_selectorILNS1_17partition_subalgoE3EjNS0_10empty_typeEbEEZZNS1_14partition_implILS8_3ELb0ES6_jNS0_17counting_iteratorIjlEEPS9_SE_NS0_5tupleIJPjSE_EEENSF_IJSE_SE_EEES9_SG_JZNS1_25segmented_radix_sort_implINS0_14default_configELb0EPKbPbPKlPlN2at6native12_GLOBAL__N_18offset_tEEE10hipError_tPvRmT1_PNSt15iterator_traitsISY_E10value_typeET2_T3_PNSZ_IS14_E10value_typeET4_jRbjT5_S1A_jjP12ihipStream_tbEUljE_EEESV_SW_SX_S14_S18_S1A_T6_T7_T9_mT8_S1C_bDpT10_ENKUlT_T0_E_clISt17integral_constantIbLb0EES1P_EEDaS1K_S1L_EUlS1K_E_NS1_11comp_targetILNS1_3genE2ELNS1_11target_archE906ELNS1_3gpuE6ELNS1_3repE0EEENS1_30default_config_static_selectorELNS0_4arch9wavefront6targetE1EEEvSY_ ; -- Begin function _ZN7rocprim17ROCPRIM_400000_NS6detail17trampoline_kernelINS0_13select_configILj256ELj13ELNS0_17block_load_methodE3ELS4_3ELS4_3ELNS0_20block_scan_algorithmE0ELj4294967295EEENS1_25partition_config_selectorILNS1_17partition_subalgoE3EjNS0_10empty_typeEbEEZZNS1_14partition_implILS8_3ELb0ES6_jNS0_17counting_iteratorIjlEEPS9_SE_NS0_5tupleIJPjSE_EEENSF_IJSE_SE_EEES9_SG_JZNS1_25segmented_radix_sort_implINS0_14default_configELb0EPKbPbPKlPlN2at6native12_GLOBAL__N_18offset_tEEE10hipError_tPvRmT1_PNSt15iterator_traitsISY_E10value_typeET2_T3_PNSZ_IS14_E10value_typeET4_jRbjT5_S1A_jjP12ihipStream_tbEUljE_EEESV_SW_SX_S14_S18_S1A_T6_T7_T9_mT8_S1C_bDpT10_ENKUlT_T0_E_clISt17integral_constantIbLb0EES1P_EEDaS1K_S1L_EUlS1K_E_NS1_11comp_targetILNS1_3genE2ELNS1_11target_archE906ELNS1_3gpuE6ELNS1_3repE0EEENS1_30default_config_static_selectorELNS0_4arch9wavefront6targetE1EEEvSY_
	.p2align	8
	.type	_ZN7rocprim17ROCPRIM_400000_NS6detail17trampoline_kernelINS0_13select_configILj256ELj13ELNS0_17block_load_methodE3ELS4_3ELS4_3ELNS0_20block_scan_algorithmE0ELj4294967295EEENS1_25partition_config_selectorILNS1_17partition_subalgoE3EjNS0_10empty_typeEbEEZZNS1_14partition_implILS8_3ELb0ES6_jNS0_17counting_iteratorIjlEEPS9_SE_NS0_5tupleIJPjSE_EEENSF_IJSE_SE_EEES9_SG_JZNS1_25segmented_radix_sort_implINS0_14default_configELb0EPKbPbPKlPlN2at6native12_GLOBAL__N_18offset_tEEE10hipError_tPvRmT1_PNSt15iterator_traitsISY_E10value_typeET2_T3_PNSZ_IS14_E10value_typeET4_jRbjT5_S1A_jjP12ihipStream_tbEUljE_EEESV_SW_SX_S14_S18_S1A_T6_T7_T9_mT8_S1C_bDpT10_ENKUlT_T0_E_clISt17integral_constantIbLb0EES1P_EEDaS1K_S1L_EUlS1K_E_NS1_11comp_targetILNS1_3genE2ELNS1_11target_archE906ELNS1_3gpuE6ELNS1_3repE0EEENS1_30default_config_static_selectorELNS0_4arch9wavefront6targetE1EEEvSY_,@function
_ZN7rocprim17ROCPRIM_400000_NS6detail17trampoline_kernelINS0_13select_configILj256ELj13ELNS0_17block_load_methodE3ELS4_3ELS4_3ELNS0_20block_scan_algorithmE0ELj4294967295EEENS1_25partition_config_selectorILNS1_17partition_subalgoE3EjNS0_10empty_typeEbEEZZNS1_14partition_implILS8_3ELb0ES6_jNS0_17counting_iteratorIjlEEPS9_SE_NS0_5tupleIJPjSE_EEENSF_IJSE_SE_EEES9_SG_JZNS1_25segmented_radix_sort_implINS0_14default_configELb0EPKbPbPKlPlN2at6native12_GLOBAL__N_18offset_tEEE10hipError_tPvRmT1_PNSt15iterator_traitsISY_E10value_typeET2_T3_PNSZ_IS14_E10value_typeET4_jRbjT5_S1A_jjP12ihipStream_tbEUljE_EEESV_SW_SX_S14_S18_S1A_T6_T7_T9_mT8_S1C_bDpT10_ENKUlT_T0_E_clISt17integral_constantIbLb0EES1P_EEDaS1K_S1L_EUlS1K_E_NS1_11comp_targetILNS1_3genE2ELNS1_11target_archE906ELNS1_3gpuE6ELNS1_3repE0EEENS1_30default_config_static_selectorELNS0_4arch9wavefront6targetE1EEEvSY_: ; @_ZN7rocprim17ROCPRIM_400000_NS6detail17trampoline_kernelINS0_13select_configILj256ELj13ELNS0_17block_load_methodE3ELS4_3ELS4_3ELNS0_20block_scan_algorithmE0ELj4294967295EEENS1_25partition_config_selectorILNS1_17partition_subalgoE3EjNS0_10empty_typeEbEEZZNS1_14partition_implILS8_3ELb0ES6_jNS0_17counting_iteratorIjlEEPS9_SE_NS0_5tupleIJPjSE_EEENSF_IJSE_SE_EEES9_SG_JZNS1_25segmented_radix_sort_implINS0_14default_configELb0EPKbPbPKlPlN2at6native12_GLOBAL__N_18offset_tEEE10hipError_tPvRmT1_PNSt15iterator_traitsISY_E10value_typeET2_T3_PNSZ_IS14_E10value_typeET4_jRbjT5_S1A_jjP12ihipStream_tbEUljE_EEESV_SW_SX_S14_S18_S1A_T6_T7_T9_mT8_S1C_bDpT10_ENKUlT_T0_E_clISt17integral_constantIbLb0EES1P_EEDaS1K_S1L_EUlS1K_E_NS1_11comp_targetILNS1_3genE2ELNS1_11target_archE906ELNS1_3gpuE6ELNS1_3repE0EEENS1_30default_config_static_selectorELNS0_4arch9wavefront6targetE1EEEvSY_
; %bb.0:
	.section	.rodata,"a",@progbits
	.p2align	6, 0x0
	.amdhsa_kernel _ZN7rocprim17ROCPRIM_400000_NS6detail17trampoline_kernelINS0_13select_configILj256ELj13ELNS0_17block_load_methodE3ELS4_3ELS4_3ELNS0_20block_scan_algorithmE0ELj4294967295EEENS1_25partition_config_selectorILNS1_17partition_subalgoE3EjNS0_10empty_typeEbEEZZNS1_14partition_implILS8_3ELb0ES6_jNS0_17counting_iteratorIjlEEPS9_SE_NS0_5tupleIJPjSE_EEENSF_IJSE_SE_EEES9_SG_JZNS1_25segmented_radix_sort_implINS0_14default_configELb0EPKbPbPKlPlN2at6native12_GLOBAL__N_18offset_tEEE10hipError_tPvRmT1_PNSt15iterator_traitsISY_E10value_typeET2_T3_PNSZ_IS14_E10value_typeET4_jRbjT5_S1A_jjP12ihipStream_tbEUljE_EEESV_SW_SX_S14_S18_S1A_T6_T7_T9_mT8_S1C_bDpT10_ENKUlT_T0_E_clISt17integral_constantIbLb0EES1P_EEDaS1K_S1L_EUlS1K_E_NS1_11comp_targetILNS1_3genE2ELNS1_11target_archE906ELNS1_3gpuE6ELNS1_3repE0EEENS1_30default_config_static_selectorELNS0_4arch9wavefront6targetE1EEEvSY_
		.amdhsa_group_segment_fixed_size 0
		.amdhsa_private_segment_fixed_size 0
		.amdhsa_kernarg_size 144
		.amdhsa_user_sgpr_count 6
		.amdhsa_user_sgpr_private_segment_buffer 1
		.amdhsa_user_sgpr_dispatch_ptr 0
		.amdhsa_user_sgpr_queue_ptr 0
		.amdhsa_user_sgpr_kernarg_segment_ptr 1
		.amdhsa_user_sgpr_dispatch_id 0
		.amdhsa_user_sgpr_flat_scratch_init 0
		.amdhsa_user_sgpr_kernarg_preload_length 0
		.amdhsa_user_sgpr_kernarg_preload_offset 0
		.amdhsa_user_sgpr_private_segment_size 0
		.amdhsa_uses_dynamic_stack 0
		.amdhsa_system_sgpr_private_segment_wavefront_offset 0
		.amdhsa_system_sgpr_workgroup_id_x 1
		.amdhsa_system_sgpr_workgroup_id_y 0
		.amdhsa_system_sgpr_workgroup_id_z 0
		.amdhsa_system_sgpr_workgroup_info 0
		.amdhsa_system_vgpr_workitem_id 0
		.amdhsa_next_free_vgpr 1
		.amdhsa_next_free_sgpr 0
		.amdhsa_accum_offset 4
		.amdhsa_reserve_vcc 0
		.amdhsa_reserve_flat_scratch 0
		.amdhsa_float_round_mode_32 0
		.amdhsa_float_round_mode_16_64 0
		.amdhsa_float_denorm_mode_32 3
		.amdhsa_float_denorm_mode_16_64 3
		.amdhsa_dx10_clamp 1
		.amdhsa_ieee_mode 1
		.amdhsa_fp16_overflow 0
		.amdhsa_tg_split 0
		.amdhsa_exception_fp_ieee_invalid_op 0
		.amdhsa_exception_fp_denorm_src 0
		.amdhsa_exception_fp_ieee_div_zero 0
		.amdhsa_exception_fp_ieee_overflow 0
		.amdhsa_exception_fp_ieee_underflow 0
		.amdhsa_exception_fp_ieee_inexact 0
		.amdhsa_exception_int_div_zero 0
	.end_amdhsa_kernel
	.section	.text._ZN7rocprim17ROCPRIM_400000_NS6detail17trampoline_kernelINS0_13select_configILj256ELj13ELNS0_17block_load_methodE3ELS4_3ELS4_3ELNS0_20block_scan_algorithmE0ELj4294967295EEENS1_25partition_config_selectorILNS1_17partition_subalgoE3EjNS0_10empty_typeEbEEZZNS1_14partition_implILS8_3ELb0ES6_jNS0_17counting_iteratorIjlEEPS9_SE_NS0_5tupleIJPjSE_EEENSF_IJSE_SE_EEES9_SG_JZNS1_25segmented_radix_sort_implINS0_14default_configELb0EPKbPbPKlPlN2at6native12_GLOBAL__N_18offset_tEEE10hipError_tPvRmT1_PNSt15iterator_traitsISY_E10value_typeET2_T3_PNSZ_IS14_E10value_typeET4_jRbjT5_S1A_jjP12ihipStream_tbEUljE_EEESV_SW_SX_S14_S18_S1A_T6_T7_T9_mT8_S1C_bDpT10_ENKUlT_T0_E_clISt17integral_constantIbLb0EES1P_EEDaS1K_S1L_EUlS1K_E_NS1_11comp_targetILNS1_3genE2ELNS1_11target_archE906ELNS1_3gpuE6ELNS1_3repE0EEENS1_30default_config_static_selectorELNS0_4arch9wavefront6targetE1EEEvSY_,"axG",@progbits,_ZN7rocprim17ROCPRIM_400000_NS6detail17trampoline_kernelINS0_13select_configILj256ELj13ELNS0_17block_load_methodE3ELS4_3ELS4_3ELNS0_20block_scan_algorithmE0ELj4294967295EEENS1_25partition_config_selectorILNS1_17partition_subalgoE3EjNS0_10empty_typeEbEEZZNS1_14partition_implILS8_3ELb0ES6_jNS0_17counting_iteratorIjlEEPS9_SE_NS0_5tupleIJPjSE_EEENSF_IJSE_SE_EEES9_SG_JZNS1_25segmented_radix_sort_implINS0_14default_configELb0EPKbPbPKlPlN2at6native12_GLOBAL__N_18offset_tEEE10hipError_tPvRmT1_PNSt15iterator_traitsISY_E10value_typeET2_T3_PNSZ_IS14_E10value_typeET4_jRbjT5_S1A_jjP12ihipStream_tbEUljE_EEESV_SW_SX_S14_S18_S1A_T6_T7_T9_mT8_S1C_bDpT10_ENKUlT_T0_E_clISt17integral_constantIbLb0EES1P_EEDaS1K_S1L_EUlS1K_E_NS1_11comp_targetILNS1_3genE2ELNS1_11target_archE906ELNS1_3gpuE6ELNS1_3repE0EEENS1_30default_config_static_selectorELNS0_4arch9wavefront6targetE1EEEvSY_,comdat
.Lfunc_end1605:
	.size	_ZN7rocprim17ROCPRIM_400000_NS6detail17trampoline_kernelINS0_13select_configILj256ELj13ELNS0_17block_load_methodE3ELS4_3ELS4_3ELNS0_20block_scan_algorithmE0ELj4294967295EEENS1_25partition_config_selectorILNS1_17partition_subalgoE3EjNS0_10empty_typeEbEEZZNS1_14partition_implILS8_3ELb0ES6_jNS0_17counting_iteratorIjlEEPS9_SE_NS0_5tupleIJPjSE_EEENSF_IJSE_SE_EEES9_SG_JZNS1_25segmented_radix_sort_implINS0_14default_configELb0EPKbPbPKlPlN2at6native12_GLOBAL__N_18offset_tEEE10hipError_tPvRmT1_PNSt15iterator_traitsISY_E10value_typeET2_T3_PNSZ_IS14_E10value_typeET4_jRbjT5_S1A_jjP12ihipStream_tbEUljE_EEESV_SW_SX_S14_S18_S1A_T6_T7_T9_mT8_S1C_bDpT10_ENKUlT_T0_E_clISt17integral_constantIbLb0EES1P_EEDaS1K_S1L_EUlS1K_E_NS1_11comp_targetILNS1_3genE2ELNS1_11target_archE906ELNS1_3gpuE6ELNS1_3repE0EEENS1_30default_config_static_selectorELNS0_4arch9wavefront6targetE1EEEvSY_, .Lfunc_end1605-_ZN7rocprim17ROCPRIM_400000_NS6detail17trampoline_kernelINS0_13select_configILj256ELj13ELNS0_17block_load_methodE3ELS4_3ELS4_3ELNS0_20block_scan_algorithmE0ELj4294967295EEENS1_25partition_config_selectorILNS1_17partition_subalgoE3EjNS0_10empty_typeEbEEZZNS1_14partition_implILS8_3ELb0ES6_jNS0_17counting_iteratorIjlEEPS9_SE_NS0_5tupleIJPjSE_EEENSF_IJSE_SE_EEES9_SG_JZNS1_25segmented_radix_sort_implINS0_14default_configELb0EPKbPbPKlPlN2at6native12_GLOBAL__N_18offset_tEEE10hipError_tPvRmT1_PNSt15iterator_traitsISY_E10value_typeET2_T3_PNSZ_IS14_E10value_typeET4_jRbjT5_S1A_jjP12ihipStream_tbEUljE_EEESV_SW_SX_S14_S18_S1A_T6_T7_T9_mT8_S1C_bDpT10_ENKUlT_T0_E_clISt17integral_constantIbLb0EES1P_EEDaS1K_S1L_EUlS1K_E_NS1_11comp_targetILNS1_3genE2ELNS1_11target_archE906ELNS1_3gpuE6ELNS1_3repE0EEENS1_30default_config_static_selectorELNS0_4arch9wavefront6targetE1EEEvSY_
                                        ; -- End function
	.section	.AMDGPU.csdata,"",@progbits
; Kernel info:
; codeLenInByte = 0
; NumSgprs: 4
; NumVgprs: 0
; NumAgprs: 0
; TotalNumVgprs: 0
; ScratchSize: 0
; MemoryBound: 0
; FloatMode: 240
; IeeeMode: 1
; LDSByteSize: 0 bytes/workgroup (compile time only)
; SGPRBlocks: 0
; VGPRBlocks: 0
; NumSGPRsForWavesPerEU: 4
; NumVGPRsForWavesPerEU: 1
; AccumOffset: 4
; Occupancy: 8
; WaveLimiterHint : 0
; COMPUTE_PGM_RSRC2:SCRATCH_EN: 0
; COMPUTE_PGM_RSRC2:USER_SGPR: 6
; COMPUTE_PGM_RSRC2:TRAP_HANDLER: 0
; COMPUTE_PGM_RSRC2:TGID_X_EN: 1
; COMPUTE_PGM_RSRC2:TGID_Y_EN: 0
; COMPUTE_PGM_RSRC2:TGID_Z_EN: 0
; COMPUTE_PGM_RSRC2:TIDIG_COMP_CNT: 0
; COMPUTE_PGM_RSRC3_GFX90A:ACCUM_OFFSET: 0
; COMPUTE_PGM_RSRC3_GFX90A:TG_SPLIT: 0
	.section	.text._ZN7rocprim17ROCPRIM_400000_NS6detail17trampoline_kernelINS0_13select_configILj256ELj13ELNS0_17block_load_methodE3ELS4_3ELS4_3ELNS0_20block_scan_algorithmE0ELj4294967295EEENS1_25partition_config_selectorILNS1_17partition_subalgoE3EjNS0_10empty_typeEbEEZZNS1_14partition_implILS8_3ELb0ES6_jNS0_17counting_iteratorIjlEEPS9_SE_NS0_5tupleIJPjSE_EEENSF_IJSE_SE_EEES9_SG_JZNS1_25segmented_radix_sort_implINS0_14default_configELb0EPKbPbPKlPlN2at6native12_GLOBAL__N_18offset_tEEE10hipError_tPvRmT1_PNSt15iterator_traitsISY_E10value_typeET2_T3_PNSZ_IS14_E10value_typeET4_jRbjT5_S1A_jjP12ihipStream_tbEUljE_EEESV_SW_SX_S14_S18_S1A_T6_T7_T9_mT8_S1C_bDpT10_ENKUlT_T0_E_clISt17integral_constantIbLb0EES1P_EEDaS1K_S1L_EUlS1K_E_NS1_11comp_targetILNS1_3genE10ELNS1_11target_archE1200ELNS1_3gpuE4ELNS1_3repE0EEENS1_30default_config_static_selectorELNS0_4arch9wavefront6targetE1EEEvSY_,"axG",@progbits,_ZN7rocprim17ROCPRIM_400000_NS6detail17trampoline_kernelINS0_13select_configILj256ELj13ELNS0_17block_load_methodE3ELS4_3ELS4_3ELNS0_20block_scan_algorithmE0ELj4294967295EEENS1_25partition_config_selectorILNS1_17partition_subalgoE3EjNS0_10empty_typeEbEEZZNS1_14partition_implILS8_3ELb0ES6_jNS0_17counting_iteratorIjlEEPS9_SE_NS0_5tupleIJPjSE_EEENSF_IJSE_SE_EEES9_SG_JZNS1_25segmented_radix_sort_implINS0_14default_configELb0EPKbPbPKlPlN2at6native12_GLOBAL__N_18offset_tEEE10hipError_tPvRmT1_PNSt15iterator_traitsISY_E10value_typeET2_T3_PNSZ_IS14_E10value_typeET4_jRbjT5_S1A_jjP12ihipStream_tbEUljE_EEESV_SW_SX_S14_S18_S1A_T6_T7_T9_mT8_S1C_bDpT10_ENKUlT_T0_E_clISt17integral_constantIbLb0EES1P_EEDaS1K_S1L_EUlS1K_E_NS1_11comp_targetILNS1_3genE10ELNS1_11target_archE1200ELNS1_3gpuE4ELNS1_3repE0EEENS1_30default_config_static_selectorELNS0_4arch9wavefront6targetE1EEEvSY_,comdat
	.globl	_ZN7rocprim17ROCPRIM_400000_NS6detail17trampoline_kernelINS0_13select_configILj256ELj13ELNS0_17block_load_methodE3ELS4_3ELS4_3ELNS0_20block_scan_algorithmE0ELj4294967295EEENS1_25partition_config_selectorILNS1_17partition_subalgoE3EjNS0_10empty_typeEbEEZZNS1_14partition_implILS8_3ELb0ES6_jNS0_17counting_iteratorIjlEEPS9_SE_NS0_5tupleIJPjSE_EEENSF_IJSE_SE_EEES9_SG_JZNS1_25segmented_radix_sort_implINS0_14default_configELb0EPKbPbPKlPlN2at6native12_GLOBAL__N_18offset_tEEE10hipError_tPvRmT1_PNSt15iterator_traitsISY_E10value_typeET2_T3_PNSZ_IS14_E10value_typeET4_jRbjT5_S1A_jjP12ihipStream_tbEUljE_EEESV_SW_SX_S14_S18_S1A_T6_T7_T9_mT8_S1C_bDpT10_ENKUlT_T0_E_clISt17integral_constantIbLb0EES1P_EEDaS1K_S1L_EUlS1K_E_NS1_11comp_targetILNS1_3genE10ELNS1_11target_archE1200ELNS1_3gpuE4ELNS1_3repE0EEENS1_30default_config_static_selectorELNS0_4arch9wavefront6targetE1EEEvSY_ ; -- Begin function _ZN7rocprim17ROCPRIM_400000_NS6detail17trampoline_kernelINS0_13select_configILj256ELj13ELNS0_17block_load_methodE3ELS4_3ELS4_3ELNS0_20block_scan_algorithmE0ELj4294967295EEENS1_25partition_config_selectorILNS1_17partition_subalgoE3EjNS0_10empty_typeEbEEZZNS1_14partition_implILS8_3ELb0ES6_jNS0_17counting_iteratorIjlEEPS9_SE_NS0_5tupleIJPjSE_EEENSF_IJSE_SE_EEES9_SG_JZNS1_25segmented_radix_sort_implINS0_14default_configELb0EPKbPbPKlPlN2at6native12_GLOBAL__N_18offset_tEEE10hipError_tPvRmT1_PNSt15iterator_traitsISY_E10value_typeET2_T3_PNSZ_IS14_E10value_typeET4_jRbjT5_S1A_jjP12ihipStream_tbEUljE_EEESV_SW_SX_S14_S18_S1A_T6_T7_T9_mT8_S1C_bDpT10_ENKUlT_T0_E_clISt17integral_constantIbLb0EES1P_EEDaS1K_S1L_EUlS1K_E_NS1_11comp_targetILNS1_3genE10ELNS1_11target_archE1200ELNS1_3gpuE4ELNS1_3repE0EEENS1_30default_config_static_selectorELNS0_4arch9wavefront6targetE1EEEvSY_
	.p2align	8
	.type	_ZN7rocprim17ROCPRIM_400000_NS6detail17trampoline_kernelINS0_13select_configILj256ELj13ELNS0_17block_load_methodE3ELS4_3ELS4_3ELNS0_20block_scan_algorithmE0ELj4294967295EEENS1_25partition_config_selectorILNS1_17partition_subalgoE3EjNS0_10empty_typeEbEEZZNS1_14partition_implILS8_3ELb0ES6_jNS0_17counting_iteratorIjlEEPS9_SE_NS0_5tupleIJPjSE_EEENSF_IJSE_SE_EEES9_SG_JZNS1_25segmented_radix_sort_implINS0_14default_configELb0EPKbPbPKlPlN2at6native12_GLOBAL__N_18offset_tEEE10hipError_tPvRmT1_PNSt15iterator_traitsISY_E10value_typeET2_T3_PNSZ_IS14_E10value_typeET4_jRbjT5_S1A_jjP12ihipStream_tbEUljE_EEESV_SW_SX_S14_S18_S1A_T6_T7_T9_mT8_S1C_bDpT10_ENKUlT_T0_E_clISt17integral_constantIbLb0EES1P_EEDaS1K_S1L_EUlS1K_E_NS1_11comp_targetILNS1_3genE10ELNS1_11target_archE1200ELNS1_3gpuE4ELNS1_3repE0EEENS1_30default_config_static_selectorELNS0_4arch9wavefront6targetE1EEEvSY_,@function
_ZN7rocprim17ROCPRIM_400000_NS6detail17trampoline_kernelINS0_13select_configILj256ELj13ELNS0_17block_load_methodE3ELS4_3ELS4_3ELNS0_20block_scan_algorithmE0ELj4294967295EEENS1_25partition_config_selectorILNS1_17partition_subalgoE3EjNS0_10empty_typeEbEEZZNS1_14partition_implILS8_3ELb0ES6_jNS0_17counting_iteratorIjlEEPS9_SE_NS0_5tupleIJPjSE_EEENSF_IJSE_SE_EEES9_SG_JZNS1_25segmented_radix_sort_implINS0_14default_configELb0EPKbPbPKlPlN2at6native12_GLOBAL__N_18offset_tEEE10hipError_tPvRmT1_PNSt15iterator_traitsISY_E10value_typeET2_T3_PNSZ_IS14_E10value_typeET4_jRbjT5_S1A_jjP12ihipStream_tbEUljE_EEESV_SW_SX_S14_S18_S1A_T6_T7_T9_mT8_S1C_bDpT10_ENKUlT_T0_E_clISt17integral_constantIbLb0EES1P_EEDaS1K_S1L_EUlS1K_E_NS1_11comp_targetILNS1_3genE10ELNS1_11target_archE1200ELNS1_3gpuE4ELNS1_3repE0EEENS1_30default_config_static_selectorELNS0_4arch9wavefront6targetE1EEEvSY_: ; @_ZN7rocprim17ROCPRIM_400000_NS6detail17trampoline_kernelINS0_13select_configILj256ELj13ELNS0_17block_load_methodE3ELS4_3ELS4_3ELNS0_20block_scan_algorithmE0ELj4294967295EEENS1_25partition_config_selectorILNS1_17partition_subalgoE3EjNS0_10empty_typeEbEEZZNS1_14partition_implILS8_3ELb0ES6_jNS0_17counting_iteratorIjlEEPS9_SE_NS0_5tupleIJPjSE_EEENSF_IJSE_SE_EEES9_SG_JZNS1_25segmented_radix_sort_implINS0_14default_configELb0EPKbPbPKlPlN2at6native12_GLOBAL__N_18offset_tEEE10hipError_tPvRmT1_PNSt15iterator_traitsISY_E10value_typeET2_T3_PNSZ_IS14_E10value_typeET4_jRbjT5_S1A_jjP12ihipStream_tbEUljE_EEESV_SW_SX_S14_S18_S1A_T6_T7_T9_mT8_S1C_bDpT10_ENKUlT_T0_E_clISt17integral_constantIbLb0EES1P_EEDaS1K_S1L_EUlS1K_E_NS1_11comp_targetILNS1_3genE10ELNS1_11target_archE1200ELNS1_3gpuE4ELNS1_3repE0EEENS1_30default_config_static_selectorELNS0_4arch9wavefront6targetE1EEEvSY_
; %bb.0:
	.section	.rodata,"a",@progbits
	.p2align	6, 0x0
	.amdhsa_kernel _ZN7rocprim17ROCPRIM_400000_NS6detail17trampoline_kernelINS0_13select_configILj256ELj13ELNS0_17block_load_methodE3ELS4_3ELS4_3ELNS0_20block_scan_algorithmE0ELj4294967295EEENS1_25partition_config_selectorILNS1_17partition_subalgoE3EjNS0_10empty_typeEbEEZZNS1_14partition_implILS8_3ELb0ES6_jNS0_17counting_iteratorIjlEEPS9_SE_NS0_5tupleIJPjSE_EEENSF_IJSE_SE_EEES9_SG_JZNS1_25segmented_radix_sort_implINS0_14default_configELb0EPKbPbPKlPlN2at6native12_GLOBAL__N_18offset_tEEE10hipError_tPvRmT1_PNSt15iterator_traitsISY_E10value_typeET2_T3_PNSZ_IS14_E10value_typeET4_jRbjT5_S1A_jjP12ihipStream_tbEUljE_EEESV_SW_SX_S14_S18_S1A_T6_T7_T9_mT8_S1C_bDpT10_ENKUlT_T0_E_clISt17integral_constantIbLb0EES1P_EEDaS1K_S1L_EUlS1K_E_NS1_11comp_targetILNS1_3genE10ELNS1_11target_archE1200ELNS1_3gpuE4ELNS1_3repE0EEENS1_30default_config_static_selectorELNS0_4arch9wavefront6targetE1EEEvSY_
		.amdhsa_group_segment_fixed_size 0
		.amdhsa_private_segment_fixed_size 0
		.amdhsa_kernarg_size 144
		.amdhsa_user_sgpr_count 6
		.amdhsa_user_sgpr_private_segment_buffer 1
		.amdhsa_user_sgpr_dispatch_ptr 0
		.amdhsa_user_sgpr_queue_ptr 0
		.amdhsa_user_sgpr_kernarg_segment_ptr 1
		.amdhsa_user_sgpr_dispatch_id 0
		.amdhsa_user_sgpr_flat_scratch_init 0
		.amdhsa_user_sgpr_kernarg_preload_length 0
		.amdhsa_user_sgpr_kernarg_preload_offset 0
		.amdhsa_user_sgpr_private_segment_size 0
		.amdhsa_uses_dynamic_stack 0
		.amdhsa_system_sgpr_private_segment_wavefront_offset 0
		.amdhsa_system_sgpr_workgroup_id_x 1
		.amdhsa_system_sgpr_workgroup_id_y 0
		.amdhsa_system_sgpr_workgroup_id_z 0
		.amdhsa_system_sgpr_workgroup_info 0
		.amdhsa_system_vgpr_workitem_id 0
		.amdhsa_next_free_vgpr 1
		.amdhsa_next_free_sgpr 0
		.amdhsa_accum_offset 4
		.amdhsa_reserve_vcc 0
		.amdhsa_reserve_flat_scratch 0
		.amdhsa_float_round_mode_32 0
		.amdhsa_float_round_mode_16_64 0
		.amdhsa_float_denorm_mode_32 3
		.amdhsa_float_denorm_mode_16_64 3
		.amdhsa_dx10_clamp 1
		.amdhsa_ieee_mode 1
		.amdhsa_fp16_overflow 0
		.amdhsa_tg_split 0
		.amdhsa_exception_fp_ieee_invalid_op 0
		.amdhsa_exception_fp_denorm_src 0
		.amdhsa_exception_fp_ieee_div_zero 0
		.amdhsa_exception_fp_ieee_overflow 0
		.amdhsa_exception_fp_ieee_underflow 0
		.amdhsa_exception_fp_ieee_inexact 0
		.amdhsa_exception_int_div_zero 0
	.end_amdhsa_kernel
	.section	.text._ZN7rocprim17ROCPRIM_400000_NS6detail17trampoline_kernelINS0_13select_configILj256ELj13ELNS0_17block_load_methodE3ELS4_3ELS4_3ELNS0_20block_scan_algorithmE0ELj4294967295EEENS1_25partition_config_selectorILNS1_17partition_subalgoE3EjNS0_10empty_typeEbEEZZNS1_14partition_implILS8_3ELb0ES6_jNS0_17counting_iteratorIjlEEPS9_SE_NS0_5tupleIJPjSE_EEENSF_IJSE_SE_EEES9_SG_JZNS1_25segmented_radix_sort_implINS0_14default_configELb0EPKbPbPKlPlN2at6native12_GLOBAL__N_18offset_tEEE10hipError_tPvRmT1_PNSt15iterator_traitsISY_E10value_typeET2_T3_PNSZ_IS14_E10value_typeET4_jRbjT5_S1A_jjP12ihipStream_tbEUljE_EEESV_SW_SX_S14_S18_S1A_T6_T7_T9_mT8_S1C_bDpT10_ENKUlT_T0_E_clISt17integral_constantIbLb0EES1P_EEDaS1K_S1L_EUlS1K_E_NS1_11comp_targetILNS1_3genE10ELNS1_11target_archE1200ELNS1_3gpuE4ELNS1_3repE0EEENS1_30default_config_static_selectorELNS0_4arch9wavefront6targetE1EEEvSY_,"axG",@progbits,_ZN7rocprim17ROCPRIM_400000_NS6detail17trampoline_kernelINS0_13select_configILj256ELj13ELNS0_17block_load_methodE3ELS4_3ELS4_3ELNS0_20block_scan_algorithmE0ELj4294967295EEENS1_25partition_config_selectorILNS1_17partition_subalgoE3EjNS0_10empty_typeEbEEZZNS1_14partition_implILS8_3ELb0ES6_jNS0_17counting_iteratorIjlEEPS9_SE_NS0_5tupleIJPjSE_EEENSF_IJSE_SE_EEES9_SG_JZNS1_25segmented_radix_sort_implINS0_14default_configELb0EPKbPbPKlPlN2at6native12_GLOBAL__N_18offset_tEEE10hipError_tPvRmT1_PNSt15iterator_traitsISY_E10value_typeET2_T3_PNSZ_IS14_E10value_typeET4_jRbjT5_S1A_jjP12ihipStream_tbEUljE_EEESV_SW_SX_S14_S18_S1A_T6_T7_T9_mT8_S1C_bDpT10_ENKUlT_T0_E_clISt17integral_constantIbLb0EES1P_EEDaS1K_S1L_EUlS1K_E_NS1_11comp_targetILNS1_3genE10ELNS1_11target_archE1200ELNS1_3gpuE4ELNS1_3repE0EEENS1_30default_config_static_selectorELNS0_4arch9wavefront6targetE1EEEvSY_,comdat
.Lfunc_end1606:
	.size	_ZN7rocprim17ROCPRIM_400000_NS6detail17trampoline_kernelINS0_13select_configILj256ELj13ELNS0_17block_load_methodE3ELS4_3ELS4_3ELNS0_20block_scan_algorithmE0ELj4294967295EEENS1_25partition_config_selectorILNS1_17partition_subalgoE3EjNS0_10empty_typeEbEEZZNS1_14partition_implILS8_3ELb0ES6_jNS0_17counting_iteratorIjlEEPS9_SE_NS0_5tupleIJPjSE_EEENSF_IJSE_SE_EEES9_SG_JZNS1_25segmented_radix_sort_implINS0_14default_configELb0EPKbPbPKlPlN2at6native12_GLOBAL__N_18offset_tEEE10hipError_tPvRmT1_PNSt15iterator_traitsISY_E10value_typeET2_T3_PNSZ_IS14_E10value_typeET4_jRbjT5_S1A_jjP12ihipStream_tbEUljE_EEESV_SW_SX_S14_S18_S1A_T6_T7_T9_mT8_S1C_bDpT10_ENKUlT_T0_E_clISt17integral_constantIbLb0EES1P_EEDaS1K_S1L_EUlS1K_E_NS1_11comp_targetILNS1_3genE10ELNS1_11target_archE1200ELNS1_3gpuE4ELNS1_3repE0EEENS1_30default_config_static_selectorELNS0_4arch9wavefront6targetE1EEEvSY_, .Lfunc_end1606-_ZN7rocprim17ROCPRIM_400000_NS6detail17trampoline_kernelINS0_13select_configILj256ELj13ELNS0_17block_load_methodE3ELS4_3ELS4_3ELNS0_20block_scan_algorithmE0ELj4294967295EEENS1_25partition_config_selectorILNS1_17partition_subalgoE3EjNS0_10empty_typeEbEEZZNS1_14partition_implILS8_3ELb0ES6_jNS0_17counting_iteratorIjlEEPS9_SE_NS0_5tupleIJPjSE_EEENSF_IJSE_SE_EEES9_SG_JZNS1_25segmented_radix_sort_implINS0_14default_configELb0EPKbPbPKlPlN2at6native12_GLOBAL__N_18offset_tEEE10hipError_tPvRmT1_PNSt15iterator_traitsISY_E10value_typeET2_T3_PNSZ_IS14_E10value_typeET4_jRbjT5_S1A_jjP12ihipStream_tbEUljE_EEESV_SW_SX_S14_S18_S1A_T6_T7_T9_mT8_S1C_bDpT10_ENKUlT_T0_E_clISt17integral_constantIbLb0EES1P_EEDaS1K_S1L_EUlS1K_E_NS1_11comp_targetILNS1_3genE10ELNS1_11target_archE1200ELNS1_3gpuE4ELNS1_3repE0EEENS1_30default_config_static_selectorELNS0_4arch9wavefront6targetE1EEEvSY_
                                        ; -- End function
	.section	.AMDGPU.csdata,"",@progbits
; Kernel info:
; codeLenInByte = 0
; NumSgprs: 4
; NumVgprs: 0
; NumAgprs: 0
; TotalNumVgprs: 0
; ScratchSize: 0
; MemoryBound: 0
; FloatMode: 240
; IeeeMode: 1
; LDSByteSize: 0 bytes/workgroup (compile time only)
; SGPRBlocks: 0
; VGPRBlocks: 0
; NumSGPRsForWavesPerEU: 4
; NumVGPRsForWavesPerEU: 1
; AccumOffset: 4
; Occupancy: 8
; WaveLimiterHint : 0
; COMPUTE_PGM_RSRC2:SCRATCH_EN: 0
; COMPUTE_PGM_RSRC2:USER_SGPR: 6
; COMPUTE_PGM_RSRC2:TRAP_HANDLER: 0
; COMPUTE_PGM_RSRC2:TGID_X_EN: 1
; COMPUTE_PGM_RSRC2:TGID_Y_EN: 0
; COMPUTE_PGM_RSRC2:TGID_Z_EN: 0
; COMPUTE_PGM_RSRC2:TIDIG_COMP_CNT: 0
; COMPUTE_PGM_RSRC3_GFX90A:ACCUM_OFFSET: 0
; COMPUTE_PGM_RSRC3_GFX90A:TG_SPLIT: 0
	.section	.text._ZN7rocprim17ROCPRIM_400000_NS6detail17trampoline_kernelINS0_13select_configILj256ELj13ELNS0_17block_load_methodE3ELS4_3ELS4_3ELNS0_20block_scan_algorithmE0ELj4294967295EEENS1_25partition_config_selectorILNS1_17partition_subalgoE3EjNS0_10empty_typeEbEEZZNS1_14partition_implILS8_3ELb0ES6_jNS0_17counting_iteratorIjlEEPS9_SE_NS0_5tupleIJPjSE_EEENSF_IJSE_SE_EEES9_SG_JZNS1_25segmented_radix_sort_implINS0_14default_configELb0EPKbPbPKlPlN2at6native12_GLOBAL__N_18offset_tEEE10hipError_tPvRmT1_PNSt15iterator_traitsISY_E10value_typeET2_T3_PNSZ_IS14_E10value_typeET4_jRbjT5_S1A_jjP12ihipStream_tbEUljE_EEESV_SW_SX_S14_S18_S1A_T6_T7_T9_mT8_S1C_bDpT10_ENKUlT_T0_E_clISt17integral_constantIbLb0EES1P_EEDaS1K_S1L_EUlS1K_E_NS1_11comp_targetILNS1_3genE9ELNS1_11target_archE1100ELNS1_3gpuE3ELNS1_3repE0EEENS1_30default_config_static_selectorELNS0_4arch9wavefront6targetE1EEEvSY_,"axG",@progbits,_ZN7rocprim17ROCPRIM_400000_NS6detail17trampoline_kernelINS0_13select_configILj256ELj13ELNS0_17block_load_methodE3ELS4_3ELS4_3ELNS0_20block_scan_algorithmE0ELj4294967295EEENS1_25partition_config_selectorILNS1_17partition_subalgoE3EjNS0_10empty_typeEbEEZZNS1_14partition_implILS8_3ELb0ES6_jNS0_17counting_iteratorIjlEEPS9_SE_NS0_5tupleIJPjSE_EEENSF_IJSE_SE_EEES9_SG_JZNS1_25segmented_radix_sort_implINS0_14default_configELb0EPKbPbPKlPlN2at6native12_GLOBAL__N_18offset_tEEE10hipError_tPvRmT1_PNSt15iterator_traitsISY_E10value_typeET2_T3_PNSZ_IS14_E10value_typeET4_jRbjT5_S1A_jjP12ihipStream_tbEUljE_EEESV_SW_SX_S14_S18_S1A_T6_T7_T9_mT8_S1C_bDpT10_ENKUlT_T0_E_clISt17integral_constantIbLb0EES1P_EEDaS1K_S1L_EUlS1K_E_NS1_11comp_targetILNS1_3genE9ELNS1_11target_archE1100ELNS1_3gpuE3ELNS1_3repE0EEENS1_30default_config_static_selectorELNS0_4arch9wavefront6targetE1EEEvSY_,comdat
	.globl	_ZN7rocprim17ROCPRIM_400000_NS6detail17trampoline_kernelINS0_13select_configILj256ELj13ELNS0_17block_load_methodE3ELS4_3ELS4_3ELNS0_20block_scan_algorithmE0ELj4294967295EEENS1_25partition_config_selectorILNS1_17partition_subalgoE3EjNS0_10empty_typeEbEEZZNS1_14partition_implILS8_3ELb0ES6_jNS0_17counting_iteratorIjlEEPS9_SE_NS0_5tupleIJPjSE_EEENSF_IJSE_SE_EEES9_SG_JZNS1_25segmented_radix_sort_implINS0_14default_configELb0EPKbPbPKlPlN2at6native12_GLOBAL__N_18offset_tEEE10hipError_tPvRmT1_PNSt15iterator_traitsISY_E10value_typeET2_T3_PNSZ_IS14_E10value_typeET4_jRbjT5_S1A_jjP12ihipStream_tbEUljE_EEESV_SW_SX_S14_S18_S1A_T6_T7_T9_mT8_S1C_bDpT10_ENKUlT_T0_E_clISt17integral_constantIbLb0EES1P_EEDaS1K_S1L_EUlS1K_E_NS1_11comp_targetILNS1_3genE9ELNS1_11target_archE1100ELNS1_3gpuE3ELNS1_3repE0EEENS1_30default_config_static_selectorELNS0_4arch9wavefront6targetE1EEEvSY_ ; -- Begin function _ZN7rocprim17ROCPRIM_400000_NS6detail17trampoline_kernelINS0_13select_configILj256ELj13ELNS0_17block_load_methodE3ELS4_3ELS4_3ELNS0_20block_scan_algorithmE0ELj4294967295EEENS1_25partition_config_selectorILNS1_17partition_subalgoE3EjNS0_10empty_typeEbEEZZNS1_14partition_implILS8_3ELb0ES6_jNS0_17counting_iteratorIjlEEPS9_SE_NS0_5tupleIJPjSE_EEENSF_IJSE_SE_EEES9_SG_JZNS1_25segmented_radix_sort_implINS0_14default_configELb0EPKbPbPKlPlN2at6native12_GLOBAL__N_18offset_tEEE10hipError_tPvRmT1_PNSt15iterator_traitsISY_E10value_typeET2_T3_PNSZ_IS14_E10value_typeET4_jRbjT5_S1A_jjP12ihipStream_tbEUljE_EEESV_SW_SX_S14_S18_S1A_T6_T7_T9_mT8_S1C_bDpT10_ENKUlT_T0_E_clISt17integral_constantIbLb0EES1P_EEDaS1K_S1L_EUlS1K_E_NS1_11comp_targetILNS1_3genE9ELNS1_11target_archE1100ELNS1_3gpuE3ELNS1_3repE0EEENS1_30default_config_static_selectorELNS0_4arch9wavefront6targetE1EEEvSY_
	.p2align	8
	.type	_ZN7rocprim17ROCPRIM_400000_NS6detail17trampoline_kernelINS0_13select_configILj256ELj13ELNS0_17block_load_methodE3ELS4_3ELS4_3ELNS0_20block_scan_algorithmE0ELj4294967295EEENS1_25partition_config_selectorILNS1_17partition_subalgoE3EjNS0_10empty_typeEbEEZZNS1_14partition_implILS8_3ELb0ES6_jNS0_17counting_iteratorIjlEEPS9_SE_NS0_5tupleIJPjSE_EEENSF_IJSE_SE_EEES9_SG_JZNS1_25segmented_radix_sort_implINS0_14default_configELb0EPKbPbPKlPlN2at6native12_GLOBAL__N_18offset_tEEE10hipError_tPvRmT1_PNSt15iterator_traitsISY_E10value_typeET2_T3_PNSZ_IS14_E10value_typeET4_jRbjT5_S1A_jjP12ihipStream_tbEUljE_EEESV_SW_SX_S14_S18_S1A_T6_T7_T9_mT8_S1C_bDpT10_ENKUlT_T0_E_clISt17integral_constantIbLb0EES1P_EEDaS1K_S1L_EUlS1K_E_NS1_11comp_targetILNS1_3genE9ELNS1_11target_archE1100ELNS1_3gpuE3ELNS1_3repE0EEENS1_30default_config_static_selectorELNS0_4arch9wavefront6targetE1EEEvSY_,@function
_ZN7rocprim17ROCPRIM_400000_NS6detail17trampoline_kernelINS0_13select_configILj256ELj13ELNS0_17block_load_methodE3ELS4_3ELS4_3ELNS0_20block_scan_algorithmE0ELj4294967295EEENS1_25partition_config_selectorILNS1_17partition_subalgoE3EjNS0_10empty_typeEbEEZZNS1_14partition_implILS8_3ELb0ES6_jNS0_17counting_iteratorIjlEEPS9_SE_NS0_5tupleIJPjSE_EEENSF_IJSE_SE_EEES9_SG_JZNS1_25segmented_radix_sort_implINS0_14default_configELb0EPKbPbPKlPlN2at6native12_GLOBAL__N_18offset_tEEE10hipError_tPvRmT1_PNSt15iterator_traitsISY_E10value_typeET2_T3_PNSZ_IS14_E10value_typeET4_jRbjT5_S1A_jjP12ihipStream_tbEUljE_EEESV_SW_SX_S14_S18_S1A_T6_T7_T9_mT8_S1C_bDpT10_ENKUlT_T0_E_clISt17integral_constantIbLb0EES1P_EEDaS1K_S1L_EUlS1K_E_NS1_11comp_targetILNS1_3genE9ELNS1_11target_archE1100ELNS1_3gpuE3ELNS1_3repE0EEENS1_30default_config_static_selectorELNS0_4arch9wavefront6targetE1EEEvSY_: ; @_ZN7rocprim17ROCPRIM_400000_NS6detail17trampoline_kernelINS0_13select_configILj256ELj13ELNS0_17block_load_methodE3ELS4_3ELS4_3ELNS0_20block_scan_algorithmE0ELj4294967295EEENS1_25partition_config_selectorILNS1_17partition_subalgoE3EjNS0_10empty_typeEbEEZZNS1_14partition_implILS8_3ELb0ES6_jNS0_17counting_iteratorIjlEEPS9_SE_NS0_5tupleIJPjSE_EEENSF_IJSE_SE_EEES9_SG_JZNS1_25segmented_radix_sort_implINS0_14default_configELb0EPKbPbPKlPlN2at6native12_GLOBAL__N_18offset_tEEE10hipError_tPvRmT1_PNSt15iterator_traitsISY_E10value_typeET2_T3_PNSZ_IS14_E10value_typeET4_jRbjT5_S1A_jjP12ihipStream_tbEUljE_EEESV_SW_SX_S14_S18_S1A_T6_T7_T9_mT8_S1C_bDpT10_ENKUlT_T0_E_clISt17integral_constantIbLb0EES1P_EEDaS1K_S1L_EUlS1K_E_NS1_11comp_targetILNS1_3genE9ELNS1_11target_archE1100ELNS1_3gpuE3ELNS1_3repE0EEENS1_30default_config_static_selectorELNS0_4arch9wavefront6targetE1EEEvSY_
; %bb.0:
	.section	.rodata,"a",@progbits
	.p2align	6, 0x0
	.amdhsa_kernel _ZN7rocprim17ROCPRIM_400000_NS6detail17trampoline_kernelINS0_13select_configILj256ELj13ELNS0_17block_load_methodE3ELS4_3ELS4_3ELNS0_20block_scan_algorithmE0ELj4294967295EEENS1_25partition_config_selectorILNS1_17partition_subalgoE3EjNS0_10empty_typeEbEEZZNS1_14partition_implILS8_3ELb0ES6_jNS0_17counting_iteratorIjlEEPS9_SE_NS0_5tupleIJPjSE_EEENSF_IJSE_SE_EEES9_SG_JZNS1_25segmented_radix_sort_implINS0_14default_configELb0EPKbPbPKlPlN2at6native12_GLOBAL__N_18offset_tEEE10hipError_tPvRmT1_PNSt15iterator_traitsISY_E10value_typeET2_T3_PNSZ_IS14_E10value_typeET4_jRbjT5_S1A_jjP12ihipStream_tbEUljE_EEESV_SW_SX_S14_S18_S1A_T6_T7_T9_mT8_S1C_bDpT10_ENKUlT_T0_E_clISt17integral_constantIbLb0EES1P_EEDaS1K_S1L_EUlS1K_E_NS1_11comp_targetILNS1_3genE9ELNS1_11target_archE1100ELNS1_3gpuE3ELNS1_3repE0EEENS1_30default_config_static_selectorELNS0_4arch9wavefront6targetE1EEEvSY_
		.amdhsa_group_segment_fixed_size 0
		.amdhsa_private_segment_fixed_size 0
		.amdhsa_kernarg_size 144
		.amdhsa_user_sgpr_count 6
		.amdhsa_user_sgpr_private_segment_buffer 1
		.amdhsa_user_sgpr_dispatch_ptr 0
		.amdhsa_user_sgpr_queue_ptr 0
		.amdhsa_user_sgpr_kernarg_segment_ptr 1
		.amdhsa_user_sgpr_dispatch_id 0
		.amdhsa_user_sgpr_flat_scratch_init 0
		.amdhsa_user_sgpr_kernarg_preload_length 0
		.amdhsa_user_sgpr_kernarg_preload_offset 0
		.amdhsa_user_sgpr_private_segment_size 0
		.amdhsa_uses_dynamic_stack 0
		.amdhsa_system_sgpr_private_segment_wavefront_offset 0
		.amdhsa_system_sgpr_workgroup_id_x 1
		.amdhsa_system_sgpr_workgroup_id_y 0
		.amdhsa_system_sgpr_workgroup_id_z 0
		.amdhsa_system_sgpr_workgroup_info 0
		.amdhsa_system_vgpr_workitem_id 0
		.amdhsa_next_free_vgpr 1
		.amdhsa_next_free_sgpr 0
		.amdhsa_accum_offset 4
		.amdhsa_reserve_vcc 0
		.amdhsa_reserve_flat_scratch 0
		.amdhsa_float_round_mode_32 0
		.amdhsa_float_round_mode_16_64 0
		.amdhsa_float_denorm_mode_32 3
		.amdhsa_float_denorm_mode_16_64 3
		.amdhsa_dx10_clamp 1
		.amdhsa_ieee_mode 1
		.amdhsa_fp16_overflow 0
		.amdhsa_tg_split 0
		.amdhsa_exception_fp_ieee_invalid_op 0
		.amdhsa_exception_fp_denorm_src 0
		.amdhsa_exception_fp_ieee_div_zero 0
		.amdhsa_exception_fp_ieee_overflow 0
		.amdhsa_exception_fp_ieee_underflow 0
		.amdhsa_exception_fp_ieee_inexact 0
		.amdhsa_exception_int_div_zero 0
	.end_amdhsa_kernel
	.section	.text._ZN7rocprim17ROCPRIM_400000_NS6detail17trampoline_kernelINS0_13select_configILj256ELj13ELNS0_17block_load_methodE3ELS4_3ELS4_3ELNS0_20block_scan_algorithmE0ELj4294967295EEENS1_25partition_config_selectorILNS1_17partition_subalgoE3EjNS0_10empty_typeEbEEZZNS1_14partition_implILS8_3ELb0ES6_jNS0_17counting_iteratorIjlEEPS9_SE_NS0_5tupleIJPjSE_EEENSF_IJSE_SE_EEES9_SG_JZNS1_25segmented_radix_sort_implINS0_14default_configELb0EPKbPbPKlPlN2at6native12_GLOBAL__N_18offset_tEEE10hipError_tPvRmT1_PNSt15iterator_traitsISY_E10value_typeET2_T3_PNSZ_IS14_E10value_typeET4_jRbjT5_S1A_jjP12ihipStream_tbEUljE_EEESV_SW_SX_S14_S18_S1A_T6_T7_T9_mT8_S1C_bDpT10_ENKUlT_T0_E_clISt17integral_constantIbLb0EES1P_EEDaS1K_S1L_EUlS1K_E_NS1_11comp_targetILNS1_3genE9ELNS1_11target_archE1100ELNS1_3gpuE3ELNS1_3repE0EEENS1_30default_config_static_selectorELNS0_4arch9wavefront6targetE1EEEvSY_,"axG",@progbits,_ZN7rocprim17ROCPRIM_400000_NS6detail17trampoline_kernelINS0_13select_configILj256ELj13ELNS0_17block_load_methodE3ELS4_3ELS4_3ELNS0_20block_scan_algorithmE0ELj4294967295EEENS1_25partition_config_selectorILNS1_17partition_subalgoE3EjNS0_10empty_typeEbEEZZNS1_14partition_implILS8_3ELb0ES6_jNS0_17counting_iteratorIjlEEPS9_SE_NS0_5tupleIJPjSE_EEENSF_IJSE_SE_EEES9_SG_JZNS1_25segmented_radix_sort_implINS0_14default_configELb0EPKbPbPKlPlN2at6native12_GLOBAL__N_18offset_tEEE10hipError_tPvRmT1_PNSt15iterator_traitsISY_E10value_typeET2_T3_PNSZ_IS14_E10value_typeET4_jRbjT5_S1A_jjP12ihipStream_tbEUljE_EEESV_SW_SX_S14_S18_S1A_T6_T7_T9_mT8_S1C_bDpT10_ENKUlT_T0_E_clISt17integral_constantIbLb0EES1P_EEDaS1K_S1L_EUlS1K_E_NS1_11comp_targetILNS1_3genE9ELNS1_11target_archE1100ELNS1_3gpuE3ELNS1_3repE0EEENS1_30default_config_static_selectorELNS0_4arch9wavefront6targetE1EEEvSY_,comdat
.Lfunc_end1607:
	.size	_ZN7rocprim17ROCPRIM_400000_NS6detail17trampoline_kernelINS0_13select_configILj256ELj13ELNS0_17block_load_methodE3ELS4_3ELS4_3ELNS0_20block_scan_algorithmE0ELj4294967295EEENS1_25partition_config_selectorILNS1_17partition_subalgoE3EjNS0_10empty_typeEbEEZZNS1_14partition_implILS8_3ELb0ES6_jNS0_17counting_iteratorIjlEEPS9_SE_NS0_5tupleIJPjSE_EEENSF_IJSE_SE_EEES9_SG_JZNS1_25segmented_radix_sort_implINS0_14default_configELb0EPKbPbPKlPlN2at6native12_GLOBAL__N_18offset_tEEE10hipError_tPvRmT1_PNSt15iterator_traitsISY_E10value_typeET2_T3_PNSZ_IS14_E10value_typeET4_jRbjT5_S1A_jjP12ihipStream_tbEUljE_EEESV_SW_SX_S14_S18_S1A_T6_T7_T9_mT8_S1C_bDpT10_ENKUlT_T0_E_clISt17integral_constantIbLb0EES1P_EEDaS1K_S1L_EUlS1K_E_NS1_11comp_targetILNS1_3genE9ELNS1_11target_archE1100ELNS1_3gpuE3ELNS1_3repE0EEENS1_30default_config_static_selectorELNS0_4arch9wavefront6targetE1EEEvSY_, .Lfunc_end1607-_ZN7rocprim17ROCPRIM_400000_NS6detail17trampoline_kernelINS0_13select_configILj256ELj13ELNS0_17block_load_methodE3ELS4_3ELS4_3ELNS0_20block_scan_algorithmE0ELj4294967295EEENS1_25partition_config_selectorILNS1_17partition_subalgoE3EjNS0_10empty_typeEbEEZZNS1_14partition_implILS8_3ELb0ES6_jNS0_17counting_iteratorIjlEEPS9_SE_NS0_5tupleIJPjSE_EEENSF_IJSE_SE_EEES9_SG_JZNS1_25segmented_radix_sort_implINS0_14default_configELb0EPKbPbPKlPlN2at6native12_GLOBAL__N_18offset_tEEE10hipError_tPvRmT1_PNSt15iterator_traitsISY_E10value_typeET2_T3_PNSZ_IS14_E10value_typeET4_jRbjT5_S1A_jjP12ihipStream_tbEUljE_EEESV_SW_SX_S14_S18_S1A_T6_T7_T9_mT8_S1C_bDpT10_ENKUlT_T0_E_clISt17integral_constantIbLb0EES1P_EEDaS1K_S1L_EUlS1K_E_NS1_11comp_targetILNS1_3genE9ELNS1_11target_archE1100ELNS1_3gpuE3ELNS1_3repE0EEENS1_30default_config_static_selectorELNS0_4arch9wavefront6targetE1EEEvSY_
                                        ; -- End function
	.section	.AMDGPU.csdata,"",@progbits
; Kernel info:
; codeLenInByte = 0
; NumSgprs: 4
; NumVgprs: 0
; NumAgprs: 0
; TotalNumVgprs: 0
; ScratchSize: 0
; MemoryBound: 0
; FloatMode: 240
; IeeeMode: 1
; LDSByteSize: 0 bytes/workgroup (compile time only)
; SGPRBlocks: 0
; VGPRBlocks: 0
; NumSGPRsForWavesPerEU: 4
; NumVGPRsForWavesPerEU: 1
; AccumOffset: 4
; Occupancy: 8
; WaveLimiterHint : 0
; COMPUTE_PGM_RSRC2:SCRATCH_EN: 0
; COMPUTE_PGM_RSRC2:USER_SGPR: 6
; COMPUTE_PGM_RSRC2:TRAP_HANDLER: 0
; COMPUTE_PGM_RSRC2:TGID_X_EN: 1
; COMPUTE_PGM_RSRC2:TGID_Y_EN: 0
; COMPUTE_PGM_RSRC2:TGID_Z_EN: 0
; COMPUTE_PGM_RSRC2:TIDIG_COMP_CNT: 0
; COMPUTE_PGM_RSRC3_GFX90A:ACCUM_OFFSET: 0
; COMPUTE_PGM_RSRC3_GFX90A:TG_SPLIT: 0
	.section	.text._ZN7rocprim17ROCPRIM_400000_NS6detail17trampoline_kernelINS0_13select_configILj256ELj13ELNS0_17block_load_methodE3ELS4_3ELS4_3ELNS0_20block_scan_algorithmE0ELj4294967295EEENS1_25partition_config_selectorILNS1_17partition_subalgoE3EjNS0_10empty_typeEbEEZZNS1_14partition_implILS8_3ELb0ES6_jNS0_17counting_iteratorIjlEEPS9_SE_NS0_5tupleIJPjSE_EEENSF_IJSE_SE_EEES9_SG_JZNS1_25segmented_radix_sort_implINS0_14default_configELb0EPKbPbPKlPlN2at6native12_GLOBAL__N_18offset_tEEE10hipError_tPvRmT1_PNSt15iterator_traitsISY_E10value_typeET2_T3_PNSZ_IS14_E10value_typeET4_jRbjT5_S1A_jjP12ihipStream_tbEUljE_EEESV_SW_SX_S14_S18_S1A_T6_T7_T9_mT8_S1C_bDpT10_ENKUlT_T0_E_clISt17integral_constantIbLb0EES1P_EEDaS1K_S1L_EUlS1K_E_NS1_11comp_targetILNS1_3genE8ELNS1_11target_archE1030ELNS1_3gpuE2ELNS1_3repE0EEENS1_30default_config_static_selectorELNS0_4arch9wavefront6targetE1EEEvSY_,"axG",@progbits,_ZN7rocprim17ROCPRIM_400000_NS6detail17trampoline_kernelINS0_13select_configILj256ELj13ELNS0_17block_load_methodE3ELS4_3ELS4_3ELNS0_20block_scan_algorithmE0ELj4294967295EEENS1_25partition_config_selectorILNS1_17partition_subalgoE3EjNS0_10empty_typeEbEEZZNS1_14partition_implILS8_3ELb0ES6_jNS0_17counting_iteratorIjlEEPS9_SE_NS0_5tupleIJPjSE_EEENSF_IJSE_SE_EEES9_SG_JZNS1_25segmented_radix_sort_implINS0_14default_configELb0EPKbPbPKlPlN2at6native12_GLOBAL__N_18offset_tEEE10hipError_tPvRmT1_PNSt15iterator_traitsISY_E10value_typeET2_T3_PNSZ_IS14_E10value_typeET4_jRbjT5_S1A_jjP12ihipStream_tbEUljE_EEESV_SW_SX_S14_S18_S1A_T6_T7_T9_mT8_S1C_bDpT10_ENKUlT_T0_E_clISt17integral_constantIbLb0EES1P_EEDaS1K_S1L_EUlS1K_E_NS1_11comp_targetILNS1_3genE8ELNS1_11target_archE1030ELNS1_3gpuE2ELNS1_3repE0EEENS1_30default_config_static_selectorELNS0_4arch9wavefront6targetE1EEEvSY_,comdat
	.globl	_ZN7rocprim17ROCPRIM_400000_NS6detail17trampoline_kernelINS0_13select_configILj256ELj13ELNS0_17block_load_methodE3ELS4_3ELS4_3ELNS0_20block_scan_algorithmE0ELj4294967295EEENS1_25partition_config_selectorILNS1_17partition_subalgoE3EjNS0_10empty_typeEbEEZZNS1_14partition_implILS8_3ELb0ES6_jNS0_17counting_iteratorIjlEEPS9_SE_NS0_5tupleIJPjSE_EEENSF_IJSE_SE_EEES9_SG_JZNS1_25segmented_radix_sort_implINS0_14default_configELb0EPKbPbPKlPlN2at6native12_GLOBAL__N_18offset_tEEE10hipError_tPvRmT1_PNSt15iterator_traitsISY_E10value_typeET2_T3_PNSZ_IS14_E10value_typeET4_jRbjT5_S1A_jjP12ihipStream_tbEUljE_EEESV_SW_SX_S14_S18_S1A_T6_T7_T9_mT8_S1C_bDpT10_ENKUlT_T0_E_clISt17integral_constantIbLb0EES1P_EEDaS1K_S1L_EUlS1K_E_NS1_11comp_targetILNS1_3genE8ELNS1_11target_archE1030ELNS1_3gpuE2ELNS1_3repE0EEENS1_30default_config_static_selectorELNS0_4arch9wavefront6targetE1EEEvSY_ ; -- Begin function _ZN7rocprim17ROCPRIM_400000_NS6detail17trampoline_kernelINS0_13select_configILj256ELj13ELNS0_17block_load_methodE3ELS4_3ELS4_3ELNS0_20block_scan_algorithmE0ELj4294967295EEENS1_25partition_config_selectorILNS1_17partition_subalgoE3EjNS0_10empty_typeEbEEZZNS1_14partition_implILS8_3ELb0ES6_jNS0_17counting_iteratorIjlEEPS9_SE_NS0_5tupleIJPjSE_EEENSF_IJSE_SE_EEES9_SG_JZNS1_25segmented_radix_sort_implINS0_14default_configELb0EPKbPbPKlPlN2at6native12_GLOBAL__N_18offset_tEEE10hipError_tPvRmT1_PNSt15iterator_traitsISY_E10value_typeET2_T3_PNSZ_IS14_E10value_typeET4_jRbjT5_S1A_jjP12ihipStream_tbEUljE_EEESV_SW_SX_S14_S18_S1A_T6_T7_T9_mT8_S1C_bDpT10_ENKUlT_T0_E_clISt17integral_constantIbLb0EES1P_EEDaS1K_S1L_EUlS1K_E_NS1_11comp_targetILNS1_3genE8ELNS1_11target_archE1030ELNS1_3gpuE2ELNS1_3repE0EEENS1_30default_config_static_selectorELNS0_4arch9wavefront6targetE1EEEvSY_
	.p2align	8
	.type	_ZN7rocprim17ROCPRIM_400000_NS6detail17trampoline_kernelINS0_13select_configILj256ELj13ELNS0_17block_load_methodE3ELS4_3ELS4_3ELNS0_20block_scan_algorithmE0ELj4294967295EEENS1_25partition_config_selectorILNS1_17partition_subalgoE3EjNS0_10empty_typeEbEEZZNS1_14partition_implILS8_3ELb0ES6_jNS0_17counting_iteratorIjlEEPS9_SE_NS0_5tupleIJPjSE_EEENSF_IJSE_SE_EEES9_SG_JZNS1_25segmented_radix_sort_implINS0_14default_configELb0EPKbPbPKlPlN2at6native12_GLOBAL__N_18offset_tEEE10hipError_tPvRmT1_PNSt15iterator_traitsISY_E10value_typeET2_T3_PNSZ_IS14_E10value_typeET4_jRbjT5_S1A_jjP12ihipStream_tbEUljE_EEESV_SW_SX_S14_S18_S1A_T6_T7_T9_mT8_S1C_bDpT10_ENKUlT_T0_E_clISt17integral_constantIbLb0EES1P_EEDaS1K_S1L_EUlS1K_E_NS1_11comp_targetILNS1_3genE8ELNS1_11target_archE1030ELNS1_3gpuE2ELNS1_3repE0EEENS1_30default_config_static_selectorELNS0_4arch9wavefront6targetE1EEEvSY_,@function
_ZN7rocprim17ROCPRIM_400000_NS6detail17trampoline_kernelINS0_13select_configILj256ELj13ELNS0_17block_load_methodE3ELS4_3ELS4_3ELNS0_20block_scan_algorithmE0ELj4294967295EEENS1_25partition_config_selectorILNS1_17partition_subalgoE3EjNS0_10empty_typeEbEEZZNS1_14partition_implILS8_3ELb0ES6_jNS0_17counting_iteratorIjlEEPS9_SE_NS0_5tupleIJPjSE_EEENSF_IJSE_SE_EEES9_SG_JZNS1_25segmented_radix_sort_implINS0_14default_configELb0EPKbPbPKlPlN2at6native12_GLOBAL__N_18offset_tEEE10hipError_tPvRmT1_PNSt15iterator_traitsISY_E10value_typeET2_T3_PNSZ_IS14_E10value_typeET4_jRbjT5_S1A_jjP12ihipStream_tbEUljE_EEESV_SW_SX_S14_S18_S1A_T6_T7_T9_mT8_S1C_bDpT10_ENKUlT_T0_E_clISt17integral_constantIbLb0EES1P_EEDaS1K_S1L_EUlS1K_E_NS1_11comp_targetILNS1_3genE8ELNS1_11target_archE1030ELNS1_3gpuE2ELNS1_3repE0EEENS1_30default_config_static_selectorELNS0_4arch9wavefront6targetE1EEEvSY_: ; @_ZN7rocprim17ROCPRIM_400000_NS6detail17trampoline_kernelINS0_13select_configILj256ELj13ELNS0_17block_load_methodE3ELS4_3ELS4_3ELNS0_20block_scan_algorithmE0ELj4294967295EEENS1_25partition_config_selectorILNS1_17partition_subalgoE3EjNS0_10empty_typeEbEEZZNS1_14partition_implILS8_3ELb0ES6_jNS0_17counting_iteratorIjlEEPS9_SE_NS0_5tupleIJPjSE_EEENSF_IJSE_SE_EEES9_SG_JZNS1_25segmented_radix_sort_implINS0_14default_configELb0EPKbPbPKlPlN2at6native12_GLOBAL__N_18offset_tEEE10hipError_tPvRmT1_PNSt15iterator_traitsISY_E10value_typeET2_T3_PNSZ_IS14_E10value_typeET4_jRbjT5_S1A_jjP12ihipStream_tbEUljE_EEESV_SW_SX_S14_S18_S1A_T6_T7_T9_mT8_S1C_bDpT10_ENKUlT_T0_E_clISt17integral_constantIbLb0EES1P_EEDaS1K_S1L_EUlS1K_E_NS1_11comp_targetILNS1_3genE8ELNS1_11target_archE1030ELNS1_3gpuE2ELNS1_3repE0EEENS1_30default_config_static_selectorELNS0_4arch9wavefront6targetE1EEEvSY_
; %bb.0:
	.section	.rodata,"a",@progbits
	.p2align	6, 0x0
	.amdhsa_kernel _ZN7rocprim17ROCPRIM_400000_NS6detail17trampoline_kernelINS0_13select_configILj256ELj13ELNS0_17block_load_methodE3ELS4_3ELS4_3ELNS0_20block_scan_algorithmE0ELj4294967295EEENS1_25partition_config_selectorILNS1_17partition_subalgoE3EjNS0_10empty_typeEbEEZZNS1_14partition_implILS8_3ELb0ES6_jNS0_17counting_iteratorIjlEEPS9_SE_NS0_5tupleIJPjSE_EEENSF_IJSE_SE_EEES9_SG_JZNS1_25segmented_radix_sort_implINS0_14default_configELb0EPKbPbPKlPlN2at6native12_GLOBAL__N_18offset_tEEE10hipError_tPvRmT1_PNSt15iterator_traitsISY_E10value_typeET2_T3_PNSZ_IS14_E10value_typeET4_jRbjT5_S1A_jjP12ihipStream_tbEUljE_EEESV_SW_SX_S14_S18_S1A_T6_T7_T9_mT8_S1C_bDpT10_ENKUlT_T0_E_clISt17integral_constantIbLb0EES1P_EEDaS1K_S1L_EUlS1K_E_NS1_11comp_targetILNS1_3genE8ELNS1_11target_archE1030ELNS1_3gpuE2ELNS1_3repE0EEENS1_30default_config_static_selectorELNS0_4arch9wavefront6targetE1EEEvSY_
		.amdhsa_group_segment_fixed_size 0
		.amdhsa_private_segment_fixed_size 0
		.amdhsa_kernarg_size 144
		.amdhsa_user_sgpr_count 6
		.amdhsa_user_sgpr_private_segment_buffer 1
		.amdhsa_user_sgpr_dispatch_ptr 0
		.amdhsa_user_sgpr_queue_ptr 0
		.amdhsa_user_sgpr_kernarg_segment_ptr 1
		.amdhsa_user_sgpr_dispatch_id 0
		.amdhsa_user_sgpr_flat_scratch_init 0
		.amdhsa_user_sgpr_kernarg_preload_length 0
		.amdhsa_user_sgpr_kernarg_preload_offset 0
		.amdhsa_user_sgpr_private_segment_size 0
		.amdhsa_uses_dynamic_stack 0
		.amdhsa_system_sgpr_private_segment_wavefront_offset 0
		.amdhsa_system_sgpr_workgroup_id_x 1
		.amdhsa_system_sgpr_workgroup_id_y 0
		.amdhsa_system_sgpr_workgroup_id_z 0
		.amdhsa_system_sgpr_workgroup_info 0
		.amdhsa_system_vgpr_workitem_id 0
		.amdhsa_next_free_vgpr 1
		.amdhsa_next_free_sgpr 0
		.amdhsa_accum_offset 4
		.amdhsa_reserve_vcc 0
		.amdhsa_reserve_flat_scratch 0
		.amdhsa_float_round_mode_32 0
		.amdhsa_float_round_mode_16_64 0
		.amdhsa_float_denorm_mode_32 3
		.amdhsa_float_denorm_mode_16_64 3
		.amdhsa_dx10_clamp 1
		.amdhsa_ieee_mode 1
		.amdhsa_fp16_overflow 0
		.amdhsa_tg_split 0
		.amdhsa_exception_fp_ieee_invalid_op 0
		.amdhsa_exception_fp_denorm_src 0
		.amdhsa_exception_fp_ieee_div_zero 0
		.amdhsa_exception_fp_ieee_overflow 0
		.amdhsa_exception_fp_ieee_underflow 0
		.amdhsa_exception_fp_ieee_inexact 0
		.amdhsa_exception_int_div_zero 0
	.end_amdhsa_kernel
	.section	.text._ZN7rocprim17ROCPRIM_400000_NS6detail17trampoline_kernelINS0_13select_configILj256ELj13ELNS0_17block_load_methodE3ELS4_3ELS4_3ELNS0_20block_scan_algorithmE0ELj4294967295EEENS1_25partition_config_selectorILNS1_17partition_subalgoE3EjNS0_10empty_typeEbEEZZNS1_14partition_implILS8_3ELb0ES6_jNS0_17counting_iteratorIjlEEPS9_SE_NS0_5tupleIJPjSE_EEENSF_IJSE_SE_EEES9_SG_JZNS1_25segmented_radix_sort_implINS0_14default_configELb0EPKbPbPKlPlN2at6native12_GLOBAL__N_18offset_tEEE10hipError_tPvRmT1_PNSt15iterator_traitsISY_E10value_typeET2_T3_PNSZ_IS14_E10value_typeET4_jRbjT5_S1A_jjP12ihipStream_tbEUljE_EEESV_SW_SX_S14_S18_S1A_T6_T7_T9_mT8_S1C_bDpT10_ENKUlT_T0_E_clISt17integral_constantIbLb0EES1P_EEDaS1K_S1L_EUlS1K_E_NS1_11comp_targetILNS1_3genE8ELNS1_11target_archE1030ELNS1_3gpuE2ELNS1_3repE0EEENS1_30default_config_static_selectorELNS0_4arch9wavefront6targetE1EEEvSY_,"axG",@progbits,_ZN7rocprim17ROCPRIM_400000_NS6detail17trampoline_kernelINS0_13select_configILj256ELj13ELNS0_17block_load_methodE3ELS4_3ELS4_3ELNS0_20block_scan_algorithmE0ELj4294967295EEENS1_25partition_config_selectorILNS1_17partition_subalgoE3EjNS0_10empty_typeEbEEZZNS1_14partition_implILS8_3ELb0ES6_jNS0_17counting_iteratorIjlEEPS9_SE_NS0_5tupleIJPjSE_EEENSF_IJSE_SE_EEES9_SG_JZNS1_25segmented_radix_sort_implINS0_14default_configELb0EPKbPbPKlPlN2at6native12_GLOBAL__N_18offset_tEEE10hipError_tPvRmT1_PNSt15iterator_traitsISY_E10value_typeET2_T3_PNSZ_IS14_E10value_typeET4_jRbjT5_S1A_jjP12ihipStream_tbEUljE_EEESV_SW_SX_S14_S18_S1A_T6_T7_T9_mT8_S1C_bDpT10_ENKUlT_T0_E_clISt17integral_constantIbLb0EES1P_EEDaS1K_S1L_EUlS1K_E_NS1_11comp_targetILNS1_3genE8ELNS1_11target_archE1030ELNS1_3gpuE2ELNS1_3repE0EEENS1_30default_config_static_selectorELNS0_4arch9wavefront6targetE1EEEvSY_,comdat
.Lfunc_end1608:
	.size	_ZN7rocprim17ROCPRIM_400000_NS6detail17trampoline_kernelINS0_13select_configILj256ELj13ELNS0_17block_load_methodE3ELS4_3ELS4_3ELNS0_20block_scan_algorithmE0ELj4294967295EEENS1_25partition_config_selectorILNS1_17partition_subalgoE3EjNS0_10empty_typeEbEEZZNS1_14partition_implILS8_3ELb0ES6_jNS0_17counting_iteratorIjlEEPS9_SE_NS0_5tupleIJPjSE_EEENSF_IJSE_SE_EEES9_SG_JZNS1_25segmented_radix_sort_implINS0_14default_configELb0EPKbPbPKlPlN2at6native12_GLOBAL__N_18offset_tEEE10hipError_tPvRmT1_PNSt15iterator_traitsISY_E10value_typeET2_T3_PNSZ_IS14_E10value_typeET4_jRbjT5_S1A_jjP12ihipStream_tbEUljE_EEESV_SW_SX_S14_S18_S1A_T6_T7_T9_mT8_S1C_bDpT10_ENKUlT_T0_E_clISt17integral_constantIbLb0EES1P_EEDaS1K_S1L_EUlS1K_E_NS1_11comp_targetILNS1_3genE8ELNS1_11target_archE1030ELNS1_3gpuE2ELNS1_3repE0EEENS1_30default_config_static_selectorELNS0_4arch9wavefront6targetE1EEEvSY_, .Lfunc_end1608-_ZN7rocprim17ROCPRIM_400000_NS6detail17trampoline_kernelINS0_13select_configILj256ELj13ELNS0_17block_load_methodE3ELS4_3ELS4_3ELNS0_20block_scan_algorithmE0ELj4294967295EEENS1_25partition_config_selectorILNS1_17partition_subalgoE3EjNS0_10empty_typeEbEEZZNS1_14partition_implILS8_3ELb0ES6_jNS0_17counting_iteratorIjlEEPS9_SE_NS0_5tupleIJPjSE_EEENSF_IJSE_SE_EEES9_SG_JZNS1_25segmented_radix_sort_implINS0_14default_configELb0EPKbPbPKlPlN2at6native12_GLOBAL__N_18offset_tEEE10hipError_tPvRmT1_PNSt15iterator_traitsISY_E10value_typeET2_T3_PNSZ_IS14_E10value_typeET4_jRbjT5_S1A_jjP12ihipStream_tbEUljE_EEESV_SW_SX_S14_S18_S1A_T6_T7_T9_mT8_S1C_bDpT10_ENKUlT_T0_E_clISt17integral_constantIbLb0EES1P_EEDaS1K_S1L_EUlS1K_E_NS1_11comp_targetILNS1_3genE8ELNS1_11target_archE1030ELNS1_3gpuE2ELNS1_3repE0EEENS1_30default_config_static_selectorELNS0_4arch9wavefront6targetE1EEEvSY_
                                        ; -- End function
	.section	.AMDGPU.csdata,"",@progbits
; Kernel info:
; codeLenInByte = 0
; NumSgprs: 4
; NumVgprs: 0
; NumAgprs: 0
; TotalNumVgprs: 0
; ScratchSize: 0
; MemoryBound: 0
; FloatMode: 240
; IeeeMode: 1
; LDSByteSize: 0 bytes/workgroup (compile time only)
; SGPRBlocks: 0
; VGPRBlocks: 0
; NumSGPRsForWavesPerEU: 4
; NumVGPRsForWavesPerEU: 1
; AccumOffset: 4
; Occupancy: 8
; WaveLimiterHint : 0
; COMPUTE_PGM_RSRC2:SCRATCH_EN: 0
; COMPUTE_PGM_RSRC2:USER_SGPR: 6
; COMPUTE_PGM_RSRC2:TRAP_HANDLER: 0
; COMPUTE_PGM_RSRC2:TGID_X_EN: 1
; COMPUTE_PGM_RSRC2:TGID_Y_EN: 0
; COMPUTE_PGM_RSRC2:TGID_Z_EN: 0
; COMPUTE_PGM_RSRC2:TIDIG_COMP_CNT: 0
; COMPUTE_PGM_RSRC3_GFX90A:ACCUM_OFFSET: 0
; COMPUTE_PGM_RSRC3_GFX90A:TG_SPLIT: 0
	.section	.text._ZN7rocprim17ROCPRIM_400000_NS6detail17trampoline_kernelINS0_13select_configILj256ELj13ELNS0_17block_load_methodE3ELS4_3ELS4_3ELNS0_20block_scan_algorithmE0ELj4294967295EEENS1_25partition_config_selectorILNS1_17partition_subalgoE3EjNS0_10empty_typeEbEEZZNS1_14partition_implILS8_3ELb0ES6_jNS0_17counting_iteratorIjlEEPS9_SE_NS0_5tupleIJPjSE_EEENSF_IJSE_SE_EEES9_SG_JZNS1_25segmented_radix_sort_implINS0_14default_configELb0EPKbPbPKlPlN2at6native12_GLOBAL__N_18offset_tEEE10hipError_tPvRmT1_PNSt15iterator_traitsISY_E10value_typeET2_T3_PNSZ_IS14_E10value_typeET4_jRbjT5_S1A_jjP12ihipStream_tbEUljE_EEESV_SW_SX_S14_S18_S1A_T6_T7_T9_mT8_S1C_bDpT10_ENKUlT_T0_E_clISt17integral_constantIbLb1EES1P_EEDaS1K_S1L_EUlS1K_E_NS1_11comp_targetILNS1_3genE0ELNS1_11target_archE4294967295ELNS1_3gpuE0ELNS1_3repE0EEENS1_30default_config_static_selectorELNS0_4arch9wavefront6targetE1EEEvSY_,"axG",@progbits,_ZN7rocprim17ROCPRIM_400000_NS6detail17trampoline_kernelINS0_13select_configILj256ELj13ELNS0_17block_load_methodE3ELS4_3ELS4_3ELNS0_20block_scan_algorithmE0ELj4294967295EEENS1_25partition_config_selectorILNS1_17partition_subalgoE3EjNS0_10empty_typeEbEEZZNS1_14partition_implILS8_3ELb0ES6_jNS0_17counting_iteratorIjlEEPS9_SE_NS0_5tupleIJPjSE_EEENSF_IJSE_SE_EEES9_SG_JZNS1_25segmented_radix_sort_implINS0_14default_configELb0EPKbPbPKlPlN2at6native12_GLOBAL__N_18offset_tEEE10hipError_tPvRmT1_PNSt15iterator_traitsISY_E10value_typeET2_T3_PNSZ_IS14_E10value_typeET4_jRbjT5_S1A_jjP12ihipStream_tbEUljE_EEESV_SW_SX_S14_S18_S1A_T6_T7_T9_mT8_S1C_bDpT10_ENKUlT_T0_E_clISt17integral_constantIbLb1EES1P_EEDaS1K_S1L_EUlS1K_E_NS1_11comp_targetILNS1_3genE0ELNS1_11target_archE4294967295ELNS1_3gpuE0ELNS1_3repE0EEENS1_30default_config_static_selectorELNS0_4arch9wavefront6targetE1EEEvSY_,comdat
	.globl	_ZN7rocprim17ROCPRIM_400000_NS6detail17trampoline_kernelINS0_13select_configILj256ELj13ELNS0_17block_load_methodE3ELS4_3ELS4_3ELNS0_20block_scan_algorithmE0ELj4294967295EEENS1_25partition_config_selectorILNS1_17partition_subalgoE3EjNS0_10empty_typeEbEEZZNS1_14partition_implILS8_3ELb0ES6_jNS0_17counting_iteratorIjlEEPS9_SE_NS0_5tupleIJPjSE_EEENSF_IJSE_SE_EEES9_SG_JZNS1_25segmented_radix_sort_implINS0_14default_configELb0EPKbPbPKlPlN2at6native12_GLOBAL__N_18offset_tEEE10hipError_tPvRmT1_PNSt15iterator_traitsISY_E10value_typeET2_T3_PNSZ_IS14_E10value_typeET4_jRbjT5_S1A_jjP12ihipStream_tbEUljE_EEESV_SW_SX_S14_S18_S1A_T6_T7_T9_mT8_S1C_bDpT10_ENKUlT_T0_E_clISt17integral_constantIbLb1EES1P_EEDaS1K_S1L_EUlS1K_E_NS1_11comp_targetILNS1_3genE0ELNS1_11target_archE4294967295ELNS1_3gpuE0ELNS1_3repE0EEENS1_30default_config_static_selectorELNS0_4arch9wavefront6targetE1EEEvSY_ ; -- Begin function _ZN7rocprim17ROCPRIM_400000_NS6detail17trampoline_kernelINS0_13select_configILj256ELj13ELNS0_17block_load_methodE3ELS4_3ELS4_3ELNS0_20block_scan_algorithmE0ELj4294967295EEENS1_25partition_config_selectorILNS1_17partition_subalgoE3EjNS0_10empty_typeEbEEZZNS1_14partition_implILS8_3ELb0ES6_jNS0_17counting_iteratorIjlEEPS9_SE_NS0_5tupleIJPjSE_EEENSF_IJSE_SE_EEES9_SG_JZNS1_25segmented_radix_sort_implINS0_14default_configELb0EPKbPbPKlPlN2at6native12_GLOBAL__N_18offset_tEEE10hipError_tPvRmT1_PNSt15iterator_traitsISY_E10value_typeET2_T3_PNSZ_IS14_E10value_typeET4_jRbjT5_S1A_jjP12ihipStream_tbEUljE_EEESV_SW_SX_S14_S18_S1A_T6_T7_T9_mT8_S1C_bDpT10_ENKUlT_T0_E_clISt17integral_constantIbLb1EES1P_EEDaS1K_S1L_EUlS1K_E_NS1_11comp_targetILNS1_3genE0ELNS1_11target_archE4294967295ELNS1_3gpuE0ELNS1_3repE0EEENS1_30default_config_static_selectorELNS0_4arch9wavefront6targetE1EEEvSY_
	.p2align	8
	.type	_ZN7rocprim17ROCPRIM_400000_NS6detail17trampoline_kernelINS0_13select_configILj256ELj13ELNS0_17block_load_methodE3ELS4_3ELS4_3ELNS0_20block_scan_algorithmE0ELj4294967295EEENS1_25partition_config_selectorILNS1_17partition_subalgoE3EjNS0_10empty_typeEbEEZZNS1_14partition_implILS8_3ELb0ES6_jNS0_17counting_iteratorIjlEEPS9_SE_NS0_5tupleIJPjSE_EEENSF_IJSE_SE_EEES9_SG_JZNS1_25segmented_radix_sort_implINS0_14default_configELb0EPKbPbPKlPlN2at6native12_GLOBAL__N_18offset_tEEE10hipError_tPvRmT1_PNSt15iterator_traitsISY_E10value_typeET2_T3_PNSZ_IS14_E10value_typeET4_jRbjT5_S1A_jjP12ihipStream_tbEUljE_EEESV_SW_SX_S14_S18_S1A_T6_T7_T9_mT8_S1C_bDpT10_ENKUlT_T0_E_clISt17integral_constantIbLb1EES1P_EEDaS1K_S1L_EUlS1K_E_NS1_11comp_targetILNS1_3genE0ELNS1_11target_archE4294967295ELNS1_3gpuE0ELNS1_3repE0EEENS1_30default_config_static_selectorELNS0_4arch9wavefront6targetE1EEEvSY_,@function
_ZN7rocprim17ROCPRIM_400000_NS6detail17trampoline_kernelINS0_13select_configILj256ELj13ELNS0_17block_load_methodE3ELS4_3ELS4_3ELNS0_20block_scan_algorithmE0ELj4294967295EEENS1_25partition_config_selectorILNS1_17partition_subalgoE3EjNS0_10empty_typeEbEEZZNS1_14partition_implILS8_3ELb0ES6_jNS0_17counting_iteratorIjlEEPS9_SE_NS0_5tupleIJPjSE_EEENSF_IJSE_SE_EEES9_SG_JZNS1_25segmented_radix_sort_implINS0_14default_configELb0EPKbPbPKlPlN2at6native12_GLOBAL__N_18offset_tEEE10hipError_tPvRmT1_PNSt15iterator_traitsISY_E10value_typeET2_T3_PNSZ_IS14_E10value_typeET4_jRbjT5_S1A_jjP12ihipStream_tbEUljE_EEESV_SW_SX_S14_S18_S1A_T6_T7_T9_mT8_S1C_bDpT10_ENKUlT_T0_E_clISt17integral_constantIbLb1EES1P_EEDaS1K_S1L_EUlS1K_E_NS1_11comp_targetILNS1_3genE0ELNS1_11target_archE4294967295ELNS1_3gpuE0ELNS1_3repE0EEENS1_30default_config_static_selectorELNS0_4arch9wavefront6targetE1EEEvSY_: ; @_ZN7rocprim17ROCPRIM_400000_NS6detail17trampoline_kernelINS0_13select_configILj256ELj13ELNS0_17block_load_methodE3ELS4_3ELS4_3ELNS0_20block_scan_algorithmE0ELj4294967295EEENS1_25partition_config_selectorILNS1_17partition_subalgoE3EjNS0_10empty_typeEbEEZZNS1_14partition_implILS8_3ELb0ES6_jNS0_17counting_iteratorIjlEEPS9_SE_NS0_5tupleIJPjSE_EEENSF_IJSE_SE_EEES9_SG_JZNS1_25segmented_radix_sort_implINS0_14default_configELb0EPKbPbPKlPlN2at6native12_GLOBAL__N_18offset_tEEE10hipError_tPvRmT1_PNSt15iterator_traitsISY_E10value_typeET2_T3_PNSZ_IS14_E10value_typeET4_jRbjT5_S1A_jjP12ihipStream_tbEUljE_EEESV_SW_SX_S14_S18_S1A_T6_T7_T9_mT8_S1C_bDpT10_ENKUlT_T0_E_clISt17integral_constantIbLb1EES1P_EEDaS1K_S1L_EUlS1K_E_NS1_11comp_targetILNS1_3genE0ELNS1_11target_archE4294967295ELNS1_3gpuE0ELNS1_3repE0EEENS1_30default_config_static_selectorELNS0_4arch9wavefront6targetE1EEEvSY_
; %bb.0:
	.section	.rodata,"a",@progbits
	.p2align	6, 0x0
	.amdhsa_kernel _ZN7rocprim17ROCPRIM_400000_NS6detail17trampoline_kernelINS0_13select_configILj256ELj13ELNS0_17block_load_methodE3ELS4_3ELS4_3ELNS0_20block_scan_algorithmE0ELj4294967295EEENS1_25partition_config_selectorILNS1_17partition_subalgoE3EjNS0_10empty_typeEbEEZZNS1_14partition_implILS8_3ELb0ES6_jNS0_17counting_iteratorIjlEEPS9_SE_NS0_5tupleIJPjSE_EEENSF_IJSE_SE_EEES9_SG_JZNS1_25segmented_radix_sort_implINS0_14default_configELb0EPKbPbPKlPlN2at6native12_GLOBAL__N_18offset_tEEE10hipError_tPvRmT1_PNSt15iterator_traitsISY_E10value_typeET2_T3_PNSZ_IS14_E10value_typeET4_jRbjT5_S1A_jjP12ihipStream_tbEUljE_EEESV_SW_SX_S14_S18_S1A_T6_T7_T9_mT8_S1C_bDpT10_ENKUlT_T0_E_clISt17integral_constantIbLb1EES1P_EEDaS1K_S1L_EUlS1K_E_NS1_11comp_targetILNS1_3genE0ELNS1_11target_archE4294967295ELNS1_3gpuE0ELNS1_3repE0EEENS1_30default_config_static_selectorELNS0_4arch9wavefront6targetE1EEEvSY_
		.amdhsa_group_segment_fixed_size 0
		.amdhsa_private_segment_fixed_size 0
		.amdhsa_kernarg_size 152
		.amdhsa_user_sgpr_count 6
		.amdhsa_user_sgpr_private_segment_buffer 1
		.amdhsa_user_sgpr_dispatch_ptr 0
		.amdhsa_user_sgpr_queue_ptr 0
		.amdhsa_user_sgpr_kernarg_segment_ptr 1
		.amdhsa_user_sgpr_dispatch_id 0
		.amdhsa_user_sgpr_flat_scratch_init 0
		.amdhsa_user_sgpr_kernarg_preload_length 0
		.amdhsa_user_sgpr_kernarg_preload_offset 0
		.amdhsa_user_sgpr_private_segment_size 0
		.amdhsa_uses_dynamic_stack 0
		.amdhsa_system_sgpr_private_segment_wavefront_offset 0
		.amdhsa_system_sgpr_workgroup_id_x 1
		.amdhsa_system_sgpr_workgroup_id_y 0
		.amdhsa_system_sgpr_workgroup_id_z 0
		.amdhsa_system_sgpr_workgroup_info 0
		.amdhsa_system_vgpr_workitem_id 0
		.amdhsa_next_free_vgpr 1
		.amdhsa_next_free_sgpr 0
		.amdhsa_accum_offset 4
		.amdhsa_reserve_vcc 0
		.amdhsa_reserve_flat_scratch 0
		.amdhsa_float_round_mode_32 0
		.amdhsa_float_round_mode_16_64 0
		.amdhsa_float_denorm_mode_32 3
		.amdhsa_float_denorm_mode_16_64 3
		.amdhsa_dx10_clamp 1
		.amdhsa_ieee_mode 1
		.amdhsa_fp16_overflow 0
		.amdhsa_tg_split 0
		.amdhsa_exception_fp_ieee_invalid_op 0
		.amdhsa_exception_fp_denorm_src 0
		.amdhsa_exception_fp_ieee_div_zero 0
		.amdhsa_exception_fp_ieee_overflow 0
		.amdhsa_exception_fp_ieee_underflow 0
		.amdhsa_exception_fp_ieee_inexact 0
		.amdhsa_exception_int_div_zero 0
	.end_amdhsa_kernel
	.section	.text._ZN7rocprim17ROCPRIM_400000_NS6detail17trampoline_kernelINS0_13select_configILj256ELj13ELNS0_17block_load_methodE3ELS4_3ELS4_3ELNS0_20block_scan_algorithmE0ELj4294967295EEENS1_25partition_config_selectorILNS1_17partition_subalgoE3EjNS0_10empty_typeEbEEZZNS1_14partition_implILS8_3ELb0ES6_jNS0_17counting_iteratorIjlEEPS9_SE_NS0_5tupleIJPjSE_EEENSF_IJSE_SE_EEES9_SG_JZNS1_25segmented_radix_sort_implINS0_14default_configELb0EPKbPbPKlPlN2at6native12_GLOBAL__N_18offset_tEEE10hipError_tPvRmT1_PNSt15iterator_traitsISY_E10value_typeET2_T3_PNSZ_IS14_E10value_typeET4_jRbjT5_S1A_jjP12ihipStream_tbEUljE_EEESV_SW_SX_S14_S18_S1A_T6_T7_T9_mT8_S1C_bDpT10_ENKUlT_T0_E_clISt17integral_constantIbLb1EES1P_EEDaS1K_S1L_EUlS1K_E_NS1_11comp_targetILNS1_3genE0ELNS1_11target_archE4294967295ELNS1_3gpuE0ELNS1_3repE0EEENS1_30default_config_static_selectorELNS0_4arch9wavefront6targetE1EEEvSY_,"axG",@progbits,_ZN7rocprim17ROCPRIM_400000_NS6detail17trampoline_kernelINS0_13select_configILj256ELj13ELNS0_17block_load_methodE3ELS4_3ELS4_3ELNS0_20block_scan_algorithmE0ELj4294967295EEENS1_25partition_config_selectorILNS1_17partition_subalgoE3EjNS0_10empty_typeEbEEZZNS1_14partition_implILS8_3ELb0ES6_jNS0_17counting_iteratorIjlEEPS9_SE_NS0_5tupleIJPjSE_EEENSF_IJSE_SE_EEES9_SG_JZNS1_25segmented_radix_sort_implINS0_14default_configELb0EPKbPbPKlPlN2at6native12_GLOBAL__N_18offset_tEEE10hipError_tPvRmT1_PNSt15iterator_traitsISY_E10value_typeET2_T3_PNSZ_IS14_E10value_typeET4_jRbjT5_S1A_jjP12ihipStream_tbEUljE_EEESV_SW_SX_S14_S18_S1A_T6_T7_T9_mT8_S1C_bDpT10_ENKUlT_T0_E_clISt17integral_constantIbLb1EES1P_EEDaS1K_S1L_EUlS1K_E_NS1_11comp_targetILNS1_3genE0ELNS1_11target_archE4294967295ELNS1_3gpuE0ELNS1_3repE0EEENS1_30default_config_static_selectorELNS0_4arch9wavefront6targetE1EEEvSY_,comdat
.Lfunc_end1609:
	.size	_ZN7rocprim17ROCPRIM_400000_NS6detail17trampoline_kernelINS0_13select_configILj256ELj13ELNS0_17block_load_methodE3ELS4_3ELS4_3ELNS0_20block_scan_algorithmE0ELj4294967295EEENS1_25partition_config_selectorILNS1_17partition_subalgoE3EjNS0_10empty_typeEbEEZZNS1_14partition_implILS8_3ELb0ES6_jNS0_17counting_iteratorIjlEEPS9_SE_NS0_5tupleIJPjSE_EEENSF_IJSE_SE_EEES9_SG_JZNS1_25segmented_radix_sort_implINS0_14default_configELb0EPKbPbPKlPlN2at6native12_GLOBAL__N_18offset_tEEE10hipError_tPvRmT1_PNSt15iterator_traitsISY_E10value_typeET2_T3_PNSZ_IS14_E10value_typeET4_jRbjT5_S1A_jjP12ihipStream_tbEUljE_EEESV_SW_SX_S14_S18_S1A_T6_T7_T9_mT8_S1C_bDpT10_ENKUlT_T0_E_clISt17integral_constantIbLb1EES1P_EEDaS1K_S1L_EUlS1K_E_NS1_11comp_targetILNS1_3genE0ELNS1_11target_archE4294967295ELNS1_3gpuE0ELNS1_3repE0EEENS1_30default_config_static_selectorELNS0_4arch9wavefront6targetE1EEEvSY_, .Lfunc_end1609-_ZN7rocprim17ROCPRIM_400000_NS6detail17trampoline_kernelINS0_13select_configILj256ELj13ELNS0_17block_load_methodE3ELS4_3ELS4_3ELNS0_20block_scan_algorithmE0ELj4294967295EEENS1_25partition_config_selectorILNS1_17partition_subalgoE3EjNS0_10empty_typeEbEEZZNS1_14partition_implILS8_3ELb0ES6_jNS0_17counting_iteratorIjlEEPS9_SE_NS0_5tupleIJPjSE_EEENSF_IJSE_SE_EEES9_SG_JZNS1_25segmented_radix_sort_implINS0_14default_configELb0EPKbPbPKlPlN2at6native12_GLOBAL__N_18offset_tEEE10hipError_tPvRmT1_PNSt15iterator_traitsISY_E10value_typeET2_T3_PNSZ_IS14_E10value_typeET4_jRbjT5_S1A_jjP12ihipStream_tbEUljE_EEESV_SW_SX_S14_S18_S1A_T6_T7_T9_mT8_S1C_bDpT10_ENKUlT_T0_E_clISt17integral_constantIbLb1EES1P_EEDaS1K_S1L_EUlS1K_E_NS1_11comp_targetILNS1_3genE0ELNS1_11target_archE4294967295ELNS1_3gpuE0ELNS1_3repE0EEENS1_30default_config_static_selectorELNS0_4arch9wavefront6targetE1EEEvSY_
                                        ; -- End function
	.section	.AMDGPU.csdata,"",@progbits
; Kernel info:
; codeLenInByte = 0
; NumSgprs: 4
; NumVgprs: 0
; NumAgprs: 0
; TotalNumVgprs: 0
; ScratchSize: 0
; MemoryBound: 0
; FloatMode: 240
; IeeeMode: 1
; LDSByteSize: 0 bytes/workgroup (compile time only)
; SGPRBlocks: 0
; VGPRBlocks: 0
; NumSGPRsForWavesPerEU: 4
; NumVGPRsForWavesPerEU: 1
; AccumOffset: 4
; Occupancy: 8
; WaveLimiterHint : 0
; COMPUTE_PGM_RSRC2:SCRATCH_EN: 0
; COMPUTE_PGM_RSRC2:USER_SGPR: 6
; COMPUTE_PGM_RSRC2:TRAP_HANDLER: 0
; COMPUTE_PGM_RSRC2:TGID_X_EN: 1
; COMPUTE_PGM_RSRC2:TGID_Y_EN: 0
; COMPUTE_PGM_RSRC2:TGID_Z_EN: 0
; COMPUTE_PGM_RSRC2:TIDIG_COMP_CNT: 0
; COMPUTE_PGM_RSRC3_GFX90A:ACCUM_OFFSET: 0
; COMPUTE_PGM_RSRC3_GFX90A:TG_SPLIT: 0
	.section	.text._ZN7rocprim17ROCPRIM_400000_NS6detail17trampoline_kernelINS0_13select_configILj256ELj13ELNS0_17block_load_methodE3ELS4_3ELS4_3ELNS0_20block_scan_algorithmE0ELj4294967295EEENS1_25partition_config_selectorILNS1_17partition_subalgoE3EjNS0_10empty_typeEbEEZZNS1_14partition_implILS8_3ELb0ES6_jNS0_17counting_iteratorIjlEEPS9_SE_NS0_5tupleIJPjSE_EEENSF_IJSE_SE_EEES9_SG_JZNS1_25segmented_radix_sort_implINS0_14default_configELb0EPKbPbPKlPlN2at6native12_GLOBAL__N_18offset_tEEE10hipError_tPvRmT1_PNSt15iterator_traitsISY_E10value_typeET2_T3_PNSZ_IS14_E10value_typeET4_jRbjT5_S1A_jjP12ihipStream_tbEUljE_EEESV_SW_SX_S14_S18_S1A_T6_T7_T9_mT8_S1C_bDpT10_ENKUlT_T0_E_clISt17integral_constantIbLb1EES1P_EEDaS1K_S1L_EUlS1K_E_NS1_11comp_targetILNS1_3genE5ELNS1_11target_archE942ELNS1_3gpuE9ELNS1_3repE0EEENS1_30default_config_static_selectorELNS0_4arch9wavefront6targetE1EEEvSY_,"axG",@progbits,_ZN7rocprim17ROCPRIM_400000_NS6detail17trampoline_kernelINS0_13select_configILj256ELj13ELNS0_17block_load_methodE3ELS4_3ELS4_3ELNS0_20block_scan_algorithmE0ELj4294967295EEENS1_25partition_config_selectorILNS1_17partition_subalgoE3EjNS0_10empty_typeEbEEZZNS1_14partition_implILS8_3ELb0ES6_jNS0_17counting_iteratorIjlEEPS9_SE_NS0_5tupleIJPjSE_EEENSF_IJSE_SE_EEES9_SG_JZNS1_25segmented_radix_sort_implINS0_14default_configELb0EPKbPbPKlPlN2at6native12_GLOBAL__N_18offset_tEEE10hipError_tPvRmT1_PNSt15iterator_traitsISY_E10value_typeET2_T3_PNSZ_IS14_E10value_typeET4_jRbjT5_S1A_jjP12ihipStream_tbEUljE_EEESV_SW_SX_S14_S18_S1A_T6_T7_T9_mT8_S1C_bDpT10_ENKUlT_T0_E_clISt17integral_constantIbLb1EES1P_EEDaS1K_S1L_EUlS1K_E_NS1_11comp_targetILNS1_3genE5ELNS1_11target_archE942ELNS1_3gpuE9ELNS1_3repE0EEENS1_30default_config_static_selectorELNS0_4arch9wavefront6targetE1EEEvSY_,comdat
	.globl	_ZN7rocprim17ROCPRIM_400000_NS6detail17trampoline_kernelINS0_13select_configILj256ELj13ELNS0_17block_load_methodE3ELS4_3ELS4_3ELNS0_20block_scan_algorithmE0ELj4294967295EEENS1_25partition_config_selectorILNS1_17partition_subalgoE3EjNS0_10empty_typeEbEEZZNS1_14partition_implILS8_3ELb0ES6_jNS0_17counting_iteratorIjlEEPS9_SE_NS0_5tupleIJPjSE_EEENSF_IJSE_SE_EEES9_SG_JZNS1_25segmented_radix_sort_implINS0_14default_configELb0EPKbPbPKlPlN2at6native12_GLOBAL__N_18offset_tEEE10hipError_tPvRmT1_PNSt15iterator_traitsISY_E10value_typeET2_T3_PNSZ_IS14_E10value_typeET4_jRbjT5_S1A_jjP12ihipStream_tbEUljE_EEESV_SW_SX_S14_S18_S1A_T6_T7_T9_mT8_S1C_bDpT10_ENKUlT_T0_E_clISt17integral_constantIbLb1EES1P_EEDaS1K_S1L_EUlS1K_E_NS1_11comp_targetILNS1_3genE5ELNS1_11target_archE942ELNS1_3gpuE9ELNS1_3repE0EEENS1_30default_config_static_selectorELNS0_4arch9wavefront6targetE1EEEvSY_ ; -- Begin function _ZN7rocprim17ROCPRIM_400000_NS6detail17trampoline_kernelINS0_13select_configILj256ELj13ELNS0_17block_load_methodE3ELS4_3ELS4_3ELNS0_20block_scan_algorithmE0ELj4294967295EEENS1_25partition_config_selectorILNS1_17partition_subalgoE3EjNS0_10empty_typeEbEEZZNS1_14partition_implILS8_3ELb0ES6_jNS0_17counting_iteratorIjlEEPS9_SE_NS0_5tupleIJPjSE_EEENSF_IJSE_SE_EEES9_SG_JZNS1_25segmented_radix_sort_implINS0_14default_configELb0EPKbPbPKlPlN2at6native12_GLOBAL__N_18offset_tEEE10hipError_tPvRmT1_PNSt15iterator_traitsISY_E10value_typeET2_T3_PNSZ_IS14_E10value_typeET4_jRbjT5_S1A_jjP12ihipStream_tbEUljE_EEESV_SW_SX_S14_S18_S1A_T6_T7_T9_mT8_S1C_bDpT10_ENKUlT_T0_E_clISt17integral_constantIbLb1EES1P_EEDaS1K_S1L_EUlS1K_E_NS1_11comp_targetILNS1_3genE5ELNS1_11target_archE942ELNS1_3gpuE9ELNS1_3repE0EEENS1_30default_config_static_selectorELNS0_4arch9wavefront6targetE1EEEvSY_
	.p2align	8
	.type	_ZN7rocprim17ROCPRIM_400000_NS6detail17trampoline_kernelINS0_13select_configILj256ELj13ELNS0_17block_load_methodE3ELS4_3ELS4_3ELNS0_20block_scan_algorithmE0ELj4294967295EEENS1_25partition_config_selectorILNS1_17partition_subalgoE3EjNS0_10empty_typeEbEEZZNS1_14partition_implILS8_3ELb0ES6_jNS0_17counting_iteratorIjlEEPS9_SE_NS0_5tupleIJPjSE_EEENSF_IJSE_SE_EEES9_SG_JZNS1_25segmented_radix_sort_implINS0_14default_configELb0EPKbPbPKlPlN2at6native12_GLOBAL__N_18offset_tEEE10hipError_tPvRmT1_PNSt15iterator_traitsISY_E10value_typeET2_T3_PNSZ_IS14_E10value_typeET4_jRbjT5_S1A_jjP12ihipStream_tbEUljE_EEESV_SW_SX_S14_S18_S1A_T6_T7_T9_mT8_S1C_bDpT10_ENKUlT_T0_E_clISt17integral_constantIbLb1EES1P_EEDaS1K_S1L_EUlS1K_E_NS1_11comp_targetILNS1_3genE5ELNS1_11target_archE942ELNS1_3gpuE9ELNS1_3repE0EEENS1_30default_config_static_selectorELNS0_4arch9wavefront6targetE1EEEvSY_,@function
_ZN7rocprim17ROCPRIM_400000_NS6detail17trampoline_kernelINS0_13select_configILj256ELj13ELNS0_17block_load_methodE3ELS4_3ELS4_3ELNS0_20block_scan_algorithmE0ELj4294967295EEENS1_25partition_config_selectorILNS1_17partition_subalgoE3EjNS0_10empty_typeEbEEZZNS1_14partition_implILS8_3ELb0ES6_jNS0_17counting_iteratorIjlEEPS9_SE_NS0_5tupleIJPjSE_EEENSF_IJSE_SE_EEES9_SG_JZNS1_25segmented_radix_sort_implINS0_14default_configELb0EPKbPbPKlPlN2at6native12_GLOBAL__N_18offset_tEEE10hipError_tPvRmT1_PNSt15iterator_traitsISY_E10value_typeET2_T3_PNSZ_IS14_E10value_typeET4_jRbjT5_S1A_jjP12ihipStream_tbEUljE_EEESV_SW_SX_S14_S18_S1A_T6_T7_T9_mT8_S1C_bDpT10_ENKUlT_T0_E_clISt17integral_constantIbLb1EES1P_EEDaS1K_S1L_EUlS1K_E_NS1_11comp_targetILNS1_3genE5ELNS1_11target_archE942ELNS1_3gpuE9ELNS1_3repE0EEENS1_30default_config_static_selectorELNS0_4arch9wavefront6targetE1EEEvSY_: ; @_ZN7rocprim17ROCPRIM_400000_NS6detail17trampoline_kernelINS0_13select_configILj256ELj13ELNS0_17block_load_methodE3ELS4_3ELS4_3ELNS0_20block_scan_algorithmE0ELj4294967295EEENS1_25partition_config_selectorILNS1_17partition_subalgoE3EjNS0_10empty_typeEbEEZZNS1_14partition_implILS8_3ELb0ES6_jNS0_17counting_iteratorIjlEEPS9_SE_NS0_5tupleIJPjSE_EEENSF_IJSE_SE_EEES9_SG_JZNS1_25segmented_radix_sort_implINS0_14default_configELb0EPKbPbPKlPlN2at6native12_GLOBAL__N_18offset_tEEE10hipError_tPvRmT1_PNSt15iterator_traitsISY_E10value_typeET2_T3_PNSZ_IS14_E10value_typeET4_jRbjT5_S1A_jjP12ihipStream_tbEUljE_EEESV_SW_SX_S14_S18_S1A_T6_T7_T9_mT8_S1C_bDpT10_ENKUlT_T0_E_clISt17integral_constantIbLb1EES1P_EEDaS1K_S1L_EUlS1K_E_NS1_11comp_targetILNS1_3genE5ELNS1_11target_archE942ELNS1_3gpuE9ELNS1_3repE0EEENS1_30default_config_static_selectorELNS0_4arch9wavefront6targetE1EEEvSY_
; %bb.0:
	.section	.rodata,"a",@progbits
	.p2align	6, 0x0
	.amdhsa_kernel _ZN7rocprim17ROCPRIM_400000_NS6detail17trampoline_kernelINS0_13select_configILj256ELj13ELNS0_17block_load_methodE3ELS4_3ELS4_3ELNS0_20block_scan_algorithmE0ELj4294967295EEENS1_25partition_config_selectorILNS1_17partition_subalgoE3EjNS0_10empty_typeEbEEZZNS1_14partition_implILS8_3ELb0ES6_jNS0_17counting_iteratorIjlEEPS9_SE_NS0_5tupleIJPjSE_EEENSF_IJSE_SE_EEES9_SG_JZNS1_25segmented_radix_sort_implINS0_14default_configELb0EPKbPbPKlPlN2at6native12_GLOBAL__N_18offset_tEEE10hipError_tPvRmT1_PNSt15iterator_traitsISY_E10value_typeET2_T3_PNSZ_IS14_E10value_typeET4_jRbjT5_S1A_jjP12ihipStream_tbEUljE_EEESV_SW_SX_S14_S18_S1A_T6_T7_T9_mT8_S1C_bDpT10_ENKUlT_T0_E_clISt17integral_constantIbLb1EES1P_EEDaS1K_S1L_EUlS1K_E_NS1_11comp_targetILNS1_3genE5ELNS1_11target_archE942ELNS1_3gpuE9ELNS1_3repE0EEENS1_30default_config_static_selectorELNS0_4arch9wavefront6targetE1EEEvSY_
		.amdhsa_group_segment_fixed_size 0
		.amdhsa_private_segment_fixed_size 0
		.amdhsa_kernarg_size 152
		.amdhsa_user_sgpr_count 6
		.amdhsa_user_sgpr_private_segment_buffer 1
		.amdhsa_user_sgpr_dispatch_ptr 0
		.amdhsa_user_sgpr_queue_ptr 0
		.amdhsa_user_sgpr_kernarg_segment_ptr 1
		.amdhsa_user_sgpr_dispatch_id 0
		.amdhsa_user_sgpr_flat_scratch_init 0
		.amdhsa_user_sgpr_kernarg_preload_length 0
		.amdhsa_user_sgpr_kernarg_preload_offset 0
		.amdhsa_user_sgpr_private_segment_size 0
		.amdhsa_uses_dynamic_stack 0
		.amdhsa_system_sgpr_private_segment_wavefront_offset 0
		.amdhsa_system_sgpr_workgroup_id_x 1
		.amdhsa_system_sgpr_workgroup_id_y 0
		.amdhsa_system_sgpr_workgroup_id_z 0
		.amdhsa_system_sgpr_workgroup_info 0
		.amdhsa_system_vgpr_workitem_id 0
		.amdhsa_next_free_vgpr 1
		.amdhsa_next_free_sgpr 0
		.amdhsa_accum_offset 4
		.amdhsa_reserve_vcc 0
		.amdhsa_reserve_flat_scratch 0
		.amdhsa_float_round_mode_32 0
		.amdhsa_float_round_mode_16_64 0
		.amdhsa_float_denorm_mode_32 3
		.amdhsa_float_denorm_mode_16_64 3
		.amdhsa_dx10_clamp 1
		.amdhsa_ieee_mode 1
		.amdhsa_fp16_overflow 0
		.amdhsa_tg_split 0
		.amdhsa_exception_fp_ieee_invalid_op 0
		.amdhsa_exception_fp_denorm_src 0
		.amdhsa_exception_fp_ieee_div_zero 0
		.amdhsa_exception_fp_ieee_overflow 0
		.amdhsa_exception_fp_ieee_underflow 0
		.amdhsa_exception_fp_ieee_inexact 0
		.amdhsa_exception_int_div_zero 0
	.end_amdhsa_kernel
	.section	.text._ZN7rocprim17ROCPRIM_400000_NS6detail17trampoline_kernelINS0_13select_configILj256ELj13ELNS0_17block_load_methodE3ELS4_3ELS4_3ELNS0_20block_scan_algorithmE0ELj4294967295EEENS1_25partition_config_selectorILNS1_17partition_subalgoE3EjNS0_10empty_typeEbEEZZNS1_14partition_implILS8_3ELb0ES6_jNS0_17counting_iteratorIjlEEPS9_SE_NS0_5tupleIJPjSE_EEENSF_IJSE_SE_EEES9_SG_JZNS1_25segmented_radix_sort_implINS0_14default_configELb0EPKbPbPKlPlN2at6native12_GLOBAL__N_18offset_tEEE10hipError_tPvRmT1_PNSt15iterator_traitsISY_E10value_typeET2_T3_PNSZ_IS14_E10value_typeET4_jRbjT5_S1A_jjP12ihipStream_tbEUljE_EEESV_SW_SX_S14_S18_S1A_T6_T7_T9_mT8_S1C_bDpT10_ENKUlT_T0_E_clISt17integral_constantIbLb1EES1P_EEDaS1K_S1L_EUlS1K_E_NS1_11comp_targetILNS1_3genE5ELNS1_11target_archE942ELNS1_3gpuE9ELNS1_3repE0EEENS1_30default_config_static_selectorELNS0_4arch9wavefront6targetE1EEEvSY_,"axG",@progbits,_ZN7rocprim17ROCPRIM_400000_NS6detail17trampoline_kernelINS0_13select_configILj256ELj13ELNS0_17block_load_methodE3ELS4_3ELS4_3ELNS0_20block_scan_algorithmE0ELj4294967295EEENS1_25partition_config_selectorILNS1_17partition_subalgoE3EjNS0_10empty_typeEbEEZZNS1_14partition_implILS8_3ELb0ES6_jNS0_17counting_iteratorIjlEEPS9_SE_NS0_5tupleIJPjSE_EEENSF_IJSE_SE_EEES9_SG_JZNS1_25segmented_radix_sort_implINS0_14default_configELb0EPKbPbPKlPlN2at6native12_GLOBAL__N_18offset_tEEE10hipError_tPvRmT1_PNSt15iterator_traitsISY_E10value_typeET2_T3_PNSZ_IS14_E10value_typeET4_jRbjT5_S1A_jjP12ihipStream_tbEUljE_EEESV_SW_SX_S14_S18_S1A_T6_T7_T9_mT8_S1C_bDpT10_ENKUlT_T0_E_clISt17integral_constantIbLb1EES1P_EEDaS1K_S1L_EUlS1K_E_NS1_11comp_targetILNS1_3genE5ELNS1_11target_archE942ELNS1_3gpuE9ELNS1_3repE0EEENS1_30default_config_static_selectorELNS0_4arch9wavefront6targetE1EEEvSY_,comdat
.Lfunc_end1610:
	.size	_ZN7rocprim17ROCPRIM_400000_NS6detail17trampoline_kernelINS0_13select_configILj256ELj13ELNS0_17block_load_methodE3ELS4_3ELS4_3ELNS0_20block_scan_algorithmE0ELj4294967295EEENS1_25partition_config_selectorILNS1_17partition_subalgoE3EjNS0_10empty_typeEbEEZZNS1_14partition_implILS8_3ELb0ES6_jNS0_17counting_iteratorIjlEEPS9_SE_NS0_5tupleIJPjSE_EEENSF_IJSE_SE_EEES9_SG_JZNS1_25segmented_radix_sort_implINS0_14default_configELb0EPKbPbPKlPlN2at6native12_GLOBAL__N_18offset_tEEE10hipError_tPvRmT1_PNSt15iterator_traitsISY_E10value_typeET2_T3_PNSZ_IS14_E10value_typeET4_jRbjT5_S1A_jjP12ihipStream_tbEUljE_EEESV_SW_SX_S14_S18_S1A_T6_T7_T9_mT8_S1C_bDpT10_ENKUlT_T0_E_clISt17integral_constantIbLb1EES1P_EEDaS1K_S1L_EUlS1K_E_NS1_11comp_targetILNS1_3genE5ELNS1_11target_archE942ELNS1_3gpuE9ELNS1_3repE0EEENS1_30default_config_static_selectorELNS0_4arch9wavefront6targetE1EEEvSY_, .Lfunc_end1610-_ZN7rocprim17ROCPRIM_400000_NS6detail17trampoline_kernelINS0_13select_configILj256ELj13ELNS0_17block_load_methodE3ELS4_3ELS4_3ELNS0_20block_scan_algorithmE0ELj4294967295EEENS1_25partition_config_selectorILNS1_17partition_subalgoE3EjNS0_10empty_typeEbEEZZNS1_14partition_implILS8_3ELb0ES6_jNS0_17counting_iteratorIjlEEPS9_SE_NS0_5tupleIJPjSE_EEENSF_IJSE_SE_EEES9_SG_JZNS1_25segmented_radix_sort_implINS0_14default_configELb0EPKbPbPKlPlN2at6native12_GLOBAL__N_18offset_tEEE10hipError_tPvRmT1_PNSt15iterator_traitsISY_E10value_typeET2_T3_PNSZ_IS14_E10value_typeET4_jRbjT5_S1A_jjP12ihipStream_tbEUljE_EEESV_SW_SX_S14_S18_S1A_T6_T7_T9_mT8_S1C_bDpT10_ENKUlT_T0_E_clISt17integral_constantIbLb1EES1P_EEDaS1K_S1L_EUlS1K_E_NS1_11comp_targetILNS1_3genE5ELNS1_11target_archE942ELNS1_3gpuE9ELNS1_3repE0EEENS1_30default_config_static_selectorELNS0_4arch9wavefront6targetE1EEEvSY_
                                        ; -- End function
	.section	.AMDGPU.csdata,"",@progbits
; Kernel info:
; codeLenInByte = 0
; NumSgprs: 4
; NumVgprs: 0
; NumAgprs: 0
; TotalNumVgprs: 0
; ScratchSize: 0
; MemoryBound: 0
; FloatMode: 240
; IeeeMode: 1
; LDSByteSize: 0 bytes/workgroup (compile time only)
; SGPRBlocks: 0
; VGPRBlocks: 0
; NumSGPRsForWavesPerEU: 4
; NumVGPRsForWavesPerEU: 1
; AccumOffset: 4
; Occupancy: 8
; WaveLimiterHint : 0
; COMPUTE_PGM_RSRC2:SCRATCH_EN: 0
; COMPUTE_PGM_RSRC2:USER_SGPR: 6
; COMPUTE_PGM_RSRC2:TRAP_HANDLER: 0
; COMPUTE_PGM_RSRC2:TGID_X_EN: 1
; COMPUTE_PGM_RSRC2:TGID_Y_EN: 0
; COMPUTE_PGM_RSRC2:TGID_Z_EN: 0
; COMPUTE_PGM_RSRC2:TIDIG_COMP_CNT: 0
; COMPUTE_PGM_RSRC3_GFX90A:ACCUM_OFFSET: 0
; COMPUTE_PGM_RSRC3_GFX90A:TG_SPLIT: 0
	.section	.text._ZN7rocprim17ROCPRIM_400000_NS6detail17trampoline_kernelINS0_13select_configILj256ELj13ELNS0_17block_load_methodE3ELS4_3ELS4_3ELNS0_20block_scan_algorithmE0ELj4294967295EEENS1_25partition_config_selectorILNS1_17partition_subalgoE3EjNS0_10empty_typeEbEEZZNS1_14partition_implILS8_3ELb0ES6_jNS0_17counting_iteratorIjlEEPS9_SE_NS0_5tupleIJPjSE_EEENSF_IJSE_SE_EEES9_SG_JZNS1_25segmented_radix_sort_implINS0_14default_configELb0EPKbPbPKlPlN2at6native12_GLOBAL__N_18offset_tEEE10hipError_tPvRmT1_PNSt15iterator_traitsISY_E10value_typeET2_T3_PNSZ_IS14_E10value_typeET4_jRbjT5_S1A_jjP12ihipStream_tbEUljE_EEESV_SW_SX_S14_S18_S1A_T6_T7_T9_mT8_S1C_bDpT10_ENKUlT_T0_E_clISt17integral_constantIbLb1EES1P_EEDaS1K_S1L_EUlS1K_E_NS1_11comp_targetILNS1_3genE4ELNS1_11target_archE910ELNS1_3gpuE8ELNS1_3repE0EEENS1_30default_config_static_selectorELNS0_4arch9wavefront6targetE1EEEvSY_,"axG",@progbits,_ZN7rocprim17ROCPRIM_400000_NS6detail17trampoline_kernelINS0_13select_configILj256ELj13ELNS0_17block_load_methodE3ELS4_3ELS4_3ELNS0_20block_scan_algorithmE0ELj4294967295EEENS1_25partition_config_selectorILNS1_17partition_subalgoE3EjNS0_10empty_typeEbEEZZNS1_14partition_implILS8_3ELb0ES6_jNS0_17counting_iteratorIjlEEPS9_SE_NS0_5tupleIJPjSE_EEENSF_IJSE_SE_EEES9_SG_JZNS1_25segmented_radix_sort_implINS0_14default_configELb0EPKbPbPKlPlN2at6native12_GLOBAL__N_18offset_tEEE10hipError_tPvRmT1_PNSt15iterator_traitsISY_E10value_typeET2_T3_PNSZ_IS14_E10value_typeET4_jRbjT5_S1A_jjP12ihipStream_tbEUljE_EEESV_SW_SX_S14_S18_S1A_T6_T7_T9_mT8_S1C_bDpT10_ENKUlT_T0_E_clISt17integral_constantIbLb1EES1P_EEDaS1K_S1L_EUlS1K_E_NS1_11comp_targetILNS1_3genE4ELNS1_11target_archE910ELNS1_3gpuE8ELNS1_3repE0EEENS1_30default_config_static_selectorELNS0_4arch9wavefront6targetE1EEEvSY_,comdat
	.globl	_ZN7rocprim17ROCPRIM_400000_NS6detail17trampoline_kernelINS0_13select_configILj256ELj13ELNS0_17block_load_methodE3ELS4_3ELS4_3ELNS0_20block_scan_algorithmE0ELj4294967295EEENS1_25partition_config_selectorILNS1_17partition_subalgoE3EjNS0_10empty_typeEbEEZZNS1_14partition_implILS8_3ELb0ES6_jNS0_17counting_iteratorIjlEEPS9_SE_NS0_5tupleIJPjSE_EEENSF_IJSE_SE_EEES9_SG_JZNS1_25segmented_radix_sort_implINS0_14default_configELb0EPKbPbPKlPlN2at6native12_GLOBAL__N_18offset_tEEE10hipError_tPvRmT1_PNSt15iterator_traitsISY_E10value_typeET2_T3_PNSZ_IS14_E10value_typeET4_jRbjT5_S1A_jjP12ihipStream_tbEUljE_EEESV_SW_SX_S14_S18_S1A_T6_T7_T9_mT8_S1C_bDpT10_ENKUlT_T0_E_clISt17integral_constantIbLb1EES1P_EEDaS1K_S1L_EUlS1K_E_NS1_11comp_targetILNS1_3genE4ELNS1_11target_archE910ELNS1_3gpuE8ELNS1_3repE0EEENS1_30default_config_static_selectorELNS0_4arch9wavefront6targetE1EEEvSY_ ; -- Begin function _ZN7rocprim17ROCPRIM_400000_NS6detail17trampoline_kernelINS0_13select_configILj256ELj13ELNS0_17block_load_methodE3ELS4_3ELS4_3ELNS0_20block_scan_algorithmE0ELj4294967295EEENS1_25partition_config_selectorILNS1_17partition_subalgoE3EjNS0_10empty_typeEbEEZZNS1_14partition_implILS8_3ELb0ES6_jNS0_17counting_iteratorIjlEEPS9_SE_NS0_5tupleIJPjSE_EEENSF_IJSE_SE_EEES9_SG_JZNS1_25segmented_radix_sort_implINS0_14default_configELb0EPKbPbPKlPlN2at6native12_GLOBAL__N_18offset_tEEE10hipError_tPvRmT1_PNSt15iterator_traitsISY_E10value_typeET2_T3_PNSZ_IS14_E10value_typeET4_jRbjT5_S1A_jjP12ihipStream_tbEUljE_EEESV_SW_SX_S14_S18_S1A_T6_T7_T9_mT8_S1C_bDpT10_ENKUlT_T0_E_clISt17integral_constantIbLb1EES1P_EEDaS1K_S1L_EUlS1K_E_NS1_11comp_targetILNS1_3genE4ELNS1_11target_archE910ELNS1_3gpuE8ELNS1_3repE0EEENS1_30default_config_static_selectorELNS0_4arch9wavefront6targetE1EEEvSY_
	.p2align	8
	.type	_ZN7rocprim17ROCPRIM_400000_NS6detail17trampoline_kernelINS0_13select_configILj256ELj13ELNS0_17block_load_methodE3ELS4_3ELS4_3ELNS0_20block_scan_algorithmE0ELj4294967295EEENS1_25partition_config_selectorILNS1_17partition_subalgoE3EjNS0_10empty_typeEbEEZZNS1_14partition_implILS8_3ELb0ES6_jNS0_17counting_iteratorIjlEEPS9_SE_NS0_5tupleIJPjSE_EEENSF_IJSE_SE_EEES9_SG_JZNS1_25segmented_radix_sort_implINS0_14default_configELb0EPKbPbPKlPlN2at6native12_GLOBAL__N_18offset_tEEE10hipError_tPvRmT1_PNSt15iterator_traitsISY_E10value_typeET2_T3_PNSZ_IS14_E10value_typeET4_jRbjT5_S1A_jjP12ihipStream_tbEUljE_EEESV_SW_SX_S14_S18_S1A_T6_T7_T9_mT8_S1C_bDpT10_ENKUlT_T0_E_clISt17integral_constantIbLb1EES1P_EEDaS1K_S1L_EUlS1K_E_NS1_11comp_targetILNS1_3genE4ELNS1_11target_archE910ELNS1_3gpuE8ELNS1_3repE0EEENS1_30default_config_static_selectorELNS0_4arch9wavefront6targetE1EEEvSY_,@function
_ZN7rocprim17ROCPRIM_400000_NS6detail17trampoline_kernelINS0_13select_configILj256ELj13ELNS0_17block_load_methodE3ELS4_3ELS4_3ELNS0_20block_scan_algorithmE0ELj4294967295EEENS1_25partition_config_selectorILNS1_17partition_subalgoE3EjNS0_10empty_typeEbEEZZNS1_14partition_implILS8_3ELb0ES6_jNS0_17counting_iteratorIjlEEPS9_SE_NS0_5tupleIJPjSE_EEENSF_IJSE_SE_EEES9_SG_JZNS1_25segmented_radix_sort_implINS0_14default_configELb0EPKbPbPKlPlN2at6native12_GLOBAL__N_18offset_tEEE10hipError_tPvRmT1_PNSt15iterator_traitsISY_E10value_typeET2_T3_PNSZ_IS14_E10value_typeET4_jRbjT5_S1A_jjP12ihipStream_tbEUljE_EEESV_SW_SX_S14_S18_S1A_T6_T7_T9_mT8_S1C_bDpT10_ENKUlT_T0_E_clISt17integral_constantIbLb1EES1P_EEDaS1K_S1L_EUlS1K_E_NS1_11comp_targetILNS1_3genE4ELNS1_11target_archE910ELNS1_3gpuE8ELNS1_3repE0EEENS1_30default_config_static_selectorELNS0_4arch9wavefront6targetE1EEEvSY_: ; @_ZN7rocprim17ROCPRIM_400000_NS6detail17trampoline_kernelINS0_13select_configILj256ELj13ELNS0_17block_load_methodE3ELS4_3ELS4_3ELNS0_20block_scan_algorithmE0ELj4294967295EEENS1_25partition_config_selectorILNS1_17partition_subalgoE3EjNS0_10empty_typeEbEEZZNS1_14partition_implILS8_3ELb0ES6_jNS0_17counting_iteratorIjlEEPS9_SE_NS0_5tupleIJPjSE_EEENSF_IJSE_SE_EEES9_SG_JZNS1_25segmented_radix_sort_implINS0_14default_configELb0EPKbPbPKlPlN2at6native12_GLOBAL__N_18offset_tEEE10hipError_tPvRmT1_PNSt15iterator_traitsISY_E10value_typeET2_T3_PNSZ_IS14_E10value_typeET4_jRbjT5_S1A_jjP12ihipStream_tbEUljE_EEESV_SW_SX_S14_S18_S1A_T6_T7_T9_mT8_S1C_bDpT10_ENKUlT_T0_E_clISt17integral_constantIbLb1EES1P_EEDaS1K_S1L_EUlS1K_E_NS1_11comp_targetILNS1_3genE4ELNS1_11target_archE910ELNS1_3gpuE8ELNS1_3repE0EEENS1_30default_config_static_selectorELNS0_4arch9wavefront6targetE1EEEvSY_
; %bb.0:
	s_load_dwordx2 s[28:29], s[4:5], 0x10
	s_load_dwordx2 s[24:25], s[4:5], 0x28
	;; [unrolled: 1-line block ×3, first 2 shown]
	s_load_dwordx4 s[20:23], s[4:5], 0x48
	s_load_dword s14, s[4:5], 0x90
	s_load_dwordx2 s[30:31], s[4:5], 0x68
	s_load_dwordx4 s[8:11], s[4:5], 0x80
	v_cmp_eq_u32_e64 s[0:1], 0, v0
	s_and_saveexec_b64 s[2:3], s[0:1]
	s_cbranch_execz .LBB1611_4
; %bb.1:
	s_mov_b64 s[12:13], exec
	v_mbcnt_lo_u32_b32 v1, s12, 0
	v_mbcnt_hi_u32_b32 v1, s13, v1
	v_cmp_eq_u32_e32 vcc, 0, v1
                                        ; implicit-def: $vgpr2
	s_and_saveexec_b64 s[6:7], vcc
	s_cbranch_execz .LBB1611_3
; %bb.2:
	s_load_dwordx2 s[16:17], s[4:5], 0x78
	s_bcnt1_i32_b64 s12, s[12:13]
	v_mov_b32_e32 v2, 0
	v_mov_b32_e32 v3, s12
	s_waitcnt lgkmcnt(0)
	global_atomic_add v2, v2, v3, s[16:17] glc
.LBB1611_3:
	s_or_b64 exec, exec, s[6:7]
	s_waitcnt vmcnt(0)
	v_readfirstlane_b32 s6, v2
	v_add_u32_e32 v1, s6, v1
	v_mov_b32_e32 v2, 0
	ds_write_b32 v2, v1
.LBB1611_4:
	s_or_b64 exec, exec, s[2:3]
	v_mov_b32_e32 v1, 0
	s_load_dword s2, s[4:5], 0x8
	s_load_dword s6, s[4:5], 0x70
	s_waitcnt lgkmcnt(0)
	s_barrier
	ds_read_b32 v2, v1
	s_waitcnt lgkmcnt(0)
	s_barrier
	global_load_dwordx2 v[20:21], v1, s[22:23]
	s_add_i32 s7, s2, s28
	s_movk_i32 s2, 0xd00
	s_add_i32 s4, s6, -1
	s_mulk_i32 s6, 0xd00
	v_mul_lo_u32 v1, v2, s2
	s_add_u32 s2, s28, s6
	v_readfirstlane_b32 s40, v2
	s_addc_u32 s3, s29, 0
	s_cmp_eq_u32 s40, s4
	v_pk_mov_b32 v[2:3], s[26:27], s[26:27] op_sel:[0,1]
	s_cselect_b64 s[22:23], -1, 0
	s_cmp_lg_u32 s40, s4
	v_cmp_lt_u64_e32 vcc, s[2:3], v[2:3]
	s_cselect_b64 s[2:3], -1, 0
	s_or_b64 s[4:5], vcc, s[2:3]
	v_add_u32_e32 v2, s7, v1
	s_mov_b64 s[2:3], -1
	s_and_b64 vcc, exec, s[4:5]
	v_add_u32_e32 v2, v2, v0
	v_lshlrev_b32_e32 v34, 2, v0
	s_cbranch_vccz .LBB1611_6
; %bb.5:
	v_add_u32_e32 v3, 0x100, v2
	v_add_u32_e32 v4, 0x200, v2
	;; [unrolled: 1-line block ×12, first 2 shown]
	ds_write2st64_b32 v34, v2, v3 offset1:4
	ds_write2st64_b32 v34, v4, v5 offset0:8 offset1:12
	ds_write2st64_b32 v34, v6, v7 offset0:16 offset1:20
	ds_write2st64_b32 v34, v8, v9 offset0:24 offset1:28
	ds_write2st64_b32 v34, v10, v11 offset0:32 offset1:36
	ds_write2st64_b32 v34, v12, v13 offset0:40 offset1:44
	ds_write_b32 v34, v14 offset:12288
	s_waitcnt lgkmcnt(0)
	s_barrier
	s_mov_b64 s[2:3], 0
.LBB1611_6:
	s_andn2_b64 vcc, exec, s[2:3]
	s_add_i32 s6, s6, s28
	s_cbranch_vccnz .LBB1611_8
; %bb.7:
	v_add_u32_e32 v3, 0x100, v2
	v_add_u32_e32 v4, 0x200, v2
	;; [unrolled: 1-line block ×12, first 2 shown]
	ds_write2st64_b32 v34, v2, v3 offset1:4
	ds_write2st64_b32 v34, v4, v5 offset0:8 offset1:12
	ds_write2st64_b32 v34, v6, v7 offset0:16 offset1:20
	;; [unrolled: 1-line block ×5, first 2 shown]
	ds_write_b32 v34, v14 offset:12288
	s_waitcnt lgkmcnt(0)
	s_barrier
.LBB1611_8:
	v_mul_u32_u24_e32 v36, 13, v0
	v_lshlrev_b32_e32 v2, 2, v36
	ds_read2_b32 v[32:33], v2 offset1:1
	ds_read2_b32 v[30:31], v2 offset0:2 offset1:3
	ds_read2_b32 v[28:29], v2 offset0:4 offset1:5
	;; [unrolled: 1-line block ×5, first 2 shown]
	ds_read_b32 v35, v2 offset:48
	v_cndmask_b32_e64 v2, 0, 1, s[4:5]
	s_sub_i32 s33, s26, s6
	v_cmp_ne_u32_e64 s[2:3], 1, v2
	s_andn2_b64 vcc, exec, s[4:5]
	s_waitcnt lgkmcnt(0)
	s_barrier
	s_cbranch_vccnz .LBB1611_10
; %bb.9:
	v_add_u32_e32 v2, s9, v32
	v_add_u32_e32 v3, s11, v32
	v_mul_lo_u32 v2, v2, s8
	v_mul_lo_u32 v3, v3, s10
	v_sub_u32_e32 v2, v2, v3
	v_add_u32_e32 v3, s9, v33
	v_add_u32_e32 v4, s11, v33
	v_mul_lo_u32 v3, v3, s8
	v_mul_lo_u32 v4, v4, s10
	v_sub_u32_e32 v3, v3, v4
	v_add_u32_e32 v4, s9, v30
	v_add_u32_e32 v5, s11, v30
	v_mul_lo_u32 v4, v4, s8
	v_mul_lo_u32 v5, v5, s10
	v_sub_u32_e32 v4, v4, v5
	v_add_u32_e32 v5, s9, v31
	v_add_u32_e32 v6, s11, v31
	v_mul_lo_u32 v5, v5, s8
	v_mul_lo_u32 v6, v6, s10
	v_sub_u32_e32 v5, v5, v6
	v_add_u32_e32 v6, s9, v28
	v_add_u32_e32 v7, s11, v28
	v_mul_lo_u32 v6, v6, s8
	v_mul_lo_u32 v7, v7, s10
	v_sub_u32_e32 v6, v6, v7
	v_add_u32_e32 v7, s9, v29
	v_add_u32_e32 v8, s11, v29
	v_mul_lo_u32 v7, v7, s8
	v_mul_lo_u32 v8, v8, s10
	v_sub_u32_e32 v7, v7, v8
	v_add_u32_e32 v8, s9, v26
	v_add_u32_e32 v9, s11, v26
	v_mul_lo_u32 v8, v8, s8
	v_mul_lo_u32 v9, v9, s10
	v_cmp_lt_u32_e32 vcc, s14, v2
	v_sub_u32_e32 v8, v8, v9
	v_add_u32_e32 v9, s9, v27
	v_add_u32_e32 v10, s11, v27
	v_cndmask_b32_e64 v2, 0, 1, vcc
	v_cmp_lt_u32_e32 vcc, s14, v3
	v_mul_lo_u32 v9, v9, s8
	v_mul_lo_u32 v10, v10, s10
	v_cndmask_b32_e64 v3, 0, 1, vcc
	v_cmp_lt_u32_e32 vcc, s14, v4
	v_sub_u32_e32 v9, v9, v10
	v_add_u32_e32 v10, s9, v24
	v_add_u32_e32 v11, s11, v24
	v_cndmask_b32_e64 v4, 0, 1, vcc
	v_cmp_lt_u32_e32 vcc, s14, v5
	v_mul_lo_u32 v10, v10, s8
	v_mul_lo_u32 v11, v11, s10
	v_cndmask_b32_e64 v5, 0, 1, vcc
	;; [unrolled: 9-line block ×4, first 2 shown]
	v_cmp_lt_u32_e32 vcc, s14, v10
	v_sub_u32_e32 v12, v12, v13
	v_add_u32_e32 v13, s9, v23
	v_add_u32_e32 v14, s11, v23
	v_lshlrev_b16_e32 v3, 8, v3
	v_cndmask_b32_e64 v10, 0, 1, vcc
	v_cmp_lt_u32_e32 vcc, s14, v11
	v_mul_lo_u32 v13, v13, s8
	v_mul_lo_u32 v14, v14, s10
	v_or_b32_e32 v2, v2, v3
	v_lshlrev_b16_e32 v3, 8, v5
	v_cndmask_b32_e64 v11, 0, 1, vcc
	v_cmp_lt_u32_e32 vcc, s14, v12
	v_sub_u32_e32 v13, v13, v14
	v_or_b32_sdwa v3, v4, v3 dst_sel:WORD_1 dst_unused:UNUSED_PAD src0_sel:DWORD src1_sel:DWORD
	v_cndmask_b32_e64 v12, 0, 1, vcc
	v_cmp_lt_u32_e32 vcc, s14, v13
	v_add_u32_e32 v14, s9, v35
	v_add_u32_e32 v15, s11, v35
	v_or_b32_sdwa v40, v2, v3 dst_sel:DWORD dst_unused:UNUSED_PAD src0_sel:WORD_0 src1_sel:DWORD
	v_lshlrev_b16_e32 v2, 8, v7
	v_lshlrev_b16_e32 v3, 8, v9
	v_cndmask_b32_e64 v13, 0, 1, vcc
	v_mul_lo_u32 v14, v14, s8
	v_mul_lo_u32 v15, v15, s10
	v_or_b32_e32 v2, v6, v2
	v_or_b32_sdwa v3, v8, v3 dst_sel:WORD_1 dst_unused:UNUSED_PAD src0_sel:DWORD src1_sel:DWORD
	v_sub_u32_e32 v14, v14, v15
	v_or_b32_sdwa v39, v2, v3 dst_sel:DWORD dst_unused:UNUSED_PAD src0_sel:WORD_0 src1_sel:DWORD
	v_lshlrev_b16_e32 v2, 8, v11
	v_lshlrev_b16_e32 v3, 8, v13
	v_cmp_lt_u32_e32 vcc, s14, v14
	v_or_b32_e32 v2, v10, v2
	v_or_b32_sdwa v3, v12, v3 dst_sel:WORD_1 dst_unused:UNUSED_PAD src0_sel:DWORD src1_sel:DWORD
	v_cndmask_b32_e64 v37, 0, 1, vcc
	v_or_b32_sdwa v38, v2, v3 dst_sel:DWORD dst_unused:UNUSED_PAD src0_sel:WORD_0 src1_sel:DWORD
	s_addk_i32 s33, 0xd00
	s_cbranch_execz .LBB1611_11
	s_branch .LBB1611_38
.LBB1611_10:
                                        ; implicit-def: $vgpr37
                                        ; implicit-def: $vgpr38
                                        ; implicit-def: $vgpr39
                                        ; implicit-def: $vgpr40
	s_addk_i32 s33, 0xd00
.LBB1611_11:
	v_cmp_gt_u32_e32 vcc, s33, v36
	v_mov_b32_e32 v3, 0
	v_mov_b32_e32 v2, 0
	s_and_saveexec_b64 s[4:5], vcc
; %bb.12:
	v_add_u32_e32 v2, s9, v32
	v_add_u32_e32 v4, s11, v32
	v_mul_lo_u32 v2, v2, s8
	v_mul_lo_u32 v4, v4, s10
	v_sub_u32_e32 v2, v2, v4
	v_cmp_lt_u32_e32 vcc, s14, v2
	v_cndmask_b32_e64 v2, 0, 1, vcc
; %bb.13:
	s_or_b64 exec, exec, s[4:5]
	v_add_u32_e32 v4, 1, v36
	v_cmp_gt_u32_e32 vcc, s33, v4
	s_and_saveexec_b64 s[4:5], vcc
; %bb.14:
	v_add_u32_e32 v3, s9, v33
	v_add_u32_e32 v4, s11, v33
	v_mul_lo_u32 v3, v3, s8
	v_mul_lo_u32 v4, v4, s10
	v_sub_u32_e32 v3, v3, v4
	v_cmp_lt_u32_e32 vcc, s14, v3
	v_cndmask_b32_e64 v3, 0, 1, vcc
; %bb.15:
	s_or_b64 exec, exec, s[4:5]
	v_add_u32_e32 v4, 2, v36
	v_cmp_gt_u32_e32 vcc, s33, v4
	v_mov_b32_e32 v5, 0
	v_mov_b32_e32 v4, 0
	s_and_saveexec_b64 s[4:5], vcc
; %bb.16:
	v_add_u32_e32 v4, s9, v30
	v_add_u32_e32 v6, s11, v30
	v_mul_lo_u32 v4, v4, s8
	v_mul_lo_u32 v6, v6, s10
	v_sub_u32_e32 v4, v4, v6
	v_cmp_lt_u32_e32 vcc, s14, v4
	v_cndmask_b32_e64 v4, 0, 1, vcc
; %bb.17:
	s_or_b64 exec, exec, s[4:5]
	v_add_u32_e32 v6, 3, v36
	v_cmp_gt_u32_e32 vcc, s33, v6
	s_and_saveexec_b64 s[4:5], vcc
; %bb.18:
	v_add_u32_e32 v5, s9, v31
	v_add_u32_e32 v6, s11, v31
	v_mul_lo_u32 v5, v5, s8
	v_mul_lo_u32 v6, v6, s10
	v_sub_u32_e32 v5, v5, v6
	v_cmp_lt_u32_e32 vcc, s14, v5
	v_cndmask_b32_e64 v5, 0, 1, vcc
; %bb.19:
	s_or_b64 exec, exec, s[4:5]
	v_add_u32_e32 v6, 4, v36
	;; [unrolled: 28-line block ×6, first 2 shown]
	v_cmp_gt_u32_e32 vcc, s33, v14
	v_mov_b32_e32 v37, 0
	s_and_saveexec_b64 s[4:5], vcc
; %bb.36:
	v_add_u32_e32 v14, s9, v35
	v_add_u32_e32 v15, s11, v35
	v_mul_lo_u32 v14, v14, s8
	v_mul_lo_u32 v15, v15, s10
	v_sub_u32_e32 v14, v14, v15
	v_cmp_lt_u32_e32 vcc, s14, v14
	v_cndmask_b32_e64 v37, 0, 1, vcc
; %bb.37:
	s_or_b64 exec, exec, s[4:5]
	v_lshlrev_b16_e32 v3, 8, v3
	v_or_b32_e32 v2, v2, v3
	v_lshlrev_b16_e32 v3, 8, v5
	v_or_b32_sdwa v3, v4, v3 dst_sel:WORD_1 dst_unused:UNUSED_PAD src0_sel:DWORD src1_sel:DWORD
	v_or_b32_sdwa v40, v2, v3 dst_sel:DWORD dst_unused:UNUSED_PAD src0_sel:WORD_0 src1_sel:DWORD
	v_lshlrev_b16_e32 v2, 8, v7
	v_lshlrev_b16_e32 v3, 8, v9
	v_or_b32_e32 v2, v6, v2
	v_or_b32_sdwa v3, v8, v3 dst_sel:WORD_1 dst_unused:UNUSED_PAD src0_sel:DWORD src1_sel:DWORD
	v_or_b32_sdwa v39, v2, v3 dst_sel:DWORD dst_unused:UNUSED_PAD src0_sel:WORD_0 src1_sel:DWORD
	v_lshlrev_b16_e32 v2, 8, v11
	v_lshlrev_b16_e32 v3, 8, v13
	v_or_b32_e32 v2, v10, v2
	v_or_b32_sdwa v3, v12, v3 dst_sel:WORD_1 dst_unused:UNUSED_PAD src0_sel:DWORD src1_sel:DWORD
	v_or_b32_sdwa v38, v2, v3 dst_sel:DWORD dst_unused:UNUSED_PAD src0_sel:WORD_0 src1_sel:DWORD
.LBB1611_38:
	v_and_b32_e32 v44, 0xff, v40
	v_bfe_u32 v45, v40, 8, 8
	v_bfe_u32 v46, v40, 16, 8
	v_lshrrev_b32_e32 v43, 24, v40
	v_and_b32_e32 v47, 0xff, v39
	v_add3_u32 v3, v45, v44, v46
	v_bfe_u32 v48, v39, 8, 8
	v_bfe_u32 v49, v39, 16, 8
	v_add3_u32 v3, v3, v43, v47
	v_lshrrev_b32_e32 v42, 24, v39
	v_and_b32_e32 v50, 0xff, v38
	v_add3_u32 v3, v3, v48, v49
	v_bfe_u32 v51, v38, 8, 8
	v_bfe_u32 v52, v38, 16, 8
	v_add3_u32 v3, v3, v42, v50
	v_lshrrev_b32_e32 v41, 24, v38
	v_and_b32_e32 v2, 0xff, v37
	v_add3_u32 v3, v3, v51, v52
	v_add3_u32 v55, v3, v41, v2
	v_mbcnt_lo_u32_b32 v2, -1, 0
	v_mbcnt_hi_u32_b32 v53, -1, v2
	v_and_b32_e32 v2, 15, v53
	v_cmp_eq_u32_e64 s[16:17], 0, v2
	v_cmp_lt_u32_e64 s[14:15], 1, v2
	v_cmp_lt_u32_e64 s[12:13], 3, v2
	;; [unrolled: 1-line block ×3, first 2 shown]
	v_and_b32_e32 v2, 16, v53
	v_cmp_eq_u32_e64 s[8:9], 0, v2
	v_or_b32_e32 v2, 63, v0
	s_cmp_lg_u32 s40, 0
	v_cmp_lt_u32_e64 s[4:5], 31, v53
	v_lshrrev_b32_e32 v54, 6, v0
	v_cmp_eq_u32_e64 s[6:7], v2, v0
	s_cbranch_scc0 .LBB1611_69
; %bb.39:
	v_mov_b32_dpp v2, v55 row_shr:1 row_mask:0xf bank_mask:0xf
	v_cndmask_b32_e64 v2, v2, 0, s[16:17]
	v_add_u32_e32 v2, v2, v55
	s_nop 1
	v_mov_b32_dpp v3, v2 row_shr:2 row_mask:0xf bank_mask:0xf
	v_cndmask_b32_e64 v3, 0, v3, s[14:15]
	v_add_u32_e32 v2, v2, v3
	s_nop 1
	;; [unrolled: 4-line block ×4, first 2 shown]
	v_mov_b32_dpp v3, v2 row_bcast:15 row_mask:0xf bank_mask:0xf
	v_cndmask_b32_e64 v3, v3, 0, s[8:9]
	v_add_u32_e32 v2, v2, v3
	s_nop 1
	v_mov_b32_dpp v3, v2 row_bcast:31 row_mask:0xf bank_mask:0xf
	v_cndmask_b32_e64 v3, 0, v3, s[4:5]
	v_add_u32_e32 v2, v2, v3
	s_and_saveexec_b64 s[18:19], s[6:7]
	s_cbranch_execz .LBB1611_41
; %bb.40:
	v_lshlrev_b32_e32 v3, 2, v54
	ds_write_b32 v3, v2
.LBB1611_41:
	s_or_b64 exec, exec, s[18:19]
	v_cmp_gt_u32_e32 vcc, 4, v0
	s_waitcnt lgkmcnt(0)
	s_barrier
	s_and_saveexec_b64 s[18:19], vcc
	s_cbranch_execz .LBB1611_43
; %bb.42:
	ds_read_b32 v3, v34
	v_and_b32_e32 v4, 3, v53
	v_cmp_ne_u32_e32 vcc, 0, v4
	s_waitcnt lgkmcnt(0)
	v_mov_b32_dpp v5, v3 row_shr:1 row_mask:0xf bank_mask:0xf
	v_cndmask_b32_e32 v5, 0, v5, vcc
	v_add_u32_e32 v3, v5, v3
	v_cmp_lt_u32_e32 vcc, 1, v4
	s_nop 0
	v_mov_b32_dpp v5, v3 row_shr:2 row_mask:0xf bank_mask:0xf
	v_cndmask_b32_e32 v4, 0, v5, vcc
	v_add_u32_e32 v3, v3, v4
	ds_write_b32 v34, v3
.LBB1611_43:
	s_or_b64 exec, exec, s[18:19]
	v_cmp_gt_u32_e32 vcc, 64, v0
	v_cmp_lt_u32_e64 s[18:19], 63, v0
	s_waitcnt lgkmcnt(0)
	s_barrier
	s_waitcnt lgkmcnt(0)
                                        ; implicit-def: $vgpr12
	s_and_saveexec_b64 s[34:35], s[18:19]
	s_cbranch_execz .LBB1611_45
; %bb.44:
	v_lshl_add_u32 v3, v54, 2, -4
	ds_read_b32 v12, v3
	s_waitcnt lgkmcnt(0)
	v_add_u32_e32 v2, v12, v2
.LBB1611_45:
	s_or_b64 exec, exec, s[34:35]
	v_add_u32_e32 v3, -1, v53
	v_and_b32_e32 v4, 64, v53
	v_cmp_lt_i32_e64 s[18:19], v3, v4
	v_cndmask_b32_e64 v3, v3, v53, s[18:19]
	v_lshlrev_b32_e32 v3, 2, v3
	ds_bpermute_b32 v13, v3, v2
	v_cmp_eq_u32_e64 s[18:19], 0, v53
	s_and_saveexec_b64 s[34:35], vcc
	s_cbranch_execz .LBB1611_68
; %bb.46:
	v_mov_b32_e32 v11, 0
	ds_read_b32 v2, v11 offset:12
	s_and_saveexec_b64 s[36:37], s[18:19]
	s_cbranch_execz .LBB1611_48
; %bb.47:
	s_add_i32 s38, s40, 64
	s_mov_b32 s39, 0
	s_lshl_b64 s[38:39], s[38:39], 3
	s_add_u32 s38, s30, s38
	v_mov_b32_e32 v3, 1
	s_addc_u32 s39, s31, s39
	s_waitcnt lgkmcnt(0)
	global_store_dwordx2 v11, v[2:3], s[38:39]
.LBB1611_48:
	s_or_b64 exec, exec, s[36:37]
	v_xad_u32 v4, v53, -1, s40
	v_add_u32_e32 v10, 64, v4
	v_lshlrev_b64 v[6:7], 3, v[10:11]
	v_mov_b32_e32 v3, s31
	v_add_co_u32_e32 v6, vcc, s30, v6
	v_addc_co_u32_e32 v7, vcc, v3, v7, vcc
	global_load_dwordx2 v[8:9], v[6:7], off glc
	s_waitcnt vmcnt(0)
	v_cmp_eq_u16_sdwa s[38:39], v9, v11 src0_sel:BYTE_0 src1_sel:DWORD
	s_and_saveexec_b64 s[36:37], s[38:39]
	s_cbranch_execz .LBB1611_54
; %bb.49:
	s_mov_b32 s41, 1
	s_mov_b64 s[38:39], 0
	v_mov_b32_e32 v3, 0
.LBB1611_50:                            ; =>This Loop Header: Depth=1
                                        ;     Child Loop BB1611_51 Depth 2
	s_max_u32 s42, s41, 1
.LBB1611_51:                            ;   Parent Loop BB1611_50 Depth=1
                                        ; =>  This Inner Loop Header: Depth=2
	s_add_i32 s42, s42, -1
	s_cmp_eq_u32 s42, 0
	s_sleep 1
	s_cbranch_scc0 .LBB1611_51
; %bb.52:                               ;   in Loop: Header=BB1611_50 Depth=1
	global_load_dwordx2 v[8:9], v[6:7], off glc
	s_cmp_lt_u32 s41, 32
	s_cselect_b64 s[42:43], -1, 0
	s_cmp_lg_u64 s[42:43], 0
	s_addc_u32 s41, s41, 0
	s_waitcnt vmcnt(0)
	v_cmp_ne_u16_sdwa s[42:43], v9, v3 src0_sel:BYTE_0 src1_sel:DWORD
	s_or_b64 s[38:39], s[42:43], s[38:39]
	s_andn2_b64 exec, exec, s[38:39]
	s_cbranch_execnz .LBB1611_50
; %bb.53:
	s_or_b64 exec, exec, s[38:39]
.LBB1611_54:
	s_or_b64 exec, exec, s[36:37]
	v_and_b32_e32 v14, 63, v53
	v_mov_b32_e32 v3, 2
	v_cmp_ne_u32_e32 vcc, 63, v14
	v_cmp_eq_u16_sdwa s[36:37], v9, v3 src0_sel:BYTE_0 src1_sel:DWORD
	v_lshlrev_b64 v[6:7], v53, -1
	v_addc_co_u32_e32 v11, vcc, 0, v53, vcc
	v_and_b32_e32 v5, s37, v7
	v_lshlrev_b32_e32 v15, 2, v11
	v_or_b32_e32 v5, 0x80000000, v5
	ds_bpermute_b32 v11, v15, v8
	v_and_b32_e32 v10, s36, v6
	v_ffbl_b32_e32 v5, v5
	v_add_u32_e32 v5, 32, v5
	v_ffbl_b32_e32 v10, v10
	v_min_u32_e32 v5, v10, v5
	v_cmp_lt_u32_e32 vcc, v14, v5
	s_waitcnt lgkmcnt(0)
	v_cndmask_b32_e32 v10, 0, v11, vcc
	v_cmp_gt_u32_e32 vcc, 62, v14
	v_add_u32_e32 v8, v10, v8
	v_cndmask_b32_e64 v10, 0, 1, vcc
	v_lshlrev_b32_e32 v10, 1, v10
	v_add_lshl_u32 v16, v10, v53, 2
	ds_bpermute_b32 v10, v16, v8
	v_add_u32_e32 v17, 2, v14
	v_cmp_le_u32_e32 vcc, v17, v5
	v_add_u32_e32 v19, 4, v14
	v_add_u32_e32 v57, 8, v14
	s_waitcnt lgkmcnt(0)
	v_cndmask_b32_e32 v10, 0, v10, vcc
	v_cmp_gt_u32_e32 vcc, 60, v14
	v_add_u32_e32 v8, v8, v10
	v_cndmask_b32_e64 v10, 0, 1, vcc
	v_lshlrev_b32_e32 v10, 2, v10
	v_add_lshl_u32 v18, v10, v53, 2
	ds_bpermute_b32 v10, v18, v8
	v_cmp_le_u32_e32 vcc, v19, v5
	v_add_u32_e32 v60, 16, v14
	v_add_u32_e32 v62, 32, v14
	s_waitcnt lgkmcnt(0)
	v_cndmask_b32_e32 v10, 0, v10, vcc
	v_cmp_gt_u32_e32 vcc, 56, v14
	v_add_u32_e32 v8, v8, v10
	v_cndmask_b32_e64 v10, 0, 1, vcc
	v_lshlrev_b32_e32 v10, 3, v10
	v_add_lshl_u32 v56, v10, v53, 2
	ds_bpermute_b32 v10, v56, v8
	v_cmp_le_u32_e32 vcc, v57, v5
	s_waitcnt lgkmcnt(0)
	v_cndmask_b32_e32 v10, 0, v10, vcc
	v_cmp_gt_u32_e32 vcc, 48, v14
	v_add_u32_e32 v8, v8, v10
	v_cndmask_b32_e64 v10, 0, 1, vcc
	v_lshlrev_b32_e32 v10, 4, v10
	v_add_lshl_u32 v59, v10, v53, 2
	ds_bpermute_b32 v10, v59, v8
	v_cmp_le_u32_e32 vcc, v60, v5
	;; [unrolled: 9-line block ×3, first 2 shown]
	s_waitcnt lgkmcnt(0)
	v_cndmask_b32_e32 v5, 0, v10, vcc
	v_add_u32_e32 v8, v8, v5
	v_mov_b32_e32 v5, 0
	s_branch .LBB1611_56
.LBB1611_55:                            ;   in Loop: Header=BB1611_56 Depth=1
	s_or_b64 exec, exec, s[36:37]
	v_cmp_eq_u16_sdwa s[36:37], v9, v3 src0_sel:BYTE_0 src1_sel:DWORD
	v_and_b32_e32 v10, s37, v7
	v_or_b32_e32 v10, 0x80000000, v10
	ds_bpermute_b32 v63, v15, v8
	v_and_b32_e32 v11, s36, v6
	v_ffbl_b32_e32 v10, v10
	v_add_u32_e32 v10, 32, v10
	v_ffbl_b32_e32 v11, v11
	v_min_u32_e32 v10, v11, v10
	v_cmp_lt_u32_e32 vcc, v14, v10
	s_waitcnt lgkmcnt(0)
	v_cndmask_b32_e32 v11, 0, v63, vcc
	v_add_u32_e32 v8, v11, v8
	ds_bpermute_b32 v11, v16, v8
	v_cmp_le_u32_e32 vcc, v17, v10
	v_subrev_u32_e32 v4, 64, v4
	s_waitcnt lgkmcnt(0)
	v_cndmask_b32_e32 v11, 0, v11, vcc
	v_add_u32_e32 v8, v8, v11
	ds_bpermute_b32 v11, v18, v8
	v_cmp_le_u32_e32 vcc, v19, v10
	s_waitcnt lgkmcnt(0)
	v_cndmask_b32_e32 v11, 0, v11, vcc
	v_add_u32_e32 v8, v8, v11
	ds_bpermute_b32 v11, v56, v8
	v_cmp_le_u32_e32 vcc, v57, v10
	;; [unrolled: 5-line block ×4, first 2 shown]
	s_waitcnt lgkmcnt(0)
	v_cndmask_b32_e32 v10, 0, v11, vcc
	v_add3_u32 v8, v10, v58, v8
.LBB1611_56:                            ; =>This Loop Header: Depth=1
                                        ;     Child Loop BB1611_59 Depth 2
                                        ;       Child Loop BB1611_60 Depth 3
	v_cmp_ne_u16_sdwa s[36:37], v9, v3 src0_sel:BYTE_0 src1_sel:DWORD
	v_cndmask_b32_e64 v9, 0, 1, s[36:37]
	;;#ASMSTART
	;;#ASMEND
	v_cmp_ne_u32_e32 vcc, 0, v9
	s_cmp_lg_u64 vcc, exec
	v_mov_b32_e32 v58, v8
	s_cbranch_scc1 .LBB1611_63
; %bb.57:                               ;   in Loop: Header=BB1611_56 Depth=1
	v_lshlrev_b64 v[8:9], 3, v[4:5]
	v_mov_b32_e32 v11, s31
	v_add_co_u32_e32 v10, vcc, s30, v8
	v_addc_co_u32_e32 v11, vcc, v11, v9, vcc
	global_load_dwordx2 v[8:9], v[10:11], off glc
	s_waitcnt vmcnt(0)
	v_cmp_eq_u16_sdwa s[38:39], v9, v5 src0_sel:BYTE_0 src1_sel:DWORD
	s_and_saveexec_b64 s[36:37], s[38:39]
	s_cbranch_execz .LBB1611_55
; %bb.58:                               ;   in Loop: Header=BB1611_56 Depth=1
	s_mov_b32 s41, 1
	s_mov_b64 s[38:39], 0
.LBB1611_59:                            ;   Parent Loop BB1611_56 Depth=1
                                        ; =>  This Loop Header: Depth=2
                                        ;       Child Loop BB1611_60 Depth 3
	s_max_u32 s42, s41, 1
.LBB1611_60:                            ;   Parent Loop BB1611_56 Depth=1
                                        ;     Parent Loop BB1611_59 Depth=2
                                        ; =>    This Inner Loop Header: Depth=3
	s_add_i32 s42, s42, -1
	s_cmp_eq_u32 s42, 0
	s_sleep 1
	s_cbranch_scc0 .LBB1611_60
; %bb.61:                               ;   in Loop: Header=BB1611_59 Depth=2
	global_load_dwordx2 v[8:9], v[10:11], off glc
	s_cmp_lt_u32 s41, 32
	s_cselect_b64 s[42:43], -1, 0
	s_cmp_lg_u64 s[42:43], 0
	s_addc_u32 s41, s41, 0
	s_waitcnt vmcnt(0)
	v_cmp_ne_u16_sdwa s[42:43], v9, v5 src0_sel:BYTE_0 src1_sel:DWORD
	s_or_b64 s[38:39], s[42:43], s[38:39]
	s_andn2_b64 exec, exec, s[38:39]
	s_cbranch_execnz .LBB1611_59
; %bb.62:                               ;   in Loop: Header=BB1611_56 Depth=1
	s_or_b64 exec, exec, s[38:39]
	s_branch .LBB1611_55
.LBB1611_63:                            ;   in Loop: Header=BB1611_56 Depth=1
                                        ; implicit-def: $vgpr8
                                        ; implicit-def: $vgpr9
	s_cbranch_execz .LBB1611_56
; %bb.64:
	s_and_saveexec_b64 s[36:37], s[18:19]
	s_cbranch_execz .LBB1611_66
; %bb.65:
	s_add_i32 s38, s40, 64
	s_mov_b32 s39, 0
	s_lshl_b64 s[38:39], s[38:39], 3
	s_add_u32 s38, s30, s38
	v_add_u32_e32 v4, v58, v2
	v_mov_b32_e32 v5, 2
	s_addc_u32 s39, s31, s39
	v_mov_b32_e32 v3, 0
	global_store_dwordx2 v3, v[4:5], s[38:39]
	s_movk_i32 s38, 0x3400
	v_add_u32_e64 v3, s38, 0
	ds_write2_b32 v3, v2, v58 offset1:2
.LBB1611_66:
	s_or_b64 exec, exec, s[36:37]
	s_and_b64 exec, exec, s[0:1]
	s_cbranch_execz .LBB1611_68
; %bb.67:
	v_mov_b32_e32 v2, 0
	ds_write_b32 v2, v58 offset:12
.LBB1611_68:
	s_or_b64 exec, exec, s[34:35]
	v_mov_b32_e32 v2, 0
	s_waitcnt lgkmcnt(0)
	s_barrier
	ds_read_b32 v2, v2 offset:12
	v_cndmask_b32_e64 v3, v13, v12, s[18:19]
	v_cndmask_b32_e64 v3, v3, 0, s[0:1]
	s_movk_i32 s18, 0x3400
	v_add_u32_e64 v12, s18, 0
	s_waitcnt lgkmcnt(0)
	v_add_u32_e32 v2, v2, v3
	v_add_u32_e32 v3, v2, v44
	;; [unrolled: 1-line block ×9, first 2 shown]
	s_barrier
	ds_read2_b32 v[18:19], v12 offset1:2
	v_add_u32_e32 v11, v10, v50
	v_add_u32_e32 v12, v11, v51
	;; [unrolled: 1-line block ×4, first 2 shown]
	s_branch .LBB1611_79
.LBB1611_69:
                                        ; implicit-def: $vgpr19
                                        ; implicit-def: $vgpr2_vgpr3_vgpr4_vgpr5_vgpr6_vgpr7_vgpr8_vgpr9_vgpr10_vgpr11_vgpr12_vgpr13_vgpr14_vgpr15_vgpr16_vgpr17
	s_cbranch_execz .LBB1611_79
; %bb.70:
	s_nop 0
	v_mov_b32_dpp v2, v55 row_shr:1 row_mask:0xf bank_mask:0xf
	v_cndmask_b32_e64 v2, v2, 0, s[16:17]
	v_add_u32_e32 v2, v2, v55
	s_nop 1
	v_mov_b32_dpp v3, v2 row_shr:2 row_mask:0xf bank_mask:0xf
	v_cndmask_b32_e64 v3, 0, v3, s[14:15]
	v_add_u32_e32 v2, v2, v3
	;; [unrolled: 4-line block ×4, first 2 shown]
	s_nop 1
	v_mov_b32_dpp v3, v2 row_bcast:15 row_mask:0xf bank_mask:0xf
	v_cndmask_b32_e64 v3, v3, 0, s[8:9]
	v_add_u32_e32 v2, v2, v3
	s_nop 1
	v_mov_b32_dpp v3, v2 row_bcast:31 row_mask:0xf bank_mask:0xf
	v_cndmask_b32_e64 v3, 0, v3, s[4:5]
	v_add_u32_e32 v2, v2, v3
	s_and_saveexec_b64 s[4:5], s[6:7]
	s_cbranch_execz .LBB1611_72
; %bb.71:
	v_lshlrev_b32_e32 v3, 2, v54
	ds_write_b32 v3, v2
.LBB1611_72:
	s_or_b64 exec, exec, s[4:5]
	v_cmp_gt_u32_e32 vcc, 4, v0
	s_waitcnt lgkmcnt(0)
	s_barrier
	s_and_saveexec_b64 s[4:5], vcc
	s_cbranch_execz .LBB1611_74
; %bb.73:
	ds_read_b32 v3, v34
	v_and_b32_e32 v4, 3, v53
	v_cmp_ne_u32_e32 vcc, 0, v4
	s_waitcnt lgkmcnt(0)
	v_mov_b32_dpp v5, v3 row_shr:1 row_mask:0xf bank_mask:0xf
	v_cndmask_b32_e32 v5, 0, v5, vcc
	v_add_u32_e32 v3, v5, v3
	v_cmp_lt_u32_e32 vcc, 1, v4
	s_nop 0
	v_mov_b32_dpp v5, v3 row_shr:2 row_mask:0xf bank_mask:0xf
	v_cndmask_b32_e32 v4, 0, v5, vcc
	v_add_u32_e32 v3, v3, v4
	ds_write_b32 v34, v3
.LBB1611_74:
	s_or_b64 exec, exec, s[4:5]
	v_cmp_lt_u32_e32 vcc, 63, v0
	v_mov_b32_e32 v4, 0
	v_mov_b32_e32 v3, 0
	s_waitcnt lgkmcnt(0)
	s_barrier
	s_and_saveexec_b64 s[4:5], vcc
	s_cbranch_execz .LBB1611_76
; %bb.75:
	v_lshl_add_u32 v3, v54, 2, -4
	ds_read_b32 v3, v3
.LBB1611_76:
	s_or_b64 exec, exec, s[4:5]
	v_add_u32_e32 v5, -1, v53
	v_and_b32_e32 v6, 64, v53
	v_cmp_lt_i32_e32 vcc, v5, v6
	v_cndmask_b32_e32 v5, v5, v53, vcc
	s_waitcnt lgkmcnt(0)
	v_add_u32_e32 v2, v3, v2
	v_lshlrev_b32_e32 v5, 2, v5
	ds_bpermute_b32 v2, v5, v2
	ds_read_b32 v18, v4 offset:12
	s_and_saveexec_b64 s[4:5], s[0:1]
	s_cbranch_execz .LBB1611_78
; %bb.77:
	v_mov_b32_e32 v4, 0
	v_mov_b32_e32 v19, 2
	s_waitcnt lgkmcnt(0)
	global_store_dwordx2 v4, v[18:19], s[30:31] offset:512
.LBB1611_78:
	s_or_b64 exec, exec, s[4:5]
	v_cmp_eq_u32_e32 vcc, 0, v53
	s_waitcnt lgkmcnt(1)
	v_cndmask_b32_e32 v2, v2, v3, vcc
	v_cndmask_b32_e64 v2, v2, 0, s[0:1]
	v_add_u32_e32 v3, v2, v44
	v_add_u32_e32 v4, v3, v45
	;; [unrolled: 1-line block ×11, first 2 shown]
	v_mov_b32_e32 v19, 0
	v_add_u32_e32 v14, v13, v41
	s_waitcnt lgkmcnt(0)
	s_barrier
.LBB1611_79:
	s_waitcnt lgkmcnt(0)
	v_add_u32_e32 v36, v18, v36
	v_sub_u32_e32 v2, v2, v19
	v_and_b32_e32 v45, 1, v40
	v_sub_u32_e32 v44, v36, v2
	v_cmp_eq_u32_e32 vcc, 1, v45
	v_cndmask_b32_e32 v2, v44, v2, vcc
	v_lshlrev_b32_e32 v2, 2, v2
	v_lshrrev_b32_e32 v17, 8, v40
	ds_write_b32 v2, v32
	v_sub_u32_e32 v2, v3, v19
	v_sub_u32_e32 v3, v36, v2
	v_and_b32_e32 v17, 1, v17
	v_add_u32_e32 v3, 1, v3
	v_cmp_eq_u32_e32 vcc, 1, v17
	v_cndmask_b32_e32 v2, v3, v2, vcc
	v_lshlrev_b32_e32 v2, 2, v2
	ds_write_b32 v2, v33
	v_sub_u32_e32 v2, v4, v19
	v_mov_b32_e32 v4, 1
	v_sub_u32_e32 v3, v36, v2
	v_and_b32_sdwa v17, v4, v40 dst_sel:DWORD dst_unused:UNUSED_PAD src0_sel:DWORD src1_sel:WORD_1
	v_add_u32_e32 v3, 2, v3
	v_cmp_eq_u32_e32 vcc, 1, v17
	v_cndmask_b32_e32 v2, v3, v2, vcc
	v_lshlrev_b32_e32 v2, 2, v2
	ds_write_b32 v2, v30
	v_sub_u32_e32 v2, v5, v19
	v_sub_u32_e32 v3, v36, v2
	v_and_b32_e32 v5, 1, v43
	v_add_u32_e32 v3, 3, v3
	v_cmp_eq_u32_e32 vcc, 1, v5
	v_cndmask_b32_e32 v2, v3, v2, vcc
	v_lshlrev_b32_e32 v2, 2, v2
	ds_write_b32 v2, v31
	v_sub_u32_e32 v2, v6, v19
	v_sub_u32_e32 v3, v36, v2
	v_and_b32_e32 v5, 1, v39
	v_add_u32_e32 v3, 4, v3
	v_cmp_eq_u32_e32 vcc, 1, v5
	v_cndmask_b32_e32 v2, v3, v2, vcc
	v_lshlrev_b32_e32 v2, 2, v2
	v_lshrrev_b32_e32 v16, 8, v39
	ds_write_b32 v2, v28
	v_sub_u32_e32 v2, v7, v19
	v_sub_u32_e32 v3, v36, v2
	v_and_b32_e32 v5, 1, v16
	v_add_u32_e32 v3, 5, v3
	v_cmp_eq_u32_e32 vcc, 1, v5
	v_cndmask_b32_e32 v2, v3, v2, vcc
	v_lshlrev_b32_e32 v2, 2, v2
	ds_write_b32 v2, v29
	v_sub_u32_e32 v2, v8, v19
	v_sub_u32_e32 v3, v36, v2
	v_and_b32_sdwa v5, v4, v39 dst_sel:DWORD dst_unused:UNUSED_PAD src0_sel:DWORD src1_sel:WORD_1
	v_add_u32_e32 v3, 6, v3
	v_cmp_eq_u32_e32 vcc, 1, v5
	v_cndmask_b32_e32 v2, v3, v2, vcc
	v_lshlrev_b32_e32 v2, 2, v2
	ds_write_b32 v2, v26
	v_sub_u32_e32 v2, v9, v19
	v_sub_u32_e32 v3, v36, v2
	v_and_b32_e32 v5, 1, v42
	v_add_u32_e32 v3, 7, v3
	v_cmp_eq_u32_e32 vcc, 1, v5
	v_cndmask_b32_e32 v2, v3, v2, vcc
	v_lshlrev_b32_e32 v2, 2, v2
	ds_write_b32 v2, v27
	v_sub_u32_e32 v2, v10, v19
	v_sub_u32_e32 v3, v36, v2
	v_and_b32_e32 v5, 1, v38
	v_add_u32_e32 v3, 8, v3
	v_cmp_eq_u32_e32 vcc, 1, v5
	v_cndmask_b32_e32 v2, v3, v2, vcc
	v_lshlrev_b32_e32 v2, 2, v2
	v_lshrrev_b32_e32 v15, 8, v38
	ds_write_b32 v2, v24
	v_sub_u32_e32 v2, v11, v19
	v_sub_u32_e32 v3, v36, v2
	v_and_b32_e32 v5, 1, v15
	v_add_u32_e32 v3, 9, v3
	v_cmp_eq_u32_e32 vcc, 1, v5
	v_cndmask_b32_e32 v2, v3, v2, vcc
	v_lshlrev_b32_e32 v2, 2, v2
	ds_write_b32 v2, v25
	v_sub_u32_e32 v2, v12, v19
	v_sub_u32_e32 v3, v36, v2
	v_and_b32_sdwa v4, v4, v38 dst_sel:DWORD dst_unused:UNUSED_PAD src0_sel:DWORD src1_sel:WORD_1
	v_add_u32_e32 v3, 10, v3
	v_cmp_eq_u32_e32 vcc, 1, v4
	v_cndmask_b32_e32 v2, v3, v2, vcc
	v_lshlrev_b32_e32 v2, 2, v2
	ds_write_b32 v2, v22
	v_sub_u32_e32 v2, v13, v19
	v_sub_u32_e32 v3, v36, v2
	v_and_b32_e32 v4, 1, v41
	v_add_u32_e32 v3, 11, v3
	v_cmp_eq_u32_e32 vcc, 1, v4
	v_cndmask_b32_e32 v2, v3, v2, vcc
	v_lshlrev_b32_e32 v2, 2, v2
	ds_write_b32 v2, v23
	v_sub_u32_e32 v2, v14, v19
	v_sub_u32_e32 v3, v36, v2
	v_and_b32_e32 v4, 1, v37
	v_add_u32_e32 v3, 12, v3
	v_cmp_eq_u32_e32 vcc, 1, v4
	v_cndmask_b32_e32 v2, v3, v2, vcc
	s_waitcnt vmcnt(0)
	v_add_co_u32_e32 v16, vcc, v20, v19
	v_addc_co_u32_e32 v17, vcc, 0, v21, vcc
	v_mov_b32_e32 v14, s29
	v_add_co_u32_e32 v1, vcc, s28, v1
	v_addc_co_u32_e32 v14, vcc, 0, v14, vcc
	v_lshlrev_b32_e32 v2, 2, v2
	v_mov_b32_e32 v15, s27
	v_sub_co_u32_e32 v1, vcc, s26, v1
	ds_write_b32 v2, v35
	s_waitcnt lgkmcnt(0)
	s_barrier
	ds_read2st64_b32 v[12:13], v34 offset1:4
	ds_read2st64_b32 v[10:11], v34 offset0:8 offset1:12
	ds_read2st64_b32 v[8:9], v34 offset0:16 offset1:20
	;; [unrolled: 1-line block ×5, first 2 shown]
	ds_read_b32 v22, v34 offset:12288
	v_subb_co_u32_e32 v14, vcc, v15, v14, vcc
	v_add_co_u32_e32 v1, vcc, v1, v18
	v_addc_co_u32_e32 v14, vcc, 0, v14, vcc
	s_and_b64 vcc, exec, s[2:3]
	v_add_co_u32_e64 v1, s[2:3], v1, v16
	v_or_b32_e32 v35, 0x100, v0
	v_or_b32_e32 v33, 0x200, v0
	;; [unrolled: 1-line block ×12, first 2 shown]
	v_addc_co_u32_e64 v19, s[2:3], v14, v17, s[2:3]
	s_cbranch_vccnz .LBB1611_136
; %bb.80:
	v_cmp_ge_u32_e32 vcc, v0, v18
                                        ; implicit-def: $vgpr14_vgpr15
	s_and_saveexec_b64 s[2:3], vcc
	s_xor_b64 s[2:3], exec, s[2:3]
; %bb.81:
	v_not_b32_e32 v14, v0
	v_ashrrev_i32_e32 v15, 31, v14
	v_add_co_u32_e32 v14, vcc, v1, v14
	v_addc_co_u32_e32 v15, vcc, v19, v15, vcc
; %bb.82:
	s_andn2_saveexec_b64 s[2:3], s[2:3]
; %bb.83:
	v_add_co_u32_e32 v14, vcc, v16, v0
	v_addc_co_u32_e32 v15, vcc, 0, v17, vcc
; %bb.84:
	s_or_b64 exec, exec, s[2:3]
	v_lshlrev_b64 v[14:15], 2, v[14:15]
	v_mov_b32_e32 v20, s25
	v_add_co_u32_e32 v14, vcc, s24, v14
	v_addc_co_u32_e32 v15, vcc, v20, v15, vcc
	v_cmp_ge_u32_e32 vcc, v35, v18
	s_waitcnt lgkmcnt(6)
	global_store_dword v[14:15], v12, off
                                        ; implicit-def: $vgpr14_vgpr15
	s_and_saveexec_b64 s[2:3], vcc
	s_xor_b64 s[2:3], exec, s[2:3]
; %bb.85:
	v_xor_b32_e32 v14, 0xfffffeff, v0
	v_ashrrev_i32_e32 v15, 31, v14
	v_add_co_u32_e32 v14, vcc, v1, v14
	v_addc_co_u32_e32 v15, vcc, v19, v15, vcc
; %bb.86:
	s_andn2_saveexec_b64 s[2:3], s[2:3]
; %bb.87:
	v_add_co_u32_e32 v14, vcc, v16, v35
	v_addc_co_u32_e32 v15, vcc, 0, v17, vcc
; %bb.88:
	s_or_b64 exec, exec, s[2:3]
	v_lshlrev_b64 v[14:15], 2, v[14:15]
	v_mov_b32_e32 v20, s25
	v_add_co_u32_e32 v14, vcc, s24, v14
	v_addc_co_u32_e32 v15, vcc, v20, v15, vcc
	v_cmp_ge_u32_e32 vcc, v33, v18
	global_store_dword v[14:15], v13, off
                                        ; implicit-def: $vgpr14_vgpr15
	s_and_saveexec_b64 s[2:3], vcc
	s_xor_b64 s[2:3], exec, s[2:3]
; %bb.89:
	v_xor_b32_e32 v14, 0xfffffdff, v0
	v_ashrrev_i32_e32 v15, 31, v14
	v_add_co_u32_e32 v14, vcc, v1, v14
	v_addc_co_u32_e32 v15, vcc, v19, v15, vcc
; %bb.90:
	s_andn2_saveexec_b64 s[2:3], s[2:3]
; %bb.91:
	v_add_co_u32_e32 v14, vcc, v16, v33
	v_addc_co_u32_e32 v15, vcc, 0, v17, vcc
; %bb.92:
	s_or_b64 exec, exec, s[2:3]
	v_lshlrev_b64 v[14:15], 2, v[14:15]
	v_mov_b32_e32 v20, s25
	v_add_co_u32_e32 v14, vcc, s24, v14
	v_addc_co_u32_e32 v15, vcc, v20, v15, vcc
	v_cmp_ge_u32_e32 vcc, v32, v18
	s_waitcnt lgkmcnt(5)
	global_store_dword v[14:15], v10, off
                                        ; implicit-def: $vgpr14_vgpr15
	s_and_saveexec_b64 s[2:3], vcc
	s_xor_b64 s[2:3], exec, s[2:3]
; %bb.93:
	v_xor_b32_e32 v14, 0xfffffcff, v0
	v_ashrrev_i32_e32 v15, 31, v14
	v_add_co_u32_e32 v14, vcc, v1, v14
	v_addc_co_u32_e32 v15, vcc, v19, v15, vcc
; %bb.94:
	s_andn2_saveexec_b64 s[2:3], s[2:3]
; %bb.95:
	v_add_co_u32_e32 v14, vcc, v16, v32
	v_addc_co_u32_e32 v15, vcc, 0, v17, vcc
; %bb.96:
	s_or_b64 exec, exec, s[2:3]
	v_lshlrev_b64 v[14:15], 2, v[14:15]
	v_mov_b32_e32 v20, s25
	v_add_co_u32_e32 v14, vcc, s24, v14
	v_addc_co_u32_e32 v15, vcc, v20, v15, vcc
	v_cmp_ge_u32_e32 vcc, v31, v18
	global_store_dword v[14:15], v11, off
                                        ; implicit-def: $vgpr14_vgpr15
	s_and_saveexec_b64 s[2:3], vcc
	s_xor_b64 s[2:3], exec, s[2:3]
; %bb.97:
	v_xor_b32_e32 v14, 0xfffffbff, v0
	;; [unrolled: 43-line block ×6, first 2 shown]
	v_ashrrev_i32_e32 v15, 31, v14
	v_add_co_u32_e32 v14, vcc, v1, v14
	v_addc_co_u32_e32 v15, vcc, v19, v15, vcc
; %bb.130:
	s_andn2_saveexec_b64 s[2:3], s[2:3]
; %bb.131:
	v_add_co_u32_e32 v14, vcc, v16, v23
	v_addc_co_u32_e32 v15, vcc, 0, v17, vcc
; %bb.132:
	s_or_b64 exec, exec, s[2:3]
	s_mov_b64 s[2:3], -1
.LBB1611_133:
	s_and_saveexec_b64 s[4:5], s[2:3]
	s_cbranch_execz .LBB1611_216
.LBB1611_134:
	v_lshlrev_b64 v[0:1], 2, v[14:15]
	s_waitcnt lgkmcnt(1)
	v_mov_b32_e32 v2, s25
	v_add_co_u32_e32 v0, vcc, s24, v0
	v_addc_co_u32_e32 v1, vcc, v2, v1, vcc
	s_waitcnt lgkmcnt(0)
	global_store_dword v[0:1], v22, off
	s_or_b64 exec, exec, s[4:5]
	s_and_b64 s[0:1], s[0:1], s[22:23]
	s_and_saveexec_b64 s[2:3], s[0:1]
	s_cbranch_execnz .LBB1611_217
.LBB1611_135:
	s_endpgm
.LBB1611_136:
	s_mov_b64 s[2:3], 0
                                        ; implicit-def: $vgpr14_vgpr15
	s_cbranch_execz .LBB1611_133
; %bb.137:
	v_cmp_gt_u32_e32 vcc, s33, v0
	s_and_saveexec_b64 s[4:5], vcc
	s_cbranch_execz .LBB1611_173
; %bb.138:
	v_cmp_ge_u32_e32 vcc, v0, v18
                                        ; implicit-def: $vgpr14_vgpr15
	s_and_saveexec_b64 s[6:7], vcc
	s_xor_b64 s[6:7], exec, s[6:7]
; %bb.139:
	v_not_b32_e32 v14, v0
	v_ashrrev_i32_e32 v15, 31, v14
	v_add_co_u32_e32 v14, vcc, v1, v14
	v_addc_co_u32_e32 v15, vcc, v19, v15, vcc
; %bb.140:
	s_andn2_saveexec_b64 s[6:7], s[6:7]
; %bb.141:
	v_add_co_u32_e32 v14, vcc, v16, v0
	v_addc_co_u32_e32 v15, vcc, 0, v17, vcc
; %bb.142:
	s_or_b64 exec, exec, s[6:7]
	v_lshlrev_b64 v[14:15], 2, v[14:15]
	v_mov_b32_e32 v20, s25
	v_add_co_u32_e32 v14, vcc, s24, v14
	v_addc_co_u32_e32 v15, vcc, v20, v15, vcc
	s_waitcnt lgkmcnt(6)
	global_store_dword v[14:15], v12, off
	s_or_b64 exec, exec, s[4:5]
	v_cmp_gt_u32_e32 vcc, s33, v35
	s_and_saveexec_b64 s[4:5], vcc
	s_cbranch_execnz .LBB1611_174
.LBB1611_143:
	s_or_b64 exec, exec, s[4:5]
	v_cmp_gt_u32_e32 vcc, s33, v33
	s_and_saveexec_b64 s[4:5], vcc
	s_cbranch_execz .LBB1611_179
.LBB1611_144:
	v_cmp_ge_u32_e32 vcc, v33, v18
                                        ; implicit-def: $vgpr12_vgpr13
	s_and_saveexec_b64 s[6:7], vcc
	s_xor_b64 s[6:7], exec, s[6:7]
	s_cbranch_execz .LBB1611_146
; %bb.145:
	s_waitcnt lgkmcnt(6)
	v_xor_b32_e32 v12, 0xfffffdff, v0
	v_ashrrev_i32_e32 v13, 31, v12
	v_add_co_u32_e32 v12, vcc, v1, v12
	v_addc_co_u32_e32 v13, vcc, v19, v13, vcc
                                        ; implicit-def: $vgpr33
.LBB1611_146:
	s_andn2_saveexec_b64 s[6:7], s[6:7]
	s_cbranch_execz .LBB1611_148
; %bb.147:
	s_waitcnt lgkmcnt(6)
	v_add_co_u32_e32 v12, vcc, v16, v33
	v_addc_co_u32_e32 v13, vcc, 0, v17, vcc
.LBB1611_148:
	s_or_b64 exec, exec, s[6:7]
	s_waitcnt lgkmcnt(6)
	v_lshlrev_b64 v[12:13], 2, v[12:13]
	v_mov_b32_e32 v14, s25
	v_add_co_u32_e32 v12, vcc, s24, v12
	v_addc_co_u32_e32 v13, vcc, v14, v13, vcc
	s_waitcnt lgkmcnt(5)
	global_store_dword v[12:13], v10, off
	s_or_b64 exec, exec, s[4:5]
	v_cmp_gt_u32_e32 vcc, s33, v32
	s_and_saveexec_b64 s[4:5], vcc
	s_cbranch_execnz .LBB1611_180
.LBB1611_149:
	s_or_b64 exec, exec, s[4:5]
	v_cmp_gt_u32_e32 vcc, s33, v31
	s_and_saveexec_b64 s[4:5], vcc
	s_cbranch_execz .LBB1611_185
.LBB1611_150:
	v_cmp_ge_u32_e32 vcc, v31, v18
                                        ; implicit-def: $vgpr10_vgpr11
	s_and_saveexec_b64 s[6:7], vcc
	s_xor_b64 s[6:7], exec, s[6:7]
	s_cbranch_execz .LBB1611_152
; %bb.151:
	s_waitcnt lgkmcnt(5)
	v_xor_b32_e32 v10, 0xfffffbff, v0
	v_ashrrev_i32_e32 v11, 31, v10
	v_add_co_u32_e32 v10, vcc, v1, v10
	v_addc_co_u32_e32 v11, vcc, v19, v11, vcc
                                        ; implicit-def: $vgpr31
.LBB1611_152:
	s_andn2_saveexec_b64 s[6:7], s[6:7]
	s_cbranch_execz .LBB1611_154
; %bb.153:
	s_waitcnt lgkmcnt(5)
	v_add_co_u32_e32 v10, vcc, v16, v31
	v_addc_co_u32_e32 v11, vcc, 0, v17, vcc
.LBB1611_154:
	s_or_b64 exec, exec, s[6:7]
	s_waitcnt lgkmcnt(5)
	v_lshlrev_b64 v[10:11], 2, v[10:11]
	v_mov_b32_e32 v12, s25
	v_add_co_u32_e32 v10, vcc, s24, v10
	v_addc_co_u32_e32 v11, vcc, v12, v11, vcc
	s_waitcnt lgkmcnt(4)
	global_store_dword v[10:11], v8, off
	s_or_b64 exec, exec, s[4:5]
	v_cmp_gt_u32_e32 vcc, s33, v30
	s_and_saveexec_b64 s[4:5], vcc
	s_cbranch_execnz .LBB1611_186
.LBB1611_155:
	s_or_b64 exec, exec, s[4:5]
	v_cmp_gt_u32_e32 vcc, s33, v29
	s_and_saveexec_b64 s[4:5], vcc
	s_cbranch_execz .LBB1611_191
.LBB1611_156:
	v_cmp_ge_u32_e32 vcc, v29, v18
                                        ; implicit-def: $vgpr8_vgpr9
	s_and_saveexec_b64 s[6:7], vcc
	s_xor_b64 s[6:7], exec, s[6:7]
	s_cbranch_execz .LBB1611_158
; %bb.157:
	s_waitcnt lgkmcnt(4)
	v_xor_b32_e32 v8, 0xfffff9ff, v0
	v_ashrrev_i32_e32 v9, 31, v8
	v_add_co_u32_e32 v8, vcc, v1, v8
	v_addc_co_u32_e32 v9, vcc, v19, v9, vcc
                                        ; implicit-def: $vgpr29
.LBB1611_158:
	s_andn2_saveexec_b64 s[6:7], s[6:7]
	s_cbranch_execz .LBB1611_160
; %bb.159:
	s_waitcnt lgkmcnt(4)
	v_add_co_u32_e32 v8, vcc, v16, v29
	v_addc_co_u32_e32 v9, vcc, 0, v17, vcc
.LBB1611_160:
	s_or_b64 exec, exec, s[6:7]
	s_waitcnt lgkmcnt(4)
	v_lshlrev_b64 v[8:9], 2, v[8:9]
	v_mov_b32_e32 v10, s25
	v_add_co_u32_e32 v8, vcc, s24, v8
	v_addc_co_u32_e32 v9, vcc, v10, v9, vcc
	s_waitcnt lgkmcnt(3)
	global_store_dword v[8:9], v6, off
	s_or_b64 exec, exec, s[4:5]
	v_cmp_gt_u32_e32 vcc, s33, v28
	s_and_saveexec_b64 s[4:5], vcc
	s_cbranch_execnz .LBB1611_192
.LBB1611_161:
	s_or_b64 exec, exec, s[4:5]
	v_cmp_gt_u32_e32 vcc, s33, v27
	s_and_saveexec_b64 s[4:5], vcc
	s_cbranch_execz .LBB1611_197
.LBB1611_162:
	v_cmp_ge_u32_e32 vcc, v27, v18
                                        ; implicit-def: $vgpr6_vgpr7
	s_and_saveexec_b64 s[6:7], vcc
	s_xor_b64 s[6:7], exec, s[6:7]
	s_cbranch_execz .LBB1611_164
; %bb.163:
	s_waitcnt lgkmcnt(3)
	v_xor_b32_e32 v6, 0xfffff7ff, v0
	v_ashrrev_i32_e32 v7, 31, v6
	v_add_co_u32_e32 v6, vcc, v1, v6
	v_addc_co_u32_e32 v7, vcc, v19, v7, vcc
                                        ; implicit-def: $vgpr27
.LBB1611_164:
	s_andn2_saveexec_b64 s[6:7], s[6:7]
	s_cbranch_execz .LBB1611_166
; %bb.165:
	s_waitcnt lgkmcnt(3)
	v_add_co_u32_e32 v6, vcc, v16, v27
	v_addc_co_u32_e32 v7, vcc, 0, v17, vcc
.LBB1611_166:
	s_or_b64 exec, exec, s[6:7]
	s_waitcnt lgkmcnt(3)
	v_lshlrev_b64 v[6:7], 2, v[6:7]
	v_mov_b32_e32 v8, s25
	v_add_co_u32_e32 v6, vcc, s24, v6
	v_addc_co_u32_e32 v7, vcc, v8, v7, vcc
	s_waitcnt lgkmcnt(2)
	global_store_dword v[6:7], v4, off
	s_or_b64 exec, exec, s[4:5]
	v_cmp_gt_u32_e32 vcc, s33, v26
	s_and_saveexec_b64 s[4:5], vcc
	s_cbranch_execnz .LBB1611_198
.LBB1611_167:
	s_or_b64 exec, exec, s[4:5]
	v_cmp_gt_u32_e32 vcc, s33, v25
	s_and_saveexec_b64 s[4:5], vcc
	s_cbranch_execz .LBB1611_203
.LBB1611_168:
	v_cmp_ge_u32_e32 vcc, v25, v18
                                        ; implicit-def: $vgpr4_vgpr5
	s_and_saveexec_b64 s[6:7], vcc
	s_xor_b64 s[6:7], exec, s[6:7]
	s_cbranch_execz .LBB1611_170
; %bb.169:
	s_waitcnt lgkmcnt(2)
	v_xor_b32_e32 v4, 0xfffff5ff, v0
	v_ashrrev_i32_e32 v5, 31, v4
	v_add_co_u32_e32 v4, vcc, v1, v4
	v_addc_co_u32_e32 v5, vcc, v19, v5, vcc
                                        ; implicit-def: $vgpr25
.LBB1611_170:
	s_andn2_saveexec_b64 s[6:7], s[6:7]
	s_cbranch_execz .LBB1611_172
; %bb.171:
	s_waitcnt lgkmcnt(2)
	v_add_co_u32_e32 v4, vcc, v16, v25
	v_addc_co_u32_e32 v5, vcc, 0, v17, vcc
.LBB1611_172:
	s_or_b64 exec, exec, s[6:7]
	s_waitcnt lgkmcnt(2)
	v_lshlrev_b64 v[4:5], 2, v[4:5]
	v_mov_b32_e32 v6, s25
	v_add_co_u32_e32 v4, vcc, s24, v4
	v_addc_co_u32_e32 v5, vcc, v6, v5, vcc
	s_waitcnt lgkmcnt(1)
	global_store_dword v[4:5], v2, off
	s_or_b64 exec, exec, s[4:5]
	v_cmp_gt_u32_e32 vcc, s33, v24
	s_and_saveexec_b64 s[4:5], vcc
	s_cbranch_execz .LBB1611_209
	s_branch .LBB1611_204
.LBB1611_173:
	s_or_b64 exec, exec, s[4:5]
	v_cmp_gt_u32_e32 vcc, s33, v35
	s_and_saveexec_b64 s[4:5], vcc
	s_cbranch_execz .LBB1611_143
.LBB1611_174:
	v_cmp_ge_u32_e32 vcc, v35, v18
                                        ; implicit-def: $vgpr14_vgpr15
	s_and_saveexec_b64 s[6:7], vcc
	s_xor_b64 s[6:7], exec, s[6:7]
	s_cbranch_execz .LBB1611_176
; %bb.175:
	s_waitcnt lgkmcnt(6)
	v_xor_b32_e32 v12, 0xfffffeff, v0
	v_ashrrev_i32_e32 v15, 31, v12
	v_add_co_u32_e32 v14, vcc, v1, v12
	v_addc_co_u32_e32 v15, vcc, v19, v15, vcc
                                        ; implicit-def: $vgpr35
.LBB1611_176:
	s_andn2_saveexec_b64 s[6:7], s[6:7]
; %bb.177:
	v_add_co_u32_e32 v14, vcc, v16, v35
	v_addc_co_u32_e32 v15, vcc, 0, v17, vcc
; %bb.178:
	s_or_b64 exec, exec, s[6:7]
	v_lshlrev_b64 v[14:15], 2, v[14:15]
	s_waitcnt lgkmcnt(6)
	v_mov_b32_e32 v12, s25
	v_add_co_u32_e32 v14, vcc, s24, v14
	v_addc_co_u32_e32 v15, vcc, v12, v15, vcc
	global_store_dword v[14:15], v13, off
	s_or_b64 exec, exec, s[4:5]
	v_cmp_gt_u32_e32 vcc, s33, v33
	s_and_saveexec_b64 s[4:5], vcc
	s_cbranch_execnz .LBB1611_144
.LBB1611_179:
	s_or_b64 exec, exec, s[4:5]
	v_cmp_gt_u32_e32 vcc, s33, v32
	s_and_saveexec_b64 s[4:5], vcc
	s_cbranch_execz .LBB1611_149
.LBB1611_180:
	v_cmp_ge_u32_e32 vcc, v32, v18
                                        ; implicit-def: $vgpr12_vgpr13
	s_and_saveexec_b64 s[6:7], vcc
	s_xor_b64 s[6:7], exec, s[6:7]
	s_cbranch_execz .LBB1611_182
; %bb.181:
	s_waitcnt lgkmcnt(5)
	v_xor_b32_e32 v10, 0xfffffcff, v0
	v_ashrrev_i32_e32 v13, 31, v10
	v_add_co_u32_e32 v12, vcc, v1, v10
	v_addc_co_u32_e32 v13, vcc, v19, v13, vcc
                                        ; implicit-def: $vgpr32
.LBB1611_182:
	s_andn2_saveexec_b64 s[6:7], s[6:7]
	s_cbranch_execz .LBB1611_184
; %bb.183:
	s_waitcnt lgkmcnt(6)
	v_add_co_u32_e32 v12, vcc, v16, v32
	v_addc_co_u32_e32 v13, vcc, 0, v17, vcc
.LBB1611_184:
	s_or_b64 exec, exec, s[6:7]
	s_waitcnt lgkmcnt(6)
	v_lshlrev_b64 v[12:13], 2, v[12:13]
	s_waitcnt lgkmcnt(5)
	v_mov_b32_e32 v10, s25
	v_add_co_u32_e32 v12, vcc, s24, v12
	v_addc_co_u32_e32 v13, vcc, v10, v13, vcc
	global_store_dword v[12:13], v11, off
	s_or_b64 exec, exec, s[4:5]
	v_cmp_gt_u32_e32 vcc, s33, v31
	s_and_saveexec_b64 s[4:5], vcc
	s_cbranch_execnz .LBB1611_150
.LBB1611_185:
	s_or_b64 exec, exec, s[4:5]
	v_cmp_gt_u32_e32 vcc, s33, v30
	s_and_saveexec_b64 s[4:5], vcc
	s_cbranch_execz .LBB1611_155
.LBB1611_186:
	v_cmp_ge_u32_e32 vcc, v30, v18
                                        ; implicit-def: $vgpr10_vgpr11
	s_and_saveexec_b64 s[6:7], vcc
	s_xor_b64 s[6:7], exec, s[6:7]
	s_cbranch_execz .LBB1611_188
; %bb.187:
	s_waitcnt lgkmcnt(4)
	v_xor_b32_e32 v8, 0xfffffaff, v0
	v_ashrrev_i32_e32 v11, 31, v8
	v_add_co_u32_e32 v10, vcc, v1, v8
	v_addc_co_u32_e32 v11, vcc, v19, v11, vcc
                                        ; implicit-def: $vgpr30
.LBB1611_188:
	s_andn2_saveexec_b64 s[6:7], s[6:7]
	s_cbranch_execz .LBB1611_190
; %bb.189:
	s_waitcnt lgkmcnt(5)
	v_add_co_u32_e32 v10, vcc, v16, v30
	v_addc_co_u32_e32 v11, vcc, 0, v17, vcc
.LBB1611_190:
	s_or_b64 exec, exec, s[6:7]
	s_waitcnt lgkmcnt(5)
	v_lshlrev_b64 v[10:11], 2, v[10:11]
	s_waitcnt lgkmcnt(4)
	v_mov_b32_e32 v8, s25
	v_add_co_u32_e32 v10, vcc, s24, v10
	v_addc_co_u32_e32 v11, vcc, v8, v11, vcc
	global_store_dword v[10:11], v9, off
	s_or_b64 exec, exec, s[4:5]
	v_cmp_gt_u32_e32 vcc, s33, v29
	s_and_saveexec_b64 s[4:5], vcc
	s_cbranch_execnz .LBB1611_156
.LBB1611_191:
	s_or_b64 exec, exec, s[4:5]
	v_cmp_gt_u32_e32 vcc, s33, v28
	s_and_saveexec_b64 s[4:5], vcc
	s_cbranch_execz .LBB1611_161
.LBB1611_192:
	v_cmp_ge_u32_e32 vcc, v28, v18
                                        ; implicit-def: $vgpr8_vgpr9
	s_and_saveexec_b64 s[6:7], vcc
	s_xor_b64 s[6:7], exec, s[6:7]
	s_cbranch_execz .LBB1611_194
; %bb.193:
	s_waitcnt lgkmcnt(3)
	v_xor_b32_e32 v6, 0xfffff8ff, v0
	v_ashrrev_i32_e32 v9, 31, v6
	v_add_co_u32_e32 v8, vcc, v1, v6
	v_addc_co_u32_e32 v9, vcc, v19, v9, vcc
                                        ; implicit-def: $vgpr28
.LBB1611_194:
	s_andn2_saveexec_b64 s[6:7], s[6:7]
	s_cbranch_execz .LBB1611_196
; %bb.195:
	s_waitcnt lgkmcnt(4)
	v_add_co_u32_e32 v8, vcc, v16, v28
	v_addc_co_u32_e32 v9, vcc, 0, v17, vcc
.LBB1611_196:
	s_or_b64 exec, exec, s[6:7]
	s_waitcnt lgkmcnt(4)
	v_lshlrev_b64 v[8:9], 2, v[8:9]
	s_waitcnt lgkmcnt(3)
	v_mov_b32_e32 v6, s25
	v_add_co_u32_e32 v8, vcc, s24, v8
	v_addc_co_u32_e32 v9, vcc, v6, v9, vcc
	global_store_dword v[8:9], v7, off
	s_or_b64 exec, exec, s[4:5]
	v_cmp_gt_u32_e32 vcc, s33, v27
	s_and_saveexec_b64 s[4:5], vcc
	s_cbranch_execnz .LBB1611_162
.LBB1611_197:
	s_or_b64 exec, exec, s[4:5]
	v_cmp_gt_u32_e32 vcc, s33, v26
	s_and_saveexec_b64 s[4:5], vcc
	s_cbranch_execz .LBB1611_167
.LBB1611_198:
	v_cmp_ge_u32_e32 vcc, v26, v18
                                        ; implicit-def: $vgpr6_vgpr7
	s_and_saveexec_b64 s[6:7], vcc
	s_xor_b64 s[6:7], exec, s[6:7]
	s_cbranch_execz .LBB1611_200
; %bb.199:
	s_waitcnt lgkmcnt(2)
	v_xor_b32_e32 v4, 0xfffff6ff, v0
	v_ashrrev_i32_e32 v7, 31, v4
	v_add_co_u32_e32 v6, vcc, v1, v4
	v_addc_co_u32_e32 v7, vcc, v19, v7, vcc
                                        ; implicit-def: $vgpr26
.LBB1611_200:
	s_andn2_saveexec_b64 s[6:7], s[6:7]
	s_cbranch_execz .LBB1611_202
; %bb.201:
	s_waitcnt lgkmcnt(3)
	v_add_co_u32_e32 v6, vcc, v16, v26
	v_addc_co_u32_e32 v7, vcc, 0, v17, vcc
.LBB1611_202:
	s_or_b64 exec, exec, s[6:7]
	s_waitcnt lgkmcnt(3)
	v_lshlrev_b64 v[6:7], 2, v[6:7]
	s_waitcnt lgkmcnt(2)
	v_mov_b32_e32 v4, s25
	v_add_co_u32_e32 v6, vcc, s24, v6
	v_addc_co_u32_e32 v7, vcc, v4, v7, vcc
	global_store_dword v[6:7], v5, off
	s_or_b64 exec, exec, s[4:5]
	v_cmp_gt_u32_e32 vcc, s33, v25
	s_and_saveexec_b64 s[4:5], vcc
	s_cbranch_execnz .LBB1611_168
.LBB1611_203:
	s_or_b64 exec, exec, s[4:5]
	v_cmp_gt_u32_e32 vcc, s33, v24
	s_and_saveexec_b64 s[4:5], vcc
	s_cbranch_execz .LBB1611_209
.LBB1611_204:
	v_cmp_ge_u32_e32 vcc, v24, v18
                                        ; implicit-def: $vgpr4_vgpr5
	s_and_saveexec_b64 s[6:7], vcc
	s_xor_b64 s[6:7], exec, s[6:7]
	s_cbranch_execz .LBB1611_206
; %bb.205:
	s_waitcnt lgkmcnt(1)
	v_xor_b32_e32 v2, 0xfffff4ff, v0
	v_ashrrev_i32_e32 v5, 31, v2
	v_add_co_u32_e32 v4, vcc, v1, v2
	v_addc_co_u32_e32 v5, vcc, v19, v5, vcc
                                        ; implicit-def: $vgpr24
.LBB1611_206:
	s_andn2_saveexec_b64 s[6:7], s[6:7]
	s_cbranch_execz .LBB1611_208
; %bb.207:
	s_waitcnt lgkmcnt(2)
	v_add_co_u32_e32 v4, vcc, v16, v24
	v_addc_co_u32_e32 v5, vcc, 0, v17, vcc
.LBB1611_208:
	s_or_b64 exec, exec, s[6:7]
	s_waitcnt lgkmcnt(2)
	v_lshlrev_b64 v[4:5], 2, v[4:5]
	s_waitcnt lgkmcnt(1)
	v_mov_b32_e32 v2, s25
	v_add_co_u32_e32 v4, vcc, s24, v4
	v_addc_co_u32_e32 v5, vcc, v2, v5, vcc
	global_store_dword v[4:5], v3, off
.LBB1611_209:
	s_or_b64 exec, exec, s[4:5]
	v_cmp_gt_u32_e32 vcc, s33, v23
                                        ; implicit-def: $vgpr14_vgpr15
	s_and_saveexec_b64 s[4:5], vcc
	s_cbranch_execz .LBB1611_215
; %bb.210:
	v_cmp_ge_u32_e32 vcc, v23, v18
                                        ; implicit-def: $vgpr14_vgpr15
	s_and_saveexec_b64 s[6:7], vcc
	s_xor_b64 s[6:7], exec, s[6:7]
	s_cbranch_execz .LBB1611_212
; %bb.211:
	v_xor_b32_e32 v0, 0xfffff3ff, v0
	s_waitcnt lgkmcnt(1)
	v_ashrrev_i32_e32 v2, 31, v0
	v_add_co_u32_e32 v14, vcc, v1, v0
	v_addc_co_u32_e32 v15, vcc, v19, v2, vcc
                                        ; implicit-def: $vgpr23
.LBB1611_212:
	s_andn2_saveexec_b64 s[6:7], s[6:7]
; %bb.213:
	v_add_co_u32_e32 v14, vcc, v16, v23
	v_addc_co_u32_e32 v15, vcc, 0, v17, vcc
; %bb.214:
	s_or_b64 exec, exec, s[6:7]
	s_or_b64 s[2:3], s[2:3], exec
.LBB1611_215:
	s_or_b64 exec, exec, s[4:5]
	s_and_saveexec_b64 s[4:5], s[2:3]
	s_cbranch_execnz .LBB1611_134
.LBB1611_216:
	s_or_b64 exec, exec, s[4:5]
	s_and_b64 s[0:1], s[0:1], s[22:23]
	s_and_saveexec_b64 s[2:3], s[0:1]
	s_cbranch_execz .LBB1611_135
.LBB1611_217:
	v_add_co_u32_e32 v0, vcc, v16, v18
	s_waitcnt lgkmcnt(1)
	v_mov_b32_e32 v2, 0
	v_addc_co_u32_e32 v1, vcc, 0, v17, vcc
	global_store_dwordx2 v2, v[0:1], s[20:21]
	s_endpgm
	.section	.rodata,"a",@progbits
	.p2align	6, 0x0
	.amdhsa_kernel _ZN7rocprim17ROCPRIM_400000_NS6detail17trampoline_kernelINS0_13select_configILj256ELj13ELNS0_17block_load_methodE3ELS4_3ELS4_3ELNS0_20block_scan_algorithmE0ELj4294967295EEENS1_25partition_config_selectorILNS1_17partition_subalgoE3EjNS0_10empty_typeEbEEZZNS1_14partition_implILS8_3ELb0ES6_jNS0_17counting_iteratorIjlEEPS9_SE_NS0_5tupleIJPjSE_EEENSF_IJSE_SE_EEES9_SG_JZNS1_25segmented_radix_sort_implINS0_14default_configELb0EPKbPbPKlPlN2at6native12_GLOBAL__N_18offset_tEEE10hipError_tPvRmT1_PNSt15iterator_traitsISY_E10value_typeET2_T3_PNSZ_IS14_E10value_typeET4_jRbjT5_S1A_jjP12ihipStream_tbEUljE_EEESV_SW_SX_S14_S18_S1A_T6_T7_T9_mT8_S1C_bDpT10_ENKUlT_T0_E_clISt17integral_constantIbLb1EES1P_EEDaS1K_S1L_EUlS1K_E_NS1_11comp_targetILNS1_3genE4ELNS1_11target_archE910ELNS1_3gpuE8ELNS1_3repE0EEENS1_30default_config_static_selectorELNS0_4arch9wavefront6targetE1EEEvSY_
		.amdhsa_group_segment_fixed_size 13324
		.amdhsa_private_segment_fixed_size 0
		.amdhsa_kernarg_size 152
		.amdhsa_user_sgpr_count 6
		.amdhsa_user_sgpr_private_segment_buffer 1
		.amdhsa_user_sgpr_dispatch_ptr 0
		.amdhsa_user_sgpr_queue_ptr 0
		.amdhsa_user_sgpr_kernarg_segment_ptr 1
		.amdhsa_user_sgpr_dispatch_id 0
		.amdhsa_user_sgpr_flat_scratch_init 0
		.amdhsa_user_sgpr_kernarg_preload_length 0
		.amdhsa_user_sgpr_kernarg_preload_offset 0
		.amdhsa_user_sgpr_private_segment_size 0
		.amdhsa_uses_dynamic_stack 0
		.amdhsa_system_sgpr_private_segment_wavefront_offset 0
		.amdhsa_system_sgpr_workgroup_id_x 1
		.amdhsa_system_sgpr_workgroup_id_y 0
		.amdhsa_system_sgpr_workgroup_id_z 0
		.amdhsa_system_sgpr_workgroup_info 0
		.amdhsa_system_vgpr_workitem_id 0
		.amdhsa_next_free_vgpr 64
		.amdhsa_next_free_sgpr 44
		.amdhsa_accum_offset 64
		.amdhsa_reserve_vcc 1
		.amdhsa_reserve_flat_scratch 0
		.amdhsa_float_round_mode_32 0
		.amdhsa_float_round_mode_16_64 0
		.amdhsa_float_denorm_mode_32 3
		.amdhsa_float_denorm_mode_16_64 3
		.amdhsa_dx10_clamp 1
		.amdhsa_ieee_mode 1
		.amdhsa_fp16_overflow 0
		.amdhsa_tg_split 0
		.amdhsa_exception_fp_ieee_invalid_op 0
		.amdhsa_exception_fp_denorm_src 0
		.amdhsa_exception_fp_ieee_div_zero 0
		.amdhsa_exception_fp_ieee_overflow 0
		.amdhsa_exception_fp_ieee_underflow 0
		.amdhsa_exception_fp_ieee_inexact 0
		.amdhsa_exception_int_div_zero 0
	.end_amdhsa_kernel
	.section	.text._ZN7rocprim17ROCPRIM_400000_NS6detail17trampoline_kernelINS0_13select_configILj256ELj13ELNS0_17block_load_methodE3ELS4_3ELS4_3ELNS0_20block_scan_algorithmE0ELj4294967295EEENS1_25partition_config_selectorILNS1_17partition_subalgoE3EjNS0_10empty_typeEbEEZZNS1_14partition_implILS8_3ELb0ES6_jNS0_17counting_iteratorIjlEEPS9_SE_NS0_5tupleIJPjSE_EEENSF_IJSE_SE_EEES9_SG_JZNS1_25segmented_radix_sort_implINS0_14default_configELb0EPKbPbPKlPlN2at6native12_GLOBAL__N_18offset_tEEE10hipError_tPvRmT1_PNSt15iterator_traitsISY_E10value_typeET2_T3_PNSZ_IS14_E10value_typeET4_jRbjT5_S1A_jjP12ihipStream_tbEUljE_EEESV_SW_SX_S14_S18_S1A_T6_T7_T9_mT8_S1C_bDpT10_ENKUlT_T0_E_clISt17integral_constantIbLb1EES1P_EEDaS1K_S1L_EUlS1K_E_NS1_11comp_targetILNS1_3genE4ELNS1_11target_archE910ELNS1_3gpuE8ELNS1_3repE0EEENS1_30default_config_static_selectorELNS0_4arch9wavefront6targetE1EEEvSY_,"axG",@progbits,_ZN7rocprim17ROCPRIM_400000_NS6detail17trampoline_kernelINS0_13select_configILj256ELj13ELNS0_17block_load_methodE3ELS4_3ELS4_3ELNS0_20block_scan_algorithmE0ELj4294967295EEENS1_25partition_config_selectorILNS1_17partition_subalgoE3EjNS0_10empty_typeEbEEZZNS1_14partition_implILS8_3ELb0ES6_jNS0_17counting_iteratorIjlEEPS9_SE_NS0_5tupleIJPjSE_EEENSF_IJSE_SE_EEES9_SG_JZNS1_25segmented_radix_sort_implINS0_14default_configELb0EPKbPbPKlPlN2at6native12_GLOBAL__N_18offset_tEEE10hipError_tPvRmT1_PNSt15iterator_traitsISY_E10value_typeET2_T3_PNSZ_IS14_E10value_typeET4_jRbjT5_S1A_jjP12ihipStream_tbEUljE_EEESV_SW_SX_S14_S18_S1A_T6_T7_T9_mT8_S1C_bDpT10_ENKUlT_T0_E_clISt17integral_constantIbLb1EES1P_EEDaS1K_S1L_EUlS1K_E_NS1_11comp_targetILNS1_3genE4ELNS1_11target_archE910ELNS1_3gpuE8ELNS1_3repE0EEENS1_30default_config_static_selectorELNS0_4arch9wavefront6targetE1EEEvSY_,comdat
.Lfunc_end1611:
	.size	_ZN7rocprim17ROCPRIM_400000_NS6detail17trampoline_kernelINS0_13select_configILj256ELj13ELNS0_17block_load_methodE3ELS4_3ELS4_3ELNS0_20block_scan_algorithmE0ELj4294967295EEENS1_25partition_config_selectorILNS1_17partition_subalgoE3EjNS0_10empty_typeEbEEZZNS1_14partition_implILS8_3ELb0ES6_jNS0_17counting_iteratorIjlEEPS9_SE_NS0_5tupleIJPjSE_EEENSF_IJSE_SE_EEES9_SG_JZNS1_25segmented_radix_sort_implINS0_14default_configELb0EPKbPbPKlPlN2at6native12_GLOBAL__N_18offset_tEEE10hipError_tPvRmT1_PNSt15iterator_traitsISY_E10value_typeET2_T3_PNSZ_IS14_E10value_typeET4_jRbjT5_S1A_jjP12ihipStream_tbEUljE_EEESV_SW_SX_S14_S18_S1A_T6_T7_T9_mT8_S1C_bDpT10_ENKUlT_T0_E_clISt17integral_constantIbLb1EES1P_EEDaS1K_S1L_EUlS1K_E_NS1_11comp_targetILNS1_3genE4ELNS1_11target_archE910ELNS1_3gpuE8ELNS1_3repE0EEENS1_30default_config_static_selectorELNS0_4arch9wavefront6targetE1EEEvSY_, .Lfunc_end1611-_ZN7rocprim17ROCPRIM_400000_NS6detail17trampoline_kernelINS0_13select_configILj256ELj13ELNS0_17block_load_methodE3ELS4_3ELS4_3ELNS0_20block_scan_algorithmE0ELj4294967295EEENS1_25partition_config_selectorILNS1_17partition_subalgoE3EjNS0_10empty_typeEbEEZZNS1_14partition_implILS8_3ELb0ES6_jNS0_17counting_iteratorIjlEEPS9_SE_NS0_5tupleIJPjSE_EEENSF_IJSE_SE_EEES9_SG_JZNS1_25segmented_radix_sort_implINS0_14default_configELb0EPKbPbPKlPlN2at6native12_GLOBAL__N_18offset_tEEE10hipError_tPvRmT1_PNSt15iterator_traitsISY_E10value_typeET2_T3_PNSZ_IS14_E10value_typeET4_jRbjT5_S1A_jjP12ihipStream_tbEUljE_EEESV_SW_SX_S14_S18_S1A_T6_T7_T9_mT8_S1C_bDpT10_ENKUlT_T0_E_clISt17integral_constantIbLb1EES1P_EEDaS1K_S1L_EUlS1K_E_NS1_11comp_targetILNS1_3genE4ELNS1_11target_archE910ELNS1_3gpuE8ELNS1_3repE0EEENS1_30default_config_static_selectorELNS0_4arch9wavefront6targetE1EEEvSY_
                                        ; -- End function
	.section	.AMDGPU.csdata,"",@progbits
; Kernel info:
; codeLenInByte = 7896
; NumSgprs: 48
; NumVgprs: 64
; NumAgprs: 0
; TotalNumVgprs: 64
; ScratchSize: 0
; MemoryBound: 0
; FloatMode: 240
; IeeeMode: 1
; LDSByteSize: 13324 bytes/workgroup (compile time only)
; SGPRBlocks: 5
; VGPRBlocks: 7
; NumSGPRsForWavesPerEU: 48
; NumVGPRsForWavesPerEU: 64
; AccumOffset: 64
; Occupancy: 4
; WaveLimiterHint : 0
; COMPUTE_PGM_RSRC2:SCRATCH_EN: 0
; COMPUTE_PGM_RSRC2:USER_SGPR: 6
; COMPUTE_PGM_RSRC2:TRAP_HANDLER: 0
; COMPUTE_PGM_RSRC2:TGID_X_EN: 1
; COMPUTE_PGM_RSRC2:TGID_Y_EN: 0
; COMPUTE_PGM_RSRC2:TGID_Z_EN: 0
; COMPUTE_PGM_RSRC2:TIDIG_COMP_CNT: 0
; COMPUTE_PGM_RSRC3_GFX90A:ACCUM_OFFSET: 15
; COMPUTE_PGM_RSRC3_GFX90A:TG_SPLIT: 0
	.section	.text._ZN7rocprim17ROCPRIM_400000_NS6detail17trampoline_kernelINS0_13select_configILj256ELj13ELNS0_17block_load_methodE3ELS4_3ELS4_3ELNS0_20block_scan_algorithmE0ELj4294967295EEENS1_25partition_config_selectorILNS1_17partition_subalgoE3EjNS0_10empty_typeEbEEZZNS1_14partition_implILS8_3ELb0ES6_jNS0_17counting_iteratorIjlEEPS9_SE_NS0_5tupleIJPjSE_EEENSF_IJSE_SE_EEES9_SG_JZNS1_25segmented_radix_sort_implINS0_14default_configELb0EPKbPbPKlPlN2at6native12_GLOBAL__N_18offset_tEEE10hipError_tPvRmT1_PNSt15iterator_traitsISY_E10value_typeET2_T3_PNSZ_IS14_E10value_typeET4_jRbjT5_S1A_jjP12ihipStream_tbEUljE_EEESV_SW_SX_S14_S18_S1A_T6_T7_T9_mT8_S1C_bDpT10_ENKUlT_T0_E_clISt17integral_constantIbLb1EES1P_EEDaS1K_S1L_EUlS1K_E_NS1_11comp_targetILNS1_3genE3ELNS1_11target_archE908ELNS1_3gpuE7ELNS1_3repE0EEENS1_30default_config_static_selectorELNS0_4arch9wavefront6targetE1EEEvSY_,"axG",@progbits,_ZN7rocprim17ROCPRIM_400000_NS6detail17trampoline_kernelINS0_13select_configILj256ELj13ELNS0_17block_load_methodE3ELS4_3ELS4_3ELNS0_20block_scan_algorithmE0ELj4294967295EEENS1_25partition_config_selectorILNS1_17partition_subalgoE3EjNS0_10empty_typeEbEEZZNS1_14partition_implILS8_3ELb0ES6_jNS0_17counting_iteratorIjlEEPS9_SE_NS0_5tupleIJPjSE_EEENSF_IJSE_SE_EEES9_SG_JZNS1_25segmented_radix_sort_implINS0_14default_configELb0EPKbPbPKlPlN2at6native12_GLOBAL__N_18offset_tEEE10hipError_tPvRmT1_PNSt15iterator_traitsISY_E10value_typeET2_T3_PNSZ_IS14_E10value_typeET4_jRbjT5_S1A_jjP12ihipStream_tbEUljE_EEESV_SW_SX_S14_S18_S1A_T6_T7_T9_mT8_S1C_bDpT10_ENKUlT_T0_E_clISt17integral_constantIbLb1EES1P_EEDaS1K_S1L_EUlS1K_E_NS1_11comp_targetILNS1_3genE3ELNS1_11target_archE908ELNS1_3gpuE7ELNS1_3repE0EEENS1_30default_config_static_selectorELNS0_4arch9wavefront6targetE1EEEvSY_,comdat
	.globl	_ZN7rocprim17ROCPRIM_400000_NS6detail17trampoline_kernelINS0_13select_configILj256ELj13ELNS0_17block_load_methodE3ELS4_3ELS4_3ELNS0_20block_scan_algorithmE0ELj4294967295EEENS1_25partition_config_selectorILNS1_17partition_subalgoE3EjNS0_10empty_typeEbEEZZNS1_14partition_implILS8_3ELb0ES6_jNS0_17counting_iteratorIjlEEPS9_SE_NS0_5tupleIJPjSE_EEENSF_IJSE_SE_EEES9_SG_JZNS1_25segmented_radix_sort_implINS0_14default_configELb0EPKbPbPKlPlN2at6native12_GLOBAL__N_18offset_tEEE10hipError_tPvRmT1_PNSt15iterator_traitsISY_E10value_typeET2_T3_PNSZ_IS14_E10value_typeET4_jRbjT5_S1A_jjP12ihipStream_tbEUljE_EEESV_SW_SX_S14_S18_S1A_T6_T7_T9_mT8_S1C_bDpT10_ENKUlT_T0_E_clISt17integral_constantIbLb1EES1P_EEDaS1K_S1L_EUlS1K_E_NS1_11comp_targetILNS1_3genE3ELNS1_11target_archE908ELNS1_3gpuE7ELNS1_3repE0EEENS1_30default_config_static_selectorELNS0_4arch9wavefront6targetE1EEEvSY_ ; -- Begin function _ZN7rocprim17ROCPRIM_400000_NS6detail17trampoline_kernelINS0_13select_configILj256ELj13ELNS0_17block_load_methodE3ELS4_3ELS4_3ELNS0_20block_scan_algorithmE0ELj4294967295EEENS1_25partition_config_selectorILNS1_17partition_subalgoE3EjNS0_10empty_typeEbEEZZNS1_14partition_implILS8_3ELb0ES6_jNS0_17counting_iteratorIjlEEPS9_SE_NS0_5tupleIJPjSE_EEENSF_IJSE_SE_EEES9_SG_JZNS1_25segmented_radix_sort_implINS0_14default_configELb0EPKbPbPKlPlN2at6native12_GLOBAL__N_18offset_tEEE10hipError_tPvRmT1_PNSt15iterator_traitsISY_E10value_typeET2_T3_PNSZ_IS14_E10value_typeET4_jRbjT5_S1A_jjP12ihipStream_tbEUljE_EEESV_SW_SX_S14_S18_S1A_T6_T7_T9_mT8_S1C_bDpT10_ENKUlT_T0_E_clISt17integral_constantIbLb1EES1P_EEDaS1K_S1L_EUlS1K_E_NS1_11comp_targetILNS1_3genE3ELNS1_11target_archE908ELNS1_3gpuE7ELNS1_3repE0EEENS1_30default_config_static_selectorELNS0_4arch9wavefront6targetE1EEEvSY_
	.p2align	8
	.type	_ZN7rocprim17ROCPRIM_400000_NS6detail17trampoline_kernelINS0_13select_configILj256ELj13ELNS0_17block_load_methodE3ELS4_3ELS4_3ELNS0_20block_scan_algorithmE0ELj4294967295EEENS1_25partition_config_selectorILNS1_17partition_subalgoE3EjNS0_10empty_typeEbEEZZNS1_14partition_implILS8_3ELb0ES6_jNS0_17counting_iteratorIjlEEPS9_SE_NS0_5tupleIJPjSE_EEENSF_IJSE_SE_EEES9_SG_JZNS1_25segmented_radix_sort_implINS0_14default_configELb0EPKbPbPKlPlN2at6native12_GLOBAL__N_18offset_tEEE10hipError_tPvRmT1_PNSt15iterator_traitsISY_E10value_typeET2_T3_PNSZ_IS14_E10value_typeET4_jRbjT5_S1A_jjP12ihipStream_tbEUljE_EEESV_SW_SX_S14_S18_S1A_T6_T7_T9_mT8_S1C_bDpT10_ENKUlT_T0_E_clISt17integral_constantIbLb1EES1P_EEDaS1K_S1L_EUlS1K_E_NS1_11comp_targetILNS1_3genE3ELNS1_11target_archE908ELNS1_3gpuE7ELNS1_3repE0EEENS1_30default_config_static_selectorELNS0_4arch9wavefront6targetE1EEEvSY_,@function
_ZN7rocprim17ROCPRIM_400000_NS6detail17trampoline_kernelINS0_13select_configILj256ELj13ELNS0_17block_load_methodE3ELS4_3ELS4_3ELNS0_20block_scan_algorithmE0ELj4294967295EEENS1_25partition_config_selectorILNS1_17partition_subalgoE3EjNS0_10empty_typeEbEEZZNS1_14partition_implILS8_3ELb0ES6_jNS0_17counting_iteratorIjlEEPS9_SE_NS0_5tupleIJPjSE_EEENSF_IJSE_SE_EEES9_SG_JZNS1_25segmented_radix_sort_implINS0_14default_configELb0EPKbPbPKlPlN2at6native12_GLOBAL__N_18offset_tEEE10hipError_tPvRmT1_PNSt15iterator_traitsISY_E10value_typeET2_T3_PNSZ_IS14_E10value_typeET4_jRbjT5_S1A_jjP12ihipStream_tbEUljE_EEESV_SW_SX_S14_S18_S1A_T6_T7_T9_mT8_S1C_bDpT10_ENKUlT_T0_E_clISt17integral_constantIbLb1EES1P_EEDaS1K_S1L_EUlS1K_E_NS1_11comp_targetILNS1_3genE3ELNS1_11target_archE908ELNS1_3gpuE7ELNS1_3repE0EEENS1_30default_config_static_selectorELNS0_4arch9wavefront6targetE1EEEvSY_: ; @_ZN7rocprim17ROCPRIM_400000_NS6detail17trampoline_kernelINS0_13select_configILj256ELj13ELNS0_17block_load_methodE3ELS4_3ELS4_3ELNS0_20block_scan_algorithmE0ELj4294967295EEENS1_25partition_config_selectorILNS1_17partition_subalgoE3EjNS0_10empty_typeEbEEZZNS1_14partition_implILS8_3ELb0ES6_jNS0_17counting_iteratorIjlEEPS9_SE_NS0_5tupleIJPjSE_EEENSF_IJSE_SE_EEES9_SG_JZNS1_25segmented_radix_sort_implINS0_14default_configELb0EPKbPbPKlPlN2at6native12_GLOBAL__N_18offset_tEEE10hipError_tPvRmT1_PNSt15iterator_traitsISY_E10value_typeET2_T3_PNSZ_IS14_E10value_typeET4_jRbjT5_S1A_jjP12ihipStream_tbEUljE_EEESV_SW_SX_S14_S18_S1A_T6_T7_T9_mT8_S1C_bDpT10_ENKUlT_T0_E_clISt17integral_constantIbLb1EES1P_EEDaS1K_S1L_EUlS1K_E_NS1_11comp_targetILNS1_3genE3ELNS1_11target_archE908ELNS1_3gpuE7ELNS1_3repE0EEENS1_30default_config_static_selectorELNS0_4arch9wavefront6targetE1EEEvSY_
; %bb.0:
	.section	.rodata,"a",@progbits
	.p2align	6, 0x0
	.amdhsa_kernel _ZN7rocprim17ROCPRIM_400000_NS6detail17trampoline_kernelINS0_13select_configILj256ELj13ELNS0_17block_load_methodE3ELS4_3ELS4_3ELNS0_20block_scan_algorithmE0ELj4294967295EEENS1_25partition_config_selectorILNS1_17partition_subalgoE3EjNS0_10empty_typeEbEEZZNS1_14partition_implILS8_3ELb0ES6_jNS0_17counting_iteratorIjlEEPS9_SE_NS0_5tupleIJPjSE_EEENSF_IJSE_SE_EEES9_SG_JZNS1_25segmented_radix_sort_implINS0_14default_configELb0EPKbPbPKlPlN2at6native12_GLOBAL__N_18offset_tEEE10hipError_tPvRmT1_PNSt15iterator_traitsISY_E10value_typeET2_T3_PNSZ_IS14_E10value_typeET4_jRbjT5_S1A_jjP12ihipStream_tbEUljE_EEESV_SW_SX_S14_S18_S1A_T6_T7_T9_mT8_S1C_bDpT10_ENKUlT_T0_E_clISt17integral_constantIbLb1EES1P_EEDaS1K_S1L_EUlS1K_E_NS1_11comp_targetILNS1_3genE3ELNS1_11target_archE908ELNS1_3gpuE7ELNS1_3repE0EEENS1_30default_config_static_selectorELNS0_4arch9wavefront6targetE1EEEvSY_
		.amdhsa_group_segment_fixed_size 0
		.amdhsa_private_segment_fixed_size 0
		.amdhsa_kernarg_size 152
		.amdhsa_user_sgpr_count 6
		.amdhsa_user_sgpr_private_segment_buffer 1
		.amdhsa_user_sgpr_dispatch_ptr 0
		.amdhsa_user_sgpr_queue_ptr 0
		.amdhsa_user_sgpr_kernarg_segment_ptr 1
		.amdhsa_user_sgpr_dispatch_id 0
		.amdhsa_user_sgpr_flat_scratch_init 0
		.amdhsa_user_sgpr_kernarg_preload_length 0
		.amdhsa_user_sgpr_kernarg_preload_offset 0
		.amdhsa_user_sgpr_private_segment_size 0
		.amdhsa_uses_dynamic_stack 0
		.amdhsa_system_sgpr_private_segment_wavefront_offset 0
		.amdhsa_system_sgpr_workgroup_id_x 1
		.amdhsa_system_sgpr_workgroup_id_y 0
		.amdhsa_system_sgpr_workgroup_id_z 0
		.amdhsa_system_sgpr_workgroup_info 0
		.amdhsa_system_vgpr_workitem_id 0
		.amdhsa_next_free_vgpr 1
		.amdhsa_next_free_sgpr 0
		.amdhsa_accum_offset 4
		.amdhsa_reserve_vcc 0
		.amdhsa_reserve_flat_scratch 0
		.amdhsa_float_round_mode_32 0
		.amdhsa_float_round_mode_16_64 0
		.amdhsa_float_denorm_mode_32 3
		.amdhsa_float_denorm_mode_16_64 3
		.amdhsa_dx10_clamp 1
		.amdhsa_ieee_mode 1
		.amdhsa_fp16_overflow 0
		.amdhsa_tg_split 0
		.amdhsa_exception_fp_ieee_invalid_op 0
		.amdhsa_exception_fp_denorm_src 0
		.amdhsa_exception_fp_ieee_div_zero 0
		.amdhsa_exception_fp_ieee_overflow 0
		.amdhsa_exception_fp_ieee_underflow 0
		.amdhsa_exception_fp_ieee_inexact 0
		.amdhsa_exception_int_div_zero 0
	.end_amdhsa_kernel
	.section	.text._ZN7rocprim17ROCPRIM_400000_NS6detail17trampoline_kernelINS0_13select_configILj256ELj13ELNS0_17block_load_methodE3ELS4_3ELS4_3ELNS0_20block_scan_algorithmE0ELj4294967295EEENS1_25partition_config_selectorILNS1_17partition_subalgoE3EjNS0_10empty_typeEbEEZZNS1_14partition_implILS8_3ELb0ES6_jNS0_17counting_iteratorIjlEEPS9_SE_NS0_5tupleIJPjSE_EEENSF_IJSE_SE_EEES9_SG_JZNS1_25segmented_radix_sort_implINS0_14default_configELb0EPKbPbPKlPlN2at6native12_GLOBAL__N_18offset_tEEE10hipError_tPvRmT1_PNSt15iterator_traitsISY_E10value_typeET2_T3_PNSZ_IS14_E10value_typeET4_jRbjT5_S1A_jjP12ihipStream_tbEUljE_EEESV_SW_SX_S14_S18_S1A_T6_T7_T9_mT8_S1C_bDpT10_ENKUlT_T0_E_clISt17integral_constantIbLb1EES1P_EEDaS1K_S1L_EUlS1K_E_NS1_11comp_targetILNS1_3genE3ELNS1_11target_archE908ELNS1_3gpuE7ELNS1_3repE0EEENS1_30default_config_static_selectorELNS0_4arch9wavefront6targetE1EEEvSY_,"axG",@progbits,_ZN7rocprim17ROCPRIM_400000_NS6detail17trampoline_kernelINS0_13select_configILj256ELj13ELNS0_17block_load_methodE3ELS4_3ELS4_3ELNS0_20block_scan_algorithmE0ELj4294967295EEENS1_25partition_config_selectorILNS1_17partition_subalgoE3EjNS0_10empty_typeEbEEZZNS1_14partition_implILS8_3ELb0ES6_jNS0_17counting_iteratorIjlEEPS9_SE_NS0_5tupleIJPjSE_EEENSF_IJSE_SE_EEES9_SG_JZNS1_25segmented_radix_sort_implINS0_14default_configELb0EPKbPbPKlPlN2at6native12_GLOBAL__N_18offset_tEEE10hipError_tPvRmT1_PNSt15iterator_traitsISY_E10value_typeET2_T3_PNSZ_IS14_E10value_typeET4_jRbjT5_S1A_jjP12ihipStream_tbEUljE_EEESV_SW_SX_S14_S18_S1A_T6_T7_T9_mT8_S1C_bDpT10_ENKUlT_T0_E_clISt17integral_constantIbLb1EES1P_EEDaS1K_S1L_EUlS1K_E_NS1_11comp_targetILNS1_3genE3ELNS1_11target_archE908ELNS1_3gpuE7ELNS1_3repE0EEENS1_30default_config_static_selectorELNS0_4arch9wavefront6targetE1EEEvSY_,comdat
.Lfunc_end1612:
	.size	_ZN7rocprim17ROCPRIM_400000_NS6detail17trampoline_kernelINS0_13select_configILj256ELj13ELNS0_17block_load_methodE3ELS4_3ELS4_3ELNS0_20block_scan_algorithmE0ELj4294967295EEENS1_25partition_config_selectorILNS1_17partition_subalgoE3EjNS0_10empty_typeEbEEZZNS1_14partition_implILS8_3ELb0ES6_jNS0_17counting_iteratorIjlEEPS9_SE_NS0_5tupleIJPjSE_EEENSF_IJSE_SE_EEES9_SG_JZNS1_25segmented_radix_sort_implINS0_14default_configELb0EPKbPbPKlPlN2at6native12_GLOBAL__N_18offset_tEEE10hipError_tPvRmT1_PNSt15iterator_traitsISY_E10value_typeET2_T3_PNSZ_IS14_E10value_typeET4_jRbjT5_S1A_jjP12ihipStream_tbEUljE_EEESV_SW_SX_S14_S18_S1A_T6_T7_T9_mT8_S1C_bDpT10_ENKUlT_T0_E_clISt17integral_constantIbLb1EES1P_EEDaS1K_S1L_EUlS1K_E_NS1_11comp_targetILNS1_3genE3ELNS1_11target_archE908ELNS1_3gpuE7ELNS1_3repE0EEENS1_30default_config_static_selectorELNS0_4arch9wavefront6targetE1EEEvSY_, .Lfunc_end1612-_ZN7rocprim17ROCPRIM_400000_NS6detail17trampoline_kernelINS0_13select_configILj256ELj13ELNS0_17block_load_methodE3ELS4_3ELS4_3ELNS0_20block_scan_algorithmE0ELj4294967295EEENS1_25partition_config_selectorILNS1_17partition_subalgoE3EjNS0_10empty_typeEbEEZZNS1_14partition_implILS8_3ELb0ES6_jNS0_17counting_iteratorIjlEEPS9_SE_NS0_5tupleIJPjSE_EEENSF_IJSE_SE_EEES9_SG_JZNS1_25segmented_radix_sort_implINS0_14default_configELb0EPKbPbPKlPlN2at6native12_GLOBAL__N_18offset_tEEE10hipError_tPvRmT1_PNSt15iterator_traitsISY_E10value_typeET2_T3_PNSZ_IS14_E10value_typeET4_jRbjT5_S1A_jjP12ihipStream_tbEUljE_EEESV_SW_SX_S14_S18_S1A_T6_T7_T9_mT8_S1C_bDpT10_ENKUlT_T0_E_clISt17integral_constantIbLb1EES1P_EEDaS1K_S1L_EUlS1K_E_NS1_11comp_targetILNS1_3genE3ELNS1_11target_archE908ELNS1_3gpuE7ELNS1_3repE0EEENS1_30default_config_static_selectorELNS0_4arch9wavefront6targetE1EEEvSY_
                                        ; -- End function
	.section	.AMDGPU.csdata,"",@progbits
; Kernel info:
; codeLenInByte = 0
; NumSgprs: 4
; NumVgprs: 0
; NumAgprs: 0
; TotalNumVgprs: 0
; ScratchSize: 0
; MemoryBound: 0
; FloatMode: 240
; IeeeMode: 1
; LDSByteSize: 0 bytes/workgroup (compile time only)
; SGPRBlocks: 0
; VGPRBlocks: 0
; NumSGPRsForWavesPerEU: 4
; NumVGPRsForWavesPerEU: 1
; AccumOffset: 4
; Occupancy: 8
; WaveLimiterHint : 0
; COMPUTE_PGM_RSRC2:SCRATCH_EN: 0
; COMPUTE_PGM_RSRC2:USER_SGPR: 6
; COMPUTE_PGM_RSRC2:TRAP_HANDLER: 0
; COMPUTE_PGM_RSRC2:TGID_X_EN: 1
; COMPUTE_PGM_RSRC2:TGID_Y_EN: 0
; COMPUTE_PGM_RSRC2:TGID_Z_EN: 0
; COMPUTE_PGM_RSRC2:TIDIG_COMP_CNT: 0
; COMPUTE_PGM_RSRC3_GFX90A:ACCUM_OFFSET: 0
; COMPUTE_PGM_RSRC3_GFX90A:TG_SPLIT: 0
	.section	.text._ZN7rocprim17ROCPRIM_400000_NS6detail17trampoline_kernelINS0_13select_configILj256ELj13ELNS0_17block_load_methodE3ELS4_3ELS4_3ELNS0_20block_scan_algorithmE0ELj4294967295EEENS1_25partition_config_selectorILNS1_17partition_subalgoE3EjNS0_10empty_typeEbEEZZNS1_14partition_implILS8_3ELb0ES6_jNS0_17counting_iteratorIjlEEPS9_SE_NS0_5tupleIJPjSE_EEENSF_IJSE_SE_EEES9_SG_JZNS1_25segmented_radix_sort_implINS0_14default_configELb0EPKbPbPKlPlN2at6native12_GLOBAL__N_18offset_tEEE10hipError_tPvRmT1_PNSt15iterator_traitsISY_E10value_typeET2_T3_PNSZ_IS14_E10value_typeET4_jRbjT5_S1A_jjP12ihipStream_tbEUljE_EEESV_SW_SX_S14_S18_S1A_T6_T7_T9_mT8_S1C_bDpT10_ENKUlT_T0_E_clISt17integral_constantIbLb1EES1P_EEDaS1K_S1L_EUlS1K_E_NS1_11comp_targetILNS1_3genE2ELNS1_11target_archE906ELNS1_3gpuE6ELNS1_3repE0EEENS1_30default_config_static_selectorELNS0_4arch9wavefront6targetE1EEEvSY_,"axG",@progbits,_ZN7rocprim17ROCPRIM_400000_NS6detail17trampoline_kernelINS0_13select_configILj256ELj13ELNS0_17block_load_methodE3ELS4_3ELS4_3ELNS0_20block_scan_algorithmE0ELj4294967295EEENS1_25partition_config_selectorILNS1_17partition_subalgoE3EjNS0_10empty_typeEbEEZZNS1_14partition_implILS8_3ELb0ES6_jNS0_17counting_iteratorIjlEEPS9_SE_NS0_5tupleIJPjSE_EEENSF_IJSE_SE_EEES9_SG_JZNS1_25segmented_radix_sort_implINS0_14default_configELb0EPKbPbPKlPlN2at6native12_GLOBAL__N_18offset_tEEE10hipError_tPvRmT1_PNSt15iterator_traitsISY_E10value_typeET2_T3_PNSZ_IS14_E10value_typeET4_jRbjT5_S1A_jjP12ihipStream_tbEUljE_EEESV_SW_SX_S14_S18_S1A_T6_T7_T9_mT8_S1C_bDpT10_ENKUlT_T0_E_clISt17integral_constantIbLb1EES1P_EEDaS1K_S1L_EUlS1K_E_NS1_11comp_targetILNS1_3genE2ELNS1_11target_archE906ELNS1_3gpuE6ELNS1_3repE0EEENS1_30default_config_static_selectorELNS0_4arch9wavefront6targetE1EEEvSY_,comdat
	.globl	_ZN7rocprim17ROCPRIM_400000_NS6detail17trampoline_kernelINS0_13select_configILj256ELj13ELNS0_17block_load_methodE3ELS4_3ELS4_3ELNS0_20block_scan_algorithmE0ELj4294967295EEENS1_25partition_config_selectorILNS1_17partition_subalgoE3EjNS0_10empty_typeEbEEZZNS1_14partition_implILS8_3ELb0ES6_jNS0_17counting_iteratorIjlEEPS9_SE_NS0_5tupleIJPjSE_EEENSF_IJSE_SE_EEES9_SG_JZNS1_25segmented_radix_sort_implINS0_14default_configELb0EPKbPbPKlPlN2at6native12_GLOBAL__N_18offset_tEEE10hipError_tPvRmT1_PNSt15iterator_traitsISY_E10value_typeET2_T3_PNSZ_IS14_E10value_typeET4_jRbjT5_S1A_jjP12ihipStream_tbEUljE_EEESV_SW_SX_S14_S18_S1A_T6_T7_T9_mT8_S1C_bDpT10_ENKUlT_T0_E_clISt17integral_constantIbLb1EES1P_EEDaS1K_S1L_EUlS1K_E_NS1_11comp_targetILNS1_3genE2ELNS1_11target_archE906ELNS1_3gpuE6ELNS1_3repE0EEENS1_30default_config_static_selectorELNS0_4arch9wavefront6targetE1EEEvSY_ ; -- Begin function _ZN7rocprim17ROCPRIM_400000_NS6detail17trampoline_kernelINS0_13select_configILj256ELj13ELNS0_17block_load_methodE3ELS4_3ELS4_3ELNS0_20block_scan_algorithmE0ELj4294967295EEENS1_25partition_config_selectorILNS1_17partition_subalgoE3EjNS0_10empty_typeEbEEZZNS1_14partition_implILS8_3ELb0ES6_jNS0_17counting_iteratorIjlEEPS9_SE_NS0_5tupleIJPjSE_EEENSF_IJSE_SE_EEES9_SG_JZNS1_25segmented_radix_sort_implINS0_14default_configELb0EPKbPbPKlPlN2at6native12_GLOBAL__N_18offset_tEEE10hipError_tPvRmT1_PNSt15iterator_traitsISY_E10value_typeET2_T3_PNSZ_IS14_E10value_typeET4_jRbjT5_S1A_jjP12ihipStream_tbEUljE_EEESV_SW_SX_S14_S18_S1A_T6_T7_T9_mT8_S1C_bDpT10_ENKUlT_T0_E_clISt17integral_constantIbLb1EES1P_EEDaS1K_S1L_EUlS1K_E_NS1_11comp_targetILNS1_3genE2ELNS1_11target_archE906ELNS1_3gpuE6ELNS1_3repE0EEENS1_30default_config_static_selectorELNS0_4arch9wavefront6targetE1EEEvSY_
	.p2align	8
	.type	_ZN7rocprim17ROCPRIM_400000_NS6detail17trampoline_kernelINS0_13select_configILj256ELj13ELNS0_17block_load_methodE3ELS4_3ELS4_3ELNS0_20block_scan_algorithmE0ELj4294967295EEENS1_25partition_config_selectorILNS1_17partition_subalgoE3EjNS0_10empty_typeEbEEZZNS1_14partition_implILS8_3ELb0ES6_jNS0_17counting_iteratorIjlEEPS9_SE_NS0_5tupleIJPjSE_EEENSF_IJSE_SE_EEES9_SG_JZNS1_25segmented_radix_sort_implINS0_14default_configELb0EPKbPbPKlPlN2at6native12_GLOBAL__N_18offset_tEEE10hipError_tPvRmT1_PNSt15iterator_traitsISY_E10value_typeET2_T3_PNSZ_IS14_E10value_typeET4_jRbjT5_S1A_jjP12ihipStream_tbEUljE_EEESV_SW_SX_S14_S18_S1A_T6_T7_T9_mT8_S1C_bDpT10_ENKUlT_T0_E_clISt17integral_constantIbLb1EES1P_EEDaS1K_S1L_EUlS1K_E_NS1_11comp_targetILNS1_3genE2ELNS1_11target_archE906ELNS1_3gpuE6ELNS1_3repE0EEENS1_30default_config_static_selectorELNS0_4arch9wavefront6targetE1EEEvSY_,@function
_ZN7rocprim17ROCPRIM_400000_NS6detail17trampoline_kernelINS0_13select_configILj256ELj13ELNS0_17block_load_methodE3ELS4_3ELS4_3ELNS0_20block_scan_algorithmE0ELj4294967295EEENS1_25partition_config_selectorILNS1_17partition_subalgoE3EjNS0_10empty_typeEbEEZZNS1_14partition_implILS8_3ELb0ES6_jNS0_17counting_iteratorIjlEEPS9_SE_NS0_5tupleIJPjSE_EEENSF_IJSE_SE_EEES9_SG_JZNS1_25segmented_radix_sort_implINS0_14default_configELb0EPKbPbPKlPlN2at6native12_GLOBAL__N_18offset_tEEE10hipError_tPvRmT1_PNSt15iterator_traitsISY_E10value_typeET2_T3_PNSZ_IS14_E10value_typeET4_jRbjT5_S1A_jjP12ihipStream_tbEUljE_EEESV_SW_SX_S14_S18_S1A_T6_T7_T9_mT8_S1C_bDpT10_ENKUlT_T0_E_clISt17integral_constantIbLb1EES1P_EEDaS1K_S1L_EUlS1K_E_NS1_11comp_targetILNS1_3genE2ELNS1_11target_archE906ELNS1_3gpuE6ELNS1_3repE0EEENS1_30default_config_static_selectorELNS0_4arch9wavefront6targetE1EEEvSY_: ; @_ZN7rocprim17ROCPRIM_400000_NS6detail17trampoline_kernelINS0_13select_configILj256ELj13ELNS0_17block_load_methodE3ELS4_3ELS4_3ELNS0_20block_scan_algorithmE0ELj4294967295EEENS1_25partition_config_selectorILNS1_17partition_subalgoE3EjNS0_10empty_typeEbEEZZNS1_14partition_implILS8_3ELb0ES6_jNS0_17counting_iteratorIjlEEPS9_SE_NS0_5tupleIJPjSE_EEENSF_IJSE_SE_EEES9_SG_JZNS1_25segmented_radix_sort_implINS0_14default_configELb0EPKbPbPKlPlN2at6native12_GLOBAL__N_18offset_tEEE10hipError_tPvRmT1_PNSt15iterator_traitsISY_E10value_typeET2_T3_PNSZ_IS14_E10value_typeET4_jRbjT5_S1A_jjP12ihipStream_tbEUljE_EEESV_SW_SX_S14_S18_S1A_T6_T7_T9_mT8_S1C_bDpT10_ENKUlT_T0_E_clISt17integral_constantIbLb1EES1P_EEDaS1K_S1L_EUlS1K_E_NS1_11comp_targetILNS1_3genE2ELNS1_11target_archE906ELNS1_3gpuE6ELNS1_3repE0EEENS1_30default_config_static_selectorELNS0_4arch9wavefront6targetE1EEEvSY_
; %bb.0:
	.section	.rodata,"a",@progbits
	.p2align	6, 0x0
	.amdhsa_kernel _ZN7rocprim17ROCPRIM_400000_NS6detail17trampoline_kernelINS0_13select_configILj256ELj13ELNS0_17block_load_methodE3ELS4_3ELS4_3ELNS0_20block_scan_algorithmE0ELj4294967295EEENS1_25partition_config_selectorILNS1_17partition_subalgoE3EjNS0_10empty_typeEbEEZZNS1_14partition_implILS8_3ELb0ES6_jNS0_17counting_iteratorIjlEEPS9_SE_NS0_5tupleIJPjSE_EEENSF_IJSE_SE_EEES9_SG_JZNS1_25segmented_radix_sort_implINS0_14default_configELb0EPKbPbPKlPlN2at6native12_GLOBAL__N_18offset_tEEE10hipError_tPvRmT1_PNSt15iterator_traitsISY_E10value_typeET2_T3_PNSZ_IS14_E10value_typeET4_jRbjT5_S1A_jjP12ihipStream_tbEUljE_EEESV_SW_SX_S14_S18_S1A_T6_T7_T9_mT8_S1C_bDpT10_ENKUlT_T0_E_clISt17integral_constantIbLb1EES1P_EEDaS1K_S1L_EUlS1K_E_NS1_11comp_targetILNS1_3genE2ELNS1_11target_archE906ELNS1_3gpuE6ELNS1_3repE0EEENS1_30default_config_static_selectorELNS0_4arch9wavefront6targetE1EEEvSY_
		.amdhsa_group_segment_fixed_size 0
		.amdhsa_private_segment_fixed_size 0
		.amdhsa_kernarg_size 152
		.amdhsa_user_sgpr_count 6
		.amdhsa_user_sgpr_private_segment_buffer 1
		.amdhsa_user_sgpr_dispatch_ptr 0
		.amdhsa_user_sgpr_queue_ptr 0
		.amdhsa_user_sgpr_kernarg_segment_ptr 1
		.amdhsa_user_sgpr_dispatch_id 0
		.amdhsa_user_sgpr_flat_scratch_init 0
		.amdhsa_user_sgpr_kernarg_preload_length 0
		.amdhsa_user_sgpr_kernarg_preload_offset 0
		.amdhsa_user_sgpr_private_segment_size 0
		.amdhsa_uses_dynamic_stack 0
		.amdhsa_system_sgpr_private_segment_wavefront_offset 0
		.amdhsa_system_sgpr_workgroup_id_x 1
		.amdhsa_system_sgpr_workgroup_id_y 0
		.amdhsa_system_sgpr_workgroup_id_z 0
		.amdhsa_system_sgpr_workgroup_info 0
		.amdhsa_system_vgpr_workitem_id 0
		.amdhsa_next_free_vgpr 1
		.amdhsa_next_free_sgpr 0
		.amdhsa_accum_offset 4
		.amdhsa_reserve_vcc 0
		.amdhsa_reserve_flat_scratch 0
		.amdhsa_float_round_mode_32 0
		.amdhsa_float_round_mode_16_64 0
		.amdhsa_float_denorm_mode_32 3
		.amdhsa_float_denorm_mode_16_64 3
		.amdhsa_dx10_clamp 1
		.amdhsa_ieee_mode 1
		.amdhsa_fp16_overflow 0
		.amdhsa_tg_split 0
		.amdhsa_exception_fp_ieee_invalid_op 0
		.amdhsa_exception_fp_denorm_src 0
		.amdhsa_exception_fp_ieee_div_zero 0
		.amdhsa_exception_fp_ieee_overflow 0
		.amdhsa_exception_fp_ieee_underflow 0
		.amdhsa_exception_fp_ieee_inexact 0
		.amdhsa_exception_int_div_zero 0
	.end_amdhsa_kernel
	.section	.text._ZN7rocprim17ROCPRIM_400000_NS6detail17trampoline_kernelINS0_13select_configILj256ELj13ELNS0_17block_load_methodE3ELS4_3ELS4_3ELNS0_20block_scan_algorithmE0ELj4294967295EEENS1_25partition_config_selectorILNS1_17partition_subalgoE3EjNS0_10empty_typeEbEEZZNS1_14partition_implILS8_3ELb0ES6_jNS0_17counting_iteratorIjlEEPS9_SE_NS0_5tupleIJPjSE_EEENSF_IJSE_SE_EEES9_SG_JZNS1_25segmented_radix_sort_implINS0_14default_configELb0EPKbPbPKlPlN2at6native12_GLOBAL__N_18offset_tEEE10hipError_tPvRmT1_PNSt15iterator_traitsISY_E10value_typeET2_T3_PNSZ_IS14_E10value_typeET4_jRbjT5_S1A_jjP12ihipStream_tbEUljE_EEESV_SW_SX_S14_S18_S1A_T6_T7_T9_mT8_S1C_bDpT10_ENKUlT_T0_E_clISt17integral_constantIbLb1EES1P_EEDaS1K_S1L_EUlS1K_E_NS1_11comp_targetILNS1_3genE2ELNS1_11target_archE906ELNS1_3gpuE6ELNS1_3repE0EEENS1_30default_config_static_selectorELNS0_4arch9wavefront6targetE1EEEvSY_,"axG",@progbits,_ZN7rocprim17ROCPRIM_400000_NS6detail17trampoline_kernelINS0_13select_configILj256ELj13ELNS0_17block_load_methodE3ELS4_3ELS4_3ELNS0_20block_scan_algorithmE0ELj4294967295EEENS1_25partition_config_selectorILNS1_17partition_subalgoE3EjNS0_10empty_typeEbEEZZNS1_14partition_implILS8_3ELb0ES6_jNS0_17counting_iteratorIjlEEPS9_SE_NS0_5tupleIJPjSE_EEENSF_IJSE_SE_EEES9_SG_JZNS1_25segmented_radix_sort_implINS0_14default_configELb0EPKbPbPKlPlN2at6native12_GLOBAL__N_18offset_tEEE10hipError_tPvRmT1_PNSt15iterator_traitsISY_E10value_typeET2_T3_PNSZ_IS14_E10value_typeET4_jRbjT5_S1A_jjP12ihipStream_tbEUljE_EEESV_SW_SX_S14_S18_S1A_T6_T7_T9_mT8_S1C_bDpT10_ENKUlT_T0_E_clISt17integral_constantIbLb1EES1P_EEDaS1K_S1L_EUlS1K_E_NS1_11comp_targetILNS1_3genE2ELNS1_11target_archE906ELNS1_3gpuE6ELNS1_3repE0EEENS1_30default_config_static_selectorELNS0_4arch9wavefront6targetE1EEEvSY_,comdat
.Lfunc_end1613:
	.size	_ZN7rocprim17ROCPRIM_400000_NS6detail17trampoline_kernelINS0_13select_configILj256ELj13ELNS0_17block_load_methodE3ELS4_3ELS4_3ELNS0_20block_scan_algorithmE0ELj4294967295EEENS1_25partition_config_selectorILNS1_17partition_subalgoE3EjNS0_10empty_typeEbEEZZNS1_14partition_implILS8_3ELb0ES6_jNS0_17counting_iteratorIjlEEPS9_SE_NS0_5tupleIJPjSE_EEENSF_IJSE_SE_EEES9_SG_JZNS1_25segmented_radix_sort_implINS0_14default_configELb0EPKbPbPKlPlN2at6native12_GLOBAL__N_18offset_tEEE10hipError_tPvRmT1_PNSt15iterator_traitsISY_E10value_typeET2_T3_PNSZ_IS14_E10value_typeET4_jRbjT5_S1A_jjP12ihipStream_tbEUljE_EEESV_SW_SX_S14_S18_S1A_T6_T7_T9_mT8_S1C_bDpT10_ENKUlT_T0_E_clISt17integral_constantIbLb1EES1P_EEDaS1K_S1L_EUlS1K_E_NS1_11comp_targetILNS1_3genE2ELNS1_11target_archE906ELNS1_3gpuE6ELNS1_3repE0EEENS1_30default_config_static_selectorELNS0_4arch9wavefront6targetE1EEEvSY_, .Lfunc_end1613-_ZN7rocprim17ROCPRIM_400000_NS6detail17trampoline_kernelINS0_13select_configILj256ELj13ELNS0_17block_load_methodE3ELS4_3ELS4_3ELNS0_20block_scan_algorithmE0ELj4294967295EEENS1_25partition_config_selectorILNS1_17partition_subalgoE3EjNS0_10empty_typeEbEEZZNS1_14partition_implILS8_3ELb0ES6_jNS0_17counting_iteratorIjlEEPS9_SE_NS0_5tupleIJPjSE_EEENSF_IJSE_SE_EEES9_SG_JZNS1_25segmented_radix_sort_implINS0_14default_configELb0EPKbPbPKlPlN2at6native12_GLOBAL__N_18offset_tEEE10hipError_tPvRmT1_PNSt15iterator_traitsISY_E10value_typeET2_T3_PNSZ_IS14_E10value_typeET4_jRbjT5_S1A_jjP12ihipStream_tbEUljE_EEESV_SW_SX_S14_S18_S1A_T6_T7_T9_mT8_S1C_bDpT10_ENKUlT_T0_E_clISt17integral_constantIbLb1EES1P_EEDaS1K_S1L_EUlS1K_E_NS1_11comp_targetILNS1_3genE2ELNS1_11target_archE906ELNS1_3gpuE6ELNS1_3repE0EEENS1_30default_config_static_selectorELNS0_4arch9wavefront6targetE1EEEvSY_
                                        ; -- End function
	.section	.AMDGPU.csdata,"",@progbits
; Kernel info:
; codeLenInByte = 0
; NumSgprs: 4
; NumVgprs: 0
; NumAgprs: 0
; TotalNumVgprs: 0
; ScratchSize: 0
; MemoryBound: 0
; FloatMode: 240
; IeeeMode: 1
; LDSByteSize: 0 bytes/workgroup (compile time only)
; SGPRBlocks: 0
; VGPRBlocks: 0
; NumSGPRsForWavesPerEU: 4
; NumVGPRsForWavesPerEU: 1
; AccumOffset: 4
; Occupancy: 8
; WaveLimiterHint : 0
; COMPUTE_PGM_RSRC2:SCRATCH_EN: 0
; COMPUTE_PGM_RSRC2:USER_SGPR: 6
; COMPUTE_PGM_RSRC2:TRAP_HANDLER: 0
; COMPUTE_PGM_RSRC2:TGID_X_EN: 1
; COMPUTE_PGM_RSRC2:TGID_Y_EN: 0
; COMPUTE_PGM_RSRC2:TGID_Z_EN: 0
; COMPUTE_PGM_RSRC2:TIDIG_COMP_CNT: 0
; COMPUTE_PGM_RSRC3_GFX90A:ACCUM_OFFSET: 0
; COMPUTE_PGM_RSRC3_GFX90A:TG_SPLIT: 0
	.section	.text._ZN7rocprim17ROCPRIM_400000_NS6detail17trampoline_kernelINS0_13select_configILj256ELj13ELNS0_17block_load_methodE3ELS4_3ELS4_3ELNS0_20block_scan_algorithmE0ELj4294967295EEENS1_25partition_config_selectorILNS1_17partition_subalgoE3EjNS0_10empty_typeEbEEZZNS1_14partition_implILS8_3ELb0ES6_jNS0_17counting_iteratorIjlEEPS9_SE_NS0_5tupleIJPjSE_EEENSF_IJSE_SE_EEES9_SG_JZNS1_25segmented_radix_sort_implINS0_14default_configELb0EPKbPbPKlPlN2at6native12_GLOBAL__N_18offset_tEEE10hipError_tPvRmT1_PNSt15iterator_traitsISY_E10value_typeET2_T3_PNSZ_IS14_E10value_typeET4_jRbjT5_S1A_jjP12ihipStream_tbEUljE_EEESV_SW_SX_S14_S18_S1A_T6_T7_T9_mT8_S1C_bDpT10_ENKUlT_T0_E_clISt17integral_constantIbLb1EES1P_EEDaS1K_S1L_EUlS1K_E_NS1_11comp_targetILNS1_3genE10ELNS1_11target_archE1200ELNS1_3gpuE4ELNS1_3repE0EEENS1_30default_config_static_selectorELNS0_4arch9wavefront6targetE1EEEvSY_,"axG",@progbits,_ZN7rocprim17ROCPRIM_400000_NS6detail17trampoline_kernelINS0_13select_configILj256ELj13ELNS0_17block_load_methodE3ELS4_3ELS4_3ELNS0_20block_scan_algorithmE0ELj4294967295EEENS1_25partition_config_selectorILNS1_17partition_subalgoE3EjNS0_10empty_typeEbEEZZNS1_14partition_implILS8_3ELb0ES6_jNS0_17counting_iteratorIjlEEPS9_SE_NS0_5tupleIJPjSE_EEENSF_IJSE_SE_EEES9_SG_JZNS1_25segmented_radix_sort_implINS0_14default_configELb0EPKbPbPKlPlN2at6native12_GLOBAL__N_18offset_tEEE10hipError_tPvRmT1_PNSt15iterator_traitsISY_E10value_typeET2_T3_PNSZ_IS14_E10value_typeET4_jRbjT5_S1A_jjP12ihipStream_tbEUljE_EEESV_SW_SX_S14_S18_S1A_T6_T7_T9_mT8_S1C_bDpT10_ENKUlT_T0_E_clISt17integral_constantIbLb1EES1P_EEDaS1K_S1L_EUlS1K_E_NS1_11comp_targetILNS1_3genE10ELNS1_11target_archE1200ELNS1_3gpuE4ELNS1_3repE0EEENS1_30default_config_static_selectorELNS0_4arch9wavefront6targetE1EEEvSY_,comdat
	.globl	_ZN7rocprim17ROCPRIM_400000_NS6detail17trampoline_kernelINS0_13select_configILj256ELj13ELNS0_17block_load_methodE3ELS4_3ELS4_3ELNS0_20block_scan_algorithmE0ELj4294967295EEENS1_25partition_config_selectorILNS1_17partition_subalgoE3EjNS0_10empty_typeEbEEZZNS1_14partition_implILS8_3ELb0ES6_jNS0_17counting_iteratorIjlEEPS9_SE_NS0_5tupleIJPjSE_EEENSF_IJSE_SE_EEES9_SG_JZNS1_25segmented_radix_sort_implINS0_14default_configELb0EPKbPbPKlPlN2at6native12_GLOBAL__N_18offset_tEEE10hipError_tPvRmT1_PNSt15iterator_traitsISY_E10value_typeET2_T3_PNSZ_IS14_E10value_typeET4_jRbjT5_S1A_jjP12ihipStream_tbEUljE_EEESV_SW_SX_S14_S18_S1A_T6_T7_T9_mT8_S1C_bDpT10_ENKUlT_T0_E_clISt17integral_constantIbLb1EES1P_EEDaS1K_S1L_EUlS1K_E_NS1_11comp_targetILNS1_3genE10ELNS1_11target_archE1200ELNS1_3gpuE4ELNS1_3repE0EEENS1_30default_config_static_selectorELNS0_4arch9wavefront6targetE1EEEvSY_ ; -- Begin function _ZN7rocprim17ROCPRIM_400000_NS6detail17trampoline_kernelINS0_13select_configILj256ELj13ELNS0_17block_load_methodE3ELS4_3ELS4_3ELNS0_20block_scan_algorithmE0ELj4294967295EEENS1_25partition_config_selectorILNS1_17partition_subalgoE3EjNS0_10empty_typeEbEEZZNS1_14partition_implILS8_3ELb0ES6_jNS0_17counting_iteratorIjlEEPS9_SE_NS0_5tupleIJPjSE_EEENSF_IJSE_SE_EEES9_SG_JZNS1_25segmented_radix_sort_implINS0_14default_configELb0EPKbPbPKlPlN2at6native12_GLOBAL__N_18offset_tEEE10hipError_tPvRmT1_PNSt15iterator_traitsISY_E10value_typeET2_T3_PNSZ_IS14_E10value_typeET4_jRbjT5_S1A_jjP12ihipStream_tbEUljE_EEESV_SW_SX_S14_S18_S1A_T6_T7_T9_mT8_S1C_bDpT10_ENKUlT_T0_E_clISt17integral_constantIbLb1EES1P_EEDaS1K_S1L_EUlS1K_E_NS1_11comp_targetILNS1_3genE10ELNS1_11target_archE1200ELNS1_3gpuE4ELNS1_3repE0EEENS1_30default_config_static_selectorELNS0_4arch9wavefront6targetE1EEEvSY_
	.p2align	8
	.type	_ZN7rocprim17ROCPRIM_400000_NS6detail17trampoline_kernelINS0_13select_configILj256ELj13ELNS0_17block_load_methodE3ELS4_3ELS4_3ELNS0_20block_scan_algorithmE0ELj4294967295EEENS1_25partition_config_selectorILNS1_17partition_subalgoE3EjNS0_10empty_typeEbEEZZNS1_14partition_implILS8_3ELb0ES6_jNS0_17counting_iteratorIjlEEPS9_SE_NS0_5tupleIJPjSE_EEENSF_IJSE_SE_EEES9_SG_JZNS1_25segmented_radix_sort_implINS0_14default_configELb0EPKbPbPKlPlN2at6native12_GLOBAL__N_18offset_tEEE10hipError_tPvRmT1_PNSt15iterator_traitsISY_E10value_typeET2_T3_PNSZ_IS14_E10value_typeET4_jRbjT5_S1A_jjP12ihipStream_tbEUljE_EEESV_SW_SX_S14_S18_S1A_T6_T7_T9_mT8_S1C_bDpT10_ENKUlT_T0_E_clISt17integral_constantIbLb1EES1P_EEDaS1K_S1L_EUlS1K_E_NS1_11comp_targetILNS1_3genE10ELNS1_11target_archE1200ELNS1_3gpuE4ELNS1_3repE0EEENS1_30default_config_static_selectorELNS0_4arch9wavefront6targetE1EEEvSY_,@function
_ZN7rocprim17ROCPRIM_400000_NS6detail17trampoline_kernelINS0_13select_configILj256ELj13ELNS0_17block_load_methodE3ELS4_3ELS4_3ELNS0_20block_scan_algorithmE0ELj4294967295EEENS1_25partition_config_selectorILNS1_17partition_subalgoE3EjNS0_10empty_typeEbEEZZNS1_14partition_implILS8_3ELb0ES6_jNS0_17counting_iteratorIjlEEPS9_SE_NS0_5tupleIJPjSE_EEENSF_IJSE_SE_EEES9_SG_JZNS1_25segmented_radix_sort_implINS0_14default_configELb0EPKbPbPKlPlN2at6native12_GLOBAL__N_18offset_tEEE10hipError_tPvRmT1_PNSt15iterator_traitsISY_E10value_typeET2_T3_PNSZ_IS14_E10value_typeET4_jRbjT5_S1A_jjP12ihipStream_tbEUljE_EEESV_SW_SX_S14_S18_S1A_T6_T7_T9_mT8_S1C_bDpT10_ENKUlT_T0_E_clISt17integral_constantIbLb1EES1P_EEDaS1K_S1L_EUlS1K_E_NS1_11comp_targetILNS1_3genE10ELNS1_11target_archE1200ELNS1_3gpuE4ELNS1_3repE0EEENS1_30default_config_static_selectorELNS0_4arch9wavefront6targetE1EEEvSY_: ; @_ZN7rocprim17ROCPRIM_400000_NS6detail17trampoline_kernelINS0_13select_configILj256ELj13ELNS0_17block_load_methodE3ELS4_3ELS4_3ELNS0_20block_scan_algorithmE0ELj4294967295EEENS1_25partition_config_selectorILNS1_17partition_subalgoE3EjNS0_10empty_typeEbEEZZNS1_14partition_implILS8_3ELb0ES6_jNS0_17counting_iteratorIjlEEPS9_SE_NS0_5tupleIJPjSE_EEENSF_IJSE_SE_EEES9_SG_JZNS1_25segmented_radix_sort_implINS0_14default_configELb0EPKbPbPKlPlN2at6native12_GLOBAL__N_18offset_tEEE10hipError_tPvRmT1_PNSt15iterator_traitsISY_E10value_typeET2_T3_PNSZ_IS14_E10value_typeET4_jRbjT5_S1A_jjP12ihipStream_tbEUljE_EEESV_SW_SX_S14_S18_S1A_T6_T7_T9_mT8_S1C_bDpT10_ENKUlT_T0_E_clISt17integral_constantIbLb1EES1P_EEDaS1K_S1L_EUlS1K_E_NS1_11comp_targetILNS1_3genE10ELNS1_11target_archE1200ELNS1_3gpuE4ELNS1_3repE0EEENS1_30default_config_static_selectorELNS0_4arch9wavefront6targetE1EEEvSY_
; %bb.0:
	.section	.rodata,"a",@progbits
	.p2align	6, 0x0
	.amdhsa_kernel _ZN7rocprim17ROCPRIM_400000_NS6detail17trampoline_kernelINS0_13select_configILj256ELj13ELNS0_17block_load_methodE3ELS4_3ELS4_3ELNS0_20block_scan_algorithmE0ELj4294967295EEENS1_25partition_config_selectorILNS1_17partition_subalgoE3EjNS0_10empty_typeEbEEZZNS1_14partition_implILS8_3ELb0ES6_jNS0_17counting_iteratorIjlEEPS9_SE_NS0_5tupleIJPjSE_EEENSF_IJSE_SE_EEES9_SG_JZNS1_25segmented_radix_sort_implINS0_14default_configELb0EPKbPbPKlPlN2at6native12_GLOBAL__N_18offset_tEEE10hipError_tPvRmT1_PNSt15iterator_traitsISY_E10value_typeET2_T3_PNSZ_IS14_E10value_typeET4_jRbjT5_S1A_jjP12ihipStream_tbEUljE_EEESV_SW_SX_S14_S18_S1A_T6_T7_T9_mT8_S1C_bDpT10_ENKUlT_T0_E_clISt17integral_constantIbLb1EES1P_EEDaS1K_S1L_EUlS1K_E_NS1_11comp_targetILNS1_3genE10ELNS1_11target_archE1200ELNS1_3gpuE4ELNS1_3repE0EEENS1_30default_config_static_selectorELNS0_4arch9wavefront6targetE1EEEvSY_
		.amdhsa_group_segment_fixed_size 0
		.amdhsa_private_segment_fixed_size 0
		.amdhsa_kernarg_size 152
		.amdhsa_user_sgpr_count 6
		.amdhsa_user_sgpr_private_segment_buffer 1
		.amdhsa_user_sgpr_dispatch_ptr 0
		.amdhsa_user_sgpr_queue_ptr 0
		.amdhsa_user_sgpr_kernarg_segment_ptr 1
		.amdhsa_user_sgpr_dispatch_id 0
		.amdhsa_user_sgpr_flat_scratch_init 0
		.amdhsa_user_sgpr_kernarg_preload_length 0
		.amdhsa_user_sgpr_kernarg_preload_offset 0
		.amdhsa_user_sgpr_private_segment_size 0
		.amdhsa_uses_dynamic_stack 0
		.amdhsa_system_sgpr_private_segment_wavefront_offset 0
		.amdhsa_system_sgpr_workgroup_id_x 1
		.amdhsa_system_sgpr_workgroup_id_y 0
		.amdhsa_system_sgpr_workgroup_id_z 0
		.amdhsa_system_sgpr_workgroup_info 0
		.amdhsa_system_vgpr_workitem_id 0
		.amdhsa_next_free_vgpr 1
		.amdhsa_next_free_sgpr 0
		.amdhsa_accum_offset 4
		.amdhsa_reserve_vcc 0
		.amdhsa_reserve_flat_scratch 0
		.amdhsa_float_round_mode_32 0
		.amdhsa_float_round_mode_16_64 0
		.amdhsa_float_denorm_mode_32 3
		.amdhsa_float_denorm_mode_16_64 3
		.amdhsa_dx10_clamp 1
		.amdhsa_ieee_mode 1
		.amdhsa_fp16_overflow 0
		.amdhsa_tg_split 0
		.amdhsa_exception_fp_ieee_invalid_op 0
		.amdhsa_exception_fp_denorm_src 0
		.amdhsa_exception_fp_ieee_div_zero 0
		.amdhsa_exception_fp_ieee_overflow 0
		.amdhsa_exception_fp_ieee_underflow 0
		.amdhsa_exception_fp_ieee_inexact 0
		.amdhsa_exception_int_div_zero 0
	.end_amdhsa_kernel
	.section	.text._ZN7rocprim17ROCPRIM_400000_NS6detail17trampoline_kernelINS0_13select_configILj256ELj13ELNS0_17block_load_methodE3ELS4_3ELS4_3ELNS0_20block_scan_algorithmE0ELj4294967295EEENS1_25partition_config_selectorILNS1_17partition_subalgoE3EjNS0_10empty_typeEbEEZZNS1_14partition_implILS8_3ELb0ES6_jNS0_17counting_iteratorIjlEEPS9_SE_NS0_5tupleIJPjSE_EEENSF_IJSE_SE_EEES9_SG_JZNS1_25segmented_radix_sort_implINS0_14default_configELb0EPKbPbPKlPlN2at6native12_GLOBAL__N_18offset_tEEE10hipError_tPvRmT1_PNSt15iterator_traitsISY_E10value_typeET2_T3_PNSZ_IS14_E10value_typeET4_jRbjT5_S1A_jjP12ihipStream_tbEUljE_EEESV_SW_SX_S14_S18_S1A_T6_T7_T9_mT8_S1C_bDpT10_ENKUlT_T0_E_clISt17integral_constantIbLb1EES1P_EEDaS1K_S1L_EUlS1K_E_NS1_11comp_targetILNS1_3genE10ELNS1_11target_archE1200ELNS1_3gpuE4ELNS1_3repE0EEENS1_30default_config_static_selectorELNS0_4arch9wavefront6targetE1EEEvSY_,"axG",@progbits,_ZN7rocprim17ROCPRIM_400000_NS6detail17trampoline_kernelINS0_13select_configILj256ELj13ELNS0_17block_load_methodE3ELS4_3ELS4_3ELNS0_20block_scan_algorithmE0ELj4294967295EEENS1_25partition_config_selectorILNS1_17partition_subalgoE3EjNS0_10empty_typeEbEEZZNS1_14partition_implILS8_3ELb0ES6_jNS0_17counting_iteratorIjlEEPS9_SE_NS0_5tupleIJPjSE_EEENSF_IJSE_SE_EEES9_SG_JZNS1_25segmented_radix_sort_implINS0_14default_configELb0EPKbPbPKlPlN2at6native12_GLOBAL__N_18offset_tEEE10hipError_tPvRmT1_PNSt15iterator_traitsISY_E10value_typeET2_T3_PNSZ_IS14_E10value_typeET4_jRbjT5_S1A_jjP12ihipStream_tbEUljE_EEESV_SW_SX_S14_S18_S1A_T6_T7_T9_mT8_S1C_bDpT10_ENKUlT_T0_E_clISt17integral_constantIbLb1EES1P_EEDaS1K_S1L_EUlS1K_E_NS1_11comp_targetILNS1_3genE10ELNS1_11target_archE1200ELNS1_3gpuE4ELNS1_3repE0EEENS1_30default_config_static_selectorELNS0_4arch9wavefront6targetE1EEEvSY_,comdat
.Lfunc_end1614:
	.size	_ZN7rocprim17ROCPRIM_400000_NS6detail17trampoline_kernelINS0_13select_configILj256ELj13ELNS0_17block_load_methodE3ELS4_3ELS4_3ELNS0_20block_scan_algorithmE0ELj4294967295EEENS1_25partition_config_selectorILNS1_17partition_subalgoE3EjNS0_10empty_typeEbEEZZNS1_14partition_implILS8_3ELb0ES6_jNS0_17counting_iteratorIjlEEPS9_SE_NS0_5tupleIJPjSE_EEENSF_IJSE_SE_EEES9_SG_JZNS1_25segmented_radix_sort_implINS0_14default_configELb0EPKbPbPKlPlN2at6native12_GLOBAL__N_18offset_tEEE10hipError_tPvRmT1_PNSt15iterator_traitsISY_E10value_typeET2_T3_PNSZ_IS14_E10value_typeET4_jRbjT5_S1A_jjP12ihipStream_tbEUljE_EEESV_SW_SX_S14_S18_S1A_T6_T7_T9_mT8_S1C_bDpT10_ENKUlT_T0_E_clISt17integral_constantIbLb1EES1P_EEDaS1K_S1L_EUlS1K_E_NS1_11comp_targetILNS1_3genE10ELNS1_11target_archE1200ELNS1_3gpuE4ELNS1_3repE0EEENS1_30default_config_static_selectorELNS0_4arch9wavefront6targetE1EEEvSY_, .Lfunc_end1614-_ZN7rocprim17ROCPRIM_400000_NS6detail17trampoline_kernelINS0_13select_configILj256ELj13ELNS0_17block_load_methodE3ELS4_3ELS4_3ELNS0_20block_scan_algorithmE0ELj4294967295EEENS1_25partition_config_selectorILNS1_17partition_subalgoE3EjNS0_10empty_typeEbEEZZNS1_14partition_implILS8_3ELb0ES6_jNS0_17counting_iteratorIjlEEPS9_SE_NS0_5tupleIJPjSE_EEENSF_IJSE_SE_EEES9_SG_JZNS1_25segmented_radix_sort_implINS0_14default_configELb0EPKbPbPKlPlN2at6native12_GLOBAL__N_18offset_tEEE10hipError_tPvRmT1_PNSt15iterator_traitsISY_E10value_typeET2_T3_PNSZ_IS14_E10value_typeET4_jRbjT5_S1A_jjP12ihipStream_tbEUljE_EEESV_SW_SX_S14_S18_S1A_T6_T7_T9_mT8_S1C_bDpT10_ENKUlT_T0_E_clISt17integral_constantIbLb1EES1P_EEDaS1K_S1L_EUlS1K_E_NS1_11comp_targetILNS1_3genE10ELNS1_11target_archE1200ELNS1_3gpuE4ELNS1_3repE0EEENS1_30default_config_static_selectorELNS0_4arch9wavefront6targetE1EEEvSY_
                                        ; -- End function
	.section	.AMDGPU.csdata,"",@progbits
; Kernel info:
; codeLenInByte = 0
; NumSgprs: 4
; NumVgprs: 0
; NumAgprs: 0
; TotalNumVgprs: 0
; ScratchSize: 0
; MemoryBound: 0
; FloatMode: 240
; IeeeMode: 1
; LDSByteSize: 0 bytes/workgroup (compile time only)
; SGPRBlocks: 0
; VGPRBlocks: 0
; NumSGPRsForWavesPerEU: 4
; NumVGPRsForWavesPerEU: 1
; AccumOffset: 4
; Occupancy: 8
; WaveLimiterHint : 0
; COMPUTE_PGM_RSRC2:SCRATCH_EN: 0
; COMPUTE_PGM_RSRC2:USER_SGPR: 6
; COMPUTE_PGM_RSRC2:TRAP_HANDLER: 0
; COMPUTE_PGM_RSRC2:TGID_X_EN: 1
; COMPUTE_PGM_RSRC2:TGID_Y_EN: 0
; COMPUTE_PGM_RSRC2:TGID_Z_EN: 0
; COMPUTE_PGM_RSRC2:TIDIG_COMP_CNT: 0
; COMPUTE_PGM_RSRC3_GFX90A:ACCUM_OFFSET: 0
; COMPUTE_PGM_RSRC3_GFX90A:TG_SPLIT: 0
	.section	.text._ZN7rocprim17ROCPRIM_400000_NS6detail17trampoline_kernelINS0_13select_configILj256ELj13ELNS0_17block_load_methodE3ELS4_3ELS4_3ELNS0_20block_scan_algorithmE0ELj4294967295EEENS1_25partition_config_selectorILNS1_17partition_subalgoE3EjNS0_10empty_typeEbEEZZNS1_14partition_implILS8_3ELb0ES6_jNS0_17counting_iteratorIjlEEPS9_SE_NS0_5tupleIJPjSE_EEENSF_IJSE_SE_EEES9_SG_JZNS1_25segmented_radix_sort_implINS0_14default_configELb0EPKbPbPKlPlN2at6native12_GLOBAL__N_18offset_tEEE10hipError_tPvRmT1_PNSt15iterator_traitsISY_E10value_typeET2_T3_PNSZ_IS14_E10value_typeET4_jRbjT5_S1A_jjP12ihipStream_tbEUljE_EEESV_SW_SX_S14_S18_S1A_T6_T7_T9_mT8_S1C_bDpT10_ENKUlT_T0_E_clISt17integral_constantIbLb1EES1P_EEDaS1K_S1L_EUlS1K_E_NS1_11comp_targetILNS1_3genE9ELNS1_11target_archE1100ELNS1_3gpuE3ELNS1_3repE0EEENS1_30default_config_static_selectorELNS0_4arch9wavefront6targetE1EEEvSY_,"axG",@progbits,_ZN7rocprim17ROCPRIM_400000_NS6detail17trampoline_kernelINS0_13select_configILj256ELj13ELNS0_17block_load_methodE3ELS4_3ELS4_3ELNS0_20block_scan_algorithmE0ELj4294967295EEENS1_25partition_config_selectorILNS1_17partition_subalgoE3EjNS0_10empty_typeEbEEZZNS1_14partition_implILS8_3ELb0ES6_jNS0_17counting_iteratorIjlEEPS9_SE_NS0_5tupleIJPjSE_EEENSF_IJSE_SE_EEES9_SG_JZNS1_25segmented_radix_sort_implINS0_14default_configELb0EPKbPbPKlPlN2at6native12_GLOBAL__N_18offset_tEEE10hipError_tPvRmT1_PNSt15iterator_traitsISY_E10value_typeET2_T3_PNSZ_IS14_E10value_typeET4_jRbjT5_S1A_jjP12ihipStream_tbEUljE_EEESV_SW_SX_S14_S18_S1A_T6_T7_T9_mT8_S1C_bDpT10_ENKUlT_T0_E_clISt17integral_constantIbLb1EES1P_EEDaS1K_S1L_EUlS1K_E_NS1_11comp_targetILNS1_3genE9ELNS1_11target_archE1100ELNS1_3gpuE3ELNS1_3repE0EEENS1_30default_config_static_selectorELNS0_4arch9wavefront6targetE1EEEvSY_,comdat
	.globl	_ZN7rocprim17ROCPRIM_400000_NS6detail17trampoline_kernelINS0_13select_configILj256ELj13ELNS0_17block_load_methodE3ELS4_3ELS4_3ELNS0_20block_scan_algorithmE0ELj4294967295EEENS1_25partition_config_selectorILNS1_17partition_subalgoE3EjNS0_10empty_typeEbEEZZNS1_14partition_implILS8_3ELb0ES6_jNS0_17counting_iteratorIjlEEPS9_SE_NS0_5tupleIJPjSE_EEENSF_IJSE_SE_EEES9_SG_JZNS1_25segmented_radix_sort_implINS0_14default_configELb0EPKbPbPKlPlN2at6native12_GLOBAL__N_18offset_tEEE10hipError_tPvRmT1_PNSt15iterator_traitsISY_E10value_typeET2_T3_PNSZ_IS14_E10value_typeET4_jRbjT5_S1A_jjP12ihipStream_tbEUljE_EEESV_SW_SX_S14_S18_S1A_T6_T7_T9_mT8_S1C_bDpT10_ENKUlT_T0_E_clISt17integral_constantIbLb1EES1P_EEDaS1K_S1L_EUlS1K_E_NS1_11comp_targetILNS1_3genE9ELNS1_11target_archE1100ELNS1_3gpuE3ELNS1_3repE0EEENS1_30default_config_static_selectorELNS0_4arch9wavefront6targetE1EEEvSY_ ; -- Begin function _ZN7rocprim17ROCPRIM_400000_NS6detail17trampoline_kernelINS0_13select_configILj256ELj13ELNS0_17block_load_methodE3ELS4_3ELS4_3ELNS0_20block_scan_algorithmE0ELj4294967295EEENS1_25partition_config_selectorILNS1_17partition_subalgoE3EjNS0_10empty_typeEbEEZZNS1_14partition_implILS8_3ELb0ES6_jNS0_17counting_iteratorIjlEEPS9_SE_NS0_5tupleIJPjSE_EEENSF_IJSE_SE_EEES9_SG_JZNS1_25segmented_radix_sort_implINS0_14default_configELb0EPKbPbPKlPlN2at6native12_GLOBAL__N_18offset_tEEE10hipError_tPvRmT1_PNSt15iterator_traitsISY_E10value_typeET2_T3_PNSZ_IS14_E10value_typeET4_jRbjT5_S1A_jjP12ihipStream_tbEUljE_EEESV_SW_SX_S14_S18_S1A_T6_T7_T9_mT8_S1C_bDpT10_ENKUlT_T0_E_clISt17integral_constantIbLb1EES1P_EEDaS1K_S1L_EUlS1K_E_NS1_11comp_targetILNS1_3genE9ELNS1_11target_archE1100ELNS1_3gpuE3ELNS1_3repE0EEENS1_30default_config_static_selectorELNS0_4arch9wavefront6targetE1EEEvSY_
	.p2align	8
	.type	_ZN7rocprim17ROCPRIM_400000_NS6detail17trampoline_kernelINS0_13select_configILj256ELj13ELNS0_17block_load_methodE3ELS4_3ELS4_3ELNS0_20block_scan_algorithmE0ELj4294967295EEENS1_25partition_config_selectorILNS1_17partition_subalgoE3EjNS0_10empty_typeEbEEZZNS1_14partition_implILS8_3ELb0ES6_jNS0_17counting_iteratorIjlEEPS9_SE_NS0_5tupleIJPjSE_EEENSF_IJSE_SE_EEES9_SG_JZNS1_25segmented_radix_sort_implINS0_14default_configELb0EPKbPbPKlPlN2at6native12_GLOBAL__N_18offset_tEEE10hipError_tPvRmT1_PNSt15iterator_traitsISY_E10value_typeET2_T3_PNSZ_IS14_E10value_typeET4_jRbjT5_S1A_jjP12ihipStream_tbEUljE_EEESV_SW_SX_S14_S18_S1A_T6_T7_T9_mT8_S1C_bDpT10_ENKUlT_T0_E_clISt17integral_constantIbLb1EES1P_EEDaS1K_S1L_EUlS1K_E_NS1_11comp_targetILNS1_3genE9ELNS1_11target_archE1100ELNS1_3gpuE3ELNS1_3repE0EEENS1_30default_config_static_selectorELNS0_4arch9wavefront6targetE1EEEvSY_,@function
_ZN7rocprim17ROCPRIM_400000_NS6detail17trampoline_kernelINS0_13select_configILj256ELj13ELNS0_17block_load_methodE3ELS4_3ELS4_3ELNS0_20block_scan_algorithmE0ELj4294967295EEENS1_25partition_config_selectorILNS1_17partition_subalgoE3EjNS0_10empty_typeEbEEZZNS1_14partition_implILS8_3ELb0ES6_jNS0_17counting_iteratorIjlEEPS9_SE_NS0_5tupleIJPjSE_EEENSF_IJSE_SE_EEES9_SG_JZNS1_25segmented_radix_sort_implINS0_14default_configELb0EPKbPbPKlPlN2at6native12_GLOBAL__N_18offset_tEEE10hipError_tPvRmT1_PNSt15iterator_traitsISY_E10value_typeET2_T3_PNSZ_IS14_E10value_typeET4_jRbjT5_S1A_jjP12ihipStream_tbEUljE_EEESV_SW_SX_S14_S18_S1A_T6_T7_T9_mT8_S1C_bDpT10_ENKUlT_T0_E_clISt17integral_constantIbLb1EES1P_EEDaS1K_S1L_EUlS1K_E_NS1_11comp_targetILNS1_3genE9ELNS1_11target_archE1100ELNS1_3gpuE3ELNS1_3repE0EEENS1_30default_config_static_selectorELNS0_4arch9wavefront6targetE1EEEvSY_: ; @_ZN7rocprim17ROCPRIM_400000_NS6detail17trampoline_kernelINS0_13select_configILj256ELj13ELNS0_17block_load_methodE3ELS4_3ELS4_3ELNS0_20block_scan_algorithmE0ELj4294967295EEENS1_25partition_config_selectorILNS1_17partition_subalgoE3EjNS0_10empty_typeEbEEZZNS1_14partition_implILS8_3ELb0ES6_jNS0_17counting_iteratorIjlEEPS9_SE_NS0_5tupleIJPjSE_EEENSF_IJSE_SE_EEES9_SG_JZNS1_25segmented_radix_sort_implINS0_14default_configELb0EPKbPbPKlPlN2at6native12_GLOBAL__N_18offset_tEEE10hipError_tPvRmT1_PNSt15iterator_traitsISY_E10value_typeET2_T3_PNSZ_IS14_E10value_typeET4_jRbjT5_S1A_jjP12ihipStream_tbEUljE_EEESV_SW_SX_S14_S18_S1A_T6_T7_T9_mT8_S1C_bDpT10_ENKUlT_T0_E_clISt17integral_constantIbLb1EES1P_EEDaS1K_S1L_EUlS1K_E_NS1_11comp_targetILNS1_3genE9ELNS1_11target_archE1100ELNS1_3gpuE3ELNS1_3repE0EEENS1_30default_config_static_selectorELNS0_4arch9wavefront6targetE1EEEvSY_
; %bb.0:
	.section	.rodata,"a",@progbits
	.p2align	6, 0x0
	.amdhsa_kernel _ZN7rocprim17ROCPRIM_400000_NS6detail17trampoline_kernelINS0_13select_configILj256ELj13ELNS0_17block_load_methodE3ELS4_3ELS4_3ELNS0_20block_scan_algorithmE0ELj4294967295EEENS1_25partition_config_selectorILNS1_17partition_subalgoE3EjNS0_10empty_typeEbEEZZNS1_14partition_implILS8_3ELb0ES6_jNS0_17counting_iteratorIjlEEPS9_SE_NS0_5tupleIJPjSE_EEENSF_IJSE_SE_EEES9_SG_JZNS1_25segmented_radix_sort_implINS0_14default_configELb0EPKbPbPKlPlN2at6native12_GLOBAL__N_18offset_tEEE10hipError_tPvRmT1_PNSt15iterator_traitsISY_E10value_typeET2_T3_PNSZ_IS14_E10value_typeET4_jRbjT5_S1A_jjP12ihipStream_tbEUljE_EEESV_SW_SX_S14_S18_S1A_T6_T7_T9_mT8_S1C_bDpT10_ENKUlT_T0_E_clISt17integral_constantIbLb1EES1P_EEDaS1K_S1L_EUlS1K_E_NS1_11comp_targetILNS1_3genE9ELNS1_11target_archE1100ELNS1_3gpuE3ELNS1_3repE0EEENS1_30default_config_static_selectorELNS0_4arch9wavefront6targetE1EEEvSY_
		.amdhsa_group_segment_fixed_size 0
		.amdhsa_private_segment_fixed_size 0
		.amdhsa_kernarg_size 152
		.amdhsa_user_sgpr_count 6
		.amdhsa_user_sgpr_private_segment_buffer 1
		.amdhsa_user_sgpr_dispatch_ptr 0
		.amdhsa_user_sgpr_queue_ptr 0
		.amdhsa_user_sgpr_kernarg_segment_ptr 1
		.amdhsa_user_sgpr_dispatch_id 0
		.amdhsa_user_sgpr_flat_scratch_init 0
		.amdhsa_user_sgpr_kernarg_preload_length 0
		.amdhsa_user_sgpr_kernarg_preload_offset 0
		.amdhsa_user_sgpr_private_segment_size 0
		.amdhsa_uses_dynamic_stack 0
		.amdhsa_system_sgpr_private_segment_wavefront_offset 0
		.amdhsa_system_sgpr_workgroup_id_x 1
		.amdhsa_system_sgpr_workgroup_id_y 0
		.amdhsa_system_sgpr_workgroup_id_z 0
		.amdhsa_system_sgpr_workgroup_info 0
		.amdhsa_system_vgpr_workitem_id 0
		.amdhsa_next_free_vgpr 1
		.amdhsa_next_free_sgpr 0
		.amdhsa_accum_offset 4
		.amdhsa_reserve_vcc 0
		.amdhsa_reserve_flat_scratch 0
		.amdhsa_float_round_mode_32 0
		.amdhsa_float_round_mode_16_64 0
		.amdhsa_float_denorm_mode_32 3
		.amdhsa_float_denorm_mode_16_64 3
		.amdhsa_dx10_clamp 1
		.amdhsa_ieee_mode 1
		.amdhsa_fp16_overflow 0
		.amdhsa_tg_split 0
		.amdhsa_exception_fp_ieee_invalid_op 0
		.amdhsa_exception_fp_denorm_src 0
		.amdhsa_exception_fp_ieee_div_zero 0
		.amdhsa_exception_fp_ieee_overflow 0
		.amdhsa_exception_fp_ieee_underflow 0
		.amdhsa_exception_fp_ieee_inexact 0
		.amdhsa_exception_int_div_zero 0
	.end_amdhsa_kernel
	.section	.text._ZN7rocprim17ROCPRIM_400000_NS6detail17trampoline_kernelINS0_13select_configILj256ELj13ELNS0_17block_load_methodE3ELS4_3ELS4_3ELNS0_20block_scan_algorithmE0ELj4294967295EEENS1_25partition_config_selectorILNS1_17partition_subalgoE3EjNS0_10empty_typeEbEEZZNS1_14partition_implILS8_3ELb0ES6_jNS0_17counting_iteratorIjlEEPS9_SE_NS0_5tupleIJPjSE_EEENSF_IJSE_SE_EEES9_SG_JZNS1_25segmented_radix_sort_implINS0_14default_configELb0EPKbPbPKlPlN2at6native12_GLOBAL__N_18offset_tEEE10hipError_tPvRmT1_PNSt15iterator_traitsISY_E10value_typeET2_T3_PNSZ_IS14_E10value_typeET4_jRbjT5_S1A_jjP12ihipStream_tbEUljE_EEESV_SW_SX_S14_S18_S1A_T6_T7_T9_mT8_S1C_bDpT10_ENKUlT_T0_E_clISt17integral_constantIbLb1EES1P_EEDaS1K_S1L_EUlS1K_E_NS1_11comp_targetILNS1_3genE9ELNS1_11target_archE1100ELNS1_3gpuE3ELNS1_3repE0EEENS1_30default_config_static_selectorELNS0_4arch9wavefront6targetE1EEEvSY_,"axG",@progbits,_ZN7rocprim17ROCPRIM_400000_NS6detail17trampoline_kernelINS0_13select_configILj256ELj13ELNS0_17block_load_methodE3ELS4_3ELS4_3ELNS0_20block_scan_algorithmE0ELj4294967295EEENS1_25partition_config_selectorILNS1_17partition_subalgoE3EjNS0_10empty_typeEbEEZZNS1_14partition_implILS8_3ELb0ES6_jNS0_17counting_iteratorIjlEEPS9_SE_NS0_5tupleIJPjSE_EEENSF_IJSE_SE_EEES9_SG_JZNS1_25segmented_radix_sort_implINS0_14default_configELb0EPKbPbPKlPlN2at6native12_GLOBAL__N_18offset_tEEE10hipError_tPvRmT1_PNSt15iterator_traitsISY_E10value_typeET2_T3_PNSZ_IS14_E10value_typeET4_jRbjT5_S1A_jjP12ihipStream_tbEUljE_EEESV_SW_SX_S14_S18_S1A_T6_T7_T9_mT8_S1C_bDpT10_ENKUlT_T0_E_clISt17integral_constantIbLb1EES1P_EEDaS1K_S1L_EUlS1K_E_NS1_11comp_targetILNS1_3genE9ELNS1_11target_archE1100ELNS1_3gpuE3ELNS1_3repE0EEENS1_30default_config_static_selectorELNS0_4arch9wavefront6targetE1EEEvSY_,comdat
.Lfunc_end1615:
	.size	_ZN7rocprim17ROCPRIM_400000_NS6detail17trampoline_kernelINS0_13select_configILj256ELj13ELNS0_17block_load_methodE3ELS4_3ELS4_3ELNS0_20block_scan_algorithmE0ELj4294967295EEENS1_25partition_config_selectorILNS1_17partition_subalgoE3EjNS0_10empty_typeEbEEZZNS1_14partition_implILS8_3ELb0ES6_jNS0_17counting_iteratorIjlEEPS9_SE_NS0_5tupleIJPjSE_EEENSF_IJSE_SE_EEES9_SG_JZNS1_25segmented_radix_sort_implINS0_14default_configELb0EPKbPbPKlPlN2at6native12_GLOBAL__N_18offset_tEEE10hipError_tPvRmT1_PNSt15iterator_traitsISY_E10value_typeET2_T3_PNSZ_IS14_E10value_typeET4_jRbjT5_S1A_jjP12ihipStream_tbEUljE_EEESV_SW_SX_S14_S18_S1A_T6_T7_T9_mT8_S1C_bDpT10_ENKUlT_T0_E_clISt17integral_constantIbLb1EES1P_EEDaS1K_S1L_EUlS1K_E_NS1_11comp_targetILNS1_3genE9ELNS1_11target_archE1100ELNS1_3gpuE3ELNS1_3repE0EEENS1_30default_config_static_selectorELNS0_4arch9wavefront6targetE1EEEvSY_, .Lfunc_end1615-_ZN7rocprim17ROCPRIM_400000_NS6detail17trampoline_kernelINS0_13select_configILj256ELj13ELNS0_17block_load_methodE3ELS4_3ELS4_3ELNS0_20block_scan_algorithmE0ELj4294967295EEENS1_25partition_config_selectorILNS1_17partition_subalgoE3EjNS0_10empty_typeEbEEZZNS1_14partition_implILS8_3ELb0ES6_jNS0_17counting_iteratorIjlEEPS9_SE_NS0_5tupleIJPjSE_EEENSF_IJSE_SE_EEES9_SG_JZNS1_25segmented_radix_sort_implINS0_14default_configELb0EPKbPbPKlPlN2at6native12_GLOBAL__N_18offset_tEEE10hipError_tPvRmT1_PNSt15iterator_traitsISY_E10value_typeET2_T3_PNSZ_IS14_E10value_typeET4_jRbjT5_S1A_jjP12ihipStream_tbEUljE_EEESV_SW_SX_S14_S18_S1A_T6_T7_T9_mT8_S1C_bDpT10_ENKUlT_T0_E_clISt17integral_constantIbLb1EES1P_EEDaS1K_S1L_EUlS1K_E_NS1_11comp_targetILNS1_3genE9ELNS1_11target_archE1100ELNS1_3gpuE3ELNS1_3repE0EEENS1_30default_config_static_selectorELNS0_4arch9wavefront6targetE1EEEvSY_
                                        ; -- End function
	.section	.AMDGPU.csdata,"",@progbits
; Kernel info:
; codeLenInByte = 0
; NumSgprs: 4
; NumVgprs: 0
; NumAgprs: 0
; TotalNumVgprs: 0
; ScratchSize: 0
; MemoryBound: 0
; FloatMode: 240
; IeeeMode: 1
; LDSByteSize: 0 bytes/workgroup (compile time only)
; SGPRBlocks: 0
; VGPRBlocks: 0
; NumSGPRsForWavesPerEU: 4
; NumVGPRsForWavesPerEU: 1
; AccumOffset: 4
; Occupancy: 8
; WaveLimiterHint : 0
; COMPUTE_PGM_RSRC2:SCRATCH_EN: 0
; COMPUTE_PGM_RSRC2:USER_SGPR: 6
; COMPUTE_PGM_RSRC2:TRAP_HANDLER: 0
; COMPUTE_PGM_RSRC2:TGID_X_EN: 1
; COMPUTE_PGM_RSRC2:TGID_Y_EN: 0
; COMPUTE_PGM_RSRC2:TGID_Z_EN: 0
; COMPUTE_PGM_RSRC2:TIDIG_COMP_CNT: 0
; COMPUTE_PGM_RSRC3_GFX90A:ACCUM_OFFSET: 0
; COMPUTE_PGM_RSRC3_GFX90A:TG_SPLIT: 0
	.section	.text._ZN7rocprim17ROCPRIM_400000_NS6detail17trampoline_kernelINS0_13select_configILj256ELj13ELNS0_17block_load_methodE3ELS4_3ELS4_3ELNS0_20block_scan_algorithmE0ELj4294967295EEENS1_25partition_config_selectorILNS1_17partition_subalgoE3EjNS0_10empty_typeEbEEZZNS1_14partition_implILS8_3ELb0ES6_jNS0_17counting_iteratorIjlEEPS9_SE_NS0_5tupleIJPjSE_EEENSF_IJSE_SE_EEES9_SG_JZNS1_25segmented_radix_sort_implINS0_14default_configELb0EPKbPbPKlPlN2at6native12_GLOBAL__N_18offset_tEEE10hipError_tPvRmT1_PNSt15iterator_traitsISY_E10value_typeET2_T3_PNSZ_IS14_E10value_typeET4_jRbjT5_S1A_jjP12ihipStream_tbEUljE_EEESV_SW_SX_S14_S18_S1A_T6_T7_T9_mT8_S1C_bDpT10_ENKUlT_T0_E_clISt17integral_constantIbLb1EES1P_EEDaS1K_S1L_EUlS1K_E_NS1_11comp_targetILNS1_3genE8ELNS1_11target_archE1030ELNS1_3gpuE2ELNS1_3repE0EEENS1_30default_config_static_selectorELNS0_4arch9wavefront6targetE1EEEvSY_,"axG",@progbits,_ZN7rocprim17ROCPRIM_400000_NS6detail17trampoline_kernelINS0_13select_configILj256ELj13ELNS0_17block_load_methodE3ELS4_3ELS4_3ELNS0_20block_scan_algorithmE0ELj4294967295EEENS1_25partition_config_selectorILNS1_17partition_subalgoE3EjNS0_10empty_typeEbEEZZNS1_14partition_implILS8_3ELb0ES6_jNS0_17counting_iteratorIjlEEPS9_SE_NS0_5tupleIJPjSE_EEENSF_IJSE_SE_EEES9_SG_JZNS1_25segmented_radix_sort_implINS0_14default_configELb0EPKbPbPKlPlN2at6native12_GLOBAL__N_18offset_tEEE10hipError_tPvRmT1_PNSt15iterator_traitsISY_E10value_typeET2_T3_PNSZ_IS14_E10value_typeET4_jRbjT5_S1A_jjP12ihipStream_tbEUljE_EEESV_SW_SX_S14_S18_S1A_T6_T7_T9_mT8_S1C_bDpT10_ENKUlT_T0_E_clISt17integral_constantIbLb1EES1P_EEDaS1K_S1L_EUlS1K_E_NS1_11comp_targetILNS1_3genE8ELNS1_11target_archE1030ELNS1_3gpuE2ELNS1_3repE0EEENS1_30default_config_static_selectorELNS0_4arch9wavefront6targetE1EEEvSY_,comdat
	.globl	_ZN7rocprim17ROCPRIM_400000_NS6detail17trampoline_kernelINS0_13select_configILj256ELj13ELNS0_17block_load_methodE3ELS4_3ELS4_3ELNS0_20block_scan_algorithmE0ELj4294967295EEENS1_25partition_config_selectorILNS1_17partition_subalgoE3EjNS0_10empty_typeEbEEZZNS1_14partition_implILS8_3ELb0ES6_jNS0_17counting_iteratorIjlEEPS9_SE_NS0_5tupleIJPjSE_EEENSF_IJSE_SE_EEES9_SG_JZNS1_25segmented_radix_sort_implINS0_14default_configELb0EPKbPbPKlPlN2at6native12_GLOBAL__N_18offset_tEEE10hipError_tPvRmT1_PNSt15iterator_traitsISY_E10value_typeET2_T3_PNSZ_IS14_E10value_typeET4_jRbjT5_S1A_jjP12ihipStream_tbEUljE_EEESV_SW_SX_S14_S18_S1A_T6_T7_T9_mT8_S1C_bDpT10_ENKUlT_T0_E_clISt17integral_constantIbLb1EES1P_EEDaS1K_S1L_EUlS1K_E_NS1_11comp_targetILNS1_3genE8ELNS1_11target_archE1030ELNS1_3gpuE2ELNS1_3repE0EEENS1_30default_config_static_selectorELNS0_4arch9wavefront6targetE1EEEvSY_ ; -- Begin function _ZN7rocprim17ROCPRIM_400000_NS6detail17trampoline_kernelINS0_13select_configILj256ELj13ELNS0_17block_load_methodE3ELS4_3ELS4_3ELNS0_20block_scan_algorithmE0ELj4294967295EEENS1_25partition_config_selectorILNS1_17partition_subalgoE3EjNS0_10empty_typeEbEEZZNS1_14partition_implILS8_3ELb0ES6_jNS0_17counting_iteratorIjlEEPS9_SE_NS0_5tupleIJPjSE_EEENSF_IJSE_SE_EEES9_SG_JZNS1_25segmented_radix_sort_implINS0_14default_configELb0EPKbPbPKlPlN2at6native12_GLOBAL__N_18offset_tEEE10hipError_tPvRmT1_PNSt15iterator_traitsISY_E10value_typeET2_T3_PNSZ_IS14_E10value_typeET4_jRbjT5_S1A_jjP12ihipStream_tbEUljE_EEESV_SW_SX_S14_S18_S1A_T6_T7_T9_mT8_S1C_bDpT10_ENKUlT_T0_E_clISt17integral_constantIbLb1EES1P_EEDaS1K_S1L_EUlS1K_E_NS1_11comp_targetILNS1_3genE8ELNS1_11target_archE1030ELNS1_3gpuE2ELNS1_3repE0EEENS1_30default_config_static_selectorELNS0_4arch9wavefront6targetE1EEEvSY_
	.p2align	8
	.type	_ZN7rocprim17ROCPRIM_400000_NS6detail17trampoline_kernelINS0_13select_configILj256ELj13ELNS0_17block_load_methodE3ELS4_3ELS4_3ELNS0_20block_scan_algorithmE0ELj4294967295EEENS1_25partition_config_selectorILNS1_17partition_subalgoE3EjNS0_10empty_typeEbEEZZNS1_14partition_implILS8_3ELb0ES6_jNS0_17counting_iteratorIjlEEPS9_SE_NS0_5tupleIJPjSE_EEENSF_IJSE_SE_EEES9_SG_JZNS1_25segmented_radix_sort_implINS0_14default_configELb0EPKbPbPKlPlN2at6native12_GLOBAL__N_18offset_tEEE10hipError_tPvRmT1_PNSt15iterator_traitsISY_E10value_typeET2_T3_PNSZ_IS14_E10value_typeET4_jRbjT5_S1A_jjP12ihipStream_tbEUljE_EEESV_SW_SX_S14_S18_S1A_T6_T7_T9_mT8_S1C_bDpT10_ENKUlT_T0_E_clISt17integral_constantIbLb1EES1P_EEDaS1K_S1L_EUlS1K_E_NS1_11comp_targetILNS1_3genE8ELNS1_11target_archE1030ELNS1_3gpuE2ELNS1_3repE0EEENS1_30default_config_static_selectorELNS0_4arch9wavefront6targetE1EEEvSY_,@function
_ZN7rocprim17ROCPRIM_400000_NS6detail17trampoline_kernelINS0_13select_configILj256ELj13ELNS0_17block_load_methodE3ELS4_3ELS4_3ELNS0_20block_scan_algorithmE0ELj4294967295EEENS1_25partition_config_selectorILNS1_17partition_subalgoE3EjNS0_10empty_typeEbEEZZNS1_14partition_implILS8_3ELb0ES6_jNS0_17counting_iteratorIjlEEPS9_SE_NS0_5tupleIJPjSE_EEENSF_IJSE_SE_EEES9_SG_JZNS1_25segmented_radix_sort_implINS0_14default_configELb0EPKbPbPKlPlN2at6native12_GLOBAL__N_18offset_tEEE10hipError_tPvRmT1_PNSt15iterator_traitsISY_E10value_typeET2_T3_PNSZ_IS14_E10value_typeET4_jRbjT5_S1A_jjP12ihipStream_tbEUljE_EEESV_SW_SX_S14_S18_S1A_T6_T7_T9_mT8_S1C_bDpT10_ENKUlT_T0_E_clISt17integral_constantIbLb1EES1P_EEDaS1K_S1L_EUlS1K_E_NS1_11comp_targetILNS1_3genE8ELNS1_11target_archE1030ELNS1_3gpuE2ELNS1_3repE0EEENS1_30default_config_static_selectorELNS0_4arch9wavefront6targetE1EEEvSY_: ; @_ZN7rocprim17ROCPRIM_400000_NS6detail17trampoline_kernelINS0_13select_configILj256ELj13ELNS0_17block_load_methodE3ELS4_3ELS4_3ELNS0_20block_scan_algorithmE0ELj4294967295EEENS1_25partition_config_selectorILNS1_17partition_subalgoE3EjNS0_10empty_typeEbEEZZNS1_14partition_implILS8_3ELb0ES6_jNS0_17counting_iteratorIjlEEPS9_SE_NS0_5tupleIJPjSE_EEENSF_IJSE_SE_EEES9_SG_JZNS1_25segmented_radix_sort_implINS0_14default_configELb0EPKbPbPKlPlN2at6native12_GLOBAL__N_18offset_tEEE10hipError_tPvRmT1_PNSt15iterator_traitsISY_E10value_typeET2_T3_PNSZ_IS14_E10value_typeET4_jRbjT5_S1A_jjP12ihipStream_tbEUljE_EEESV_SW_SX_S14_S18_S1A_T6_T7_T9_mT8_S1C_bDpT10_ENKUlT_T0_E_clISt17integral_constantIbLb1EES1P_EEDaS1K_S1L_EUlS1K_E_NS1_11comp_targetILNS1_3genE8ELNS1_11target_archE1030ELNS1_3gpuE2ELNS1_3repE0EEENS1_30default_config_static_selectorELNS0_4arch9wavefront6targetE1EEEvSY_
; %bb.0:
	.section	.rodata,"a",@progbits
	.p2align	6, 0x0
	.amdhsa_kernel _ZN7rocprim17ROCPRIM_400000_NS6detail17trampoline_kernelINS0_13select_configILj256ELj13ELNS0_17block_load_methodE3ELS4_3ELS4_3ELNS0_20block_scan_algorithmE0ELj4294967295EEENS1_25partition_config_selectorILNS1_17partition_subalgoE3EjNS0_10empty_typeEbEEZZNS1_14partition_implILS8_3ELb0ES6_jNS0_17counting_iteratorIjlEEPS9_SE_NS0_5tupleIJPjSE_EEENSF_IJSE_SE_EEES9_SG_JZNS1_25segmented_radix_sort_implINS0_14default_configELb0EPKbPbPKlPlN2at6native12_GLOBAL__N_18offset_tEEE10hipError_tPvRmT1_PNSt15iterator_traitsISY_E10value_typeET2_T3_PNSZ_IS14_E10value_typeET4_jRbjT5_S1A_jjP12ihipStream_tbEUljE_EEESV_SW_SX_S14_S18_S1A_T6_T7_T9_mT8_S1C_bDpT10_ENKUlT_T0_E_clISt17integral_constantIbLb1EES1P_EEDaS1K_S1L_EUlS1K_E_NS1_11comp_targetILNS1_3genE8ELNS1_11target_archE1030ELNS1_3gpuE2ELNS1_3repE0EEENS1_30default_config_static_selectorELNS0_4arch9wavefront6targetE1EEEvSY_
		.amdhsa_group_segment_fixed_size 0
		.amdhsa_private_segment_fixed_size 0
		.amdhsa_kernarg_size 152
		.amdhsa_user_sgpr_count 6
		.amdhsa_user_sgpr_private_segment_buffer 1
		.amdhsa_user_sgpr_dispatch_ptr 0
		.amdhsa_user_sgpr_queue_ptr 0
		.amdhsa_user_sgpr_kernarg_segment_ptr 1
		.amdhsa_user_sgpr_dispatch_id 0
		.amdhsa_user_sgpr_flat_scratch_init 0
		.amdhsa_user_sgpr_kernarg_preload_length 0
		.amdhsa_user_sgpr_kernarg_preload_offset 0
		.amdhsa_user_sgpr_private_segment_size 0
		.amdhsa_uses_dynamic_stack 0
		.amdhsa_system_sgpr_private_segment_wavefront_offset 0
		.amdhsa_system_sgpr_workgroup_id_x 1
		.amdhsa_system_sgpr_workgroup_id_y 0
		.amdhsa_system_sgpr_workgroup_id_z 0
		.amdhsa_system_sgpr_workgroup_info 0
		.amdhsa_system_vgpr_workitem_id 0
		.amdhsa_next_free_vgpr 1
		.amdhsa_next_free_sgpr 0
		.amdhsa_accum_offset 4
		.amdhsa_reserve_vcc 0
		.amdhsa_reserve_flat_scratch 0
		.amdhsa_float_round_mode_32 0
		.amdhsa_float_round_mode_16_64 0
		.amdhsa_float_denorm_mode_32 3
		.amdhsa_float_denorm_mode_16_64 3
		.amdhsa_dx10_clamp 1
		.amdhsa_ieee_mode 1
		.amdhsa_fp16_overflow 0
		.amdhsa_tg_split 0
		.amdhsa_exception_fp_ieee_invalid_op 0
		.amdhsa_exception_fp_denorm_src 0
		.amdhsa_exception_fp_ieee_div_zero 0
		.amdhsa_exception_fp_ieee_overflow 0
		.amdhsa_exception_fp_ieee_underflow 0
		.amdhsa_exception_fp_ieee_inexact 0
		.amdhsa_exception_int_div_zero 0
	.end_amdhsa_kernel
	.section	.text._ZN7rocprim17ROCPRIM_400000_NS6detail17trampoline_kernelINS0_13select_configILj256ELj13ELNS0_17block_load_methodE3ELS4_3ELS4_3ELNS0_20block_scan_algorithmE0ELj4294967295EEENS1_25partition_config_selectorILNS1_17partition_subalgoE3EjNS0_10empty_typeEbEEZZNS1_14partition_implILS8_3ELb0ES6_jNS0_17counting_iteratorIjlEEPS9_SE_NS0_5tupleIJPjSE_EEENSF_IJSE_SE_EEES9_SG_JZNS1_25segmented_radix_sort_implINS0_14default_configELb0EPKbPbPKlPlN2at6native12_GLOBAL__N_18offset_tEEE10hipError_tPvRmT1_PNSt15iterator_traitsISY_E10value_typeET2_T3_PNSZ_IS14_E10value_typeET4_jRbjT5_S1A_jjP12ihipStream_tbEUljE_EEESV_SW_SX_S14_S18_S1A_T6_T7_T9_mT8_S1C_bDpT10_ENKUlT_T0_E_clISt17integral_constantIbLb1EES1P_EEDaS1K_S1L_EUlS1K_E_NS1_11comp_targetILNS1_3genE8ELNS1_11target_archE1030ELNS1_3gpuE2ELNS1_3repE0EEENS1_30default_config_static_selectorELNS0_4arch9wavefront6targetE1EEEvSY_,"axG",@progbits,_ZN7rocprim17ROCPRIM_400000_NS6detail17trampoline_kernelINS0_13select_configILj256ELj13ELNS0_17block_load_methodE3ELS4_3ELS4_3ELNS0_20block_scan_algorithmE0ELj4294967295EEENS1_25partition_config_selectorILNS1_17partition_subalgoE3EjNS0_10empty_typeEbEEZZNS1_14partition_implILS8_3ELb0ES6_jNS0_17counting_iteratorIjlEEPS9_SE_NS0_5tupleIJPjSE_EEENSF_IJSE_SE_EEES9_SG_JZNS1_25segmented_radix_sort_implINS0_14default_configELb0EPKbPbPKlPlN2at6native12_GLOBAL__N_18offset_tEEE10hipError_tPvRmT1_PNSt15iterator_traitsISY_E10value_typeET2_T3_PNSZ_IS14_E10value_typeET4_jRbjT5_S1A_jjP12ihipStream_tbEUljE_EEESV_SW_SX_S14_S18_S1A_T6_T7_T9_mT8_S1C_bDpT10_ENKUlT_T0_E_clISt17integral_constantIbLb1EES1P_EEDaS1K_S1L_EUlS1K_E_NS1_11comp_targetILNS1_3genE8ELNS1_11target_archE1030ELNS1_3gpuE2ELNS1_3repE0EEENS1_30default_config_static_selectorELNS0_4arch9wavefront6targetE1EEEvSY_,comdat
.Lfunc_end1616:
	.size	_ZN7rocprim17ROCPRIM_400000_NS6detail17trampoline_kernelINS0_13select_configILj256ELj13ELNS0_17block_load_methodE3ELS4_3ELS4_3ELNS0_20block_scan_algorithmE0ELj4294967295EEENS1_25partition_config_selectorILNS1_17partition_subalgoE3EjNS0_10empty_typeEbEEZZNS1_14partition_implILS8_3ELb0ES6_jNS0_17counting_iteratorIjlEEPS9_SE_NS0_5tupleIJPjSE_EEENSF_IJSE_SE_EEES9_SG_JZNS1_25segmented_radix_sort_implINS0_14default_configELb0EPKbPbPKlPlN2at6native12_GLOBAL__N_18offset_tEEE10hipError_tPvRmT1_PNSt15iterator_traitsISY_E10value_typeET2_T3_PNSZ_IS14_E10value_typeET4_jRbjT5_S1A_jjP12ihipStream_tbEUljE_EEESV_SW_SX_S14_S18_S1A_T6_T7_T9_mT8_S1C_bDpT10_ENKUlT_T0_E_clISt17integral_constantIbLb1EES1P_EEDaS1K_S1L_EUlS1K_E_NS1_11comp_targetILNS1_3genE8ELNS1_11target_archE1030ELNS1_3gpuE2ELNS1_3repE0EEENS1_30default_config_static_selectorELNS0_4arch9wavefront6targetE1EEEvSY_, .Lfunc_end1616-_ZN7rocprim17ROCPRIM_400000_NS6detail17trampoline_kernelINS0_13select_configILj256ELj13ELNS0_17block_load_methodE3ELS4_3ELS4_3ELNS0_20block_scan_algorithmE0ELj4294967295EEENS1_25partition_config_selectorILNS1_17partition_subalgoE3EjNS0_10empty_typeEbEEZZNS1_14partition_implILS8_3ELb0ES6_jNS0_17counting_iteratorIjlEEPS9_SE_NS0_5tupleIJPjSE_EEENSF_IJSE_SE_EEES9_SG_JZNS1_25segmented_radix_sort_implINS0_14default_configELb0EPKbPbPKlPlN2at6native12_GLOBAL__N_18offset_tEEE10hipError_tPvRmT1_PNSt15iterator_traitsISY_E10value_typeET2_T3_PNSZ_IS14_E10value_typeET4_jRbjT5_S1A_jjP12ihipStream_tbEUljE_EEESV_SW_SX_S14_S18_S1A_T6_T7_T9_mT8_S1C_bDpT10_ENKUlT_T0_E_clISt17integral_constantIbLb1EES1P_EEDaS1K_S1L_EUlS1K_E_NS1_11comp_targetILNS1_3genE8ELNS1_11target_archE1030ELNS1_3gpuE2ELNS1_3repE0EEENS1_30default_config_static_selectorELNS0_4arch9wavefront6targetE1EEEvSY_
                                        ; -- End function
	.section	.AMDGPU.csdata,"",@progbits
; Kernel info:
; codeLenInByte = 0
; NumSgprs: 4
; NumVgprs: 0
; NumAgprs: 0
; TotalNumVgprs: 0
; ScratchSize: 0
; MemoryBound: 0
; FloatMode: 240
; IeeeMode: 1
; LDSByteSize: 0 bytes/workgroup (compile time only)
; SGPRBlocks: 0
; VGPRBlocks: 0
; NumSGPRsForWavesPerEU: 4
; NumVGPRsForWavesPerEU: 1
; AccumOffset: 4
; Occupancy: 8
; WaveLimiterHint : 0
; COMPUTE_PGM_RSRC2:SCRATCH_EN: 0
; COMPUTE_PGM_RSRC2:USER_SGPR: 6
; COMPUTE_PGM_RSRC2:TRAP_HANDLER: 0
; COMPUTE_PGM_RSRC2:TGID_X_EN: 1
; COMPUTE_PGM_RSRC2:TGID_Y_EN: 0
; COMPUTE_PGM_RSRC2:TGID_Z_EN: 0
; COMPUTE_PGM_RSRC2:TIDIG_COMP_CNT: 0
; COMPUTE_PGM_RSRC3_GFX90A:ACCUM_OFFSET: 0
; COMPUTE_PGM_RSRC3_GFX90A:TG_SPLIT: 0
	.section	.text._ZN7rocprim17ROCPRIM_400000_NS6detail17trampoline_kernelINS0_13select_configILj256ELj13ELNS0_17block_load_methodE3ELS4_3ELS4_3ELNS0_20block_scan_algorithmE0ELj4294967295EEENS1_25partition_config_selectorILNS1_17partition_subalgoE3EjNS0_10empty_typeEbEEZZNS1_14partition_implILS8_3ELb0ES6_jNS0_17counting_iteratorIjlEEPS9_SE_NS0_5tupleIJPjSE_EEENSF_IJSE_SE_EEES9_SG_JZNS1_25segmented_radix_sort_implINS0_14default_configELb0EPKbPbPKlPlN2at6native12_GLOBAL__N_18offset_tEEE10hipError_tPvRmT1_PNSt15iterator_traitsISY_E10value_typeET2_T3_PNSZ_IS14_E10value_typeET4_jRbjT5_S1A_jjP12ihipStream_tbEUljE_EEESV_SW_SX_S14_S18_S1A_T6_T7_T9_mT8_S1C_bDpT10_ENKUlT_T0_E_clISt17integral_constantIbLb1EES1O_IbLb0EEEEDaS1K_S1L_EUlS1K_E_NS1_11comp_targetILNS1_3genE0ELNS1_11target_archE4294967295ELNS1_3gpuE0ELNS1_3repE0EEENS1_30default_config_static_selectorELNS0_4arch9wavefront6targetE1EEEvSY_,"axG",@progbits,_ZN7rocprim17ROCPRIM_400000_NS6detail17trampoline_kernelINS0_13select_configILj256ELj13ELNS0_17block_load_methodE3ELS4_3ELS4_3ELNS0_20block_scan_algorithmE0ELj4294967295EEENS1_25partition_config_selectorILNS1_17partition_subalgoE3EjNS0_10empty_typeEbEEZZNS1_14partition_implILS8_3ELb0ES6_jNS0_17counting_iteratorIjlEEPS9_SE_NS0_5tupleIJPjSE_EEENSF_IJSE_SE_EEES9_SG_JZNS1_25segmented_radix_sort_implINS0_14default_configELb0EPKbPbPKlPlN2at6native12_GLOBAL__N_18offset_tEEE10hipError_tPvRmT1_PNSt15iterator_traitsISY_E10value_typeET2_T3_PNSZ_IS14_E10value_typeET4_jRbjT5_S1A_jjP12ihipStream_tbEUljE_EEESV_SW_SX_S14_S18_S1A_T6_T7_T9_mT8_S1C_bDpT10_ENKUlT_T0_E_clISt17integral_constantIbLb1EES1O_IbLb0EEEEDaS1K_S1L_EUlS1K_E_NS1_11comp_targetILNS1_3genE0ELNS1_11target_archE4294967295ELNS1_3gpuE0ELNS1_3repE0EEENS1_30default_config_static_selectorELNS0_4arch9wavefront6targetE1EEEvSY_,comdat
	.globl	_ZN7rocprim17ROCPRIM_400000_NS6detail17trampoline_kernelINS0_13select_configILj256ELj13ELNS0_17block_load_methodE3ELS4_3ELS4_3ELNS0_20block_scan_algorithmE0ELj4294967295EEENS1_25partition_config_selectorILNS1_17partition_subalgoE3EjNS0_10empty_typeEbEEZZNS1_14partition_implILS8_3ELb0ES6_jNS0_17counting_iteratorIjlEEPS9_SE_NS0_5tupleIJPjSE_EEENSF_IJSE_SE_EEES9_SG_JZNS1_25segmented_radix_sort_implINS0_14default_configELb0EPKbPbPKlPlN2at6native12_GLOBAL__N_18offset_tEEE10hipError_tPvRmT1_PNSt15iterator_traitsISY_E10value_typeET2_T3_PNSZ_IS14_E10value_typeET4_jRbjT5_S1A_jjP12ihipStream_tbEUljE_EEESV_SW_SX_S14_S18_S1A_T6_T7_T9_mT8_S1C_bDpT10_ENKUlT_T0_E_clISt17integral_constantIbLb1EES1O_IbLb0EEEEDaS1K_S1L_EUlS1K_E_NS1_11comp_targetILNS1_3genE0ELNS1_11target_archE4294967295ELNS1_3gpuE0ELNS1_3repE0EEENS1_30default_config_static_selectorELNS0_4arch9wavefront6targetE1EEEvSY_ ; -- Begin function _ZN7rocprim17ROCPRIM_400000_NS6detail17trampoline_kernelINS0_13select_configILj256ELj13ELNS0_17block_load_methodE3ELS4_3ELS4_3ELNS0_20block_scan_algorithmE0ELj4294967295EEENS1_25partition_config_selectorILNS1_17partition_subalgoE3EjNS0_10empty_typeEbEEZZNS1_14partition_implILS8_3ELb0ES6_jNS0_17counting_iteratorIjlEEPS9_SE_NS0_5tupleIJPjSE_EEENSF_IJSE_SE_EEES9_SG_JZNS1_25segmented_radix_sort_implINS0_14default_configELb0EPKbPbPKlPlN2at6native12_GLOBAL__N_18offset_tEEE10hipError_tPvRmT1_PNSt15iterator_traitsISY_E10value_typeET2_T3_PNSZ_IS14_E10value_typeET4_jRbjT5_S1A_jjP12ihipStream_tbEUljE_EEESV_SW_SX_S14_S18_S1A_T6_T7_T9_mT8_S1C_bDpT10_ENKUlT_T0_E_clISt17integral_constantIbLb1EES1O_IbLb0EEEEDaS1K_S1L_EUlS1K_E_NS1_11comp_targetILNS1_3genE0ELNS1_11target_archE4294967295ELNS1_3gpuE0ELNS1_3repE0EEENS1_30default_config_static_selectorELNS0_4arch9wavefront6targetE1EEEvSY_
	.p2align	8
	.type	_ZN7rocprim17ROCPRIM_400000_NS6detail17trampoline_kernelINS0_13select_configILj256ELj13ELNS0_17block_load_methodE3ELS4_3ELS4_3ELNS0_20block_scan_algorithmE0ELj4294967295EEENS1_25partition_config_selectorILNS1_17partition_subalgoE3EjNS0_10empty_typeEbEEZZNS1_14partition_implILS8_3ELb0ES6_jNS0_17counting_iteratorIjlEEPS9_SE_NS0_5tupleIJPjSE_EEENSF_IJSE_SE_EEES9_SG_JZNS1_25segmented_radix_sort_implINS0_14default_configELb0EPKbPbPKlPlN2at6native12_GLOBAL__N_18offset_tEEE10hipError_tPvRmT1_PNSt15iterator_traitsISY_E10value_typeET2_T3_PNSZ_IS14_E10value_typeET4_jRbjT5_S1A_jjP12ihipStream_tbEUljE_EEESV_SW_SX_S14_S18_S1A_T6_T7_T9_mT8_S1C_bDpT10_ENKUlT_T0_E_clISt17integral_constantIbLb1EES1O_IbLb0EEEEDaS1K_S1L_EUlS1K_E_NS1_11comp_targetILNS1_3genE0ELNS1_11target_archE4294967295ELNS1_3gpuE0ELNS1_3repE0EEENS1_30default_config_static_selectorELNS0_4arch9wavefront6targetE1EEEvSY_,@function
_ZN7rocprim17ROCPRIM_400000_NS6detail17trampoline_kernelINS0_13select_configILj256ELj13ELNS0_17block_load_methodE3ELS4_3ELS4_3ELNS0_20block_scan_algorithmE0ELj4294967295EEENS1_25partition_config_selectorILNS1_17partition_subalgoE3EjNS0_10empty_typeEbEEZZNS1_14partition_implILS8_3ELb0ES6_jNS0_17counting_iteratorIjlEEPS9_SE_NS0_5tupleIJPjSE_EEENSF_IJSE_SE_EEES9_SG_JZNS1_25segmented_radix_sort_implINS0_14default_configELb0EPKbPbPKlPlN2at6native12_GLOBAL__N_18offset_tEEE10hipError_tPvRmT1_PNSt15iterator_traitsISY_E10value_typeET2_T3_PNSZ_IS14_E10value_typeET4_jRbjT5_S1A_jjP12ihipStream_tbEUljE_EEESV_SW_SX_S14_S18_S1A_T6_T7_T9_mT8_S1C_bDpT10_ENKUlT_T0_E_clISt17integral_constantIbLb1EES1O_IbLb0EEEEDaS1K_S1L_EUlS1K_E_NS1_11comp_targetILNS1_3genE0ELNS1_11target_archE4294967295ELNS1_3gpuE0ELNS1_3repE0EEENS1_30default_config_static_selectorELNS0_4arch9wavefront6targetE1EEEvSY_: ; @_ZN7rocprim17ROCPRIM_400000_NS6detail17trampoline_kernelINS0_13select_configILj256ELj13ELNS0_17block_load_methodE3ELS4_3ELS4_3ELNS0_20block_scan_algorithmE0ELj4294967295EEENS1_25partition_config_selectorILNS1_17partition_subalgoE3EjNS0_10empty_typeEbEEZZNS1_14partition_implILS8_3ELb0ES6_jNS0_17counting_iteratorIjlEEPS9_SE_NS0_5tupleIJPjSE_EEENSF_IJSE_SE_EEES9_SG_JZNS1_25segmented_radix_sort_implINS0_14default_configELb0EPKbPbPKlPlN2at6native12_GLOBAL__N_18offset_tEEE10hipError_tPvRmT1_PNSt15iterator_traitsISY_E10value_typeET2_T3_PNSZ_IS14_E10value_typeET4_jRbjT5_S1A_jjP12ihipStream_tbEUljE_EEESV_SW_SX_S14_S18_S1A_T6_T7_T9_mT8_S1C_bDpT10_ENKUlT_T0_E_clISt17integral_constantIbLb1EES1O_IbLb0EEEEDaS1K_S1L_EUlS1K_E_NS1_11comp_targetILNS1_3genE0ELNS1_11target_archE4294967295ELNS1_3gpuE0ELNS1_3repE0EEENS1_30default_config_static_selectorELNS0_4arch9wavefront6targetE1EEEvSY_
; %bb.0:
	.section	.rodata,"a",@progbits
	.p2align	6, 0x0
	.amdhsa_kernel _ZN7rocprim17ROCPRIM_400000_NS6detail17trampoline_kernelINS0_13select_configILj256ELj13ELNS0_17block_load_methodE3ELS4_3ELS4_3ELNS0_20block_scan_algorithmE0ELj4294967295EEENS1_25partition_config_selectorILNS1_17partition_subalgoE3EjNS0_10empty_typeEbEEZZNS1_14partition_implILS8_3ELb0ES6_jNS0_17counting_iteratorIjlEEPS9_SE_NS0_5tupleIJPjSE_EEENSF_IJSE_SE_EEES9_SG_JZNS1_25segmented_radix_sort_implINS0_14default_configELb0EPKbPbPKlPlN2at6native12_GLOBAL__N_18offset_tEEE10hipError_tPvRmT1_PNSt15iterator_traitsISY_E10value_typeET2_T3_PNSZ_IS14_E10value_typeET4_jRbjT5_S1A_jjP12ihipStream_tbEUljE_EEESV_SW_SX_S14_S18_S1A_T6_T7_T9_mT8_S1C_bDpT10_ENKUlT_T0_E_clISt17integral_constantIbLb1EES1O_IbLb0EEEEDaS1K_S1L_EUlS1K_E_NS1_11comp_targetILNS1_3genE0ELNS1_11target_archE4294967295ELNS1_3gpuE0ELNS1_3repE0EEENS1_30default_config_static_selectorELNS0_4arch9wavefront6targetE1EEEvSY_
		.amdhsa_group_segment_fixed_size 0
		.amdhsa_private_segment_fixed_size 0
		.amdhsa_kernarg_size 144
		.amdhsa_user_sgpr_count 6
		.amdhsa_user_sgpr_private_segment_buffer 1
		.amdhsa_user_sgpr_dispatch_ptr 0
		.amdhsa_user_sgpr_queue_ptr 0
		.amdhsa_user_sgpr_kernarg_segment_ptr 1
		.amdhsa_user_sgpr_dispatch_id 0
		.amdhsa_user_sgpr_flat_scratch_init 0
		.amdhsa_user_sgpr_kernarg_preload_length 0
		.amdhsa_user_sgpr_kernarg_preload_offset 0
		.amdhsa_user_sgpr_private_segment_size 0
		.amdhsa_uses_dynamic_stack 0
		.amdhsa_system_sgpr_private_segment_wavefront_offset 0
		.amdhsa_system_sgpr_workgroup_id_x 1
		.amdhsa_system_sgpr_workgroup_id_y 0
		.amdhsa_system_sgpr_workgroup_id_z 0
		.amdhsa_system_sgpr_workgroup_info 0
		.amdhsa_system_vgpr_workitem_id 0
		.amdhsa_next_free_vgpr 1
		.amdhsa_next_free_sgpr 0
		.amdhsa_accum_offset 4
		.amdhsa_reserve_vcc 0
		.amdhsa_reserve_flat_scratch 0
		.amdhsa_float_round_mode_32 0
		.amdhsa_float_round_mode_16_64 0
		.amdhsa_float_denorm_mode_32 3
		.amdhsa_float_denorm_mode_16_64 3
		.amdhsa_dx10_clamp 1
		.amdhsa_ieee_mode 1
		.amdhsa_fp16_overflow 0
		.amdhsa_tg_split 0
		.amdhsa_exception_fp_ieee_invalid_op 0
		.amdhsa_exception_fp_denorm_src 0
		.amdhsa_exception_fp_ieee_div_zero 0
		.amdhsa_exception_fp_ieee_overflow 0
		.amdhsa_exception_fp_ieee_underflow 0
		.amdhsa_exception_fp_ieee_inexact 0
		.amdhsa_exception_int_div_zero 0
	.end_amdhsa_kernel
	.section	.text._ZN7rocprim17ROCPRIM_400000_NS6detail17trampoline_kernelINS0_13select_configILj256ELj13ELNS0_17block_load_methodE3ELS4_3ELS4_3ELNS0_20block_scan_algorithmE0ELj4294967295EEENS1_25partition_config_selectorILNS1_17partition_subalgoE3EjNS0_10empty_typeEbEEZZNS1_14partition_implILS8_3ELb0ES6_jNS0_17counting_iteratorIjlEEPS9_SE_NS0_5tupleIJPjSE_EEENSF_IJSE_SE_EEES9_SG_JZNS1_25segmented_radix_sort_implINS0_14default_configELb0EPKbPbPKlPlN2at6native12_GLOBAL__N_18offset_tEEE10hipError_tPvRmT1_PNSt15iterator_traitsISY_E10value_typeET2_T3_PNSZ_IS14_E10value_typeET4_jRbjT5_S1A_jjP12ihipStream_tbEUljE_EEESV_SW_SX_S14_S18_S1A_T6_T7_T9_mT8_S1C_bDpT10_ENKUlT_T0_E_clISt17integral_constantIbLb1EES1O_IbLb0EEEEDaS1K_S1L_EUlS1K_E_NS1_11comp_targetILNS1_3genE0ELNS1_11target_archE4294967295ELNS1_3gpuE0ELNS1_3repE0EEENS1_30default_config_static_selectorELNS0_4arch9wavefront6targetE1EEEvSY_,"axG",@progbits,_ZN7rocprim17ROCPRIM_400000_NS6detail17trampoline_kernelINS0_13select_configILj256ELj13ELNS0_17block_load_methodE3ELS4_3ELS4_3ELNS0_20block_scan_algorithmE0ELj4294967295EEENS1_25partition_config_selectorILNS1_17partition_subalgoE3EjNS0_10empty_typeEbEEZZNS1_14partition_implILS8_3ELb0ES6_jNS0_17counting_iteratorIjlEEPS9_SE_NS0_5tupleIJPjSE_EEENSF_IJSE_SE_EEES9_SG_JZNS1_25segmented_radix_sort_implINS0_14default_configELb0EPKbPbPKlPlN2at6native12_GLOBAL__N_18offset_tEEE10hipError_tPvRmT1_PNSt15iterator_traitsISY_E10value_typeET2_T3_PNSZ_IS14_E10value_typeET4_jRbjT5_S1A_jjP12ihipStream_tbEUljE_EEESV_SW_SX_S14_S18_S1A_T6_T7_T9_mT8_S1C_bDpT10_ENKUlT_T0_E_clISt17integral_constantIbLb1EES1O_IbLb0EEEEDaS1K_S1L_EUlS1K_E_NS1_11comp_targetILNS1_3genE0ELNS1_11target_archE4294967295ELNS1_3gpuE0ELNS1_3repE0EEENS1_30default_config_static_selectorELNS0_4arch9wavefront6targetE1EEEvSY_,comdat
.Lfunc_end1617:
	.size	_ZN7rocprim17ROCPRIM_400000_NS6detail17trampoline_kernelINS0_13select_configILj256ELj13ELNS0_17block_load_methodE3ELS4_3ELS4_3ELNS0_20block_scan_algorithmE0ELj4294967295EEENS1_25partition_config_selectorILNS1_17partition_subalgoE3EjNS0_10empty_typeEbEEZZNS1_14partition_implILS8_3ELb0ES6_jNS0_17counting_iteratorIjlEEPS9_SE_NS0_5tupleIJPjSE_EEENSF_IJSE_SE_EEES9_SG_JZNS1_25segmented_radix_sort_implINS0_14default_configELb0EPKbPbPKlPlN2at6native12_GLOBAL__N_18offset_tEEE10hipError_tPvRmT1_PNSt15iterator_traitsISY_E10value_typeET2_T3_PNSZ_IS14_E10value_typeET4_jRbjT5_S1A_jjP12ihipStream_tbEUljE_EEESV_SW_SX_S14_S18_S1A_T6_T7_T9_mT8_S1C_bDpT10_ENKUlT_T0_E_clISt17integral_constantIbLb1EES1O_IbLb0EEEEDaS1K_S1L_EUlS1K_E_NS1_11comp_targetILNS1_3genE0ELNS1_11target_archE4294967295ELNS1_3gpuE0ELNS1_3repE0EEENS1_30default_config_static_selectorELNS0_4arch9wavefront6targetE1EEEvSY_, .Lfunc_end1617-_ZN7rocprim17ROCPRIM_400000_NS6detail17trampoline_kernelINS0_13select_configILj256ELj13ELNS0_17block_load_methodE3ELS4_3ELS4_3ELNS0_20block_scan_algorithmE0ELj4294967295EEENS1_25partition_config_selectorILNS1_17partition_subalgoE3EjNS0_10empty_typeEbEEZZNS1_14partition_implILS8_3ELb0ES6_jNS0_17counting_iteratorIjlEEPS9_SE_NS0_5tupleIJPjSE_EEENSF_IJSE_SE_EEES9_SG_JZNS1_25segmented_radix_sort_implINS0_14default_configELb0EPKbPbPKlPlN2at6native12_GLOBAL__N_18offset_tEEE10hipError_tPvRmT1_PNSt15iterator_traitsISY_E10value_typeET2_T3_PNSZ_IS14_E10value_typeET4_jRbjT5_S1A_jjP12ihipStream_tbEUljE_EEESV_SW_SX_S14_S18_S1A_T6_T7_T9_mT8_S1C_bDpT10_ENKUlT_T0_E_clISt17integral_constantIbLb1EES1O_IbLb0EEEEDaS1K_S1L_EUlS1K_E_NS1_11comp_targetILNS1_3genE0ELNS1_11target_archE4294967295ELNS1_3gpuE0ELNS1_3repE0EEENS1_30default_config_static_selectorELNS0_4arch9wavefront6targetE1EEEvSY_
                                        ; -- End function
	.section	.AMDGPU.csdata,"",@progbits
; Kernel info:
; codeLenInByte = 0
; NumSgprs: 4
; NumVgprs: 0
; NumAgprs: 0
; TotalNumVgprs: 0
; ScratchSize: 0
; MemoryBound: 0
; FloatMode: 240
; IeeeMode: 1
; LDSByteSize: 0 bytes/workgroup (compile time only)
; SGPRBlocks: 0
; VGPRBlocks: 0
; NumSGPRsForWavesPerEU: 4
; NumVGPRsForWavesPerEU: 1
; AccumOffset: 4
; Occupancy: 8
; WaveLimiterHint : 0
; COMPUTE_PGM_RSRC2:SCRATCH_EN: 0
; COMPUTE_PGM_RSRC2:USER_SGPR: 6
; COMPUTE_PGM_RSRC2:TRAP_HANDLER: 0
; COMPUTE_PGM_RSRC2:TGID_X_EN: 1
; COMPUTE_PGM_RSRC2:TGID_Y_EN: 0
; COMPUTE_PGM_RSRC2:TGID_Z_EN: 0
; COMPUTE_PGM_RSRC2:TIDIG_COMP_CNT: 0
; COMPUTE_PGM_RSRC3_GFX90A:ACCUM_OFFSET: 0
; COMPUTE_PGM_RSRC3_GFX90A:TG_SPLIT: 0
	.section	.text._ZN7rocprim17ROCPRIM_400000_NS6detail17trampoline_kernelINS0_13select_configILj256ELj13ELNS0_17block_load_methodE3ELS4_3ELS4_3ELNS0_20block_scan_algorithmE0ELj4294967295EEENS1_25partition_config_selectorILNS1_17partition_subalgoE3EjNS0_10empty_typeEbEEZZNS1_14partition_implILS8_3ELb0ES6_jNS0_17counting_iteratorIjlEEPS9_SE_NS0_5tupleIJPjSE_EEENSF_IJSE_SE_EEES9_SG_JZNS1_25segmented_radix_sort_implINS0_14default_configELb0EPKbPbPKlPlN2at6native12_GLOBAL__N_18offset_tEEE10hipError_tPvRmT1_PNSt15iterator_traitsISY_E10value_typeET2_T3_PNSZ_IS14_E10value_typeET4_jRbjT5_S1A_jjP12ihipStream_tbEUljE_EEESV_SW_SX_S14_S18_S1A_T6_T7_T9_mT8_S1C_bDpT10_ENKUlT_T0_E_clISt17integral_constantIbLb1EES1O_IbLb0EEEEDaS1K_S1L_EUlS1K_E_NS1_11comp_targetILNS1_3genE5ELNS1_11target_archE942ELNS1_3gpuE9ELNS1_3repE0EEENS1_30default_config_static_selectorELNS0_4arch9wavefront6targetE1EEEvSY_,"axG",@progbits,_ZN7rocprim17ROCPRIM_400000_NS6detail17trampoline_kernelINS0_13select_configILj256ELj13ELNS0_17block_load_methodE3ELS4_3ELS4_3ELNS0_20block_scan_algorithmE0ELj4294967295EEENS1_25partition_config_selectorILNS1_17partition_subalgoE3EjNS0_10empty_typeEbEEZZNS1_14partition_implILS8_3ELb0ES6_jNS0_17counting_iteratorIjlEEPS9_SE_NS0_5tupleIJPjSE_EEENSF_IJSE_SE_EEES9_SG_JZNS1_25segmented_radix_sort_implINS0_14default_configELb0EPKbPbPKlPlN2at6native12_GLOBAL__N_18offset_tEEE10hipError_tPvRmT1_PNSt15iterator_traitsISY_E10value_typeET2_T3_PNSZ_IS14_E10value_typeET4_jRbjT5_S1A_jjP12ihipStream_tbEUljE_EEESV_SW_SX_S14_S18_S1A_T6_T7_T9_mT8_S1C_bDpT10_ENKUlT_T0_E_clISt17integral_constantIbLb1EES1O_IbLb0EEEEDaS1K_S1L_EUlS1K_E_NS1_11comp_targetILNS1_3genE5ELNS1_11target_archE942ELNS1_3gpuE9ELNS1_3repE0EEENS1_30default_config_static_selectorELNS0_4arch9wavefront6targetE1EEEvSY_,comdat
	.globl	_ZN7rocprim17ROCPRIM_400000_NS6detail17trampoline_kernelINS0_13select_configILj256ELj13ELNS0_17block_load_methodE3ELS4_3ELS4_3ELNS0_20block_scan_algorithmE0ELj4294967295EEENS1_25partition_config_selectorILNS1_17partition_subalgoE3EjNS0_10empty_typeEbEEZZNS1_14partition_implILS8_3ELb0ES6_jNS0_17counting_iteratorIjlEEPS9_SE_NS0_5tupleIJPjSE_EEENSF_IJSE_SE_EEES9_SG_JZNS1_25segmented_radix_sort_implINS0_14default_configELb0EPKbPbPKlPlN2at6native12_GLOBAL__N_18offset_tEEE10hipError_tPvRmT1_PNSt15iterator_traitsISY_E10value_typeET2_T3_PNSZ_IS14_E10value_typeET4_jRbjT5_S1A_jjP12ihipStream_tbEUljE_EEESV_SW_SX_S14_S18_S1A_T6_T7_T9_mT8_S1C_bDpT10_ENKUlT_T0_E_clISt17integral_constantIbLb1EES1O_IbLb0EEEEDaS1K_S1L_EUlS1K_E_NS1_11comp_targetILNS1_3genE5ELNS1_11target_archE942ELNS1_3gpuE9ELNS1_3repE0EEENS1_30default_config_static_selectorELNS0_4arch9wavefront6targetE1EEEvSY_ ; -- Begin function _ZN7rocprim17ROCPRIM_400000_NS6detail17trampoline_kernelINS0_13select_configILj256ELj13ELNS0_17block_load_methodE3ELS4_3ELS4_3ELNS0_20block_scan_algorithmE0ELj4294967295EEENS1_25partition_config_selectorILNS1_17partition_subalgoE3EjNS0_10empty_typeEbEEZZNS1_14partition_implILS8_3ELb0ES6_jNS0_17counting_iteratorIjlEEPS9_SE_NS0_5tupleIJPjSE_EEENSF_IJSE_SE_EEES9_SG_JZNS1_25segmented_radix_sort_implINS0_14default_configELb0EPKbPbPKlPlN2at6native12_GLOBAL__N_18offset_tEEE10hipError_tPvRmT1_PNSt15iterator_traitsISY_E10value_typeET2_T3_PNSZ_IS14_E10value_typeET4_jRbjT5_S1A_jjP12ihipStream_tbEUljE_EEESV_SW_SX_S14_S18_S1A_T6_T7_T9_mT8_S1C_bDpT10_ENKUlT_T0_E_clISt17integral_constantIbLb1EES1O_IbLb0EEEEDaS1K_S1L_EUlS1K_E_NS1_11comp_targetILNS1_3genE5ELNS1_11target_archE942ELNS1_3gpuE9ELNS1_3repE0EEENS1_30default_config_static_selectorELNS0_4arch9wavefront6targetE1EEEvSY_
	.p2align	8
	.type	_ZN7rocprim17ROCPRIM_400000_NS6detail17trampoline_kernelINS0_13select_configILj256ELj13ELNS0_17block_load_methodE3ELS4_3ELS4_3ELNS0_20block_scan_algorithmE0ELj4294967295EEENS1_25partition_config_selectorILNS1_17partition_subalgoE3EjNS0_10empty_typeEbEEZZNS1_14partition_implILS8_3ELb0ES6_jNS0_17counting_iteratorIjlEEPS9_SE_NS0_5tupleIJPjSE_EEENSF_IJSE_SE_EEES9_SG_JZNS1_25segmented_radix_sort_implINS0_14default_configELb0EPKbPbPKlPlN2at6native12_GLOBAL__N_18offset_tEEE10hipError_tPvRmT1_PNSt15iterator_traitsISY_E10value_typeET2_T3_PNSZ_IS14_E10value_typeET4_jRbjT5_S1A_jjP12ihipStream_tbEUljE_EEESV_SW_SX_S14_S18_S1A_T6_T7_T9_mT8_S1C_bDpT10_ENKUlT_T0_E_clISt17integral_constantIbLb1EES1O_IbLb0EEEEDaS1K_S1L_EUlS1K_E_NS1_11comp_targetILNS1_3genE5ELNS1_11target_archE942ELNS1_3gpuE9ELNS1_3repE0EEENS1_30default_config_static_selectorELNS0_4arch9wavefront6targetE1EEEvSY_,@function
_ZN7rocprim17ROCPRIM_400000_NS6detail17trampoline_kernelINS0_13select_configILj256ELj13ELNS0_17block_load_methodE3ELS4_3ELS4_3ELNS0_20block_scan_algorithmE0ELj4294967295EEENS1_25partition_config_selectorILNS1_17partition_subalgoE3EjNS0_10empty_typeEbEEZZNS1_14partition_implILS8_3ELb0ES6_jNS0_17counting_iteratorIjlEEPS9_SE_NS0_5tupleIJPjSE_EEENSF_IJSE_SE_EEES9_SG_JZNS1_25segmented_radix_sort_implINS0_14default_configELb0EPKbPbPKlPlN2at6native12_GLOBAL__N_18offset_tEEE10hipError_tPvRmT1_PNSt15iterator_traitsISY_E10value_typeET2_T3_PNSZ_IS14_E10value_typeET4_jRbjT5_S1A_jjP12ihipStream_tbEUljE_EEESV_SW_SX_S14_S18_S1A_T6_T7_T9_mT8_S1C_bDpT10_ENKUlT_T0_E_clISt17integral_constantIbLb1EES1O_IbLb0EEEEDaS1K_S1L_EUlS1K_E_NS1_11comp_targetILNS1_3genE5ELNS1_11target_archE942ELNS1_3gpuE9ELNS1_3repE0EEENS1_30default_config_static_selectorELNS0_4arch9wavefront6targetE1EEEvSY_: ; @_ZN7rocprim17ROCPRIM_400000_NS6detail17trampoline_kernelINS0_13select_configILj256ELj13ELNS0_17block_load_methodE3ELS4_3ELS4_3ELNS0_20block_scan_algorithmE0ELj4294967295EEENS1_25partition_config_selectorILNS1_17partition_subalgoE3EjNS0_10empty_typeEbEEZZNS1_14partition_implILS8_3ELb0ES6_jNS0_17counting_iteratorIjlEEPS9_SE_NS0_5tupleIJPjSE_EEENSF_IJSE_SE_EEES9_SG_JZNS1_25segmented_radix_sort_implINS0_14default_configELb0EPKbPbPKlPlN2at6native12_GLOBAL__N_18offset_tEEE10hipError_tPvRmT1_PNSt15iterator_traitsISY_E10value_typeET2_T3_PNSZ_IS14_E10value_typeET4_jRbjT5_S1A_jjP12ihipStream_tbEUljE_EEESV_SW_SX_S14_S18_S1A_T6_T7_T9_mT8_S1C_bDpT10_ENKUlT_T0_E_clISt17integral_constantIbLb1EES1O_IbLb0EEEEDaS1K_S1L_EUlS1K_E_NS1_11comp_targetILNS1_3genE5ELNS1_11target_archE942ELNS1_3gpuE9ELNS1_3repE0EEENS1_30default_config_static_selectorELNS0_4arch9wavefront6targetE1EEEvSY_
; %bb.0:
	.section	.rodata,"a",@progbits
	.p2align	6, 0x0
	.amdhsa_kernel _ZN7rocprim17ROCPRIM_400000_NS6detail17trampoline_kernelINS0_13select_configILj256ELj13ELNS0_17block_load_methodE3ELS4_3ELS4_3ELNS0_20block_scan_algorithmE0ELj4294967295EEENS1_25partition_config_selectorILNS1_17partition_subalgoE3EjNS0_10empty_typeEbEEZZNS1_14partition_implILS8_3ELb0ES6_jNS0_17counting_iteratorIjlEEPS9_SE_NS0_5tupleIJPjSE_EEENSF_IJSE_SE_EEES9_SG_JZNS1_25segmented_radix_sort_implINS0_14default_configELb0EPKbPbPKlPlN2at6native12_GLOBAL__N_18offset_tEEE10hipError_tPvRmT1_PNSt15iterator_traitsISY_E10value_typeET2_T3_PNSZ_IS14_E10value_typeET4_jRbjT5_S1A_jjP12ihipStream_tbEUljE_EEESV_SW_SX_S14_S18_S1A_T6_T7_T9_mT8_S1C_bDpT10_ENKUlT_T0_E_clISt17integral_constantIbLb1EES1O_IbLb0EEEEDaS1K_S1L_EUlS1K_E_NS1_11comp_targetILNS1_3genE5ELNS1_11target_archE942ELNS1_3gpuE9ELNS1_3repE0EEENS1_30default_config_static_selectorELNS0_4arch9wavefront6targetE1EEEvSY_
		.amdhsa_group_segment_fixed_size 0
		.amdhsa_private_segment_fixed_size 0
		.amdhsa_kernarg_size 144
		.amdhsa_user_sgpr_count 6
		.amdhsa_user_sgpr_private_segment_buffer 1
		.amdhsa_user_sgpr_dispatch_ptr 0
		.amdhsa_user_sgpr_queue_ptr 0
		.amdhsa_user_sgpr_kernarg_segment_ptr 1
		.amdhsa_user_sgpr_dispatch_id 0
		.amdhsa_user_sgpr_flat_scratch_init 0
		.amdhsa_user_sgpr_kernarg_preload_length 0
		.amdhsa_user_sgpr_kernarg_preload_offset 0
		.amdhsa_user_sgpr_private_segment_size 0
		.amdhsa_uses_dynamic_stack 0
		.amdhsa_system_sgpr_private_segment_wavefront_offset 0
		.amdhsa_system_sgpr_workgroup_id_x 1
		.amdhsa_system_sgpr_workgroup_id_y 0
		.amdhsa_system_sgpr_workgroup_id_z 0
		.amdhsa_system_sgpr_workgroup_info 0
		.amdhsa_system_vgpr_workitem_id 0
		.amdhsa_next_free_vgpr 1
		.amdhsa_next_free_sgpr 0
		.amdhsa_accum_offset 4
		.amdhsa_reserve_vcc 0
		.amdhsa_reserve_flat_scratch 0
		.amdhsa_float_round_mode_32 0
		.amdhsa_float_round_mode_16_64 0
		.amdhsa_float_denorm_mode_32 3
		.amdhsa_float_denorm_mode_16_64 3
		.amdhsa_dx10_clamp 1
		.amdhsa_ieee_mode 1
		.amdhsa_fp16_overflow 0
		.amdhsa_tg_split 0
		.amdhsa_exception_fp_ieee_invalid_op 0
		.amdhsa_exception_fp_denorm_src 0
		.amdhsa_exception_fp_ieee_div_zero 0
		.amdhsa_exception_fp_ieee_overflow 0
		.amdhsa_exception_fp_ieee_underflow 0
		.amdhsa_exception_fp_ieee_inexact 0
		.amdhsa_exception_int_div_zero 0
	.end_amdhsa_kernel
	.section	.text._ZN7rocprim17ROCPRIM_400000_NS6detail17trampoline_kernelINS0_13select_configILj256ELj13ELNS0_17block_load_methodE3ELS4_3ELS4_3ELNS0_20block_scan_algorithmE0ELj4294967295EEENS1_25partition_config_selectorILNS1_17partition_subalgoE3EjNS0_10empty_typeEbEEZZNS1_14partition_implILS8_3ELb0ES6_jNS0_17counting_iteratorIjlEEPS9_SE_NS0_5tupleIJPjSE_EEENSF_IJSE_SE_EEES9_SG_JZNS1_25segmented_radix_sort_implINS0_14default_configELb0EPKbPbPKlPlN2at6native12_GLOBAL__N_18offset_tEEE10hipError_tPvRmT1_PNSt15iterator_traitsISY_E10value_typeET2_T3_PNSZ_IS14_E10value_typeET4_jRbjT5_S1A_jjP12ihipStream_tbEUljE_EEESV_SW_SX_S14_S18_S1A_T6_T7_T9_mT8_S1C_bDpT10_ENKUlT_T0_E_clISt17integral_constantIbLb1EES1O_IbLb0EEEEDaS1K_S1L_EUlS1K_E_NS1_11comp_targetILNS1_3genE5ELNS1_11target_archE942ELNS1_3gpuE9ELNS1_3repE0EEENS1_30default_config_static_selectorELNS0_4arch9wavefront6targetE1EEEvSY_,"axG",@progbits,_ZN7rocprim17ROCPRIM_400000_NS6detail17trampoline_kernelINS0_13select_configILj256ELj13ELNS0_17block_load_methodE3ELS4_3ELS4_3ELNS0_20block_scan_algorithmE0ELj4294967295EEENS1_25partition_config_selectorILNS1_17partition_subalgoE3EjNS0_10empty_typeEbEEZZNS1_14partition_implILS8_3ELb0ES6_jNS0_17counting_iteratorIjlEEPS9_SE_NS0_5tupleIJPjSE_EEENSF_IJSE_SE_EEES9_SG_JZNS1_25segmented_radix_sort_implINS0_14default_configELb0EPKbPbPKlPlN2at6native12_GLOBAL__N_18offset_tEEE10hipError_tPvRmT1_PNSt15iterator_traitsISY_E10value_typeET2_T3_PNSZ_IS14_E10value_typeET4_jRbjT5_S1A_jjP12ihipStream_tbEUljE_EEESV_SW_SX_S14_S18_S1A_T6_T7_T9_mT8_S1C_bDpT10_ENKUlT_T0_E_clISt17integral_constantIbLb1EES1O_IbLb0EEEEDaS1K_S1L_EUlS1K_E_NS1_11comp_targetILNS1_3genE5ELNS1_11target_archE942ELNS1_3gpuE9ELNS1_3repE0EEENS1_30default_config_static_selectorELNS0_4arch9wavefront6targetE1EEEvSY_,comdat
.Lfunc_end1618:
	.size	_ZN7rocprim17ROCPRIM_400000_NS6detail17trampoline_kernelINS0_13select_configILj256ELj13ELNS0_17block_load_methodE3ELS4_3ELS4_3ELNS0_20block_scan_algorithmE0ELj4294967295EEENS1_25partition_config_selectorILNS1_17partition_subalgoE3EjNS0_10empty_typeEbEEZZNS1_14partition_implILS8_3ELb0ES6_jNS0_17counting_iteratorIjlEEPS9_SE_NS0_5tupleIJPjSE_EEENSF_IJSE_SE_EEES9_SG_JZNS1_25segmented_radix_sort_implINS0_14default_configELb0EPKbPbPKlPlN2at6native12_GLOBAL__N_18offset_tEEE10hipError_tPvRmT1_PNSt15iterator_traitsISY_E10value_typeET2_T3_PNSZ_IS14_E10value_typeET4_jRbjT5_S1A_jjP12ihipStream_tbEUljE_EEESV_SW_SX_S14_S18_S1A_T6_T7_T9_mT8_S1C_bDpT10_ENKUlT_T0_E_clISt17integral_constantIbLb1EES1O_IbLb0EEEEDaS1K_S1L_EUlS1K_E_NS1_11comp_targetILNS1_3genE5ELNS1_11target_archE942ELNS1_3gpuE9ELNS1_3repE0EEENS1_30default_config_static_selectorELNS0_4arch9wavefront6targetE1EEEvSY_, .Lfunc_end1618-_ZN7rocprim17ROCPRIM_400000_NS6detail17trampoline_kernelINS0_13select_configILj256ELj13ELNS0_17block_load_methodE3ELS4_3ELS4_3ELNS0_20block_scan_algorithmE0ELj4294967295EEENS1_25partition_config_selectorILNS1_17partition_subalgoE3EjNS0_10empty_typeEbEEZZNS1_14partition_implILS8_3ELb0ES6_jNS0_17counting_iteratorIjlEEPS9_SE_NS0_5tupleIJPjSE_EEENSF_IJSE_SE_EEES9_SG_JZNS1_25segmented_radix_sort_implINS0_14default_configELb0EPKbPbPKlPlN2at6native12_GLOBAL__N_18offset_tEEE10hipError_tPvRmT1_PNSt15iterator_traitsISY_E10value_typeET2_T3_PNSZ_IS14_E10value_typeET4_jRbjT5_S1A_jjP12ihipStream_tbEUljE_EEESV_SW_SX_S14_S18_S1A_T6_T7_T9_mT8_S1C_bDpT10_ENKUlT_T0_E_clISt17integral_constantIbLb1EES1O_IbLb0EEEEDaS1K_S1L_EUlS1K_E_NS1_11comp_targetILNS1_3genE5ELNS1_11target_archE942ELNS1_3gpuE9ELNS1_3repE0EEENS1_30default_config_static_selectorELNS0_4arch9wavefront6targetE1EEEvSY_
                                        ; -- End function
	.section	.AMDGPU.csdata,"",@progbits
; Kernel info:
; codeLenInByte = 0
; NumSgprs: 4
; NumVgprs: 0
; NumAgprs: 0
; TotalNumVgprs: 0
; ScratchSize: 0
; MemoryBound: 0
; FloatMode: 240
; IeeeMode: 1
; LDSByteSize: 0 bytes/workgroup (compile time only)
; SGPRBlocks: 0
; VGPRBlocks: 0
; NumSGPRsForWavesPerEU: 4
; NumVGPRsForWavesPerEU: 1
; AccumOffset: 4
; Occupancy: 8
; WaveLimiterHint : 0
; COMPUTE_PGM_RSRC2:SCRATCH_EN: 0
; COMPUTE_PGM_RSRC2:USER_SGPR: 6
; COMPUTE_PGM_RSRC2:TRAP_HANDLER: 0
; COMPUTE_PGM_RSRC2:TGID_X_EN: 1
; COMPUTE_PGM_RSRC2:TGID_Y_EN: 0
; COMPUTE_PGM_RSRC2:TGID_Z_EN: 0
; COMPUTE_PGM_RSRC2:TIDIG_COMP_CNT: 0
; COMPUTE_PGM_RSRC3_GFX90A:ACCUM_OFFSET: 0
; COMPUTE_PGM_RSRC3_GFX90A:TG_SPLIT: 0
	.section	.text._ZN7rocprim17ROCPRIM_400000_NS6detail17trampoline_kernelINS0_13select_configILj256ELj13ELNS0_17block_load_methodE3ELS4_3ELS4_3ELNS0_20block_scan_algorithmE0ELj4294967295EEENS1_25partition_config_selectorILNS1_17partition_subalgoE3EjNS0_10empty_typeEbEEZZNS1_14partition_implILS8_3ELb0ES6_jNS0_17counting_iteratorIjlEEPS9_SE_NS0_5tupleIJPjSE_EEENSF_IJSE_SE_EEES9_SG_JZNS1_25segmented_radix_sort_implINS0_14default_configELb0EPKbPbPKlPlN2at6native12_GLOBAL__N_18offset_tEEE10hipError_tPvRmT1_PNSt15iterator_traitsISY_E10value_typeET2_T3_PNSZ_IS14_E10value_typeET4_jRbjT5_S1A_jjP12ihipStream_tbEUljE_EEESV_SW_SX_S14_S18_S1A_T6_T7_T9_mT8_S1C_bDpT10_ENKUlT_T0_E_clISt17integral_constantIbLb1EES1O_IbLb0EEEEDaS1K_S1L_EUlS1K_E_NS1_11comp_targetILNS1_3genE4ELNS1_11target_archE910ELNS1_3gpuE8ELNS1_3repE0EEENS1_30default_config_static_selectorELNS0_4arch9wavefront6targetE1EEEvSY_,"axG",@progbits,_ZN7rocprim17ROCPRIM_400000_NS6detail17trampoline_kernelINS0_13select_configILj256ELj13ELNS0_17block_load_methodE3ELS4_3ELS4_3ELNS0_20block_scan_algorithmE0ELj4294967295EEENS1_25partition_config_selectorILNS1_17partition_subalgoE3EjNS0_10empty_typeEbEEZZNS1_14partition_implILS8_3ELb0ES6_jNS0_17counting_iteratorIjlEEPS9_SE_NS0_5tupleIJPjSE_EEENSF_IJSE_SE_EEES9_SG_JZNS1_25segmented_radix_sort_implINS0_14default_configELb0EPKbPbPKlPlN2at6native12_GLOBAL__N_18offset_tEEE10hipError_tPvRmT1_PNSt15iterator_traitsISY_E10value_typeET2_T3_PNSZ_IS14_E10value_typeET4_jRbjT5_S1A_jjP12ihipStream_tbEUljE_EEESV_SW_SX_S14_S18_S1A_T6_T7_T9_mT8_S1C_bDpT10_ENKUlT_T0_E_clISt17integral_constantIbLb1EES1O_IbLb0EEEEDaS1K_S1L_EUlS1K_E_NS1_11comp_targetILNS1_3genE4ELNS1_11target_archE910ELNS1_3gpuE8ELNS1_3repE0EEENS1_30default_config_static_selectorELNS0_4arch9wavefront6targetE1EEEvSY_,comdat
	.globl	_ZN7rocprim17ROCPRIM_400000_NS6detail17trampoline_kernelINS0_13select_configILj256ELj13ELNS0_17block_load_methodE3ELS4_3ELS4_3ELNS0_20block_scan_algorithmE0ELj4294967295EEENS1_25partition_config_selectorILNS1_17partition_subalgoE3EjNS0_10empty_typeEbEEZZNS1_14partition_implILS8_3ELb0ES6_jNS0_17counting_iteratorIjlEEPS9_SE_NS0_5tupleIJPjSE_EEENSF_IJSE_SE_EEES9_SG_JZNS1_25segmented_radix_sort_implINS0_14default_configELb0EPKbPbPKlPlN2at6native12_GLOBAL__N_18offset_tEEE10hipError_tPvRmT1_PNSt15iterator_traitsISY_E10value_typeET2_T3_PNSZ_IS14_E10value_typeET4_jRbjT5_S1A_jjP12ihipStream_tbEUljE_EEESV_SW_SX_S14_S18_S1A_T6_T7_T9_mT8_S1C_bDpT10_ENKUlT_T0_E_clISt17integral_constantIbLb1EES1O_IbLb0EEEEDaS1K_S1L_EUlS1K_E_NS1_11comp_targetILNS1_3genE4ELNS1_11target_archE910ELNS1_3gpuE8ELNS1_3repE0EEENS1_30default_config_static_selectorELNS0_4arch9wavefront6targetE1EEEvSY_ ; -- Begin function _ZN7rocprim17ROCPRIM_400000_NS6detail17trampoline_kernelINS0_13select_configILj256ELj13ELNS0_17block_load_methodE3ELS4_3ELS4_3ELNS0_20block_scan_algorithmE0ELj4294967295EEENS1_25partition_config_selectorILNS1_17partition_subalgoE3EjNS0_10empty_typeEbEEZZNS1_14partition_implILS8_3ELb0ES6_jNS0_17counting_iteratorIjlEEPS9_SE_NS0_5tupleIJPjSE_EEENSF_IJSE_SE_EEES9_SG_JZNS1_25segmented_radix_sort_implINS0_14default_configELb0EPKbPbPKlPlN2at6native12_GLOBAL__N_18offset_tEEE10hipError_tPvRmT1_PNSt15iterator_traitsISY_E10value_typeET2_T3_PNSZ_IS14_E10value_typeET4_jRbjT5_S1A_jjP12ihipStream_tbEUljE_EEESV_SW_SX_S14_S18_S1A_T6_T7_T9_mT8_S1C_bDpT10_ENKUlT_T0_E_clISt17integral_constantIbLb1EES1O_IbLb0EEEEDaS1K_S1L_EUlS1K_E_NS1_11comp_targetILNS1_3genE4ELNS1_11target_archE910ELNS1_3gpuE8ELNS1_3repE0EEENS1_30default_config_static_selectorELNS0_4arch9wavefront6targetE1EEEvSY_
	.p2align	8
	.type	_ZN7rocprim17ROCPRIM_400000_NS6detail17trampoline_kernelINS0_13select_configILj256ELj13ELNS0_17block_load_methodE3ELS4_3ELS4_3ELNS0_20block_scan_algorithmE0ELj4294967295EEENS1_25partition_config_selectorILNS1_17partition_subalgoE3EjNS0_10empty_typeEbEEZZNS1_14partition_implILS8_3ELb0ES6_jNS0_17counting_iteratorIjlEEPS9_SE_NS0_5tupleIJPjSE_EEENSF_IJSE_SE_EEES9_SG_JZNS1_25segmented_radix_sort_implINS0_14default_configELb0EPKbPbPKlPlN2at6native12_GLOBAL__N_18offset_tEEE10hipError_tPvRmT1_PNSt15iterator_traitsISY_E10value_typeET2_T3_PNSZ_IS14_E10value_typeET4_jRbjT5_S1A_jjP12ihipStream_tbEUljE_EEESV_SW_SX_S14_S18_S1A_T6_T7_T9_mT8_S1C_bDpT10_ENKUlT_T0_E_clISt17integral_constantIbLb1EES1O_IbLb0EEEEDaS1K_S1L_EUlS1K_E_NS1_11comp_targetILNS1_3genE4ELNS1_11target_archE910ELNS1_3gpuE8ELNS1_3repE0EEENS1_30default_config_static_selectorELNS0_4arch9wavefront6targetE1EEEvSY_,@function
_ZN7rocprim17ROCPRIM_400000_NS6detail17trampoline_kernelINS0_13select_configILj256ELj13ELNS0_17block_load_methodE3ELS4_3ELS4_3ELNS0_20block_scan_algorithmE0ELj4294967295EEENS1_25partition_config_selectorILNS1_17partition_subalgoE3EjNS0_10empty_typeEbEEZZNS1_14partition_implILS8_3ELb0ES6_jNS0_17counting_iteratorIjlEEPS9_SE_NS0_5tupleIJPjSE_EEENSF_IJSE_SE_EEES9_SG_JZNS1_25segmented_radix_sort_implINS0_14default_configELb0EPKbPbPKlPlN2at6native12_GLOBAL__N_18offset_tEEE10hipError_tPvRmT1_PNSt15iterator_traitsISY_E10value_typeET2_T3_PNSZ_IS14_E10value_typeET4_jRbjT5_S1A_jjP12ihipStream_tbEUljE_EEESV_SW_SX_S14_S18_S1A_T6_T7_T9_mT8_S1C_bDpT10_ENKUlT_T0_E_clISt17integral_constantIbLb1EES1O_IbLb0EEEEDaS1K_S1L_EUlS1K_E_NS1_11comp_targetILNS1_3genE4ELNS1_11target_archE910ELNS1_3gpuE8ELNS1_3repE0EEENS1_30default_config_static_selectorELNS0_4arch9wavefront6targetE1EEEvSY_: ; @_ZN7rocprim17ROCPRIM_400000_NS6detail17trampoline_kernelINS0_13select_configILj256ELj13ELNS0_17block_load_methodE3ELS4_3ELS4_3ELNS0_20block_scan_algorithmE0ELj4294967295EEENS1_25partition_config_selectorILNS1_17partition_subalgoE3EjNS0_10empty_typeEbEEZZNS1_14partition_implILS8_3ELb0ES6_jNS0_17counting_iteratorIjlEEPS9_SE_NS0_5tupleIJPjSE_EEENSF_IJSE_SE_EEES9_SG_JZNS1_25segmented_radix_sort_implINS0_14default_configELb0EPKbPbPKlPlN2at6native12_GLOBAL__N_18offset_tEEE10hipError_tPvRmT1_PNSt15iterator_traitsISY_E10value_typeET2_T3_PNSZ_IS14_E10value_typeET4_jRbjT5_S1A_jjP12ihipStream_tbEUljE_EEESV_SW_SX_S14_S18_S1A_T6_T7_T9_mT8_S1C_bDpT10_ENKUlT_T0_E_clISt17integral_constantIbLb1EES1O_IbLb0EEEEDaS1K_S1L_EUlS1K_E_NS1_11comp_targetILNS1_3genE4ELNS1_11target_archE910ELNS1_3gpuE8ELNS1_3repE0EEENS1_30default_config_static_selectorELNS0_4arch9wavefront6targetE1EEEvSY_
; %bb.0:
	s_load_dwordx2 s[26:27], s[4:5], 0x58
	s_load_dwordx4 s[20:23], s[4:5], 0x48
	s_load_dword s13, s[4:5], 0x8
	s_load_dwordx2 s[28:29], s[4:5], 0x10
	s_load_dword s12, s[4:5], 0x70
	s_load_dword s7, s[4:5], 0x88
	s_load_dwordx4 s[8:11], s[4:5], 0x78
	s_waitcnt lgkmcnt(0)
	s_load_dwordx2 s[30:31], s[22:23], 0x0
	v_pk_mov_b32 v[2:3], s[26:27], s[26:27] op_sel:[0,1]
	s_add_i32 s2, s12, -1
	s_mulk_i32 s12, 0xd00
	s_add_u32 s0, s28, s12
	s_addc_u32 s1, s29, 0
	s_cmp_eq_u32 s6, s2
	s_cselect_b64 s[22:23], -1, 0
	s_cmp_lg_u32 s6, s2
	s_mul_i32 s42, s6, 0xd00
	v_cmp_lt_u64_e32 vcc, s[0:1], v[2:3]
	s_cselect_b64 s[0:1], -1, 0
	s_or_b64 s[2:3], s[0:1], vcc
	s_add_i32 s0, s13, s42
	s_add_i32 s0, s0, s28
	v_add_u32_e32 v2, s0, v0
	s_mov_b64 s[0:1], -1
	s_and_b64 vcc, exec, s[2:3]
	v_lshlrev_b32_e32 v1, 2, v0
	s_cbranch_vccz .LBB1619_2
; %bb.1:
	v_add_u32_e32 v3, 0x100, v2
	v_add_u32_e32 v4, 0x200, v2
	;; [unrolled: 1-line block ×12, first 2 shown]
	ds_write2st64_b32 v1, v2, v3 offset1:4
	ds_write2st64_b32 v1, v4, v5 offset0:8 offset1:12
	ds_write2st64_b32 v1, v6, v7 offset0:16 offset1:20
	;; [unrolled: 1-line block ×5, first 2 shown]
	ds_write_b32 v1, v14 offset:12288
	s_waitcnt lgkmcnt(0)
	s_barrier
	s_mov_b64 s[0:1], 0
.LBB1619_2:
	s_andn2_b64 vcc, exec, s[0:1]
	s_add_i32 s12, s12, s28
	s_cbranch_vccnz .LBB1619_4
; %bb.3:
	v_add_u32_e32 v3, 0x100, v2
	v_add_u32_e32 v4, 0x200, v2
	;; [unrolled: 1-line block ×12, first 2 shown]
	ds_write2st64_b32 v1, v2, v3 offset1:4
	ds_write2st64_b32 v1, v4, v5 offset0:8 offset1:12
	ds_write2st64_b32 v1, v6, v7 offset0:16 offset1:20
	;; [unrolled: 1-line block ×5, first 2 shown]
	ds_write_b32 v1, v14 offset:12288
	s_waitcnt lgkmcnt(0)
	s_barrier
.LBB1619_4:
	v_mul_u32_u24_e32 v33, 13, v0
	v_lshlrev_b32_e32 v2, 2, v33
	s_waitcnt lgkmcnt(0)
	ds_read2_b32 v[30:31], v2 offset1:1
	ds_read2_b32 v[28:29], v2 offset0:2 offset1:3
	ds_read2_b32 v[26:27], v2 offset0:4 offset1:5
	;; [unrolled: 1-line block ×5, first 2 shown]
	ds_read_b32 v32, v2 offset:48
	v_cndmask_b32_e64 v2, 0, 1, s[2:3]
	s_sub_i32 s33, s26, s12
	v_cmp_ne_u32_e64 s[0:1], 1, v2
	s_andn2_b64 vcc, exec, s[2:3]
	s_waitcnt lgkmcnt(0)
	s_barrier
	s_cbranch_vccnz .LBB1619_6
; %bb.5:
	v_add_u32_e32 v2, s9, v30
	v_add_u32_e32 v3, s11, v30
	v_mul_lo_u32 v2, v2, s8
	v_mul_lo_u32 v3, v3, s10
	v_sub_u32_e32 v2, v2, v3
	v_add_u32_e32 v3, s9, v31
	v_add_u32_e32 v4, s11, v31
	v_mul_lo_u32 v3, v3, s8
	v_mul_lo_u32 v4, v4, s10
	v_sub_u32_e32 v3, v3, v4
	v_add_u32_e32 v4, s9, v28
	v_add_u32_e32 v5, s11, v28
	v_mul_lo_u32 v4, v4, s8
	v_mul_lo_u32 v5, v5, s10
	v_sub_u32_e32 v4, v4, v5
	v_add_u32_e32 v5, s9, v29
	v_add_u32_e32 v6, s11, v29
	v_mul_lo_u32 v5, v5, s8
	v_mul_lo_u32 v6, v6, s10
	v_sub_u32_e32 v5, v5, v6
	v_add_u32_e32 v6, s9, v26
	v_add_u32_e32 v7, s11, v26
	v_mul_lo_u32 v6, v6, s8
	v_mul_lo_u32 v7, v7, s10
	v_sub_u32_e32 v6, v6, v7
	v_add_u32_e32 v7, s9, v27
	v_add_u32_e32 v8, s11, v27
	v_mul_lo_u32 v7, v7, s8
	v_mul_lo_u32 v8, v8, s10
	v_sub_u32_e32 v7, v7, v8
	v_add_u32_e32 v8, s9, v24
	v_add_u32_e32 v9, s11, v24
	v_mul_lo_u32 v8, v8, s8
	v_mul_lo_u32 v9, v9, s10
	v_cmp_lt_u32_e32 vcc, s7, v2
	v_sub_u32_e32 v8, v8, v9
	v_add_u32_e32 v9, s9, v25
	v_add_u32_e32 v10, s11, v25
	v_cndmask_b32_e64 v2, 0, 1, vcc
	v_cmp_lt_u32_e32 vcc, s7, v3
	v_mul_lo_u32 v9, v9, s8
	v_mul_lo_u32 v10, v10, s10
	v_cndmask_b32_e64 v3, 0, 1, vcc
	v_cmp_lt_u32_e32 vcc, s7, v4
	v_sub_u32_e32 v9, v9, v10
	v_add_u32_e32 v10, s9, v22
	v_add_u32_e32 v11, s11, v22
	v_cndmask_b32_e64 v4, 0, 1, vcc
	v_cmp_lt_u32_e32 vcc, s7, v5
	v_mul_lo_u32 v10, v10, s8
	v_mul_lo_u32 v11, v11, s10
	v_cndmask_b32_e64 v5, 0, 1, vcc
	;; [unrolled: 9-line block ×4, first 2 shown]
	v_cmp_lt_u32_e32 vcc, s7, v10
	v_sub_u32_e32 v12, v12, v13
	v_add_u32_e32 v13, s9, v21
	v_add_u32_e32 v14, s11, v21
	v_lshlrev_b16_e32 v3, 8, v3
	v_cndmask_b32_e64 v10, 0, 1, vcc
	v_cmp_lt_u32_e32 vcc, s7, v11
	v_mul_lo_u32 v13, v13, s8
	v_mul_lo_u32 v14, v14, s10
	v_or_b32_e32 v2, v2, v3
	v_lshlrev_b16_e32 v3, 8, v5
	v_cndmask_b32_e64 v11, 0, 1, vcc
	v_cmp_lt_u32_e32 vcc, s7, v12
	v_sub_u32_e32 v13, v13, v14
	v_or_b32_sdwa v3, v4, v3 dst_sel:WORD_1 dst_unused:UNUSED_PAD src0_sel:DWORD src1_sel:DWORD
	v_cndmask_b32_e64 v12, 0, 1, vcc
	v_cmp_lt_u32_e32 vcc, s7, v13
	v_add_u32_e32 v14, s9, v32
	v_add_u32_e32 v15, s11, v32
	v_or_b32_sdwa v37, v2, v3 dst_sel:DWORD dst_unused:UNUSED_PAD src0_sel:WORD_0 src1_sel:DWORD
	v_lshlrev_b16_e32 v2, 8, v7
	v_lshlrev_b16_e32 v3, 8, v9
	v_cndmask_b32_e64 v13, 0, 1, vcc
	v_mul_lo_u32 v14, v14, s8
	v_mul_lo_u32 v15, v15, s10
	v_or_b32_e32 v2, v6, v2
	v_or_b32_sdwa v3, v8, v3 dst_sel:WORD_1 dst_unused:UNUSED_PAD src0_sel:DWORD src1_sel:DWORD
	v_sub_u32_e32 v14, v14, v15
	v_or_b32_sdwa v36, v2, v3 dst_sel:DWORD dst_unused:UNUSED_PAD src0_sel:WORD_0 src1_sel:DWORD
	v_lshlrev_b16_e32 v2, 8, v11
	v_lshlrev_b16_e32 v3, 8, v13
	v_cmp_lt_u32_e32 vcc, s7, v14
	v_or_b32_e32 v2, v10, v2
	v_or_b32_sdwa v3, v12, v3 dst_sel:WORD_1 dst_unused:UNUSED_PAD src0_sel:DWORD src1_sel:DWORD
	v_cndmask_b32_e64 v34, 0, 1, vcc
	v_or_b32_sdwa v35, v2, v3 dst_sel:DWORD dst_unused:UNUSED_PAD src0_sel:WORD_0 src1_sel:DWORD
	s_mov_b64 s[2:3], 0
	s_branch .LBB1619_7
.LBB1619_6:
	s_mov_b64 s[2:3], -1
                                        ; implicit-def: $vgpr34
                                        ; implicit-def: $vgpr35
                                        ; implicit-def: $vgpr36
                                        ; implicit-def: $vgpr37
.LBB1619_7:
	s_load_dwordx2 s[24:25], s[4:5], 0x28
	s_load_dwordx2 s[34:35], s[4:5], 0x68
	s_andn2_b64 vcc, exec, s[2:3]
	s_addk_i32 s33, 0xd00
	s_cbranch_vccnz .LBB1619_35
; %bb.8:
	v_cmp_gt_u32_e32 vcc, s33, v33
	v_mov_b32_e32 v3, 0
	v_mov_b32_e32 v2, 0
	s_and_saveexec_b64 s[2:3], vcc
; %bb.9:
	v_add_u32_e32 v2, s9, v30
	v_add_u32_e32 v4, s11, v30
	v_mul_lo_u32 v2, v2, s8
	v_mul_lo_u32 v4, v4, s10
	v_sub_u32_e32 v2, v2, v4
	v_cmp_lt_u32_e32 vcc, s7, v2
	v_cndmask_b32_e64 v2, 0, 1, vcc
; %bb.10:
	s_or_b64 exec, exec, s[2:3]
	v_add_u32_e32 v4, 1, v33
	v_cmp_gt_u32_e32 vcc, s33, v4
	s_and_saveexec_b64 s[2:3], vcc
; %bb.11:
	v_add_u32_e32 v3, s9, v31
	v_add_u32_e32 v4, s11, v31
	v_mul_lo_u32 v3, v3, s8
	v_mul_lo_u32 v4, v4, s10
	v_sub_u32_e32 v3, v3, v4
	v_cmp_lt_u32_e32 vcc, s7, v3
	v_cndmask_b32_e64 v3, 0, 1, vcc
; %bb.12:
	s_or_b64 exec, exec, s[2:3]
	v_add_u32_e32 v4, 2, v33
	v_cmp_gt_u32_e32 vcc, s33, v4
	v_mov_b32_e32 v5, 0
	v_mov_b32_e32 v4, 0
	s_and_saveexec_b64 s[2:3], vcc
; %bb.13:
	v_add_u32_e32 v4, s9, v28
	v_add_u32_e32 v6, s11, v28
	v_mul_lo_u32 v4, v4, s8
	v_mul_lo_u32 v6, v6, s10
	v_sub_u32_e32 v4, v4, v6
	v_cmp_lt_u32_e32 vcc, s7, v4
	v_cndmask_b32_e64 v4, 0, 1, vcc
; %bb.14:
	s_or_b64 exec, exec, s[2:3]
	v_add_u32_e32 v6, 3, v33
	v_cmp_gt_u32_e32 vcc, s33, v6
	s_and_saveexec_b64 s[2:3], vcc
; %bb.15:
	v_add_u32_e32 v5, s9, v29
	v_add_u32_e32 v6, s11, v29
	v_mul_lo_u32 v5, v5, s8
	v_mul_lo_u32 v6, v6, s10
	v_sub_u32_e32 v5, v5, v6
	v_cmp_lt_u32_e32 vcc, s7, v5
	v_cndmask_b32_e64 v5, 0, 1, vcc
; %bb.16:
	s_or_b64 exec, exec, s[2:3]
	v_add_u32_e32 v6, 4, v33
	;; [unrolled: 28-line block ×6, first 2 shown]
	v_cmp_gt_u32_e32 vcc, s33, v14
	v_mov_b32_e32 v34, 0
	s_and_saveexec_b64 s[2:3], vcc
; %bb.33:
	v_add_u32_e32 v14, s9, v32
	v_add_u32_e32 v15, s11, v32
	v_mul_lo_u32 v14, v14, s8
	v_mul_lo_u32 v15, v15, s10
	v_sub_u32_e32 v14, v14, v15
	v_cmp_lt_u32_e32 vcc, s7, v14
	v_cndmask_b32_e64 v34, 0, 1, vcc
; %bb.34:
	s_or_b64 exec, exec, s[2:3]
	v_lshlrev_b16_e32 v3, 8, v3
	v_or_b32_e32 v2, v2, v3
	v_lshlrev_b16_e32 v3, 8, v5
	v_or_b32_sdwa v3, v4, v3 dst_sel:WORD_1 dst_unused:UNUSED_PAD src0_sel:DWORD src1_sel:DWORD
	v_or_b32_sdwa v37, v2, v3 dst_sel:DWORD dst_unused:UNUSED_PAD src0_sel:WORD_0 src1_sel:DWORD
	v_lshlrev_b16_e32 v2, 8, v7
	v_lshlrev_b16_e32 v3, 8, v9
	v_or_b32_e32 v2, v6, v2
	v_or_b32_sdwa v3, v8, v3 dst_sel:WORD_1 dst_unused:UNUSED_PAD src0_sel:DWORD src1_sel:DWORD
	v_or_b32_sdwa v36, v2, v3 dst_sel:DWORD dst_unused:UNUSED_PAD src0_sel:WORD_0 src1_sel:DWORD
	v_lshlrev_b16_e32 v2, 8, v11
	v_lshlrev_b16_e32 v3, 8, v13
	v_or_b32_e32 v2, v10, v2
	v_or_b32_sdwa v3, v12, v3 dst_sel:WORD_1 dst_unused:UNUSED_PAD src0_sel:DWORD src1_sel:DWORD
	v_or_b32_sdwa v35, v2, v3 dst_sel:DWORD dst_unused:UNUSED_PAD src0_sel:WORD_0 src1_sel:DWORD
.LBB1619_35:
	v_and_b32_e32 v41, 0xff, v37
	v_bfe_u32 v42, v37, 8, 8
	v_bfe_u32 v43, v37, 16, 8
	v_lshrrev_b32_e32 v40, 24, v37
	v_and_b32_e32 v44, 0xff, v36
	v_add3_u32 v3, v42, v41, v43
	v_bfe_u32 v45, v36, 8, 8
	v_bfe_u32 v46, v36, 16, 8
	v_add3_u32 v3, v3, v40, v44
	v_lshrrev_b32_e32 v39, 24, v36
	v_and_b32_e32 v47, 0xff, v35
	v_add3_u32 v3, v3, v45, v46
	v_bfe_u32 v48, v35, 8, 8
	v_bfe_u32 v49, v35, 16, 8
	v_add3_u32 v3, v3, v39, v47
	v_lshrrev_b32_e32 v38, 24, v35
	v_and_b32_e32 v2, 0xff, v34
	v_add3_u32 v3, v3, v48, v49
	v_add3_u32 v52, v3, v38, v2
	v_mbcnt_lo_u32_b32 v2, -1, 0
	v_mbcnt_hi_u32_b32 v50, -1, v2
	v_and_b32_e32 v2, 15, v50
	v_cmp_eq_u32_e64 s[14:15], 0, v2
	v_cmp_lt_u32_e64 s[12:13], 1, v2
	v_cmp_lt_u32_e64 s[10:11], 3, v2
	;; [unrolled: 1-line block ×3, first 2 shown]
	v_and_b32_e32 v2, 16, v50
	v_cmp_eq_u32_e64 s[18:19], 0, v2
	v_or_b32_e32 v2, 63, v0
	s_cmp_lg_u32 s6, 0
	v_cmp_lt_u32_e64 s[2:3], 31, v50
	v_lshrrev_b32_e32 v51, 6, v0
	v_cmp_eq_u32_e64 s[4:5], v2, v0
	s_cbranch_scc0 .LBB1619_66
; %bb.36:
	v_mov_b32_dpp v2, v52 row_shr:1 row_mask:0xf bank_mask:0xf
	v_cndmask_b32_e64 v2, v2, 0, s[14:15]
	v_add_u32_e32 v2, v2, v52
	s_nop 1
	v_mov_b32_dpp v3, v2 row_shr:2 row_mask:0xf bank_mask:0xf
	v_cndmask_b32_e64 v3, 0, v3, s[12:13]
	v_add_u32_e32 v2, v2, v3
	s_nop 1
	v_mov_b32_dpp v3, v2 row_shr:4 row_mask:0xf bank_mask:0xf
	v_cndmask_b32_e64 v3, 0, v3, s[10:11]
	v_add_u32_e32 v2, v2, v3
	s_nop 1
	v_mov_b32_dpp v3, v2 row_shr:8 row_mask:0xf bank_mask:0xf
	v_cndmask_b32_e64 v3, 0, v3, s[8:9]
	v_add_u32_e32 v2, v2, v3
	s_nop 1
	v_mov_b32_dpp v3, v2 row_bcast:15 row_mask:0xf bank_mask:0xf
	v_cndmask_b32_e64 v3, v3, 0, s[18:19]
	v_add_u32_e32 v2, v2, v3
	s_nop 1
	v_mov_b32_dpp v3, v2 row_bcast:31 row_mask:0xf bank_mask:0xf
	v_cndmask_b32_e64 v3, 0, v3, s[2:3]
	v_add_u32_e32 v2, v2, v3
	s_and_saveexec_b64 s[16:17], s[4:5]
	s_cbranch_execz .LBB1619_38
; %bb.37:
	v_lshlrev_b32_e32 v3, 2, v51
	ds_write_b32 v3, v2
.LBB1619_38:
	s_or_b64 exec, exec, s[16:17]
	v_cmp_gt_u32_e32 vcc, 4, v0
	s_waitcnt lgkmcnt(0)
	s_barrier
	s_and_saveexec_b64 s[16:17], vcc
	s_cbranch_execz .LBB1619_40
; %bb.39:
	ds_read_b32 v3, v1
	v_and_b32_e32 v4, 3, v50
	v_cmp_ne_u32_e32 vcc, 0, v4
	s_waitcnt lgkmcnt(0)
	v_mov_b32_dpp v5, v3 row_shr:1 row_mask:0xf bank_mask:0xf
	v_cndmask_b32_e32 v5, 0, v5, vcc
	v_add_u32_e32 v3, v5, v3
	v_cmp_lt_u32_e32 vcc, 1, v4
	s_nop 0
	v_mov_b32_dpp v5, v3 row_shr:2 row_mask:0xf bank_mask:0xf
	v_cndmask_b32_e32 v4, 0, v5, vcc
	v_add_u32_e32 v3, v3, v4
	ds_write_b32 v1, v3
.LBB1619_40:
	s_or_b64 exec, exec, s[16:17]
	v_cmp_gt_u32_e32 vcc, 64, v0
	v_cmp_lt_u32_e64 s[16:17], 63, v0
	s_waitcnt lgkmcnt(0)
	s_barrier
	s_waitcnt lgkmcnt(0)
                                        ; implicit-def: $vgpr12
	s_and_saveexec_b64 s[36:37], s[16:17]
	s_cbranch_execz .LBB1619_42
; %bb.41:
	v_lshl_add_u32 v3, v51, 2, -4
	ds_read_b32 v12, v3
	s_waitcnt lgkmcnt(0)
	v_add_u32_e32 v2, v12, v2
.LBB1619_42:
	s_or_b64 exec, exec, s[36:37]
	v_add_u32_e32 v3, -1, v50
	v_and_b32_e32 v4, 64, v50
	v_cmp_lt_i32_e64 s[16:17], v3, v4
	v_cndmask_b32_e64 v3, v3, v50, s[16:17]
	v_lshlrev_b32_e32 v3, 2, v3
	ds_bpermute_b32 v13, v3, v2
	v_cmp_eq_u32_e64 s[16:17], 0, v50
	s_and_saveexec_b64 s[36:37], vcc
	s_cbranch_execz .LBB1619_65
; %bb.43:
	v_mov_b32_e32 v11, 0
	ds_read_b32 v2, v11 offset:12
	s_and_saveexec_b64 s[38:39], s[16:17]
	s_cbranch_execz .LBB1619_45
; %bb.44:
	s_add_i32 s40, s6, 64
	s_mov_b32 s41, 0
	s_lshl_b64 s[40:41], s[40:41], 3
	s_add_u32 s40, s34, s40
	v_mov_b32_e32 v3, 1
	s_addc_u32 s41, s35, s41
	s_waitcnt lgkmcnt(0)
	global_store_dwordx2 v11, v[2:3], s[40:41]
.LBB1619_45:
	s_or_b64 exec, exec, s[38:39]
	v_xad_u32 v4, v50, -1, s6
	v_add_u32_e32 v10, 64, v4
	v_lshlrev_b64 v[6:7], 3, v[10:11]
	v_mov_b32_e32 v3, s35
	v_add_co_u32_e32 v6, vcc, s34, v6
	v_addc_co_u32_e32 v7, vcc, v3, v7, vcc
	global_load_dwordx2 v[8:9], v[6:7], off glc
	s_waitcnt vmcnt(0)
	v_cmp_eq_u16_sdwa s[40:41], v9, v11 src0_sel:BYTE_0 src1_sel:DWORD
	s_and_saveexec_b64 s[38:39], s[40:41]
	s_cbranch_execz .LBB1619_51
; %bb.46:
	s_mov_b32 s7, 1
	s_mov_b64 s[40:41], 0
	v_mov_b32_e32 v3, 0
.LBB1619_47:                            ; =>This Loop Header: Depth=1
                                        ;     Child Loop BB1619_48 Depth 2
	s_max_u32 s43, s7, 1
.LBB1619_48:                            ;   Parent Loop BB1619_47 Depth=1
                                        ; =>  This Inner Loop Header: Depth=2
	s_add_i32 s43, s43, -1
	s_cmp_eq_u32 s43, 0
	s_sleep 1
	s_cbranch_scc0 .LBB1619_48
; %bb.49:                               ;   in Loop: Header=BB1619_47 Depth=1
	global_load_dwordx2 v[8:9], v[6:7], off glc
	s_cmp_lt_u32 s7, 32
	s_cselect_b64 s[44:45], -1, 0
	s_cmp_lg_u64 s[44:45], 0
	s_addc_u32 s7, s7, 0
	s_waitcnt vmcnt(0)
	v_cmp_ne_u16_sdwa s[44:45], v9, v3 src0_sel:BYTE_0 src1_sel:DWORD
	s_or_b64 s[40:41], s[44:45], s[40:41]
	s_andn2_b64 exec, exec, s[40:41]
	s_cbranch_execnz .LBB1619_47
; %bb.50:
	s_or_b64 exec, exec, s[40:41]
.LBB1619_51:
	s_or_b64 exec, exec, s[38:39]
	v_and_b32_e32 v14, 63, v50
	v_mov_b32_e32 v3, 2
	v_cmp_ne_u32_e32 vcc, 63, v14
	v_cmp_eq_u16_sdwa s[38:39], v9, v3 src0_sel:BYTE_0 src1_sel:DWORD
	v_lshlrev_b64 v[6:7], v50, -1
	v_addc_co_u32_e32 v11, vcc, 0, v50, vcc
	v_and_b32_e32 v5, s39, v7
	v_lshlrev_b32_e32 v15, 2, v11
	v_or_b32_e32 v5, 0x80000000, v5
	ds_bpermute_b32 v11, v15, v8
	v_and_b32_e32 v10, s38, v6
	v_ffbl_b32_e32 v5, v5
	v_add_u32_e32 v5, 32, v5
	v_ffbl_b32_e32 v10, v10
	v_min_u32_e32 v5, v10, v5
	v_cmp_lt_u32_e32 vcc, v14, v5
	s_waitcnt lgkmcnt(0)
	v_cndmask_b32_e32 v10, 0, v11, vcc
	v_cmp_gt_u32_e32 vcc, 62, v14
	v_add_u32_e32 v8, v10, v8
	v_cndmask_b32_e64 v10, 0, 1, vcc
	v_lshlrev_b32_e32 v10, 1, v10
	v_add_lshl_u32 v16, v10, v50, 2
	ds_bpermute_b32 v10, v16, v8
	v_add_u32_e32 v17, 2, v14
	v_cmp_le_u32_e32 vcc, v17, v5
	v_add_u32_e32 v19, 4, v14
	v_add_u32_e32 v54, 8, v14
	s_waitcnt lgkmcnt(0)
	v_cndmask_b32_e32 v10, 0, v10, vcc
	v_cmp_gt_u32_e32 vcc, 60, v14
	v_add_u32_e32 v8, v8, v10
	v_cndmask_b32_e64 v10, 0, 1, vcc
	v_lshlrev_b32_e32 v10, 2, v10
	v_add_lshl_u32 v18, v10, v50, 2
	ds_bpermute_b32 v10, v18, v8
	v_cmp_le_u32_e32 vcc, v19, v5
	v_add_u32_e32 v57, 16, v14
	v_add_u32_e32 v59, 32, v14
	s_waitcnt lgkmcnt(0)
	v_cndmask_b32_e32 v10, 0, v10, vcc
	v_cmp_gt_u32_e32 vcc, 56, v14
	v_add_u32_e32 v8, v8, v10
	v_cndmask_b32_e64 v10, 0, 1, vcc
	v_lshlrev_b32_e32 v10, 3, v10
	v_add_lshl_u32 v53, v10, v50, 2
	ds_bpermute_b32 v10, v53, v8
	v_cmp_le_u32_e32 vcc, v54, v5
	s_waitcnt lgkmcnt(0)
	v_cndmask_b32_e32 v10, 0, v10, vcc
	v_cmp_gt_u32_e32 vcc, 48, v14
	v_add_u32_e32 v8, v8, v10
	v_cndmask_b32_e64 v10, 0, 1, vcc
	v_lshlrev_b32_e32 v10, 4, v10
	v_add_lshl_u32 v56, v10, v50, 2
	ds_bpermute_b32 v10, v56, v8
	v_cmp_le_u32_e32 vcc, v57, v5
	;; [unrolled: 9-line block ×3, first 2 shown]
	s_waitcnt lgkmcnt(0)
	v_cndmask_b32_e32 v5, 0, v10, vcc
	v_add_u32_e32 v8, v8, v5
	v_mov_b32_e32 v5, 0
	s_branch .LBB1619_53
.LBB1619_52:                            ;   in Loop: Header=BB1619_53 Depth=1
	s_or_b64 exec, exec, s[38:39]
	v_cmp_eq_u16_sdwa s[38:39], v9, v3 src0_sel:BYTE_0 src1_sel:DWORD
	v_and_b32_e32 v10, s39, v7
	v_or_b32_e32 v10, 0x80000000, v10
	ds_bpermute_b32 v60, v15, v8
	v_and_b32_e32 v11, s38, v6
	v_ffbl_b32_e32 v10, v10
	v_add_u32_e32 v10, 32, v10
	v_ffbl_b32_e32 v11, v11
	v_min_u32_e32 v10, v11, v10
	v_cmp_lt_u32_e32 vcc, v14, v10
	s_waitcnt lgkmcnt(0)
	v_cndmask_b32_e32 v11, 0, v60, vcc
	v_add_u32_e32 v8, v11, v8
	ds_bpermute_b32 v11, v16, v8
	v_cmp_le_u32_e32 vcc, v17, v10
	v_subrev_u32_e32 v4, 64, v4
	s_waitcnt lgkmcnt(0)
	v_cndmask_b32_e32 v11, 0, v11, vcc
	v_add_u32_e32 v8, v8, v11
	ds_bpermute_b32 v11, v18, v8
	v_cmp_le_u32_e32 vcc, v19, v10
	s_waitcnt lgkmcnt(0)
	v_cndmask_b32_e32 v11, 0, v11, vcc
	v_add_u32_e32 v8, v8, v11
	ds_bpermute_b32 v11, v53, v8
	v_cmp_le_u32_e32 vcc, v54, v10
	;; [unrolled: 5-line block ×4, first 2 shown]
	s_waitcnt lgkmcnt(0)
	v_cndmask_b32_e32 v10, 0, v11, vcc
	v_add3_u32 v8, v10, v55, v8
.LBB1619_53:                            ; =>This Loop Header: Depth=1
                                        ;     Child Loop BB1619_56 Depth 2
                                        ;       Child Loop BB1619_57 Depth 3
	v_cmp_ne_u16_sdwa s[38:39], v9, v3 src0_sel:BYTE_0 src1_sel:DWORD
	v_cndmask_b32_e64 v9, 0, 1, s[38:39]
	;;#ASMSTART
	;;#ASMEND
	v_cmp_ne_u32_e32 vcc, 0, v9
	s_cmp_lg_u64 vcc, exec
	v_mov_b32_e32 v55, v8
	s_cbranch_scc1 .LBB1619_60
; %bb.54:                               ;   in Loop: Header=BB1619_53 Depth=1
	v_lshlrev_b64 v[8:9], 3, v[4:5]
	v_mov_b32_e32 v11, s35
	v_add_co_u32_e32 v10, vcc, s34, v8
	v_addc_co_u32_e32 v11, vcc, v11, v9, vcc
	global_load_dwordx2 v[8:9], v[10:11], off glc
	s_waitcnt vmcnt(0)
	v_cmp_eq_u16_sdwa s[40:41], v9, v5 src0_sel:BYTE_0 src1_sel:DWORD
	s_and_saveexec_b64 s[38:39], s[40:41]
	s_cbranch_execz .LBB1619_52
; %bb.55:                               ;   in Loop: Header=BB1619_53 Depth=1
	s_mov_b32 s7, 1
	s_mov_b64 s[40:41], 0
.LBB1619_56:                            ;   Parent Loop BB1619_53 Depth=1
                                        ; =>  This Loop Header: Depth=2
                                        ;       Child Loop BB1619_57 Depth 3
	s_max_u32 s43, s7, 1
.LBB1619_57:                            ;   Parent Loop BB1619_53 Depth=1
                                        ;     Parent Loop BB1619_56 Depth=2
                                        ; =>    This Inner Loop Header: Depth=3
	s_add_i32 s43, s43, -1
	s_cmp_eq_u32 s43, 0
	s_sleep 1
	s_cbranch_scc0 .LBB1619_57
; %bb.58:                               ;   in Loop: Header=BB1619_56 Depth=2
	global_load_dwordx2 v[8:9], v[10:11], off glc
	s_cmp_lt_u32 s7, 32
	s_cselect_b64 s[44:45], -1, 0
	s_cmp_lg_u64 s[44:45], 0
	s_addc_u32 s7, s7, 0
	s_waitcnt vmcnt(0)
	v_cmp_ne_u16_sdwa s[44:45], v9, v5 src0_sel:BYTE_0 src1_sel:DWORD
	s_or_b64 s[40:41], s[44:45], s[40:41]
	s_andn2_b64 exec, exec, s[40:41]
	s_cbranch_execnz .LBB1619_56
; %bb.59:                               ;   in Loop: Header=BB1619_53 Depth=1
	s_or_b64 exec, exec, s[40:41]
	s_branch .LBB1619_52
.LBB1619_60:                            ;   in Loop: Header=BB1619_53 Depth=1
                                        ; implicit-def: $vgpr8
                                        ; implicit-def: $vgpr9
	s_cbranch_execz .LBB1619_53
; %bb.61:
	s_and_saveexec_b64 s[38:39], s[16:17]
	s_cbranch_execz .LBB1619_63
; %bb.62:
	s_add_i32 s6, s6, 64
	s_mov_b32 s7, 0
	s_lshl_b64 s[6:7], s[6:7], 3
	s_add_u32 s6, s34, s6
	v_add_u32_e32 v4, v55, v2
	v_mov_b32_e32 v5, 2
	s_addc_u32 s7, s35, s7
	v_mov_b32_e32 v3, 0
	global_store_dwordx2 v3, v[4:5], s[6:7]
	s_movk_i32 s6, 0x3400
	v_add_u32_e64 v3, s6, 0
	ds_write2_b32 v3, v2, v55 offset1:2
.LBB1619_63:
	s_or_b64 exec, exec, s[38:39]
	v_cmp_eq_u32_e32 vcc, 0, v0
	s_and_b64 exec, exec, vcc
	s_cbranch_execz .LBB1619_65
; %bb.64:
	v_mov_b32_e32 v2, 0
	ds_write_b32 v2, v55 offset:12
.LBB1619_65:
	s_or_b64 exec, exec, s[36:37]
	v_mov_b32_e32 v2, 0
	s_waitcnt lgkmcnt(0)
	s_barrier
	ds_read_b32 v2, v2 offset:12
	v_cndmask_b32_e64 v3, v13, v12, s[16:17]
	v_cmp_ne_u32_e32 vcc, 0, v0
	v_cndmask_b32_e32 v3, 0, v3, vcc
	s_movk_i32 s6, 0x3400
	s_waitcnt lgkmcnt(0)
	v_add_u32_e32 v2, v2, v3
	v_add_u32_e32 v3, v2, v41
	;; [unrolled: 1-line block ×8, first 2 shown]
	v_add_u32_e64 v12, s6, 0
	v_add_u32_e32 v10, v9, v39
	s_barrier
	ds_read2_b32 v[18:19], v12 offset1:2
	v_add_u32_e32 v11, v10, v47
	v_add_u32_e32 v12, v11, v48
	;; [unrolled: 1-line block ×4, first 2 shown]
	s_branch .LBB1619_76
.LBB1619_66:
                                        ; implicit-def: $vgpr19
                                        ; implicit-def: $vgpr2_vgpr3_vgpr4_vgpr5_vgpr6_vgpr7_vgpr8_vgpr9_vgpr10_vgpr11_vgpr12_vgpr13_vgpr14_vgpr15_vgpr16_vgpr17
	s_cbranch_execz .LBB1619_76
; %bb.67:
	s_nop 0
	v_mov_b32_dpp v2, v52 row_shr:1 row_mask:0xf bank_mask:0xf
	v_cndmask_b32_e64 v2, v2, 0, s[14:15]
	v_add_u32_e32 v2, v2, v52
	s_nop 1
	v_mov_b32_dpp v3, v2 row_shr:2 row_mask:0xf bank_mask:0xf
	v_cndmask_b32_e64 v3, 0, v3, s[12:13]
	v_add_u32_e32 v2, v2, v3
	s_nop 1
	v_mov_b32_dpp v3, v2 row_shr:4 row_mask:0xf bank_mask:0xf
	v_cndmask_b32_e64 v3, 0, v3, s[10:11]
	v_add_u32_e32 v2, v2, v3
	s_nop 1
	v_mov_b32_dpp v3, v2 row_shr:8 row_mask:0xf bank_mask:0xf
	v_cndmask_b32_e64 v3, 0, v3, s[8:9]
	v_add_u32_e32 v2, v2, v3
	s_nop 1
	v_mov_b32_dpp v3, v2 row_bcast:15 row_mask:0xf bank_mask:0xf
	v_cndmask_b32_e64 v3, v3, 0, s[18:19]
	v_add_u32_e32 v2, v2, v3
	s_nop 1
	v_mov_b32_dpp v3, v2 row_bcast:31 row_mask:0xf bank_mask:0xf
	v_cndmask_b32_e64 v3, 0, v3, s[2:3]
	v_add_u32_e32 v2, v2, v3
	s_and_saveexec_b64 s[2:3], s[4:5]
	s_cbranch_execz .LBB1619_69
; %bb.68:
	v_lshlrev_b32_e32 v3, 2, v51
	ds_write_b32 v3, v2
.LBB1619_69:
	s_or_b64 exec, exec, s[2:3]
	v_cmp_gt_u32_e32 vcc, 4, v0
	s_waitcnt lgkmcnt(0)
	s_barrier
	s_and_saveexec_b64 s[2:3], vcc
	s_cbranch_execz .LBB1619_71
; %bb.70:
	ds_read_b32 v3, v1
	v_and_b32_e32 v4, 3, v50
	v_cmp_ne_u32_e32 vcc, 0, v4
	s_waitcnt lgkmcnt(0)
	v_mov_b32_dpp v5, v3 row_shr:1 row_mask:0xf bank_mask:0xf
	v_cndmask_b32_e32 v5, 0, v5, vcc
	v_add_u32_e32 v3, v5, v3
	v_cmp_lt_u32_e32 vcc, 1, v4
	s_nop 0
	v_mov_b32_dpp v5, v3 row_shr:2 row_mask:0xf bank_mask:0xf
	v_cndmask_b32_e32 v4, 0, v5, vcc
	v_add_u32_e32 v3, v3, v4
	ds_write_b32 v1, v3
.LBB1619_71:
	s_or_b64 exec, exec, s[2:3]
	v_cmp_lt_u32_e32 vcc, 63, v0
	v_mov_b32_e32 v4, 0
	v_mov_b32_e32 v3, 0
	s_waitcnt lgkmcnt(0)
	s_barrier
	s_and_saveexec_b64 s[2:3], vcc
	s_cbranch_execz .LBB1619_73
; %bb.72:
	v_lshl_add_u32 v3, v51, 2, -4
	ds_read_b32 v3, v3
.LBB1619_73:
	s_or_b64 exec, exec, s[2:3]
	v_add_u32_e32 v5, -1, v50
	v_and_b32_e32 v6, 64, v50
	v_cmp_lt_i32_e32 vcc, v5, v6
	v_cndmask_b32_e32 v5, v5, v50, vcc
	s_waitcnt lgkmcnt(0)
	v_add_u32_e32 v2, v3, v2
	v_lshlrev_b32_e32 v5, 2, v5
	ds_bpermute_b32 v2, v5, v2
	ds_read_b32 v18, v4 offset:12
	v_cmp_eq_u32_e32 vcc, 0, v0
	s_and_saveexec_b64 s[2:3], vcc
	s_cbranch_execz .LBB1619_75
; %bb.74:
	v_mov_b32_e32 v4, 0
	v_mov_b32_e32 v19, 2
	s_waitcnt lgkmcnt(0)
	global_store_dwordx2 v4, v[18:19], s[34:35] offset:512
.LBB1619_75:
	s_or_b64 exec, exec, s[2:3]
	v_cmp_eq_u32_e64 s[2:3], 0, v50
	s_waitcnt lgkmcnt(1)
	v_cndmask_b32_e64 v2, v2, v3, s[2:3]
	v_cndmask_b32_e64 v2, v2, 0, vcc
	v_add_u32_e32 v3, v2, v41
	v_add_u32_e32 v4, v3, v42
	;; [unrolled: 1-line block ×11, first 2 shown]
	v_mov_b32_e32 v19, 0
	v_add_u32_e32 v14, v13, v38
	s_waitcnt lgkmcnt(0)
	s_barrier
.LBB1619_76:
	s_waitcnt lgkmcnt(0)
	v_add_u32_e32 v33, v18, v33
	v_sub_u32_e32 v2, v2, v19
	v_and_b32_e32 v42, 1, v37
	v_sub_u32_e32 v41, v33, v2
	v_cmp_eq_u32_e32 vcc, 1, v42
	v_cndmask_b32_e32 v2, v41, v2, vcc
	v_lshlrev_b32_e32 v2, 2, v2
	v_lshrrev_b32_e32 v17, 8, v37
	ds_write_b32 v2, v30
	v_sub_u32_e32 v2, v3, v19
	v_sub_u32_e32 v3, v33, v2
	v_and_b32_e32 v17, 1, v17
	v_add_u32_e32 v3, 1, v3
	v_cmp_eq_u32_e32 vcc, 1, v17
	v_cndmask_b32_e32 v2, v3, v2, vcc
	v_lshlrev_b32_e32 v2, 2, v2
	ds_write_b32 v2, v31
	v_sub_u32_e32 v2, v4, v19
	v_mov_b32_e32 v4, 1
	v_sub_u32_e32 v3, v33, v2
	v_and_b32_sdwa v17, v4, v37 dst_sel:DWORD dst_unused:UNUSED_PAD src0_sel:DWORD src1_sel:WORD_1
	v_add_u32_e32 v3, 2, v3
	v_cmp_eq_u32_e32 vcc, 1, v17
	v_cndmask_b32_e32 v2, v3, v2, vcc
	v_lshlrev_b32_e32 v2, 2, v2
	ds_write_b32 v2, v28
	v_sub_u32_e32 v2, v5, v19
	v_sub_u32_e32 v3, v33, v2
	v_and_b32_e32 v5, 1, v40
	v_add_u32_e32 v3, 3, v3
	v_cmp_eq_u32_e32 vcc, 1, v5
	v_cndmask_b32_e32 v2, v3, v2, vcc
	v_lshlrev_b32_e32 v2, 2, v2
	ds_write_b32 v2, v29
	v_sub_u32_e32 v2, v6, v19
	v_sub_u32_e32 v3, v33, v2
	v_and_b32_e32 v5, 1, v36
	v_add_u32_e32 v3, 4, v3
	v_cmp_eq_u32_e32 vcc, 1, v5
	v_cndmask_b32_e32 v2, v3, v2, vcc
	v_lshlrev_b32_e32 v2, 2, v2
	v_lshrrev_b32_e32 v16, 8, v36
	ds_write_b32 v2, v26
	v_sub_u32_e32 v2, v7, v19
	v_sub_u32_e32 v3, v33, v2
	v_and_b32_e32 v5, 1, v16
	v_add_u32_e32 v3, 5, v3
	v_cmp_eq_u32_e32 vcc, 1, v5
	v_cndmask_b32_e32 v2, v3, v2, vcc
	v_lshlrev_b32_e32 v2, 2, v2
	ds_write_b32 v2, v27
	v_sub_u32_e32 v2, v8, v19
	v_sub_u32_e32 v3, v33, v2
	v_and_b32_sdwa v5, v4, v36 dst_sel:DWORD dst_unused:UNUSED_PAD src0_sel:DWORD src1_sel:WORD_1
	v_add_u32_e32 v3, 6, v3
	v_cmp_eq_u32_e32 vcc, 1, v5
	v_cndmask_b32_e32 v2, v3, v2, vcc
	v_lshlrev_b32_e32 v2, 2, v2
	ds_write_b32 v2, v24
	v_sub_u32_e32 v2, v9, v19
	v_sub_u32_e32 v3, v33, v2
	v_and_b32_e32 v5, 1, v39
	v_add_u32_e32 v3, 7, v3
	v_cmp_eq_u32_e32 vcc, 1, v5
	v_cndmask_b32_e32 v2, v3, v2, vcc
	v_lshlrev_b32_e32 v2, 2, v2
	ds_write_b32 v2, v25
	v_sub_u32_e32 v2, v10, v19
	v_sub_u32_e32 v3, v33, v2
	v_and_b32_e32 v5, 1, v35
	v_add_u32_e32 v3, 8, v3
	v_cmp_eq_u32_e32 vcc, 1, v5
	v_cndmask_b32_e32 v2, v3, v2, vcc
	v_lshlrev_b32_e32 v2, 2, v2
	v_lshrrev_b32_e32 v15, 8, v35
	ds_write_b32 v2, v22
	v_sub_u32_e32 v2, v11, v19
	v_sub_u32_e32 v3, v33, v2
	v_and_b32_e32 v5, 1, v15
	v_add_u32_e32 v3, 9, v3
	v_cmp_eq_u32_e32 vcc, 1, v5
	v_cndmask_b32_e32 v2, v3, v2, vcc
	v_lshlrev_b32_e32 v2, 2, v2
	ds_write_b32 v2, v23
	v_sub_u32_e32 v2, v12, v19
	v_sub_u32_e32 v3, v33, v2
	v_and_b32_sdwa v4, v4, v35 dst_sel:DWORD dst_unused:UNUSED_PAD src0_sel:DWORD src1_sel:WORD_1
	v_add_u32_e32 v3, 10, v3
	v_cmp_eq_u32_e32 vcc, 1, v4
	v_cndmask_b32_e32 v2, v3, v2, vcc
	v_lshlrev_b32_e32 v2, 2, v2
	ds_write_b32 v2, v20
	v_sub_u32_e32 v2, v13, v19
	v_sub_u32_e32 v3, v33, v2
	v_and_b32_e32 v4, 1, v38
	v_add_u32_e32 v3, 11, v3
	v_cmp_eq_u32_e32 vcc, 1, v4
	v_cndmask_b32_e32 v2, v3, v2, vcc
	v_lshlrev_b32_e32 v2, 2, v2
	ds_write_b32 v2, v21
	v_sub_u32_e32 v2, v14, v19
	v_sub_u32_e32 v3, v33, v2
	v_and_b32_e32 v4, 1, v34
	v_add_u32_e32 v3, 12, v3
	v_cmp_eq_u32_e32 vcc, 1, v4
	v_cndmask_b32_e32 v2, v3, v2, vcc
	s_add_u32 s2, s28, s42
	v_lshlrev_b32_e32 v2, 2, v2
	s_addc_u32 s3, s29, 0
	ds_write_b32 v2, v32
	s_waitcnt lgkmcnt(0)
	s_barrier
	ds_read2st64_b32 v[12:13], v1 offset1:4
	ds_read2st64_b32 v[10:11], v1 offset0:8 offset1:12
	ds_read2st64_b32 v[8:9], v1 offset0:16 offset1:20
	ds_read2st64_b32 v[6:7], v1 offset0:24 offset1:28
	ds_read2st64_b32 v[4:5], v1 offset0:32 offset1:36
	ds_read2st64_b32 v[2:3], v1 offset0:40 offset1:44
	ds_read_b32 v17, v1 offset:12288
	v_mov_b32_e32 v14, s31
	v_add_co_u32_e32 v1, vcc, s30, v19
	s_sub_u32 s2, s26, s2
	v_addc_co_u32_e32 v16, vcc, 0, v14, vcc
	s_subb_u32 s3, s27, s3
	v_mov_b32_e32 v14, s3
	v_add_co_u32_e32 v15, vcc, s2, v18
	v_addc_co_u32_e32 v14, vcc, 0, v14, vcc
	s_and_b64 vcc, exec, s[0:1]
	v_add_co_u32_e64 v19, s[0:1], v15, v1
	v_or_b32_e32 v32, 0x100, v0
	v_or_b32_e32 v31, 0x200, v0
	;; [unrolled: 1-line block ×12, first 2 shown]
	v_addc_co_u32_e64 v21, s[0:1], v14, v16, s[0:1]
	s_cbranch_vccnz .LBB1619_130
; %bb.77:
	v_cmp_ge_u32_e32 vcc, v0, v18
                                        ; implicit-def: $vgpr14_vgpr15
	s_and_saveexec_b64 s[0:1], vcc
	s_xor_b64 s[0:1], exec, s[0:1]
; %bb.78:
	v_not_b32_e32 v14, v0
	v_ashrrev_i32_e32 v15, 31, v14
	v_add_co_u32_e32 v14, vcc, v19, v14
	v_addc_co_u32_e32 v15, vcc, v21, v15, vcc
; %bb.79:
	s_andn2_saveexec_b64 s[0:1], s[0:1]
; %bb.80:
	v_add_co_u32_e32 v14, vcc, v1, v0
	v_addc_co_u32_e32 v15, vcc, 0, v16, vcc
; %bb.81:
	s_or_b64 exec, exec, s[0:1]
	v_lshlrev_b64 v[14:15], 2, v[14:15]
	v_mov_b32_e32 v33, s25
	v_add_co_u32_e32 v14, vcc, s24, v14
	v_addc_co_u32_e32 v15, vcc, v33, v15, vcc
	v_cmp_ge_u32_e32 vcc, v32, v18
	s_waitcnt lgkmcnt(6)
	global_store_dword v[14:15], v12, off
                                        ; implicit-def: $vgpr14_vgpr15
	s_and_saveexec_b64 s[0:1], vcc
	s_xor_b64 s[0:1], exec, s[0:1]
; %bb.82:
	v_xor_b32_e32 v14, 0xfffffeff, v0
	v_ashrrev_i32_e32 v15, 31, v14
	v_add_co_u32_e32 v14, vcc, v19, v14
	v_addc_co_u32_e32 v15, vcc, v21, v15, vcc
; %bb.83:
	s_andn2_saveexec_b64 s[0:1], s[0:1]
; %bb.84:
	v_add_co_u32_e32 v14, vcc, v1, v32
	v_addc_co_u32_e32 v15, vcc, 0, v16, vcc
; %bb.85:
	s_or_b64 exec, exec, s[0:1]
	v_lshlrev_b64 v[14:15], 2, v[14:15]
	v_mov_b32_e32 v33, s25
	v_add_co_u32_e32 v14, vcc, s24, v14
	v_addc_co_u32_e32 v15, vcc, v33, v15, vcc
	v_cmp_ge_u32_e32 vcc, v31, v18
	global_store_dword v[14:15], v13, off
                                        ; implicit-def: $vgpr14_vgpr15
	s_and_saveexec_b64 s[0:1], vcc
	s_xor_b64 s[0:1], exec, s[0:1]
; %bb.86:
	v_xor_b32_e32 v14, 0xfffffdff, v0
	v_ashrrev_i32_e32 v15, 31, v14
	v_add_co_u32_e32 v14, vcc, v19, v14
	v_addc_co_u32_e32 v15, vcc, v21, v15, vcc
; %bb.87:
	s_andn2_saveexec_b64 s[0:1], s[0:1]
; %bb.88:
	v_add_co_u32_e32 v14, vcc, v1, v31
	v_addc_co_u32_e32 v15, vcc, 0, v16, vcc
; %bb.89:
	s_or_b64 exec, exec, s[0:1]
	v_lshlrev_b64 v[14:15], 2, v[14:15]
	v_mov_b32_e32 v33, s25
	v_add_co_u32_e32 v14, vcc, s24, v14
	v_addc_co_u32_e32 v15, vcc, v33, v15, vcc
	v_cmp_ge_u32_e32 vcc, v30, v18
	s_waitcnt lgkmcnt(5)
	global_store_dword v[14:15], v10, off
                                        ; implicit-def: $vgpr14_vgpr15
	s_and_saveexec_b64 s[0:1], vcc
	s_xor_b64 s[0:1], exec, s[0:1]
; %bb.90:
	v_xor_b32_e32 v14, 0xfffffcff, v0
	v_ashrrev_i32_e32 v15, 31, v14
	v_add_co_u32_e32 v14, vcc, v19, v14
	v_addc_co_u32_e32 v15, vcc, v21, v15, vcc
; %bb.91:
	s_andn2_saveexec_b64 s[0:1], s[0:1]
; %bb.92:
	v_add_co_u32_e32 v14, vcc, v1, v30
	v_addc_co_u32_e32 v15, vcc, 0, v16, vcc
; %bb.93:
	s_or_b64 exec, exec, s[0:1]
	v_lshlrev_b64 v[14:15], 2, v[14:15]
	v_mov_b32_e32 v33, s25
	v_add_co_u32_e32 v14, vcc, s24, v14
	v_addc_co_u32_e32 v15, vcc, v33, v15, vcc
	v_cmp_ge_u32_e32 vcc, v29, v18
	global_store_dword v[14:15], v11, off
                                        ; implicit-def: $vgpr14_vgpr15
	s_and_saveexec_b64 s[0:1], vcc
	s_xor_b64 s[0:1], exec, s[0:1]
; %bb.94:
	v_xor_b32_e32 v14, 0xfffffbff, v0
	;; [unrolled: 43-line block ×6, first 2 shown]
	v_ashrrev_i32_e32 v15, 31, v14
	v_add_co_u32_e32 v14, vcc, v19, v14
	v_addc_co_u32_e32 v15, vcc, v21, v15, vcc
; %bb.127:
	s_andn2_saveexec_b64 s[0:1], s[0:1]
; %bb.128:
	v_add_co_u32_e32 v14, vcc, v1, v20
	v_addc_co_u32_e32 v15, vcc, 0, v16, vcc
; %bb.129:
	s_or_b64 exec, exec, s[0:1]
	s_mov_b64 s[0:1], -1
	s_branch .LBB1619_210
.LBB1619_130:
	s_mov_b64 s[0:1], 0
                                        ; implicit-def: $vgpr14_vgpr15
	s_cbranch_execz .LBB1619_210
; %bb.131:
	v_cmp_gt_u32_e32 vcc, s33, v0
	s_and_saveexec_b64 s[2:3], vcc
	s_cbranch_execz .LBB1619_167
; %bb.132:
	v_cmp_ge_u32_e32 vcc, v0, v18
                                        ; implicit-def: $vgpr14_vgpr15
	s_and_saveexec_b64 s[4:5], vcc
	s_xor_b64 s[4:5], exec, s[4:5]
; %bb.133:
	v_not_b32_e32 v14, v0
	v_ashrrev_i32_e32 v15, 31, v14
	v_add_co_u32_e32 v14, vcc, v19, v14
	v_addc_co_u32_e32 v15, vcc, v21, v15, vcc
; %bb.134:
	s_andn2_saveexec_b64 s[4:5], s[4:5]
; %bb.135:
	v_add_co_u32_e32 v14, vcc, v1, v0
	v_addc_co_u32_e32 v15, vcc, 0, v16, vcc
; %bb.136:
	s_or_b64 exec, exec, s[4:5]
	v_lshlrev_b64 v[14:15], 2, v[14:15]
	v_mov_b32_e32 v33, s25
	v_add_co_u32_e32 v14, vcc, s24, v14
	v_addc_co_u32_e32 v15, vcc, v33, v15, vcc
	s_waitcnt lgkmcnt(6)
	global_store_dword v[14:15], v12, off
	s_or_b64 exec, exec, s[2:3]
	v_cmp_gt_u32_e32 vcc, s33, v32
	s_and_saveexec_b64 s[2:3], vcc
	s_cbranch_execnz .LBB1619_168
.LBB1619_137:
	s_or_b64 exec, exec, s[2:3]
	v_cmp_gt_u32_e32 vcc, s33, v31
	s_and_saveexec_b64 s[2:3], vcc
	s_cbranch_execz .LBB1619_173
.LBB1619_138:
	v_cmp_ge_u32_e32 vcc, v31, v18
                                        ; implicit-def: $vgpr12_vgpr13
	s_and_saveexec_b64 s[4:5], vcc
	s_xor_b64 s[4:5], exec, s[4:5]
	s_cbranch_execz .LBB1619_140
; %bb.139:
	s_waitcnt lgkmcnt(6)
	v_xor_b32_e32 v12, 0xfffffdff, v0
	v_ashrrev_i32_e32 v13, 31, v12
	v_add_co_u32_e32 v12, vcc, v19, v12
	v_addc_co_u32_e32 v13, vcc, v21, v13, vcc
                                        ; implicit-def: $vgpr31
.LBB1619_140:
	s_andn2_saveexec_b64 s[4:5], s[4:5]
	s_cbranch_execz .LBB1619_142
; %bb.141:
	s_waitcnt lgkmcnt(6)
	v_add_co_u32_e32 v12, vcc, v1, v31
	v_addc_co_u32_e32 v13, vcc, 0, v16, vcc
.LBB1619_142:
	s_or_b64 exec, exec, s[4:5]
	s_waitcnt lgkmcnt(6)
	v_lshlrev_b64 v[12:13], 2, v[12:13]
	v_mov_b32_e32 v14, s25
	v_add_co_u32_e32 v12, vcc, s24, v12
	v_addc_co_u32_e32 v13, vcc, v14, v13, vcc
	s_waitcnt lgkmcnt(5)
	global_store_dword v[12:13], v10, off
	s_or_b64 exec, exec, s[2:3]
	v_cmp_gt_u32_e32 vcc, s33, v30
	s_and_saveexec_b64 s[2:3], vcc
	s_cbranch_execnz .LBB1619_174
.LBB1619_143:
	s_or_b64 exec, exec, s[2:3]
	v_cmp_gt_u32_e32 vcc, s33, v29
	s_and_saveexec_b64 s[2:3], vcc
	s_cbranch_execz .LBB1619_179
.LBB1619_144:
	v_cmp_ge_u32_e32 vcc, v29, v18
                                        ; implicit-def: $vgpr10_vgpr11
	s_and_saveexec_b64 s[4:5], vcc
	s_xor_b64 s[4:5], exec, s[4:5]
	s_cbranch_execz .LBB1619_146
; %bb.145:
	s_waitcnt lgkmcnt(5)
	v_xor_b32_e32 v10, 0xfffffbff, v0
	v_ashrrev_i32_e32 v11, 31, v10
	v_add_co_u32_e32 v10, vcc, v19, v10
	v_addc_co_u32_e32 v11, vcc, v21, v11, vcc
                                        ; implicit-def: $vgpr29
.LBB1619_146:
	s_andn2_saveexec_b64 s[4:5], s[4:5]
	s_cbranch_execz .LBB1619_148
; %bb.147:
	s_waitcnt lgkmcnt(5)
	v_add_co_u32_e32 v10, vcc, v1, v29
	v_addc_co_u32_e32 v11, vcc, 0, v16, vcc
.LBB1619_148:
	s_or_b64 exec, exec, s[4:5]
	s_waitcnt lgkmcnt(5)
	v_lshlrev_b64 v[10:11], 2, v[10:11]
	v_mov_b32_e32 v12, s25
	v_add_co_u32_e32 v10, vcc, s24, v10
	v_addc_co_u32_e32 v11, vcc, v12, v11, vcc
	s_waitcnt lgkmcnt(4)
	global_store_dword v[10:11], v8, off
	s_or_b64 exec, exec, s[2:3]
	v_cmp_gt_u32_e32 vcc, s33, v28
	s_and_saveexec_b64 s[2:3], vcc
	s_cbranch_execnz .LBB1619_180
.LBB1619_149:
	s_or_b64 exec, exec, s[2:3]
	v_cmp_gt_u32_e32 vcc, s33, v27
	s_and_saveexec_b64 s[2:3], vcc
	s_cbranch_execz .LBB1619_185
.LBB1619_150:
	v_cmp_ge_u32_e32 vcc, v27, v18
                                        ; implicit-def: $vgpr8_vgpr9
	s_and_saveexec_b64 s[4:5], vcc
	s_xor_b64 s[4:5], exec, s[4:5]
	s_cbranch_execz .LBB1619_152
; %bb.151:
	s_waitcnt lgkmcnt(4)
	v_xor_b32_e32 v8, 0xfffff9ff, v0
	v_ashrrev_i32_e32 v9, 31, v8
	v_add_co_u32_e32 v8, vcc, v19, v8
	v_addc_co_u32_e32 v9, vcc, v21, v9, vcc
                                        ; implicit-def: $vgpr27
.LBB1619_152:
	s_andn2_saveexec_b64 s[4:5], s[4:5]
	s_cbranch_execz .LBB1619_154
; %bb.153:
	s_waitcnt lgkmcnt(4)
	v_add_co_u32_e32 v8, vcc, v1, v27
	v_addc_co_u32_e32 v9, vcc, 0, v16, vcc
.LBB1619_154:
	s_or_b64 exec, exec, s[4:5]
	s_waitcnt lgkmcnt(4)
	v_lshlrev_b64 v[8:9], 2, v[8:9]
	v_mov_b32_e32 v10, s25
	v_add_co_u32_e32 v8, vcc, s24, v8
	v_addc_co_u32_e32 v9, vcc, v10, v9, vcc
	s_waitcnt lgkmcnt(3)
	global_store_dword v[8:9], v6, off
	s_or_b64 exec, exec, s[2:3]
	v_cmp_gt_u32_e32 vcc, s33, v26
	s_and_saveexec_b64 s[2:3], vcc
	s_cbranch_execnz .LBB1619_186
.LBB1619_155:
	s_or_b64 exec, exec, s[2:3]
	v_cmp_gt_u32_e32 vcc, s33, v25
	s_and_saveexec_b64 s[2:3], vcc
	s_cbranch_execz .LBB1619_191
.LBB1619_156:
	v_cmp_ge_u32_e32 vcc, v25, v18
                                        ; implicit-def: $vgpr6_vgpr7
	s_and_saveexec_b64 s[4:5], vcc
	s_xor_b64 s[4:5], exec, s[4:5]
	s_cbranch_execz .LBB1619_158
; %bb.157:
	s_waitcnt lgkmcnt(3)
	v_xor_b32_e32 v6, 0xfffff7ff, v0
	v_ashrrev_i32_e32 v7, 31, v6
	v_add_co_u32_e32 v6, vcc, v19, v6
	v_addc_co_u32_e32 v7, vcc, v21, v7, vcc
                                        ; implicit-def: $vgpr25
.LBB1619_158:
	s_andn2_saveexec_b64 s[4:5], s[4:5]
	s_cbranch_execz .LBB1619_160
; %bb.159:
	s_waitcnt lgkmcnt(3)
	v_add_co_u32_e32 v6, vcc, v1, v25
	v_addc_co_u32_e32 v7, vcc, 0, v16, vcc
.LBB1619_160:
	s_or_b64 exec, exec, s[4:5]
	s_waitcnt lgkmcnt(3)
	v_lshlrev_b64 v[6:7], 2, v[6:7]
	v_mov_b32_e32 v8, s25
	v_add_co_u32_e32 v6, vcc, s24, v6
	v_addc_co_u32_e32 v7, vcc, v8, v7, vcc
	s_waitcnt lgkmcnt(2)
	global_store_dword v[6:7], v4, off
	s_or_b64 exec, exec, s[2:3]
	v_cmp_gt_u32_e32 vcc, s33, v24
	s_and_saveexec_b64 s[2:3], vcc
	s_cbranch_execnz .LBB1619_192
.LBB1619_161:
	s_or_b64 exec, exec, s[2:3]
	v_cmp_gt_u32_e32 vcc, s33, v23
	s_and_saveexec_b64 s[2:3], vcc
	s_cbranch_execz .LBB1619_197
.LBB1619_162:
	v_cmp_ge_u32_e32 vcc, v23, v18
                                        ; implicit-def: $vgpr4_vgpr5
	s_and_saveexec_b64 s[4:5], vcc
	s_xor_b64 s[4:5], exec, s[4:5]
	s_cbranch_execz .LBB1619_164
; %bb.163:
	s_waitcnt lgkmcnt(2)
	v_xor_b32_e32 v4, 0xfffff5ff, v0
	v_ashrrev_i32_e32 v5, 31, v4
	v_add_co_u32_e32 v4, vcc, v19, v4
	v_addc_co_u32_e32 v5, vcc, v21, v5, vcc
                                        ; implicit-def: $vgpr23
.LBB1619_164:
	s_andn2_saveexec_b64 s[4:5], s[4:5]
	s_cbranch_execz .LBB1619_166
; %bb.165:
	s_waitcnt lgkmcnt(2)
	v_add_co_u32_e32 v4, vcc, v1, v23
	v_addc_co_u32_e32 v5, vcc, 0, v16, vcc
.LBB1619_166:
	s_or_b64 exec, exec, s[4:5]
	s_waitcnt lgkmcnt(2)
	v_lshlrev_b64 v[4:5], 2, v[4:5]
	v_mov_b32_e32 v6, s25
	v_add_co_u32_e32 v4, vcc, s24, v4
	v_addc_co_u32_e32 v5, vcc, v6, v5, vcc
	s_waitcnt lgkmcnt(1)
	global_store_dword v[4:5], v2, off
	s_or_b64 exec, exec, s[2:3]
	v_cmp_gt_u32_e32 vcc, s33, v22
	s_and_saveexec_b64 s[2:3], vcc
	s_cbranch_execz .LBB1619_203
	s_branch .LBB1619_198
.LBB1619_167:
	s_or_b64 exec, exec, s[2:3]
	v_cmp_gt_u32_e32 vcc, s33, v32
	s_and_saveexec_b64 s[2:3], vcc
	s_cbranch_execz .LBB1619_137
.LBB1619_168:
	v_cmp_ge_u32_e32 vcc, v32, v18
                                        ; implicit-def: $vgpr14_vgpr15
	s_and_saveexec_b64 s[4:5], vcc
	s_xor_b64 s[4:5], exec, s[4:5]
	s_cbranch_execz .LBB1619_170
; %bb.169:
	s_waitcnt lgkmcnt(6)
	v_xor_b32_e32 v12, 0xfffffeff, v0
	v_ashrrev_i32_e32 v15, 31, v12
	v_add_co_u32_e32 v14, vcc, v19, v12
	v_addc_co_u32_e32 v15, vcc, v21, v15, vcc
                                        ; implicit-def: $vgpr32
.LBB1619_170:
	s_andn2_saveexec_b64 s[4:5], s[4:5]
; %bb.171:
	v_add_co_u32_e32 v14, vcc, v1, v32
	v_addc_co_u32_e32 v15, vcc, 0, v16, vcc
; %bb.172:
	s_or_b64 exec, exec, s[4:5]
	v_lshlrev_b64 v[14:15], 2, v[14:15]
	s_waitcnt lgkmcnt(6)
	v_mov_b32_e32 v12, s25
	v_add_co_u32_e32 v14, vcc, s24, v14
	v_addc_co_u32_e32 v15, vcc, v12, v15, vcc
	global_store_dword v[14:15], v13, off
	s_or_b64 exec, exec, s[2:3]
	v_cmp_gt_u32_e32 vcc, s33, v31
	s_and_saveexec_b64 s[2:3], vcc
	s_cbranch_execnz .LBB1619_138
.LBB1619_173:
	s_or_b64 exec, exec, s[2:3]
	v_cmp_gt_u32_e32 vcc, s33, v30
	s_and_saveexec_b64 s[2:3], vcc
	s_cbranch_execz .LBB1619_143
.LBB1619_174:
	v_cmp_ge_u32_e32 vcc, v30, v18
                                        ; implicit-def: $vgpr12_vgpr13
	s_and_saveexec_b64 s[4:5], vcc
	s_xor_b64 s[4:5], exec, s[4:5]
	s_cbranch_execz .LBB1619_176
; %bb.175:
	s_waitcnt lgkmcnt(5)
	v_xor_b32_e32 v10, 0xfffffcff, v0
	v_ashrrev_i32_e32 v13, 31, v10
	v_add_co_u32_e32 v12, vcc, v19, v10
	v_addc_co_u32_e32 v13, vcc, v21, v13, vcc
                                        ; implicit-def: $vgpr30
.LBB1619_176:
	s_andn2_saveexec_b64 s[4:5], s[4:5]
	s_cbranch_execz .LBB1619_178
; %bb.177:
	s_waitcnt lgkmcnt(6)
	v_add_co_u32_e32 v12, vcc, v1, v30
	v_addc_co_u32_e32 v13, vcc, 0, v16, vcc
.LBB1619_178:
	s_or_b64 exec, exec, s[4:5]
	s_waitcnt lgkmcnt(6)
	v_lshlrev_b64 v[12:13], 2, v[12:13]
	s_waitcnt lgkmcnt(5)
	v_mov_b32_e32 v10, s25
	v_add_co_u32_e32 v12, vcc, s24, v12
	v_addc_co_u32_e32 v13, vcc, v10, v13, vcc
	global_store_dword v[12:13], v11, off
	s_or_b64 exec, exec, s[2:3]
	v_cmp_gt_u32_e32 vcc, s33, v29
	s_and_saveexec_b64 s[2:3], vcc
	s_cbranch_execnz .LBB1619_144
.LBB1619_179:
	s_or_b64 exec, exec, s[2:3]
	v_cmp_gt_u32_e32 vcc, s33, v28
	s_and_saveexec_b64 s[2:3], vcc
	s_cbranch_execz .LBB1619_149
.LBB1619_180:
	v_cmp_ge_u32_e32 vcc, v28, v18
                                        ; implicit-def: $vgpr10_vgpr11
	s_and_saveexec_b64 s[4:5], vcc
	s_xor_b64 s[4:5], exec, s[4:5]
	s_cbranch_execz .LBB1619_182
; %bb.181:
	s_waitcnt lgkmcnt(4)
	v_xor_b32_e32 v8, 0xfffffaff, v0
	v_ashrrev_i32_e32 v11, 31, v8
	v_add_co_u32_e32 v10, vcc, v19, v8
	v_addc_co_u32_e32 v11, vcc, v21, v11, vcc
                                        ; implicit-def: $vgpr28
.LBB1619_182:
	s_andn2_saveexec_b64 s[4:5], s[4:5]
	s_cbranch_execz .LBB1619_184
; %bb.183:
	s_waitcnt lgkmcnt(5)
	v_add_co_u32_e32 v10, vcc, v1, v28
	v_addc_co_u32_e32 v11, vcc, 0, v16, vcc
.LBB1619_184:
	s_or_b64 exec, exec, s[4:5]
	s_waitcnt lgkmcnt(5)
	v_lshlrev_b64 v[10:11], 2, v[10:11]
	s_waitcnt lgkmcnt(4)
	v_mov_b32_e32 v8, s25
	v_add_co_u32_e32 v10, vcc, s24, v10
	v_addc_co_u32_e32 v11, vcc, v8, v11, vcc
	global_store_dword v[10:11], v9, off
	s_or_b64 exec, exec, s[2:3]
	v_cmp_gt_u32_e32 vcc, s33, v27
	s_and_saveexec_b64 s[2:3], vcc
	s_cbranch_execnz .LBB1619_150
.LBB1619_185:
	s_or_b64 exec, exec, s[2:3]
	v_cmp_gt_u32_e32 vcc, s33, v26
	s_and_saveexec_b64 s[2:3], vcc
	s_cbranch_execz .LBB1619_155
.LBB1619_186:
	v_cmp_ge_u32_e32 vcc, v26, v18
                                        ; implicit-def: $vgpr8_vgpr9
	s_and_saveexec_b64 s[4:5], vcc
	s_xor_b64 s[4:5], exec, s[4:5]
	s_cbranch_execz .LBB1619_188
; %bb.187:
	s_waitcnt lgkmcnt(3)
	v_xor_b32_e32 v6, 0xfffff8ff, v0
	v_ashrrev_i32_e32 v9, 31, v6
	v_add_co_u32_e32 v8, vcc, v19, v6
	v_addc_co_u32_e32 v9, vcc, v21, v9, vcc
                                        ; implicit-def: $vgpr26
.LBB1619_188:
	s_andn2_saveexec_b64 s[4:5], s[4:5]
	s_cbranch_execz .LBB1619_190
; %bb.189:
	s_waitcnt lgkmcnt(4)
	v_add_co_u32_e32 v8, vcc, v1, v26
	v_addc_co_u32_e32 v9, vcc, 0, v16, vcc
.LBB1619_190:
	s_or_b64 exec, exec, s[4:5]
	s_waitcnt lgkmcnt(4)
	v_lshlrev_b64 v[8:9], 2, v[8:9]
	s_waitcnt lgkmcnt(3)
	v_mov_b32_e32 v6, s25
	v_add_co_u32_e32 v8, vcc, s24, v8
	v_addc_co_u32_e32 v9, vcc, v6, v9, vcc
	global_store_dword v[8:9], v7, off
	s_or_b64 exec, exec, s[2:3]
	v_cmp_gt_u32_e32 vcc, s33, v25
	s_and_saveexec_b64 s[2:3], vcc
	s_cbranch_execnz .LBB1619_156
.LBB1619_191:
	s_or_b64 exec, exec, s[2:3]
	v_cmp_gt_u32_e32 vcc, s33, v24
	s_and_saveexec_b64 s[2:3], vcc
	s_cbranch_execz .LBB1619_161
.LBB1619_192:
	v_cmp_ge_u32_e32 vcc, v24, v18
                                        ; implicit-def: $vgpr6_vgpr7
	s_and_saveexec_b64 s[4:5], vcc
	s_xor_b64 s[4:5], exec, s[4:5]
	s_cbranch_execz .LBB1619_194
; %bb.193:
	s_waitcnt lgkmcnt(2)
	v_xor_b32_e32 v4, 0xfffff6ff, v0
	v_ashrrev_i32_e32 v7, 31, v4
	v_add_co_u32_e32 v6, vcc, v19, v4
	v_addc_co_u32_e32 v7, vcc, v21, v7, vcc
                                        ; implicit-def: $vgpr24
.LBB1619_194:
	s_andn2_saveexec_b64 s[4:5], s[4:5]
	s_cbranch_execz .LBB1619_196
; %bb.195:
	s_waitcnt lgkmcnt(3)
	v_add_co_u32_e32 v6, vcc, v1, v24
	v_addc_co_u32_e32 v7, vcc, 0, v16, vcc
.LBB1619_196:
	s_or_b64 exec, exec, s[4:5]
	s_waitcnt lgkmcnt(3)
	v_lshlrev_b64 v[6:7], 2, v[6:7]
	s_waitcnt lgkmcnt(2)
	v_mov_b32_e32 v4, s25
	v_add_co_u32_e32 v6, vcc, s24, v6
	v_addc_co_u32_e32 v7, vcc, v4, v7, vcc
	global_store_dword v[6:7], v5, off
	s_or_b64 exec, exec, s[2:3]
	v_cmp_gt_u32_e32 vcc, s33, v23
	s_and_saveexec_b64 s[2:3], vcc
	s_cbranch_execnz .LBB1619_162
.LBB1619_197:
	s_or_b64 exec, exec, s[2:3]
	v_cmp_gt_u32_e32 vcc, s33, v22
	s_and_saveexec_b64 s[2:3], vcc
	s_cbranch_execz .LBB1619_203
.LBB1619_198:
	v_cmp_ge_u32_e32 vcc, v22, v18
                                        ; implicit-def: $vgpr4_vgpr5
	s_and_saveexec_b64 s[4:5], vcc
	s_xor_b64 s[4:5], exec, s[4:5]
	s_cbranch_execz .LBB1619_200
; %bb.199:
	s_waitcnt lgkmcnt(1)
	v_xor_b32_e32 v2, 0xfffff4ff, v0
	v_ashrrev_i32_e32 v5, 31, v2
	v_add_co_u32_e32 v4, vcc, v19, v2
	v_addc_co_u32_e32 v5, vcc, v21, v5, vcc
                                        ; implicit-def: $vgpr22
.LBB1619_200:
	s_andn2_saveexec_b64 s[4:5], s[4:5]
	s_cbranch_execz .LBB1619_202
; %bb.201:
	s_waitcnt lgkmcnt(2)
	v_add_co_u32_e32 v4, vcc, v1, v22
	v_addc_co_u32_e32 v5, vcc, 0, v16, vcc
.LBB1619_202:
	s_or_b64 exec, exec, s[4:5]
	s_waitcnt lgkmcnt(2)
	v_lshlrev_b64 v[4:5], 2, v[4:5]
	s_waitcnt lgkmcnt(1)
	v_mov_b32_e32 v2, s25
	v_add_co_u32_e32 v4, vcc, s24, v4
	v_addc_co_u32_e32 v5, vcc, v2, v5, vcc
	global_store_dword v[4:5], v3, off
.LBB1619_203:
	s_or_b64 exec, exec, s[2:3]
	v_cmp_gt_u32_e32 vcc, s33, v20
                                        ; implicit-def: $vgpr14_vgpr15
	s_and_saveexec_b64 s[2:3], vcc
	s_cbranch_execz .LBB1619_209
; %bb.204:
	v_cmp_ge_u32_e32 vcc, v20, v18
                                        ; implicit-def: $vgpr14_vgpr15
	s_and_saveexec_b64 s[4:5], vcc
	s_xor_b64 s[4:5], exec, s[4:5]
	s_cbranch_execz .LBB1619_206
; %bb.205:
	s_waitcnt lgkmcnt(1)
	v_xor_b32_e32 v2, 0xfffff3ff, v0
	v_ashrrev_i32_e32 v3, 31, v2
	v_add_co_u32_e32 v14, vcc, v19, v2
	v_addc_co_u32_e32 v15, vcc, v21, v3, vcc
                                        ; implicit-def: $vgpr20
.LBB1619_206:
	s_andn2_saveexec_b64 s[4:5], s[4:5]
; %bb.207:
	v_add_co_u32_e32 v14, vcc, v1, v20
	v_addc_co_u32_e32 v15, vcc, 0, v16, vcc
; %bb.208:
	s_or_b64 exec, exec, s[4:5]
	s_or_b64 s[0:1], s[0:1], exec
.LBB1619_209:
	s_or_b64 exec, exec, s[2:3]
.LBB1619_210:
	s_and_saveexec_b64 s[2:3], s[0:1]
	s_cbranch_execz .LBB1619_212
; %bb.211:
	s_waitcnt lgkmcnt(1)
	v_lshlrev_b64 v[2:3], 2, v[14:15]
	v_mov_b32_e32 v4, s25
	v_add_co_u32_e32 v2, vcc, s24, v2
	v_addc_co_u32_e32 v3, vcc, v4, v3, vcc
	s_waitcnt lgkmcnt(0)
	global_store_dword v[2:3], v17, off
.LBB1619_212:
	s_or_b64 exec, exec, s[2:3]
	v_cmp_eq_u32_e32 vcc, 0, v0
	s_and_b64 s[0:1], vcc, s[22:23]
	s_and_saveexec_b64 s[2:3], s[0:1]
	s_cbranch_execz .LBB1619_214
; %bb.213:
	v_add_co_u32_e32 v0, vcc, v1, v18
	s_waitcnt lgkmcnt(1)
	v_mov_b32_e32 v2, 0
	v_addc_co_u32_e32 v1, vcc, 0, v16, vcc
	global_store_dwordx2 v2, v[0:1], s[20:21]
.LBB1619_214:
	s_endpgm
	.section	.rodata,"a",@progbits
	.p2align	6, 0x0
	.amdhsa_kernel _ZN7rocprim17ROCPRIM_400000_NS6detail17trampoline_kernelINS0_13select_configILj256ELj13ELNS0_17block_load_methodE3ELS4_3ELS4_3ELNS0_20block_scan_algorithmE0ELj4294967295EEENS1_25partition_config_selectorILNS1_17partition_subalgoE3EjNS0_10empty_typeEbEEZZNS1_14partition_implILS8_3ELb0ES6_jNS0_17counting_iteratorIjlEEPS9_SE_NS0_5tupleIJPjSE_EEENSF_IJSE_SE_EEES9_SG_JZNS1_25segmented_radix_sort_implINS0_14default_configELb0EPKbPbPKlPlN2at6native12_GLOBAL__N_18offset_tEEE10hipError_tPvRmT1_PNSt15iterator_traitsISY_E10value_typeET2_T3_PNSZ_IS14_E10value_typeET4_jRbjT5_S1A_jjP12ihipStream_tbEUljE_EEESV_SW_SX_S14_S18_S1A_T6_T7_T9_mT8_S1C_bDpT10_ENKUlT_T0_E_clISt17integral_constantIbLb1EES1O_IbLb0EEEEDaS1K_S1L_EUlS1K_E_NS1_11comp_targetILNS1_3genE4ELNS1_11target_archE910ELNS1_3gpuE8ELNS1_3repE0EEENS1_30default_config_static_selectorELNS0_4arch9wavefront6targetE1EEEvSY_
		.amdhsa_group_segment_fixed_size 13324
		.amdhsa_private_segment_fixed_size 0
		.amdhsa_kernarg_size 144
		.amdhsa_user_sgpr_count 6
		.amdhsa_user_sgpr_private_segment_buffer 1
		.amdhsa_user_sgpr_dispatch_ptr 0
		.amdhsa_user_sgpr_queue_ptr 0
		.amdhsa_user_sgpr_kernarg_segment_ptr 1
		.amdhsa_user_sgpr_dispatch_id 0
		.amdhsa_user_sgpr_flat_scratch_init 0
		.amdhsa_user_sgpr_kernarg_preload_length 0
		.amdhsa_user_sgpr_kernarg_preload_offset 0
		.amdhsa_user_sgpr_private_segment_size 0
		.amdhsa_uses_dynamic_stack 0
		.amdhsa_system_sgpr_private_segment_wavefront_offset 0
		.amdhsa_system_sgpr_workgroup_id_x 1
		.amdhsa_system_sgpr_workgroup_id_y 0
		.amdhsa_system_sgpr_workgroup_id_z 0
		.amdhsa_system_sgpr_workgroup_info 0
		.amdhsa_system_vgpr_workitem_id 0
		.amdhsa_next_free_vgpr 61
		.amdhsa_next_free_sgpr 46
		.amdhsa_accum_offset 64
		.amdhsa_reserve_vcc 1
		.amdhsa_reserve_flat_scratch 0
		.amdhsa_float_round_mode_32 0
		.amdhsa_float_round_mode_16_64 0
		.amdhsa_float_denorm_mode_32 3
		.amdhsa_float_denorm_mode_16_64 3
		.amdhsa_dx10_clamp 1
		.amdhsa_ieee_mode 1
		.amdhsa_fp16_overflow 0
		.amdhsa_tg_split 0
		.amdhsa_exception_fp_ieee_invalid_op 0
		.amdhsa_exception_fp_denorm_src 0
		.amdhsa_exception_fp_ieee_div_zero 0
		.amdhsa_exception_fp_ieee_overflow 0
		.amdhsa_exception_fp_ieee_underflow 0
		.amdhsa_exception_fp_ieee_inexact 0
		.amdhsa_exception_int_div_zero 0
	.end_amdhsa_kernel
	.section	.text._ZN7rocprim17ROCPRIM_400000_NS6detail17trampoline_kernelINS0_13select_configILj256ELj13ELNS0_17block_load_methodE3ELS4_3ELS4_3ELNS0_20block_scan_algorithmE0ELj4294967295EEENS1_25partition_config_selectorILNS1_17partition_subalgoE3EjNS0_10empty_typeEbEEZZNS1_14partition_implILS8_3ELb0ES6_jNS0_17counting_iteratorIjlEEPS9_SE_NS0_5tupleIJPjSE_EEENSF_IJSE_SE_EEES9_SG_JZNS1_25segmented_radix_sort_implINS0_14default_configELb0EPKbPbPKlPlN2at6native12_GLOBAL__N_18offset_tEEE10hipError_tPvRmT1_PNSt15iterator_traitsISY_E10value_typeET2_T3_PNSZ_IS14_E10value_typeET4_jRbjT5_S1A_jjP12ihipStream_tbEUljE_EEESV_SW_SX_S14_S18_S1A_T6_T7_T9_mT8_S1C_bDpT10_ENKUlT_T0_E_clISt17integral_constantIbLb1EES1O_IbLb0EEEEDaS1K_S1L_EUlS1K_E_NS1_11comp_targetILNS1_3genE4ELNS1_11target_archE910ELNS1_3gpuE8ELNS1_3repE0EEENS1_30default_config_static_selectorELNS0_4arch9wavefront6targetE1EEEvSY_,"axG",@progbits,_ZN7rocprim17ROCPRIM_400000_NS6detail17trampoline_kernelINS0_13select_configILj256ELj13ELNS0_17block_load_methodE3ELS4_3ELS4_3ELNS0_20block_scan_algorithmE0ELj4294967295EEENS1_25partition_config_selectorILNS1_17partition_subalgoE3EjNS0_10empty_typeEbEEZZNS1_14partition_implILS8_3ELb0ES6_jNS0_17counting_iteratorIjlEEPS9_SE_NS0_5tupleIJPjSE_EEENSF_IJSE_SE_EEES9_SG_JZNS1_25segmented_radix_sort_implINS0_14default_configELb0EPKbPbPKlPlN2at6native12_GLOBAL__N_18offset_tEEE10hipError_tPvRmT1_PNSt15iterator_traitsISY_E10value_typeET2_T3_PNSZ_IS14_E10value_typeET4_jRbjT5_S1A_jjP12ihipStream_tbEUljE_EEESV_SW_SX_S14_S18_S1A_T6_T7_T9_mT8_S1C_bDpT10_ENKUlT_T0_E_clISt17integral_constantIbLb1EES1O_IbLb0EEEEDaS1K_S1L_EUlS1K_E_NS1_11comp_targetILNS1_3genE4ELNS1_11target_archE910ELNS1_3gpuE8ELNS1_3repE0EEENS1_30default_config_static_selectorELNS0_4arch9wavefront6targetE1EEEvSY_,comdat
.Lfunc_end1619:
	.size	_ZN7rocprim17ROCPRIM_400000_NS6detail17trampoline_kernelINS0_13select_configILj256ELj13ELNS0_17block_load_methodE3ELS4_3ELS4_3ELNS0_20block_scan_algorithmE0ELj4294967295EEENS1_25partition_config_selectorILNS1_17partition_subalgoE3EjNS0_10empty_typeEbEEZZNS1_14partition_implILS8_3ELb0ES6_jNS0_17counting_iteratorIjlEEPS9_SE_NS0_5tupleIJPjSE_EEENSF_IJSE_SE_EEES9_SG_JZNS1_25segmented_radix_sort_implINS0_14default_configELb0EPKbPbPKlPlN2at6native12_GLOBAL__N_18offset_tEEE10hipError_tPvRmT1_PNSt15iterator_traitsISY_E10value_typeET2_T3_PNSZ_IS14_E10value_typeET4_jRbjT5_S1A_jjP12ihipStream_tbEUljE_EEESV_SW_SX_S14_S18_S1A_T6_T7_T9_mT8_S1C_bDpT10_ENKUlT_T0_E_clISt17integral_constantIbLb1EES1O_IbLb0EEEEDaS1K_S1L_EUlS1K_E_NS1_11comp_targetILNS1_3genE4ELNS1_11target_archE910ELNS1_3gpuE8ELNS1_3repE0EEENS1_30default_config_static_selectorELNS0_4arch9wavefront6targetE1EEEvSY_, .Lfunc_end1619-_ZN7rocprim17ROCPRIM_400000_NS6detail17trampoline_kernelINS0_13select_configILj256ELj13ELNS0_17block_load_methodE3ELS4_3ELS4_3ELNS0_20block_scan_algorithmE0ELj4294967295EEENS1_25partition_config_selectorILNS1_17partition_subalgoE3EjNS0_10empty_typeEbEEZZNS1_14partition_implILS8_3ELb0ES6_jNS0_17counting_iteratorIjlEEPS9_SE_NS0_5tupleIJPjSE_EEENSF_IJSE_SE_EEES9_SG_JZNS1_25segmented_radix_sort_implINS0_14default_configELb0EPKbPbPKlPlN2at6native12_GLOBAL__N_18offset_tEEE10hipError_tPvRmT1_PNSt15iterator_traitsISY_E10value_typeET2_T3_PNSZ_IS14_E10value_typeET4_jRbjT5_S1A_jjP12ihipStream_tbEUljE_EEESV_SW_SX_S14_S18_S1A_T6_T7_T9_mT8_S1C_bDpT10_ENKUlT_T0_E_clISt17integral_constantIbLb1EES1O_IbLb0EEEEDaS1K_S1L_EUlS1K_E_NS1_11comp_targetILNS1_3genE4ELNS1_11target_archE910ELNS1_3gpuE8ELNS1_3repE0EEENS1_30default_config_static_selectorELNS0_4arch9wavefront6targetE1EEEvSY_
                                        ; -- End function
	.section	.AMDGPU.csdata,"",@progbits
; Kernel info:
; codeLenInByte = 7756
; NumSgprs: 50
; NumVgprs: 61
; NumAgprs: 0
; TotalNumVgprs: 61
; ScratchSize: 0
; MemoryBound: 0
; FloatMode: 240
; IeeeMode: 1
; LDSByteSize: 13324 bytes/workgroup (compile time only)
; SGPRBlocks: 6
; VGPRBlocks: 7
; NumSGPRsForWavesPerEU: 50
; NumVGPRsForWavesPerEU: 61
; AccumOffset: 64
; Occupancy: 4
; WaveLimiterHint : 0
; COMPUTE_PGM_RSRC2:SCRATCH_EN: 0
; COMPUTE_PGM_RSRC2:USER_SGPR: 6
; COMPUTE_PGM_RSRC2:TRAP_HANDLER: 0
; COMPUTE_PGM_RSRC2:TGID_X_EN: 1
; COMPUTE_PGM_RSRC2:TGID_Y_EN: 0
; COMPUTE_PGM_RSRC2:TGID_Z_EN: 0
; COMPUTE_PGM_RSRC2:TIDIG_COMP_CNT: 0
; COMPUTE_PGM_RSRC3_GFX90A:ACCUM_OFFSET: 15
; COMPUTE_PGM_RSRC3_GFX90A:TG_SPLIT: 0
	.section	.text._ZN7rocprim17ROCPRIM_400000_NS6detail17trampoline_kernelINS0_13select_configILj256ELj13ELNS0_17block_load_methodE3ELS4_3ELS4_3ELNS0_20block_scan_algorithmE0ELj4294967295EEENS1_25partition_config_selectorILNS1_17partition_subalgoE3EjNS0_10empty_typeEbEEZZNS1_14partition_implILS8_3ELb0ES6_jNS0_17counting_iteratorIjlEEPS9_SE_NS0_5tupleIJPjSE_EEENSF_IJSE_SE_EEES9_SG_JZNS1_25segmented_radix_sort_implINS0_14default_configELb0EPKbPbPKlPlN2at6native12_GLOBAL__N_18offset_tEEE10hipError_tPvRmT1_PNSt15iterator_traitsISY_E10value_typeET2_T3_PNSZ_IS14_E10value_typeET4_jRbjT5_S1A_jjP12ihipStream_tbEUljE_EEESV_SW_SX_S14_S18_S1A_T6_T7_T9_mT8_S1C_bDpT10_ENKUlT_T0_E_clISt17integral_constantIbLb1EES1O_IbLb0EEEEDaS1K_S1L_EUlS1K_E_NS1_11comp_targetILNS1_3genE3ELNS1_11target_archE908ELNS1_3gpuE7ELNS1_3repE0EEENS1_30default_config_static_selectorELNS0_4arch9wavefront6targetE1EEEvSY_,"axG",@progbits,_ZN7rocprim17ROCPRIM_400000_NS6detail17trampoline_kernelINS0_13select_configILj256ELj13ELNS0_17block_load_methodE3ELS4_3ELS4_3ELNS0_20block_scan_algorithmE0ELj4294967295EEENS1_25partition_config_selectorILNS1_17partition_subalgoE3EjNS0_10empty_typeEbEEZZNS1_14partition_implILS8_3ELb0ES6_jNS0_17counting_iteratorIjlEEPS9_SE_NS0_5tupleIJPjSE_EEENSF_IJSE_SE_EEES9_SG_JZNS1_25segmented_radix_sort_implINS0_14default_configELb0EPKbPbPKlPlN2at6native12_GLOBAL__N_18offset_tEEE10hipError_tPvRmT1_PNSt15iterator_traitsISY_E10value_typeET2_T3_PNSZ_IS14_E10value_typeET4_jRbjT5_S1A_jjP12ihipStream_tbEUljE_EEESV_SW_SX_S14_S18_S1A_T6_T7_T9_mT8_S1C_bDpT10_ENKUlT_T0_E_clISt17integral_constantIbLb1EES1O_IbLb0EEEEDaS1K_S1L_EUlS1K_E_NS1_11comp_targetILNS1_3genE3ELNS1_11target_archE908ELNS1_3gpuE7ELNS1_3repE0EEENS1_30default_config_static_selectorELNS0_4arch9wavefront6targetE1EEEvSY_,comdat
	.globl	_ZN7rocprim17ROCPRIM_400000_NS6detail17trampoline_kernelINS0_13select_configILj256ELj13ELNS0_17block_load_methodE3ELS4_3ELS4_3ELNS0_20block_scan_algorithmE0ELj4294967295EEENS1_25partition_config_selectorILNS1_17partition_subalgoE3EjNS0_10empty_typeEbEEZZNS1_14partition_implILS8_3ELb0ES6_jNS0_17counting_iteratorIjlEEPS9_SE_NS0_5tupleIJPjSE_EEENSF_IJSE_SE_EEES9_SG_JZNS1_25segmented_radix_sort_implINS0_14default_configELb0EPKbPbPKlPlN2at6native12_GLOBAL__N_18offset_tEEE10hipError_tPvRmT1_PNSt15iterator_traitsISY_E10value_typeET2_T3_PNSZ_IS14_E10value_typeET4_jRbjT5_S1A_jjP12ihipStream_tbEUljE_EEESV_SW_SX_S14_S18_S1A_T6_T7_T9_mT8_S1C_bDpT10_ENKUlT_T0_E_clISt17integral_constantIbLb1EES1O_IbLb0EEEEDaS1K_S1L_EUlS1K_E_NS1_11comp_targetILNS1_3genE3ELNS1_11target_archE908ELNS1_3gpuE7ELNS1_3repE0EEENS1_30default_config_static_selectorELNS0_4arch9wavefront6targetE1EEEvSY_ ; -- Begin function _ZN7rocprim17ROCPRIM_400000_NS6detail17trampoline_kernelINS0_13select_configILj256ELj13ELNS0_17block_load_methodE3ELS4_3ELS4_3ELNS0_20block_scan_algorithmE0ELj4294967295EEENS1_25partition_config_selectorILNS1_17partition_subalgoE3EjNS0_10empty_typeEbEEZZNS1_14partition_implILS8_3ELb0ES6_jNS0_17counting_iteratorIjlEEPS9_SE_NS0_5tupleIJPjSE_EEENSF_IJSE_SE_EEES9_SG_JZNS1_25segmented_radix_sort_implINS0_14default_configELb0EPKbPbPKlPlN2at6native12_GLOBAL__N_18offset_tEEE10hipError_tPvRmT1_PNSt15iterator_traitsISY_E10value_typeET2_T3_PNSZ_IS14_E10value_typeET4_jRbjT5_S1A_jjP12ihipStream_tbEUljE_EEESV_SW_SX_S14_S18_S1A_T6_T7_T9_mT8_S1C_bDpT10_ENKUlT_T0_E_clISt17integral_constantIbLb1EES1O_IbLb0EEEEDaS1K_S1L_EUlS1K_E_NS1_11comp_targetILNS1_3genE3ELNS1_11target_archE908ELNS1_3gpuE7ELNS1_3repE0EEENS1_30default_config_static_selectorELNS0_4arch9wavefront6targetE1EEEvSY_
	.p2align	8
	.type	_ZN7rocprim17ROCPRIM_400000_NS6detail17trampoline_kernelINS0_13select_configILj256ELj13ELNS0_17block_load_methodE3ELS4_3ELS4_3ELNS0_20block_scan_algorithmE0ELj4294967295EEENS1_25partition_config_selectorILNS1_17partition_subalgoE3EjNS0_10empty_typeEbEEZZNS1_14partition_implILS8_3ELb0ES6_jNS0_17counting_iteratorIjlEEPS9_SE_NS0_5tupleIJPjSE_EEENSF_IJSE_SE_EEES9_SG_JZNS1_25segmented_radix_sort_implINS0_14default_configELb0EPKbPbPKlPlN2at6native12_GLOBAL__N_18offset_tEEE10hipError_tPvRmT1_PNSt15iterator_traitsISY_E10value_typeET2_T3_PNSZ_IS14_E10value_typeET4_jRbjT5_S1A_jjP12ihipStream_tbEUljE_EEESV_SW_SX_S14_S18_S1A_T6_T7_T9_mT8_S1C_bDpT10_ENKUlT_T0_E_clISt17integral_constantIbLb1EES1O_IbLb0EEEEDaS1K_S1L_EUlS1K_E_NS1_11comp_targetILNS1_3genE3ELNS1_11target_archE908ELNS1_3gpuE7ELNS1_3repE0EEENS1_30default_config_static_selectorELNS0_4arch9wavefront6targetE1EEEvSY_,@function
_ZN7rocprim17ROCPRIM_400000_NS6detail17trampoline_kernelINS0_13select_configILj256ELj13ELNS0_17block_load_methodE3ELS4_3ELS4_3ELNS0_20block_scan_algorithmE0ELj4294967295EEENS1_25partition_config_selectorILNS1_17partition_subalgoE3EjNS0_10empty_typeEbEEZZNS1_14partition_implILS8_3ELb0ES6_jNS0_17counting_iteratorIjlEEPS9_SE_NS0_5tupleIJPjSE_EEENSF_IJSE_SE_EEES9_SG_JZNS1_25segmented_radix_sort_implINS0_14default_configELb0EPKbPbPKlPlN2at6native12_GLOBAL__N_18offset_tEEE10hipError_tPvRmT1_PNSt15iterator_traitsISY_E10value_typeET2_T3_PNSZ_IS14_E10value_typeET4_jRbjT5_S1A_jjP12ihipStream_tbEUljE_EEESV_SW_SX_S14_S18_S1A_T6_T7_T9_mT8_S1C_bDpT10_ENKUlT_T0_E_clISt17integral_constantIbLb1EES1O_IbLb0EEEEDaS1K_S1L_EUlS1K_E_NS1_11comp_targetILNS1_3genE3ELNS1_11target_archE908ELNS1_3gpuE7ELNS1_3repE0EEENS1_30default_config_static_selectorELNS0_4arch9wavefront6targetE1EEEvSY_: ; @_ZN7rocprim17ROCPRIM_400000_NS6detail17trampoline_kernelINS0_13select_configILj256ELj13ELNS0_17block_load_methodE3ELS4_3ELS4_3ELNS0_20block_scan_algorithmE0ELj4294967295EEENS1_25partition_config_selectorILNS1_17partition_subalgoE3EjNS0_10empty_typeEbEEZZNS1_14partition_implILS8_3ELb0ES6_jNS0_17counting_iteratorIjlEEPS9_SE_NS0_5tupleIJPjSE_EEENSF_IJSE_SE_EEES9_SG_JZNS1_25segmented_radix_sort_implINS0_14default_configELb0EPKbPbPKlPlN2at6native12_GLOBAL__N_18offset_tEEE10hipError_tPvRmT1_PNSt15iterator_traitsISY_E10value_typeET2_T3_PNSZ_IS14_E10value_typeET4_jRbjT5_S1A_jjP12ihipStream_tbEUljE_EEESV_SW_SX_S14_S18_S1A_T6_T7_T9_mT8_S1C_bDpT10_ENKUlT_T0_E_clISt17integral_constantIbLb1EES1O_IbLb0EEEEDaS1K_S1L_EUlS1K_E_NS1_11comp_targetILNS1_3genE3ELNS1_11target_archE908ELNS1_3gpuE7ELNS1_3repE0EEENS1_30default_config_static_selectorELNS0_4arch9wavefront6targetE1EEEvSY_
; %bb.0:
	.section	.rodata,"a",@progbits
	.p2align	6, 0x0
	.amdhsa_kernel _ZN7rocprim17ROCPRIM_400000_NS6detail17trampoline_kernelINS0_13select_configILj256ELj13ELNS0_17block_load_methodE3ELS4_3ELS4_3ELNS0_20block_scan_algorithmE0ELj4294967295EEENS1_25partition_config_selectorILNS1_17partition_subalgoE3EjNS0_10empty_typeEbEEZZNS1_14partition_implILS8_3ELb0ES6_jNS0_17counting_iteratorIjlEEPS9_SE_NS0_5tupleIJPjSE_EEENSF_IJSE_SE_EEES9_SG_JZNS1_25segmented_radix_sort_implINS0_14default_configELb0EPKbPbPKlPlN2at6native12_GLOBAL__N_18offset_tEEE10hipError_tPvRmT1_PNSt15iterator_traitsISY_E10value_typeET2_T3_PNSZ_IS14_E10value_typeET4_jRbjT5_S1A_jjP12ihipStream_tbEUljE_EEESV_SW_SX_S14_S18_S1A_T6_T7_T9_mT8_S1C_bDpT10_ENKUlT_T0_E_clISt17integral_constantIbLb1EES1O_IbLb0EEEEDaS1K_S1L_EUlS1K_E_NS1_11comp_targetILNS1_3genE3ELNS1_11target_archE908ELNS1_3gpuE7ELNS1_3repE0EEENS1_30default_config_static_selectorELNS0_4arch9wavefront6targetE1EEEvSY_
		.amdhsa_group_segment_fixed_size 0
		.amdhsa_private_segment_fixed_size 0
		.amdhsa_kernarg_size 144
		.amdhsa_user_sgpr_count 6
		.amdhsa_user_sgpr_private_segment_buffer 1
		.amdhsa_user_sgpr_dispatch_ptr 0
		.amdhsa_user_sgpr_queue_ptr 0
		.amdhsa_user_sgpr_kernarg_segment_ptr 1
		.amdhsa_user_sgpr_dispatch_id 0
		.amdhsa_user_sgpr_flat_scratch_init 0
		.amdhsa_user_sgpr_kernarg_preload_length 0
		.amdhsa_user_sgpr_kernarg_preload_offset 0
		.amdhsa_user_sgpr_private_segment_size 0
		.amdhsa_uses_dynamic_stack 0
		.amdhsa_system_sgpr_private_segment_wavefront_offset 0
		.amdhsa_system_sgpr_workgroup_id_x 1
		.amdhsa_system_sgpr_workgroup_id_y 0
		.amdhsa_system_sgpr_workgroup_id_z 0
		.amdhsa_system_sgpr_workgroup_info 0
		.amdhsa_system_vgpr_workitem_id 0
		.amdhsa_next_free_vgpr 1
		.amdhsa_next_free_sgpr 0
		.amdhsa_accum_offset 4
		.amdhsa_reserve_vcc 0
		.amdhsa_reserve_flat_scratch 0
		.amdhsa_float_round_mode_32 0
		.amdhsa_float_round_mode_16_64 0
		.amdhsa_float_denorm_mode_32 3
		.amdhsa_float_denorm_mode_16_64 3
		.amdhsa_dx10_clamp 1
		.amdhsa_ieee_mode 1
		.amdhsa_fp16_overflow 0
		.amdhsa_tg_split 0
		.amdhsa_exception_fp_ieee_invalid_op 0
		.amdhsa_exception_fp_denorm_src 0
		.amdhsa_exception_fp_ieee_div_zero 0
		.amdhsa_exception_fp_ieee_overflow 0
		.amdhsa_exception_fp_ieee_underflow 0
		.amdhsa_exception_fp_ieee_inexact 0
		.amdhsa_exception_int_div_zero 0
	.end_amdhsa_kernel
	.section	.text._ZN7rocprim17ROCPRIM_400000_NS6detail17trampoline_kernelINS0_13select_configILj256ELj13ELNS0_17block_load_methodE3ELS4_3ELS4_3ELNS0_20block_scan_algorithmE0ELj4294967295EEENS1_25partition_config_selectorILNS1_17partition_subalgoE3EjNS0_10empty_typeEbEEZZNS1_14partition_implILS8_3ELb0ES6_jNS0_17counting_iteratorIjlEEPS9_SE_NS0_5tupleIJPjSE_EEENSF_IJSE_SE_EEES9_SG_JZNS1_25segmented_radix_sort_implINS0_14default_configELb0EPKbPbPKlPlN2at6native12_GLOBAL__N_18offset_tEEE10hipError_tPvRmT1_PNSt15iterator_traitsISY_E10value_typeET2_T3_PNSZ_IS14_E10value_typeET4_jRbjT5_S1A_jjP12ihipStream_tbEUljE_EEESV_SW_SX_S14_S18_S1A_T6_T7_T9_mT8_S1C_bDpT10_ENKUlT_T0_E_clISt17integral_constantIbLb1EES1O_IbLb0EEEEDaS1K_S1L_EUlS1K_E_NS1_11comp_targetILNS1_3genE3ELNS1_11target_archE908ELNS1_3gpuE7ELNS1_3repE0EEENS1_30default_config_static_selectorELNS0_4arch9wavefront6targetE1EEEvSY_,"axG",@progbits,_ZN7rocprim17ROCPRIM_400000_NS6detail17trampoline_kernelINS0_13select_configILj256ELj13ELNS0_17block_load_methodE3ELS4_3ELS4_3ELNS0_20block_scan_algorithmE0ELj4294967295EEENS1_25partition_config_selectorILNS1_17partition_subalgoE3EjNS0_10empty_typeEbEEZZNS1_14partition_implILS8_3ELb0ES6_jNS0_17counting_iteratorIjlEEPS9_SE_NS0_5tupleIJPjSE_EEENSF_IJSE_SE_EEES9_SG_JZNS1_25segmented_radix_sort_implINS0_14default_configELb0EPKbPbPKlPlN2at6native12_GLOBAL__N_18offset_tEEE10hipError_tPvRmT1_PNSt15iterator_traitsISY_E10value_typeET2_T3_PNSZ_IS14_E10value_typeET4_jRbjT5_S1A_jjP12ihipStream_tbEUljE_EEESV_SW_SX_S14_S18_S1A_T6_T7_T9_mT8_S1C_bDpT10_ENKUlT_T0_E_clISt17integral_constantIbLb1EES1O_IbLb0EEEEDaS1K_S1L_EUlS1K_E_NS1_11comp_targetILNS1_3genE3ELNS1_11target_archE908ELNS1_3gpuE7ELNS1_3repE0EEENS1_30default_config_static_selectorELNS0_4arch9wavefront6targetE1EEEvSY_,comdat
.Lfunc_end1620:
	.size	_ZN7rocprim17ROCPRIM_400000_NS6detail17trampoline_kernelINS0_13select_configILj256ELj13ELNS0_17block_load_methodE3ELS4_3ELS4_3ELNS0_20block_scan_algorithmE0ELj4294967295EEENS1_25partition_config_selectorILNS1_17partition_subalgoE3EjNS0_10empty_typeEbEEZZNS1_14partition_implILS8_3ELb0ES6_jNS0_17counting_iteratorIjlEEPS9_SE_NS0_5tupleIJPjSE_EEENSF_IJSE_SE_EEES9_SG_JZNS1_25segmented_radix_sort_implINS0_14default_configELb0EPKbPbPKlPlN2at6native12_GLOBAL__N_18offset_tEEE10hipError_tPvRmT1_PNSt15iterator_traitsISY_E10value_typeET2_T3_PNSZ_IS14_E10value_typeET4_jRbjT5_S1A_jjP12ihipStream_tbEUljE_EEESV_SW_SX_S14_S18_S1A_T6_T7_T9_mT8_S1C_bDpT10_ENKUlT_T0_E_clISt17integral_constantIbLb1EES1O_IbLb0EEEEDaS1K_S1L_EUlS1K_E_NS1_11comp_targetILNS1_3genE3ELNS1_11target_archE908ELNS1_3gpuE7ELNS1_3repE0EEENS1_30default_config_static_selectorELNS0_4arch9wavefront6targetE1EEEvSY_, .Lfunc_end1620-_ZN7rocprim17ROCPRIM_400000_NS6detail17trampoline_kernelINS0_13select_configILj256ELj13ELNS0_17block_load_methodE3ELS4_3ELS4_3ELNS0_20block_scan_algorithmE0ELj4294967295EEENS1_25partition_config_selectorILNS1_17partition_subalgoE3EjNS0_10empty_typeEbEEZZNS1_14partition_implILS8_3ELb0ES6_jNS0_17counting_iteratorIjlEEPS9_SE_NS0_5tupleIJPjSE_EEENSF_IJSE_SE_EEES9_SG_JZNS1_25segmented_radix_sort_implINS0_14default_configELb0EPKbPbPKlPlN2at6native12_GLOBAL__N_18offset_tEEE10hipError_tPvRmT1_PNSt15iterator_traitsISY_E10value_typeET2_T3_PNSZ_IS14_E10value_typeET4_jRbjT5_S1A_jjP12ihipStream_tbEUljE_EEESV_SW_SX_S14_S18_S1A_T6_T7_T9_mT8_S1C_bDpT10_ENKUlT_T0_E_clISt17integral_constantIbLb1EES1O_IbLb0EEEEDaS1K_S1L_EUlS1K_E_NS1_11comp_targetILNS1_3genE3ELNS1_11target_archE908ELNS1_3gpuE7ELNS1_3repE0EEENS1_30default_config_static_selectorELNS0_4arch9wavefront6targetE1EEEvSY_
                                        ; -- End function
	.section	.AMDGPU.csdata,"",@progbits
; Kernel info:
; codeLenInByte = 0
; NumSgprs: 4
; NumVgprs: 0
; NumAgprs: 0
; TotalNumVgprs: 0
; ScratchSize: 0
; MemoryBound: 0
; FloatMode: 240
; IeeeMode: 1
; LDSByteSize: 0 bytes/workgroup (compile time only)
; SGPRBlocks: 0
; VGPRBlocks: 0
; NumSGPRsForWavesPerEU: 4
; NumVGPRsForWavesPerEU: 1
; AccumOffset: 4
; Occupancy: 8
; WaveLimiterHint : 0
; COMPUTE_PGM_RSRC2:SCRATCH_EN: 0
; COMPUTE_PGM_RSRC2:USER_SGPR: 6
; COMPUTE_PGM_RSRC2:TRAP_HANDLER: 0
; COMPUTE_PGM_RSRC2:TGID_X_EN: 1
; COMPUTE_PGM_RSRC2:TGID_Y_EN: 0
; COMPUTE_PGM_RSRC2:TGID_Z_EN: 0
; COMPUTE_PGM_RSRC2:TIDIG_COMP_CNT: 0
; COMPUTE_PGM_RSRC3_GFX90A:ACCUM_OFFSET: 0
; COMPUTE_PGM_RSRC3_GFX90A:TG_SPLIT: 0
	.section	.text._ZN7rocprim17ROCPRIM_400000_NS6detail17trampoline_kernelINS0_13select_configILj256ELj13ELNS0_17block_load_methodE3ELS4_3ELS4_3ELNS0_20block_scan_algorithmE0ELj4294967295EEENS1_25partition_config_selectorILNS1_17partition_subalgoE3EjNS0_10empty_typeEbEEZZNS1_14partition_implILS8_3ELb0ES6_jNS0_17counting_iteratorIjlEEPS9_SE_NS0_5tupleIJPjSE_EEENSF_IJSE_SE_EEES9_SG_JZNS1_25segmented_radix_sort_implINS0_14default_configELb0EPKbPbPKlPlN2at6native12_GLOBAL__N_18offset_tEEE10hipError_tPvRmT1_PNSt15iterator_traitsISY_E10value_typeET2_T3_PNSZ_IS14_E10value_typeET4_jRbjT5_S1A_jjP12ihipStream_tbEUljE_EEESV_SW_SX_S14_S18_S1A_T6_T7_T9_mT8_S1C_bDpT10_ENKUlT_T0_E_clISt17integral_constantIbLb1EES1O_IbLb0EEEEDaS1K_S1L_EUlS1K_E_NS1_11comp_targetILNS1_3genE2ELNS1_11target_archE906ELNS1_3gpuE6ELNS1_3repE0EEENS1_30default_config_static_selectorELNS0_4arch9wavefront6targetE1EEEvSY_,"axG",@progbits,_ZN7rocprim17ROCPRIM_400000_NS6detail17trampoline_kernelINS0_13select_configILj256ELj13ELNS0_17block_load_methodE3ELS4_3ELS4_3ELNS0_20block_scan_algorithmE0ELj4294967295EEENS1_25partition_config_selectorILNS1_17partition_subalgoE3EjNS0_10empty_typeEbEEZZNS1_14partition_implILS8_3ELb0ES6_jNS0_17counting_iteratorIjlEEPS9_SE_NS0_5tupleIJPjSE_EEENSF_IJSE_SE_EEES9_SG_JZNS1_25segmented_radix_sort_implINS0_14default_configELb0EPKbPbPKlPlN2at6native12_GLOBAL__N_18offset_tEEE10hipError_tPvRmT1_PNSt15iterator_traitsISY_E10value_typeET2_T3_PNSZ_IS14_E10value_typeET4_jRbjT5_S1A_jjP12ihipStream_tbEUljE_EEESV_SW_SX_S14_S18_S1A_T6_T7_T9_mT8_S1C_bDpT10_ENKUlT_T0_E_clISt17integral_constantIbLb1EES1O_IbLb0EEEEDaS1K_S1L_EUlS1K_E_NS1_11comp_targetILNS1_3genE2ELNS1_11target_archE906ELNS1_3gpuE6ELNS1_3repE0EEENS1_30default_config_static_selectorELNS0_4arch9wavefront6targetE1EEEvSY_,comdat
	.globl	_ZN7rocprim17ROCPRIM_400000_NS6detail17trampoline_kernelINS0_13select_configILj256ELj13ELNS0_17block_load_methodE3ELS4_3ELS4_3ELNS0_20block_scan_algorithmE0ELj4294967295EEENS1_25partition_config_selectorILNS1_17partition_subalgoE3EjNS0_10empty_typeEbEEZZNS1_14partition_implILS8_3ELb0ES6_jNS0_17counting_iteratorIjlEEPS9_SE_NS0_5tupleIJPjSE_EEENSF_IJSE_SE_EEES9_SG_JZNS1_25segmented_radix_sort_implINS0_14default_configELb0EPKbPbPKlPlN2at6native12_GLOBAL__N_18offset_tEEE10hipError_tPvRmT1_PNSt15iterator_traitsISY_E10value_typeET2_T3_PNSZ_IS14_E10value_typeET4_jRbjT5_S1A_jjP12ihipStream_tbEUljE_EEESV_SW_SX_S14_S18_S1A_T6_T7_T9_mT8_S1C_bDpT10_ENKUlT_T0_E_clISt17integral_constantIbLb1EES1O_IbLb0EEEEDaS1K_S1L_EUlS1K_E_NS1_11comp_targetILNS1_3genE2ELNS1_11target_archE906ELNS1_3gpuE6ELNS1_3repE0EEENS1_30default_config_static_selectorELNS0_4arch9wavefront6targetE1EEEvSY_ ; -- Begin function _ZN7rocprim17ROCPRIM_400000_NS6detail17trampoline_kernelINS0_13select_configILj256ELj13ELNS0_17block_load_methodE3ELS4_3ELS4_3ELNS0_20block_scan_algorithmE0ELj4294967295EEENS1_25partition_config_selectorILNS1_17partition_subalgoE3EjNS0_10empty_typeEbEEZZNS1_14partition_implILS8_3ELb0ES6_jNS0_17counting_iteratorIjlEEPS9_SE_NS0_5tupleIJPjSE_EEENSF_IJSE_SE_EEES9_SG_JZNS1_25segmented_radix_sort_implINS0_14default_configELb0EPKbPbPKlPlN2at6native12_GLOBAL__N_18offset_tEEE10hipError_tPvRmT1_PNSt15iterator_traitsISY_E10value_typeET2_T3_PNSZ_IS14_E10value_typeET4_jRbjT5_S1A_jjP12ihipStream_tbEUljE_EEESV_SW_SX_S14_S18_S1A_T6_T7_T9_mT8_S1C_bDpT10_ENKUlT_T0_E_clISt17integral_constantIbLb1EES1O_IbLb0EEEEDaS1K_S1L_EUlS1K_E_NS1_11comp_targetILNS1_3genE2ELNS1_11target_archE906ELNS1_3gpuE6ELNS1_3repE0EEENS1_30default_config_static_selectorELNS0_4arch9wavefront6targetE1EEEvSY_
	.p2align	8
	.type	_ZN7rocprim17ROCPRIM_400000_NS6detail17trampoline_kernelINS0_13select_configILj256ELj13ELNS0_17block_load_methodE3ELS4_3ELS4_3ELNS0_20block_scan_algorithmE0ELj4294967295EEENS1_25partition_config_selectorILNS1_17partition_subalgoE3EjNS0_10empty_typeEbEEZZNS1_14partition_implILS8_3ELb0ES6_jNS0_17counting_iteratorIjlEEPS9_SE_NS0_5tupleIJPjSE_EEENSF_IJSE_SE_EEES9_SG_JZNS1_25segmented_radix_sort_implINS0_14default_configELb0EPKbPbPKlPlN2at6native12_GLOBAL__N_18offset_tEEE10hipError_tPvRmT1_PNSt15iterator_traitsISY_E10value_typeET2_T3_PNSZ_IS14_E10value_typeET4_jRbjT5_S1A_jjP12ihipStream_tbEUljE_EEESV_SW_SX_S14_S18_S1A_T6_T7_T9_mT8_S1C_bDpT10_ENKUlT_T0_E_clISt17integral_constantIbLb1EES1O_IbLb0EEEEDaS1K_S1L_EUlS1K_E_NS1_11comp_targetILNS1_3genE2ELNS1_11target_archE906ELNS1_3gpuE6ELNS1_3repE0EEENS1_30default_config_static_selectorELNS0_4arch9wavefront6targetE1EEEvSY_,@function
_ZN7rocprim17ROCPRIM_400000_NS6detail17trampoline_kernelINS0_13select_configILj256ELj13ELNS0_17block_load_methodE3ELS4_3ELS4_3ELNS0_20block_scan_algorithmE0ELj4294967295EEENS1_25partition_config_selectorILNS1_17partition_subalgoE3EjNS0_10empty_typeEbEEZZNS1_14partition_implILS8_3ELb0ES6_jNS0_17counting_iteratorIjlEEPS9_SE_NS0_5tupleIJPjSE_EEENSF_IJSE_SE_EEES9_SG_JZNS1_25segmented_radix_sort_implINS0_14default_configELb0EPKbPbPKlPlN2at6native12_GLOBAL__N_18offset_tEEE10hipError_tPvRmT1_PNSt15iterator_traitsISY_E10value_typeET2_T3_PNSZ_IS14_E10value_typeET4_jRbjT5_S1A_jjP12ihipStream_tbEUljE_EEESV_SW_SX_S14_S18_S1A_T6_T7_T9_mT8_S1C_bDpT10_ENKUlT_T0_E_clISt17integral_constantIbLb1EES1O_IbLb0EEEEDaS1K_S1L_EUlS1K_E_NS1_11comp_targetILNS1_3genE2ELNS1_11target_archE906ELNS1_3gpuE6ELNS1_3repE0EEENS1_30default_config_static_selectorELNS0_4arch9wavefront6targetE1EEEvSY_: ; @_ZN7rocprim17ROCPRIM_400000_NS6detail17trampoline_kernelINS0_13select_configILj256ELj13ELNS0_17block_load_methodE3ELS4_3ELS4_3ELNS0_20block_scan_algorithmE0ELj4294967295EEENS1_25partition_config_selectorILNS1_17partition_subalgoE3EjNS0_10empty_typeEbEEZZNS1_14partition_implILS8_3ELb0ES6_jNS0_17counting_iteratorIjlEEPS9_SE_NS0_5tupleIJPjSE_EEENSF_IJSE_SE_EEES9_SG_JZNS1_25segmented_radix_sort_implINS0_14default_configELb0EPKbPbPKlPlN2at6native12_GLOBAL__N_18offset_tEEE10hipError_tPvRmT1_PNSt15iterator_traitsISY_E10value_typeET2_T3_PNSZ_IS14_E10value_typeET4_jRbjT5_S1A_jjP12ihipStream_tbEUljE_EEESV_SW_SX_S14_S18_S1A_T6_T7_T9_mT8_S1C_bDpT10_ENKUlT_T0_E_clISt17integral_constantIbLb1EES1O_IbLb0EEEEDaS1K_S1L_EUlS1K_E_NS1_11comp_targetILNS1_3genE2ELNS1_11target_archE906ELNS1_3gpuE6ELNS1_3repE0EEENS1_30default_config_static_selectorELNS0_4arch9wavefront6targetE1EEEvSY_
; %bb.0:
	.section	.rodata,"a",@progbits
	.p2align	6, 0x0
	.amdhsa_kernel _ZN7rocprim17ROCPRIM_400000_NS6detail17trampoline_kernelINS0_13select_configILj256ELj13ELNS0_17block_load_methodE3ELS4_3ELS4_3ELNS0_20block_scan_algorithmE0ELj4294967295EEENS1_25partition_config_selectorILNS1_17partition_subalgoE3EjNS0_10empty_typeEbEEZZNS1_14partition_implILS8_3ELb0ES6_jNS0_17counting_iteratorIjlEEPS9_SE_NS0_5tupleIJPjSE_EEENSF_IJSE_SE_EEES9_SG_JZNS1_25segmented_radix_sort_implINS0_14default_configELb0EPKbPbPKlPlN2at6native12_GLOBAL__N_18offset_tEEE10hipError_tPvRmT1_PNSt15iterator_traitsISY_E10value_typeET2_T3_PNSZ_IS14_E10value_typeET4_jRbjT5_S1A_jjP12ihipStream_tbEUljE_EEESV_SW_SX_S14_S18_S1A_T6_T7_T9_mT8_S1C_bDpT10_ENKUlT_T0_E_clISt17integral_constantIbLb1EES1O_IbLb0EEEEDaS1K_S1L_EUlS1K_E_NS1_11comp_targetILNS1_3genE2ELNS1_11target_archE906ELNS1_3gpuE6ELNS1_3repE0EEENS1_30default_config_static_selectorELNS0_4arch9wavefront6targetE1EEEvSY_
		.amdhsa_group_segment_fixed_size 0
		.amdhsa_private_segment_fixed_size 0
		.amdhsa_kernarg_size 144
		.amdhsa_user_sgpr_count 6
		.amdhsa_user_sgpr_private_segment_buffer 1
		.amdhsa_user_sgpr_dispatch_ptr 0
		.amdhsa_user_sgpr_queue_ptr 0
		.amdhsa_user_sgpr_kernarg_segment_ptr 1
		.amdhsa_user_sgpr_dispatch_id 0
		.amdhsa_user_sgpr_flat_scratch_init 0
		.amdhsa_user_sgpr_kernarg_preload_length 0
		.amdhsa_user_sgpr_kernarg_preload_offset 0
		.amdhsa_user_sgpr_private_segment_size 0
		.amdhsa_uses_dynamic_stack 0
		.amdhsa_system_sgpr_private_segment_wavefront_offset 0
		.amdhsa_system_sgpr_workgroup_id_x 1
		.amdhsa_system_sgpr_workgroup_id_y 0
		.amdhsa_system_sgpr_workgroup_id_z 0
		.amdhsa_system_sgpr_workgroup_info 0
		.amdhsa_system_vgpr_workitem_id 0
		.amdhsa_next_free_vgpr 1
		.amdhsa_next_free_sgpr 0
		.amdhsa_accum_offset 4
		.amdhsa_reserve_vcc 0
		.amdhsa_reserve_flat_scratch 0
		.amdhsa_float_round_mode_32 0
		.amdhsa_float_round_mode_16_64 0
		.amdhsa_float_denorm_mode_32 3
		.amdhsa_float_denorm_mode_16_64 3
		.amdhsa_dx10_clamp 1
		.amdhsa_ieee_mode 1
		.amdhsa_fp16_overflow 0
		.amdhsa_tg_split 0
		.amdhsa_exception_fp_ieee_invalid_op 0
		.amdhsa_exception_fp_denorm_src 0
		.amdhsa_exception_fp_ieee_div_zero 0
		.amdhsa_exception_fp_ieee_overflow 0
		.amdhsa_exception_fp_ieee_underflow 0
		.amdhsa_exception_fp_ieee_inexact 0
		.amdhsa_exception_int_div_zero 0
	.end_amdhsa_kernel
	.section	.text._ZN7rocprim17ROCPRIM_400000_NS6detail17trampoline_kernelINS0_13select_configILj256ELj13ELNS0_17block_load_methodE3ELS4_3ELS4_3ELNS0_20block_scan_algorithmE0ELj4294967295EEENS1_25partition_config_selectorILNS1_17partition_subalgoE3EjNS0_10empty_typeEbEEZZNS1_14partition_implILS8_3ELb0ES6_jNS0_17counting_iteratorIjlEEPS9_SE_NS0_5tupleIJPjSE_EEENSF_IJSE_SE_EEES9_SG_JZNS1_25segmented_radix_sort_implINS0_14default_configELb0EPKbPbPKlPlN2at6native12_GLOBAL__N_18offset_tEEE10hipError_tPvRmT1_PNSt15iterator_traitsISY_E10value_typeET2_T3_PNSZ_IS14_E10value_typeET4_jRbjT5_S1A_jjP12ihipStream_tbEUljE_EEESV_SW_SX_S14_S18_S1A_T6_T7_T9_mT8_S1C_bDpT10_ENKUlT_T0_E_clISt17integral_constantIbLb1EES1O_IbLb0EEEEDaS1K_S1L_EUlS1K_E_NS1_11comp_targetILNS1_3genE2ELNS1_11target_archE906ELNS1_3gpuE6ELNS1_3repE0EEENS1_30default_config_static_selectorELNS0_4arch9wavefront6targetE1EEEvSY_,"axG",@progbits,_ZN7rocprim17ROCPRIM_400000_NS6detail17trampoline_kernelINS0_13select_configILj256ELj13ELNS0_17block_load_methodE3ELS4_3ELS4_3ELNS0_20block_scan_algorithmE0ELj4294967295EEENS1_25partition_config_selectorILNS1_17partition_subalgoE3EjNS0_10empty_typeEbEEZZNS1_14partition_implILS8_3ELb0ES6_jNS0_17counting_iteratorIjlEEPS9_SE_NS0_5tupleIJPjSE_EEENSF_IJSE_SE_EEES9_SG_JZNS1_25segmented_radix_sort_implINS0_14default_configELb0EPKbPbPKlPlN2at6native12_GLOBAL__N_18offset_tEEE10hipError_tPvRmT1_PNSt15iterator_traitsISY_E10value_typeET2_T3_PNSZ_IS14_E10value_typeET4_jRbjT5_S1A_jjP12ihipStream_tbEUljE_EEESV_SW_SX_S14_S18_S1A_T6_T7_T9_mT8_S1C_bDpT10_ENKUlT_T0_E_clISt17integral_constantIbLb1EES1O_IbLb0EEEEDaS1K_S1L_EUlS1K_E_NS1_11comp_targetILNS1_3genE2ELNS1_11target_archE906ELNS1_3gpuE6ELNS1_3repE0EEENS1_30default_config_static_selectorELNS0_4arch9wavefront6targetE1EEEvSY_,comdat
.Lfunc_end1621:
	.size	_ZN7rocprim17ROCPRIM_400000_NS6detail17trampoline_kernelINS0_13select_configILj256ELj13ELNS0_17block_load_methodE3ELS4_3ELS4_3ELNS0_20block_scan_algorithmE0ELj4294967295EEENS1_25partition_config_selectorILNS1_17partition_subalgoE3EjNS0_10empty_typeEbEEZZNS1_14partition_implILS8_3ELb0ES6_jNS0_17counting_iteratorIjlEEPS9_SE_NS0_5tupleIJPjSE_EEENSF_IJSE_SE_EEES9_SG_JZNS1_25segmented_radix_sort_implINS0_14default_configELb0EPKbPbPKlPlN2at6native12_GLOBAL__N_18offset_tEEE10hipError_tPvRmT1_PNSt15iterator_traitsISY_E10value_typeET2_T3_PNSZ_IS14_E10value_typeET4_jRbjT5_S1A_jjP12ihipStream_tbEUljE_EEESV_SW_SX_S14_S18_S1A_T6_T7_T9_mT8_S1C_bDpT10_ENKUlT_T0_E_clISt17integral_constantIbLb1EES1O_IbLb0EEEEDaS1K_S1L_EUlS1K_E_NS1_11comp_targetILNS1_3genE2ELNS1_11target_archE906ELNS1_3gpuE6ELNS1_3repE0EEENS1_30default_config_static_selectorELNS0_4arch9wavefront6targetE1EEEvSY_, .Lfunc_end1621-_ZN7rocprim17ROCPRIM_400000_NS6detail17trampoline_kernelINS0_13select_configILj256ELj13ELNS0_17block_load_methodE3ELS4_3ELS4_3ELNS0_20block_scan_algorithmE0ELj4294967295EEENS1_25partition_config_selectorILNS1_17partition_subalgoE3EjNS0_10empty_typeEbEEZZNS1_14partition_implILS8_3ELb0ES6_jNS0_17counting_iteratorIjlEEPS9_SE_NS0_5tupleIJPjSE_EEENSF_IJSE_SE_EEES9_SG_JZNS1_25segmented_radix_sort_implINS0_14default_configELb0EPKbPbPKlPlN2at6native12_GLOBAL__N_18offset_tEEE10hipError_tPvRmT1_PNSt15iterator_traitsISY_E10value_typeET2_T3_PNSZ_IS14_E10value_typeET4_jRbjT5_S1A_jjP12ihipStream_tbEUljE_EEESV_SW_SX_S14_S18_S1A_T6_T7_T9_mT8_S1C_bDpT10_ENKUlT_T0_E_clISt17integral_constantIbLb1EES1O_IbLb0EEEEDaS1K_S1L_EUlS1K_E_NS1_11comp_targetILNS1_3genE2ELNS1_11target_archE906ELNS1_3gpuE6ELNS1_3repE0EEENS1_30default_config_static_selectorELNS0_4arch9wavefront6targetE1EEEvSY_
                                        ; -- End function
	.section	.AMDGPU.csdata,"",@progbits
; Kernel info:
; codeLenInByte = 0
; NumSgprs: 4
; NumVgprs: 0
; NumAgprs: 0
; TotalNumVgprs: 0
; ScratchSize: 0
; MemoryBound: 0
; FloatMode: 240
; IeeeMode: 1
; LDSByteSize: 0 bytes/workgroup (compile time only)
; SGPRBlocks: 0
; VGPRBlocks: 0
; NumSGPRsForWavesPerEU: 4
; NumVGPRsForWavesPerEU: 1
; AccumOffset: 4
; Occupancy: 8
; WaveLimiterHint : 0
; COMPUTE_PGM_RSRC2:SCRATCH_EN: 0
; COMPUTE_PGM_RSRC2:USER_SGPR: 6
; COMPUTE_PGM_RSRC2:TRAP_HANDLER: 0
; COMPUTE_PGM_RSRC2:TGID_X_EN: 1
; COMPUTE_PGM_RSRC2:TGID_Y_EN: 0
; COMPUTE_PGM_RSRC2:TGID_Z_EN: 0
; COMPUTE_PGM_RSRC2:TIDIG_COMP_CNT: 0
; COMPUTE_PGM_RSRC3_GFX90A:ACCUM_OFFSET: 0
; COMPUTE_PGM_RSRC3_GFX90A:TG_SPLIT: 0
	.section	.text._ZN7rocprim17ROCPRIM_400000_NS6detail17trampoline_kernelINS0_13select_configILj256ELj13ELNS0_17block_load_methodE3ELS4_3ELS4_3ELNS0_20block_scan_algorithmE0ELj4294967295EEENS1_25partition_config_selectorILNS1_17partition_subalgoE3EjNS0_10empty_typeEbEEZZNS1_14partition_implILS8_3ELb0ES6_jNS0_17counting_iteratorIjlEEPS9_SE_NS0_5tupleIJPjSE_EEENSF_IJSE_SE_EEES9_SG_JZNS1_25segmented_radix_sort_implINS0_14default_configELb0EPKbPbPKlPlN2at6native12_GLOBAL__N_18offset_tEEE10hipError_tPvRmT1_PNSt15iterator_traitsISY_E10value_typeET2_T3_PNSZ_IS14_E10value_typeET4_jRbjT5_S1A_jjP12ihipStream_tbEUljE_EEESV_SW_SX_S14_S18_S1A_T6_T7_T9_mT8_S1C_bDpT10_ENKUlT_T0_E_clISt17integral_constantIbLb1EES1O_IbLb0EEEEDaS1K_S1L_EUlS1K_E_NS1_11comp_targetILNS1_3genE10ELNS1_11target_archE1200ELNS1_3gpuE4ELNS1_3repE0EEENS1_30default_config_static_selectorELNS0_4arch9wavefront6targetE1EEEvSY_,"axG",@progbits,_ZN7rocprim17ROCPRIM_400000_NS6detail17trampoline_kernelINS0_13select_configILj256ELj13ELNS0_17block_load_methodE3ELS4_3ELS4_3ELNS0_20block_scan_algorithmE0ELj4294967295EEENS1_25partition_config_selectorILNS1_17partition_subalgoE3EjNS0_10empty_typeEbEEZZNS1_14partition_implILS8_3ELb0ES6_jNS0_17counting_iteratorIjlEEPS9_SE_NS0_5tupleIJPjSE_EEENSF_IJSE_SE_EEES9_SG_JZNS1_25segmented_radix_sort_implINS0_14default_configELb0EPKbPbPKlPlN2at6native12_GLOBAL__N_18offset_tEEE10hipError_tPvRmT1_PNSt15iterator_traitsISY_E10value_typeET2_T3_PNSZ_IS14_E10value_typeET4_jRbjT5_S1A_jjP12ihipStream_tbEUljE_EEESV_SW_SX_S14_S18_S1A_T6_T7_T9_mT8_S1C_bDpT10_ENKUlT_T0_E_clISt17integral_constantIbLb1EES1O_IbLb0EEEEDaS1K_S1L_EUlS1K_E_NS1_11comp_targetILNS1_3genE10ELNS1_11target_archE1200ELNS1_3gpuE4ELNS1_3repE0EEENS1_30default_config_static_selectorELNS0_4arch9wavefront6targetE1EEEvSY_,comdat
	.globl	_ZN7rocprim17ROCPRIM_400000_NS6detail17trampoline_kernelINS0_13select_configILj256ELj13ELNS0_17block_load_methodE3ELS4_3ELS4_3ELNS0_20block_scan_algorithmE0ELj4294967295EEENS1_25partition_config_selectorILNS1_17partition_subalgoE3EjNS0_10empty_typeEbEEZZNS1_14partition_implILS8_3ELb0ES6_jNS0_17counting_iteratorIjlEEPS9_SE_NS0_5tupleIJPjSE_EEENSF_IJSE_SE_EEES9_SG_JZNS1_25segmented_radix_sort_implINS0_14default_configELb0EPKbPbPKlPlN2at6native12_GLOBAL__N_18offset_tEEE10hipError_tPvRmT1_PNSt15iterator_traitsISY_E10value_typeET2_T3_PNSZ_IS14_E10value_typeET4_jRbjT5_S1A_jjP12ihipStream_tbEUljE_EEESV_SW_SX_S14_S18_S1A_T6_T7_T9_mT8_S1C_bDpT10_ENKUlT_T0_E_clISt17integral_constantIbLb1EES1O_IbLb0EEEEDaS1K_S1L_EUlS1K_E_NS1_11comp_targetILNS1_3genE10ELNS1_11target_archE1200ELNS1_3gpuE4ELNS1_3repE0EEENS1_30default_config_static_selectorELNS0_4arch9wavefront6targetE1EEEvSY_ ; -- Begin function _ZN7rocprim17ROCPRIM_400000_NS6detail17trampoline_kernelINS0_13select_configILj256ELj13ELNS0_17block_load_methodE3ELS4_3ELS4_3ELNS0_20block_scan_algorithmE0ELj4294967295EEENS1_25partition_config_selectorILNS1_17partition_subalgoE3EjNS0_10empty_typeEbEEZZNS1_14partition_implILS8_3ELb0ES6_jNS0_17counting_iteratorIjlEEPS9_SE_NS0_5tupleIJPjSE_EEENSF_IJSE_SE_EEES9_SG_JZNS1_25segmented_radix_sort_implINS0_14default_configELb0EPKbPbPKlPlN2at6native12_GLOBAL__N_18offset_tEEE10hipError_tPvRmT1_PNSt15iterator_traitsISY_E10value_typeET2_T3_PNSZ_IS14_E10value_typeET4_jRbjT5_S1A_jjP12ihipStream_tbEUljE_EEESV_SW_SX_S14_S18_S1A_T6_T7_T9_mT8_S1C_bDpT10_ENKUlT_T0_E_clISt17integral_constantIbLb1EES1O_IbLb0EEEEDaS1K_S1L_EUlS1K_E_NS1_11comp_targetILNS1_3genE10ELNS1_11target_archE1200ELNS1_3gpuE4ELNS1_3repE0EEENS1_30default_config_static_selectorELNS0_4arch9wavefront6targetE1EEEvSY_
	.p2align	8
	.type	_ZN7rocprim17ROCPRIM_400000_NS6detail17trampoline_kernelINS0_13select_configILj256ELj13ELNS0_17block_load_methodE3ELS4_3ELS4_3ELNS0_20block_scan_algorithmE0ELj4294967295EEENS1_25partition_config_selectorILNS1_17partition_subalgoE3EjNS0_10empty_typeEbEEZZNS1_14partition_implILS8_3ELb0ES6_jNS0_17counting_iteratorIjlEEPS9_SE_NS0_5tupleIJPjSE_EEENSF_IJSE_SE_EEES9_SG_JZNS1_25segmented_radix_sort_implINS0_14default_configELb0EPKbPbPKlPlN2at6native12_GLOBAL__N_18offset_tEEE10hipError_tPvRmT1_PNSt15iterator_traitsISY_E10value_typeET2_T3_PNSZ_IS14_E10value_typeET4_jRbjT5_S1A_jjP12ihipStream_tbEUljE_EEESV_SW_SX_S14_S18_S1A_T6_T7_T9_mT8_S1C_bDpT10_ENKUlT_T0_E_clISt17integral_constantIbLb1EES1O_IbLb0EEEEDaS1K_S1L_EUlS1K_E_NS1_11comp_targetILNS1_3genE10ELNS1_11target_archE1200ELNS1_3gpuE4ELNS1_3repE0EEENS1_30default_config_static_selectorELNS0_4arch9wavefront6targetE1EEEvSY_,@function
_ZN7rocprim17ROCPRIM_400000_NS6detail17trampoline_kernelINS0_13select_configILj256ELj13ELNS0_17block_load_methodE3ELS4_3ELS4_3ELNS0_20block_scan_algorithmE0ELj4294967295EEENS1_25partition_config_selectorILNS1_17partition_subalgoE3EjNS0_10empty_typeEbEEZZNS1_14partition_implILS8_3ELb0ES6_jNS0_17counting_iteratorIjlEEPS9_SE_NS0_5tupleIJPjSE_EEENSF_IJSE_SE_EEES9_SG_JZNS1_25segmented_radix_sort_implINS0_14default_configELb0EPKbPbPKlPlN2at6native12_GLOBAL__N_18offset_tEEE10hipError_tPvRmT1_PNSt15iterator_traitsISY_E10value_typeET2_T3_PNSZ_IS14_E10value_typeET4_jRbjT5_S1A_jjP12ihipStream_tbEUljE_EEESV_SW_SX_S14_S18_S1A_T6_T7_T9_mT8_S1C_bDpT10_ENKUlT_T0_E_clISt17integral_constantIbLb1EES1O_IbLb0EEEEDaS1K_S1L_EUlS1K_E_NS1_11comp_targetILNS1_3genE10ELNS1_11target_archE1200ELNS1_3gpuE4ELNS1_3repE0EEENS1_30default_config_static_selectorELNS0_4arch9wavefront6targetE1EEEvSY_: ; @_ZN7rocprim17ROCPRIM_400000_NS6detail17trampoline_kernelINS0_13select_configILj256ELj13ELNS0_17block_load_methodE3ELS4_3ELS4_3ELNS0_20block_scan_algorithmE0ELj4294967295EEENS1_25partition_config_selectorILNS1_17partition_subalgoE3EjNS0_10empty_typeEbEEZZNS1_14partition_implILS8_3ELb0ES6_jNS0_17counting_iteratorIjlEEPS9_SE_NS0_5tupleIJPjSE_EEENSF_IJSE_SE_EEES9_SG_JZNS1_25segmented_radix_sort_implINS0_14default_configELb0EPKbPbPKlPlN2at6native12_GLOBAL__N_18offset_tEEE10hipError_tPvRmT1_PNSt15iterator_traitsISY_E10value_typeET2_T3_PNSZ_IS14_E10value_typeET4_jRbjT5_S1A_jjP12ihipStream_tbEUljE_EEESV_SW_SX_S14_S18_S1A_T6_T7_T9_mT8_S1C_bDpT10_ENKUlT_T0_E_clISt17integral_constantIbLb1EES1O_IbLb0EEEEDaS1K_S1L_EUlS1K_E_NS1_11comp_targetILNS1_3genE10ELNS1_11target_archE1200ELNS1_3gpuE4ELNS1_3repE0EEENS1_30default_config_static_selectorELNS0_4arch9wavefront6targetE1EEEvSY_
; %bb.0:
	.section	.rodata,"a",@progbits
	.p2align	6, 0x0
	.amdhsa_kernel _ZN7rocprim17ROCPRIM_400000_NS6detail17trampoline_kernelINS0_13select_configILj256ELj13ELNS0_17block_load_methodE3ELS4_3ELS4_3ELNS0_20block_scan_algorithmE0ELj4294967295EEENS1_25partition_config_selectorILNS1_17partition_subalgoE3EjNS0_10empty_typeEbEEZZNS1_14partition_implILS8_3ELb0ES6_jNS0_17counting_iteratorIjlEEPS9_SE_NS0_5tupleIJPjSE_EEENSF_IJSE_SE_EEES9_SG_JZNS1_25segmented_radix_sort_implINS0_14default_configELb0EPKbPbPKlPlN2at6native12_GLOBAL__N_18offset_tEEE10hipError_tPvRmT1_PNSt15iterator_traitsISY_E10value_typeET2_T3_PNSZ_IS14_E10value_typeET4_jRbjT5_S1A_jjP12ihipStream_tbEUljE_EEESV_SW_SX_S14_S18_S1A_T6_T7_T9_mT8_S1C_bDpT10_ENKUlT_T0_E_clISt17integral_constantIbLb1EES1O_IbLb0EEEEDaS1K_S1L_EUlS1K_E_NS1_11comp_targetILNS1_3genE10ELNS1_11target_archE1200ELNS1_3gpuE4ELNS1_3repE0EEENS1_30default_config_static_selectorELNS0_4arch9wavefront6targetE1EEEvSY_
		.amdhsa_group_segment_fixed_size 0
		.amdhsa_private_segment_fixed_size 0
		.amdhsa_kernarg_size 144
		.amdhsa_user_sgpr_count 6
		.amdhsa_user_sgpr_private_segment_buffer 1
		.amdhsa_user_sgpr_dispatch_ptr 0
		.amdhsa_user_sgpr_queue_ptr 0
		.amdhsa_user_sgpr_kernarg_segment_ptr 1
		.amdhsa_user_sgpr_dispatch_id 0
		.amdhsa_user_sgpr_flat_scratch_init 0
		.amdhsa_user_sgpr_kernarg_preload_length 0
		.amdhsa_user_sgpr_kernarg_preload_offset 0
		.amdhsa_user_sgpr_private_segment_size 0
		.amdhsa_uses_dynamic_stack 0
		.amdhsa_system_sgpr_private_segment_wavefront_offset 0
		.amdhsa_system_sgpr_workgroup_id_x 1
		.amdhsa_system_sgpr_workgroup_id_y 0
		.amdhsa_system_sgpr_workgroup_id_z 0
		.amdhsa_system_sgpr_workgroup_info 0
		.amdhsa_system_vgpr_workitem_id 0
		.amdhsa_next_free_vgpr 1
		.amdhsa_next_free_sgpr 0
		.amdhsa_accum_offset 4
		.amdhsa_reserve_vcc 0
		.amdhsa_reserve_flat_scratch 0
		.amdhsa_float_round_mode_32 0
		.amdhsa_float_round_mode_16_64 0
		.amdhsa_float_denorm_mode_32 3
		.amdhsa_float_denorm_mode_16_64 3
		.amdhsa_dx10_clamp 1
		.amdhsa_ieee_mode 1
		.amdhsa_fp16_overflow 0
		.amdhsa_tg_split 0
		.amdhsa_exception_fp_ieee_invalid_op 0
		.amdhsa_exception_fp_denorm_src 0
		.amdhsa_exception_fp_ieee_div_zero 0
		.amdhsa_exception_fp_ieee_overflow 0
		.amdhsa_exception_fp_ieee_underflow 0
		.amdhsa_exception_fp_ieee_inexact 0
		.amdhsa_exception_int_div_zero 0
	.end_amdhsa_kernel
	.section	.text._ZN7rocprim17ROCPRIM_400000_NS6detail17trampoline_kernelINS0_13select_configILj256ELj13ELNS0_17block_load_methodE3ELS4_3ELS4_3ELNS0_20block_scan_algorithmE0ELj4294967295EEENS1_25partition_config_selectorILNS1_17partition_subalgoE3EjNS0_10empty_typeEbEEZZNS1_14partition_implILS8_3ELb0ES6_jNS0_17counting_iteratorIjlEEPS9_SE_NS0_5tupleIJPjSE_EEENSF_IJSE_SE_EEES9_SG_JZNS1_25segmented_radix_sort_implINS0_14default_configELb0EPKbPbPKlPlN2at6native12_GLOBAL__N_18offset_tEEE10hipError_tPvRmT1_PNSt15iterator_traitsISY_E10value_typeET2_T3_PNSZ_IS14_E10value_typeET4_jRbjT5_S1A_jjP12ihipStream_tbEUljE_EEESV_SW_SX_S14_S18_S1A_T6_T7_T9_mT8_S1C_bDpT10_ENKUlT_T0_E_clISt17integral_constantIbLb1EES1O_IbLb0EEEEDaS1K_S1L_EUlS1K_E_NS1_11comp_targetILNS1_3genE10ELNS1_11target_archE1200ELNS1_3gpuE4ELNS1_3repE0EEENS1_30default_config_static_selectorELNS0_4arch9wavefront6targetE1EEEvSY_,"axG",@progbits,_ZN7rocprim17ROCPRIM_400000_NS6detail17trampoline_kernelINS0_13select_configILj256ELj13ELNS0_17block_load_methodE3ELS4_3ELS4_3ELNS0_20block_scan_algorithmE0ELj4294967295EEENS1_25partition_config_selectorILNS1_17partition_subalgoE3EjNS0_10empty_typeEbEEZZNS1_14partition_implILS8_3ELb0ES6_jNS0_17counting_iteratorIjlEEPS9_SE_NS0_5tupleIJPjSE_EEENSF_IJSE_SE_EEES9_SG_JZNS1_25segmented_radix_sort_implINS0_14default_configELb0EPKbPbPKlPlN2at6native12_GLOBAL__N_18offset_tEEE10hipError_tPvRmT1_PNSt15iterator_traitsISY_E10value_typeET2_T3_PNSZ_IS14_E10value_typeET4_jRbjT5_S1A_jjP12ihipStream_tbEUljE_EEESV_SW_SX_S14_S18_S1A_T6_T7_T9_mT8_S1C_bDpT10_ENKUlT_T0_E_clISt17integral_constantIbLb1EES1O_IbLb0EEEEDaS1K_S1L_EUlS1K_E_NS1_11comp_targetILNS1_3genE10ELNS1_11target_archE1200ELNS1_3gpuE4ELNS1_3repE0EEENS1_30default_config_static_selectorELNS0_4arch9wavefront6targetE1EEEvSY_,comdat
.Lfunc_end1622:
	.size	_ZN7rocprim17ROCPRIM_400000_NS6detail17trampoline_kernelINS0_13select_configILj256ELj13ELNS0_17block_load_methodE3ELS4_3ELS4_3ELNS0_20block_scan_algorithmE0ELj4294967295EEENS1_25partition_config_selectorILNS1_17partition_subalgoE3EjNS0_10empty_typeEbEEZZNS1_14partition_implILS8_3ELb0ES6_jNS0_17counting_iteratorIjlEEPS9_SE_NS0_5tupleIJPjSE_EEENSF_IJSE_SE_EEES9_SG_JZNS1_25segmented_radix_sort_implINS0_14default_configELb0EPKbPbPKlPlN2at6native12_GLOBAL__N_18offset_tEEE10hipError_tPvRmT1_PNSt15iterator_traitsISY_E10value_typeET2_T3_PNSZ_IS14_E10value_typeET4_jRbjT5_S1A_jjP12ihipStream_tbEUljE_EEESV_SW_SX_S14_S18_S1A_T6_T7_T9_mT8_S1C_bDpT10_ENKUlT_T0_E_clISt17integral_constantIbLb1EES1O_IbLb0EEEEDaS1K_S1L_EUlS1K_E_NS1_11comp_targetILNS1_3genE10ELNS1_11target_archE1200ELNS1_3gpuE4ELNS1_3repE0EEENS1_30default_config_static_selectorELNS0_4arch9wavefront6targetE1EEEvSY_, .Lfunc_end1622-_ZN7rocprim17ROCPRIM_400000_NS6detail17trampoline_kernelINS0_13select_configILj256ELj13ELNS0_17block_load_methodE3ELS4_3ELS4_3ELNS0_20block_scan_algorithmE0ELj4294967295EEENS1_25partition_config_selectorILNS1_17partition_subalgoE3EjNS0_10empty_typeEbEEZZNS1_14partition_implILS8_3ELb0ES6_jNS0_17counting_iteratorIjlEEPS9_SE_NS0_5tupleIJPjSE_EEENSF_IJSE_SE_EEES9_SG_JZNS1_25segmented_radix_sort_implINS0_14default_configELb0EPKbPbPKlPlN2at6native12_GLOBAL__N_18offset_tEEE10hipError_tPvRmT1_PNSt15iterator_traitsISY_E10value_typeET2_T3_PNSZ_IS14_E10value_typeET4_jRbjT5_S1A_jjP12ihipStream_tbEUljE_EEESV_SW_SX_S14_S18_S1A_T6_T7_T9_mT8_S1C_bDpT10_ENKUlT_T0_E_clISt17integral_constantIbLb1EES1O_IbLb0EEEEDaS1K_S1L_EUlS1K_E_NS1_11comp_targetILNS1_3genE10ELNS1_11target_archE1200ELNS1_3gpuE4ELNS1_3repE0EEENS1_30default_config_static_selectorELNS0_4arch9wavefront6targetE1EEEvSY_
                                        ; -- End function
	.section	.AMDGPU.csdata,"",@progbits
; Kernel info:
; codeLenInByte = 0
; NumSgprs: 4
; NumVgprs: 0
; NumAgprs: 0
; TotalNumVgprs: 0
; ScratchSize: 0
; MemoryBound: 0
; FloatMode: 240
; IeeeMode: 1
; LDSByteSize: 0 bytes/workgroup (compile time only)
; SGPRBlocks: 0
; VGPRBlocks: 0
; NumSGPRsForWavesPerEU: 4
; NumVGPRsForWavesPerEU: 1
; AccumOffset: 4
; Occupancy: 8
; WaveLimiterHint : 0
; COMPUTE_PGM_RSRC2:SCRATCH_EN: 0
; COMPUTE_PGM_RSRC2:USER_SGPR: 6
; COMPUTE_PGM_RSRC2:TRAP_HANDLER: 0
; COMPUTE_PGM_RSRC2:TGID_X_EN: 1
; COMPUTE_PGM_RSRC2:TGID_Y_EN: 0
; COMPUTE_PGM_RSRC2:TGID_Z_EN: 0
; COMPUTE_PGM_RSRC2:TIDIG_COMP_CNT: 0
; COMPUTE_PGM_RSRC3_GFX90A:ACCUM_OFFSET: 0
; COMPUTE_PGM_RSRC3_GFX90A:TG_SPLIT: 0
	.section	.text._ZN7rocprim17ROCPRIM_400000_NS6detail17trampoline_kernelINS0_13select_configILj256ELj13ELNS0_17block_load_methodE3ELS4_3ELS4_3ELNS0_20block_scan_algorithmE0ELj4294967295EEENS1_25partition_config_selectorILNS1_17partition_subalgoE3EjNS0_10empty_typeEbEEZZNS1_14partition_implILS8_3ELb0ES6_jNS0_17counting_iteratorIjlEEPS9_SE_NS0_5tupleIJPjSE_EEENSF_IJSE_SE_EEES9_SG_JZNS1_25segmented_radix_sort_implINS0_14default_configELb0EPKbPbPKlPlN2at6native12_GLOBAL__N_18offset_tEEE10hipError_tPvRmT1_PNSt15iterator_traitsISY_E10value_typeET2_T3_PNSZ_IS14_E10value_typeET4_jRbjT5_S1A_jjP12ihipStream_tbEUljE_EEESV_SW_SX_S14_S18_S1A_T6_T7_T9_mT8_S1C_bDpT10_ENKUlT_T0_E_clISt17integral_constantIbLb1EES1O_IbLb0EEEEDaS1K_S1L_EUlS1K_E_NS1_11comp_targetILNS1_3genE9ELNS1_11target_archE1100ELNS1_3gpuE3ELNS1_3repE0EEENS1_30default_config_static_selectorELNS0_4arch9wavefront6targetE1EEEvSY_,"axG",@progbits,_ZN7rocprim17ROCPRIM_400000_NS6detail17trampoline_kernelINS0_13select_configILj256ELj13ELNS0_17block_load_methodE3ELS4_3ELS4_3ELNS0_20block_scan_algorithmE0ELj4294967295EEENS1_25partition_config_selectorILNS1_17partition_subalgoE3EjNS0_10empty_typeEbEEZZNS1_14partition_implILS8_3ELb0ES6_jNS0_17counting_iteratorIjlEEPS9_SE_NS0_5tupleIJPjSE_EEENSF_IJSE_SE_EEES9_SG_JZNS1_25segmented_radix_sort_implINS0_14default_configELb0EPKbPbPKlPlN2at6native12_GLOBAL__N_18offset_tEEE10hipError_tPvRmT1_PNSt15iterator_traitsISY_E10value_typeET2_T3_PNSZ_IS14_E10value_typeET4_jRbjT5_S1A_jjP12ihipStream_tbEUljE_EEESV_SW_SX_S14_S18_S1A_T6_T7_T9_mT8_S1C_bDpT10_ENKUlT_T0_E_clISt17integral_constantIbLb1EES1O_IbLb0EEEEDaS1K_S1L_EUlS1K_E_NS1_11comp_targetILNS1_3genE9ELNS1_11target_archE1100ELNS1_3gpuE3ELNS1_3repE0EEENS1_30default_config_static_selectorELNS0_4arch9wavefront6targetE1EEEvSY_,comdat
	.globl	_ZN7rocprim17ROCPRIM_400000_NS6detail17trampoline_kernelINS0_13select_configILj256ELj13ELNS0_17block_load_methodE3ELS4_3ELS4_3ELNS0_20block_scan_algorithmE0ELj4294967295EEENS1_25partition_config_selectorILNS1_17partition_subalgoE3EjNS0_10empty_typeEbEEZZNS1_14partition_implILS8_3ELb0ES6_jNS0_17counting_iteratorIjlEEPS9_SE_NS0_5tupleIJPjSE_EEENSF_IJSE_SE_EEES9_SG_JZNS1_25segmented_radix_sort_implINS0_14default_configELb0EPKbPbPKlPlN2at6native12_GLOBAL__N_18offset_tEEE10hipError_tPvRmT1_PNSt15iterator_traitsISY_E10value_typeET2_T3_PNSZ_IS14_E10value_typeET4_jRbjT5_S1A_jjP12ihipStream_tbEUljE_EEESV_SW_SX_S14_S18_S1A_T6_T7_T9_mT8_S1C_bDpT10_ENKUlT_T0_E_clISt17integral_constantIbLb1EES1O_IbLb0EEEEDaS1K_S1L_EUlS1K_E_NS1_11comp_targetILNS1_3genE9ELNS1_11target_archE1100ELNS1_3gpuE3ELNS1_3repE0EEENS1_30default_config_static_selectorELNS0_4arch9wavefront6targetE1EEEvSY_ ; -- Begin function _ZN7rocprim17ROCPRIM_400000_NS6detail17trampoline_kernelINS0_13select_configILj256ELj13ELNS0_17block_load_methodE3ELS4_3ELS4_3ELNS0_20block_scan_algorithmE0ELj4294967295EEENS1_25partition_config_selectorILNS1_17partition_subalgoE3EjNS0_10empty_typeEbEEZZNS1_14partition_implILS8_3ELb0ES6_jNS0_17counting_iteratorIjlEEPS9_SE_NS0_5tupleIJPjSE_EEENSF_IJSE_SE_EEES9_SG_JZNS1_25segmented_radix_sort_implINS0_14default_configELb0EPKbPbPKlPlN2at6native12_GLOBAL__N_18offset_tEEE10hipError_tPvRmT1_PNSt15iterator_traitsISY_E10value_typeET2_T3_PNSZ_IS14_E10value_typeET4_jRbjT5_S1A_jjP12ihipStream_tbEUljE_EEESV_SW_SX_S14_S18_S1A_T6_T7_T9_mT8_S1C_bDpT10_ENKUlT_T0_E_clISt17integral_constantIbLb1EES1O_IbLb0EEEEDaS1K_S1L_EUlS1K_E_NS1_11comp_targetILNS1_3genE9ELNS1_11target_archE1100ELNS1_3gpuE3ELNS1_3repE0EEENS1_30default_config_static_selectorELNS0_4arch9wavefront6targetE1EEEvSY_
	.p2align	8
	.type	_ZN7rocprim17ROCPRIM_400000_NS6detail17trampoline_kernelINS0_13select_configILj256ELj13ELNS0_17block_load_methodE3ELS4_3ELS4_3ELNS0_20block_scan_algorithmE0ELj4294967295EEENS1_25partition_config_selectorILNS1_17partition_subalgoE3EjNS0_10empty_typeEbEEZZNS1_14partition_implILS8_3ELb0ES6_jNS0_17counting_iteratorIjlEEPS9_SE_NS0_5tupleIJPjSE_EEENSF_IJSE_SE_EEES9_SG_JZNS1_25segmented_radix_sort_implINS0_14default_configELb0EPKbPbPKlPlN2at6native12_GLOBAL__N_18offset_tEEE10hipError_tPvRmT1_PNSt15iterator_traitsISY_E10value_typeET2_T3_PNSZ_IS14_E10value_typeET4_jRbjT5_S1A_jjP12ihipStream_tbEUljE_EEESV_SW_SX_S14_S18_S1A_T6_T7_T9_mT8_S1C_bDpT10_ENKUlT_T0_E_clISt17integral_constantIbLb1EES1O_IbLb0EEEEDaS1K_S1L_EUlS1K_E_NS1_11comp_targetILNS1_3genE9ELNS1_11target_archE1100ELNS1_3gpuE3ELNS1_3repE0EEENS1_30default_config_static_selectorELNS0_4arch9wavefront6targetE1EEEvSY_,@function
_ZN7rocprim17ROCPRIM_400000_NS6detail17trampoline_kernelINS0_13select_configILj256ELj13ELNS0_17block_load_methodE3ELS4_3ELS4_3ELNS0_20block_scan_algorithmE0ELj4294967295EEENS1_25partition_config_selectorILNS1_17partition_subalgoE3EjNS0_10empty_typeEbEEZZNS1_14partition_implILS8_3ELb0ES6_jNS0_17counting_iteratorIjlEEPS9_SE_NS0_5tupleIJPjSE_EEENSF_IJSE_SE_EEES9_SG_JZNS1_25segmented_radix_sort_implINS0_14default_configELb0EPKbPbPKlPlN2at6native12_GLOBAL__N_18offset_tEEE10hipError_tPvRmT1_PNSt15iterator_traitsISY_E10value_typeET2_T3_PNSZ_IS14_E10value_typeET4_jRbjT5_S1A_jjP12ihipStream_tbEUljE_EEESV_SW_SX_S14_S18_S1A_T6_T7_T9_mT8_S1C_bDpT10_ENKUlT_T0_E_clISt17integral_constantIbLb1EES1O_IbLb0EEEEDaS1K_S1L_EUlS1K_E_NS1_11comp_targetILNS1_3genE9ELNS1_11target_archE1100ELNS1_3gpuE3ELNS1_3repE0EEENS1_30default_config_static_selectorELNS0_4arch9wavefront6targetE1EEEvSY_: ; @_ZN7rocprim17ROCPRIM_400000_NS6detail17trampoline_kernelINS0_13select_configILj256ELj13ELNS0_17block_load_methodE3ELS4_3ELS4_3ELNS0_20block_scan_algorithmE0ELj4294967295EEENS1_25partition_config_selectorILNS1_17partition_subalgoE3EjNS0_10empty_typeEbEEZZNS1_14partition_implILS8_3ELb0ES6_jNS0_17counting_iteratorIjlEEPS9_SE_NS0_5tupleIJPjSE_EEENSF_IJSE_SE_EEES9_SG_JZNS1_25segmented_radix_sort_implINS0_14default_configELb0EPKbPbPKlPlN2at6native12_GLOBAL__N_18offset_tEEE10hipError_tPvRmT1_PNSt15iterator_traitsISY_E10value_typeET2_T3_PNSZ_IS14_E10value_typeET4_jRbjT5_S1A_jjP12ihipStream_tbEUljE_EEESV_SW_SX_S14_S18_S1A_T6_T7_T9_mT8_S1C_bDpT10_ENKUlT_T0_E_clISt17integral_constantIbLb1EES1O_IbLb0EEEEDaS1K_S1L_EUlS1K_E_NS1_11comp_targetILNS1_3genE9ELNS1_11target_archE1100ELNS1_3gpuE3ELNS1_3repE0EEENS1_30default_config_static_selectorELNS0_4arch9wavefront6targetE1EEEvSY_
; %bb.0:
	.section	.rodata,"a",@progbits
	.p2align	6, 0x0
	.amdhsa_kernel _ZN7rocprim17ROCPRIM_400000_NS6detail17trampoline_kernelINS0_13select_configILj256ELj13ELNS0_17block_load_methodE3ELS4_3ELS4_3ELNS0_20block_scan_algorithmE0ELj4294967295EEENS1_25partition_config_selectorILNS1_17partition_subalgoE3EjNS0_10empty_typeEbEEZZNS1_14partition_implILS8_3ELb0ES6_jNS0_17counting_iteratorIjlEEPS9_SE_NS0_5tupleIJPjSE_EEENSF_IJSE_SE_EEES9_SG_JZNS1_25segmented_radix_sort_implINS0_14default_configELb0EPKbPbPKlPlN2at6native12_GLOBAL__N_18offset_tEEE10hipError_tPvRmT1_PNSt15iterator_traitsISY_E10value_typeET2_T3_PNSZ_IS14_E10value_typeET4_jRbjT5_S1A_jjP12ihipStream_tbEUljE_EEESV_SW_SX_S14_S18_S1A_T6_T7_T9_mT8_S1C_bDpT10_ENKUlT_T0_E_clISt17integral_constantIbLb1EES1O_IbLb0EEEEDaS1K_S1L_EUlS1K_E_NS1_11comp_targetILNS1_3genE9ELNS1_11target_archE1100ELNS1_3gpuE3ELNS1_3repE0EEENS1_30default_config_static_selectorELNS0_4arch9wavefront6targetE1EEEvSY_
		.amdhsa_group_segment_fixed_size 0
		.amdhsa_private_segment_fixed_size 0
		.amdhsa_kernarg_size 144
		.amdhsa_user_sgpr_count 6
		.amdhsa_user_sgpr_private_segment_buffer 1
		.amdhsa_user_sgpr_dispatch_ptr 0
		.amdhsa_user_sgpr_queue_ptr 0
		.amdhsa_user_sgpr_kernarg_segment_ptr 1
		.amdhsa_user_sgpr_dispatch_id 0
		.amdhsa_user_sgpr_flat_scratch_init 0
		.amdhsa_user_sgpr_kernarg_preload_length 0
		.amdhsa_user_sgpr_kernarg_preload_offset 0
		.amdhsa_user_sgpr_private_segment_size 0
		.amdhsa_uses_dynamic_stack 0
		.amdhsa_system_sgpr_private_segment_wavefront_offset 0
		.amdhsa_system_sgpr_workgroup_id_x 1
		.amdhsa_system_sgpr_workgroup_id_y 0
		.amdhsa_system_sgpr_workgroup_id_z 0
		.amdhsa_system_sgpr_workgroup_info 0
		.amdhsa_system_vgpr_workitem_id 0
		.amdhsa_next_free_vgpr 1
		.amdhsa_next_free_sgpr 0
		.amdhsa_accum_offset 4
		.amdhsa_reserve_vcc 0
		.amdhsa_reserve_flat_scratch 0
		.amdhsa_float_round_mode_32 0
		.amdhsa_float_round_mode_16_64 0
		.amdhsa_float_denorm_mode_32 3
		.amdhsa_float_denorm_mode_16_64 3
		.amdhsa_dx10_clamp 1
		.amdhsa_ieee_mode 1
		.amdhsa_fp16_overflow 0
		.amdhsa_tg_split 0
		.amdhsa_exception_fp_ieee_invalid_op 0
		.amdhsa_exception_fp_denorm_src 0
		.amdhsa_exception_fp_ieee_div_zero 0
		.amdhsa_exception_fp_ieee_overflow 0
		.amdhsa_exception_fp_ieee_underflow 0
		.amdhsa_exception_fp_ieee_inexact 0
		.amdhsa_exception_int_div_zero 0
	.end_amdhsa_kernel
	.section	.text._ZN7rocprim17ROCPRIM_400000_NS6detail17trampoline_kernelINS0_13select_configILj256ELj13ELNS0_17block_load_methodE3ELS4_3ELS4_3ELNS0_20block_scan_algorithmE0ELj4294967295EEENS1_25partition_config_selectorILNS1_17partition_subalgoE3EjNS0_10empty_typeEbEEZZNS1_14partition_implILS8_3ELb0ES6_jNS0_17counting_iteratorIjlEEPS9_SE_NS0_5tupleIJPjSE_EEENSF_IJSE_SE_EEES9_SG_JZNS1_25segmented_radix_sort_implINS0_14default_configELb0EPKbPbPKlPlN2at6native12_GLOBAL__N_18offset_tEEE10hipError_tPvRmT1_PNSt15iterator_traitsISY_E10value_typeET2_T3_PNSZ_IS14_E10value_typeET4_jRbjT5_S1A_jjP12ihipStream_tbEUljE_EEESV_SW_SX_S14_S18_S1A_T6_T7_T9_mT8_S1C_bDpT10_ENKUlT_T0_E_clISt17integral_constantIbLb1EES1O_IbLb0EEEEDaS1K_S1L_EUlS1K_E_NS1_11comp_targetILNS1_3genE9ELNS1_11target_archE1100ELNS1_3gpuE3ELNS1_3repE0EEENS1_30default_config_static_selectorELNS0_4arch9wavefront6targetE1EEEvSY_,"axG",@progbits,_ZN7rocprim17ROCPRIM_400000_NS6detail17trampoline_kernelINS0_13select_configILj256ELj13ELNS0_17block_load_methodE3ELS4_3ELS4_3ELNS0_20block_scan_algorithmE0ELj4294967295EEENS1_25partition_config_selectorILNS1_17partition_subalgoE3EjNS0_10empty_typeEbEEZZNS1_14partition_implILS8_3ELb0ES6_jNS0_17counting_iteratorIjlEEPS9_SE_NS0_5tupleIJPjSE_EEENSF_IJSE_SE_EEES9_SG_JZNS1_25segmented_radix_sort_implINS0_14default_configELb0EPKbPbPKlPlN2at6native12_GLOBAL__N_18offset_tEEE10hipError_tPvRmT1_PNSt15iterator_traitsISY_E10value_typeET2_T3_PNSZ_IS14_E10value_typeET4_jRbjT5_S1A_jjP12ihipStream_tbEUljE_EEESV_SW_SX_S14_S18_S1A_T6_T7_T9_mT8_S1C_bDpT10_ENKUlT_T0_E_clISt17integral_constantIbLb1EES1O_IbLb0EEEEDaS1K_S1L_EUlS1K_E_NS1_11comp_targetILNS1_3genE9ELNS1_11target_archE1100ELNS1_3gpuE3ELNS1_3repE0EEENS1_30default_config_static_selectorELNS0_4arch9wavefront6targetE1EEEvSY_,comdat
.Lfunc_end1623:
	.size	_ZN7rocprim17ROCPRIM_400000_NS6detail17trampoline_kernelINS0_13select_configILj256ELj13ELNS0_17block_load_methodE3ELS4_3ELS4_3ELNS0_20block_scan_algorithmE0ELj4294967295EEENS1_25partition_config_selectorILNS1_17partition_subalgoE3EjNS0_10empty_typeEbEEZZNS1_14partition_implILS8_3ELb0ES6_jNS0_17counting_iteratorIjlEEPS9_SE_NS0_5tupleIJPjSE_EEENSF_IJSE_SE_EEES9_SG_JZNS1_25segmented_radix_sort_implINS0_14default_configELb0EPKbPbPKlPlN2at6native12_GLOBAL__N_18offset_tEEE10hipError_tPvRmT1_PNSt15iterator_traitsISY_E10value_typeET2_T3_PNSZ_IS14_E10value_typeET4_jRbjT5_S1A_jjP12ihipStream_tbEUljE_EEESV_SW_SX_S14_S18_S1A_T6_T7_T9_mT8_S1C_bDpT10_ENKUlT_T0_E_clISt17integral_constantIbLb1EES1O_IbLb0EEEEDaS1K_S1L_EUlS1K_E_NS1_11comp_targetILNS1_3genE9ELNS1_11target_archE1100ELNS1_3gpuE3ELNS1_3repE0EEENS1_30default_config_static_selectorELNS0_4arch9wavefront6targetE1EEEvSY_, .Lfunc_end1623-_ZN7rocprim17ROCPRIM_400000_NS6detail17trampoline_kernelINS0_13select_configILj256ELj13ELNS0_17block_load_methodE3ELS4_3ELS4_3ELNS0_20block_scan_algorithmE0ELj4294967295EEENS1_25partition_config_selectorILNS1_17partition_subalgoE3EjNS0_10empty_typeEbEEZZNS1_14partition_implILS8_3ELb0ES6_jNS0_17counting_iteratorIjlEEPS9_SE_NS0_5tupleIJPjSE_EEENSF_IJSE_SE_EEES9_SG_JZNS1_25segmented_radix_sort_implINS0_14default_configELb0EPKbPbPKlPlN2at6native12_GLOBAL__N_18offset_tEEE10hipError_tPvRmT1_PNSt15iterator_traitsISY_E10value_typeET2_T3_PNSZ_IS14_E10value_typeET4_jRbjT5_S1A_jjP12ihipStream_tbEUljE_EEESV_SW_SX_S14_S18_S1A_T6_T7_T9_mT8_S1C_bDpT10_ENKUlT_T0_E_clISt17integral_constantIbLb1EES1O_IbLb0EEEEDaS1K_S1L_EUlS1K_E_NS1_11comp_targetILNS1_3genE9ELNS1_11target_archE1100ELNS1_3gpuE3ELNS1_3repE0EEENS1_30default_config_static_selectorELNS0_4arch9wavefront6targetE1EEEvSY_
                                        ; -- End function
	.section	.AMDGPU.csdata,"",@progbits
; Kernel info:
; codeLenInByte = 0
; NumSgprs: 4
; NumVgprs: 0
; NumAgprs: 0
; TotalNumVgprs: 0
; ScratchSize: 0
; MemoryBound: 0
; FloatMode: 240
; IeeeMode: 1
; LDSByteSize: 0 bytes/workgroup (compile time only)
; SGPRBlocks: 0
; VGPRBlocks: 0
; NumSGPRsForWavesPerEU: 4
; NumVGPRsForWavesPerEU: 1
; AccumOffset: 4
; Occupancy: 8
; WaveLimiterHint : 0
; COMPUTE_PGM_RSRC2:SCRATCH_EN: 0
; COMPUTE_PGM_RSRC2:USER_SGPR: 6
; COMPUTE_PGM_RSRC2:TRAP_HANDLER: 0
; COMPUTE_PGM_RSRC2:TGID_X_EN: 1
; COMPUTE_PGM_RSRC2:TGID_Y_EN: 0
; COMPUTE_PGM_RSRC2:TGID_Z_EN: 0
; COMPUTE_PGM_RSRC2:TIDIG_COMP_CNT: 0
; COMPUTE_PGM_RSRC3_GFX90A:ACCUM_OFFSET: 0
; COMPUTE_PGM_RSRC3_GFX90A:TG_SPLIT: 0
	.section	.text._ZN7rocprim17ROCPRIM_400000_NS6detail17trampoline_kernelINS0_13select_configILj256ELj13ELNS0_17block_load_methodE3ELS4_3ELS4_3ELNS0_20block_scan_algorithmE0ELj4294967295EEENS1_25partition_config_selectorILNS1_17partition_subalgoE3EjNS0_10empty_typeEbEEZZNS1_14partition_implILS8_3ELb0ES6_jNS0_17counting_iteratorIjlEEPS9_SE_NS0_5tupleIJPjSE_EEENSF_IJSE_SE_EEES9_SG_JZNS1_25segmented_radix_sort_implINS0_14default_configELb0EPKbPbPKlPlN2at6native12_GLOBAL__N_18offset_tEEE10hipError_tPvRmT1_PNSt15iterator_traitsISY_E10value_typeET2_T3_PNSZ_IS14_E10value_typeET4_jRbjT5_S1A_jjP12ihipStream_tbEUljE_EEESV_SW_SX_S14_S18_S1A_T6_T7_T9_mT8_S1C_bDpT10_ENKUlT_T0_E_clISt17integral_constantIbLb1EES1O_IbLb0EEEEDaS1K_S1L_EUlS1K_E_NS1_11comp_targetILNS1_3genE8ELNS1_11target_archE1030ELNS1_3gpuE2ELNS1_3repE0EEENS1_30default_config_static_selectorELNS0_4arch9wavefront6targetE1EEEvSY_,"axG",@progbits,_ZN7rocprim17ROCPRIM_400000_NS6detail17trampoline_kernelINS0_13select_configILj256ELj13ELNS0_17block_load_methodE3ELS4_3ELS4_3ELNS0_20block_scan_algorithmE0ELj4294967295EEENS1_25partition_config_selectorILNS1_17partition_subalgoE3EjNS0_10empty_typeEbEEZZNS1_14partition_implILS8_3ELb0ES6_jNS0_17counting_iteratorIjlEEPS9_SE_NS0_5tupleIJPjSE_EEENSF_IJSE_SE_EEES9_SG_JZNS1_25segmented_radix_sort_implINS0_14default_configELb0EPKbPbPKlPlN2at6native12_GLOBAL__N_18offset_tEEE10hipError_tPvRmT1_PNSt15iterator_traitsISY_E10value_typeET2_T3_PNSZ_IS14_E10value_typeET4_jRbjT5_S1A_jjP12ihipStream_tbEUljE_EEESV_SW_SX_S14_S18_S1A_T6_T7_T9_mT8_S1C_bDpT10_ENKUlT_T0_E_clISt17integral_constantIbLb1EES1O_IbLb0EEEEDaS1K_S1L_EUlS1K_E_NS1_11comp_targetILNS1_3genE8ELNS1_11target_archE1030ELNS1_3gpuE2ELNS1_3repE0EEENS1_30default_config_static_selectorELNS0_4arch9wavefront6targetE1EEEvSY_,comdat
	.globl	_ZN7rocprim17ROCPRIM_400000_NS6detail17trampoline_kernelINS0_13select_configILj256ELj13ELNS0_17block_load_methodE3ELS4_3ELS4_3ELNS0_20block_scan_algorithmE0ELj4294967295EEENS1_25partition_config_selectorILNS1_17partition_subalgoE3EjNS0_10empty_typeEbEEZZNS1_14partition_implILS8_3ELb0ES6_jNS0_17counting_iteratorIjlEEPS9_SE_NS0_5tupleIJPjSE_EEENSF_IJSE_SE_EEES9_SG_JZNS1_25segmented_radix_sort_implINS0_14default_configELb0EPKbPbPKlPlN2at6native12_GLOBAL__N_18offset_tEEE10hipError_tPvRmT1_PNSt15iterator_traitsISY_E10value_typeET2_T3_PNSZ_IS14_E10value_typeET4_jRbjT5_S1A_jjP12ihipStream_tbEUljE_EEESV_SW_SX_S14_S18_S1A_T6_T7_T9_mT8_S1C_bDpT10_ENKUlT_T0_E_clISt17integral_constantIbLb1EES1O_IbLb0EEEEDaS1K_S1L_EUlS1K_E_NS1_11comp_targetILNS1_3genE8ELNS1_11target_archE1030ELNS1_3gpuE2ELNS1_3repE0EEENS1_30default_config_static_selectorELNS0_4arch9wavefront6targetE1EEEvSY_ ; -- Begin function _ZN7rocprim17ROCPRIM_400000_NS6detail17trampoline_kernelINS0_13select_configILj256ELj13ELNS0_17block_load_methodE3ELS4_3ELS4_3ELNS0_20block_scan_algorithmE0ELj4294967295EEENS1_25partition_config_selectorILNS1_17partition_subalgoE3EjNS0_10empty_typeEbEEZZNS1_14partition_implILS8_3ELb0ES6_jNS0_17counting_iteratorIjlEEPS9_SE_NS0_5tupleIJPjSE_EEENSF_IJSE_SE_EEES9_SG_JZNS1_25segmented_radix_sort_implINS0_14default_configELb0EPKbPbPKlPlN2at6native12_GLOBAL__N_18offset_tEEE10hipError_tPvRmT1_PNSt15iterator_traitsISY_E10value_typeET2_T3_PNSZ_IS14_E10value_typeET4_jRbjT5_S1A_jjP12ihipStream_tbEUljE_EEESV_SW_SX_S14_S18_S1A_T6_T7_T9_mT8_S1C_bDpT10_ENKUlT_T0_E_clISt17integral_constantIbLb1EES1O_IbLb0EEEEDaS1K_S1L_EUlS1K_E_NS1_11comp_targetILNS1_3genE8ELNS1_11target_archE1030ELNS1_3gpuE2ELNS1_3repE0EEENS1_30default_config_static_selectorELNS0_4arch9wavefront6targetE1EEEvSY_
	.p2align	8
	.type	_ZN7rocprim17ROCPRIM_400000_NS6detail17trampoline_kernelINS0_13select_configILj256ELj13ELNS0_17block_load_methodE3ELS4_3ELS4_3ELNS0_20block_scan_algorithmE0ELj4294967295EEENS1_25partition_config_selectorILNS1_17partition_subalgoE3EjNS0_10empty_typeEbEEZZNS1_14partition_implILS8_3ELb0ES6_jNS0_17counting_iteratorIjlEEPS9_SE_NS0_5tupleIJPjSE_EEENSF_IJSE_SE_EEES9_SG_JZNS1_25segmented_radix_sort_implINS0_14default_configELb0EPKbPbPKlPlN2at6native12_GLOBAL__N_18offset_tEEE10hipError_tPvRmT1_PNSt15iterator_traitsISY_E10value_typeET2_T3_PNSZ_IS14_E10value_typeET4_jRbjT5_S1A_jjP12ihipStream_tbEUljE_EEESV_SW_SX_S14_S18_S1A_T6_T7_T9_mT8_S1C_bDpT10_ENKUlT_T0_E_clISt17integral_constantIbLb1EES1O_IbLb0EEEEDaS1K_S1L_EUlS1K_E_NS1_11comp_targetILNS1_3genE8ELNS1_11target_archE1030ELNS1_3gpuE2ELNS1_3repE0EEENS1_30default_config_static_selectorELNS0_4arch9wavefront6targetE1EEEvSY_,@function
_ZN7rocprim17ROCPRIM_400000_NS6detail17trampoline_kernelINS0_13select_configILj256ELj13ELNS0_17block_load_methodE3ELS4_3ELS4_3ELNS0_20block_scan_algorithmE0ELj4294967295EEENS1_25partition_config_selectorILNS1_17partition_subalgoE3EjNS0_10empty_typeEbEEZZNS1_14partition_implILS8_3ELb0ES6_jNS0_17counting_iteratorIjlEEPS9_SE_NS0_5tupleIJPjSE_EEENSF_IJSE_SE_EEES9_SG_JZNS1_25segmented_radix_sort_implINS0_14default_configELb0EPKbPbPKlPlN2at6native12_GLOBAL__N_18offset_tEEE10hipError_tPvRmT1_PNSt15iterator_traitsISY_E10value_typeET2_T3_PNSZ_IS14_E10value_typeET4_jRbjT5_S1A_jjP12ihipStream_tbEUljE_EEESV_SW_SX_S14_S18_S1A_T6_T7_T9_mT8_S1C_bDpT10_ENKUlT_T0_E_clISt17integral_constantIbLb1EES1O_IbLb0EEEEDaS1K_S1L_EUlS1K_E_NS1_11comp_targetILNS1_3genE8ELNS1_11target_archE1030ELNS1_3gpuE2ELNS1_3repE0EEENS1_30default_config_static_selectorELNS0_4arch9wavefront6targetE1EEEvSY_: ; @_ZN7rocprim17ROCPRIM_400000_NS6detail17trampoline_kernelINS0_13select_configILj256ELj13ELNS0_17block_load_methodE3ELS4_3ELS4_3ELNS0_20block_scan_algorithmE0ELj4294967295EEENS1_25partition_config_selectorILNS1_17partition_subalgoE3EjNS0_10empty_typeEbEEZZNS1_14partition_implILS8_3ELb0ES6_jNS0_17counting_iteratorIjlEEPS9_SE_NS0_5tupleIJPjSE_EEENSF_IJSE_SE_EEES9_SG_JZNS1_25segmented_radix_sort_implINS0_14default_configELb0EPKbPbPKlPlN2at6native12_GLOBAL__N_18offset_tEEE10hipError_tPvRmT1_PNSt15iterator_traitsISY_E10value_typeET2_T3_PNSZ_IS14_E10value_typeET4_jRbjT5_S1A_jjP12ihipStream_tbEUljE_EEESV_SW_SX_S14_S18_S1A_T6_T7_T9_mT8_S1C_bDpT10_ENKUlT_T0_E_clISt17integral_constantIbLb1EES1O_IbLb0EEEEDaS1K_S1L_EUlS1K_E_NS1_11comp_targetILNS1_3genE8ELNS1_11target_archE1030ELNS1_3gpuE2ELNS1_3repE0EEENS1_30default_config_static_selectorELNS0_4arch9wavefront6targetE1EEEvSY_
; %bb.0:
	.section	.rodata,"a",@progbits
	.p2align	6, 0x0
	.amdhsa_kernel _ZN7rocprim17ROCPRIM_400000_NS6detail17trampoline_kernelINS0_13select_configILj256ELj13ELNS0_17block_load_methodE3ELS4_3ELS4_3ELNS0_20block_scan_algorithmE0ELj4294967295EEENS1_25partition_config_selectorILNS1_17partition_subalgoE3EjNS0_10empty_typeEbEEZZNS1_14partition_implILS8_3ELb0ES6_jNS0_17counting_iteratorIjlEEPS9_SE_NS0_5tupleIJPjSE_EEENSF_IJSE_SE_EEES9_SG_JZNS1_25segmented_radix_sort_implINS0_14default_configELb0EPKbPbPKlPlN2at6native12_GLOBAL__N_18offset_tEEE10hipError_tPvRmT1_PNSt15iterator_traitsISY_E10value_typeET2_T3_PNSZ_IS14_E10value_typeET4_jRbjT5_S1A_jjP12ihipStream_tbEUljE_EEESV_SW_SX_S14_S18_S1A_T6_T7_T9_mT8_S1C_bDpT10_ENKUlT_T0_E_clISt17integral_constantIbLb1EES1O_IbLb0EEEEDaS1K_S1L_EUlS1K_E_NS1_11comp_targetILNS1_3genE8ELNS1_11target_archE1030ELNS1_3gpuE2ELNS1_3repE0EEENS1_30default_config_static_selectorELNS0_4arch9wavefront6targetE1EEEvSY_
		.amdhsa_group_segment_fixed_size 0
		.amdhsa_private_segment_fixed_size 0
		.amdhsa_kernarg_size 144
		.amdhsa_user_sgpr_count 6
		.amdhsa_user_sgpr_private_segment_buffer 1
		.amdhsa_user_sgpr_dispatch_ptr 0
		.amdhsa_user_sgpr_queue_ptr 0
		.amdhsa_user_sgpr_kernarg_segment_ptr 1
		.amdhsa_user_sgpr_dispatch_id 0
		.amdhsa_user_sgpr_flat_scratch_init 0
		.amdhsa_user_sgpr_kernarg_preload_length 0
		.amdhsa_user_sgpr_kernarg_preload_offset 0
		.amdhsa_user_sgpr_private_segment_size 0
		.amdhsa_uses_dynamic_stack 0
		.amdhsa_system_sgpr_private_segment_wavefront_offset 0
		.amdhsa_system_sgpr_workgroup_id_x 1
		.amdhsa_system_sgpr_workgroup_id_y 0
		.amdhsa_system_sgpr_workgroup_id_z 0
		.amdhsa_system_sgpr_workgroup_info 0
		.amdhsa_system_vgpr_workitem_id 0
		.amdhsa_next_free_vgpr 1
		.amdhsa_next_free_sgpr 0
		.amdhsa_accum_offset 4
		.amdhsa_reserve_vcc 0
		.amdhsa_reserve_flat_scratch 0
		.amdhsa_float_round_mode_32 0
		.amdhsa_float_round_mode_16_64 0
		.amdhsa_float_denorm_mode_32 3
		.amdhsa_float_denorm_mode_16_64 3
		.amdhsa_dx10_clamp 1
		.amdhsa_ieee_mode 1
		.amdhsa_fp16_overflow 0
		.amdhsa_tg_split 0
		.amdhsa_exception_fp_ieee_invalid_op 0
		.amdhsa_exception_fp_denorm_src 0
		.amdhsa_exception_fp_ieee_div_zero 0
		.amdhsa_exception_fp_ieee_overflow 0
		.amdhsa_exception_fp_ieee_underflow 0
		.amdhsa_exception_fp_ieee_inexact 0
		.amdhsa_exception_int_div_zero 0
	.end_amdhsa_kernel
	.section	.text._ZN7rocprim17ROCPRIM_400000_NS6detail17trampoline_kernelINS0_13select_configILj256ELj13ELNS0_17block_load_methodE3ELS4_3ELS4_3ELNS0_20block_scan_algorithmE0ELj4294967295EEENS1_25partition_config_selectorILNS1_17partition_subalgoE3EjNS0_10empty_typeEbEEZZNS1_14partition_implILS8_3ELb0ES6_jNS0_17counting_iteratorIjlEEPS9_SE_NS0_5tupleIJPjSE_EEENSF_IJSE_SE_EEES9_SG_JZNS1_25segmented_radix_sort_implINS0_14default_configELb0EPKbPbPKlPlN2at6native12_GLOBAL__N_18offset_tEEE10hipError_tPvRmT1_PNSt15iterator_traitsISY_E10value_typeET2_T3_PNSZ_IS14_E10value_typeET4_jRbjT5_S1A_jjP12ihipStream_tbEUljE_EEESV_SW_SX_S14_S18_S1A_T6_T7_T9_mT8_S1C_bDpT10_ENKUlT_T0_E_clISt17integral_constantIbLb1EES1O_IbLb0EEEEDaS1K_S1L_EUlS1K_E_NS1_11comp_targetILNS1_3genE8ELNS1_11target_archE1030ELNS1_3gpuE2ELNS1_3repE0EEENS1_30default_config_static_selectorELNS0_4arch9wavefront6targetE1EEEvSY_,"axG",@progbits,_ZN7rocprim17ROCPRIM_400000_NS6detail17trampoline_kernelINS0_13select_configILj256ELj13ELNS0_17block_load_methodE3ELS4_3ELS4_3ELNS0_20block_scan_algorithmE0ELj4294967295EEENS1_25partition_config_selectorILNS1_17partition_subalgoE3EjNS0_10empty_typeEbEEZZNS1_14partition_implILS8_3ELb0ES6_jNS0_17counting_iteratorIjlEEPS9_SE_NS0_5tupleIJPjSE_EEENSF_IJSE_SE_EEES9_SG_JZNS1_25segmented_radix_sort_implINS0_14default_configELb0EPKbPbPKlPlN2at6native12_GLOBAL__N_18offset_tEEE10hipError_tPvRmT1_PNSt15iterator_traitsISY_E10value_typeET2_T3_PNSZ_IS14_E10value_typeET4_jRbjT5_S1A_jjP12ihipStream_tbEUljE_EEESV_SW_SX_S14_S18_S1A_T6_T7_T9_mT8_S1C_bDpT10_ENKUlT_T0_E_clISt17integral_constantIbLb1EES1O_IbLb0EEEEDaS1K_S1L_EUlS1K_E_NS1_11comp_targetILNS1_3genE8ELNS1_11target_archE1030ELNS1_3gpuE2ELNS1_3repE0EEENS1_30default_config_static_selectorELNS0_4arch9wavefront6targetE1EEEvSY_,comdat
.Lfunc_end1624:
	.size	_ZN7rocprim17ROCPRIM_400000_NS6detail17trampoline_kernelINS0_13select_configILj256ELj13ELNS0_17block_load_methodE3ELS4_3ELS4_3ELNS0_20block_scan_algorithmE0ELj4294967295EEENS1_25partition_config_selectorILNS1_17partition_subalgoE3EjNS0_10empty_typeEbEEZZNS1_14partition_implILS8_3ELb0ES6_jNS0_17counting_iteratorIjlEEPS9_SE_NS0_5tupleIJPjSE_EEENSF_IJSE_SE_EEES9_SG_JZNS1_25segmented_radix_sort_implINS0_14default_configELb0EPKbPbPKlPlN2at6native12_GLOBAL__N_18offset_tEEE10hipError_tPvRmT1_PNSt15iterator_traitsISY_E10value_typeET2_T3_PNSZ_IS14_E10value_typeET4_jRbjT5_S1A_jjP12ihipStream_tbEUljE_EEESV_SW_SX_S14_S18_S1A_T6_T7_T9_mT8_S1C_bDpT10_ENKUlT_T0_E_clISt17integral_constantIbLb1EES1O_IbLb0EEEEDaS1K_S1L_EUlS1K_E_NS1_11comp_targetILNS1_3genE8ELNS1_11target_archE1030ELNS1_3gpuE2ELNS1_3repE0EEENS1_30default_config_static_selectorELNS0_4arch9wavefront6targetE1EEEvSY_, .Lfunc_end1624-_ZN7rocprim17ROCPRIM_400000_NS6detail17trampoline_kernelINS0_13select_configILj256ELj13ELNS0_17block_load_methodE3ELS4_3ELS4_3ELNS0_20block_scan_algorithmE0ELj4294967295EEENS1_25partition_config_selectorILNS1_17partition_subalgoE3EjNS0_10empty_typeEbEEZZNS1_14partition_implILS8_3ELb0ES6_jNS0_17counting_iteratorIjlEEPS9_SE_NS0_5tupleIJPjSE_EEENSF_IJSE_SE_EEES9_SG_JZNS1_25segmented_radix_sort_implINS0_14default_configELb0EPKbPbPKlPlN2at6native12_GLOBAL__N_18offset_tEEE10hipError_tPvRmT1_PNSt15iterator_traitsISY_E10value_typeET2_T3_PNSZ_IS14_E10value_typeET4_jRbjT5_S1A_jjP12ihipStream_tbEUljE_EEESV_SW_SX_S14_S18_S1A_T6_T7_T9_mT8_S1C_bDpT10_ENKUlT_T0_E_clISt17integral_constantIbLb1EES1O_IbLb0EEEEDaS1K_S1L_EUlS1K_E_NS1_11comp_targetILNS1_3genE8ELNS1_11target_archE1030ELNS1_3gpuE2ELNS1_3repE0EEENS1_30default_config_static_selectorELNS0_4arch9wavefront6targetE1EEEvSY_
                                        ; -- End function
	.section	.AMDGPU.csdata,"",@progbits
; Kernel info:
; codeLenInByte = 0
; NumSgprs: 4
; NumVgprs: 0
; NumAgprs: 0
; TotalNumVgprs: 0
; ScratchSize: 0
; MemoryBound: 0
; FloatMode: 240
; IeeeMode: 1
; LDSByteSize: 0 bytes/workgroup (compile time only)
; SGPRBlocks: 0
; VGPRBlocks: 0
; NumSGPRsForWavesPerEU: 4
; NumVGPRsForWavesPerEU: 1
; AccumOffset: 4
; Occupancy: 8
; WaveLimiterHint : 0
; COMPUTE_PGM_RSRC2:SCRATCH_EN: 0
; COMPUTE_PGM_RSRC2:USER_SGPR: 6
; COMPUTE_PGM_RSRC2:TRAP_HANDLER: 0
; COMPUTE_PGM_RSRC2:TGID_X_EN: 1
; COMPUTE_PGM_RSRC2:TGID_Y_EN: 0
; COMPUTE_PGM_RSRC2:TGID_Z_EN: 0
; COMPUTE_PGM_RSRC2:TIDIG_COMP_CNT: 0
; COMPUTE_PGM_RSRC3_GFX90A:ACCUM_OFFSET: 0
; COMPUTE_PGM_RSRC3_GFX90A:TG_SPLIT: 0
	.section	.text._ZN7rocprim17ROCPRIM_400000_NS6detail17trampoline_kernelINS0_13select_configILj256ELj13ELNS0_17block_load_methodE3ELS4_3ELS4_3ELNS0_20block_scan_algorithmE0ELj4294967295EEENS1_25partition_config_selectorILNS1_17partition_subalgoE3EjNS0_10empty_typeEbEEZZNS1_14partition_implILS8_3ELb0ES6_jNS0_17counting_iteratorIjlEEPS9_SE_NS0_5tupleIJPjSE_EEENSF_IJSE_SE_EEES9_SG_JZNS1_25segmented_radix_sort_implINS0_14default_configELb0EPKbPbPKlPlN2at6native12_GLOBAL__N_18offset_tEEE10hipError_tPvRmT1_PNSt15iterator_traitsISY_E10value_typeET2_T3_PNSZ_IS14_E10value_typeET4_jRbjT5_S1A_jjP12ihipStream_tbEUljE_EEESV_SW_SX_S14_S18_S1A_T6_T7_T9_mT8_S1C_bDpT10_ENKUlT_T0_E_clISt17integral_constantIbLb0EES1O_IbLb1EEEEDaS1K_S1L_EUlS1K_E_NS1_11comp_targetILNS1_3genE0ELNS1_11target_archE4294967295ELNS1_3gpuE0ELNS1_3repE0EEENS1_30default_config_static_selectorELNS0_4arch9wavefront6targetE1EEEvSY_,"axG",@progbits,_ZN7rocprim17ROCPRIM_400000_NS6detail17trampoline_kernelINS0_13select_configILj256ELj13ELNS0_17block_load_methodE3ELS4_3ELS4_3ELNS0_20block_scan_algorithmE0ELj4294967295EEENS1_25partition_config_selectorILNS1_17partition_subalgoE3EjNS0_10empty_typeEbEEZZNS1_14partition_implILS8_3ELb0ES6_jNS0_17counting_iteratorIjlEEPS9_SE_NS0_5tupleIJPjSE_EEENSF_IJSE_SE_EEES9_SG_JZNS1_25segmented_radix_sort_implINS0_14default_configELb0EPKbPbPKlPlN2at6native12_GLOBAL__N_18offset_tEEE10hipError_tPvRmT1_PNSt15iterator_traitsISY_E10value_typeET2_T3_PNSZ_IS14_E10value_typeET4_jRbjT5_S1A_jjP12ihipStream_tbEUljE_EEESV_SW_SX_S14_S18_S1A_T6_T7_T9_mT8_S1C_bDpT10_ENKUlT_T0_E_clISt17integral_constantIbLb0EES1O_IbLb1EEEEDaS1K_S1L_EUlS1K_E_NS1_11comp_targetILNS1_3genE0ELNS1_11target_archE4294967295ELNS1_3gpuE0ELNS1_3repE0EEENS1_30default_config_static_selectorELNS0_4arch9wavefront6targetE1EEEvSY_,comdat
	.globl	_ZN7rocprim17ROCPRIM_400000_NS6detail17trampoline_kernelINS0_13select_configILj256ELj13ELNS0_17block_load_methodE3ELS4_3ELS4_3ELNS0_20block_scan_algorithmE0ELj4294967295EEENS1_25partition_config_selectorILNS1_17partition_subalgoE3EjNS0_10empty_typeEbEEZZNS1_14partition_implILS8_3ELb0ES6_jNS0_17counting_iteratorIjlEEPS9_SE_NS0_5tupleIJPjSE_EEENSF_IJSE_SE_EEES9_SG_JZNS1_25segmented_radix_sort_implINS0_14default_configELb0EPKbPbPKlPlN2at6native12_GLOBAL__N_18offset_tEEE10hipError_tPvRmT1_PNSt15iterator_traitsISY_E10value_typeET2_T3_PNSZ_IS14_E10value_typeET4_jRbjT5_S1A_jjP12ihipStream_tbEUljE_EEESV_SW_SX_S14_S18_S1A_T6_T7_T9_mT8_S1C_bDpT10_ENKUlT_T0_E_clISt17integral_constantIbLb0EES1O_IbLb1EEEEDaS1K_S1L_EUlS1K_E_NS1_11comp_targetILNS1_3genE0ELNS1_11target_archE4294967295ELNS1_3gpuE0ELNS1_3repE0EEENS1_30default_config_static_selectorELNS0_4arch9wavefront6targetE1EEEvSY_ ; -- Begin function _ZN7rocprim17ROCPRIM_400000_NS6detail17trampoline_kernelINS0_13select_configILj256ELj13ELNS0_17block_load_methodE3ELS4_3ELS4_3ELNS0_20block_scan_algorithmE0ELj4294967295EEENS1_25partition_config_selectorILNS1_17partition_subalgoE3EjNS0_10empty_typeEbEEZZNS1_14partition_implILS8_3ELb0ES6_jNS0_17counting_iteratorIjlEEPS9_SE_NS0_5tupleIJPjSE_EEENSF_IJSE_SE_EEES9_SG_JZNS1_25segmented_radix_sort_implINS0_14default_configELb0EPKbPbPKlPlN2at6native12_GLOBAL__N_18offset_tEEE10hipError_tPvRmT1_PNSt15iterator_traitsISY_E10value_typeET2_T3_PNSZ_IS14_E10value_typeET4_jRbjT5_S1A_jjP12ihipStream_tbEUljE_EEESV_SW_SX_S14_S18_S1A_T6_T7_T9_mT8_S1C_bDpT10_ENKUlT_T0_E_clISt17integral_constantIbLb0EES1O_IbLb1EEEEDaS1K_S1L_EUlS1K_E_NS1_11comp_targetILNS1_3genE0ELNS1_11target_archE4294967295ELNS1_3gpuE0ELNS1_3repE0EEENS1_30default_config_static_selectorELNS0_4arch9wavefront6targetE1EEEvSY_
	.p2align	8
	.type	_ZN7rocprim17ROCPRIM_400000_NS6detail17trampoline_kernelINS0_13select_configILj256ELj13ELNS0_17block_load_methodE3ELS4_3ELS4_3ELNS0_20block_scan_algorithmE0ELj4294967295EEENS1_25partition_config_selectorILNS1_17partition_subalgoE3EjNS0_10empty_typeEbEEZZNS1_14partition_implILS8_3ELb0ES6_jNS0_17counting_iteratorIjlEEPS9_SE_NS0_5tupleIJPjSE_EEENSF_IJSE_SE_EEES9_SG_JZNS1_25segmented_radix_sort_implINS0_14default_configELb0EPKbPbPKlPlN2at6native12_GLOBAL__N_18offset_tEEE10hipError_tPvRmT1_PNSt15iterator_traitsISY_E10value_typeET2_T3_PNSZ_IS14_E10value_typeET4_jRbjT5_S1A_jjP12ihipStream_tbEUljE_EEESV_SW_SX_S14_S18_S1A_T6_T7_T9_mT8_S1C_bDpT10_ENKUlT_T0_E_clISt17integral_constantIbLb0EES1O_IbLb1EEEEDaS1K_S1L_EUlS1K_E_NS1_11comp_targetILNS1_3genE0ELNS1_11target_archE4294967295ELNS1_3gpuE0ELNS1_3repE0EEENS1_30default_config_static_selectorELNS0_4arch9wavefront6targetE1EEEvSY_,@function
_ZN7rocprim17ROCPRIM_400000_NS6detail17trampoline_kernelINS0_13select_configILj256ELj13ELNS0_17block_load_methodE3ELS4_3ELS4_3ELNS0_20block_scan_algorithmE0ELj4294967295EEENS1_25partition_config_selectorILNS1_17partition_subalgoE3EjNS0_10empty_typeEbEEZZNS1_14partition_implILS8_3ELb0ES6_jNS0_17counting_iteratorIjlEEPS9_SE_NS0_5tupleIJPjSE_EEENSF_IJSE_SE_EEES9_SG_JZNS1_25segmented_radix_sort_implINS0_14default_configELb0EPKbPbPKlPlN2at6native12_GLOBAL__N_18offset_tEEE10hipError_tPvRmT1_PNSt15iterator_traitsISY_E10value_typeET2_T3_PNSZ_IS14_E10value_typeET4_jRbjT5_S1A_jjP12ihipStream_tbEUljE_EEESV_SW_SX_S14_S18_S1A_T6_T7_T9_mT8_S1C_bDpT10_ENKUlT_T0_E_clISt17integral_constantIbLb0EES1O_IbLb1EEEEDaS1K_S1L_EUlS1K_E_NS1_11comp_targetILNS1_3genE0ELNS1_11target_archE4294967295ELNS1_3gpuE0ELNS1_3repE0EEENS1_30default_config_static_selectorELNS0_4arch9wavefront6targetE1EEEvSY_: ; @_ZN7rocprim17ROCPRIM_400000_NS6detail17trampoline_kernelINS0_13select_configILj256ELj13ELNS0_17block_load_methodE3ELS4_3ELS4_3ELNS0_20block_scan_algorithmE0ELj4294967295EEENS1_25partition_config_selectorILNS1_17partition_subalgoE3EjNS0_10empty_typeEbEEZZNS1_14partition_implILS8_3ELb0ES6_jNS0_17counting_iteratorIjlEEPS9_SE_NS0_5tupleIJPjSE_EEENSF_IJSE_SE_EEES9_SG_JZNS1_25segmented_radix_sort_implINS0_14default_configELb0EPKbPbPKlPlN2at6native12_GLOBAL__N_18offset_tEEE10hipError_tPvRmT1_PNSt15iterator_traitsISY_E10value_typeET2_T3_PNSZ_IS14_E10value_typeET4_jRbjT5_S1A_jjP12ihipStream_tbEUljE_EEESV_SW_SX_S14_S18_S1A_T6_T7_T9_mT8_S1C_bDpT10_ENKUlT_T0_E_clISt17integral_constantIbLb0EES1O_IbLb1EEEEDaS1K_S1L_EUlS1K_E_NS1_11comp_targetILNS1_3genE0ELNS1_11target_archE4294967295ELNS1_3gpuE0ELNS1_3repE0EEENS1_30default_config_static_selectorELNS0_4arch9wavefront6targetE1EEEvSY_
; %bb.0:
	.section	.rodata,"a",@progbits
	.p2align	6, 0x0
	.amdhsa_kernel _ZN7rocprim17ROCPRIM_400000_NS6detail17trampoline_kernelINS0_13select_configILj256ELj13ELNS0_17block_load_methodE3ELS4_3ELS4_3ELNS0_20block_scan_algorithmE0ELj4294967295EEENS1_25partition_config_selectorILNS1_17partition_subalgoE3EjNS0_10empty_typeEbEEZZNS1_14partition_implILS8_3ELb0ES6_jNS0_17counting_iteratorIjlEEPS9_SE_NS0_5tupleIJPjSE_EEENSF_IJSE_SE_EEES9_SG_JZNS1_25segmented_radix_sort_implINS0_14default_configELb0EPKbPbPKlPlN2at6native12_GLOBAL__N_18offset_tEEE10hipError_tPvRmT1_PNSt15iterator_traitsISY_E10value_typeET2_T3_PNSZ_IS14_E10value_typeET4_jRbjT5_S1A_jjP12ihipStream_tbEUljE_EEESV_SW_SX_S14_S18_S1A_T6_T7_T9_mT8_S1C_bDpT10_ENKUlT_T0_E_clISt17integral_constantIbLb0EES1O_IbLb1EEEEDaS1K_S1L_EUlS1K_E_NS1_11comp_targetILNS1_3genE0ELNS1_11target_archE4294967295ELNS1_3gpuE0ELNS1_3repE0EEENS1_30default_config_static_selectorELNS0_4arch9wavefront6targetE1EEEvSY_
		.amdhsa_group_segment_fixed_size 0
		.amdhsa_private_segment_fixed_size 0
		.amdhsa_kernarg_size 152
		.amdhsa_user_sgpr_count 6
		.amdhsa_user_sgpr_private_segment_buffer 1
		.amdhsa_user_sgpr_dispatch_ptr 0
		.amdhsa_user_sgpr_queue_ptr 0
		.amdhsa_user_sgpr_kernarg_segment_ptr 1
		.amdhsa_user_sgpr_dispatch_id 0
		.amdhsa_user_sgpr_flat_scratch_init 0
		.amdhsa_user_sgpr_kernarg_preload_length 0
		.amdhsa_user_sgpr_kernarg_preload_offset 0
		.amdhsa_user_sgpr_private_segment_size 0
		.amdhsa_uses_dynamic_stack 0
		.amdhsa_system_sgpr_private_segment_wavefront_offset 0
		.amdhsa_system_sgpr_workgroup_id_x 1
		.amdhsa_system_sgpr_workgroup_id_y 0
		.amdhsa_system_sgpr_workgroup_id_z 0
		.amdhsa_system_sgpr_workgroup_info 0
		.amdhsa_system_vgpr_workitem_id 0
		.amdhsa_next_free_vgpr 1
		.amdhsa_next_free_sgpr 0
		.amdhsa_accum_offset 4
		.amdhsa_reserve_vcc 0
		.amdhsa_reserve_flat_scratch 0
		.amdhsa_float_round_mode_32 0
		.amdhsa_float_round_mode_16_64 0
		.amdhsa_float_denorm_mode_32 3
		.amdhsa_float_denorm_mode_16_64 3
		.amdhsa_dx10_clamp 1
		.amdhsa_ieee_mode 1
		.amdhsa_fp16_overflow 0
		.amdhsa_tg_split 0
		.amdhsa_exception_fp_ieee_invalid_op 0
		.amdhsa_exception_fp_denorm_src 0
		.amdhsa_exception_fp_ieee_div_zero 0
		.amdhsa_exception_fp_ieee_overflow 0
		.amdhsa_exception_fp_ieee_underflow 0
		.amdhsa_exception_fp_ieee_inexact 0
		.amdhsa_exception_int_div_zero 0
	.end_amdhsa_kernel
	.section	.text._ZN7rocprim17ROCPRIM_400000_NS6detail17trampoline_kernelINS0_13select_configILj256ELj13ELNS0_17block_load_methodE3ELS4_3ELS4_3ELNS0_20block_scan_algorithmE0ELj4294967295EEENS1_25partition_config_selectorILNS1_17partition_subalgoE3EjNS0_10empty_typeEbEEZZNS1_14partition_implILS8_3ELb0ES6_jNS0_17counting_iteratorIjlEEPS9_SE_NS0_5tupleIJPjSE_EEENSF_IJSE_SE_EEES9_SG_JZNS1_25segmented_radix_sort_implINS0_14default_configELb0EPKbPbPKlPlN2at6native12_GLOBAL__N_18offset_tEEE10hipError_tPvRmT1_PNSt15iterator_traitsISY_E10value_typeET2_T3_PNSZ_IS14_E10value_typeET4_jRbjT5_S1A_jjP12ihipStream_tbEUljE_EEESV_SW_SX_S14_S18_S1A_T6_T7_T9_mT8_S1C_bDpT10_ENKUlT_T0_E_clISt17integral_constantIbLb0EES1O_IbLb1EEEEDaS1K_S1L_EUlS1K_E_NS1_11comp_targetILNS1_3genE0ELNS1_11target_archE4294967295ELNS1_3gpuE0ELNS1_3repE0EEENS1_30default_config_static_selectorELNS0_4arch9wavefront6targetE1EEEvSY_,"axG",@progbits,_ZN7rocprim17ROCPRIM_400000_NS6detail17trampoline_kernelINS0_13select_configILj256ELj13ELNS0_17block_load_methodE3ELS4_3ELS4_3ELNS0_20block_scan_algorithmE0ELj4294967295EEENS1_25partition_config_selectorILNS1_17partition_subalgoE3EjNS0_10empty_typeEbEEZZNS1_14partition_implILS8_3ELb0ES6_jNS0_17counting_iteratorIjlEEPS9_SE_NS0_5tupleIJPjSE_EEENSF_IJSE_SE_EEES9_SG_JZNS1_25segmented_radix_sort_implINS0_14default_configELb0EPKbPbPKlPlN2at6native12_GLOBAL__N_18offset_tEEE10hipError_tPvRmT1_PNSt15iterator_traitsISY_E10value_typeET2_T3_PNSZ_IS14_E10value_typeET4_jRbjT5_S1A_jjP12ihipStream_tbEUljE_EEESV_SW_SX_S14_S18_S1A_T6_T7_T9_mT8_S1C_bDpT10_ENKUlT_T0_E_clISt17integral_constantIbLb0EES1O_IbLb1EEEEDaS1K_S1L_EUlS1K_E_NS1_11comp_targetILNS1_3genE0ELNS1_11target_archE4294967295ELNS1_3gpuE0ELNS1_3repE0EEENS1_30default_config_static_selectorELNS0_4arch9wavefront6targetE1EEEvSY_,comdat
.Lfunc_end1625:
	.size	_ZN7rocprim17ROCPRIM_400000_NS6detail17trampoline_kernelINS0_13select_configILj256ELj13ELNS0_17block_load_methodE3ELS4_3ELS4_3ELNS0_20block_scan_algorithmE0ELj4294967295EEENS1_25partition_config_selectorILNS1_17partition_subalgoE3EjNS0_10empty_typeEbEEZZNS1_14partition_implILS8_3ELb0ES6_jNS0_17counting_iteratorIjlEEPS9_SE_NS0_5tupleIJPjSE_EEENSF_IJSE_SE_EEES9_SG_JZNS1_25segmented_radix_sort_implINS0_14default_configELb0EPKbPbPKlPlN2at6native12_GLOBAL__N_18offset_tEEE10hipError_tPvRmT1_PNSt15iterator_traitsISY_E10value_typeET2_T3_PNSZ_IS14_E10value_typeET4_jRbjT5_S1A_jjP12ihipStream_tbEUljE_EEESV_SW_SX_S14_S18_S1A_T6_T7_T9_mT8_S1C_bDpT10_ENKUlT_T0_E_clISt17integral_constantIbLb0EES1O_IbLb1EEEEDaS1K_S1L_EUlS1K_E_NS1_11comp_targetILNS1_3genE0ELNS1_11target_archE4294967295ELNS1_3gpuE0ELNS1_3repE0EEENS1_30default_config_static_selectorELNS0_4arch9wavefront6targetE1EEEvSY_, .Lfunc_end1625-_ZN7rocprim17ROCPRIM_400000_NS6detail17trampoline_kernelINS0_13select_configILj256ELj13ELNS0_17block_load_methodE3ELS4_3ELS4_3ELNS0_20block_scan_algorithmE0ELj4294967295EEENS1_25partition_config_selectorILNS1_17partition_subalgoE3EjNS0_10empty_typeEbEEZZNS1_14partition_implILS8_3ELb0ES6_jNS0_17counting_iteratorIjlEEPS9_SE_NS0_5tupleIJPjSE_EEENSF_IJSE_SE_EEES9_SG_JZNS1_25segmented_radix_sort_implINS0_14default_configELb0EPKbPbPKlPlN2at6native12_GLOBAL__N_18offset_tEEE10hipError_tPvRmT1_PNSt15iterator_traitsISY_E10value_typeET2_T3_PNSZ_IS14_E10value_typeET4_jRbjT5_S1A_jjP12ihipStream_tbEUljE_EEESV_SW_SX_S14_S18_S1A_T6_T7_T9_mT8_S1C_bDpT10_ENKUlT_T0_E_clISt17integral_constantIbLb0EES1O_IbLb1EEEEDaS1K_S1L_EUlS1K_E_NS1_11comp_targetILNS1_3genE0ELNS1_11target_archE4294967295ELNS1_3gpuE0ELNS1_3repE0EEENS1_30default_config_static_selectorELNS0_4arch9wavefront6targetE1EEEvSY_
                                        ; -- End function
	.section	.AMDGPU.csdata,"",@progbits
; Kernel info:
; codeLenInByte = 0
; NumSgprs: 4
; NumVgprs: 0
; NumAgprs: 0
; TotalNumVgprs: 0
; ScratchSize: 0
; MemoryBound: 0
; FloatMode: 240
; IeeeMode: 1
; LDSByteSize: 0 bytes/workgroup (compile time only)
; SGPRBlocks: 0
; VGPRBlocks: 0
; NumSGPRsForWavesPerEU: 4
; NumVGPRsForWavesPerEU: 1
; AccumOffset: 4
; Occupancy: 8
; WaveLimiterHint : 0
; COMPUTE_PGM_RSRC2:SCRATCH_EN: 0
; COMPUTE_PGM_RSRC2:USER_SGPR: 6
; COMPUTE_PGM_RSRC2:TRAP_HANDLER: 0
; COMPUTE_PGM_RSRC2:TGID_X_EN: 1
; COMPUTE_PGM_RSRC2:TGID_Y_EN: 0
; COMPUTE_PGM_RSRC2:TGID_Z_EN: 0
; COMPUTE_PGM_RSRC2:TIDIG_COMP_CNT: 0
; COMPUTE_PGM_RSRC3_GFX90A:ACCUM_OFFSET: 0
; COMPUTE_PGM_RSRC3_GFX90A:TG_SPLIT: 0
	.section	.text._ZN7rocprim17ROCPRIM_400000_NS6detail17trampoline_kernelINS0_13select_configILj256ELj13ELNS0_17block_load_methodE3ELS4_3ELS4_3ELNS0_20block_scan_algorithmE0ELj4294967295EEENS1_25partition_config_selectorILNS1_17partition_subalgoE3EjNS0_10empty_typeEbEEZZNS1_14partition_implILS8_3ELb0ES6_jNS0_17counting_iteratorIjlEEPS9_SE_NS0_5tupleIJPjSE_EEENSF_IJSE_SE_EEES9_SG_JZNS1_25segmented_radix_sort_implINS0_14default_configELb0EPKbPbPKlPlN2at6native12_GLOBAL__N_18offset_tEEE10hipError_tPvRmT1_PNSt15iterator_traitsISY_E10value_typeET2_T3_PNSZ_IS14_E10value_typeET4_jRbjT5_S1A_jjP12ihipStream_tbEUljE_EEESV_SW_SX_S14_S18_S1A_T6_T7_T9_mT8_S1C_bDpT10_ENKUlT_T0_E_clISt17integral_constantIbLb0EES1O_IbLb1EEEEDaS1K_S1L_EUlS1K_E_NS1_11comp_targetILNS1_3genE5ELNS1_11target_archE942ELNS1_3gpuE9ELNS1_3repE0EEENS1_30default_config_static_selectorELNS0_4arch9wavefront6targetE1EEEvSY_,"axG",@progbits,_ZN7rocprim17ROCPRIM_400000_NS6detail17trampoline_kernelINS0_13select_configILj256ELj13ELNS0_17block_load_methodE3ELS4_3ELS4_3ELNS0_20block_scan_algorithmE0ELj4294967295EEENS1_25partition_config_selectorILNS1_17partition_subalgoE3EjNS0_10empty_typeEbEEZZNS1_14partition_implILS8_3ELb0ES6_jNS0_17counting_iteratorIjlEEPS9_SE_NS0_5tupleIJPjSE_EEENSF_IJSE_SE_EEES9_SG_JZNS1_25segmented_radix_sort_implINS0_14default_configELb0EPKbPbPKlPlN2at6native12_GLOBAL__N_18offset_tEEE10hipError_tPvRmT1_PNSt15iterator_traitsISY_E10value_typeET2_T3_PNSZ_IS14_E10value_typeET4_jRbjT5_S1A_jjP12ihipStream_tbEUljE_EEESV_SW_SX_S14_S18_S1A_T6_T7_T9_mT8_S1C_bDpT10_ENKUlT_T0_E_clISt17integral_constantIbLb0EES1O_IbLb1EEEEDaS1K_S1L_EUlS1K_E_NS1_11comp_targetILNS1_3genE5ELNS1_11target_archE942ELNS1_3gpuE9ELNS1_3repE0EEENS1_30default_config_static_selectorELNS0_4arch9wavefront6targetE1EEEvSY_,comdat
	.globl	_ZN7rocprim17ROCPRIM_400000_NS6detail17trampoline_kernelINS0_13select_configILj256ELj13ELNS0_17block_load_methodE3ELS4_3ELS4_3ELNS0_20block_scan_algorithmE0ELj4294967295EEENS1_25partition_config_selectorILNS1_17partition_subalgoE3EjNS0_10empty_typeEbEEZZNS1_14partition_implILS8_3ELb0ES6_jNS0_17counting_iteratorIjlEEPS9_SE_NS0_5tupleIJPjSE_EEENSF_IJSE_SE_EEES9_SG_JZNS1_25segmented_radix_sort_implINS0_14default_configELb0EPKbPbPKlPlN2at6native12_GLOBAL__N_18offset_tEEE10hipError_tPvRmT1_PNSt15iterator_traitsISY_E10value_typeET2_T3_PNSZ_IS14_E10value_typeET4_jRbjT5_S1A_jjP12ihipStream_tbEUljE_EEESV_SW_SX_S14_S18_S1A_T6_T7_T9_mT8_S1C_bDpT10_ENKUlT_T0_E_clISt17integral_constantIbLb0EES1O_IbLb1EEEEDaS1K_S1L_EUlS1K_E_NS1_11comp_targetILNS1_3genE5ELNS1_11target_archE942ELNS1_3gpuE9ELNS1_3repE0EEENS1_30default_config_static_selectorELNS0_4arch9wavefront6targetE1EEEvSY_ ; -- Begin function _ZN7rocprim17ROCPRIM_400000_NS6detail17trampoline_kernelINS0_13select_configILj256ELj13ELNS0_17block_load_methodE3ELS4_3ELS4_3ELNS0_20block_scan_algorithmE0ELj4294967295EEENS1_25partition_config_selectorILNS1_17partition_subalgoE3EjNS0_10empty_typeEbEEZZNS1_14partition_implILS8_3ELb0ES6_jNS0_17counting_iteratorIjlEEPS9_SE_NS0_5tupleIJPjSE_EEENSF_IJSE_SE_EEES9_SG_JZNS1_25segmented_radix_sort_implINS0_14default_configELb0EPKbPbPKlPlN2at6native12_GLOBAL__N_18offset_tEEE10hipError_tPvRmT1_PNSt15iterator_traitsISY_E10value_typeET2_T3_PNSZ_IS14_E10value_typeET4_jRbjT5_S1A_jjP12ihipStream_tbEUljE_EEESV_SW_SX_S14_S18_S1A_T6_T7_T9_mT8_S1C_bDpT10_ENKUlT_T0_E_clISt17integral_constantIbLb0EES1O_IbLb1EEEEDaS1K_S1L_EUlS1K_E_NS1_11comp_targetILNS1_3genE5ELNS1_11target_archE942ELNS1_3gpuE9ELNS1_3repE0EEENS1_30default_config_static_selectorELNS0_4arch9wavefront6targetE1EEEvSY_
	.p2align	8
	.type	_ZN7rocprim17ROCPRIM_400000_NS6detail17trampoline_kernelINS0_13select_configILj256ELj13ELNS0_17block_load_methodE3ELS4_3ELS4_3ELNS0_20block_scan_algorithmE0ELj4294967295EEENS1_25partition_config_selectorILNS1_17partition_subalgoE3EjNS0_10empty_typeEbEEZZNS1_14partition_implILS8_3ELb0ES6_jNS0_17counting_iteratorIjlEEPS9_SE_NS0_5tupleIJPjSE_EEENSF_IJSE_SE_EEES9_SG_JZNS1_25segmented_radix_sort_implINS0_14default_configELb0EPKbPbPKlPlN2at6native12_GLOBAL__N_18offset_tEEE10hipError_tPvRmT1_PNSt15iterator_traitsISY_E10value_typeET2_T3_PNSZ_IS14_E10value_typeET4_jRbjT5_S1A_jjP12ihipStream_tbEUljE_EEESV_SW_SX_S14_S18_S1A_T6_T7_T9_mT8_S1C_bDpT10_ENKUlT_T0_E_clISt17integral_constantIbLb0EES1O_IbLb1EEEEDaS1K_S1L_EUlS1K_E_NS1_11comp_targetILNS1_3genE5ELNS1_11target_archE942ELNS1_3gpuE9ELNS1_3repE0EEENS1_30default_config_static_selectorELNS0_4arch9wavefront6targetE1EEEvSY_,@function
_ZN7rocprim17ROCPRIM_400000_NS6detail17trampoline_kernelINS0_13select_configILj256ELj13ELNS0_17block_load_methodE3ELS4_3ELS4_3ELNS0_20block_scan_algorithmE0ELj4294967295EEENS1_25partition_config_selectorILNS1_17partition_subalgoE3EjNS0_10empty_typeEbEEZZNS1_14partition_implILS8_3ELb0ES6_jNS0_17counting_iteratorIjlEEPS9_SE_NS0_5tupleIJPjSE_EEENSF_IJSE_SE_EEES9_SG_JZNS1_25segmented_radix_sort_implINS0_14default_configELb0EPKbPbPKlPlN2at6native12_GLOBAL__N_18offset_tEEE10hipError_tPvRmT1_PNSt15iterator_traitsISY_E10value_typeET2_T3_PNSZ_IS14_E10value_typeET4_jRbjT5_S1A_jjP12ihipStream_tbEUljE_EEESV_SW_SX_S14_S18_S1A_T6_T7_T9_mT8_S1C_bDpT10_ENKUlT_T0_E_clISt17integral_constantIbLb0EES1O_IbLb1EEEEDaS1K_S1L_EUlS1K_E_NS1_11comp_targetILNS1_3genE5ELNS1_11target_archE942ELNS1_3gpuE9ELNS1_3repE0EEENS1_30default_config_static_selectorELNS0_4arch9wavefront6targetE1EEEvSY_: ; @_ZN7rocprim17ROCPRIM_400000_NS6detail17trampoline_kernelINS0_13select_configILj256ELj13ELNS0_17block_load_methodE3ELS4_3ELS4_3ELNS0_20block_scan_algorithmE0ELj4294967295EEENS1_25partition_config_selectorILNS1_17partition_subalgoE3EjNS0_10empty_typeEbEEZZNS1_14partition_implILS8_3ELb0ES6_jNS0_17counting_iteratorIjlEEPS9_SE_NS0_5tupleIJPjSE_EEENSF_IJSE_SE_EEES9_SG_JZNS1_25segmented_radix_sort_implINS0_14default_configELb0EPKbPbPKlPlN2at6native12_GLOBAL__N_18offset_tEEE10hipError_tPvRmT1_PNSt15iterator_traitsISY_E10value_typeET2_T3_PNSZ_IS14_E10value_typeET4_jRbjT5_S1A_jjP12ihipStream_tbEUljE_EEESV_SW_SX_S14_S18_S1A_T6_T7_T9_mT8_S1C_bDpT10_ENKUlT_T0_E_clISt17integral_constantIbLb0EES1O_IbLb1EEEEDaS1K_S1L_EUlS1K_E_NS1_11comp_targetILNS1_3genE5ELNS1_11target_archE942ELNS1_3gpuE9ELNS1_3repE0EEENS1_30default_config_static_selectorELNS0_4arch9wavefront6targetE1EEEvSY_
; %bb.0:
	.section	.rodata,"a",@progbits
	.p2align	6, 0x0
	.amdhsa_kernel _ZN7rocprim17ROCPRIM_400000_NS6detail17trampoline_kernelINS0_13select_configILj256ELj13ELNS0_17block_load_methodE3ELS4_3ELS4_3ELNS0_20block_scan_algorithmE0ELj4294967295EEENS1_25partition_config_selectorILNS1_17partition_subalgoE3EjNS0_10empty_typeEbEEZZNS1_14partition_implILS8_3ELb0ES6_jNS0_17counting_iteratorIjlEEPS9_SE_NS0_5tupleIJPjSE_EEENSF_IJSE_SE_EEES9_SG_JZNS1_25segmented_radix_sort_implINS0_14default_configELb0EPKbPbPKlPlN2at6native12_GLOBAL__N_18offset_tEEE10hipError_tPvRmT1_PNSt15iterator_traitsISY_E10value_typeET2_T3_PNSZ_IS14_E10value_typeET4_jRbjT5_S1A_jjP12ihipStream_tbEUljE_EEESV_SW_SX_S14_S18_S1A_T6_T7_T9_mT8_S1C_bDpT10_ENKUlT_T0_E_clISt17integral_constantIbLb0EES1O_IbLb1EEEEDaS1K_S1L_EUlS1K_E_NS1_11comp_targetILNS1_3genE5ELNS1_11target_archE942ELNS1_3gpuE9ELNS1_3repE0EEENS1_30default_config_static_selectorELNS0_4arch9wavefront6targetE1EEEvSY_
		.amdhsa_group_segment_fixed_size 0
		.amdhsa_private_segment_fixed_size 0
		.amdhsa_kernarg_size 152
		.amdhsa_user_sgpr_count 6
		.amdhsa_user_sgpr_private_segment_buffer 1
		.amdhsa_user_sgpr_dispatch_ptr 0
		.amdhsa_user_sgpr_queue_ptr 0
		.amdhsa_user_sgpr_kernarg_segment_ptr 1
		.amdhsa_user_sgpr_dispatch_id 0
		.amdhsa_user_sgpr_flat_scratch_init 0
		.amdhsa_user_sgpr_kernarg_preload_length 0
		.amdhsa_user_sgpr_kernarg_preload_offset 0
		.amdhsa_user_sgpr_private_segment_size 0
		.amdhsa_uses_dynamic_stack 0
		.amdhsa_system_sgpr_private_segment_wavefront_offset 0
		.amdhsa_system_sgpr_workgroup_id_x 1
		.amdhsa_system_sgpr_workgroup_id_y 0
		.amdhsa_system_sgpr_workgroup_id_z 0
		.amdhsa_system_sgpr_workgroup_info 0
		.amdhsa_system_vgpr_workitem_id 0
		.amdhsa_next_free_vgpr 1
		.amdhsa_next_free_sgpr 0
		.amdhsa_accum_offset 4
		.amdhsa_reserve_vcc 0
		.amdhsa_reserve_flat_scratch 0
		.amdhsa_float_round_mode_32 0
		.amdhsa_float_round_mode_16_64 0
		.amdhsa_float_denorm_mode_32 3
		.amdhsa_float_denorm_mode_16_64 3
		.amdhsa_dx10_clamp 1
		.amdhsa_ieee_mode 1
		.amdhsa_fp16_overflow 0
		.amdhsa_tg_split 0
		.amdhsa_exception_fp_ieee_invalid_op 0
		.amdhsa_exception_fp_denorm_src 0
		.amdhsa_exception_fp_ieee_div_zero 0
		.amdhsa_exception_fp_ieee_overflow 0
		.amdhsa_exception_fp_ieee_underflow 0
		.amdhsa_exception_fp_ieee_inexact 0
		.amdhsa_exception_int_div_zero 0
	.end_amdhsa_kernel
	.section	.text._ZN7rocprim17ROCPRIM_400000_NS6detail17trampoline_kernelINS0_13select_configILj256ELj13ELNS0_17block_load_methodE3ELS4_3ELS4_3ELNS0_20block_scan_algorithmE0ELj4294967295EEENS1_25partition_config_selectorILNS1_17partition_subalgoE3EjNS0_10empty_typeEbEEZZNS1_14partition_implILS8_3ELb0ES6_jNS0_17counting_iteratorIjlEEPS9_SE_NS0_5tupleIJPjSE_EEENSF_IJSE_SE_EEES9_SG_JZNS1_25segmented_radix_sort_implINS0_14default_configELb0EPKbPbPKlPlN2at6native12_GLOBAL__N_18offset_tEEE10hipError_tPvRmT1_PNSt15iterator_traitsISY_E10value_typeET2_T3_PNSZ_IS14_E10value_typeET4_jRbjT5_S1A_jjP12ihipStream_tbEUljE_EEESV_SW_SX_S14_S18_S1A_T6_T7_T9_mT8_S1C_bDpT10_ENKUlT_T0_E_clISt17integral_constantIbLb0EES1O_IbLb1EEEEDaS1K_S1L_EUlS1K_E_NS1_11comp_targetILNS1_3genE5ELNS1_11target_archE942ELNS1_3gpuE9ELNS1_3repE0EEENS1_30default_config_static_selectorELNS0_4arch9wavefront6targetE1EEEvSY_,"axG",@progbits,_ZN7rocprim17ROCPRIM_400000_NS6detail17trampoline_kernelINS0_13select_configILj256ELj13ELNS0_17block_load_methodE3ELS4_3ELS4_3ELNS0_20block_scan_algorithmE0ELj4294967295EEENS1_25partition_config_selectorILNS1_17partition_subalgoE3EjNS0_10empty_typeEbEEZZNS1_14partition_implILS8_3ELb0ES6_jNS0_17counting_iteratorIjlEEPS9_SE_NS0_5tupleIJPjSE_EEENSF_IJSE_SE_EEES9_SG_JZNS1_25segmented_radix_sort_implINS0_14default_configELb0EPKbPbPKlPlN2at6native12_GLOBAL__N_18offset_tEEE10hipError_tPvRmT1_PNSt15iterator_traitsISY_E10value_typeET2_T3_PNSZ_IS14_E10value_typeET4_jRbjT5_S1A_jjP12ihipStream_tbEUljE_EEESV_SW_SX_S14_S18_S1A_T6_T7_T9_mT8_S1C_bDpT10_ENKUlT_T0_E_clISt17integral_constantIbLb0EES1O_IbLb1EEEEDaS1K_S1L_EUlS1K_E_NS1_11comp_targetILNS1_3genE5ELNS1_11target_archE942ELNS1_3gpuE9ELNS1_3repE0EEENS1_30default_config_static_selectorELNS0_4arch9wavefront6targetE1EEEvSY_,comdat
.Lfunc_end1626:
	.size	_ZN7rocprim17ROCPRIM_400000_NS6detail17trampoline_kernelINS0_13select_configILj256ELj13ELNS0_17block_load_methodE3ELS4_3ELS4_3ELNS0_20block_scan_algorithmE0ELj4294967295EEENS1_25partition_config_selectorILNS1_17partition_subalgoE3EjNS0_10empty_typeEbEEZZNS1_14partition_implILS8_3ELb0ES6_jNS0_17counting_iteratorIjlEEPS9_SE_NS0_5tupleIJPjSE_EEENSF_IJSE_SE_EEES9_SG_JZNS1_25segmented_radix_sort_implINS0_14default_configELb0EPKbPbPKlPlN2at6native12_GLOBAL__N_18offset_tEEE10hipError_tPvRmT1_PNSt15iterator_traitsISY_E10value_typeET2_T3_PNSZ_IS14_E10value_typeET4_jRbjT5_S1A_jjP12ihipStream_tbEUljE_EEESV_SW_SX_S14_S18_S1A_T6_T7_T9_mT8_S1C_bDpT10_ENKUlT_T0_E_clISt17integral_constantIbLb0EES1O_IbLb1EEEEDaS1K_S1L_EUlS1K_E_NS1_11comp_targetILNS1_3genE5ELNS1_11target_archE942ELNS1_3gpuE9ELNS1_3repE0EEENS1_30default_config_static_selectorELNS0_4arch9wavefront6targetE1EEEvSY_, .Lfunc_end1626-_ZN7rocprim17ROCPRIM_400000_NS6detail17trampoline_kernelINS0_13select_configILj256ELj13ELNS0_17block_load_methodE3ELS4_3ELS4_3ELNS0_20block_scan_algorithmE0ELj4294967295EEENS1_25partition_config_selectorILNS1_17partition_subalgoE3EjNS0_10empty_typeEbEEZZNS1_14partition_implILS8_3ELb0ES6_jNS0_17counting_iteratorIjlEEPS9_SE_NS0_5tupleIJPjSE_EEENSF_IJSE_SE_EEES9_SG_JZNS1_25segmented_radix_sort_implINS0_14default_configELb0EPKbPbPKlPlN2at6native12_GLOBAL__N_18offset_tEEE10hipError_tPvRmT1_PNSt15iterator_traitsISY_E10value_typeET2_T3_PNSZ_IS14_E10value_typeET4_jRbjT5_S1A_jjP12ihipStream_tbEUljE_EEESV_SW_SX_S14_S18_S1A_T6_T7_T9_mT8_S1C_bDpT10_ENKUlT_T0_E_clISt17integral_constantIbLb0EES1O_IbLb1EEEEDaS1K_S1L_EUlS1K_E_NS1_11comp_targetILNS1_3genE5ELNS1_11target_archE942ELNS1_3gpuE9ELNS1_3repE0EEENS1_30default_config_static_selectorELNS0_4arch9wavefront6targetE1EEEvSY_
                                        ; -- End function
	.section	.AMDGPU.csdata,"",@progbits
; Kernel info:
; codeLenInByte = 0
; NumSgprs: 4
; NumVgprs: 0
; NumAgprs: 0
; TotalNumVgprs: 0
; ScratchSize: 0
; MemoryBound: 0
; FloatMode: 240
; IeeeMode: 1
; LDSByteSize: 0 bytes/workgroup (compile time only)
; SGPRBlocks: 0
; VGPRBlocks: 0
; NumSGPRsForWavesPerEU: 4
; NumVGPRsForWavesPerEU: 1
; AccumOffset: 4
; Occupancy: 8
; WaveLimiterHint : 0
; COMPUTE_PGM_RSRC2:SCRATCH_EN: 0
; COMPUTE_PGM_RSRC2:USER_SGPR: 6
; COMPUTE_PGM_RSRC2:TRAP_HANDLER: 0
; COMPUTE_PGM_RSRC2:TGID_X_EN: 1
; COMPUTE_PGM_RSRC2:TGID_Y_EN: 0
; COMPUTE_PGM_RSRC2:TGID_Z_EN: 0
; COMPUTE_PGM_RSRC2:TIDIG_COMP_CNT: 0
; COMPUTE_PGM_RSRC3_GFX90A:ACCUM_OFFSET: 0
; COMPUTE_PGM_RSRC3_GFX90A:TG_SPLIT: 0
	.section	.text._ZN7rocprim17ROCPRIM_400000_NS6detail17trampoline_kernelINS0_13select_configILj256ELj13ELNS0_17block_load_methodE3ELS4_3ELS4_3ELNS0_20block_scan_algorithmE0ELj4294967295EEENS1_25partition_config_selectorILNS1_17partition_subalgoE3EjNS0_10empty_typeEbEEZZNS1_14partition_implILS8_3ELb0ES6_jNS0_17counting_iteratorIjlEEPS9_SE_NS0_5tupleIJPjSE_EEENSF_IJSE_SE_EEES9_SG_JZNS1_25segmented_radix_sort_implINS0_14default_configELb0EPKbPbPKlPlN2at6native12_GLOBAL__N_18offset_tEEE10hipError_tPvRmT1_PNSt15iterator_traitsISY_E10value_typeET2_T3_PNSZ_IS14_E10value_typeET4_jRbjT5_S1A_jjP12ihipStream_tbEUljE_EEESV_SW_SX_S14_S18_S1A_T6_T7_T9_mT8_S1C_bDpT10_ENKUlT_T0_E_clISt17integral_constantIbLb0EES1O_IbLb1EEEEDaS1K_S1L_EUlS1K_E_NS1_11comp_targetILNS1_3genE4ELNS1_11target_archE910ELNS1_3gpuE8ELNS1_3repE0EEENS1_30default_config_static_selectorELNS0_4arch9wavefront6targetE1EEEvSY_,"axG",@progbits,_ZN7rocprim17ROCPRIM_400000_NS6detail17trampoline_kernelINS0_13select_configILj256ELj13ELNS0_17block_load_methodE3ELS4_3ELS4_3ELNS0_20block_scan_algorithmE0ELj4294967295EEENS1_25partition_config_selectorILNS1_17partition_subalgoE3EjNS0_10empty_typeEbEEZZNS1_14partition_implILS8_3ELb0ES6_jNS0_17counting_iteratorIjlEEPS9_SE_NS0_5tupleIJPjSE_EEENSF_IJSE_SE_EEES9_SG_JZNS1_25segmented_radix_sort_implINS0_14default_configELb0EPKbPbPKlPlN2at6native12_GLOBAL__N_18offset_tEEE10hipError_tPvRmT1_PNSt15iterator_traitsISY_E10value_typeET2_T3_PNSZ_IS14_E10value_typeET4_jRbjT5_S1A_jjP12ihipStream_tbEUljE_EEESV_SW_SX_S14_S18_S1A_T6_T7_T9_mT8_S1C_bDpT10_ENKUlT_T0_E_clISt17integral_constantIbLb0EES1O_IbLb1EEEEDaS1K_S1L_EUlS1K_E_NS1_11comp_targetILNS1_3genE4ELNS1_11target_archE910ELNS1_3gpuE8ELNS1_3repE0EEENS1_30default_config_static_selectorELNS0_4arch9wavefront6targetE1EEEvSY_,comdat
	.globl	_ZN7rocprim17ROCPRIM_400000_NS6detail17trampoline_kernelINS0_13select_configILj256ELj13ELNS0_17block_load_methodE3ELS4_3ELS4_3ELNS0_20block_scan_algorithmE0ELj4294967295EEENS1_25partition_config_selectorILNS1_17partition_subalgoE3EjNS0_10empty_typeEbEEZZNS1_14partition_implILS8_3ELb0ES6_jNS0_17counting_iteratorIjlEEPS9_SE_NS0_5tupleIJPjSE_EEENSF_IJSE_SE_EEES9_SG_JZNS1_25segmented_radix_sort_implINS0_14default_configELb0EPKbPbPKlPlN2at6native12_GLOBAL__N_18offset_tEEE10hipError_tPvRmT1_PNSt15iterator_traitsISY_E10value_typeET2_T3_PNSZ_IS14_E10value_typeET4_jRbjT5_S1A_jjP12ihipStream_tbEUljE_EEESV_SW_SX_S14_S18_S1A_T6_T7_T9_mT8_S1C_bDpT10_ENKUlT_T0_E_clISt17integral_constantIbLb0EES1O_IbLb1EEEEDaS1K_S1L_EUlS1K_E_NS1_11comp_targetILNS1_3genE4ELNS1_11target_archE910ELNS1_3gpuE8ELNS1_3repE0EEENS1_30default_config_static_selectorELNS0_4arch9wavefront6targetE1EEEvSY_ ; -- Begin function _ZN7rocprim17ROCPRIM_400000_NS6detail17trampoline_kernelINS0_13select_configILj256ELj13ELNS0_17block_load_methodE3ELS4_3ELS4_3ELNS0_20block_scan_algorithmE0ELj4294967295EEENS1_25partition_config_selectorILNS1_17partition_subalgoE3EjNS0_10empty_typeEbEEZZNS1_14partition_implILS8_3ELb0ES6_jNS0_17counting_iteratorIjlEEPS9_SE_NS0_5tupleIJPjSE_EEENSF_IJSE_SE_EEES9_SG_JZNS1_25segmented_radix_sort_implINS0_14default_configELb0EPKbPbPKlPlN2at6native12_GLOBAL__N_18offset_tEEE10hipError_tPvRmT1_PNSt15iterator_traitsISY_E10value_typeET2_T3_PNSZ_IS14_E10value_typeET4_jRbjT5_S1A_jjP12ihipStream_tbEUljE_EEESV_SW_SX_S14_S18_S1A_T6_T7_T9_mT8_S1C_bDpT10_ENKUlT_T0_E_clISt17integral_constantIbLb0EES1O_IbLb1EEEEDaS1K_S1L_EUlS1K_E_NS1_11comp_targetILNS1_3genE4ELNS1_11target_archE910ELNS1_3gpuE8ELNS1_3repE0EEENS1_30default_config_static_selectorELNS0_4arch9wavefront6targetE1EEEvSY_
	.p2align	8
	.type	_ZN7rocprim17ROCPRIM_400000_NS6detail17trampoline_kernelINS0_13select_configILj256ELj13ELNS0_17block_load_methodE3ELS4_3ELS4_3ELNS0_20block_scan_algorithmE0ELj4294967295EEENS1_25partition_config_selectorILNS1_17partition_subalgoE3EjNS0_10empty_typeEbEEZZNS1_14partition_implILS8_3ELb0ES6_jNS0_17counting_iteratorIjlEEPS9_SE_NS0_5tupleIJPjSE_EEENSF_IJSE_SE_EEES9_SG_JZNS1_25segmented_radix_sort_implINS0_14default_configELb0EPKbPbPKlPlN2at6native12_GLOBAL__N_18offset_tEEE10hipError_tPvRmT1_PNSt15iterator_traitsISY_E10value_typeET2_T3_PNSZ_IS14_E10value_typeET4_jRbjT5_S1A_jjP12ihipStream_tbEUljE_EEESV_SW_SX_S14_S18_S1A_T6_T7_T9_mT8_S1C_bDpT10_ENKUlT_T0_E_clISt17integral_constantIbLb0EES1O_IbLb1EEEEDaS1K_S1L_EUlS1K_E_NS1_11comp_targetILNS1_3genE4ELNS1_11target_archE910ELNS1_3gpuE8ELNS1_3repE0EEENS1_30default_config_static_selectorELNS0_4arch9wavefront6targetE1EEEvSY_,@function
_ZN7rocprim17ROCPRIM_400000_NS6detail17trampoline_kernelINS0_13select_configILj256ELj13ELNS0_17block_load_methodE3ELS4_3ELS4_3ELNS0_20block_scan_algorithmE0ELj4294967295EEENS1_25partition_config_selectorILNS1_17partition_subalgoE3EjNS0_10empty_typeEbEEZZNS1_14partition_implILS8_3ELb0ES6_jNS0_17counting_iteratorIjlEEPS9_SE_NS0_5tupleIJPjSE_EEENSF_IJSE_SE_EEES9_SG_JZNS1_25segmented_radix_sort_implINS0_14default_configELb0EPKbPbPKlPlN2at6native12_GLOBAL__N_18offset_tEEE10hipError_tPvRmT1_PNSt15iterator_traitsISY_E10value_typeET2_T3_PNSZ_IS14_E10value_typeET4_jRbjT5_S1A_jjP12ihipStream_tbEUljE_EEESV_SW_SX_S14_S18_S1A_T6_T7_T9_mT8_S1C_bDpT10_ENKUlT_T0_E_clISt17integral_constantIbLb0EES1O_IbLb1EEEEDaS1K_S1L_EUlS1K_E_NS1_11comp_targetILNS1_3genE4ELNS1_11target_archE910ELNS1_3gpuE8ELNS1_3repE0EEENS1_30default_config_static_selectorELNS0_4arch9wavefront6targetE1EEEvSY_: ; @_ZN7rocprim17ROCPRIM_400000_NS6detail17trampoline_kernelINS0_13select_configILj256ELj13ELNS0_17block_load_methodE3ELS4_3ELS4_3ELNS0_20block_scan_algorithmE0ELj4294967295EEENS1_25partition_config_selectorILNS1_17partition_subalgoE3EjNS0_10empty_typeEbEEZZNS1_14partition_implILS8_3ELb0ES6_jNS0_17counting_iteratorIjlEEPS9_SE_NS0_5tupleIJPjSE_EEENSF_IJSE_SE_EEES9_SG_JZNS1_25segmented_radix_sort_implINS0_14default_configELb0EPKbPbPKlPlN2at6native12_GLOBAL__N_18offset_tEEE10hipError_tPvRmT1_PNSt15iterator_traitsISY_E10value_typeET2_T3_PNSZ_IS14_E10value_typeET4_jRbjT5_S1A_jjP12ihipStream_tbEUljE_EEESV_SW_SX_S14_S18_S1A_T6_T7_T9_mT8_S1C_bDpT10_ENKUlT_T0_E_clISt17integral_constantIbLb0EES1O_IbLb1EEEEDaS1K_S1L_EUlS1K_E_NS1_11comp_targetILNS1_3genE4ELNS1_11target_archE910ELNS1_3gpuE8ELNS1_3repE0EEENS1_30default_config_static_selectorELNS0_4arch9wavefront6targetE1EEEvSY_
; %bb.0:
	s_load_dwordx2 s[28:29], s[4:5], 0x10
	s_load_dwordx2 s[24:25], s[4:5], 0x28
	;; [unrolled: 1-line block ×3, first 2 shown]
	s_load_dwordx4 s[20:23], s[4:5], 0x48
	s_load_dword s14, s[4:5], 0x90
	s_load_dwordx2 s[30:31], s[4:5], 0x68
	s_load_dwordx4 s[8:11], s[4:5], 0x80
	v_cmp_eq_u32_e64 s[0:1], 0, v0
	s_and_saveexec_b64 s[2:3], s[0:1]
	s_cbranch_execz .LBB1627_4
; %bb.1:
	s_mov_b64 s[12:13], exec
	v_mbcnt_lo_u32_b32 v1, s12, 0
	v_mbcnt_hi_u32_b32 v1, s13, v1
	v_cmp_eq_u32_e32 vcc, 0, v1
                                        ; implicit-def: $vgpr2
	s_and_saveexec_b64 s[6:7], vcc
	s_cbranch_execz .LBB1627_3
; %bb.2:
	s_load_dwordx2 s[16:17], s[4:5], 0x78
	s_bcnt1_i32_b64 s12, s[12:13]
	v_mov_b32_e32 v2, 0
	v_mov_b32_e32 v3, s12
	s_waitcnt lgkmcnt(0)
	global_atomic_add v2, v2, v3, s[16:17] glc
.LBB1627_3:
	s_or_b64 exec, exec, s[6:7]
	s_waitcnt vmcnt(0)
	v_readfirstlane_b32 s6, v2
	v_add_u32_e32 v1, s6, v1
	v_mov_b32_e32 v2, 0
	ds_write_b32 v2, v1
.LBB1627_4:
	s_or_b64 exec, exec, s[2:3]
	v_mov_b32_e32 v1, 0
	s_load_dword s2, s[4:5], 0x8
	s_load_dword s6, s[4:5], 0x70
	s_waitcnt lgkmcnt(0)
	s_barrier
	ds_read_b32 v2, v1
	s_waitcnt lgkmcnt(0)
	s_barrier
	global_load_dwordx2 v[20:21], v1, s[22:23]
	s_add_i32 s7, s2, s28
	s_movk_i32 s2, 0xd00
	s_add_i32 s4, s6, -1
	s_mulk_i32 s6, 0xd00
	v_mul_lo_u32 v34, v2, s2
	s_add_u32 s2, s28, s6
	v_readfirstlane_b32 s40, v2
	s_addc_u32 s3, s29, 0
	s_cmp_eq_u32 s40, s4
	v_pk_mov_b32 v[2:3], s[26:27], s[26:27] op_sel:[0,1]
	s_cselect_b64 s[22:23], -1, 0
	s_cmp_lg_u32 s40, s4
	v_cmp_lt_u64_e32 vcc, s[2:3], v[2:3]
	s_cselect_b64 s[2:3], -1, 0
	s_or_b64 s[4:5], vcc, s[2:3]
	v_add_u32_e32 v1, s7, v34
	s_mov_b64 s[2:3], -1
	s_and_b64 vcc, exec, s[4:5]
	v_add_u32_e32 v2, v1, v0
	v_lshlrev_b32_e32 v1, 2, v0
	s_cbranch_vccz .LBB1627_6
; %bb.5:
	v_add_u32_e32 v3, 0x100, v2
	v_add_u32_e32 v4, 0x200, v2
	;; [unrolled: 1-line block ×12, first 2 shown]
	ds_write2st64_b32 v1, v2, v3 offset1:4
	ds_write2st64_b32 v1, v4, v5 offset0:8 offset1:12
	ds_write2st64_b32 v1, v6, v7 offset0:16 offset1:20
	;; [unrolled: 1-line block ×5, first 2 shown]
	ds_write_b32 v1, v14 offset:12288
	s_waitcnt lgkmcnt(0)
	s_barrier
	s_mov_b64 s[2:3], 0
.LBB1627_6:
	s_andn2_b64 vcc, exec, s[2:3]
	s_add_i32 s6, s6, s28
	s_cbranch_vccnz .LBB1627_8
; %bb.7:
	v_add_u32_e32 v3, 0x100, v2
	v_add_u32_e32 v4, 0x200, v2
	;; [unrolled: 1-line block ×12, first 2 shown]
	ds_write2st64_b32 v1, v2, v3 offset1:4
	ds_write2st64_b32 v1, v4, v5 offset0:8 offset1:12
	ds_write2st64_b32 v1, v6, v7 offset0:16 offset1:20
	;; [unrolled: 1-line block ×5, first 2 shown]
	ds_write_b32 v1, v14 offset:12288
	s_waitcnt lgkmcnt(0)
	s_barrier
.LBB1627_8:
	v_mul_u32_u24_e32 v36, 13, v0
	v_lshlrev_b32_e32 v2, 2, v36
	ds_read2_b32 v[32:33], v2 offset1:1
	ds_read2_b32 v[30:31], v2 offset0:2 offset1:3
	ds_read2_b32 v[28:29], v2 offset0:4 offset1:5
	;; [unrolled: 1-line block ×5, first 2 shown]
	ds_read_b32 v35, v2 offset:48
	v_cndmask_b32_e64 v2, 0, 1, s[4:5]
	s_sub_i32 s33, s26, s6
	v_cmp_ne_u32_e64 s[2:3], 1, v2
	s_andn2_b64 vcc, exec, s[4:5]
	s_waitcnt lgkmcnt(0)
	s_barrier
	s_cbranch_vccnz .LBB1627_10
; %bb.9:
	v_add_u32_e32 v2, s9, v32
	v_add_u32_e32 v3, s11, v32
	v_mul_lo_u32 v2, v2, s8
	v_mul_lo_u32 v3, v3, s10
	v_sub_u32_e32 v2, v2, v3
	v_add_u32_e32 v3, s9, v33
	v_add_u32_e32 v4, s11, v33
	v_mul_lo_u32 v3, v3, s8
	v_mul_lo_u32 v4, v4, s10
	v_sub_u32_e32 v3, v3, v4
	;; [unrolled: 5-line block ×6, first 2 shown]
	v_add_u32_e32 v8, s9, v26
	v_add_u32_e32 v9, s11, v26
	v_mul_lo_u32 v8, v8, s8
	v_mul_lo_u32 v9, v9, s10
	v_cmp_lt_u32_e32 vcc, s14, v2
	v_sub_u32_e32 v8, v8, v9
	v_add_u32_e32 v9, s9, v27
	v_add_u32_e32 v10, s11, v27
	v_cndmask_b32_e64 v2, 0, 1, vcc
	v_cmp_lt_u32_e32 vcc, s14, v3
	v_mul_lo_u32 v9, v9, s8
	v_mul_lo_u32 v10, v10, s10
	v_cndmask_b32_e64 v3, 0, 1, vcc
	v_cmp_lt_u32_e32 vcc, s14, v4
	v_sub_u32_e32 v9, v9, v10
	v_add_u32_e32 v10, s9, v24
	v_add_u32_e32 v11, s11, v24
	v_cndmask_b32_e64 v4, 0, 1, vcc
	v_cmp_lt_u32_e32 vcc, s14, v5
	v_mul_lo_u32 v10, v10, s8
	v_mul_lo_u32 v11, v11, s10
	v_cndmask_b32_e64 v5, 0, 1, vcc
	;; [unrolled: 9-line block ×4, first 2 shown]
	v_cmp_lt_u32_e32 vcc, s14, v10
	v_sub_u32_e32 v12, v12, v13
	v_add_u32_e32 v13, s9, v23
	v_add_u32_e32 v14, s11, v23
	v_lshlrev_b16_e32 v3, 8, v3
	v_cndmask_b32_e64 v10, 0, 1, vcc
	v_cmp_lt_u32_e32 vcc, s14, v11
	v_mul_lo_u32 v13, v13, s8
	v_mul_lo_u32 v14, v14, s10
	v_or_b32_e32 v2, v2, v3
	v_lshlrev_b16_e32 v3, 8, v5
	v_cndmask_b32_e64 v11, 0, 1, vcc
	v_cmp_lt_u32_e32 vcc, s14, v12
	v_sub_u32_e32 v13, v13, v14
	v_or_b32_sdwa v3, v4, v3 dst_sel:WORD_1 dst_unused:UNUSED_PAD src0_sel:DWORD src1_sel:DWORD
	v_cndmask_b32_e64 v12, 0, 1, vcc
	v_cmp_lt_u32_e32 vcc, s14, v13
	v_add_u32_e32 v14, s9, v35
	v_add_u32_e32 v15, s11, v35
	v_or_b32_sdwa v40, v2, v3 dst_sel:DWORD dst_unused:UNUSED_PAD src0_sel:WORD_0 src1_sel:DWORD
	v_lshlrev_b16_e32 v2, 8, v7
	v_lshlrev_b16_e32 v3, 8, v9
	v_cndmask_b32_e64 v13, 0, 1, vcc
	v_mul_lo_u32 v14, v14, s8
	v_mul_lo_u32 v15, v15, s10
	v_or_b32_e32 v2, v6, v2
	v_or_b32_sdwa v3, v8, v3 dst_sel:WORD_1 dst_unused:UNUSED_PAD src0_sel:DWORD src1_sel:DWORD
	v_sub_u32_e32 v14, v14, v15
	v_or_b32_sdwa v39, v2, v3 dst_sel:DWORD dst_unused:UNUSED_PAD src0_sel:WORD_0 src1_sel:DWORD
	v_lshlrev_b16_e32 v2, 8, v11
	v_lshlrev_b16_e32 v3, 8, v13
	v_cmp_lt_u32_e32 vcc, s14, v14
	v_or_b32_e32 v2, v10, v2
	v_or_b32_sdwa v3, v12, v3 dst_sel:WORD_1 dst_unused:UNUSED_PAD src0_sel:DWORD src1_sel:DWORD
	v_cndmask_b32_e64 v37, 0, 1, vcc
	v_or_b32_sdwa v38, v2, v3 dst_sel:DWORD dst_unused:UNUSED_PAD src0_sel:WORD_0 src1_sel:DWORD
	s_addk_i32 s33, 0xd00
	s_cbranch_execz .LBB1627_11
	s_branch .LBB1627_38
.LBB1627_10:
                                        ; implicit-def: $vgpr37
                                        ; implicit-def: $vgpr38
                                        ; implicit-def: $vgpr39
                                        ; implicit-def: $vgpr40
	s_addk_i32 s33, 0xd00
.LBB1627_11:
	v_cmp_gt_u32_e32 vcc, s33, v36
	v_mov_b32_e32 v3, 0
	v_mov_b32_e32 v2, 0
	s_and_saveexec_b64 s[4:5], vcc
; %bb.12:
	v_add_u32_e32 v2, s9, v32
	v_add_u32_e32 v4, s11, v32
	v_mul_lo_u32 v2, v2, s8
	v_mul_lo_u32 v4, v4, s10
	v_sub_u32_e32 v2, v2, v4
	v_cmp_lt_u32_e32 vcc, s14, v2
	v_cndmask_b32_e64 v2, 0, 1, vcc
; %bb.13:
	s_or_b64 exec, exec, s[4:5]
	v_add_u32_e32 v4, 1, v36
	v_cmp_gt_u32_e32 vcc, s33, v4
	s_and_saveexec_b64 s[4:5], vcc
; %bb.14:
	v_add_u32_e32 v3, s9, v33
	v_add_u32_e32 v4, s11, v33
	v_mul_lo_u32 v3, v3, s8
	v_mul_lo_u32 v4, v4, s10
	v_sub_u32_e32 v3, v3, v4
	v_cmp_lt_u32_e32 vcc, s14, v3
	v_cndmask_b32_e64 v3, 0, 1, vcc
; %bb.15:
	s_or_b64 exec, exec, s[4:5]
	v_add_u32_e32 v4, 2, v36
	v_cmp_gt_u32_e32 vcc, s33, v4
	v_mov_b32_e32 v5, 0
	v_mov_b32_e32 v4, 0
	s_and_saveexec_b64 s[4:5], vcc
; %bb.16:
	v_add_u32_e32 v4, s9, v30
	v_add_u32_e32 v6, s11, v30
	v_mul_lo_u32 v4, v4, s8
	v_mul_lo_u32 v6, v6, s10
	v_sub_u32_e32 v4, v4, v6
	v_cmp_lt_u32_e32 vcc, s14, v4
	v_cndmask_b32_e64 v4, 0, 1, vcc
; %bb.17:
	s_or_b64 exec, exec, s[4:5]
	v_add_u32_e32 v6, 3, v36
	v_cmp_gt_u32_e32 vcc, s33, v6
	s_and_saveexec_b64 s[4:5], vcc
; %bb.18:
	v_add_u32_e32 v5, s9, v31
	v_add_u32_e32 v6, s11, v31
	v_mul_lo_u32 v5, v5, s8
	v_mul_lo_u32 v6, v6, s10
	v_sub_u32_e32 v5, v5, v6
	v_cmp_lt_u32_e32 vcc, s14, v5
	v_cndmask_b32_e64 v5, 0, 1, vcc
; %bb.19:
	s_or_b64 exec, exec, s[4:5]
	v_add_u32_e32 v6, 4, v36
	;; [unrolled: 28-line block ×6, first 2 shown]
	v_cmp_gt_u32_e32 vcc, s33, v14
	v_mov_b32_e32 v37, 0
	s_and_saveexec_b64 s[4:5], vcc
; %bb.36:
	v_add_u32_e32 v14, s9, v35
	v_add_u32_e32 v15, s11, v35
	v_mul_lo_u32 v14, v14, s8
	v_mul_lo_u32 v15, v15, s10
	v_sub_u32_e32 v14, v14, v15
	v_cmp_lt_u32_e32 vcc, s14, v14
	v_cndmask_b32_e64 v37, 0, 1, vcc
; %bb.37:
	s_or_b64 exec, exec, s[4:5]
	v_lshlrev_b16_e32 v3, 8, v3
	v_or_b32_e32 v2, v2, v3
	v_lshlrev_b16_e32 v3, 8, v5
	v_or_b32_sdwa v3, v4, v3 dst_sel:WORD_1 dst_unused:UNUSED_PAD src0_sel:DWORD src1_sel:DWORD
	v_or_b32_sdwa v40, v2, v3 dst_sel:DWORD dst_unused:UNUSED_PAD src0_sel:WORD_0 src1_sel:DWORD
	v_lshlrev_b16_e32 v2, 8, v7
	v_lshlrev_b16_e32 v3, 8, v9
	v_or_b32_e32 v2, v6, v2
	v_or_b32_sdwa v3, v8, v3 dst_sel:WORD_1 dst_unused:UNUSED_PAD src0_sel:DWORD src1_sel:DWORD
	v_or_b32_sdwa v39, v2, v3 dst_sel:DWORD dst_unused:UNUSED_PAD src0_sel:WORD_0 src1_sel:DWORD
	v_lshlrev_b16_e32 v2, 8, v11
	v_lshlrev_b16_e32 v3, 8, v13
	v_or_b32_e32 v2, v10, v2
	v_or_b32_sdwa v3, v12, v3 dst_sel:WORD_1 dst_unused:UNUSED_PAD src0_sel:DWORD src1_sel:DWORD
	v_or_b32_sdwa v38, v2, v3 dst_sel:DWORD dst_unused:UNUSED_PAD src0_sel:WORD_0 src1_sel:DWORD
.LBB1627_38:
	v_and_b32_e32 v44, 0xff, v40
	v_bfe_u32 v45, v40, 8, 8
	v_bfe_u32 v46, v40, 16, 8
	v_lshrrev_b32_e32 v43, 24, v40
	v_and_b32_e32 v47, 0xff, v39
	v_add3_u32 v3, v45, v44, v46
	v_bfe_u32 v48, v39, 8, 8
	v_bfe_u32 v49, v39, 16, 8
	v_add3_u32 v3, v3, v43, v47
	v_lshrrev_b32_e32 v42, 24, v39
	v_and_b32_e32 v50, 0xff, v38
	v_add3_u32 v3, v3, v48, v49
	v_bfe_u32 v51, v38, 8, 8
	v_bfe_u32 v52, v38, 16, 8
	v_add3_u32 v3, v3, v42, v50
	v_lshrrev_b32_e32 v41, 24, v38
	v_and_b32_e32 v2, 0xff, v37
	v_add3_u32 v3, v3, v51, v52
	v_add3_u32 v55, v3, v41, v2
	v_mbcnt_lo_u32_b32 v2, -1, 0
	v_mbcnt_hi_u32_b32 v53, -1, v2
	v_and_b32_e32 v2, 15, v53
	v_cmp_eq_u32_e64 s[16:17], 0, v2
	v_cmp_lt_u32_e64 s[14:15], 1, v2
	v_cmp_lt_u32_e64 s[12:13], 3, v2
	;; [unrolled: 1-line block ×3, first 2 shown]
	v_and_b32_e32 v2, 16, v53
	v_cmp_eq_u32_e64 s[8:9], 0, v2
	v_or_b32_e32 v2, 63, v0
	s_cmp_lg_u32 s40, 0
	v_cmp_lt_u32_e64 s[4:5], 31, v53
	v_lshrrev_b32_e32 v54, 6, v0
	v_cmp_eq_u32_e64 s[6:7], v2, v0
	s_cbranch_scc0 .LBB1627_65
; %bb.39:
	v_mov_b32_dpp v2, v55 row_shr:1 row_mask:0xf bank_mask:0xf
	v_cndmask_b32_e64 v2, v2, 0, s[16:17]
	v_add_u32_e32 v2, v2, v55
	s_nop 1
	v_mov_b32_dpp v3, v2 row_shr:2 row_mask:0xf bank_mask:0xf
	v_cndmask_b32_e64 v3, 0, v3, s[14:15]
	v_add_u32_e32 v2, v2, v3
	s_nop 1
	;; [unrolled: 4-line block ×4, first 2 shown]
	v_mov_b32_dpp v3, v2 row_bcast:15 row_mask:0xf bank_mask:0xf
	v_cndmask_b32_e64 v3, v3, 0, s[8:9]
	v_add_u32_e32 v2, v2, v3
	s_nop 1
	v_mov_b32_dpp v3, v2 row_bcast:31 row_mask:0xf bank_mask:0xf
	v_cndmask_b32_e64 v3, 0, v3, s[4:5]
	v_add_u32_e32 v2, v2, v3
	s_and_saveexec_b64 s[18:19], s[6:7]
	s_cbranch_execz .LBB1627_41
; %bb.40:
	v_lshlrev_b32_e32 v3, 2, v54
	ds_write_b32 v3, v2
.LBB1627_41:
	s_or_b64 exec, exec, s[18:19]
	v_cmp_gt_u32_e32 vcc, 4, v0
	s_waitcnt lgkmcnt(0)
	s_barrier
	s_and_saveexec_b64 s[18:19], vcc
	s_cbranch_execz .LBB1627_43
; %bb.42:
	ds_read_b32 v3, v1
	v_and_b32_e32 v4, 3, v53
	v_cmp_ne_u32_e32 vcc, 0, v4
	s_waitcnt lgkmcnt(0)
	v_mov_b32_dpp v5, v3 row_shr:1 row_mask:0xf bank_mask:0xf
	v_cndmask_b32_e32 v5, 0, v5, vcc
	v_add_u32_e32 v3, v5, v3
	v_cmp_lt_u32_e32 vcc, 1, v4
	s_nop 0
	v_mov_b32_dpp v5, v3 row_shr:2 row_mask:0xf bank_mask:0xf
	v_cndmask_b32_e32 v4, 0, v5, vcc
	v_add_u32_e32 v3, v3, v4
	ds_write_b32 v1, v3
.LBB1627_43:
	s_or_b64 exec, exec, s[18:19]
	v_cmp_gt_u32_e32 vcc, 64, v0
	v_cmp_lt_u32_e64 s[18:19], 63, v0
	s_waitcnt lgkmcnt(0)
	s_barrier
	s_waitcnt lgkmcnt(0)
                                        ; implicit-def: $vgpr12
	s_and_saveexec_b64 s[34:35], s[18:19]
	s_cbranch_execz .LBB1627_45
; %bb.44:
	v_lshl_add_u32 v3, v54, 2, -4
	ds_read_b32 v12, v3
	s_waitcnt lgkmcnt(0)
	v_add_u32_e32 v2, v12, v2
.LBB1627_45:
	s_or_b64 exec, exec, s[34:35]
	v_add_u32_e32 v3, -1, v53
	v_and_b32_e32 v4, 64, v53
	v_cmp_lt_i32_e64 s[18:19], v3, v4
	v_cndmask_b32_e64 v3, v3, v53, s[18:19]
	v_lshlrev_b32_e32 v3, 2, v3
	ds_bpermute_b32 v13, v3, v2
	v_cmp_eq_u32_e64 s[18:19], 0, v53
	s_and_saveexec_b64 s[34:35], vcc
	s_cbranch_execz .LBB1627_64
; %bb.46:
	v_mov_b32_e32 v9, 0
	ds_read_b32 v2, v9 offset:12
	s_and_saveexec_b64 s[36:37], s[18:19]
	s_cbranch_execz .LBB1627_48
; %bb.47:
	s_add_i32 s38, s40, 64
	s_mov_b32 s39, 0
	s_lshl_b64 s[38:39], s[38:39], 3
	s_add_u32 s38, s30, s38
	v_mov_b32_e32 v3, 1
	s_addc_u32 s39, s31, s39
	s_waitcnt lgkmcnt(0)
	global_store_dwordx2 v9, v[2:3], s[38:39]
.LBB1627_48:
	s_or_b64 exec, exec, s[36:37]
	v_xad_u32 v4, v53, -1, s40
	v_add_u32_e32 v8, 64, v4
	v_lshlrev_b64 v[6:7], 3, v[8:9]
	v_mov_b32_e32 v3, s31
	v_add_co_u32_e32 v10, vcc, s30, v6
	v_addc_co_u32_e32 v11, vcc, v3, v7, vcc
	global_load_dwordx2 v[6:7], v[10:11], off glc
	s_waitcnt vmcnt(0)
	v_cmp_eq_u16_sdwa s[38:39], v7, v9 src0_sel:BYTE_0 src1_sel:DWORD
	s_and_saveexec_b64 s[36:37], s[38:39]
	s_cbranch_execz .LBB1627_52
; %bb.49:
	s_mov_b64 s[38:39], 0
	v_mov_b32_e32 v3, 0
.LBB1627_50:                            ; =>This Inner Loop Header: Depth=1
	global_load_dwordx2 v[6:7], v[10:11], off glc
	s_waitcnt vmcnt(0)
	v_cmp_ne_u16_sdwa s[42:43], v7, v3 src0_sel:BYTE_0 src1_sel:DWORD
	s_or_b64 s[38:39], s[42:43], s[38:39]
	s_andn2_b64 exec, exec, s[38:39]
	s_cbranch_execnz .LBB1627_50
; %bb.51:
	s_or_b64 exec, exec, s[38:39]
.LBB1627_52:
	s_or_b64 exec, exec, s[36:37]
	v_and_b32_e32 v14, 63, v53
	v_mov_b32_e32 v3, 2
	v_cmp_ne_u32_e32 vcc, 63, v14
	v_cmp_eq_u16_sdwa s[36:37], v7, v3 src0_sel:BYTE_0 src1_sel:DWORD
	v_lshlrev_b64 v[8:9], v53, -1
	v_addc_co_u32_e32 v11, vcc, 0, v53, vcc
	v_and_b32_e32 v5, s37, v9
	v_lshlrev_b32_e32 v15, 2, v11
	v_or_b32_e32 v5, 0x80000000, v5
	ds_bpermute_b32 v11, v15, v6
	v_and_b32_e32 v10, s36, v8
	v_ffbl_b32_e32 v5, v5
	v_add_u32_e32 v5, 32, v5
	v_ffbl_b32_e32 v10, v10
	v_min_u32_e32 v5, v10, v5
	v_cmp_lt_u32_e32 vcc, v14, v5
	s_waitcnt lgkmcnt(0)
	v_cndmask_b32_e32 v10, 0, v11, vcc
	v_cmp_gt_u32_e32 vcc, 62, v14
	v_add_u32_e32 v6, v10, v6
	v_cndmask_b32_e64 v10, 0, 1, vcc
	v_lshlrev_b32_e32 v10, 1, v10
	v_add_lshl_u32 v16, v10, v53, 2
	ds_bpermute_b32 v10, v16, v6
	v_add_u32_e32 v17, 2, v14
	v_cmp_le_u32_e32 vcc, v17, v5
	v_add_u32_e32 v19, 4, v14
	v_add_u32_e32 v57, 8, v14
	s_waitcnt lgkmcnt(0)
	v_cndmask_b32_e32 v10, 0, v10, vcc
	v_cmp_gt_u32_e32 vcc, 60, v14
	v_add_u32_e32 v6, v6, v10
	v_cndmask_b32_e64 v10, 0, 1, vcc
	v_lshlrev_b32_e32 v10, 2, v10
	v_add_lshl_u32 v18, v10, v53, 2
	ds_bpermute_b32 v10, v18, v6
	v_cmp_le_u32_e32 vcc, v19, v5
	v_add_u32_e32 v60, 16, v14
	v_add_u32_e32 v62, 32, v14
	s_waitcnt lgkmcnt(0)
	v_cndmask_b32_e32 v10, 0, v10, vcc
	v_cmp_gt_u32_e32 vcc, 56, v14
	v_add_u32_e32 v6, v6, v10
	v_cndmask_b32_e64 v10, 0, 1, vcc
	v_lshlrev_b32_e32 v10, 3, v10
	v_add_lshl_u32 v56, v10, v53, 2
	ds_bpermute_b32 v10, v56, v6
	v_cmp_le_u32_e32 vcc, v57, v5
	s_waitcnt lgkmcnt(0)
	v_cndmask_b32_e32 v10, 0, v10, vcc
	v_cmp_gt_u32_e32 vcc, 48, v14
	v_add_u32_e32 v6, v6, v10
	v_cndmask_b32_e64 v10, 0, 1, vcc
	v_lshlrev_b32_e32 v10, 4, v10
	v_add_lshl_u32 v59, v10, v53, 2
	ds_bpermute_b32 v10, v59, v6
	v_cmp_le_u32_e32 vcc, v60, v5
	;; [unrolled: 9-line block ×3, first 2 shown]
	s_waitcnt lgkmcnt(0)
	v_cndmask_b32_e32 v5, 0, v10, vcc
	v_add_u32_e32 v6, v6, v5
	v_mov_b32_e32 v5, 0
	s_branch .LBB1627_54
.LBB1627_53:                            ;   in Loop: Header=BB1627_54 Depth=1
	s_or_b64 exec, exec, s[36:37]
	v_cmp_eq_u16_sdwa s[36:37], v7, v3 src0_sel:BYTE_0 src1_sel:DWORD
	v_and_b32_e32 v10, s37, v9
	v_or_b32_e32 v10, 0x80000000, v10
	ds_bpermute_b32 v63, v15, v6
	v_and_b32_e32 v11, s36, v8
	v_ffbl_b32_e32 v10, v10
	v_add_u32_e32 v10, 32, v10
	v_ffbl_b32_e32 v11, v11
	v_min_u32_e32 v10, v11, v10
	v_cmp_lt_u32_e32 vcc, v14, v10
	s_waitcnt lgkmcnt(0)
	v_cndmask_b32_e32 v11, 0, v63, vcc
	v_add_u32_e32 v6, v11, v6
	ds_bpermute_b32 v11, v16, v6
	v_cmp_le_u32_e32 vcc, v17, v10
	v_subrev_u32_e32 v4, 64, v4
	s_waitcnt lgkmcnt(0)
	v_cndmask_b32_e32 v11, 0, v11, vcc
	v_add_u32_e32 v6, v6, v11
	ds_bpermute_b32 v11, v18, v6
	v_cmp_le_u32_e32 vcc, v19, v10
	s_waitcnt lgkmcnt(0)
	v_cndmask_b32_e32 v11, 0, v11, vcc
	v_add_u32_e32 v6, v6, v11
	ds_bpermute_b32 v11, v56, v6
	v_cmp_le_u32_e32 vcc, v57, v10
	;; [unrolled: 5-line block ×4, first 2 shown]
	s_waitcnt lgkmcnt(0)
	v_cndmask_b32_e32 v10, 0, v11, vcc
	v_add3_u32 v6, v10, v58, v6
.LBB1627_54:                            ; =>This Loop Header: Depth=1
                                        ;     Child Loop BB1627_57 Depth 2
	v_cmp_ne_u16_sdwa s[36:37], v7, v3 src0_sel:BYTE_0 src1_sel:DWORD
	v_cndmask_b32_e64 v7, 0, 1, s[36:37]
	;;#ASMSTART
	;;#ASMEND
	v_cmp_ne_u32_e32 vcc, 0, v7
	s_cmp_lg_u64 vcc, exec
	v_mov_b32_e32 v58, v6
	s_cbranch_scc1 .LBB1627_59
; %bb.55:                               ;   in Loop: Header=BB1627_54 Depth=1
	v_lshlrev_b64 v[6:7], 3, v[4:5]
	v_mov_b32_e32 v11, s31
	v_add_co_u32_e32 v10, vcc, s30, v6
	v_addc_co_u32_e32 v11, vcc, v11, v7, vcc
	global_load_dwordx2 v[6:7], v[10:11], off glc
	s_waitcnt vmcnt(0)
	v_cmp_eq_u16_sdwa s[38:39], v7, v5 src0_sel:BYTE_0 src1_sel:DWORD
	s_and_saveexec_b64 s[36:37], s[38:39]
	s_cbranch_execz .LBB1627_53
; %bb.56:                               ;   in Loop: Header=BB1627_54 Depth=1
	s_mov_b64 s[38:39], 0
.LBB1627_57:                            ;   Parent Loop BB1627_54 Depth=1
                                        ; =>  This Inner Loop Header: Depth=2
	global_load_dwordx2 v[6:7], v[10:11], off glc
	s_waitcnt vmcnt(0)
	v_cmp_ne_u16_sdwa s[42:43], v7, v5 src0_sel:BYTE_0 src1_sel:DWORD
	s_or_b64 s[38:39], s[42:43], s[38:39]
	s_andn2_b64 exec, exec, s[38:39]
	s_cbranch_execnz .LBB1627_57
; %bb.58:                               ;   in Loop: Header=BB1627_54 Depth=1
	s_or_b64 exec, exec, s[38:39]
	s_branch .LBB1627_53
.LBB1627_59:                            ;   in Loop: Header=BB1627_54 Depth=1
                                        ; implicit-def: $vgpr6
                                        ; implicit-def: $vgpr7
	s_cbranch_execz .LBB1627_54
; %bb.60:
	s_and_saveexec_b64 s[36:37], s[18:19]
	s_cbranch_execz .LBB1627_62
; %bb.61:
	s_add_i32 s38, s40, 64
	s_mov_b32 s39, 0
	s_lshl_b64 s[38:39], s[38:39], 3
	s_add_u32 s38, s30, s38
	v_add_u32_e32 v4, v58, v2
	v_mov_b32_e32 v5, 2
	s_addc_u32 s39, s31, s39
	v_mov_b32_e32 v3, 0
	global_store_dwordx2 v3, v[4:5], s[38:39]
	s_movk_i32 s38, 0x3400
	v_add_u32_e64 v3, s38, 0
	ds_write2_b32 v3, v2, v58 offset1:2
.LBB1627_62:
	s_or_b64 exec, exec, s[36:37]
	s_and_b64 exec, exec, s[0:1]
	s_cbranch_execz .LBB1627_64
; %bb.63:
	v_mov_b32_e32 v2, 0
	ds_write_b32 v2, v58 offset:12
.LBB1627_64:
	s_or_b64 exec, exec, s[34:35]
	v_mov_b32_e32 v2, 0
	s_waitcnt lgkmcnt(0)
	s_barrier
	ds_read_b32 v2, v2 offset:12
	v_cndmask_b32_e64 v3, v13, v12, s[18:19]
	v_cndmask_b32_e64 v3, v3, 0, s[0:1]
	s_movk_i32 s18, 0x3400
	v_add_u32_e64 v12, s18, 0
	s_waitcnt lgkmcnt(0)
	v_add_u32_e32 v2, v2, v3
	v_add_u32_e32 v3, v2, v44
	;; [unrolled: 1-line block ×9, first 2 shown]
	s_barrier
	ds_read2_b32 v[18:19], v12 offset1:2
	v_add_u32_e32 v11, v10, v50
	v_add_u32_e32 v12, v11, v51
	;; [unrolled: 1-line block ×4, first 2 shown]
	s_branch .LBB1627_75
.LBB1627_65:
                                        ; implicit-def: $vgpr19
                                        ; implicit-def: $vgpr2_vgpr3_vgpr4_vgpr5_vgpr6_vgpr7_vgpr8_vgpr9_vgpr10_vgpr11_vgpr12_vgpr13_vgpr14_vgpr15_vgpr16_vgpr17
	s_cbranch_execz .LBB1627_75
; %bb.66:
	s_nop 0
	v_mov_b32_dpp v2, v55 row_shr:1 row_mask:0xf bank_mask:0xf
	v_cndmask_b32_e64 v2, v2, 0, s[16:17]
	v_add_u32_e32 v2, v2, v55
	s_nop 1
	v_mov_b32_dpp v3, v2 row_shr:2 row_mask:0xf bank_mask:0xf
	v_cndmask_b32_e64 v3, 0, v3, s[14:15]
	v_add_u32_e32 v2, v2, v3
	;; [unrolled: 4-line block ×4, first 2 shown]
	s_nop 1
	v_mov_b32_dpp v3, v2 row_bcast:15 row_mask:0xf bank_mask:0xf
	v_cndmask_b32_e64 v3, v3, 0, s[8:9]
	v_add_u32_e32 v2, v2, v3
	s_nop 1
	v_mov_b32_dpp v3, v2 row_bcast:31 row_mask:0xf bank_mask:0xf
	v_cndmask_b32_e64 v3, 0, v3, s[4:5]
	v_add_u32_e32 v2, v2, v3
	s_and_saveexec_b64 s[4:5], s[6:7]
	s_cbranch_execz .LBB1627_68
; %bb.67:
	v_lshlrev_b32_e32 v3, 2, v54
	ds_write_b32 v3, v2
.LBB1627_68:
	s_or_b64 exec, exec, s[4:5]
	v_cmp_gt_u32_e32 vcc, 4, v0
	s_waitcnt lgkmcnt(0)
	s_barrier
	s_and_saveexec_b64 s[4:5], vcc
	s_cbranch_execz .LBB1627_70
; %bb.69:
	ds_read_b32 v3, v1
	v_and_b32_e32 v4, 3, v53
	v_cmp_ne_u32_e32 vcc, 0, v4
	s_waitcnt lgkmcnt(0)
	v_mov_b32_dpp v5, v3 row_shr:1 row_mask:0xf bank_mask:0xf
	v_cndmask_b32_e32 v5, 0, v5, vcc
	v_add_u32_e32 v3, v5, v3
	v_cmp_lt_u32_e32 vcc, 1, v4
	s_nop 0
	v_mov_b32_dpp v5, v3 row_shr:2 row_mask:0xf bank_mask:0xf
	v_cndmask_b32_e32 v4, 0, v5, vcc
	v_add_u32_e32 v3, v3, v4
	ds_write_b32 v1, v3
.LBB1627_70:
	s_or_b64 exec, exec, s[4:5]
	v_cmp_lt_u32_e32 vcc, 63, v0
	v_mov_b32_e32 v4, 0
	v_mov_b32_e32 v3, 0
	s_waitcnt lgkmcnt(0)
	s_barrier
	s_and_saveexec_b64 s[4:5], vcc
	s_cbranch_execz .LBB1627_72
; %bb.71:
	v_lshl_add_u32 v3, v54, 2, -4
	ds_read_b32 v3, v3
.LBB1627_72:
	s_or_b64 exec, exec, s[4:5]
	v_add_u32_e32 v5, -1, v53
	v_and_b32_e32 v6, 64, v53
	v_cmp_lt_i32_e32 vcc, v5, v6
	v_cndmask_b32_e32 v5, v5, v53, vcc
	s_waitcnt lgkmcnt(0)
	v_add_u32_e32 v2, v3, v2
	v_lshlrev_b32_e32 v5, 2, v5
	ds_bpermute_b32 v2, v5, v2
	ds_read_b32 v18, v4 offset:12
	s_and_saveexec_b64 s[4:5], s[0:1]
	s_cbranch_execz .LBB1627_74
; %bb.73:
	v_mov_b32_e32 v4, 0
	v_mov_b32_e32 v19, 2
	s_waitcnt lgkmcnt(0)
	global_store_dwordx2 v4, v[18:19], s[30:31] offset:512
.LBB1627_74:
	s_or_b64 exec, exec, s[4:5]
	v_cmp_eq_u32_e32 vcc, 0, v53
	s_waitcnt lgkmcnt(1)
	v_cndmask_b32_e32 v2, v2, v3, vcc
	v_cndmask_b32_e64 v2, v2, 0, s[0:1]
	v_add_u32_e32 v3, v2, v44
	v_add_u32_e32 v4, v3, v45
	;; [unrolled: 1-line block ×11, first 2 shown]
	v_mov_b32_e32 v19, 0
	v_add_u32_e32 v14, v13, v41
	s_waitcnt lgkmcnt(0)
	s_barrier
.LBB1627_75:
	s_waitcnt lgkmcnt(0)
	v_add_u32_e32 v36, v18, v36
	v_sub_u32_e32 v2, v2, v19
	v_and_b32_e32 v45, 1, v40
	v_sub_u32_e32 v44, v36, v2
	v_cmp_eq_u32_e32 vcc, 1, v45
	v_cndmask_b32_e32 v2, v44, v2, vcc
	v_lshlrev_b32_e32 v2, 2, v2
	v_lshrrev_b32_e32 v17, 8, v40
	ds_write_b32 v2, v32
	v_sub_u32_e32 v2, v3, v19
	v_sub_u32_e32 v3, v36, v2
	v_and_b32_e32 v17, 1, v17
	v_add_u32_e32 v3, 1, v3
	v_cmp_eq_u32_e32 vcc, 1, v17
	v_cndmask_b32_e32 v2, v3, v2, vcc
	v_lshlrev_b32_e32 v2, 2, v2
	ds_write_b32 v2, v33
	v_sub_u32_e32 v2, v4, v19
	v_mov_b32_e32 v4, 1
	v_sub_u32_e32 v3, v36, v2
	v_and_b32_sdwa v17, v4, v40 dst_sel:DWORD dst_unused:UNUSED_PAD src0_sel:DWORD src1_sel:WORD_1
	v_add_u32_e32 v3, 2, v3
	v_cmp_eq_u32_e32 vcc, 1, v17
	v_cndmask_b32_e32 v2, v3, v2, vcc
	v_lshlrev_b32_e32 v2, 2, v2
	ds_write_b32 v2, v30
	v_sub_u32_e32 v2, v5, v19
	v_sub_u32_e32 v3, v36, v2
	v_and_b32_e32 v5, 1, v43
	v_add_u32_e32 v3, 3, v3
	v_cmp_eq_u32_e32 vcc, 1, v5
	v_cndmask_b32_e32 v2, v3, v2, vcc
	v_lshlrev_b32_e32 v2, 2, v2
	ds_write_b32 v2, v31
	v_sub_u32_e32 v2, v6, v19
	v_sub_u32_e32 v3, v36, v2
	v_and_b32_e32 v5, 1, v39
	v_add_u32_e32 v3, 4, v3
	v_cmp_eq_u32_e32 vcc, 1, v5
	v_cndmask_b32_e32 v2, v3, v2, vcc
	v_lshlrev_b32_e32 v2, 2, v2
	v_lshrrev_b32_e32 v16, 8, v39
	ds_write_b32 v2, v28
	v_sub_u32_e32 v2, v7, v19
	v_sub_u32_e32 v3, v36, v2
	v_and_b32_e32 v5, 1, v16
	v_add_u32_e32 v3, 5, v3
	v_cmp_eq_u32_e32 vcc, 1, v5
	v_cndmask_b32_e32 v2, v3, v2, vcc
	v_lshlrev_b32_e32 v2, 2, v2
	ds_write_b32 v2, v29
	v_sub_u32_e32 v2, v8, v19
	v_sub_u32_e32 v3, v36, v2
	v_and_b32_sdwa v5, v4, v39 dst_sel:DWORD dst_unused:UNUSED_PAD src0_sel:DWORD src1_sel:WORD_1
	v_add_u32_e32 v3, 6, v3
	v_cmp_eq_u32_e32 vcc, 1, v5
	v_cndmask_b32_e32 v2, v3, v2, vcc
	v_lshlrev_b32_e32 v2, 2, v2
	ds_write_b32 v2, v26
	v_sub_u32_e32 v2, v9, v19
	v_sub_u32_e32 v3, v36, v2
	v_and_b32_e32 v5, 1, v42
	v_add_u32_e32 v3, 7, v3
	v_cmp_eq_u32_e32 vcc, 1, v5
	v_cndmask_b32_e32 v2, v3, v2, vcc
	v_lshlrev_b32_e32 v2, 2, v2
	ds_write_b32 v2, v27
	v_sub_u32_e32 v2, v10, v19
	v_sub_u32_e32 v3, v36, v2
	v_and_b32_e32 v5, 1, v38
	v_add_u32_e32 v3, 8, v3
	v_cmp_eq_u32_e32 vcc, 1, v5
	v_cndmask_b32_e32 v2, v3, v2, vcc
	v_lshlrev_b32_e32 v2, 2, v2
	v_lshrrev_b32_e32 v15, 8, v38
	ds_write_b32 v2, v24
	v_sub_u32_e32 v2, v11, v19
	v_sub_u32_e32 v3, v36, v2
	v_and_b32_e32 v5, 1, v15
	v_add_u32_e32 v3, 9, v3
	v_cmp_eq_u32_e32 vcc, 1, v5
	v_cndmask_b32_e32 v2, v3, v2, vcc
	v_lshlrev_b32_e32 v2, 2, v2
	ds_write_b32 v2, v25
	v_sub_u32_e32 v2, v12, v19
	v_sub_u32_e32 v3, v36, v2
	v_and_b32_sdwa v4, v4, v38 dst_sel:DWORD dst_unused:UNUSED_PAD src0_sel:DWORD src1_sel:WORD_1
	v_add_u32_e32 v3, 10, v3
	v_cmp_eq_u32_e32 vcc, 1, v4
	v_cndmask_b32_e32 v2, v3, v2, vcc
	v_lshlrev_b32_e32 v2, 2, v2
	ds_write_b32 v2, v22
	v_sub_u32_e32 v2, v13, v19
	v_sub_u32_e32 v3, v36, v2
	v_and_b32_e32 v4, 1, v41
	v_add_u32_e32 v3, 11, v3
	v_cmp_eq_u32_e32 vcc, 1, v4
	v_cndmask_b32_e32 v2, v3, v2, vcc
	v_lshlrev_b32_e32 v2, 2, v2
	ds_write_b32 v2, v23
	v_sub_u32_e32 v2, v14, v19
	v_sub_u32_e32 v3, v36, v2
	v_and_b32_e32 v4, 1, v37
	v_add_u32_e32 v3, 12, v3
	v_cmp_eq_u32_e32 vcc, 1, v4
	v_cndmask_b32_e32 v2, v3, v2, vcc
	v_lshlrev_b32_e32 v2, 2, v2
	ds_write_b32 v2, v35
	s_waitcnt lgkmcnt(0)
	s_barrier
	ds_read2st64_b32 v[12:13], v1 offset1:4
	ds_read2st64_b32 v[10:11], v1 offset0:8 offset1:12
	ds_read2st64_b32 v[8:9], v1 offset0:16 offset1:20
	;; [unrolled: 1-line block ×5, first 2 shown]
	ds_read_b32 v17, v1 offset:12288
	s_waitcnt vmcnt(0)
	v_add_co_u32_e32 v1, vcc, v20, v19
	v_addc_co_u32_e32 v16, vcc, 0, v21, vcc
	v_mov_b32_e32 v14, s29
	v_add_co_u32_e32 v15, vcc, s28, v34
	v_addc_co_u32_e32 v14, vcc, 0, v14, vcc
	v_mov_b32_e32 v19, s27
	v_sub_co_u32_e32 v15, vcc, s26, v15
	v_subb_co_u32_e32 v14, vcc, v19, v14, vcc
	v_add_co_u32_e32 v15, vcc, v15, v18
	v_addc_co_u32_e32 v14, vcc, 0, v14, vcc
	s_and_b64 vcc, exec, s[2:3]
	v_add_co_u32_e64 v19, s[2:3], v15, v1
	v_or_b32_e32 v33, 0x100, v0
	v_or_b32_e32 v32, 0x200, v0
	;; [unrolled: 1-line block ×12, first 2 shown]
	v_addc_co_u32_e64 v20, s[2:3], v14, v16, s[2:3]
	s_cbranch_vccnz .LBB1627_132
; %bb.76:
	v_cmp_ge_u32_e32 vcc, v0, v18
                                        ; implicit-def: $vgpr14_vgpr15
	s_and_saveexec_b64 s[2:3], vcc
	s_xor_b64 s[2:3], exec, s[2:3]
; %bb.77:
	v_not_b32_e32 v14, v0
	v_ashrrev_i32_e32 v15, 31, v14
	v_add_co_u32_e32 v14, vcc, v19, v14
	v_addc_co_u32_e32 v15, vcc, v20, v15, vcc
; %bb.78:
	s_andn2_saveexec_b64 s[2:3], s[2:3]
; %bb.79:
	v_add_co_u32_e32 v14, vcc, v1, v0
	v_addc_co_u32_e32 v15, vcc, 0, v16, vcc
; %bb.80:
	s_or_b64 exec, exec, s[2:3]
	v_lshlrev_b64 v[14:15], 2, v[14:15]
	v_mov_b32_e32 v21, s25
	v_add_co_u32_e32 v14, vcc, s24, v14
	v_addc_co_u32_e32 v15, vcc, v21, v15, vcc
	v_cmp_ge_u32_e32 vcc, v33, v18
	s_waitcnt lgkmcnt(6)
	global_store_dword v[14:15], v12, off
                                        ; implicit-def: $vgpr14_vgpr15
	s_and_saveexec_b64 s[2:3], vcc
	s_xor_b64 s[2:3], exec, s[2:3]
; %bb.81:
	v_xor_b32_e32 v14, 0xfffffeff, v0
	v_ashrrev_i32_e32 v15, 31, v14
	v_add_co_u32_e32 v14, vcc, v19, v14
	v_addc_co_u32_e32 v15, vcc, v20, v15, vcc
; %bb.82:
	s_andn2_saveexec_b64 s[2:3], s[2:3]
; %bb.83:
	v_add_co_u32_e32 v14, vcc, v1, v33
	v_addc_co_u32_e32 v15, vcc, 0, v16, vcc
; %bb.84:
	s_or_b64 exec, exec, s[2:3]
	v_lshlrev_b64 v[14:15], 2, v[14:15]
	v_mov_b32_e32 v21, s25
	v_add_co_u32_e32 v14, vcc, s24, v14
	v_addc_co_u32_e32 v15, vcc, v21, v15, vcc
	v_cmp_ge_u32_e32 vcc, v32, v18
	global_store_dword v[14:15], v13, off
                                        ; implicit-def: $vgpr14_vgpr15
	s_and_saveexec_b64 s[2:3], vcc
	s_xor_b64 s[2:3], exec, s[2:3]
; %bb.85:
	v_xor_b32_e32 v14, 0xfffffdff, v0
	v_ashrrev_i32_e32 v15, 31, v14
	v_add_co_u32_e32 v14, vcc, v19, v14
	v_addc_co_u32_e32 v15, vcc, v20, v15, vcc
; %bb.86:
	s_andn2_saveexec_b64 s[2:3], s[2:3]
; %bb.87:
	v_add_co_u32_e32 v14, vcc, v1, v32
	v_addc_co_u32_e32 v15, vcc, 0, v16, vcc
; %bb.88:
	s_or_b64 exec, exec, s[2:3]
	v_lshlrev_b64 v[14:15], 2, v[14:15]
	v_mov_b32_e32 v21, s25
	v_add_co_u32_e32 v14, vcc, s24, v14
	v_addc_co_u32_e32 v15, vcc, v21, v15, vcc
	v_cmp_ge_u32_e32 vcc, v31, v18
	s_waitcnt lgkmcnt(5)
	global_store_dword v[14:15], v10, off
                                        ; implicit-def: $vgpr14_vgpr15
	s_and_saveexec_b64 s[2:3], vcc
	s_xor_b64 s[2:3], exec, s[2:3]
; %bb.89:
	v_xor_b32_e32 v14, 0xfffffcff, v0
	v_ashrrev_i32_e32 v15, 31, v14
	v_add_co_u32_e32 v14, vcc, v19, v14
	v_addc_co_u32_e32 v15, vcc, v20, v15, vcc
; %bb.90:
	s_andn2_saveexec_b64 s[2:3], s[2:3]
; %bb.91:
	v_add_co_u32_e32 v14, vcc, v1, v31
	v_addc_co_u32_e32 v15, vcc, 0, v16, vcc
; %bb.92:
	s_or_b64 exec, exec, s[2:3]
	v_lshlrev_b64 v[14:15], 2, v[14:15]
	v_mov_b32_e32 v21, s25
	v_add_co_u32_e32 v14, vcc, s24, v14
	v_addc_co_u32_e32 v15, vcc, v21, v15, vcc
	v_cmp_ge_u32_e32 vcc, v30, v18
	global_store_dword v[14:15], v11, off
                                        ; implicit-def: $vgpr14_vgpr15
	s_and_saveexec_b64 s[2:3], vcc
	s_xor_b64 s[2:3], exec, s[2:3]
; %bb.93:
	v_xor_b32_e32 v14, 0xfffffbff, v0
	;; [unrolled: 43-line block ×6, first 2 shown]
	v_ashrrev_i32_e32 v15, 31, v14
	v_add_co_u32_e32 v14, vcc, v19, v14
	v_addc_co_u32_e32 v15, vcc, v20, v15, vcc
; %bb.126:
	s_andn2_saveexec_b64 s[2:3], s[2:3]
; %bb.127:
	v_add_co_u32_e32 v14, vcc, v1, v22
	v_addc_co_u32_e32 v15, vcc, 0, v16, vcc
; %bb.128:
	s_or_b64 exec, exec, s[2:3]
	s_mov_b64 s[2:3], -1
.LBB1627_129:
	s_and_saveexec_b64 s[4:5], s[2:3]
	s_cbranch_execz .LBB1627_212
.LBB1627_130:
	s_waitcnt lgkmcnt(1)
	v_lshlrev_b64 v[2:3], 2, v[14:15]
	v_mov_b32_e32 v0, s25
	v_add_co_u32_e32 v2, vcc, s24, v2
	v_addc_co_u32_e32 v3, vcc, v0, v3, vcc
	s_waitcnt lgkmcnt(0)
	global_store_dword v[2:3], v17, off
	s_or_b64 exec, exec, s[4:5]
	s_and_b64 s[0:1], s[0:1], s[22:23]
	s_and_saveexec_b64 s[2:3], s[0:1]
	s_cbranch_execnz .LBB1627_213
.LBB1627_131:
	s_endpgm
.LBB1627_132:
	s_mov_b64 s[2:3], 0
                                        ; implicit-def: $vgpr14_vgpr15
	s_cbranch_execz .LBB1627_129
; %bb.133:
	v_cmp_gt_u32_e32 vcc, s33, v0
	s_and_saveexec_b64 s[4:5], vcc
	s_cbranch_execz .LBB1627_169
; %bb.134:
	v_cmp_ge_u32_e32 vcc, v0, v18
                                        ; implicit-def: $vgpr14_vgpr15
	s_and_saveexec_b64 s[6:7], vcc
	s_xor_b64 s[6:7], exec, s[6:7]
; %bb.135:
	v_not_b32_e32 v14, v0
	v_ashrrev_i32_e32 v15, 31, v14
	v_add_co_u32_e32 v14, vcc, v19, v14
	v_addc_co_u32_e32 v15, vcc, v20, v15, vcc
; %bb.136:
	s_andn2_saveexec_b64 s[6:7], s[6:7]
; %bb.137:
	v_add_co_u32_e32 v14, vcc, v1, v0
	v_addc_co_u32_e32 v15, vcc, 0, v16, vcc
; %bb.138:
	s_or_b64 exec, exec, s[6:7]
	v_lshlrev_b64 v[14:15], 2, v[14:15]
	v_mov_b32_e32 v21, s25
	v_add_co_u32_e32 v14, vcc, s24, v14
	v_addc_co_u32_e32 v15, vcc, v21, v15, vcc
	s_waitcnt lgkmcnt(6)
	global_store_dword v[14:15], v12, off
	s_or_b64 exec, exec, s[4:5]
	v_cmp_gt_u32_e32 vcc, s33, v33
	s_and_saveexec_b64 s[4:5], vcc
	s_cbranch_execnz .LBB1627_170
.LBB1627_139:
	s_or_b64 exec, exec, s[4:5]
	v_cmp_gt_u32_e32 vcc, s33, v32
	s_and_saveexec_b64 s[4:5], vcc
	s_cbranch_execz .LBB1627_175
.LBB1627_140:
	v_cmp_ge_u32_e32 vcc, v32, v18
                                        ; implicit-def: $vgpr12_vgpr13
	s_and_saveexec_b64 s[6:7], vcc
	s_xor_b64 s[6:7], exec, s[6:7]
	s_cbranch_execz .LBB1627_142
; %bb.141:
	s_waitcnt lgkmcnt(6)
	v_xor_b32_e32 v12, 0xfffffdff, v0
	v_ashrrev_i32_e32 v13, 31, v12
	v_add_co_u32_e32 v12, vcc, v19, v12
	v_addc_co_u32_e32 v13, vcc, v20, v13, vcc
                                        ; implicit-def: $vgpr32
.LBB1627_142:
	s_andn2_saveexec_b64 s[6:7], s[6:7]
	s_cbranch_execz .LBB1627_144
; %bb.143:
	s_waitcnt lgkmcnt(6)
	v_add_co_u32_e32 v12, vcc, v1, v32
	v_addc_co_u32_e32 v13, vcc, 0, v16, vcc
.LBB1627_144:
	s_or_b64 exec, exec, s[6:7]
	s_waitcnt lgkmcnt(6)
	v_lshlrev_b64 v[12:13], 2, v[12:13]
	v_mov_b32_e32 v14, s25
	v_add_co_u32_e32 v12, vcc, s24, v12
	v_addc_co_u32_e32 v13, vcc, v14, v13, vcc
	s_waitcnt lgkmcnt(5)
	global_store_dword v[12:13], v10, off
	s_or_b64 exec, exec, s[4:5]
	v_cmp_gt_u32_e32 vcc, s33, v31
	s_and_saveexec_b64 s[4:5], vcc
	s_cbranch_execnz .LBB1627_176
.LBB1627_145:
	s_or_b64 exec, exec, s[4:5]
	v_cmp_gt_u32_e32 vcc, s33, v30
	s_and_saveexec_b64 s[4:5], vcc
	s_cbranch_execz .LBB1627_181
.LBB1627_146:
	v_cmp_ge_u32_e32 vcc, v30, v18
                                        ; implicit-def: $vgpr10_vgpr11
	s_and_saveexec_b64 s[6:7], vcc
	s_xor_b64 s[6:7], exec, s[6:7]
	s_cbranch_execz .LBB1627_148
; %bb.147:
	s_waitcnt lgkmcnt(5)
	v_xor_b32_e32 v10, 0xfffffbff, v0
	v_ashrrev_i32_e32 v11, 31, v10
	v_add_co_u32_e32 v10, vcc, v19, v10
	v_addc_co_u32_e32 v11, vcc, v20, v11, vcc
                                        ; implicit-def: $vgpr30
.LBB1627_148:
	s_andn2_saveexec_b64 s[6:7], s[6:7]
	s_cbranch_execz .LBB1627_150
; %bb.149:
	s_waitcnt lgkmcnt(5)
	v_add_co_u32_e32 v10, vcc, v1, v30
	v_addc_co_u32_e32 v11, vcc, 0, v16, vcc
.LBB1627_150:
	s_or_b64 exec, exec, s[6:7]
	s_waitcnt lgkmcnt(5)
	v_lshlrev_b64 v[10:11], 2, v[10:11]
	v_mov_b32_e32 v12, s25
	v_add_co_u32_e32 v10, vcc, s24, v10
	v_addc_co_u32_e32 v11, vcc, v12, v11, vcc
	s_waitcnt lgkmcnt(4)
	global_store_dword v[10:11], v8, off
	s_or_b64 exec, exec, s[4:5]
	v_cmp_gt_u32_e32 vcc, s33, v29
	s_and_saveexec_b64 s[4:5], vcc
	s_cbranch_execnz .LBB1627_182
.LBB1627_151:
	s_or_b64 exec, exec, s[4:5]
	v_cmp_gt_u32_e32 vcc, s33, v28
	s_and_saveexec_b64 s[4:5], vcc
	s_cbranch_execz .LBB1627_187
.LBB1627_152:
	v_cmp_ge_u32_e32 vcc, v28, v18
                                        ; implicit-def: $vgpr8_vgpr9
	s_and_saveexec_b64 s[6:7], vcc
	s_xor_b64 s[6:7], exec, s[6:7]
	s_cbranch_execz .LBB1627_154
; %bb.153:
	s_waitcnt lgkmcnt(4)
	v_xor_b32_e32 v8, 0xfffff9ff, v0
	v_ashrrev_i32_e32 v9, 31, v8
	v_add_co_u32_e32 v8, vcc, v19, v8
	v_addc_co_u32_e32 v9, vcc, v20, v9, vcc
                                        ; implicit-def: $vgpr28
.LBB1627_154:
	s_andn2_saveexec_b64 s[6:7], s[6:7]
	s_cbranch_execz .LBB1627_156
; %bb.155:
	s_waitcnt lgkmcnt(4)
	v_add_co_u32_e32 v8, vcc, v1, v28
	v_addc_co_u32_e32 v9, vcc, 0, v16, vcc
.LBB1627_156:
	s_or_b64 exec, exec, s[6:7]
	s_waitcnt lgkmcnt(4)
	v_lshlrev_b64 v[8:9], 2, v[8:9]
	v_mov_b32_e32 v10, s25
	v_add_co_u32_e32 v8, vcc, s24, v8
	v_addc_co_u32_e32 v9, vcc, v10, v9, vcc
	s_waitcnt lgkmcnt(3)
	global_store_dword v[8:9], v6, off
	s_or_b64 exec, exec, s[4:5]
	v_cmp_gt_u32_e32 vcc, s33, v27
	s_and_saveexec_b64 s[4:5], vcc
	s_cbranch_execnz .LBB1627_188
.LBB1627_157:
	s_or_b64 exec, exec, s[4:5]
	v_cmp_gt_u32_e32 vcc, s33, v26
	s_and_saveexec_b64 s[4:5], vcc
	s_cbranch_execz .LBB1627_193
.LBB1627_158:
	v_cmp_ge_u32_e32 vcc, v26, v18
                                        ; implicit-def: $vgpr6_vgpr7
	s_and_saveexec_b64 s[6:7], vcc
	s_xor_b64 s[6:7], exec, s[6:7]
	s_cbranch_execz .LBB1627_160
; %bb.159:
	s_waitcnt lgkmcnt(3)
	v_xor_b32_e32 v6, 0xfffff7ff, v0
	v_ashrrev_i32_e32 v7, 31, v6
	v_add_co_u32_e32 v6, vcc, v19, v6
	v_addc_co_u32_e32 v7, vcc, v20, v7, vcc
                                        ; implicit-def: $vgpr26
.LBB1627_160:
	s_andn2_saveexec_b64 s[6:7], s[6:7]
	s_cbranch_execz .LBB1627_162
; %bb.161:
	s_waitcnt lgkmcnt(3)
	v_add_co_u32_e32 v6, vcc, v1, v26
	v_addc_co_u32_e32 v7, vcc, 0, v16, vcc
.LBB1627_162:
	s_or_b64 exec, exec, s[6:7]
	s_waitcnt lgkmcnt(3)
	v_lshlrev_b64 v[6:7], 2, v[6:7]
	v_mov_b32_e32 v8, s25
	v_add_co_u32_e32 v6, vcc, s24, v6
	v_addc_co_u32_e32 v7, vcc, v8, v7, vcc
	s_waitcnt lgkmcnt(2)
	global_store_dword v[6:7], v4, off
	s_or_b64 exec, exec, s[4:5]
	v_cmp_gt_u32_e32 vcc, s33, v25
	s_and_saveexec_b64 s[4:5], vcc
	s_cbranch_execnz .LBB1627_194
.LBB1627_163:
	s_or_b64 exec, exec, s[4:5]
	v_cmp_gt_u32_e32 vcc, s33, v24
	s_and_saveexec_b64 s[4:5], vcc
	s_cbranch_execz .LBB1627_199
.LBB1627_164:
	v_cmp_ge_u32_e32 vcc, v24, v18
                                        ; implicit-def: $vgpr4_vgpr5
	s_and_saveexec_b64 s[6:7], vcc
	s_xor_b64 s[6:7], exec, s[6:7]
	s_cbranch_execz .LBB1627_166
; %bb.165:
	s_waitcnt lgkmcnt(2)
	v_xor_b32_e32 v4, 0xfffff5ff, v0
	v_ashrrev_i32_e32 v5, 31, v4
	v_add_co_u32_e32 v4, vcc, v19, v4
	v_addc_co_u32_e32 v5, vcc, v20, v5, vcc
                                        ; implicit-def: $vgpr24
.LBB1627_166:
	s_andn2_saveexec_b64 s[6:7], s[6:7]
	s_cbranch_execz .LBB1627_168
; %bb.167:
	s_waitcnt lgkmcnt(2)
	v_add_co_u32_e32 v4, vcc, v1, v24
	v_addc_co_u32_e32 v5, vcc, 0, v16, vcc
.LBB1627_168:
	s_or_b64 exec, exec, s[6:7]
	s_waitcnt lgkmcnt(2)
	v_lshlrev_b64 v[4:5], 2, v[4:5]
	v_mov_b32_e32 v6, s25
	v_add_co_u32_e32 v4, vcc, s24, v4
	v_addc_co_u32_e32 v5, vcc, v6, v5, vcc
	s_waitcnt lgkmcnt(1)
	global_store_dword v[4:5], v2, off
	s_or_b64 exec, exec, s[4:5]
	v_cmp_gt_u32_e32 vcc, s33, v23
	s_and_saveexec_b64 s[4:5], vcc
	s_cbranch_execz .LBB1627_205
	s_branch .LBB1627_200
.LBB1627_169:
	s_or_b64 exec, exec, s[4:5]
	v_cmp_gt_u32_e32 vcc, s33, v33
	s_and_saveexec_b64 s[4:5], vcc
	s_cbranch_execz .LBB1627_139
.LBB1627_170:
	v_cmp_ge_u32_e32 vcc, v33, v18
                                        ; implicit-def: $vgpr14_vgpr15
	s_and_saveexec_b64 s[6:7], vcc
	s_xor_b64 s[6:7], exec, s[6:7]
	s_cbranch_execz .LBB1627_172
; %bb.171:
	s_waitcnt lgkmcnt(6)
	v_xor_b32_e32 v12, 0xfffffeff, v0
	v_ashrrev_i32_e32 v15, 31, v12
	v_add_co_u32_e32 v14, vcc, v19, v12
	v_addc_co_u32_e32 v15, vcc, v20, v15, vcc
                                        ; implicit-def: $vgpr33
.LBB1627_172:
	s_andn2_saveexec_b64 s[6:7], s[6:7]
; %bb.173:
	v_add_co_u32_e32 v14, vcc, v1, v33
	v_addc_co_u32_e32 v15, vcc, 0, v16, vcc
; %bb.174:
	s_or_b64 exec, exec, s[6:7]
	v_lshlrev_b64 v[14:15], 2, v[14:15]
	s_waitcnt lgkmcnt(6)
	v_mov_b32_e32 v12, s25
	v_add_co_u32_e32 v14, vcc, s24, v14
	v_addc_co_u32_e32 v15, vcc, v12, v15, vcc
	global_store_dword v[14:15], v13, off
	s_or_b64 exec, exec, s[4:5]
	v_cmp_gt_u32_e32 vcc, s33, v32
	s_and_saveexec_b64 s[4:5], vcc
	s_cbranch_execnz .LBB1627_140
.LBB1627_175:
	s_or_b64 exec, exec, s[4:5]
	v_cmp_gt_u32_e32 vcc, s33, v31
	s_and_saveexec_b64 s[4:5], vcc
	s_cbranch_execz .LBB1627_145
.LBB1627_176:
	v_cmp_ge_u32_e32 vcc, v31, v18
                                        ; implicit-def: $vgpr12_vgpr13
	s_and_saveexec_b64 s[6:7], vcc
	s_xor_b64 s[6:7], exec, s[6:7]
	s_cbranch_execz .LBB1627_178
; %bb.177:
	s_waitcnt lgkmcnt(5)
	v_xor_b32_e32 v10, 0xfffffcff, v0
	v_ashrrev_i32_e32 v13, 31, v10
	v_add_co_u32_e32 v12, vcc, v19, v10
	v_addc_co_u32_e32 v13, vcc, v20, v13, vcc
                                        ; implicit-def: $vgpr31
.LBB1627_178:
	s_andn2_saveexec_b64 s[6:7], s[6:7]
	s_cbranch_execz .LBB1627_180
; %bb.179:
	s_waitcnt lgkmcnt(6)
	v_add_co_u32_e32 v12, vcc, v1, v31
	v_addc_co_u32_e32 v13, vcc, 0, v16, vcc
.LBB1627_180:
	s_or_b64 exec, exec, s[6:7]
	s_waitcnt lgkmcnt(6)
	v_lshlrev_b64 v[12:13], 2, v[12:13]
	s_waitcnt lgkmcnt(5)
	v_mov_b32_e32 v10, s25
	v_add_co_u32_e32 v12, vcc, s24, v12
	v_addc_co_u32_e32 v13, vcc, v10, v13, vcc
	global_store_dword v[12:13], v11, off
	s_or_b64 exec, exec, s[4:5]
	v_cmp_gt_u32_e32 vcc, s33, v30
	s_and_saveexec_b64 s[4:5], vcc
	s_cbranch_execnz .LBB1627_146
.LBB1627_181:
	s_or_b64 exec, exec, s[4:5]
	v_cmp_gt_u32_e32 vcc, s33, v29
	s_and_saveexec_b64 s[4:5], vcc
	s_cbranch_execz .LBB1627_151
.LBB1627_182:
	v_cmp_ge_u32_e32 vcc, v29, v18
                                        ; implicit-def: $vgpr10_vgpr11
	s_and_saveexec_b64 s[6:7], vcc
	s_xor_b64 s[6:7], exec, s[6:7]
	s_cbranch_execz .LBB1627_184
; %bb.183:
	s_waitcnt lgkmcnt(4)
	v_xor_b32_e32 v8, 0xfffffaff, v0
	v_ashrrev_i32_e32 v11, 31, v8
	v_add_co_u32_e32 v10, vcc, v19, v8
	v_addc_co_u32_e32 v11, vcc, v20, v11, vcc
                                        ; implicit-def: $vgpr29
.LBB1627_184:
	s_andn2_saveexec_b64 s[6:7], s[6:7]
	s_cbranch_execz .LBB1627_186
; %bb.185:
	s_waitcnt lgkmcnt(5)
	v_add_co_u32_e32 v10, vcc, v1, v29
	v_addc_co_u32_e32 v11, vcc, 0, v16, vcc
.LBB1627_186:
	s_or_b64 exec, exec, s[6:7]
	s_waitcnt lgkmcnt(5)
	v_lshlrev_b64 v[10:11], 2, v[10:11]
	s_waitcnt lgkmcnt(4)
	v_mov_b32_e32 v8, s25
	v_add_co_u32_e32 v10, vcc, s24, v10
	v_addc_co_u32_e32 v11, vcc, v8, v11, vcc
	global_store_dword v[10:11], v9, off
	s_or_b64 exec, exec, s[4:5]
	v_cmp_gt_u32_e32 vcc, s33, v28
	s_and_saveexec_b64 s[4:5], vcc
	s_cbranch_execnz .LBB1627_152
.LBB1627_187:
	s_or_b64 exec, exec, s[4:5]
	v_cmp_gt_u32_e32 vcc, s33, v27
	s_and_saveexec_b64 s[4:5], vcc
	s_cbranch_execz .LBB1627_157
.LBB1627_188:
	v_cmp_ge_u32_e32 vcc, v27, v18
                                        ; implicit-def: $vgpr8_vgpr9
	s_and_saveexec_b64 s[6:7], vcc
	s_xor_b64 s[6:7], exec, s[6:7]
	s_cbranch_execz .LBB1627_190
; %bb.189:
	s_waitcnt lgkmcnt(3)
	v_xor_b32_e32 v6, 0xfffff8ff, v0
	v_ashrrev_i32_e32 v9, 31, v6
	v_add_co_u32_e32 v8, vcc, v19, v6
	v_addc_co_u32_e32 v9, vcc, v20, v9, vcc
                                        ; implicit-def: $vgpr27
.LBB1627_190:
	s_andn2_saveexec_b64 s[6:7], s[6:7]
	s_cbranch_execz .LBB1627_192
; %bb.191:
	s_waitcnt lgkmcnt(4)
	v_add_co_u32_e32 v8, vcc, v1, v27
	v_addc_co_u32_e32 v9, vcc, 0, v16, vcc
.LBB1627_192:
	s_or_b64 exec, exec, s[6:7]
	s_waitcnt lgkmcnt(4)
	v_lshlrev_b64 v[8:9], 2, v[8:9]
	s_waitcnt lgkmcnt(3)
	v_mov_b32_e32 v6, s25
	v_add_co_u32_e32 v8, vcc, s24, v8
	v_addc_co_u32_e32 v9, vcc, v6, v9, vcc
	global_store_dword v[8:9], v7, off
	s_or_b64 exec, exec, s[4:5]
	v_cmp_gt_u32_e32 vcc, s33, v26
	s_and_saveexec_b64 s[4:5], vcc
	s_cbranch_execnz .LBB1627_158
.LBB1627_193:
	s_or_b64 exec, exec, s[4:5]
	v_cmp_gt_u32_e32 vcc, s33, v25
	s_and_saveexec_b64 s[4:5], vcc
	s_cbranch_execz .LBB1627_163
.LBB1627_194:
	v_cmp_ge_u32_e32 vcc, v25, v18
                                        ; implicit-def: $vgpr6_vgpr7
	s_and_saveexec_b64 s[6:7], vcc
	s_xor_b64 s[6:7], exec, s[6:7]
	s_cbranch_execz .LBB1627_196
; %bb.195:
	s_waitcnt lgkmcnt(2)
	v_xor_b32_e32 v4, 0xfffff6ff, v0
	v_ashrrev_i32_e32 v7, 31, v4
	v_add_co_u32_e32 v6, vcc, v19, v4
	v_addc_co_u32_e32 v7, vcc, v20, v7, vcc
                                        ; implicit-def: $vgpr25
.LBB1627_196:
	s_andn2_saveexec_b64 s[6:7], s[6:7]
	s_cbranch_execz .LBB1627_198
; %bb.197:
	s_waitcnt lgkmcnt(3)
	v_add_co_u32_e32 v6, vcc, v1, v25
	v_addc_co_u32_e32 v7, vcc, 0, v16, vcc
.LBB1627_198:
	s_or_b64 exec, exec, s[6:7]
	s_waitcnt lgkmcnt(3)
	v_lshlrev_b64 v[6:7], 2, v[6:7]
	s_waitcnt lgkmcnt(2)
	v_mov_b32_e32 v4, s25
	v_add_co_u32_e32 v6, vcc, s24, v6
	v_addc_co_u32_e32 v7, vcc, v4, v7, vcc
	global_store_dword v[6:7], v5, off
	s_or_b64 exec, exec, s[4:5]
	v_cmp_gt_u32_e32 vcc, s33, v24
	s_and_saveexec_b64 s[4:5], vcc
	s_cbranch_execnz .LBB1627_164
.LBB1627_199:
	s_or_b64 exec, exec, s[4:5]
	v_cmp_gt_u32_e32 vcc, s33, v23
	s_and_saveexec_b64 s[4:5], vcc
	s_cbranch_execz .LBB1627_205
.LBB1627_200:
	v_cmp_ge_u32_e32 vcc, v23, v18
                                        ; implicit-def: $vgpr4_vgpr5
	s_and_saveexec_b64 s[6:7], vcc
	s_xor_b64 s[6:7], exec, s[6:7]
	s_cbranch_execz .LBB1627_202
; %bb.201:
	s_waitcnt lgkmcnt(1)
	v_xor_b32_e32 v2, 0xfffff4ff, v0
	v_ashrrev_i32_e32 v5, 31, v2
	v_add_co_u32_e32 v4, vcc, v19, v2
	v_addc_co_u32_e32 v5, vcc, v20, v5, vcc
                                        ; implicit-def: $vgpr23
.LBB1627_202:
	s_andn2_saveexec_b64 s[6:7], s[6:7]
	s_cbranch_execz .LBB1627_204
; %bb.203:
	s_waitcnt lgkmcnt(2)
	v_add_co_u32_e32 v4, vcc, v1, v23
	v_addc_co_u32_e32 v5, vcc, 0, v16, vcc
.LBB1627_204:
	s_or_b64 exec, exec, s[6:7]
	s_waitcnt lgkmcnt(2)
	v_lshlrev_b64 v[4:5], 2, v[4:5]
	s_waitcnt lgkmcnt(1)
	v_mov_b32_e32 v2, s25
	v_add_co_u32_e32 v4, vcc, s24, v4
	v_addc_co_u32_e32 v5, vcc, v2, v5, vcc
	global_store_dword v[4:5], v3, off
.LBB1627_205:
	s_or_b64 exec, exec, s[4:5]
	v_cmp_gt_u32_e32 vcc, s33, v22
                                        ; implicit-def: $vgpr14_vgpr15
	s_and_saveexec_b64 s[4:5], vcc
	s_cbranch_execz .LBB1627_211
; %bb.206:
	v_cmp_ge_u32_e32 vcc, v22, v18
                                        ; implicit-def: $vgpr14_vgpr15
	s_and_saveexec_b64 s[6:7], vcc
	s_xor_b64 s[6:7], exec, s[6:7]
	s_cbranch_execz .LBB1627_208
; %bb.207:
	v_xor_b32_e32 v0, 0xfffff3ff, v0
	s_waitcnt lgkmcnt(1)
	v_ashrrev_i32_e32 v2, 31, v0
	v_add_co_u32_e32 v14, vcc, v19, v0
	v_addc_co_u32_e32 v15, vcc, v20, v2, vcc
                                        ; implicit-def: $vgpr22
.LBB1627_208:
	s_andn2_saveexec_b64 s[6:7], s[6:7]
; %bb.209:
	v_add_co_u32_e32 v14, vcc, v1, v22
	v_addc_co_u32_e32 v15, vcc, 0, v16, vcc
; %bb.210:
	s_or_b64 exec, exec, s[6:7]
	s_or_b64 s[2:3], s[2:3], exec
.LBB1627_211:
	s_or_b64 exec, exec, s[4:5]
	s_and_saveexec_b64 s[4:5], s[2:3]
	s_cbranch_execnz .LBB1627_130
.LBB1627_212:
	s_or_b64 exec, exec, s[4:5]
	s_and_b64 s[0:1], s[0:1], s[22:23]
	s_and_saveexec_b64 s[2:3], s[0:1]
	s_cbranch_execz .LBB1627_131
.LBB1627_213:
	v_add_co_u32_e32 v0, vcc, v1, v18
	s_waitcnt lgkmcnt(1)
	v_mov_b32_e32 v2, 0
	v_addc_co_u32_e32 v1, vcc, 0, v16, vcc
	global_store_dwordx2 v2, v[0:1], s[20:21]
	s_endpgm
	.section	.rodata,"a",@progbits
	.p2align	6, 0x0
	.amdhsa_kernel _ZN7rocprim17ROCPRIM_400000_NS6detail17trampoline_kernelINS0_13select_configILj256ELj13ELNS0_17block_load_methodE3ELS4_3ELS4_3ELNS0_20block_scan_algorithmE0ELj4294967295EEENS1_25partition_config_selectorILNS1_17partition_subalgoE3EjNS0_10empty_typeEbEEZZNS1_14partition_implILS8_3ELb0ES6_jNS0_17counting_iteratorIjlEEPS9_SE_NS0_5tupleIJPjSE_EEENSF_IJSE_SE_EEES9_SG_JZNS1_25segmented_radix_sort_implINS0_14default_configELb0EPKbPbPKlPlN2at6native12_GLOBAL__N_18offset_tEEE10hipError_tPvRmT1_PNSt15iterator_traitsISY_E10value_typeET2_T3_PNSZ_IS14_E10value_typeET4_jRbjT5_S1A_jjP12ihipStream_tbEUljE_EEESV_SW_SX_S14_S18_S1A_T6_T7_T9_mT8_S1C_bDpT10_ENKUlT_T0_E_clISt17integral_constantIbLb0EES1O_IbLb1EEEEDaS1K_S1L_EUlS1K_E_NS1_11comp_targetILNS1_3genE4ELNS1_11target_archE910ELNS1_3gpuE8ELNS1_3repE0EEENS1_30default_config_static_selectorELNS0_4arch9wavefront6targetE1EEEvSY_
		.amdhsa_group_segment_fixed_size 13324
		.amdhsa_private_segment_fixed_size 0
		.amdhsa_kernarg_size 152
		.amdhsa_user_sgpr_count 6
		.amdhsa_user_sgpr_private_segment_buffer 1
		.amdhsa_user_sgpr_dispatch_ptr 0
		.amdhsa_user_sgpr_queue_ptr 0
		.amdhsa_user_sgpr_kernarg_segment_ptr 1
		.amdhsa_user_sgpr_dispatch_id 0
		.amdhsa_user_sgpr_flat_scratch_init 0
		.amdhsa_user_sgpr_kernarg_preload_length 0
		.amdhsa_user_sgpr_kernarg_preload_offset 0
		.amdhsa_user_sgpr_private_segment_size 0
		.amdhsa_uses_dynamic_stack 0
		.amdhsa_system_sgpr_private_segment_wavefront_offset 0
		.amdhsa_system_sgpr_workgroup_id_x 1
		.amdhsa_system_sgpr_workgroup_id_y 0
		.amdhsa_system_sgpr_workgroup_id_z 0
		.amdhsa_system_sgpr_workgroup_info 0
		.amdhsa_system_vgpr_workitem_id 0
		.amdhsa_next_free_vgpr 64
		.amdhsa_next_free_sgpr 44
		.amdhsa_accum_offset 64
		.amdhsa_reserve_vcc 1
		.amdhsa_reserve_flat_scratch 0
		.amdhsa_float_round_mode_32 0
		.amdhsa_float_round_mode_16_64 0
		.amdhsa_float_denorm_mode_32 3
		.amdhsa_float_denorm_mode_16_64 3
		.amdhsa_dx10_clamp 1
		.amdhsa_ieee_mode 1
		.amdhsa_fp16_overflow 0
		.amdhsa_tg_split 0
		.amdhsa_exception_fp_ieee_invalid_op 0
		.amdhsa_exception_fp_denorm_src 0
		.amdhsa_exception_fp_ieee_div_zero 0
		.amdhsa_exception_fp_ieee_overflow 0
		.amdhsa_exception_fp_ieee_underflow 0
		.amdhsa_exception_fp_ieee_inexact 0
		.amdhsa_exception_int_div_zero 0
	.end_amdhsa_kernel
	.section	.text._ZN7rocprim17ROCPRIM_400000_NS6detail17trampoline_kernelINS0_13select_configILj256ELj13ELNS0_17block_load_methodE3ELS4_3ELS4_3ELNS0_20block_scan_algorithmE0ELj4294967295EEENS1_25partition_config_selectorILNS1_17partition_subalgoE3EjNS0_10empty_typeEbEEZZNS1_14partition_implILS8_3ELb0ES6_jNS0_17counting_iteratorIjlEEPS9_SE_NS0_5tupleIJPjSE_EEENSF_IJSE_SE_EEES9_SG_JZNS1_25segmented_radix_sort_implINS0_14default_configELb0EPKbPbPKlPlN2at6native12_GLOBAL__N_18offset_tEEE10hipError_tPvRmT1_PNSt15iterator_traitsISY_E10value_typeET2_T3_PNSZ_IS14_E10value_typeET4_jRbjT5_S1A_jjP12ihipStream_tbEUljE_EEESV_SW_SX_S14_S18_S1A_T6_T7_T9_mT8_S1C_bDpT10_ENKUlT_T0_E_clISt17integral_constantIbLb0EES1O_IbLb1EEEEDaS1K_S1L_EUlS1K_E_NS1_11comp_targetILNS1_3genE4ELNS1_11target_archE910ELNS1_3gpuE8ELNS1_3repE0EEENS1_30default_config_static_selectorELNS0_4arch9wavefront6targetE1EEEvSY_,"axG",@progbits,_ZN7rocprim17ROCPRIM_400000_NS6detail17trampoline_kernelINS0_13select_configILj256ELj13ELNS0_17block_load_methodE3ELS4_3ELS4_3ELNS0_20block_scan_algorithmE0ELj4294967295EEENS1_25partition_config_selectorILNS1_17partition_subalgoE3EjNS0_10empty_typeEbEEZZNS1_14partition_implILS8_3ELb0ES6_jNS0_17counting_iteratorIjlEEPS9_SE_NS0_5tupleIJPjSE_EEENSF_IJSE_SE_EEES9_SG_JZNS1_25segmented_radix_sort_implINS0_14default_configELb0EPKbPbPKlPlN2at6native12_GLOBAL__N_18offset_tEEE10hipError_tPvRmT1_PNSt15iterator_traitsISY_E10value_typeET2_T3_PNSZ_IS14_E10value_typeET4_jRbjT5_S1A_jjP12ihipStream_tbEUljE_EEESV_SW_SX_S14_S18_S1A_T6_T7_T9_mT8_S1C_bDpT10_ENKUlT_T0_E_clISt17integral_constantIbLb0EES1O_IbLb1EEEEDaS1K_S1L_EUlS1K_E_NS1_11comp_targetILNS1_3genE4ELNS1_11target_archE910ELNS1_3gpuE8ELNS1_3repE0EEENS1_30default_config_static_selectorELNS0_4arch9wavefront6targetE1EEEvSY_,comdat
.Lfunc_end1627:
	.size	_ZN7rocprim17ROCPRIM_400000_NS6detail17trampoline_kernelINS0_13select_configILj256ELj13ELNS0_17block_load_methodE3ELS4_3ELS4_3ELNS0_20block_scan_algorithmE0ELj4294967295EEENS1_25partition_config_selectorILNS1_17partition_subalgoE3EjNS0_10empty_typeEbEEZZNS1_14partition_implILS8_3ELb0ES6_jNS0_17counting_iteratorIjlEEPS9_SE_NS0_5tupleIJPjSE_EEENSF_IJSE_SE_EEES9_SG_JZNS1_25segmented_radix_sort_implINS0_14default_configELb0EPKbPbPKlPlN2at6native12_GLOBAL__N_18offset_tEEE10hipError_tPvRmT1_PNSt15iterator_traitsISY_E10value_typeET2_T3_PNSZ_IS14_E10value_typeET4_jRbjT5_S1A_jjP12ihipStream_tbEUljE_EEESV_SW_SX_S14_S18_S1A_T6_T7_T9_mT8_S1C_bDpT10_ENKUlT_T0_E_clISt17integral_constantIbLb0EES1O_IbLb1EEEEDaS1K_S1L_EUlS1K_E_NS1_11comp_targetILNS1_3genE4ELNS1_11target_archE910ELNS1_3gpuE8ELNS1_3repE0EEENS1_30default_config_static_selectorELNS0_4arch9wavefront6targetE1EEEvSY_, .Lfunc_end1627-_ZN7rocprim17ROCPRIM_400000_NS6detail17trampoline_kernelINS0_13select_configILj256ELj13ELNS0_17block_load_methodE3ELS4_3ELS4_3ELNS0_20block_scan_algorithmE0ELj4294967295EEENS1_25partition_config_selectorILNS1_17partition_subalgoE3EjNS0_10empty_typeEbEEZZNS1_14partition_implILS8_3ELb0ES6_jNS0_17counting_iteratorIjlEEPS9_SE_NS0_5tupleIJPjSE_EEENSF_IJSE_SE_EEES9_SG_JZNS1_25segmented_radix_sort_implINS0_14default_configELb0EPKbPbPKlPlN2at6native12_GLOBAL__N_18offset_tEEE10hipError_tPvRmT1_PNSt15iterator_traitsISY_E10value_typeET2_T3_PNSZ_IS14_E10value_typeET4_jRbjT5_S1A_jjP12ihipStream_tbEUljE_EEESV_SW_SX_S14_S18_S1A_T6_T7_T9_mT8_S1C_bDpT10_ENKUlT_T0_E_clISt17integral_constantIbLb0EES1O_IbLb1EEEEDaS1K_S1L_EUlS1K_E_NS1_11comp_targetILNS1_3genE4ELNS1_11target_archE910ELNS1_3gpuE8ELNS1_3repE0EEENS1_30default_config_static_selectorELNS0_4arch9wavefront6targetE1EEEvSY_
                                        ; -- End function
	.section	.AMDGPU.csdata,"",@progbits
; Kernel info:
; codeLenInByte = 7816
; NumSgprs: 48
; NumVgprs: 64
; NumAgprs: 0
; TotalNumVgprs: 64
; ScratchSize: 0
; MemoryBound: 0
; FloatMode: 240
; IeeeMode: 1
; LDSByteSize: 13324 bytes/workgroup (compile time only)
; SGPRBlocks: 5
; VGPRBlocks: 7
; NumSGPRsForWavesPerEU: 48
; NumVGPRsForWavesPerEU: 64
; AccumOffset: 64
; Occupancy: 4
; WaveLimiterHint : 0
; COMPUTE_PGM_RSRC2:SCRATCH_EN: 0
; COMPUTE_PGM_RSRC2:USER_SGPR: 6
; COMPUTE_PGM_RSRC2:TRAP_HANDLER: 0
; COMPUTE_PGM_RSRC2:TGID_X_EN: 1
; COMPUTE_PGM_RSRC2:TGID_Y_EN: 0
; COMPUTE_PGM_RSRC2:TGID_Z_EN: 0
; COMPUTE_PGM_RSRC2:TIDIG_COMP_CNT: 0
; COMPUTE_PGM_RSRC3_GFX90A:ACCUM_OFFSET: 15
; COMPUTE_PGM_RSRC3_GFX90A:TG_SPLIT: 0
	.section	.text._ZN7rocprim17ROCPRIM_400000_NS6detail17trampoline_kernelINS0_13select_configILj256ELj13ELNS0_17block_load_methodE3ELS4_3ELS4_3ELNS0_20block_scan_algorithmE0ELj4294967295EEENS1_25partition_config_selectorILNS1_17partition_subalgoE3EjNS0_10empty_typeEbEEZZNS1_14partition_implILS8_3ELb0ES6_jNS0_17counting_iteratorIjlEEPS9_SE_NS0_5tupleIJPjSE_EEENSF_IJSE_SE_EEES9_SG_JZNS1_25segmented_radix_sort_implINS0_14default_configELb0EPKbPbPKlPlN2at6native12_GLOBAL__N_18offset_tEEE10hipError_tPvRmT1_PNSt15iterator_traitsISY_E10value_typeET2_T3_PNSZ_IS14_E10value_typeET4_jRbjT5_S1A_jjP12ihipStream_tbEUljE_EEESV_SW_SX_S14_S18_S1A_T6_T7_T9_mT8_S1C_bDpT10_ENKUlT_T0_E_clISt17integral_constantIbLb0EES1O_IbLb1EEEEDaS1K_S1L_EUlS1K_E_NS1_11comp_targetILNS1_3genE3ELNS1_11target_archE908ELNS1_3gpuE7ELNS1_3repE0EEENS1_30default_config_static_selectorELNS0_4arch9wavefront6targetE1EEEvSY_,"axG",@progbits,_ZN7rocprim17ROCPRIM_400000_NS6detail17trampoline_kernelINS0_13select_configILj256ELj13ELNS0_17block_load_methodE3ELS4_3ELS4_3ELNS0_20block_scan_algorithmE0ELj4294967295EEENS1_25partition_config_selectorILNS1_17partition_subalgoE3EjNS0_10empty_typeEbEEZZNS1_14partition_implILS8_3ELb0ES6_jNS0_17counting_iteratorIjlEEPS9_SE_NS0_5tupleIJPjSE_EEENSF_IJSE_SE_EEES9_SG_JZNS1_25segmented_radix_sort_implINS0_14default_configELb0EPKbPbPKlPlN2at6native12_GLOBAL__N_18offset_tEEE10hipError_tPvRmT1_PNSt15iterator_traitsISY_E10value_typeET2_T3_PNSZ_IS14_E10value_typeET4_jRbjT5_S1A_jjP12ihipStream_tbEUljE_EEESV_SW_SX_S14_S18_S1A_T6_T7_T9_mT8_S1C_bDpT10_ENKUlT_T0_E_clISt17integral_constantIbLb0EES1O_IbLb1EEEEDaS1K_S1L_EUlS1K_E_NS1_11comp_targetILNS1_3genE3ELNS1_11target_archE908ELNS1_3gpuE7ELNS1_3repE0EEENS1_30default_config_static_selectorELNS0_4arch9wavefront6targetE1EEEvSY_,comdat
	.globl	_ZN7rocprim17ROCPRIM_400000_NS6detail17trampoline_kernelINS0_13select_configILj256ELj13ELNS0_17block_load_methodE3ELS4_3ELS4_3ELNS0_20block_scan_algorithmE0ELj4294967295EEENS1_25partition_config_selectorILNS1_17partition_subalgoE3EjNS0_10empty_typeEbEEZZNS1_14partition_implILS8_3ELb0ES6_jNS0_17counting_iteratorIjlEEPS9_SE_NS0_5tupleIJPjSE_EEENSF_IJSE_SE_EEES9_SG_JZNS1_25segmented_radix_sort_implINS0_14default_configELb0EPKbPbPKlPlN2at6native12_GLOBAL__N_18offset_tEEE10hipError_tPvRmT1_PNSt15iterator_traitsISY_E10value_typeET2_T3_PNSZ_IS14_E10value_typeET4_jRbjT5_S1A_jjP12ihipStream_tbEUljE_EEESV_SW_SX_S14_S18_S1A_T6_T7_T9_mT8_S1C_bDpT10_ENKUlT_T0_E_clISt17integral_constantIbLb0EES1O_IbLb1EEEEDaS1K_S1L_EUlS1K_E_NS1_11comp_targetILNS1_3genE3ELNS1_11target_archE908ELNS1_3gpuE7ELNS1_3repE0EEENS1_30default_config_static_selectorELNS0_4arch9wavefront6targetE1EEEvSY_ ; -- Begin function _ZN7rocprim17ROCPRIM_400000_NS6detail17trampoline_kernelINS0_13select_configILj256ELj13ELNS0_17block_load_methodE3ELS4_3ELS4_3ELNS0_20block_scan_algorithmE0ELj4294967295EEENS1_25partition_config_selectorILNS1_17partition_subalgoE3EjNS0_10empty_typeEbEEZZNS1_14partition_implILS8_3ELb0ES6_jNS0_17counting_iteratorIjlEEPS9_SE_NS0_5tupleIJPjSE_EEENSF_IJSE_SE_EEES9_SG_JZNS1_25segmented_radix_sort_implINS0_14default_configELb0EPKbPbPKlPlN2at6native12_GLOBAL__N_18offset_tEEE10hipError_tPvRmT1_PNSt15iterator_traitsISY_E10value_typeET2_T3_PNSZ_IS14_E10value_typeET4_jRbjT5_S1A_jjP12ihipStream_tbEUljE_EEESV_SW_SX_S14_S18_S1A_T6_T7_T9_mT8_S1C_bDpT10_ENKUlT_T0_E_clISt17integral_constantIbLb0EES1O_IbLb1EEEEDaS1K_S1L_EUlS1K_E_NS1_11comp_targetILNS1_3genE3ELNS1_11target_archE908ELNS1_3gpuE7ELNS1_3repE0EEENS1_30default_config_static_selectorELNS0_4arch9wavefront6targetE1EEEvSY_
	.p2align	8
	.type	_ZN7rocprim17ROCPRIM_400000_NS6detail17trampoline_kernelINS0_13select_configILj256ELj13ELNS0_17block_load_methodE3ELS4_3ELS4_3ELNS0_20block_scan_algorithmE0ELj4294967295EEENS1_25partition_config_selectorILNS1_17partition_subalgoE3EjNS0_10empty_typeEbEEZZNS1_14partition_implILS8_3ELb0ES6_jNS0_17counting_iteratorIjlEEPS9_SE_NS0_5tupleIJPjSE_EEENSF_IJSE_SE_EEES9_SG_JZNS1_25segmented_radix_sort_implINS0_14default_configELb0EPKbPbPKlPlN2at6native12_GLOBAL__N_18offset_tEEE10hipError_tPvRmT1_PNSt15iterator_traitsISY_E10value_typeET2_T3_PNSZ_IS14_E10value_typeET4_jRbjT5_S1A_jjP12ihipStream_tbEUljE_EEESV_SW_SX_S14_S18_S1A_T6_T7_T9_mT8_S1C_bDpT10_ENKUlT_T0_E_clISt17integral_constantIbLb0EES1O_IbLb1EEEEDaS1K_S1L_EUlS1K_E_NS1_11comp_targetILNS1_3genE3ELNS1_11target_archE908ELNS1_3gpuE7ELNS1_3repE0EEENS1_30default_config_static_selectorELNS0_4arch9wavefront6targetE1EEEvSY_,@function
_ZN7rocprim17ROCPRIM_400000_NS6detail17trampoline_kernelINS0_13select_configILj256ELj13ELNS0_17block_load_methodE3ELS4_3ELS4_3ELNS0_20block_scan_algorithmE0ELj4294967295EEENS1_25partition_config_selectorILNS1_17partition_subalgoE3EjNS0_10empty_typeEbEEZZNS1_14partition_implILS8_3ELb0ES6_jNS0_17counting_iteratorIjlEEPS9_SE_NS0_5tupleIJPjSE_EEENSF_IJSE_SE_EEES9_SG_JZNS1_25segmented_radix_sort_implINS0_14default_configELb0EPKbPbPKlPlN2at6native12_GLOBAL__N_18offset_tEEE10hipError_tPvRmT1_PNSt15iterator_traitsISY_E10value_typeET2_T3_PNSZ_IS14_E10value_typeET4_jRbjT5_S1A_jjP12ihipStream_tbEUljE_EEESV_SW_SX_S14_S18_S1A_T6_T7_T9_mT8_S1C_bDpT10_ENKUlT_T0_E_clISt17integral_constantIbLb0EES1O_IbLb1EEEEDaS1K_S1L_EUlS1K_E_NS1_11comp_targetILNS1_3genE3ELNS1_11target_archE908ELNS1_3gpuE7ELNS1_3repE0EEENS1_30default_config_static_selectorELNS0_4arch9wavefront6targetE1EEEvSY_: ; @_ZN7rocprim17ROCPRIM_400000_NS6detail17trampoline_kernelINS0_13select_configILj256ELj13ELNS0_17block_load_methodE3ELS4_3ELS4_3ELNS0_20block_scan_algorithmE0ELj4294967295EEENS1_25partition_config_selectorILNS1_17partition_subalgoE3EjNS0_10empty_typeEbEEZZNS1_14partition_implILS8_3ELb0ES6_jNS0_17counting_iteratorIjlEEPS9_SE_NS0_5tupleIJPjSE_EEENSF_IJSE_SE_EEES9_SG_JZNS1_25segmented_radix_sort_implINS0_14default_configELb0EPKbPbPKlPlN2at6native12_GLOBAL__N_18offset_tEEE10hipError_tPvRmT1_PNSt15iterator_traitsISY_E10value_typeET2_T3_PNSZ_IS14_E10value_typeET4_jRbjT5_S1A_jjP12ihipStream_tbEUljE_EEESV_SW_SX_S14_S18_S1A_T6_T7_T9_mT8_S1C_bDpT10_ENKUlT_T0_E_clISt17integral_constantIbLb0EES1O_IbLb1EEEEDaS1K_S1L_EUlS1K_E_NS1_11comp_targetILNS1_3genE3ELNS1_11target_archE908ELNS1_3gpuE7ELNS1_3repE0EEENS1_30default_config_static_selectorELNS0_4arch9wavefront6targetE1EEEvSY_
; %bb.0:
	.section	.rodata,"a",@progbits
	.p2align	6, 0x0
	.amdhsa_kernel _ZN7rocprim17ROCPRIM_400000_NS6detail17trampoline_kernelINS0_13select_configILj256ELj13ELNS0_17block_load_methodE3ELS4_3ELS4_3ELNS0_20block_scan_algorithmE0ELj4294967295EEENS1_25partition_config_selectorILNS1_17partition_subalgoE3EjNS0_10empty_typeEbEEZZNS1_14partition_implILS8_3ELb0ES6_jNS0_17counting_iteratorIjlEEPS9_SE_NS0_5tupleIJPjSE_EEENSF_IJSE_SE_EEES9_SG_JZNS1_25segmented_radix_sort_implINS0_14default_configELb0EPKbPbPKlPlN2at6native12_GLOBAL__N_18offset_tEEE10hipError_tPvRmT1_PNSt15iterator_traitsISY_E10value_typeET2_T3_PNSZ_IS14_E10value_typeET4_jRbjT5_S1A_jjP12ihipStream_tbEUljE_EEESV_SW_SX_S14_S18_S1A_T6_T7_T9_mT8_S1C_bDpT10_ENKUlT_T0_E_clISt17integral_constantIbLb0EES1O_IbLb1EEEEDaS1K_S1L_EUlS1K_E_NS1_11comp_targetILNS1_3genE3ELNS1_11target_archE908ELNS1_3gpuE7ELNS1_3repE0EEENS1_30default_config_static_selectorELNS0_4arch9wavefront6targetE1EEEvSY_
		.amdhsa_group_segment_fixed_size 0
		.amdhsa_private_segment_fixed_size 0
		.amdhsa_kernarg_size 152
		.amdhsa_user_sgpr_count 6
		.amdhsa_user_sgpr_private_segment_buffer 1
		.amdhsa_user_sgpr_dispatch_ptr 0
		.amdhsa_user_sgpr_queue_ptr 0
		.amdhsa_user_sgpr_kernarg_segment_ptr 1
		.amdhsa_user_sgpr_dispatch_id 0
		.amdhsa_user_sgpr_flat_scratch_init 0
		.amdhsa_user_sgpr_kernarg_preload_length 0
		.amdhsa_user_sgpr_kernarg_preload_offset 0
		.amdhsa_user_sgpr_private_segment_size 0
		.amdhsa_uses_dynamic_stack 0
		.amdhsa_system_sgpr_private_segment_wavefront_offset 0
		.amdhsa_system_sgpr_workgroup_id_x 1
		.amdhsa_system_sgpr_workgroup_id_y 0
		.amdhsa_system_sgpr_workgroup_id_z 0
		.amdhsa_system_sgpr_workgroup_info 0
		.amdhsa_system_vgpr_workitem_id 0
		.amdhsa_next_free_vgpr 1
		.amdhsa_next_free_sgpr 0
		.amdhsa_accum_offset 4
		.amdhsa_reserve_vcc 0
		.amdhsa_reserve_flat_scratch 0
		.amdhsa_float_round_mode_32 0
		.amdhsa_float_round_mode_16_64 0
		.amdhsa_float_denorm_mode_32 3
		.amdhsa_float_denorm_mode_16_64 3
		.amdhsa_dx10_clamp 1
		.amdhsa_ieee_mode 1
		.amdhsa_fp16_overflow 0
		.amdhsa_tg_split 0
		.amdhsa_exception_fp_ieee_invalid_op 0
		.amdhsa_exception_fp_denorm_src 0
		.amdhsa_exception_fp_ieee_div_zero 0
		.amdhsa_exception_fp_ieee_overflow 0
		.amdhsa_exception_fp_ieee_underflow 0
		.amdhsa_exception_fp_ieee_inexact 0
		.amdhsa_exception_int_div_zero 0
	.end_amdhsa_kernel
	.section	.text._ZN7rocprim17ROCPRIM_400000_NS6detail17trampoline_kernelINS0_13select_configILj256ELj13ELNS0_17block_load_methodE3ELS4_3ELS4_3ELNS0_20block_scan_algorithmE0ELj4294967295EEENS1_25partition_config_selectorILNS1_17partition_subalgoE3EjNS0_10empty_typeEbEEZZNS1_14partition_implILS8_3ELb0ES6_jNS0_17counting_iteratorIjlEEPS9_SE_NS0_5tupleIJPjSE_EEENSF_IJSE_SE_EEES9_SG_JZNS1_25segmented_radix_sort_implINS0_14default_configELb0EPKbPbPKlPlN2at6native12_GLOBAL__N_18offset_tEEE10hipError_tPvRmT1_PNSt15iterator_traitsISY_E10value_typeET2_T3_PNSZ_IS14_E10value_typeET4_jRbjT5_S1A_jjP12ihipStream_tbEUljE_EEESV_SW_SX_S14_S18_S1A_T6_T7_T9_mT8_S1C_bDpT10_ENKUlT_T0_E_clISt17integral_constantIbLb0EES1O_IbLb1EEEEDaS1K_S1L_EUlS1K_E_NS1_11comp_targetILNS1_3genE3ELNS1_11target_archE908ELNS1_3gpuE7ELNS1_3repE0EEENS1_30default_config_static_selectorELNS0_4arch9wavefront6targetE1EEEvSY_,"axG",@progbits,_ZN7rocprim17ROCPRIM_400000_NS6detail17trampoline_kernelINS0_13select_configILj256ELj13ELNS0_17block_load_methodE3ELS4_3ELS4_3ELNS0_20block_scan_algorithmE0ELj4294967295EEENS1_25partition_config_selectorILNS1_17partition_subalgoE3EjNS0_10empty_typeEbEEZZNS1_14partition_implILS8_3ELb0ES6_jNS0_17counting_iteratorIjlEEPS9_SE_NS0_5tupleIJPjSE_EEENSF_IJSE_SE_EEES9_SG_JZNS1_25segmented_radix_sort_implINS0_14default_configELb0EPKbPbPKlPlN2at6native12_GLOBAL__N_18offset_tEEE10hipError_tPvRmT1_PNSt15iterator_traitsISY_E10value_typeET2_T3_PNSZ_IS14_E10value_typeET4_jRbjT5_S1A_jjP12ihipStream_tbEUljE_EEESV_SW_SX_S14_S18_S1A_T6_T7_T9_mT8_S1C_bDpT10_ENKUlT_T0_E_clISt17integral_constantIbLb0EES1O_IbLb1EEEEDaS1K_S1L_EUlS1K_E_NS1_11comp_targetILNS1_3genE3ELNS1_11target_archE908ELNS1_3gpuE7ELNS1_3repE0EEENS1_30default_config_static_selectorELNS0_4arch9wavefront6targetE1EEEvSY_,comdat
.Lfunc_end1628:
	.size	_ZN7rocprim17ROCPRIM_400000_NS6detail17trampoline_kernelINS0_13select_configILj256ELj13ELNS0_17block_load_methodE3ELS4_3ELS4_3ELNS0_20block_scan_algorithmE0ELj4294967295EEENS1_25partition_config_selectorILNS1_17partition_subalgoE3EjNS0_10empty_typeEbEEZZNS1_14partition_implILS8_3ELb0ES6_jNS0_17counting_iteratorIjlEEPS9_SE_NS0_5tupleIJPjSE_EEENSF_IJSE_SE_EEES9_SG_JZNS1_25segmented_radix_sort_implINS0_14default_configELb0EPKbPbPKlPlN2at6native12_GLOBAL__N_18offset_tEEE10hipError_tPvRmT1_PNSt15iterator_traitsISY_E10value_typeET2_T3_PNSZ_IS14_E10value_typeET4_jRbjT5_S1A_jjP12ihipStream_tbEUljE_EEESV_SW_SX_S14_S18_S1A_T6_T7_T9_mT8_S1C_bDpT10_ENKUlT_T0_E_clISt17integral_constantIbLb0EES1O_IbLb1EEEEDaS1K_S1L_EUlS1K_E_NS1_11comp_targetILNS1_3genE3ELNS1_11target_archE908ELNS1_3gpuE7ELNS1_3repE0EEENS1_30default_config_static_selectorELNS0_4arch9wavefront6targetE1EEEvSY_, .Lfunc_end1628-_ZN7rocprim17ROCPRIM_400000_NS6detail17trampoline_kernelINS0_13select_configILj256ELj13ELNS0_17block_load_methodE3ELS4_3ELS4_3ELNS0_20block_scan_algorithmE0ELj4294967295EEENS1_25partition_config_selectorILNS1_17partition_subalgoE3EjNS0_10empty_typeEbEEZZNS1_14partition_implILS8_3ELb0ES6_jNS0_17counting_iteratorIjlEEPS9_SE_NS0_5tupleIJPjSE_EEENSF_IJSE_SE_EEES9_SG_JZNS1_25segmented_radix_sort_implINS0_14default_configELb0EPKbPbPKlPlN2at6native12_GLOBAL__N_18offset_tEEE10hipError_tPvRmT1_PNSt15iterator_traitsISY_E10value_typeET2_T3_PNSZ_IS14_E10value_typeET4_jRbjT5_S1A_jjP12ihipStream_tbEUljE_EEESV_SW_SX_S14_S18_S1A_T6_T7_T9_mT8_S1C_bDpT10_ENKUlT_T0_E_clISt17integral_constantIbLb0EES1O_IbLb1EEEEDaS1K_S1L_EUlS1K_E_NS1_11comp_targetILNS1_3genE3ELNS1_11target_archE908ELNS1_3gpuE7ELNS1_3repE0EEENS1_30default_config_static_selectorELNS0_4arch9wavefront6targetE1EEEvSY_
                                        ; -- End function
	.section	.AMDGPU.csdata,"",@progbits
; Kernel info:
; codeLenInByte = 0
; NumSgprs: 4
; NumVgprs: 0
; NumAgprs: 0
; TotalNumVgprs: 0
; ScratchSize: 0
; MemoryBound: 0
; FloatMode: 240
; IeeeMode: 1
; LDSByteSize: 0 bytes/workgroup (compile time only)
; SGPRBlocks: 0
; VGPRBlocks: 0
; NumSGPRsForWavesPerEU: 4
; NumVGPRsForWavesPerEU: 1
; AccumOffset: 4
; Occupancy: 8
; WaveLimiterHint : 0
; COMPUTE_PGM_RSRC2:SCRATCH_EN: 0
; COMPUTE_PGM_RSRC2:USER_SGPR: 6
; COMPUTE_PGM_RSRC2:TRAP_HANDLER: 0
; COMPUTE_PGM_RSRC2:TGID_X_EN: 1
; COMPUTE_PGM_RSRC2:TGID_Y_EN: 0
; COMPUTE_PGM_RSRC2:TGID_Z_EN: 0
; COMPUTE_PGM_RSRC2:TIDIG_COMP_CNT: 0
; COMPUTE_PGM_RSRC3_GFX90A:ACCUM_OFFSET: 0
; COMPUTE_PGM_RSRC3_GFX90A:TG_SPLIT: 0
	.section	.text._ZN7rocprim17ROCPRIM_400000_NS6detail17trampoline_kernelINS0_13select_configILj256ELj13ELNS0_17block_load_methodE3ELS4_3ELS4_3ELNS0_20block_scan_algorithmE0ELj4294967295EEENS1_25partition_config_selectorILNS1_17partition_subalgoE3EjNS0_10empty_typeEbEEZZNS1_14partition_implILS8_3ELb0ES6_jNS0_17counting_iteratorIjlEEPS9_SE_NS0_5tupleIJPjSE_EEENSF_IJSE_SE_EEES9_SG_JZNS1_25segmented_radix_sort_implINS0_14default_configELb0EPKbPbPKlPlN2at6native12_GLOBAL__N_18offset_tEEE10hipError_tPvRmT1_PNSt15iterator_traitsISY_E10value_typeET2_T3_PNSZ_IS14_E10value_typeET4_jRbjT5_S1A_jjP12ihipStream_tbEUljE_EEESV_SW_SX_S14_S18_S1A_T6_T7_T9_mT8_S1C_bDpT10_ENKUlT_T0_E_clISt17integral_constantIbLb0EES1O_IbLb1EEEEDaS1K_S1L_EUlS1K_E_NS1_11comp_targetILNS1_3genE2ELNS1_11target_archE906ELNS1_3gpuE6ELNS1_3repE0EEENS1_30default_config_static_selectorELNS0_4arch9wavefront6targetE1EEEvSY_,"axG",@progbits,_ZN7rocprim17ROCPRIM_400000_NS6detail17trampoline_kernelINS0_13select_configILj256ELj13ELNS0_17block_load_methodE3ELS4_3ELS4_3ELNS0_20block_scan_algorithmE0ELj4294967295EEENS1_25partition_config_selectorILNS1_17partition_subalgoE3EjNS0_10empty_typeEbEEZZNS1_14partition_implILS8_3ELb0ES6_jNS0_17counting_iteratorIjlEEPS9_SE_NS0_5tupleIJPjSE_EEENSF_IJSE_SE_EEES9_SG_JZNS1_25segmented_radix_sort_implINS0_14default_configELb0EPKbPbPKlPlN2at6native12_GLOBAL__N_18offset_tEEE10hipError_tPvRmT1_PNSt15iterator_traitsISY_E10value_typeET2_T3_PNSZ_IS14_E10value_typeET4_jRbjT5_S1A_jjP12ihipStream_tbEUljE_EEESV_SW_SX_S14_S18_S1A_T6_T7_T9_mT8_S1C_bDpT10_ENKUlT_T0_E_clISt17integral_constantIbLb0EES1O_IbLb1EEEEDaS1K_S1L_EUlS1K_E_NS1_11comp_targetILNS1_3genE2ELNS1_11target_archE906ELNS1_3gpuE6ELNS1_3repE0EEENS1_30default_config_static_selectorELNS0_4arch9wavefront6targetE1EEEvSY_,comdat
	.globl	_ZN7rocprim17ROCPRIM_400000_NS6detail17trampoline_kernelINS0_13select_configILj256ELj13ELNS0_17block_load_methodE3ELS4_3ELS4_3ELNS0_20block_scan_algorithmE0ELj4294967295EEENS1_25partition_config_selectorILNS1_17partition_subalgoE3EjNS0_10empty_typeEbEEZZNS1_14partition_implILS8_3ELb0ES6_jNS0_17counting_iteratorIjlEEPS9_SE_NS0_5tupleIJPjSE_EEENSF_IJSE_SE_EEES9_SG_JZNS1_25segmented_radix_sort_implINS0_14default_configELb0EPKbPbPKlPlN2at6native12_GLOBAL__N_18offset_tEEE10hipError_tPvRmT1_PNSt15iterator_traitsISY_E10value_typeET2_T3_PNSZ_IS14_E10value_typeET4_jRbjT5_S1A_jjP12ihipStream_tbEUljE_EEESV_SW_SX_S14_S18_S1A_T6_T7_T9_mT8_S1C_bDpT10_ENKUlT_T0_E_clISt17integral_constantIbLb0EES1O_IbLb1EEEEDaS1K_S1L_EUlS1K_E_NS1_11comp_targetILNS1_3genE2ELNS1_11target_archE906ELNS1_3gpuE6ELNS1_3repE0EEENS1_30default_config_static_selectorELNS0_4arch9wavefront6targetE1EEEvSY_ ; -- Begin function _ZN7rocprim17ROCPRIM_400000_NS6detail17trampoline_kernelINS0_13select_configILj256ELj13ELNS0_17block_load_methodE3ELS4_3ELS4_3ELNS0_20block_scan_algorithmE0ELj4294967295EEENS1_25partition_config_selectorILNS1_17partition_subalgoE3EjNS0_10empty_typeEbEEZZNS1_14partition_implILS8_3ELb0ES6_jNS0_17counting_iteratorIjlEEPS9_SE_NS0_5tupleIJPjSE_EEENSF_IJSE_SE_EEES9_SG_JZNS1_25segmented_radix_sort_implINS0_14default_configELb0EPKbPbPKlPlN2at6native12_GLOBAL__N_18offset_tEEE10hipError_tPvRmT1_PNSt15iterator_traitsISY_E10value_typeET2_T3_PNSZ_IS14_E10value_typeET4_jRbjT5_S1A_jjP12ihipStream_tbEUljE_EEESV_SW_SX_S14_S18_S1A_T6_T7_T9_mT8_S1C_bDpT10_ENKUlT_T0_E_clISt17integral_constantIbLb0EES1O_IbLb1EEEEDaS1K_S1L_EUlS1K_E_NS1_11comp_targetILNS1_3genE2ELNS1_11target_archE906ELNS1_3gpuE6ELNS1_3repE0EEENS1_30default_config_static_selectorELNS0_4arch9wavefront6targetE1EEEvSY_
	.p2align	8
	.type	_ZN7rocprim17ROCPRIM_400000_NS6detail17trampoline_kernelINS0_13select_configILj256ELj13ELNS0_17block_load_methodE3ELS4_3ELS4_3ELNS0_20block_scan_algorithmE0ELj4294967295EEENS1_25partition_config_selectorILNS1_17partition_subalgoE3EjNS0_10empty_typeEbEEZZNS1_14partition_implILS8_3ELb0ES6_jNS0_17counting_iteratorIjlEEPS9_SE_NS0_5tupleIJPjSE_EEENSF_IJSE_SE_EEES9_SG_JZNS1_25segmented_radix_sort_implINS0_14default_configELb0EPKbPbPKlPlN2at6native12_GLOBAL__N_18offset_tEEE10hipError_tPvRmT1_PNSt15iterator_traitsISY_E10value_typeET2_T3_PNSZ_IS14_E10value_typeET4_jRbjT5_S1A_jjP12ihipStream_tbEUljE_EEESV_SW_SX_S14_S18_S1A_T6_T7_T9_mT8_S1C_bDpT10_ENKUlT_T0_E_clISt17integral_constantIbLb0EES1O_IbLb1EEEEDaS1K_S1L_EUlS1K_E_NS1_11comp_targetILNS1_3genE2ELNS1_11target_archE906ELNS1_3gpuE6ELNS1_3repE0EEENS1_30default_config_static_selectorELNS0_4arch9wavefront6targetE1EEEvSY_,@function
_ZN7rocprim17ROCPRIM_400000_NS6detail17trampoline_kernelINS0_13select_configILj256ELj13ELNS0_17block_load_methodE3ELS4_3ELS4_3ELNS0_20block_scan_algorithmE0ELj4294967295EEENS1_25partition_config_selectorILNS1_17partition_subalgoE3EjNS0_10empty_typeEbEEZZNS1_14partition_implILS8_3ELb0ES6_jNS0_17counting_iteratorIjlEEPS9_SE_NS0_5tupleIJPjSE_EEENSF_IJSE_SE_EEES9_SG_JZNS1_25segmented_radix_sort_implINS0_14default_configELb0EPKbPbPKlPlN2at6native12_GLOBAL__N_18offset_tEEE10hipError_tPvRmT1_PNSt15iterator_traitsISY_E10value_typeET2_T3_PNSZ_IS14_E10value_typeET4_jRbjT5_S1A_jjP12ihipStream_tbEUljE_EEESV_SW_SX_S14_S18_S1A_T6_T7_T9_mT8_S1C_bDpT10_ENKUlT_T0_E_clISt17integral_constantIbLb0EES1O_IbLb1EEEEDaS1K_S1L_EUlS1K_E_NS1_11comp_targetILNS1_3genE2ELNS1_11target_archE906ELNS1_3gpuE6ELNS1_3repE0EEENS1_30default_config_static_selectorELNS0_4arch9wavefront6targetE1EEEvSY_: ; @_ZN7rocprim17ROCPRIM_400000_NS6detail17trampoline_kernelINS0_13select_configILj256ELj13ELNS0_17block_load_methodE3ELS4_3ELS4_3ELNS0_20block_scan_algorithmE0ELj4294967295EEENS1_25partition_config_selectorILNS1_17partition_subalgoE3EjNS0_10empty_typeEbEEZZNS1_14partition_implILS8_3ELb0ES6_jNS0_17counting_iteratorIjlEEPS9_SE_NS0_5tupleIJPjSE_EEENSF_IJSE_SE_EEES9_SG_JZNS1_25segmented_radix_sort_implINS0_14default_configELb0EPKbPbPKlPlN2at6native12_GLOBAL__N_18offset_tEEE10hipError_tPvRmT1_PNSt15iterator_traitsISY_E10value_typeET2_T3_PNSZ_IS14_E10value_typeET4_jRbjT5_S1A_jjP12ihipStream_tbEUljE_EEESV_SW_SX_S14_S18_S1A_T6_T7_T9_mT8_S1C_bDpT10_ENKUlT_T0_E_clISt17integral_constantIbLb0EES1O_IbLb1EEEEDaS1K_S1L_EUlS1K_E_NS1_11comp_targetILNS1_3genE2ELNS1_11target_archE906ELNS1_3gpuE6ELNS1_3repE0EEENS1_30default_config_static_selectorELNS0_4arch9wavefront6targetE1EEEvSY_
; %bb.0:
	.section	.rodata,"a",@progbits
	.p2align	6, 0x0
	.amdhsa_kernel _ZN7rocprim17ROCPRIM_400000_NS6detail17trampoline_kernelINS0_13select_configILj256ELj13ELNS0_17block_load_methodE3ELS4_3ELS4_3ELNS0_20block_scan_algorithmE0ELj4294967295EEENS1_25partition_config_selectorILNS1_17partition_subalgoE3EjNS0_10empty_typeEbEEZZNS1_14partition_implILS8_3ELb0ES6_jNS0_17counting_iteratorIjlEEPS9_SE_NS0_5tupleIJPjSE_EEENSF_IJSE_SE_EEES9_SG_JZNS1_25segmented_radix_sort_implINS0_14default_configELb0EPKbPbPKlPlN2at6native12_GLOBAL__N_18offset_tEEE10hipError_tPvRmT1_PNSt15iterator_traitsISY_E10value_typeET2_T3_PNSZ_IS14_E10value_typeET4_jRbjT5_S1A_jjP12ihipStream_tbEUljE_EEESV_SW_SX_S14_S18_S1A_T6_T7_T9_mT8_S1C_bDpT10_ENKUlT_T0_E_clISt17integral_constantIbLb0EES1O_IbLb1EEEEDaS1K_S1L_EUlS1K_E_NS1_11comp_targetILNS1_3genE2ELNS1_11target_archE906ELNS1_3gpuE6ELNS1_3repE0EEENS1_30default_config_static_selectorELNS0_4arch9wavefront6targetE1EEEvSY_
		.amdhsa_group_segment_fixed_size 0
		.amdhsa_private_segment_fixed_size 0
		.amdhsa_kernarg_size 152
		.amdhsa_user_sgpr_count 6
		.amdhsa_user_sgpr_private_segment_buffer 1
		.amdhsa_user_sgpr_dispatch_ptr 0
		.amdhsa_user_sgpr_queue_ptr 0
		.amdhsa_user_sgpr_kernarg_segment_ptr 1
		.amdhsa_user_sgpr_dispatch_id 0
		.amdhsa_user_sgpr_flat_scratch_init 0
		.amdhsa_user_sgpr_kernarg_preload_length 0
		.amdhsa_user_sgpr_kernarg_preload_offset 0
		.amdhsa_user_sgpr_private_segment_size 0
		.amdhsa_uses_dynamic_stack 0
		.amdhsa_system_sgpr_private_segment_wavefront_offset 0
		.amdhsa_system_sgpr_workgroup_id_x 1
		.amdhsa_system_sgpr_workgroup_id_y 0
		.amdhsa_system_sgpr_workgroup_id_z 0
		.amdhsa_system_sgpr_workgroup_info 0
		.amdhsa_system_vgpr_workitem_id 0
		.amdhsa_next_free_vgpr 1
		.amdhsa_next_free_sgpr 0
		.amdhsa_accum_offset 4
		.amdhsa_reserve_vcc 0
		.amdhsa_reserve_flat_scratch 0
		.amdhsa_float_round_mode_32 0
		.amdhsa_float_round_mode_16_64 0
		.amdhsa_float_denorm_mode_32 3
		.amdhsa_float_denorm_mode_16_64 3
		.amdhsa_dx10_clamp 1
		.amdhsa_ieee_mode 1
		.amdhsa_fp16_overflow 0
		.amdhsa_tg_split 0
		.amdhsa_exception_fp_ieee_invalid_op 0
		.amdhsa_exception_fp_denorm_src 0
		.amdhsa_exception_fp_ieee_div_zero 0
		.amdhsa_exception_fp_ieee_overflow 0
		.amdhsa_exception_fp_ieee_underflow 0
		.amdhsa_exception_fp_ieee_inexact 0
		.amdhsa_exception_int_div_zero 0
	.end_amdhsa_kernel
	.section	.text._ZN7rocprim17ROCPRIM_400000_NS6detail17trampoline_kernelINS0_13select_configILj256ELj13ELNS0_17block_load_methodE3ELS4_3ELS4_3ELNS0_20block_scan_algorithmE0ELj4294967295EEENS1_25partition_config_selectorILNS1_17partition_subalgoE3EjNS0_10empty_typeEbEEZZNS1_14partition_implILS8_3ELb0ES6_jNS0_17counting_iteratorIjlEEPS9_SE_NS0_5tupleIJPjSE_EEENSF_IJSE_SE_EEES9_SG_JZNS1_25segmented_radix_sort_implINS0_14default_configELb0EPKbPbPKlPlN2at6native12_GLOBAL__N_18offset_tEEE10hipError_tPvRmT1_PNSt15iterator_traitsISY_E10value_typeET2_T3_PNSZ_IS14_E10value_typeET4_jRbjT5_S1A_jjP12ihipStream_tbEUljE_EEESV_SW_SX_S14_S18_S1A_T6_T7_T9_mT8_S1C_bDpT10_ENKUlT_T0_E_clISt17integral_constantIbLb0EES1O_IbLb1EEEEDaS1K_S1L_EUlS1K_E_NS1_11comp_targetILNS1_3genE2ELNS1_11target_archE906ELNS1_3gpuE6ELNS1_3repE0EEENS1_30default_config_static_selectorELNS0_4arch9wavefront6targetE1EEEvSY_,"axG",@progbits,_ZN7rocprim17ROCPRIM_400000_NS6detail17trampoline_kernelINS0_13select_configILj256ELj13ELNS0_17block_load_methodE3ELS4_3ELS4_3ELNS0_20block_scan_algorithmE0ELj4294967295EEENS1_25partition_config_selectorILNS1_17partition_subalgoE3EjNS0_10empty_typeEbEEZZNS1_14partition_implILS8_3ELb0ES6_jNS0_17counting_iteratorIjlEEPS9_SE_NS0_5tupleIJPjSE_EEENSF_IJSE_SE_EEES9_SG_JZNS1_25segmented_radix_sort_implINS0_14default_configELb0EPKbPbPKlPlN2at6native12_GLOBAL__N_18offset_tEEE10hipError_tPvRmT1_PNSt15iterator_traitsISY_E10value_typeET2_T3_PNSZ_IS14_E10value_typeET4_jRbjT5_S1A_jjP12ihipStream_tbEUljE_EEESV_SW_SX_S14_S18_S1A_T6_T7_T9_mT8_S1C_bDpT10_ENKUlT_T0_E_clISt17integral_constantIbLb0EES1O_IbLb1EEEEDaS1K_S1L_EUlS1K_E_NS1_11comp_targetILNS1_3genE2ELNS1_11target_archE906ELNS1_3gpuE6ELNS1_3repE0EEENS1_30default_config_static_selectorELNS0_4arch9wavefront6targetE1EEEvSY_,comdat
.Lfunc_end1629:
	.size	_ZN7rocprim17ROCPRIM_400000_NS6detail17trampoline_kernelINS0_13select_configILj256ELj13ELNS0_17block_load_methodE3ELS4_3ELS4_3ELNS0_20block_scan_algorithmE0ELj4294967295EEENS1_25partition_config_selectorILNS1_17partition_subalgoE3EjNS0_10empty_typeEbEEZZNS1_14partition_implILS8_3ELb0ES6_jNS0_17counting_iteratorIjlEEPS9_SE_NS0_5tupleIJPjSE_EEENSF_IJSE_SE_EEES9_SG_JZNS1_25segmented_radix_sort_implINS0_14default_configELb0EPKbPbPKlPlN2at6native12_GLOBAL__N_18offset_tEEE10hipError_tPvRmT1_PNSt15iterator_traitsISY_E10value_typeET2_T3_PNSZ_IS14_E10value_typeET4_jRbjT5_S1A_jjP12ihipStream_tbEUljE_EEESV_SW_SX_S14_S18_S1A_T6_T7_T9_mT8_S1C_bDpT10_ENKUlT_T0_E_clISt17integral_constantIbLb0EES1O_IbLb1EEEEDaS1K_S1L_EUlS1K_E_NS1_11comp_targetILNS1_3genE2ELNS1_11target_archE906ELNS1_3gpuE6ELNS1_3repE0EEENS1_30default_config_static_selectorELNS0_4arch9wavefront6targetE1EEEvSY_, .Lfunc_end1629-_ZN7rocprim17ROCPRIM_400000_NS6detail17trampoline_kernelINS0_13select_configILj256ELj13ELNS0_17block_load_methodE3ELS4_3ELS4_3ELNS0_20block_scan_algorithmE0ELj4294967295EEENS1_25partition_config_selectorILNS1_17partition_subalgoE3EjNS0_10empty_typeEbEEZZNS1_14partition_implILS8_3ELb0ES6_jNS0_17counting_iteratorIjlEEPS9_SE_NS0_5tupleIJPjSE_EEENSF_IJSE_SE_EEES9_SG_JZNS1_25segmented_radix_sort_implINS0_14default_configELb0EPKbPbPKlPlN2at6native12_GLOBAL__N_18offset_tEEE10hipError_tPvRmT1_PNSt15iterator_traitsISY_E10value_typeET2_T3_PNSZ_IS14_E10value_typeET4_jRbjT5_S1A_jjP12ihipStream_tbEUljE_EEESV_SW_SX_S14_S18_S1A_T6_T7_T9_mT8_S1C_bDpT10_ENKUlT_T0_E_clISt17integral_constantIbLb0EES1O_IbLb1EEEEDaS1K_S1L_EUlS1K_E_NS1_11comp_targetILNS1_3genE2ELNS1_11target_archE906ELNS1_3gpuE6ELNS1_3repE0EEENS1_30default_config_static_selectorELNS0_4arch9wavefront6targetE1EEEvSY_
                                        ; -- End function
	.section	.AMDGPU.csdata,"",@progbits
; Kernel info:
; codeLenInByte = 0
; NumSgprs: 4
; NumVgprs: 0
; NumAgprs: 0
; TotalNumVgprs: 0
; ScratchSize: 0
; MemoryBound: 0
; FloatMode: 240
; IeeeMode: 1
; LDSByteSize: 0 bytes/workgroup (compile time only)
; SGPRBlocks: 0
; VGPRBlocks: 0
; NumSGPRsForWavesPerEU: 4
; NumVGPRsForWavesPerEU: 1
; AccumOffset: 4
; Occupancy: 8
; WaveLimiterHint : 0
; COMPUTE_PGM_RSRC2:SCRATCH_EN: 0
; COMPUTE_PGM_RSRC2:USER_SGPR: 6
; COMPUTE_PGM_RSRC2:TRAP_HANDLER: 0
; COMPUTE_PGM_RSRC2:TGID_X_EN: 1
; COMPUTE_PGM_RSRC2:TGID_Y_EN: 0
; COMPUTE_PGM_RSRC2:TGID_Z_EN: 0
; COMPUTE_PGM_RSRC2:TIDIG_COMP_CNT: 0
; COMPUTE_PGM_RSRC3_GFX90A:ACCUM_OFFSET: 0
; COMPUTE_PGM_RSRC3_GFX90A:TG_SPLIT: 0
	.section	.text._ZN7rocprim17ROCPRIM_400000_NS6detail17trampoline_kernelINS0_13select_configILj256ELj13ELNS0_17block_load_methodE3ELS4_3ELS4_3ELNS0_20block_scan_algorithmE0ELj4294967295EEENS1_25partition_config_selectorILNS1_17partition_subalgoE3EjNS0_10empty_typeEbEEZZNS1_14partition_implILS8_3ELb0ES6_jNS0_17counting_iteratorIjlEEPS9_SE_NS0_5tupleIJPjSE_EEENSF_IJSE_SE_EEES9_SG_JZNS1_25segmented_radix_sort_implINS0_14default_configELb0EPKbPbPKlPlN2at6native12_GLOBAL__N_18offset_tEEE10hipError_tPvRmT1_PNSt15iterator_traitsISY_E10value_typeET2_T3_PNSZ_IS14_E10value_typeET4_jRbjT5_S1A_jjP12ihipStream_tbEUljE_EEESV_SW_SX_S14_S18_S1A_T6_T7_T9_mT8_S1C_bDpT10_ENKUlT_T0_E_clISt17integral_constantIbLb0EES1O_IbLb1EEEEDaS1K_S1L_EUlS1K_E_NS1_11comp_targetILNS1_3genE10ELNS1_11target_archE1200ELNS1_3gpuE4ELNS1_3repE0EEENS1_30default_config_static_selectorELNS0_4arch9wavefront6targetE1EEEvSY_,"axG",@progbits,_ZN7rocprim17ROCPRIM_400000_NS6detail17trampoline_kernelINS0_13select_configILj256ELj13ELNS0_17block_load_methodE3ELS4_3ELS4_3ELNS0_20block_scan_algorithmE0ELj4294967295EEENS1_25partition_config_selectorILNS1_17partition_subalgoE3EjNS0_10empty_typeEbEEZZNS1_14partition_implILS8_3ELb0ES6_jNS0_17counting_iteratorIjlEEPS9_SE_NS0_5tupleIJPjSE_EEENSF_IJSE_SE_EEES9_SG_JZNS1_25segmented_radix_sort_implINS0_14default_configELb0EPKbPbPKlPlN2at6native12_GLOBAL__N_18offset_tEEE10hipError_tPvRmT1_PNSt15iterator_traitsISY_E10value_typeET2_T3_PNSZ_IS14_E10value_typeET4_jRbjT5_S1A_jjP12ihipStream_tbEUljE_EEESV_SW_SX_S14_S18_S1A_T6_T7_T9_mT8_S1C_bDpT10_ENKUlT_T0_E_clISt17integral_constantIbLb0EES1O_IbLb1EEEEDaS1K_S1L_EUlS1K_E_NS1_11comp_targetILNS1_3genE10ELNS1_11target_archE1200ELNS1_3gpuE4ELNS1_3repE0EEENS1_30default_config_static_selectorELNS0_4arch9wavefront6targetE1EEEvSY_,comdat
	.globl	_ZN7rocprim17ROCPRIM_400000_NS6detail17trampoline_kernelINS0_13select_configILj256ELj13ELNS0_17block_load_methodE3ELS4_3ELS4_3ELNS0_20block_scan_algorithmE0ELj4294967295EEENS1_25partition_config_selectorILNS1_17partition_subalgoE3EjNS0_10empty_typeEbEEZZNS1_14partition_implILS8_3ELb0ES6_jNS0_17counting_iteratorIjlEEPS9_SE_NS0_5tupleIJPjSE_EEENSF_IJSE_SE_EEES9_SG_JZNS1_25segmented_radix_sort_implINS0_14default_configELb0EPKbPbPKlPlN2at6native12_GLOBAL__N_18offset_tEEE10hipError_tPvRmT1_PNSt15iterator_traitsISY_E10value_typeET2_T3_PNSZ_IS14_E10value_typeET4_jRbjT5_S1A_jjP12ihipStream_tbEUljE_EEESV_SW_SX_S14_S18_S1A_T6_T7_T9_mT8_S1C_bDpT10_ENKUlT_T0_E_clISt17integral_constantIbLb0EES1O_IbLb1EEEEDaS1K_S1L_EUlS1K_E_NS1_11comp_targetILNS1_3genE10ELNS1_11target_archE1200ELNS1_3gpuE4ELNS1_3repE0EEENS1_30default_config_static_selectorELNS0_4arch9wavefront6targetE1EEEvSY_ ; -- Begin function _ZN7rocprim17ROCPRIM_400000_NS6detail17trampoline_kernelINS0_13select_configILj256ELj13ELNS0_17block_load_methodE3ELS4_3ELS4_3ELNS0_20block_scan_algorithmE0ELj4294967295EEENS1_25partition_config_selectorILNS1_17partition_subalgoE3EjNS0_10empty_typeEbEEZZNS1_14partition_implILS8_3ELb0ES6_jNS0_17counting_iteratorIjlEEPS9_SE_NS0_5tupleIJPjSE_EEENSF_IJSE_SE_EEES9_SG_JZNS1_25segmented_radix_sort_implINS0_14default_configELb0EPKbPbPKlPlN2at6native12_GLOBAL__N_18offset_tEEE10hipError_tPvRmT1_PNSt15iterator_traitsISY_E10value_typeET2_T3_PNSZ_IS14_E10value_typeET4_jRbjT5_S1A_jjP12ihipStream_tbEUljE_EEESV_SW_SX_S14_S18_S1A_T6_T7_T9_mT8_S1C_bDpT10_ENKUlT_T0_E_clISt17integral_constantIbLb0EES1O_IbLb1EEEEDaS1K_S1L_EUlS1K_E_NS1_11comp_targetILNS1_3genE10ELNS1_11target_archE1200ELNS1_3gpuE4ELNS1_3repE0EEENS1_30default_config_static_selectorELNS0_4arch9wavefront6targetE1EEEvSY_
	.p2align	8
	.type	_ZN7rocprim17ROCPRIM_400000_NS6detail17trampoline_kernelINS0_13select_configILj256ELj13ELNS0_17block_load_methodE3ELS4_3ELS4_3ELNS0_20block_scan_algorithmE0ELj4294967295EEENS1_25partition_config_selectorILNS1_17partition_subalgoE3EjNS0_10empty_typeEbEEZZNS1_14partition_implILS8_3ELb0ES6_jNS0_17counting_iteratorIjlEEPS9_SE_NS0_5tupleIJPjSE_EEENSF_IJSE_SE_EEES9_SG_JZNS1_25segmented_radix_sort_implINS0_14default_configELb0EPKbPbPKlPlN2at6native12_GLOBAL__N_18offset_tEEE10hipError_tPvRmT1_PNSt15iterator_traitsISY_E10value_typeET2_T3_PNSZ_IS14_E10value_typeET4_jRbjT5_S1A_jjP12ihipStream_tbEUljE_EEESV_SW_SX_S14_S18_S1A_T6_T7_T9_mT8_S1C_bDpT10_ENKUlT_T0_E_clISt17integral_constantIbLb0EES1O_IbLb1EEEEDaS1K_S1L_EUlS1K_E_NS1_11comp_targetILNS1_3genE10ELNS1_11target_archE1200ELNS1_3gpuE4ELNS1_3repE0EEENS1_30default_config_static_selectorELNS0_4arch9wavefront6targetE1EEEvSY_,@function
_ZN7rocprim17ROCPRIM_400000_NS6detail17trampoline_kernelINS0_13select_configILj256ELj13ELNS0_17block_load_methodE3ELS4_3ELS4_3ELNS0_20block_scan_algorithmE0ELj4294967295EEENS1_25partition_config_selectorILNS1_17partition_subalgoE3EjNS0_10empty_typeEbEEZZNS1_14partition_implILS8_3ELb0ES6_jNS0_17counting_iteratorIjlEEPS9_SE_NS0_5tupleIJPjSE_EEENSF_IJSE_SE_EEES9_SG_JZNS1_25segmented_radix_sort_implINS0_14default_configELb0EPKbPbPKlPlN2at6native12_GLOBAL__N_18offset_tEEE10hipError_tPvRmT1_PNSt15iterator_traitsISY_E10value_typeET2_T3_PNSZ_IS14_E10value_typeET4_jRbjT5_S1A_jjP12ihipStream_tbEUljE_EEESV_SW_SX_S14_S18_S1A_T6_T7_T9_mT8_S1C_bDpT10_ENKUlT_T0_E_clISt17integral_constantIbLb0EES1O_IbLb1EEEEDaS1K_S1L_EUlS1K_E_NS1_11comp_targetILNS1_3genE10ELNS1_11target_archE1200ELNS1_3gpuE4ELNS1_3repE0EEENS1_30default_config_static_selectorELNS0_4arch9wavefront6targetE1EEEvSY_: ; @_ZN7rocprim17ROCPRIM_400000_NS6detail17trampoline_kernelINS0_13select_configILj256ELj13ELNS0_17block_load_methodE3ELS4_3ELS4_3ELNS0_20block_scan_algorithmE0ELj4294967295EEENS1_25partition_config_selectorILNS1_17partition_subalgoE3EjNS0_10empty_typeEbEEZZNS1_14partition_implILS8_3ELb0ES6_jNS0_17counting_iteratorIjlEEPS9_SE_NS0_5tupleIJPjSE_EEENSF_IJSE_SE_EEES9_SG_JZNS1_25segmented_radix_sort_implINS0_14default_configELb0EPKbPbPKlPlN2at6native12_GLOBAL__N_18offset_tEEE10hipError_tPvRmT1_PNSt15iterator_traitsISY_E10value_typeET2_T3_PNSZ_IS14_E10value_typeET4_jRbjT5_S1A_jjP12ihipStream_tbEUljE_EEESV_SW_SX_S14_S18_S1A_T6_T7_T9_mT8_S1C_bDpT10_ENKUlT_T0_E_clISt17integral_constantIbLb0EES1O_IbLb1EEEEDaS1K_S1L_EUlS1K_E_NS1_11comp_targetILNS1_3genE10ELNS1_11target_archE1200ELNS1_3gpuE4ELNS1_3repE0EEENS1_30default_config_static_selectorELNS0_4arch9wavefront6targetE1EEEvSY_
; %bb.0:
	.section	.rodata,"a",@progbits
	.p2align	6, 0x0
	.amdhsa_kernel _ZN7rocprim17ROCPRIM_400000_NS6detail17trampoline_kernelINS0_13select_configILj256ELj13ELNS0_17block_load_methodE3ELS4_3ELS4_3ELNS0_20block_scan_algorithmE0ELj4294967295EEENS1_25partition_config_selectorILNS1_17partition_subalgoE3EjNS0_10empty_typeEbEEZZNS1_14partition_implILS8_3ELb0ES6_jNS0_17counting_iteratorIjlEEPS9_SE_NS0_5tupleIJPjSE_EEENSF_IJSE_SE_EEES9_SG_JZNS1_25segmented_radix_sort_implINS0_14default_configELb0EPKbPbPKlPlN2at6native12_GLOBAL__N_18offset_tEEE10hipError_tPvRmT1_PNSt15iterator_traitsISY_E10value_typeET2_T3_PNSZ_IS14_E10value_typeET4_jRbjT5_S1A_jjP12ihipStream_tbEUljE_EEESV_SW_SX_S14_S18_S1A_T6_T7_T9_mT8_S1C_bDpT10_ENKUlT_T0_E_clISt17integral_constantIbLb0EES1O_IbLb1EEEEDaS1K_S1L_EUlS1K_E_NS1_11comp_targetILNS1_3genE10ELNS1_11target_archE1200ELNS1_3gpuE4ELNS1_3repE0EEENS1_30default_config_static_selectorELNS0_4arch9wavefront6targetE1EEEvSY_
		.amdhsa_group_segment_fixed_size 0
		.amdhsa_private_segment_fixed_size 0
		.amdhsa_kernarg_size 152
		.amdhsa_user_sgpr_count 6
		.amdhsa_user_sgpr_private_segment_buffer 1
		.amdhsa_user_sgpr_dispatch_ptr 0
		.amdhsa_user_sgpr_queue_ptr 0
		.amdhsa_user_sgpr_kernarg_segment_ptr 1
		.amdhsa_user_sgpr_dispatch_id 0
		.amdhsa_user_sgpr_flat_scratch_init 0
		.amdhsa_user_sgpr_kernarg_preload_length 0
		.amdhsa_user_sgpr_kernarg_preload_offset 0
		.amdhsa_user_sgpr_private_segment_size 0
		.amdhsa_uses_dynamic_stack 0
		.amdhsa_system_sgpr_private_segment_wavefront_offset 0
		.amdhsa_system_sgpr_workgroup_id_x 1
		.amdhsa_system_sgpr_workgroup_id_y 0
		.amdhsa_system_sgpr_workgroup_id_z 0
		.amdhsa_system_sgpr_workgroup_info 0
		.amdhsa_system_vgpr_workitem_id 0
		.amdhsa_next_free_vgpr 1
		.amdhsa_next_free_sgpr 0
		.amdhsa_accum_offset 4
		.amdhsa_reserve_vcc 0
		.amdhsa_reserve_flat_scratch 0
		.amdhsa_float_round_mode_32 0
		.amdhsa_float_round_mode_16_64 0
		.amdhsa_float_denorm_mode_32 3
		.amdhsa_float_denorm_mode_16_64 3
		.amdhsa_dx10_clamp 1
		.amdhsa_ieee_mode 1
		.amdhsa_fp16_overflow 0
		.amdhsa_tg_split 0
		.amdhsa_exception_fp_ieee_invalid_op 0
		.amdhsa_exception_fp_denorm_src 0
		.amdhsa_exception_fp_ieee_div_zero 0
		.amdhsa_exception_fp_ieee_overflow 0
		.amdhsa_exception_fp_ieee_underflow 0
		.amdhsa_exception_fp_ieee_inexact 0
		.amdhsa_exception_int_div_zero 0
	.end_amdhsa_kernel
	.section	.text._ZN7rocprim17ROCPRIM_400000_NS6detail17trampoline_kernelINS0_13select_configILj256ELj13ELNS0_17block_load_methodE3ELS4_3ELS4_3ELNS0_20block_scan_algorithmE0ELj4294967295EEENS1_25partition_config_selectorILNS1_17partition_subalgoE3EjNS0_10empty_typeEbEEZZNS1_14partition_implILS8_3ELb0ES6_jNS0_17counting_iteratorIjlEEPS9_SE_NS0_5tupleIJPjSE_EEENSF_IJSE_SE_EEES9_SG_JZNS1_25segmented_radix_sort_implINS0_14default_configELb0EPKbPbPKlPlN2at6native12_GLOBAL__N_18offset_tEEE10hipError_tPvRmT1_PNSt15iterator_traitsISY_E10value_typeET2_T3_PNSZ_IS14_E10value_typeET4_jRbjT5_S1A_jjP12ihipStream_tbEUljE_EEESV_SW_SX_S14_S18_S1A_T6_T7_T9_mT8_S1C_bDpT10_ENKUlT_T0_E_clISt17integral_constantIbLb0EES1O_IbLb1EEEEDaS1K_S1L_EUlS1K_E_NS1_11comp_targetILNS1_3genE10ELNS1_11target_archE1200ELNS1_3gpuE4ELNS1_3repE0EEENS1_30default_config_static_selectorELNS0_4arch9wavefront6targetE1EEEvSY_,"axG",@progbits,_ZN7rocprim17ROCPRIM_400000_NS6detail17trampoline_kernelINS0_13select_configILj256ELj13ELNS0_17block_load_methodE3ELS4_3ELS4_3ELNS0_20block_scan_algorithmE0ELj4294967295EEENS1_25partition_config_selectorILNS1_17partition_subalgoE3EjNS0_10empty_typeEbEEZZNS1_14partition_implILS8_3ELb0ES6_jNS0_17counting_iteratorIjlEEPS9_SE_NS0_5tupleIJPjSE_EEENSF_IJSE_SE_EEES9_SG_JZNS1_25segmented_radix_sort_implINS0_14default_configELb0EPKbPbPKlPlN2at6native12_GLOBAL__N_18offset_tEEE10hipError_tPvRmT1_PNSt15iterator_traitsISY_E10value_typeET2_T3_PNSZ_IS14_E10value_typeET4_jRbjT5_S1A_jjP12ihipStream_tbEUljE_EEESV_SW_SX_S14_S18_S1A_T6_T7_T9_mT8_S1C_bDpT10_ENKUlT_T0_E_clISt17integral_constantIbLb0EES1O_IbLb1EEEEDaS1K_S1L_EUlS1K_E_NS1_11comp_targetILNS1_3genE10ELNS1_11target_archE1200ELNS1_3gpuE4ELNS1_3repE0EEENS1_30default_config_static_selectorELNS0_4arch9wavefront6targetE1EEEvSY_,comdat
.Lfunc_end1630:
	.size	_ZN7rocprim17ROCPRIM_400000_NS6detail17trampoline_kernelINS0_13select_configILj256ELj13ELNS0_17block_load_methodE3ELS4_3ELS4_3ELNS0_20block_scan_algorithmE0ELj4294967295EEENS1_25partition_config_selectorILNS1_17partition_subalgoE3EjNS0_10empty_typeEbEEZZNS1_14partition_implILS8_3ELb0ES6_jNS0_17counting_iteratorIjlEEPS9_SE_NS0_5tupleIJPjSE_EEENSF_IJSE_SE_EEES9_SG_JZNS1_25segmented_radix_sort_implINS0_14default_configELb0EPKbPbPKlPlN2at6native12_GLOBAL__N_18offset_tEEE10hipError_tPvRmT1_PNSt15iterator_traitsISY_E10value_typeET2_T3_PNSZ_IS14_E10value_typeET4_jRbjT5_S1A_jjP12ihipStream_tbEUljE_EEESV_SW_SX_S14_S18_S1A_T6_T7_T9_mT8_S1C_bDpT10_ENKUlT_T0_E_clISt17integral_constantIbLb0EES1O_IbLb1EEEEDaS1K_S1L_EUlS1K_E_NS1_11comp_targetILNS1_3genE10ELNS1_11target_archE1200ELNS1_3gpuE4ELNS1_3repE0EEENS1_30default_config_static_selectorELNS0_4arch9wavefront6targetE1EEEvSY_, .Lfunc_end1630-_ZN7rocprim17ROCPRIM_400000_NS6detail17trampoline_kernelINS0_13select_configILj256ELj13ELNS0_17block_load_methodE3ELS4_3ELS4_3ELNS0_20block_scan_algorithmE0ELj4294967295EEENS1_25partition_config_selectorILNS1_17partition_subalgoE3EjNS0_10empty_typeEbEEZZNS1_14partition_implILS8_3ELb0ES6_jNS0_17counting_iteratorIjlEEPS9_SE_NS0_5tupleIJPjSE_EEENSF_IJSE_SE_EEES9_SG_JZNS1_25segmented_radix_sort_implINS0_14default_configELb0EPKbPbPKlPlN2at6native12_GLOBAL__N_18offset_tEEE10hipError_tPvRmT1_PNSt15iterator_traitsISY_E10value_typeET2_T3_PNSZ_IS14_E10value_typeET4_jRbjT5_S1A_jjP12ihipStream_tbEUljE_EEESV_SW_SX_S14_S18_S1A_T6_T7_T9_mT8_S1C_bDpT10_ENKUlT_T0_E_clISt17integral_constantIbLb0EES1O_IbLb1EEEEDaS1K_S1L_EUlS1K_E_NS1_11comp_targetILNS1_3genE10ELNS1_11target_archE1200ELNS1_3gpuE4ELNS1_3repE0EEENS1_30default_config_static_selectorELNS0_4arch9wavefront6targetE1EEEvSY_
                                        ; -- End function
	.section	.AMDGPU.csdata,"",@progbits
; Kernel info:
; codeLenInByte = 0
; NumSgprs: 4
; NumVgprs: 0
; NumAgprs: 0
; TotalNumVgprs: 0
; ScratchSize: 0
; MemoryBound: 0
; FloatMode: 240
; IeeeMode: 1
; LDSByteSize: 0 bytes/workgroup (compile time only)
; SGPRBlocks: 0
; VGPRBlocks: 0
; NumSGPRsForWavesPerEU: 4
; NumVGPRsForWavesPerEU: 1
; AccumOffset: 4
; Occupancy: 8
; WaveLimiterHint : 0
; COMPUTE_PGM_RSRC2:SCRATCH_EN: 0
; COMPUTE_PGM_RSRC2:USER_SGPR: 6
; COMPUTE_PGM_RSRC2:TRAP_HANDLER: 0
; COMPUTE_PGM_RSRC2:TGID_X_EN: 1
; COMPUTE_PGM_RSRC2:TGID_Y_EN: 0
; COMPUTE_PGM_RSRC2:TGID_Z_EN: 0
; COMPUTE_PGM_RSRC2:TIDIG_COMP_CNT: 0
; COMPUTE_PGM_RSRC3_GFX90A:ACCUM_OFFSET: 0
; COMPUTE_PGM_RSRC3_GFX90A:TG_SPLIT: 0
	.section	.text._ZN7rocprim17ROCPRIM_400000_NS6detail17trampoline_kernelINS0_13select_configILj256ELj13ELNS0_17block_load_methodE3ELS4_3ELS4_3ELNS0_20block_scan_algorithmE0ELj4294967295EEENS1_25partition_config_selectorILNS1_17partition_subalgoE3EjNS0_10empty_typeEbEEZZNS1_14partition_implILS8_3ELb0ES6_jNS0_17counting_iteratorIjlEEPS9_SE_NS0_5tupleIJPjSE_EEENSF_IJSE_SE_EEES9_SG_JZNS1_25segmented_radix_sort_implINS0_14default_configELb0EPKbPbPKlPlN2at6native12_GLOBAL__N_18offset_tEEE10hipError_tPvRmT1_PNSt15iterator_traitsISY_E10value_typeET2_T3_PNSZ_IS14_E10value_typeET4_jRbjT5_S1A_jjP12ihipStream_tbEUljE_EEESV_SW_SX_S14_S18_S1A_T6_T7_T9_mT8_S1C_bDpT10_ENKUlT_T0_E_clISt17integral_constantIbLb0EES1O_IbLb1EEEEDaS1K_S1L_EUlS1K_E_NS1_11comp_targetILNS1_3genE9ELNS1_11target_archE1100ELNS1_3gpuE3ELNS1_3repE0EEENS1_30default_config_static_selectorELNS0_4arch9wavefront6targetE1EEEvSY_,"axG",@progbits,_ZN7rocprim17ROCPRIM_400000_NS6detail17trampoline_kernelINS0_13select_configILj256ELj13ELNS0_17block_load_methodE3ELS4_3ELS4_3ELNS0_20block_scan_algorithmE0ELj4294967295EEENS1_25partition_config_selectorILNS1_17partition_subalgoE3EjNS0_10empty_typeEbEEZZNS1_14partition_implILS8_3ELb0ES6_jNS0_17counting_iteratorIjlEEPS9_SE_NS0_5tupleIJPjSE_EEENSF_IJSE_SE_EEES9_SG_JZNS1_25segmented_radix_sort_implINS0_14default_configELb0EPKbPbPKlPlN2at6native12_GLOBAL__N_18offset_tEEE10hipError_tPvRmT1_PNSt15iterator_traitsISY_E10value_typeET2_T3_PNSZ_IS14_E10value_typeET4_jRbjT5_S1A_jjP12ihipStream_tbEUljE_EEESV_SW_SX_S14_S18_S1A_T6_T7_T9_mT8_S1C_bDpT10_ENKUlT_T0_E_clISt17integral_constantIbLb0EES1O_IbLb1EEEEDaS1K_S1L_EUlS1K_E_NS1_11comp_targetILNS1_3genE9ELNS1_11target_archE1100ELNS1_3gpuE3ELNS1_3repE0EEENS1_30default_config_static_selectorELNS0_4arch9wavefront6targetE1EEEvSY_,comdat
	.globl	_ZN7rocprim17ROCPRIM_400000_NS6detail17trampoline_kernelINS0_13select_configILj256ELj13ELNS0_17block_load_methodE3ELS4_3ELS4_3ELNS0_20block_scan_algorithmE0ELj4294967295EEENS1_25partition_config_selectorILNS1_17partition_subalgoE3EjNS0_10empty_typeEbEEZZNS1_14partition_implILS8_3ELb0ES6_jNS0_17counting_iteratorIjlEEPS9_SE_NS0_5tupleIJPjSE_EEENSF_IJSE_SE_EEES9_SG_JZNS1_25segmented_radix_sort_implINS0_14default_configELb0EPKbPbPKlPlN2at6native12_GLOBAL__N_18offset_tEEE10hipError_tPvRmT1_PNSt15iterator_traitsISY_E10value_typeET2_T3_PNSZ_IS14_E10value_typeET4_jRbjT5_S1A_jjP12ihipStream_tbEUljE_EEESV_SW_SX_S14_S18_S1A_T6_T7_T9_mT8_S1C_bDpT10_ENKUlT_T0_E_clISt17integral_constantIbLb0EES1O_IbLb1EEEEDaS1K_S1L_EUlS1K_E_NS1_11comp_targetILNS1_3genE9ELNS1_11target_archE1100ELNS1_3gpuE3ELNS1_3repE0EEENS1_30default_config_static_selectorELNS0_4arch9wavefront6targetE1EEEvSY_ ; -- Begin function _ZN7rocprim17ROCPRIM_400000_NS6detail17trampoline_kernelINS0_13select_configILj256ELj13ELNS0_17block_load_methodE3ELS4_3ELS4_3ELNS0_20block_scan_algorithmE0ELj4294967295EEENS1_25partition_config_selectorILNS1_17partition_subalgoE3EjNS0_10empty_typeEbEEZZNS1_14partition_implILS8_3ELb0ES6_jNS0_17counting_iteratorIjlEEPS9_SE_NS0_5tupleIJPjSE_EEENSF_IJSE_SE_EEES9_SG_JZNS1_25segmented_radix_sort_implINS0_14default_configELb0EPKbPbPKlPlN2at6native12_GLOBAL__N_18offset_tEEE10hipError_tPvRmT1_PNSt15iterator_traitsISY_E10value_typeET2_T3_PNSZ_IS14_E10value_typeET4_jRbjT5_S1A_jjP12ihipStream_tbEUljE_EEESV_SW_SX_S14_S18_S1A_T6_T7_T9_mT8_S1C_bDpT10_ENKUlT_T0_E_clISt17integral_constantIbLb0EES1O_IbLb1EEEEDaS1K_S1L_EUlS1K_E_NS1_11comp_targetILNS1_3genE9ELNS1_11target_archE1100ELNS1_3gpuE3ELNS1_3repE0EEENS1_30default_config_static_selectorELNS0_4arch9wavefront6targetE1EEEvSY_
	.p2align	8
	.type	_ZN7rocprim17ROCPRIM_400000_NS6detail17trampoline_kernelINS0_13select_configILj256ELj13ELNS0_17block_load_methodE3ELS4_3ELS4_3ELNS0_20block_scan_algorithmE0ELj4294967295EEENS1_25partition_config_selectorILNS1_17partition_subalgoE3EjNS0_10empty_typeEbEEZZNS1_14partition_implILS8_3ELb0ES6_jNS0_17counting_iteratorIjlEEPS9_SE_NS0_5tupleIJPjSE_EEENSF_IJSE_SE_EEES9_SG_JZNS1_25segmented_radix_sort_implINS0_14default_configELb0EPKbPbPKlPlN2at6native12_GLOBAL__N_18offset_tEEE10hipError_tPvRmT1_PNSt15iterator_traitsISY_E10value_typeET2_T3_PNSZ_IS14_E10value_typeET4_jRbjT5_S1A_jjP12ihipStream_tbEUljE_EEESV_SW_SX_S14_S18_S1A_T6_T7_T9_mT8_S1C_bDpT10_ENKUlT_T0_E_clISt17integral_constantIbLb0EES1O_IbLb1EEEEDaS1K_S1L_EUlS1K_E_NS1_11comp_targetILNS1_3genE9ELNS1_11target_archE1100ELNS1_3gpuE3ELNS1_3repE0EEENS1_30default_config_static_selectorELNS0_4arch9wavefront6targetE1EEEvSY_,@function
_ZN7rocprim17ROCPRIM_400000_NS6detail17trampoline_kernelINS0_13select_configILj256ELj13ELNS0_17block_load_methodE3ELS4_3ELS4_3ELNS0_20block_scan_algorithmE0ELj4294967295EEENS1_25partition_config_selectorILNS1_17partition_subalgoE3EjNS0_10empty_typeEbEEZZNS1_14partition_implILS8_3ELb0ES6_jNS0_17counting_iteratorIjlEEPS9_SE_NS0_5tupleIJPjSE_EEENSF_IJSE_SE_EEES9_SG_JZNS1_25segmented_radix_sort_implINS0_14default_configELb0EPKbPbPKlPlN2at6native12_GLOBAL__N_18offset_tEEE10hipError_tPvRmT1_PNSt15iterator_traitsISY_E10value_typeET2_T3_PNSZ_IS14_E10value_typeET4_jRbjT5_S1A_jjP12ihipStream_tbEUljE_EEESV_SW_SX_S14_S18_S1A_T6_T7_T9_mT8_S1C_bDpT10_ENKUlT_T0_E_clISt17integral_constantIbLb0EES1O_IbLb1EEEEDaS1K_S1L_EUlS1K_E_NS1_11comp_targetILNS1_3genE9ELNS1_11target_archE1100ELNS1_3gpuE3ELNS1_3repE0EEENS1_30default_config_static_selectorELNS0_4arch9wavefront6targetE1EEEvSY_: ; @_ZN7rocprim17ROCPRIM_400000_NS6detail17trampoline_kernelINS0_13select_configILj256ELj13ELNS0_17block_load_methodE3ELS4_3ELS4_3ELNS0_20block_scan_algorithmE0ELj4294967295EEENS1_25partition_config_selectorILNS1_17partition_subalgoE3EjNS0_10empty_typeEbEEZZNS1_14partition_implILS8_3ELb0ES6_jNS0_17counting_iteratorIjlEEPS9_SE_NS0_5tupleIJPjSE_EEENSF_IJSE_SE_EEES9_SG_JZNS1_25segmented_radix_sort_implINS0_14default_configELb0EPKbPbPKlPlN2at6native12_GLOBAL__N_18offset_tEEE10hipError_tPvRmT1_PNSt15iterator_traitsISY_E10value_typeET2_T3_PNSZ_IS14_E10value_typeET4_jRbjT5_S1A_jjP12ihipStream_tbEUljE_EEESV_SW_SX_S14_S18_S1A_T6_T7_T9_mT8_S1C_bDpT10_ENKUlT_T0_E_clISt17integral_constantIbLb0EES1O_IbLb1EEEEDaS1K_S1L_EUlS1K_E_NS1_11comp_targetILNS1_3genE9ELNS1_11target_archE1100ELNS1_3gpuE3ELNS1_3repE0EEENS1_30default_config_static_selectorELNS0_4arch9wavefront6targetE1EEEvSY_
; %bb.0:
	.section	.rodata,"a",@progbits
	.p2align	6, 0x0
	.amdhsa_kernel _ZN7rocprim17ROCPRIM_400000_NS6detail17trampoline_kernelINS0_13select_configILj256ELj13ELNS0_17block_load_methodE3ELS4_3ELS4_3ELNS0_20block_scan_algorithmE0ELj4294967295EEENS1_25partition_config_selectorILNS1_17partition_subalgoE3EjNS0_10empty_typeEbEEZZNS1_14partition_implILS8_3ELb0ES6_jNS0_17counting_iteratorIjlEEPS9_SE_NS0_5tupleIJPjSE_EEENSF_IJSE_SE_EEES9_SG_JZNS1_25segmented_radix_sort_implINS0_14default_configELb0EPKbPbPKlPlN2at6native12_GLOBAL__N_18offset_tEEE10hipError_tPvRmT1_PNSt15iterator_traitsISY_E10value_typeET2_T3_PNSZ_IS14_E10value_typeET4_jRbjT5_S1A_jjP12ihipStream_tbEUljE_EEESV_SW_SX_S14_S18_S1A_T6_T7_T9_mT8_S1C_bDpT10_ENKUlT_T0_E_clISt17integral_constantIbLb0EES1O_IbLb1EEEEDaS1K_S1L_EUlS1K_E_NS1_11comp_targetILNS1_3genE9ELNS1_11target_archE1100ELNS1_3gpuE3ELNS1_3repE0EEENS1_30default_config_static_selectorELNS0_4arch9wavefront6targetE1EEEvSY_
		.amdhsa_group_segment_fixed_size 0
		.amdhsa_private_segment_fixed_size 0
		.amdhsa_kernarg_size 152
		.amdhsa_user_sgpr_count 6
		.amdhsa_user_sgpr_private_segment_buffer 1
		.amdhsa_user_sgpr_dispatch_ptr 0
		.amdhsa_user_sgpr_queue_ptr 0
		.amdhsa_user_sgpr_kernarg_segment_ptr 1
		.amdhsa_user_sgpr_dispatch_id 0
		.amdhsa_user_sgpr_flat_scratch_init 0
		.amdhsa_user_sgpr_kernarg_preload_length 0
		.amdhsa_user_sgpr_kernarg_preload_offset 0
		.amdhsa_user_sgpr_private_segment_size 0
		.amdhsa_uses_dynamic_stack 0
		.amdhsa_system_sgpr_private_segment_wavefront_offset 0
		.amdhsa_system_sgpr_workgroup_id_x 1
		.amdhsa_system_sgpr_workgroup_id_y 0
		.amdhsa_system_sgpr_workgroup_id_z 0
		.amdhsa_system_sgpr_workgroup_info 0
		.amdhsa_system_vgpr_workitem_id 0
		.amdhsa_next_free_vgpr 1
		.amdhsa_next_free_sgpr 0
		.amdhsa_accum_offset 4
		.amdhsa_reserve_vcc 0
		.amdhsa_reserve_flat_scratch 0
		.amdhsa_float_round_mode_32 0
		.amdhsa_float_round_mode_16_64 0
		.amdhsa_float_denorm_mode_32 3
		.amdhsa_float_denorm_mode_16_64 3
		.amdhsa_dx10_clamp 1
		.amdhsa_ieee_mode 1
		.amdhsa_fp16_overflow 0
		.amdhsa_tg_split 0
		.amdhsa_exception_fp_ieee_invalid_op 0
		.amdhsa_exception_fp_denorm_src 0
		.amdhsa_exception_fp_ieee_div_zero 0
		.amdhsa_exception_fp_ieee_overflow 0
		.amdhsa_exception_fp_ieee_underflow 0
		.amdhsa_exception_fp_ieee_inexact 0
		.amdhsa_exception_int_div_zero 0
	.end_amdhsa_kernel
	.section	.text._ZN7rocprim17ROCPRIM_400000_NS6detail17trampoline_kernelINS0_13select_configILj256ELj13ELNS0_17block_load_methodE3ELS4_3ELS4_3ELNS0_20block_scan_algorithmE0ELj4294967295EEENS1_25partition_config_selectorILNS1_17partition_subalgoE3EjNS0_10empty_typeEbEEZZNS1_14partition_implILS8_3ELb0ES6_jNS0_17counting_iteratorIjlEEPS9_SE_NS0_5tupleIJPjSE_EEENSF_IJSE_SE_EEES9_SG_JZNS1_25segmented_radix_sort_implINS0_14default_configELb0EPKbPbPKlPlN2at6native12_GLOBAL__N_18offset_tEEE10hipError_tPvRmT1_PNSt15iterator_traitsISY_E10value_typeET2_T3_PNSZ_IS14_E10value_typeET4_jRbjT5_S1A_jjP12ihipStream_tbEUljE_EEESV_SW_SX_S14_S18_S1A_T6_T7_T9_mT8_S1C_bDpT10_ENKUlT_T0_E_clISt17integral_constantIbLb0EES1O_IbLb1EEEEDaS1K_S1L_EUlS1K_E_NS1_11comp_targetILNS1_3genE9ELNS1_11target_archE1100ELNS1_3gpuE3ELNS1_3repE0EEENS1_30default_config_static_selectorELNS0_4arch9wavefront6targetE1EEEvSY_,"axG",@progbits,_ZN7rocprim17ROCPRIM_400000_NS6detail17trampoline_kernelINS0_13select_configILj256ELj13ELNS0_17block_load_methodE3ELS4_3ELS4_3ELNS0_20block_scan_algorithmE0ELj4294967295EEENS1_25partition_config_selectorILNS1_17partition_subalgoE3EjNS0_10empty_typeEbEEZZNS1_14partition_implILS8_3ELb0ES6_jNS0_17counting_iteratorIjlEEPS9_SE_NS0_5tupleIJPjSE_EEENSF_IJSE_SE_EEES9_SG_JZNS1_25segmented_radix_sort_implINS0_14default_configELb0EPKbPbPKlPlN2at6native12_GLOBAL__N_18offset_tEEE10hipError_tPvRmT1_PNSt15iterator_traitsISY_E10value_typeET2_T3_PNSZ_IS14_E10value_typeET4_jRbjT5_S1A_jjP12ihipStream_tbEUljE_EEESV_SW_SX_S14_S18_S1A_T6_T7_T9_mT8_S1C_bDpT10_ENKUlT_T0_E_clISt17integral_constantIbLb0EES1O_IbLb1EEEEDaS1K_S1L_EUlS1K_E_NS1_11comp_targetILNS1_3genE9ELNS1_11target_archE1100ELNS1_3gpuE3ELNS1_3repE0EEENS1_30default_config_static_selectorELNS0_4arch9wavefront6targetE1EEEvSY_,comdat
.Lfunc_end1631:
	.size	_ZN7rocprim17ROCPRIM_400000_NS6detail17trampoline_kernelINS0_13select_configILj256ELj13ELNS0_17block_load_methodE3ELS4_3ELS4_3ELNS0_20block_scan_algorithmE0ELj4294967295EEENS1_25partition_config_selectorILNS1_17partition_subalgoE3EjNS0_10empty_typeEbEEZZNS1_14partition_implILS8_3ELb0ES6_jNS0_17counting_iteratorIjlEEPS9_SE_NS0_5tupleIJPjSE_EEENSF_IJSE_SE_EEES9_SG_JZNS1_25segmented_radix_sort_implINS0_14default_configELb0EPKbPbPKlPlN2at6native12_GLOBAL__N_18offset_tEEE10hipError_tPvRmT1_PNSt15iterator_traitsISY_E10value_typeET2_T3_PNSZ_IS14_E10value_typeET4_jRbjT5_S1A_jjP12ihipStream_tbEUljE_EEESV_SW_SX_S14_S18_S1A_T6_T7_T9_mT8_S1C_bDpT10_ENKUlT_T0_E_clISt17integral_constantIbLb0EES1O_IbLb1EEEEDaS1K_S1L_EUlS1K_E_NS1_11comp_targetILNS1_3genE9ELNS1_11target_archE1100ELNS1_3gpuE3ELNS1_3repE0EEENS1_30default_config_static_selectorELNS0_4arch9wavefront6targetE1EEEvSY_, .Lfunc_end1631-_ZN7rocprim17ROCPRIM_400000_NS6detail17trampoline_kernelINS0_13select_configILj256ELj13ELNS0_17block_load_methodE3ELS4_3ELS4_3ELNS0_20block_scan_algorithmE0ELj4294967295EEENS1_25partition_config_selectorILNS1_17partition_subalgoE3EjNS0_10empty_typeEbEEZZNS1_14partition_implILS8_3ELb0ES6_jNS0_17counting_iteratorIjlEEPS9_SE_NS0_5tupleIJPjSE_EEENSF_IJSE_SE_EEES9_SG_JZNS1_25segmented_radix_sort_implINS0_14default_configELb0EPKbPbPKlPlN2at6native12_GLOBAL__N_18offset_tEEE10hipError_tPvRmT1_PNSt15iterator_traitsISY_E10value_typeET2_T3_PNSZ_IS14_E10value_typeET4_jRbjT5_S1A_jjP12ihipStream_tbEUljE_EEESV_SW_SX_S14_S18_S1A_T6_T7_T9_mT8_S1C_bDpT10_ENKUlT_T0_E_clISt17integral_constantIbLb0EES1O_IbLb1EEEEDaS1K_S1L_EUlS1K_E_NS1_11comp_targetILNS1_3genE9ELNS1_11target_archE1100ELNS1_3gpuE3ELNS1_3repE0EEENS1_30default_config_static_selectorELNS0_4arch9wavefront6targetE1EEEvSY_
                                        ; -- End function
	.section	.AMDGPU.csdata,"",@progbits
; Kernel info:
; codeLenInByte = 0
; NumSgprs: 4
; NumVgprs: 0
; NumAgprs: 0
; TotalNumVgprs: 0
; ScratchSize: 0
; MemoryBound: 0
; FloatMode: 240
; IeeeMode: 1
; LDSByteSize: 0 bytes/workgroup (compile time only)
; SGPRBlocks: 0
; VGPRBlocks: 0
; NumSGPRsForWavesPerEU: 4
; NumVGPRsForWavesPerEU: 1
; AccumOffset: 4
; Occupancy: 8
; WaveLimiterHint : 0
; COMPUTE_PGM_RSRC2:SCRATCH_EN: 0
; COMPUTE_PGM_RSRC2:USER_SGPR: 6
; COMPUTE_PGM_RSRC2:TRAP_HANDLER: 0
; COMPUTE_PGM_RSRC2:TGID_X_EN: 1
; COMPUTE_PGM_RSRC2:TGID_Y_EN: 0
; COMPUTE_PGM_RSRC2:TGID_Z_EN: 0
; COMPUTE_PGM_RSRC2:TIDIG_COMP_CNT: 0
; COMPUTE_PGM_RSRC3_GFX90A:ACCUM_OFFSET: 0
; COMPUTE_PGM_RSRC3_GFX90A:TG_SPLIT: 0
	.section	.text._ZN7rocprim17ROCPRIM_400000_NS6detail17trampoline_kernelINS0_13select_configILj256ELj13ELNS0_17block_load_methodE3ELS4_3ELS4_3ELNS0_20block_scan_algorithmE0ELj4294967295EEENS1_25partition_config_selectorILNS1_17partition_subalgoE3EjNS0_10empty_typeEbEEZZNS1_14partition_implILS8_3ELb0ES6_jNS0_17counting_iteratorIjlEEPS9_SE_NS0_5tupleIJPjSE_EEENSF_IJSE_SE_EEES9_SG_JZNS1_25segmented_radix_sort_implINS0_14default_configELb0EPKbPbPKlPlN2at6native12_GLOBAL__N_18offset_tEEE10hipError_tPvRmT1_PNSt15iterator_traitsISY_E10value_typeET2_T3_PNSZ_IS14_E10value_typeET4_jRbjT5_S1A_jjP12ihipStream_tbEUljE_EEESV_SW_SX_S14_S18_S1A_T6_T7_T9_mT8_S1C_bDpT10_ENKUlT_T0_E_clISt17integral_constantIbLb0EES1O_IbLb1EEEEDaS1K_S1L_EUlS1K_E_NS1_11comp_targetILNS1_3genE8ELNS1_11target_archE1030ELNS1_3gpuE2ELNS1_3repE0EEENS1_30default_config_static_selectorELNS0_4arch9wavefront6targetE1EEEvSY_,"axG",@progbits,_ZN7rocprim17ROCPRIM_400000_NS6detail17trampoline_kernelINS0_13select_configILj256ELj13ELNS0_17block_load_methodE3ELS4_3ELS4_3ELNS0_20block_scan_algorithmE0ELj4294967295EEENS1_25partition_config_selectorILNS1_17partition_subalgoE3EjNS0_10empty_typeEbEEZZNS1_14partition_implILS8_3ELb0ES6_jNS0_17counting_iteratorIjlEEPS9_SE_NS0_5tupleIJPjSE_EEENSF_IJSE_SE_EEES9_SG_JZNS1_25segmented_radix_sort_implINS0_14default_configELb0EPKbPbPKlPlN2at6native12_GLOBAL__N_18offset_tEEE10hipError_tPvRmT1_PNSt15iterator_traitsISY_E10value_typeET2_T3_PNSZ_IS14_E10value_typeET4_jRbjT5_S1A_jjP12ihipStream_tbEUljE_EEESV_SW_SX_S14_S18_S1A_T6_T7_T9_mT8_S1C_bDpT10_ENKUlT_T0_E_clISt17integral_constantIbLb0EES1O_IbLb1EEEEDaS1K_S1L_EUlS1K_E_NS1_11comp_targetILNS1_3genE8ELNS1_11target_archE1030ELNS1_3gpuE2ELNS1_3repE0EEENS1_30default_config_static_selectorELNS0_4arch9wavefront6targetE1EEEvSY_,comdat
	.globl	_ZN7rocprim17ROCPRIM_400000_NS6detail17trampoline_kernelINS0_13select_configILj256ELj13ELNS0_17block_load_methodE3ELS4_3ELS4_3ELNS0_20block_scan_algorithmE0ELj4294967295EEENS1_25partition_config_selectorILNS1_17partition_subalgoE3EjNS0_10empty_typeEbEEZZNS1_14partition_implILS8_3ELb0ES6_jNS0_17counting_iteratorIjlEEPS9_SE_NS0_5tupleIJPjSE_EEENSF_IJSE_SE_EEES9_SG_JZNS1_25segmented_radix_sort_implINS0_14default_configELb0EPKbPbPKlPlN2at6native12_GLOBAL__N_18offset_tEEE10hipError_tPvRmT1_PNSt15iterator_traitsISY_E10value_typeET2_T3_PNSZ_IS14_E10value_typeET4_jRbjT5_S1A_jjP12ihipStream_tbEUljE_EEESV_SW_SX_S14_S18_S1A_T6_T7_T9_mT8_S1C_bDpT10_ENKUlT_T0_E_clISt17integral_constantIbLb0EES1O_IbLb1EEEEDaS1K_S1L_EUlS1K_E_NS1_11comp_targetILNS1_3genE8ELNS1_11target_archE1030ELNS1_3gpuE2ELNS1_3repE0EEENS1_30default_config_static_selectorELNS0_4arch9wavefront6targetE1EEEvSY_ ; -- Begin function _ZN7rocprim17ROCPRIM_400000_NS6detail17trampoline_kernelINS0_13select_configILj256ELj13ELNS0_17block_load_methodE3ELS4_3ELS4_3ELNS0_20block_scan_algorithmE0ELj4294967295EEENS1_25partition_config_selectorILNS1_17partition_subalgoE3EjNS0_10empty_typeEbEEZZNS1_14partition_implILS8_3ELb0ES6_jNS0_17counting_iteratorIjlEEPS9_SE_NS0_5tupleIJPjSE_EEENSF_IJSE_SE_EEES9_SG_JZNS1_25segmented_radix_sort_implINS0_14default_configELb0EPKbPbPKlPlN2at6native12_GLOBAL__N_18offset_tEEE10hipError_tPvRmT1_PNSt15iterator_traitsISY_E10value_typeET2_T3_PNSZ_IS14_E10value_typeET4_jRbjT5_S1A_jjP12ihipStream_tbEUljE_EEESV_SW_SX_S14_S18_S1A_T6_T7_T9_mT8_S1C_bDpT10_ENKUlT_T0_E_clISt17integral_constantIbLb0EES1O_IbLb1EEEEDaS1K_S1L_EUlS1K_E_NS1_11comp_targetILNS1_3genE8ELNS1_11target_archE1030ELNS1_3gpuE2ELNS1_3repE0EEENS1_30default_config_static_selectorELNS0_4arch9wavefront6targetE1EEEvSY_
	.p2align	8
	.type	_ZN7rocprim17ROCPRIM_400000_NS6detail17trampoline_kernelINS0_13select_configILj256ELj13ELNS0_17block_load_methodE3ELS4_3ELS4_3ELNS0_20block_scan_algorithmE0ELj4294967295EEENS1_25partition_config_selectorILNS1_17partition_subalgoE3EjNS0_10empty_typeEbEEZZNS1_14partition_implILS8_3ELb0ES6_jNS0_17counting_iteratorIjlEEPS9_SE_NS0_5tupleIJPjSE_EEENSF_IJSE_SE_EEES9_SG_JZNS1_25segmented_radix_sort_implINS0_14default_configELb0EPKbPbPKlPlN2at6native12_GLOBAL__N_18offset_tEEE10hipError_tPvRmT1_PNSt15iterator_traitsISY_E10value_typeET2_T3_PNSZ_IS14_E10value_typeET4_jRbjT5_S1A_jjP12ihipStream_tbEUljE_EEESV_SW_SX_S14_S18_S1A_T6_T7_T9_mT8_S1C_bDpT10_ENKUlT_T0_E_clISt17integral_constantIbLb0EES1O_IbLb1EEEEDaS1K_S1L_EUlS1K_E_NS1_11comp_targetILNS1_3genE8ELNS1_11target_archE1030ELNS1_3gpuE2ELNS1_3repE0EEENS1_30default_config_static_selectorELNS0_4arch9wavefront6targetE1EEEvSY_,@function
_ZN7rocprim17ROCPRIM_400000_NS6detail17trampoline_kernelINS0_13select_configILj256ELj13ELNS0_17block_load_methodE3ELS4_3ELS4_3ELNS0_20block_scan_algorithmE0ELj4294967295EEENS1_25partition_config_selectorILNS1_17partition_subalgoE3EjNS0_10empty_typeEbEEZZNS1_14partition_implILS8_3ELb0ES6_jNS0_17counting_iteratorIjlEEPS9_SE_NS0_5tupleIJPjSE_EEENSF_IJSE_SE_EEES9_SG_JZNS1_25segmented_radix_sort_implINS0_14default_configELb0EPKbPbPKlPlN2at6native12_GLOBAL__N_18offset_tEEE10hipError_tPvRmT1_PNSt15iterator_traitsISY_E10value_typeET2_T3_PNSZ_IS14_E10value_typeET4_jRbjT5_S1A_jjP12ihipStream_tbEUljE_EEESV_SW_SX_S14_S18_S1A_T6_T7_T9_mT8_S1C_bDpT10_ENKUlT_T0_E_clISt17integral_constantIbLb0EES1O_IbLb1EEEEDaS1K_S1L_EUlS1K_E_NS1_11comp_targetILNS1_3genE8ELNS1_11target_archE1030ELNS1_3gpuE2ELNS1_3repE0EEENS1_30default_config_static_selectorELNS0_4arch9wavefront6targetE1EEEvSY_: ; @_ZN7rocprim17ROCPRIM_400000_NS6detail17trampoline_kernelINS0_13select_configILj256ELj13ELNS0_17block_load_methodE3ELS4_3ELS4_3ELNS0_20block_scan_algorithmE0ELj4294967295EEENS1_25partition_config_selectorILNS1_17partition_subalgoE3EjNS0_10empty_typeEbEEZZNS1_14partition_implILS8_3ELb0ES6_jNS0_17counting_iteratorIjlEEPS9_SE_NS0_5tupleIJPjSE_EEENSF_IJSE_SE_EEES9_SG_JZNS1_25segmented_radix_sort_implINS0_14default_configELb0EPKbPbPKlPlN2at6native12_GLOBAL__N_18offset_tEEE10hipError_tPvRmT1_PNSt15iterator_traitsISY_E10value_typeET2_T3_PNSZ_IS14_E10value_typeET4_jRbjT5_S1A_jjP12ihipStream_tbEUljE_EEESV_SW_SX_S14_S18_S1A_T6_T7_T9_mT8_S1C_bDpT10_ENKUlT_T0_E_clISt17integral_constantIbLb0EES1O_IbLb1EEEEDaS1K_S1L_EUlS1K_E_NS1_11comp_targetILNS1_3genE8ELNS1_11target_archE1030ELNS1_3gpuE2ELNS1_3repE0EEENS1_30default_config_static_selectorELNS0_4arch9wavefront6targetE1EEEvSY_
; %bb.0:
	.section	.rodata,"a",@progbits
	.p2align	6, 0x0
	.amdhsa_kernel _ZN7rocprim17ROCPRIM_400000_NS6detail17trampoline_kernelINS0_13select_configILj256ELj13ELNS0_17block_load_methodE3ELS4_3ELS4_3ELNS0_20block_scan_algorithmE0ELj4294967295EEENS1_25partition_config_selectorILNS1_17partition_subalgoE3EjNS0_10empty_typeEbEEZZNS1_14partition_implILS8_3ELb0ES6_jNS0_17counting_iteratorIjlEEPS9_SE_NS0_5tupleIJPjSE_EEENSF_IJSE_SE_EEES9_SG_JZNS1_25segmented_radix_sort_implINS0_14default_configELb0EPKbPbPKlPlN2at6native12_GLOBAL__N_18offset_tEEE10hipError_tPvRmT1_PNSt15iterator_traitsISY_E10value_typeET2_T3_PNSZ_IS14_E10value_typeET4_jRbjT5_S1A_jjP12ihipStream_tbEUljE_EEESV_SW_SX_S14_S18_S1A_T6_T7_T9_mT8_S1C_bDpT10_ENKUlT_T0_E_clISt17integral_constantIbLb0EES1O_IbLb1EEEEDaS1K_S1L_EUlS1K_E_NS1_11comp_targetILNS1_3genE8ELNS1_11target_archE1030ELNS1_3gpuE2ELNS1_3repE0EEENS1_30default_config_static_selectorELNS0_4arch9wavefront6targetE1EEEvSY_
		.amdhsa_group_segment_fixed_size 0
		.amdhsa_private_segment_fixed_size 0
		.amdhsa_kernarg_size 152
		.amdhsa_user_sgpr_count 6
		.amdhsa_user_sgpr_private_segment_buffer 1
		.amdhsa_user_sgpr_dispatch_ptr 0
		.amdhsa_user_sgpr_queue_ptr 0
		.amdhsa_user_sgpr_kernarg_segment_ptr 1
		.amdhsa_user_sgpr_dispatch_id 0
		.amdhsa_user_sgpr_flat_scratch_init 0
		.amdhsa_user_sgpr_kernarg_preload_length 0
		.amdhsa_user_sgpr_kernarg_preload_offset 0
		.amdhsa_user_sgpr_private_segment_size 0
		.amdhsa_uses_dynamic_stack 0
		.amdhsa_system_sgpr_private_segment_wavefront_offset 0
		.amdhsa_system_sgpr_workgroup_id_x 1
		.amdhsa_system_sgpr_workgroup_id_y 0
		.amdhsa_system_sgpr_workgroup_id_z 0
		.amdhsa_system_sgpr_workgroup_info 0
		.amdhsa_system_vgpr_workitem_id 0
		.amdhsa_next_free_vgpr 1
		.amdhsa_next_free_sgpr 0
		.amdhsa_accum_offset 4
		.amdhsa_reserve_vcc 0
		.amdhsa_reserve_flat_scratch 0
		.amdhsa_float_round_mode_32 0
		.amdhsa_float_round_mode_16_64 0
		.amdhsa_float_denorm_mode_32 3
		.amdhsa_float_denorm_mode_16_64 3
		.amdhsa_dx10_clamp 1
		.amdhsa_ieee_mode 1
		.amdhsa_fp16_overflow 0
		.amdhsa_tg_split 0
		.amdhsa_exception_fp_ieee_invalid_op 0
		.amdhsa_exception_fp_denorm_src 0
		.amdhsa_exception_fp_ieee_div_zero 0
		.amdhsa_exception_fp_ieee_overflow 0
		.amdhsa_exception_fp_ieee_underflow 0
		.amdhsa_exception_fp_ieee_inexact 0
		.amdhsa_exception_int_div_zero 0
	.end_amdhsa_kernel
	.section	.text._ZN7rocprim17ROCPRIM_400000_NS6detail17trampoline_kernelINS0_13select_configILj256ELj13ELNS0_17block_load_methodE3ELS4_3ELS4_3ELNS0_20block_scan_algorithmE0ELj4294967295EEENS1_25partition_config_selectorILNS1_17partition_subalgoE3EjNS0_10empty_typeEbEEZZNS1_14partition_implILS8_3ELb0ES6_jNS0_17counting_iteratorIjlEEPS9_SE_NS0_5tupleIJPjSE_EEENSF_IJSE_SE_EEES9_SG_JZNS1_25segmented_radix_sort_implINS0_14default_configELb0EPKbPbPKlPlN2at6native12_GLOBAL__N_18offset_tEEE10hipError_tPvRmT1_PNSt15iterator_traitsISY_E10value_typeET2_T3_PNSZ_IS14_E10value_typeET4_jRbjT5_S1A_jjP12ihipStream_tbEUljE_EEESV_SW_SX_S14_S18_S1A_T6_T7_T9_mT8_S1C_bDpT10_ENKUlT_T0_E_clISt17integral_constantIbLb0EES1O_IbLb1EEEEDaS1K_S1L_EUlS1K_E_NS1_11comp_targetILNS1_3genE8ELNS1_11target_archE1030ELNS1_3gpuE2ELNS1_3repE0EEENS1_30default_config_static_selectorELNS0_4arch9wavefront6targetE1EEEvSY_,"axG",@progbits,_ZN7rocprim17ROCPRIM_400000_NS6detail17trampoline_kernelINS0_13select_configILj256ELj13ELNS0_17block_load_methodE3ELS4_3ELS4_3ELNS0_20block_scan_algorithmE0ELj4294967295EEENS1_25partition_config_selectorILNS1_17partition_subalgoE3EjNS0_10empty_typeEbEEZZNS1_14partition_implILS8_3ELb0ES6_jNS0_17counting_iteratorIjlEEPS9_SE_NS0_5tupleIJPjSE_EEENSF_IJSE_SE_EEES9_SG_JZNS1_25segmented_radix_sort_implINS0_14default_configELb0EPKbPbPKlPlN2at6native12_GLOBAL__N_18offset_tEEE10hipError_tPvRmT1_PNSt15iterator_traitsISY_E10value_typeET2_T3_PNSZ_IS14_E10value_typeET4_jRbjT5_S1A_jjP12ihipStream_tbEUljE_EEESV_SW_SX_S14_S18_S1A_T6_T7_T9_mT8_S1C_bDpT10_ENKUlT_T0_E_clISt17integral_constantIbLb0EES1O_IbLb1EEEEDaS1K_S1L_EUlS1K_E_NS1_11comp_targetILNS1_3genE8ELNS1_11target_archE1030ELNS1_3gpuE2ELNS1_3repE0EEENS1_30default_config_static_selectorELNS0_4arch9wavefront6targetE1EEEvSY_,comdat
.Lfunc_end1632:
	.size	_ZN7rocprim17ROCPRIM_400000_NS6detail17trampoline_kernelINS0_13select_configILj256ELj13ELNS0_17block_load_methodE3ELS4_3ELS4_3ELNS0_20block_scan_algorithmE0ELj4294967295EEENS1_25partition_config_selectorILNS1_17partition_subalgoE3EjNS0_10empty_typeEbEEZZNS1_14partition_implILS8_3ELb0ES6_jNS0_17counting_iteratorIjlEEPS9_SE_NS0_5tupleIJPjSE_EEENSF_IJSE_SE_EEES9_SG_JZNS1_25segmented_radix_sort_implINS0_14default_configELb0EPKbPbPKlPlN2at6native12_GLOBAL__N_18offset_tEEE10hipError_tPvRmT1_PNSt15iterator_traitsISY_E10value_typeET2_T3_PNSZ_IS14_E10value_typeET4_jRbjT5_S1A_jjP12ihipStream_tbEUljE_EEESV_SW_SX_S14_S18_S1A_T6_T7_T9_mT8_S1C_bDpT10_ENKUlT_T0_E_clISt17integral_constantIbLb0EES1O_IbLb1EEEEDaS1K_S1L_EUlS1K_E_NS1_11comp_targetILNS1_3genE8ELNS1_11target_archE1030ELNS1_3gpuE2ELNS1_3repE0EEENS1_30default_config_static_selectorELNS0_4arch9wavefront6targetE1EEEvSY_, .Lfunc_end1632-_ZN7rocprim17ROCPRIM_400000_NS6detail17trampoline_kernelINS0_13select_configILj256ELj13ELNS0_17block_load_methodE3ELS4_3ELS4_3ELNS0_20block_scan_algorithmE0ELj4294967295EEENS1_25partition_config_selectorILNS1_17partition_subalgoE3EjNS0_10empty_typeEbEEZZNS1_14partition_implILS8_3ELb0ES6_jNS0_17counting_iteratorIjlEEPS9_SE_NS0_5tupleIJPjSE_EEENSF_IJSE_SE_EEES9_SG_JZNS1_25segmented_radix_sort_implINS0_14default_configELb0EPKbPbPKlPlN2at6native12_GLOBAL__N_18offset_tEEE10hipError_tPvRmT1_PNSt15iterator_traitsISY_E10value_typeET2_T3_PNSZ_IS14_E10value_typeET4_jRbjT5_S1A_jjP12ihipStream_tbEUljE_EEESV_SW_SX_S14_S18_S1A_T6_T7_T9_mT8_S1C_bDpT10_ENKUlT_T0_E_clISt17integral_constantIbLb0EES1O_IbLb1EEEEDaS1K_S1L_EUlS1K_E_NS1_11comp_targetILNS1_3genE8ELNS1_11target_archE1030ELNS1_3gpuE2ELNS1_3repE0EEENS1_30default_config_static_selectorELNS0_4arch9wavefront6targetE1EEEvSY_
                                        ; -- End function
	.section	.AMDGPU.csdata,"",@progbits
; Kernel info:
; codeLenInByte = 0
; NumSgprs: 4
; NumVgprs: 0
; NumAgprs: 0
; TotalNumVgprs: 0
; ScratchSize: 0
; MemoryBound: 0
; FloatMode: 240
; IeeeMode: 1
; LDSByteSize: 0 bytes/workgroup (compile time only)
; SGPRBlocks: 0
; VGPRBlocks: 0
; NumSGPRsForWavesPerEU: 4
; NumVGPRsForWavesPerEU: 1
; AccumOffset: 4
; Occupancy: 8
; WaveLimiterHint : 0
; COMPUTE_PGM_RSRC2:SCRATCH_EN: 0
; COMPUTE_PGM_RSRC2:USER_SGPR: 6
; COMPUTE_PGM_RSRC2:TRAP_HANDLER: 0
; COMPUTE_PGM_RSRC2:TGID_X_EN: 1
; COMPUTE_PGM_RSRC2:TGID_Y_EN: 0
; COMPUTE_PGM_RSRC2:TGID_Z_EN: 0
; COMPUTE_PGM_RSRC2:TIDIG_COMP_CNT: 0
; COMPUTE_PGM_RSRC3_GFX90A:ACCUM_OFFSET: 0
; COMPUTE_PGM_RSRC3_GFX90A:TG_SPLIT: 0
	.section	.text._ZN7rocprim17ROCPRIM_400000_NS6detail17trampoline_kernelINS0_14default_configENS1_36segmented_radix_sort_config_selectorIblEEZNS1_25segmented_radix_sort_implIS3_Lb0EPKbPbPKlPlN2at6native12_GLOBAL__N_18offset_tEEE10hipError_tPvRmT1_PNSt15iterator_traitsISK_E10value_typeET2_T3_PNSL_ISQ_E10value_typeET4_jRbjT5_SW_jjP12ihipStream_tbEUlT_E_NS1_11comp_targetILNS1_3genE0ELNS1_11target_archE4294967295ELNS1_3gpuE0ELNS1_3repE0EEENS1_30default_config_static_selectorELNS0_4arch9wavefront6targetE1EEEvSK_,"axG",@progbits,_ZN7rocprim17ROCPRIM_400000_NS6detail17trampoline_kernelINS0_14default_configENS1_36segmented_radix_sort_config_selectorIblEEZNS1_25segmented_radix_sort_implIS3_Lb0EPKbPbPKlPlN2at6native12_GLOBAL__N_18offset_tEEE10hipError_tPvRmT1_PNSt15iterator_traitsISK_E10value_typeET2_T3_PNSL_ISQ_E10value_typeET4_jRbjT5_SW_jjP12ihipStream_tbEUlT_E_NS1_11comp_targetILNS1_3genE0ELNS1_11target_archE4294967295ELNS1_3gpuE0ELNS1_3repE0EEENS1_30default_config_static_selectorELNS0_4arch9wavefront6targetE1EEEvSK_,comdat
	.globl	_ZN7rocprim17ROCPRIM_400000_NS6detail17trampoline_kernelINS0_14default_configENS1_36segmented_radix_sort_config_selectorIblEEZNS1_25segmented_radix_sort_implIS3_Lb0EPKbPbPKlPlN2at6native12_GLOBAL__N_18offset_tEEE10hipError_tPvRmT1_PNSt15iterator_traitsISK_E10value_typeET2_T3_PNSL_ISQ_E10value_typeET4_jRbjT5_SW_jjP12ihipStream_tbEUlT_E_NS1_11comp_targetILNS1_3genE0ELNS1_11target_archE4294967295ELNS1_3gpuE0ELNS1_3repE0EEENS1_30default_config_static_selectorELNS0_4arch9wavefront6targetE1EEEvSK_ ; -- Begin function _ZN7rocprim17ROCPRIM_400000_NS6detail17trampoline_kernelINS0_14default_configENS1_36segmented_radix_sort_config_selectorIblEEZNS1_25segmented_radix_sort_implIS3_Lb0EPKbPbPKlPlN2at6native12_GLOBAL__N_18offset_tEEE10hipError_tPvRmT1_PNSt15iterator_traitsISK_E10value_typeET2_T3_PNSL_ISQ_E10value_typeET4_jRbjT5_SW_jjP12ihipStream_tbEUlT_E_NS1_11comp_targetILNS1_3genE0ELNS1_11target_archE4294967295ELNS1_3gpuE0ELNS1_3repE0EEENS1_30default_config_static_selectorELNS0_4arch9wavefront6targetE1EEEvSK_
	.p2align	8
	.type	_ZN7rocprim17ROCPRIM_400000_NS6detail17trampoline_kernelINS0_14default_configENS1_36segmented_radix_sort_config_selectorIblEEZNS1_25segmented_radix_sort_implIS3_Lb0EPKbPbPKlPlN2at6native12_GLOBAL__N_18offset_tEEE10hipError_tPvRmT1_PNSt15iterator_traitsISK_E10value_typeET2_T3_PNSL_ISQ_E10value_typeET4_jRbjT5_SW_jjP12ihipStream_tbEUlT_E_NS1_11comp_targetILNS1_3genE0ELNS1_11target_archE4294967295ELNS1_3gpuE0ELNS1_3repE0EEENS1_30default_config_static_selectorELNS0_4arch9wavefront6targetE1EEEvSK_,@function
_ZN7rocprim17ROCPRIM_400000_NS6detail17trampoline_kernelINS0_14default_configENS1_36segmented_radix_sort_config_selectorIblEEZNS1_25segmented_radix_sort_implIS3_Lb0EPKbPbPKlPlN2at6native12_GLOBAL__N_18offset_tEEE10hipError_tPvRmT1_PNSt15iterator_traitsISK_E10value_typeET2_T3_PNSL_ISQ_E10value_typeET4_jRbjT5_SW_jjP12ihipStream_tbEUlT_E_NS1_11comp_targetILNS1_3genE0ELNS1_11target_archE4294967295ELNS1_3gpuE0ELNS1_3repE0EEENS1_30default_config_static_selectorELNS0_4arch9wavefront6targetE1EEEvSK_: ; @_ZN7rocprim17ROCPRIM_400000_NS6detail17trampoline_kernelINS0_14default_configENS1_36segmented_radix_sort_config_selectorIblEEZNS1_25segmented_radix_sort_implIS3_Lb0EPKbPbPKlPlN2at6native12_GLOBAL__N_18offset_tEEE10hipError_tPvRmT1_PNSt15iterator_traitsISK_E10value_typeET2_T3_PNSL_ISQ_E10value_typeET4_jRbjT5_SW_jjP12ihipStream_tbEUlT_E_NS1_11comp_targetILNS1_3genE0ELNS1_11target_archE4294967295ELNS1_3gpuE0ELNS1_3repE0EEENS1_30default_config_static_selectorELNS0_4arch9wavefront6targetE1EEEvSK_
; %bb.0:
	.section	.rodata,"a",@progbits
	.p2align	6, 0x0
	.amdhsa_kernel _ZN7rocprim17ROCPRIM_400000_NS6detail17trampoline_kernelINS0_14default_configENS1_36segmented_radix_sort_config_selectorIblEEZNS1_25segmented_radix_sort_implIS3_Lb0EPKbPbPKlPlN2at6native12_GLOBAL__N_18offset_tEEE10hipError_tPvRmT1_PNSt15iterator_traitsISK_E10value_typeET2_T3_PNSL_ISQ_E10value_typeET4_jRbjT5_SW_jjP12ihipStream_tbEUlT_E_NS1_11comp_targetILNS1_3genE0ELNS1_11target_archE4294967295ELNS1_3gpuE0ELNS1_3repE0EEENS1_30default_config_static_selectorELNS0_4arch9wavefront6targetE1EEEvSK_
		.amdhsa_group_segment_fixed_size 0
		.amdhsa_private_segment_fixed_size 0
		.amdhsa_kernarg_size 96
		.amdhsa_user_sgpr_count 6
		.amdhsa_user_sgpr_private_segment_buffer 1
		.amdhsa_user_sgpr_dispatch_ptr 0
		.amdhsa_user_sgpr_queue_ptr 0
		.amdhsa_user_sgpr_kernarg_segment_ptr 1
		.amdhsa_user_sgpr_dispatch_id 0
		.amdhsa_user_sgpr_flat_scratch_init 0
		.amdhsa_user_sgpr_kernarg_preload_length 0
		.amdhsa_user_sgpr_kernarg_preload_offset 0
		.amdhsa_user_sgpr_private_segment_size 0
		.amdhsa_uses_dynamic_stack 0
		.amdhsa_system_sgpr_private_segment_wavefront_offset 0
		.amdhsa_system_sgpr_workgroup_id_x 1
		.amdhsa_system_sgpr_workgroup_id_y 0
		.amdhsa_system_sgpr_workgroup_id_z 0
		.amdhsa_system_sgpr_workgroup_info 0
		.amdhsa_system_vgpr_workitem_id 0
		.amdhsa_next_free_vgpr 1
		.amdhsa_next_free_sgpr 0
		.amdhsa_accum_offset 4
		.amdhsa_reserve_vcc 0
		.amdhsa_reserve_flat_scratch 0
		.amdhsa_float_round_mode_32 0
		.amdhsa_float_round_mode_16_64 0
		.amdhsa_float_denorm_mode_32 3
		.amdhsa_float_denorm_mode_16_64 3
		.amdhsa_dx10_clamp 1
		.amdhsa_ieee_mode 1
		.amdhsa_fp16_overflow 0
		.amdhsa_tg_split 0
		.amdhsa_exception_fp_ieee_invalid_op 0
		.amdhsa_exception_fp_denorm_src 0
		.amdhsa_exception_fp_ieee_div_zero 0
		.amdhsa_exception_fp_ieee_overflow 0
		.amdhsa_exception_fp_ieee_underflow 0
		.amdhsa_exception_fp_ieee_inexact 0
		.amdhsa_exception_int_div_zero 0
	.end_amdhsa_kernel
	.section	.text._ZN7rocprim17ROCPRIM_400000_NS6detail17trampoline_kernelINS0_14default_configENS1_36segmented_radix_sort_config_selectorIblEEZNS1_25segmented_radix_sort_implIS3_Lb0EPKbPbPKlPlN2at6native12_GLOBAL__N_18offset_tEEE10hipError_tPvRmT1_PNSt15iterator_traitsISK_E10value_typeET2_T3_PNSL_ISQ_E10value_typeET4_jRbjT5_SW_jjP12ihipStream_tbEUlT_E_NS1_11comp_targetILNS1_3genE0ELNS1_11target_archE4294967295ELNS1_3gpuE0ELNS1_3repE0EEENS1_30default_config_static_selectorELNS0_4arch9wavefront6targetE1EEEvSK_,"axG",@progbits,_ZN7rocprim17ROCPRIM_400000_NS6detail17trampoline_kernelINS0_14default_configENS1_36segmented_radix_sort_config_selectorIblEEZNS1_25segmented_radix_sort_implIS3_Lb0EPKbPbPKlPlN2at6native12_GLOBAL__N_18offset_tEEE10hipError_tPvRmT1_PNSt15iterator_traitsISK_E10value_typeET2_T3_PNSL_ISQ_E10value_typeET4_jRbjT5_SW_jjP12ihipStream_tbEUlT_E_NS1_11comp_targetILNS1_3genE0ELNS1_11target_archE4294967295ELNS1_3gpuE0ELNS1_3repE0EEENS1_30default_config_static_selectorELNS0_4arch9wavefront6targetE1EEEvSK_,comdat
.Lfunc_end1633:
	.size	_ZN7rocprim17ROCPRIM_400000_NS6detail17trampoline_kernelINS0_14default_configENS1_36segmented_radix_sort_config_selectorIblEEZNS1_25segmented_radix_sort_implIS3_Lb0EPKbPbPKlPlN2at6native12_GLOBAL__N_18offset_tEEE10hipError_tPvRmT1_PNSt15iterator_traitsISK_E10value_typeET2_T3_PNSL_ISQ_E10value_typeET4_jRbjT5_SW_jjP12ihipStream_tbEUlT_E_NS1_11comp_targetILNS1_3genE0ELNS1_11target_archE4294967295ELNS1_3gpuE0ELNS1_3repE0EEENS1_30default_config_static_selectorELNS0_4arch9wavefront6targetE1EEEvSK_, .Lfunc_end1633-_ZN7rocprim17ROCPRIM_400000_NS6detail17trampoline_kernelINS0_14default_configENS1_36segmented_radix_sort_config_selectorIblEEZNS1_25segmented_radix_sort_implIS3_Lb0EPKbPbPKlPlN2at6native12_GLOBAL__N_18offset_tEEE10hipError_tPvRmT1_PNSt15iterator_traitsISK_E10value_typeET2_T3_PNSL_ISQ_E10value_typeET4_jRbjT5_SW_jjP12ihipStream_tbEUlT_E_NS1_11comp_targetILNS1_3genE0ELNS1_11target_archE4294967295ELNS1_3gpuE0ELNS1_3repE0EEENS1_30default_config_static_selectorELNS0_4arch9wavefront6targetE1EEEvSK_
                                        ; -- End function
	.section	.AMDGPU.csdata,"",@progbits
; Kernel info:
; codeLenInByte = 0
; NumSgprs: 4
; NumVgprs: 0
; NumAgprs: 0
; TotalNumVgprs: 0
; ScratchSize: 0
; MemoryBound: 0
; FloatMode: 240
; IeeeMode: 1
; LDSByteSize: 0 bytes/workgroup (compile time only)
; SGPRBlocks: 0
; VGPRBlocks: 0
; NumSGPRsForWavesPerEU: 4
; NumVGPRsForWavesPerEU: 1
; AccumOffset: 4
; Occupancy: 8
; WaveLimiterHint : 0
; COMPUTE_PGM_RSRC2:SCRATCH_EN: 0
; COMPUTE_PGM_RSRC2:USER_SGPR: 6
; COMPUTE_PGM_RSRC2:TRAP_HANDLER: 0
; COMPUTE_PGM_RSRC2:TGID_X_EN: 1
; COMPUTE_PGM_RSRC2:TGID_Y_EN: 0
; COMPUTE_PGM_RSRC2:TGID_Z_EN: 0
; COMPUTE_PGM_RSRC2:TIDIG_COMP_CNT: 0
; COMPUTE_PGM_RSRC3_GFX90A:ACCUM_OFFSET: 0
; COMPUTE_PGM_RSRC3_GFX90A:TG_SPLIT: 0
	.section	.text._ZN7rocprim17ROCPRIM_400000_NS6detail17trampoline_kernelINS0_14default_configENS1_36segmented_radix_sort_config_selectorIblEEZNS1_25segmented_radix_sort_implIS3_Lb0EPKbPbPKlPlN2at6native12_GLOBAL__N_18offset_tEEE10hipError_tPvRmT1_PNSt15iterator_traitsISK_E10value_typeET2_T3_PNSL_ISQ_E10value_typeET4_jRbjT5_SW_jjP12ihipStream_tbEUlT_E_NS1_11comp_targetILNS1_3genE5ELNS1_11target_archE942ELNS1_3gpuE9ELNS1_3repE0EEENS1_30default_config_static_selectorELNS0_4arch9wavefront6targetE1EEEvSK_,"axG",@progbits,_ZN7rocprim17ROCPRIM_400000_NS6detail17trampoline_kernelINS0_14default_configENS1_36segmented_radix_sort_config_selectorIblEEZNS1_25segmented_radix_sort_implIS3_Lb0EPKbPbPKlPlN2at6native12_GLOBAL__N_18offset_tEEE10hipError_tPvRmT1_PNSt15iterator_traitsISK_E10value_typeET2_T3_PNSL_ISQ_E10value_typeET4_jRbjT5_SW_jjP12ihipStream_tbEUlT_E_NS1_11comp_targetILNS1_3genE5ELNS1_11target_archE942ELNS1_3gpuE9ELNS1_3repE0EEENS1_30default_config_static_selectorELNS0_4arch9wavefront6targetE1EEEvSK_,comdat
	.globl	_ZN7rocprim17ROCPRIM_400000_NS6detail17trampoline_kernelINS0_14default_configENS1_36segmented_radix_sort_config_selectorIblEEZNS1_25segmented_radix_sort_implIS3_Lb0EPKbPbPKlPlN2at6native12_GLOBAL__N_18offset_tEEE10hipError_tPvRmT1_PNSt15iterator_traitsISK_E10value_typeET2_T3_PNSL_ISQ_E10value_typeET4_jRbjT5_SW_jjP12ihipStream_tbEUlT_E_NS1_11comp_targetILNS1_3genE5ELNS1_11target_archE942ELNS1_3gpuE9ELNS1_3repE0EEENS1_30default_config_static_selectorELNS0_4arch9wavefront6targetE1EEEvSK_ ; -- Begin function _ZN7rocprim17ROCPRIM_400000_NS6detail17trampoline_kernelINS0_14default_configENS1_36segmented_radix_sort_config_selectorIblEEZNS1_25segmented_radix_sort_implIS3_Lb0EPKbPbPKlPlN2at6native12_GLOBAL__N_18offset_tEEE10hipError_tPvRmT1_PNSt15iterator_traitsISK_E10value_typeET2_T3_PNSL_ISQ_E10value_typeET4_jRbjT5_SW_jjP12ihipStream_tbEUlT_E_NS1_11comp_targetILNS1_3genE5ELNS1_11target_archE942ELNS1_3gpuE9ELNS1_3repE0EEENS1_30default_config_static_selectorELNS0_4arch9wavefront6targetE1EEEvSK_
	.p2align	8
	.type	_ZN7rocprim17ROCPRIM_400000_NS6detail17trampoline_kernelINS0_14default_configENS1_36segmented_radix_sort_config_selectorIblEEZNS1_25segmented_radix_sort_implIS3_Lb0EPKbPbPKlPlN2at6native12_GLOBAL__N_18offset_tEEE10hipError_tPvRmT1_PNSt15iterator_traitsISK_E10value_typeET2_T3_PNSL_ISQ_E10value_typeET4_jRbjT5_SW_jjP12ihipStream_tbEUlT_E_NS1_11comp_targetILNS1_3genE5ELNS1_11target_archE942ELNS1_3gpuE9ELNS1_3repE0EEENS1_30default_config_static_selectorELNS0_4arch9wavefront6targetE1EEEvSK_,@function
_ZN7rocprim17ROCPRIM_400000_NS6detail17trampoline_kernelINS0_14default_configENS1_36segmented_radix_sort_config_selectorIblEEZNS1_25segmented_radix_sort_implIS3_Lb0EPKbPbPKlPlN2at6native12_GLOBAL__N_18offset_tEEE10hipError_tPvRmT1_PNSt15iterator_traitsISK_E10value_typeET2_T3_PNSL_ISQ_E10value_typeET4_jRbjT5_SW_jjP12ihipStream_tbEUlT_E_NS1_11comp_targetILNS1_3genE5ELNS1_11target_archE942ELNS1_3gpuE9ELNS1_3repE0EEENS1_30default_config_static_selectorELNS0_4arch9wavefront6targetE1EEEvSK_: ; @_ZN7rocprim17ROCPRIM_400000_NS6detail17trampoline_kernelINS0_14default_configENS1_36segmented_radix_sort_config_selectorIblEEZNS1_25segmented_radix_sort_implIS3_Lb0EPKbPbPKlPlN2at6native12_GLOBAL__N_18offset_tEEE10hipError_tPvRmT1_PNSt15iterator_traitsISK_E10value_typeET2_T3_PNSL_ISQ_E10value_typeET4_jRbjT5_SW_jjP12ihipStream_tbEUlT_E_NS1_11comp_targetILNS1_3genE5ELNS1_11target_archE942ELNS1_3gpuE9ELNS1_3repE0EEENS1_30default_config_static_selectorELNS0_4arch9wavefront6targetE1EEEvSK_
; %bb.0:
	.section	.rodata,"a",@progbits
	.p2align	6, 0x0
	.amdhsa_kernel _ZN7rocprim17ROCPRIM_400000_NS6detail17trampoline_kernelINS0_14default_configENS1_36segmented_radix_sort_config_selectorIblEEZNS1_25segmented_radix_sort_implIS3_Lb0EPKbPbPKlPlN2at6native12_GLOBAL__N_18offset_tEEE10hipError_tPvRmT1_PNSt15iterator_traitsISK_E10value_typeET2_T3_PNSL_ISQ_E10value_typeET4_jRbjT5_SW_jjP12ihipStream_tbEUlT_E_NS1_11comp_targetILNS1_3genE5ELNS1_11target_archE942ELNS1_3gpuE9ELNS1_3repE0EEENS1_30default_config_static_selectorELNS0_4arch9wavefront6targetE1EEEvSK_
		.amdhsa_group_segment_fixed_size 0
		.amdhsa_private_segment_fixed_size 0
		.amdhsa_kernarg_size 96
		.amdhsa_user_sgpr_count 6
		.amdhsa_user_sgpr_private_segment_buffer 1
		.amdhsa_user_sgpr_dispatch_ptr 0
		.amdhsa_user_sgpr_queue_ptr 0
		.amdhsa_user_sgpr_kernarg_segment_ptr 1
		.amdhsa_user_sgpr_dispatch_id 0
		.amdhsa_user_sgpr_flat_scratch_init 0
		.amdhsa_user_sgpr_kernarg_preload_length 0
		.amdhsa_user_sgpr_kernarg_preload_offset 0
		.amdhsa_user_sgpr_private_segment_size 0
		.amdhsa_uses_dynamic_stack 0
		.amdhsa_system_sgpr_private_segment_wavefront_offset 0
		.amdhsa_system_sgpr_workgroup_id_x 1
		.amdhsa_system_sgpr_workgroup_id_y 0
		.amdhsa_system_sgpr_workgroup_id_z 0
		.amdhsa_system_sgpr_workgroup_info 0
		.amdhsa_system_vgpr_workitem_id 0
		.amdhsa_next_free_vgpr 1
		.amdhsa_next_free_sgpr 0
		.amdhsa_accum_offset 4
		.amdhsa_reserve_vcc 0
		.amdhsa_reserve_flat_scratch 0
		.amdhsa_float_round_mode_32 0
		.amdhsa_float_round_mode_16_64 0
		.amdhsa_float_denorm_mode_32 3
		.amdhsa_float_denorm_mode_16_64 3
		.amdhsa_dx10_clamp 1
		.amdhsa_ieee_mode 1
		.amdhsa_fp16_overflow 0
		.amdhsa_tg_split 0
		.amdhsa_exception_fp_ieee_invalid_op 0
		.amdhsa_exception_fp_denorm_src 0
		.amdhsa_exception_fp_ieee_div_zero 0
		.amdhsa_exception_fp_ieee_overflow 0
		.amdhsa_exception_fp_ieee_underflow 0
		.amdhsa_exception_fp_ieee_inexact 0
		.amdhsa_exception_int_div_zero 0
	.end_amdhsa_kernel
	.section	.text._ZN7rocprim17ROCPRIM_400000_NS6detail17trampoline_kernelINS0_14default_configENS1_36segmented_radix_sort_config_selectorIblEEZNS1_25segmented_radix_sort_implIS3_Lb0EPKbPbPKlPlN2at6native12_GLOBAL__N_18offset_tEEE10hipError_tPvRmT1_PNSt15iterator_traitsISK_E10value_typeET2_T3_PNSL_ISQ_E10value_typeET4_jRbjT5_SW_jjP12ihipStream_tbEUlT_E_NS1_11comp_targetILNS1_3genE5ELNS1_11target_archE942ELNS1_3gpuE9ELNS1_3repE0EEENS1_30default_config_static_selectorELNS0_4arch9wavefront6targetE1EEEvSK_,"axG",@progbits,_ZN7rocprim17ROCPRIM_400000_NS6detail17trampoline_kernelINS0_14default_configENS1_36segmented_radix_sort_config_selectorIblEEZNS1_25segmented_radix_sort_implIS3_Lb0EPKbPbPKlPlN2at6native12_GLOBAL__N_18offset_tEEE10hipError_tPvRmT1_PNSt15iterator_traitsISK_E10value_typeET2_T3_PNSL_ISQ_E10value_typeET4_jRbjT5_SW_jjP12ihipStream_tbEUlT_E_NS1_11comp_targetILNS1_3genE5ELNS1_11target_archE942ELNS1_3gpuE9ELNS1_3repE0EEENS1_30default_config_static_selectorELNS0_4arch9wavefront6targetE1EEEvSK_,comdat
.Lfunc_end1634:
	.size	_ZN7rocprim17ROCPRIM_400000_NS6detail17trampoline_kernelINS0_14default_configENS1_36segmented_radix_sort_config_selectorIblEEZNS1_25segmented_radix_sort_implIS3_Lb0EPKbPbPKlPlN2at6native12_GLOBAL__N_18offset_tEEE10hipError_tPvRmT1_PNSt15iterator_traitsISK_E10value_typeET2_T3_PNSL_ISQ_E10value_typeET4_jRbjT5_SW_jjP12ihipStream_tbEUlT_E_NS1_11comp_targetILNS1_3genE5ELNS1_11target_archE942ELNS1_3gpuE9ELNS1_3repE0EEENS1_30default_config_static_selectorELNS0_4arch9wavefront6targetE1EEEvSK_, .Lfunc_end1634-_ZN7rocprim17ROCPRIM_400000_NS6detail17trampoline_kernelINS0_14default_configENS1_36segmented_radix_sort_config_selectorIblEEZNS1_25segmented_radix_sort_implIS3_Lb0EPKbPbPKlPlN2at6native12_GLOBAL__N_18offset_tEEE10hipError_tPvRmT1_PNSt15iterator_traitsISK_E10value_typeET2_T3_PNSL_ISQ_E10value_typeET4_jRbjT5_SW_jjP12ihipStream_tbEUlT_E_NS1_11comp_targetILNS1_3genE5ELNS1_11target_archE942ELNS1_3gpuE9ELNS1_3repE0EEENS1_30default_config_static_selectorELNS0_4arch9wavefront6targetE1EEEvSK_
                                        ; -- End function
	.section	.AMDGPU.csdata,"",@progbits
; Kernel info:
; codeLenInByte = 0
; NumSgprs: 4
; NumVgprs: 0
; NumAgprs: 0
; TotalNumVgprs: 0
; ScratchSize: 0
; MemoryBound: 0
; FloatMode: 240
; IeeeMode: 1
; LDSByteSize: 0 bytes/workgroup (compile time only)
; SGPRBlocks: 0
; VGPRBlocks: 0
; NumSGPRsForWavesPerEU: 4
; NumVGPRsForWavesPerEU: 1
; AccumOffset: 4
; Occupancy: 8
; WaveLimiterHint : 0
; COMPUTE_PGM_RSRC2:SCRATCH_EN: 0
; COMPUTE_PGM_RSRC2:USER_SGPR: 6
; COMPUTE_PGM_RSRC2:TRAP_HANDLER: 0
; COMPUTE_PGM_RSRC2:TGID_X_EN: 1
; COMPUTE_PGM_RSRC2:TGID_Y_EN: 0
; COMPUTE_PGM_RSRC2:TGID_Z_EN: 0
; COMPUTE_PGM_RSRC2:TIDIG_COMP_CNT: 0
; COMPUTE_PGM_RSRC3_GFX90A:ACCUM_OFFSET: 0
; COMPUTE_PGM_RSRC3_GFX90A:TG_SPLIT: 0
	.text
	.p2align	2                               ; -- Begin function _ZN7rocprim17ROCPRIM_400000_NS6detail40segmented_radix_sort_single_block_helperIblLj256ELj8ELb0EE4sortIPKbPbPKlPlEEbT_T0_T1_T2_jjjjRNS3_12storage_typeE
	.type	_ZN7rocprim17ROCPRIM_400000_NS6detail40segmented_radix_sort_single_block_helperIblLj256ELj8ELb0EE4sortIPKbPbPKlPlEEbT_T0_T1_T2_jjjjRNS3_12storage_typeE,@function
_ZN7rocprim17ROCPRIM_400000_NS6detail40segmented_radix_sort_single_block_helperIblLj256ELj8ELb0EE4sortIPKbPbPKlPlEEbT_T0_T1_T2_jjjjRNS3_12storage_typeE: ; @_ZN7rocprim17ROCPRIM_400000_NS6detail40segmented_radix_sort_single_block_helperIblLj256ELj8ELb0EE4sortIPKbPbPKlPlEEbT_T0_T1_T2_jjjjRNS3_12storage_typeE
; %bb.0:
	s_waitcnt vmcnt(0) expcnt(0) lgkmcnt(0)
	s_or_saveexec_b64 s[4:5], -1
	buffer_store_dword v40, off, s[0:3], s32 ; 4-byte Folded Spill
	s_mov_b64 exec, s[4:5]
	v_writelane_b32 v40, s34, 0
	v_writelane_b32 v40, s35, 1
	;; [unrolled: 1-line block ×15, first 2 shown]
	v_sub_u32_e32 v101, v9, v8
	s_movk_i32 s4, 0x801
	v_cmp_gt_u32_e32 vcc, s4, v101
	s_and_saveexec_b64 s[38:39], vcc
	s_cbranch_execz .LBB1635_199
; %bb.1:
	s_movk_i32 s4, 0x400
	v_cmp_lt_u32_e32 vcc, s4, v101
	v_bfe_u32 v18, v31, 10, 10
	v_bfe_u32 v19, v31, 20, 10
	v_mbcnt_lo_u32_b32 v14, -1, 0
	s_and_saveexec_b64 s[4:5], vcc
	s_xor_b64 s[40:41], exec, s[4:5]
	s_cbranch_execz .LBB1635_79
; %bb.2:
	s_load_dwordx2 s[4:5], s[8:9], 0x0
	v_mov_b32_e32 v9, 0
	v_add_co_u32_e32 v0, vcc, v0, v8
	v_mbcnt_hi_u32_b32 v17, -1, v14
	s_waitcnt lgkmcnt(0)
	s_cmp_lt_u32 s12, s4
	s_cselect_b32 s6, 12, 18
	s_cmp_lt_u32 s13, s5
	s_cselect_b32 s4, 14, 20
	s_add_u32 s4, s8, s4
	s_addc_u32 s5, s9, 0
	s_add_u32 s6, s8, s6
	global_load_ushort v20, v9, s[4:5]
	s_addc_u32 s7, s9, 0
	global_load_ushort v21, v9, s[6:7]
	v_addc_co_u32_e32 v1, vcc, 0, v1, vcc
	v_and_b32_e32 v16, 63, v17
	v_and_b32_e32 v22, 0x3ff, v31
	v_mov_b32_e32 v23, 1
	v_add_co_u32_e32 v24, vcc, v0, v16
	v_addc_co_u32_e32 v25, vcc, 0, v1, vcc
	v_mov_b32_e32 v103, 1
	v_mov_b32_e32 v113, 1
	;; [unrolled: 1-line block ×7, first 2 shown]
	s_waitcnt vmcnt(1)
	v_mad_u32_u24 v0, v19, v20, v18
	s_waitcnt vmcnt(0)
	v_mad_u64_u32 v[0:1], s[4:5], v0, v21, v[22:23]
	v_lshlrev_b32_e32 v1, 3, v0
	v_and_b32_e32 v14, 0xfffffe00, v1
	v_add_co_u32_e32 v18, vcc, v24, v14
	v_addc_co_u32_e32 v19, vcc, 0, v25, vcc
	v_or_b32_e32 v20, v14, v16
	v_cmp_lt_u32_e32 vcc, v20, v101
	v_mov_b32_e32 v1, 1
	s_and_saveexec_b64 s[4:5], vcc
	s_cbranch_execz .LBB1635_4
; %bb.3:
	flat_load_ubyte v103, v[18:19]
	v_mov_b32_e32 v113, 1
	v_mov_b32_e32 v161, 1
	;; [unrolled: 1-line block ×7, first 2 shown]
.LBB1635_4:
	s_or_b64 exec, exec, s[4:5]
	v_or_b32_e32 v21, 64, v20
	v_cmp_lt_u32_e64 s[4:5], v21, v101
	s_and_saveexec_b64 s[6:7], s[4:5]
	s_cbranch_execz .LBB1635_6
; %bb.5:
	flat_load_ubyte v113, v[18:19] offset:64
.LBB1635_6:
	s_or_b64 exec, exec, s[6:7]
	v_or_b32_e32 v21, 0x80, v20
	v_cmp_lt_u32_e64 s[6:7], v21, v101
	s_and_saveexec_b64 s[10:11], s[6:7]
	s_cbranch_execz .LBB1635_8
; %bb.7:
	flat_load_ubyte v161, v[18:19] offset:128
.LBB1635_8:
	;; [unrolled: 8-line block ×7, first 2 shown]
	s_or_b64 exec, exec, s[22:23]
	v_lshlrev_b64 v[24:25], 3, v[8:9]
	v_add_co_u32_e64 v4, s[22:23], v4, v24
	v_addc_co_u32_e64 v5, s[22:23], v5, v25, s[22:23]
	v_lshlrev_b32_e32 v9, 3, v16
	v_add_co_u32_e64 v9, s[22:23], v4, v9
	v_addc_co_u32_e64 v18, s[22:23], 0, v5, s[22:23]
	v_lshlrev_b64 v[4:5], 3, v[14:15]
	v_add_co_u32_e64 v4, s[22:23], v9, v4
	v_addc_co_u32_e64 v5, s[22:23], v18, v5, s[22:23]
                                        ; implicit-def: $vgpr18_vgpr19
	s_and_saveexec_b64 s[22:23], vcc
	s_cbranch_execnz .LBB1635_112
; %bb.19:
	s_or_b64 exec, exec, s[22:23]
                                        ; implicit-def: $vgpr20_vgpr21
	s_and_saveexec_b64 s[22:23], s[4:5]
	s_cbranch_execnz .LBB1635_113
.LBB1635_20:
	s_or_b64 exec, exec, s[22:23]
                                        ; implicit-def: $vgpr68_vgpr69
	s_and_saveexec_b64 s[4:5], s[6:7]
	s_cbranch_execnz .LBB1635_114
.LBB1635_21:
	s_or_b64 exec, exec, s[4:5]
                                        ; implicit-def: $vgpr70_vgpr71
	s_and_saveexec_b64 s[4:5], s[10:11]
	s_cbranch_execnz .LBB1635_115
.LBB1635_22:
	s_or_b64 exec, exec, s[4:5]
                                        ; implicit-def: $vgpr80_vgpr81
	s_and_saveexec_b64 s[4:5], s[20:21]
	s_cbranch_execnz .LBB1635_116
.LBB1635_23:
	s_or_b64 exec, exec, s[4:5]
                                        ; implicit-def: $vgpr114_vgpr115
	s_and_saveexec_b64 s[4:5], s[14:15]
	s_cbranch_execnz .LBB1635_117
.LBB1635_24:
	s_or_b64 exec, exec, s[4:5]
                                        ; implicit-def: $vgpr130_vgpr131
	s_and_saveexec_b64 s[4:5], s[16:17]
	s_cbranch_execnz .LBB1635_118
.LBB1635_25:
	s_or_b64 exec, exec, s[4:5]
                                        ; implicit-def: $vgpr148_vgpr149
	s_and_saveexec_b64 s[4:5], s[18:19]
	s_cbranch_execz .LBB1635_27
.LBB1635_26:
	flat_load_dwordx2 v[148:149], v[4:5] offset:3584
.LBB1635_27:
	s_or_b64 exec, exec, s[4:5]
	v_add_co_u32_e32 v9, vcc, 16, v12
	v_addc_co_u32_e32 v164, vcc, 0, v13, vcc
	v_lshlrev_b32_e32 v4, 4, v22
	v_add_co_u32_e32 v4, vcc, v12, v4
	s_getpc_b64 s[4:5]
	s_add_u32 s4, s4, _ZN7rocprim17ROCPRIM_400000_NS16block_radix_sortIbLj256ELj8ElLj1ELj1ELj8ELNS0_26block_radix_rank_algorithmE2ELNS0_18block_padding_hintE2ELNS0_4arch9wavefront6targetE1EE19radix_bits_per_passE@rel32@lo+4
	s_addc_u32 s5, s5, _ZN7rocprim17ROCPRIM_400000_NS16block_radix_sortIbLj256ELj8ElLj1ELj1ELj8ELNS0_26block_radix_rank_algorithmE2ELNS0_18block_padding_hintE2ELNS0_4arch9wavefront6targetE1EE19radix_bits_per_passE@rel32@hi+12
	v_addc_co_u32_e32 v5, vcc, 0, v13, vcc
	v_and_b32_e32 v26, 15, v17
	s_load_dword s46, s[4:5], 0x0
	v_cmp_eq_u32_e32 vcc, 0, v26
	v_cmp_lt_u32_e64 s[4:5], 1, v26
	v_cmp_lt_u32_e64 s[6:7], 3, v26
	;; [unrolled: 1-line block ×3, first 2 shown]
	v_and_b32_e32 v26, 16, v17
	v_cmp_eq_u32_e64 s[30:31], 0, v26
	v_and_b32_e32 v26, 0x3c0, v22
	v_min_u32_e32 v26, 0xc0, v26
	v_or_b32_e32 v26, 63, v26
	v_cmp_eq_u32_e64 s[16:17], v26, v22
	v_add_u32_e32 v26, -1, v17
	v_and_b32_e32 v27, 64, v17
	v_cmp_lt_i32_e64 s[22:23], v26, v27
	v_lshrrev_b32_e32 v30, 6, v22
	v_cndmask_b32_e64 v26, v26, v17, s[22:23]
	v_lshlrev_b32_e32 v166, 2, v26
	v_lshlrev_b32_e32 v26, 2, v30
	v_add_co_u32_e64 v26, s[26:27], v12, v26
	v_lshlrev_b32_e32 v14, 2, v22
	v_addc_co_u32_e64 v27, s[26:27], 0, v13, s[26:27]
	v_add_co_u32_e64 v28, s[26:27], v12, v14
	v_addc_co_u32_e64 v29, s[26:27], 0, v13, s[26:27]
	v_and_b32_e32 v14, 3, v17
	v_mov_b32_e32 v15, 0
	v_cmp_eq_u32_e64 s[26:27], 0, v14
	v_cmp_lt_u32_e64 s[28:29], 1, v14
	v_add_u32_e32 v14, -1, v30
	v_lshlrev_b64 v[30:31], 2, v[14:15]
	v_add_co_u32_e64 v30, s[34:35], v12, v30
	v_addc_co_u32_e64 v31, s[34:35], v13, v31, s[34:35]
	v_lshlrev_b32_e32 v14, 3, v22
	s_movk_i32 s34, 0x1e00
	v_and_or_b32 v14, v14, s34, v16
	v_add_co_u32_e64 v32, s[34:35], v12, v14
	v_addc_co_u32_e64 v33, s[34:35], 0, v13, s[34:35]
	v_lshrrev_b32_e32 v165, 6, v0
	v_cmp_lt_u32_e64 s[14:15], 31, v17
	v_cmp_gt_u32_e64 s[18:19], 4, v22
	v_cmp_lt_u32_e64 s[20:21], 63, v22
	v_cmp_eq_u32_e64 s[22:23], 0, v17
	v_cmp_eq_u32_e64 s[24:25], 0, v22
	v_mad_u64_u32 v[50:51], s[34:35], v14, 7, v[32:33]
	v_sub_u32_e32 v167, v11, v10
	s_mov_b64 s[42:43], 0
	v_mov_b32_e32 v14, v15
	v_mov_b32_e32 v16, v15
	;; [unrolled: 1-line block ×3, first 2 shown]
	s_waitcnt lgkmcnt(0)
	s_barrier
	s_branch .LBB1635_29
.LBB1635_28:                            ;   in Loop: Header=BB1635_29 Depth=1
	s_or_b64 exec, exec, s[36:37]
	s_and_b64 s[34:35], exec, s[44:45]
	s_or_b64 s[42:43], s[34:35], s[42:43]
	s_andn2_b64 exec, exec, s[42:43]
	s_cbranch_execz .LBB1635_53
.LBB1635_29:                            ; =>This Inner Loop Header: Depth=1
	s_waitcnt vmcnt(0)
	v_pk_mov_b32 v[66:67], v[18:19], v[18:19] op_sel:[0,1]
	v_min_u32_e32 v18, s46, v167
	v_lshlrev_b32_e64 v18, v18, -1
	v_pk_mov_b32 v[64:65], v[20:21], v[20:21] op_sel:[0,1]
	v_not_b32_e32 v20, v18
	v_lshrrev_b32_sdwa v18, v10, v103 dst_sel:DWORD dst_unused:UNUSED_PAD src0_sel:DWORD src1_sel:BYTE_0
	v_and_b32_e32 v18, v18, v20
	v_lshlrev_b32_e32 v19, 2, v18
	v_add_lshl_u32 v19, v19, v165, 2
	v_pk_mov_b32 v[54:55], v[68:69], v[68:69] op_sel:[0,1]
	v_add_co_u32_e64 v68, s[34:35], v9, v19
	v_addc_co_u32_e64 v69, s[34:35], 0, v164, s[34:35]
	v_cmp_ne_u32_e64 s[34:35], 0, v18
	v_add_co_u32_e64 v18, s[36:37], -1, v18
	v_addc_co_u32_e64 v19, s[36:37], 0, -1, s[36:37]
	v_xor_b32_e32 v18, s34, v18
	v_xor_b32_e32 v19, s35, v19
	v_and_b32_e32 v18, exec_lo, v18
	v_and_b32_e32 v19, exec_hi, v19
	v_mbcnt_lo_u32_b32 v21, v18, 0
	v_mbcnt_hi_u32_b32 v100, v19, v21
	v_cmp_eq_u32_e64 s[34:35], 0, v100
	v_cmp_ne_u64_e64 s[36:37], 0, v[18:19]
	v_pk_mov_b32 v[52:53], v[70:71], v[70:71] op_sel:[0,1]
	v_pk_mov_b32 v[48:49], v[80:81], v[80:81] op_sel:[0,1]
	;; [unrolled: 1-line block ×5, first 2 shown]
	s_and_b64 s[36:37], s[36:37], s[34:35]
	flat_store_dwordx4 v[4:5], v[14:17] offset:16
	s_waitcnt lgkmcnt(0)
	s_barrier
	s_waitcnt lgkmcnt(0)
	; wave barrier
	s_and_saveexec_b64 s[34:35], s[36:37]
	s_cbranch_execz .LBB1635_31
; %bb.30:                               ;   in Loop: Header=BB1635_29 Depth=1
	v_bcnt_u32_b32 v18, v18, 0
	v_bcnt_u32_b32 v18, v19, v18
	flat_store_dword v[68:69], v18
.LBB1635_31:                            ;   in Loop: Header=BB1635_29 Depth=1
	s_or_b64 exec, exec, s[34:35]
	v_lshrrev_b32_sdwa v18, v10, v113 dst_sel:DWORD dst_unused:UNUSED_PAD src0_sel:DWORD src1_sel:BYTE_0
	v_and_b32_e32 v18, v18, v20
	v_lshlrev_b32_e32 v19, 2, v18
	v_add_lshl_u32 v19, v19, v165, 2
	v_add_co_u32_e64 v70, s[34:35], v9, v19
	v_addc_co_u32_e64 v71, s[34:35], 0, v164, s[34:35]
	; wave barrier
	flat_load_dword v102, v[70:71]
	v_cmp_ne_u32_e64 s[34:35], 0, v18
	v_add_co_u32_e64 v18, s[36:37], -1, v18
	v_addc_co_u32_e64 v19, s[36:37], 0, -1, s[36:37]
	v_xor_b32_e32 v18, s34, v18
	v_xor_b32_e32 v19, s35, v19
	v_and_b32_e32 v18, exec_lo, v18
	v_and_b32_e32 v19, exec_hi, v19
	v_mbcnt_lo_u32_b32 v21, v18, 0
	v_mbcnt_hi_u32_b32 v114, v19, v21
	v_cmp_eq_u32_e64 s[34:35], 0, v114
	v_cmp_ne_u64_e64 s[36:37], 0, v[18:19]
	s_and_b64 s[36:37], s[36:37], s[34:35]
	; wave barrier
	s_and_saveexec_b64 s[34:35], s[36:37]
	s_cbranch_execz .LBB1635_33
; %bb.32:                               ;   in Loop: Header=BB1635_29 Depth=1
	v_bcnt_u32_b32 v18, v18, 0
	v_bcnt_u32_b32 v18, v19, v18
	s_waitcnt vmcnt(0) lgkmcnt(0)
	v_add_u32_e32 v18, v102, v18
	flat_store_dword v[70:71], v18
.LBB1635_33:                            ;   in Loop: Header=BB1635_29 Depth=1
	s_or_b64 exec, exec, s[34:35]
	v_lshrrev_b32_sdwa v18, v10, v161 dst_sel:DWORD dst_unused:UNUSED_PAD src0_sel:DWORD src1_sel:BYTE_0
	v_and_b32_e32 v18, v18, v20
	v_lshlrev_b32_e32 v19, 2, v18
	v_add_lshl_u32 v19, v19, v165, 2
	v_add_co_u32_e64 v80, s[34:35], v9, v19
	v_addc_co_u32_e64 v81, s[34:35], 0, v164, s[34:35]
	; wave barrier
	flat_load_dword v115, v[80:81]
	v_cmp_ne_u32_e64 s[34:35], 0, v18
	v_add_co_u32_e64 v18, s[36:37], -1, v18
	v_addc_co_u32_e64 v19, s[36:37], 0, -1, s[36:37]
	v_xor_b32_e32 v18, s34, v18
	v_xor_b32_e32 v19, s35, v19
	v_and_b32_e32 v18, exec_lo, v18
	v_and_b32_e32 v19, exec_hi, v19
	v_mbcnt_lo_u32_b32 v21, v18, 0
	v_mbcnt_hi_u32_b32 v116, v19, v21
	v_cmp_eq_u32_e64 s[34:35], 0, v116
	v_cmp_ne_u64_e64 s[36:37], 0, v[18:19]
	s_and_b64 s[36:37], s[36:37], s[34:35]
	; wave barrier
	s_and_saveexec_b64 s[34:35], s[36:37]
	s_cbranch_execz .LBB1635_35
; %bb.34:                               ;   in Loop: Header=BB1635_29 Depth=1
	v_bcnt_u32_b32 v18, v18, 0
	v_bcnt_u32_b32 v18, v19, v18
	s_waitcnt vmcnt(0) lgkmcnt(0)
	v_add_u32_e32 v18, v115, v18
	flat_store_dword v[80:81], v18
.LBB1635_35:                            ;   in Loop: Header=BB1635_29 Depth=1
	;; [unrolled: 31-line block ×7, first 2 shown]
	s_or_b64 exec, exec, s[34:35]
	; wave barrier
	s_waitcnt lgkmcnt(0)
	s_barrier
	flat_load_dwordx4 v[18:21], v[4:5] offset:16
	s_waitcnt vmcnt(0) lgkmcnt(0)
	v_add_u32_e32 v112, v19, v18
	v_add3_u32 v21, v112, v20, v21
	s_nop 1
	v_mov_b32_dpp v112, v21 row_shr:1 row_mask:0xf bank_mask:0xf
	v_cndmask_b32_e64 v112, v112, 0, vcc
	v_add_u32_e32 v21, v112, v21
	s_nop 1
	v_mov_b32_dpp v112, v21 row_shr:2 row_mask:0xf bank_mask:0xf
	v_cndmask_b32_e64 v112, 0, v112, s[4:5]
	v_add_u32_e32 v21, v21, v112
	s_nop 1
	v_mov_b32_dpp v112, v21 row_shr:4 row_mask:0xf bank_mask:0xf
	v_cndmask_b32_e64 v112, 0, v112, s[6:7]
	;; [unrolled: 4-line block ×3, first 2 shown]
	v_add_u32_e32 v21, v21, v112
	s_nop 1
	v_mov_b32_dpp v112, v21 row_bcast:15 row_mask:0xf bank_mask:0xf
	v_cndmask_b32_e64 v112, v112, 0, s[30:31]
	v_add_u32_e32 v21, v21, v112
	s_nop 1
	v_mov_b32_dpp v112, v21 row_bcast:31 row_mask:0xf bank_mask:0xf
	v_cndmask_b32_e64 v112, 0, v112, s[14:15]
	v_add_u32_e32 v21, v21, v112
	s_and_saveexec_b64 s[34:35], s[16:17]
	s_cbranch_execz .LBB1635_47
; %bb.46:                               ;   in Loop: Header=BB1635_29 Depth=1
	flat_store_dword v[26:27], v21
.LBB1635_47:                            ;   in Loop: Header=BB1635_29 Depth=1
	s_or_b64 exec, exec, s[34:35]
	s_waitcnt lgkmcnt(0)
	s_barrier
	s_and_saveexec_b64 s[34:35], s[18:19]
	s_cbranch_execz .LBB1635_49
; %bb.48:                               ;   in Loop: Header=BB1635_29 Depth=1
	flat_load_dword v112, v[28:29]
	s_waitcnt vmcnt(0) lgkmcnt(0)
	s_nop 0
	v_mov_b32_dpp v135, v112 row_shr:1 row_mask:0xf bank_mask:0xf
	v_cndmask_b32_e64 v135, v135, 0, s[26:27]
	v_add_u32_e32 v112, v135, v112
	s_nop 1
	v_mov_b32_dpp v135, v112 row_shr:2 row_mask:0xf bank_mask:0xf
	v_cndmask_b32_e64 v135, 0, v135, s[28:29]
	v_add_u32_e32 v112, v112, v135
	flat_store_dword v[28:29], v112
.LBB1635_49:                            ;   in Loop: Header=BB1635_29 Depth=1
	s_or_b64 exec, exec, s[34:35]
	v_mov_b32_e32 v112, 0
	s_waitcnt lgkmcnt(0)
	s_barrier
	s_and_saveexec_b64 s[34:35], s[20:21]
	s_cbranch_execz .LBB1635_51
; %bb.50:                               ;   in Loop: Header=BB1635_29 Depth=1
	flat_load_dword v112, v[30:31]
.LBB1635_51:                            ;   in Loop: Header=BB1635_29 Depth=1
	s_or_b64 exec, exec, s[34:35]
	s_waitcnt vmcnt(0) lgkmcnt(0)
	v_add_u32_e32 v21, v112, v21
	ds_bpermute_b32 v21, v166, v21
	v_add_u32_e32 v10, 8, v10
	v_mov_b32_e32 v176, v160
	v_mov_b32_e32 v177, v1
	;; [unrolled: 1-line block ×3, first 2 shown]
	s_waitcnt lgkmcnt(0)
	v_cndmask_b32_e64 v21, v21, v112, s[22:23]
	v_cndmask_b32_e64 v144, v21, 0, s[24:25]
	v_add_u32_e32 v145, v144, v18
	v_add_u32_e32 v146, v145, v19
	;; [unrolled: 1-line block ×3, first 2 shown]
	flat_store_dwordx4 v[4:5], v[144:147] offset:16
	s_waitcnt lgkmcnt(0)
	s_barrier
	flat_load_dword v18, v[68:69]
	flat_load_dword v19, v[70:71]
	;; [unrolled: 1-line block ×8, first 2 shown]
	v_mov_b32_e32 v83, v103
	v_mov_b32_e32 v85, v113
	;; [unrolled: 1-line block ×5, first 2 shown]
	v_cmp_lt_u32_e64 s[34:35], v10, v11
	s_mov_b64 s[44:45], -1
	s_waitcnt lgkmcnt(0)
                                        ; implicit-def: $vgpr68_vgpr69
                                        ; implicit-def: $vgpr70_vgpr71
                                        ; implicit-def: $vgpr80_vgpr81
                                        ; implicit-def: $vgpr148_vgpr149
	s_waitcnt vmcnt(0) lgkmcnt(0)
	v_add_u32_e32 v112, v18, v100
	v_add3_u32 v102, v114, v102, v19
	v_add3_u32 v100, v116, v115, v20
	v_add_co_u32_e64 v116, s[36:37], v12, v112
	v_add3_u32 v98, v118, v117, v21
	v_addc_co_u32_e64 v117, s[36:37], 0, v13, s[36:37]
	v_add_co_u32_e64 v118, s[36:37], v12, v102
	v_add3_u32 v96, v128, v119, v135
	v_addc_co_u32_e64 v119, s[36:37], 0, v13, s[36:37]
	;; [unrolled: 3-line block ×3, first 2 shown]
	v_add3_u32 v84, v132, v131, v145
	v_add_co_u32_e64 v132, s[36:37], v12, v98
	v_add3_u32 v82, v134, v133, v146
	v_addc_co_u32_e64 v133, s[36:37], 0, v13, s[36:37]
	v_add_co_u32_e64 v134, s[36:37], v12, v96
	v_addc_co_u32_e64 v135, s[36:37], 0, v13, s[36:37]
	v_add_co_u32_e64 v144, s[36:37], v12, v86
	;; [unrolled: 2-line block ×4, first 2 shown]
	v_addc_co_u32_e64 v151, s[36:37], 0, v13, s[36:37]
                                        ; implicit-def: $vgpr18_vgpr19
                                        ; implicit-def: $vgpr20_vgpr21
                                        ; implicit-def: $vgpr114_vgpr115
                                        ; implicit-def: $vgpr130_vgpr131
	s_and_saveexec_b64 s[36:37], s[34:35]
	s_cbranch_execz .LBB1635_28
; %bb.52:                               ;   in Loop: Header=BB1635_29 Depth=1
	v_mad_u64_u32 v[18:19], s[34:35], v112, 7, v[116:117]
	s_barrier
	flat_store_byte v[116:117], v103
	flat_store_byte v[118:119], v113
	;; [unrolled: 1-line block ×8, first 2 shown]
	s_waitcnt lgkmcnt(0)
	s_barrier
	flat_load_ubyte v23, v[32:33] offset:448
	flat_load_ubyte v1, v[32:33] offset:384
	;; [unrolled: 1-line block ×7, first 2 shown]
	flat_load_ubyte v103, v[32:33]
	s_waitcnt lgkmcnt(0)
	s_barrier
	flat_store_dwordx2 v[18:19], v[66:67]
	v_mad_u64_u32 v[18:19], s[34:35], v102, 7, v[118:119]
	flat_store_dwordx2 v[18:19], v[64:65]
	v_mad_u64_u32 v[18:19], s[34:35], v100, 7, v[128:129]
	;; [unrolled: 2-line block ×7, first 2 shown]
	flat_store_dwordx2 v[18:19], v[34:35]
	s_waitcnt lgkmcnt(0)
	s_barrier
	flat_load_dwordx2 v[18:19], v[50:51]
	flat_load_dwordx2 v[20:21], v[50:51] offset:512
	flat_load_dwordx2 v[68:69], v[50:51] offset:1024
	;; [unrolled: 1-line block ×7, first 2 shown]
	v_add_u32_e32 v167, -8, v167
	s_xor_b64 s[44:45], exec, -1
	s_waitcnt lgkmcnt(0)
	s_barrier
	s_branch .LBB1635_28
.LBB1635_53:
	s_or_b64 exec, exec, s[42:43]
	v_add_co_u32_e32 v4, vcc, v12, v22
	v_addc_co_u32_e32 v5, vcc, 0, v13, vcc
	v_mad_u64_u32 v[10:11], s[4:5], v112, 7, v[116:117]
	s_barrier
	flat_store_byte v[116:117], v83
	flat_store_byte v[118:119], v85
	;; [unrolled: 1-line block ×8, first 2 shown]
	s_waitcnt lgkmcnt(0)
	s_barrier
	flat_load_ubyte v33, v[4:5]
	flat_load_ubyte v32, v[4:5] offset:256
	flat_load_ubyte v31, v[4:5] offset:512
	;; [unrolled: 1-line block ×5, first 2 shown]
	s_waitcnt vmcnt(0)
	flat_load_ubyte v23, v[4:5] offset:1536
	flat_load_ubyte v9, v[4:5] offset:1792
	s_waitcnt lgkmcnt(0)
	s_barrier
	flat_store_dwordx2 v[10:11], v[66:67]
	v_mad_u64_u32 v[10:11], s[4:5], v102, 7, v[118:119]
	flat_store_dwordx2 v[10:11], v[64:65]
	v_mad_u64_u32 v[10:11], s[4:5], v100, 7, v[128:129]
	;; [unrolled: 2-line block ×7, first 2 shown]
	v_mad_u64_u32 v[4:5], s[4:5], v22, 7, v[4:5]
	s_movk_i32 s4, 0x1000
	flat_store_dwordx2 v[10:11], v[34:35]
	v_add_co_u32_e32 v10, vcc, s4, v4
	v_mov_b32_e32 v1, 0x2000
	v_addc_co_u32_e32 v11, vcc, 0, v5, vcc
	v_lshl_or_b32 v1, v22, 3, v1
	v_add_co_u32_e32 v34, vcc, v12, v1
	s_movk_i32 s4, 0x2000
	v_addc_co_u32_e32 v35, vcc, 0, v13, vcc
	v_add_co_u32_e32 v36, vcc, s4, v4
	v_addc_co_u32_e32 v37, vcc, 0, v5, vcc
	s_movk_i32 s4, 0x3000
	v_add_co_u32_e32 v38, vcc, s4, v4
	s_waitcnt lgkmcnt(0)
	s_barrier
	flat_load_dwordx2 v[26:27], v[4:5]
	flat_load_dwordx2 v[20:21], v[4:5] offset:2048
	flat_load_dwordx2 v[18:19], v[10:11]
	flat_load_dwordx2 v[14:15], v[10:11] offset:2048
	v_addc_co_u32_e32 v39, vcc, 0, v5, vcc
	flat_load_dwordx2 v[16:17], v[34:35]
	flat_load_dwordx2 v[12:13], v[36:37] offset:2048
	flat_load_dwordx2 v[10:11], v[38:39]
	flat_load_dwordx2 v[4:5], v[38:39] offset:2048
	v_add_co_u32_e32 v2, vcc, v2, v8
	v_addc_co_u32_e32 v3, vcc, 0, v3, vcc
	v_add_co_u32_e32 v2, vcc, v2, v0
	v_addc_co_u32_e32 v3, vcc, 0, v3, vcc
	v_mov_b32_e32 v1, 0
	v_cmp_lt_u32_e32 vcc, v0, v101
	s_waitcnt lgkmcnt(0)
	s_barrier
	s_and_saveexec_b64 s[4:5], vcc
	s_cbranch_execz .LBB1635_55
; %bb.54:
	flat_store_byte v[2:3], v33
.LBB1635_55:
	s_or_b64 exec, exec, s[4:5]
	v_add_u32_e32 v8, 0x100, v0
	v_cmp_lt_u32_e64 s[16:17], v8, v101
	s_and_saveexec_b64 s[4:5], s[16:17]
	s_cbranch_execz .LBB1635_57
; %bb.56:
	flat_store_byte v[2:3], v32 offset:256
.LBB1635_57:
	s_or_b64 exec, exec, s[4:5]
	v_add_u32_e32 v8, 0x200, v0
	v_cmp_lt_u32_e64 s[18:19], v8, v101
	s_and_saveexec_b64 s[4:5], s[18:19]
	s_cbranch_execz .LBB1635_59
; %bb.58:
	flat_store_byte v[2:3], v31 offset:512
.LBB1635_59:
	;; [unrolled: 8-line block ×5, first 2 shown]
	s_or_b64 exec, exec, s[4:5]
	v_add_u32_e32 v8, 0x600, v0
	v_cmp_lt_u32_e64 s[6:7], v8, v101
	s_and_saveexec_b64 s[4:5], s[6:7]
	s_cbranch_execz .LBB1635_67
; %bb.66:
	s_waitcnt vmcnt(0)
	flat_store_byte v[2:3], v23 offset:1536
.LBB1635_67:
	s_or_b64 exec, exec, s[4:5]
	v_add_u32_e32 v8, 0x700, v0
	v_cmp_lt_u32_e64 s[4:5], v8, v101
	s_and_saveexec_b64 s[22:23], s[4:5]
	s_cbranch_execz .LBB1635_69
; %bb.68:
	s_waitcnt vmcnt(0)
	flat_store_byte v[2:3], v9 offset:1792
.LBB1635_69:
	s_or_b64 exec, exec, s[22:23]
	v_add_co_u32_e64 v2, s[22:23], v6, v24
	v_addc_co_u32_e64 v3, s[22:23], v7, v25, s[22:23]
	v_lshlrev_b64 v[0:1], 3, v[0:1]
	v_add_co_u32_e64 v0, s[22:23], v2, v0
	v_addc_co_u32_e64 v1, s[22:23], v3, v1, s[22:23]
	s_and_saveexec_b64 s[22:23], vcc
	s_cbranch_execnz .LBB1635_119
; %bb.70:
	s_or_b64 exec, exec, s[22:23]
	s_and_saveexec_b64 s[22:23], s[16:17]
	s_cbranch_execnz .LBB1635_120
.LBB1635_71:
	s_or_b64 exec, exec, s[22:23]
	s_and_saveexec_b64 s[16:17], s[18:19]
	s_cbranch_execnz .LBB1635_121
.LBB1635_72:
	s_or_b64 exec, exec, s[16:17]
	s_and_saveexec_b64 s[16:17], s[14:15]
	s_cbranch_execnz .LBB1635_122
.LBB1635_73:
	s_or_b64 exec, exec, s[16:17]
	s_and_saveexec_b64 s[14:15], s[20:21]
	s_cbranch_execnz .LBB1635_123
.LBB1635_74:
	s_or_b64 exec, exec, s[14:15]
	s_and_saveexec_b64 s[14:15], s[10:11]
	s_cbranch_execnz .LBB1635_124
.LBB1635_75:
	s_or_b64 exec, exec, s[14:15]
	s_and_saveexec_b64 s[10:11], s[6:7]
	s_cbranch_execnz .LBB1635_125
.LBB1635_76:
	s_or_b64 exec, exec, s[10:11]
	s_and_saveexec_b64 s[6:7], s[4:5]
	s_cbranch_execz .LBB1635_78
.LBB1635_77:
	v_add_co_u32_e32 v0, vcc, 0x3000, v0
	v_addc_co_u32_e32 v1, vcc, 0, v1, vcc
	s_waitcnt vmcnt(0)
	flat_store_dwordx2 v[0:1], v[4:5] offset:2048
.LBB1635_78:
	s_or_b64 exec, exec, s[6:7]
                                        ; implicit-def: $vgpr101
                                        ; implicit-def: $vgpr0
                                        ; implicit-def: $vgpr1
                                        ; implicit-def: $vgpr2
                                        ; implicit-def: $vgpr3
                                        ; implicit-def: $vgpr4
                                        ; implicit-def: $vgpr5
                                        ; implicit-def: $vgpr6
                                        ; implicit-def: $vgpr7
                                        ; implicit-def: $vgpr8
                                        ; implicit-def: $vgpr10
                                        ; implicit-def: $vgpr11
                                        ; implicit-def: $vgpr12
                                        ; implicit-def: $vgpr13
                                        ; implicit-def: $vgpr31
                                        ; implicit-def: $vgpr18
                                        ; implicit-def: $vgpr19
                                        ; implicit-def: $vgpr14
.LBB1635_79:
	s_andn2_saveexec_b64 s[4:5], s[40:41]
	s_cbranch_execz .LBB1635_199
; %bb.80:
	s_movk_i32 s4, 0x200
	v_cmp_lt_u32_e32 vcc, s4, v101
	s_and_saveexec_b64 s[4:5], vcc
	s_xor_b64 s[40:41], exec, s[4:5]
	s_cbranch_execz .LBB1635_140
; %bb.81:
	s_load_dwordx2 s[4:5], s[8:9], 0x0
	s_waitcnt vmcnt(0)
	v_mov_b32_e32 v9, 0
	v_add_co_u32_e32 v0, vcc, v0, v8
	v_mbcnt_hi_u32_b32 v17, -1, v14
	s_waitcnt lgkmcnt(0)
	s_cmp_lt_u32 s12, s4
	s_cselect_b32 s6, 12, 18
	s_cmp_lt_u32 s13, s5
	s_cselect_b32 s4, 14, 20
	s_add_u32 s4, s8, s4
	s_addc_u32 s5, s9, 0
	s_add_u32 s6, s8, s6
	global_load_ushort v20, v9, s[4:5]
	s_addc_u32 s7, s9, 0
	global_load_ushort v21, v9, s[6:7]
	v_addc_co_u32_e32 v1, vcc, 0, v1, vcc
	v_and_b32_e32 v16, 63, v17
	v_and_b32_e32 v22, 0x3ff, v31
	v_mov_b32_e32 v23, 1
	v_add_co_u32_e32 v24, vcc, v0, v16
	v_addc_co_u32_e32 v25, vcc, 0, v1, vcc
	v_mov_b32_e32 v69, 1
	v_mov_b32_e32 v71, 1
	;; [unrolled: 1-line block ×3, first 2 shown]
	s_waitcnt vmcnt(1)
	v_mad_u32_u24 v0, v19, v20, v18
	s_waitcnt vmcnt(0)
	v_mad_u64_u32 v[0:1], s[4:5], v0, v21, v[22:23]
	v_lshlrev_b32_e32 v1, 2, v0
	v_and_b32_e32 v14, 0xffffff00, v1
	v_add_co_u32_e32 v18, vcc, v24, v14
	v_addc_co_u32_e32 v19, vcc, 0, v25, vcc
	v_or_b32_e32 v20, v14, v16
	v_cmp_lt_u32_e32 vcc, v20, v101
	v_mov_b32_e32 v1, 1
	s_and_saveexec_b64 s[4:5], vcc
	s_cbranch_execz .LBB1635_83
; %bb.82:
	flat_load_ubyte v23, v[18:19]
	v_mov_b32_e32 v71, 1
	v_mov_b32_e32 v1, 1
	;; [unrolled: 1-line block ×3, first 2 shown]
.LBB1635_83:
	s_or_b64 exec, exec, s[4:5]
	v_or_b32_e32 v21, 64, v20
	v_cmp_lt_u32_e64 s[4:5], v21, v101
	s_and_saveexec_b64 s[6:7], s[4:5]
	s_cbranch_execz .LBB1635_85
; %bb.84:
	flat_load_ubyte v71, v[18:19] offset:64
.LBB1635_85:
	s_or_b64 exec, exec, s[6:7]
	v_or_b32_e32 v21, 0x80, v20
	v_cmp_lt_u32_e64 s[6:7], v21, v101
	s_and_saveexec_b64 s[10:11], s[6:7]
	s_cbranch_execz .LBB1635_87
; %bb.86:
	flat_load_ubyte v1, v[18:19] offset:128
.LBB1635_87:
	;; [unrolled: 8-line block ×3, first 2 shown]
	s_or_b64 exec, exec, s[14:15]
	v_lshlrev_b64 v[24:25], 3, v[8:9]
	v_add_co_u32_e64 v4, s[14:15], v4, v24
	v_addc_co_u32_e64 v5, s[14:15], v5, v25, s[14:15]
	v_lshlrev_b32_e32 v9, 3, v16
	v_add_co_u32_e64 v9, s[14:15], v4, v9
	v_addc_co_u32_e64 v18, s[14:15], 0, v5, s[14:15]
	v_lshlrev_b64 v[4:5], 3, v[14:15]
	v_add_co_u32_e64 v4, s[14:15], v9, v4
	v_addc_co_u32_e64 v5, s[14:15], v18, v5, s[14:15]
                                        ; implicit-def: $vgpr18_vgpr19
	s_and_saveexec_b64 s[14:15], vcc
	s_cbranch_execnz .LBB1635_164
; %bb.90:
	s_or_b64 exec, exec, s[14:15]
                                        ; implicit-def: $vgpr20_vgpr21
	s_and_saveexec_b64 s[14:15], s[4:5]
	s_cbranch_execnz .LBB1635_165
.LBB1635_91:
	s_or_b64 exec, exec, s[14:15]
                                        ; implicit-def: $vgpr52_vgpr53
	s_and_saveexec_b64 s[4:5], s[6:7]
	s_cbranch_execnz .LBB1635_166
.LBB1635_92:
	s_or_b64 exec, exec, s[4:5]
                                        ; implicit-def: $vgpr54_vgpr55
	s_and_saveexec_b64 s[4:5], s[10:11]
	s_cbranch_execz .LBB1635_94
.LBB1635_93:
	flat_load_dwordx2 v[54:55], v[4:5] offset:1536
.LBB1635_94:
	s_or_b64 exec, exec, s[4:5]
	v_add_co_u32_e32 v9, vcc, 16, v12
	v_and_b32_e32 v26, 0x3c0, v22
	v_addc_co_u32_e32 v96, vcc, 0, v13, vcc
	v_lshlrev_b32_e32 v4, 4, v22
	v_min_u32_e32 v26, 0xc0, v26
	v_add_co_u32_e32 v4, vcc, v12, v4
	v_or_b32_e32 v26, 63, v26
	s_getpc_b64 s[4:5]
	s_add_u32 s4, s4, _ZN7rocprim17ROCPRIM_400000_NS16block_radix_sortIbLj256ELj4ElLj1ELj1ELj8ELNS0_26block_radix_rank_algorithmE2ELNS0_18block_padding_hintE2ELNS0_4arch9wavefront6targetE1EE19radix_bits_per_passE@rel32@lo+4
	s_addc_u32 s5, s5, _ZN7rocprim17ROCPRIM_400000_NS16block_radix_sortIbLj256ELj4ElLj1ELj1ELj8ELNS0_26block_radix_rank_algorithmE2ELNS0_18block_padding_hintE2ELNS0_4arch9wavefront6targetE1EE19radix_bits_per_passE@rel32@hi+12
	v_addc_co_u32_e32 v5, vcc, 0, v13, vcc
	v_and_b32_e32 v14, 15, v17
	v_cmp_eq_u32_e64 s[16:17], v26, v22
	v_add_u32_e32 v26, -1, v17
	v_and_b32_e32 v27, 64, v17
	s_load_dword s46, s[4:5], 0x0
	v_cmp_eq_u32_e32 vcc, 0, v14
	v_cmp_lt_u32_e64 s[4:5], 1, v14
	v_cmp_lt_u32_e64 s[6:7], 3, v14
	;; [unrolled: 1-line block ×3, first 2 shown]
	v_and_b32_e32 v14, 16, v17
	v_cmp_lt_i32_e64 s[22:23], v26, v27
	v_cmp_eq_u32_e64 s[30:31], 0, v14
	v_lshrrev_b32_e32 v14, 6, v22
	v_cndmask_b32_e64 v26, v26, v17, s[22:23]
	v_mov_b32_e32 v15, 0
	v_lshlrev_b32_e32 v98, 2, v26
	v_lshlrev_b32_e32 v26, 2, v14
	v_add_u32_e32 v14, -1, v14
	v_lshlrev_b64 v[30:31], 2, v[14:15]
	v_add_co_u32_e64 v30, s[34:35], v12, v30
	v_addc_co_u32_e64 v31, s[34:35], v13, v31, s[34:35]
	v_lshlrev_b32_e32 v32, 2, v22
	v_add_co_u32_e64 v26, s[26:27], v12, v26
	s_movk_i32 s34, 0xf00
	v_addc_co_u32_e64 v27, s[26:27], 0, v13, s[26:27]
	v_and_or_b32 v14, v32, s34, v16
	v_add_co_u32_e64 v28, s[26:27], v12, v32
	v_add_co_u32_e64 v32, s[34:35], v12, v14
	v_cmp_lt_u32_e64 s[14:15], 31, v17
	v_cmp_eq_u32_e64 s[22:23], 0, v17
	v_addc_co_u32_e64 v29, s[26:27], 0, v13, s[26:27]
	v_and_b32_e32 v17, 3, v17
	v_addc_co_u32_e64 v33, s[34:35], 0, v13, s[34:35]
	v_lshrrev_b32_e32 v97, 6, v0
	v_cmp_gt_u32_e64 s[18:19], 4, v22
	v_cmp_lt_u32_e64 s[20:21], 63, v22
	v_cmp_eq_u32_e64 s[24:25], 0, v22
	v_cmp_eq_u32_e64 s[26:27], 0, v17
	v_cmp_lt_u32_e64 s[28:29], 1, v17
	v_mad_u64_u32 v[50:51], s[34:35], v14, 7, v[32:33]
	v_sub_u32_e32 v99, v11, v10
	s_mov_b64 s[42:43], 0
	v_mov_b32_e32 v14, v15
	v_mov_b32_e32 v16, v15
	;; [unrolled: 1-line block ×3, first 2 shown]
	s_waitcnt lgkmcnt(0)
	s_barrier
	s_branch .LBB1635_96
.LBB1635_95:                            ;   in Loop: Header=BB1635_96 Depth=1
	s_or_b64 exec, exec, s[36:37]
	s_and_b64 s[34:35], exec, s[44:45]
	s_or_b64 s[42:43], s[34:35], s[42:43]
	s_andn2_b64 exec, exec, s[42:43]
	s_cbranch_execz .LBB1635_126
.LBB1635_96:                            ; =>This Inner Loop Header: Depth=1
	s_waitcnt vmcnt(0)
	v_pk_mov_b32 v[48:49], v[18:19], v[18:19] op_sel:[0,1]
	v_min_u32_e32 v18, s46, v99
	v_lshlrev_b32_e64 v18, v18, -1
	v_pk_mov_b32 v[38:39], v[20:21], v[20:21] op_sel:[0,1]
	v_not_b32_e32 v20, v18
	v_lshrrev_b32_sdwa v18, v10, v23 dst_sel:DWORD dst_unused:UNUSED_PAD src0_sel:DWORD src1_sel:BYTE_0
	v_and_b32_e32 v18, v18, v20
	v_lshlrev_b32_e32 v19, 2, v18
	v_add_lshl_u32 v19, v19, v97, 2
	v_pk_mov_b32 v[36:37], v[52:53], v[52:53] op_sel:[0,1]
	v_add_co_u32_e64 v52, s[34:35], v9, v19
	v_addc_co_u32_e64 v53, s[34:35], 0, v96, s[34:35]
	v_cmp_ne_u32_e64 s[34:35], 0, v18
	v_add_co_u32_e64 v18, s[36:37], -1, v18
	v_addc_co_u32_e64 v19, s[36:37], 0, -1, s[36:37]
	v_xor_b32_e32 v18, s34, v18
	v_xor_b32_e32 v19, s35, v19
	v_and_b32_e32 v18, exec_lo, v18
	v_and_b32_e32 v19, exec_hi, v19
	v_mbcnt_lo_u32_b32 v21, v18, 0
	v_mbcnt_hi_u32_b32 v68, v19, v21
	v_cmp_eq_u32_e64 s[34:35], 0, v68
	v_cmp_ne_u64_e64 s[36:37], 0, v[18:19]
	v_pk_mov_b32 v[34:35], v[54:55], v[54:55] op_sel:[0,1]
	s_and_b64 s[36:37], s[36:37], s[34:35]
	flat_store_dwordx4 v[4:5], v[14:17] offset:16
	s_waitcnt lgkmcnt(0)
	s_barrier
	s_waitcnt lgkmcnt(0)
	; wave barrier
	s_and_saveexec_b64 s[34:35], s[36:37]
	s_cbranch_execz .LBB1635_98
; %bb.97:                               ;   in Loop: Header=BB1635_96 Depth=1
	v_bcnt_u32_b32 v18, v18, 0
	v_bcnt_u32_b32 v18, v19, v18
	flat_store_dword v[52:53], v18
.LBB1635_98:                            ;   in Loop: Header=BB1635_96 Depth=1
	s_or_b64 exec, exec, s[34:35]
	v_lshrrev_b32_sdwa v18, v10, v71 dst_sel:DWORD dst_unused:UNUSED_PAD src0_sel:DWORD src1_sel:BYTE_0
	v_and_b32_e32 v18, v18, v20
	v_lshlrev_b32_e32 v19, 2, v18
	v_add_lshl_u32 v19, v19, v97, 2
	v_add_co_u32_e64 v54, s[34:35], v9, v19
	v_addc_co_u32_e64 v55, s[34:35], 0, v96, s[34:35]
	; wave barrier
	flat_load_dword v80, v[54:55]
	v_cmp_ne_u32_e64 s[34:35], 0, v18
	v_add_co_u32_e64 v18, s[36:37], -1, v18
	v_addc_co_u32_e64 v19, s[36:37], 0, -1, s[36:37]
	v_xor_b32_e32 v18, s34, v18
	v_xor_b32_e32 v19, s35, v19
	v_and_b32_e32 v18, exec_lo, v18
	v_and_b32_e32 v19, exec_hi, v19
	v_mbcnt_lo_u32_b32 v21, v18, 0
	v_mbcnt_hi_u32_b32 v81, v19, v21
	v_cmp_eq_u32_e64 s[34:35], 0, v81
	v_cmp_ne_u64_e64 s[36:37], 0, v[18:19]
	s_and_b64 s[36:37], s[36:37], s[34:35]
	; wave barrier
	s_and_saveexec_b64 s[34:35], s[36:37]
	s_cbranch_execz .LBB1635_100
; %bb.99:                               ;   in Loop: Header=BB1635_96 Depth=1
	v_bcnt_u32_b32 v18, v18, 0
	v_bcnt_u32_b32 v18, v19, v18
	s_waitcnt vmcnt(0) lgkmcnt(0)
	v_add_u32_e32 v18, v80, v18
	flat_store_dword v[54:55], v18
.LBB1635_100:                           ;   in Loop: Header=BB1635_96 Depth=1
	s_or_b64 exec, exec, s[34:35]
	v_lshrrev_b32_sdwa v18, v10, v1 dst_sel:DWORD dst_unused:UNUSED_PAD src0_sel:DWORD src1_sel:BYTE_0
	v_and_b32_e32 v18, v18, v20
	v_lshlrev_b32_e32 v19, 2, v18
	v_add_lshl_u32 v19, v19, v97, 2
	v_add_co_u32_e64 v64, s[34:35], v9, v19
	v_addc_co_u32_e64 v65, s[34:35], 0, v96, s[34:35]
	; wave barrier
	flat_load_dword v82, v[64:65]
	v_cmp_ne_u32_e64 s[34:35], 0, v18
	v_add_co_u32_e64 v18, s[36:37], -1, v18
	v_addc_co_u32_e64 v19, s[36:37], 0, -1, s[36:37]
	v_xor_b32_e32 v18, s34, v18
	v_xor_b32_e32 v19, s35, v19
	v_and_b32_e32 v18, exec_lo, v18
	v_and_b32_e32 v19, exec_hi, v19
	v_mbcnt_lo_u32_b32 v21, v18, 0
	v_mbcnt_hi_u32_b32 v83, v19, v21
	v_cmp_eq_u32_e64 s[34:35], 0, v83
	v_cmp_ne_u64_e64 s[36:37], 0, v[18:19]
	s_and_b64 s[36:37], s[36:37], s[34:35]
	; wave barrier
	s_and_saveexec_b64 s[34:35], s[36:37]
	s_cbranch_execz .LBB1635_102
; %bb.101:                              ;   in Loop: Header=BB1635_96 Depth=1
	v_bcnt_u32_b32 v18, v18, 0
	v_bcnt_u32_b32 v18, v19, v18
	s_waitcnt vmcnt(0) lgkmcnt(0)
	v_add_u32_e32 v18, v82, v18
	flat_store_dword v[64:65], v18
.LBB1635_102:                           ;   in Loop: Header=BB1635_96 Depth=1
	s_or_b64 exec, exec, s[34:35]
	v_lshrrev_b32_sdwa v18, v10, v69 dst_sel:DWORD dst_unused:UNUSED_PAD src0_sel:DWORD src1_sel:BYTE_0
	v_and_b32_e32 v18, v18, v20
	v_lshlrev_b32_e32 v19, 2, v18
	v_add_lshl_u32 v19, v19, v97, 2
	v_add_co_u32_e64 v66, s[34:35], v9, v19
	v_addc_co_u32_e64 v67, s[34:35], 0, v96, s[34:35]
	; wave barrier
	flat_load_dword v84, v[66:67]
	v_cmp_ne_u32_e64 s[34:35], 0, v18
	v_add_co_u32_e64 v18, s[36:37], -1, v18
	v_addc_co_u32_e64 v19, s[36:37], 0, -1, s[36:37]
	v_xor_b32_e32 v18, s34, v18
	v_xor_b32_e32 v19, s35, v19
	v_and_b32_e32 v18, exec_lo, v18
	v_and_b32_e32 v19, exec_hi, v19
	v_mbcnt_lo_u32_b32 v20, v18, 0
	v_mbcnt_hi_u32_b32 v85, v19, v20
	v_cmp_eq_u32_e64 s[34:35], 0, v85
	v_cmp_ne_u64_e64 s[36:37], 0, v[18:19]
	s_and_b64 s[36:37], s[36:37], s[34:35]
	; wave barrier
	s_and_saveexec_b64 s[34:35], s[36:37]
	s_cbranch_execz .LBB1635_104
; %bb.103:                              ;   in Loop: Header=BB1635_96 Depth=1
	v_bcnt_u32_b32 v18, v18, 0
	v_bcnt_u32_b32 v18, v19, v18
	s_waitcnt vmcnt(0) lgkmcnt(0)
	v_add_u32_e32 v18, v84, v18
	flat_store_dword v[66:67], v18
.LBB1635_104:                           ;   in Loop: Header=BB1635_96 Depth=1
	s_or_b64 exec, exec, s[34:35]
	; wave barrier
	s_waitcnt lgkmcnt(0)
	s_barrier
	flat_load_dwordx4 v[18:21], v[4:5] offset:16
	s_waitcnt vmcnt(0) lgkmcnt(0)
	v_add_u32_e32 v70, v19, v18
	v_add3_u32 v21, v70, v20, v21
	s_nop 1
	v_mov_b32_dpp v70, v21 row_shr:1 row_mask:0xf bank_mask:0xf
	v_cndmask_b32_e64 v70, v70, 0, vcc
	v_add_u32_e32 v21, v70, v21
	s_nop 1
	v_mov_b32_dpp v70, v21 row_shr:2 row_mask:0xf bank_mask:0xf
	v_cndmask_b32_e64 v70, 0, v70, s[4:5]
	v_add_u32_e32 v21, v21, v70
	s_nop 1
	v_mov_b32_dpp v70, v21 row_shr:4 row_mask:0xf bank_mask:0xf
	v_cndmask_b32_e64 v70, 0, v70, s[6:7]
	;; [unrolled: 4-line block ×3, first 2 shown]
	v_add_u32_e32 v21, v21, v70
	s_nop 1
	v_mov_b32_dpp v70, v21 row_bcast:15 row_mask:0xf bank_mask:0xf
	v_cndmask_b32_e64 v70, v70, 0, s[30:31]
	v_add_u32_e32 v21, v21, v70
	s_nop 1
	v_mov_b32_dpp v70, v21 row_bcast:31 row_mask:0xf bank_mask:0xf
	v_cndmask_b32_e64 v70, 0, v70, s[14:15]
	v_add_u32_e32 v21, v21, v70
	s_and_saveexec_b64 s[34:35], s[16:17]
	s_cbranch_execz .LBB1635_106
; %bb.105:                              ;   in Loop: Header=BB1635_96 Depth=1
	flat_store_dword v[26:27], v21
.LBB1635_106:                           ;   in Loop: Header=BB1635_96 Depth=1
	s_or_b64 exec, exec, s[34:35]
	s_waitcnt lgkmcnt(0)
	s_barrier
	s_and_saveexec_b64 s[34:35], s[18:19]
	s_cbranch_execz .LBB1635_108
; %bb.107:                              ;   in Loop: Header=BB1635_96 Depth=1
	flat_load_dword v70, v[28:29]
	s_waitcnt vmcnt(0) lgkmcnt(0)
	s_nop 0
	v_mov_b32_dpp v86, v70 row_shr:1 row_mask:0xf bank_mask:0xf
	v_cndmask_b32_e64 v86, v86, 0, s[26:27]
	v_add_u32_e32 v70, v86, v70
	s_nop 1
	v_mov_b32_dpp v86, v70 row_shr:2 row_mask:0xf bank_mask:0xf
	v_cndmask_b32_e64 v86, 0, v86, s[28:29]
	v_add_u32_e32 v70, v70, v86
	flat_store_dword v[28:29], v70
.LBB1635_108:                           ;   in Loop: Header=BB1635_96 Depth=1
	s_or_b64 exec, exec, s[34:35]
	v_mov_b32_e32 v70, 0
	s_waitcnt lgkmcnt(0)
	s_barrier
	s_and_saveexec_b64 s[34:35], s[20:21]
	s_cbranch_execz .LBB1635_110
; %bb.109:                              ;   in Loop: Header=BB1635_96 Depth=1
	flat_load_dword v70, v[30:31]
.LBB1635_110:                           ;   in Loop: Header=BB1635_96 Depth=1
	s_or_b64 exec, exec, s[34:35]
	s_waitcnt vmcnt(0) lgkmcnt(0)
	v_add_u32_e32 v21, v70, v21
	ds_bpermute_b32 v21, v98, v21
	v_add_u32_e32 v10, 8, v10
	v_mov_b32_e32 v100, v1
	v_mov_b32_e32 v102, v69
	v_cmp_lt_u32_e64 s[34:35], v10, v11
	s_waitcnt lgkmcnt(0)
	v_cndmask_b32_e64 v21, v21, v70, s[22:23]
	v_cndmask_b32_e64 v112, v21, 0, s[24:25]
	v_add_u32_e32 v113, v112, v18
	v_add_u32_e32 v114, v113, v19
	;; [unrolled: 1-line block ×3, first 2 shown]
	flat_store_dwordx4 v[4:5], v[112:115] offset:16
	s_waitcnt lgkmcnt(0)
	s_barrier
	flat_load_dword v18, v[52:53]
	flat_load_dword v19, v[54:55]
	flat_load_dword v20, v[64:65]
	flat_load_dword v21, v[66:67]
	v_mov_b32_e32 v65, v23
	v_mov_b32_e32 v67, v71
	s_mov_b64 s[44:45], -1
	s_waitcnt lgkmcnt(0)
                                        ; implicit-def: $vgpr52_vgpr53
                                        ; implicit-def: $vgpr54_vgpr55
	s_waitcnt vmcnt(0) lgkmcnt(0)
	v_add_u32_e32 v70, v18, v68
	v_add3_u32 v68, v81, v80, v19
	v_add_co_u32_e64 v80, s[36:37], v12, v70
	v_addc_co_u32_e64 v81, s[36:37], 0, v13, s[36:37]
	v_add3_u32 v66, v83, v82, v20
	v_add_co_u32_e64 v82, s[36:37], v12, v68
	v_addc_co_u32_e64 v83, s[36:37], 0, v13, s[36:37]
	;; [unrolled: 3-line block ×3, first 2 shown]
	v_add_co_u32_e64 v86, s[36:37], v12, v64
	v_addc_co_u32_e64 v87, s[36:37], 0, v13, s[36:37]
                                        ; implicit-def: $vgpr18_vgpr19
                                        ; implicit-def: $vgpr20_vgpr21
	s_and_saveexec_b64 s[36:37], s[34:35]
	s_cbranch_execz .LBB1635_95
; %bb.111:                              ;   in Loop: Header=BB1635_96 Depth=1
	v_mad_u64_u32 v[18:19], s[34:35], v70, 7, v[80:81]
	s_barrier
	flat_store_byte v[80:81], v23
	flat_store_byte v[82:83], v71
	;; [unrolled: 1-line block ×4, first 2 shown]
	s_waitcnt lgkmcnt(0)
	s_barrier
	flat_load_ubyte v69, v[32:33] offset:192
	flat_load_ubyte v1, v[32:33] offset:128
	;; [unrolled: 1-line block ×3, first 2 shown]
	flat_load_ubyte v23, v[32:33]
	s_waitcnt lgkmcnt(0)
	s_barrier
	flat_store_dwordx2 v[18:19], v[48:49]
	v_mad_u64_u32 v[18:19], s[34:35], v68, 7, v[82:83]
	flat_store_dwordx2 v[18:19], v[38:39]
	v_mad_u64_u32 v[18:19], s[34:35], v66, 7, v[84:85]
	;; [unrolled: 2-line block ×3, first 2 shown]
	flat_store_dwordx2 v[18:19], v[34:35]
	s_waitcnt lgkmcnt(0)
	s_barrier
	flat_load_dwordx2 v[18:19], v[50:51]
	flat_load_dwordx2 v[20:21], v[50:51] offset:512
	flat_load_dwordx2 v[52:53], v[50:51] offset:1024
	;; [unrolled: 1-line block ×3, first 2 shown]
	v_add_u32_e32 v99, -8, v99
	s_xor_b64 s[44:45], exec, -1
	s_waitcnt lgkmcnt(0)
	s_barrier
	s_branch .LBB1635_95
.LBB1635_112:
	flat_load_dwordx2 v[18:19], v[4:5]
	s_or_b64 exec, exec, s[22:23]
                                        ; implicit-def: $vgpr20_vgpr21
	s_and_saveexec_b64 s[22:23], s[4:5]
	s_cbranch_execz .LBB1635_20
.LBB1635_113:
	flat_load_dwordx2 v[20:21], v[4:5] offset:512
	s_or_b64 exec, exec, s[22:23]
                                        ; implicit-def: $vgpr68_vgpr69
	s_and_saveexec_b64 s[4:5], s[6:7]
	s_cbranch_execz .LBB1635_21
.LBB1635_114:
	flat_load_dwordx2 v[68:69], v[4:5] offset:1024
	s_or_b64 exec, exec, s[4:5]
                                        ; implicit-def: $vgpr70_vgpr71
	s_and_saveexec_b64 s[4:5], s[10:11]
	s_cbranch_execz .LBB1635_22
.LBB1635_115:
	flat_load_dwordx2 v[70:71], v[4:5] offset:1536
	s_or_b64 exec, exec, s[4:5]
                                        ; implicit-def: $vgpr80_vgpr81
	s_and_saveexec_b64 s[4:5], s[20:21]
	s_cbranch_execz .LBB1635_23
.LBB1635_116:
	flat_load_dwordx2 v[80:81], v[4:5] offset:2048
	s_or_b64 exec, exec, s[4:5]
                                        ; implicit-def: $vgpr114_vgpr115
	s_and_saveexec_b64 s[4:5], s[14:15]
	s_cbranch_execz .LBB1635_24
.LBB1635_117:
	flat_load_dwordx2 v[114:115], v[4:5] offset:2560
	s_or_b64 exec, exec, s[4:5]
                                        ; implicit-def: $vgpr130_vgpr131
	s_and_saveexec_b64 s[4:5], s[16:17]
	s_cbranch_execz .LBB1635_25
.LBB1635_118:
	flat_load_dwordx2 v[130:131], v[4:5] offset:3072
	s_or_b64 exec, exec, s[4:5]
                                        ; implicit-def: $vgpr148_vgpr149
	s_and_saveexec_b64 s[4:5], s[18:19]
	s_cbranch_execnz .LBB1635_26
	s_branch .LBB1635_27
.LBB1635_119:
	s_waitcnt vmcnt(0)
	flat_store_dwordx2 v[0:1], v[26:27]
	s_or_b64 exec, exec, s[22:23]
	s_and_saveexec_b64 s[22:23], s[16:17]
	s_cbranch_execz .LBB1635_71
.LBB1635_120:
	s_waitcnt vmcnt(0)
	flat_store_dwordx2 v[0:1], v[20:21] offset:2048
	s_or_b64 exec, exec, s[22:23]
	s_and_saveexec_b64 s[16:17], s[18:19]
	s_cbranch_execz .LBB1635_72
.LBB1635_121:
	v_add_co_u32_e32 v2, vcc, 0x1000, v0
	v_addc_co_u32_e32 v3, vcc, 0, v1, vcc
	s_waitcnt vmcnt(0)
	flat_store_dwordx2 v[2:3], v[18:19]
	s_or_b64 exec, exec, s[16:17]
	s_and_saveexec_b64 s[16:17], s[14:15]
	s_cbranch_execz .LBB1635_73
.LBB1635_122:
	v_add_co_u32_e32 v2, vcc, 0x1000, v0
	v_addc_co_u32_e32 v3, vcc, 0, v1, vcc
	s_waitcnt vmcnt(0)
	flat_store_dwordx2 v[2:3], v[14:15] offset:2048
	s_or_b64 exec, exec, s[16:17]
	s_and_saveexec_b64 s[14:15], s[20:21]
	s_cbranch_execz .LBB1635_74
.LBB1635_123:
	v_add_co_u32_e32 v2, vcc, 0x2000, v0
	v_addc_co_u32_e32 v3, vcc, 0, v1, vcc
	s_waitcnt vmcnt(0)
	flat_store_dwordx2 v[2:3], v[16:17]
	s_or_b64 exec, exec, s[14:15]
	s_and_saveexec_b64 s[14:15], s[10:11]
	s_cbranch_execz .LBB1635_75
.LBB1635_124:
	v_add_co_u32_e32 v2, vcc, 0x2000, v0
	v_addc_co_u32_e32 v3, vcc, 0, v1, vcc
	s_waitcnt vmcnt(0)
	flat_store_dwordx2 v[2:3], v[12:13] offset:2048
	s_or_b64 exec, exec, s[14:15]
	s_and_saveexec_b64 s[10:11], s[6:7]
	s_cbranch_execz .LBB1635_76
.LBB1635_125:
	v_add_co_u32_e32 v2, vcc, 0x3000, v0
	v_addc_co_u32_e32 v3, vcc, 0, v1, vcc
	s_waitcnt vmcnt(0)
	flat_store_dwordx2 v[2:3], v[10:11]
	s_or_b64 exec, exec, s[10:11]
	s_and_saveexec_b64 s[6:7], s[4:5]
	s_cbranch_execnz .LBB1635_77
	s_branch .LBB1635_78
.LBB1635_126:
	s_or_b64 exec, exec, s[42:43]
	v_add_co_u32_e32 v4, vcc, v12, v22
	v_addc_co_u32_e32 v5, vcc, 0, v13, vcc
	v_mad_u64_u32 v[10:11], s[4:5], v70, 7, v[80:81]
	s_barrier
	flat_store_byte v[80:81], v65
	flat_store_byte v[82:83], v67
	;; [unrolled: 1-line block ×4, first 2 shown]
	s_waitcnt lgkmcnt(0)
	s_barrier
	s_waitcnt vmcnt(0)
	flat_load_ubyte v18, v[4:5]
	flat_load_ubyte v17, v[4:5] offset:256
	flat_load_ubyte v16, v[4:5] offset:512
	;; [unrolled: 1-line block ×3, first 2 shown]
	s_waitcnt lgkmcnt(0)
	s_barrier
	flat_store_dwordx2 v[10:11], v[48:49]
	v_mad_u64_u32 v[10:11], s[4:5], v68, 7, v[82:83]
	flat_store_dwordx2 v[10:11], v[38:39]
	v_mad_u64_u32 v[10:11], s[4:5], v66, 7, v[84:85]
	;; [unrolled: 2-line block ×3, first 2 shown]
	v_mad_u64_u32 v[20:21], s[4:5], v22, 7, v[4:5]
	s_movk_i32 s4, 0x1000
	v_add_co_u32_e32 v22, vcc, s4, v20
	flat_store_dwordx2 v[10:11], v[34:35]
	s_waitcnt lgkmcnt(0)
	s_barrier
	v_addc_co_u32_e32 v23, vcc, 0, v21, vcc
	flat_load_dwordx2 v[14:15], v[20:21]
	flat_load_dwordx2 v[12:13], v[20:21] offset:2048
	flat_load_dwordx2 v[10:11], v[22:23]
	flat_load_dwordx2 v[4:5], v[22:23] offset:2048
	v_add_co_u32_e32 v2, vcc, v2, v8
	v_addc_co_u32_e32 v3, vcc, 0, v3, vcc
	v_add_co_u32_e32 v2, vcc, v2, v0
	v_addc_co_u32_e32 v3, vcc, 0, v3, vcc
	v_mov_b32_e32 v1, 0
	v_cmp_lt_u32_e32 vcc, v0, v101
	s_waitcnt lgkmcnt(0)
	s_barrier
	s_and_saveexec_b64 s[4:5], vcc
	s_cbranch_execz .LBB1635_128
; %bb.127:
	s_waitcnt vmcnt(0)
	flat_store_byte v[2:3], v18
.LBB1635_128:
	s_or_b64 exec, exec, s[4:5]
	v_add_u32_e32 v8, 0x100, v0
	v_cmp_lt_u32_e64 s[6:7], v8, v101
	s_and_saveexec_b64 s[4:5], s[6:7]
	s_cbranch_execz .LBB1635_130
; %bb.129:
	s_waitcnt vmcnt(0)
	flat_store_byte v[2:3], v17 offset:256
.LBB1635_130:
	s_or_b64 exec, exec, s[4:5]
	v_add_u32_e32 v8, 0x200, v0
	v_cmp_lt_u32_e64 s[10:11], v8, v101
	s_and_saveexec_b64 s[4:5], s[10:11]
	s_cbranch_execz .LBB1635_132
; %bb.131:
	s_waitcnt vmcnt(0)
	flat_store_byte v[2:3], v16 offset:512
.LBB1635_132:
	s_or_b64 exec, exec, s[4:5]
	v_add_u32_e32 v8, 0x300, v0
	v_cmp_lt_u32_e64 s[4:5], v8, v101
	s_and_saveexec_b64 s[14:15], s[4:5]
	s_cbranch_execz .LBB1635_134
; %bb.133:
	s_waitcnt vmcnt(0)
	flat_store_byte v[2:3], v9 offset:768
.LBB1635_134:
	s_or_b64 exec, exec, s[14:15]
	v_add_co_u32_e64 v2, s[14:15], v6, v24
	v_addc_co_u32_e64 v3, s[14:15], v7, v25, s[14:15]
	v_lshlrev_b64 v[0:1], 3, v[0:1]
	v_add_co_u32_e64 v0, s[14:15], v2, v0
	v_addc_co_u32_e64 v1, s[14:15], v3, v1, s[14:15]
	s_and_saveexec_b64 s[14:15], vcc
	s_cbranch_execnz .LBB1635_167
; %bb.135:
	s_or_b64 exec, exec, s[14:15]
	s_and_saveexec_b64 s[14:15], s[6:7]
	s_cbranch_execnz .LBB1635_168
.LBB1635_136:
	s_or_b64 exec, exec, s[14:15]
	s_and_saveexec_b64 s[6:7], s[10:11]
	s_cbranch_execnz .LBB1635_169
.LBB1635_137:
	s_or_b64 exec, exec, s[6:7]
	s_and_saveexec_b64 s[6:7], s[4:5]
	s_cbranch_execz .LBB1635_139
.LBB1635_138:
	v_add_co_u32_e32 v0, vcc, 0x1000, v0
	v_addc_co_u32_e32 v1, vcc, 0, v1, vcc
	s_waitcnt vmcnt(0)
	flat_store_dwordx2 v[0:1], v[4:5] offset:2048
.LBB1635_139:
	s_or_b64 exec, exec, s[6:7]
                                        ; implicit-def: $vgpr101
                                        ; implicit-def: $vgpr0
                                        ; implicit-def: $vgpr1
                                        ; implicit-def: $vgpr2
                                        ; implicit-def: $vgpr3
                                        ; implicit-def: $vgpr4
                                        ; implicit-def: $vgpr5
                                        ; implicit-def: $vgpr6
                                        ; implicit-def: $vgpr7
                                        ; implicit-def: $vgpr8
                                        ; implicit-def: $vgpr10
                                        ; implicit-def: $vgpr11
                                        ; implicit-def: $vgpr12
                                        ; implicit-def: $vgpr13
                                        ; implicit-def: $vgpr31
                                        ; implicit-def: $vgpr18
                                        ; implicit-def: $vgpr19
                                        ; implicit-def: $vgpr14
.LBB1635_140:
	s_andn2_saveexec_b64 s[4:5], s[40:41]
	s_cbranch_execz .LBB1635_199
; %bb.141:
	s_load_dwordx2 s[4:5], s[8:9], 0x0
	s_waitcnt vmcnt(0)
	v_mov_b32_e32 v9, 0
	v_and_b32_e32 v24, 0x3ff, v31
	s_waitcnt lgkmcnt(0)
	s_cmp_lt_u32 s12, s4
	s_cselect_b32 s6, 12, 18
	s_cmp_lt_u32 s13, s5
	s_cselect_b32 s4, 14, 20
	s_add_u32 s4, s8, s4
	s_addc_u32 s5, s9, 0
	global_load_ushort v15, v9, s[4:5]
	s_add_u32 s4, s8, s6
	s_addc_u32 s5, s9, 0
	global_load_ushort v16, v9, s[4:5]
	s_movk_i32 s4, 0x100
	v_cmp_lt_u32_e32 vcc, s4, v101
	s_waitcnt vmcnt(1)
	v_mad_u32_u24 v15, v19, v15, v18
	s_waitcnt vmcnt(0)
	v_mad_u64_u32 v[22:23], s[4:5], v15, v16, v[24:25]
	s_and_saveexec_b64 s[4:5], vcc
	s_xor_b64 s[34:35], exec, s[4:5]
	s_cbranch_execz .LBB1635_179
; %bb.142:
	v_add_co_u32_e32 v0, vcc, v0, v8
	v_mbcnt_hi_u32_b32 v17, -1, v14
	v_addc_co_u32_e32 v1, vcc, 0, v1, vcc
	v_and_b32_e32 v16, 63, v17
	v_lshlrev_b32_e32 v14, 1, v22
	v_add_co_u32_e32 v0, vcc, v0, v16
	v_and_b32_e32 v14, 0xffffff80, v14
	v_addc_co_u32_e32 v1, vcc, 0, v1, vcc
	v_add_co_u32_e32 v0, vcc, v0, v14
	v_addc_co_u32_e32 v1, vcc, 0, v1, vcc
	v_or_b32_e32 v18, v16, v14
	v_mov_b32_e32 v15, v9
	v_cmp_lt_u32_e32 vcc, v18, v101
	v_mov_b32_e32 v25, 1
	v_mov_b32_e32 v23, 1
	s_and_saveexec_b64 s[4:5], vcc
	s_cbranch_execz .LBB1635_144
; %bb.143:
	flat_load_ubyte v25, v[0:1]
.LBB1635_144:
	s_or_b64 exec, exec, s[4:5]
	v_or_b32_e32 v18, 64, v18
	v_cmp_lt_u32_e64 s[4:5], v18, v101
	s_and_saveexec_b64 s[6:7], s[4:5]
	s_cbranch_execz .LBB1635_146
; %bb.145:
	flat_load_ubyte v23, v[0:1] offset:64
.LBB1635_146:
	s_or_b64 exec, exec, s[6:7]
	v_lshlrev_b64 v[0:1], 3, v[8:9]
	v_add_co_u32_e64 v4, s[6:7], v4, v0
	v_addc_co_u32_e64 v5, s[6:7], v5, v1, s[6:7]
	v_lshlrev_b32_e32 v9, 3, v16
	v_add_co_u32_e64 v9, s[6:7], v4, v9
	v_addc_co_u32_e64 v18, s[6:7], 0, v5, s[6:7]
	v_lshlrev_b64 v[4:5], 3, v[14:15]
	v_add_co_u32_e64 v4, s[6:7], v9, v4
	v_addc_co_u32_e64 v5, s[6:7], v18, v5, s[6:7]
                                        ; implicit-def: $vgpr18_vgpr19
	s_and_saveexec_b64 s[6:7], vcc
	s_cbranch_execz .LBB1635_148
; %bb.147:
	flat_load_dwordx2 v[18:19], v[4:5]
.LBB1635_148:
	s_or_b64 exec, exec, s[6:7]
                                        ; implicit-def: $vgpr20_vgpr21
	s_and_saveexec_b64 s[6:7], s[4:5]
	s_cbranch_execz .LBB1635_150
; %bb.149:
	flat_load_dwordx2 v[20:21], v[4:5] offset:512
.LBB1635_150:
	s_or_b64 exec, exec, s[6:7]
	v_add_co_u32_e32 v9, vcc, 16, v12
	v_addc_co_u32_e32 v64, vcc, 0, v13, vcc
	v_lshlrev_b32_e32 v4, 4, v24
	v_add_co_u32_e32 v4, vcc, v12, v4
	s_getpc_b64 s[4:5]
	s_add_u32 s4, s4, _ZN7rocprim17ROCPRIM_400000_NS16block_radix_sortIbLj256ELj2ElLj1ELj1ELj8ELNS0_26block_radix_rank_algorithmE2ELNS0_18block_padding_hintE2ELNS0_4arch9wavefront6targetE1EE19radix_bits_per_passE@rel32@lo+4
	s_addc_u32 s5, s5, _ZN7rocprim17ROCPRIM_400000_NS16block_radix_sortIbLj256ELj2ElLj1ELj1ELj8ELNS0_26block_radix_rank_algorithmE2ELNS0_18block_padding_hintE2ELNS0_4arch9wavefront6targetE1EE19radix_bits_per_passE@rel32@hi+12
	v_addc_co_u32_e32 v5, vcc, 0, v13, vcc
	v_and_b32_e32 v26, 15, v17
	s_load_dword s42, s[4:5], 0x0
	v_cmp_eq_u32_e32 vcc, 0, v26
	v_cmp_lt_u32_e64 s[4:5], 1, v26
	v_cmp_lt_u32_e64 s[6:7], 3, v26
	;; [unrolled: 1-line block ×3, first 2 shown]
	v_and_b32_e32 v26, 16, v17
	v_cmp_eq_u32_e64 s[10:11], 0, v26
	v_and_b32_e32 v26, 0x3c0, v24
	v_min_u32_e32 v26, 0xc0, v26
	v_or_b32_e32 v26, 63, v26
	v_cmp_eq_u32_e64 s[14:15], v26, v24
	v_add_u32_e32 v26, -1, v17
	v_and_b32_e32 v27, 64, v17
	v_cmp_lt_i32_e64 s[20:21], v26, v27
	v_lshrrev_b32_e32 v30, 6, v24
	v_cndmask_b32_e64 v26, v26, v17, s[20:21]
	v_lshlrev_b32_e32 v66, 2, v26
	v_lshlrev_b32_e32 v26, 2, v30
	v_add_co_u32_e64 v26, s[24:25], v12, v26
	v_lshlrev_b32_e32 v14, 2, v24
	v_addc_co_u32_e64 v27, s[24:25], 0, v13, s[24:25]
	v_add_co_u32_e64 v28, s[24:25], v12, v14
	v_addc_co_u32_e64 v29, s[24:25], 0, v13, s[24:25]
	v_and_b32_e32 v14, 3, v17
	v_mov_b32_e32 v15, 0
	v_cmp_eq_u32_e64 s[24:25], 0, v14
	v_cmp_lt_u32_e64 s[26:27], 1, v14
	v_add_u32_e32 v14, -1, v30
	v_lshlrev_b64 v[30:31], 2, v[14:15]
	v_add_co_u32_e64 v30, s[28:29], v12, v30
	v_addc_co_u32_e64 v31, s[28:29], v13, v31, s[28:29]
	v_lshlrev_b32_e32 v14, 1, v24
	s_movk_i32 s28, 0x780
	v_and_or_b32 v14, v14, s28, v16
	v_add_co_u32_e64 v34, s[28:29], v12, v14
	v_addc_co_u32_e64 v35, s[28:29], 0, v13, s[28:29]
	v_lshrrev_b32_e32 v65, 6, v22
	v_cmp_lt_u32_e64 s[12:13], 31, v17
	v_cmp_gt_u32_e64 s[16:17], 4, v24
	v_cmp_lt_u32_e64 s[18:19], 63, v24
	v_cmp_eq_u32_e64 s[20:21], 0, v17
	v_cmp_eq_u32_e64 s[22:23], 0, v24
	v_mad_u64_u32 v[38:39], s[28:29], v14, 7, v[34:35]
	v_sub_u32_e32 v67, v11, v10
	s_mov_b64 s[36:37], 0
	v_mov_b32_e32 v14, v15
	v_mov_b32_e32 v16, v15
	v_mov_b32_e32 v17, v15
	s_waitcnt lgkmcnt(0)
	s_barrier
	s_branch .LBB1635_152
.LBB1635_151:                           ;   in Loop: Header=BB1635_152 Depth=1
	s_or_b64 exec, exec, s[30:31]
	s_and_b64 s[28:29], exec, s[40:41]
	s_or_b64 s[36:37], s[28:29], s[36:37]
	s_andn2_b64 exec, exec, s[36:37]
	s_cbranch_execz .LBB1635_170
.LBB1635_152:                           ; =>This Inner Loop Header: Depth=1
	s_waitcnt vmcnt(0)
	v_pk_mov_b32 v[36:37], v[18:19], v[18:19] op_sel:[0,1]
	v_min_u32_e32 v18, s42, v67
	v_lshlrev_b32_e64 v18, v18, -1
	v_pk_mov_b32 v[32:33], v[20:21], v[20:21] op_sel:[0,1]
	v_not_b32_e32 v20, v18
	v_lshrrev_b32_sdwa v18, v10, v25 dst_sel:DWORD dst_unused:UNUSED_PAD src0_sel:DWORD src1_sel:BYTE_0
	v_and_b32_e32 v18, v18, v20
	v_lshlrev_b32_e32 v19, 2, v18
	v_add_lshl_u32 v19, v19, v65, 2
	v_add_co_u32_e64 v48, s[28:29], v9, v19
	v_addc_co_u32_e64 v49, s[28:29], 0, v64, s[28:29]
	v_cmp_ne_u32_e64 s[28:29], 0, v18
	v_add_co_u32_e64 v18, s[30:31], -1, v18
	v_addc_co_u32_e64 v19, s[30:31], 0, -1, s[30:31]
	v_xor_b32_e32 v18, s28, v18
	v_xor_b32_e32 v19, s29, v19
	v_and_b32_e32 v18, exec_lo, v18
	v_and_b32_e32 v19, exec_hi, v19
	v_mbcnt_lo_u32_b32 v21, v18, 0
	v_mbcnt_hi_u32_b32 v52, v19, v21
	v_cmp_eq_u32_e64 s[28:29], 0, v52
	v_cmp_ne_u64_e64 s[30:31], 0, v[18:19]
	s_and_b64 s[30:31], s[30:31], s[28:29]
	flat_store_dwordx4 v[4:5], v[14:17] offset:16
	s_waitcnt lgkmcnt(0)
	s_barrier
	s_waitcnt lgkmcnt(0)
	; wave barrier
	s_and_saveexec_b64 s[28:29], s[30:31]
	s_cbranch_execz .LBB1635_154
; %bb.153:                              ;   in Loop: Header=BB1635_152 Depth=1
	v_bcnt_u32_b32 v18, v18, 0
	v_bcnt_u32_b32 v18, v19, v18
	flat_store_dword v[48:49], v18
.LBB1635_154:                           ;   in Loop: Header=BB1635_152 Depth=1
	s_or_b64 exec, exec, s[28:29]
	v_lshrrev_b32_sdwa v18, v10, v23 dst_sel:DWORD dst_unused:UNUSED_PAD src0_sel:DWORD src1_sel:BYTE_0
	v_and_b32_e32 v18, v18, v20
	v_lshlrev_b32_e32 v19, 2, v18
	v_add_lshl_u32 v19, v19, v65, 2
	v_add_co_u32_e64 v50, s[28:29], v9, v19
	v_addc_co_u32_e64 v51, s[28:29], 0, v64, s[28:29]
	; wave barrier
	flat_load_dword v53, v[50:51]
	v_cmp_ne_u32_e64 s[28:29], 0, v18
	v_add_co_u32_e64 v18, s[30:31], -1, v18
	v_addc_co_u32_e64 v19, s[30:31], 0, -1, s[30:31]
	v_xor_b32_e32 v18, s28, v18
	v_xor_b32_e32 v19, s29, v19
	v_and_b32_e32 v18, exec_lo, v18
	v_and_b32_e32 v19, exec_hi, v19
	v_mbcnt_lo_u32_b32 v20, v18, 0
	v_mbcnt_hi_u32_b32 v54, v19, v20
	v_cmp_eq_u32_e64 s[28:29], 0, v54
	v_cmp_ne_u64_e64 s[30:31], 0, v[18:19]
	s_and_b64 s[30:31], s[30:31], s[28:29]
	; wave barrier
	s_and_saveexec_b64 s[28:29], s[30:31]
	s_cbranch_execz .LBB1635_156
; %bb.155:                              ;   in Loop: Header=BB1635_152 Depth=1
	v_bcnt_u32_b32 v18, v18, 0
	v_bcnt_u32_b32 v18, v19, v18
	s_waitcnt vmcnt(0) lgkmcnt(0)
	v_add_u32_e32 v18, v53, v18
	flat_store_dword v[50:51], v18
.LBB1635_156:                           ;   in Loop: Header=BB1635_152 Depth=1
	s_or_b64 exec, exec, s[28:29]
	; wave barrier
	s_waitcnt lgkmcnt(0)
	s_barrier
	flat_load_dwordx4 v[18:21], v[4:5] offset:16
	s_waitcnt vmcnt(0) lgkmcnt(0)
	v_add_u32_e32 v55, v19, v18
	v_add3_u32 v21, v55, v20, v21
	s_nop 1
	v_mov_b32_dpp v55, v21 row_shr:1 row_mask:0xf bank_mask:0xf
	v_cndmask_b32_e64 v55, v55, 0, vcc
	v_add_u32_e32 v21, v55, v21
	s_nop 1
	v_mov_b32_dpp v55, v21 row_shr:2 row_mask:0xf bank_mask:0xf
	v_cndmask_b32_e64 v55, 0, v55, s[4:5]
	v_add_u32_e32 v21, v21, v55
	s_nop 1
	v_mov_b32_dpp v55, v21 row_shr:4 row_mask:0xf bank_mask:0xf
	v_cndmask_b32_e64 v55, 0, v55, s[6:7]
	;; [unrolled: 4-line block ×3, first 2 shown]
	v_add_u32_e32 v21, v21, v55
	s_nop 1
	v_mov_b32_dpp v55, v21 row_bcast:15 row_mask:0xf bank_mask:0xf
	v_cndmask_b32_e64 v55, v55, 0, s[10:11]
	v_add_u32_e32 v21, v21, v55
	s_nop 1
	v_mov_b32_dpp v55, v21 row_bcast:31 row_mask:0xf bank_mask:0xf
	v_cndmask_b32_e64 v55, 0, v55, s[12:13]
	v_add_u32_e32 v21, v21, v55
	s_and_saveexec_b64 s[28:29], s[14:15]
	s_cbranch_execz .LBB1635_158
; %bb.157:                              ;   in Loop: Header=BB1635_152 Depth=1
	flat_store_dword v[26:27], v21
.LBB1635_158:                           ;   in Loop: Header=BB1635_152 Depth=1
	s_or_b64 exec, exec, s[28:29]
	s_waitcnt lgkmcnt(0)
	s_barrier
	s_and_saveexec_b64 s[28:29], s[16:17]
	s_cbranch_execz .LBB1635_160
; %bb.159:                              ;   in Loop: Header=BB1635_152 Depth=1
	flat_load_dword v55, v[28:29]
	s_waitcnt vmcnt(0) lgkmcnt(0)
	s_nop 0
	v_mov_b32_dpp v68, v55 row_shr:1 row_mask:0xf bank_mask:0xf
	v_cndmask_b32_e64 v68, v68, 0, s[24:25]
	v_add_u32_e32 v55, v68, v55
	s_nop 1
	v_mov_b32_dpp v68, v55 row_shr:2 row_mask:0xf bank_mask:0xf
	v_cndmask_b32_e64 v68, 0, v68, s[26:27]
	v_add_u32_e32 v55, v55, v68
	flat_store_dword v[28:29], v55
.LBB1635_160:                           ;   in Loop: Header=BB1635_152 Depth=1
	s_or_b64 exec, exec, s[28:29]
	v_mov_b32_e32 v55, 0
	s_waitcnt lgkmcnt(0)
	s_barrier
	s_and_saveexec_b64 s[28:29], s[18:19]
	s_cbranch_execz .LBB1635_162
; %bb.161:                              ;   in Loop: Header=BB1635_152 Depth=1
	flat_load_dword v55, v[30:31]
.LBB1635_162:                           ;   in Loop: Header=BB1635_152 Depth=1
	s_or_b64 exec, exec, s[28:29]
	s_waitcnt vmcnt(0) lgkmcnt(0)
	v_add_u32_e32 v21, v55, v21
	ds_bpermute_b32 v21, v66, v21
	v_add_u32_e32 v10, 8, v10
	v_cmp_lt_u32_e64 s[28:29], v10, v11
	s_mov_b64 s[40:41], -1
	s_waitcnt lgkmcnt(0)
	v_cndmask_b32_e64 v21, v21, v55, s[20:21]
	v_cndmask_b32_e64 v68, v21, 0, s[22:23]
	v_add_u32_e32 v69, v68, v18
	v_add_u32_e32 v70, v69, v19
	;; [unrolled: 1-line block ×3, first 2 shown]
	flat_store_dwordx4 v[4:5], v[68:71] offset:16
	s_waitcnt lgkmcnt(0)
	s_barrier
	flat_load_dword v18, v[48:49]
	flat_load_dword v19, v[50:51]
	v_mov_b32_e32 v49, v25
	v_mov_b32_e32 v51, v23
	s_waitcnt lgkmcnt(0)
                                        ; implicit-def: $vgpr20_vgpr21
	s_waitcnt vmcnt(0) lgkmcnt(0)
	v_add_u32_e32 v50, v18, v52
	v_add_co_u32_e64 v52, s[30:31], v12, v50
	v_add3_u32 v48, v54, v53, v19
	v_addc_co_u32_e64 v53, s[30:31], 0, v13, s[30:31]
	v_add_co_u32_e64 v54, s[30:31], v12, v48
	v_addc_co_u32_e64 v55, s[30:31], 0, v13, s[30:31]
                                        ; implicit-def: $vgpr18_vgpr19
	s_and_saveexec_b64 s[30:31], s[28:29]
	s_cbranch_execz .LBB1635_151
; %bb.163:                              ;   in Loop: Header=BB1635_152 Depth=1
	v_mad_u64_u32 v[18:19], s[28:29], v50, 7, v[52:53]
	s_barrier
	flat_store_byte v[52:53], v25
	flat_store_byte v[54:55], v23
	s_waitcnt lgkmcnt(0)
	s_barrier
	flat_load_ubyte v23, v[34:35] offset:64
	flat_load_ubyte v25, v[34:35]
	s_waitcnt lgkmcnt(0)
	s_barrier
	flat_store_dwordx2 v[18:19], v[36:37]
	v_mad_u64_u32 v[18:19], s[28:29], v48, 7, v[54:55]
	flat_store_dwordx2 v[18:19], v[32:33]
	s_waitcnt lgkmcnt(0)
	s_barrier
	flat_load_dwordx2 v[18:19], v[38:39]
	flat_load_dwordx2 v[20:21], v[38:39] offset:512
	v_add_u32_e32 v67, -8, v67
	s_xor_b64 s[40:41], exec, -1
	s_waitcnt lgkmcnt(0)
	s_barrier
	s_branch .LBB1635_151
.LBB1635_164:
	flat_load_dwordx2 v[18:19], v[4:5]
	s_or_b64 exec, exec, s[14:15]
                                        ; implicit-def: $vgpr20_vgpr21
	s_and_saveexec_b64 s[14:15], s[4:5]
	s_cbranch_execz .LBB1635_91
.LBB1635_165:
	flat_load_dwordx2 v[20:21], v[4:5] offset:512
	s_or_b64 exec, exec, s[14:15]
                                        ; implicit-def: $vgpr52_vgpr53
	s_and_saveexec_b64 s[4:5], s[6:7]
	s_cbranch_execz .LBB1635_92
.LBB1635_166:
	flat_load_dwordx2 v[52:53], v[4:5] offset:1024
	s_or_b64 exec, exec, s[4:5]
                                        ; implicit-def: $vgpr54_vgpr55
	s_and_saveexec_b64 s[4:5], s[10:11]
	s_cbranch_execnz .LBB1635_93
	s_branch .LBB1635_94
.LBB1635_167:
	s_waitcnt vmcnt(0)
	flat_store_dwordx2 v[0:1], v[14:15]
	s_or_b64 exec, exec, s[14:15]
	s_and_saveexec_b64 s[14:15], s[6:7]
	s_cbranch_execz .LBB1635_136
.LBB1635_168:
	s_waitcnt vmcnt(0)
	flat_store_dwordx2 v[0:1], v[12:13] offset:2048
	s_or_b64 exec, exec, s[14:15]
	s_and_saveexec_b64 s[6:7], s[10:11]
	s_cbranch_execz .LBB1635_137
.LBB1635_169:
	v_add_co_u32_e32 v2, vcc, 0x1000, v0
	v_addc_co_u32_e32 v3, vcc, 0, v1, vcc
	s_waitcnt vmcnt(0)
	flat_store_dwordx2 v[2:3], v[10:11]
	s_or_b64 exec, exec, s[6:7]
	s_and_saveexec_b64 s[6:7], s[4:5]
	s_cbranch_execnz .LBB1635_138
	s_branch .LBB1635_139
.LBB1635_170:
	s_or_b64 exec, exec, s[36:37]
	v_add_co_u32_e32 v4, vcc, v12, v24
	v_addc_co_u32_e32 v5, vcc, 0, v13, vcc
	v_mad_u64_u32 v[10:11], s[4:5], v50, 7, v[52:53]
	s_barrier
	flat_store_byte v[52:53], v49
	flat_store_byte v[54:55], v51
	s_waitcnt lgkmcnt(0)
	s_barrier
	flat_load_ubyte v12, v[4:5]
	flat_load_ubyte v9, v[4:5] offset:256
	s_waitcnt lgkmcnt(0)
	s_barrier
	flat_store_dwordx2 v[10:11], v[36:37]
	v_mad_u64_u32 v[10:11], s[4:5], v48, 7, v[54:55]
	v_mad_u64_u32 v[14:15], s[4:5], v24, 7, v[4:5]
	flat_store_dwordx2 v[10:11], v[32:33]
	s_waitcnt lgkmcnt(0)
	s_barrier
	flat_load_dwordx2 v[10:11], v[14:15]
	flat_load_dwordx2 v[4:5], v[14:15] offset:2048
	v_add_co_u32_e32 v2, vcc, v2, v8
	v_addc_co_u32_e32 v3, vcc, 0, v3, vcc
	v_add_co_u32_e32 v2, vcc, v2, v22
	v_addc_co_u32_e32 v3, vcc, 0, v3, vcc
	s_waitcnt vmcnt(0)
	v_mov_b32_e32 v23, 0
	v_cmp_lt_u32_e32 vcc, v22, v101
	s_waitcnt lgkmcnt(0)
	s_barrier
	s_and_saveexec_b64 s[4:5], vcc
	s_cbranch_execz .LBB1635_172
; %bb.171:
	flat_store_byte v[2:3], v12
.LBB1635_172:
	s_or_b64 exec, exec, s[4:5]
	v_add_u32_e32 v8, 0x100, v22
	v_cmp_lt_u32_e64 s[4:5], v8, v101
	s_and_saveexec_b64 s[6:7], s[4:5]
	s_cbranch_execz .LBB1635_174
; %bb.173:
	flat_store_byte v[2:3], v9 offset:256
.LBB1635_174:
	s_or_b64 exec, exec, s[6:7]
	v_add_co_u32_e64 v2, s[6:7], v6, v0
	v_addc_co_u32_e64 v3, s[6:7], v7, v1, s[6:7]
	v_lshlrev_b64 v[0:1], 3, v[22:23]
	v_add_co_u32_e64 v0, s[6:7], v2, v0
	v_addc_co_u32_e64 v1, s[6:7], v3, v1, s[6:7]
	s_and_saveexec_b64 s[6:7], vcc
	s_cbranch_execz .LBB1635_176
; %bb.175:
	flat_store_dwordx2 v[0:1], v[10:11]
.LBB1635_176:
	s_or_b64 exec, exec, s[6:7]
	s_and_saveexec_b64 s[6:7], s[4:5]
	s_cbranch_execz .LBB1635_178
; %bb.177:
	flat_store_dwordx2 v[0:1], v[4:5] offset:2048
.LBB1635_178:
	s_or_b64 exec, exec, s[6:7]
                                        ; implicit-def: $vgpr24
                                        ; implicit-def: $vgpr22_vgpr23
                                        ; implicit-def: $vgpr8_vgpr9
                                        ; implicit-def: $vgpr101
                                        ; implicit-def: $vgpr0
                                        ; implicit-def: $vgpr1
                                        ; implicit-def: $vgpr2
                                        ; implicit-def: $vgpr3
                                        ; implicit-def: $vgpr4
                                        ; implicit-def: $vgpr5
                                        ; implicit-def: $vgpr6
                                        ; implicit-def: $vgpr7
                                        ; implicit-def: $vgpr10
                                        ; implicit-def: $vgpr11
                                        ; implicit-def: $vgpr12
                                        ; implicit-def: $vgpr13
                                        ; implicit-def: $vgpr14
.LBB1635_179:
	s_andn2_saveexec_b64 s[4:5], s[34:35]
	s_cbranch_execz .LBB1635_199
; %bb.180:
	v_mbcnt_hi_u32_b32 v17, -1, v14
	v_bfi_b32 v15, 63, v17, v22
	v_and_b32_e32 v16, 63, v17
	v_and_b32_e32 v14, 0xffffffc0, v22
	v_cmp_lt_u32_e32 vcc, v15, v101
	v_mov_b32_e32 v21, 1
	s_and_saveexec_b64 s[6:7], vcc
	s_cbranch_execz .LBB1635_182
; %bb.181:
	v_add_co_u32_e64 v0, s[4:5], v0, v8
	v_addc_co_u32_e64 v1, s[4:5], 0, v1, s[4:5]
	v_add_co_u32_e64 v0, s[4:5], v0, v16
	v_addc_co_u32_e64 v1, s[4:5], 0, v1, s[4:5]
	;; [unrolled: 2-line block ×3, first 2 shown]
	flat_load_ubyte v21, v[0:1]
.LBB1635_182:
	s_or_b64 exec, exec, s[6:7]
	v_lshlrev_b64 v[0:1], 3, v[8:9]
                                        ; implicit-def: $vgpr18_vgpr19
	s_and_saveexec_b64 s[4:5], vcc
	s_cbranch_execz .LBB1635_184
; %bb.183:
	v_add_co_u32_e32 v4, vcc, v4, v0
	v_addc_co_u32_e32 v5, vcc, v5, v1, vcc
	v_lshlrev_b32_e32 v9, 3, v16
	v_mov_b32_e32 v15, 0
	v_add_co_u32_e32 v9, vcc, v4, v9
	v_addc_co_u32_e32 v18, vcc, 0, v5, vcc
	v_lshlrev_b64 v[4:5], 3, v[14:15]
	v_add_co_u32_e32 v4, vcc, v9, v4
	v_addc_co_u32_e32 v5, vcc, v18, v5, vcc
	flat_load_dwordx2 v[18:19], v[4:5]
.LBB1635_184:
	s_or_b64 exec, exec, s[4:5]
	v_add_co_u32_e32 v9, vcc, 16, v12
	v_and_b32_e32 v32, 0x3c0, v24
	v_addc_co_u32_e32 v23, vcc, 0, v13, vcc
	v_lshlrev_b32_e32 v4, 4, v24
	v_min_u32_e32 v26, 0xc0, v32
	v_add_co_u32_e32 v4, vcc, v12, v4
	v_or_b32_e32 v26, 63, v26
	s_getpc_b64 s[4:5]
	s_add_u32 s4, s4, _ZN7rocprim17ROCPRIM_400000_NS16block_radix_sortIbLj256ELj1ElLj1ELj1ELj8ELNS0_26block_radix_rank_algorithmE2ELNS0_18block_padding_hintE2ELNS0_4arch9wavefront6targetE1EE19radix_bits_per_passE@rel32@lo+4
	s_addc_u32 s5, s5, _ZN7rocprim17ROCPRIM_400000_NS16block_radix_sortIbLj256ELj1ElLj1ELj1ELj8ELNS0_26block_radix_rank_algorithmE2ELNS0_18block_padding_hintE2ELNS0_4arch9wavefront6targetE1EE19radix_bits_per_passE@rel32@hi+12
	v_addc_co_u32_e32 v5, vcc, 0, v13, vcc
	v_and_b32_e32 v20, 15, v17
	v_cmp_eq_u32_e64 s[14:15], v26, v24
	v_add_u32_e32 v26, -1, v17
	v_and_b32_e32 v27, 64, v17
	s_load_dword s40, s[4:5], 0x0
	v_cmp_eq_u32_e32 vcc, 0, v20
	v_cmp_lt_u32_e64 s[4:5], 1, v20
	v_cmp_lt_u32_e64 s[6:7], 3, v20
	;; [unrolled: 1-line block ×3, first 2 shown]
	v_and_b32_e32 v20, 16, v17
	v_cmp_lt_i32_e64 s[20:21], v26, v27
	v_cmp_eq_u32_e64 s[10:11], 0, v20
	v_lshrrev_b32_e32 v20, 6, v24
	v_cndmask_b32_e64 v26, v26, v17, s[20:21]
	v_lshlrev_b32_e32 v48, 2, v26
	v_lshlrev_b32_e32 v26, 2, v20
	v_add_co_u32_e64 v26, s[24:25], v12, v26
	v_lshlrev_b32_e32 v14, 2, v24
	v_addc_co_u32_e64 v27, s[24:25], 0, v13, s[24:25]
	v_add_co_u32_e64 v28, s[24:25], v12, v14
	v_addc_co_u32_e64 v29, s[24:25], 0, v13, s[24:25]
	v_and_b32_e32 v14, 3, v17
	v_mov_b32_e32 v15, 0
	v_cmp_eq_u32_e64 s[24:25], 0, v14
	v_cmp_lt_u32_e64 s[26:27], 1, v14
	v_add_u32_e32 v14, -1, v20
	v_lshlrev_b64 v[30:31], 2, v[14:15]
	v_add_co_u32_e64 v30, s[28:29], v12, v30
	v_addc_co_u32_e64 v31, s[28:29], v13, v31, s[28:29]
	v_or_b32_e32 v14, v16, v32
	v_add_co_u32_e64 v34, s[28:29], v12, v14
	v_addc_co_u32_e64 v35, s[28:29], 0, v13, s[28:29]
	v_lshrrev_b32_e32 v25, 6, v22
	v_cmp_lt_u32_e64 s[12:13], 31, v17
	v_cmp_gt_u32_e64 s[16:17], 4, v24
	v_cmp_lt_u32_e64 s[18:19], 63, v24
	v_cmp_eq_u32_e64 s[20:21], 0, v17
	v_cmp_eq_u32_e64 s[22:23], 0, v24
	v_mad_u64_u32 v[36:37], s[28:29], v14, 7, v[34:35]
	v_sub_u32_e32 v49, v11, v10
	s_mov_b64 s[34:35], 0
	v_mov_b32_e32 v14, v15
	v_mov_b32_e32 v16, v15
	;; [unrolled: 1-line block ×3, first 2 shown]
	s_waitcnt lgkmcnt(0)
	s_barrier
	s_branch .LBB1635_186
.LBB1635_185:                           ;   in Loop: Header=BB1635_186 Depth=1
	s_or_b64 exec, exec, s[30:31]
	s_and_b64 s[28:29], exec, s[36:37]
	s_or_b64 s[34:35], s[28:29], s[34:35]
	s_andn2_b64 exec, exec, s[34:35]
	s_cbranch_execz .LBB1635_196
.LBB1635_186:                           ; =>This Inner Loop Header: Depth=1
	s_waitcnt vmcnt(0)
	v_mov_b32_e32 v50, v21
	v_pk_mov_b32 v[32:33], v[18:19], v[18:19] op_sel:[0,1]
	v_min_u32_e32 v18, s40, v49
	v_lshrrev_b32_sdwa v19, v10, v50 dst_sel:DWORD dst_unused:UNUSED_PAD src0_sel:DWORD src1_sel:BYTE_0
	v_bfe_u32 v18, v19, 0, v18
	v_lshlrev_b32_e32 v19, 2, v18
	v_add_lshl_u32 v19, v19, v25, 2
	v_add_co_u32_e64 v38, s[28:29], v9, v19
	v_addc_co_u32_e64 v39, s[28:29], 0, v23, s[28:29]
	v_cmp_ne_u32_e64 s[28:29], 0, v18
	v_add_co_u32_e64 v18, s[30:31], -1, v18
	v_addc_co_u32_e64 v19, s[30:31], 0, -1, s[30:31]
	v_xor_b32_e32 v18, s28, v18
	v_xor_b32_e32 v19, s29, v19
	v_and_b32_e32 v18, exec_lo, v18
	v_and_b32_e32 v19, exec_hi, v19
	v_mbcnt_lo_u32_b32 v20, v18, 0
	v_mbcnt_hi_u32_b32 v51, v19, v20
	v_cmp_eq_u32_e64 s[28:29], 0, v51
	v_cmp_ne_u64_e64 s[30:31], 0, v[18:19]
	s_and_b64 s[30:31], s[30:31], s[28:29]
	flat_store_dwordx4 v[4:5], v[14:17] offset:16
	s_waitcnt lgkmcnt(0)
	s_barrier
	s_waitcnt lgkmcnt(0)
	; wave barrier
	s_and_saveexec_b64 s[28:29], s[30:31]
	s_cbranch_execz .LBB1635_188
; %bb.187:                              ;   in Loop: Header=BB1635_186 Depth=1
	v_bcnt_u32_b32 v18, v18, 0
	v_bcnt_u32_b32 v18, v19, v18
	flat_store_dword v[38:39], v18
.LBB1635_188:                           ;   in Loop: Header=BB1635_186 Depth=1
	s_or_b64 exec, exec, s[28:29]
	; wave barrier
	s_waitcnt lgkmcnt(0)
	s_barrier
	flat_load_dwordx4 v[18:21], v[4:5] offset:16
	s_waitcnt vmcnt(0) lgkmcnt(0)
	v_add_u32_e32 v52, v19, v18
	v_add3_u32 v21, v52, v20, v21
	s_nop 1
	v_mov_b32_dpp v52, v21 row_shr:1 row_mask:0xf bank_mask:0xf
	v_cndmask_b32_e64 v52, v52, 0, vcc
	v_add_u32_e32 v21, v52, v21
	s_nop 1
	v_mov_b32_dpp v52, v21 row_shr:2 row_mask:0xf bank_mask:0xf
	v_cndmask_b32_e64 v52, 0, v52, s[4:5]
	v_add_u32_e32 v21, v21, v52
	s_nop 1
	v_mov_b32_dpp v52, v21 row_shr:4 row_mask:0xf bank_mask:0xf
	v_cndmask_b32_e64 v52, 0, v52, s[6:7]
	v_add_u32_e32 v21, v21, v52
	s_nop 1
	v_mov_b32_dpp v52, v21 row_shr:8 row_mask:0xf bank_mask:0xf
	v_cndmask_b32_e64 v52, 0, v52, s[8:9]
	v_add_u32_e32 v21, v21, v52
	s_nop 1
	v_mov_b32_dpp v52, v21 row_bcast:15 row_mask:0xf bank_mask:0xf
	v_cndmask_b32_e64 v52, v52, 0, s[10:11]
	v_add_u32_e32 v21, v21, v52
	s_nop 1
	v_mov_b32_dpp v52, v21 row_bcast:31 row_mask:0xf bank_mask:0xf
	v_cndmask_b32_e64 v52, 0, v52, s[12:13]
	v_add_u32_e32 v21, v21, v52
	s_and_saveexec_b64 s[28:29], s[14:15]
	s_cbranch_execz .LBB1635_190
; %bb.189:                              ;   in Loop: Header=BB1635_186 Depth=1
	flat_store_dword v[26:27], v21
.LBB1635_190:                           ;   in Loop: Header=BB1635_186 Depth=1
	s_or_b64 exec, exec, s[28:29]
	s_waitcnt lgkmcnt(0)
	s_barrier
	s_and_saveexec_b64 s[28:29], s[16:17]
	s_cbranch_execz .LBB1635_192
; %bb.191:                              ;   in Loop: Header=BB1635_186 Depth=1
	flat_load_dword v52, v[28:29]
	s_waitcnt vmcnt(0) lgkmcnt(0)
	s_nop 0
	v_mov_b32_dpp v53, v52 row_shr:1 row_mask:0xf bank_mask:0xf
	v_cndmask_b32_e64 v53, v53, 0, s[24:25]
	v_add_u32_e32 v52, v53, v52
	s_nop 1
	v_mov_b32_dpp v53, v52 row_shr:2 row_mask:0xf bank_mask:0xf
	v_cndmask_b32_e64 v53, 0, v53, s[26:27]
	v_add_u32_e32 v52, v52, v53
	flat_store_dword v[28:29], v52
.LBB1635_192:                           ;   in Loop: Header=BB1635_186 Depth=1
	s_or_b64 exec, exec, s[28:29]
	v_mov_b32_e32 v52, 0
	s_waitcnt lgkmcnt(0)
	s_barrier
	s_and_saveexec_b64 s[28:29], s[18:19]
	s_cbranch_execz .LBB1635_194
; %bb.193:                              ;   in Loop: Header=BB1635_186 Depth=1
	flat_load_dword v52, v[30:31]
.LBB1635_194:                           ;   in Loop: Header=BB1635_186 Depth=1
	s_or_b64 exec, exec, s[28:29]
	s_waitcnt vmcnt(0) lgkmcnt(0)
	v_add_u32_e32 v21, v52, v21
	ds_bpermute_b32 v21, v48, v21
	v_add_u32_e32 v10, 8, v10
	v_cmp_lt_u32_e64 s[28:29], v10, v11
	s_mov_b64 s[36:37], -1
	s_waitcnt lgkmcnt(0)
	v_cndmask_b32_e64 v21, v21, v52, s[20:21]
	v_cndmask_b32_e64 v52, v21, 0, s[22:23]
	v_add_u32_e32 v53, v52, v18
	v_add_u32_e32 v54, v53, v19
	;; [unrolled: 1-line block ×3, first 2 shown]
	flat_store_dwordx4 v[4:5], v[52:55] offset:16
	s_waitcnt lgkmcnt(0)
	s_barrier
	flat_load_dword v18, v[38:39]
	s_waitcnt lgkmcnt(0)
                                        ; implicit-def: $vgpr21
	s_waitcnt vmcnt(0) lgkmcnt(0)
	v_add_u32_e32 v20, v18, v51
	v_add_co_u32_e64 v38, s[30:31], v12, v20
	v_addc_co_u32_e64 v39, s[30:31], 0, v13, s[30:31]
                                        ; implicit-def: $vgpr18_vgpr19
	s_and_saveexec_b64 s[30:31], s[28:29]
	s_cbranch_execz .LBB1635_185
; %bb.195:                              ;   in Loop: Header=BB1635_186 Depth=1
	v_mad_u64_u32 v[18:19], s[28:29], v20, 7, v[38:39]
	s_barrier
	flat_store_byte v[38:39], v50
	s_waitcnt lgkmcnt(0)
	s_barrier
	flat_load_ubyte v21, v[34:35]
	s_waitcnt lgkmcnt(0)
	s_barrier
	flat_store_dwordx2 v[18:19], v[32:33]
	s_waitcnt lgkmcnt(0)
	s_barrier
	flat_load_dwordx2 v[18:19], v[36:37]
	v_add_u32_e32 v49, -8, v49
	s_xor_b64 s[36:37], exec, -1
	s_waitcnt lgkmcnt(0)
	s_barrier
	s_branch .LBB1635_185
.LBB1635_196:
	s_or_b64 exec, exec, s[34:35]
	v_add_co_u32_e32 v4, vcc, v12, v24
	v_addc_co_u32_e32 v5, vcc, 0, v13, vcc
	s_barrier
	flat_store_byte v[38:39], v50
	s_waitcnt lgkmcnt(0)
	s_barrier
	flat_load_ubyte v9, v[4:5]
	v_mad_u64_u32 v[10:11], s[4:5], v20, 7, v[38:39]
	v_mad_u64_u32 v[4:5], s[4:5], v24, 7, v[4:5]
	s_waitcnt lgkmcnt(0)
	s_barrier
	flat_store_dwordx2 v[10:11], v[32:33]
	s_waitcnt lgkmcnt(0)
	s_barrier
	flat_load_dwordx2 v[4:5], v[4:5]
	v_cmp_lt_u32_e32 vcc, v22, v101
	s_waitcnt lgkmcnt(0)
	s_barrier
	s_and_saveexec_b64 s[4:5], vcc
	s_cbranch_execz .LBB1635_198
; %bb.197:
	v_add_co_u32_e32 v6, vcc, v6, v0
	v_mov_b32_e32 v23, 0
	v_addc_co_u32_e32 v7, vcc, v7, v1, vcc
	v_lshlrev_b64 v[0:1], 3, v[22:23]
	v_add_co_u32_e32 v0, vcc, v6, v0
	v_addc_co_u32_e32 v1, vcc, v7, v1, vcc
	v_add_co_u32_e32 v2, vcc, v2, v8
	v_addc_co_u32_e32 v3, vcc, 0, v3, vcc
	;; [unrolled: 2-line block ×3, first 2 shown]
	s_waitcnt vmcnt(0)
	flat_store_byte v[2:3], v9
	flat_store_dwordx2 v[0:1], v[4:5]
.LBB1635_198:
	s_or_b64 exec, exec, s[4:5]
.LBB1635_199:
	s_or_b64 exec, exec, s[38:39]
	v_readlane_b32 s30, v40, 13
	v_readlane_b32 s31, v40, 14
	;; [unrolled: 1-line block ×15, first 2 shown]
	s_or_saveexec_b64 s[4:5], -1
	buffer_load_dword v40, off, s[0:3], s32 ; 4-byte Folded Reload
	s_mov_b64 exec, s[4:5]
	s_waitcnt vmcnt(0) lgkmcnt(0)
	s_setpc_b64 s[30:31]
.Lfunc_end1635:
	.size	_ZN7rocprim17ROCPRIM_400000_NS6detail40segmented_radix_sort_single_block_helperIblLj256ELj8ELb0EE4sortIPKbPbPKlPlEEbT_T0_T1_T2_jjjjRNS3_12storage_typeE, .Lfunc_end1635-_ZN7rocprim17ROCPRIM_400000_NS6detail40segmented_radix_sort_single_block_helperIblLj256ELj8ELb0EE4sortIPKbPbPKlPlEEbT_T0_T1_T2_jjjjRNS3_12storage_typeE
                                        ; -- End function
	.section	.AMDGPU.csdata,"",@progbits
; Function info:
; codeLenInByte = 11624
; NumSgprs: 51
; NumVgprs: 179
; NumAgprs: 0
; TotalNumVgprs: 179
; ScratchSize: 8
; MemoryBound: 1
	.section	.text._ZN7rocprim17ROCPRIM_400000_NS6detail17trampoline_kernelINS0_14default_configENS1_36segmented_radix_sort_config_selectorIblEEZNS1_25segmented_radix_sort_implIS3_Lb0EPKbPbPKlPlN2at6native12_GLOBAL__N_18offset_tEEE10hipError_tPvRmT1_PNSt15iterator_traitsISK_E10value_typeET2_T3_PNSL_ISQ_E10value_typeET4_jRbjT5_SW_jjP12ihipStream_tbEUlT_E_NS1_11comp_targetILNS1_3genE4ELNS1_11target_archE910ELNS1_3gpuE8ELNS1_3repE0EEENS1_30default_config_static_selectorELNS0_4arch9wavefront6targetE1EEEvSK_,"axG",@progbits,_ZN7rocprim17ROCPRIM_400000_NS6detail17trampoline_kernelINS0_14default_configENS1_36segmented_radix_sort_config_selectorIblEEZNS1_25segmented_radix_sort_implIS3_Lb0EPKbPbPKlPlN2at6native12_GLOBAL__N_18offset_tEEE10hipError_tPvRmT1_PNSt15iterator_traitsISK_E10value_typeET2_T3_PNSL_ISQ_E10value_typeET4_jRbjT5_SW_jjP12ihipStream_tbEUlT_E_NS1_11comp_targetILNS1_3genE4ELNS1_11target_archE910ELNS1_3gpuE8ELNS1_3repE0EEENS1_30default_config_static_selectorELNS0_4arch9wavefront6targetE1EEEvSK_,comdat
	.globl	_ZN7rocprim17ROCPRIM_400000_NS6detail17trampoline_kernelINS0_14default_configENS1_36segmented_radix_sort_config_selectorIblEEZNS1_25segmented_radix_sort_implIS3_Lb0EPKbPbPKlPlN2at6native12_GLOBAL__N_18offset_tEEE10hipError_tPvRmT1_PNSt15iterator_traitsISK_E10value_typeET2_T3_PNSL_ISQ_E10value_typeET4_jRbjT5_SW_jjP12ihipStream_tbEUlT_E_NS1_11comp_targetILNS1_3genE4ELNS1_11target_archE910ELNS1_3gpuE8ELNS1_3repE0EEENS1_30default_config_static_selectorELNS0_4arch9wavefront6targetE1EEEvSK_ ; -- Begin function _ZN7rocprim17ROCPRIM_400000_NS6detail17trampoline_kernelINS0_14default_configENS1_36segmented_radix_sort_config_selectorIblEEZNS1_25segmented_radix_sort_implIS3_Lb0EPKbPbPKlPlN2at6native12_GLOBAL__N_18offset_tEEE10hipError_tPvRmT1_PNSt15iterator_traitsISK_E10value_typeET2_T3_PNSL_ISQ_E10value_typeET4_jRbjT5_SW_jjP12ihipStream_tbEUlT_E_NS1_11comp_targetILNS1_3genE4ELNS1_11target_archE910ELNS1_3gpuE8ELNS1_3repE0EEENS1_30default_config_static_selectorELNS0_4arch9wavefront6targetE1EEEvSK_
	.p2align	8
	.type	_ZN7rocprim17ROCPRIM_400000_NS6detail17trampoline_kernelINS0_14default_configENS1_36segmented_radix_sort_config_selectorIblEEZNS1_25segmented_radix_sort_implIS3_Lb0EPKbPbPKlPlN2at6native12_GLOBAL__N_18offset_tEEE10hipError_tPvRmT1_PNSt15iterator_traitsISK_E10value_typeET2_T3_PNSL_ISQ_E10value_typeET4_jRbjT5_SW_jjP12ihipStream_tbEUlT_E_NS1_11comp_targetILNS1_3genE4ELNS1_11target_archE910ELNS1_3gpuE8ELNS1_3repE0EEENS1_30default_config_static_selectorELNS0_4arch9wavefront6targetE1EEEvSK_,@function
_ZN7rocprim17ROCPRIM_400000_NS6detail17trampoline_kernelINS0_14default_configENS1_36segmented_radix_sort_config_selectorIblEEZNS1_25segmented_radix_sort_implIS3_Lb0EPKbPbPKlPlN2at6native12_GLOBAL__N_18offset_tEEE10hipError_tPvRmT1_PNSt15iterator_traitsISK_E10value_typeET2_T3_PNSL_ISQ_E10value_typeET4_jRbjT5_SW_jjP12ihipStream_tbEUlT_E_NS1_11comp_targetILNS1_3genE4ELNS1_11target_archE910ELNS1_3gpuE8ELNS1_3repE0EEENS1_30default_config_static_selectorELNS0_4arch9wavefront6targetE1EEEvSK_: ; @_ZN7rocprim17ROCPRIM_400000_NS6detail17trampoline_kernelINS0_14default_configENS1_36segmented_radix_sort_config_selectorIblEEZNS1_25segmented_radix_sort_implIS3_Lb0EPKbPbPKlPlN2at6native12_GLOBAL__N_18offset_tEEE10hipError_tPvRmT1_PNSt15iterator_traitsISK_E10value_typeET2_T3_PNSL_ISQ_E10value_typeET4_jRbjT5_SW_jjP12ihipStream_tbEUlT_E_NS1_11comp_targetILNS1_3genE4ELNS1_11target_archE910ELNS1_3gpuE8ELNS1_3repE0EEENS1_30default_config_static_selectorELNS0_4arch9wavefront6targetE1EEEvSK_
; %bb.0:
	s_add_u32 flat_scratch_lo, s6, s10
	s_addc_u32 flat_scratch_hi, s7, 0
	s_mov_b32 s33, s9
	s_mov_b64 s[48:49], s[4:5]
	s_mov_b32 s50, s8
	s_load_dwordx2 s[8:9], s[4:5], 0x38
	s_nop 0
	s_load_dwordx4 s[4:7], s[4:5], 0x40
	s_add_u32 s0, s0, s10
	s_mov_b32 s11, 0
	s_mov_b32 s10, s50
	s_addc_u32 s1, s1, 0
	s_lshl_b64 s[10:11], s[10:11], 2
	s_waitcnt lgkmcnt(0)
	s_add_u32 s8, s8, s10
	s_addc_u32 s9, s9, s11
	s_load_dword s8, s[8:9], 0x0
	s_mov_b32 s32, 0
	s_waitcnt lgkmcnt(0)
	s_add_i32 s51, s8, s5
	s_add_i32 s76, s8, s7
	s_mul_i32 s51, s51, s4
	s_mul_i32 s76, s76, s6
	s_cmp_le_u32 s76, s51
	s_cbranch_scc1 .LBB1636_678
; %bb.1:
	s_load_dword s4, s[48:49], 0x30
	s_load_dwordx4 s[64:67], s[48:49], 0x20
	s_load_dwordx4 s[68:71], s[48:49], 0x50
	s_load_dwordx8 s[56:63], s[48:49], 0x0
	s_waitcnt lgkmcnt(0)
	s_bitcmp1_b32 s4, 0
	s_cselect_b64 s[54:55], -1, 0
	s_sub_i32 s71, s76, s51
	s_cmpk_lt_u32 s71, 0x801
	s_mov_b64 s[4:5], -1
	s_cbranch_scc0 .LBB1636_7
; %bb.2:
	s_and_b32 s4, s68, 1
	v_cndmask_b32_e64 v1, 0, 1, s[54:55]
	v_cmp_ne_u32_e32 vcc, s4, v1
	s_mov_b64 s[4:5], -1
	s_cbranch_vccnz .LBB1636_4
; %bb.3:
	s_add_u32 s8, s48, 0x60
	s_mov_b64 s[4:5], src_shared_base
	s_addc_u32 s9, s49, 0
	s_mov_b32 s12, s50
	s_mov_b32 s13, s33
	v_mov_b32_e32 v31, v0
	v_mov_b32_e32 v41, v0
	;; [unrolled: 1-line block ×16, first 2 shown]
	s_getpc_b64 s[6:7]
	s_add_u32 s6, s6, _ZN7rocprim17ROCPRIM_400000_NS6detail40segmented_radix_sort_single_block_helperIblLj256ELj8ELb0EE4sortIPKbPbPKlPlEEbT_T0_T1_T2_jjjjRNS3_12storage_typeE@rel32@lo+4
	s_addc_u32 s7, s7, _ZN7rocprim17ROCPRIM_400000_NS6detail40segmented_radix_sort_single_block_helperIblLj256ELj8ELb0EE4sortIPKbPbPKlPlEEbT_T0_T1_T2_jjjjRNS3_12storage_typeE@rel32@hi+12
	s_swappc_b64 s[30:31], s[6:7]
	v_mov_b32_e32 v0, v41
	s_mov_b64 s[4:5], 0
.LBB1636_4:
	s_andn2_b64 vcc, exec, s[4:5]
	s_cbranch_vccnz .LBB1636_6
; %bb.5:
	s_add_u32 s8, s48, 0x60
	s_mov_b64 s[4:5], src_shared_base
	s_addc_u32 s9, s49, 0
	s_mov_b32 s12, s50
	s_mov_b32 s13, s33
	v_mov_b32_e32 v31, v0
	v_mov_b32_e32 v41, v0
	;; [unrolled: 1-line block ×16, first 2 shown]
	s_getpc_b64 s[6:7]
	s_add_u32 s6, s6, _ZN7rocprim17ROCPRIM_400000_NS6detail40segmented_radix_sort_single_block_helperIblLj256ELj8ELb0EE4sortIPKbPbPKlPlEEbT_T0_T1_T2_jjjjRNS3_12storage_typeE@rel32@lo+4
	s_addc_u32 s7, s7, _ZN7rocprim17ROCPRIM_400000_NS6detail40segmented_radix_sort_single_block_helperIblLj256ELj8ELb0EE4sortIPKbPbPKlPlEEbT_T0_T1_T2_jjjjRNS3_12storage_typeE@rel32@hi+12
	s_swappc_b64 s[30:31], s[6:7]
	v_mov_b32_e32 v0, v41
.LBB1636_6:
	s_mov_b64 s[4:5], 0
.LBB1636_7:
	s_andn2_b64 vcc, exec, s[4:5]
	s_cbranch_vccnz .LBB1636_678
; %bb.8:
	s_cmp_ge_u32 s69, s70
	s_cbranch_scc1 .LBB1636_678
; %bb.9:
	v_and_b32_e32 v2, 0x3ff, v0
	v_mov_b32_e32 v4, s61
	v_add_co_u32_e32 v28, vcc, s60, v2
	v_addc_co_u32_e32 v29, vcc, 0, v4, vcc
	v_or_b32_e32 v4, 63, v2
	v_cmp_eq_u32_e64 s[6:7], v4, v2
	v_lshrrev_b32_e32 v4, 4, v2
	v_and_b32_e32 v35, 12, v4
	v_lshlrev_b32_e32 v4, 3, v2
	v_bfe_u32 v40, v0, 20, 10
	v_bfe_u32 v41, v0, 10, 10
	v_mul_u32_u24_e32 v0, 5, v2
	v_mov_b32_e32 v43, 0x410
	v_and_b32_e32 v39, 0x600, v4
	v_lshl_add_u32 v44, v0, 2, v43
	v_lshlrev_b32_e32 v0, 4, v2
	v_sub_u32_e32 v45, 0, v0
	v_lshlrev_b32_e32 v0, 3, v39
	v_mov_b32_e32 v4, s67
	v_add_co_u32_e32 v46, vcc, s66, v0
	v_addc_co_u32_e32 v47, vcc, 0, v4, vcc
	v_mov_b32_e32 v4, s61
	v_add_co_u32_e32 v48, vcc, s60, v39
	v_addc_co_u32_e32 v49, vcc, 0, v4, vcc
	;; [unrolled: 3-line block ×7, first 2 shown]
	v_lshlrev_b32_e32 v3, 2, v2
	v_mov_b32_e32 v0, s57
	v_add_co_u32_e32 v61, vcc, s56, v39
	s_movk_i32 s4, 0x100
	v_mad_u32_u24 v34, v2, 12, v3
	s_add_u32 s74, s48, 0x60
	s_movk_i32 s14, 0xff
	v_addc_co_u32_e32 v62, vcc, 0, v0, vcc
	v_mbcnt_lo_u32_b32 v0, -1, 0
	s_mov_b32 s73, 0
	v_mov_b32_e32 v1, 0
	v_or_b32_e32 v24, 0x100, v2
	v_or_b32_e32 v25, 0x200, v2
	;; [unrolled: 1-line block ×3, first 2 shown]
	v_and_b32_e32 v27, 3, v2
	v_or_b32_e32 v30, 0x400, v2
	v_or_b32_e32 v31, 0x500, v2
	;; [unrolled: 1-line block ×4, first 2 shown]
	v_cmp_gt_u32_e64 s[4:5], s4, v2
	v_or_b32_e32 v36, 0x4400, v35
	v_cmp_gt_u32_e64 s[8:9], 4, v2
	v_add_u32_e32 v37, 0x4400, v3
	v_cmp_lt_u32_e64 s[10:11], 63, v2
	v_add_u32_e32 v38, 0x43fc, v35
	s_addc_u32 s75, s49, 0
	v_add_u32_e32 v42, v34, v3
	v_cmp_eq_u32_e64 s[12:13], 0, v2
	v_cmp_ne_u32_e64 s[14:15], s14, v2
	v_mul_u32_u24_e32 v50, 7, v2
	v_mov_b32_e32 v63, 1
	v_mbcnt_hi_u32_b32 v64, -1, v0
	s_mov_b32 s68, s69
	s_branch .LBB1636_12
.LBB1636_10:                            ;   in Loop: Header=BB1636_12 Depth=1
	s_waitcnt lgkmcnt(0)
	s_barrier
.LBB1636_11:                            ;   in Loop: Header=BB1636_12 Depth=1
	s_add_i32 s68, s68, 8
	s_cmp_ge_u32 s68, s70
	s_cbranch_scc1 .LBB1636_678
.LBB1636_12:                            ; =>This Loop Header: Depth=1
                                        ;     Child Loop BB1636_16 Depth 2
                                        ;     Child Loop BB1636_66 Depth 2
	;; [unrolled: 1-line block ×8, first 2 shown]
	s_sub_i32 s16, s70, s68
	s_min_u32 s16, s16, 8
	s_lshl_b32 s16, -1, s16
	s_xor_b64 s[54:55], s[54:55], -1
	s_not_b32 s77, s16
	s_cmp_lg_u32 s68, s69
	s_mov_b64 s[16:17], -1
	ds_write2st64_b32 v3, v1, v1 offset1:4
	ds_write2st64_b32 v3, v1, v1 offset0:8 offset1:12
	s_waitcnt lgkmcnt(0)
	s_cbranch_scc0 .LBB1636_346
; %bb.13:                               ;   in Loop: Header=BB1636_12 Depth=1
	s_and_b64 vcc, exec, s[54:55]
	s_cbranch_vccz .LBB1636_179
; %bb.14:                               ;   in Loop: Header=BB1636_12 Depth=1
	s_mov_b32 s20, s71
	s_mov_b32 s22, s51
	s_barrier
	s_waitcnt lgkmcnt(0)
                                        ; implicit-def: $vgpr0
                                        ; implicit-def: $vgpr6
                                        ; implicit-def: $vgpr7
                                        ; implicit-def: $vgpr8
                                        ; implicit-def: $vgpr9
                                        ; implicit-def: $vgpr10
                                        ; implicit-def: $vgpr11
                                        ; implicit-def: $vgpr12
	s_branch .LBB1636_16
.LBB1636_15:                            ;   in Loop: Header=BB1636_16 Depth=2
	s_or_b64 exec, exec, s[16:17]
	s_addk_i32 s20, 0xf800
	s_cmp_ge_u32 s21, s76
	s_mov_b32 s22, s21
	s_cbranch_scc1 .LBB1636_54
.LBB1636_16:                            ;   Parent Loop BB1636_12 Depth=1
                                        ; =>  This Inner Loop Header: Depth=2
	s_add_i32 s21, s22, 0x800
	s_cmp_gt_u32 s21, s76
	s_cbranch_scc1 .LBB1636_19
; %bb.17:                               ;   in Loop: Header=BB1636_16 Depth=2
	v_add_co_u32_e32 v4, vcc, s22, v28
	v_addc_co_u32_e32 v5, vcc, 0, v29, vcc
	global_load_ubyte v20, v[4:5], off offset:1536
	global_load_ubyte v19, v[4:5], off offset:1280
	;; [unrolled: 1-line block ×6, first 2 shown]
	global_load_ubyte v14, v[4:5], off
	v_add_co_u32_e32 v4, vcc, 0x700, v4
	v_addc_co_u32_e32 v5, vcc, 0, v5, vcc
	s_mov_b64 s[16:17], -1
	s_movk_i32 s25, 0x800
	s_cbranch_execz .LBB1636_20
; %bb.18:                               ;   in Loop: Header=BB1636_16 Depth=2
                                        ; implicit-def: $vgpr0
                                        ; implicit-def: $vgpr6
                                        ; implicit-def: $vgpr7
                                        ; implicit-def: $vgpr8
                                        ; implicit-def: $vgpr9
                                        ; implicit-def: $vgpr10
                                        ; implicit-def: $vgpr11
                                        ; implicit-def: $vgpr12
	v_mov_b32_e32 v13, s20
	s_and_saveexec_b64 s[18:19], s[16:17]
	s_cbranch_execnz .LBB1636_31
	s_branch .LBB1636_32
.LBB1636_19:                            ;   in Loop: Header=BB1636_16 Depth=2
	s_mov_b64 s[16:17], 0
                                        ; implicit-def: $sgpr25
                                        ; implicit-def: $vgpr14
                                        ; implicit-def: $vgpr15
                                        ; implicit-def: $vgpr16
                                        ; implicit-def: $vgpr17
                                        ; implicit-def: $vgpr18
                                        ; implicit-def: $vgpr19
                                        ; implicit-def: $vgpr20
                                        ; implicit-def: $vgpr4_vgpr5
.LBB1636_20:                            ;   in Loop: Header=BB1636_16 Depth=2
	s_add_u32 s23, s60, s22
	s_addc_u32 s24, s61, 0
	v_cmp_gt_u32_e32 vcc, s20, v2
	s_and_saveexec_b64 s[18:19], vcc
	s_cbranch_execz .LBB1636_48
; %bb.21:                               ;   in Loop: Header=BB1636_16 Depth=2
	v_mov_b32_e32 v0, s24
	v_add_co_u32_e32 v4, vcc, s23, v2
	v_addc_co_u32_e32 v5, vcc, 0, v0, vcc
	global_load_ubyte v0, v[4:5], off
	s_or_b64 exec, exec, s[18:19]
	v_cmp_gt_u32_e32 vcc, s20, v24
	s_and_saveexec_b64 s[18:19], vcc
	s_cbranch_execnz .LBB1636_49
.LBB1636_22:                            ;   in Loop: Header=BB1636_16 Depth=2
	s_or_b64 exec, exec, s[18:19]
	v_cmp_gt_u32_e32 vcc, s20, v25
	s_and_saveexec_b64 s[18:19], vcc
	s_cbranch_execz .LBB1636_50
.LBB1636_23:                            ;   in Loop: Header=BB1636_16 Depth=2
	v_mov_b32_e32 v5, s24
	v_add_co_u32_e32 v4, vcc, s23, v2
	v_addc_co_u32_e32 v5, vcc, 0, v5, vcc
	global_load_ubyte v7, v[4:5], off offset:512
	s_or_b64 exec, exec, s[18:19]
	v_cmp_gt_u32_e32 vcc, s20, v26
	s_and_saveexec_b64 s[18:19], vcc
	s_cbranch_execnz .LBB1636_51
.LBB1636_24:                            ;   in Loop: Header=BB1636_16 Depth=2
	s_or_b64 exec, exec, s[18:19]
	v_cmp_gt_u32_e32 vcc, s20, v30
	s_and_saveexec_b64 s[18:19], vcc
	s_cbranch_execz .LBB1636_52
.LBB1636_25:                            ;   in Loop: Header=BB1636_16 Depth=2
	v_mov_b32_e32 v5, s24
	v_add_co_u32_e32 v4, vcc, s23, v2
	v_addc_co_u32_e32 v5, vcc, 0, v5, vcc
	global_load_ubyte v9, v[4:5], off offset:1024
	s_or_b64 exec, exec, s[18:19]
	v_cmp_gt_u32_e32 vcc, s20, v31
	s_and_saveexec_b64 s[18:19], vcc
	s_cbranch_execnz .LBB1636_53
.LBB1636_26:                            ;   in Loop: Header=BB1636_16 Depth=2
	s_or_b64 exec, exec, s[18:19]
	v_cmp_gt_u32_e32 vcc, s20, v32
	s_and_saveexec_b64 s[18:19], vcc
	s_cbranch_execz .LBB1636_28
.LBB1636_27:                            ;   in Loop: Header=BB1636_16 Depth=2
	v_mov_b32_e32 v5, s24
	v_add_co_u32_e32 v4, vcc, s23, v2
	v_addc_co_u32_e32 v5, vcc, 0, v5, vcc
	global_load_ubyte v11, v[4:5], off offset:1536
.LBB1636_28:                            ;   in Loop: Header=BB1636_16 Depth=2
	s_or_b64 exec, exec, s[18:19]
	v_cmp_gt_u32_e32 vcc, s20, v33
                                        ; implicit-def: $sgpr25
                                        ; implicit-def: $vgpr4_vgpr5
	s_and_saveexec_b64 s[18:19], vcc
	s_cbranch_execz .LBB1636_30
; %bb.29:                               ;   in Loop: Header=BB1636_16 Depth=2
	v_mov_b32_e32 v4, s24
	v_add_co_u32_e32 v5, vcc, s23, v2
	s_waitcnt vmcnt(0)
	v_addc_co_u32_e32 v12, vcc, 0, v4, vcc
	v_add_co_u32_e32 v4, vcc, 0x700, v5
	s_sub_i32 s25, s76, s22
	v_addc_co_u32_e32 v5, vcc, 0, v12, vcc
	s_or_b64 s[16:17], s[16:17], exec
                                        ; implicit-def: $vgpr12
.LBB1636_30:                            ;   in Loop: Header=BB1636_16 Depth=2
	s_or_b64 exec, exec, s[18:19]
	s_waitcnt vmcnt(0)
	v_mov_b32_e32 v14, v0
	v_mov_b32_e32 v15, v6
	;; [unrolled: 1-line block ×8, first 2 shown]
	s_and_saveexec_b64 s[18:19], s[16:17]
	s_cbranch_execz .LBB1636_32
.LBB1636_31:                            ;   in Loop: Header=BB1636_16 Depth=2
	global_load_ubyte v12, v[4:5], off
	v_mov_b32_e32 v13, s25
	s_waitcnt vmcnt(1)
	v_mov_b32_e32 v0, v14
	v_mov_b32_e32 v6, v15
	;; [unrolled: 1-line block ×7, first 2 shown]
.LBB1636_32:                            ;   in Loop: Header=BB1636_16 Depth=2
	s_or_b64 exec, exec, s[18:19]
	v_cmp_lt_u32_e32 vcc, v2, v13
	s_and_saveexec_b64 s[16:17], vcc
	s_cbranch_execz .LBB1636_40
; %bb.33:                               ;   in Loop: Header=BB1636_16 Depth=2
	v_and_b32_e32 v4, 1, v0
	v_lshrrev_b32_e32 v4, s68, v4
	v_and_b32_e32 v4, s77, v4
	v_lshlrev_b32_e32 v5, 2, v27
	v_lshl_or_b32 v4, v4, 4, v5
	ds_add_u32 v4, v63
	s_or_b64 exec, exec, s[16:17]
	v_cmp_lt_u32_e32 vcc, v24, v13
	s_and_saveexec_b64 s[16:17], vcc
	s_cbranch_execnz .LBB1636_41
.LBB1636_34:                            ;   in Loop: Header=BB1636_16 Depth=2
	s_or_b64 exec, exec, s[16:17]
	v_cmp_lt_u32_e32 vcc, v25, v13
	s_and_saveexec_b64 s[16:17], vcc
	s_cbranch_execz .LBB1636_42
.LBB1636_35:                            ;   in Loop: Header=BB1636_16 Depth=2
	v_and_b32_e32 v4, 1, v7
	v_lshrrev_b32_e32 v4, s68, v4
	v_and_b32_e32 v4, s77, v4
	v_lshlrev_b32_e32 v5, 2, v27
	v_lshl_or_b32 v4, v4, 4, v5
	ds_add_u32 v4, v63
	s_or_b64 exec, exec, s[16:17]
	v_cmp_lt_u32_e32 vcc, v26, v13
	s_and_saveexec_b64 s[16:17], vcc
	s_cbranch_execnz .LBB1636_43
.LBB1636_36:                            ;   in Loop: Header=BB1636_16 Depth=2
	s_or_b64 exec, exec, s[16:17]
	v_cmp_lt_u32_e32 vcc, v30, v13
	s_and_saveexec_b64 s[16:17], vcc
	s_cbranch_execz .LBB1636_44
.LBB1636_37:                            ;   in Loop: Header=BB1636_16 Depth=2
	v_and_b32_e32 v4, 1, v9
	v_lshrrev_b32_e32 v4, s68, v4
	v_and_b32_e32 v4, s77, v4
	v_lshlrev_b32_e32 v5, 2, v27
	v_lshl_or_b32 v4, v4, 4, v5
	ds_add_u32 v4, v63
	s_or_b64 exec, exec, s[16:17]
	v_cmp_lt_u32_e32 vcc, v31, v13
	s_and_saveexec_b64 s[16:17], vcc
	s_cbranch_execnz .LBB1636_45
.LBB1636_38:                            ;   in Loop: Header=BB1636_16 Depth=2
	s_or_b64 exec, exec, s[16:17]
	v_cmp_lt_u32_e32 vcc, v32, v13
	s_and_saveexec_b64 s[16:17], vcc
	s_cbranch_execz .LBB1636_46
.LBB1636_39:                            ;   in Loop: Header=BB1636_16 Depth=2
	v_and_b32_e32 v4, 1, v11
	v_lshrrev_b32_e32 v4, s68, v4
	v_and_b32_e32 v4, s77, v4
	v_lshlrev_b32_e32 v5, 2, v27
	v_lshl_or_b32 v4, v4, 4, v5
	ds_add_u32 v4, v63
	s_or_b64 exec, exec, s[16:17]
	v_cmp_lt_u32_e32 vcc, v33, v13
	s_and_saveexec_b64 s[16:17], vcc
	s_cbranch_execz .LBB1636_15
	s_branch .LBB1636_47
.LBB1636_40:                            ;   in Loop: Header=BB1636_16 Depth=2
	s_or_b64 exec, exec, s[16:17]
	v_cmp_lt_u32_e32 vcc, v24, v13
	s_and_saveexec_b64 s[16:17], vcc
	s_cbranch_execz .LBB1636_34
.LBB1636_41:                            ;   in Loop: Header=BB1636_16 Depth=2
	v_and_b32_e32 v4, 1, v6
	v_lshrrev_b32_e32 v4, s68, v4
	v_and_b32_e32 v4, s77, v4
	v_lshlrev_b32_e32 v5, 2, v27
	v_lshl_or_b32 v4, v4, 4, v5
	ds_add_u32 v4, v63
	s_or_b64 exec, exec, s[16:17]
	v_cmp_lt_u32_e32 vcc, v25, v13
	s_and_saveexec_b64 s[16:17], vcc
	s_cbranch_execnz .LBB1636_35
.LBB1636_42:                            ;   in Loop: Header=BB1636_16 Depth=2
	s_or_b64 exec, exec, s[16:17]
	v_cmp_lt_u32_e32 vcc, v26, v13
	s_and_saveexec_b64 s[16:17], vcc
	s_cbranch_execz .LBB1636_36
.LBB1636_43:                            ;   in Loop: Header=BB1636_16 Depth=2
	v_and_b32_e32 v4, 1, v8
	v_lshrrev_b32_e32 v4, s68, v4
	v_and_b32_e32 v4, s77, v4
	v_lshlrev_b32_e32 v5, 2, v27
	v_lshl_or_b32 v4, v4, 4, v5
	ds_add_u32 v4, v63
	s_or_b64 exec, exec, s[16:17]
	v_cmp_lt_u32_e32 vcc, v30, v13
	s_and_saveexec_b64 s[16:17], vcc
	s_cbranch_execnz .LBB1636_37
.LBB1636_44:                            ;   in Loop: Header=BB1636_16 Depth=2
	s_or_b64 exec, exec, s[16:17]
	v_cmp_lt_u32_e32 vcc, v31, v13
	s_and_saveexec_b64 s[16:17], vcc
	s_cbranch_execz .LBB1636_38
.LBB1636_45:                            ;   in Loop: Header=BB1636_16 Depth=2
	v_and_b32_e32 v4, 1, v10
	v_lshrrev_b32_e32 v4, s68, v4
	v_and_b32_e32 v4, s77, v4
	v_lshlrev_b32_e32 v5, 2, v27
	v_lshl_or_b32 v4, v4, 4, v5
	ds_add_u32 v4, v63
	s_or_b64 exec, exec, s[16:17]
	v_cmp_lt_u32_e32 vcc, v32, v13
	s_and_saveexec_b64 s[16:17], vcc
	s_cbranch_execnz .LBB1636_39
.LBB1636_46:                            ;   in Loop: Header=BB1636_16 Depth=2
	s_or_b64 exec, exec, s[16:17]
	v_cmp_lt_u32_e32 vcc, v33, v13
	s_and_saveexec_b64 s[16:17], vcc
	s_cbranch_execz .LBB1636_15
.LBB1636_47:                            ;   in Loop: Header=BB1636_16 Depth=2
	s_waitcnt vmcnt(0)
	v_and_b32_e32 v4, 1, v12
	v_lshrrev_b32_e32 v4, s68, v4
	v_and_b32_e32 v4, s77, v4
	v_lshlrev_b32_e32 v5, 2, v27
	v_lshl_or_b32 v4, v4, 4, v5
	ds_add_u32 v4, v63
	s_branch .LBB1636_15
.LBB1636_48:                            ;   in Loop: Header=BB1636_16 Depth=2
	s_or_b64 exec, exec, s[18:19]
	v_cmp_gt_u32_e32 vcc, s20, v24
	s_and_saveexec_b64 s[18:19], vcc
	s_cbranch_execz .LBB1636_22
.LBB1636_49:                            ;   in Loop: Header=BB1636_16 Depth=2
	v_mov_b32_e32 v5, s24
	v_add_co_u32_e32 v4, vcc, s23, v2
	v_addc_co_u32_e32 v5, vcc, 0, v5, vcc
	global_load_ubyte v6, v[4:5], off offset:256
	s_or_b64 exec, exec, s[18:19]
	v_cmp_gt_u32_e32 vcc, s20, v25
	s_and_saveexec_b64 s[18:19], vcc
	s_cbranch_execnz .LBB1636_23
.LBB1636_50:                            ;   in Loop: Header=BB1636_16 Depth=2
	s_or_b64 exec, exec, s[18:19]
	v_cmp_gt_u32_e32 vcc, s20, v26
	s_and_saveexec_b64 s[18:19], vcc
	s_cbranch_execz .LBB1636_24
.LBB1636_51:                            ;   in Loop: Header=BB1636_16 Depth=2
	v_mov_b32_e32 v5, s24
	v_add_co_u32_e32 v4, vcc, s23, v2
	v_addc_co_u32_e32 v5, vcc, 0, v5, vcc
	global_load_ubyte v8, v[4:5], off offset:768
	s_or_b64 exec, exec, s[18:19]
	v_cmp_gt_u32_e32 vcc, s20, v30
	s_and_saveexec_b64 s[18:19], vcc
	s_cbranch_execnz .LBB1636_25
.LBB1636_52:                            ;   in Loop: Header=BB1636_16 Depth=2
	s_or_b64 exec, exec, s[18:19]
	v_cmp_gt_u32_e32 vcc, s20, v31
	s_and_saveexec_b64 s[18:19], vcc
	s_cbranch_execz .LBB1636_26
.LBB1636_53:                            ;   in Loop: Header=BB1636_16 Depth=2
	v_mov_b32_e32 v5, s24
	v_add_co_u32_e32 v4, vcc, s23, v2
	v_addc_co_u32_e32 v5, vcc, 0, v5, vcc
	global_load_ubyte v10, v[4:5], off offset:1280
	s_or_b64 exec, exec, s[18:19]
	v_cmp_gt_u32_e32 vcc, s20, v32
	s_and_saveexec_b64 s[18:19], vcc
	s_cbranch_execz .LBB1636_28
	s_branch .LBB1636_27
.LBB1636_54:                            ;   in Loop: Header=BB1636_12 Depth=1
	v_mov_b32_e32 v0, 0
	s_waitcnt lgkmcnt(0)
	s_barrier
	s_and_saveexec_b64 s[16:17], s[4:5]
	s_cbranch_execz .LBB1636_56
; %bb.55:                               ;   in Loop: Header=BB1636_12 Depth=1
	ds_read2_b64 v[4:7], v34 offset1:1
	s_waitcnt lgkmcnt(0)
	v_add_u32_e32 v0, v5, v4
	v_add3_u32 v0, v0, v6, v7
.LBB1636_56:                            ;   in Loop: Header=BB1636_12 Depth=1
	s_or_b64 exec, exec, s[16:17]
	v_and_b32_e32 v4, 15, v64
	v_mov_b32_dpp v5, v0 row_shr:1 row_mask:0xf bank_mask:0xf
	v_cmp_eq_u32_e64 s[16:17], 0, v4
	v_cndmask_b32_e64 v5, v5, 0, s[16:17]
	v_add_u32_e32 v0, v5, v0
	v_cmp_lt_u32_e64 s[18:19], 1, v4
	v_cmp_lt_u32_e64 s[20:21], 3, v4
	v_mov_b32_dpp v5, v0 row_shr:2 row_mask:0xf bank_mask:0xf
	v_cndmask_b32_e64 v5, 0, v5, s[18:19]
	v_add_u32_e32 v0, v0, v5
	v_cmp_lt_u32_e64 s[22:23], 7, v4
	v_cmp_lt_u32_e64 s[26:27], 31, v64
	v_mov_b32_dpp v5, v0 row_shr:4 row_mask:0xf bank_mask:0xf
	v_cndmask_b32_e64 v5, 0, v5, s[20:21]
	v_add_u32_e32 v0, v0, v5
	v_and_b32_e32 v6, 16, v64
	v_cmp_eq_u32_e64 s[24:25], 0, v6
	v_mov_b32_dpp v5, v0 row_shr:8 row_mask:0xf bank_mask:0xf
	v_cndmask_b32_e64 v4, 0, v5, s[22:23]
	v_add_u32_e32 v0, v0, v4
	v_bfe_i32 v5, v64, 4, 1
	s_nop 0
	v_mov_b32_dpp v4, v0 row_bcast:15 row_mask:0xf bank_mask:0xf
	v_and_b32_e32 v4, v5, v4
	v_add_u32_e32 v0, v0, v4
	s_nop 1
	v_mov_b32_dpp v4, v0 row_bcast:31 row_mask:0xf bank_mask:0xf
	v_cndmask_b32_e64 v4, 0, v4, s[26:27]
	v_add_u32_e32 v4, v0, v4
	s_and_saveexec_b64 s[28:29], s[6:7]
	s_cbranch_execz .LBB1636_58
; %bb.57:                               ;   in Loop: Header=BB1636_12 Depth=1
	ds_write_b32 v36, v4
.LBB1636_58:                            ;   in Loop: Header=BB1636_12 Depth=1
	s_or_b64 exec, exec, s[28:29]
	v_and_b32_e32 v0, 3, v64
	s_waitcnt lgkmcnt(0)
	s_barrier
	s_and_saveexec_b64 s[28:29], s[8:9]
	s_cbranch_execz .LBB1636_60
; %bb.59:                               ;   in Loop: Header=BB1636_12 Depth=1
	ds_read_b32 v5, v37
	v_cmp_ne_u32_e32 vcc, 0, v0
	s_waitcnt lgkmcnt(0)
	v_mov_b32_dpp v6, v5 row_shr:1 row_mask:0xf bank_mask:0xf
	v_cndmask_b32_e32 v6, 0, v6, vcc
	v_add_u32_e32 v5, v6, v5
	v_cmp_lt_u32_e32 vcc, 1, v0
	s_nop 0
	v_mov_b32_dpp v6, v5 row_shr:2 row_mask:0xf bank_mask:0xf
	v_cndmask_b32_e32 v6, 0, v6, vcc
	v_add_u32_e32 v5, v5, v6
	ds_write_b32 v37, v5
.LBB1636_60:                            ;   in Loop: Header=BB1636_12 Depth=1
	s_or_b64 exec, exec, s[28:29]
	v_mov_b32_e32 v5, 0
	s_waitcnt lgkmcnt(0)
	s_barrier
	s_and_saveexec_b64 s[28:29], s[10:11]
	s_cbranch_execz .LBB1636_62
; %bb.61:                               ;   in Loop: Header=BB1636_12 Depth=1
	ds_read_b32 v5, v38
.LBB1636_62:                            ;   in Loop: Header=BB1636_12 Depth=1
	s_or_b64 exec, exec, s[28:29]
	v_add_u32_e32 v6, -1, v64
	v_and_b32_e32 v7, 64, v64
	v_cmp_lt_i32_e32 vcc, v6, v7
	v_cndmask_b32_e32 v6, v6, v64, vcc
	s_waitcnt lgkmcnt(0)
	v_add_u32_e32 v4, v5, v4
	v_lshlrev_b32_e32 v65, 2, v6
	ds_bpermute_b32 v4, v65, v4
	v_cmp_eq_u32_e64 s[28:29], 0, v64
	s_waitcnt lgkmcnt(0)
	s_barrier
	s_and_saveexec_b64 s[30:31], s[4:5]
	s_cbranch_execz .LBB1636_64
; %bb.63:                               ;   in Loop: Header=BB1636_12 Depth=1
	v_cndmask_b32_e64 v4, v4, v5, s[28:29]
	v_add_u32_e32 v4, s51, v4
	ds_write_b32 v3, v4
.LBB1636_64:                            ;   in Loop: Header=BB1636_12 Depth=1
	s_or_b64 exec, exec, s[30:31]
	s_load_dword s30, s[74:75], 0x4
	s_load_dword s36, s[74:75], 0xc
	v_cmp_lt_u32_e64 s[34:35], 1, v0
	s_mov_b32 s78, s71
	s_mov_b32 s72, s51
	s_waitcnt lgkmcnt(0)
	s_cmp_lt_u32 s33, s30
	s_cselect_b32 s30, 14, 20
	s_add_u32 s30, s74, s30
	s_addc_u32 s31, s75, 0
	global_load_ushort v20, v1, s[30:31]
	v_cmp_eq_u32_e64 s[30:31], 0, v0
	v_and_b32_e32 v0, 63, v64
	v_add_co_u32_e32 v74, vcc, v48, v0
	v_lshlrev_b32_e32 v21, 3, v0
	v_addc_co_u32_e32 v76, vcc, 0, v49, vcc
	v_add_co_u32_e32 v77, vcc, v46, v21
	v_or_b32_e32 v72, v0, v39
	v_addc_co_u32_e32 v78, vcc, 0, v47, vcc
	s_and_b32 s36, s36, 0xffff
	v_add_co_u32_e32 v86, vcc, 0x1c0, v74
	v_or_b32_e32 v79, 64, v72
	v_or_b32_e32 v80, 0x80, v72
	;; [unrolled: 1-line block ×7, first 2 shown]
	v_addc_co_u32_e32 v87, vcc, 0, v76, vcc
                                        ; implicit-def: $vgpr4_vgpr5
                                        ; implicit-def: $vgpr6_vgpr7
                                        ; implicit-def: $vgpr8_vgpr9
                                        ; implicit-def: $vgpr10_vgpr11
                                        ; implicit-def: $vgpr12_vgpr13
                                        ; implicit-def: $vgpr14_vgpr15
                                        ; implicit-def: $vgpr16_vgpr17
                                        ; implicit-def: $vgpr18_vgpr19
                                        ; implicit-def: $vgpr66
                                        ; implicit-def: $vgpr67
                                        ; implicit-def: $vgpr68
                                        ; implicit-def: $vgpr69
                                        ; implicit-def: $vgpr70
                                        ; implicit-def: $vgpr71
                                        ; implicit-def: $vgpr73
                                        ; implicit-def: $vgpr75
	s_waitcnt vmcnt(0)
	v_mad_u32_u24 v0, v40, v20, v41
	v_mad_u64_u32 v[20:21], s[36:37], v0, s36, v[2:3]
	v_lshrrev_b32_e32 v88, 6, v20
	s_branch .LBB1636_66
.LBB1636_65:                            ;   in Loop: Header=BB1636_66 Depth=2
	s_or_b64 exec, exec, s[36:37]
	s_addk_i32 s78, 0xf800
	s_cmp_lt_u32 s79, s76
	s_mov_b32 s72, s79
	s_cbranch_scc0 .LBB1636_178
.LBB1636_66:                            ;   Parent Loop BB1636_12 Depth=1
                                        ; =>  This Inner Loop Header: Depth=2
	s_add_i32 s79, s72, 0x800
	s_cmp_gt_u32 s79, s76
	s_cbranch_scc1 .LBB1636_69
; %bb.67:                               ;   in Loop: Header=BB1636_66 Depth=2
	v_add_co_u32_e32 v20, vcc, s72, v74
	v_addc_co_u32_e32 v21, vcc, 0, v76, vcc
	global_load_ubyte v89, v[20:21], off
	global_load_ubyte v90, v[20:21], off offset:64
	global_load_ubyte v91, v[20:21], off offset:128
	;; [unrolled: 1-line block ×6, first 2 shown]
	s_mov_b64 s[36:37], -1
	s_movk_i32 s40, 0x800
	s_cbranch_execz .LBB1636_70
; %bb.68:                               ;   in Loop: Header=BB1636_66 Depth=2
                                        ; implicit-def: $sgpr38
	v_mov_b32_e32 v96, s38
	v_mov_b32_e32 v0, s78
	s_and_saveexec_b64 s[38:39], s[36:37]
	s_cbranch_execnz .LBB1636_85
	s_branch .LBB1636_86
.LBB1636_69:                            ;   in Loop: Header=BB1636_66 Depth=2
	s_mov_b64 s[36:37], 0
                                        ; implicit-def: $sgpr40
                                        ; implicit-def: $vgpr89
                                        ; implicit-def: $vgpr90
                                        ; implicit-def: $vgpr91
                                        ; implicit-def: $vgpr92
                                        ; implicit-def: $vgpr93
                                        ; implicit-def: $vgpr94
                                        ; implicit-def: $vgpr95
.LBB1636_70:                            ;   in Loop: Header=BB1636_66 Depth=2
	v_add_co_u32_e32 v20, vcc, s72, v74
	v_addc_co_u32_e32 v21, vcc, 0, v76, vcc
	v_cmp_gt_u32_e32 vcc, s78, v72
	s_waitcnt vmcnt(5)
	v_mov_b32_e32 v90, 1
	v_mov_b32_e32 v89, 1
	s_and_saveexec_b64 s[36:37], vcc
	s_cbranch_execz .LBB1636_72
; %bb.71:                               ;   in Loop: Header=BB1636_66 Depth=2
	global_load_ubyte v89, v[20:21], off
.LBB1636_72:                            ;   in Loop: Header=BB1636_66 Depth=2
	s_or_b64 exec, exec, s[36:37]
	v_cmp_gt_u32_e32 vcc, s78, v79
	s_and_saveexec_b64 s[36:37], vcc
	s_cbranch_execz .LBB1636_74
; %bb.73:                               ;   in Loop: Header=BB1636_66 Depth=2
	global_load_ubyte v90, v[20:21], off offset:64
.LBB1636_74:                            ;   in Loop: Header=BB1636_66 Depth=2
	s_or_b64 exec, exec, s[36:37]
	v_cmp_gt_u32_e32 vcc, s78, v80
	s_waitcnt vmcnt(3)
	v_mov_b32_e32 v92, 1
	v_mov_b32_e32 v91, 1
	s_and_saveexec_b64 s[36:37], vcc
	s_cbranch_execz .LBB1636_76
; %bb.75:                               ;   in Loop: Header=BB1636_66 Depth=2
	global_load_ubyte v91, v[20:21], off offset:128
.LBB1636_76:                            ;   in Loop: Header=BB1636_66 Depth=2
	s_or_b64 exec, exec, s[36:37]
	v_cmp_gt_u32_e32 vcc, s78, v81
	s_and_saveexec_b64 s[36:37], vcc
	s_cbranch_execz .LBB1636_78
; %bb.77:                               ;   in Loop: Header=BB1636_66 Depth=2
	global_load_ubyte v92, v[20:21], off offset:192
.LBB1636_78:                            ;   in Loop: Header=BB1636_66 Depth=2
	s_or_b64 exec, exec, s[36:37]
	v_cmp_gt_u32_e32 vcc, s78, v82
	s_waitcnt vmcnt(1)
	v_mov_b32_e32 v94, 1
	v_mov_b32_e32 v93, 1
	s_and_saveexec_b64 s[36:37], vcc
	s_cbranch_execz .LBB1636_80
; %bb.79:                               ;   in Loop: Header=BB1636_66 Depth=2
	global_load_ubyte v93, v[20:21], off offset:256
.LBB1636_80:                            ;   in Loop: Header=BB1636_66 Depth=2
	s_or_b64 exec, exec, s[36:37]
	v_cmp_gt_u32_e32 vcc, s78, v83
	s_and_saveexec_b64 s[36:37], vcc
	s_cbranch_execz .LBB1636_82
; %bb.81:                               ;   in Loop: Header=BB1636_66 Depth=2
	global_load_ubyte v94, v[20:21], off offset:320
.LBB1636_82:                            ;   in Loop: Header=BB1636_66 Depth=2
	s_or_b64 exec, exec, s[36:37]
	v_cmp_gt_u32_e32 vcc, s78, v84
	s_waitcnt vmcnt(0)
	v_mov_b32_e32 v95, 1
	s_and_saveexec_b64 s[36:37], vcc
	s_cbranch_execz .LBB1636_84
; %bb.83:                               ;   in Loop: Header=BB1636_66 Depth=2
	global_load_ubyte v95, v[20:21], off offset:384
.LBB1636_84:                            ;   in Loop: Header=BB1636_66 Depth=2
	s_or_b64 exec, exec, s[36:37]
	s_sub_i32 s40, s76, s72
	v_cmp_gt_u32_e64 s[36:37], s78, v85
	s_mov_b32 s38, 1
	v_mov_b32_e32 v96, s38
	v_mov_b32_e32 v0, s78
	s_and_saveexec_b64 s[38:39], s[36:37]
	s_cbranch_execz .LBB1636_86
.LBB1636_85:                            ;   in Loop: Header=BB1636_66 Depth=2
	v_mov_b32_e32 v0, s73
	v_add_co_u32_e32 v20, vcc, s72, v86
	v_addc_co_u32_e32 v21, vcc, v87, v0, vcc
	global_load_ubyte v96, v[20:21], off
	v_mov_b32_e32 v0, s40
.LBB1636_86:                            ;   in Loop: Header=BB1636_66 Depth=2
	s_or_b64 exec, exec, s[38:39]
	v_add_u32_e32 v20, 0x410, v42
	ds_write2_b32 v20, v1, v1 offset1:1
	ds_write2_b32 v44, v1, v1 offset0:2 offset1:3
	ds_write_b32 v44, v1 offset:16
	s_waitcnt vmcnt(6)
	v_lshrrev_b32_sdwa v20, s68, v89 dst_sel:DWORD dst_unused:UNUSED_PAD src0_sel:DWORD src1_sel:BYTE_0
	v_and_b32_e32 v20, s77, v20
	v_mad_u32_u24 v21, v20, 5, v88
	v_cmp_ne_u32_e32 vcc, 0, v20
	v_add_co_u32_e64 v20, s[36:37], -1, v20
	v_lshl_add_u32 v98, v21, 2, v43
	v_addc_co_u32_e64 v21, s[36:37], 0, -1, s[36:37]
	v_xor_b32_e32 v20, vcc_lo, v20
	v_xor_b32_e32 v21, vcc_hi, v21
	v_and_b32_e32 v20, exec_lo, v20
	v_and_b32_e32 v21, exec_hi, v21
	v_mbcnt_lo_u32_b32 v22, v20, 0
	v_mbcnt_hi_u32_b32 v97, v21, v22
	v_cmp_eq_u32_e32 vcc, 0, v97
	v_cmp_ne_u64_e64 s[36:37], 0, v[20:21]
	s_and_b64 s[38:39], s[36:37], vcc
	s_waitcnt lgkmcnt(0)
	s_barrier
	s_waitcnt lgkmcnt(0)
	; wave barrier
	s_and_saveexec_b64 s[36:37], s[38:39]
	s_cbranch_execz .LBB1636_88
; %bb.87:                               ;   in Loop: Header=BB1636_66 Depth=2
	v_bcnt_u32_b32 v20, v20, 0
	v_bcnt_u32_b32 v20, v21, v20
	ds_write_b32 v98, v20
.LBB1636_88:                            ;   in Loop: Header=BB1636_66 Depth=2
	s_or_b64 exec, exec, s[36:37]
	s_waitcnt vmcnt(5)
	v_lshrrev_b32_sdwa v20, s68, v90 dst_sel:DWORD dst_unused:UNUSED_PAD src0_sel:DWORD src1_sel:BYTE_0
	v_and_b32_e32 v20, s77, v20
	v_mul_u32_u24_e32 v21, 5, v20
	v_add_lshl_u32 v21, v21, v88, 2
	v_cmp_ne_u32_e32 vcc, 0, v20
	v_add_co_u32_e64 v20, s[36:37], -1, v20
	; wave barrier
	v_add_u32_e32 v101, 0x410, v21
	ds_read_b32 v99, v21 offset:1040
	v_addc_co_u32_e64 v21, s[36:37], 0, -1, s[36:37]
	v_xor_b32_e32 v20, vcc_lo, v20
	v_xor_b32_e32 v21, vcc_hi, v21
	v_and_b32_e32 v20, exec_lo, v20
	v_and_b32_e32 v21, exec_hi, v21
	v_mbcnt_lo_u32_b32 v22, v20, 0
	v_mbcnt_hi_u32_b32 v100, v21, v22
	v_cmp_eq_u32_e32 vcc, 0, v100
	v_cmp_ne_u64_e64 s[36:37], 0, v[20:21]
	s_and_b64 s[38:39], s[36:37], vcc
	; wave barrier
	s_and_saveexec_b64 s[36:37], s[38:39]
	s_cbranch_execz .LBB1636_90
; %bb.89:                               ;   in Loop: Header=BB1636_66 Depth=2
	v_bcnt_u32_b32 v20, v20, 0
	v_bcnt_u32_b32 v20, v21, v20
	s_waitcnt lgkmcnt(0)
	v_add_u32_e32 v20, v99, v20
	ds_write_b32 v101, v20
.LBB1636_90:                            ;   in Loop: Header=BB1636_66 Depth=2
	s_or_b64 exec, exec, s[36:37]
	s_waitcnt vmcnt(4)
	v_lshrrev_b32_sdwa v20, s68, v91 dst_sel:DWORD dst_unused:UNUSED_PAD src0_sel:DWORD src1_sel:BYTE_0
	v_and_b32_e32 v20, s77, v20
	v_mul_u32_u24_e32 v21, 5, v20
	v_add_lshl_u32 v21, v21, v88, 2
	v_cmp_ne_u32_e32 vcc, 0, v20
	v_add_co_u32_e64 v20, s[36:37], -1, v20
	; wave barrier
	v_add_u32_e32 v102, 0x410, v21
	ds_read_b32 v104, v21 offset:1040
	v_addc_co_u32_e64 v21, s[36:37], 0, -1, s[36:37]
	v_xor_b32_e32 v20, vcc_lo, v20
	v_xor_b32_e32 v21, vcc_hi, v21
	v_and_b32_e32 v20, exec_lo, v20
	v_and_b32_e32 v21, exec_hi, v21
	v_mbcnt_lo_u32_b32 v22, v20, 0
	v_mbcnt_hi_u32_b32 v105, v21, v22
	v_cmp_eq_u32_e32 vcc, 0, v105
	v_cmp_ne_u64_e64 s[36:37], 0, v[20:21]
	s_and_b64 s[38:39], s[36:37], vcc
	; wave barrier
	s_and_saveexec_b64 s[36:37], s[38:39]
	s_cbranch_execz .LBB1636_92
; %bb.91:                               ;   in Loop: Header=BB1636_66 Depth=2
	v_bcnt_u32_b32 v20, v20, 0
	v_bcnt_u32_b32 v20, v21, v20
	s_waitcnt lgkmcnt(0)
	v_add_u32_e32 v20, v104, v20
	ds_write_b32 v102, v20
.LBB1636_92:                            ;   in Loop: Header=BB1636_66 Depth=2
	;; [unrolled: 31-line block ×5, first 2 shown]
	s_or_b64 exec, exec, s[36:37]
	s_waitcnt vmcnt(0)
	v_lshrrev_b32_sdwa v20, s68, v95 dst_sel:DWORD dst_unused:UNUSED_PAD src0_sel:DWORD src1_sel:BYTE_0
	v_and_b32_e32 v20, s77, v20
	v_mul_u32_u24_e32 v21, 5, v20
	v_add_lshl_u32 v21, v21, v88, 2
	v_cmp_ne_u32_e32 vcc, 0, v20
	v_add_co_u32_e64 v20, s[36:37], -1, v20
	; wave barrier
	v_add_u32_e32 v116, 0x410, v21
	ds_read_b32 v114, v21 offset:1040
	v_addc_co_u32_e64 v21, s[36:37], 0, -1, s[36:37]
	v_xor_b32_e32 v20, vcc_lo, v20
	v_xor_b32_e32 v21, vcc_hi, v21
	v_and_b32_e32 v20, exec_lo, v20
	v_and_b32_e32 v21, exec_hi, v21
	v_mbcnt_lo_u32_b32 v22, v20, 0
	v_mbcnt_hi_u32_b32 v115, v21, v22
	v_cmp_eq_u32_e32 vcc, 0, v115
	v_cmp_ne_u64_e64 s[36:37], 0, v[20:21]
	s_and_b64 s[38:39], s[36:37], vcc
	; wave barrier
	s_and_saveexec_b64 s[36:37], s[38:39]
	s_cbranch_execz .LBB1636_100
; %bb.99:                               ;   in Loop: Header=BB1636_66 Depth=2
	v_bcnt_u32_b32 v20, v20, 0
	v_bcnt_u32_b32 v20, v21, v20
	s_waitcnt lgkmcnt(0)
	v_add_u32_e32 v20, v114, v20
	ds_write_b32 v116, v20
.LBB1636_100:                           ;   in Loop: Header=BB1636_66 Depth=2
	s_or_b64 exec, exec, s[36:37]
	v_lshrrev_b32_sdwa v20, s68, v96 dst_sel:DWORD dst_unused:UNUSED_PAD src0_sel:DWORD src1_sel:BYTE_0
	v_and_b32_e32 v20, s77, v20
	v_mul_u32_u24_e32 v21, 5, v20
	v_add_lshl_u32 v21, v21, v88, 2
	v_cmp_ne_u32_e32 vcc, 0, v20
	v_add_co_u32_e64 v20, s[36:37], -1, v20
	; wave barrier
	v_add_u32_e32 v119, 0x410, v21
	ds_read_b32 v117, v21 offset:1040
	v_addc_co_u32_e64 v21, s[36:37], 0, -1, s[36:37]
	v_xor_b32_e32 v20, vcc_lo, v20
	v_xor_b32_e32 v21, vcc_hi, v21
	v_and_b32_e32 v20, exec_lo, v20
	v_and_b32_e32 v21, exec_hi, v21
	v_mbcnt_lo_u32_b32 v22, v20, 0
	v_mbcnt_hi_u32_b32 v118, v21, v22
	v_cmp_eq_u32_e32 vcc, 0, v118
	v_cmp_ne_u64_e64 s[36:37], 0, v[20:21]
	s_and_b64 s[38:39], s[36:37], vcc
	; wave barrier
	s_and_saveexec_b64 s[36:37], s[38:39]
	s_cbranch_execz .LBB1636_102
; %bb.101:                              ;   in Loop: Header=BB1636_66 Depth=2
	v_bcnt_u32_b32 v20, v20, 0
	v_bcnt_u32_b32 v20, v21, v20
	s_waitcnt lgkmcnt(0)
	v_add_u32_e32 v20, v117, v20
	ds_write_b32 v119, v20
.LBB1636_102:                           ;   in Loop: Header=BB1636_66 Depth=2
	s_or_b64 exec, exec, s[36:37]
	; wave barrier
	s_waitcnt lgkmcnt(0)
	s_barrier
	ds_read_b32 v120, v42 offset:1040
	ds_read2_b32 v[22:23], v44 offset0:1 offset1:2
	ds_read2_b32 v[20:21], v44 offset0:3 offset1:4
	s_waitcnt lgkmcnt(1)
	v_add3_u32 v121, v22, v120, v23
	s_waitcnt lgkmcnt(0)
	v_add3_u32 v21, v121, v20, v21
	s_nop 1
	v_mov_b32_dpp v121, v21 row_shr:1 row_mask:0xf bank_mask:0xf
	v_cndmask_b32_e64 v121, v121, 0, s[16:17]
	v_add_u32_e32 v21, v121, v21
	s_nop 1
	v_mov_b32_dpp v121, v21 row_shr:2 row_mask:0xf bank_mask:0xf
	v_cndmask_b32_e64 v121, 0, v121, s[18:19]
	v_add_u32_e32 v21, v21, v121
	;; [unrolled: 4-line block ×4, first 2 shown]
	s_nop 1
	v_mov_b32_dpp v121, v21 row_bcast:15 row_mask:0xf bank_mask:0xf
	v_cndmask_b32_e64 v121, v121, 0, s[24:25]
	v_add_u32_e32 v21, v21, v121
	s_nop 1
	v_mov_b32_dpp v121, v21 row_bcast:31 row_mask:0xf bank_mask:0xf
	v_cndmask_b32_e64 v121, 0, v121, s[26:27]
	v_add_u32_e32 v21, v21, v121
	s_and_saveexec_b64 s[36:37], s[6:7]
	s_cbranch_execz .LBB1636_104
; %bb.103:                              ;   in Loop: Header=BB1636_66 Depth=2
	ds_write_b32 v35, v21 offset:1024
.LBB1636_104:                           ;   in Loop: Header=BB1636_66 Depth=2
	s_or_b64 exec, exec, s[36:37]
	s_waitcnt lgkmcnt(0)
	s_barrier
	s_and_saveexec_b64 s[36:37], s[8:9]
	s_cbranch_execz .LBB1636_106
; %bb.105:                              ;   in Loop: Header=BB1636_66 Depth=2
	v_add_u32_e32 v121, v42, v45
	ds_read_b32 v122, v121 offset:1024
	s_waitcnt lgkmcnt(0)
	s_nop 0
	v_mov_b32_dpp v123, v122 row_shr:1 row_mask:0xf bank_mask:0xf
	v_cndmask_b32_e64 v123, v123, 0, s[30:31]
	v_add_u32_e32 v122, v123, v122
	s_nop 1
	v_mov_b32_dpp v123, v122 row_shr:2 row_mask:0xf bank_mask:0xf
	v_cndmask_b32_e64 v123, 0, v123, s[34:35]
	v_add_u32_e32 v122, v122, v123
	ds_write_b32 v121, v122 offset:1024
.LBB1636_106:                           ;   in Loop: Header=BB1636_66 Depth=2
	s_or_b64 exec, exec, s[36:37]
	v_mov_b32_e32 v121, 0
	s_waitcnt lgkmcnt(0)
	s_barrier
	s_and_saveexec_b64 s[36:37], s[10:11]
	s_cbranch_execz .LBB1636_108
; %bb.107:                              ;   in Loop: Header=BB1636_66 Depth=2
	ds_read_b32 v121, v35 offset:1020
.LBB1636_108:                           ;   in Loop: Header=BB1636_66 Depth=2
	s_or_b64 exec, exec, s[36:37]
	s_waitcnt lgkmcnt(0)
	v_add_u32_e32 v21, v121, v21
	ds_bpermute_b32 v21, v65, v21
	s_waitcnt lgkmcnt(0)
	v_cndmask_b32_e64 v21, v21, v121, s[28:29]
	v_cndmask_b32_e64 v21, v21, 0, s[12:13]
	v_add_u32_e32 v120, v21, v120
	ds_write_b32 v42, v21 offset:1040
	v_add_u32_e32 v21, v120, v22
	v_add_u32_e32 v22, v21, v23
	;; [unrolled: 1-line block ×3, first 2 shown]
	ds_write2_b32 v44, v120, v21 offset0:1 offset1:2
	ds_write2_b32 v44, v22, v20 offset0:3 offset1:4
	s_waitcnt lgkmcnt(0)
	s_barrier
	ds_read_b32 v20, v101
	ds_read_b32 v21, v102
	;; [unrolled: 1-line block ×8, first 2 shown]
	ds_read_b32 v101, v42 offset:1040
	v_mov_b32_e32 v22, 0x800
	s_and_saveexec_b64 s[36:37], s[14:15]
	s_cbranch_execz .LBB1636_110
; %bb.109:                              ;   in Loop: Header=BB1636_66 Depth=2
	ds_read_b32 v22, v42 offset:1060
.LBB1636_110:                           ;   in Loop: Header=BB1636_66 Depth=2
	s_or_b64 exec, exec, s[36:37]
	s_waitcnt lgkmcnt(0)
	s_barrier
	s_and_saveexec_b64 s[36:37], s[4:5]
	s_cbranch_execz .LBB1636_112
; %bb.111:                              ;   in Loop: Header=BB1636_66 Depth=2
	ds_read_b32 v102, v3
	s_waitcnt lgkmcnt(0)
	v_sub_u32_e32 v101, v102, v101
	ds_write_b32 v3, v101
.LBB1636_112:                           ;   in Loop: Header=BB1636_66 Depth=2
	s_or_b64 exec, exec, s[36:37]
	v_add_u32_e32 v103, v98, v97
	v_add3_u32 v102, v100, v99, v20
	v_add3_u32 v101, v105, v104, v21
	;; [unrolled: 1-line block ×7, first 2 shown]
	v_cmp_lt_u32_e64 s[48:49], v2, v0
	ds_write_b8 v103, v89 offset:1024
	ds_write_b8 v102, v90 offset:1024
	;; [unrolled: 1-line block ×8, first 2 shown]
	s_waitcnt lgkmcnt(0)
	s_barrier
	s_and_saveexec_b64 s[36:37], s[48:49]
	s_cbranch_execz .LBB1636_120
; %bb.113:                              ;   in Loop: Header=BB1636_66 Depth=2
	ds_read_u8 v20, v2 offset:1024
	s_waitcnt lgkmcnt(0)
	v_and_b32_e32 v21, 1, v20
	v_lshrrev_b32_e32 v21, s68, v21
	v_and_b32_e32 v21, s77, v21
	v_lshlrev_b32_e32 v21, 2, v21
	ds_read_b32 v21, v21
	s_waitcnt lgkmcnt(0)
	v_add_u32_e32 v21, v21, v2
	global_store_byte v21, v20, s[58:59]
	s_or_b64 exec, exec, s[36:37]
	v_cmp_lt_u32_e64 s[46:47], v24, v0
	s_and_saveexec_b64 s[36:37], s[46:47]
	s_cbranch_execnz .LBB1636_121
.LBB1636_114:                           ;   in Loop: Header=BB1636_66 Depth=2
	s_or_b64 exec, exec, s[36:37]
	v_cmp_lt_u32_e64 s[44:45], v25, v0
	s_and_saveexec_b64 s[36:37], s[44:45]
	s_cbranch_execz .LBB1636_122
.LBB1636_115:                           ;   in Loop: Header=BB1636_66 Depth=2
	ds_read_u8 v20, v30 offset:512
	s_waitcnt lgkmcnt(0)
	v_and_b32_e32 v21, 1, v20
	v_lshrrev_b32_e32 v21, s68, v21
	v_and_b32_e32 v21, s77, v21
	v_lshlrev_b32_e32 v21, 2, v21
	ds_read_b32 v21, v21
	s_waitcnt lgkmcnt(0)
	v_add_u32_e32 v21, v21, v25
	global_store_byte v21, v20, s[58:59]
	s_or_b64 exec, exec, s[36:37]
	v_cmp_lt_u32_e64 s[42:43], v26, v0
	s_and_saveexec_b64 s[36:37], s[42:43]
	s_cbranch_execnz .LBB1636_123
.LBB1636_116:                           ;   in Loop: Header=BB1636_66 Depth=2
	s_or_b64 exec, exec, s[36:37]
	v_cmp_lt_u32_e64 s[40:41], v30, v0
	s_and_saveexec_b64 s[36:37], s[40:41]
	s_cbranch_execz .LBB1636_124
.LBB1636_117:                           ;   in Loop: Header=BB1636_66 Depth=2
	ds_read_u8 v20, v30 offset:1024
	s_waitcnt lgkmcnt(0)
	v_and_b32_e32 v21, 1, v20
	v_lshrrev_b32_e32 v21, s68, v21
	v_and_b32_e32 v21, s77, v21
	v_lshlrev_b32_e32 v21, 2, v21
	ds_read_b32 v21, v21
	s_waitcnt lgkmcnt(0)
	v_add_u32_e32 v21, v21, v30
	global_store_byte v21, v20, s[58:59]
	s_or_b64 exec, exec, s[36:37]
	v_cmp_lt_u32_e64 s[38:39], v31, v0
	s_and_saveexec_b64 s[36:37], s[38:39]
	s_cbranch_execnz .LBB1636_125
.LBB1636_118:                           ;   in Loop: Header=BB1636_66 Depth=2
	s_or_b64 exec, exec, s[36:37]
	v_cmp_lt_u32_e64 s[36:37], v32, v0
	s_and_saveexec_b64 s[52:53], s[36:37]
	s_cbranch_execz .LBB1636_126
.LBB1636_119:                           ;   in Loop: Header=BB1636_66 Depth=2
	ds_read_u8 v20, v30 offset:1536
	s_waitcnt lgkmcnt(0)
	v_and_b32_e32 v21, 1, v20
	v_lshrrev_b32_e32 v21, s68, v21
	v_and_b32_e32 v21, s77, v21
	v_lshlrev_b32_e32 v21, 2, v21
	ds_read_b32 v21, v21
	s_waitcnt lgkmcnt(0)
	v_add_u32_e32 v21, v21, v32
	global_store_byte v21, v20, s[58:59]
	s_or_b64 exec, exec, s[52:53]
	v_cmp_lt_u32_e32 vcc, v33, v0
	s_and_saveexec_b64 s[52:53], vcc
	s_cbranch_execnz .LBB1636_127
	s_branch .LBB1636_128
.LBB1636_120:                           ;   in Loop: Header=BB1636_66 Depth=2
	s_or_b64 exec, exec, s[36:37]
	v_cmp_lt_u32_e64 s[46:47], v24, v0
	s_and_saveexec_b64 s[36:37], s[46:47]
	s_cbranch_execz .LBB1636_114
.LBB1636_121:                           ;   in Loop: Header=BB1636_66 Depth=2
	ds_read_u8 v20, v30 offset:256
	s_waitcnt lgkmcnt(0)
	v_and_b32_e32 v21, 1, v20
	v_lshrrev_b32_e32 v21, s68, v21
	v_and_b32_e32 v21, s77, v21
	v_lshlrev_b32_e32 v21, 2, v21
	ds_read_b32 v21, v21
	s_waitcnt lgkmcnt(0)
	v_add_u32_e32 v21, v21, v24
	global_store_byte v21, v20, s[58:59]
	s_or_b64 exec, exec, s[36:37]
	v_cmp_lt_u32_e64 s[44:45], v25, v0
	s_and_saveexec_b64 s[36:37], s[44:45]
	s_cbranch_execnz .LBB1636_115
.LBB1636_122:                           ;   in Loop: Header=BB1636_66 Depth=2
	s_or_b64 exec, exec, s[36:37]
	v_cmp_lt_u32_e64 s[42:43], v26, v0
	s_and_saveexec_b64 s[36:37], s[42:43]
	s_cbranch_execz .LBB1636_116
.LBB1636_123:                           ;   in Loop: Header=BB1636_66 Depth=2
	ds_read_u8 v20, v30 offset:768
	s_waitcnt lgkmcnt(0)
	v_and_b32_e32 v21, 1, v20
	v_lshrrev_b32_e32 v21, s68, v21
	v_and_b32_e32 v21, s77, v21
	v_lshlrev_b32_e32 v21, 2, v21
	ds_read_b32 v21, v21
	s_waitcnt lgkmcnt(0)
	v_add_u32_e32 v21, v21, v26
	global_store_byte v21, v20, s[58:59]
	s_or_b64 exec, exec, s[36:37]
	v_cmp_lt_u32_e64 s[40:41], v30, v0
	s_and_saveexec_b64 s[36:37], s[40:41]
	s_cbranch_execnz .LBB1636_117
.LBB1636_124:                           ;   in Loop: Header=BB1636_66 Depth=2
	s_or_b64 exec, exec, s[36:37]
	v_cmp_lt_u32_e64 s[38:39], v31, v0
	s_and_saveexec_b64 s[36:37], s[38:39]
	s_cbranch_execz .LBB1636_118
.LBB1636_125:                           ;   in Loop: Header=BB1636_66 Depth=2
	ds_read_u8 v20, v30 offset:1280
	s_waitcnt lgkmcnt(0)
	v_and_b32_e32 v21, 1, v20
	v_lshrrev_b32_e32 v21, s68, v21
	v_and_b32_e32 v21, s77, v21
	v_lshlrev_b32_e32 v21, 2, v21
	ds_read_b32 v21, v21
	s_waitcnt lgkmcnt(0)
	v_add_u32_e32 v21, v21, v31
	global_store_byte v21, v20, s[58:59]
	s_or_b64 exec, exec, s[36:37]
	v_cmp_lt_u32_e64 s[36:37], v32, v0
	s_and_saveexec_b64 s[52:53], s[36:37]
	s_cbranch_execnz .LBB1636_119
.LBB1636_126:                           ;   in Loop: Header=BB1636_66 Depth=2
	s_or_b64 exec, exec, s[52:53]
	v_cmp_lt_u32_e32 vcc, v33, v0
	s_and_saveexec_b64 s[52:53], vcc
	s_cbranch_execz .LBB1636_128
.LBB1636_127:                           ;   in Loop: Header=BB1636_66 Depth=2
	ds_read_u8 v20, v30 offset:1792
	s_waitcnt lgkmcnt(0)
	v_and_b32_e32 v21, 1, v20
	v_lshrrev_b32_e32 v21, s68, v21
	v_and_b32_e32 v21, s77, v21
	v_lshlrev_b32_e32 v21, 2, v21
	ds_read_b32 v21, v21
	s_waitcnt lgkmcnt(0)
	v_add_u32_e32 v21, v21, v33
	global_store_byte v21, v20, s[58:59]
.LBB1636_128:                           ;   in Loop: Header=BB1636_66 Depth=2
	s_or_b64 exec, exec, s[52:53]
	s_lshl_b64 s[52:53], s[72:73], 3
	v_mov_b32_e32 v21, s53
	v_add_co_u32_e64 v20, s[52:53], s52, v77
	v_addc_co_u32_e64 v21, s[52:53], v78, v21, s[52:53]
	v_cmp_lt_u32_e64 s[52:53], v72, v0
	s_and_saveexec_b64 s[62:63], s[52:53]
	s_xor_b64 s[52:53], exec, s[62:63]
	s_cbranch_execz .LBB1636_144
; %bb.129:                              ;   in Loop: Header=BB1636_66 Depth=2
	global_load_dwordx2 v[18:19], v[20:21], off
	s_or_b64 exec, exec, s[52:53]
	v_cmp_lt_u32_e64 s[52:53], v79, v0
	s_and_saveexec_b64 s[62:63], s[52:53]
	s_cbranch_execnz .LBB1636_145
.LBB1636_130:                           ;   in Loop: Header=BB1636_66 Depth=2
	s_or_b64 exec, exec, s[62:63]
	v_cmp_lt_u32_e64 s[52:53], v80, v0
	s_and_saveexec_b64 s[62:63], s[52:53]
	s_cbranch_execz .LBB1636_146
.LBB1636_131:                           ;   in Loop: Header=BB1636_66 Depth=2
	global_load_dwordx2 v[14:15], v[20:21], off offset:1024
	s_or_b64 exec, exec, s[62:63]
	v_cmp_lt_u32_e64 s[52:53], v81, v0
	s_and_saveexec_b64 s[62:63], s[52:53]
	s_cbranch_execnz .LBB1636_147
.LBB1636_132:                           ;   in Loop: Header=BB1636_66 Depth=2
	s_or_b64 exec, exec, s[62:63]
	v_cmp_lt_u32_e64 s[52:53], v82, v0
	s_and_saveexec_b64 s[62:63], s[52:53]
	s_cbranch_execz .LBB1636_148
.LBB1636_133:                           ;   in Loop: Header=BB1636_66 Depth=2
	global_load_dwordx2 v[10:11], v[20:21], off offset:2048
	s_or_b64 exec, exec, s[62:63]
	v_cmp_lt_u32_e64 s[52:53], v83, v0
	s_and_saveexec_b64 s[62:63], s[52:53]
	s_cbranch_execnz .LBB1636_149
.LBB1636_134:                           ;   in Loop: Header=BB1636_66 Depth=2
	s_or_b64 exec, exec, s[62:63]
	v_cmp_lt_u32_e64 s[52:53], v84, v0
	s_and_saveexec_b64 s[62:63], s[52:53]
	s_cbranch_execz .LBB1636_150
.LBB1636_135:                           ;   in Loop: Header=BB1636_66 Depth=2
	global_load_dwordx2 v[6:7], v[20:21], off offset:3072
	s_or_b64 exec, exec, s[62:63]
	v_cmp_lt_u32_e64 s[52:53], v85, v0
	s_and_saveexec_b64 s[62:63], s[52:53]
	s_cbranch_execnz .LBB1636_151
.LBB1636_136:                           ;   in Loop: Header=BB1636_66 Depth=2
	s_or_b64 exec, exec, s[62:63]
	s_and_saveexec_b64 s[52:53], s[48:49]
	s_cbranch_execz .LBB1636_152
.LBB1636_137:                           ;   in Loop: Header=BB1636_66 Depth=2
	ds_read_u8 v0, v2 offset:1024
	s_waitcnt lgkmcnt(0)
	v_lshrrev_b32_e32 v0, s68, v0
	v_and_b32_e32 v75, s77, v0
	s_or_b64 exec, exec, s[52:53]
	s_and_saveexec_b64 s[52:53], s[46:47]
	s_cbranch_execnz .LBB1636_153
.LBB1636_138:                           ;   in Loop: Header=BB1636_66 Depth=2
	s_or_b64 exec, exec, s[52:53]
	s_and_saveexec_b64 s[52:53], s[44:45]
	s_cbranch_execz .LBB1636_154
.LBB1636_139:                           ;   in Loop: Header=BB1636_66 Depth=2
	ds_read_u8 v0, v30 offset:512
	s_waitcnt lgkmcnt(0)
	v_lshrrev_b32_e32 v0, s68, v0
	v_and_b32_e32 v71, s77, v0
	s_or_b64 exec, exec, s[52:53]
	s_and_saveexec_b64 s[52:53], s[42:43]
	s_cbranch_execnz .LBB1636_155
.LBB1636_140:                           ;   in Loop: Header=BB1636_66 Depth=2
	s_or_b64 exec, exec, s[52:53]
	s_and_saveexec_b64 s[52:53], s[40:41]
	s_cbranch_execz .LBB1636_156
.LBB1636_141:                           ;   in Loop: Header=BB1636_66 Depth=2
	ds_read_u8 v0, v30 offset:1024
	s_waitcnt lgkmcnt(0)
	v_lshrrev_b32_e32 v0, s68, v0
	v_and_b32_e32 v69, s77, v0
	s_or_b64 exec, exec, s[52:53]
	s_and_saveexec_b64 s[52:53], s[38:39]
	s_cbranch_execnz .LBB1636_157
.LBB1636_142:                           ;   in Loop: Header=BB1636_66 Depth=2
	s_or_b64 exec, exec, s[52:53]
	s_and_saveexec_b64 s[52:53], s[36:37]
	s_cbranch_execz .LBB1636_158
.LBB1636_143:                           ;   in Loop: Header=BB1636_66 Depth=2
	ds_read_u8 v0, v30 offset:1536
	s_waitcnt lgkmcnt(0)
	v_lshrrev_b32_e32 v0, s68, v0
	v_and_b32_e32 v67, s77, v0
	s_or_b64 exec, exec, s[52:53]
	s_and_saveexec_b64 s[52:53], vcc
	s_cbranch_execnz .LBB1636_159
	s_branch .LBB1636_160
.LBB1636_144:                           ;   in Loop: Header=BB1636_66 Depth=2
	s_or_b64 exec, exec, s[52:53]
	v_cmp_lt_u32_e64 s[52:53], v79, v0
	s_and_saveexec_b64 s[62:63], s[52:53]
	s_cbranch_execz .LBB1636_130
.LBB1636_145:                           ;   in Loop: Header=BB1636_66 Depth=2
	global_load_dwordx2 v[16:17], v[20:21], off offset:512
	s_or_b64 exec, exec, s[62:63]
	v_cmp_lt_u32_e64 s[52:53], v80, v0
	s_and_saveexec_b64 s[62:63], s[52:53]
	s_cbranch_execnz .LBB1636_131
.LBB1636_146:                           ;   in Loop: Header=BB1636_66 Depth=2
	s_or_b64 exec, exec, s[62:63]
	v_cmp_lt_u32_e64 s[52:53], v81, v0
	s_and_saveexec_b64 s[62:63], s[52:53]
	s_cbranch_execz .LBB1636_132
.LBB1636_147:                           ;   in Loop: Header=BB1636_66 Depth=2
	global_load_dwordx2 v[12:13], v[20:21], off offset:1536
	s_or_b64 exec, exec, s[62:63]
	v_cmp_lt_u32_e64 s[52:53], v82, v0
	s_and_saveexec_b64 s[62:63], s[52:53]
	s_cbranch_execnz .LBB1636_133
.LBB1636_148:                           ;   in Loop: Header=BB1636_66 Depth=2
	s_or_b64 exec, exec, s[62:63]
	v_cmp_lt_u32_e64 s[52:53], v83, v0
	s_and_saveexec_b64 s[62:63], s[52:53]
	s_cbranch_execz .LBB1636_134
.LBB1636_149:                           ;   in Loop: Header=BB1636_66 Depth=2
	global_load_dwordx2 v[8:9], v[20:21], off offset:2560
	s_or_b64 exec, exec, s[62:63]
	v_cmp_lt_u32_e64 s[52:53], v84, v0
	s_and_saveexec_b64 s[62:63], s[52:53]
	s_cbranch_execnz .LBB1636_135
.LBB1636_150:                           ;   in Loop: Header=BB1636_66 Depth=2
	s_or_b64 exec, exec, s[62:63]
	v_cmp_lt_u32_e64 s[52:53], v85, v0
	s_and_saveexec_b64 s[62:63], s[52:53]
	s_cbranch_execz .LBB1636_136
.LBB1636_151:                           ;   in Loop: Header=BB1636_66 Depth=2
	global_load_dwordx2 v[4:5], v[20:21], off offset:3584
	s_or_b64 exec, exec, s[62:63]
	s_and_saveexec_b64 s[52:53], s[48:49]
	s_cbranch_execnz .LBB1636_137
.LBB1636_152:                           ;   in Loop: Header=BB1636_66 Depth=2
	s_or_b64 exec, exec, s[52:53]
	s_and_saveexec_b64 s[52:53], s[46:47]
	s_cbranch_execz .LBB1636_138
.LBB1636_153:                           ;   in Loop: Header=BB1636_66 Depth=2
	ds_read_u8 v0, v30 offset:256
	s_waitcnt lgkmcnt(0)
	v_lshrrev_b32_e32 v0, s68, v0
	v_and_b32_e32 v73, s77, v0
	s_or_b64 exec, exec, s[52:53]
	s_and_saveexec_b64 s[52:53], s[44:45]
	s_cbranch_execnz .LBB1636_139
.LBB1636_154:                           ;   in Loop: Header=BB1636_66 Depth=2
	s_or_b64 exec, exec, s[52:53]
	s_and_saveexec_b64 s[52:53], s[42:43]
	s_cbranch_execz .LBB1636_140
.LBB1636_155:                           ;   in Loop: Header=BB1636_66 Depth=2
	ds_read_u8 v0, v30 offset:768
	s_waitcnt lgkmcnt(0)
	v_lshrrev_b32_e32 v0, s68, v0
	v_and_b32_e32 v70, s77, v0
	s_or_b64 exec, exec, s[52:53]
	s_and_saveexec_b64 s[52:53], s[40:41]
	s_cbranch_execnz .LBB1636_141
.LBB1636_156:                           ;   in Loop: Header=BB1636_66 Depth=2
	s_or_b64 exec, exec, s[52:53]
	s_and_saveexec_b64 s[52:53], s[38:39]
	s_cbranch_execz .LBB1636_142
.LBB1636_157:                           ;   in Loop: Header=BB1636_66 Depth=2
	ds_read_u8 v0, v30 offset:1280
	s_waitcnt lgkmcnt(0)
	v_lshrrev_b32_e32 v0, s68, v0
	v_and_b32_e32 v68, s77, v0
	s_or_b64 exec, exec, s[52:53]
	s_and_saveexec_b64 s[52:53], s[36:37]
	s_cbranch_execnz .LBB1636_143
.LBB1636_158:                           ;   in Loop: Header=BB1636_66 Depth=2
	s_or_b64 exec, exec, s[52:53]
	s_and_saveexec_b64 s[52:53], vcc
	s_cbranch_execz .LBB1636_160
.LBB1636_159:                           ;   in Loop: Header=BB1636_66 Depth=2
	ds_read_u8 v0, v30 offset:1792
	s_waitcnt lgkmcnt(0)
	v_lshrrev_b32_e32 v0, s68, v0
	v_and_b32_e32 v66, s77, v0
.LBB1636_160:                           ;   in Loop: Header=BB1636_66 Depth=2
	s_or_b64 exec, exec, s[52:53]
	v_lshlrev_b32_e32 v0, 3, v103
	s_barrier
	s_waitcnt vmcnt(0)
	ds_write_b64 v0, v[18:19] offset:1024
	v_lshlrev_b32_e32 v0, 3, v102
	ds_write_b64 v0, v[16:17] offset:1024
	v_lshlrev_b32_e32 v0, 3, v101
	;; [unrolled: 2-line block ×7, first 2 shown]
	ds_write_b64 v0, v[4:5] offset:1024
	s_waitcnt lgkmcnt(0)
	s_barrier
	s_and_saveexec_b64 s[52:53], s[48:49]
	s_cbranch_execz .LBB1636_168
; %bb.161:                              ;   in Loop: Header=BB1636_66 Depth=2
	v_lshlrev_b32_e32 v0, 2, v75
	ds_read_b32 v0, v0
	v_add_u32_e32 v20, v2, v50
	ds_read_b64 v[20:21], v20 offset:1024
	v_mov_b32_e32 v23, s65
	s_waitcnt lgkmcnt(1)
	v_add_u32_e32 v0, v0, v2
	v_lshlrev_b64 v[90:91], 3, v[0:1]
	v_add_co_u32_e64 v90, s[48:49], s64, v90
	v_addc_co_u32_e64 v91, s[48:49], v23, v91, s[48:49]
	s_waitcnt lgkmcnt(0)
	global_store_dwordx2 v[90:91], v[20:21], off
	s_or_b64 exec, exec, s[52:53]
	s_and_saveexec_b64 s[48:49], s[46:47]
	s_cbranch_execnz .LBB1636_169
.LBB1636_162:                           ;   in Loop: Header=BB1636_66 Depth=2
	s_or_b64 exec, exec, s[48:49]
	s_and_saveexec_b64 s[46:47], s[44:45]
	s_cbranch_execz .LBB1636_170
.LBB1636_163:                           ;   in Loop: Header=BB1636_66 Depth=2
	v_lshlrev_b32_e32 v0, 2, v71
	ds_read_b32 v0, v0
	v_add_u32_e32 v20, v30, v50
	ds_read_b64 v[20:21], v20 offset:4096
	v_mov_b32_e32 v23, s65
	s_waitcnt lgkmcnt(1)
	v_add_u32_e32 v0, v0, v25
	v_lshlrev_b64 v[90:91], 3, v[0:1]
	v_add_co_u32_e64 v90, s[44:45], s64, v90
	v_addc_co_u32_e64 v91, s[44:45], v23, v91, s[44:45]
	s_waitcnt lgkmcnt(0)
	global_store_dwordx2 v[90:91], v[20:21], off
	s_or_b64 exec, exec, s[46:47]
	s_and_saveexec_b64 s[44:45], s[42:43]
	s_cbranch_execnz .LBB1636_171
.LBB1636_164:                           ;   in Loop: Header=BB1636_66 Depth=2
	s_or_b64 exec, exec, s[44:45]
	s_and_saveexec_b64 s[42:43], s[40:41]
	s_cbranch_execz .LBB1636_172
.LBB1636_165:                           ;   in Loop: Header=BB1636_66 Depth=2
	v_lshlrev_b32_e32 v0, 2, v69
	ds_read_b32 v0, v0
	v_add_u32_e32 v20, v30, v50
	ds_read_b64 v[20:21], v20 offset:8192
	v_mov_b32_e32 v23, s65
	s_waitcnt lgkmcnt(1)
	v_add_u32_e32 v0, v0, v30
	v_lshlrev_b64 v[90:91], 3, v[0:1]
	v_add_co_u32_e64 v90, s[40:41], s64, v90
	v_addc_co_u32_e64 v91, s[40:41], v23, v91, s[40:41]
	s_waitcnt lgkmcnt(0)
	global_store_dwordx2 v[90:91], v[20:21], off
	s_or_b64 exec, exec, s[42:43]
	s_and_saveexec_b64 s[40:41], s[38:39]
	s_cbranch_execnz .LBB1636_173
.LBB1636_166:                           ;   in Loop: Header=BB1636_66 Depth=2
	s_or_b64 exec, exec, s[40:41]
	s_and_saveexec_b64 s[38:39], s[36:37]
	s_cbranch_execz .LBB1636_174
.LBB1636_167:                           ;   in Loop: Header=BB1636_66 Depth=2
	v_lshlrev_b32_e32 v0, 2, v67
	ds_read_b32 v0, v0
	v_add_u32_e32 v20, v30, v50
	ds_read_b64 v[20:21], v20 offset:12288
	v_mov_b32_e32 v23, s65
	s_waitcnt lgkmcnt(1)
	v_add_u32_e32 v0, v0, v32
	v_lshlrev_b64 v[90:91], 3, v[0:1]
	v_add_co_u32_e64 v90, s[36:37], s64, v90
	v_addc_co_u32_e64 v91, s[36:37], v23, v91, s[36:37]
	s_waitcnt lgkmcnt(0)
	global_store_dwordx2 v[90:91], v[20:21], off
	s_or_b64 exec, exec, s[38:39]
	s_and_saveexec_b64 s[36:37], vcc
	s_cbranch_execnz .LBB1636_175
	s_branch .LBB1636_176
.LBB1636_168:                           ;   in Loop: Header=BB1636_66 Depth=2
	s_or_b64 exec, exec, s[52:53]
	s_and_saveexec_b64 s[48:49], s[46:47]
	s_cbranch_execz .LBB1636_162
.LBB1636_169:                           ;   in Loop: Header=BB1636_66 Depth=2
	v_lshlrev_b32_e32 v0, 2, v73
	ds_read_b32 v0, v0
	v_add_u32_e32 v20, v30, v50
	ds_read_b64 v[20:21], v20 offset:2048
	v_mov_b32_e32 v23, s65
	s_waitcnt lgkmcnt(1)
	v_add_u32_e32 v0, v0, v24
	v_lshlrev_b64 v[90:91], 3, v[0:1]
	v_add_co_u32_e64 v90, s[46:47], s64, v90
	v_addc_co_u32_e64 v91, s[46:47], v23, v91, s[46:47]
	s_waitcnt lgkmcnt(0)
	global_store_dwordx2 v[90:91], v[20:21], off
	s_or_b64 exec, exec, s[48:49]
	s_and_saveexec_b64 s[46:47], s[44:45]
	s_cbranch_execnz .LBB1636_163
.LBB1636_170:                           ;   in Loop: Header=BB1636_66 Depth=2
	s_or_b64 exec, exec, s[46:47]
	s_and_saveexec_b64 s[44:45], s[42:43]
	s_cbranch_execz .LBB1636_164
.LBB1636_171:                           ;   in Loop: Header=BB1636_66 Depth=2
	v_lshlrev_b32_e32 v0, 2, v70
	ds_read_b32 v0, v0
	v_add_u32_e32 v20, v30, v50
	ds_read_b64 v[20:21], v20 offset:6144
	v_mov_b32_e32 v23, s65
	s_waitcnt lgkmcnt(1)
	v_add_u32_e32 v0, v0, v26
	v_lshlrev_b64 v[90:91], 3, v[0:1]
	v_add_co_u32_e64 v90, s[42:43], s64, v90
	v_addc_co_u32_e64 v91, s[42:43], v23, v91, s[42:43]
	s_waitcnt lgkmcnt(0)
	global_store_dwordx2 v[90:91], v[20:21], off
	s_or_b64 exec, exec, s[44:45]
	s_and_saveexec_b64 s[42:43], s[40:41]
	s_cbranch_execnz .LBB1636_165
.LBB1636_172:                           ;   in Loop: Header=BB1636_66 Depth=2
	s_or_b64 exec, exec, s[42:43]
	s_and_saveexec_b64 s[40:41], s[38:39]
	s_cbranch_execz .LBB1636_166
.LBB1636_173:                           ;   in Loop: Header=BB1636_66 Depth=2
	v_lshlrev_b32_e32 v0, 2, v68
	ds_read_b32 v0, v0
	v_add_u32_e32 v20, v30, v50
	ds_read_b64 v[20:21], v20 offset:10240
	v_mov_b32_e32 v23, s65
	s_waitcnt lgkmcnt(1)
	v_add_u32_e32 v0, v0, v31
	v_lshlrev_b64 v[90:91], 3, v[0:1]
	v_add_co_u32_e64 v90, s[38:39], s64, v90
	v_addc_co_u32_e64 v91, s[38:39], v23, v91, s[38:39]
	s_waitcnt lgkmcnt(0)
	global_store_dwordx2 v[90:91], v[20:21], off
	s_or_b64 exec, exec, s[40:41]
	s_and_saveexec_b64 s[38:39], s[36:37]
	s_cbranch_execnz .LBB1636_167
.LBB1636_174:                           ;   in Loop: Header=BB1636_66 Depth=2
	s_or_b64 exec, exec, s[38:39]
	s_and_saveexec_b64 s[36:37], vcc
	s_cbranch_execz .LBB1636_176
.LBB1636_175:                           ;   in Loop: Header=BB1636_66 Depth=2
	v_lshlrev_b32_e32 v0, 2, v66
	ds_read_b32 v0, v0
	v_add_u32_e32 v20, v30, v50
	ds_read_b64 v[20:21], v20 offset:14336
	v_mov_b32_e32 v23, s65
	s_waitcnt lgkmcnt(1)
	v_add_u32_e32 v0, v0, v33
	v_lshlrev_b64 v[90:91], 3, v[0:1]
	v_add_co_u32_e32 v90, vcc, s64, v90
	v_addc_co_u32_e32 v91, vcc, v23, v91, vcc
	s_waitcnt lgkmcnt(0)
	global_store_dwordx2 v[90:91], v[20:21], off
.LBB1636_176:                           ;   in Loop: Header=BB1636_66 Depth=2
	s_or_b64 exec, exec, s[36:37]
	s_barrier
	s_and_saveexec_b64 s[36:37], s[4:5]
	s_cbranch_execz .LBB1636_65
; %bb.177:                              ;   in Loop: Header=BB1636_66 Depth=2
	ds_read_b32 v0, v3
	s_waitcnt lgkmcnt(0)
	v_add_u32_e32 v0, v0, v22
	ds_write_b32 v3, v0
	s_branch .LBB1636_65
.LBB1636_178:                           ;   in Loop: Header=BB1636_12 Depth=1
	s_waitcnt lgkmcnt(0)
	s_barrier
	s_mov_b64 s[16:17], 0
.LBB1636_179:                           ;   in Loop: Header=BB1636_12 Depth=1
	s_and_b64 vcc, exec, s[16:17]
	s_cbranch_vccz .LBB1636_345
; %bb.180:                              ;   in Loop: Header=BB1636_12 Depth=1
	s_mov_b32 s20, s71
	s_mov_b32 s22, s51
	s_barrier
	s_waitcnt lgkmcnt(0)
                                        ; implicit-def: $vgpr0
                                        ; implicit-def: $vgpr6
                                        ; implicit-def: $vgpr7
                                        ; implicit-def: $vgpr8
                                        ; implicit-def: $vgpr9
                                        ; implicit-def: $vgpr10
                                        ; implicit-def: $vgpr11
                                        ; implicit-def: $vgpr12
	s_branch .LBB1636_182
.LBB1636_181:                           ;   in Loop: Header=BB1636_182 Depth=2
	s_or_b64 exec, exec, s[16:17]
	s_addk_i32 s20, 0xf800
	s_cmp_ge_u32 s21, s76
	s_mov_b32 s22, s21
	s_cbranch_scc1 .LBB1636_220
.LBB1636_182:                           ;   Parent Loop BB1636_12 Depth=1
                                        ; =>  This Inner Loop Header: Depth=2
	s_add_i32 s21, s22, 0x800
	s_cmp_gt_u32 s21, s76
	s_cbranch_scc1 .LBB1636_185
; %bb.183:                              ;   in Loop: Header=BB1636_182 Depth=2
	v_add_co_u32_e32 v4, vcc, s22, v51
	v_addc_co_u32_e32 v5, vcc, 0, v52, vcc
	global_load_ubyte v20, v[4:5], off offset:1536
	global_load_ubyte v19, v[4:5], off offset:1280
	;; [unrolled: 1-line block ×6, first 2 shown]
	global_load_ubyte v14, v[4:5], off
	v_add_co_u32_e32 v4, vcc, 0x700, v4
	v_addc_co_u32_e32 v5, vcc, 0, v5, vcc
	s_mov_b64 s[16:17], -1
	s_movk_i32 s25, 0x800
	s_cbranch_execz .LBB1636_186
; %bb.184:                              ;   in Loop: Header=BB1636_182 Depth=2
                                        ; implicit-def: $vgpr0
                                        ; implicit-def: $vgpr6
                                        ; implicit-def: $vgpr7
                                        ; implicit-def: $vgpr8
                                        ; implicit-def: $vgpr9
                                        ; implicit-def: $vgpr10
                                        ; implicit-def: $vgpr11
                                        ; implicit-def: $vgpr12
	v_mov_b32_e32 v13, s20
	s_and_saveexec_b64 s[18:19], s[16:17]
	s_cbranch_execnz .LBB1636_197
	s_branch .LBB1636_198
.LBB1636_185:                           ;   in Loop: Header=BB1636_182 Depth=2
	s_mov_b64 s[16:17], 0
                                        ; implicit-def: $sgpr25
                                        ; implicit-def: $vgpr14
                                        ; implicit-def: $vgpr15
                                        ; implicit-def: $vgpr16
                                        ; implicit-def: $vgpr17
                                        ; implicit-def: $vgpr18
                                        ; implicit-def: $vgpr19
                                        ; implicit-def: $vgpr20
                                        ; implicit-def: $vgpr4_vgpr5
.LBB1636_186:                           ;   in Loop: Header=BB1636_182 Depth=2
	s_add_u32 s23, s58, s22
	s_addc_u32 s24, s59, 0
	v_cmp_gt_u32_e32 vcc, s20, v2
	s_and_saveexec_b64 s[18:19], vcc
	s_cbranch_execz .LBB1636_214
; %bb.187:                              ;   in Loop: Header=BB1636_182 Depth=2
	v_mov_b32_e32 v0, s24
	v_add_co_u32_e32 v4, vcc, s23, v2
	v_addc_co_u32_e32 v5, vcc, 0, v0, vcc
	global_load_ubyte v0, v[4:5], off
	s_or_b64 exec, exec, s[18:19]
	v_cmp_gt_u32_e32 vcc, s20, v24
	s_and_saveexec_b64 s[18:19], vcc
	s_cbranch_execnz .LBB1636_215
.LBB1636_188:                           ;   in Loop: Header=BB1636_182 Depth=2
	s_or_b64 exec, exec, s[18:19]
	v_cmp_gt_u32_e32 vcc, s20, v25
	s_and_saveexec_b64 s[18:19], vcc
	s_cbranch_execz .LBB1636_216
.LBB1636_189:                           ;   in Loop: Header=BB1636_182 Depth=2
	v_mov_b32_e32 v5, s24
	v_add_co_u32_e32 v4, vcc, s23, v2
	v_addc_co_u32_e32 v5, vcc, 0, v5, vcc
	global_load_ubyte v7, v[4:5], off offset:512
	s_or_b64 exec, exec, s[18:19]
	v_cmp_gt_u32_e32 vcc, s20, v26
	s_and_saveexec_b64 s[18:19], vcc
	s_cbranch_execnz .LBB1636_217
.LBB1636_190:                           ;   in Loop: Header=BB1636_182 Depth=2
	s_or_b64 exec, exec, s[18:19]
	v_cmp_gt_u32_e32 vcc, s20, v30
	s_and_saveexec_b64 s[18:19], vcc
	s_cbranch_execz .LBB1636_218
.LBB1636_191:                           ;   in Loop: Header=BB1636_182 Depth=2
	v_mov_b32_e32 v5, s24
	v_add_co_u32_e32 v4, vcc, s23, v2
	v_addc_co_u32_e32 v5, vcc, 0, v5, vcc
	global_load_ubyte v9, v[4:5], off offset:1024
	s_or_b64 exec, exec, s[18:19]
	v_cmp_gt_u32_e32 vcc, s20, v31
	s_and_saveexec_b64 s[18:19], vcc
	s_cbranch_execnz .LBB1636_219
.LBB1636_192:                           ;   in Loop: Header=BB1636_182 Depth=2
	s_or_b64 exec, exec, s[18:19]
	v_cmp_gt_u32_e32 vcc, s20, v32
	s_and_saveexec_b64 s[18:19], vcc
	s_cbranch_execz .LBB1636_194
.LBB1636_193:                           ;   in Loop: Header=BB1636_182 Depth=2
	v_mov_b32_e32 v5, s24
	v_add_co_u32_e32 v4, vcc, s23, v2
	v_addc_co_u32_e32 v5, vcc, 0, v5, vcc
	global_load_ubyte v11, v[4:5], off offset:1536
.LBB1636_194:                           ;   in Loop: Header=BB1636_182 Depth=2
	s_or_b64 exec, exec, s[18:19]
	v_cmp_gt_u32_e32 vcc, s20, v33
                                        ; implicit-def: $sgpr25
                                        ; implicit-def: $vgpr4_vgpr5
	s_and_saveexec_b64 s[18:19], vcc
	s_cbranch_execz .LBB1636_196
; %bb.195:                              ;   in Loop: Header=BB1636_182 Depth=2
	v_mov_b32_e32 v4, s24
	v_add_co_u32_e32 v5, vcc, s23, v2
	s_waitcnt vmcnt(0)
	v_addc_co_u32_e32 v12, vcc, 0, v4, vcc
	v_add_co_u32_e32 v4, vcc, 0x700, v5
	s_sub_i32 s25, s76, s22
	v_addc_co_u32_e32 v5, vcc, 0, v12, vcc
	s_or_b64 s[16:17], s[16:17], exec
                                        ; implicit-def: $vgpr12
.LBB1636_196:                           ;   in Loop: Header=BB1636_182 Depth=2
	s_or_b64 exec, exec, s[18:19]
	s_waitcnt vmcnt(0)
	v_mov_b32_e32 v14, v0
	v_mov_b32_e32 v15, v6
	;; [unrolled: 1-line block ×8, first 2 shown]
	s_and_saveexec_b64 s[18:19], s[16:17]
	s_cbranch_execz .LBB1636_198
.LBB1636_197:                           ;   in Loop: Header=BB1636_182 Depth=2
	global_load_ubyte v12, v[4:5], off
	v_mov_b32_e32 v13, s25
	s_waitcnt vmcnt(1)
	v_mov_b32_e32 v0, v14
	v_mov_b32_e32 v6, v15
	;; [unrolled: 1-line block ×7, first 2 shown]
.LBB1636_198:                           ;   in Loop: Header=BB1636_182 Depth=2
	s_or_b64 exec, exec, s[18:19]
	v_cmp_lt_u32_e32 vcc, v2, v13
	s_and_saveexec_b64 s[16:17], vcc
	s_cbranch_execz .LBB1636_206
; %bb.199:                              ;   in Loop: Header=BB1636_182 Depth=2
	v_and_b32_e32 v4, 1, v0
	v_lshrrev_b32_e32 v4, s68, v4
	v_and_b32_e32 v4, s77, v4
	v_lshlrev_b32_e32 v5, 2, v27
	v_lshl_or_b32 v4, v4, 4, v5
	ds_add_u32 v4, v63
	s_or_b64 exec, exec, s[16:17]
	v_cmp_lt_u32_e32 vcc, v24, v13
	s_and_saveexec_b64 s[16:17], vcc
	s_cbranch_execnz .LBB1636_207
.LBB1636_200:                           ;   in Loop: Header=BB1636_182 Depth=2
	s_or_b64 exec, exec, s[16:17]
	v_cmp_lt_u32_e32 vcc, v25, v13
	s_and_saveexec_b64 s[16:17], vcc
	s_cbranch_execz .LBB1636_208
.LBB1636_201:                           ;   in Loop: Header=BB1636_182 Depth=2
	v_and_b32_e32 v4, 1, v7
	v_lshrrev_b32_e32 v4, s68, v4
	v_and_b32_e32 v4, s77, v4
	v_lshlrev_b32_e32 v5, 2, v27
	v_lshl_or_b32 v4, v4, 4, v5
	ds_add_u32 v4, v63
	s_or_b64 exec, exec, s[16:17]
	v_cmp_lt_u32_e32 vcc, v26, v13
	s_and_saveexec_b64 s[16:17], vcc
	s_cbranch_execnz .LBB1636_209
.LBB1636_202:                           ;   in Loop: Header=BB1636_182 Depth=2
	s_or_b64 exec, exec, s[16:17]
	v_cmp_lt_u32_e32 vcc, v30, v13
	s_and_saveexec_b64 s[16:17], vcc
	s_cbranch_execz .LBB1636_210
.LBB1636_203:                           ;   in Loop: Header=BB1636_182 Depth=2
	v_and_b32_e32 v4, 1, v9
	v_lshrrev_b32_e32 v4, s68, v4
	v_and_b32_e32 v4, s77, v4
	v_lshlrev_b32_e32 v5, 2, v27
	v_lshl_or_b32 v4, v4, 4, v5
	ds_add_u32 v4, v63
	s_or_b64 exec, exec, s[16:17]
	v_cmp_lt_u32_e32 vcc, v31, v13
	s_and_saveexec_b64 s[16:17], vcc
	s_cbranch_execnz .LBB1636_211
.LBB1636_204:                           ;   in Loop: Header=BB1636_182 Depth=2
	s_or_b64 exec, exec, s[16:17]
	v_cmp_lt_u32_e32 vcc, v32, v13
	s_and_saveexec_b64 s[16:17], vcc
	s_cbranch_execz .LBB1636_212
.LBB1636_205:                           ;   in Loop: Header=BB1636_182 Depth=2
	v_and_b32_e32 v4, 1, v11
	v_lshrrev_b32_e32 v4, s68, v4
	v_and_b32_e32 v4, s77, v4
	v_lshlrev_b32_e32 v5, 2, v27
	v_lshl_or_b32 v4, v4, 4, v5
	ds_add_u32 v4, v63
	s_or_b64 exec, exec, s[16:17]
	v_cmp_lt_u32_e32 vcc, v33, v13
	s_and_saveexec_b64 s[16:17], vcc
	s_cbranch_execz .LBB1636_181
	s_branch .LBB1636_213
.LBB1636_206:                           ;   in Loop: Header=BB1636_182 Depth=2
	s_or_b64 exec, exec, s[16:17]
	v_cmp_lt_u32_e32 vcc, v24, v13
	s_and_saveexec_b64 s[16:17], vcc
	s_cbranch_execz .LBB1636_200
.LBB1636_207:                           ;   in Loop: Header=BB1636_182 Depth=2
	v_and_b32_e32 v4, 1, v6
	v_lshrrev_b32_e32 v4, s68, v4
	v_and_b32_e32 v4, s77, v4
	v_lshlrev_b32_e32 v5, 2, v27
	v_lshl_or_b32 v4, v4, 4, v5
	ds_add_u32 v4, v63
	s_or_b64 exec, exec, s[16:17]
	v_cmp_lt_u32_e32 vcc, v25, v13
	s_and_saveexec_b64 s[16:17], vcc
	s_cbranch_execnz .LBB1636_201
.LBB1636_208:                           ;   in Loop: Header=BB1636_182 Depth=2
	s_or_b64 exec, exec, s[16:17]
	v_cmp_lt_u32_e32 vcc, v26, v13
	s_and_saveexec_b64 s[16:17], vcc
	s_cbranch_execz .LBB1636_202
.LBB1636_209:                           ;   in Loop: Header=BB1636_182 Depth=2
	v_and_b32_e32 v4, 1, v8
	v_lshrrev_b32_e32 v4, s68, v4
	v_and_b32_e32 v4, s77, v4
	v_lshlrev_b32_e32 v5, 2, v27
	v_lshl_or_b32 v4, v4, 4, v5
	ds_add_u32 v4, v63
	s_or_b64 exec, exec, s[16:17]
	v_cmp_lt_u32_e32 vcc, v30, v13
	s_and_saveexec_b64 s[16:17], vcc
	s_cbranch_execnz .LBB1636_203
.LBB1636_210:                           ;   in Loop: Header=BB1636_182 Depth=2
	s_or_b64 exec, exec, s[16:17]
	v_cmp_lt_u32_e32 vcc, v31, v13
	s_and_saveexec_b64 s[16:17], vcc
	s_cbranch_execz .LBB1636_204
.LBB1636_211:                           ;   in Loop: Header=BB1636_182 Depth=2
	v_and_b32_e32 v4, 1, v10
	v_lshrrev_b32_e32 v4, s68, v4
	v_and_b32_e32 v4, s77, v4
	v_lshlrev_b32_e32 v5, 2, v27
	v_lshl_or_b32 v4, v4, 4, v5
	ds_add_u32 v4, v63
	s_or_b64 exec, exec, s[16:17]
	v_cmp_lt_u32_e32 vcc, v32, v13
	s_and_saveexec_b64 s[16:17], vcc
	s_cbranch_execnz .LBB1636_205
.LBB1636_212:                           ;   in Loop: Header=BB1636_182 Depth=2
	s_or_b64 exec, exec, s[16:17]
	v_cmp_lt_u32_e32 vcc, v33, v13
	s_and_saveexec_b64 s[16:17], vcc
	s_cbranch_execz .LBB1636_181
.LBB1636_213:                           ;   in Loop: Header=BB1636_182 Depth=2
	s_waitcnt vmcnt(0)
	v_and_b32_e32 v4, 1, v12
	v_lshrrev_b32_e32 v4, s68, v4
	v_and_b32_e32 v4, s77, v4
	v_lshlrev_b32_e32 v5, 2, v27
	v_lshl_or_b32 v4, v4, 4, v5
	ds_add_u32 v4, v63
	s_branch .LBB1636_181
.LBB1636_214:                           ;   in Loop: Header=BB1636_182 Depth=2
	s_or_b64 exec, exec, s[18:19]
	v_cmp_gt_u32_e32 vcc, s20, v24
	s_and_saveexec_b64 s[18:19], vcc
	s_cbranch_execz .LBB1636_188
.LBB1636_215:                           ;   in Loop: Header=BB1636_182 Depth=2
	v_mov_b32_e32 v5, s24
	v_add_co_u32_e32 v4, vcc, s23, v2
	v_addc_co_u32_e32 v5, vcc, 0, v5, vcc
	global_load_ubyte v6, v[4:5], off offset:256
	s_or_b64 exec, exec, s[18:19]
	v_cmp_gt_u32_e32 vcc, s20, v25
	s_and_saveexec_b64 s[18:19], vcc
	s_cbranch_execnz .LBB1636_189
.LBB1636_216:                           ;   in Loop: Header=BB1636_182 Depth=2
	s_or_b64 exec, exec, s[18:19]
	v_cmp_gt_u32_e32 vcc, s20, v26
	s_and_saveexec_b64 s[18:19], vcc
	s_cbranch_execz .LBB1636_190
.LBB1636_217:                           ;   in Loop: Header=BB1636_182 Depth=2
	v_mov_b32_e32 v5, s24
	v_add_co_u32_e32 v4, vcc, s23, v2
	v_addc_co_u32_e32 v5, vcc, 0, v5, vcc
	global_load_ubyte v8, v[4:5], off offset:768
	s_or_b64 exec, exec, s[18:19]
	v_cmp_gt_u32_e32 vcc, s20, v30
	s_and_saveexec_b64 s[18:19], vcc
	s_cbranch_execnz .LBB1636_191
.LBB1636_218:                           ;   in Loop: Header=BB1636_182 Depth=2
	s_or_b64 exec, exec, s[18:19]
	v_cmp_gt_u32_e32 vcc, s20, v31
	s_and_saveexec_b64 s[18:19], vcc
	s_cbranch_execz .LBB1636_192
.LBB1636_219:                           ;   in Loop: Header=BB1636_182 Depth=2
	v_mov_b32_e32 v5, s24
	v_add_co_u32_e32 v4, vcc, s23, v2
	v_addc_co_u32_e32 v5, vcc, 0, v5, vcc
	global_load_ubyte v10, v[4:5], off offset:1280
	s_or_b64 exec, exec, s[18:19]
	v_cmp_gt_u32_e32 vcc, s20, v32
	s_and_saveexec_b64 s[18:19], vcc
	s_cbranch_execz .LBB1636_194
	s_branch .LBB1636_193
.LBB1636_220:                           ;   in Loop: Header=BB1636_12 Depth=1
	v_mov_b32_e32 v0, 0
	s_waitcnt lgkmcnt(0)
	s_barrier
	s_and_saveexec_b64 s[16:17], s[4:5]
	s_cbranch_execz .LBB1636_222
; %bb.221:                              ;   in Loop: Header=BB1636_12 Depth=1
	ds_read2_b64 v[4:7], v34 offset1:1
	s_waitcnt lgkmcnt(0)
	v_add_u32_e32 v0, v5, v4
	v_add3_u32 v0, v0, v6, v7
.LBB1636_222:                           ;   in Loop: Header=BB1636_12 Depth=1
	s_or_b64 exec, exec, s[16:17]
	v_and_b32_e32 v4, 15, v64
	v_mov_b32_dpp v5, v0 row_shr:1 row_mask:0xf bank_mask:0xf
	v_cmp_eq_u32_e64 s[16:17], 0, v4
	v_cndmask_b32_e64 v5, v5, 0, s[16:17]
	v_add_u32_e32 v0, v5, v0
	v_cmp_lt_u32_e64 s[18:19], 1, v4
	v_cmp_lt_u32_e64 s[20:21], 3, v4
	v_mov_b32_dpp v5, v0 row_shr:2 row_mask:0xf bank_mask:0xf
	v_cndmask_b32_e64 v5, 0, v5, s[18:19]
	v_add_u32_e32 v0, v0, v5
	v_cmp_lt_u32_e64 s[22:23], 7, v4
	v_cmp_lt_u32_e64 s[26:27], 31, v64
	v_mov_b32_dpp v5, v0 row_shr:4 row_mask:0xf bank_mask:0xf
	v_cndmask_b32_e64 v5, 0, v5, s[20:21]
	v_add_u32_e32 v0, v0, v5
	v_and_b32_e32 v6, 16, v64
	v_cmp_eq_u32_e64 s[24:25], 0, v6
	v_mov_b32_dpp v5, v0 row_shr:8 row_mask:0xf bank_mask:0xf
	v_cndmask_b32_e64 v4, 0, v5, s[22:23]
	v_add_u32_e32 v0, v0, v4
	v_bfe_i32 v5, v64, 4, 1
	s_nop 0
	v_mov_b32_dpp v4, v0 row_bcast:15 row_mask:0xf bank_mask:0xf
	v_and_b32_e32 v4, v5, v4
	v_add_u32_e32 v0, v0, v4
	s_nop 1
	v_mov_b32_dpp v4, v0 row_bcast:31 row_mask:0xf bank_mask:0xf
	v_cndmask_b32_e64 v4, 0, v4, s[26:27]
	v_add_u32_e32 v4, v0, v4
	s_and_saveexec_b64 s[28:29], s[6:7]
	s_cbranch_execz .LBB1636_224
; %bb.223:                              ;   in Loop: Header=BB1636_12 Depth=1
	ds_write_b32 v36, v4
.LBB1636_224:                           ;   in Loop: Header=BB1636_12 Depth=1
	s_or_b64 exec, exec, s[28:29]
	v_and_b32_e32 v0, 3, v64
	s_waitcnt lgkmcnt(0)
	s_barrier
	s_and_saveexec_b64 s[28:29], s[8:9]
	s_cbranch_execz .LBB1636_226
; %bb.225:                              ;   in Loop: Header=BB1636_12 Depth=1
	ds_read_b32 v5, v37
	v_cmp_ne_u32_e32 vcc, 0, v0
	s_waitcnt lgkmcnt(0)
	v_mov_b32_dpp v6, v5 row_shr:1 row_mask:0xf bank_mask:0xf
	v_cndmask_b32_e32 v6, 0, v6, vcc
	v_add_u32_e32 v5, v6, v5
	v_cmp_lt_u32_e32 vcc, 1, v0
	s_nop 0
	v_mov_b32_dpp v6, v5 row_shr:2 row_mask:0xf bank_mask:0xf
	v_cndmask_b32_e32 v6, 0, v6, vcc
	v_add_u32_e32 v5, v5, v6
	ds_write_b32 v37, v5
.LBB1636_226:                           ;   in Loop: Header=BB1636_12 Depth=1
	s_or_b64 exec, exec, s[28:29]
	v_mov_b32_e32 v5, 0
	s_waitcnt lgkmcnt(0)
	s_barrier
	s_and_saveexec_b64 s[28:29], s[10:11]
	s_cbranch_execz .LBB1636_228
; %bb.227:                              ;   in Loop: Header=BB1636_12 Depth=1
	ds_read_b32 v5, v38
.LBB1636_228:                           ;   in Loop: Header=BB1636_12 Depth=1
	s_or_b64 exec, exec, s[28:29]
	v_add_u32_e32 v6, -1, v64
	v_and_b32_e32 v7, 64, v64
	v_cmp_lt_i32_e32 vcc, v6, v7
	v_cndmask_b32_e32 v6, v6, v64, vcc
	s_waitcnt lgkmcnt(0)
	v_add_u32_e32 v4, v5, v4
	v_lshlrev_b32_e32 v65, 2, v6
	ds_bpermute_b32 v4, v65, v4
	v_cmp_eq_u32_e64 s[28:29], 0, v64
	s_waitcnt lgkmcnt(0)
	s_barrier
	s_and_saveexec_b64 s[30:31], s[4:5]
	s_cbranch_execz .LBB1636_230
; %bb.229:                              ;   in Loop: Header=BB1636_12 Depth=1
	v_cndmask_b32_e64 v4, v4, v5, s[28:29]
	v_add_u32_e32 v4, s51, v4
	ds_write_b32 v3, v4
.LBB1636_230:                           ;   in Loop: Header=BB1636_12 Depth=1
	s_or_b64 exec, exec, s[30:31]
	s_load_dwordx2 s[30:31], s[74:75], 0x0
	s_mov_b32 s78, s71
	s_mov_b32 s72, s51
                                        ; implicit-def: $vgpr4_vgpr5
                                        ; implicit-def: $vgpr6_vgpr7
                                        ; implicit-def: $vgpr8_vgpr9
                                        ; implicit-def: $vgpr10_vgpr11
                                        ; implicit-def: $vgpr12_vgpr13
                                        ; implicit-def: $vgpr14_vgpr15
                                        ; implicit-def: $vgpr16_vgpr17
                                        ; implicit-def: $vgpr18_vgpr19
                                        ; implicit-def: $vgpr66
                                        ; implicit-def: $vgpr67
                                        ; implicit-def: $vgpr68
                                        ; implicit-def: $vgpr69
                                        ; implicit-def: $vgpr70
                                        ; implicit-def: $vgpr71
                                        ; implicit-def: $vgpr73
                                        ; implicit-def: $vgpr75
	s_waitcnt lgkmcnt(0)
	s_cmp_lt_u32 s50, s30
	s_cselect_b32 s34, 12, 18
	s_cmp_lt_u32 s33, s31
	s_cselect_b32 s30, 14, 20
	s_add_u32 s30, s74, s30
	s_addc_u32 s31, s75, 0
	s_add_u32 s34, s74, s34
	global_load_ushort v20, v1, s[30:31]
	s_addc_u32 s35, s75, 0
	global_load_ushort v21, v1, s[34:35]
	v_cmp_eq_u32_e64 s[30:31], 0, v0
	v_cmp_lt_u32_e64 s[34:35], 1, v0
	v_and_b32_e32 v0, 63, v64
	v_add_co_u32_e32 v74, vcc, v55, v0
	v_lshlrev_b32_e32 v22, 3, v0
	v_addc_co_u32_e32 v76, vcc, 0, v56, vcc
	v_add_co_u32_e32 v77, vcc, v53, v22
	v_or_b32_e32 v72, v0, v39
	v_addc_co_u32_e32 v78, vcc, 0, v54, vcc
	v_add_co_u32_e32 v86, vcc, 0x1c0, v74
	v_or_b32_e32 v79, 64, v72
	v_or_b32_e32 v80, 0x80, v72
	v_or_b32_e32 v81, 0xc0, v72
	v_or_b32_e32 v82, 0x100, v72
	v_or_b32_e32 v83, 0x140, v72
	v_or_b32_e32 v84, 0x180, v72
	v_or_b32_e32 v85, 0x1c0, v72
	v_addc_co_u32_e32 v87, vcc, 0, v76, vcc
	s_waitcnt vmcnt(1)
	v_mad_u32_u24 v0, v40, v20, v41
	s_waitcnt vmcnt(0)
	v_mad_u64_u32 v[20:21], s[36:37], v0, v21, v[2:3]
	v_lshrrev_b32_e32 v88, 6, v20
	s_branch .LBB1636_232
.LBB1636_231:                           ;   in Loop: Header=BB1636_232 Depth=2
	s_or_b64 exec, exec, s[36:37]
	s_addk_i32 s78, 0xf800
	s_cmp_lt_u32 s79, s76
	s_mov_b32 s72, s79
	s_cbranch_scc0 .LBB1636_344
.LBB1636_232:                           ;   Parent Loop BB1636_12 Depth=1
                                        ; =>  This Inner Loop Header: Depth=2
	s_add_i32 s79, s72, 0x800
	s_cmp_gt_u32 s79, s76
	s_cbranch_scc1 .LBB1636_235
; %bb.233:                              ;   in Loop: Header=BB1636_232 Depth=2
	v_add_co_u32_e32 v20, vcc, s72, v74
	v_addc_co_u32_e32 v21, vcc, 0, v76, vcc
	global_load_ubyte v89, v[20:21], off
	global_load_ubyte v90, v[20:21], off offset:64
	global_load_ubyte v91, v[20:21], off offset:128
	;; [unrolled: 1-line block ×6, first 2 shown]
	s_mov_b64 s[36:37], -1
	s_movk_i32 s40, 0x800
	s_cbranch_execz .LBB1636_236
; %bb.234:                              ;   in Loop: Header=BB1636_232 Depth=2
                                        ; implicit-def: $sgpr38
	v_mov_b32_e32 v96, s38
	v_mov_b32_e32 v0, s78
	s_and_saveexec_b64 s[38:39], s[36:37]
	s_cbranch_execnz .LBB1636_251
	s_branch .LBB1636_252
.LBB1636_235:                           ;   in Loop: Header=BB1636_232 Depth=2
	s_mov_b64 s[36:37], 0
                                        ; implicit-def: $sgpr40
                                        ; implicit-def: $vgpr89
                                        ; implicit-def: $vgpr90
                                        ; implicit-def: $vgpr91
                                        ; implicit-def: $vgpr92
                                        ; implicit-def: $vgpr93
                                        ; implicit-def: $vgpr94
                                        ; implicit-def: $vgpr95
.LBB1636_236:                           ;   in Loop: Header=BB1636_232 Depth=2
	v_add_co_u32_e32 v20, vcc, s72, v74
	v_addc_co_u32_e32 v21, vcc, 0, v76, vcc
	v_cmp_gt_u32_e32 vcc, s78, v72
	s_waitcnt vmcnt(5)
	v_mov_b32_e32 v90, 1
	v_mov_b32_e32 v89, 1
	s_and_saveexec_b64 s[36:37], vcc
	s_cbranch_execz .LBB1636_238
; %bb.237:                              ;   in Loop: Header=BB1636_232 Depth=2
	global_load_ubyte v89, v[20:21], off
.LBB1636_238:                           ;   in Loop: Header=BB1636_232 Depth=2
	s_or_b64 exec, exec, s[36:37]
	v_cmp_gt_u32_e32 vcc, s78, v79
	s_and_saveexec_b64 s[36:37], vcc
	s_cbranch_execz .LBB1636_240
; %bb.239:                              ;   in Loop: Header=BB1636_232 Depth=2
	global_load_ubyte v90, v[20:21], off offset:64
.LBB1636_240:                           ;   in Loop: Header=BB1636_232 Depth=2
	s_or_b64 exec, exec, s[36:37]
	v_cmp_gt_u32_e32 vcc, s78, v80
	s_waitcnt vmcnt(3)
	v_mov_b32_e32 v92, 1
	v_mov_b32_e32 v91, 1
	s_and_saveexec_b64 s[36:37], vcc
	s_cbranch_execz .LBB1636_242
; %bb.241:                              ;   in Loop: Header=BB1636_232 Depth=2
	global_load_ubyte v91, v[20:21], off offset:128
.LBB1636_242:                           ;   in Loop: Header=BB1636_232 Depth=2
	s_or_b64 exec, exec, s[36:37]
	v_cmp_gt_u32_e32 vcc, s78, v81
	s_and_saveexec_b64 s[36:37], vcc
	s_cbranch_execz .LBB1636_244
; %bb.243:                              ;   in Loop: Header=BB1636_232 Depth=2
	global_load_ubyte v92, v[20:21], off offset:192
.LBB1636_244:                           ;   in Loop: Header=BB1636_232 Depth=2
	s_or_b64 exec, exec, s[36:37]
	v_cmp_gt_u32_e32 vcc, s78, v82
	s_waitcnt vmcnt(1)
	v_mov_b32_e32 v94, 1
	v_mov_b32_e32 v93, 1
	s_and_saveexec_b64 s[36:37], vcc
	s_cbranch_execz .LBB1636_246
; %bb.245:                              ;   in Loop: Header=BB1636_232 Depth=2
	global_load_ubyte v93, v[20:21], off offset:256
.LBB1636_246:                           ;   in Loop: Header=BB1636_232 Depth=2
	s_or_b64 exec, exec, s[36:37]
	v_cmp_gt_u32_e32 vcc, s78, v83
	s_and_saveexec_b64 s[36:37], vcc
	s_cbranch_execz .LBB1636_248
; %bb.247:                              ;   in Loop: Header=BB1636_232 Depth=2
	global_load_ubyte v94, v[20:21], off offset:320
.LBB1636_248:                           ;   in Loop: Header=BB1636_232 Depth=2
	s_or_b64 exec, exec, s[36:37]
	v_cmp_gt_u32_e32 vcc, s78, v84
	s_waitcnt vmcnt(0)
	v_mov_b32_e32 v95, 1
	s_and_saveexec_b64 s[36:37], vcc
	s_cbranch_execz .LBB1636_250
; %bb.249:                              ;   in Loop: Header=BB1636_232 Depth=2
	global_load_ubyte v95, v[20:21], off offset:384
.LBB1636_250:                           ;   in Loop: Header=BB1636_232 Depth=2
	s_or_b64 exec, exec, s[36:37]
	s_sub_i32 s40, s76, s72
	v_cmp_gt_u32_e64 s[36:37], s78, v85
	s_mov_b32 s38, 1
	v_mov_b32_e32 v96, s38
	v_mov_b32_e32 v0, s78
	s_and_saveexec_b64 s[38:39], s[36:37]
	s_cbranch_execz .LBB1636_252
.LBB1636_251:                           ;   in Loop: Header=BB1636_232 Depth=2
	v_mov_b32_e32 v0, s73
	v_add_co_u32_e32 v20, vcc, s72, v86
	v_addc_co_u32_e32 v21, vcc, v87, v0, vcc
	global_load_ubyte v96, v[20:21], off
	v_mov_b32_e32 v0, s40
.LBB1636_252:                           ;   in Loop: Header=BB1636_232 Depth=2
	s_or_b64 exec, exec, s[38:39]
	v_add_u32_e32 v20, 0x410, v42
	ds_write2_b32 v20, v1, v1 offset1:1
	ds_write2_b32 v44, v1, v1 offset0:2 offset1:3
	ds_write_b32 v44, v1 offset:16
	s_waitcnt vmcnt(6)
	v_lshrrev_b32_sdwa v20, s68, v89 dst_sel:DWORD dst_unused:UNUSED_PAD src0_sel:DWORD src1_sel:BYTE_0
	v_and_b32_e32 v20, s77, v20
	v_mad_u32_u24 v21, v20, 5, v88
	v_cmp_ne_u32_e32 vcc, 0, v20
	v_add_co_u32_e64 v20, s[36:37], -1, v20
	v_lshl_add_u32 v98, v21, 2, v43
	v_addc_co_u32_e64 v21, s[36:37], 0, -1, s[36:37]
	v_xor_b32_e32 v20, vcc_lo, v20
	v_xor_b32_e32 v21, vcc_hi, v21
	v_and_b32_e32 v20, exec_lo, v20
	v_and_b32_e32 v21, exec_hi, v21
	v_mbcnt_lo_u32_b32 v22, v20, 0
	v_mbcnt_hi_u32_b32 v97, v21, v22
	v_cmp_eq_u32_e32 vcc, 0, v97
	v_cmp_ne_u64_e64 s[36:37], 0, v[20:21]
	s_and_b64 s[38:39], s[36:37], vcc
	s_waitcnt lgkmcnt(0)
	s_barrier
	s_waitcnt lgkmcnt(0)
	; wave barrier
	s_and_saveexec_b64 s[36:37], s[38:39]
	s_cbranch_execz .LBB1636_254
; %bb.253:                              ;   in Loop: Header=BB1636_232 Depth=2
	v_bcnt_u32_b32 v20, v20, 0
	v_bcnt_u32_b32 v20, v21, v20
	ds_write_b32 v98, v20
.LBB1636_254:                           ;   in Loop: Header=BB1636_232 Depth=2
	s_or_b64 exec, exec, s[36:37]
	s_waitcnt vmcnt(5)
	v_lshrrev_b32_sdwa v20, s68, v90 dst_sel:DWORD dst_unused:UNUSED_PAD src0_sel:DWORD src1_sel:BYTE_0
	v_and_b32_e32 v20, s77, v20
	v_mul_u32_u24_e32 v21, 5, v20
	v_add_lshl_u32 v21, v21, v88, 2
	v_cmp_ne_u32_e32 vcc, 0, v20
	v_add_co_u32_e64 v20, s[36:37], -1, v20
	; wave barrier
	v_add_u32_e32 v101, 0x410, v21
	ds_read_b32 v99, v21 offset:1040
	v_addc_co_u32_e64 v21, s[36:37], 0, -1, s[36:37]
	v_xor_b32_e32 v20, vcc_lo, v20
	v_xor_b32_e32 v21, vcc_hi, v21
	v_and_b32_e32 v20, exec_lo, v20
	v_and_b32_e32 v21, exec_hi, v21
	v_mbcnt_lo_u32_b32 v22, v20, 0
	v_mbcnt_hi_u32_b32 v100, v21, v22
	v_cmp_eq_u32_e32 vcc, 0, v100
	v_cmp_ne_u64_e64 s[36:37], 0, v[20:21]
	s_and_b64 s[38:39], s[36:37], vcc
	; wave barrier
	s_and_saveexec_b64 s[36:37], s[38:39]
	s_cbranch_execz .LBB1636_256
; %bb.255:                              ;   in Loop: Header=BB1636_232 Depth=2
	v_bcnt_u32_b32 v20, v20, 0
	v_bcnt_u32_b32 v20, v21, v20
	s_waitcnt lgkmcnt(0)
	v_add_u32_e32 v20, v99, v20
	ds_write_b32 v101, v20
.LBB1636_256:                           ;   in Loop: Header=BB1636_232 Depth=2
	s_or_b64 exec, exec, s[36:37]
	s_waitcnt vmcnt(4)
	v_lshrrev_b32_sdwa v20, s68, v91 dst_sel:DWORD dst_unused:UNUSED_PAD src0_sel:DWORD src1_sel:BYTE_0
	v_and_b32_e32 v20, s77, v20
	v_mul_u32_u24_e32 v21, 5, v20
	v_add_lshl_u32 v21, v21, v88, 2
	v_cmp_ne_u32_e32 vcc, 0, v20
	v_add_co_u32_e64 v20, s[36:37], -1, v20
	; wave barrier
	v_add_u32_e32 v102, 0x410, v21
	ds_read_b32 v104, v21 offset:1040
	v_addc_co_u32_e64 v21, s[36:37], 0, -1, s[36:37]
	v_xor_b32_e32 v20, vcc_lo, v20
	v_xor_b32_e32 v21, vcc_hi, v21
	v_and_b32_e32 v20, exec_lo, v20
	v_and_b32_e32 v21, exec_hi, v21
	v_mbcnt_lo_u32_b32 v22, v20, 0
	v_mbcnt_hi_u32_b32 v105, v21, v22
	v_cmp_eq_u32_e32 vcc, 0, v105
	v_cmp_ne_u64_e64 s[36:37], 0, v[20:21]
	s_and_b64 s[38:39], s[36:37], vcc
	; wave barrier
	s_and_saveexec_b64 s[36:37], s[38:39]
	s_cbranch_execz .LBB1636_258
; %bb.257:                              ;   in Loop: Header=BB1636_232 Depth=2
	v_bcnt_u32_b32 v20, v20, 0
	v_bcnt_u32_b32 v20, v21, v20
	s_waitcnt lgkmcnt(0)
	v_add_u32_e32 v20, v104, v20
	ds_write_b32 v102, v20
.LBB1636_258:                           ;   in Loop: Header=BB1636_232 Depth=2
	;; [unrolled: 31-line block ×6, first 2 shown]
	s_or_b64 exec, exec, s[36:37]
	v_lshrrev_b32_sdwa v20, s68, v96 dst_sel:DWORD dst_unused:UNUSED_PAD src0_sel:DWORD src1_sel:BYTE_0
	v_and_b32_e32 v20, s77, v20
	v_mul_u32_u24_e32 v21, 5, v20
	v_add_lshl_u32 v21, v21, v88, 2
	v_cmp_ne_u32_e32 vcc, 0, v20
	v_add_co_u32_e64 v20, s[36:37], -1, v20
	; wave barrier
	v_add_u32_e32 v119, 0x410, v21
	ds_read_b32 v117, v21 offset:1040
	v_addc_co_u32_e64 v21, s[36:37], 0, -1, s[36:37]
	v_xor_b32_e32 v20, vcc_lo, v20
	v_xor_b32_e32 v21, vcc_hi, v21
	v_and_b32_e32 v20, exec_lo, v20
	v_and_b32_e32 v21, exec_hi, v21
	v_mbcnt_lo_u32_b32 v22, v20, 0
	v_mbcnt_hi_u32_b32 v118, v21, v22
	v_cmp_eq_u32_e32 vcc, 0, v118
	v_cmp_ne_u64_e64 s[36:37], 0, v[20:21]
	s_and_b64 s[38:39], s[36:37], vcc
	; wave barrier
	s_and_saveexec_b64 s[36:37], s[38:39]
	s_cbranch_execz .LBB1636_268
; %bb.267:                              ;   in Loop: Header=BB1636_232 Depth=2
	v_bcnt_u32_b32 v20, v20, 0
	v_bcnt_u32_b32 v20, v21, v20
	s_waitcnt lgkmcnt(0)
	v_add_u32_e32 v20, v117, v20
	ds_write_b32 v119, v20
.LBB1636_268:                           ;   in Loop: Header=BB1636_232 Depth=2
	s_or_b64 exec, exec, s[36:37]
	; wave barrier
	s_waitcnt lgkmcnt(0)
	s_barrier
	ds_read_b32 v120, v42 offset:1040
	ds_read2_b32 v[22:23], v44 offset0:1 offset1:2
	ds_read2_b32 v[20:21], v44 offset0:3 offset1:4
	s_waitcnt lgkmcnt(1)
	v_add3_u32 v121, v22, v120, v23
	s_waitcnt lgkmcnt(0)
	v_add3_u32 v21, v121, v20, v21
	s_nop 1
	v_mov_b32_dpp v121, v21 row_shr:1 row_mask:0xf bank_mask:0xf
	v_cndmask_b32_e64 v121, v121, 0, s[16:17]
	v_add_u32_e32 v21, v121, v21
	s_nop 1
	v_mov_b32_dpp v121, v21 row_shr:2 row_mask:0xf bank_mask:0xf
	v_cndmask_b32_e64 v121, 0, v121, s[18:19]
	v_add_u32_e32 v21, v21, v121
	;; [unrolled: 4-line block ×4, first 2 shown]
	s_nop 1
	v_mov_b32_dpp v121, v21 row_bcast:15 row_mask:0xf bank_mask:0xf
	v_cndmask_b32_e64 v121, v121, 0, s[24:25]
	v_add_u32_e32 v21, v21, v121
	s_nop 1
	v_mov_b32_dpp v121, v21 row_bcast:31 row_mask:0xf bank_mask:0xf
	v_cndmask_b32_e64 v121, 0, v121, s[26:27]
	v_add_u32_e32 v21, v21, v121
	s_and_saveexec_b64 s[36:37], s[6:7]
	s_cbranch_execz .LBB1636_270
; %bb.269:                              ;   in Loop: Header=BB1636_232 Depth=2
	ds_write_b32 v35, v21 offset:1024
.LBB1636_270:                           ;   in Loop: Header=BB1636_232 Depth=2
	s_or_b64 exec, exec, s[36:37]
	s_waitcnt lgkmcnt(0)
	s_barrier
	s_and_saveexec_b64 s[36:37], s[8:9]
	s_cbranch_execz .LBB1636_272
; %bb.271:                              ;   in Loop: Header=BB1636_232 Depth=2
	v_add_u32_e32 v121, v42, v45
	ds_read_b32 v122, v121 offset:1024
	s_waitcnt lgkmcnt(0)
	s_nop 0
	v_mov_b32_dpp v123, v122 row_shr:1 row_mask:0xf bank_mask:0xf
	v_cndmask_b32_e64 v123, v123, 0, s[30:31]
	v_add_u32_e32 v122, v123, v122
	s_nop 1
	v_mov_b32_dpp v123, v122 row_shr:2 row_mask:0xf bank_mask:0xf
	v_cndmask_b32_e64 v123, 0, v123, s[34:35]
	v_add_u32_e32 v122, v122, v123
	ds_write_b32 v121, v122 offset:1024
.LBB1636_272:                           ;   in Loop: Header=BB1636_232 Depth=2
	s_or_b64 exec, exec, s[36:37]
	v_mov_b32_e32 v121, 0
	s_waitcnt lgkmcnt(0)
	s_barrier
	s_and_saveexec_b64 s[36:37], s[10:11]
	s_cbranch_execz .LBB1636_274
; %bb.273:                              ;   in Loop: Header=BB1636_232 Depth=2
	ds_read_b32 v121, v35 offset:1020
.LBB1636_274:                           ;   in Loop: Header=BB1636_232 Depth=2
	s_or_b64 exec, exec, s[36:37]
	s_waitcnt lgkmcnt(0)
	v_add_u32_e32 v21, v121, v21
	ds_bpermute_b32 v21, v65, v21
	s_waitcnt lgkmcnt(0)
	v_cndmask_b32_e64 v21, v21, v121, s[28:29]
	v_cndmask_b32_e64 v21, v21, 0, s[12:13]
	v_add_u32_e32 v120, v21, v120
	ds_write_b32 v42, v21 offset:1040
	v_add_u32_e32 v21, v120, v22
	v_add_u32_e32 v22, v21, v23
	;; [unrolled: 1-line block ×3, first 2 shown]
	ds_write2_b32 v44, v120, v21 offset0:1 offset1:2
	ds_write2_b32 v44, v22, v20 offset0:3 offset1:4
	s_waitcnt lgkmcnt(0)
	s_barrier
	ds_read_b32 v20, v101
	ds_read_b32 v21, v102
	;; [unrolled: 1-line block ×8, first 2 shown]
	ds_read_b32 v101, v42 offset:1040
	v_mov_b32_e32 v22, 0x800
	s_and_saveexec_b64 s[36:37], s[14:15]
	s_cbranch_execz .LBB1636_276
; %bb.275:                              ;   in Loop: Header=BB1636_232 Depth=2
	ds_read_b32 v22, v42 offset:1060
.LBB1636_276:                           ;   in Loop: Header=BB1636_232 Depth=2
	s_or_b64 exec, exec, s[36:37]
	s_waitcnt lgkmcnt(0)
	s_barrier
	s_and_saveexec_b64 s[36:37], s[4:5]
	s_cbranch_execz .LBB1636_278
; %bb.277:                              ;   in Loop: Header=BB1636_232 Depth=2
	ds_read_b32 v102, v3
	s_waitcnt lgkmcnt(0)
	v_sub_u32_e32 v101, v102, v101
	ds_write_b32 v3, v101
.LBB1636_278:                           ;   in Loop: Header=BB1636_232 Depth=2
	s_or_b64 exec, exec, s[36:37]
	v_add_u32_e32 v103, v98, v97
	v_add3_u32 v102, v100, v99, v20
	v_add3_u32 v101, v105, v104, v21
	;; [unrolled: 1-line block ×7, first 2 shown]
	v_cmp_lt_u32_e64 s[48:49], v2, v0
	ds_write_b8 v103, v89 offset:1024
	ds_write_b8 v102, v90 offset:1024
	;; [unrolled: 1-line block ×8, first 2 shown]
	s_waitcnt lgkmcnt(0)
	s_barrier
	s_and_saveexec_b64 s[36:37], s[48:49]
	s_cbranch_execz .LBB1636_286
; %bb.279:                              ;   in Loop: Header=BB1636_232 Depth=2
	ds_read_u8 v20, v2 offset:1024
	s_waitcnt lgkmcnt(0)
	v_and_b32_e32 v21, 1, v20
	v_lshrrev_b32_e32 v21, s68, v21
	v_and_b32_e32 v21, s77, v21
	v_lshlrev_b32_e32 v21, 2, v21
	ds_read_b32 v21, v21
	s_waitcnt lgkmcnt(0)
	v_add_u32_e32 v21, v21, v2
	global_store_byte v21, v20, s[60:61]
	s_or_b64 exec, exec, s[36:37]
	v_cmp_lt_u32_e64 s[46:47], v24, v0
	s_and_saveexec_b64 s[36:37], s[46:47]
	s_cbranch_execnz .LBB1636_287
.LBB1636_280:                           ;   in Loop: Header=BB1636_232 Depth=2
	s_or_b64 exec, exec, s[36:37]
	v_cmp_lt_u32_e64 s[44:45], v25, v0
	s_and_saveexec_b64 s[36:37], s[44:45]
	s_cbranch_execz .LBB1636_288
.LBB1636_281:                           ;   in Loop: Header=BB1636_232 Depth=2
	ds_read_u8 v20, v30 offset:512
	s_waitcnt lgkmcnt(0)
	v_and_b32_e32 v21, 1, v20
	v_lshrrev_b32_e32 v21, s68, v21
	v_and_b32_e32 v21, s77, v21
	v_lshlrev_b32_e32 v21, 2, v21
	ds_read_b32 v21, v21
	s_waitcnt lgkmcnt(0)
	v_add_u32_e32 v21, v21, v25
	global_store_byte v21, v20, s[60:61]
	s_or_b64 exec, exec, s[36:37]
	v_cmp_lt_u32_e64 s[42:43], v26, v0
	s_and_saveexec_b64 s[36:37], s[42:43]
	s_cbranch_execnz .LBB1636_289
.LBB1636_282:                           ;   in Loop: Header=BB1636_232 Depth=2
	s_or_b64 exec, exec, s[36:37]
	v_cmp_lt_u32_e64 s[40:41], v30, v0
	s_and_saveexec_b64 s[36:37], s[40:41]
	s_cbranch_execz .LBB1636_290
.LBB1636_283:                           ;   in Loop: Header=BB1636_232 Depth=2
	ds_read_u8 v20, v30 offset:1024
	s_waitcnt lgkmcnt(0)
	v_and_b32_e32 v21, 1, v20
	v_lshrrev_b32_e32 v21, s68, v21
	v_and_b32_e32 v21, s77, v21
	v_lshlrev_b32_e32 v21, 2, v21
	ds_read_b32 v21, v21
	s_waitcnt lgkmcnt(0)
	v_add_u32_e32 v21, v21, v30
	global_store_byte v21, v20, s[60:61]
	s_or_b64 exec, exec, s[36:37]
	v_cmp_lt_u32_e64 s[38:39], v31, v0
	s_and_saveexec_b64 s[36:37], s[38:39]
	s_cbranch_execnz .LBB1636_291
.LBB1636_284:                           ;   in Loop: Header=BB1636_232 Depth=2
	s_or_b64 exec, exec, s[36:37]
	v_cmp_lt_u32_e64 s[36:37], v32, v0
	s_and_saveexec_b64 s[52:53], s[36:37]
	s_cbranch_execz .LBB1636_292
.LBB1636_285:                           ;   in Loop: Header=BB1636_232 Depth=2
	ds_read_u8 v20, v30 offset:1536
	s_waitcnt lgkmcnt(0)
	v_and_b32_e32 v21, 1, v20
	v_lshrrev_b32_e32 v21, s68, v21
	v_and_b32_e32 v21, s77, v21
	v_lshlrev_b32_e32 v21, 2, v21
	ds_read_b32 v21, v21
	s_waitcnt lgkmcnt(0)
	v_add_u32_e32 v21, v21, v32
	global_store_byte v21, v20, s[60:61]
	s_or_b64 exec, exec, s[52:53]
	v_cmp_lt_u32_e32 vcc, v33, v0
	s_and_saveexec_b64 s[52:53], vcc
	s_cbranch_execnz .LBB1636_293
	s_branch .LBB1636_294
.LBB1636_286:                           ;   in Loop: Header=BB1636_232 Depth=2
	s_or_b64 exec, exec, s[36:37]
	v_cmp_lt_u32_e64 s[46:47], v24, v0
	s_and_saveexec_b64 s[36:37], s[46:47]
	s_cbranch_execz .LBB1636_280
.LBB1636_287:                           ;   in Loop: Header=BB1636_232 Depth=2
	ds_read_u8 v20, v30 offset:256
	s_waitcnt lgkmcnt(0)
	v_and_b32_e32 v21, 1, v20
	v_lshrrev_b32_e32 v21, s68, v21
	v_and_b32_e32 v21, s77, v21
	v_lshlrev_b32_e32 v21, 2, v21
	ds_read_b32 v21, v21
	s_waitcnt lgkmcnt(0)
	v_add_u32_e32 v21, v21, v24
	global_store_byte v21, v20, s[60:61]
	s_or_b64 exec, exec, s[36:37]
	v_cmp_lt_u32_e64 s[44:45], v25, v0
	s_and_saveexec_b64 s[36:37], s[44:45]
	s_cbranch_execnz .LBB1636_281
.LBB1636_288:                           ;   in Loop: Header=BB1636_232 Depth=2
	s_or_b64 exec, exec, s[36:37]
	v_cmp_lt_u32_e64 s[42:43], v26, v0
	s_and_saveexec_b64 s[36:37], s[42:43]
	s_cbranch_execz .LBB1636_282
.LBB1636_289:                           ;   in Loop: Header=BB1636_232 Depth=2
	ds_read_u8 v20, v30 offset:768
	s_waitcnt lgkmcnt(0)
	v_and_b32_e32 v21, 1, v20
	v_lshrrev_b32_e32 v21, s68, v21
	v_and_b32_e32 v21, s77, v21
	v_lshlrev_b32_e32 v21, 2, v21
	ds_read_b32 v21, v21
	s_waitcnt lgkmcnt(0)
	v_add_u32_e32 v21, v21, v26
	global_store_byte v21, v20, s[60:61]
	s_or_b64 exec, exec, s[36:37]
	v_cmp_lt_u32_e64 s[40:41], v30, v0
	s_and_saveexec_b64 s[36:37], s[40:41]
	s_cbranch_execnz .LBB1636_283
.LBB1636_290:                           ;   in Loop: Header=BB1636_232 Depth=2
	s_or_b64 exec, exec, s[36:37]
	v_cmp_lt_u32_e64 s[38:39], v31, v0
	s_and_saveexec_b64 s[36:37], s[38:39]
	s_cbranch_execz .LBB1636_284
.LBB1636_291:                           ;   in Loop: Header=BB1636_232 Depth=2
	ds_read_u8 v20, v30 offset:1280
	s_waitcnt lgkmcnt(0)
	v_and_b32_e32 v21, 1, v20
	v_lshrrev_b32_e32 v21, s68, v21
	v_and_b32_e32 v21, s77, v21
	v_lshlrev_b32_e32 v21, 2, v21
	ds_read_b32 v21, v21
	s_waitcnt lgkmcnt(0)
	v_add_u32_e32 v21, v21, v31
	global_store_byte v21, v20, s[60:61]
	s_or_b64 exec, exec, s[36:37]
	v_cmp_lt_u32_e64 s[36:37], v32, v0
	s_and_saveexec_b64 s[52:53], s[36:37]
	s_cbranch_execnz .LBB1636_285
.LBB1636_292:                           ;   in Loop: Header=BB1636_232 Depth=2
	s_or_b64 exec, exec, s[52:53]
	v_cmp_lt_u32_e32 vcc, v33, v0
	s_and_saveexec_b64 s[52:53], vcc
	s_cbranch_execz .LBB1636_294
.LBB1636_293:                           ;   in Loop: Header=BB1636_232 Depth=2
	ds_read_u8 v20, v30 offset:1792
	s_waitcnt lgkmcnt(0)
	v_and_b32_e32 v21, 1, v20
	v_lshrrev_b32_e32 v21, s68, v21
	v_and_b32_e32 v21, s77, v21
	v_lshlrev_b32_e32 v21, 2, v21
	ds_read_b32 v21, v21
	s_waitcnt lgkmcnt(0)
	v_add_u32_e32 v21, v21, v33
	global_store_byte v21, v20, s[60:61]
.LBB1636_294:                           ;   in Loop: Header=BB1636_232 Depth=2
	s_or_b64 exec, exec, s[52:53]
	s_lshl_b64 s[52:53], s[72:73], 3
	v_mov_b32_e32 v21, s53
	v_add_co_u32_e64 v20, s[52:53], s52, v77
	v_addc_co_u32_e64 v21, s[52:53], v78, v21, s[52:53]
	v_cmp_lt_u32_e64 s[52:53], v72, v0
	s_and_saveexec_b64 s[62:63], s[52:53]
	s_xor_b64 s[52:53], exec, s[62:63]
	s_cbranch_execz .LBB1636_310
; %bb.295:                              ;   in Loop: Header=BB1636_232 Depth=2
	global_load_dwordx2 v[18:19], v[20:21], off
	s_or_b64 exec, exec, s[52:53]
	v_cmp_lt_u32_e64 s[52:53], v79, v0
	s_and_saveexec_b64 s[62:63], s[52:53]
	s_cbranch_execnz .LBB1636_311
.LBB1636_296:                           ;   in Loop: Header=BB1636_232 Depth=2
	s_or_b64 exec, exec, s[62:63]
	v_cmp_lt_u32_e64 s[52:53], v80, v0
	s_and_saveexec_b64 s[62:63], s[52:53]
	s_cbranch_execz .LBB1636_312
.LBB1636_297:                           ;   in Loop: Header=BB1636_232 Depth=2
	global_load_dwordx2 v[14:15], v[20:21], off offset:1024
	s_or_b64 exec, exec, s[62:63]
	v_cmp_lt_u32_e64 s[52:53], v81, v0
	s_and_saveexec_b64 s[62:63], s[52:53]
	s_cbranch_execnz .LBB1636_313
.LBB1636_298:                           ;   in Loop: Header=BB1636_232 Depth=2
	s_or_b64 exec, exec, s[62:63]
	v_cmp_lt_u32_e64 s[52:53], v82, v0
	s_and_saveexec_b64 s[62:63], s[52:53]
	s_cbranch_execz .LBB1636_314
.LBB1636_299:                           ;   in Loop: Header=BB1636_232 Depth=2
	global_load_dwordx2 v[10:11], v[20:21], off offset:2048
	s_or_b64 exec, exec, s[62:63]
	v_cmp_lt_u32_e64 s[52:53], v83, v0
	s_and_saveexec_b64 s[62:63], s[52:53]
	s_cbranch_execnz .LBB1636_315
.LBB1636_300:                           ;   in Loop: Header=BB1636_232 Depth=2
	s_or_b64 exec, exec, s[62:63]
	v_cmp_lt_u32_e64 s[52:53], v84, v0
	s_and_saveexec_b64 s[62:63], s[52:53]
	s_cbranch_execz .LBB1636_316
.LBB1636_301:                           ;   in Loop: Header=BB1636_232 Depth=2
	global_load_dwordx2 v[6:7], v[20:21], off offset:3072
	s_or_b64 exec, exec, s[62:63]
	v_cmp_lt_u32_e64 s[52:53], v85, v0
	s_and_saveexec_b64 s[62:63], s[52:53]
	s_cbranch_execnz .LBB1636_317
.LBB1636_302:                           ;   in Loop: Header=BB1636_232 Depth=2
	s_or_b64 exec, exec, s[62:63]
	s_and_saveexec_b64 s[52:53], s[48:49]
	s_cbranch_execz .LBB1636_318
.LBB1636_303:                           ;   in Loop: Header=BB1636_232 Depth=2
	ds_read_u8 v0, v2 offset:1024
	s_waitcnt lgkmcnt(0)
	v_lshrrev_b32_e32 v0, s68, v0
	v_and_b32_e32 v75, s77, v0
	s_or_b64 exec, exec, s[52:53]
	s_and_saveexec_b64 s[52:53], s[46:47]
	s_cbranch_execnz .LBB1636_319
.LBB1636_304:                           ;   in Loop: Header=BB1636_232 Depth=2
	s_or_b64 exec, exec, s[52:53]
	s_and_saveexec_b64 s[52:53], s[44:45]
	s_cbranch_execz .LBB1636_320
.LBB1636_305:                           ;   in Loop: Header=BB1636_232 Depth=2
	ds_read_u8 v0, v30 offset:512
	s_waitcnt lgkmcnt(0)
	v_lshrrev_b32_e32 v0, s68, v0
	v_and_b32_e32 v71, s77, v0
	s_or_b64 exec, exec, s[52:53]
	s_and_saveexec_b64 s[52:53], s[42:43]
	s_cbranch_execnz .LBB1636_321
.LBB1636_306:                           ;   in Loop: Header=BB1636_232 Depth=2
	s_or_b64 exec, exec, s[52:53]
	s_and_saveexec_b64 s[52:53], s[40:41]
	s_cbranch_execz .LBB1636_322
.LBB1636_307:                           ;   in Loop: Header=BB1636_232 Depth=2
	ds_read_u8 v0, v30 offset:1024
	s_waitcnt lgkmcnt(0)
	v_lshrrev_b32_e32 v0, s68, v0
	v_and_b32_e32 v69, s77, v0
	s_or_b64 exec, exec, s[52:53]
	s_and_saveexec_b64 s[52:53], s[38:39]
	s_cbranch_execnz .LBB1636_323
.LBB1636_308:                           ;   in Loop: Header=BB1636_232 Depth=2
	s_or_b64 exec, exec, s[52:53]
	s_and_saveexec_b64 s[52:53], s[36:37]
	s_cbranch_execz .LBB1636_324
.LBB1636_309:                           ;   in Loop: Header=BB1636_232 Depth=2
	ds_read_u8 v0, v30 offset:1536
	s_waitcnt lgkmcnt(0)
	v_lshrrev_b32_e32 v0, s68, v0
	v_and_b32_e32 v67, s77, v0
	s_or_b64 exec, exec, s[52:53]
	s_and_saveexec_b64 s[52:53], vcc
	s_cbranch_execnz .LBB1636_325
	s_branch .LBB1636_326
.LBB1636_310:                           ;   in Loop: Header=BB1636_232 Depth=2
	s_or_b64 exec, exec, s[52:53]
	v_cmp_lt_u32_e64 s[52:53], v79, v0
	s_and_saveexec_b64 s[62:63], s[52:53]
	s_cbranch_execz .LBB1636_296
.LBB1636_311:                           ;   in Loop: Header=BB1636_232 Depth=2
	global_load_dwordx2 v[16:17], v[20:21], off offset:512
	s_or_b64 exec, exec, s[62:63]
	v_cmp_lt_u32_e64 s[52:53], v80, v0
	s_and_saveexec_b64 s[62:63], s[52:53]
	s_cbranch_execnz .LBB1636_297
.LBB1636_312:                           ;   in Loop: Header=BB1636_232 Depth=2
	s_or_b64 exec, exec, s[62:63]
	v_cmp_lt_u32_e64 s[52:53], v81, v0
	s_and_saveexec_b64 s[62:63], s[52:53]
	s_cbranch_execz .LBB1636_298
.LBB1636_313:                           ;   in Loop: Header=BB1636_232 Depth=2
	global_load_dwordx2 v[12:13], v[20:21], off offset:1536
	s_or_b64 exec, exec, s[62:63]
	v_cmp_lt_u32_e64 s[52:53], v82, v0
	s_and_saveexec_b64 s[62:63], s[52:53]
	s_cbranch_execnz .LBB1636_299
.LBB1636_314:                           ;   in Loop: Header=BB1636_232 Depth=2
	s_or_b64 exec, exec, s[62:63]
	v_cmp_lt_u32_e64 s[52:53], v83, v0
	s_and_saveexec_b64 s[62:63], s[52:53]
	s_cbranch_execz .LBB1636_300
.LBB1636_315:                           ;   in Loop: Header=BB1636_232 Depth=2
	global_load_dwordx2 v[8:9], v[20:21], off offset:2560
	s_or_b64 exec, exec, s[62:63]
	v_cmp_lt_u32_e64 s[52:53], v84, v0
	s_and_saveexec_b64 s[62:63], s[52:53]
	s_cbranch_execnz .LBB1636_301
.LBB1636_316:                           ;   in Loop: Header=BB1636_232 Depth=2
	s_or_b64 exec, exec, s[62:63]
	v_cmp_lt_u32_e64 s[52:53], v85, v0
	s_and_saveexec_b64 s[62:63], s[52:53]
	s_cbranch_execz .LBB1636_302
.LBB1636_317:                           ;   in Loop: Header=BB1636_232 Depth=2
	global_load_dwordx2 v[4:5], v[20:21], off offset:3584
	s_or_b64 exec, exec, s[62:63]
	s_and_saveexec_b64 s[52:53], s[48:49]
	s_cbranch_execnz .LBB1636_303
.LBB1636_318:                           ;   in Loop: Header=BB1636_232 Depth=2
	s_or_b64 exec, exec, s[52:53]
	s_and_saveexec_b64 s[52:53], s[46:47]
	s_cbranch_execz .LBB1636_304
.LBB1636_319:                           ;   in Loop: Header=BB1636_232 Depth=2
	ds_read_u8 v0, v30 offset:256
	s_waitcnt lgkmcnt(0)
	v_lshrrev_b32_e32 v0, s68, v0
	v_and_b32_e32 v73, s77, v0
	s_or_b64 exec, exec, s[52:53]
	s_and_saveexec_b64 s[52:53], s[44:45]
	s_cbranch_execnz .LBB1636_305
.LBB1636_320:                           ;   in Loop: Header=BB1636_232 Depth=2
	s_or_b64 exec, exec, s[52:53]
	s_and_saveexec_b64 s[52:53], s[42:43]
	s_cbranch_execz .LBB1636_306
.LBB1636_321:                           ;   in Loop: Header=BB1636_232 Depth=2
	ds_read_u8 v0, v30 offset:768
	s_waitcnt lgkmcnt(0)
	v_lshrrev_b32_e32 v0, s68, v0
	v_and_b32_e32 v70, s77, v0
	s_or_b64 exec, exec, s[52:53]
	s_and_saveexec_b64 s[52:53], s[40:41]
	s_cbranch_execnz .LBB1636_307
.LBB1636_322:                           ;   in Loop: Header=BB1636_232 Depth=2
	s_or_b64 exec, exec, s[52:53]
	s_and_saveexec_b64 s[52:53], s[38:39]
	s_cbranch_execz .LBB1636_308
.LBB1636_323:                           ;   in Loop: Header=BB1636_232 Depth=2
	ds_read_u8 v0, v30 offset:1280
	s_waitcnt lgkmcnt(0)
	v_lshrrev_b32_e32 v0, s68, v0
	v_and_b32_e32 v68, s77, v0
	s_or_b64 exec, exec, s[52:53]
	s_and_saveexec_b64 s[52:53], s[36:37]
	s_cbranch_execnz .LBB1636_309
.LBB1636_324:                           ;   in Loop: Header=BB1636_232 Depth=2
	s_or_b64 exec, exec, s[52:53]
	s_and_saveexec_b64 s[52:53], vcc
	s_cbranch_execz .LBB1636_326
.LBB1636_325:                           ;   in Loop: Header=BB1636_232 Depth=2
	ds_read_u8 v0, v30 offset:1792
	s_waitcnt lgkmcnt(0)
	v_lshrrev_b32_e32 v0, s68, v0
	v_and_b32_e32 v66, s77, v0
.LBB1636_326:                           ;   in Loop: Header=BB1636_232 Depth=2
	s_or_b64 exec, exec, s[52:53]
	v_lshlrev_b32_e32 v0, 3, v103
	s_barrier
	s_waitcnt vmcnt(0)
	ds_write_b64 v0, v[18:19] offset:1024
	v_lshlrev_b32_e32 v0, 3, v102
	ds_write_b64 v0, v[16:17] offset:1024
	v_lshlrev_b32_e32 v0, 3, v101
	;; [unrolled: 2-line block ×7, first 2 shown]
	ds_write_b64 v0, v[4:5] offset:1024
	s_waitcnt lgkmcnt(0)
	s_barrier
	s_and_saveexec_b64 s[52:53], s[48:49]
	s_cbranch_execz .LBB1636_334
; %bb.327:                              ;   in Loop: Header=BB1636_232 Depth=2
	v_lshlrev_b32_e32 v0, 2, v75
	ds_read_b32 v0, v0
	v_add_u32_e32 v20, v2, v50
	ds_read_b64 v[20:21], v20 offset:1024
	v_mov_b32_e32 v23, s67
	s_waitcnt lgkmcnt(1)
	v_add_u32_e32 v0, v0, v2
	v_lshlrev_b64 v[90:91], 3, v[0:1]
	v_add_co_u32_e64 v90, s[48:49], s66, v90
	v_addc_co_u32_e64 v91, s[48:49], v23, v91, s[48:49]
	s_waitcnt lgkmcnt(0)
	global_store_dwordx2 v[90:91], v[20:21], off
	s_or_b64 exec, exec, s[52:53]
	s_and_saveexec_b64 s[48:49], s[46:47]
	s_cbranch_execnz .LBB1636_335
.LBB1636_328:                           ;   in Loop: Header=BB1636_232 Depth=2
	s_or_b64 exec, exec, s[48:49]
	s_and_saveexec_b64 s[46:47], s[44:45]
	s_cbranch_execz .LBB1636_336
.LBB1636_329:                           ;   in Loop: Header=BB1636_232 Depth=2
	v_lshlrev_b32_e32 v0, 2, v71
	ds_read_b32 v0, v0
	v_add_u32_e32 v20, v30, v50
	ds_read_b64 v[20:21], v20 offset:4096
	v_mov_b32_e32 v23, s67
	s_waitcnt lgkmcnt(1)
	v_add_u32_e32 v0, v0, v25
	v_lshlrev_b64 v[90:91], 3, v[0:1]
	v_add_co_u32_e64 v90, s[44:45], s66, v90
	v_addc_co_u32_e64 v91, s[44:45], v23, v91, s[44:45]
	s_waitcnt lgkmcnt(0)
	global_store_dwordx2 v[90:91], v[20:21], off
	s_or_b64 exec, exec, s[46:47]
	s_and_saveexec_b64 s[44:45], s[42:43]
	s_cbranch_execnz .LBB1636_337
.LBB1636_330:                           ;   in Loop: Header=BB1636_232 Depth=2
	s_or_b64 exec, exec, s[44:45]
	s_and_saveexec_b64 s[42:43], s[40:41]
	s_cbranch_execz .LBB1636_338
.LBB1636_331:                           ;   in Loop: Header=BB1636_232 Depth=2
	v_lshlrev_b32_e32 v0, 2, v69
	ds_read_b32 v0, v0
	v_add_u32_e32 v20, v30, v50
	ds_read_b64 v[20:21], v20 offset:8192
	v_mov_b32_e32 v23, s67
	s_waitcnt lgkmcnt(1)
	v_add_u32_e32 v0, v0, v30
	v_lshlrev_b64 v[90:91], 3, v[0:1]
	v_add_co_u32_e64 v90, s[40:41], s66, v90
	v_addc_co_u32_e64 v91, s[40:41], v23, v91, s[40:41]
	s_waitcnt lgkmcnt(0)
	global_store_dwordx2 v[90:91], v[20:21], off
	s_or_b64 exec, exec, s[42:43]
	s_and_saveexec_b64 s[40:41], s[38:39]
	s_cbranch_execnz .LBB1636_339
.LBB1636_332:                           ;   in Loop: Header=BB1636_232 Depth=2
	s_or_b64 exec, exec, s[40:41]
	s_and_saveexec_b64 s[38:39], s[36:37]
	s_cbranch_execz .LBB1636_340
.LBB1636_333:                           ;   in Loop: Header=BB1636_232 Depth=2
	v_lshlrev_b32_e32 v0, 2, v67
	ds_read_b32 v0, v0
	v_add_u32_e32 v20, v30, v50
	ds_read_b64 v[20:21], v20 offset:12288
	v_mov_b32_e32 v23, s67
	s_waitcnt lgkmcnt(1)
	v_add_u32_e32 v0, v0, v32
	v_lshlrev_b64 v[90:91], 3, v[0:1]
	v_add_co_u32_e64 v90, s[36:37], s66, v90
	v_addc_co_u32_e64 v91, s[36:37], v23, v91, s[36:37]
	s_waitcnt lgkmcnt(0)
	global_store_dwordx2 v[90:91], v[20:21], off
	s_or_b64 exec, exec, s[38:39]
	s_and_saveexec_b64 s[36:37], vcc
	s_cbranch_execnz .LBB1636_341
	s_branch .LBB1636_342
.LBB1636_334:                           ;   in Loop: Header=BB1636_232 Depth=2
	s_or_b64 exec, exec, s[52:53]
	s_and_saveexec_b64 s[48:49], s[46:47]
	s_cbranch_execz .LBB1636_328
.LBB1636_335:                           ;   in Loop: Header=BB1636_232 Depth=2
	v_lshlrev_b32_e32 v0, 2, v73
	ds_read_b32 v0, v0
	v_add_u32_e32 v20, v30, v50
	ds_read_b64 v[20:21], v20 offset:2048
	v_mov_b32_e32 v23, s67
	s_waitcnt lgkmcnt(1)
	v_add_u32_e32 v0, v0, v24
	v_lshlrev_b64 v[90:91], 3, v[0:1]
	v_add_co_u32_e64 v90, s[46:47], s66, v90
	v_addc_co_u32_e64 v91, s[46:47], v23, v91, s[46:47]
	s_waitcnt lgkmcnt(0)
	global_store_dwordx2 v[90:91], v[20:21], off
	s_or_b64 exec, exec, s[48:49]
	s_and_saveexec_b64 s[46:47], s[44:45]
	s_cbranch_execnz .LBB1636_329
.LBB1636_336:                           ;   in Loop: Header=BB1636_232 Depth=2
	s_or_b64 exec, exec, s[46:47]
	s_and_saveexec_b64 s[44:45], s[42:43]
	s_cbranch_execz .LBB1636_330
.LBB1636_337:                           ;   in Loop: Header=BB1636_232 Depth=2
	v_lshlrev_b32_e32 v0, 2, v70
	ds_read_b32 v0, v0
	v_add_u32_e32 v20, v30, v50
	ds_read_b64 v[20:21], v20 offset:6144
	v_mov_b32_e32 v23, s67
	s_waitcnt lgkmcnt(1)
	v_add_u32_e32 v0, v0, v26
	v_lshlrev_b64 v[90:91], 3, v[0:1]
	v_add_co_u32_e64 v90, s[42:43], s66, v90
	v_addc_co_u32_e64 v91, s[42:43], v23, v91, s[42:43]
	s_waitcnt lgkmcnt(0)
	global_store_dwordx2 v[90:91], v[20:21], off
	s_or_b64 exec, exec, s[44:45]
	s_and_saveexec_b64 s[42:43], s[40:41]
	s_cbranch_execnz .LBB1636_331
.LBB1636_338:                           ;   in Loop: Header=BB1636_232 Depth=2
	s_or_b64 exec, exec, s[42:43]
	s_and_saveexec_b64 s[40:41], s[38:39]
	s_cbranch_execz .LBB1636_332
.LBB1636_339:                           ;   in Loop: Header=BB1636_232 Depth=2
	v_lshlrev_b32_e32 v0, 2, v68
	ds_read_b32 v0, v0
	v_add_u32_e32 v20, v30, v50
	ds_read_b64 v[20:21], v20 offset:10240
	v_mov_b32_e32 v23, s67
	s_waitcnt lgkmcnt(1)
	v_add_u32_e32 v0, v0, v31
	v_lshlrev_b64 v[90:91], 3, v[0:1]
	v_add_co_u32_e64 v90, s[38:39], s66, v90
	v_addc_co_u32_e64 v91, s[38:39], v23, v91, s[38:39]
	s_waitcnt lgkmcnt(0)
	global_store_dwordx2 v[90:91], v[20:21], off
	s_or_b64 exec, exec, s[40:41]
	s_and_saveexec_b64 s[38:39], s[36:37]
	s_cbranch_execnz .LBB1636_333
.LBB1636_340:                           ;   in Loop: Header=BB1636_232 Depth=2
	s_or_b64 exec, exec, s[38:39]
	s_and_saveexec_b64 s[36:37], vcc
	s_cbranch_execz .LBB1636_342
.LBB1636_341:                           ;   in Loop: Header=BB1636_232 Depth=2
	v_lshlrev_b32_e32 v0, 2, v66
	ds_read_b32 v0, v0
	v_add_u32_e32 v20, v30, v50
	ds_read_b64 v[20:21], v20 offset:14336
	v_mov_b32_e32 v23, s67
	s_waitcnt lgkmcnt(1)
	v_add_u32_e32 v0, v0, v33
	v_lshlrev_b64 v[90:91], 3, v[0:1]
	v_add_co_u32_e32 v90, vcc, s66, v90
	v_addc_co_u32_e32 v91, vcc, v23, v91, vcc
	s_waitcnt lgkmcnt(0)
	global_store_dwordx2 v[90:91], v[20:21], off
.LBB1636_342:                           ;   in Loop: Header=BB1636_232 Depth=2
	s_or_b64 exec, exec, s[36:37]
	s_barrier
	s_and_saveexec_b64 s[36:37], s[4:5]
	s_cbranch_execz .LBB1636_231
; %bb.343:                              ;   in Loop: Header=BB1636_232 Depth=2
	ds_read_b32 v0, v3
	s_waitcnt lgkmcnt(0)
	v_add_u32_e32 v0, v0, v22
	ds_write_b32 v3, v0
	s_branch .LBB1636_231
.LBB1636_344:                           ;   in Loop: Header=BB1636_12 Depth=1
	s_waitcnt lgkmcnt(0)
	s_barrier
.LBB1636_345:                           ;   in Loop: Header=BB1636_12 Depth=1
	s_mov_b64 s[16:17], 0
.LBB1636_346:                           ;   in Loop: Header=BB1636_12 Depth=1
	s_andn2_b64 vcc, exec, s[16:17]
	s_cbranch_vccnz .LBB1636_11
; %bb.347:                              ;   in Loop: Header=BB1636_12 Depth=1
	s_mov_b64 s[16:17], -1
	s_and_b64 vcc, exec, s[54:55]
	s_cbranch_vccz .LBB1636_513
; %bb.348:                              ;   in Loop: Header=BB1636_12 Depth=1
	s_mov_b32 s20, s71
	s_mov_b32 s22, s51
	s_barrier
	s_waitcnt lgkmcnt(0)
                                        ; implicit-def: $vgpr0
                                        ; implicit-def: $vgpr6
                                        ; implicit-def: $vgpr7
                                        ; implicit-def: $vgpr8
                                        ; implicit-def: $vgpr9
                                        ; implicit-def: $vgpr10
                                        ; implicit-def: $vgpr11
                                        ; implicit-def: $vgpr12
	s_branch .LBB1636_350
.LBB1636_349:                           ;   in Loop: Header=BB1636_350 Depth=2
	s_or_b64 exec, exec, s[16:17]
	s_addk_i32 s20, 0xf800
	s_cmp_ge_u32 s21, s76
	s_mov_b32 s22, s21
	s_cbranch_scc1 .LBB1636_388
.LBB1636_350:                           ;   Parent Loop BB1636_12 Depth=1
                                        ; =>  This Inner Loop Header: Depth=2
	s_add_i32 s21, s22, 0x800
	s_cmp_gt_u32 s21, s76
	s_cbranch_scc1 .LBB1636_353
; %bb.351:                              ;   in Loop: Header=BB1636_350 Depth=2
	v_add_co_u32_e32 v4, vcc, s22, v57
	v_addc_co_u32_e32 v5, vcc, 0, v58, vcc
	global_load_ubyte v20, v[4:5], off offset:1536
	global_load_ubyte v19, v[4:5], off offset:1280
	;; [unrolled: 1-line block ×6, first 2 shown]
	global_load_ubyte v14, v[4:5], off
	v_add_co_u32_e32 v4, vcc, 0x700, v4
	v_addc_co_u32_e32 v5, vcc, 0, v5, vcc
	s_mov_b64 s[16:17], -1
	s_movk_i32 s25, 0x800
	s_cbranch_execz .LBB1636_354
; %bb.352:                              ;   in Loop: Header=BB1636_350 Depth=2
                                        ; implicit-def: $vgpr0
                                        ; implicit-def: $vgpr6
                                        ; implicit-def: $vgpr7
                                        ; implicit-def: $vgpr8
                                        ; implicit-def: $vgpr9
                                        ; implicit-def: $vgpr10
                                        ; implicit-def: $vgpr11
                                        ; implicit-def: $vgpr12
	v_mov_b32_e32 v13, s20
	s_and_saveexec_b64 s[18:19], s[16:17]
	s_cbranch_execnz .LBB1636_365
	s_branch .LBB1636_366
.LBB1636_353:                           ;   in Loop: Header=BB1636_350 Depth=2
	s_mov_b64 s[16:17], 0
                                        ; implicit-def: $sgpr25
                                        ; implicit-def: $vgpr14
                                        ; implicit-def: $vgpr15
                                        ; implicit-def: $vgpr16
                                        ; implicit-def: $vgpr17
                                        ; implicit-def: $vgpr18
                                        ; implicit-def: $vgpr19
                                        ; implicit-def: $vgpr20
                                        ; implicit-def: $vgpr4_vgpr5
.LBB1636_354:                           ;   in Loop: Header=BB1636_350 Depth=2
	s_add_u32 s23, s56, s22
	s_addc_u32 s24, s57, 0
	v_cmp_gt_u32_e32 vcc, s20, v2
	s_and_saveexec_b64 s[18:19], vcc
	s_cbranch_execz .LBB1636_382
; %bb.355:                              ;   in Loop: Header=BB1636_350 Depth=2
	v_mov_b32_e32 v0, s24
	v_add_co_u32_e32 v4, vcc, s23, v2
	v_addc_co_u32_e32 v5, vcc, 0, v0, vcc
	global_load_ubyte v0, v[4:5], off
	s_or_b64 exec, exec, s[18:19]
	v_cmp_gt_u32_e32 vcc, s20, v24
	s_and_saveexec_b64 s[18:19], vcc
	s_cbranch_execnz .LBB1636_383
.LBB1636_356:                           ;   in Loop: Header=BB1636_350 Depth=2
	s_or_b64 exec, exec, s[18:19]
	v_cmp_gt_u32_e32 vcc, s20, v25
	s_and_saveexec_b64 s[18:19], vcc
	s_cbranch_execz .LBB1636_384
.LBB1636_357:                           ;   in Loop: Header=BB1636_350 Depth=2
	v_mov_b32_e32 v5, s24
	v_add_co_u32_e32 v4, vcc, s23, v2
	v_addc_co_u32_e32 v5, vcc, 0, v5, vcc
	global_load_ubyte v7, v[4:5], off offset:512
	s_or_b64 exec, exec, s[18:19]
	v_cmp_gt_u32_e32 vcc, s20, v26
	s_and_saveexec_b64 s[18:19], vcc
	s_cbranch_execnz .LBB1636_385
.LBB1636_358:                           ;   in Loop: Header=BB1636_350 Depth=2
	s_or_b64 exec, exec, s[18:19]
	v_cmp_gt_u32_e32 vcc, s20, v30
	s_and_saveexec_b64 s[18:19], vcc
	s_cbranch_execz .LBB1636_386
.LBB1636_359:                           ;   in Loop: Header=BB1636_350 Depth=2
	v_mov_b32_e32 v5, s24
	v_add_co_u32_e32 v4, vcc, s23, v2
	v_addc_co_u32_e32 v5, vcc, 0, v5, vcc
	global_load_ubyte v9, v[4:5], off offset:1024
	s_or_b64 exec, exec, s[18:19]
	v_cmp_gt_u32_e32 vcc, s20, v31
	s_and_saveexec_b64 s[18:19], vcc
	s_cbranch_execnz .LBB1636_387
.LBB1636_360:                           ;   in Loop: Header=BB1636_350 Depth=2
	s_or_b64 exec, exec, s[18:19]
	v_cmp_gt_u32_e32 vcc, s20, v32
	s_and_saveexec_b64 s[18:19], vcc
	s_cbranch_execz .LBB1636_362
.LBB1636_361:                           ;   in Loop: Header=BB1636_350 Depth=2
	v_mov_b32_e32 v5, s24
	v_add_co_u32_e32 v4, vcc, s23, v2
	v_addc_co_u32_e32 v5, vcc, 0, v5, vcc
	global_load_ubyte v11, v[4:5], off offset:1536
.LBB1636_362:                           ;   in Loop: Header=BB1636_350 Depth=2
	s_or_b64 exec, exec, s[18:19]
	v_cmp_gt_u32_e32 vcc, s20, v33
                                        ; implicit-def: $sgpr25
                                        ; implicit-def: $vgpr4_vgpr5
	s_and_saveexec_b64 s[18:19], vcc
	s_cbranch_execz .LBB1636_364
; %bb.363:                              ;   in Loop: Header=BB1636_350 Depth=2
	v_mov_b32_e32 v4, s24
	v_add_co_u32_e32 v5, vcc, s23, v2
	s_waitcnt vmcnt(0)
	v_addc_co_u32_e32 v12, vcc, 0, v4, vcc
	v_add_co_u32_e32 v4, vcc, 0x700, v5
	s_sub_i32 s25, s76, s22
	v_addc_co_u32_e32 v5, vcc, 0, v12, vcc
	s_or_b64 s[16:17], s[16:17], exec
                                        ; implicit-def: $vgpr12
.LBB1636_364:                           ;   in Loop: Header=BB1636_350 Depth=2
	s_or_b64 exec, exec, s[18:19]
	s_waitcnt vmcnt(0)
	v_mov_b32_e32 v14, v0
	v_mov_b32_e32 v15, v6
	;; [unrolled: 1-line block ×8, first 2 shown]
	s_and_saveexec_b64 s[18:19], s[16:17]
	s_cbranch_execz .LBB1636_366
.LBB1636_365:                           ;   in Loop: Header=BB1636_350 Depth=2
	global_load_ubyte v12, v[4:5], off
	v_mov_b32_e32 v13, s25
	s_waitcnt vmcnt(1)
	v_mov_b32_e32 v0, v14
	v_mov_b32_e32 v6, v15
	;; [unrolled: 1-line block ×7, first 2 shown]
.LBB1636_366:                           ;   in Loop: Header=BB1636_350 Depth=2
	s_or_b64 exec, exec, s[18:19]
	v_cmp_lt_u32_e32 vcc, v2, v13
	s_and_saveexec_b64 s[16:17], vcc
	s_cbranch_execz .LBB1636_374
; %bb.367:                              ;   in Loop: Header=BB1636_350 Depth=2
	v_and_b32_e32 v4, 1, v0
	v_lshrrev_b32_e32 v4, s69, v4
	v_and_b32_e32 v4, s77, v4
	v_lshlrev_b32_e32 v5, 2, v27
	v_lshl_or_b32 v4, v4, 4, v5
	ds_add_u32 v4, v63
	s_or_b64 exec, exec, s[16:17]
	v_cmp_lt_u32_e32 vcc, v24, v13
	s_and_saveexec_b64 s[16:17], vcc
	s_cbranch_execnz .LBB1636_375
.LBB1636_368:                           ;   in Loop: Header=BB1636_350 Depth=2
	s_or_b64 exec, exec, s[16:17]
	v_cmp_lt_u32_e32 vcc, v25, v13
	s_and_saveexec_b64 s[16:17], vcc
	s_cbranch_execz .LBB1636_376
.LBB1636_369:                           ;   in Loop: Header=BB1636_350 Depth=2
	v_and_b32_e32 v4, 1, v7
	v_lshrrev_b32_e32 v4, s69, v4
	v_and_b32_e32 v4, s77, v4
	v_lshlrev_b32_e32 v5, 2, v27
	v_lshl_or_b32 v4, v4, 4, v5
	ds_add_u32 v4, v63
	s_or_b64 exec, exec, s[16:17]
	v_cmp_lt_u32_e32 vcc, v26, v13
	s_and_saveexec_b64 s[16:17], vcc
	s_cbranch_execnz .LBB1636_377
.LBB1636_370:                           ;   in Loop: Header=BB1636_350 Depth=2
	s_or_b64 exec, exec, s[16:17]
	v_cmp_lt_u32_e32 vcc, v30, v13
	s_and_saveexec_b64 s[16:17], vcc
	s_cbranch_execz .LBB1636_378
.LBB1636_371:                           ;   in Loop: Header=BB1636_350 Depth=2
	v_and_b32_e32 v4, 1, v9
	v_lshrrev_b32_e32 v4, s69, v4
	v_and_b32_e32 v4, s77, v4
	v_lshlrev_b32_e32 v5, 2, v27
	v_lshl_or_b32 v4, v4, 4, v5
	ds_add_u32 v4, v63
	s_or_b64 exec, exec, s[16:17]
	v_cmp_lt_u32_e32 vcc, v31, v13
	s_and_saveexec_b64 s[16:17], vcc
	s_cbranch_execnz .LBB1636_379
.LBB1636_372:                           ;   in Loop: Header=BB1636_350 Depth=2
	s_or_b64 exec, exec, s[16:17]
	v_cmp_lt_u32_e32 vcc, v32, v13
	s_and_saveexec_b64 s[16:17], vcc
	s_cbranch_execz .LBB1636_380
.LBB1636_373:                           ;   in Loop: Header=BB1636_350 Depth=2
	v_and_b32_e32 v4, 1, v11
	v_lshrrev_b32_e32 v4, s69, v4
	v_and_b32_e32 v4, s77, v4
	v_lshlrev_b32_e32 v5, 2, v27
	v_lshl_or_b32 v4, v4, 4, v5
	ds_add_u32 v4, v63
	s_or_b64 exec, exec, s[16:17]
	v_cmp_lt_u32_e32 vcc, v33, v13
	s_and_saveexec_b64 s[16:17], vcc
	s_cbranch_execz .LBB1636_349
	s_branch .LBB1636_381
.LBB1636_374:                           ;   in Loop: Header=BB1636_350 Depth=2
	s_or_b64 exec, exec, s[16:17]
	v_cmp_lt_u32_e32 vcc, v24, v13
	s_and_saveexec_b64 s[16:17], vcc
	s_cbranch_execz .LBB1636_368
.LBB1636_375:                           ;   in Loop: Header=BB1636_350 Depth=2
	v_and_b32_e32 v4, 1, v6
	v_lshrrev_b32_e32 v4, s69, v4
	v_and_b32_e32 v4, s77, v4
	v_lshlrev_b32_e32 v5, 2, v27
	v_lshl_or_b32 v4, v4, 4, v5
	ds_add_u32 v4, v63
	s_or_b64 exec, exec, s[16:17]
	v_cmp_lt_u32_e32 vcc, v25, v13
	s_and_saveexec_b64 s[16:17], vcc
	s_cbranch_execnz .LBB1636_369
.LBB1636_376:                           ;   in Loop: Header=BB1636_350 Depth=2
	s_or_b64 exec, exec, s[16:17]
	v_cmp_lt_u32_e32 vcc, v26, v13
	s_and_saveexec_b64 s[16:17], vcc
	s_cbranch_execz .LBB1636_370
.LBB1636_377:                           ;   in Loop: Header=BB1636_350 Depth=2
	v_and_b32_e32 v4, 1, v8
	v_lshrrev_b32_e32 v4, s69, v4
	v_and_b32_e32 v4, s77, v4
	v_lshlrev_b32_e32 v5, 2, v27
	v_lshl_or_b32 v4, v4, 4, v5
	ds_add_u32 v4, v63
	s_or_b64 exec, exec, s[16:17]
	v_cmp_lt_u32_e32 vcc, v30, v13
	s_and_saveexec_b64 s[16:17], vcc
	s_cbranch_execnz .LBB1636_371
.LBB1636_378:                           ;   in Loop: Header=BB1636_350 Depth=2
	s_or_b64 exec, exec, s[16:17]
	v_cmp_lt_u32_e32 vcc, v31, v13
	s_and_saveexec_b64 s[16:17], vcc
	s_cbranch_execz .LBB1636_372
.LBB1636_379:                           ;   in Loop: Header=BB1636_350 Depth=2
	v_and_b32_e32 v4, 1, v10
	v_lshrrev_b32_e32 v4, s69, v4
	v_and_b32_e32 v4, s77, v4
	v_lshlrev_b32_e32 v5, 2, v27
	v_lshl_or_b32 v4, v4, 4, v5
	ds_add_u32 v4, v63
	s_or_b64 exec, exec, s[16:17]
	v_cmp_lt_u32_e32 vcc, v32, v13
	s_and_saveexec_b64 s[16:17], vcc
	s_cbranch_execnz .LBB1636_373
.LBB1636_380:                           ;   in Loop: Header=BB1636_350 Depth=2
	s_or_b64 exec, exec, s[16:17]
	v_cmp_lt_u32_e32 vcc, v33, v13
	s_and_saveexec_b64 s[16:17], vcc
	s_cbranch_execz .LBB1636_349
.LBB1636_381:                           ;   in Loop: Header=BB1636_350 Depth=2
	s_waitcnt vmcnt(0)
	v_and_b32_e32 v4, 1, v12
	v_lshrrev_b32_e32 v4, s69, v4
	v_and_b32_e32 v4, s77, v4
	v_lshlrev_b32_e32 v5, 2, v27
	v_lshl_or_b32 v4, v4, 4, v5
	ds_add_u32 v4, v63
	s_branch .LBB1636_349
.LBB1636_382:                           ;   in Loop: Header=BB1636_350 Depth=2
	s_or_b64 exec, exec, s[18:19]
	v_cmp_gt_u32_e32 vcc, s20, v24
	s_and_saveexec_b64 s[18:19], vcc
	s_cbranch_execz .LBB1636_356
.LBB1636_383:                           ;   in Loop: Header=BB1636_350 Depth=2
	v_mov_b32_e32 v5, s24
	v_add_co_u32_e32 v4, vcc, s23, v2
	v_addc_co_u32_e32 v5, vcc, 0, v5, vcc
	global_load_ubyte v6, v[4:5], off offset:256
	s_or_b64 exec, exec, s[18:19]
	v_cmp_gt_u32_e32 vcc, s20, v25
	s_and_saveexec_b64 s[18:19], vcc
	s_cbranch_execnz .LBB1636_357
.LBB1636_384:                           ;   in Loop: Header=BB1636_350 Depth=2
	s_or_b64 exec, exec, s[18:19]
	v_cmp_gt_u32_e32 vcc, s20, v26
	s_and_saveexec_b64 s[18:19], vcc
	s_cbranch_execz .LBB1636_358
.LBB1636_385:                           ;   in Loop: Header=BB1636_350 Depth=2
	v_mov_b32_e32 v5, s24
	v_add_co_u32_e32 v4, vcc, s23, v2
	v_addc_co_u32_e32 v5, vcc, 0, v5, vcc
	global_load_ubyte v8, v[4:5], off offset:768
	s_or_b64 exec, exec, s[18:19]
	v_cmp_gt_u32_e32 vcc, s20, v30
	s_and_saveexec_b64 s[18:19], vcc
	s_cbranch_execnz .LBB1636_359
.LBB1636_386:                           ;   in Loop: Header=BB1636_350 Depth=2
	s_or_b64 exec, exec, s[18:19]
	v_cmp_gt_u32_e32 vcc, s20, v31
	s_and_saveexec_b64 s[18:19], vcc
	s_cbranch_execz .LBB1636_360
.LBB1636_387:                           ;   in Loop: Header=BB1636_350 Depth=2
	v_mov_b32_e32 v5, s24
	v_add_co_u32_e32 v4, vcc, s23, v2
	v_addc_co_u32_e32 v5, vcc, 0, v5, vcc
	global_load_ubyte v10, v[4:5], off offset:1280
	s_or_b64 exec, exec, s[18:19]
	v_cmp_gt_u32_e32 vcc, s20, v32
	s_and_saveexec_b64 s[18:19], vcc
	s_cbranch_execz .LBB1636_362
	s_branch .LBB1636_361
.LBB1636_388:                           ;   in Loop: Header=BB1636_12 Depth=1
	v_mov_b32_e32 v0, 0
	s_waitcnt lgkmcnt(0)
	s_barrier
	s_and_saveexec_b64 s[16:17], s[4:5]
	s_cbranch_execz .LBB1636_390
; %bb.389:                              ;   in Loop: Header=BB1636_12 Depth=1
	ds_read2_b64 v[4:7], v34 offset1:1
	s_waitcnt lgkmcnt(0)
	v_add_u32_e32 v0, v5, v4
	v_add3_u32 v0, v0, v6, v7
.LBB1636_390:                           ;   in Loop: Header=BB1636_12 Depth=1
	s_or_b64 exec, exec, s[16:17]
	v_and_b32_e32 v4, 15, v64
	v_mov_b32_dpp v5, v0 row_shr:1 row_mask:0xf bank_mask:0xf
	v_cmp_eq_u32_e64 s[16:17], 0, v4
	v_cndmask_b32_e64 v5, v5, 0, s[16:17]
	v_add_u32_e32 v0, v5, v0
	v_cmp_lt_u32_e64 s[18:19], 1, v4
	v_cmp_lt_u32_e64 s[20:21], 3, v4
	v_mov_b32_dpp v5, v0 row_shr:2 row_mask:0xf bank_mask:0xf
	v_cndmask_b32_e64 v5, 0, v5, s[18:19]
	v_add_u32_e32 v0, v0, v5
	v_cmp_lt_u32_e64 s[22:23], 7, v4
	v_cmp_lt_u32_e64 s[26:27], 31, v64
	v_mov_b32_dpp v5, v0 row_shr:4 row_mask:0xf bank_mask:0xf
	v_cndmask_b32_e64 v5, 0, v5, s[20:21]
	v_add_u32_e32 v0, v0, v5
	v_and_b32_e32 v6, 16, v64
	v_cmp_eq_u32_e64 s[24:25], 0, v6
	v_mov_b32_dpp v5, v0 row_shr:8 row_mask:0xf bank_mask:0xf
	v_cndmask_b32_e64 v4, 0, v5, s[22:23]
	v_add_u32_e32 v0, v0, v4
	v_bfe_i32 v5, v64, 4, 1
	s_nop 0
	v_mov_b32_dpp v4, v0 row_bcast:15 row_mask:0xf bank_mask:0xf
	v_and_b32_e32 v4, v5, v4
	v_add_u32_e32 v0, v0, v4
	s_nop 1
	v_mov_b32_dpp v4, v0 row_bcast:31 row_mask:0xf bank_mask:0xf
	v_cndmask_b32_e64 v4, 0, v4, s[26:27]
	v_add_u32_e32 v4, v0, v4
	s_and_saveexec_b64 s[28:29], s[6:7]
	s_cbranch_execz .LBB1636_392
; %bb.391:                              ;   in Loop: Header=BB1636_12 Depth=1
	ds_write_b32 v36, v4
.LBB1636_392:                           ;   in Loop: Header=BB1636_12 Depth=1
	s_or_b64 exec, exec, s[28:29]
	v_and_b32_e32 v0, 3, v64
	s_waitcnt lgkmcnt(0)
	s_barrier
	s_and_saveexec_b64 s[28:29], s[8:9]
	s_cbranch_execz .LBB1636_394
; %bb.393:                              ;   in Loop: Header=BB1636_12 Depth=1
	ds_read_b32 v5, v37
	v_cmp_ne_u32_e32 vcc, 0, v0
	s_waitcnt lgkmcnt(0)
	v_mov_b32_dpp v6, v5 row_shr:1 row_mask:0xf bank_mask:0xf
	v_cndmask_b32_e32 v6, 0, v6, vcc
	v_add_u32_e32 v5, v6, v5
	v_cmp_lt_u32_e32 vcc, 1, v0
	s_nop 0
	v_mov_b32_dpp v6, v5 row_shr:2 row_mask:0xf bank_mask:0xf
	v_cndmask_b32_e32 v6, 0, v6, vcc
	v_add_u32_e32 v5, v5, v6
	ds_write_b32 v37, v5
.LBB1636_394:                           ;   in Loop: Header=BB1636_12 Depth=1
	s_or_b64 exec, exec, s[28:29]
	v_mov_b32_e32 v5, 0
	s_waitcnt lgkmcnt(0)
	s_barrier
	s_and_saveexec_b64 s[28:29], s[10:11]
	s_cbranch_execz .LBB1636_396
; %bb.395:                              ;   in Loop: Header=BB1636_12 Depth=1
	ds_read_b32 v5, v38
.LBB1636_396:                           ;   in Loop: Header=BB1636_12 Depth=1
	s_or_b64 exec, exec, s[28:29]
	v_add_u32_e32 v6, -1, v64
	v_and_b32_e32 v7, 64, v64
	v_cmp_lt_i32_e32 vcc, v6, v7
	v_cndmask_b32_e32 v6, v6, v64, vcc
	s_waitcnt lgkmcnt(0)
	v_add_u32_e32 v4, v5, v4
	v_lshlrev_b32_e32 v65, 2, v6
	ds_bpermute_b32 v4, v65, v4
	v_cmp_eq_u32_e64 s[28:29], 0, v64
	s_waitcnt lgkmcnt(0)
	s_barrier
	s_and_saveexec_b64 s[30:31], s[4:5]
	s_cbranch_execz .LBB1636_398
; %bb.397:                              ;   in Loop: Header=BB1636_12 Depth=1
	v_cndmask_b32_e64 v4, v4, v5, s[28:29]
	v_add_u32_e32 v4, s51, v4
	ds_write_b32 v3, v4
.LBB1636_398:                           ;   in Loop: Header=BB1636_12 Depth=1
	s_or_b64 exec, exec, s[30:31]
	s_load_dwordx2 s[30:31], s[74:75], 0x0
	s_mov_b32 s78, s71
	s_mov_b32 s72, s51
                                        ; implicit-def: $vgpr4_vgpr5
                                        ; implicit-def: $vgpr6_vgpr7
                                        ; implicit-def: $vgpr8_vgpr9
                                        ; implicit-def: $vgpr10_vgpr11
                                        ; implicit-def: $vgpr12_vgpr13
                                        ; implicit-def: $vgpr14_vgpr15
                                        ; implicit-def: $vgpr16_vgpr17
                                        ; implicit-def: $vgpr18_vgpr19
                                        ; implicit-def: $vgpr66
                                        ; implicit-def: $vgpr67
                                        ; implicit-def: $vgpr68
                                        ; implicit-def: $vgpr69
                                        ; implicit-def: $vgpr70
                                        ; implicit-def: $vgpr71
                                        ; implicit-def: $vgpr73
                                        ; implicit-def: $vgpr75
	s_waitcnt lgkmcnt(0)
	s_cmp_lt_u32 s50, s30
	s_cselect_b32 s34, 12, 18
	s_cmp_lt_u32 s33, s31
	s_cselect_b32 s30, 14, 20
	s_add_u32 s30, s74, s30
	s_addc_u32 s31, s75, 0
	s_add_u32 s34, s74, s34
	global_load_ushort v20, v1, s[30:31]
	s_addc_u32 s35, s75, 0
	global_load_ushort v21, v1, s[34:35]
	v_cmp_eq_u32_e64 s[30:31], 0, v0
	v_cmp_lt_u32_e64 s[34:35], 1, v0
	v_and_b32_e32 v0, 63, v64
	v_add_co_u32_e32 v74, vcc, v61, v0
	v_lshlrev_b32_e32 v22, 3, v0
	v_addc_co_u32_e32 v76, vcc, 0, v62, vcc
	v_add_co_u32_e32 v77, vcc, v59, v22
	v_or_b32_e32 v72, v0, v39
	v_addc_co_u32_e32 v78, vcc, 0, v60, vcc
	v_add_co_u32_e32 v86, vcc, 0x1c0, v74
	v_or_b32_e32 v79, 64, v72
	v_or_b32_e32 v80, 0x80, v72
	;; [unrolled: 1-line block ×7, first 2 shown]
	v_addc_co_u32_e32 v87, vcc, 0, v76, vcc
	s_waitcnt vmcnt(1)
	v_mad_u32_u24 v0, v40, v20, v41
	s_waitcnt vmcnt(0)
	v_mad_u64_u32 v[20:21], s[36:37], v0, v21, v[2:3]
	v_lshrrev_b32_e32 v88, 6, v20
	s_branch .LBB1636_400
.LBB1636_399:                           ;   in Loop: Header=BB1636_400 Depth=2
	s_or_b64 exec, exec, s[36:37]
	s_addk_i32 s78, 0xf800
	s_cmp_lt_u32 s79, s76
	s_mov_b32 s72, s79
	s_cbranch_scc0 .LBB1636_512
.LBB1636_400:                           ;   Parent Loop BB1636_12 Depth=1
                                        ; =>  This Inner Loop Header: Depth=2
	s_add_i32 s79, s72, 0x800
	s_cmp_gt_u32 s79, s76
	s_cbranch_scc1 .LBB1636_403
; %bb.401:                              ;   in Loop: Header=BB1636_400 Depth=2
	v_add_co_u32_e32 v20, vcc, s72, v74
	v_addc_co_u32_e32 v21, vcc, 0, v76, vcc
	global_load_ubyte v89, v[20:21], off
	global_load_ubyte v90, v[20:21], off offset:64
	global_load_ubyte v91, v[20:21], off offset:128
	;; [unrolled: 1-line block ×6, first 2 shown]
	s_mov_b64 s[36:37], -1
	s_movk_i32 s40, 0x800
	s_cbranch_execz .LBB1636_404
; %bb.402:                              ;   in Loop: Header=BB1636_400 Depth=2
                                        ; implicit-def: $sgpr38
	v_mov_b32_e32 v96, s38
	v_mov_b32_e32 v0, s78
	s_and_saveexec_b64 s[38:39], s[36:37]
	s_cbranch_execnz .LBB1636_419
	s_branch .LBB1636_420
.LBB1636_403:                           ;   in Loop: Header=BB1636_400 Depth=2
	s_mov_b64 s[36:37], 0
                                        ; implicit-def: $sgpr40
                                        ; implicit-def: $vgpr89
                                        ; implicit-def: $vgpr90
                                        ; implicit-def: $vgpr91
                                        ; implicit-def: $vgpr92
                                        ; implicit-def: $vgpr93
                                        ; implicit-def: $vgpr94
                                        ; implicit-def: $vgpr95
.LBB1636_404:                           ;   in Loop: Header=BB1636_400 Depth=2
	v_add_co_u32_e32 v20, vcc, s72, v74
	v_addc_co_u32_e32 v21, vcc, 0, v76, vcc
	v_cmp_gt_u32_e32 vcc, s78, v72
	s_waitcnt vmcnt(5)
	v_mov_b32_e32 v90, 1
	v_mov_b32_e32 v89, 1
	s_and_saveexec_b64 s[36:37], vcc
	s_cbranch_execz .LBB1636_406
; %bb.405:                              ;   in Loop: Header=BB1636_400 Depth=2
	global_load_ubyte v89, v[20:21], off
.LBB1636_406:                           ;   in Loop: Header=BB1636_400 Depth=2
	s_or_b64 exec, exec, s[36:37]
	v_cmp_gt_u32_e32 vcc, s78, v79
	s_and_saveexec_b64 s[36:37], vcc
	s_cbranch_execz .LBB1636_408
; %bb.407:                              ;   in Loop: Header=BB1636_400 Depth=2
	global_load_ubyte v90, v[20:21], off offset:64
.LBB1636_408:                           ;   in Loop: Header=BB1636_400 Depth=2
	s_or_b64 exec, exec, s[36:37]
	v_cmp_gt_u32_e32 vcc, s78, v80
	s_waitcnt vmcnt(3)
	v_mov_b32_e32 v92, 1
	v_mov_b32_e32 v91, 1
	s_and_saveexec_b64 s[36:37], vcc
	s_cbranch_execz .LBB1636_410
; %bb.409:                              ;   in Loop: Header=BB1636_400 Depth=2
	global_load_ubyte v91, v[20:21], off offset:128
.LBB1636_410:                           ;   in Loop: Header=BB1636_400 Depth=2
	s_or_b64 exec, exec, s[36:37]
	v_cmp_gt_u32_e32 vcc, s78, v81
	s_and_saveexec_b64 s[36:37], vcc
	s_cbranch_execz .LBB1636_412
; %bb.411:                              ;   in Loop: Header=BB1636_400 Depth=2
	global_load_ubyte v92, v[20:21], off offset:192
.LBB1636_412:                           ;   in Loop: Header=BB1636_400 Depth=2
	s_or_b64 exec, exec, s[36:37]
	v_cmp_gt_u32_e32 vcc, s78, v82
	s_waitcnt vmcnt(1)
	v_mov_b32_e32 v94, 1
	v_mov_b32_e32 v93, 1
	s_and_saveexec_b64 s[36:37], vcc
	s_cbranch_execz .LBB1636_414
; %bb.413:                              ;   in Loop: Header=BB1636_400 Depth=2
	global_load_ubyte v93, v[20:21], off offset:256
.LBB1636_414:                           ;   in Loop: Header=BB1636_400 Depth=2
	s_or_b64 exec, exec, s[36:37]
	v_cmp_gt_u32_e32 vcc, s78, v83
	s_and_saveexec_b64 s[36:37], vcc
	s_cbranch_execz .LBB1636_416
; %bb.415:                              ;   in Loop: Header=BB1636_400 Depth=2
	global_load_ubyte v94, v[20:21], off offset:320
.LBB1636_416:                           ;   in Loop: Header=BB1636_400 Depth=2
	s_or_b64 exec, exec, s[36:37]
	v_cmp_gt_u32_e32 vcc, s78, v84
	s_waitcnt vmcnt(0)
	v_mov_b32_e32 v95, 1
	s_and_saveexec_b64 s[36:37], vcc
	s_cbranch_execz .LBB1636_418
; %bb.417:                              ;   in Loop: Header=BB1636_400 Depth=2
	global_load_ubyte v95, v[20:21], off offset:384
.LBB1636_418:                           ;   in Loop: Header=BB1636_400 Depth=2
	s_or_b64 exec, exec, s[36:37]
	s_sub_i32 s40, s76, s72
	v_cmp_gt_u32_e64 s[36:37], s78, v85
	s_mov_b32 s38, 1
	v_mov_b32_e32 v96, s38
	v_mov_b32_e32 v0, s78
	s_and_saveexec_b64 s[38:39], s[36:37]
	s_cbranch_execz .LBB1636_420
.LBB1636_419:                           ;   in Loop: Header=BB1636_400 Depth=2
	v_mov_b32_e32 v0, s73
	v_add_co_u32_e32 v20, vcc, s72, v86
	v_addc_co_u32_e32 v21, vcc, v87, v0, vcc
	global_load_ubyte v96, v[20:21], off
	v_mov_b32_e32 v0, s40
.LBB1636_420:                           ;   in Loop: Header=BB1636_400 Depth=2
	s_or_b64 exec, exec, s[38:39]
	v_add_u32_e32 v20, 0x410, v42
	ds_write2_b32 v20, v1, v1 offset1:1
	ds_write2_b32 v44, v1, v1 offset0:2 offset1:3
	ds_write_b32 v44, v1 offset:16
	s_waitcnt vmcnt(6)
	v_lshrrev_b32_sdwa v20, s69, v89 dst_sel:DWORD dst_unused:UNUSED_PAD src0_sel:DWORD src1_sel:BYTE_0
	v_and_b32_e32 v20, s77, v20
	v_mad_u32_u24 v21, v20, 5, v88
	v_cmp_ne_u32_e32 vcc, 0, v20
	v_add_co_u32_e64 v20, s[36:37], -1, v20
	v_lshl_add_u32 v98, v21, 2, v43
	v_addc_co_u32_e64 v21, s[36:37], 0, -1, s[36:37]
	v_xor_b32_e32 v20, vcc_lo, v20
	v_xor_b32_e32 v21, vcc_hi, v21
	v_and_b32_e32 v20, exec_lo, v20
	v_and_b32_e32 v21, exec_hi, v21
	v_mbcnt_lo_u32_b32 v22, v20, 0
	v_mbcnt_hi_u32_b32 v97, v21, v22
	v_cmp_eq_u32_e32 vcc, 0, v97
	v_cmp_ne_u64_e64 s[36:37], 0, v[20:21]
	s_and_b64 s[38:39], s[36:37], vcc
	s_waitcnt lgkmcnt(0)
	s_barrier
	s_waitcnt lgkmcnt(0)
	; wave barrier
	s_and_saveexec_b64 s[36:37], s[38:39]
	s_cbranch_execz .LBB1636_422
; %bb.421:                              ;   in Loop: Header=BB1636_400 Depth=2
	v_bcnt_u32_b32 v20, v20, 0
	v_bcnt_u32_b32 v20, v21, v20
	ds_write_b32 v98, v20
.LBB1636_422:                           ;   in Loop: Header=BB1636_400 Depth=2
	s_or_b64 exec, exec, s[36:37]
	s_waitcnt vmcnt(5)
	v_lshrrev_b32_sdwa v20, s69, v90 dst_sel:DWORD dst_unused:UNUSED_PAD src0_sel:DWORD src1_sel:BYTE_0
	v_and_b32_e32 v20, s77, v20
	v_mul_u32_u24_e32 v21, 5, v20
	v_add_lshl_u32 v21, v21, v88, 2
	v_cmp_ne_u32_e32 vcc, 0, v20
	v_add_co_u32_e64 v20, s[36:37], -1, v20
	; wave barrier
	v_add_u32_e32 v101, 0x410, v21
	ds_read_b32 v99, v21 offset:1040
	v_addc_co_u32_e64 v21, s[36:37], 0, -1, s[36:37]
	v_xor_b32_e32 v20, vcc_lo, v20
	v_xor_b32_e32 v21, vcc_hi, v21
	v_and_b32_e32 v20, exec_lo, v20
	v_and_b32_e32 v21, exec_hi, v21
	v_mbcnt_lo_u32_b32 v22, v20, 0
	v_mbcnt_hi_u32_b32 v100, v21, v22
	v_cmp_eq_u32_e32 vcc, 0, v100
	v_cmp_ne_u64_e64 s[36:37], 0, v[20:21]
	s_and_b64 s[38:39], s[36:37], vcc
	; wave barrier
	s_and_saveexec_b64 s[36:37], s[38:39]
	s_cbranch_execz .LBB1636_424
; %bb.423:                              ;   in Loop: Header=BB1636_400 Depth=2
	v_bcnt_u32_b32 v20, v20, 0
	v_bcnt_u32_b32 v20, v21, v20
	s_waitcnt lgkmcnt(0)
	v_add_u32_e32 v20, v99, v20
	ds_write_b32 v101, v20
.LBB1636_424:                           ;   in Loop: Header=BB1636_400 Depth=2
	s_or_b64 exec, exec, s[36:37]
	s_waitcnt vmcnt(4)
	v_lshrrev_b32_sdwa v20, s69, v91 dst_sel:DWORD dst_unused:UNUSED_PAD src0_sel:DWORD src1_sel:BYTE_0
	v_and_b32_e32 v20, s77, v20
	v_mul_u32_u24_e32 v21, 5, v20
	v_add_lshl_u32 v21, v21, v88, 2
	v_cmp_ne_u32_e32 vcc, 0, v20
	v_add_co_u32_e64 v20, s[36:37], -1, v20
	; wave barrier
	v_add_u32_e32 v102, 0x410, v21
	ds_read_b32 v104, v21 offset:1040
	v_addc_co_u32_e64 v21, s[36:37], 0, -1, s[36:37]
	v_xor_b32_e32 v20, vcc_lo, v20
	v_xor_b32_e32 v21, vcc_hi, v21
	v_and_b32_e32 v20, exec_lo, v20
	v_and_b32_e32 v21, exec_hi, v21
	v_mbcnt_lo_u32_b32 v22, v20, 0
	v_mbcnt_hi_u32_b32 v105, v21, v22
	v_cmp_eq_u32_e32 vcc, 0, v105
	v_cmp_ne_u64_e64 s[36:37], 0, v[20:21]
	s_and_b64 s[38:39], s[36:37], vcc
	; wave barrier
	s_and_saveexec_b64 s[36:37], s[38:39]
	s_cbranch_execz .LBB1636_426
; %bb.425:                              ;   in Loop: Header=BB1636_400 Depth=2
	v_bcnt_u32_b32 v20, v20, 0
	v_bcnt_u32_b32 v20, v21, v20
	s_waitcnt lgkmcnt(0)
	v_add_u32_e32 v20, v104, v20
	ds_write_b32 v102, v20
.LBB1636_426:                           ;   in Loop: Header=BB1636_400 Depth=2
	;; [unrolled: 31-line block ×6, first 2 shown]
	s_or_b64 exec, exec, s[36:37]
	v_lshrrev_b32_sdwa v20, s69, v96 dst_sel:DWORD dst_unused:UNUSED_PAD src0_sel:DWORD src1_sel:BYTE_0
	v_and_b32_e32 v20, s77, v20
	v_mul_u32_u24_e32 v21, 5, v20
	v_add_lshl_u32 v21, v21, v88, 2
	v_cmp_ne_u32_e32 vcc, 0, v20
	v_add_co_u32_e64 v20, s[36:37], -1, v20
	; wave barrier
	v_add_u32_e32 v119, 0x410, v21
	ds_read_b32 v117, v21 offset:1040
	v_addc_co_u32_e64 v21, s[36:37], 0, -1, s[36:37]
	v_xor_b32_e32 v20, vcc_lo, v20
	v_xor_b32_e32 v21, vcc_hi, v21
	v_and_b32_e32 v20, exec_lo, v20
	v_and_b32_e32 v21, exec_hi, v21
	v_mbcnt_lo_u32_b32 v22, v20, 0
	v_mbcnt_hi_u32_b32 v118, v21, v22
	v_cmp_eq_u32_e32 vcc, 0, v118
	v_cmp_ne_u64_e64 s[36:37], 0, v[20:21]
	s_and_b64 s[38:39], s[36:37], vcc
	; wave barrier
	s_and_saveexec_b64 s[36:37], s[38:39]
	s_cbranch_execz .LBB1636_436
; %bb.435:                              ;   in Loop: Header=BB1636_400 Depth=2
	v_bcnt_u32_b32 v20, v20, 0
	v_bcnt_u32_b32 v20, v21, v20
	s_waitcnt lgkmcnt(0)
	v_add_u32_e32 v20, v117, v20
	ds_write_b32 v119, v20
.LBB1636_436:                           ;   in Loop: Header=BB1636_400 Depth=2
	s_or_b64 exec, exec, s[36:37]
	; wave barrier
	s_waitcnt lgkmcnt(0)
	s_barrier
	ds_read_b32 v120, v42 offset:1040
	ds_read2_b32 v[22:23], v44 offset0:1 offset1:2
	ds_read2_b32 v[20:21], v44 offset0:3 offset1:4
	s_waitcnt lgkmcnt(1)
	v_add3_u32 v121, v22, v120, v23
	s_waitcnt lgkmcnt(0)
	v_add3_u32 v21, v121, v20, v21
	s_nop 1
	v_mov_b32_dpp v121, v21 row_shr:1 row_mask:0xf bank_mask:0xf
	v_cndmask_b32_e64 v121, v121, 0, s[16:17]
	v_add_u32_e32 v21, v121, v21
	s_nop 1
	v_mov_b32_dpp v121, v21 row_shr:2 row_mask:0xf bank_mask:0xf
	v_cndmask_b32_e64 v121, 0, v121, s[18:19]
	v_add_u32_e32 v21, v21, v121
	;; [unrolled: 4-line block ×4, first 2 shown]
	s_nop 1
	v_mov_b32_dpp v121, v21 row_bcast:15 row_mask:0xf bank_mask:0xf
	v_cndmask_b32_e64 v121, v121, 0, s[24:25]
	v_add_u32_e32 v21, v21, v121
	s_nop 1
	v_mov_b32_dpp v121, v21 row_bcast:31 row_mask:0xf bank_mask:0xf
	v_cndmask_b32_e64 v121, 0, v121, s[26:27]
	v_add_u32_e32 v21, v21, v121
	s_and_saveexec_b64 s[36:37], s[6:7]
	s_cbranch_execz .LBB1636_438
; %bb.437:                              ;   in Loop: Header=BB1636_400 Depth=2
	ds_write_b32 v35, v21 offset:1024
.LBB1636_438:                           ;   in Loop: Header=BB1636_400 Depth=2
	s_or_b64 exec, exec, s[36:37]
	s_waitcnt lgkmcnt(0)
	s_barrier
	s_and_saveexec_b64 s[36:37], s[8:9]
	s_cbranch_execz .LBB1636_440
; %bb.439:                              ;   in Loop: Header=BB1636_400 Depth=2
	v_add_u32_e32 v121, v42, v45
	ds_read_b32 v122, v121 offset:1024
	s_waitcnt lgkmcnt(0)
	s_nop 0
	v_mov_b32_dpp v123, v122 row_shr:1 row_mask:0xf bank_mask:0xf
	v_cndmask_b32_e64 v123, v123, 0, s[30:31]
	v_add_u32_e32 v122, v123, v122
	s_nop 1
	v_mov_b32_dpp v123, v122 row_shr:2 row_mask:0xf bank_mask:0xf
	v_cndmask_b32_e64 v123, 0, v123, s[34:35]
	v_add_u32_e32 v122, v122, v123
	ds_write_b32 v121, v122 offset:1024
.LBB1636_440:                           ;   in Loop: Header=BB1636_400 Depth=2
	s_or_b64 exec, exec, s[36:37]
	v_mov_b32_e32 v121, 0
	s_waitcnt lgkmcnt(0)
	s_barrier
	s_and_saveexec_b64 s[36:37], s[10:11]
	s_cbranch_execz .LBB1636_442
; %bb.441:                              ;   in Loop: Header=BB1636_400 Depth=2
	ds_read_b32 v121, v35 offset:1020
.LBB1636_442:                           ;   in Loop: Header=BB1636_400 Depth=2
	s_or_b64 exec, exec, s[36:37]
	s_waitcnt lgkmcnt(0)
	v_add_u32_e32 v21, v121, v21
	ds_bpermute_b32 v21, v65, v21
	s_waitcnt lgkmcnt(0)
	v_cndmask_b32_e64 v21, v21, v121, s[28:29]
	v_cndmask_b32_e64 v21, v21, 0, s[12:13]
	v_add_u32_e32 v120, v21, v120
	ds_write_b32 v42, v21 offset:1040
	v_add_u32_e32 v21, v120, v22
	v_add_u32_e32 v22, v21, v23
	;; [unrolled: 1-line block ×3, first 2 shown]
	ds_write2_b32 v44, v120, v21 offset0:1 offset1:2
	ds_write2_b32 v44, v22, v20 offset0:3 offset1:4
	s_waitcnt lgkmcnt(0)
	s_barrier
	ds_read_b32 v20, v101
	ds_read_b32 v21, v102
	ds_read_b32 v23, v103
	ds_read_b32 v110, v110
	ds_read_b32 v113, v113
	ds_read_b32 v116, v116
	ds_read_b32 v119, v119
	ds_read_b32 v98, v98
	ds_read_b32 v101, v42 offset:1040
	v_mov_b32_e32 v22, 0x800
	s_and_saveexec_b64 s[36:37], s[14:15]
	s_cbranch_execz .LBB1636_444
; %bb.443:                              ;   in Loop: Header=BB1636_400 Depth=2
	ds_read_b32 v22, v42 offset:1060
.LBB1636_444:                           ;   in Loop: Header=BB1636_400 Depth=2
	s_or_b64 exec, exec, s[36:37]
	s_waitcnt lgkmcnt(0)
	s_barrier
	s_and_saveexec_b64 s[36:37], s[4:5]
	s_cbranch_execz .LBB1636_446
; %bb.445:                              ;   in Loop: Header=BB1636_400 Depth=2
	ds_read_b32 v102, v3
	s_waitcnt lgkmcnt(0)
	v_sub_u32_e32 v101, v102, v101
	ds_write_b32 v3, v101
.LBB1636_446:                           ;   in Loop: Header=BB1636_400 Depth=2
	s_or_b64 exec, exec, s[36:37]
	v_add_u32_e32 v103, v98, v97
	v_add3_u32 v102, v100, v99, v20
	v_add3_u32 v101, v105, v104, v21
	;; [unrolled: 1-line block ×7, first 2 shown]
	v_cmp_lt_u32_e64 s[48:49], v2, v0
	ds_write_b8 v103, v89 offset:1024
	ds_write_b8 v102, v90 offset:1024
	;; [unrolled: 1-line block ×8, first 2 shown]
	s_waitcnt lgkmcnt(0)
	s_barrier
	s_and_saveexec_b64 s[36:37], s[48:49]
	s_cbranch_execz .LBB1636_454
; %bb.447:                              ;   in Loop: Header=BB1636_400 Depth=2
	ds_read_u8 v20, v2 offset:1024
	s_waitcnt lgkmcnt(0)
	v_and_b32_e32 v21, 1, v20
	v_lshrrev_b32_e32 v21, s69, v21
	v_and_b32_e32 v21, s77, v21
	v_lshlrev_b32_e32 v21, 2, v21
	ds_read_b32 v21, v21
	s_waitcnt lgkmcnt(0)
	v_add_u32_e32 v21, v21, v2
	global_store_byte v21, v20, s[58:59]
	s_or_b64 exec, exec, s[36:37]
	v_cmp_lt_u32_e64 s[46:47], v24, v0
	s_and_saveexec_b64 s[36:37], s[46:47]
	s_cbranch_execnz .LBB1636_455
.LBB1636_448:                           ;   in Loop: Header=BB1636_400 Depth=2
	s_or_b64 exec, exec, s[36:37]
	v_cmp_lt_u32_e64 s[44:45], v25, v0
	s_and_saveexec_b64 s[36:37], s[44:45]
	s_cbranch_execz .LBB1636_456
.LBB1636_449:                           ;   in Loop: Header=BB1636_400 Depth=2
	ds_read_u8 v20, v30 offset:512
	s_waitcnt lgkmcnt(0)
	v_and_b32_e32 v21, 1, v20
	v_lshrrev_b32_e32 v21, s69, v21
	v_and_b32_e32 v21, s77, v21
	v_lshlrev_b32_e32 v21, 2, v21
	ds_read_b32 v21, v21
	s_waitcnt lgkmcnt(0)
	v_add_u32_e32 v21, v21, v25
	global_store_byte v21, v20, s[58:59]
	s_or_b64 exec, exec, s[36:37]
	v_cmp_lt_u32_e64 s[42:43], v26, v0
	s_and_saveexec_b64 s[36:37], s[42:43]
	s_cbranch_execnz .LBB1636_457
.LBB1636_450:                           ;   in Loop: Header=BB1636_400 Depth=2
	s_or_b64 exec, exec, s[36:37]
	v_cmp_lt_u32_e64 s[40:41], v30, v0
	s_and_saveexec_b64 s[36:37], s[40:41]
	s_cbranch_execz .LBB1636_458
.LBB1636_451:                           ;   in Loop: Header=BB1636_400 Depth=2
	ds_read_u8 v20, v30 offset:1024
	s_waitcnt lgkmcnt(0)
	v_and_b32_e32 v21, 1, v20
	v_lshrrev_b32_e32 v21, s69, v21
	v_and_b32_e32 v21, s77, v21
	v_lshlrev_b32_e32 v21, 2, v21
	ds_read_b32 v21, v21
	s_waitcnt lgkmcnt(0)
	v_add_u32_e32 v21, v21, v30
	global_store_byte v21, v20, s[58:59]
	s_or_b64 exec, exec, s[36:37]
	v_cmp_lt_u32_e64 s[38:39], v31, v0
	s_and_saveexec_b64 s[36:37], s[38:39]
	s_cbranch_execnz .LBB1636_459
.LBB1636_452:                           ;   in Loop: Header=BB1636_400 Depth=2
	s_or_b64 exec, exec, s[36:37]
	v_cmp_lt_u32_e64 s[36:37], v32, v0
	s_and_saveexec_b64 s[52:53], s[36:37]
	s_cbranch_execz .LBB1636_460
.LBB1636_453:                           ;   in Loop: Header=BB1636_400 Depth=2
	ds_read_u8 v20, v30 offset:1536
	s_waitcnt lgkmcnt(0)
	v_and_b32_e32 v21, 1, v20
	v_lshrrev_b32_e32 v21, s69, v21
	v_and_b32_e32 v21, s77, v21
	v_lshlrev_b32_e32 v21, 2, v21
	ds_read_b32 v21, v21
	s_waitcnt lgkmcnt(0)
	v_add_u32_e32 v21, v21, v32
	global_store_byte v21, v20, s[58:59]
	s_or_b64 exec, exec, s[52:53]
	v_cmp_lt_u32_e32 vcc, v33, v0
	s_and_saveexec_b64 s[52:53], vcc
	s_cbranch_execnz .LBB1636_461
	s_branch .LBB1636_462
.LBB1636_454:                           ;   in Loop: Header=BB1636_400 Depth=2
	s_or_b64 exec, exec, s[36:37]
	v_cmp_lt_u32_e64 s[46:47], v24, v0
	s_and_saveexec_b64 s[36:37], s[46:47]
	s_cbranch_execz .LBB1636_448
.LBB1636_455:                           ;   in Loop: Header=BB1636_400 Depth=2
	ds_read_u8 v20, v30 offset:256
	s_waitcnt lgkmcnt(0)
	v_and_b32_e32 v21, 1, v20
	v_lshrrev_b32_e32 v21, s69, v21
	v_and_b32_e32 v21, s77, v21
	v_lshlrev_b32_e32 v21, 2, v21
	ds_read_b32 v21, v21
	s_waitcnt lgkmcnt(0)
	v_add_u32_e32 v21, v21, v24
	global_store_byte v21, v20, s[58:59]
	s_or_b64 exec, exec, s[36:37]
	v_cmp_lt_u32_e64 s[44:45], v25, v0
	s_and_saveexec_b64 s[36:37], s[44:45]
	s_cbranch_execnz .LBB1636_449
.LBB1636_456:                           ;   in Loop: Header=BB1636_400 Depth=2
	s_or_b64 exec, exec, s[36:37]
	v_cmp_lt_u32_e64 s[42:43], v26, v0
	s_and_saveexec_b64 s[36:37], s[42:43]
	s_cbranch_execz .LBB1636_450
.LBB1636_457:                           ;   in Loop: Header=BB1636_400 Depth=2
	ds_read_u8 v20, v30 offset:768
	s_waitcnt lgkmcnt(0)
	v_and_b32_e32 v21, 1, v20
	v_lshrrev_b32_e32 v21, s69, v21
	v_and_b32_e32 v21, s77, v21
	v_lshlrev_b32_e32 v21, 2, v21
	ds_read_b32 v21, v21
	s_waitcnt lgkmcnt(0)
	v_add_u32_e32 v21, v21, v26
	global_store_byte v21, v20, s[58:59]
	s_or_b64 exec, exec, s[36:37]
	v_cmp_lt_u32_e64 s[40:41], v30, v0
	s_and_saveexec_b64 s[36:37], s[40:41]
	s_cbranch_execnz .LBB1636_451
.LBB1636_458:                           ;   in Loop: Header=BB1636_400 Depth=2
	s_or_b64 exec, exec, s[36:37]
	v_cmp_lt_u32_e64 s[38:39], v31, v0
	s_and_saveexec_b64 s[36:37], s[38:39]
	s_cbranch_execz .LBB1636_452
.LBB1636_459:                           ;   in Loop: Header=BB1636_400 Depth=2
	ds_read_u8 v20, v30 offset:1280
	s_waitcnt lgkmcnt(0)
	v_and_b32_e32 v21, 1, v20
	v_lshrrev_b32_e32 v21, s69, v21
	v_and_b32_e32 v21, s77, v21
	v_lshlrev_b32_e32 v21, 2, v21
	ds_read_b32 v21, v21
	s_waitcnt lgkmcnt(0)
	v_add_u32_e32 v21, v21, v31
	global_store_byte v21, v20, s[58:59]
	s_or_b64 exec, exec, s[36:37]
	v_cmp_lt_u32_e64 s[36:37], v32, v0
	s_and_saveexec_b64 s[52:53], s[36:37]
	s_cbranch_execnz .LBB1636_453
.LBB1636_460:                           ;   in Loop: Header=BB1636_400 Depth=2
	s_or_b64 exec, exec, s[52:53]
	v_cmp_lt_u32_e32 vcc, v33, v0
	s_and_saveexec_b64 s[52:53], vcc
	s_cbranch_execz .LBB1636_462
.LBB1636_461:                           ;   in Loop: Header=BB1636_400 Depth=2
	ds_read_u8 v20, v30 offset:1792
	s_waitcnt lgkmcnt(0)
	v_and_b32_e32 v21, 1, v20
	v_lshrrev_b32_e32 v21, s69, v21
	v_and_b32_e32 v21, s77, v21
	v_lshlrev_b32_e32 v21, 2, v21
	ds_read_b32 v21, v21
	s_waitcnt lgkmcnt(0)
	v_add_u32_e32 v21, v21, v33
	global_store_byte v21, v20, s[58:59]
.LBB1636_462:                           ;   in Loop: Header=BB1636_400 Depth=2
	s_or_b64 exec, exec, s[52:53]
	s_lshl_b64 s[52:53], s[72:73], 3
	v_mov_b32_e32 v21, s53
	v_add_co_u32_e64 v20, s[52:53], s52, v77
	v_addc_co_u32_e64 v21, s[52:53], v78, v21, s[52:53]
	v_cmp_lt_u32_e64 s[52:53], v72, v0
	s_and_saveexec_b64 s[62:63], s[52:53]
	s_xor_b64 s[52:53], exec, s[62:63]
	s_cbranch_execz .LBB1636_478
; %bb.463:                              ;   in Loop: Header=BB1636_400 Depth=2
	global_load_dwordx2 v[18:19], v[20:21], off
	s_or_b64 exec, exec, s[52:53]
	v_cmp_lt_u32_e64 s[52:53], v79, v0
	s_and_saveexec_b64 s[62:63], s[52:53]
	s_cbranch_execnz .LBB1636_479
.LBB1636_464:                           ;   in Loop: Header=BB1636_400 Depth=2
	s_or_b64 exec, exec, s[62:63]
	v_cmp_lt_u32_e64 s[52:53], v80, v0
	s_and_saveexec_b64 s[62:63], s[52:53]
	s_cbranch_execz .LBB1636_480
.LBB1636_465:                           ;   in Loop: Header=BB1636_400 Depth=2
	global_load_dwordx2 v[14:15], v[20:21], off offset:1024
	s_or_b64 exec, exec, s[62:63]
	v_cmp_lt_u32_e64 s[52:53], v81, v0
	s_and_saveexec_b64 s[62:63], s[52:53]
	s_cbranch_execnz .LBB1636_481
.LBB1636_466:                           ;   in Loop: Header=BB1636_400 Depth=2
	s_or_b64 exec, exec, s[62:63]
	v_cmp_lt_u32_e64 s[52:53], v82, v0
	s_and_saveexec_b64 s[62:63], s[52:53]
	s_cbranch_execz .LBB1636_482
.LBB1636_467:                           ;   in Loop: Header=BB1636_400 Depth=2
	global_load_dwordx2 v[10:11], v[20:21], off offset:2048
	s_or_b64 exec, exec, s[62:63]
	v_cmp_lt_u32_e64 s[52:53], v83, v0
	s_and_saveexec_b64 s[62:63], s[52:53]
	s_cbranch_execnz .LBB1636_483
.LBB1636_468:                           ;   in Loop: Header=BB1636_400 Depth=2
	s_or_b64 exec, exec, s[62:63]
	v_cmp_lt_u32_e64 s[52:53], v84, v0
	s_and_saveexec_b64 s[62:63], s[52:53]
	s_cbranch_execz .LBB1636_484
.LBB1636_469:                           ;   in Loop: Header=BB1636_400 Depth=2
	global_load_dwordx2 v[6:7], v[20:21], off offset:3072
	s_or_b64 exec, exec, s[62:63]
	v_cmp_lt_u32_e64 s[52:53], v85, v0
	s_and_saveexec_b64 s[62:63], s[52:53]
	s_cbranch_execnz .LBB1636_485
.LBB1636_470:                           ;   in Loop: Header=BB1636_400 Depth=2
	s_or_b64 exec, exec, s[62:63]
	s_and_saveexec_b64 s[52:53], s[48:49]
	s_cbranch_execz .LBB1636_486
.LBB1636_471:                           ;   in Loop: Header=BB1636_400 Depth=2
	ds_read_u8 v0, v2 offset:1024
	s_waitcnt lgkmcnt(0)
	v_lshrrev_b32_e32 v0, s69, v0
	v_and_b32_e32 v75, s77, v0
	s_or_b64 exec, exec, s[52:53]
	s_and_saveexec_b64 s[52:53], s[46:47]
	s_cbranch_execnz .LBB1636_487
.LBB1636_472:                           ;   in Loop: Header=BB1636_400 Depth=2
	s_or_b64 exec, exec, s[52:53]
	s_and_saveexec_b64 s[52:53], s[44:45]
	s_cbranch_execz .LBB1636_488
.LBB1636_473:                           ;   in Loop: Header=BB1636_400 Depth=2
	ds_read_u8 v0, v30 offset:512
	s_waitcnt lgkmcnt(0)
	v_lshrrev_b32_e32 v0, s69, v0
	v_and_b32_e32 v71, s77, v0
	s_or_b64 exec, exec, s[52:53]
	s_and_saveexec_b64 s[52:53], s[42:43]
	s_cbranch_execnz .LBB1636_489
.LBB1636_474:                           ;   in Loop: Header=BB1636_400 Depth=2
	s_or_b64 exec, exec, s[52:53]
	s_and_saveexec_b64 s[52:53], s[40:41]
	s_cbranch_execz .LBB1636_490
.LBB1636_475:                           ;   in Loop: Header=BB1636_400 Depth=2
	ds_read_u8 v0, v30 offset:1024
	s_waitcnt lgkmcnt(0)
	v_lshrrev_b32_e32 v0, s69, v0
	v_and_b32_e32 v69, s77, v0
	s_or_b64 exec, exec, s[52:53]
	s_and_saveexec_b64 s[52:53], s[38:39]
	s_cbranch_execnz .LBB1636_491
.LBB1636_476:                           ;   in Loop: Header=BB1636_400 Depth=2
	s_or_b64 exec, exec, s[52:53]
	s_and_saveexec_b64 s[52:53], s[36:37]
	s_cbranch_execz .LBB1636_492
.LBB1636_477:                           ;   in Loop: Header=BB1636_400 Depth=2
	ds_read_u8 v0, v30 offset:1536
	s_waitcnt lgkmcnt(0)
	v_lshrrev_b32_e32 v0, s69, v0
	v_and_b32_e32 v67, s77, v0
	s_or_b64 exec, exec, s[52:53]
	s_and_saveexec_b64 s[52:53], vcc
	s_cbranch_execnz .LBB1636_493
	s_branch .LBB1636_494
.LBB1636_478:                           ;   in Loop: Header=BB1636_400 Depth=2
	s_or_b64 exec, exec, s[52:53]
	v_cmp_lt_u32_e64 s[52:53], v79, v0
	s_and_saveexec_b64 s[62:63], s[52:53]
	s_cbranch_execz .LBB1636_464
.LBB1636_479:                           ;   in Loop: Header=BB1636_400 Depth=2
	global_load_dwordx2 v[16:17], v[20:21], off offset:512
	s_or_b64 exec, exec, s[62:63]
	v_cmp_lt_u32_e64 s[52:53], v80, v0
	s_and_saveexec_b64 s[62:63], s[52:53]
	s_cbranch_execnz .LBB1636_465
.LBB1636_480:                           ;   in Loop: Header=BB1636_400 Depth=2
	s_or_b64 exec, exec, s[62:63]
	v_cmp_lt_u32_e64 s[52:53], v81, v0
	s_and_saveexec_b64 s[62:63], s[52:53]
	s_cbranch_execz .LBB1636_466
.LBB1636_481:                           ;   in Loop: Header=BB1636_400 Depth=2
	global_load_dwordx2 v[12:13], v[20:21], off offset:1536
	s_or_b64 exec, exec, s[62:63]
	v_cmp_lt_u32_e64 s[52:53], v82, v0
	s_and_saveexec_b64 s[62:63], s[52:53]
	s_cbranch_execnz .LBB1636_467
.LBB1636_482:                           ;   in Loop: Header=BB1636_400 Depth=2
	s_or_b64 exec, exec, s[62:63]
	v_cmp_lt_u32_e64 s[52:53], v83, v0
	s_and_saveexec_b64 s[62:63], s[52:53]
	s_cbranch_execz .LBB1636_468
.LBB1636_483:                           ;   in Loop: Header=BB1636_400 Depth=2
	global_load_dwordx2 v[8:9], v[20:21], off offset:2560
	s_or_b64 exec, exec, s[62:63]
	v_cmp_lt_u32_e64 s[52:53], v84, v0
	s_and_saveexec_b64 s[62:63], s[52:53]
	s_cbranch_execnz .LBB1636_469
.LBB1636_484:                           ;   in Loop: Header=BB1636_400 Depth=2
	s_or_b64 exec, exec, s[62:63]
	v_cmp_lt_u32_e64 s[52:53], v85, v0
	s_and_saveexec_b64 s[62:63], s[52:53]
	s_cbranch_execz .LBB1636_470
.LBB1636_485:                           ;   in Loop: Header=BB1636_400 Depth=2
	global_load_dwordx2 v[4:5], v[20:21], off offset:3584
	s_or_b64 exec, exec, s[62:63]
	s_and_saveexec_b64 s[52:53], s[48:49]
	s_cbranch_execnz .LBB1636_471
.LBB1636_486:                           ;   in Loop: Header=BB1636_400 Depth=2
	s_or_b64 exec, exec, s[52:53]
	s_and_saveexec_b64 s[52:53], s[46:47]
	s_cbranch_execz .LBB1636_472
.LBB1636_487:                           ;   in Loop: Header=BB1636_400 Depth=2
	ds_read_u8 v0, v30 offset:256
	s_waitcnt lgkmcnt(0)
	v_lshrrev_b32_e32 v0, s69, v0
	v_and_b32_e32 v73, s77, v0
	s_or_b64 exec, exec, s[52:53]
	s_and_saveexec_b64 s[52:53], s[44:45]
	s_cbranch_execnz .LBB1636_473
.LBB1636_488:                           ;   in Loop: Header=BB1636_400 Depth=2
	s_or_b64 exec, exec, s[52:53]
	s_and_saveexec_b64 s[52:53], s[42:43]
	s_cbranch_execz .LBB1636_474
.LBB1636_489:                           ;   in Loop: Header=BB1636_400 Depth=2
	ds_read_u8 v0, v30 offset:768
	s_waitcnt lgkmcnt(0)
	v_lshrrev_b32_e32 v0, s69, v0
	v_and_b32_e32 v70, s77, v0
	s_or_b64 exec, exec, s[52:53]
	s_and_saveexec_b64 s[52:53], s[40:41]
	s_cbranch_execnz .LBB1636_475
.LBB1636_490:                           ;   in Loop: Header=BB1636_400 Depth=2
	s_or_b64 exec, exec, s[52:53]
	s_and_saveexec_b64 s[52:53], s[38:39]
	s_cbranch_execz .LBB1636_476
.LBB1636_491:                           ;   in Loop: Header=BB1636_400 Depth=2
	ds_read_u8 v0, v30 offset:1280
	s_waitcnt lgkmcnt(0)
	v_lshrrev_b32_e32 v0, s69, v0
	v_and_b32_e32 v68, s77, v0
	s_or_b64 exec, exec, s[52:53]
	s_and_saveexec_b64 s[52:53], s[36:37]
	s_cbranch_execnz .LBB1636_477
.LBB1636_492:                           ;   in Loop: Header=BB1636_400 Depth=2
	s_or_b64 exec, exec, s[52:53]
	s_and_saveexec_b64 s[52:53], vcc
	s_cbranch_execz .LBB1636_494
.LBB1636_493:                           ;   in Loop: Header=BB1636_400 Depth=2
	ds_read_u8 v0, v30 offset:1792
	s_waitcnt lgkmcnt(0)
	v_lshrrev_b32_e32 v0, s69, v0
	v_and_b32_e32 v66, s77, v0
.LBB1636_494:                           ;   in Loop: Header=BB1636_400 Depth=2
	s_or_b64 exec, exec, s[52:53]
	v_lshlrev_b32_e32 v0, 3, v103
	s_barrier
	s_waitcnt vmcnt(0)
	ds_write_b64 v0, v[18:19] offset:1024
	v_lshlrev_b32_e32 v0, 3, v102
	ds_write_b64 v0, v[16:17] offset:1024
	v_lshlrev_b32_e32 v0, 3, v101
	;; [unrolled: 2-line block ×7, first 2 shown]
	ds_write_b64 v0, v[4:5] offset:1024
	s_waitcnt lgkmcnt(0)
	s_barrier
	s_and_saveexec_b64 s[52:53], s[48:49]
	s_cbranch_execz .LBB1636_502
; %bb.495:                              ;   in Loop: Header=BB1636_400 Depth=2
	v_lshlrev_b32_e32 v0, 2, v75
	ds_read_b32 v0, v0
	v_add_u32_e32 v20, v2, v50
	ds_read_b64 v[20:21], v20 offset:1024
	v_mov_b32_e32 v23, s65
	s_waitcnt lgkmcnt(1)
	v_add_u32_e32 v0, v0, v2
	v_lshlrev_b64 v[90:91], 3, v[0:1]
	v_add_co_u32_e64 v90, s[48:49], s64, v90
	v_addc_co_u32_e64 v91, s[48:49], v23, v91, s[48:49]
	s_waitcnt lgkmcnt(0)
	global_store_dwordx2 v[90:91], v[20:21], off
	s_or_b64 exec, exec, s[52:53]
	s_and_saveexec_b64 s[48:49], s[46:47]
	s_cbranch_execnz .LBB1636_503
.LBB1636_496:                           ;   in Loop: Header=BB1636_400 Depth=2
	s_or_b64 exec, exec, s[48:49]
	s_and_saveexec_b64 s[46:47], s[44:45]
	s_cbranch_execz .LBB1636_504
.LBB1636_497:                           ;   in Loop: Header=BB1636_400 Depth=2
	v_lshlrev_b32_e32 v0, 2, v71
	ds_read_b32 v0, v0
	v_add_u32_e32 v20, v30, v50
	ds_read_b64 v[20:21], v20 offset:4096
	v_mov_b32_e32 v23, s65
	s_waitcnt lgkmcnt(1)
	v_add_u32_e32 v0, v0, v25
	v_lshlrev_b64 v[90:91], 3, v[0:1]
	v_add_co_u32_e64 v90, s[44:45], s64, v90
	v_addc_co_u32_e64 v91, s[44:45], v23, v91, s[44:45]
	s_waitcnt lgkmcnt(0)
	global_store_dwordx2 v[90:91], v[20:21], off
	s_or_b64 exec, exec, s[46:47]
	s_and_saveexec_b64 s[44:45], s[42:43]
	s_cbranch_execnz .LBB1636_505
.LBB1636_498:                           ;   in Loop: Header=BB1636_400 Depth=2
	s_or_b64 exec, exec, s[44:45]
	s_and_saveexec_b64 s[42:43], s[40:41]
	s_cbranch_execz .LBB1636_506
.LBB1636_499:                           ;   in Loop: Header=BB1636_400 Depth=2
	v_lshlrev_b32_e32 v0, 2, v69
	ds_read_b32 v0, v0
	v_add_u32_e32 v20, v30, v50
	ds_read_b64 v[20:21], v20 offset:8192
	v_mov_b32_e32 v23, s65
	s_waitcnt lgkmcnt(1)
	v_add_u32_e32 v0, v0, v30
	v_lshlrev_b64 v[90:91], 3, v[0:1]
	v_add_co_u32_e64 v90, s[40:41], s64, v90
	v_addc_co_u32_e64 v91, s[40:41], v23, v91, s[40:41]
	s_waitcnt lgkmcnt(0)
	global_store_dwordx2 v[90:91], v[20:21], off
	s_or_b64 exec, exec, s[42:43]
	s_and_saveexec_b64 s[40:41], s[38:39]
	s_cbranch_execnz .LBB1636_507
.LBB1636_500:                           ;   in Loop: Header=BB1636_400 Depth=2
	s_or_b64 exec, exec, s[40:41]
	s_and_saveexec_b64 s[38:39], s[36:37]
	s_cbranch_execz .LBB1636_508
.LBB1636_501:                           ;   in Loop: Header=BB1636_400 Depth=2
	v_lshlrev_b32_e32 v0, 2, v67
	ds_read_b32 v0, v0
	v_add_u32_e32 v20, v30, v50
	ds_read_b64 v[20:21], v20 offset:12288
	v_mov_b32_e32 v23, s65
	s_waitcnt lgkmcnt(1)
	v_add_u32_e32 v0, v0, v32
	v_lshlrev_b64 v[90:91], 3, v[0:1]
	v_add_co_u32_e64 v90, s[36:37], s64, v90
	v_addc_co_u32_e64 v91, s[36:37], v23, v91, s[36:37]
	s_waitcnt lgkmcnt(0)
	global_store_dwordx2 v[90:91], v[20:21], off
	s_or_b64 exec, exec, s[38:39]
	s_and_saveexec_b64 s[36:37], vcc
	s_cbranch_execnz .LBB1636_509
	s_branch .LBB1636_510
.LBB1636_502:                           ;   in Loop: Header=BB1636_400 Depth=2
	s_or_b64 exec, exec, s[52:53]
	s_and_saveexec_b64 s[48:49], s[46:47]
	s_cbranch_execz .LBB1636_496
.LBB1636_503:                           ;   in Loop: Header=BB1636_400 Depth=2
	v_lshlrev_b32_e32 v0, 2, v73
	ds_read_b32 v0, v0
	v_add_u32_e32 v20, v30, v50
	ds_read_b64 v[20:21], v20 offset:2048
	v_mov_b32_e32 v23, s65
	s_waitcnt lgkmcnt(1)
	v_add_u32_e32 v0, v0, v24
	v_lshlrev_b64 v[90:91], 3, v[0:1]
	v_add_co_u32_e64 v90, s[46:47], s64, v90
	v_addc_co_u32_e64 v91, s[46:47], v23, v91, s[46:47]
	s_waitcnt lgkmcnt(0)
	global_store_dwordx2 v[90:91], v[20:21], off
	s_or_b64 exec, exec, s[48:49]
	s_and_saveexec_b64 s[46:47], s[44:45]
	s_cbranch_execnz .LBB1636_497
.LBB1636_504:                           ;   in Loop: Header=BB1636_400 Depth=2
	s_or_b64 exec, exec, s[46:47]
	s_and_saveexec_b64 s[44:45], s[42:43]
	s_cbranch_execz .LBB1636_498
.LBB1636_505:                           ;   in Loop: Header=BB1636_400 Depth=2
	v_lshlrev_b32_e32 v0, 2, v70
	ds_read_b32 v0, v0
	v_add_u32_e32 v20, v30, v50
	ds_read_b64 v[20:21], v20 offset:6144
	v_mov_b32_e32 v23, s65
	s_waitcnt lgkmcnt(1)
	v_add_u32_e32 v0, v0, v26
	v_lshlrev_b64 v[90:91], 3, v[0:1]
	v_add_co_u32_e64 v90, s[42:43], s64, v90
	v_addc_co_u32_e64 v91, s[42:43], v23, v91, s[42:43]
	s_waitcnt lgkmcnt(0)
	global_store_dwordx2 v[90:91], v[20:21], off
	s_or_b64 exec, exec, s[44:45]
	s_and_saveexec_b64 s[42:43], s[40:41]
	s_cbranch_execnz .LBB1636_499
.LBB1636_506:                           ;   in Loop: Header=BB1636_400 Depth=2
	s_or_b64 exec, exec, s[42:43]
	s_and_saveexec_b64 s[40:41], s[38:39]
	s_cbranch_execz .LBB1636_500
.LBB1636_507:                           ;   in Loop: Header=BB1636_400 Depth=2
	v_lshlrev_b32_e32 v0, 2, v68
	ds_read_b32 v0, v0
	v_add_u32_e32 v20, v30, v50
	ds_read_b64 v[20:21], v20 offset:10240
	v_mov_b32_e32 v23, s65
	s_waitcnt lgkmcnt(1)
	v_add_u32_e32 v0, v0, v31
	v_lshlrev_b64 v[90:91], 3, v[0:1]
	v_add_co_u32_e64 v90, s[38:39], s64, v90
	v_addc_co_u32_e64 v91, s[38:39], v23, v91, s[38:39]
	s_waitcnt lgkmcnt(0)
	global_store_dwordx2 v[90:91], v[20:21], off
	s_or_b64 exec, exec, s[40:41]
	s_and_saveexec_b64 s[38:39], s[36:37]
	s_cbranch_execnz .LBB1636_501
.LBB1636_508:                           ;   in Loop: Header=BB1636_400 Depth=2
	s_or_b64 exec, exec, s[38:39]
	s_and_saveexec_b64 s[36:37], vcc
	s_cbranch_execz .LBB1636_510
.LBB1636_509:                           ;   in Loop: Header=BB1636_400 Depth=2
	v_lshlrev_b32_e32 v0, 2, v66
	ds_read_b32 v0, v0
	v_add_u32_e32 v20, v30, v50
	ds_read_b64 v[20:21], v20 offset:14336
	v_mov_b32_e32 v23, s65
	s_waitcnt lgkmcnt(1)
	v_add_u32_e32 v0, v0, v33
	v_lshlrev_b64 v[90:91], 3, v[0:1]
	v_add_co_u32_e32 v90, vcc, s64, v90
	v_addc_co_u32_e32 v91, vcc, v23, v91, vcc
	s_waitcnt lgkmcnt(0)
	global_store_dwordx2 v[90:91], v[20:21], off
.LBB1636_510:                           ;   in Loop: Header=BB1636_400 Depth=2
	s_or_b64 exec, exec, s[36:37]
	s_barrier
	s_and_saveexec_b64 s[36:37], s[4:5]
	s_cbranch_execz .LBB1636_399
; %bb.511:                              ;   in Loop: Header=BB1636_400 Depth=2
	ds_read_b32 v0, v3
	s_waitcnt lgkmcnt(0)
	v_add_u32_e32 v0, v0, v22
	ds_write_b32 v3, v0
	s_branch .LBB1636_399
.LBB1636_512:                           ;   in Loop: Header=BB1636_12 Depth=1
	s_waitcnt lgkmcnt(0)
	s_barrier
	s_mov_b64 s[16:17], 0
.LBB1636_513:                           ;   in Loop: Header=BB1636_12 Depth=1
	s_and_b64 vcc, exec, s[16:17]
	s_cbranch_vccz .LBB1636_11
; %bb.514:                              ;   in Loop: Header=BB1636_12 Depth=1
	s_mov_b32 s20, s71
	s_mov_b32 s22, s51
	s_barrier
	s_waitcnt lgkmcnt(0)
                                        ; implicit-def: $vgpr0
                                        ; implicit-def: $vgpr6
                                        ; implicit-def: $vgpr7
                                        ; implicit-def: $vgpr8
                                        ; implicit-def: $vgpr9
                                        ; implicit-def: $vgpr10
                                        ; implicit-def: $vgpr11
                                        ; implicit-def: $vgpr12
	s_branch .LBB1636_516
.LBB1636_515:                           ;   in Loop: Header=BB1636_516 Depth=2
	s_or_b64 exec, exec, s[16:17]
	s_addk_i32 s20, 0xf800
	s_cmp_ge_u32 s21, s76
	s_mov_b32 s22, s21
	s_cbranch_scc1 .LBB1636_554
.LBB1636_516:                           ;   Parent Loop BB1636_12 Depth=1
                                        ; =>  This Inner Loop Header: Depth=2
	s_add_i32 s21, s22, 0x800
	s_cmp_gt_u32 s21, s76
	s_cbranch_scc1 .LBB1636_519
; %bb.517:                              ;   in Loop: Header=BB1636_516 Depth=2
	v_add_co_u32_e32 v4, vcc, s22, v57
	v_addc_co_u32_e32 v5, vcc, 0, v58, vcc
	global_load_ubyte v20, v[4:5], off offset:1536
	global_load_ubyte v19, v[4:5], off offset:1280
	;; [unrolled: 1-line block ×6, first 2 shown]
	global_load_ubyte v14, v[4:5], off
	v_add_co_u32_e32 v4, vcc, 0x700, v4
	v_addc_co_u32_e32 v5, vcc, 0, v5, vcc
	s_mov_b64 s[16:17], -1
	s_movk_i32 s25, 0x800
	s_cbranch_execz .LBB1636_520
; %bb.518:                              ;   in Loop: Header=BB1636_516 Depth=2
                                        ; implicit-def: $vgpr0
                                        ; implicit-def: $vgpr6
                                        ; implicit-def: $vgpr7
                                        ; implicit-def: $vgpr8
                                        ; implicit-def: $vgpr9
                                        ; implicit-def: $vgpr10
                                        ; implicit-def: $vgpr11
                                        ; implicit-def: $vgpr12
	v_mov_b32_e32 v13, s20
	s_and_saveexec_b64 s[18:19], s[16:17]
	s_cbranch_execnz .LBB1636_531
	s_branch .LBB1636_532
.LBB1636_519:                           ;   in Loop: Header=BB1636_516 Depth=2
	s_mov_b64 s[16:17], 0
                                        ; implicit-def: $sgpr25
                                        ; implicit-def: $vgpr14
                                        ; implicit-def: $vgpr15
                                        ; implicit-def: $vgpr16
                                        ; implicit-def: $vgpr17
                                        ; implicit-def: $vgpr18
                                        ; implicit-def: $vgpr19
                                        ; implicit-def: $vgpr20
                                        ; implicit-def: $vgpr4_vgpr5
.LBB1636_520:                           ;   in Loop: Header=BB1636_516 Depth=2
	s_add_u32 s23, s56, s22
	s_addc_u32 s24, s57, 0
	v_cmp_gt_u32_e32 vcc, s20, v2
	s_and_saveexec_b64 s[18:19], vcc
	s_cbranch_execz .LBB1636_548
; %bb.521:                              ;   in Loop: Header=BB1636_516 Depth=2
	v_mov_b32_e32 v0, s24
	v_add_co_u32_e32 v4, vcc, s23, v2
	v_addc_co_u32_e32 v5, vcc, 0, v0, vcc
	global_load_ubyte v0, v[4:5], off
	s_or_b64 exec, exec, s[18:19]
	v_cmp_gt_u32_e32 vcc, s20, v24
	s_and_saveexec_b64 s[18:19], vcc
	s_cbranch_execnz .LBB1636_549
.LBB1636_522:                           ;   in Loop: Header=BB1636_516 Depth=2
	s_or_b64 exec, exec, s[18:19]
	v_cmp_gt_u32_e32 vcc, s20, v25
	s_and_saveexec_b64 s[18:19], vcc
	s_cbranch_execz .LBB1636_550
.LBB1636_523:                           ;   in Loop: Header=BB1636_516 Depth=2
	v_mov_b32_e32 v5, s24
	v_add_co_u32_e32 v4, vcc, s23, v2
	v_addc_co_u32_e32 v5, vcc, 0, v5, vcc
	global_load_ubyte v7, v[4:5], off offset:512
	s_or_b64 exec, exec, s[18:19]
	v_cmp_gt_u32_e32 vcc, s20, v26
	s_and_saveexec_b64 s[18:19], vcc
	s_cbranch_execnz .LBB1636_551
.LBB1636_524:                           ;   in Loop: Header=BB1636_516 Depth=2
	s_or_b64 exec, exec, s[18:19]
	v_cmp_gt_u32_e32 vcc, s20, v30
	s_and_saveexec_b64 s[18:19], vcc
	s_cbranch_execz .LBB1636_552
.LBB1636_525:                           ;   in Loop: Header=BB1636_516 Depth=2
	v_mov_b32_e32 v5, s24
	v_add_co_u32_e32 v4, vcc, s23, v2
	v_addc_co_u32_e32 v5, vcc, 0, v5, vcc
	global_load_ubyte v9, v[4:5], off offset:1024
	s_or_b64 exec, exec, s[18:19]
	v_cmp_gt_u32_e32 vcc, s20, v31
	s_and_saveexec_b64 s[18:19], vcc
	s_cbranch_execnz .LBB1636_553
.LBB1636_526:                           ;   in Loop: Header=BB1636_516 Depth=2
	s_or_b64 exec, exec, s[18:19]
	v_cmp_gt_u32_e32 vcc, s20, v32
	s_and_saveexec_b64 s[18:19], vcc
	s_cbranch_execz .LBB1636_528
.LBB1636_527:                           ;   in Loop: Header=BB1636_516 Depth=2
	v_mov_b32_e32 v5, s24
	v_add_co_u32_e32 v4, vcc, s23, v2
	v_addc_co_u32_e32 v5, vcc, 0, v5, vcc
	global_load_ubyte v11, v[4:5], off offset:1536
.LBB1636_528:                           ;   in Loop: Header=BB1636_516 Depth=2
	s_or_b64 exec, exec, s[18:19]
	v_cmp_gt_u32_e32 vcc, s20, v33
                                        ; implicit-def: $sgpr25
                                        ; implicit-def: $vgpr4_vgpr5
	s_and_saveexec_b64 s[18:19], vcc
	s_cbranch_execz .LBB1636_530
; %bb.529:                              ;   in Loop: Header=BB1636_516 Depth=2
	v_mov_b32_e32 v4, s24
	v_add_co_u32_e32 v5, vcc, s23, v2
	s_waitcnt vmcnt(0)
	v_addc_co_u32_e32 v12, vcc, 0, v4, vcc
	v_add_co_u32_e32 v4, vcc, 0x700, v5
	s_sub_i32 s25, s76, s22
	v_addc_co_u32_e32 v5, vcc, 0, v12, vcc
	s_or_b64 s[16:17], s[16:17], exec
                                        ; implicit-def: $vgpr12
.LBB1636_530:                           ;   in Loop: Header=BB1636_516 Depth=2
	s_or_b64 exec, exec, s[18:19]
	s_waitcnt vmcnt(0)
	v_mov_b32_e32 v14, v0
	v_mov_b32_e32 v15, v6
	;; [unrolled: 1-line block ×8, first 2 shown]
	s_and_saveexec_b64 s[18:19], s[16:17]
	s_cbranch_execz .LBB1636_532
.LBB1636_531:                           ;   in Loop: Header=BB1636_516 Depth=2
	global_load_ubyte v12, v[4:5], off
	v_mov_b32_e32 v13, s25
	s_waitcnt vmcnt(1)
	v_mov_b32_e32 v0, v14
	v_mov_b32_e32 v6, v15
	;; [unrolled: 1-line block ×7, first 2 shown]
.LBB1636_532:                           ;   in Loop: Header=BB1636_516 Depth=2
	s_or_b64 exec, exec, s[18:19]
	v_cmp_lt_u32_e32 vcc, v2, v13
	v_lshlrev_b32_e32 v4, 2, v27
	s_and_saveexec_b64 s[16:17], vcc
	s_cbranch_execz .LBB1636_540
; %bb.533:                              ;   in Loop: Header=BB1636_516 Depth=2
	v_and_b32_e32 v5, 1, v0
	v_lshrrev_b32_e32 v5, s69, v5
	v_and_b32_e32 v5, s77, v5
	v_lshl_or_b32 v5, v5, 4, v4
	ds_add_u32 v5, v63
	s_or_b64 exec, exec, s[16:17]
	v_cmp_lt_u32_e32 vcc, v24, v13
	s_and_saveexec_b64 s[16:17], vcc
	s_cbranch_execnz .LBB1636_541
.LBB1636_534:                           ;   in Loop: Header=BB1636_516 Depth=2
	s_or_b64 exec, exec, s[16:17]
	v_cmp_lt_u32_e32 vcc, v25, v13
	s_and_saveexec_b64 s[16:17], vcc
	s_cbranch_execz .LBB1636_542
.LBB1636_535:                           ;   in Loop: Header=BB1636_516 Depth=2
	v_and_b32_e32 v5, 1, v7
	v_lshrrev_b32_e32 v5, s69, v5
	v_and_b32_e32 v5, s77, v5
	v_lshl_or_b32 v5, v5, 4, v4
	ds_add_u32 v5, v63
	s_or_b64 exec, exec, s[16:17]
	v_cmp_lt_u32_e32 vcc, v26, v13
	s_and_saveexec_b64 s[16:17], vcc
	s_cbranch_execnz .LBB1636_543
.LBB1636_536:                           ;   in Loop: Header=BB1636_516 Depth=2
	s_or_b64 exec, exec, s[16:17]
	v_cmp_lt_u32_e32 vcc, v30, v13
	s_and_saveexec_b64 s[16:17], vcc
	s_cbranch_execz .LBB1636_544
.LBB1636_537:                           ;   in Loop: Header=BB1636_516 Depth=2
	v_and_b32_e32 v5, 1, v9
	v_lshrrev_b32_e32 v5, s69, v5
	v_and_b32_e32 v5, s77, v5
	v_lshl_or_b32 v5, v5, 4, v4
	ds_add_u32 v5, v63
	s_or_b64 exec, exec, s[16:17]
	v_cmp_lt_u32_e32 vcc, v31, v13
	s_and_saveexec_b64 s[16:17], vcc
	s_cbranch_execnz .LBB1636_545
.LBB1636_538:                           ;   in Loop: Header=BB1636_516 Depth=2
	s_or_b64 exec, exec, s[16:17]
	v_cmp_lt_u32_e32 vcc, v32, v13
	s_and_saveexec_b64 s[16:17], vcc
	s_cbranch_execz .LBB1636_546
.LBB1636_539:                           ;   in Loop: Header=BB1636_516 Depth=2
	v_and_b32_e32 v5, 1, v11
	v_lshrrev_b32_e32 v5, s69, v5
	v_and_b32_e32 v5, s77, v5
	v_lshl_or_b32 v5, v5, 4, v4
	ds_add_u32 v5, v63
	s_or_b64 exec, exec, s[16:17]
	v_cmp_lt_u32_e32 vcc, v33, v13
	s_and_saveexec_b64 s[16:17], vcc
	s_cbranch_execz .LBB1636_515
	s_branch .LBB1636_547
.LBB1636_540:                           ;   in Loop: Header=BB1636_516 Depth=2
	s_or_b64 exec, exec, s[16:17]
	v_cmp_lt_u32_e32 vcc, v24, v13
	s_and_saveexec_b64 s[16:17], vcc
	s_cbranch_execz .LBB1636_534
.LBB1636_541:                           ;   in Loop: Header=BB1636_516 Depth=2
	v_and_b32_e32 v5, 1, v6
	v_lshrrev_b32_e32 v5, s69, v5
	v_and_b32_e32 v5, s77, v5
	v_lshl_or_b32 v5, v5, 4, v4
	ds_add_u32 v5, v63
	s_or_b64 exec, exec, s[16:17]
	v_cmp_lt_u32_e32 vcc, v25, v13
	s_and_saveexec_b64 s[16:17], vcc
	s_cbranch_execnz .LBB1636_535
.LBB1636_542:                           ;   in Loop: Header=BB1636_516 Depth=2
	s_or_b64 exec, exec, s[16:17]
	v_cmp_lt_u32_e32 vcc, v26, v13
	s_and_saveexec_b64 s[16:17], vcc
	s_cbranch_execz .LBB1636_536
.LBB1636_543:                           ;   in Loop: Header=BB1636_516 Depth=2
	v_and_b32_e32 v5, 1, v8
	v_lshrrev_b32_e32 v5, s69, v5
	v_and_b32_e32 v5, s77, v5
	v_lshl_or_b32 v5, v5, 4, v4
	ds_add_u32 v5, v63
	s_or_b64 exec, exec, s[16:17]
	v_cmp_lt_u32_e32 vcc, v30, v13
	s_and_saveexec_b64 s[16:17], vcc
	s_cbranch_execnz .LBB1636_537
.LBB1636_544:                           ;   in Loop: Header=BB1636_516 Depth=2
	s_or_b64 exec, exec, s[16:17]
	v_cmp_lt_u32_e32 vcc, v31, v13
	s_and_saveexec_b64 s[16:17], vcc
	s_cbranch_execz .LBB1636_538
.LBB1636_545:                           ;   in Loop: Header=BB1636_516 Depth=2
	v_and_b32_e32 v5, 1, v10
	v_lshrrev_b32_e32 v5, s69, v5
	v_and_b32_e32 v5, s77, v5
	v_lshl_or_b32 v5, v5, 4, v4
	ds_add_u32 v5, v63
	s_or_b64 exec, exec, s[16:17]
	v_cmp_lt_u32_e32 vcc, v32, v13
	s_and_saveexec_b64 s[16:17], vcc
	s_cbranch_execnz .LBB1636_539
.LBB1636_546:                           ;   in Loop: Header=BB1636_516 Depth=2
	s_or_b64 exec, exec, s[16:17]
	v_cmp_lt_u32_e32 vcc, v33, v13
	s_and_saveexec_b64 s[16:17], vcc
	s_cbranch_execz .LBB1636_515
.LBB1636_547:                           ;   in Loop: Header=BB1636_516 Depth=2
	s_waitcnt vmcnt(0)
	v_and_b32_e32 v5, 1, v12
	v_lshrrev_b32_e32 v5, s69, v5
	v_and_b32_e32 v5, s77, v5
	v_lshl_or_b32 v4, v5, 4, v4
	ds_add_u32 v4, v63
	s_branch .LBB1636_515
.LBB1636_548:                           ;   in Loop: Header=BB1636_516 Depth=2
	s_or_b64 exec, exec, s[18:19]
	v_cmp_gt_u32_e32 vcc, s20, v24
	s_and_saveexec_b64 s[18:19], vcc
	s_cbranch_execz .LBB1636_522
.LBB1636_549:                           ;   in Loop: Header=BB1636_516 Depth=2
	v_mov_b32_e32 v5, s24
	v_add_co_u32_e32 v4, vcc, s23, v2
	v_addc_co_u32_e32 v5, vcc, 0, v5, vcc
	global_load_ubyte v6, v[4:5], off offset:256
	s_or_b64 exec, exec, s[18:19]
	v_cmp_gt_u32_e32 vcc, s20, v25
	s_and_saveexec_b64 s[18:19], vcc
	s_cbranch_execnz .LBB1636_523
.LBB1636_550:                           ;   in Loop: Header=BB1636_516 Depth=2
	s_or_b64 exec, exec, s[18:19]
	v_cmp_gt_u32_e32 vcc, s20, v26
	s_and_saveexec_b64 s[18:19], vcc
	s_cbranch_execz .LBB1636_524
.LBB1636_551:                           ;   in Loop: Header=BB1636_516 Depth=2
	v_mov_b32_e32 v5, s24
	v_add_co_u32_e32 v4, vcc, s23, v2
	v_addc_co_u32_e32 v5, vcc, 0, v5, vcc
	global_load_ubyte v8, v[4:5], off offset:768
	s_or_b64 exec, exec, s[18:19]
	v_cmp_gt_u32_e32 vcc, s20, v30
	s_and_saveexec_b64 s[18:19], vcc
	s_cbranch_execnz .LBB1636_525
.LBB1636_552:                           ;   in Loop: Header=BB1636_516 Depth=2
	s_or_b64 exec, exec, s[18:19]
	v_cmp_gt_u32_e32 vcc, s20, v31
	s_and_saveexec_b64 s[18:19], vcc
	s_cbranch_execz .LBB1636_526
.LBB1636_553:                           ;   in Loop: Header=BB1636_516 Depth=2
	v_mov_b32_e32 v5, s24
	v_add_co_u32_e32 v4, vcc, s23, v2
	v_addc_co_u32_e32 v5, vcc, 0, v5, vcc
	global_load_ubyte v10, v[4:5], off offset:1280
	s_or_b64 exec, exec, s[18:19]
	v_cmp_gt_u32_e32 vcc, s20, v32
	s_and_saveexec_b64 s[18:19], vcc
	s_cbranch_execz .LBB1636_528
	s_branch .LBB1636_527
.LBB1636_554:                           ;   in Loop: Header=BB1636_12 Depth=1
	v_mov_b32_e32 v0, 0
	s_waitcnt lgkmcnt(0)
	s_barrier
	s_and_saveexec_b64 s[16:17], s[4:5]
	s_cbranch_execz .LBB1636_556
; %bb.555:                              ;   in Loop: Header=BB1636_12 Depth=1
	ds_read2_b64 v[4:7], v34 offset1:1
	s_waitcnt lgkmcnt(0)
	v_add_u32_e32 v0, v5, v4
	v_add3_u32 v0, v0, v6, v7
.LBB1636_556:                           ;   in Loop: Header=BB1636_12 Depth=1
	s_or_b64 exec, exec, s[16:17]
	v_and_b32_e32 v4, 15, v64
	v_mov_b32_dpp v5, v0 row_shr:1 row_mask:0xf bank_mask:0xf
	v_cmp_eq_u32_e64 s[16:17], 0, v4
	v_cndmask_b32_e64 v5, v5, 0, s[16:17]
	v_add_u32_e32 v0, v5, v0
	v_cmp_lt_u32_e64 s[18:19], 1, v4
	v_cmp_lt_u32_e64 s[20:21], 3, v4
	v_mov_b32_dpp v5, v0 row_shr:2 row_mask:0xf bank_mask:0xf
	v_cndmask_b32_e64 v5, 0, v5, s[18:19]
	v_add_u32_e32 v0, v0, v5
	v_cmp_lt_u32_e64 s[22:23], 7, v4
	v_cmp_lt_u32_e64 s[26:27], 31, v64
	v_mov_b32_dpp v5, v0 row_shr:4 row_mask:0xf bank_mask:0xf
	v_cndmask_b32_e64 v5, 0, v5, s[20:21]
	v_add_u32_e32 v0, v0, v5
	v_and_b32_e32 v6, 16, v64
	v_cmp_eq_u32_e64 s[24:25], 0, v6
	v_mov_b32_dpp v5, v0 row_shr:8 row_mask:0xf bank_mask:0xf
	v_cndmask_b32_e64 v4, 0, v5, s[22:23]
	v_add_u32_e32 v0, v0, v4
	v_bfe_i32 v5, v64, 4, 1
	s_nop 0
	v_mov_b32_dpp v4, v0 row_bcast:15 row_mask:0xf bank_mask:0xf
	v_and_b32_e32 v4, v5, v4
	v_add_u32_e32 v0, v0, v4
	s_nop 1
	v_mov_b32_dpp v4, v0 row_bcast:31 row_mask:0xf bank_mask:0xf
	v_cndmask_b32_e64 v4, 0, v4, s[26:27]
	v_add_u32_e32 v4, v0, v4
	s_and_saveexec_b64 s[28:29], s[6:7]
	s_cbranch_execz .LBB1636_558
; %bb.557:                              ;   in Loop: Header=BB1636_12 Depth=1
	ds_write_b32 v36, v4
.LBB1636_558:                           ;   in Loop: Header=BB1636_12 Depth=1
	s_or_b64 exec, exec, s[28:29]
	v_and_b32_e32 v0, 3, v64
	s_waitcnt lgkmcnt(0)
	s_barrier
	s_and_saveexec_b64 s[28:29], s[8:9]
	s_cbranch_execz .LBB1636_560
; %bb.559:                              ;   in Loop: Header=BB1636_12 Depth=1
	ds_read_b32 v5, v37
	v_cmp_ne_u32_e32 vcc, 0, v0
	s_waitcnt lgkmcnt(0)
	v_mov_b32_dpp v6, v5 row_shr:1 row_mask:0xf bank_mask:0xf
	v_cndmask_b32_e32 v6, 0, v6, vcc
	v_add_u32_e32 v5, v6, v5
	v_cmp_lt_u32_e32 vcc, 1, v0
	s_nop 0
	v_mov_b32_dpp v6, v5 row_shr:2 row_mask:0xf bank_mask:0xf
	v_cndmask_b32_e32 v6, 0, v6, vcc
	v_add_u32_e32 v5, v5, v6
	ds_write_b32 v37, v5
.LBB1636_560:                           ;   in Loop: Header=BB1636_12 Depth=1
	s_or_b64 exec, exec, s[28:29]
	v_mov_b32_e32 v5, 0
	s_waitcnt lgkmcnt(0)
	s_barrier
	s_and_saveexec_b64 s[28:29], s[10:11]
	s_cbranch_execz .LBB1636_562
; %bb.561:                              ;   in Loop: Header=BB1636_12 Depth=1
	ds_read_b32 v5, v38
.LBB1636_562:                           ;   in Loop: Header=BB1636_12 Depth=1
	s_or_b64 exec, exec, s[28:29]
	v_add_u32_e32 v6, -1, v64
	v_and_b32_e32 v7, 64, v64
	v_cmp_lt_i32_e32 vcc, v6, v7
	v_cndmask_b32_e32 v6, v6, v64, vcc
	s_waitcnt lgkmcnt(0)
	v_add_u32_e32 v4, v5, v4
	v_lshlrev_b32_e32 v65, 2, v6
	ds_bpermute_b32 v4, v65, v4
	v_cmp_eq_u32_e64 s[28:29], 0, v64
	s_waitcnt lgkmcnt(0)
	s_barrier
	s_and_saveexec_b64 s[30:31], s[4:5]
	s_cbranch_execz .LBB1636_564
; %bb.563:                              ;   in Loop: Header=BB1636_12 Depth=1
	v_cndmask_b32_e64 v4, v4, v5, s[28:29]
	v_add_u32_e32 v4, s51, v4
	ds_write_b32 v3, v4
.LBB1636_564:                           ;   in Loop: Header=BB1636_12 Depth=1
	s_or_b64 exec, exec, s[30:31]
	s_load_dwordx2 s[30:31], s[74:75], 0x0
	s_mov_b32 s78, s71
	s_mov_b32 s72, s51
                                        ; implicit-def: $vgpr4_vgpr5
                                        ; implicit-def: $vgpr6_vgpr7
                                        ; implicit-def: $vgpr8_vgpr9
                                        ; implicit-def: $vgpr10_vgpr11
                                        ; implicit-def: $vgpr12_vgpr13
                                        ; implicit-def: $vgpr14_vgpr15
                                        ; implicit-def: $vgpr16_vgpr17
                                        ; implicit-def: $vgpr18_vgpr19
                                        ; implicit-def: $vgpr66
                                        ; implicit-def: $vgpr67
                                        ; implicit-def: $vgpr68
                                        ; implicit-def: $vgpr69
                                        ; implicit-def: $vgpr70
                                        ; implicit-def: $vgpr71
                                        ; implicit-def: $vgpr73
                                        ; implicit-def: $vgpr75
	s_waitcnt lgkmcnt(0)
	s_cmp_lt_u32 s50, s30
	s_cselect_b32 s34, 12, 18
	s_cmp_lt_u32 s33, s31
	s_cselect_b32 s30, 14, 20
	s_add_u32 s30, s74, s30
	s_addc_u32 s31, s75, 0
	s_add_u32 s34, s74, s34
	global_load_ushort v20, v1, s[30:31]
	s_addc_u32 s35, s75, 0
	global_load_ushort v21, v1, s[34:35]
	v_cmp_eq_u32_e64 s[30:31], 0, v0
	v_cmp_lt_u32_e64 s[34:35], 1, v0
	v_and_b32_e32 v0, 63, v64
	v_add_co_u32_e32 v74, vcc, v61, v0
	v_lshlrev_b32_e32 v22, 3, v0
	v_addc_co_u32_e32 v76, vcc, 0, v62, vcc
	v_add_co_u32_e32 v77, vcc, v59, v22
	v_or_b32_e32 v72, v0, v39
	v_addc_co_u32_e32 v78, vcc, 0, v60, vcc
	v_add_co_u32_e32 v86, vcc, 0x1c0, v74
	v_or_b32_e32 v79, 64, v72
	v_or_b32_e32 v80, 0x80, v72
	;; [unrolled: 1-line block ×7, first 2 shown]
	v_addc_co_u32_e32 v87, vcc, 0, v76, vcc
	s_waitcnt vmcnt(1)
	v_mad_u32_u24 v0, v40, v20, v41
	s_waitcnt vmcnt(0)
	v_mad_u64_u32 v[20:21], s[36:37], v0, v21, v[2:3]
	v_lshrrev_b32_e32 v88, 6, v20
	s_branch .LBB1636_566
.LBB1636_565:                           ;   in Loop: Header=BB1636_566 Depth=2
	s_or_b64 exec, exec, s[36:37]
	s_addk_i32 s78, 0xf800
	s_cmp_lt_u32 s79, s76
	s_mov_b32 s72, s79
	s_cbranch_scc0 .LBB1636_10
.LBB1636_566:                           ;   Parent Loop BB1636_12 Depth=1
                                        ; =>  This Inner Loop Header: Depth=2
	s_add_i32 s79, s72, 0x800
	s_cmp_gt_u32 s79, s76
	s_cbranch_scc1 .LBB1636_569
; %bb.567:                              ;   in Loop: Header=BB1636_566 Depth=2
	v_add_co_u32_e32 v20, vcc, s72, v74
	v_addc_co_u32_e32 v21, vcc, 0, v76, vcc
	global_load_ubyte v89, v[20:21], off
	global_load_ubyte v90, v[20:21], off offset:64
	global_load_ubyte v91, v[20:21], off offset:128
	;; [unrolled: 1-line block ×6, first 2 shown]
	s_mov_b64 s[36:37], -1
	s_movk_i32 s40, 0x800
	s_cbranch_execz .LBB1636_570
; %bb.568:                              ;   in Loop: Header=BB1636_566 Depth=2
                                        ; implicit-def: $sgpr38
	v_mov_b32_e32 v96, s38
	v_mov_b32_e32 v0, s78
	s_and_saveexec_b64 s[38:39], s[36:37]
	s_cbranch_execnz .LBB1636_585
	s_branch .LBB1636_586
.LBB1636_569:                           ;   in Loop: Header=BB1636_566 Depth=2
	s_mov_b64 s[36:37], 0
                                        ; implicit-def: $sgpr40
                                        ; implicit-def: $vgpr89
                                        ; implicit-def: $vgpr90
                                        ; implicit-def: $vgpr91
                                        ; implicit-def: $vgpr92
                                        ; implicit-def: $vgpr93
                                        ; implicit-def: $vgpr94
                                        ; implicit-def: $vgpr95
.LBB1636_570:                           ;   in Loop: Header=BB1636_566 Depth=2
	v_add_co_u32_e32 v20, vcc, s72, v74
	v_addc_co_u32_e32 v21, vcc, 0, v76, vcc
	v_cmp_gt_u32_e32 vcc, s78, v72
	s_waitcnt vmcnt(5)
	v_mov_b32_e32 v90, 1
	v_mov_b32_e32 v89, 1
	s_and_saveexec_b64 s[36:37], vcc
	s_cbranch_execz .LBB1636_572
; %bb.571:                              ;   in Loop: Header=BB1636_566 Depth=2
	global_load_ubyte v89, v[20:21], off
.LBB1636_572:                           ;   in Loop: Header=BB1636_566 Depth=2
	s_or_b64 exec, exec, s[36:37]
	v_cmp_gt_u32_e32 vcc, s78, v79
	s_and_saveexec_b64 s[36:37], vcc
	s_cbranch_execz .LBB1636_574
; %bb.573:                              ;   in Loop: Header=BB1636_566 Depth=2
	global_load_ubyte v90, v[20:21], off offset:64
.LBB1636_574:                           ;   in Loop: Header=BB1636_566 Depth=2
	s_or_b64 exec, exec, s[36:37]
	v_cmp_gt_u32_e32 vcc, s78, v80
	s_waitcnt vmcnt(3)
	v_mov_b32_e32 v92, 1
	v_mov_b32_e32 v91, 1
	s_and_saveexec_b64 s[36:37], vcc
	s_cbranch_execz .LBB1636_576
; %bb.575:                              ;   in Loop: Header=BB1636_566 Depth=2
	global_load_ubyte v91, v[20:21], off offset:128
.LBB1636_576:                           ;   in Loop: Header=BB1636_566 Depth=2
	s_or_b64 exec, exec, s[36:37]
	v_cmp_gt_u32_e32 vcc, s78, v81
	s_and_saveexec_b64 s[36:37], vcc
	s_cbranch_execz .LBB1636_578
; %bb.577:                              ;   in Loop: Header=BB1636_566 Depth=2
	global_load_ubyte v92, v[20:21], off offset:192
.LBB1636_578:                           ;   in Loop: Header=BB1636_566 Depth=2
	s_or_b64 exec, exec, s[36:37]
	v_cmp_gt_u32_e32 vcc, s78, v82
	s_waitcnt vmcnt(1)
	v_mov_b32_e32 v94, 1
	v_mov_b32_e32 v93, 1
	s_and_saveexec_b64 s[36:37], vcc
	s_cbranch_execz .LBB1636_580
; %bb.579:                              ;   in Loop: Header=BB1636_566 Depth=2
	global_load_ubyte v93, v[20:21], off offset:256
.LBB1636_580:                           ;   in Loop: Header=BB1636_566 Depth=2
	s_or_b64 exec, exec, s[36:37]
	v_cmp_gt_u32_e32 vcc, s78, v83
	s_and_saveexec_b64 s[36:37], vcc
	s_cbranch_execz .LBB1636_582
; %bb.581:                              ;   in Loop: Header=BB1636_566 Depth=2
	global_load_ubyte v94, v[20:21], off offset:320
.LBB1636_582:                           ;   in Loop: Header=BB1636_566 Depth=2
	s_or_b64 exec, exec, s[36:37]
	v_cmp_gt_u32_e32 vcc, s78, v84
	s_waitcnt vmcnt(0)
	v_mov_b32_e32 v95, 1
	s_and_saveexec_b64 s[36:37], vcc
	s_cbranch_execz .LBB1636_584
; %bb.583:                              ;   in Loop: Header=BB1636_566 Depth=2
	global_load_ubyte v95, v[20:21], off offset:384
.LBB1636_584:                           ;   in Loop: Header=BB1636_566 Depth=2
	s_or_b64 exec, exec, s[36:37]
	s_sub_i32 s40, s76, s72
	v_cmp_gt_u32_e64 s[36:37], s78, v85
	s_mov_b32 s38, 1
	v_mov_b32_e32 v96, s38
	v_mov_b32_e32 v0, s78
	s_and_saveexec_b64 s[38:39], s[36:37]
	s_cbranch_execz .LBB1636_586
.LBB1636_585:                           ;   in Loop: Header=BB1636_566 Depth=2
	v_mov_b32_e32 v0, s73
	v_add_co_u32_e32 v20, vcc, s72, v86
	v_addc_co_u32_e32 v21, vcc, v87, v0, vcc
	global_load_ubyte v96, v[20:21], off
	v_mov_b32_e32 v0, s40
.LBB1636_586:                           ;   in Loop: Header=BB1636_566 Depth=2
	s_or_b64 exec, exec, s[38:39]
	v_add_u32_e32 v20, 0x410, v42
	ds_write2_b32 v20, v1, v1 offset1:1
	ds_write2_b32 v44, v1, v1 offset0:2 offset1:3
	ds_write_b32 v44, v1 offset:16
	s_waitcnt vmcnt(6)
	v_lshrrev_b32_sdwa v20, s69, v89 dst_sel:DWORD dst_unused:UNUSED_PAD src0_sel:DWORD src1_sel:BYTE_0
	v_and_b32_e32 v20, s77, v20
	v_mad_u32_u24 v21, v20, 5, v88
	v_cmp_ne_u32_e32 vcc, 0, v20
	v_add_co_u32_e64 v20, s[36:37], -1, v20
	v_lshl_add_u32 v98, v21, 2, v43
	v_addc_co_u32_e64 v21, s[36:37], 0, -1, s[36:37]
	v_xor_b32_e32 v20, vcc_lo, v20
	v_xor_b32_e32 v21, vcc_hi, v21
	v_and_b32_e32 v20, exec_lo, v20
	v_and_b32_e32 v21, exec_hi, v21
	v_mbcnt_lo_u32_b32 v22, v20, 0
	v_mbcnt_hi_u32_b32 v97, v21, v22
	v_cmp_eq_u32_e32 vcc, 0, v97
	v_cmp_ne_u64_e64 s[36:37], 0, v[20:21]
	s_and_b64 s[38:39], s[36:37], vcc
	s_waitcnt lgkmcnt(0)
	s_barrier
	s_waitcnt lgkmcnt(0)
	; wave barrier
	s_and_saveexec_b64 s[36:37], s[38:39]
	s_cbranch_execz .LBB1636_588
; %bb.587:                              ;   in Loop: Header=BB1636_566 Depth=2
	v_bcnt_u32_b32 v20, v20, 0
	v_bcnt_u32_b32 v20, v21, v20
	ds_write_b32 v98, v20
.LBB1636_588:                           ;   in Loop: Header=BB1636_566 Depth=2
	s_or_b64 exec, exec, s[36:37]
	s_waitcnt vmcnt(5)
	v_lshrrev_b32_sdwa v20, s69, v90 dst_sel:DWORD dst_unused:UNUSED_PAD src0_sel:DWORD src1_sel:BYTE_0
	v_and_b32_e32 v20, s77, v20
	v_mul_u32_u24_e32 v21, 5, v20
	v_add_lshl_u32 v21, v21, v88, 2
	v_cmp_ne_u32_e32 vcc, 0, v20
	v_add_co_u32_e64 v20, s[36:37], -1, v20
	; wave barrier
	v_add_u32_e32 v101, 0x410, v21
	ds_read_b32 v99, v21 offset:1040
	v_addc_co_u32_e64 v21, s[36:37], 0, -1, s[36:37]
	v_xor_b32_e32 v20, vcc_lo, v20
	v_xor_b32_e32 v21, vcc_hi, v21
	v_and_b32_e32 v20, exec_lo, v20
	v_and_b32_e32 v21, exec_hi, v21
	v_mbcnt_lo_u32_b32 v22, v20, 0
	v_mbcnt_hi_u32_b32 v100, v21, v22
	v_cmp_eq_u32_e32 vcc, 0, v100
	v_cmp_ne_u64_e64 s[36:37], 0, v[20:21]
	s_and_b64 s[38:39], s[36:37], vcc
	; wave barrier
	s_and_saveexec_b64 s[36:37], s[38:39]
	s_cbranch_execz .LBB1636_590
; %bb.589:                              ;   in Loop: Header=BB1636_566 Depth=2
	v_bcnt_u32_b32 v20, v20, 0
	v_bcnt_u32_b32 v20, v21, v20
	s_waitcnt lgkmcnt(0)
	v_add_u32_e32 v20, v99, v20
	ds_write_b32 v101, v20
.LBB1636_590:                           ;   in Loop: Header=BB1636_566 Depth=2
	s_or_b64 exec, exec, s[36:37]
	s_waitcnt vmcnt(4)
	v_lshrrev_b32_sdwa v20, s69, v91 dst_sel:DWORD dst_unused:UNUSED_PAD src0_sel:DWORD src1_sel:BYTE_0
	v_and_b32_e32 v20, s77, v20
	v_mul_u32_u24_e32 v21, 5, v20
	v_add_lshl_u32 v21, v21, v88, 2
	v_cmp_ne_u32_e32 vcc, 0, v20
	v_add_co_u32_e64 v20, s[36:37], -1, v20
	; wave barrier
	v_add_u32_e32 v102, 0x410, v21
	ds_read_b32 v104, v21 offset:1040
	v_addc_co_u32_e64 v21, s[36:37], 0, -1, s[36:37]
	v_xor_b32_e32 v20, vcc_lo, v20
	v_xor_b32_e32 v21, vcc_hi, v21
	v_and_b32_e32 v20, exec_lo, v20
	v_and_b32_e32 v21, exec_hi, v21
	v_mbcnt_lo_u32_b32 v22, v20, 0
	v_mbcnt_hi_u32_b32 v105, v21, v22
	v_cmp_eq_u32_e32 vcc, 0, v105
	v_cmp_ne_u64_e64 s[36:37], 0, v[20:21]
	s_and_b64 s[38:39], s[36:37], vcc
	; wave barrier
	s_and_saveexec_b64 s[36:37], s[38:39]
	s_cbranch_execz .LBB1636_592
; %bb.591:                              ;   in Loop: Header=BB1636_566 Depth=2
	v_bcnt_u32_b32 v20, v20, 0
	v_bcnt_u32_b32 v20, v21, v20
	s_waitcnt lgkmcnt(0)
	v_add_u32_e32 v20, v104, v20
	ds_write_b32 v102, v20
.LBB1636_592:                           ;   in Loop: Header=BB1636_566 Depth=2
	;; [unrolled: 31-line block ×6, first 2 shown]
	s_or_b64 exec, exec, s[36:37]
	v_lshrrev_b32_sdwa v20, s69, v96 dst_sel:DWORD dst_unused:UNUSED_PAD src0_sel:DWORD src1_sel:BYTE_0
	v_and_b32_e32 v20, s77, v20
	v_mul_u32_u24_e32 v21, 5, v20
	v_add_lshl_u32 v21, v21, v88, 2
	v_cmp_ne_u32_e32 vcc, 0, v20
	v_add_co_u32_e64 v20, s[36:37], -1, v20
	; wave barrier
	v_add_u32_e32 v119, 0x410, v21
	ds_read_b32 v117, v21 offset:1040
	v_addc_co_u32_e64 v21, s[36:37], 0, -1, s[36:37]
	v_xor_b32_e32 v20, vcc_lo, v20
	v_xor_b32_e32 v21, vcc_hi, v21
	v_and_b32_e32 v20, exec_lo, v20
	v_and_b32_e32 v21, exec_hi, v21
	v_mbcnt_lo_u32_b32 v22, v20, 0
	v_mbcnt_hi_u32_b32 v118, v21, v22
	v_cmp_eq_u32_e32 vcc, 0, v118
	v_cmp_ne_u64_e64 s[36:37], 0, v[20:21]
	s_and_b64 s[38:39], s[36:37], vcc
	; wave barrier
	s_and_saveexec_b64 s[36:37], s[38:39]
	s_cbranch_execz .LBB1636_602
; %bb.601:                              ;   in Loop: Header=BB1636_566 Depth=2
	v_bcnt_u32_b32 v20, v20, 0
	v_bcnt_u32_b32 v20, v21, v20
	s_waitcnt lgkmcnt(0)
	v_add_u32_e32 v20, v117, v20
	ds_write_b32 v119, v20
.LBB1636_602:                           ;   in Loop: Header=BB1636_566 Depth=2
	s_or_b64 exec, exec, s[36:37]
	; wave barrier
	s_waitcnt lgkmcnt(0)
	s_barrier
	ds_read_b32 v120, v42 offset:1040
	ds_read2_b32 v[22:23], v44 offset0:1 offset1:2
	ds_read2_b32 v[20:21], v44 offset0:3 offset1:4
	s_waitcnt lgkmcnt(1)
	v_add3_u32 v121, v22, v120, v23
	s_waitcnt lgkmcnt(0)
	v_add3_u32 v21, v121, v20, v21
	s_nop 1
	v_mov_b32_dpp v121, v21 row_shr:1 row_mask:0xf bank_mask:0xf
	v_cndmask_b32_e64 v121, v121, 0, s[16:17]
	v_add_u32_e32 v21, v121, v21
	s_nop 1
	v_mov_b32_dpp v121, v21 row_shr:2 row_mask:0xf bank_mask:0xf
	v_cndmask_b32_e64 v121, 0, v121, s[18:19]
	v_add_u32_e32 v21, v21, v121
	;; [unrolled: 4-line block ×4, first 2 shown]
	s_nop 1
	v_mov_b32_dpp v121, v21 row_bcast:15 row_mask:0xf bank_mask:0xf
	v_cndmask_b32_e64 v121, v121, 0, s[24:25]
	v_add_u32_e32 v21, v21, v121
	s_nop 1
	v_mov_b32_dpp v121, v21 row_bcast:31 row_mask:0xf bank_mask:0xf
	v_cndmask_b32_e64 v121, 0, v121, s[26:27]
	v_add_u32_e32 v21, v21, v121
	s_and_saveexec_b64 s[36:37], s[6:7]
	s_cbranch_execz .LBB1636_604
; %bb.603:                              ;   in Loop: Header=BB1636_566 Depth=2
	ds_write_b32 v35, v21 offset:1024
.LBB1636_604:                           ;   in Loop: Header=BB1636_566 Depth=2
	s_or_b64 exec, exec, s[36:37]
	s_waitcnt lgkmcnt(0)
	s_barrier
	s_and_saveexec_b64 s[36:37], s[8:9]
	s_cbranch_execz .LBB1636_606
; %bb.605:                              ;   in Loop: Header=BB1636_566 Depth=2
	v_add_u32_e32 v121, v42, v45
	ds_read_b32 v122, v121 offset:1024
	s_waitcnt lgkmcnt(0)
	s_nop 0
	v_mov_b32_dpp v123, v122 row_shr:1 row_mask:0xf bank_mask:0xf
	v_cndmask_b32_e64 v123, v123, 0, s[30:31]
	v_add_u32_e32 v122, v123, v122
	s_nop 1
	v_mov_b32_dpp v123, v122 row_shr:2 row_mask:0xf bank_mask:0xf
	v_cndmask_b32_e64 v123, 0, v123, s[34:35]
	v_add_u32_e32 v122, v122, v123
	ds_write_b32 v121, v122 offset:1024
.LBB1636_606:                           ;   in Loop: Header=BB1636_566 Depth=2
	s_or_b64 exec, exec, s[36:37]
	v_mov_b32_e32 v121, 0
	s_waitcnt lgkmcnt(0)
	s_barrier
	s_and_saveexec_b64 s[36:37], s[10:11]
	s_cbranch_execz .LBB1636_608
; %bb.607:                              ;   in Loop: Header=BB1636_566 Depth=2
	ds_read_b32 v121, v35 offset:1020
.LBB1636_608:                           ;   in Loop: Header=BB1636_566 Depth=2
	s_or_b64 exec, exec, s[36:37]
	s_waitcnt lgkmcnt(0)
	v_add_u32_e32 v21, v121, v21
	ds_bpermute_b32 v21, v65, v21
	s_waitcnt lgkmcnt(0)
	v_cndmask_b32_e64 v21, v21, v121, s[28:29]
	v_cndmask_b32_e64 v21, v21, 0, s[12:13]
	v_add_u32_e32 v120, v21, v120
	ds_write_b32 v42, v21 offset:1040
	v_add_u32_e32 v21, v120, v22
	v_add_u32_e32 v22, v21, v23
	;; [unrolled: 1-line block ×3, first 2 shown]
	ds_write2_b32 v44, v120, v21 offset0:1 offset1:2
	ds_write2_b32 v44, v22, v20 offset0:3 offset1:4
	s_waitcnt lgkmcnt(0)
	s_barrier
	ds_read_b32 v20, v101
	ds_read_b32 v21, v102
	;; [unrolled: 1-line block ×8, first 2 shown]
	ds_read_b32 v101, v42 offset:1040
	v_mov_b32_e32 v22, 0x800
	s_and_saveexec_b64 s[36:37], s[14:15]
	s_cbranch_execz .LBB1636_610
; %bb.609:                              ;   in Loop: Header=BB1636_566 Depth=2
	ds_read_b32 v22, v42 offset:1060
.LBB1636_610:                           ;   in Loop: Header=BB1636_566 Depth=2
	s_or_b64 exec, exec, s[36:37]
	s_waitcnt lgkmcnt(0)
	s_barrier
	s_and_saveexec_b64 s[36:37], s[4:5]
	s_cbranch_execz .LBB1636_612
; %bb.611:                              ;   in Loop: Header=BB1636_566 Depth=2
	ds_read_b32 v102, v3
	s_waitcnt lgkmcnt(0)
	v_sub_u32_e32 v101, v102, v101
	ds_write_b32 v3, v101
.LBB1636_612:                           ;   in Loop: Header=BB1636_566 Depth=2
	s_or_b64 exec, exec, s[36:37]
	v_add_u32_e32 v103, v98, v97
	v_add3_u32 v102, v100, v99, v20
	v_add3_u32 v101, v105, v104, v21
	;; [unrolled: 1-line block ×7, first 2 shown]
	v_cmp_lt_u32_e64 s[48:49], v2, v0
	ds_write_b8 v103, v89 offset:1024
	ds_write_b8 v102, v90 offset:1024
	ds_write_b8 v101, v91 offset:1024
	ds_write_b8 v100, v92 offset:1024
	ds_write_b8 v99, v93 offset:1024
	ds_write_b8 v98, v94 offset:1024
	ds_write_b8 v97, v95 offset:1024
	ds_write_b8 v23, v96 offset:1024
	s_waitcnt lgkmcnt(0)
	s_barrier
	s_and_saveexec_b64 s[36:37], s[48:49]
	s_cbranch_execz .LBB1636_620
; %bb.613:                              ;   in Loop: Header=BB1636_566 Depth=2
	ds_read_u8 v20, v2 offset:1024
	s_waitcnt lgkmcnt(0)
	v_and_b32_e32 v21, 1, v20
	v_lshrrev_b32_e32 v21, s69, v21
	v_and_b32_e32 v21, s77, v21
	v_lshlrev_b32_e32 v21, 2, v21
	ds_read_b32 v21, v21
	s_waitcnt lgkmcnt(0)
	v_add_u32_e32 v21, v21, v2
	global_store_byte v21, v20, s[60:61]
	s_or_b64 exec, exec, s[36:37]
	v_cmp_lt_u32_e64 s[46:47], v24, v0
	s_and_saveexec_b64 s[36:37], s[46:47]
	s_cbranch_execnz .LBB1636_621
.LBB1636_614:                           ;   in Loop: Header=BB1636_566 Depth=2
	s_or_b64 exec, exec, s[36:37]
	v_cmp_lt_u32_e64 s[44:45], v25, v0
	s_and_saveexec_b64 s[36:37], s[44:45]
	s_cbranch_execz .LBB1636_622
.LBB1636_615:                           ;   in Loop: Header=BB1636_566 Depth=2
	ds_read_u8 v20, v30 offset:512
	s_waitcnt lgkmcnt(0)
	v_and_b32_e32 v21, 1, v20
	v_lshrrev_b32_e32 v21, s69, v21
	v_and_b32_e32 v21, s77, v21
	v_lshlrev_b32_e32 v21, 2, v21
	ds_read_b32 v21, v21
	s_waitcnt lgkmcnt(0)
	v_add_u32_e32 v21, v21, v25
	global_store_byte v21, v20, s[60:61]
	s_or_b64 exec, exec, s[36:37]
	v_cmp_lt_u32_e64 s[42:43], v26, v0
	s_and_saveexec_b64 s[36:37], s[42:43]
	s_cbranch_execnz .LBB1636_623
.LBB1636_616:                           ;   in Loop: Header=BB1636_566 Depth=2
	s_or_b64 exec, exec, s[36:37]
	v_cmp_lt_u32_e64 s[40:41], v30, v0
	s_and_saveexec_b64 s[36:37], s[40:41]
	s_cbranch_execz .LBB1636_624
.LBB1636_617:                           ;   in Loop: Header=BB1636_566 Depth=2
	ds_read_u8 v20, v30 offset:1024
	s_waitcnt lgkmcnt(0)
	v_and_b32_e32 v21, 1, v20
	v_lshrrev_b32_e32 v21, s69, v21
	v_and_b32_e32 v21, s77, v21
	v_lshlrev_b32_e32 v21, 2, v21
	ds_read_b32 v21, v21
	s_waitcnt lgkmcnt(0)
	v_add_u32_e32 v21, v21, v30
	global_store_byte v21, v20, s[60:61]
	s_or_b64 exec, exec, s[36:37]
	v_cmp_lt_u32_e64 s[38:39], v31, v0
	s_and_saveexec_b64 s[36:37], s[38:39]
	s_cbranch_execnz .LBB1636_625
.LBB1636_618:                           ;   in Loop: Header=BB1636_566 Depth=2
	s_or_b64 exec, exec, s[36:37]
	v_cmp_lt_u32_e64 s[36:37], v32, v0
	s_and_saveexec_b64 s[52:53], s[36:37]
	s_cbranch_execz .LBB1636_626
.LBB1636_619:                           ;   in Loop: Header=BB1636_566 Depth=2
	ds_read_u8 v20, v30 offset:1536
	s_waitcnt lgkmcnt(0)
	v_and_b32_e32 v21, 1, v20
	v_lshrrev_b32_e32 v21, s69, v21
	v_and_b32_e32 v21, s77, v21
	v_lshlrev_b32_e32 v21, 2, v21
	ds_read_b32 v21, v21
	s_waitcnt lgkmcnt(0)
	v_add_u32_e32 v21, v21, v32
	global_store_byte v21, v20, s[60:61]
	s_or_b64 exec, exec, s[52:53]
	v_cmp_lt_u32_e32 vcc, v33, v0
	s_and_saveexec_b64 s[52:53], vcc
	s_cbranch_execnz .LBB1636_627
	s_branch .LBB1636_628
.LBB1636_620:                           ;   in Loop: Header=BB1636_566 Depth=2
	s_or_b64 exec, exec, s[36:37]
	v_cmp_lt_u32_e64 s[46:47], v24, v0
	s_and_saveexec_b64 s[36:37], s[46:47]
	s_cbranch_execz .LBB1636_614
.LBB1636_621:                           ;   in Loop: Header=BB1636_566 Depth=2
	ds_read_u8 v20, v30 offset:256
	s_waitcnt lgkmcnt(0)
	v_and_b32_e32 v21, 1, v20
	v_lshrrev_b32_e32 v21, s69, v21
	v_and_b32_e32 v21, s77, v21
	v_lshlrev_b32_e32 v21, 2, v21
	ds_read_b32 v21, v21
	s_waitcnt lgkmcnt(0)
	v_add_u32_e32 v21, v21, v24
	global_store_byte v21, v20, s[60:61]
	s_or_b64 exec, exec, s[36:37]
	v_cmp_lt_u32_e64 s[44:45], v25, v0
	s_and_saveexec_b64 s[36:37], s[44:45]
	s_cbranch_execnz .LBB1636_615
.LBB1636_622:                           ;   in Loop: Header=BB1636_566 Depth=2
	s_or_b64 exec, exec, s[36:37]
	v_cmp_lt_u32_e64 s[42:43], v26, v0
	s_and_saveexec_b64 s[36:37], s[42:43]
	s_cbranch_execz .LBB1636_616
.LBB1636_623:                           ;   in Loop: Header=BB1636_566 Depth=2
	ds_read_u8 v20, v30 offset:768
	s_waitcnt lgkmcnt(0)
	v_and_b32_e32 v21, 1, v20
	v_lshrrev_b32_e32 v21, s69, v21
	v_and_b32_e32 v21, s77, v21
	v_lshlrev_b32_e32 v21, 2, v21
	ds_read_b32 v21, v21
	s_waitcnt lgkmcnt(0)
	v_add_u32_e32 v21, v21, v26
	global_store_byte v21, v20, s[60:61]
	s_or_b64 exec, exec, s[36:37]
	v_cmp_lt_u32_e64 s[40:41], v30, v0
	s_and_saveexec_b64 s[36:37], s[40:41]
	s_cbranch_execnz .LBB1636_617
.LBB1636_624:                           ;   in Loop: Header=BB1636_566 Depth=2
	s_or_b64 exec, exec, s[36:37]
	v_cmp_lt_u32_e64 s[38:39], v31, v0
	s_and_saveexec_b64 s[36:37], s[38:39]
	s_cbranch_execz .LBB1636_618
.LBB1636_625:                           ;   in Loop: Header=BB1636_566 Depth=2
	ds_read_u8 v20, v30 offset:1280
	s_waitcnt lgkmcnt(0)
	v_and_b32_e32 v21, 1, v20
	v_lshrrev_b32_e32 v21, s69, v21
	v_and_b32_e32 v21, s77, v21
	v_lshlrev_b32_e32 v21, 2, v21
	ds_read_b32 v21, v21
	s_waitcnt lgkmcnt(0)
	v_add_u32_e32 v21, v21, v31
	global_store_byte v21, v20, s[60:61]
	s_or_b64 exec, exec, s[36:37]
	v_cmp_lt_u32_e64 s[36:37], v32, v0
	s_and_saveexec_b64 s[52:53], s[36:37]
	s_cbranch_execnz .LBB1636_619
.LBB1636_626:                           ;   in Loop: Header=BB1636_566 Depth=2
	s_or_b64 exec, exec, s[52:53]
	v_cmp_lt_u32_e32 vcc, v33, v0
	s_and_saveexec_b64 s[52:53], vcc
	s_cbranch_execz .LBB1636_628
.LBB1636_627:                           ;   in Loop: Header=BB1636_566 Depth=2
	ds_read_u8 v20, v30 offset:1792
	s_waitcnt lgkmcnt(0)
	v_and_b32_e32 v21, 1, v20
	v_lshrrev_b32_e32 v21, s69, v21
	v_and_b32_e32 v21, s77, v21
	v_lshlrev_b32_e32 v21, 2, v21
	ds_read_b32 v21, v21
	s_waitcnt lgkmcnt(0)
	v_add_u32_e32 v21, v21, v33
	global_store_byte v21, v20, s[60:61]
.LBB1636_628:                           ;   in Loop: Header=BB1636_566 Depth=2
	s_or_b64 exec, exec, s[52:53]
	s_lshl_b64 s[52:53], s[72:73], 3
	v_mov_b32_e32 v21, s53
	v_add_co_u32_e64 v20, s[52:53], s52, v77
	v_addc_co_u32_e64 v21, s[52:53], v78, v21, s[52:53]
	v_cmp_lt_u32_e64 s[52:53], v72, v0
	s_and_saveexec_b64 s[62:63], s[52:53]
	s_xor_b64 s[52:53], exec, s[62:63]
	s_cbranch_execz .LBB1636_644
; %bb.629:                              ;   in Loop: Header=BB1636_566 Depth=2
	global_load_dwordx2 v[18:19], v[20:21], off
	s_or_b64 exec, exec, s[52:53]
	v_cmp_lt_u32_e64 s[52:53], v79, v0
	s_and_saveexec_b64 s[62:63], s[52:53]
	s_cbranch_execnz .LBB1636_645
.LBB1636_630:                           ;   in Loop: Header=BB1636_566 Depth=2
	s_or_b64 exec, exec, s[62:63]
	v_cmp_lt_u32_e64 s[52:53], v80, v0
	s_and_saveexec_b64 s[62:63], s[52:53]
	s_cbranch_execz .LBB1636_646
.LBB1636_631:                           ;   in Loop: Header=BB1636_566 Depth=2
	global_load_dwordx2 v[14:15], v[20:21], off offset:1024
	s_or_b64 exec, exec, s[62:63]
	v_cmp_lt_u32_e64 s[52:53], v81, v0
	s_and_saveexec_b64 s[62:63], s[52:53]
	s_cbranch_execnz .LBB1636_647
.LBB1636_632:                           ;   in Loop: Header=BB1636_566 Depth=2
	s_or_b64 exec, exec, s[62:63]
	v_cmp_lt_u32_e64 s[52:53], v82, v0
	s_and_saveexec_b64 s[62:63], s[52:53]
	s_cbranch_execz .LBB1636_648
.LBB1636_633:                           ;   in Loop: Header=BB1636_566 Depth=2
	global_load_dwordx2 v[10:11], v[20:21], off offset:2048
	s_or_b64 exec, exec, s[62:63]
	v_cmp_lt_u32_e64 s[52:53], v83, v0
	s_and_saveexec_b64 s[62:63], s[52:53]
	s_cbranch_execnz .LBB1636_649
.LBB1636_634:                           ;   in Loop: Header=BB1636_566 Depth=2
	s_or_b64 exec, exec, s[62:63]
	v_cmp_lt_u32_e64 s[52:53], v84, v0
	s_and_saveexec_b64 s[62:63], s[52:53]
	s_cbranch_execz .LBB1636_650
.LBB1636_635:                           ;   in Loop: Header=BB1636_566 Depth=2
	global_load_dwordx2 v[6:7], v[20:21], off offset:3072
	s_or_b64 exec, exec, s[62:63]
	v_cmp_lt_u32_e64 s[52:53], v85, v0
	s_and_saveexec_b64 s[62:63], s[52:53]
	s_cbranch_execnz .LBB1636_651
.LBB1636_636:                           ;   in Loop: Header=BB1636_566 Depth=2
	s_or_b64 exec, exec, s[62:63]
	s_and_saveexec_b64 s[52:53], s[48:49]
	s_cbranch_execz .LBB1636_652
.LBB1636_637:                           ;   in Loop: Header=BB1636_566 Depth=2
	ds_read_u8 v0, v2 offset:1024
	s_waitcnt lgkmcnt(0)
	v_lshrrev_b32_e32 v0, s69, v0
	v_and_b32_e32 v75, s77, v0
	s_or_b64 exec, exec, s[52:53]
	s_and_saveexec_b64 s[52:53], s[46:47]
	s_cbranch_execnz .LBB1636_653
.LBB1636_638:                           ;   in Loop: Header=BB1636_566 Depth=2
	s_or_b64 exec, exec, s[52:53]
	s_and_saveexec_b64 s[52:53], s[44:45]
	s_cbranch_execz .LBB1636_654
.LBB1636_639:                           ;   in Loop: Header=BB1636_566 Depth=2
	ds_read_u8 v0, v30 offset:512
	s_waitcnt lgkmcnt(0)
	v_lshrrev_b32_e32 v0, s69, v0
	v_and_b32_e32 v71, s77, v0
	s_or_b64 exec, exec, s[52:53]
	s_and_saveexec_b64 s[52:53], s[42:43]
	s_cbranch_execnz .LBB1636_655
.LBB1636_640:                           ;   in Loop: Header=BB1636_566 Depth=2
	s_or_b64 exec, exec, s[52:53]
	s_and_saveexec_b64 s[52:53], s[40:41]
	s_cbranch_execz .LBB1636_656
.LBB1636_641:                           ;   in Loop: Header=BB1636_566 Depth=2
	ds_read_u8 v0, v30 offset:1024
	s_waitcnt lgkmcnt(0)
	v_lshrrev_b32_e32 v0, s69, v0
	v_and_b32_e32 v69, s77, v0
	s_or_b64 exec, exec, s[52:53]
	s_and_saveexec_b64 s[52:53], s[38:39]
	s_cbranch_execnz .LBB1636_657
.LBB1636_642:                           ;   in Loop: Header=BB1636_566 Depth=2
	s_or_b64 exec, exec, s[52:53]
	s_and_saveexec_b64 s[52:53], s[36:37]
	s_cbranch_execz .LBB1636_658
.LBB1636_643:                           ;   in Loop: Header=BB1636_566 Depth=2
	ds_read_u8 v0, v30 offset:1536
	s_waitcnt lgkmcnt(0)
	v_lshrrev_b32_e32 v0, s69, v0
	v_and_b32_e32 v67, s77, v0
	s_or_b64 exec, exec, s[52:53]
	s_and_saveexec_b64 s[52:53], vcc
	s_cbranch_execnz .LBB1636_659
	s_branch .LBB1636_660
.LBB1636_644:                           ;   in Loop: Header=BB1636_566 Depth=2
	s_or_b64 exec, exec, s[52:53]
	v_cmp_lt_u32_e64 s[52:53], v79, v0
	s_and_saveexec_b64 s[62:63], s[52:53]
	s_cbranch_execz .LBB1636_630
.LBB1636_645:                           ;   in Loop: Header=BB1636_566 Depth=2
	global_load_dwordx2 v[16:17], v[20:21], off offset:512
	s_or_b64 exec, exec, s[62:63]
	v_cmp_lt_u32_e64 s[52:53], v80, v0
	s_and_saveexec_b64 s[62:63], s[52:53]
	s_cbranch_execnz .LBB1636_631
.LBB1636_646:                           ;   in Loop: Header=BB1636_566 Depth=2
	s_or_b64 exec, exec, s[62:63]
	v_cmp_lt_u32_e64 s[52:53], v81, v0
	s_and_saveexec_b64 s[62:63], s[52:53]
	s_cbranch_execz .LBB1636_632
.LBB1636_647:                           ;   in Loop: Header=BB1636_566 Depth=2
	global_load_dwordx2 v[12:13], v[20:21], off offset:1536
	s_or_b64 exec, exec, s[62:63]
	v_cmp_lt_u32_e64 s[52:53], v82, v0
	s_and_saveexec_b64 s[62:63], s[52:53]
	s_cbranch_execnz .LBB1636_633
.LBB1636_648:                           ;   in Loop: Header=BB1636_566 Depth=2
	s_or_b64 exec, exec, s[62:63]
	v_cmp_lt_u32_e64 s[52:53], v83, v0
	s_and_saveexec_b64 s[62:63], s[52:53]
	s_cbranch_execz .LBB1636_634
.LBB1636_649:                           ;   in Loop: Header=BB1636_566 Depth=2
	global_load_dwordx2 v[8:9], v[20:21], off offset:2560
	s_or_b64 exec, exec, s[62:63]
	v_cmp_lt_u32_e64 s[52:53], v84, v0
	s_and_saveexec_b64 s[62:63], s[52:53]
	s_cbranch_execnz .LBB1636_635
.LBB1636_650:                           ;   in Loop: Header=BB1636_566 Depth=2
	s_or_b64 exec, exec, s[62:63]
	v_cmp_lt_u32_e64 s[52:53], v85, v0
	s_and_saveexec_b64 s[62:63], s[52:53]
	s_cbranch_execz .LBB1636_636
.LBB1636_651:                           ;   in Loop: Header=BB1636_566 Depth=2
	global_load_dwordx2 v[4:5], v[20:21], off offset:3584
	s_or_b64 exec, exec, s[62:63]
	s_and_saveexec_b64 s[52:53], s[48:49]
	s_cbranch_execnz .LBB1636_637
.LBB1636_652:                           ;   in Loop: Header=BB1636_566 Depth=2
	s_or_b64 exec, exec, s[52:53]
	s_and_saveexec_b64 s[52:53], s[46:47]
	s_cbranch_execz .LBB1636_638
.LBB1636_653:                           ;   in Loop: Header=BB1636_566 Depth=2
	ds_read_u8 v0, v30 offset:256
	s_waitcnt lgkmcnt(0)
	v_lshrrev_b32_e32 v0, s69, v0
	v_and_b32_e32 v73, s77, v0
	s_or_b64 exec, exec, s[52:53]
	s_and_saveexec_b64 s[52:53], s[44:45]
	s_cbranch_execnz .LBB1636_639
.LBB1636_654:                           ;   in Loop: Header=BB1636_566 Depth=2
	s_or_b64 exec, exec, s[52:53]
	s_and_saveexec_b64 s[52:53], s[42:43]
	s_cbranch_execz .LBB1636_640
.LBB1636_655:                           ;   in Loop: Header=BB1636_566 Depth=2
	ds_read_u8 v0, v30 offset:768
	s_waitcnt lgkmcnt(0)
	v_lshrrev_b32_e32 v0, s69, v0
	v_and_b32_e32 v70, s77, v0
	s_or_b64 exec, exec, s[52:53]
	s_and_saveexec_b64 s[52:53], s[40:41]
	s_cbranch_execnz .LBB1636_641
.LBB1636_656:                           ;   in Loop: Header=BB1636_566 Depth=2
	s_or_b64 exec, exec, s[52:53]
	s_and_saveexec_b64 s[52:53], s[38:39]
	s_cbranch_execz .LBB1636_642
.LBB1636_657:                           ;   in Loop: Header=BB1636_566 Depth=2
	ds_read_u8 v0, v30 offset:1280
	s_waitcnt lgkmcnt(0)
	v_lshrrev_b32_e32 v0, s69, v0
	v_and_b32_e32 v68, s77, v0
	s_or_b64 exec, exec, s[52:53]
	s_and_saveexec_b64 s[52:53], s[36:37]
	s_cbranch_execnz .LBB1636_643
.LBB1636_658:                           ;   in Loop: Header=BB1636_566 Depth=2
	s_or_b64 exec, exec, s[52:53]
	s_and_saveexec_b64 s[52:53], vcc
	s_cbranch_execz .LBB1636_660
.LBB1636_659:                           ;   in Loop: Header=BB1636_566 Depth=2
	ds_read_u8 v0, v30 offset:1792
	s_waitcnt lgkmcnt(0)
	v_lshrrev_b32_e32 v0, s69, v0
	v_and_b32_e32 v66, s77, v0
.LBB1636_660:                           ;   in Loop: Header=BB1636_566 Depth=2
	s_or_b64 exec, exec, s[52:53]
	v_lshlrev_b32_e32 v0, 3, v103
	s_barrier
	s_waitcnt vmcnt(0)
	ds_write_b64 v0, v[18:19] offset:1024
	v_lshlrev_b32_e32 v0, 3, v102
	ds_write_b64 v0, v[16:17] offset:1024
	v_lshlrev_b32_e32 v0, 3, v101
	;; [unrolled: 2-line block ×7, first 2 shown]
	ds_write_b64 v0, v[4:5] offset:1024
	s_waitcnt lgkmcnt(0)
	s_barrier
	s_and_saveexec_b64 s[52:53], s[48:49]
	s_cbranch_execz .LBB1636_668
; %bb.661:                              ;   in Loop: Header=BB1636_566 Depth=2
	v_lshlrev_b32_e32 v0, 2, v75
	ds_read_b32 v0, v0
	v_add_u32_e32 v20, v2, v50
	ds_read_b64 v[20:21], v20 offset:1024
	v_mov_b32_e32 v23, s67
	s_waitcnt lgkmcnt(1)
	v_add_u32_e32 v0, v0, v2
	v_lshlrev_b64 v[90:91], 3, v[0:1]
	v_add_co_u32_e64 v90, s[48:49], s66, v90
	v_addc_co_u32_e64 v91, s[48:49], v23, v91, s[48:49]
	s_waitcnt lgkmcnt(0)
	global_store_dwordx2 v[90:91], v[20:21], off
	s_or_b64 exec, exec, s[52:53]
	v_add_u32_e32 v20, v30, v50
	s_and_saveexec_b64 s[48:49], s[46:47]
	s_cbranch_execnz .LBB1636_669
.LBB1636_662:                           ;   in Loop: Header=BB1636_566 Depth=2
	s_or_b64 exec, exec, s[48:49]
	s_and_saveexec_b64 s[46:47], s[44:45]
	s_cbranch_execz .LBB1636_670
.LBB1636_663:                           ;   in Loop: Header=BB1636_566 Depth=2
	v_lshlrev_b32_e32 v0, 2, v71
	ds_read_b32 v0, v0
	ds_read_b64 v[90:91], v20 offset:4096
	v_mov_b32_e32 v21, s67
	s_waitcnt lgkmcnt(1)
	v_add_u32_e32 v0, v0, v25
	v_lshlrev_b64 v[92:93], 3, v[0:1]
	v_add_co_u32_e64 v92, s[44:45], s66, v92
	v_addc_co_u32_e64 v93, s[44:45], v21, v93, s[44:45]
	s_waitcnt lgkmcnt(0)
	global_store_dwordx2 v[92:93], v[90:91], off
	s_or_b64 exec, exec, s[46:47]
	s_and_saveexec_b64 s[44:45], s[42:43]
	s_cbranch_execnz .LBB1636_671
.LBB1636_664:                           ;   in Loop: Header=BB1636_566 Depth=2
	s_or_b64 exec, exec, s[44:45]
	s_and_saveexec_b64 s[42:43], s[40:41]
	s_cbranch_execz .LBB1636_672
.LBB1636_665:                           ;   in Loop: Header=BB1636_566 Depth=2
	v_lshlrev_b32_e32 v0, 2, v69
	ds_read_b32 v0, v0
	ds_read_b64 v[90:91], v20 offset:8192
	v_mov_b32_e32 v21, s67
	s_waitcnt lgkmcnt(1)
	v_add_u32_e32 v0, v0, v30
	v_lshlrev_b64 v[92:93], 3, v[0:1]
	v_add_co_u32_e64 v92, s[40:41], s66, v92
	v_addc_co_u32_e64 v93, s[40:41], v21, v93, s[40:41]
	s_waitcnt lgkmcnt(0)
	global_store_dwordx2 v[92:93], v[90:91], off
	s_or_b64 exec, exec, s[42:43]
	s_and_saveexec_b64 s[40:41], s[38:39]
	s_cbranch_execnz .LBB1636_673
.LBB1636_666:                           ;   in Loop: Header=BB1636_566 Depth=2
	s_or_b64 exec, exec, s[40:41]
	s_and_saveexec_b64 s[38:39], s[36:37]
	s_cbranch_execz .LBB1636_674
.LBB1636_667:                           ;   in Loop: Header=BB1636_566 Depth=2
	v_lshlrev_b32_e32 v0, 2, v67
	ds_read_b32 v0, v0
	ds_read_b64 v[90:91], v20 offset:12288
	v_mov_b32_e32 v21, s67
	s_waitcnt lgkmcnt(1)
	v_add_u32_e32 v0, v0, v32
	v_lshlrev_b64 v[92:93], 3, v[0:1]
	v_add_co_u32_e64 v92, s[36:37], s66, v92
	v_addc_co_u32_e64 v93, s[36:37], v21, v93, s[36:37]
	s_waitcnt lgkmcnt(0)
	global_store_dwordx2 v[92:93], v[90:91], off
	s_or_b64 exec, exec, s[38:39]
	s_and_saveexec_b64 s[36:37], vcc
	s_cbranch_execnz .LBB1636_675
	s_branch .LBB1636_676
.LBB1636_668:                           ;   in Loop: Header=BB1636_566 Depth=2
	s_or_b64 exec, exec, s[52:53]
	v_add_u32_e32 v20, v30, v50
	s_and_saveexec_b64 s[48:49], s[46:47]
	s_cbranch_execz .LBB1636_662
.LBB1636_669:                           ;   in Loop: Header=BB1636_566 Depth=2
	v_lshlrev_b32_e32 v0, 2, v73
	ds_read_b32 v0, v0
	ds_read_b64 v[90:91], v20 offset:2048
	v_mov_b32_e32 v21, s67
	s_waitcnt lgkmcnt(1)
	v_add_u32_e32 v0, v0, v24
	v_lshlrev_b64 v[92:93], 3, v[0:1]
	v_add_co_u32_e64 v92, s[46:47], s66, v92
	v_addc_co_u32_e64 v93, s[46:47], v21, v93, s[46:47]
	s_waitcnt lgkmcnt(0)
	global_store_dwordx2 v[92:93], v[90:91], off
	s_or_b64 exec, exec, s[48:49]
	s_and_saveexec_b64 s[46:47], s[44:45]
	s_cbranch_execnz .LBB1636_663
.LBB1636_670:                           ;   in Loop: Header=BB1636_566 Depth=2
	s_or_b64 exec, exec, s[46:47]
	s_and_saveexec_b64 s[44:45], s[42:43]
	s_cbranch_execz .LBB1636_664
.LBB1636_671:                           ;   in Loop: Header=BB1636_566 Depth=2
	v_lshlrev_b32_e32 v0, 2, v70
	ds_read_b32 v0, v0
	ds_read_b64 v[90:91], v20 offset:6144
	v_mov_b32_e32 v21, s67
	s_waitcnt lgkmcnt(1)
	v_add_u32_e32 v0, v0, v26
	v_lshlrev_b64 v[92:93], 3, v[0:1]
	v_add_co_u32_e64 v92, s[42:43], s66, v92
	v_addc_co_u32_e64 v93, s[42:43], v21, v93, s[42:43]
	s_waitcnt lgkmcnt(0)
	global_store_dwordx2 v[92:93], v[90:91], off
	s_or_b64 exec, exec, s[44:45]
	s_and_saveexec_b64 s[42:43], s[40:41]
	s_cbranch_execnz .LBB1636_665
.LBB1636_672:                           ;   in Loop: Header=BB1636_566 Depth=2
	s_or_b64 exec, exec, s[42:43]
	s_and_saveexec_b64 s[40:41], s[38:39]
	s_cbranch_execz .LBB1636_666
.LBB1636_673:                           ;   in Loop: Header=BB1636_566 Depth=2
	v_lshlrev_b32_e32 v0, 2, v68
	ds_read_b32 v0, v0
	ds_read_b64 v[90:91], v20 offset:10240
	v_mov_b32_e32 v21, s67
	s_waitcnt lgkmcnt(1)
	v_add_u32_e32 v0, v0, v31
	v_lshlrev_b64 v[92:93], 3, v[0:1]
	v_add_co_u32_e64 v92, s[38:39], s66, v92
	v_addc_co_u32_e64 v93, s[38:39], v21, v93, s[38:39]
	s_waitcnt lgkmcnt(0)
	global_store_dwordx2 v[92:93], v[90:91], off
	s_or_b64 exec, exec, s[40:41]
	s_and_saveexec_b64 s[38:39], s[36:37]
	s_cbranch_execnz .LBB1636_667
.LBB1636_674:                           ;   in Loop: Header=BB1636_566 Depth=2
	s_or_b64 exec, exec, s[38:39]
	s_and_saveexec_b64 s[36:37], vcc
	s_cbranch_execz .LBB1636_676
.LBB1636_675:                           ;   in Loop: Header=BB1636_566 Depth=2
	v_lshlrev_b32_e32 v0, 2, v66
	ds_read_b32 v0, v0
	ds_read_b64 v[20:21], v20 offset:14336
	v_mov_b32_e32 v23, s67
	s_waitcnt lgkmcnt(1)
	v_add_u32_e32 v0, v0, v33
	v_lshlrev_b64 v[90:91], 3, v[0:1]
	v_add_co_u32_e32 v90, vcc, s66, v90
	v_addc_co_u32_e32 v91, vcc, v23, v91, vcc
	s_waitcnt lgkmcnt(0)
	global_store_dwordx2 v[90:91], v[20:21], off
.LBB1636_676:                           ;   in Loop: Header=BB1636_566 Depth=2
	s_or_b64 exec, exec, s[36:37]
	s_barrier
	s_and_saveexec_b64 s[36:37], s[4:5]
	s_cbranch_execz .LBB1636_565
; %bb.677:                              ;   in Loop: Header=BB1636_566 Depth=2
	ds_read_b32 v0, v3
	s_waitcnt lgkmcnt(0)
	v_add_u32_e32 v0, v0, v22
	ds_write_b32 v3, v0
	s_branch .LBB1636_565
.LBB1636_678:
	s_endpgm
	.section	.rodata,"a",@progbits
	.p2align	6, 0x0
	.amdhsa_kernel _ZN7rocprim17ROCPRIM_400000_NS6detail17trampoline_kernelINS0_14default_configENS1_36segmented_radix_sort_config_selectorIblEEZNS1_25segmented_radix_sort_implIS3_Lb0EPKbPbPKlPlN2at6native12_GLOBAL__N_18offset_tEEE10hipError_tPvRmT1_PNSt15iterator_traitsISK_E10value_typeET2_T3_PNSL_ISQ_E10value_typeET4_jRbjT5_SW_jjP12ihipStream_tbEUlT_E_NS1_11comp_targetILNS1_3genE4ELNS1_11target_archE910ELNS1_3gpuE8ELNS1_3repE0EEENS1_30default_config_static_selectorELNS0_4arch9wavefront6targetE1EEEvSK_
		.amdhsa_group_segment_fixed_size 17424
		.amdhsa_private_segment_fixed_size 8
		.amdhsa_kernarg_size 352
		.amdhsa_user_sgpr_count 8
		.amdhsa_user_sgpr_private_segment_buffer 1
		.amdhsa_user_sgpr_dispatch_ptr 0
		.amdhsa_user_sgpr_queue_ptr 0
		.amdhsa_user_sgpr_kernarg_segment_ptr 1
		.amdhsa_user_sgpr_dispatch_id 0
		.amdhsa_user_sgpr_flat_scratch_init 1
		.amdhsa_user_sgpr_kernarg_preload_length 0
		.amdhsa_user_sgpr_kernarg_preload_offset 0
		.amdhsa_user_sgpr_private_segment_size 0
		.amdhsa_uses_dynamic_stack 0
		.amdhsa_system_sgpr_private_segment_wavefront_offset 1
		.amdhsa_system_sgpr_workgroup_id_x 1
		.amdhsa_system_sgpr_workgroup_id_y 1
		.amdhsa_system_sgpr_workgroup_id_z 0
		.amdhsa_system_sgpr_workgroup_info 0
		.amdhsa_system_vgpr_workitem_id 2
		.amdhsa_next_free_vgpr 179
		.amdhsa_next_free_sgpr 80
		.amdhsa_accum_offset 180
		.amdhsa_reserve_vcc 1
		.amdhsa_reserve_flat_scratch 1
		.amdhsa_float_round_mode_32 0
		.amdhsa_float_round_mode_16_64 0
		.amdhsa_float_denorm_mode_32 3
		.amdhsa_float_denorm_mode_16_64 3
		.amdhsa_dx10_clamp 1
		.amdhsa_ieee_mode 1
		.amdhsa_fp16_overflow 0
		.amdhsa_tg_split 0
		.amdhsa_exception_fp_ieee_invalid_op 0
		.amdhsa_exception_fp_denorm_src 0
		.amdhsa_exception_fp_ieee_div_zero 0
		.amdhsa_exception_fp_ieee_overflow 0
		.amdhsa_exception_fp_ieee_underflow 0
		.amdhsa_exception_fp_ieee_inexact 0
		.amdhsa_exception_int_div_zero 0
	.end_amdhsa_kernel
	.section	.text._ZN7rocprim17ROCPRIM_400000_NS6detail17trampoline_kernelINS0_14default_configENS1_36segmented_radix_sort_config_selectorIblEEZNS1_25segmented_radix_sort_implIS3_Lb0EPKbPbPKlPlN2at6native12_GLOBAL__N_18offset_tEEE10hipError_tPvRmT1_PNSt15iterator_traitsISK_E10value_typeET2_T3_PNSL_ISQ_E10value_typeET4_jRbjT5_SW_jjP12ihipStream_tbEUlT_E_NS1_11comp_targetILNS1_3genE4ELNS1_11target_archE910ELNS1_3gpuE8ELNS1_3repE0EEENS1_30default_config_static_selectorELNS0_4arch9wavefront6targetE1EEEvSK_,"axG",@progbits,_ZN7rocprim17ROCPRIM_400000_NS6detail17trampoline_kernelINS0_14default_configENS1_36segmented_radix_sort_config_selectorIblEEZNS1_25segmented_radix_sort_implIS3_Lb0EPKbPbPKlPlN2at6native12_GLOBAL__N_18offset_tEEE10hipError_tPvRmT1_PNSt15iterator_traitsISK_E10value_typeET2_T3_PNSL_ISQ_E10value_typeET4_jRbjT5_SW_jjP12ihipStream_tbEUlT_E_NS1_11comp_targetILNS1_3genE4ELNS1_11target_archE910ELNS1_3gpuE8ELNS1_3repE0EEENS1_30default_config_static_selectorELNS0_4arch9wavefront6targetE1EEEvSK_,comdat
.Lfunc_end1636:
	.size	_ZN7rocprim17ROCPRIM_400000_NS6detail17trampoline_kernelINS0_14default_configENS1_36segmented_radix_sort_config_selectorIblEEZNS1_25segmented_radix_sort_implIS3_Lb0EPKbPbPKlPlN2at6native12_GLOBAL__N_18offset_tEEE10hipError_tPvRmT1_PNSt15iterator_traitsISK_E10value_typeET2_T3_PNSL_ISQ_E10value_typeET4_jRbjT5_SW_jjP12ihipStream_tbEUlT_E_NS1_11comp_targetILNS1_3genE4ELNS1_11target_archE910ELNS1_3gpuE8ELNS1_3repE0EEENS1_30default_config_static_selectorELNS0_4arch9wavefront6targetE1EEEvSK_, .Lfunc_end1636-_ZN7rocprim17ROCPRIM_400000_NS6detail17trampoline_kernelINS0_14default_configENS1_36segmented_radix_sort_config_selectorIblEEZNS1_25segmented_radix_sort_implIS3_Lb0EPKbPbPKlPlN2at6native12_GLOBAL__N_18offset_tEEE10hipError_tPvRmT1_PNSt15iterator_traitsISK_E10value_typeET2_T3_PNSL_ISQ_E10value_typeET4_jRbjT5_SW_jjP12ihipStream_tbEUlT_E_NS1_11comp_targetILNS1_3genE4ELNS1_11target_archE910ELNS1_3gpuE8ELNS1_3repE0EEENS1_30default_config_static_selectorELNS0_4arch9wavefront6targetE1EEEvSK_
                                        ; -- End function
	.section	.AMDGPU.csdata,"",@progbits
; Kernel info:
; codeLenInByte = 27320
; NumSgprs: 86
; NumVgprs: 179
; NumAgprs: 0
; TotalNumVgprs: 179
; ScratchSize: 8
; MemoryBound: 0
; FloatMode: 240
; IeeeMode: 1
; LDSByteSize: 17424 bytes/workgroup (compile time only)
; SGPRBlocks: 10
; VGPRBlocks: 22
; NumSGPRsForWavesPerEU: 86
; NumVGPRsForWavesPerEU: 179
; AccumOffset: 180
; Occupancy: 2
; WaveLimiterHint : 1
; COMPUTE_PGM_RSRC2:SCRATCH_EN: 1
; COMPUTE_PGM_RSRC2:USER_SGPR: 8
; COMPUTE_PGM_RSRC2:TRAP_HANDLER: 0
; COMPUTE_PGM_RSRC2:TGID_X_EN: 1
; COMPUTE_PGM_RSRC2:TGID_Y_EN: 1
; COMPUTE_PGM_RSRC2:TGID_Z_EN: 0
; COMPUTE_PGM_RSRC2:TIDIG_COMP_CNT: 2
; COMPUTE_PGM_RSRC3_GFX90A:ACCUM_OFFSET: 44
; COMPUTE_PGM_RSRC3_GFX90A:TG_SPLIT: 0
	.section	.text._ZN7rocprim17ROCPRIM_400000_NS6detail17trampoline_kernelINS0_14default_configENS1_36segmented_radix_sort_config_selectorIblEEZNS1_25segmented_radix_sort_implIS3_Lb0EPKbPbPKlPlN2at6native12_GLOBAL__N_18offset_tEEE10hipError_tPvRmT1_PNSt15iterator_traitsISK_E10value_typeET2_T3_PNSL_ISQ_E10value_typeET4_jRbjT5_SW_jjP12ihipStream_tbEUlT_E_NS1_11comp_targetILNS1_3genE3ELNS1_11target_archE908ELNS1_3gpuE7ELNS1_3repE0EEENS1_30default_config_static_selectorELNS0_4arch9wavefront6targetE1EEEvSK_,"axG",@progbits,_ZN7rocprim17ROCPRIM_400000_NS6detail17trampoline_kernelINS0_14default_configENS1_36segmented_radix_sort_config_selectorIblEEZNS1_25segmented_radix_sort_implIS3_Lb0EPKbPbPKlPlN2at6native12_GLOBAL__N_18offset_tEEE10hipError_tPvRmT1_PNSt15iterator_traitsISK_E10value_typeET2_T3_PNSL_ISQ_E10value_typeET4_jRbjT5_SW_jjP12ihipStream_tbEUlT_E_NS1_11comp_targetILNS1_3genE3ELNS1_11target_archE908ELNS1_3gpuE7ELNS1_3repE0EEENS1_30default_config_static_selectorELNS0_4arch9wavefront6targetE1EEEvSK_,comdat
	.globl	_ZN7rocprim17ROCPRIM_400000_NS6detail17trampoline_kernelINS0_14default_configENS1_36segmented_radix_sort_config_selectorIblEEZNS1_25segmented_radix_sort_implIS3_Lb0EPKbPbPKlPlN2at6native12_GLOBAL__N_18offset_tEEE10hipError_tPvRmT1_PNSt15iterator_traitsISK_E10value_typeET2_T3_PNSL_ISQ_E10value_typeET4_jRbjT5_SW_jjP12ihipStream_tbEUlT_E_NS1_11comp_targetILNS1_3genE3ELNS1_11target_archE908ELNS1_3gpuE7ELNS1_3repE0EEENS1_30default_config_static_selectorELNS0_4arch9wavefront6targetE1EEEvSK_ ; -- Begin function _ZN7rocprim17ROCPRIM_400000_NS6detail17trampoline_kernelINS0_14default_configENS1_36segmented_radix_sort_config_selectorIblEEZNS1_25segmented_radix_sort_implIS3_Lb0EPKbPbPKlPlN2at6native12_GLOBAL__N_18offset_tEEE10hipError_tPvRmT1_PNSt15iterator_traitsISK_E10value_typeET2_T3_PNSL_ISQ_E10value_typeET4_jRbjT5_SW_jjP12ihipStream_tbEUlT_E_NS1_11comp_targetILNS1_3genE3ELNS1_11target_archE908ELNS1_3gpuE7ELNS1_3repE0EEENS1_30default_config_static_selectorELNS0_4arch9wavefront6targetE1EEEvSK_
	.p2align	8
	.type	_ZN7rocprim17ROCPRIM_400000_NS6detail17trampoline_kernelINS0_14default_configENS1_36segmented_radix_sort_config_selectorIblEEZNS1_25segmented_radix_sort_implIS3_Lb0EPKbPbPKlPlN2at6native12_GLOBAL__N_18offset_tEEE10hipError_tPvRmT1_PNSt15iterator_traitsISK_E10value_typeET2_T3_PNSL_ISQ_E10value_typeET4_jRbjT5_SW_jjP12ihipStream_tbEUlT_E_NS1_11comp_targetILNS1_3genE3ELNS1_11target_archE908ELNS1_3gpuE7ELNS1_3repE0EEENS1_30default_config_static_selectorELNS0_4arch9wavefront6targetE1EEEvSK_,@function
_ZN7rocprim17ROCPRIM_400000_NS6detail17trampoline_kernelINS0_14default_configENS1_36segmented_radix_sort_config_selectorIblEEZNS1_25segmented_radix_sort_implIS3_Lb0EPKbPbPKlPlN2at6native12_GLOBAL__N_18offset_tEEE10hipError_tPvRmT1_PNSt15iterator_traitsISK_E10value_typeET2_T3_PNSL_ISQ_E10value_typeET4_jRbjT5_SW_jjP12ihipStream_tbEUlT_E_NS1_11comp_targetILNS1_3genE3ELNS1_11target_archE908ELNS1_3gpuE7ELNS1_3repE0EEENS1_30default_config_static_selectorELNS0_4arch9wavefront6targetE1EEEvSK_: ; @_ZN7rocprim17ROCPRIM_400000_NS6detail17trampoline_kernelINS0_14default_configENS1_36segmented_radix_sort_config_selectorIblEEZNS1_25segmented_radix_sort_implIS3_Lb0EPKbPbPKlPlN2at6native12_GLOBAL__N_18offset_tEEE10hipError_tPvRmT1_PNSt15iterator_traitsISK_E10value_typeET2_T3_PNSL_ISQ_E10value_typeET4_jRbjT5_SW_jjP12ihipStream_tbEUlT_E_NS1_11comp_targetILNS1_3genE3ELNS1_11target_archE908ELNS1_3gpuE7ELNS1_3repE0EEENS1_30default_config_static_selectorELNS0_4arch9wavefront6targetE1EEEvSK_
; %bb.0:
	.section	.rodata,"a",@progbits
	.p2align	6, 0x0
	.amdhsa_kernel _ZN7rocprim17ROCPRIM_400000_NS6detail17trampoline_kernelINS0_14default_configENS1_36segmented_radix_sort_config_selectorIblEEZNS1_25segmented_radix_sort_implIS3_Lb0EPKbPbPKlPlN2at6native12_GLOBAL__N_18offset_tEEE10hipError_tPvRmT1_PNSt15iterator_traitsISK_E10value_typeET2_T3_PNSL_ISQ_E10value_typeET4_jRbjT5_SW_jjP12ihipStream_tbEUlT_E_NS1_11comp_targetILNS1_3genE3ELNS1_11target_archE908ELNS1_3gpuE7ELNS1_3repE0EEENS1_30default_config_static_selectorELNS0_4arch9wavefront6targetE1EEEvSK_
		.amdhsa_group_segment_fixed_size 0
		.amdhsa_private_segment_fixed_size 0
		.amdhsa_kernarg_size 96
		.amdhsa_user_sgpr_count 6
		.amdhsa_user_sgpr_private_segment_buffer 1
		.amdhsa_user_sgpr_dispatch_ptr 0
		.amdhsa_user_sgpr_queue_ptr 0
		.amdhsa_user_sgpr_kernarg_segment_ptr 1
		.amdhsa_user_sgpr_dispatch_id 0
		.amdhsa_user_sgpr_flat_scratch_init 0
		.amdhsa_user_sgpr_kernarg_preload_length 0
		.amdhsa_user_sgpr_kernarg_preload_offset 0
		.amdhsa_user_sgpr_private_segment_size 0
		.amdhsa_uses_dynamic_stack 0
		.amdhsa_system_sgpr_private_segment_wavefront_offset 0
		.amdhsa_system_sgpr_workgroup_id_x 1
		.amdhsa_system_sgpr_workgroup_id_y 0
		.amdhsa_system_sgpr_workgroup_id_z 0
		.amdhsa_system_sgpr_workgroup_info 0
		.amdhsa_system_vgpr_workitem_id 0
		.amdhsa_next_free_vgpr 1
		.amdhsa_next_free_sgpr 0
		.amdhsa_accum_offset 4
		.amdhsa_reserve_vcc 0
		.amdhsa_reserve_flat_scratch 0
		.amdhsa_float_round_mode_32 0
		.amdhsa_float_round_mode_16_64 0
		.amdhsa_float_denorm_mode_32 3
		.amdhsa_float_denorm_mode_16_64 3
		.amdhsa_dx10_clamp 1
		.amdhsa_ieee_mode 1
		.amdhsa_fp16_overflow 0
		.amdhsa_tg_split 0
		.amdhsa_exception_fp_ieee_invalid_op 0
		.amdhsa_exception_fp_denorm_src 0
		.amdhsa_exception_fp_ieee_div_zero 0
		.amdhsa_exception_fp_ieee_overflow 0
		.amdhsa_exception_fp_ieee_underflow 0
		.amdhsa_exception_fp_ieee_inexact 0
		.amdhsa_exception_int_div_zero 0
	.end_amdhsa_kernel
	.section	.text._ZN7rocprim17ROCPRIM_400000_NS6detail17trampoline_kernelINS0_14default_configENS1_36segmented_radix_sort_config_selectorIblEEZNS1_25segmented_radix_sort_implIS3_Lb0EPKbPbPKlPlN2at6native12_GLOBAL__N_18offset_tEEE10hipError_tPvRmT1_PNSt15iterator_traitsISK_E10value_typeET2_T3_PNSL_ISQ_E10value_typeET4_jRbjT5_SW_jjP12ihipStream_tbEUlT_E_NS1_11comp_targetILNS1_3genE3ELNS1_11target_archE908ELNS1_3gpuE7ELNS1_3repE0EEENS1_30default_config_static_selectorELNS0_4arch9wavefront6targetE1EEEvSK_,"axG",@progbits,_ZN7rocprim17ROCPRIM_400000_NS6detail17trampoline_kernelINS0_14default_configENS1_36segmented_radix_sort_config_selectorIblEEZNS1_25segmented_radix_sort_implIS3_Lb0EPKbPbPKlPlN2at6native12_GLOBAL__N_18offset_tEEE10hipError_tPvRmT1_PNSt15iterator_traitsISK_E10value_typeET2_T3_PNSL_ISQ_E10value_typeET4_jRbjT5_SW_jjP12ihipStream_tbEUlT_E_NS1_11comp_targetILNS1_3genE3ELNS1_11target_archE908ELNS1_3gpuE7ELNS1_3repE0EEENS1_30default_config_static_selectorELNS0_4arch9wavefront6targetE1EEEvSK_,comdat
.Lfunc_end1637:
	.size	_ZN7rocprim17ROCPRIM_400000_NS6detail17trampoline_kernelINS0_14default_configENS1_36segmented_radix_sort_config_selectorIblEEZNS1_25segmented_radix_sort_implIS3_Lb0EPKbPbPKlPlN2at6native12_GLOBAL__N_18offset_tEEE10hipError_tPvRmT1_PNSt15iterator_traitsISK_E10value_typeET2_T3_PNSL_ISQ_E10value_typeET4_jRbjT5_SW_jjP12ihipStream_tbEUlT_E_NS1_11comp_targetILNS1_3genE3ELNS1_11target_archE908ELNS1_3gpuE7ELNS1_3repE0EEENS1_30default_config_static_selectorELNS0_4arch9wavefront6targetE1EEEvSK_, .Lfunc_end1637-_ZN7rocprim17ROCPRIM_400000_NS6detail17trampoline_kernelINS0_14default_configENS1_36segmented_radix_sort_config_selectorIblEEZNS1_25segmented_radix_sort_implIS3_Lb0EPKbPbPKlPlN2at6native12_GLOBAL__N_18offset_tEEE10hipError_tPvRmT1_PNSt15iterator_traitsISK_E10value_typeET2_T3_PNSL_ISQ_E10value_typeET4_jRbjT5_SW_jjP12ihipStream_tbEUlT_E_NS1_11comp_targetILNS1_3genE3ELNS1_11target_archE908ELNS1_3gpuE7ELNS1_3repE0EEENS1_30default_config_static_selectorELNS0_4arch9wavefront6targetE1EEEvSK_
                                        ; -- End function
	.section	.AMDGPU.csdata,"",@progbits
; Kernel info:
; codeLenInByte = 0
; NumSgprs: 4
; NumVgprs: 0
; NumAgprs: 0
; TotalNumVgprs: 0
; ScratchSize: 0
; MemoryBound: 0
; FloatMode: 240
; IeeeMode: 1
; LDSByteSize: 0 bytes/workgroup (compile time only)
; SGPRBlocks: 0
; VGPRBlocks: 0
; NumSGPRsForWavesPerEU: 4
; NumVGPRsForWavesPerEU: 1
; AccumOffset: 4
; Occupancy: 8
; WaveLimiterHint : 0
; COMPUTE_PGM_RSRC2:SCRATCH_EN: 0
; COMPUTE_PGM_RSRC2:USER_SGPR: 6
; COMPUTE_PGM_RSRC2:TRAP_HANDLER: 0
; COMPUTE_PGM_RSRC2:TGID_X_EN: 1
; COMPUTE_PGM_RSRC2:TGID_Y_EN: 0
; COMPUTE_PGM_RSRC2:TGID_Z_EN: 0
; COMPUTE_PGM_RSRC2:TIDIG_COMP_CNT: 0
; COMPUTE_PGM_RSRC3_GFX90A:ACCUM_OFFSET: 0
; COMPUTE_PGM_RSRC3_GFX90A:TG_SPLIT: 0
	.section	.text._ZN7rocprim17ROCPRIM_400000_NS6detail17trampoline_kernelINS0_14default_configENS1_36segmented_radix_sort_config_selectorIblEEZNS1_25segmented_radix_sort_implIS3_Lb0EPKbPbPKlPlN2at6native12_GLOBAL__N_18offset_tEEE10hipError_tPvRmT1_PNSt15iterator_traitsISK_E10value_typeET2_T3_PNSL_ISQ_E10value_typeET4_jRbjT5_SW_jjP12ihipStream_tbEUlT_E_NS1_11comp_targetILNS1_3genE2ELNS1_11target_archE906ELNS1_3gpuE6ELNS1_3repE0EEENS1_30default_config_static_selectorELNS0_4arch9wavefront6targetE1EEEvSK_,"axG",@progbits,_ZN7rocprim17ROCPRIM_400000_NS6detail17trampoline_kernelINS0_14default_configENS1_36segmented_radix_sort_config_selectorIblEEZNS1_25segmented_radix_sort_implIS3_Lb0EPKbPbPKlPlN2at6native12_GLOBAL__N_18offset_tEEE10hipError_tPvRmT1_PNSt15iterator_traitsISK_E10value_typeET2_T3_PNSL_ISQ_E10value_typeET4_jRbjT5_SW_jjP12ihipStream_tbEUlT_E_NS1_11comp_targetILNS1_3genE2ELNS1_11target_archE906ELNS1_3gpuE6ELNS1_3repE0EEENS1_30default_config_static_selectorELNS0_4arch9wavefront6targetE1EEEvSK_,comdat
	.globl	_ZN7rocprim17ROCPRIM_400000_NS6detail17trampoline_kernelINS0_14default_configENS1_36segmented_radix_sort_config_selectorIblEEZNS1_25segmented_radix_sort_implIS3_Lb0EPKbPbPKlPlN2at6native12_GLOBAL__N_18offset_tEEE10hipError_tPvRmT1_PNSt15iterator_traitsISK_E10value_typeET2_T3_PNSL_ISQ_E10value_typeET4_jRbjT5_SW_jjP12ihipStream_tbEUlT_E_NS1_11comp_targetILNS1_3genE2ELNS1_11target_archE906ELNS1_3gpuE6ELNS1_3repE0EEENS1_30default_config_static_selectorELNS0_4arch9wavefront6targetE1EEEvSK_ ; -- Begin function _ZN7rocprim17ROCPRIM_400000_NS6detail17trampoline_kernelINS0_14default_configENS1_36segmented_radix_sort_config_selectorIblEEZNS1_25segmented_radix_sort_implIS3_Lb0EPKbPbPKlPlN2at6native12_GLOBAL__N_18offset_tEEE10hipError_tPvRmT1_PNSt15iterator_traitsISK_E10value_typeET2_T3_PNSL_ISQ_E10value_typeET4_jRbjT5_SW_jjP12ihipStream_tbEUlT_E_NS1_11comp_targetILNS1_3genE2ELNS1_11target_archE906ELNS1_3gpuE6ELNS1_3repE0EEENS1_30default_config_static_selectorELNS0_4arch9wavefront6targetE1EEEvSK_
	.p2align	8
	.type	_ZN7rocprim17ROCPRIM_400000_NS6detail17trampoline_kernelINS0_14default_configENS1_36segmented_radix_sort_config_selectorIblEEZNS1_25segmented_radix_sort_implIS3_Lb0EPKbPbPKlPlN2at6native12_GLOBAL__N_18offset_tEEE10hipError_tPvRmT1_PNSt15iterator_traitsISK_E10value_typeET2_T3_PNSL_ISQ_E10value_typeET4_jRbjT5_SW_jjP12ihipStream_tbEUlT_E_NS1_11comp_targetILNS1_3genE2ELNS1_11target_archE906ELNS1_3gpuE6ELNS1_3repE0EEENS1_30default_config_static_selectorELNS0_4arch9wavefront6targetE1EEEvSK_,@function
_ZN7rocprim17ROCPRIM_400000_NS6detail17trampoline_kernelINS0_14default_configENS1_36segmented_radix_sort_config_selectorIblEEZNS1_25segmented_radix_sort_implIS3_Lb0EPKbPbPKlPlN2at6native12_GLOBAL__N_18offset_tEEE10hipError_tPvRmT1_PNSt15iterator_traitsISK_E10value_typeET2_T3_PNSL_ISQ_E10value_typeET4_jRbjT5_SW_jjP12ihipStream_tbEUlT_E_NS1_11comp_targetILNS1_3genE2ELNS1_11target_archE906ELNS1_3gpuE6ELNS1_3repE0EEENS1_30default_config_static_selectorELNS0_4arch9wavefront6targetE1EEEvSK_: ; @_ZN7rocprim17ROCPRIM_400000_NS6detail17trampoline_kernelINS0_14default_configENS1_36segmented_radix_sort_config_selectorIblEEZNS1_25segmented_radix_sort_implIS3_Lb0EPKbPbPKlPlN2at6native12_GLOBAL__N_18offset_tEEE10hipError_tPvRmT1_PNSt15iterator_traitsISK_E10value_typeET2_T3_PNSL_ISQ_E10value_typeET4_jRbjT5_SW_jjP12ihipStream_tbEUlT_E_NS1_11comp_targetILNS1_3genE2ELNS1_11target_archE906ELNS1_3gpuE6ELNS1_3repE0EEENS1_30default_config_static_selectorELNS0_4arch9wavefront6targetE1EEEvSK_
; %bb.0:
	.section	.rodata,"a",@progbits
	.p2align	6, 0x0
	.amdhsa_kernel _ZN7rocprim17ROCPRIM_400000_NS6detail17trampoline_kernelINS0_14default_configENS1_36segmented_radix_sort_config_selectorIblEEZNS1_25segmented_radix_sort_implIS3_Lb0EPKbPbPKlPlN2at6native12_GLOBAL__N_18offset_tEEE10hipError_tPvRmT1_PNSt15iterator_traitsISK_E10value_typeET2_T3_PNSL_ISQ_E10value_typeET4_jRbjT5_SW_jjP12ihipStream_tbEUlT_E_NS1_11comp_targetILNS1_3genE2ELNS1_11target_archE906ELNS1_3gpuE6ELNS1_3repE0EEENS1_30default_config_static_selectorELNS0_4arch9wavefront6targetE1EEEvSK_
		.amdhsa_group_segment_fixed_size 0
		.amdhsa_private_segment_fixed_size 0
		.amdhsa_kernarg_size 96
		.amdhsa_user_sgpr_count 6
		.amdhsa_user_sgpr_private_segment_buffer 1
		.amdhsa_user_sgpr_dispatch_ptr 0
		.amdhsa_user_sgpr_queue_ptr 0
		.amdhsa_user_sgpr_kernarg_segment_ptr 1
		.amdhsa_user_sgpr_dispatch_id 0
		.amdhsa_user_sgpr_flat_scratch_init 0
		.amdhsa_user_sgpr_kernarg_preload_length 0
		.amdhsa_user_sgpr_kernarg_preload_offset 0
		.amdhsa_user_sgpr_private_segment_size 0
		.amdhsa_uses_dynamic_stack 0
		.amdhsa_system_sgpr_private_segment_wavefront_offset 0
		.amdhsa_system_sgpr_workgroup_id_x 1
		.amdhsa_system_sgpr_workgroup_id_y 0
		.amdhsa_system_sgpr_workgroup_id_z 0
		.amdhsa_system_sgpr_workgroup_info 0
		.amdhsa_system_vgpr_workitem_id 0
		.amdhsa_next_free_vgpr 1
		.amdhsa_next_free_sgpr 0
		.amdhsa_accum_offset 4
		.amdhsa_reserve_vcc 0
		.amdhsa_reserve_flat_scratch 0
		.amdhsa_float_round_mode_32 0
		.amdhsa_float_round_mode_16_64 0
		.amdhsa_float_denorm_mode_32 3
		.amdhsa_float_denorm_mode_16_64 3
		.amdhsa_dx10_clamp 1
		.amdhsa_ieee_mode 1
		.amdhsa_fp16_overflow 0
		.amdhsa_tg_split 0
		.amdhsa_exception_fp_ieee_invalid_op 0
		.amdhsa_exception_fp_denorm_src 0
		.amdhsa_exception_fp_ieee_div_zero 0
		.amdhsa_exception_fp_ieee_overflow 0
		.amdhsa_exception_fp_ieee_underflow 0
		.amdhsa_exception_fp_ieee_inexact 0
		.amdhsa_exception_int_div_zero 0
	.end_amdhsa_kernel
	.section	.text._ZN7rocprim17ROCPRIM_400000_NS6detail17trampoline_kernelINS0_14default_configENS1_36segmented_radix_sort_config_selectorIblEEZNS1_25segmented_radix_sort_implIS3_Lb0EPKbPbPKlPlN2at6native12_GLOBAL__N_18offset_tEEE10hipError_tPvRmT1_PNSt15iterator_traitsISK_E10value_typeET2_T3_PNSL_ISQ_E10value_typeET4_jRbjT5_SW_jjP12ihipStream_tbEUlT_E_NS1_11comp_targetILNS1_3genE2ELNS1_11target_archE906ELNS1_3gpuE6ELNS1_3repE0EEENS1_30default_config_static_selectorELNS0_4arch9wavefront6targetE1EEEvSK_,"axG",@progbits,_ZN7rocprim17ROCPRIM_400000_NS6detail17trampoline_kernelINS0_14default_configENS1_36segmented_radix_sort_config_selectorIblEEZNS1_25segmented_radix_sort_implIS3_Lb0EPKbPbPKlPlN2at6native12_GLOBAL__N_18offset_tEEE10hipError_tPvRmT1_PNSt15iterator_traitsISK_E10value_typeET2_T3_PNSL_ISQ_E10value_typeET4_jRbjT5_SW_jjP12ihipStream_tbEUlT_E_NS1_11comp_targetILNS1_3genE2ELNS1_11target_archE906ELNS1_3gpuE6ELNS1_3repE0EEENS1_30default_config_static_selectorELNS0_4arch9wavefront6targetE1EEEvSK_,comdat
.Lfunc_end1638:
	.size	_ZN7rocprim17ROCPRIM_400000_NS6detail17trampoline_kernelINS0_14default_configENS1_36segmented_radix_sort_config_selectorIblEEZNS1_25segmented_radix_sort_implIS3_Lb0EPKbPbPKlPlN2at6native12_GLOBAL__N_18offset_tEEE10hipError_tPvRmT1_PNSt15iterator_traitsISK_E10value_typeET2_T3_PNSL_ISQ_E10value_typeET4_jRbjT5_SW_jjP12ihipStream_tbEUlT_E_NS1_11comp_targetILNS1_3genE2ELNS1_11target_archE906ELNS1_3gpuE6ELNS1_3repE0EEENS1_30default_config_static_selectorELNS0_4arch9wavefront6targetE1EEEvSK_, .Lfunc_end1638-_ZN7rocprim17ROCPRIM_400000_NS6detail17trampoline_kernelINS0_14default_configENS1_36segmented_radix_sort_config_selectorIblEEZNS1_25segmented_radix_sort_implIS3_Lb0EPKbPbPKlPlN2at6native12_GLOBAL__N_18offset_tEEE10hipError_tPvRmT1_PNSt15iterator_traitsISK_E10value_typeET2_T3_PNSL_ISQ_E10value_typeET4_jRbjT5_SW_jjP12ihipStream_tbEUlT_E_NS1_11comp_targetILNS1_3genE2ELNS1_11target_archE906ELNS1_3gpuE6ELNS1_3repE0EEENS1_30default_config_static_selectorELNS0_4arch9wavefront6targetE1EEEvSK_
                                        ; -- End function
	.section	.AMDGPU.csdata,"",@progbits
; Kernel info:
; codeLenInByte = 0
; NumSgprs: 4
; NumVgprs: 0
; NumAgprs: 0
; TotalNumVgprs: 0
; ScratchSize: 0
; MemoryBound: 0
; FloatMode: 240
; IeeeMode: 1
; LDSByteSize: 0 bytes/workgroup (compile time only)
; SGPRBlocks: 0
; VGPRBlocks: 0
; NumSGPRsForWavesPerEU: 4
; NumVGPRsForWavesPerEU: 1
; AccumOffset: 4
; Occupancy: 8
; WaveLimiterHint : 0
; COMPUTE_PGM_RSRC2:SCRATCH_EN: 0
; COMPUTE_PGM_RSRC2:USER_SGPR: 6
; COMPUTE_PGM_RSRC2:TRAP_HANDLER: 0
; COMPUTE_PGM_RSRC2:TGID_X_EN: 1
; COMPUTE_PGM_RSRC2:TGID_Y_EN: 0
; COMPUTE_PGM_RSRC2:TGID_Z_EN: 0
; COMPUTE_PGM_RSRC2:TIDIG_COMP_CNT: 0
; COMPUTE_PGM_RSRC3_GFX90A:ACCUM_OFFSET: 0
; COMPUTE_PGM_RSRC3_GFX90A:TG_SPLIT: 0
	.section	.text._ZN7rocprim17ROCPRIM_400000_NS6detail17trampoline_kernelINS0_14default_configENS1_36segmented_radix_sort_config_selectorIblEEZNS1_25segmented_radix_sort_implIS3_Lb0EPKbPbPKlPlN2at6native12_GLOBAL__N_18offset_tEEE10hipError_tPvRmT1_PNSt15iterator_traitsISK_E10value_typeET2_T3_PNSL_ISQ_E10value_typeET4_jRbjT5_SW_jjP12ihipStream_tbEUlT_E_NS1_11comp_targetILNS1_3genE10ELNS1_11target_archE1201ELNS1_3gpuE5ELNS1_3repE0EEENS1_30default_config_static_selectorELNS0_4arch9wavefront6targetE1EEEvSK_,"axG",@progbits,_ZN7rocprim17ROCPRIM_400000_NS6detail17trampoline_kernelINS0_14default_configENS1_36segmented_radix_sort_config_selectorIblEEZNS1_25segmented_radix_sort_implIS3_Lb0EPKbPbPKlPlN2at6native12_GLOBAL__N_18offset_tEEE10hipError_tPvRmT1_PNSt15iterator_traitsISK_E10value_typeET2_T3_PNSL_ISQ_E10value_typeET4_jRbjT5_SW_jjP12ihipStream_tbEUlT_E_NS1_11comp_targetILNS1_3genE10ELNS1_11target_archE1201ELNS1_3gpuE5ELNS1_3repE0EEENS1_30default_config_static_selectorELNS0_4arch9wavefront6targetE1EEEvSK_,comdat
	.globl	_ZN7rocprim17ROCPRIM_400000_NS6detail17trampoline_kernelINS0_14default_configENS1_36segmented_radix_sort_config_selectorIblEEZNS1_25segmented_radix_sort_implIS3_Lb0EPKbPbPKlPlN2at6native12_GLOBAL__N_18offset_tEEE10hipError_tPvRmT1_PNSt15iterator_traitsISK_E10value_typeET2_T3_PNSL_ISQ_E10value_typeET4_jRbjT5_SW_jjP12ihipStream_tbEUlT_E_NS1_11comp_targetILNS1_3genE10ELNS1_11target_archE1201ELNS1_3gpuE5ELNS1_3repE0EEENS1_30default_config_static_selectorELNS0_4arch9wavefront6targetE1EEEvSK_ ; -- Begin function _ZN7rocprim17ROCPRIM_400000_NS6detail17trampoline_kernelINS0_14default_configENS1_36segmented_radix_sort_config_selectorIblEEZNS1_25segmented_radix_sort_implIS3_Lb0EPKbPbPKlPlN2at6native12_GLOBAL__N_18offset_tEEE10hipError_tPvRmT1_PNSt15iterator_traitsISK_E10value_typeET2_T3_PNSL_ISQ_E10value_typeET4_jRbjT5_SW_jjP12ihipStream_tbEUlT_E_NS1_11comp_targetILNS1_3genE10ELNS1_11target_archE1201ELNS1_3gpuE5ELNS1_3repE0EEENS1_30default_config_static_selectorELNS0_4arch9wavefront6targetE1EEEvSK_
	.p2align	8
	.type	_ZN7rocprim17ROCPRIM_400000_NS6detail17trampoline_kernelINS0_14default_configENS1_36segmented_radix_sort_config_selectorIblEEZNS1_25segmented_radix_sort_implIS3_Lb0EPKbPbPKlPlN2at6native12_GLOBAL__N_18offset_tEEE10hipError_tPvRmT1_PNSt15iterator_traitsISK_E10value_typeET2_T3_PNSL_ISQ_E10value_typeET4_jRbjT5_SW_jjP12ihipStream_tbEUlT_E_NS1_11comp_targetILNS1_3genE10ELNS1_11target_archE1201ELNS1_3gpuE5ELNS1_3repE0EEENS1_30default_config_static_selectorELNS0_4arch9wavefront6targetE1EEEvSK_,@function
_ZN7rocprim17ROCPRIM_400000_NS6detail17trampoline_kernelINS0_14default_configENS1_36segmented_radix_sort_config_selectorIblEEZNS1_25segmented_radix_sort_implIS3_Lb0EPKbPbPKlPlN2at6native12_GLOBAL__N_18offset_tEEE10hipError_tPvRmT1_PNSt15iterator_traitsISK_E10value_typeET2_T3_PNSL_ISQ_E10value_typeET4_jRbjT5_SW_jjP12ihipStream_tbEUlT_E_NS1_11comp_targetILNS1_3genE10ELNS1_11target_archE1201ELNS1_3gpuE5ELNS1_3repE0EEENS1_30default_config_static_selectorELNS0_4arch9wavefront6targetE1EEEvSK_: ; @_ZN7rocprim17ROCPRIM_400000_NS6detail17trampoline_kernelINS0_14default_configENS1_36segmented_radix_sort_config_selectorIblEEZNS1_25segmented_radix_sort_implIS3_Lb0EPKbPbPKlPlN2at6native12_GLOBAL__N_18offset_tEEE10hipError_tPvRmT1_PNSt15iterator_traitsISK_E10value_typeET2_T3_PNSL_ISQ_E10value_typeET4_jRbjT5_SW_jjP12ihipStream_tbEUlT_E_NS1_11comp_targetILNS1_3genE10ELNS1_11target_archE1201ELNS1_3gpuE5ELNS1_3repE0EEENS1_30default_config_static_selectorELNS0_4arch9wavefront6targetE1EEEvSK_
; %bb.0:
	.section	.rodata,"a",@progbits
	.p2align	6, 0x0
	.amdhsa_kernel _ZN7rocprim17ROCPRIM_400000_NS6detail17trampoline_kernelINS0_14default_configENS1_36segmented_radix_sort_config_selectorIblEEZNS1_25segmented_radix_sort_implIS3_Lb0EPKbPbPKlPlN2at6native12_GLOBAL__N_18offset_tEEE10hipError_tPvRmT1_PNSt15iterator_traitsISK_E10value_typeET2_T3_PNSL_ISQ_E10value_typeET4_jRbjT5_SW_jjP12ihipStream_tbEUlT_E_NS1_11comp_targetILNS1_3genE10ELNS1_11target_archE1201ELNS1_3gpuE5ELNS1_3repE0EEENS1_30default_config_static_selectorELNS0_4arch9wavefront6targetE1EEEvSK_
		.amdhsa_group_segment_fixed_size 0
		.amdhsa_private_segment_fixed_size 0
		.amdhsa_kernarg_size 96
		.amdhsa_user_sgpr_count 6
		.amdhsa_user_sgpr_private_segment_buffer 1
		.amdhsa_user_sgpr_dispatch_ptr 0
		.amdhsa_user_sgpr_queue_ptr 0
		.amdhsa_user_sgpr_kernarg_segment_ptr 1
		.amdhsa_user_sgpr_dispatch_id 0
		.amdhsa_user_sgpr_flat_scratch_init 0
		.amdhsa_user_sgpr_kernarg_preload_length 0
		.amdhsa_user_sgpr_kernarg_preload_offset 0
		.amdhsa_user_sgpr_private_segment_size 0
		.amdhsa_uses_dynamic_stack 0
		.amdhsa_system_sgpr_private_segment_wavefront_offset 0
		.amdhsa_system_sgpr_workgroup_id_x 1
		.amdhsa_system_sgpr_workgroup_id_y 0
		.amdhsa_system_sgpr_workgroup_id_z 0
		.amdhsa_system_sgpr_workgroup_info 0
		.amdhsa_system_vgpr_workitem_id 0
		.amdhsa_next_free_vgpr 1
		.amdhsa_next_free_sgpr 0
		.amdhsa_accum_offset 4
		.amdhsa_reserve_vcc 0
		.amdhsa_reserve_flat_scratch 0
		.amdhsa_float_round_mode_32 0
		.amdhsa_float_round_mode_16_64 0
		.amdhsa_float_denorm_mode_32 3
		.amdhsa_float_denorm_mode_16_64 3
		.amdhsa_dx10_clamp 1
		.amdhsa_ieee_mode 1
		.amdhsa_fp16_overflow 0
		.amdhsa_tg_split 0
		.amdhsa_exception_fp_ieee_invalid_op 0
		.amdhsa_exception_fp_denorm_src 0
		.amdhsa_exception_fp_ieee_div_zero 0
		.amdhsa_exception_fp_ieee_overflow 0
		.amdhsa_exception_fp_ieee_underflow 0
		.amdhsa_exception_fp_ieee_inexact 0
		.amdhsa_exception_int_div_zero 0
	.end_amdhsa_kernel
	.section	.text._ZN7rocprim17ROCPRIM_400000_NS6detail17trampoline_kernelINS0_14default_configENS1_36segmented_radix_sort_config_selectorIblEEZNS1_25segmented_radix_sort_implIS3_Lb0EPKbPbPKlPlN2at6native12_GLOBAL__N_18offset_tEEE10hipError_tPvRmT1_PNSt15iterator_traitsISK_E10value_typeET2_T3_PNSL_ISQ_E10value_typeET4_jRbjT5_SW_jjP12ihipStream_tbEUlT_E_NS1_11comp_targetILNS1_3genE10ELNS1_11target_archE1201ELNS1_3gpuE5ELNS1_3repE0EEENS1_30default_config_static_selectorELNS0_4arch9wavefront6targetE1EEEvSK_,"axG",@progbits,_ZN7rocprim17ROCPRIM_400000_NS6detail17trampoline_kernelINS0_14default_configENS1_36segmented_radix_sort_config_selectorIblEEZNS1_25segmented_radix_sort_implIS3_Lb0EPKbPbPKlPlN2at6native12_GLOBAL__N_18offset_tEEE10hipError_tPvRmT1_PNSt15iterator_traitsISK_E10value_typeET2_T3_PNSL_ISQ_E10value_typeET4_jRbjT5_SW_jjP12ihipStream_tbEUlT_E_NS1_11comp_targetILNS1_3genE10ELNS1_11target_archE1201ELNS1_3gpuE5ELNS1_3repE0EEENS1_30default_config_static_selectorELNS0_4arch9wavefront6targetE1EEEvSK_,comdat
.Lfunc_end1639:
	.size	_ZN7rocprim17ROCPRIM_400000_NS6detail17trampoline_kernelINS0_14default_configENS1_36segmented_radix_sort_config_selectorIblEEZNS1_25segmented_radix_sort_implIS3_Lb0EPKbPbPKlPlN2at6native12_GLOBAL__N_18offset_tEEE10hipError_tPvRmT1_PNSt15iterator_traitsISK_E10value_typeET2_T3_PNSL_ISQ_E10value_typeET4_jRbjT5_SW_jjP12ihipStream_tbEUlT_E_NS1_11comp_targetILNS1_3genE10ELNS1_11target_archE1201ELNS1_3gpuE5ELNS1_3repE0EEENS1_30default_config_static_selectorELNS0_4arch9wavefront6targetE1EEEvSK_, .Lfunc_end1639-_ZN7rocprim17ROCPRIM_400000_NS6detail17trampoline_kernelINS0_14default_configENS1_36segmented_radix_sort_config_selectorIblEEZNS1_25segmented_radix_sort_implIS3_Lb0EPKbPbPKlPlN2at6native12_GLOBAL__N_18offset_tEEE10hipError_tPvRmT1_PNSt15iterator_traitsISK_E10value_typeET2_T3_PNSL_ISQ_E10value_typeET4_jRbjT5_SW_jjP12ihipStream_tbEUlT_E_NS1_11comp_targetILNS1_3genE10ELNS1_11target_archE1201ELNS1_3gpuE5ELNS1_3repE0EEENS1_30default_config_static_selectorELNS0_4arch9wavefront6targetE1EEEvSK_
                                        ; -- End function
	.section	.AMDGPU.csdata,"",@progbits
; Kernel info:
; codeLenInByte = 0
; NumSgprs: 4
; NumVgprs: 0
; NumAgprs: 0
; TotalNumVgprs: 0
; ScratchSize: 0
; MemoryBound: 0
; FloatMode: 240
; IeeeMode: 1
; LDSByteSize: 0 bytes/workgroup (compile time only)
; SGPRBlocks: 0
; VGPRBlocks: 0
; NumSGPRsForWavesPerEU: 4
; NumVGPRsForWavesPerEU: 1
; AccumOffset: 4
; Occupancy: 8
; WaveLimiterHint : 0
; COMPUTE_PGM_RSRC2:SCRATCH_EN: 0
; COMPUTE_PGM_RSRC2:USER_SGPR: 6
; COMPUTE_PGM_RSRC2:TRAP_HANDLER: 0
; COMPUTE_PGM_RSRC2:TGID_X_EN: 1
; COMPUTE_PGM_RSRC2:TGID_Y_EN: 0
; COMPUTE_PGM_RSRC2:TGID_Z_EN: 0
; COMPUTE_PGM_RSRC2:TIDIG_COMP_CNT: 0
; COMPUTE_PGM_RSRC3_GFX90A:ACCUM_OFFSET: 0
; COMPUTE_PGM_RSRC3_GFX90A:TG_SPLIT: 0
	.section	.text._ZN7rocprim17ROCPRIM_400000_NS6detail17trampoline_kernelINS0_14default_configENS1_36segmented_radix_sort_config_selectorIblEEZNS1_25segmented_radix_sort_implIS3_Lb0EPKbPbPKlPlN2at6native12_GLOBAL__N_18offset_tEEE10hipError_tPvRmT1_PNSt15iterator_traitsISK_E10value_typeET2_T3_PNSL_ISQ_E10value_typeET4_jRbjT5_SW_jjP12ihipStream_tbEUlT_E_NS1_11comp_targetILNS1_3genE10ELNS1_11target_archE1200ELNS1_3gpuE4ELNS1_3repE0EEENS1_30default_config_static_selectorELNS0_4arch9wavefront6targetE1EEEvSK_,"axG",@progbits,_ZN7rocprim17ROCPRIM_400000_NS6detail17trampoline_kernelINS0_14default_configENS1_36segmented_radix_sort_config_selectorIblEEZNS1_25segmented_radix_sort_implIS3_Lb0EPKbPbPKlPlN2at6native12_GLOBAL__N_18offset_tEEE10hipError_tPvRmT1_PNSt15iterator_traitsISK_E10value_typeET2_T3_PNSL_ISQ_E10value_typeET4_jRbjT5_SW_jjP12ihipStream_tbEUlT_E_NS1_11comp_targetILNS1_3genE10ELNS1_11target_archE1200ELNS1_3gpuE4ELNS1_3repE0EEENS1_30default_config_static_selectorELNS0_4arch9wavefront6targetE1EEEvSK_,comdat
	.globl	_ZN7rocprim17ROCPRIM_400000_NS6detail17trampoline_kernelINS0_14default_configENS1_36segmented_radix_sort_config_selectorIblEEZNS1_25segmented_radix_sort_implIS3_Lb0EPKbPbPKlPlN2at6native12_GLOBAL__N_18offset_tEEE10hipError_tPvRmT1_PNSt15iterator_traitsISK_E10value_typeET2_T3_PNSL_ISQ_E10value_typeET4_jRbjT5_SW_jjP12ihipStream_tbEUlT_E_NS1_11comp_targetILNS1_3genE10ELNS1_11target_archE1200ELNS1_3gpuE4ELNS1_3repE0EEENS1_30default_config_static_selectorELNS0_4arch9wavefront6targetE1EEEvSK_ ; -- Begin function _ZN7rocprim17ROCPRIM_400000_NS6detail17trampoline_kernelINS0_14default_configENS1_36segmented_radix_sort_config_selectorIblEEZNS1_25segmented_radix_sort_implIS3_Lb0EPKbPbPKlPlN2at6native12_GLOBAL__N_18offset_tEEE10hipError_tPvRmT1_PNSt15iterator_traitsISK_E10value_typeET2_T3_PNSL_ISQ_E10value_typeET4_jRbjT5_SW_jjP12ihipStream_tbEUlT_E_NS1_11comp_targetILNS1_3genE10ELNS1_11target_archE1200ELNS1_3gpuE4ELNS1_3repE0EEENS1_30default_config_static_selectorELNS0_4arch9wavefront6targetE1EEEvSK_
	.p2align	8
	.type	_ZN7rocprim17ROCPRIM_400000_NS6detail17trampoline_kernelINS0_14default_configENS1_36segmented_radix_sort_config_selectorIblEEZNS1_25segmented_radix_sort_implIS3_Lb0EPKbPbPKlPlN2at6native12_GLOBAL__N_18offset_tEEE10hipError_tPvRmT1_PNSt15iterator_traitsISK_E10value_typeET2_T3_PNSL_ISQ_E10value_typeET4_jRbjT5_SW_jjP12ihipStream_tbEUlT_E_NS1_11comp_targetILNS1_3genE10ELNS1_11target_archE1200ELNS1_3gpuE4ELNS1_3repE0EEENS1_30default_config_static_selectorELNS0_4arch9wavefront6targetE1EEEvSK_,@function
_ZN7rocprim17ROCPRIM_400000_NS6detail17trampoline_kernelINS0_14default_configENS1_36segmented_radix_sort_config_selectorIblEEZNS1_25segmented_radix_sort_implIS3_Lb0EPKbPbPKlPlN2at6native12_GLOBAL__N_18offset_tEEE10hipError_tPvRmT1_PNSt15iterator_traitsISK_E10value_typeET2_T3_PNSL_ISQ_E10value_typeET4_jRbjT5_SW_jjP12ihipStream_tbEUlT_E_NS1_11comp_targetILNS1_3genE10ELNS1_11target_archE1200ELNS1_3gpuE4ELNS1_3repE0EEENS1_30default_config_static_selectorELNS0_4arch9wavefront6targetE1EEEvSK_: ; @_ZN7rocprim17ROCPRIM_400000_NS6detail17trampoline_kernelINS0_14default_configENS1_36segmented_radix_sort_config_selectorIblEEZNS1_25segmented_radix_sort_implIS3_Lb0EPKbPbPKlPlN2at6native12_GLOBAL__N_18offset_tEEE10hipError_tPvRmT1_PNSt15iterator_traitsISK_E10value_typeET2_T3_PNSL_ISQ_E10value_typeET4_jRbjT5_SW_jjP12ihipStream_tbEUlT_E_NS1_11comp_targetILNS1_3genE10ELNS1_11target_archE1200ELNS1_3gpuE4ELNS1_3repE0EEENS1_30default_config_static_selectorELNS0_4arch9wavefront6targetE1EEEvSK_
; %bb.0:
	.section	.rodata,"a",@progbits
	.p2align	6, 0x0
	.amdhsa_kernel _ZN7rocprim17ROCPRIM_400000_NS6detail17trampoline_kernelINS0_14default_configENS1_36segmented_radix_sort_config_selectorIblEEZNS1_25segmented_radix_sort_implIS3_Lb0EPKbPbPKlPlN2at6native12_GLOBAL__N_18offset_tEEE10hipError_tPvRmT1_PNSt15iterator_traitsISK_E10value_typeET2_T3_PNSL_ISQ_E10value_typeET4_jRbjT5_SW_jjP12ihipStream_tbEUlT_E_NS1_11comp_targetILNS1_3genE10ELNS1_11target_archE1200ELNS1_3gpuE4ELNS1_3repE0EEENS1_30default_config_static_selectorELNS0_4arch9wavefront6targetE1EEEvSK_
		.amdhsa_group_segment_fixed_size 0
		.amdhsa_private_segment_fixed_size 0
		.amdhsa_kernarg_size 96
		.amdhsa_user_sgpr_count 6
		.amdhsa_user_sgpr_private_segment_buffer 1
		.amdhsa_user_sgpr_dispatch_ptr 0
		.amdhsa_user_sgpr_queue_ptr 0
		.amdhsa_user_sgpr_kernarg_segment_ptr 1
		.amdhsa_user_sgpr_dispatch_id 0
		.amdhsa_user_sgpr_flat_scratch_init 0
		.amdhsa_user_sgpr_kernarg_preload_length 0
		.amdhsa_user_sgpr_kernarg_preload_offset 0
		.amdhsa_user_sgpr_private_segment_size 0
		.amdhsa_uses_dynamic_stack 0
		.amdhsa_system_sgpr_private_segment_wavefront_offset 0
		.amdhsa_system_sgpr_workgroup_id_x 1
		.amdhsa_system_sgpr_workgroup_id_y 0
		.amdhsa_system_sgpr_workgroup_id_z 0
		.amdhsa_system_sgpr_workgroup_info 0
		.amdhsa_system_vgpr_workitem_id 0
		.amdhsa_next_free_vgpr 1
		.amdhsa_next_free_sgpr 0
		.amdhsa_accum_offset 4
		.amdhsa_reserve_vcc 0
		.amdhsa_reserve_flat_scratch 0
		.amdhsa_float_round_mode_32 0
		.amdhsa_float_round_mode_16_64 0
		.amdhsa_float_denorm_mode_32 3
		.amdhsa_float_denorm_mode_16_64 3
		.amdhsa_dx10_clamp 1
		.amdhsa_ieee_mode 1
		.amdhsa_fp16_overflow 0
		.amdhsa_tg_split 0
		.amdhsa_exception_fp_ieee_invalid_op 0
		.amdhsa_exception_fp_denorm_src 0
		.amdhsa_exception_fp_ieee_div_zero 0
		.amdhsa_exception_fp_ieee_overflow 0
		.amdhsa_exception_fp_ieee_underflow 0
		.amdhsa_exception_fp_ieee_inexact 0
		.amdhsa_exception_int_div_zero 0
	.end_amdhsa_kernel
	.section	.text._ZN7rocprim17ROCPRIM_400000_NS6detail17trampoline_kernelINS0_14default_configENS1_36segmented_radix_sort_config_selectorIblEEZNS1_25segmented_radix_sort_implIS3_Lb0EPKbPbPKlPlN2at6native12_GLOBAL__N_18offset_tEEE10hipError_tPvRmT1_PNSt15iterator_traitsISK_E10value_typeET2_T3_PNSL_ISQ_E10value_typeET4_jRbjT5_SW_jjP12ihipStream_tbEUlT_E_NS1_11comp_targetILNS1_3genE10ELNS1_11target_archE1200ELNS1_3gpuE4ELNS1_3repE0EEENS1_30default_config_static_selectorELNS0_4arch9wavefront6targetE1EEEvSK_,"axG",@progbits,_ZN7rocprim17ROCPRIM_400000_NS6detail17trampoline_kernelINS0_14default_configENS1_36segmented_radix_sort_config_selectorIblEEZNS1_25segmented_radix_sort_implIS3_Lb0EPKbPbPKlPlN2at6native12_GLOBAL__N_18offset_tEEE10hipError_tPvRmT1_PNSt15iterator_traitsISK_E10value_typeET2_T3_PNSL_ISQ_E10value_typeET4_jRbjT5_SW_jjP12ihipStream_tbEUlT_E_NS1_11comp_targetILNS1_3genE10ELNS1_11target_archE1200ELNS1_3gpuE4ELNS1_3repE0EEENS1_30default_config_static_selectorELNS0_4arch9wavefront6targetE1EEEvSK_,comdat
.Lfunc_end1640:
	.size	_ZN7rocprim17ROCPRIM_400000_NS6detail17trampoline_kernelINS0_14default_configENS1_36segmented_radix_sort_config_selectorIblEEZNS1_25segmented_radix_sort_implIS3_Lb0EPKbPbPKlPlN2at6native12_GLOBAL__N_18offset_tEEE10hipError_tPvRmT1_PNSt15iterator_traitsISK_E10value_typeET2_T3_PNSL_ISQ_E10value_typeET4_jRbjT5_SW_jjP12ihipStream_tbEUlT_E_NS1_11comp_targetILNS1_3genE10ELNS1_11target_archE1200ELNS1_3gpuE4ELNS1_3repE0EEENS1_30default_config_static_selectorELNS0_4arch9wavefront6targetE1EEEvSK_, .Lfunc_end1640-_ZN7rocprim17ROCPRIM_400000_NS6detail17trampoline_kernelINS0_14default_configENS1_36segmented_radix_sort_config_selectorIblEEZNS1_25segmented_radix_sort_implIS3_Lb0EPKbPbPKlPlN2at6native12_GLOBAL__N_18offset_tEEE10hipError_tPvRmT1_PNSt15iterator_traitsISK_E10value_typeET2_T3_PNSL_ISQ_E10value_typeET4_jRbjT5_SW_jjP12ihipStream_tbEUlT_E_NS1_11comp_targetILNS1_3genE10ELNS1_11target_archE1200ELNS1_3gpuE4ELNS1_3repE0EEENS1_30default_config_static_selectorELNS0_4arch9wavefront6targetE1EEEvSK_
                                        ; -- End function
	.section	.AMDGPU.csdata,"",@progbits
; Kernel info:
; codeLenInByte = 0
; NumSgprs: 4
; NumVgprs: 0
; NumAgprs: 0
; TotalNumVgprs: 0
; ScratchSize: 0
; MemoryBound: 0
; FloatMode: 240
; IeeeMode: 1
; LDSByteSize: 0 bytes/workgroup (compile time only)
; SGPRBlocks: 0
; VGPRBlocks: 0
; NumSGPRsForWavesPerEU: 4
; NumVGPRsForWavesPerEU: 1
; AccumOffset: 4
; Occupancy: 8
; WaveLimiterHint : 0
; COMPUTE_PGM_RSRC2:SCRATCH_EN: 0
; COMPUTE_PGM_RSRC2:USER_SGPR: 6
; COMPUTE_PGM_RSRC2:TRAP_HANDLER: 0
; COMPUTE_PGM_RSRC2:TGID_X_EN: 1
; COMPUTE_PGM_RSRC2:TGID_Y_EN: 0
; COMPUTE_PGM_RSRC2:TGID_Z_EN: 0
; COMPUTE_PGM_RSRC2:TIDIG_COMP_CNT: 0
; COMPUTE_PGM_RSRC3_GFX90A:ACCUM_OFFSET: 0
; COMPUTE_PGM_RSRC3_GFX90A:TG_SPLIT: 0
	.section	.text._ZN7rocprim17ROCPRIM_400000_NS6detail17trampoline_kernelINS0_14default_configENS1_36segmented_radix_sort_config_selectorIblEEZNS1_25segmented_radix_sort_implIS3_Lb0EPKbPbPKlPlN2at6native12_GLOBAL__N_18offset_tEEE10hipError_tPvRmT1_PNSt15iterator_traitsISK_E10value_typeET2_T3_PNSL_ISQ_E10value_typeET4_jRbjT5_SW_jjP12ihipStream_tbEUlT_E_NS1_11comp_targetILNS1_3genE9ELNS1_11target_archE1100ELNS1_3gpuE3ELNS1_3repE0EEENS1_30default_config_static_selectorELNS0_4arch9wavefront6targetE1EEEvSK_,"axG",@progbits,_ZN7rocprim17ROCPRIM_400000_NS6detail17trampoline_kernelINS0_14default_configENS1_36segmented_radix_sort_config_selectorIblEEZNS1_25segmented_radix_sort_implIS3_Lb0EPKbPbPKlPlN2at6native12_GLOBAL__N_18offset_tEEE10hipError_tPvRmT1_PNSt15iterator_traitsISK_E10value_typeET2_T3_PNSL_ISQ_E10value_typeET4_jRbjT5_SW_jjP12ihipStream_tbEUlT_E_NS1_11comp_targetILNS1_3genE9ELNS1_11target_archE1100ELNS1_3gpuE3ELNS1_3repE0EEENS1_30default_config_static_selectorELNS0_4arch9wavefront6targetE1EEEvSK_,comdat
	.globl	_ZN7rocprim17ROCPRIM_400000_NS6detail17trampoline_kernelINS0_14default_configENS1_36segmented_radix_sort_config_selectorIblEEZNS1_25segmented_radix_sort_implIS3_Lb0EPKbPbPKlPlN2at6native12_GLOBAL__N_18offset_tEEE10hipError_tPvRmT1_PNSt15iterator_traitsISK_E10value_typeET2_T3_PNSL_ISQ_E10value_typeET4_jRbjT5_SW_jjP12ihipStream_tbEUlT_E_NS1_11comp_targetILNS1_3genE9ELNS1_11target_archE1100ELNS1_3gpuE3ELNS1_3repE0EEENS1_30default_config_static_selectorELNS0_4arch9wavefront6targetE1EEEvSK_ ; -- Begin function _ZN7rocprim17ROCPRIM_400000_NS6detail17trampoline_kernelINS0_14default_configENS1_36segmented_radix_sort_config_selectorIblEEZNS1_25segmented_radix_sort_implIS3_Lb0EPKbPbPKlPlN2at6native12_GLOBAL__N_18offset_tEEE10hipError_tPvRmT1_PNSt15iterator_traitsISK_E10value_typeET2_T3_PNSL_ISQ_E10value_typeET4_jRbjT5_SW_jjP12ihipStream_tbEUlT_E_NS1_11comp_targetILNS1_3genE9ELNS1_11target_archE1100ELNS1_3gpuE3ELNS1_3repE0EEENS1_30default_config_static_selectorELNS0_4arch9wavefront6targetE1EEEvSK_
	.p2align	8
	.type	_ZN7rocprim17ROCPRIM_400000_NS6detail17trampoline_kernelINS0_14default_configENS1_36segmented_radix_sort_config_selectorIblEEZNS1_25segmented_radix_sort_implIS3_Lb0EPKbPbPKlPlN2at6native12_GLOBAL__N_18offset_tEEE10hipError_tPvRmT1_PNSt15iterator_traitsISK_E10value_typeET2_T3_PNSL_ISQ_E10value_typeET4_jRbjT5_SW_jjP12ihipStream_tbEUlT_E_NS1_11comp_targetILNS1_3genE9ELNS1_11target_archE1100ELNS1_3gpuE3ELNS1_3repE0EEENS1_30default_config_static_selectorELNS0_4arch9wavefront6targetE1EEEvSK_,@function
_ZN7rocprim17ROCPRIM_400000_NS6detail17trampoline_kernelINS0_14default_configENS1_36segmented_radix_sort_config_selectorIblEEZNS1_25segmented_radix_sort_implIS3_Lb0EPKbPbPKlPlN2at6native12_GLOBAL__N_18offset_tEEE10hipError_tPvRmT1_PNSt15iterator_traitsISK_E10value_typeET2_T3_PNSL_ISQ_E10value_typeET4_jRbjT5_SW_jjP12ihipStream_tbEUlT_E_NS1_11comp_targetILNS1_3genE9ELNS1_11target_archE1100ELNS1_3gpuE3ELNS1_3repE0EEENS1_30default_config_static_selectorELNS0_4arch9wavefront6targetE1EEEvSK_: ; @_ZN7rocprim17ROCPRIM_400000_NS6detail17trampoline_kernelINS0_14default_configENS1_36segmented_radix_sort_config_selectorIblEEZNS1_25segmented_radix_sort_implIS3_Lb0EPKbPbPKlPlN2at6native12_GLOBAL__N_18offset_tEEE10hipError_tPvRmT1_PNSt15iterator_traitsISK_E10value_typeET2_T3_PNSL_ISQ_E10value_typeET4_jRbjT5_SW_jjP12ihipStream_tbEUlT_E_NS1_11comp_targetILNS1_3genE9ELNS1_11target_archE1100ELNS1_3gpuE3ELNS1_3repE0EEENS1_30default_config_static_selectorELNS0_4arch9wavefront6targetE1EEEvSK_
; %bb.0:
	.section	.rodata,"a",@progbits
	.p2align	6, 0x0
	.amdhsa_kernel _ZN7rocprim17ROCPRIM_400000_NS6detail17trampoline_kernelINS0_14default_configENS1_36segmented_radix_sort_config_selectorIblEEZNS1_25segmented_radix_sort_implIS3_Lb0EPKbPbPKlPlN2at6native12_GLOBAL__N_18offset_tEEE10hipError_tPvRmT1_PNSt15iterator_traitsISK_E10value_typeET2_T3_PNSL_ISQ_E10value_typeET4_jRbjT5_SW_jjP12ihipStream_tbEUlT_E_NS1_11comp_targetILNS1_3genE9ELNS1_11target_archE1100ELNS1_3gpuE3ELNS1_3repE0EEENS1_30default_config_static_selectorELNS0_4arch9wavefront6targetE1EEEvSK_
		.amdhsa_group_segment_fixed_size 0
		.amdhsa_private_segment_fixed_size 0
		.amdhsa_kernarg_size 96
		.amdhsa_user_sgpr_count 6
		.amdhsa_user_sgpr_private_segment_buffer 1
		.amdhsa_user_sgpr_dispatch_ptr 0
		.amdhsa_user_sgpr_queue_ptr 0
		.amdhsa_user_sgpr_kernarg_segment_ptr 1
		.amdhsa_user_sgpr_dispatch_id 0
		.amdhsa_user_sgpr_flat_scratch_init 0
		.amdhsa_user_sgpr_kernarg_preload_length 0
		.amdhsa_user_sgpr_kernarg_preload_offset 0
		.amdhsa_user_sgpr_private_segment_size 0
		.amdhsa_uses_dynamic_stack 0
		.amdhsa_system_sgpr_private_segment_wavefront_offset 0
		.amdhsa_system_sgpr_workgroup_id_x 1
		.amdhsa_system_sgpr_workgroup_id_y 0
		.amdhsa_system_sgpr_workgroup_id_z 0
		.amdhsa_system_sgpr_workgroup_info 0
		.amdhsa_system_vgpr_workitem_id 0
		.amdhsa_next_free_vgpr 1
		.amdhsa_next_free_sgpr 0
		.amdhsa_accum_offset 4
		.amdhsa_reserve_vcc 0
		.amdhsa_reserve_flat_scratch 0
		.amdhsa_float_round_mode_32 0
		.amdhsa_float_round_mode_16_64 0
		.amdhsa_float_denorm_mode_32 3
		.amdhsa_float_denorm_mode_16_64 3
		.amdhsa_dx10_clamp 1
		.amdhsa_ieee_mode 1
		.amdhsa_fp16_overflow 0
		.amdhsa_tg_split 0
		.amdhsa_exception_fp_ieee_invalid_op 0
		.amdhsa_exception_fp_denorm_src 0
		.amdhsa_exception_fp_ieee_div_zero 0
		.amdhsa_exception_fp_ieee_overflow 0
		.amdhsa_exception_fp_ieee_underflow 0
		.amdhsa_exception_fp_ieee_inexact 0
		.amdhsa_exception_int_div_zero 0
	.end_amdhsa_kernel
	.section	.text._ZN7rocprim17ROCPRIM_400000_NS6detail17trampoline_kernelINS0_14default_configENS1_36segmented_radix_sort_config_selectorIblEEZNS1_25segmented_radix_sort_implIS3_Lb0EPKbPbPKlPlN2at6native12_GLOBAL__N_18offset_tEEE10hipError_tPvRmT1_PNSt15iterator_traitsISK_E10value_typeET2_T3_PNSL_ISQ_E10value_typeET4_jRbjT5_SW_jjP12ihipStream_tbEUlT_E_NS1_11comp_targetILNS1_3genE9ELNS1_11target_archE1100ELNS1_3gpuE3ELNS1_3repE0EEENS1_30default_config_static_selectorELNS0_4arch9wavefront6targetE1EEEvSK_,"axG",@progbits,_ZN7rocprim17ROCPRIM_400000_NS6detail17trampoline_kernelINS0_14default_configENS1_36segmented_radix_sort_config_selectorIblEEZNS1_25segmented_radix_sort_implIS3_Lb0EPKbPbPKlPlN2at6native12_GLOBAL__N_18offset_tEEE10hipError_tPvRmT1_PNSt15iterator_traitsISK_E10value_typeET2_T3_PNSL_ISQ_E10value_typeET4_jRbjT5_SW_jjP12ihipStream_tbEUlT_E_NS1_11comp_targetILNS1_3genE9ELNS1_11target_archE1100ELNS1_3gpuE3ELNS1_3repE0EEENS1_30default_config_static_selectorELNS0_4arch9wavefront6targetE1EEEvSK_,comdat
.Lfunc_end1641:
	.size	_ZN7rocprim17ROCPRIM_400000_NS6detail17trampoline_kernelINS0_14default_configENS1_36segmented_radix_sort_config_selectorIblEEZNS1_25segmented_radix_sort_implIS3_Lb0EPKbPbPKlPlN2at6native12_GLOBAL__N_18offset_tEEE10hipError_tPvRmT1_PNSt15iterator_traitsISK_E10value_typeET2_T3_PNSL_ISQ_E10value_typeET4_jRbjT5_SW_jjP12ihipStream_tbEUlT_E_NS1_11comp_targetILNS1_3genE9ELNS1_11target_archE1100ELNS1_3gpuE3ELNS1_3repE0EEENS1_30default_config_static_selectorELNS0_4arch9wavefront6targetE1EEEvSK_, .Lfunc_end1641-_ZN7rocprim17ROCPRIM_400000_NS6detail17trampoline_kernelINS0_14default_configENS1_36segmented_radix_sort_config_selectorIblEEZNS1_25segmented_radix_sort_implIS3_Lb0EPKbPbPKlPlN2at6native12_GLOBAL__N_18offset_tEEE10hipError_tPvRmT1_PNSt15iterator_traitsISK_E10value_typeET2_T3_PNSL_ISQ_E10value_typeET4_jRbjT5_SW_jjP12ihipStream_tbEUlT_E_NS1_11comp_targetILNS1_3genE9ELNS1_11target_archE1100ELNS1_3gpuE3ELNS1_3repE0EEENS1_30default_config_static_selectorELNS0_4arch9wavefront6targetE1EEEvSK_
                                        ; -- End function
	.section	.AMDGPU.csdata,"",@progbits
; Kernel info:
; codeLenInByte = 0
; NumSgprs: 4
; NumVgprs: 0
; NumAgprs: 0
; TotalNumVgprs: 0
; ScratchSize: 0
; MemoryBound: 0
; FloatMode: 240
; IeeeMode: 1
; LDSByteSize: 0 bytes/workgroup (compile time only)
; SGPRBlocks: 0
; VGPRBlocks: 0
; NumSGPRsForWavesPerEU: 4
; NumVGPRsForWavesPerEU: 1
; AccumOffset: 4
; Occupancy: 8
; WaveLimiterHint : 0
; COMPUTE_PGM_RSRC2:SCRATCH_EN: 0
; COMPUTE_PGM_RSRC2:USER_SGPR: 6
; COMPUTE_PGM_RSRC2:TRAP_HANDLER: 0
; COMPUTE_PGM_RSRC2:TGID_X_EN: 1
; COMPUTE_PGM_RSRC2:TGID_Y_EN: 0
; COMPUTE_PGM_RSRC2:TGID_Z_EN: 0
; COMPUTE_PGM_RSRC2:TIDIG_COMP_CNT: 0
; COMPUTE_PGM_RSRC3_GFX90A:ACCUM_OFFSET: 0
; COMPUTE_PGM_RSRC3_GFX90A:TG_SPLIT: 0
	.section	.text._ZN7rocprim17ROCPRIM_400000_NS6detail17trampoline_kernelINS0_14default_configENS1_36segmented_radix_sort_config_selectorIblEEZNS1_25segmented_radix_sort_implIS3_Lb0EPKbPbPKlPlN2at6native12_GLOBAL__N_18offset_tEEE10hipError_tPvRmT1_PNSt15iterator_traitsISK_E10value_typeET2_T3_PNSL_ISQ_E10value_typeET4_jRbjT5_SW_jjP12ihipStream_tbEUlT_E_NS1_11comp_targetILNS1_3genE8ELNS1_11target_archE1030ELNS1_3gpuE2ELNS1_3repE0EEENS1_30default_config_static_selectorELNS0_4arch9wavefront6targetE1EEEvSK_,"axG",@progbits,_ZN7rocprim17ROCPRIM_400000_NS6detail17trampoline_kernelINS0_14default_configENS1_36segmented_radix_sort_config_selectorIblEEZNS1_25segmented_radix_sort_implIS3_Lb0EPKbPbPKlPlN2at6native12_GLOBAL__N_18offset_tEEE10hipError_tPvRmT1_PNSt15iterator_traitsISK_E10value_typeET2_T3_PNSL_ISQ_E10value_typeET4_jRbjT5_SW_jjP12ihipStream_tbEUlT_E_NS1_11comp_targetILNS1_3genE8ELNS1_11target_archE1030ELNS1_3gpuE2ELNS1_3repE0EEENS1_30default_config_static_selectorELNS0_4arch9wavefront6targetE1EEEvSK_,comdat
	.globl	_ZN7rocprim17ROCPRIM_400000_NS6detail17trampoline_kernelINS0_14default_configENS1_36segmented_radix_sort_config_selectorIblEEZNS1_25segmented_radix_sort_implIS3_Lb0EPKbPbPKlPlN2at6native12_GLOBAL__N_18offset_tEEE10hipError_tPvRmT1_PNSt15iterator_traitsISK_E10value_typeET2_T3_PNSL_ISQ_E10value_typeET4_jRbjT5_SW_jjP12ihipStream_tbEUlT_E_NS1_11comp_targetILNS1_3genE8ELNS1_11target_archE1030ELNS1_3gpuE2ELNS1_3repE0EEENS1_30default_config_static_selectorELNS0_4arch9wavefront6targetE1EEEvSK_ ; -- Begin function _ZN7rocprim17ROCPRIM_400000_NS6detail17trampoline_kernelINS0_14default_configENS1_36segmented_radix_sort_config_selectorIblEEZNS1_25segmented_radix_sort_implIS3_Lb0EPKbPbPKlPlN2at6native12_GLOBAL__N_18offset_tEEE10hipError_tPvRmT1_PNSt15iterator_traitsISK_E10value_typeET2_T3_PNSL_ISQ_E10value_typeET4_jRbjT5_SW_jjP12ihipStream_tbEUlT_E_NS1_11comp_targetILNS1_3genE8ELNS1_11target_archE1030ELNS1_3gpuE2ELNS1_3repE0EEENS1_30default_config_static_selectorELNS0_4arch9wavefront6targetE1EEEvSK_
	.p2align	8
	.type	_ZN7rocprim17ROCPRIM_400000_NS6detail17trampoline_kernelINS0_14default_configENS1_36segmented_radix_sort_config_selectorIblEEZNS1_25segmented_radix_sort_implIS3_Lb0EPKbPbPKlPlN2at6native12_GLOBAL__N_18offset_tEEE10hipError_tPvRmT1_PNSt15iterator_traitsISK_E10value_typeET2_T3_PNSL_ISQ_E10value_typeET4_jRbjT5_SW_jjP12ihipStream_tbEUlT_E_NS1_11comp_targetILNS1_3genE8ELNS1_11target_archE1030ELNS1_3gpuE2ELNS1_3repE0EEENS1_30default_config_static_selectorELNS0_4arch9wavefront6targetE1EEEvSK_,@function
_ZN7rocprim17ROCPRIM_400000_NS6detail17trampoline_kernelINS0_14default_configENS1_36segmented_radix_sort_config_selectorIblEEZNS1_25segmented_radix_sort_implIS3_Lb0EPKbPbPKlPlN2at6native12_GLOBAL__N_18offset_tEEE10hipError_tPvRmT1_PNSt15iterator_traitsISK_E10value_typeET2_T3_PNSL_ISQ_E10value_typeET4_jRbjT5_SW_jjP12ihipStream_tbEUlT_E_NS1_11comp_targetILNS1_3genE8ELNS1_11target_archE1030ELNS1_3gpuE2ELNS1_3repE0EEENS1_30default_config_static_selectorELNS0_4arch9wavefront6targetE1EEEvSK_: ; @_ZN7rocprim17ROCPRIM_400000_NS6detail17trampoline_kernelINS0_14default_configENS1_36segmented_radix_sort_config_selectorIblEEZNS1_25segmented_radix_sort_implIS3_Lb0EPKbPbPKlPlN2at6native12_GLOBAL__N_18offset_tEEE10hipError_tPvRmT1_PNSt15iterator_traitsISK_E10value_typeET2_T3_PNSL_ISQ_E10value_typeET4_jRbjT5_SW_jjP12ihipStream_tbEUlT_E_NS1_11comp_targetILNS1_3genE8ELNS1_11target_archE1030ELNS1_3gpuE2ELNS1_3repE0EEENS1_30default_config_static_selectorELNS0_4arch9wavefront6targetE1EEEvSK_
; %bb.0:
	.section	.rodata,"a",@progbits
	.p2align	6, 0x0
	.amdhsa_kernel _ZN7rocprim17ROCPRIM_400000_NS6detail17trampoline_kernelINS0_14default_configENS1_36segmented_radix_sort_config_selectorIblEEZNS1_25segmented_radix_sort_implIS3_Lb0EPKbPbPKlPlN2at6native12_GLOBAL__N_18offset_tEEE10hipError_tPvRmT1_PNSt15iterator_traitsISK_E10value_typeET2_T3_PNSL_ISQ_E10value_typeET4_jRbjT5_SW_jjP12ihipStream_tbEUlT_E_NS1_11comp_targetILNS1_3genE8ELNS1_11target_archE1030ELNS1_3gpuE2ELNS1_3repE0EEENS1_30default_config_static_selectorELNS0_4arch9wavefront6targetE1EEEvSK_
		.amdhsa_group_segment_fixed_size 0
		.amdhsa_private_segment_fixed_size 0
		.amdhsa_kernarg_size 96
		.amdhsa_user_sgpr_count 6
		.amdhsa_user_sgpr_private_segment_buffer 1
		.amdhsa_user_sgpr_dispatch_ptr 0
		.amdhsa_user_sgpr_queue_ptr 0
		.amdhsa_user_sgpr_kernarg_segment_ptr 1
		.amdhsa_user_sgpr_dispatch_id 0
		.amdhsa_user_sgpr_flat_scratch_init 0
		.amdhsa_user_sgpr_kernarg_preload_length 0
		.amdhsa_user_sgpr_kernarg_preload_offset 0
		.amdhsa_user_sgpr_private_segment_size 0
		.amdhsa_uses_dynamic_stack 0
		.amdhsa_system_sgpr_private_segment_wavefront_offset 0
		.amdhsa_system_sgpr_workgroup_id_x 1
		.amdhsa_system_sgpr_workgroup_id_y 0
		.amdhsa_system_sgpr_workgroup_id_z 0
		.amdhsa_system_sgpr_workgroup_info 0
		.amdhsa_system_vgpr_workitem_id 0
		.amdhsa_next_free_vgpr 1
		.amdhsa_next_free_sgpr 0
		.amdhsa_accum_offset 4
		.amdhsa_reserve_vcc 0
		.amdhsa_reserve_flat_scratch 0
		.amdhsa_float_round_mode_32 0
		.amdhsa_float_round_mode_16_64 0
		.amdhsa_float_denorm_mode_32 3
		.amdhsa_float_denorm_mode_16_64 3
		.amdhsa_dx10_clamp 1
		.amdhsa_ieee_mode 1
		.amdhsa_fp16_overflow 0
		.amdhsa_tg_split 0
		.amdhsa_exception_fp_ieee_invalid_op 0
		.amdhsa_exception_fp_denorm_src 0
		.amdhsa_exception_fp_ieee_div_zero 0
		.amdhsa_exception_fp_ieee_overflow 0
		.amdhsa_exception_fp_ieee_underflow 0
		.amdhsa_exception_fp_ieee_inexact 0
		.amdhsa_exception_int_div_zero 0
	.end_amdhsa_kernel
	.section	.text._ZN7rocprim17ROCPRIM_400000_NS6detail17trampoline_kernelINS0_14default_configENS1_36segmented_radix_sort_config_selectorIblEEZNS1_25segmented_radix_sort_implIS3_Lb0EPKbPbPKlPlN2at6native12_GLOBAL__N_18offset_tEEE10hipError_tPvRmT1_PNSt15iterator_traitsISK_E10value_typeET2_T3_PNSL_ISQ_E10value_typeET4_jRbjT5_SW_jjP12ihipStream_tbEUlT_E_NS1_11comp_targetILNS1_3genE8ELNS1_11target_archE1030ELNS1_3gpuE2ELNS1_3repE0EEENS1_30default_config_static_selectorELNS0_4arch9wavefront6targetE1EEEvSK_,"axG",@progbits,_ZN7rocprim17ROCPRIM_400000_NS6detail17trampoline_kernelINS0_14default_configENS1_36segmented_radix_sort_config_selectorIblEEZNS1_25segmented_radix_sort_implIS3_Lb0EPKbPbPKlPlN2at6native12_GLOBAL__N_18offset_tEEE10hipError_tPvRmT1_PNSt15iterator_traitsISK_E10value_typeET2_T3_PNSL_ISQ_E10value_typeET4_jRbjT5_SW_jjP12ihipStream_tbEUlT_E_NS1_11comp_targetILNS1_3genE8ELNS1_11target_archE1030ELNS1_3gpuE2ELNS1_3repE0EEENS1_30default_config_static_selectorELNS0_4arch9wavefront6targetE1EEEvSK_,comdat
.Lfunc_end1642:
	.size	_ZN7rocprim17ROCPRIM_400000_NS6detail17trampoline_kernelINS0_14default_configENS1_36segmented_radix_sort_config_selectorIblEEZNS1_25segmented_radix_sort_implIS3_Lb0EPKbPbPKlPlN2at6native12_GLOBAL__N_18offset_tEEE10hipError_tPvRmT1_PNSt15iterator_traitsISK_E10value_typeET2_T3_PNSL_ISQ_E10value_typeET4_jRbjT5_SW_jjP12ihipStream_tbEUlT_E_NS1_11comp_targetILNS1_3genE8ELNS1_11target_archE1030ELNS1_3gpuE2ELNS1_3repE0EEENS1_30default_config_static_selectorELNS0_4arch9wavefront6targetE1EEEvSK_, .Lfunc_end1642-_ZN7rocprim17ROCPRIM_400000_NS6detail17trampoline_kernelINS0_14default_configENS1_36segmented_radix_sort_config_selectorIblEEZNS1_25segmented_radix_sort_implIS3_Lb0EPKbPbPKlPlN2at6native12_GLOBAL__N_18offset_tEEE10hipError_tPvRmT1_PNSt15iterator_traitsISK_E10value_typeET2_T3_PNSL_ISQ_E10value_typeET4_jRbjT5_SW_jjP12ihipStream_tbEUlT_E_NS1_11comp_targetILNS1_3genE8ELNS1_11target_archE1030ELNS1_3gpuE2ELNS1_3repE0EEENS1_30default_config_static_selectorELNS0_4arch9wavefront6targetE1EEEvSK_
                                        ; -- End function
	.section	.AMDGPU.csdata,"",@progbits
; Kernel info:
; codeLenInByte = 0
; NumSgprs: 4
; NumVgprs: 0
; NumAgprs: 0
; TotalNumVgprs: 0
; ScratchSize: 0
; MemoryBound: 0
; FloatMode: 240
; IeeeMode: 1
; LDSByteSize: 0 bytes/workgroup (compile time only)
; SGPRBlocks: 0
; VGPRBlocks: 0
; NumSGPRsForWavesPerEU: 4
; NumVGPRsForWavesPerEU: 1
; AccumOffset: 4
; Occupancy: 8
; WaveLimiterHint : 0
; COMPUTE_PGM_RSRC2:SCRATCH_EN: 0
; COMPUTE_PGM_RSRC2:USER_SGPR: 6
; COMPUTE_PGM_RSRC2:TRAP_HANDLER: 0
; COMPUTE_PGM_RSRC2:TGID_X_EN: 1
; COMPUTE_PGM_RSRC2:TGID_Y_EN: 0
; COMPUTE_PGM_RSRC2:TGID_Z_EN: 0
; COMPUTE_PGM_RSRC2:TIDIG_COMP_CNT: 0
; COMPUTE_PGM_RSRC3_GFX90A:ACCUM_OFFSET: 0
; COMPUTE_PGM_RSRC3_GFX90A:TG_SPLIT: 0
	.section	.text._ZN7rocprim17ROCPRIM_400000_NS6detail17trampoline_kernelINS0_14default_configENS1_36segmented_radix_sort_config_selectorIblEEZNS1_25segmented_radix_sort_implIS3_Lb0EPKbPbPKlPlN2at6native12_GLOBAL__N_18offset_tEEE10hipError_tPvRmT1_PNSt15iterator_traitsISK_E10value_typeET2_T3_PNSL_ISQ_E10value_typeET4_jRbjT5_SW_jjP12ihipStream_tbEUlT_E0_NS1_11comp_targetILNS1_3genE0ELNS1_11target_archE4294967295ELNS1_3gpuE0ELNS1_3repE0EEENS1_60segmented_radix_sort_warp_sort_medium_config_static_selectorELNS0_4arch9wavefront6targetE1EEEvSK_,"axG",@progbits,_ZN7rocprim17ROCPRIM_400000_NS6detail17trampoline_kernelINS0_14default_configENS1_36segmented_radix_sort_config_selectorIblEEZNS1_25segmented_radix_sort_implIS3_Lb0EPKbPbPKlPlN2at6native12_GLOBAL__N_18offset_tEEE10hipError_tPvRmT1_PNSt15iterator_traitsISK_E10value_typeET2_T3_PNSL_ISQ_E10value_typeET4_jRbjT5_SW_jjP12ihipStream_tbEUlT_E0_NS1_11comp_targetILNS1_3genE0ELNS1_11target_archE4294967295ELNS1_3gpuE0ELNS1_3repE0EEENS1_60segmented_radix_sort_warp_sort_medium_config_static_selectorELNS0_4arch9wavefront6targetE1EEEvSK_,comdat
	.globl	_ZN7rocprim17ROCPRIM_400000_NS6detail17trampoline_kernelINS0_14default_configENS1_36segmented_radix_sort_config_selectorIblEEZNS1_25segmented_radix_sort_implIS3_Lb0EPKbPbPKlPlN2at6native12_GLOBAL__N_18offset_tEEE10hipError_tPvRmT1_PNSt15iterator_traitsISK_E10value_typeET2_T3_PNSL_ISQ_E10value_typeET4_jRbjT5_SW_jjP12ihipStream_tbEUlT_E0_NS1_11comp_targetILNS1_3genE0ELNS1_11target_archE4294967295ELNS1_3gpuE0ELNS1_3repE0EEENS1_60segmented_radix_sort_warp_sort_medium_config_static_selectorELNS0_4arch9wavefront6targetE1EEEvSK_ ; -- Begin function _ZN7rocprim17ROCPRIM_400000_NS6detail17trampoline_kernelINS0_14default_configENS1_36segmented_radix_sort_config_selectorIblEEZNS1_25segmented_radix_sort_implIS3_Lb0EPKbPbPKlPlN2at6native12_GLOBAL__N_18offset_tEEE10hipError_tPvRmT1_PNSt15iterator_traitsISK_E10value_typeET2_T3_PNSL_ISQ_E10value_typeET4_jRbjT5_SW_jjP12ihipStream_tbEUlT_E0_NS1_11comp_targetILNS1_3genE0ELNS1_11target_archE4294967295ELNS1_3gpuE0ELNS1_3repE0EEENS1_60segmented_radix_sort_warp_sort_medium_config_static_selectorELNS0_4arch9wavefront6targetE1EEEvSK_
	.p2align	8
	.type	_ZN7rocprim17ROCPRIM_400000_NS6detail17trampoline_kernelINS0_14default_configENS1_36segmented_radix_sort_config_selectorIblEEZNS1_25segmented_radix_sort_implIS3_Lb0EPKbPbPKlPlN2at6native12_GLOBAL__N_18offset_tEEE10hipError_tPvRmT1_PNSt15iterator_traitsISK_E10value_typeET2_T3_PNSL_ISQ_E10value_typeET4_jRbjT5_SW_jjP12ihipStream_tbEUlT_E0_NS1_11comp_targetILNS1_3genE0ELNS1_11target_archE4294967295ELNS1_3gpuE0ELNS1_3repE0EEENS1_60segmented_radix_sort_warp_sort_medium_config_static_selectorELNS0_4arch9wavefront6targetE1EEEvSK_,@function
_ZN7rocprim17ROCPRIM_400000_NS6detail17trampoline_kernelINS0_14default_configENS1_36segmented_radix_sort_config_selectorIblEEZNS1_25segmented_radix_sort_implIS3_Lb0EPKbPbPKlPlN2at6native12_GLOBAL__N_18offset_tEEE10hipError_tPvRmT1_PNSt15iterator_traitsISK_E10value_typeET2_T3_PNSL_ISQ_E10value_typeET4_jRbjT5_SW_jjP12ihipStream_tbEUlT_E0_NS1_11comp_targetILNS1_3genE0ELNS1_11target_archE4294967295ELNS1_3gpuE0ELNS1_3repE0EEENS1_60segmented_radix_sort_warp_sort_medium_config_static_selectorELNS0_4arch9wavefront6targetE1EEEvSK_: ; @_ZN7rocprim17ROCPRIM_400000_NS6detail17trampoline_kernelINS0_14default_configENS1_36segmented_radix_sort_config_selectorIblEEZNS1_25segmented_radix_sort_implIS3_Lb0EPKbPbPKlPlN2at6native12_GLOBAL__N_18offset_tEEE10hipError_tPvRmT1_PNSt15iterator_traitsISK_E10value_typeET2_T3_PNSL_ISQ_E10value_typeET4_jRbjT5_SW_jjP12ihipStream_tbEUlT_E0_NS1_11comp_targetILNS1_3genE0ELNS1_11target_archE4294967295ELNS1_3gpuE0ELNS1_3repE0EEENS1_60segmented_radix_sort_warp_sort_medium_config_static_selectorELNS0_4arch9wavefront6targetE1EEEvSK_
; %bb.0:
	.section	.rodata,"a",@progbits
	.p2align	6, 0x0
	.amdhsa_kernel _ZN7rocprim17ROCPRIM_400000_NS6detail17trampoline_kernelINS0_14default_configENS1_36segmented_radix_sort_config_selectorIblEEZNS1_25segmented_radix_sort_implIS3_Lb0EPKbPbPKlPlN2at6native12_GLOBAL__N_18offset_tEEE10hipError_tPvRmT1_PNSt15iterator_traitsISK_E10value_typeET2_T3_PNSL_ISQ_E10value_typeET4_jRbjT5_SW_jjP12ihipStream_tbEUlT_E0_NS1_11comp_targetILNS1_3genE0ELNS1_11target_archE4294967295ELNS1_3gpuE0ELNS1_3repE0EEENS1_60segmented_radix_sort_warp_sort_medium_config_static_selectorELNS0_4arch9wavefront6targetE1EEEvSK_
		.amdhsa_group_segment_fixed_size 0
		.amdhsa_private_segment_fixed_size 0
		.amdhsa_kernarg_size 88
		.amdhsa_user_sgpr_count 6
		.amdhsa_user_sgpr_private_segment_buffer 1
		.amdhsa_user_sgpr_dispatch_ptr 0
		.amdhsa_user_sgpr_queue_ptr 0
		.amdhsa_user_sgpr_kernarg_segment_ptr 1
		.amdhsa_user_sgpr_dispatch_id 0
		.amdhsa_user_sgpr_flat_scratch_init 0
		.amdhsa_user_sgpr_kernarg_preload_length 0
		.amdhsa_user_sgpr_kernarg_preload_offset 0
		.amdhsa_user_sgpr_private_segment_size 0
		.amdhsa_uses_dynamic_stack 0
		.amdhsa_system_sgpr_private_segment_wavefront_offset 0
		.amdhsa_system_sgpr_workgroup_id_x 1
		.amdhsa_system_sgpr_workgroup_id_y 0
		.amdhsa_system_sgpr_workgroup_id_z 0
		.amdhsa_system_sgpr_workgroup_info 0
		.amdhsa_system_vgpr_workitem_id 0
		.amdhsa_next_free_vgpr 1
		.amdhsa_next_free_sgpr 0
		.amdhsa_accum_offset 4
		.amdhsa_reserve_vcc 0
		.amdhsa_reserve_flat_scratch 0
		.amdhsa_float_round_mode_32 0
		.amdhsa_float_round_mode_16_64 0
		.amdhsa_float_denorm_mode_32 3
		.amdhsa_float_denorm_mode_16_64 3
		.amdhsa_dx10_clamp 1
		.amdhsa_ieee_mode 1
		.amdhsa_fp16_overflow 0
		.amdhsa_tg_split 0
		.amdhsa_exception_fp_ieee_invalid_op 0
		.amdhsa_exception_fp_denorm_src 0
		.amdhsa_exception_fp_ieee_div_zero 0
		.amdhsa_exception_fp_ieee_overflow 0
		.amdhsa_exception_fp_ieee_underflow 0
		.amdhsa_exception_fp_ieee_inexact 0
		.amdhsa_exception_int_div_zero 0
	.end_amdhsa_kernel
	.section	.text._ZN7rocprim17ROCPRIM_400000_NS6detail17trampoline_kernelINS0_14default_configENS1_36segmented_radix_sort_config_selectorIblEEZNS1_25segmented_radix_sort_implIS3_Lb0EPKbPbPKlPlN2at6native12_GLOBAL__N_18offset_tEEE10hipError_tPvRmT1_PNSt15iterator_traitsISK_E10value_typeET2_T3_PNSL_ISQ_E10value_typeET4_jRbjT5_SW_jjP12ihipStream_tbEUlT_E0_NS1_11comp_targetILNS1_3genE0ELNS1_11target_archE4294967295ELNS1_3gpuE0ELNS1_3repE0EEENS1_60segmented_radix_sort_warp_sort_medium_config_static_selectorELNS0_4arch9wavefront6targetE1EEEvSK_,"axG",@progbits,_ZN7rocprim17ROCPRIM_400000_NS6detail17trampoline_kernelINS0_14default_configENS1_36segmented_radix_sort_config_selectorIblEEZNS1_25segmented_radix_sort_implIS3_Lb0EPKbPbPKlPlN2at6native12_GLOBAL__N_18offset_tEEE10hipError_tPvRmT1_PNSt15iterator_traitsISK_E10value_typeET2_T3_PNSL_ISQ_E10value_typeET4_jRbjT5_SW_jjP12ihipStream_tbEUlT_E0_NS1_11comp_targetILNS1_3genE0ELNS1_11target_archE4294967295ELNS1_3gpuE0ELNS1_3repE0EEENS1_60segmented_radix_sort_warp_sort_medium_config_static_selectorELNS0_4arch9wavefront6targetE1EEEvSK_,comdat
.Lfunc_end1643:
	.size	_ZN7rocprim17ROCPRIM_400000_NS6detail17trampoline_kernelINS0_14default_configENS1_36segmented_radix_sort_config_selectorIblEEZNS1_25segmented_radix_sort_implIS3_Lb0EPKbPbPKlPlN2at6native12_GLOBAL__N_18offset_tEEE10hipError_tPvRmT1_PNSt15iterator_traitsISK_E10value_typeET2_T3_PNSL_ISQ_E10value_typeET4_jRbjT5_SW_jjP12ihipStream_tbEUlT_E0_NS1_11comp_targetILNS1_3genE0ELNS1_11target_archE4294967295ELNS1_3gpuE0ELNS1_3repE0EEENS1_60segmented_radix_sort_warp_sort_medium_config_static_selectorELNS0_4arch9wavefront6targetE1EEEvSK_, .Lfunc_end1643-_ZN7rocprim17ROCPRIM_400000_NS6detail17trampoline_kernelINS0_14default_configENS1_36segmented_radix_sort_config_selectorIblEEZNS1_25segmented_radix_sort_implIS3_Lb0EPKbPbPKlPlN2at6native12_GLOBAL__N_18offset_tEEE10hipError_tPvRmT1_PNSt15iterator_traitsISK_E10value_typeET2_T3_PNSL_ISQ_E10value_typeET4_jRbjT5_SW_jjP12ihipStream_tbEUlT_E0_NS1_11comp_targetILNS1_3genE0ELNS1_11target_archE4294967295ELNS1_3gpuE0ELNS1_3repE0EEENS1_60segmented_radix_sort_warp_sort_medium_config_static_selectorELNS0_4arch9wavefront6targetE1EEEvSK_
                                        ; -- End function
	.section	.AMDGPU.csdata,"",@progbits
; Kernel info:
; codeLenInByte = 0
; NumSgprs: 4
; NumVgprs: 0
; NumAgprs: 0
; TotalNumVgprs: 0
; ScratchSize: 0
; MemoryBound: 0
; FloatMode: 240
; IeeeMode: 1
; LDSByteSize: 0 bytes/workgroup (compile time only)
; SGPRBlocks: 0
; VGPRBlocks: 0
; NumSGPRsForWavesPerEU: 4
; NumVGPRsForWavesPerEU: 1
; AccumOffset: 4
; Occupancy: 8
; WaveLimiterHint : 0
; COMPUTE_PGM_RSRC2:SCRATCH_EN: 0
; COMPUTE_PGM_RSRC2:USER_SGPR: 6
; COMPUTE_PGM_RSRC2:TRAP_HANDLER: 0
; COMPUTE_PGM_RSRC2:TGID_X_EN: 1
; COMPUTE_PGM_RSRC2:TGID_Y_EN: 0
; COMPUTE_PGM_RSRC2:TGID_Z_EN: 0
; COMPUTE_PGM_RSRC2:TIDIG_COMP_CNT: 0
; COMPUTE_PGM_RSRC3_GFX90A:ACCUM_OFFSET: 0
; COMPUTE_PGM_RSRC3_GFX90A:TG_SPLIT: 0
	.section	.text._ZN7rocprim17ROCPRIM_400000_NS6detail17trampoline_kernelINS0_14default_configENS1_36segmented_radix_sort_config_selectorIblEEZNS1_25segmented_radix_sort_implIS3_Lb0EPKbPbPKlPlN2at6native12_GLOBAL__N_18offset_tEEE10hipError_tPvRmT1_PNSt15iterator_traitsISK_E10value_typeET2_T3_PNSL_ISQ_E10value_typeET4_jRbjT5_SW_jjP12ihipStream_tbEUlT_E0_NS1_11comp_targetILNS1_3genE5ELNS1_11target_archE942ELNS1_3gpuE9ELNS1_3repE0EEENS1_60segmented_radix_sort_warp_sort_medium_config_static_selectorELNS0_4arch9wavefront6targetE1EEEvSK_,"axG",@progbits,_ZN7rocprim17ROCPRIM_400000_NS6detail17trampoline_kernelINS0_14default_configENS1_36segmented_radix_sort_config_selectorIblEEZNS1_25segmented_radix_sort_implIS3_Lb0EPKbPbPKlPlN2at6native12_GLOBAL__N_18offset_tEEE10hipError_tPvRmT1_PNSt15iterator_traitsISK_E10value_typeET2_T3_PNSL_ISQ_E10value_typeET4_jRbjT5_SW_jjP12ihipStream_tbEUlT_E0_NS1_11comp_targetILNS1_3genE5ELNS1_11target_archE942ELNS1_3gpuE9ELNS1_3repE0EEENS1_60segmented_radix_sort_warp_sort_medium_config_static_selectorELNS0_4arch9wavefront6targetE1EEEvSK_,comdat
	.globl	_ZN7rocprim17ROCPRIM_400000_NS6detail17trampoline_kernelINS0_14default_configENS1_36segmented_radix_sort_config_selectorIblEEZNS1_25segmented_radix_sort_implIS3_Lb0EPKbPbPKlPlN2at6native12_GLOBAL__N_18offset_tEEE10hipError_tPvRmT1_PNSt15iterator_traitsISK_E10value_typeET2_T3_PNSL_ISQ_E10value_typeET4_jRbjT5_SW_jjP12ihipStream_tbEUlT_E0_NS1_11comp_targetILNS1_3genE5ELNS1_11target_archE942ELNS1_3gpuE9ELNS1_3repE0EEENS1_60segmented_radix_sort_warp_sort_medium_config_static_selectorELNS0_4arch9wavefront6targetE1EEEvSK_ ; -- Begin function _ZN7rocprim17ROCPRIM_400000_NS6detail17trampoline_kernelINS0_14default_configENS1_36segmented_radix_sort_config_selectorIblEEZNS1_25segmented_radix_sort_implIS3_Lb0EPKbPbPKlPlN2at6native12_GLOBAL__N_18offset_tEEE10hipError_tPvRmT1_PNSt15iterator_traitsISK_E10value_typeET2_T3_PNSL_ISQ_E10value_typeET4_jRbjT5_SW_jjP12ihipStream_tbEUlT_E0_NS1_11comp_targetILNS1_3genE5ELNS1_11target_archE942ELNS1_3gpuE9ELNS1_3repE0EEENS1_60segmented_radix_sort_warp_sort_medium_config_static_selectorELNS0_4arch9wavefront6targetE1EEEvSK_
	.p2align	8
	.type	_ZN7rocprim17ROCPRIM_400000_NS6detail17trampoline_kernelINS0_14default_configENS1_36segmented_radix_sort_config_selectorIblEEZNS1_25segmented_radix_sort_implIS3_Lb0EPKbPbPKlPlN2at6native12_GLOBAL__N_18offset_tEEE10hipError_tPvRmT1_PNSt15iterator_traitsISK_E10value_typeET2_T3_PNSL_ISQ_E10value_typeET4_jRbjT5_SW_jjP12ihipStream_tbEUlT_E0_NS1_11comp_targetILNS1_3genE5ELNS1_11target_archE942ELNS1_3gpuE9ELNS1_3repE0EEENS1_60segmented_radix_sort_warp_sort_medium_config_static_selectorELNS0_4arch9wavefront6targetE1EEEvSK_,@function
_ZN7rocprim17ROCPRIM_400000_NS6detail17trampoline_kernelINS0_14default_configENS1_36segmented_radix_sort_config_selectorIblEEZNS1_25segmented_radix_sort_implIS3_Lb0EPKbPbPKlPlN2at6native12_GLOBAL__N_18offset_tEEE10hipError_tPvRmT1_PNSt15iterator_traitsISK_E10value_typeET2_T3_PNSL_ISQ_E10value_typeET4_jRbjT5_SW_jjP12ihipStream_tbEUlT_E0_NS1_11comp_targetILNS1_3genE5ELNS1_11target_archE942ELNS1_3gpuE9ELNS1_3repE0EEENS1_60segmented_radix_sort_warp_sort_medium_config_static_selectorELNS0_4arch9wavefront6targetE1EEEvSK_: ; @_ZN7rocprim17ROCPRIM_400000_NS6detail17trampoline_kernelINS0_14default_configENS1_36segmented_radix_sort_config_selectorIblEEZNS1_25segmented_radix_sort_implIS3_Lb0EPKbPbPKlPlN2at6native12_GLOBAL__N_18offset_tEEE10hipError_tPvRmT1_PNSt15iterator_traitsISK_E10value_typeET2_T3_PNSL_ISQ_E10value_typeET4_jRbjT5_SW_jjP12ihipStream_tbEUlT_E0_NS1_11comp_targetILNS1_3genE5ELNS1_11target_archE942ELNS1_3gpuE9ELNS1_3repE0EEENS1_60segmented_radix_sort_warp_sort_medium_config_static_selectorELNS0_4arch9wavefront6targetE1EEEvSK_
; %bb.0:
	.section	.rodata,"a",@progbits
	.p2align	6, 0x0
	.amdhsa_kernel _ZN7rocprim17ROCPRIM_400000_NS6detail17trampoline_kernelINS0_14default_configENS1_36segmented_radix_sort_config_selectorIblEEZNS1_25segmented_radix_sort_implIS3_Lb0EPKbPbPKlPlN2at6native12_GLOBAL__N_18offset_tEEE10hipError_tPvRmT1_PNSt15iterator_traitsISK_E10value_typeET2_T3_PNSL_ISQ_E10value_typeET4_jRbjT5_SW_jjP12ihipStream_tbEUlT_E0_NS1_11comp_targetILNS1_3genE5ELNS1_11target_archE942ELNS1_3gpuE9ELNS1_3repE0EEENS1_60segmented_radix_sort_warp_sort_medium_config_static_selectorELNS0_4arch9wavefront6targetE1EEEvSK_
		.amdhsa_group_segment_fixed_size 0
		.amdhsa_private_segment_fixed_size 0
		.amdhsa_kernarg_size 88
		.amdhsa_user_sgpr_count 6
		.amdhsa_user_sgpr_private_segment_buffer 1
		.amdhsa_user_sgpr_dispatch_ptr 0
		.amdhsa_user_sgpr_queue_ptr 0
		.amdhsa_user_sgpr_kernarg_segment_ptr 1
		.amdhsa_user_sgpr_dispatch_id 0
		.amdhsa_user_sgpr_flat_scratch_init 0
		.amdhsa_user_sgpr_kernarg_preload_length 0
		.amdhsa_user_sgpr_kernarg_preload_offset 0
		.amdhsa_user_sgpr_private_segment_size 0
		.amdhsa_uses_dynamic_stack 0
		.amdhsa_system_sgpr_private_segment_wavefront_offset 0
		.amdhsa_system_sgpr_workgroup_id_x 1
		.amdhsa_system_sgpr_workgroup_id_y 0
		.amdhsa_system_sgpr_workgroup_id_z 0
		.amdhsa_system_sgpr_workgroup_info 0
		.amdhsa_system_vgpr_workitem_id 0
		.amdhsa_next_free_vgpr 1
		.amdhsa_next_free_sgpr 0
		.amdhsa_accum_offset 4
		.amdhsa_reserve_vcc 0
		.amdhsa_reserve_flat_scratch 0
		.amdhsa_float_round_mode_32 0
		.amdhsa_float_round_mode_16_64 0
		.amdhsa_float_denorm_mode_32 3
		.amdhsa_float_denorm_mode_16_64 3
		.amdhsa_dx10_clamp 1
		.amdhsa_ieee_mode 1
		.amdhsa_fp16_overflow 0
		.amdhsa_tg_split 0
		.amdhsa_exception_fp_ieee_invalid_op 0
		.amdhsa_exception_fp_denorm_src 0
		.amdhsa_exception_fp_ieee_div_zero 0
		.amdhsa_exception_fp_ieee_overflow 0
		.amdhsa_exception_fp_ieee_underflow 0
		.amdhsa_exception_fp_ieee_inexact 0
		.amdhsa_exception_int_div_zero 0
	.end_amdhsa_kernel
	.section	.text._ZN7rocprim17ROCPRIM_400000_NS6detail17trampoline_kernelINS0_14default_configENS1_36segmented_radix_sort_config_selectorIblEEZNS1_25segmented_radix_sort_implIS3_Lb0EPKbPbPKlPlN2at6native12_GLOBAL__N_18offset_tEEE10hipError_tPvRmT1_PNSt15iterator_traitsISK_E10value_typeET2_T3_PNSL_ISQ_E10value_typeET4_jRbjT5_SW_jjP12ihipStream_tbEUlT_E0_NS1_11comp_targetILNS1_3genE5ELNS1_11target_archE942ELNS1_3gpuE9ELNS1_3repE0EEENS1_60segmented_radix_sort_warp_sort_medium_config_static_selectorELNS0_4arch9wavefront6targetE1EEEvSK_,"axG",@progbits,_ZN7rocprim17ROCPRIM_400000_NS6detail17trampoline_kernelINS0_14default_configENS1_36segmented_radix_sort_config_selectorIblEEZNS1_25segmented_radix_sort_implIS3_Lb0EPKbPbPKlPlN2at6native12_GLOBAL__N_18offset_tEEE10hipError_tPvRmT1_PNSt15iterator_traitsISK_E10value_typeET2_T3_PNSL_ISQ_E10value_typeET4_jRbjT5_SW_jjP12ihipStream_tbEUlT_E0_NS1_11comp_targetILNS1_3genE5ELNS1_11target_archE942ELNS1_3gpuE9ELNS1_3repE0EEENS1_60segmented_radix_sort_warp_sort_medium_config_static_selectorELNS0_4arch9wavefront6targetE1EEEvSK_,comdat
.Lfunc_end1644:
	.size	_ZN7rocprim17ROCPRIM_400000_NS6detail17trampoline_kernelINS0_14default_configENS1_36segmented_radix_sort_config_selectorIblEEZNS1_25segmented_radix_sort_implIS3_Lb0EPKbPbPKlPlN2at6native12_GLOBAL__N_18offset_tEEE10hipError_tPvRmT1_PNSt15iterator_traitsISK_E10value_typeET2_T3_PNSL_ISQ_E10value_typeET4_jRbjT5_SW_jjP12ihipStream_tbEUlT_E0_NS1_11comp_targetILNS1_3genE5ELNS1_11target_archE942ELNS1_3gpuE9ELNS1_3repE0EEENS1_60segmented_radix_sort_warp_sort_medium_config_static_selectorELNS0_4arch9wavefront6targetE1EEEvSK_, .Lfunc_end1644-_ZN7rocprim17ROCPRIM_400000_NS6detail17trampoline_kernelINS0_14default_configENS1_36segmented_radix_sort_config_selectorIblEEZNS1_25segmented_radix_sort_implIS3_Lb0EPKbPbPKlPlN2at6native12_GLOBAL__N_18offset_tEEE10hipError_tPvRmT1_PNSt15iterator_traitsISK_E10value_typeET2_T3_PNSL_ISQ_E10value_typeET4_jRbjT5_SW_jjP12ihipStream_tbEUlT_E0_NS1_11comp_targetILNS1_3genE5ELNS1_11target_archE942ELNS1_3gpuE9ELNS1_3repE0EEENS1_60segmented_radix_sort_warp_sort_medium_config_static_selectorELNS0_4arch9wavefront6targetE1EEEvSK_
                                        ; -- End function
	.section	.AMDGPU.csdata,"",@progbits
; Kernel info:
; codeLenInByte = 0
; NumSgprs: 4
; NumVgprs: 0
; NumAgprs: 0
; TotalNumVgprs: 0
; ScratchSize: 0
; MemoryBound: 0
; FloatMode: 240
; IeeeMode: 1
; LDSByteSize: 0 bytes/workgroup (compile time only)
; SGPRBlocks: 0
; VGPRBlocks: 0
; NumSGPRsForWavesPerEU: 4
; NumVGPRsForWavesPerEU: 1
; AccumOffset: 4
; Occupancy: 8
; WaveLimiterHint : 0
; COMPUTE_PGM_RSRC2:SCRATCH_EN: 0
; COMPUTE_PGM_RSRC2:USER_SGPR: 6
; COMPUTE_PGM_RSRC2:TRAP_HANDLER: 0
; COMPUTE_PGM_RSRC2:TGID_X_EN: 1
; COMPUTE_PGM_RSRC2:TGID_Y_EN: 0
; COMPUTE_PGM_RSRC2:TGID_Z_EN: 0
; COMPUTE_PGM_RSRC2:TIDIG_COMP_CNT: 0
; COMPUTE_PGM_RSRC3_GFX90A:ACCUM_OFFSET: 0
; COMPUTE_PGM_RSRC3_GFX90A:TG_SPLIT: 0
	.text
	.p2align	2                               ; -- Begin function _ZN7rocprim17ROCPRIM_400000_NS6detail26segmented_warp_sort_helperINS1_20WarpSortHelperConfigILj16ELj8ELj256EEEblLi256ELb0EvE4sortIPKbPbPKlPlEEvT_T0_T1_T2_jjjjRNS5_12storage_typeE
	.type	_ZN7rocprim17ROCPRIM_400000_NS6detail26segmented_warp_sort_helperINS1_20WarpSortHelperConfigILj16ELj8ELj256EEEblLi256ELb0EvE4sortIPKbPbPKlPlEEvT_T0_T1_T2_jjjjRNS5_12storage_typeE,@function
_ZN7rocprim17ROCPRIM_400000_NS6detail26segmented_warp_sort_helperINS1_20WarpSortHelperConfigILj16ELj8ELj256EEEblLi256ELb0EvE4sortIPKbPbPKlPlEEvT_T0_T1_T2_jjjjRNS5_12storage_typeE: ; @_ZN7rocprim17ROCPRIM_400000_NS6detail26segmented_warp_sort_helperINS1_20WarpSortHelperConfigILj16ELj8ELj256EEEblLi256ELb0EvE4sortIPKbPbPKlPlEEvT_T0_T1_T2_jjjjRNS5_12storage_typeE
; %bb.0:
	s_waitcnt vmcnt(0) expcnt(0) lgkmcnt(0)
	s_or_saveexec_b64 s[4:5], -1
	buffer_store_dword v40, off, s[0:3], s32 ; 4-byte Folded Spill
	s_mov_b64 exec, s[4:5]
	v_writelane_b32 v40, s34, 0
	v_writelane_b32 v40, s35, 1
	;; [unrolled: 1-line block ×14, first 2 shown]
	v_add_co_u32_e32 v12, vcc, v0, v8
	v_mbcnt_lo_u32_b32 v0, -1, 0
	v_mbcnt_hi_u32_b32 v0, -1, v0
	v_addc_co_u32_e32 v13, vcc, 0, v1, vcc
	v_lshlrev_b32_e32 v1, 3, v0
	v_and_b32_e32 v0, 0x78, v1
	v_add_co_u32_e32 v12, vcc, v12, v0
	v_sub_u32_e32 v14, v9, v8
	v_addc_co_u32_e32 v13, vcc, 0, v13, vcc
	v_mov_b32_e32 v9, 0
	v_cmp_lt_u32_e32 vcc, v0, v14
	v_mov_b32_e32 v50, 1
	v_mov_b32_e32 v29, 1
	v_mov_b32_e32 v38, 1
	v_mov_b32_e32 v39, 1
	v_mov_b32_e32 v28, 1
	v_mov_b32_e32 v27, 1
	v_mov_b32_e32 v49, 1
	v_mov_b32_e32 v48, 1
	s_and_saveexec_b64 s[4:5], vcc
	s_cbranch_execz .LBB1645_2
; %bb.1:
	flat_load_ubyte v50, v[12:13]
	v_mov_b32_e32 v38, 1
	v_mov_b32_e32 v39, 1
	;; [unrolled: 1-line block ×7, first 2 shown]
.LBB1645_2:
	s_or_b64 exec, exec, s[4:5]
	v_or_b32_e32 v15, 1, v0
	v_cmp_lt_u32_e64 s[4:5], v15, v14
	s_and_saveexec_b64 s[6:7], s[4:5]
	s_cbranch_execz .LBB1645_4
; %bb.3:
	flat_load_ubyte v38, v[12:13] offset:1
.LBB1645_4:
	s_or_b64 exec, exec, s[6:7]
	v_or_b32_e32 v15, 2, v0
	v_cmp_lt_u32_e64 s[6:7], v15, v14
	s_and_saveexec_b64 s[10:11], s[6:7]
	s_cbranch_execz .LBB1645_6
; %bb.5:
	flat_load_ubyte v39, v[12:13] offset:2
.LBB1645_6:
	;; [unrolled: 8-line block ×7, first 2 shown]
	s_or_b64 exec, exec, s[20:21]
	v_lshlrev_b64 v[24:25], 3, v[8:9]
	v_add_co_u32_e64 v4, s[20:21], v4, v24
	v_addc_co_u32_e64 v5, s[20:21], v5, v25, s[20:21]
	v_lshlrev_b32_e32 v9, 3, v0
	v_add_co_u32_e64 v36, s[20:21], v4, v9
	v_addc_co_u32_e64 v37, s[20:21], 0, v5, s[20:21]
	; wave barrier
                                        ; implicit-def: $vgpr4_vgpr5
	s_and_saveexec_b64 s[20:21], vcc
	s_cbranch_execnz .LBB1645_236
; %bb.17:
	s_or_b64 exec, exec, s[20:21]
	s_and_saveexec_b64 s[20:21], s[4:5]
                                        ; implicit-def: $vgpr16_vgpr17_vgpr18_vgpr19
	s_cbranch_execnz .LBB1645_237
.LBB1645_18:
	s_or_b64 exec, exec, s[20:21]
                                        ; implicit-def: $vgpr32_vgpr33
	s_and_saveexec_b64 s[20:21], s[6:7]
	s_cbranch_execnz .LBB1645_238
.LBB1645_19:
	s_or_b64 exec, exec, s[20:21]
	s_and_saveexec_b64 s[20:21], s[18:19]
                                        ; implicit-def: $vgpr20_vgpr21_vgpr22_vgpr23
	s_cbranch_execnz .LBB1645_239
.LBB1645_20:
	s_or_b64 exec, exec, s[20:21]
                                        ; implicit-def: $vgpr20_vgpr21
	s_and_saveexec_b64 s[20:21], s[10:11]
	s_cbranch_execnz .LBB1645_240
.LBB1645_21:
	s_or_b64 exec, exec, s[20:21]
	s_and_saveexec_b64 s[20:21], s[26:27]
                                        ; implicit-def: $vgpr14_vgpr15_vgpr16_vgpr17
	s_cbranch_execnz .LBB1645_241
.LBB1645_22:
	s_or_b64 exec, exec, s[20:21]
                                        ; implicit-def: $vgpr34_vgpr35
	s_and_saveexec_b64 s[20:21], s[14:15]
	s_cbranch_execnz .LBB1645_242
.LBB1645_23:
	s_or_b64 exec, exec, s[20:21]
	s_and_saveexec_b64 s[20:21], s[16:17]
                                        ; implicit-def: $vgpr12_vgpr13_vgpr14_vgpr15
	s_cbranch_execz .LBB1645_25
.LBB1645_24:
	flat_load_dwordx2 v[14:15], v[36:37] offset:56
.LBB1645_25:
	s_or_b64 exec, exec, s[20:21]
	v_cmp_ne_u32_e64 s[20:21], 0, v10
	v_cmp_ne_u32_e64 s[22:23], 8, v11
	s_or_b64 s[20:21], s[20:21], s[22:23]
	v_bfe_u32 v12, v31, 10, 10
	v_bfe_u32 v13, v31, 20, 10
	; wave barrier
	s_and_saveexec_b64 s[22:23], s[20:21]
	s_xor_b64 s[42:43], exec, s[22:23]
	s_cbranch_execz .LBB1645_121
; %bb.26:
	s_load_dwordx2 s[24:25], s[8:9], 0x0
	v_cmp_ne_u32_e64 s[20:21], 0, v11
	v_cmp_ne_u32_e64 s[22:23], 0, v10
	s_xor_b64 s[20:21], s[22:23], s[20:21]
	v_mov_b32_e32 v10, 0
	s_waitcnt lgkmcnt(0)
	s_cmp_lt_u32 s12, s24
	s_cselect_b32 s24, 12, 18
	s_cmp_lt_u32 s13, s25
	s_cselect_b32 s22, 14, 20
	s_add_u32 s22, s8, s22
	s_addc_u32 s23, s9, 0
	s_add_u32 s24, s8, s24
	s_addc_u32 s25, s9, 0
	global_load_ushort v11, v10, s[22:23]
	global_load_ushort v26, v10, s[24:25]
	v_and_b32_e32 v10, 0x3ff, v31
	s_movk_i32 s22, 0x800
	v_cndmask_b32_e64 v51, 0, 1, s[20:21]
	s_waitcnt vmcnt(0)
	v_mad_u32_u24 v11, v13, v11, v12
	v_mul_lo_u32 v11, v11, v26
	v_add_lshl_u32 v52, v11, v10, 3
	v_cmp_gt_u32_e64 s[20:21], s22, v52
	v_mov_b32_e32 v26, v50
	s_and_saveexec_b64 s[22:23], s[20:21]
	s_cbranch_execz .LBB1645_80
; %bb.27:
	v_and_b32_e32 v10, v38, v51
	v_and_b32_e32 v11, v50, v51
	v_cmp_gt_u16_e64 s[20:21], v11, v10
	v_pk_mov_b32 v[10:11], v[18:19], v[18:19] op_sel:[0,1]
	v_mov_b32_e32 v26, v38
	v_mov_b32_e32 v53, v50
	s_and_saveexec_b64 s[24:25], s[20:21]
; %bb.28:
	v_mov_b32_e32 v26, v50
	v_pk_mov_b32 v[10:11], v[4:5], v[4:5] op_sel:[0,1]
	v_pk_mov_b32 v[4:5], v[18:19], v[18:19] op_sel:[0,1]
	v_mov_b32_e32 v50, v38
	v_mov_b32_e32 v53, v38
	;; [unrolled: 1-line block ×3, first 2 shown]
; %bb.29:
	s_or_b64 exec, exec, s[24:25]
	v_and_b32_e32 v12, v28, v51
	v_and_b32_e32 v13, v39, v51
	v_cmp_gt_u16_e64 s[20:21], v13, v12
	v_pk_mov_b32 v[30:31], v[22:23], v[22:23] op_sel:[0,1]
	v_mov_b32_e32 v54, v28
	v_mov_b32_e32 v37, v28
	v_mov_b32_e32 v66, v39
	s_and_saveexec_b64 s[24:25], s[20:21]
; %bb.30:
	v_mov_b32_e32 v54, v39
	v_mov_b32_e32 v37, 1
	v_pk_mov_b32 v[30:31], v[32:33], v[32:33] op_sel:[0,1]
	v_pk_mov_b32 v[32:33], v[22:23], v[22:23] op_sel:[0,1]
	v_mov_b32_e32 v39, v28
	v_mov_b32_e32 v66, v28
; %bb.31:
	s_or_b64 exec, exec, s[24:25]
	v_and_b32_e32 v12, v49, v51
	v_and_b32_e32 v13, v27, v51
	v_cmp_gt_u16_e64 s[20:21], v13, v12
	v_pk_mov_b32 v[12:13], v[20:21], v[20:21] op_sel:[0,1]
	v_mov_b32_e32 v55, v49
	v_mov_b32_e32 v64, v49
	v_mov_b32_e32 v22, v27
	s_and_saveexec_b64 s[24:25], s[20:21]
; %bb.32:
	v_mov_b32_e32 v55, v27
	v_mov_b32_e32 v64, 1
	v_pk_mov_b32 v[12:13], v[16:17], v[16:17] op_sel:[0,1]
	v_pk_mov_b32 v[16:17], v[20:21], v[20:21] op_sel:[0,1]
	v_mov_b32_e32 v27, v49
	v_mov_b32_e32 v22, v49
	;; [unrolled: 17-line block ×3, first 2 shown]
; %bb.35:
	s_or_b64 exec, exec, s[24:25]
	v_and_b32_e32 v20, v66, v51
	v_and_b32_e32 v21, v38, v51
	v_cmp_gt_u16_e64 s[20:21], v21, v20
	v_pk_mov_b32 v[20:21], v[32:33], v[32:33] op_sel:[0,1]
	v_mov_b32_e32 v65, v66
	s_and_saveexec_b64 s[24:25], s[20:21]
	s_xor_b64 s[20:21], exec, s[24:25]
; %bb.36:
	v_mov_b32_e32 v65, 1
	v_pk_mov_b32 v[20:21], v[10:11], v[10:11] op_sel:[0,1]
	v_pk_mov_b32 v[10:11], v[32:33], v[32:33] op_sel:[0,1]
	v_mov_b32_e32 v26, v66
	v_mov_b32_e32 v39, v38
	;; [unrolled: 1-line block ×3, first 2 shown]
; %bb.37:
	s_or_b64 exec, exec, s[20:21]
	v_and_b32_e32 v23, v22, v51
	v_and_b32_e32 v29, v37, v51
	v_cmp_gt_u16_e64 s[20:21], v29, v23
	v_pk_mov_b32 v[32:33], v[30:31], v[30:31] op_sel:[0,1]
	v_mov_b32_e32 v35, v22
	s_and_saveexec_b64 s[24:25], s[20:21]
; %bb.38:
	v_mov_b32_e32 v35, 1
	v_pk_mov_b32 v[32:33], v[12:13], v[12:13] op_sel:[0,1]
	v_pk_mov_b32 v[12:13], v[30:31], v[30:31] op_sel:[0,1]
	v_mov_b32_e32 v54, v22
	v_mov_b32_e32 v27, v37
	;; [unrolled: 1-line block ×3, first 2 shown]
; %bb.39:
	s_or_b64 exec, exec, s[24:25]
	v_and_b32_e32 v22, v28, v51
	v_and_b32_e32 v23, v64, v51
	v_cmp_gt_u16_e64 s[20:21], v23, v22
	v_pk_mov_b32 v[22:23], v[16:17], v[16:17] op_sel:[0,1]
	v_mov_b32_e32 v34, v28
	s_and_saveexec_b64 s[24:25], s[20:21]
; %bb.40:
	v_mov_b32_e32 v34, 1
	v_pk_mov_b32 v[22:23], v[18:19], v[18:19] op_sel:[0,1]
	v_pk_mov_b32 v[18:19], v[16:17], v[16:17] op_sel:[0,1]
	v_mov_b32_e32 v55, v28
	v_mov_b32_e32 v48, v64
	;; [unrolled: 1-line block ×3, first 2 shown]
; %bb.41:
	s_or_b64 exec, exec, s[24:25]
	v_and_b32_e32 v16, v38, v51
	v_and_b32_e32 v17, v53, v51
	v_cmp_gt_u16_e64 s[20:21], v17, v16
	v_pk_mov_b32 v[16:17], v[10:11], v[10:11] op_sel:[0,1]
	s_and_saveexec_b64 s[24:25], s[20:21]
; %bb.42:
	v_pk_mov_b32 v[16:17], v[4:5], v[4:5] op_sel:[0,1]
	v_pk_mov_b32 v[4:5], v[10:11], v[10:11] op_sel:[0,1]
	v_mov_b32_e32 v50, v38
	v_mov_b32_e32 v26, v53
	;; [unrolled: 1-line block ×4, first 2 shown]
; %bb.43:
	s_or_b64 exec, exec, s[24:25]
	v_and_b32_e32 v10, v37, v51
	v_and_b32_e32 v11, v65, v51
	v_cmp_gt_u16_e64 s[20:21], v11, v10
	v_pk_mov_b32 v[28:29], v[32:33], v[32:33] op_sel:[0,1]
	v_mov_b32_e32 v66, v37
	s_and_saveexec_b64 s[24:25], s[20:21]
; %bb.44:
	v_mov_b32_e32 v66, 1
	v_pk_mov_b32 v[28:29], v[20:21], v[20:21] op_sel:[0,1]
	v_pk_mov_b32 v[20:21], v[32:33], v[32:33] op_sel:[0,1]
	v_mov_b32_e32 v39, v37
	v_mov_b32_e32 v54, v65
	v_mov_b32_e32 v65, v37
; %bb.45:
	s_or_b64 exec, exec, s[24:25]
	v_and_b32_e32 v10, v64, v51
	v_and_b32_e32 v11, v35, v51
	v_cmp_gt_u16_e64 s[20:21], v11, v10
	v_pk_mov_b32 v[10:11], v[12:13], v[12:13] op_sel:[0,1]
	v_mov_b32_e32 v33, v64
	s_and_saveexec_b64 s[24:25], s[20:21]
; %bb.46:
	v_mov_b32_e32 v33, 1
	v_pk_mov_b32 v[10:11], v[22:23], v[22:23] op_sel:[0,1]
	v_pk_mov_b32 v[22:23], v[12:13], v[12:13] op_sel:[0,1]
	v_mov_b32_e32 v27, v64
	v_mov_b32_e32 v55, v35
	v_mov_b32_e32 v35, v64
; %bb.47:
	s_or_b64 exec, exec, s[24:25]
	v_and_b32_e32 v12, v36, v51
	v_and_b32_e32 v13, v34, v51
	v_cmp_gt_u16_e64 s[20:21], v13, v12
	v_pk_mov_b32 v[12:13], v[18:19], v[18:19] op_sel:[0,1]
	v_mov_b32_e32 v32, v36
	s_and_saveexec_b64 s[24:25], s[20:21]
; %bb.48:
	v_mov_b32_e32 v32, 1
	v_pk_mov_b32 v[12:13], v[14:15], v[14:15] op_sel:[0,1]
	v_pk_mov_b32 v[14:15], v[18:19], v[18:19] op_sel:[0,1]
	v_mov_b32_e32 v48, v36
	v_mov_b32_e32 v49, v34
	v_mov_b32_e32 v34, v36
; %bb.49:
	s_or_b64 exec, exec, s[24:25]
	v_and_b32_e32 v18, v65, v51
	v_and_b32_e32 v19, v38, v51
	v_cmp_gt_u16_e64 s[20:21], v19, v18
	v_pk_mov_b32 v[18:19], v[20:21], v[20:21] op_sel:[0,1]
	v_mov_b32_e32 v64, v65
	s_and_saveexec_b64 s[24:25], s[20:21]
; %bb.50:
	v_mov_b32_e32 v64, 1
	v_pk_mov_b32 v[18:19], v[16:17], v[16:17] op_sel:[0,1]
	v_pk_mov_b32 v[16:17], v[20:21], v[20:21] op_sel:[0,1]
	v_mov_b32_e32 v26, v65
	v_mov_b32_e32 v39, v38
	v_mov_b32_e32 v38, v65
; %bb.51:
	s_or_b64 exec, exec, s[24:25]
	v_and_b32_e32 v20, v35, v51
	v_and_b32_e32 v21, v66, v51
	v_cmp_gt_u16_e64 s[20:21], v21, v20
	v_pk_mov_b32 v[30:31], v[28:29], v[28:29] op_sel:[0,1]
	v_mov_b32_e32 v36, v35
	s_and_saveexec_b64 s[24:25], s[20:21]
; %bb.52:
	v_mov_b32_e32 v36, 1
	v_pk_mov_b32 v[30:31], v[10:11], v[10:11] op_sel:[0,1]
	v_pk_mov_b32 v[10:11], v[28:29], v[28:29] op_sel:[0,1]
	v_mov_b32_e32 v54, v35
	v_mov_b32_e32 v27, v66
	v_mov_b32_e32 v66, v35
; %bb.53:
	s_or_b64 exec, exec, s[24:25]
	v_and_b32_e32 v20, v34, v51
	v_and_b32_e32 v21, v33, v51
	v_cmp_gt_u16_e64 s[20:21], v21, v20
	v_pk_mov_b32 v[20:21], v[22:23], v[22:23] op_sel:[0,1]
	v_mov_b32_e32 v35, v34
	s_and_saveexec_b64 s[24:25], s[20:21]
; %bb.54:
	v_mov_b32_e32 v35, 1
	v_pk_mov_b32 v[20:21], v[12:13], v[12:13] op_sel:[0,1]
	v_pk_mov_b32 v[12:13], v[22:23], v[22:23] op_sel:[0,1]
	v_mov_b32_e32 v55, v34
	v_mov_b32_e32 v48, v33
	v_mov_b32_e32 v33, v34
; %bb.55:
	s_or_b64 exec, exec, s[24:25]
	v_and_b32_e32 v22, v38, v51
	v_and_b32_e32 v23, v53, v51
	v_cmp_gt_u16_e64 s[20:21], v23, v22
	v_pk_mov_b32 v[22:23], v[16:17], v[16:17] op_sel:[0,1]
	s_and_saveexec_b64 s[24:25], s[20:21]
; %bb.56:
	v_pk_mov_b32 v[22:23], v[4:5], v[4:5] op_sel:[0,1]
	v_pk_mov_b32 v[4:5], v[16:17], v[16:17] op_sel:[0,1]
	v_mov_b32_e32 v50, v38
	v_mov_b32_e32 v26, v53
	;; [unrolled: 1-line block ×4, first 2 shown]
; %bb.57:
	s_or_b64 exec, exec, s[24:25]
	v_and_b32_e32 v16, v66, v51
	v_and_b32_e32 v17, v64, v51
	v_cmp_gt_u16_e64 s[20:21], v17, v16
	v_pk_mov_b32 v[16:17], v[30:31], v[30:31] op_sel:[0,1]
	v_mov_b32_e32 v37, v66
	s_and_saveexec_b64 s[24:25], s[20:21]
; %bb.58:
	v_mov_b32_e32 v37, 1
	v_pk_mov_b32 v[16:17], v[18:19], v[18:19] op_sel:[0,1]
	v_pk_mov_b32 v[18:19], v[30:31], v[30:31] op_sel:[0,1]
	v_mov_b32_e32 v39, v66
	v_mov_b32_e32 v54, v64
	v_mov_b32_e32 v64, v66
; %bb.59:
	s_or_b64 exec, exec, s[24:25]
	v_and_b32_e32 v28, v33, v51
	v_and_b32_e32 v29, v36, v51
	v_cmp_gt_u16_e64 s[20:21], v29, v28
	v_pk_mov_b32 v[28:29], v[10:11], v[10:11] op_sel:[0,1]
	v_mov_b32_e32 v34, v33
	s_and_saveexec_b64 s[24:25], s[20:21]
; %bb.60:
	v_mov_b32_e32 v34, 1
	v_pk_mov_b32 v[28:29], v[20:21], v[20:21] op_sel:[0,1]
	v_pk_mov_b32 v[20:21], v[10:11], v[10:11] op_sel:[0,1]
	v_mov_b32_e32 v27, v33
	v_mov_b32_e32 v55, v36
	v_mov_b32_e32 v36, v33
	;; [unrolled: 15-line block ×6, first 2 shown]
; %bb.69:
	s_or_b64 exec, exec, s[24:25]
	v_and_b32_e32 v18, v38, v51
	v_and_b32_e32 v19, v53, v51
	v_cmp_gt_u16_e64 s[20:21], v19, v18
	v_pk_mov_b32 v[18:19], v[22:23], v[22:23] op_sel:[0,1]
	s_and_saveexec_b64 s[24:25], s[20:21]
; %bb.70:
	v_pk_mov_b32 v[18:19], v[4:5], v[4:5] op_sel:[0,1]
	v_pk_mov_b32 v[4:5], v[22:23], v[22:23] op_sel:[0,1]
	v_mov_b32_e32 v50, v38
	v_mov_b32_e32 v26, v53
	;; [unrolled: 1-line block ×4, first 2 shown]
; %bb.71:
	s_or_b64 exec, exec, s[24:25]
	v_and_b32_e32 v20, v37, v51
	v_and_b32_e32 v21, v32, v51
	v_cmp_gt_u16_e64 s[20:21], v21, v20
	v_pk_mov_b32 v[20:21], v[30:31], v[30:31] op_sel:[0,1]
	v_mov_b32_e32 v22, v37
	s_and_saveexec_b64 s[24:25], s[20:21]
; %bb.72:
	v_mov_b32_e32 v22, 1
	v_pk_mov_b32 v[20:21], v[12:13], v[12:13] op_sel:[0,1]
	v_pk_mov_b32 v[12:13], v[30:31], v[30:31] op_sel:[0,1]
	v_mov_b32_e32 v39, v37
	v_mov_b32_e32 v54, v32
	;; [unrolled: 1-line block ×3, first 2 shown]
; %bb.73:
	s_or_b64 exec, exec, s[24:25]
	v_and_b32_e32 v23, v34, v51
	v_and_b32_e32 v30, v65, v51
	v_cmp_gt_u16_e64 s[20:21], v30, v23
	v_pk_mov_b32 v[30:31], v[28:29], v[28:29] op_sel:[0,1]
	v_mov_b32_e32 v66, v34
	s_and_saveexec_b64 s[24:25], s[20:21]
; %bb.74:
	v_mov_b32_e32 v66, 1
	v_pk_mov_b32 v[30:31], v[16:17], v[16:17] op_sel:[0,1]
	v_pk_mov_b32 v[16:17], v[28:29], v[28:29] op_sel:[0,1]
	v_mov_b32_e32 v27, v34
	v_mov_b32_e32 v55, v65
	v_mov_b32_e32 v65, v34
; %bb.75:
	s_or_b64 exec, exec, s[24:25]
	v_and_b32_e32 v23, v33, v51
	v_and_b32_e32 v34, v64, v51
	v_cmp_gt_u16_e64 s[20:21], v34, v23
	v_pk_mov_b32 v[36:37], v[10:11], v[10:11] op_sel:[0,1]
	s_and_saveexec_b64 s[24:25], s[20:21]
; %bb.76:
	v_mov_b32_e32 v34, 0
	v_pk_mov_b32 v[36:37], v[14:15], v[14:15] op_sel:[0,1]
	v_pk_mov_b32 v[14:15], v[10:11], v[10:11] op_sel:[0,1]
	v_mov_b32_e32 v48, v33
	v_mov_b32_e32 v49, v64
	;; [unrolled: 1-line block ×3, first 2 shown]
; %bb.77:
	s_or_b64 exec, exec, s[24:25]
	v_lshlrev_b16_e32 v23, 8, v55
	v_or_b32_sdwa v23, v27, v23 dst_sel:DWORD dst_unused:UNUSED_PAD src0_sel:BYTE_0 src1_sel:DWORD
	v_lshlrev_b16_e32 v27, 8, v49
	v_or_b32_sdwa v27, v48, v27 dst_sel:WORD_1 dst_unused:UNUSED_PAD src0_sel:BYTE_0 src1_sel:DWORD
	v_or_b32_sdwa v27, v23, v27 dst_sel:DWORD dst_unused:UNUSED_PAD src0_sel:WORD_0 src1_sel:DWORD
	v_lshlrev_b16_e32 v23, 8, v26
	v_lshlrev_b16_e32 v26, 8, v54
	v_or_b32_sdwa v23, v50, v23 dst_sel:DWORD dst_unused:UNUSED_PAD src0_sel:BYTE_0 src1_sel:DWORD
	v_or_b32_sdwa v28, v39, v26 dst_sel:WORD_1 dst_unused:UNUSED_PAD src0_sel:BYTE_0 src1_sel:DWORD
	v_or_b32_sdwa v23, v23, v28 dst_sel:DWORD dst_unused:UNUSED_PAD src0_sel:WORD_0 src1_sel:DWORD
	v_lshlrev_b16_e32 v28, 8, v32
	v_and_b32_e32 v10, v32, v51
	v_and_b32_e32 v11, v38, v51
	v_or_b32_sdwa v28, v50, v28 dst_sel:DWORD dst_unused:UNUSED_PAD src0_sel:BYTE_0 src1_sel:DWORD
	v_or_b32_sdwa v26, v38, v26 dst_sel:WORD_1 dst_unused:UNUSED_PAD src0_sel:BYTE_0 src1_sel:DWORD
	v_or_b32_sdwa v26, v28, v26 dst_sel:DWORD dst_unused:UNUSED_PAD src0_sel:WORD_0 src1_sel:DWORD
	v_cmp_gt_u16_e64 s[20:21], v11, v10
	s_movk_i32 s24, 0xff
	v_cndmask_b32_e64 v10, v23, v26, s[20:21]
	v_cndmask_b32_e64 v33, v13, v19, s[20:21]
	;; [unrolled: 1-line block ×5, first 2 shown]
	v_and_b32_sdwa v11, v10, s24 dst_sel:DWORD dst_unused:UNUSED_PAD src0_sel:WORD_1 src1_sel:DWORD
	s_mov_b32 s20, 0x3020104
	v_lshlrev_b16_e32 v23, 8, v65
	s_mov_b32 s25, 0xffff
	v_perm_b32 v12, v22, v27, s20
	v_and_b32_e32 v13, v65, v51
	v_and_b32_e32 v22, v22, v51
	v_or_b32_sdwa v11, v11, v23 dst_sel:WORD_1 dst_unused:UNUSED_PAD src0_sel:DWORD src1_sel:DWORD
	v_and_or_b32 v11, v10, s25, v11
	v_cmp_gt_u16_e64 s[20:21], v22, v13
	v_cndmask_b32_e64 v26, v10, v11, s[20:21]
	v_cndmask_b32_e64 v27, v27, v12, s[20:21]
	v_lshrrev_b64 v[28:29], 24, v[26:27]
	v_and_b32_e32 v10, v66, v51
	v_cndmask_b32_e64 v23, v21, v31, s[20:21]
	v_cndmask_b32_e64 v22, v20, v30, s[20:21]
	;; [unrolled: 1-line block ×4, first 2 shown]
	v_lshrrev_b32_e32 v39, 16, v26
	v_lshrrev_b32_e32 v38, 8, v26
	v_lshrrev_b32_e32 v29, 24, v27
	v_lshrrev_b32_e32 v48, 16, v27
	v_lshrrev_b32_e32 v49, 8, v27
	v_cmp_gt_u16_e64 s[20:21], v10, v34
	v_pk_mov_b32 v[34:35], v[36:37], v[36:37] op_sel:[0,1]
	s_and_saveexec_b64 s[24:25], s[20:21]
; %bb.78:
	v_lshrrev_b32_e32 v29, 24, v27
	v_lshrrev_b32_e32 v39, 16, v26
	;; [unrolled: 1-line block ×3, first 2 shown]
	v_mov_b32_e32 v49, v64
	v_mov_b32_e32 v48, v66
	v_pk_mov_b32 v[34:35], v[16:17], v[16:17] op_sel:[0,1]
	v_pk_mov_b32 v[16:17], v[36:37], v[36:37] op_sel:[0,1]
; %bb.79:
	s_or_b64 exec, exec, s[24:25]
	v_mov_b32_e32 v50, v53
.LBB1645_80:
	s_or_b64 exec, exec, s[22:23]
	v_and_b32_e32 v11, 0xfffffe00, v52
	v_lshlrev_b32_e32 v10, 3, v11
	v_lshl_add_u32 v31, v1, 3, v10
	v_add_u32_e32 v36, 0x810, v31
	ds_write2_b64 v36, v[32:33], v[22:23] offset1:1
	v_add_u32_e32 v36, 0x820, v31
	ds_write2_b64 v36, v[20:21], v[16:17] offset1:1
	v_lshlrev_b16_e32 v36, 8, v38
	v_lshlrev_b16_e32 v37, 8, v28
	v_or_b32_sdwa v36, v50, v36 dst_sel:DWORD dst_unused:UNUSED_PAD src0_sel:BYTE_0 src1_sel:DWORD
	v_or_b32_sdwa v37, v39, v37 dst_sel:WORD_1 dst_unused:UNUSED_PAD src0_sel:BYTE_0 src1_sel:DWORD
	v_or_b32_sdwa v36, v36, v37 dst_sel:DWORD dst_unused:UNUSED_PAD src0_sel:WORD_0 src1_sel:DWORD
	v_lshlrev_b16_e32 v37, 8, v49
	v_lshlrev_b16_e32 v50, 8, v29
	v_or_b32_sdwa v37, v27, v37 dst_sel:DWORD dst_unused:UNUSED_PAD src0_sel:BYTE_0 src1_sel:DWORD
	v_or_b32_sdwa v50, v48, v50 dst_sel:WORD_1 dst_unused:UNUSED_PAD src0_sel:BYTE_0 src1_sel:DWORD
	s_movk_i32 s20, 0x800
	v_add_u32_e32 v30, v11, v1
	v_add_u32_e32 v13, 0x800, v31
	v_or_b32_sdwa v37, v37, v50 dst_sel:DWORD dst_unused:UNUSED_PAD src0_sel:WORD_0 src1_sel:DWORD
	v_sub_u32_e64 v12, s20, v11 clamp
	ds_write2_b64 v13, v[4:5], v[18:19] offset1:1
	v_add_u32_e32 v52, 0x830, v31
	ds_write_b64 v30, v[36:37]
	ds_write2_b64 v52, v[34:35], v[14:15] offset1:1
	v_or_b32_e32 v36, 8, v1
	v_min_u32_e32 v36, v12, v36
	v_add_u32_e32 v37, 8, v36
	v_and_b32_e32 v50, 0x3f0, v1
	v_min_u32_e32 v37, v12, v37
	v_and_b32_e32 v52, 8, v1
	v_min_u32_e32 v52, v12, v52
	v_sub_u32_e32 v54, v36, v50
	v_sub_u32_e32 v53, v37, v36
	v_sub_u32_e64 v53, v52, v53 clamp
	v_min_u32_e32 v54, v52, v54
	v_cmp_lt_u32_e64 s[20:21], v53, v54
	; wave barrier
	s_and_saveexec_b64 s[22:23], s[20:21]
	s_cbranch_execz .LBB1645_84
; %bb.81:
	v_add_u32_e32 v55, v11, v50
	v_add3_u32 v64, v11, v36, v52
	s_mov_b64 s[24:25], 0
.LBB1645_82:                            ; =>This Inner Loop Header: Depth=1
	v_add_u32_e32 v65, v54, v53
	v_lshrrev_b32_e32 v65, 1, v65
	v_add_u32_e32 v66, v55, v65
	v_xad_u32 v67, v65, -1, v64
	ds_read_u8 v67, v67
	ds_read_u8 v66, v66
	v_add_u32_e32 v68, 1, v65
	s_waitcnt lgkmcnt(1)
	v_and_b32_e32 v67, v67, v51
	s_waitcnt lgkmcnt(0)
	v_and_b32_e32 v66, v66, v51
	v_cmp_gt_u16_e64 s[20:21], v66, v67
	v_cndmask_b32_e64 v54, v54, v65, s[20:21]
	v_cndmask_b32_e64 v53, v68, v53, s[20:21]
	v_cmp_ge_u32_e64 s[20:21], v53, v54
	s_or_b64 s[24:25], s[20:21], s[24:25]
	s_andn2_b64 exec, exec, s[24:25]
	s_cbranch_execnz .LBB1645_82
; %bb.83:
	s_or_b64 exec, exec, s[24:25]
.LBB1645_84:
	s_or_b64 exec, exec, s[22:23]
	v_add_u32_e32 v52, v36, v52
	v_add_u32_e32 v50, v53, v50
	v_sub_u32_e32 v52, v52, v53
	v_cmp_le_u32_e64 s[20:21], v50, v36
	v_cmp_le_u32_e64 s[22:23], v52, v37
	s_or_b64 s[20:21], s[20:21], s[22:23]
	s_and_saveexec_b64 s[44:45], s[20:21]
	s_cbranch_execz .LBB1645_90
; %bb.85:
	v_cmp_lt_u32_e64 s[20:21], v50, v36
                                        ; implicit-def: $vgpr14
	s_and_saveexec_b64 s[22:23], s[20:21]
	s_cbranch_execz .LBB1645_87
; %bb.86:
	v_add_u32_e32 v4, v11, v50
	ds_read_u8 v14, v4
.LBB1645_87:
	s_or_b64 exec, exec, s[22:23]
	v_cmp_ge_u32_e64 s[22:23], v52, v37
	v_cmp_lt_u32_e64 s[24:25], v52, v37
                                        ; implicit-def: $vgpr15
	s_and_saveexec_b64 s[28:29], s[24:25]
	s_cbranch_execz .LBB1645_89
; %bb.88:
	v_add_u32_e32 v4, v11, v52
	ds_read_u8 v15, v4
.LBB1645_89:
	s_or_b64 exec, exec, s[28:29]
	s_waitcnt lgkmcnt(0)
	v_and_b32_e32 v4, v15, v51
	v_and_b32_e32 v5, v14, v51
	v_cmp_le_u16_e64 s[24:25], v5, v4
	s_and_b64 s[20:21], s[20:21], s[24:25]
	s_or_b64 s[20:21], s[22:23], s[20:21]
	v_cndmask_b32_e64 v4, v52, v50, s[20:21]
	v_cndmask_b32_e64 v5, v37, v36, s[20:21]
	v_add_u32_e32 v16, 1, v4
	v_add_u32_e32 v5, -1, v5
	v_min_u32_e32 v5, v16, v5
	v_add_u32_e32 v5, v11, v5
	ds_read_u8 v5, v5
	v_lshl_add_u32 v4, v4, 3, v10
	s_waitcnt lgkmcnt(0)
	v_cndmask_b32_e64 v27, v5, v15, s[20:21]
	v_cndmask_b32_e64 v28, v14, v5, s[20:21]
	;; [unrolled: 1-line block ×4, first 2 shown]
	v_and_b32_e32 v17, v27, v51
	v_and_b32_e32 v18, v28, v51
	v_cmp_lt_u32_e64 s[24:25], v16, v36
	v_cmp_le_u16_e64 s[28:29], v18, v17
	v_cmp_ge_u32_e64 s[22:23], v5, v37
	s_and_b64 s[24:25], s[28:29], s[24:25]
	s_or_b64 s[22:23], s[22:23], s[24:25]
	v_cndmask_b32_e64 v17, v5, v16, s[22:23]
	v_cndmask_b32_e64 v18, v37, v36, s[22:23]
	v_add_u32_e32 v19, 1, v17
	v_add_u32_e32 v18, -1, v18
	v_min_u32_e32 v18, v19, v18
	v_add_u32_e32 v18, v11, v18
	ds_read_u8 v18, v18
	v_cndmask_b32_e64 v5, v19, v5, s[22:23]
	v_cndmask_b32_e64 v16, v16, v19, s[22:23]
	v_cmp_lt_u32_e64 s[28:29], v16, v36
	v_cmp_ge_u32_e64 s[24:25], v5, v37
	s_waitcnt lgkmcnt(0)
	v_cndmask_b32_e64 v29, v18, v27, s[22:23]
	v_cndmask_b32_e64 v39, v28, v18, s[22:23]
	v_and_b32_e32 v18, v29, v51
	v_and_b32_e32 v19, v39, v51
	v_cmp_le_u16_e64 s[30:31], v19, v18
	s_and_b64 s[28:29], s[30:31], s[28:29]
	s_or_b64 s[24:25], s[24:25], s[28:29]
	v_cndmask_b32_e64 v20, v5, v16, s[24:25]
	v_cndmask_b32_e64 v18, v37, v36, s[24:25]
	v_add_u32_e32 v19, 1, v20
	v_add_u32_e32 v18, -1, v18
	v_min_u32_e32 v18, v19, v18
	v_add_u32_e32 v18, v11, v18
	ds_read_u8 v18, v18
	v_cndmask_b32_e64 v21, v19, v5, s[24:25]
	v_cndmask_b32_e64 v16, v16, v19, s[24:25]
	v_cmp_lt_u32_e64 s[30:31], v16, v36
	v_cmp_ge_u32_e64 s[28:29], v21, v37
	s_waitcnt lgkmcnt(0)
	v_cndmask_b32_e64 v48, v18, v29, s[24:25]
	v_cndmask_b32_e64 v49, v39, v18, s[24:25]
	v_and_b32_e32 v5, v48, v51
	v_and_b32_e32 v18, v49, v51
	v_cmp_le_u16_e64 s[34:35], v18, v5
	s_and_b64 s[30:31], s[34:35], s[30:31]
	s_or_b64 s[28:29], s[28:29], s[30:31]
	v_cndmask_b32_e64 v22, v21, v16, s[28:29]
	v_cndmask_b32_e64 v5, v37, v36, s[28:29]
	v_add_u32_e32 v23, 1, v22
	v_add_u32_e32 v5, -1, v5
	v_min_u32_e32 v5, v23, v5
	v_add_u32_e32 v5, v11, v5
	ds_read_u8 v26, v5
	v_lshl_add_u32 v17, v17, 3, v10
	ds_read_b64 v[18:19], v17 offset:2048
	v_cndmask_b32_e64 v17, v23, v21, s[28:29]
	v_cndmask_b32_e64 v16, v16, v23, s[28:29]
	s_waitcnt lgkmcnt(1)
	v_cndmask_b32_e64 v50, v26, v48, s[28:29]
	v_cndmask_b32_e64 v52, v49, v26, s[28:29]
	v_and_b32_e32 v21, v50, v51
	v_and_b32_e32 v23, v52, v51
	v_cmp_lt_u32_e64 s[34:35], v16, v36
	v_cmp_le_u16_e64 s[36:37], v23, v21
	v_cmp_ge_u32_e64 s[30:31], v17, v37
	s_and_b64 s[34:35], s[36:37], s[34:35]
	s_or_b64 s[30:31], s[30:31], s[34:35]
	v_cndmask_b32_e64 v21, v17, v16, s[30:31]
	v_cndmask_b32_e64 v23, v37, v36, s[30:31]
	v_add_u32_e32 v26, 1, v21
	v_add_u32_e32 v23, -1, v23
	v_min_u32_e32 v23, v26, v23
	v_add_u32_e32 v23, v11, v23
	ds_read_u8 v34, v23
	v_lshl_add_u32 v20, v20, 3, v10
	ds_read_b64 v[32:33], v20 offset:2048
	ds_read_b64 v[4:5], v4 offset:2048
	v_cndmask_b32_e64 v39, v29, v39, s[24:25]
	s_waitcnt lgkmcnt(2)
	v_cndmask_b32_e64 v53, v34, v50, s[30:31]
	v_cndmask_b32_e64 v54, v52, v34, s[30:31]
	;; [unrolled: 1-line block ×4, first 2 shown]
	v_and_b32_e32 v16, v53, v51
	v_and_b32_e32 v17, v54, v51
	v_cmp_lt_u32_e64 s[36:37], v26, v36
	v_cmp_le_u16_e64 s[38:39], v17, v16
	v_cmp_ge_u32_e64 s[34:35], v34, v37
	s_and_b64 s[36:37], s[38:39], s[36:37]
	s_or_b64 s[34:35], s[34:35], s[36:37]
	v_cndmask_b32_e64 v16, v34, v26, s[34:35]
	v_cndmask_b32_e64 v17, v37, v36, s[34:35]
	v_add_u32_e32 v35, 1, v16
	v_add_u32_e32 v17, -1, v17
	v_min_u32_e32 v17, v35, v17
	v_add_u32_e32 v17, v11, v17
	ds_read_u8 v38, v17
	v_cndmask_b32_e64 v65, v35, v34, s[34:35]
	v_cndmask_b32_e64 v66, v26, v35, s[34:35]
	v_cmp_lt_u32_e64 s[38:39], v66, v36
	v_cmp_ge_u32_e64 s[36:37], v65, v37
	s_waitcnt lgkmcnt(0)
	v_cndmask_b32_e64 v55, v38, v53, s[34:35]
	v_cndmask_b32_e64 v64, v54, v38, s[34:35]
	v_and_b32_e32 v26, v55, v51
	v_and_b32_e32 v34, v64, v51
	v_cmp_le_u16_e64 s[40:41], v34, v26
	s_and_b64 s[38:39], s[40:41], s[38:39]
	s_or_b64 s[36:37], s[36:37], s[38:39]
	v_cndmask_b32_e64 v26, v65, v66, s[36:37]
	v_cndmask_b32_e64 v34, v37, v36, s[36:37]
	v_lshl_add_u32 v35, v26, 3, v10
	v_add_u32_e32 v67, 1, v26
	v_add_u32_e32 v26, -1, v34
	v_lshl_add_u32 v20, v22, 3, v10
	v_lshl_add_u32 v17, v21, 3, v10
	;; [unrolled: 1-line block ×3, first 2 shown]
	v_min_u32_e32 v26, v67, v26
	ds_read_b64 v[22:23], v20 offset:2048
	ds_read_b64 v[20:21], v17 offset:2048
	ds_read_b64 v[16:17], v16 offset:2048
	v_add_u32_e32 v26, v11, v26
	ds_read_b64 v[34:35], v35 offset:2048
	ds_read_u8 v68, v26
	v_cndmask_b32_e64 v26, v15, v14, s[20:21]
	v_cndmask_b32_e64 v15, v66, v67, s[36:37]
	v_cndmask_b32_e64 v38, v27, v28, s[22:23]
	v_cmp_lt_u32_e64 s[22:23], v15, v36
	s_waitcnt lgkmcnt(0)
	v_cndmask_b32_e64 v29, v68, v55, s[36:37]
	v_cndmask_b32_e64 v68, v64, v68, s[36:37]
	v_and_b32_e32 v27, v29, v51
	v_and_b32_e32 v36, v68, v51
	v_cndmask_b32_e64 v14, v67, v65, s[36:37]
	v_cmp_le_u16_e64 s[24:25], v36, v27
	v_cmp_ge_u32_e64 s[20:21], v14, v37
	s_and_b64 s[22:23], s[24:25], s[22:23]
	s_or_b64 s[20:21], s[20:21], s[22:23]
	v_cndmask_b32_e64 v14, v14, v15, s[20:21]
	v_lshl_add_u32 v14, v14, 3, v10
	ds_read_b64 v[14:15], v14 offset:2048
	v_cndmask_b32_e64 v28, v48, v49, s[28:29]
	v_cndmask_b32_e64 v27, v50, v52, s[30:31]
	v_cndmask_b32_e64 v49, v53, v54, s[34:35]
	v_cndmask_b32_e64 v48, v55, v64, s[36:37]
	v_cndmask_b32_e64 v29, v29, v68, s[20:21]
.LBB1645_90:
	s_or_b64 exec, exec, s[44:45]
	v_add_u32_e32 v36, 0x800, v31
	; wave barrier
	ds_write2_b64 v36, v[4:5], v[18:19] offset1:1
	ds_write2_b64 v13, v[32:33], v[22:23] offset0:2 offset1:3
	ds_write2_b64 v13, v[20:21], v[16:17] offset0:4 offset1:5
	v_lshlrev_b16_e32 v36, 8, v49
	v_lshlrev_b16_e32 v37, 8, v29
	v_or_b32_sdwa v36, v27, v36 dst_sel:DWORD dst_unused:UNUSED_PAD src0_sel:BYTE_0 src1_sel:DWORD
	v_or_b32_sdwa v37, v48, v37 dst_sel:WORD_1 dst_unused:UNUSED_PAD src0_sel:BYTE_0 src1_sel:DWORD
	v_or_b32_sdwa v37, v36, v37 dst_sel:DWORD dst_unused:UNUSED_PAD src0_sel:WORD_0 src1_sel:DWORD
	v_lshlrev_b16_e32 v36, 8, v38
	v_lshlrev_b16_e32 v50, 8, v28
	v_or_b32_sdwa v36, v26, v36 dst_sel:DWORD dst_unused:UNUSED_PAD src0_sel:BYTE_0 src1_sel:DWORD
	v_or_b32_sdwa v50, v39, v50 dst_sel:WORD_1 dst_unused:UNUSED_PAD src0_sel:BYTE_0 src1_sel:DWORD
	v_or_b32_sdwa v36, v36, v50 dst_sel:DWORD dst_unused:UNUSED_PAD src0_sel:WORD_0 src1_sel:DWORD
	v_and_b32_e32 v50, 0x3e0, v1
	ds_write_b64 v30, v[36:37]
	s_waitcnt lgkmcnt(4)
	ds_write2_b64 v13, v[34:35], v[14:15] offset0:6 offset1:7
	v_or_b32_e32 v36, 16, v50
	v_min_u32_e32 v36, v12, v36
	v_add_u32_e32 v37, 16, v36
	v_min_u32_e32 v37, v12, v37
	v_and_b32_e32 v52, 24, v1
	v_min_u32_e32 v52, v12, v52
	v_sub_u32_e32 v54, v36, v50
	v_sub_u32_e32 v53, v37, v36
	v_sub_u32_e64 v53, v52, v53 clamp
	v_min_u32_e32 v54, v52, v54
	v_cmp_lt_u32_e64 s[20:21], v53, v54
	; wave barrier
	s_and_saveexec_b64 s[22:23], s[20:21]
	s_cbranch_execz .LBB1645_94
; %bb.91:
	v_add_u32_e32 v55, v11, v50
	v_add3_u32 v64, v11, v36, v52
	s_mov_b64 s[24:25], 0
.LBB1645_92:                            ; =>This Inner Loop Header: Depth=1
	v_add_u32_e32 v65, v54, v53
	v_lshrrev_b32_e32 v65, 1, v65
	v_add_u32_e32 v66, v55, v65
	v_xad_u32 v67, v65, -1, v64
	ds_read_u8 v67, v67
	ds_read_u8 v66, v66
	v_add_u32_e32 v68, 1, v65
	s_waitcnt lgkmcnt(1)
	v_and_b32_e32 v67, v67, v51
	s_waitcnt lgkmcnt(0)
	v_and_b32_e32 v66, v66, v51
	v_cmp_gt_u16_e64 s[20:21], v66, v67
	v_cndmask_b32_e64 v54, v54, v65, s[20:21]
	v_cndmask_b32_e64 v53, v68, v53, s[20:21]
	v_cmp_ge_u32_e64 s[20:21], v53, v54
	s_or_b64 s[24:25], s[20:21], s[24:25]
	s_andn2_b64 exec, exec, s[24:25]
	s_cbranch_execnz .LBB1645_92
; %bb.93:
	s_or_b64 exec, exec, s[24:25]
.LBB1645_94:
	s_or_b64 exec, exec, s[22:23]
	v_add_u32_e32 v52, v36, v52
	v_add_u32_e32 v50, v53, v50
	v_sub_u32_e32 v52, v52, v53
	v_cmp_le_u32_e64 s[20:21], v50, v36
	v_cmp_le_u32_e64 s[22:23], v52, v37
	s_or_b64 s[20:21], s[20:21], s[22:23]
	s_and_saveexec_b64 s[44:45], s[20:21]
	s_cbranch_execz .LBB1645_100
; %bb.95:
	v_cmp_lt_u32_e64 s[20:21], v50, v36
                                        ; implicit-def: $vgpr14
	s_and_saveexec_b64 s[22:23], s[20:21]
	s_cbranch_execz .LBB1645_97
; %bb.96:
	v_add_u32_e32 v4, v11, v50
	ds_read_u8 v14, v4
.LBB1645_97:
	s_or_b64 exec, exec, s[22:23]
	v_cmp_ge_u32_e64 s[22:23], v52, v37
	v_cmp_lt_u32_e64 s[24:25], v52, v37
                                        ; implicit-def: $vgpr15
	s_and_saveexec_b64 s[28:29], s[24:25]
	s_cbranch_execz .LBB1645_99
; %bb.98:
	v_add_u32_e32 v4, v11, v52
	ds_read_u8 v15, v4
.LBB1645_99:
	s_or_b64 exec, exec, s[28:29]
	s_waitcnt lgkmcnt(0)
	v_and_b32_e32 v4, v15, v51
	v_and_b32_e32 v5, v14, v51
	v_cmp_le_u16_e64 s[24:25], v5, v4
	s_and_b64 s[20:21], s[20:21], s[24:25]
	s_or_b64 s[20:21], s[22:23], s[20:21]
	v_cndmask_b32_e64 v4, v52, v50, s[20:21]
	v_cndmask_b32_e64 v5, v37, v36, s[20:21]
	v_add_u32_e32 v16, 1, v4
	v_add_u32_e32 v5, -1, v5
	v_min_u32_e32 v5, v16, v5
	v_add_u32_e32 v5, v11, v5
	ds_read_u8 v5, v5
	v_lshl_add_u32 v4, v4, 3, v10
	s_waitcnt lgkmcnt(0)
	v_cndmask_b32_e64 v27, v5, v15, s[20:21]
	v_cndmask_b32_e64 v28, v14, v5, s[20:21]
	;; [unrolled: 1-line block ×4, first 2 shown]
	v_and_b32_e32 v17, v27, v51
	v_and_b32_e32 v18, v28, v51
	v_cmp_lt_u32_e64 s[24:25], v16, v36
	v_cmp_le_u16_e64 s[28:29], v18, v17
	v_cmp_ge_u32_e64 s[22:23], v5, v37
	s_and_b64 s[24:25], s[28:29], s[24:25]
	s_or_b64 s[22:23], s[22:23], s[24:25]
	v_cndmask_b32_e64 v17, v5, v16, s[22:23]
	v_cndmask_b32_e64 v18, v37, v36, s[22:23]
	v_add_u32_e32 v19, 1, v17
	v_add_u32_e32 v18, -1, v18
	v_min_u32_e32 v18, v19, v18
	v_add_u32_e32 v18, v11, v18
	ds_read_u8 v18, v18
	v_cndmask_b32_e64 v5, v19, v5, s[22:23]
	v_cndmask_b32_e64 v16, v16, v19, s[22:23]
	v_cmp_lt_u32_e64 s[28:29], v16, v36
	v_cmp_ge_u32_e64 s[24:25], v5, v37
	s_waitcnt lgkmcnt(0)
	v_cndmask_b32_e64 v29, v18, v27, s[22:23]
	v_cndmask_b32_e64 v39, v28, v18, s[22:23]
	v_and_b32_e32 v18, v29, v51
	v_and_b32_e32 v19, v39, v51
	v_cmp_le_u16_e64 s[30:31], v19, v18
	s_and_b64 s[28:29], s[30:31], s[28:29]
	s_or_b64 s[24:25], s[24:25], s[28:29]
	v_cndmask_b32_e64 v20, v5, v16, s[24:25]
	v_cndmask_b32_e64 v18, v37, v36, s[24:25]
	v_add_u32_e32 v19, 1, v20
	v_add_u32_e32 v18, -1, v18
	v_min_u32_e32 v18, v19, v18
	v_add_u32_e32 v18, v11, v18
	ds_read_u8 v18, v18
	v_cndmask_b32_e64 v21, v19, v5, s[24:25]
	v_cndmask_b32_e64 v16, v16, v19, s[24:25]
	v_cmp_lt_u32_e64 s[30:31], v16, v36
	v_cmp_ge_u32_e64 s[28:29], v21, v37
	s_waitcnt lgkmcnt(0)
	v_cndmask_b32_e64 v48, v18, v29, s[24:25]
	v_cndmask_b32_e64 v49, v39, v18, s[24:25]
	v_and_b32_e32 v5, v48, v51
	v_and_b32_e32 v18, v49, v51
	v_cmp_le_u16_e64 s[34:35], v18, v5
	s_and_b64 s[30:31], s[34:35], s[30:31]
	s_or_b64 s[28:29], s[28:29], s[30:31]
	v_cndmask_b32_e64 v22, v21, v16, s[28:29]
	v_cndmask_b32_e64 v5, v37, v36, s[28:29]
	v_add_u32_e32 v23, 1, v22
	v_add_u32_e32 v5, -1, v5
	v_min_u32_e32 v5, v23, v5
	v_add_u32_e32 v5, v11, v5
	ds_read_u8 v26, v5
	v_lshl_add_u32 v17, v17, 3, v10
	ds_read_b64 v[18:19], v17 offset:2048
	v_cndmask_b32_e64 v17, v23, v21, s[28:29]
	v_cndmask_b32_e64 v16, v16, v23, s[28:29]
	s_waitcnt lgkmcnt(1)
	v_cndmask_b32_e64 v50, v26, v48, s[28:29]
	v_cndmask_b32_e64 v52, v49, v26, s[28:29]
	v_and_b32_e32 v21, v50, v51
	v_and_b32_e32 v23, v52, v51
	v_cmp_lt_u32_e64 s[34:35], v16, v36
	v_cmp_le_u16_e64 s[36:37], v23, v21
	v_cmp_ge_u32_e64 s[30:31], v17, v37
	s_and_b64 s[34:35], s[36:37], s[34:35]
	s_or_b64 s[30:31], s[30:31], s[34:35]
	v_cndmask_b32_e64 v21, v17, v16, s[30:31]
	v_cndmask_b32_e64 v23, v37, v36, s[30:31]
	v_add_u32_e32 v26, 1, v21
	v_add_u32_e32 v23, -1, v23
	v_min_u32_e32 v23, v26, v23
	v_add_u32_e32 v23, v11, v23
	ds_read_u8 v34, v23
	v_lshl_add_u32 v20, v20, 3, v10
	ds_read_b64 v[32:33], v20 offset:2048
	ds_read_b64 v[4:5], v4 offset:2048
	v_cndmask_b32_e64 v39, v29, v39, s[24:25]
	s_waitcnt lgkmcnt(2)
	v_cndmask_b32_e64 v53, v34, v50, s[30:31]
	v_cndmask_b32_e64 v54, v52, v34, s[30:31]
	;; [unrolled: 1-line block ×4, first 2 shown]
	v_and_b32_e32 v16, v53, v51
	v_and_b32_e32 v17, v54, v51
	v_cmp_lt_u32_e64 s[36:37], v26, v36
	v_cmp_le_u16_e64 s[38:39], v17, v16
	v_cmp_ge_u32_e64 s[34:35], v34, v37
	s_and_b64 s[36:37], s[38:39], s[36:37]
	s_or_b64 s[34:35], s[34:35], s[36:37]
	v_cndmask_b32_e64 v16, v34, v26, s[34:35]
	v_cndmask_b32_e64 v17, v37, v36, s[34:35]
	v_add_u32_e32 v35, 1, v16
	v_add_u32_e32 v17, -1, v17
	v_min_u32_e32 v17, v35, v17
	v_add_u32_e32 v17, v11, v17
	ds_read_u8 v38, v17
	v_cndmask_b32_e64 v65, v35, v34, s[34:35]
	v_cndmask_b32_e64 v66, v26, v35, s[34:35]
	v_cmp_lt_u32_e64 s[38:39], v66, v36
	v_cmp_ge_u32_e64 s[36:37], v65, v37
	s_waitcnt lgkmcnt(0)
	v_cndmask_b32_e64 v55, v38, v53, s[34:35]
	v_cndmask_b32_e64 v64, v54, v38, s[34:35]
	v_and_b32_e32 v26, v55, v51
	v_and_b32_e32 v34, v64, v51
	v_cmp_le_u16_e64 s[40:41], v34, v26
	s_and_b64 s[38:39], s[40:41], s[38:39]
	s_or_b64 s[36:37], s[36:37], s[38:39]
	v_cndmask_b32_e64 v26, v65, v66, s[36:37]
	v_cndmask_b32_e64 v34, v37, v36, s[36:37]
	v_lshl_add_u32 v35, v26, 3, v10
	v_add_u32_e32 v67, 1, v26
	v_add_u32_e32 v26, -1, v34
	v_lshl_add_u32 v20, v22, 3, v10
	v_lshl_add_u32 v17, v21, 3, v10
	;; [unrolled: 1-line block ×3, first 2 shown]
	v_min_u32_e32 v26, v67, v26
	ds_read_b64 v[22:23], v20 offset:2048
	ds_read_b64 v[20:21], v17 offset:2048
	;; [unrolled: 1-line block ×3, first 2 shown]
	v_add_u32_e32 v26, v11, v26
	ds_read_b64 v[34:35], v35 offset:2048
	ds_read_u8 v68, v26
	v_cndmask_b32_e64 v26, v15, v14, s[20:21]
	v_cndmask_b32_e64 v15, v66, v67, s[36:37]
	;; [unrolled: 1-line block ×3, first 2 shown]
	v_cmp_lt_u32_e64 s[22:23], v15, v36
	s_waitcnt lgkmcnt(0)
	v_cndmask_b32_e64 v29, v68, v55, s[36:37]
	v_cndmask_b32_e64 v68, v64, v68, s[36:37]
	v_and_b32_e32 v27, v29, v51
	v_and_b32_e32 v36, v68, v51
	v_cndmask_b32_e64 v14, v67, v65, s[36:37]
	v_cmp_le_u16_e64 s[24:25], v36, v27
	v_cmp_ge_u32_e64 s[20:21], v14, v37
	s_and_b64 s[22:23], s[24:25], s[22:23]
	s_or_b64 s[20:21], s[20:21], s[22:23]
	v_cndmask_b32_e64 v14, v14, v15, s[20:21]
	v_lshl_add_u32 v14, v14, 3, v10
	ds_read_b64 v[14:15], v14 offset:2048
	v_cndmask_b32_e64 v28, v48, v49, s[28:29]
	v_cndmask_b32_e64 v27, v50, v52, s[30:31]
	;; [unrolled: 1-line block ×5, first 2 shown]
.LBB1645_100:
	s_or_b64 exec, exec, s[44:45]
	v_add_u32_e32 v36, 0x800, v31
	; wave barrier
	ds_write2_b64 v36, v[4:5], v[18:19] offset1:1
	ds_write2_b64 v13, v[32:33], v[22:23] offset0:2 offset1:3
	ds_write2_b64 v13, v[20:21], v[16:17] offset0:4 offset1:5
	v_lshlrev_b16_e32 v36, 8, v49
	v_lshlrev_b16_e32 v37, 8, v29
	v_or_b32_sdwa v36, v27, v36 dst_sel:DWORD dst_unused:UNUSED_PAD src0_sel:BYTE_0 src1_sel:DWORD
	v_or_b32_sdwa v37, v48, v37 dst_sel:WORD_1 dst_unused:UNUSED_PAD src0_sel:BYTE_0 src1_sel:DWORD
	v_or_b32_sdwa v37, v36, v37 dst_sel:DWORD dst_unused:UNUSED_PAD src0_sel:WORD_0 src1_sel:DWORD
	v_lshlrev_b16_e32 v36, 8, v38
	v_lshlrev_b16_e32 v50, 8, v28
	v_or_b32_sdwa v36, v26, v36 dst_sel:DWORD dst_unused:UNUSED_PAD src0_sel:BYTE_0 src1_sel:DWORD
	v_or_b32_sdwa v50, v39, v50 dst_sel:WORD_1 dst_unused:UNUSED_PAD src0_sel:BYTE_0 src1_sel:DWORD
	v_or_b32_sdwa v36, v36, v50 dst_sel:DWORD dst_unused:UNUSED_PAD src0_sel:WORD_0 src1_sel:DWORD
	v_and_b32_e32 v50, 0x3c0, v1
	ds_write_b64 v30, v[36:37]
	s_waitcnt lgkmcnt(4)
	ds_write2_b64 v13, v[34:35], v[14:15] offset0:6 offset1:7
	v_or_b32_e32 v36, 32, v50
	v_min_u32_e32 v36, v12, v36
	v_add_u32_e32 v37, 32, v36
	v_min_u32_e32 v37, v12, v37
	v_and_b32_e32 v52, 56, v1
	v_min_u32_e32 v52, v12, v52
	v_sub_u32_e32 v54, v36, v50
	v_sub_u32_e32 v53, v37, v36
	v_sub_u32_e64 v53, v52, v53 clamp
	v_min_u32_e32 v54, v52, v54
	v_cmp_lt_u32_e64 s[20:21], v53, v54
	; wave barrier
	s_and_saveexec_b64 s[22:23], s[20:21]
	s_cbranch_execz .LBB1645_104
; %bb.101:
	v_add_u32_e32 v55, v11, v50
	v_add3_u32 v64, v11, v36, v52
	s_mov_b64 s[24:25], 0
.LBB1645_102:                           ; =>This Inner Loop Header: Depth=1
	v_add_u32_e32 v65, v54, v53
	v_lshrrev_b32_e32 v65, 1, v65
	v_add_u32_e32 v66, v55, v65
	v_xad_u32 v67, v65, -1, v64
	ds_read_u8 v67, v67
	ds_read_u8 v66, v66
	v_add_u32_e32 v68, 1, v65
	s_waitcnt lgkmcnt(1)
	v_and_b32_e32 v67, v67, v51
	s_waitcnt lgkmcnt(0)
	v_and_b32_e32 v66, v66, v51
	v_cmp_gt_u16_e64 s[20:21], v66, v67
	v_cndmask_b32_e64 v54, v54, v65, s[20:21]
	v_cndmask_b32_e64 v53, v68, v53, s[20:21]
	v_cmp_ge_u32_e64 s[20:21], v53, v54
	s_or_b64 s[24:25], s[20:21], s[24:25]
	s_andn2_b64 exec, exec, s[24:25]
	s_cbranch_execnz .LBB1645_102
; %bb.103:
	s_or_b64 exec, exec, s[24:25]
.LBB1645_104:
	s_or_b64 exec, exec, s[22:23]
	v_add_u32_e32 v52, v36, v52
	v_add_u32_e32 v50, v53, v50
	v_sub_u32_e32 v52, v52, v53
	v_cmp_le_u32_e64 s[20:21], v50, v36
	v_cmp_le_u32_e64 s[22:23], v52, v37
	s_or_b64 s[20:21], s[20:21], s[22:23]
	s_and_saveexec_b64 s[44:45], s[20:21]
	s_cbranch_execz .LBB1645_110
; %bb.105:
	v_cmp_lt_u32_e64 s[20:21], v50, v36
                                        ; implicit-def: $vgpr14
	s_and_saveexec_b64 s[22:23], s[20:21]
	s_cbranch_execz .LBB1645_107
; %bb.106:
	v_add_u32_e32 v4, v11, v50
	ds_read_u8 v14, v4
.LBB1645_107:
	s_or_b64 exec, exec, s[22:23]
	v_cmp_ge_u32_e64 s[22:23], v52, v37
	v_cmp_lt_u32_e64 s[24:25], v52, v37
                                        ; implicit-def: $vgpr15
	s_and_saveexec_b64 s[28:29], s[24:25]
	s_cbranch_execz .LBB1645_109
; %bb.108:
	v_add_u32_e32 v4, v11, v52
	ds_read_u8 v15, v4
.LBB1645_109:
	s_or_b64 exec, exec, s[28:29]
	s_waitcnt lgkmcnt(0)
	v_and_b32_e32 v4, v15, v51
	v_and_b32_e32 v5, v14, v51
	v_cmp_le_u16_e64 s[24:25], v5, v4
	s_and_b64 s[20:21], s[20:21], s[24:25]
	s_or_b64 s[20:21], s[22:23], s[20:21]
	v_cndmask_b32_e64 v4, v52, v50, s[20:21]
	v_cndmask_b32_e64 v5, v37, v36, s[20:21]
	v_add_u32_e32 v16, 1, v4
	v_add_u32_e32 v5, -1, v5
	v_min_u32_e32 v5, v16, v5
	v_add_u32_e32 v5, v11, v5
	ds_read_u8 v5, v5
	v_lshl_add_u32 v4, v4, 3, v10
	s_waitcnt lgkmcnt(0)
	v_cndmask_b32_e64 v27, v5, v15, s[20:21]
	v_cndmask_b32_e64 v28, v14, v5, s[20:21]
	;; [unrolled: 1-line block ×4, first 2 shown]
	v_and_b32_e32 v17, v27, v51
	v_and_b32_e32 v18, v28, v51
	v_cmp_lt_u32_e64 s[24:25], v16, v36
	v_cmp_le_u16_e64 s[28:29], v18, v17
	v_cmp_ge_u32_e64 s[22:23], v5, v37
	s_and_b64 s[24:25], s[28:29], s[24:25]
	s_or_b64 s[22:23], s[22:23], s[24:25]
	v_cndmask_b32_e64 v17, v5, v16, s[22:23]
	v_cndmask_b32_e64 v18, v37, v36, s[22:23]
	v_add_u32_e32 v19, 1, v17
	v_add_u32_e32 v18, -1, v18
	v_min_u32_e32 v18, v19, v18
	v_add_u32_e32 v18, v11, v18
	ds_read_u8 v18, v18
	v_cndmask_b32_e64 v5, v19, v5, s[22:23]
	v_cndmask_b32_e64 v16, v16, v19, s[22:23]
	v_cmp_lt_u32_e64 s[28:29], v16, v36
	v_cmp_ge_u32_e64 s[24:25], v5, v37
	s_waitcnt lgkmcnt(0)
	v_cndmask_b32_e64 v29, v18, v27, s[22:23]
	v_cndmask_b32_e64 v39, v28, v18, s[22:23]
	v_and_b32_e32 v18, v29, v51
	v_and_b32_e32 v19, v39, v51
	v_cmp_le_u16_e64 s[30:31], v19, v18
	s_and_b64 s[28:29], s[30:31], s[28:29]
	s_or_b64 s[24:25], s[24:25], s[28:29]
	v_cndmask_b32_e64 v20, v5, v16, s[24:25]
	v_cndmask_b32_e64 v18, v37, v36, s[24:25]
	v_add_u32_e32 v19, 1, v20
	v_add_u32_e32 v18, -1, v18
	v_min_u32_e32 v18, v19, v18
	v_add_u32_e32 v18, v11, v18
	ds_read_u8 v18, v18
	v_cndmask_b32_e64 v21, v19, v5, s[24:25]
	v_cndmask_b32_e64 v16, v16, v19, s[24:25]
	v_cmp_lt_u32_e64 s[30:31], v16, v36
	v_cmp_ge_u32_e64 s[28:29], v21, v37
	s_waitcnt lgkmcnt(0)
	v_cndmask_b32_e64 v48, v18, v29, s[24:25]
	v_cndmask_b32_e64 v49, v39, v18, s[24:25]
	v_and_b32_e32 v5, v48, v51
	v_and_b32_e32 v18, v49, v51
	v_cmp_le_u16_e64 s[34:35], v18, v5
	s_and_b64 s[30:31], s[34:35], s[30:31]
	s_or_b64 s[28:29], s[28:29], s[30:31]
	v_cndmask_b32_e64 v22, v21, v16, s[28:29]
	v_cndmask_b32_e64 v5, v37, v36, s[28:29]
	v_add_u32_e32 v23, 1, v22
	v_add_u32_e32 v5, -1, v5
	v_min_u32_e32 v5, v23, v5
	v_add_u32_e32 v5, v11, v5
	ds_read_u8 v26, v5
	v_lshl_add_u32 v17, v17, 3, v10
	ds_read_b64 v[18:19], v17 offset:2048
	v_cndmask_b32_e64 v17, v23, v21, s[28:29]
	v_cndmask_b32_e64 v16, v16, v23, s[28:29]
	s_waitcnt lgkmcnt(1)
	v_cndmask_b32_e64 v50, v26, v48, s[28:29]
	v_cndmask_b32_e64 v52, v49, v26, s[28:29]
	v_and_b32_e32 v21, v50, v51
	v_and_b32_e32 v23, v52, v51
	v_cmp_lt_u32_e64 s[34:35], v16, v36
	v_cmp_le_u16_e64 s[36:37], v23, v21
	v_cmp_ge_u32_e64 s[30:31], v17, v37
	s_and_b64 s[34:35], s[36:37], s[34:35]
	s_or_b64 s[30:31], s[30:31], s[34:35]
	v_cndmask_b32_e64 v21, v17, v16, s[30:31]
	v_cndmask_b32_e64 v23, v37, v36, s[30:31]
	v_add_u32_e32 v26, 1, v21
	v_add_u32_e32 v23, -1, v23
	v_min_u32_e32 v23, v26, v23
	v_add_u32_e32 v23, v11, v23
	ds_read_u8 v34, v23
	v_lshl_add_u32 v20, v20, 3, v10
	ds_read_b64 v[32:33], v20 offset:2048
	ds_read_b64 v[4:5], v4 offset:2048
	v_cndmask_b32_e64 v39, v29, v39, s[24:25]
	s_waitcnt lgkmcnt(2)
	v_cndmask_b32_e64 v53, v34, v50, s[30:31]
	v_cndmask_b32_e64 v54, v52, v34, s[30:31]
	;; [unrolled: 1-line block ×4, first 2 shown]
	v_and_b32_e32 v16, v53, v51
	v_and_b32_e32 v17, v54, v51
	v_cmp_lt_u32_e64 s[36:37], v26, v36
	v_cmp_le_u16_e64 s[38:39], v17, v16
	v_cmp_ge_u32_e64 s[34:35], v34, v37
	s_and_b64 s[36:37], s[38:39], s[36:37]
	s_or_b64 s[34:35], s[34:35], s[36:37]
	v_cndmask_b32_e64 v16, v34, v26, s[34:35]
	v_cndmask_b32_e64 v17, v37, v36, s[34:35]
	v_add_u32_e32 v35, 1, v16
	v_add_u32_e32 v17, -1, v17
	v_min_u32_e32 v17, v35, v17
	v_add_u32_e32 v17, v11, v17
	ds_read_u8 v38, v17
	v_cndmask_b32_e64 v65, v35, v34, s[34:35]
	v_cndmask_b32_e64 v66, v26, v35, s[34:35]
	v_cmp_lt_u32_e64 s[38:39], v66, v36
	v_cmp_ge_u32_e64 s[36:37], v65, v37
	s_waitcnt lgkmcnt(0)
	v_cndmask_b32_e64 v55, v38, v53, s[34:35]
	v_cndmask_b32_e64 v64, v54, v38, s[34:35]
	v_and_b32_e32 v26, v55, v51
	v_and_b32_e32 v34, v64, v51
	v_cmp_le_u16_e64 s[40:41], v34, v26
	s_and_b64 s[38:39], s[40:41], s[38:39]
	s_or_b64 s[36:37], s[36:37], s[38:39]
	v_cndmask_b32_e64 v26, v65, v66, s[36:37]
	v_cndmask_b32_e64 v34, v37, v36, s[36:37]
	v_lshl_add_u32 v35, v26, 3, v10
	v_add_u32_e32 v67, 1, v26
	v_add_u32_e32 v26, -1, v34
	v_lshl_add_u32 v20, v22, 3, v10
	v_lshl_add_u32 v17, v21, 3, v10
	v_lshl_add_u32 v16, v16, 3, v10
	v_min_u32_e32 v26, v67, v26
	ds_read_b64 v[22:23], v20 offset:2048
	ds_read_b64 v[20:21], v17 offset:2048
	;; [unrolled: 1-line block ×3, first 2 shown]
	v_add_u32_e32 v26, v11, v26
	ds_read_b64 v[34:35], v35 offset:2048
	ds_read_u8 v68, v26
	v_cndmask_b32_e64 v26, v15, v14, s[20:21]
	v_cndmask_b32_e64 v15, v66, v67, s[36:37]
	v_cndmask_b32_e64 v38, v27, v28, s[22:23]
	v_cmp_lt_u32_e64 s[22:23], v15, v36
	s_waitcnt lgkmcnt(0)
	v_cndmask_b32_e64 v29, v68, v55, s[36:37]
	v_cndmask_b32_e64 v68, v64, v68, s[36:37]
	v_and_b32_e32 v27, v29, v51
	v_and_b32_e32 v36, v68, v51
	v_cndmask_b32_e64 v14, v67, v65, s[36:37]
	v_cmp_le_u16_e64 s[24:25], v36, v27
	v_cmp_ge_u32_e64 s[20:21], v14, v37
	s_and_b64 s[22:23], s[24:25], s[22:23]
	s_or_b64 s[20:21], s[20:21], s[22:23]
	v_cndmask_b32_e64 v14, v14, v15, s[20:21]
	v_lshl_add_u32 v14, v14, 3, v10
	ds_read_b64 v[14:15], v14 offset:2048
	v_cndmask_b32_e64 v28, v48, v49, s[28:29]
	v_cndmask_b32_e64 v27, v50, v52, s[30:31]
	;; [unrolled: 1-line block ×5, first 2 shown]
.LBB1645_110:
	s_or_b64 exec, exec, s[44:45]
	v_add_u32_e32 v31, 0x800, v31
	; wave barrier
	ds_write2_b64 v31, v[4:5], v[18:19] offset1:1
	ds_write2_b64 v13, v[32:33], v[22:23] offset0:2 offset1:3
	ds_write2_b64 v13, v[20:21], v[16:17] offset0:4 offset1:5
	v_lshlrev_b16_e32 v31, 8, v49
	v_lshlrev_b16_e32 v36, 8, v29
	v_or_b32_sdwa v31, v27, v31 dst_sel:DWORD dst_unused:UNUSED_PAD src0_sel:BYTE_0 src1_sel:DWORD
	v_or_b32_sdwa v36, v48, v36 dst_sel:WORD_1 dst_unused:UNUSED_PAD src0_sel:BYTE_0 src1_sel:DWORD
	v_or_b32_sdwa v37, v31, v36 dst_sel:DWORD dst_unused:UNUSED_PAD src0_sel:WORD_0 src1_sel:DWORD
	v_lshlrev_b16_e32 v31, 8, v38
	v_lshlrev_b16_e32 v36, 8, v28
	v_or_b32_sdwa v31, v26, v31 dst_sel:DWORD dst_unused:UNUSED_PAD src0_sel:BYTE_0 src1_sel:DWORD
	v_or_b32_sdwa v36, v39, v36 dst_sel:WORD_1 dst_unused:UNUSED_PAD src0_sel:BYTE_0 src1_sel:DWORD
	v_or_b32_sdwa v36, v31, v36 dst_sel:DWORD dst_unused:UNUSED_PAD src0_sel:WORD_0 src1_sel:DWORD
	ds_write_b64 v30, v[36:37]
	s_waitcnt lgkmcnt(4)
	ds_write2_b64 v13, v[34:35], v[14:15] offset0:6 offset1:7
	v_and_b32_e32 v30, 0x380, v1
	v_or_b32_e32 v1, 64, v30
	v_min_u32_e32 v1, v12, v1
	v_add_u32_e32 v13, 64, v1
	v_min_u32_e32 v13, v12, v13
	v_min_u32_e32 v12, v12, v0
	v_sub_u32_e32 v36, v1, v30
	v_sub_u32_e32 v31, v13, v1
	v_sub_u32_e64 v31, v12, v31 clamp
	v_min_u32_e32 v36, v12, v36
	v_cmp_lt_u32_e64 s[20:21], v31, v36
	; wave barrier
	s_and_saveexec_b64 s[22:23], s[20:21]
	s_cbranch_execz .LBB1645_114
; %bb.111:
	v_add_u32_e32 v37, v11, v30
	v_add3_u32 v50, v11, v1, v12
	s_mov_b64 s[24:25], 0
.LBB1645_112:                           ; =>This Inner Loop Header: Depth=1
	v_add_u32_e32 v52, v36, v31
	v_lshrrev_b32_e32 v52, 1, v52
	v_add_u32_e32 v53, v37, v52
	v_xad_u32 v54, v52, -1, v50
	ds_read_u8 v54, v54
	ds_read_u8 v53, v53
	v_add_u32_e32 v55, 1, v52
	s_waitcnt lgkmcnt(1)
	v_and_b32_e32 v54, v54, v51
	s_waitcnt lgkmcnt(0)
	v_and_b32_e32 v53, v53, v51
	v_cmp_gt_u16_e64 s[20:21], v53, v54
	v_cndmask_b32_e64 v36, v36, v52, s[20:21]
	v_cndmask_b32_e64 v31, v55, v31, s[20:21]
	v_cmp_ge_u32_e64 s[20:21], v31, v36
	s_or_b64 s[24:25], s[20:21], s[24:25]
	s_andn2_b64 exec, exec, s[24:25]
	s_cbranch_execnz .LBB1645_112
; %bb.113:
	s_or_b64 exec, exec, s[24:25]
.LBB1645_114:
	s_or_b64 exec, exec, s[22:23]
	v_add_u32_e32 v12, v1, v12
	v_add_u32_e32 v30, v31, v30
	v_sub_u32_e32 v31, v12, v31
	v_cmp_le_u32_e64 s[20:21], v30, v1
	v_cmp_le_u32_e64 s[22:23], v31, v13
	s_or_b64 s[20:21], s[20:21], s[22:23]
	s_and_saveexec_b64 s[44:45], s[20:21]
	s_cbranch_execz .LBB1645_120
; %bb.115:
	v_cmp_lt_u32_e64 s[20:21], v30, v1
                                        ; implicit-def: $vgpr12
	s_and_saveexec_b64 s[22:23], s[20:21]
	s_cbranch_execz .LBB1645_117
; %bb.116:
	v_add_u32_e32 v4, v11, v30
	ds_read_u8 v12, v4
.LBB1645_117:
	s_or_b64 exec, exec, s[22:23]
	v_cmp_ge_u32_e64 s[22:23], v31, v13
	v_cmp_lt_u32_e64 s[24:25], v31, v13
                                        ; implicit-def: $vgpr14
	s_and_saveexec_b64 s[28:29], s[24:25]
	s_cbranch_execz .LBB1645_119
; %bb.118:
	v_add_u32_e32 v4, v11, v31
	ds_read_u8 v14, v4
.LBB1645_119:
	s_or_b64 exec, exec, s[28:29]
	s_waitcnt lgkmcnt(0)
	v_and_b32_e32 v4, v14, v51
	v_and_b32_e32 v5, v12, v51
	v_cmp_le_u16_e64 s[24:25], v5, v4
	s_and_b64 s[20:21], s[20:21], s[24:25]
	s_or_b64 s[20:21], s[22:23], s[20:21]
	v_cndmask_b32_e64 v4, v31, v30, s[20:21]
	v_cndmask_b32_e64 v5, v13, v1, s[20:21]
	v_add_u32_e32 v15, 1, v4
	v_add_u32_e32 v5, -1, v5
	v_min_u32_e32 v5, v15, v5
	v_add_u32_e32 v5, v11, v5
	ds_read_u8 v5, v5
	v_lshl_add_u32 v4, v4, 3, v10
	s_waitcnt lgkmcnt(0)
	v_cndmask_b32_e64 v27, v5, v14, s[20:21]
	v_cndmask_b32_e64 v28, v12, v5, s[20:21]
	;; [unrolled: 1-line block ×4, first 2 shown]
	v_and_b32_e32 v16, v27, v51
	v_and_b32_e32 v17, v28, v51
	v_cmp_lt_u32_e64 s[24:25], v15, v1
	v_cmp_le_u16_e64 s[28:29], v17, v16
	v_cmp_ge_u32_e64 s[22:23], v5, v13
	s_and_b64 s[24:25], s[28:29], s[24:25]
	s_or_b64 s[22:23], s[22:23], s[24:25]
	v_cndmask_b32_e64 v16, v5, v15, s[22:23]
	v_cndmask_b32_e64 v17, v13, v1, s[22:23]
	v_add_u32_e32 v18, 1, v16
	v_add_u32_e32 v17, -1, v17
	v_min_u32_e32 v17, v18, v17
	v_add_u32_e32 v17, v11, v17
	ds_read_u8 v17, v17
	v_cndmask_b32_e64 v5, v18, v5, s[22:23]
	v_cndmask_b32_e64 v15, v15, v18, s[22:23]
	v_cmp_lt_u32_e64 s[28:29], v15, v1
	v_cmp_ge_u32_e64 s[24:25], v5, v13
	s_waitcnt lgkmcnt(0)
	v_cndmask_b32_e64 v29, v17, v27, s[22:23]
	v_cndmask_b32_e64 v30, v28, v17, s[22:23]
	v_and_b32_e32 v17, v29, v51
	v_and_b32_e32 v18, v30, v51
	v_cmp_le_u16_e64 s[30:31], v18, v17
	s_and_b64 s[28:29], s[30:31], s[28:29]
	s_or_b64 s[24:25], s[24:25], s[28:29]
	v_cndmask_b32_e64 v17, v5, v15, s[24:25]
	v_cndmask_b32_e64 v18, v13, v1, s[24:25]
	v_add_u32_e32 v19, 1, v17
	v_add_u32_e32 v18, -1, v18
	v_min_u32_e32 v18, v19, v18
	v_add_u32_e32 v18, v11, v18
	ds_read_u8 v18, v18
	v_cndmask_b32_e64 v20, v19, v5, s[24:25]
	v_cndmask_b32_e64 v15, v15, v19, s[24:25]
	v_cmp_lt_u32_e64 s[30:31], v15, v1
	v_cmp_ge_u32_e64 s[28:29], v20, v13
	s_waitcnt lgkmcnt(0)
	v_cndmask_b32_e64 v31, v18, v29, s[24:25]
	v_cndmask_b32_e64 v36, v30, v18, s[24:25]
	v_and_b32_e32 v5, v31, v51
	v_and_b32_e32 v18, v36, v51
	v_cmp_le_u16_e64 s[34:35], v18, v5
	s_and_b64 s[30:31], s[34:35], s[30:31]
	s_or_b64 s[28:29], s[28:29], s[30:31]
	v_cndmask_b32_e64 v21, v20, v15, s[28:29]
	v_cndmask_b32_e64 v5, v13, v1, s[28:29]
	v_add_u32_e32 v22, 1, v21
	v_add_u32_e32 v5, -1, v5
	v_min_u32_e32 v5, v22, v5
	v_add_u32_e32 v5, v11, v5
	ds_read_u8 v23, v5
	v_lshl_add_u32 v17, v17, 3, v10
	ds_read_b64 v[32:33], v17 offset:2048
	v_lshl_add_u32 v16, v16, 3, v10
	ds_read_b64 v[4:5], v4 offset:2048
	ds_read_b64 v[18:19], v16 offset:2048
	s_waitcnt lgkmcnt(3)
	v_cndmask_b32_e64 v37, v23, v31, s[28:29]
	v_cndmask_b32_e64 v48, v36, v23, s[28:29]
	;; [unrolled: 1-line block ×4, first 2 shown]
	v_and_b32_e32 v20, v37, v51
	v_and_b32_e32 v22, v48, v51
	v_cmp_lt_u32_e64 s[34:35], v15, v1
	v_cmp_le_u16_e64 s[36:37], v22, v20
	v_cmp_ge_u32_e64 s[30:31], v16, v13
	s_and_b64 s[34:35], s[36:37], s[34:35]
	s_or_b64 s[30:31], s[30:31], s[34:35]
	v_cndmask_b32_e64 v20, v16, v15, s[30:31]
	v_cndmask_b32_e64 v22, v13, v1, s[30:31]
	v_add_u32_e32 v26, 1, v20
	v_add_u32_e32 v22, -1, v22
	v_min_u32_e32 v22, v26, v22
	v_add_u32_e32 v22, v11, v22
	ds_read_u8 v34, v22
	v_lshl_add_u32 v17, v21, 3, v10
	ds_read_b64 v[22:23], v17 offset:2048
	v_cndmask_b32_e64 v15, v15, v26, s[30:31]
	v_cmp_lt_u32_e64 s[36:37], v15, v1
	s_waitcnt lgkmcnt(1)
	v_cndmask_b32_e64 v49, v34, v37, s[30:31]
	v_cndmask_b32_e64 v50, v48, v34, s[30:31]
	;; [unrolled: 1-line block ×3, first 2 shown]
	v_and_b32_e32 v16, v49, v51
	v_and_b32_e32 v17, v50, v51
	v_cmp_le_u16_e64 s[38:39], v17, v16
	v_cmp_ge_u32_e64 s[34:35], v34, v13
	s_and_b64 s[36:37], s[38:39], s[36:37]
	s_or_b64 s[34:35], s[34:35], s[36:37]
	v_cndmask_b32_e64 v16, v34, v15, s[34:35]
	v_cndmask_b32_e64 v17, v13, v1, s[34:35]
	v_add_u32_e32 v26, 1, v16
	v_add_u32_e32 v17, -1, v17
	v_min_u32_e32 v17, v26, v17
	v_add_u32_e32 v17, v11, v17
	ds_read_u8 v35, v17
	v_cndmask_b32_e64 v54, v26, v34, s[34:35]
	v_cndmask_b32_e64 v15, v15, v26, s[34:35]
	v_cmp_lt_u32_e64 s[38:39], v15, v1
	v_cmp_ge_u32_e64 s[36:37], v54, v13
	s_waitcnt lgkmcnt(0)
	v_cndmask_b32_e64 v52, v35, v49, s[34:35]
	v_cndmask_b32_e64 v53, v50, v35, s[34:35]
	v_and_b32_e32 v26, v52, v51
	v_and_b32_e32 v34, v53, v51
	v_cmp_le_u16_e64 s[40:41], v34, v26
	s_and_b64 s[38:39], s[40:41], s[38:39]
	s_or_b64 s[36:37], s[36:37], s[38:39]
	v_cndmask_b32_e64 v26, v54, v15, s[36:37]
	v_cndmask_b32_e64 v34, v13, v1, s[36:37]
	v_lshl_add_u32 v35, v26, 3, v10
	v_add_u32_e32 v55, 1, v26
	v_add_u32_e32 v26, -1, v34
	v_min_u32_e32 v26, v55, v26
	v_lshl_add_u32 v17, v20, 3, v10
	v_lshl_add_u32 v16, v16, 3, v10
	v_add_u32_e32 v11, v11, v26
	ds_read_b64 v[20:21], v17 offset:2048
	ds_read_b64 v[16:17], v16 offset:2048
	;; [unrolled: 1-line block ×3, first 2 shown]
	ds_read_u8 v11, v11
	v_cndmask_b32_e64 v26, v14, v12, s[20:21]
	v_cndmask_b32_e64 v14, v55, v54, s[36:37]
	;; [unrolled: 1-line block ×4, first 2 shown]
	s_waitcnt lgkmcnt(0)
	v_cndmask_b32_e64 v12, v11, v52, s[36:37]
	v_cndmask_b32_e64 v11, v53, v11, s[36:37]
	v_cmp_ge_u32_e64 s[20:21], v14, v13
	v_cmp_lt_u32_e64 s[22:23], v15, v1
	v_and_b32_e32 v1, v12, v51
	v_and_b32_e32 v13, v11, v51
	v_cndmask_b32_e64 v39, v29, v30, s[24:25]
	v_cmp_le_u16_e64 s[24:25], v13, v1
	s_and_b64 s[22:23], s[24:25], s[22:23]
	s_or_b64 s[20:21], s[20:21], s[22:23]
	v_cndmask_b32_e64 v1, v14, v15, s[20:21]
	v_lshl_add_u32 v1, v1, 3, v10
	ds_read_b64 v[14:15], v1 offset:2048
	v_cndmask_b32_e64 v28, v31, v36, s[28:29]
	v_cndmask_b32_e64 v27, v37, v48, s[30:31]
	;; [unrolled: 1-line block ×5, first 2 shown]
.LBB1645_120:
	s_or_b64 exec, exec, s[44:45]
	; wave barrier
	s_waitcnt lgkmcnt(0)
	s_barrier
                                        ; implicit-def: $vgpr1
                                        ; implicit-def: $vgpr50
                                        ; implicit-def: $vgpr31
                                        ; implicit-def: $vgpr12
                                        ; implicit-def: $vgpr13
.LBB1645_121:
	s_andn2_saveexec_b64 s[36:37], s[42:43]
	s_cbranch_execz .LBB1645_217
; %bb.122:
	s_load_dwordx2 s[20:21], s[8:9], 0x0
	v_mov_b32_e32 v10, 0
	s_waitcnt lgkmcnt(0)
	s_cmp_lt_u32 s12, s20
	s_cselect_b32 s20, 12, 18
	s_cmp_lt_u32 s13, s21
	s_cselect_b32 s12, 14, 20
	s_add_u32 s12, s8, s12
	s_addc_u32 s13, s9, 0
	s_add_u32 s8, s8, s20
	s_addc_u32 s9, s9, 0
	global_load_ushort v11, v10, s[12:13]
	global_load_ushort v26, v10, s[8:9]
	v_and_b32_e32 v10, 0x3ff, v31
	s_movk_i32 s8, 0x800
	s_waitcnt vmcnt(0)
	v_mad_u32_u24 v11, v13, v11, v12
	v_mul_lo_u32 v11, v11, v26
	v_add_lshl_u32 v36, v11, v10, 3
	v_cmp_gt_u32_e64 s[8:9], s8, v36
	v_mov_b32_e32 v26, v50
	s_and_saveexec_b64 s[12:13], s[8:9]
	s_cbranch_execz .LBB1645_176
; %bb.123:
	v_cmp_gt_u16_sdwa s[20:21], v50, v38 src0_sel:BYTE_0 src1_sel:BYTE_0
	v_pk_mov_b32 v[10:11], v[18:19], v[18:19] op_sel:[0,1]
	v_mov_b32_e32 v37, v50
	v_mov_b32_e32 v26, v38
	s_and_saveexec_b64 s[8:9], s[20:21]
; %bb.124:
	v_mov_b32_e32 v12, v50
	v_mov_b32_e32 v37, 0
	v_mov_b32_e32 v26, 1
	v_pk_mov_b32 v[10:11], v[4:5], v[4:5] op_sel:[0,1]
	v_pk_mov_b32 v[4:5], v[18:19], v[18:19] op_sel:[0,1]
	v_swap_b32 v50, v38
; %bb.125:
	s_or_b64 exec, exec, s[8:9]
	v_cmp_gt_u16_sdwa s[20:21], v39, v28 src0_sel:BYTE_0 src1_sel:BYTE_0
	v_pk_mov_b32 v[30:31], v[22:23], v[22:23] op_sel:[0,1]
	v_mov_b32_e32 v52, v28
	v_mov_b32_e32 v53, v39
	s_and_saveexec_b64 s[8:9], s[20:21]
; %bb.126:
	v_mov_b32_e32 v12, v39
	v_mov_b32_e32 v52, 1
	v_mov_b32_e32 v53, 0
	v_pk_mov_b32 v[30:31], v[32:33], v[32:33] op_sel:[0,1]
	v_pk_mov_b32 v[32:33], v[22:23], v[22:23] op_sel:[0,1]
	v_swap_b32 v39, v28
; %bb.127:
	s_or_b64 exec, exec, s[8:9]
	v_cmp_gt_u16_sdwa s[20:21], v27, v49 src0_sel:BYTE_0 src1_sel:BYTE_0
	v_pk_mov_b32 v[12:13], v[20:21], v[20:21] op_sel:[0,1]
	v_mov_b32_e32 v51, v49
	v_mov_b32_e32 v55, v27
	s_and_saveexec_b64 s[8:9], s[20:21]
; %bb.128:
	v_mov_b32_e32 v18, v27
	v_mov_b32_e32 v51, 1
	v_mov_b32_e32 v55, 0
	v_pk_mov_b32 v[12:13], v[16:17], v[16:17] op_sel:[0,1]
	v_pk_mov_b32 v[16:17], v[20:21], v[20:21] op_sel:[0,1]
	v_swap_b32 v27, v49
; %bb.129:
	s_or_b64 exec, exec, s[8:9]
	v_cmp_gt_u16_sdwa s[20:21], v48, v29 src0_sel:BYTE_0 src1_sel:BYTE_0
	v_pk_mov_b32 v[18:19], v[34:35], v[34:35] op_sel:[0,1]
	v_mov_b32_e32 v64, v29
	v_mov_b32_e32 v54, v48
	s_and_saveexec_b64 s[8:9], s[20:21]
; %bb.130:
	v_mov_b32_e32 v20, v48
	v_mov_b32_e32 v64, 1
	v_mov_b32_e32 v54, 0
	v_pk_mov_b32 v[18:19], v[14:15], v[14:15] op_sel:[0,1]
	v_pk_mov_b32 v[14:15], v[34:35], v[34:35] op_sel:[0,1]
	v_swap_b32 v48, v29
; %bb.131:
	s_or_b64 exec, exec, s[8:9]
	v_cmp_gt_u16_sdwa s[8:9], v26, v53 src0_sel:BYTE_0 src1_sel:BYTE_0
	v_pk_mov_b32 v[20:21], v[32:33], v[32:33] op_sel:[0,1]
	s_and_saveexec_b64 s[20:21], s[8:9]
	s_xor_b64 s[8:9], exec, s[20:21]
; %bb.132:
	v_pk_mov_b32 v[20:21], v[10:11], v[10:11] op_sel:[0,1]
	v_pk_mov_b32 v[10:11], v[32:33], v[32:33] op_sel:[0,1]
	v_mov_b32_e32 v38, v53
	v_mov_b32_e32 v39, v26
	v_mov_b32_e32 v53, 1
	v_mov_b32_e32 v26, 0
; %bb.133:
	s_or_b64 exec, exec, s[8:9]
	v_cmp_gt_u16_sdwa s[20:21], v52, v55 src0_sel:BYTE_0 src1_sel:BYTE_0
	v_pk_mov_b32 v[32:33], v[30:31], v[30:31] op_sel:[0,1]
	s_and_saveexec_b64 s[8:9], s[20:21]
; %bb.134:
	v_pk_mov_b32 v[32:33], v[12:13], v[12:13] op_sel:[0,1]
	v_pk_mov_b32 v[12:13], v[30:31], v[30:31] op_sel:[0,1]
	v_mov_b32_e32 v28, v55
	v_mov_b32_e32 v27, v52
	v_mov_b32_e32 v55, 1
	v_mov_b32_e32 v52, 0
; %bb.135:
	s_or_b64 exec, exec, s[8:9]
	v_cmp_gt_u16_sdwa s[20:21], v51, v54 src0_sel:BYTE_0 src1_sel:BYTE_0
	v_pk_mov_b32 v[22:23], v[16:17], v[16:17] op_sel:[0,1]
	s_and_saveexec_b64 s[8:9], s[20:21]
	;; [unrolled: 12-line block ×19, first 2 shown]
; %bb.170:
	v_pk_mov_b32 v[34:35], v[16:17], v[16:17] op_sel:[0,1]
	v_pk_mov_b32 v[16:17], v[30:31], v[30:31] op_sel:[0,1]
	v_mov_b32_e32 v27, v51
	v_mov_b32_e32 v49, v55
	;; [unrolled: 1-line block ×4, first 2 shown]
; %bb.171:
	s_or_b64 exec, exec, s[8:9]
	s_movk_i32 s20, 0xff
	v_cmp_gt_u16_sdwa s[22:23], v54, v64 src0_sel:BYTE_0 src1_sel:BYTE_0
	v_pk_mov_b32 v[30:31], v[10:11], v[10:11] op_sel:[0,1]
	s_and_saveexec_b64 s[8:9], s[22:23]
; %bb.172:
	v_pk_mov_b32 v[30:31], v[14:15], v[14:15] op_sel:[0,1]
	v_pk_mov_b32 v[14:15], v[10:11], v[10:11] op_sel:[0,1]
	v_mov_b32_e32 v48, v64
	v_mov_b32_e32 v29, v54
	;; [unrolled: 1-line block ×3, first 2 shown]
; %bb.173:
	s_or_b64 exec, exec, s[8:9]
	v_lshlrev_b16_e32 v10, 8, v49
	v_lshlrev_b16_e32 v11, 8, v29
	v_or_b32_sdwa v10, v27, v10 dst_sel:DWORD dst_unused:UNUSED_PAD src0_sel:BYTE_0 src1_sel:DWORD
	v_or_b32_sdwa v11, v48, v11 dst_sel:WORD_1 dst_unused:UNUSED_PAD src0_sel:BYTE_0 src1_sel:DWORD
	v_or_b32_sdwa v10, v10, v11 dst_sel:DWORD dst_unused:UNUSED_PAD src0_sel:WORD_0 src1_sel:DWORD
	v_lshlrev_b16_e32 v11, 8, v38
	v_lshlrev_b16_e32 v22, 8, v28
	v_or_b32_sdwa v11, v50, v11 dst_sel:DWORD dst_unused:UNUSED_PAD src0_sel:BYTE_0 src1_sel:DWORD
	v_or_b32_sdwa v23, v39, v22 dst_sel:WORD_1 dst_unused:UNUSED_PAD src0_sel:BYTE_0 src1_sel:DWORD
	v_or_b32_sdwa v11, v11, v23 dst_sel:DWORD dst_unused:UNUSED_PAD src0_sel:WORD_0 src1_sel:DWORD
	v_lshlrev_b16_e32 v23, 8, v53
	v_or_b32_sdwa v23, v50, v23 dst_sel:DWORD dst_unused:UNUSED_PAD src0_sel:BYTE_0 src1_sel:DWORD
	v_or_b32_sdwa v22, v26, v22 dst_sel:WORD_1 dst_unused:UNUSED_PAD src0_sel:BYTE_0 src1_sel:DWORD
	v_or_b32_sdwa v22, v23, v22 dst_sel:DWORD dst_unused:UNUSED_PAD src0_sel:WORD_0 src1_sel:DWORD
	v_cmp_gt_u16_sdwa s[8:9], v26, v53 src0_sel:BYTE_0 src1_sel:BYTE_0
	v_cndmask_b32_e64 v11, v11, v22, s[8:9]
	v_cndmask_b32_e64 v32, v12, v18, s[8:9]
	;; [unrolled: 1-line block ×3, first 2 shown]
	v_and_b32_sdwa v12, v11, s20 dst_sel:DWORD dst_unused:UNUSED_PAD src0_sel:WORD_1 src1_sel:DWORD
	v_lshlrev_b16_e32 v22, 8, v55
	s_mov_b32 s21, 0xffff
	v_cndmask_b32_e64 v33, v13, v19, s[8:9]
	v_cndmask_b32_e64 v19, v19, v13, s[8:9]
	s_mov_b32 s8, 0x3020104
	v_or_b32_sdwa v12, v12, v22 dst_sel:WORD_1 dst_unused:UNUSED_PAD src0_sel:DWORD src1_sel:DWORD
	v_perm_b32 v13, v52, v10, s8
	v_and_or_b32 v12, v11, s21, v12
	v_cmp_gt_u16_sdwa s[8:9], v52, v55 src0_sel:BYTE_0 src1_sel:BYTE_0
	v_cndmask_b32_e64 v26, v11, v12, s[8:9]
	v_cndmask_b32_e64 v27, v10, v13, s[8:9]
	v_lshrrev_b64 v[28:29], 24, v[26:27]
	v_cndmask_b32_e64 v23, v21, v35, s[8:9]
	v_cndmask_b32_e64 v22, v20, v34, s[8:9]
	;; [unrolled: 1-line block ×4, first 2 shown]
	v_lshrrev_b32_e32 v39, 16, v26
	v_lshrrev_b32_e32 v38, 8, v26
	;; [unrolled: 1-line block ×5, first 2 shown]
	v_cmp_gt_u16_sdwa s[20:21], v51, v54 src0_sel:BYTE_0 src1_sel:BYTE_0
	v_pk_mov_b32 v[34:35], v[30:31], v[30:31] op_sel:[0,1]
	s_and_saveexec_b64 s[8:9], s[20:21]
; %bb.174:
	v_lshrrev_b32_e32 v29, 24, v27
	v_lshrrev_b32_e32 v39, 16, v26
	v_lshrrev_b32_e32 v38, 8, v26
	v_mov_b32_e32 v49, v54
	v_mov_b32_e32 v48, v51
	v_pk_mov_b32 v[34:35], v[16:17], v[16:17] op_sel:[0,1]
	v_pk_mov_b32 v[16:17], v[30:31], v[30:31] op_sel:[0,1]
; %bb.175:
	s_or_b64 exec, exec, s[8:9]
	v_mov_b32_e32 v50, v37
.LBB1645_176:
	s_or_b64 exec, exec, s[12:13]
	v_and_b32_e32 v11, 0xfffffe00, v36
	v_lshlrev_b32_e32 v10, 3, v11
	v_lshl_add_u32 v31, v1, 3, v10
	v_add_u32_e32 v36, 0x810, v31
	ds_write2_b64 v36, v[32:33], v[22:23] offset1:1
	v_add_u32_e32 v36, 0x820, v31
	ds_write2_b64 v36, v[20:21], v[16:17] offset1:1
	v_lshlrev_b16_e32 v36, 8, v38
	v_lshlrev_b16_e32 v37, 8, v28
	v_or_b32_sdwa v36, v50, v36 dst_sel:DWORD dst_unused:UNUSED_PAD src0_sel:BYTE_0 src1_sel:DWORD
	v_or_b32_sdwa v37, v39, v37 dst_sel:WORD_1 dst_unused:UNUSED_PAD src0_sel:BYTE_0 src1_sel:DWORD
	v_or_b32_sdwa v36, v36, v37 dst_sel:DWORD dst_unused:UNUSED_PAD src0_sel:WORD_0 src1_sel:DWORD
	v_lshlrev_b16_e32 v37, 8, v49
	v_lshlrev_b16_e32 v50, 8, v29
	v_or_b32_sdwa v37, v27, v37 dst_sel:DWORD dst_unused:UNUSED_PAD src0_sel:BYTE_0 src1_sel:DWORD
	v_or_b32_sdwa v50, v48, v50 dst_sel:WORD_1 dst_unused:UNUSED_PAD src0_sel:BYTE_0 src1_sel:DWORD
	s_movk_i32 s8, 0x800
	v_add_u32_e32 v30, v11, v1
	v_add_u32_e32 v13, 0x800, v31
	v_or_b32_sdwa v37, v37, v50 dst_sel:DWORD dst_unused:UNUSED_PAD src0_sel:WORD_0 src1_sel:DWORD
	v_sub_u32_e64 v12, s8, v11 clamp
	ds_write2_b64 v13, v[4:5], v[18:19] offset1:1
	v_add_u32_e32 v51, 0x830, v31
	ds_write_b64 v30, v[36:37]
	ds_write2_b64 v51, v[34:35], v[14:15] offset1:1
	v_or_b32_e32 v36, 8, v1
	v_min_u32_e32 v36, v12, v36
	v_add_u32_e32 v37, 8, v36
	v_and_b32_e32 v50, 0x3f0, v1
	v_min_u32_e32 v37, v12, v37
	v_and_b32_e32 v51, 8, v1
	v_min_u32_e32 v51, v12, v51
	v_sub_u32_e32 v53, v36, v50
	v_sub_u32_e32 v52, v37, v36
	v_sub_u32_e64 v52, v51, v52 clamp
	v_min_u32_e32 v53, v51, v53
	v_cmp_lt_u32_e64 s[8:9], v52, v53
	; wave barrier
	s_and_saveexec_b64 s[12:13], s[8:9]
	s_cbranch_execz .LBB1645_180
; %bb.177:
	v_add_u32_e32 v54, v11, v50
	v_add3_u32 v55, v11, v36, v51
	s_mov_b64 s[20:21], 0
.LBB1645_178:                           ; =>This Inner Loop Header: Depth=1
	v_add_u32_e32 v64, v53, v52
	v_lshrrev_b32_e32 v64, 1, v64
	v_add_u32_e32 v65, v54, v64
	v_xad_u32 v66, v64, -1, v55
	ds_read_u8 v65, v65
	ds_read_u8 v66, v66
	v_add_u32_e32 v67, 1, v64
	s_waitcnt lgkmcnt(0)
	v_cmp_gt_u16_e64 s[8:9], v65, v66
	v_cndmask_b32_e64 v53, v53, v64, s[8:9]
	v_cndmask_b32_e64 v52, v67, v52, s[8:9]
	v_cmp_ge_u32_e64 s[8:9], v52, v53
	s_or_b64 s[20:21], s[8:9], s[20:21]
	s_andn2_b64 exec, exec, s[20:21]
	s_cbranch_execnz .LBB1645_178
; %bb.179:
	s_or_b64 exec, exec, s[20:21]
.LBB1645_180:
	s_or_b64 exec, exec, s[12:13]
	v_add_u32_e32 v51, v36, v51
	v_add_u32_e32 v50, v52, v50
	v_sub_u32_e32 v51, v51, v52
	v_cmp_le_u32_e64 s[8:9], v50, v36
	v_cmp_le_u32_e64 s[12:13], v51, v37
	s_or_b64 s[8:9], s[8:9], s[12:13]
	s_and_saveexec_b64 s[38:39], s[8:9]
	s_cbranch_execz .LBB1645_186
; %bb.181:
	v_cmp_lt_u32_e64 s[8:9], v50, v36
                                        ; implicit-def: $vgpr14
	s_and_saveexec_b64 s[12:13], s[8:9]
	s_cbranch_execz .LBB1645_183
; %bb.182:
	v_add_u32_e32 v4, v11, v50
	ds_read_u8 v14, v4
.LBB1645_183:
	s_or_b64 exec, exec, s[12:13]
	v_cmp_ge_u32_e64 s[20:21], v51, v37
	v_cmp_lt_u32_e64 s[12:13], v51, v37
                                        ; implicit-def: $vgpr15
	s_and_saveexec_b64 s[22:23], s[12:13]
	s_cbranch_execz .LBB1645_185
; %bb.184:
	v_add_u32_e32 v4, v11, v51
	ds_read_u8 v15, v4
.LBB1645_185:
	s_or_b64 exec, exec, s[22:23]
	s_waitcnt lgkmcnt(0)
	v_cmp_le_u16_sdwa s[12:13], v14, v15 src0_sel:BYTE_0 src1_sel:BYTE_0
	s_and_b64 s[8:9], s[8:9], s[12:13]
	s_or_b64 s[8:9], s[20:21], s[8:9]
	v_cndmask_b32_e64 v4, v51, v50, s[8:9]
	v_cndmask_b32_e64 v5, v37, v36, s[8:9]
	v_add_u32_e32 v16, 1, v4
	v_add_u32_e32 v5, -1, v5
	v_min_u32_e32 v5, v16, v5
	v_add_u32_e32 v5, v11, v5
	ds_read_u8 v5, v5
	v_cndmask_b32_e64 v17, v16, v51, s[8:9]
	v_cmp_ge_u32_e64 s[12:13], v17, v37
	v_lshl_add_u32 v4, v4, 3, v10
	s_waitcnt lgkmcnt(0)
	v_cndmask_b32_e64 v27, v5, v15, s[8:9]
	v_cndmask_b32_e64 v28, v14, v5, s[8:9]
	;; [unrolled: 1-line block ×3, first 2 shown]
	v_cmp_lt_u32_e64 s[20:21], v5, v36
	v_cmp_le_u16_sdwa s[22:23], v28, v27 src0_sel:BYTE_0 src1_sel:BYTE_0
	s_and_b64 s[20:21], s[22:23], s[20:21]
	s_or_b64 s[20:21], s[12:13], s[20:21]
	v_cndmask_b32_e64 v16, v17, v5, s[20:21]
	v_cndmask_b32_e64 v18, v37, v36, s[20:21]
	v_add_u32_e32 v19, 1, v16
	v_add_u32_e32 v18, -1, v18
	v_min_u32_e32 v18, v19, v18
	v_add_u32_e32 v18, v11, v18
	ds_read_u8 v18, v18
	v_cndmask_b32_e64 v5, v5, v19, s[20:21]
	v_cndmask_b32_e64 v17, v19, v17, s[20:21]
	v_cmp_lt_u32_e64 s[22:23], v5, v36
	v_cmp_ge_u32_e64 s[12:13], v17, v37
	s_waitcnt lgkmcnt(0)
	v_cndmask_b32_e64 v29, v18, v27, s[20:21]
	v_cndmask_b32_e64 v39, v28, v18, s[20:21]
	v_cmp_le_u16_sdwa s[24:25], v39, v29 src0_sel:BYTE_0 src1_sel:BYTE_0
	s_and_b64 s[22:23], s[24:25], s[22:23]
	s_or_b64 s[22:23], s[12:13], s[22:23]
	v_cndmask_b32_e64 v20, v17, v5, s[22:23]
	v_cndmask_b32_e64 v18, v37, v36, s[22:23]
	v_add_u32_e32 v19, 1, v20
	v_add_u32_e32 v18, -1, v18
	v_min_u32_e32 v18, v19, v18
	v_add_u32_e32 v18, v11, v18
	ds_read_u8 v18, v18
	v_cndmask_b32_e64 v21, v5, v19, s[22:23]
	v_cndmask_b32_e64 v17, v19, v17, s[22:23]
	v_cmp_lt_u32_e64 s[24:25], v21, v36
	v_cmp_ge_u32_e64 s[12:13], v17, v37
	s_waitcnt lgkmcnt(0)
	v_cndmask_b32_e64 v48, v18, v29, s[22:23]
	v_cndmask_b32_e64 v49, v39, v18, s[22:23]
	v_cmp_le_u16_sdwa s[28:29], v49, v48 src0_sel:BYTE_0 src1_sel:BYTE_0
	s_and_b64 s[24:25], s[28:29], s[24:25]
	s_or_b64 s[12:13], s[12:13], s[24:25]
	v_cndmask_b32_e64 v22, v17, v21, s[12:13]
	v_cndmask_b32_e64 v5, v37, v36, s[12:13]
	v_add_u32_e32 v23, 1, v22
	v_add_u32_e32 v5, -1, v5
	v_min_u32_e32 v5, v23, v5
	v_add_u32_e32 v5, v11, v5
	ds_read_u8 v26, v5
	v_lshl_add_u32 v16, v16, 3, v10
	v_lshl_add_u32 v20, v20, 3, v10
	ds_read_b64 v[32:33], v20 offset:2048
	ds_read_b64 v[4:5], v4 offset:2048
	;; [unrolled: 1-line block ×3, first 2 shown]
	s_waitcnt lgkmcnt(3)
	v_cndmask_b32_e64 v50, v26, v48, s[12:13]
	v_cndmask_b32_e64 v51, v49, v26, s[12:13]
	;; [unrolled: 1-line block ×4, first 2 shown]
	v_cmp_lt_u32_e64 s[28:29], v17, v36
	v_cmp_le_u16_sdwa s[30:31], v51, v50 src0_sel:BYTE_0 src1_sel:BYTE_0
	v_cmp_ge_u32_e64 s[24:25], v16, v37
	s_and_b64 s[28:29], s[30:31], s[28:29]
	s_or_b64 s[24:25], s[24:25], s[28:29]
	v_cndmask_b32_e64 v21, v16, v17, s[24:25]
	v_cndmask_b32_e64 v23, v37, v36, s[24:25]
	v_add_u32_e32 v26, 1, v21
	v_add_u32_e32 v23, -1, v23
	v_min_u32_e32 v23, v26, v23
	v_add_u32_e32 v23, v11, v23
	ds_read_u8 v34, v23
	v_lshl_add_u32 v20, v22, 3, v10
	ds_read_b64 v[22:23], v20 offset:2048
	v_cndmask_b32_e64 v39, v29, v39, s[22:23]
	s_waitcnt lgkmcnt(1)
	v_cndmask_b32_e64 v52, v34, v50, s[24:25]
	v_cndmask_b32_e64 v53, v51, v34, s[24:25]
	;; [unrolled: 1-line block ×4, first 2 shown]
	v_cmp_lt_u32_e64 s[30:31], v26, v36
	v_cmp_le_u16_sdwa s[34:35], v53, v52 src0_sel:BYTE_0 src1_sel:BYTE_0
	v_cmp_ge_u32_e64 s[28:29], v34, v37
	s_and_b64 s[30:31], s[34:35], s[30:31]
	s_or_b64 s[28:29], s[28:29], s[30:31]
	v_cndmask_b32_e64 v16, v34, v26, s[28:29]
	v_cndmask_b32_e64 v17, v37, v36, s[28:29]
	v_add_u32_e32 v35, 1, v16
	v_add_u32_e32 v17, -1, v17
	v_min_u32_e32 v17, v35, v17
	v_add_u32_e32 v17, v11, v17
	ds_read_u8 v38, v17
	v_cndmask_b32_e64 v65, v26, v35, s[28:29]
	v_cndmask_b32_e64 v64, v35, v34, s[28:29]
	v_cmp_lt_u32_e64 s[34:35], v65, v36
	v_cmp_ge_u32_e64 s[30:31], v64, v37
	s_waitcnt lgkmcnt(0)
	v_cndmask_b32_e64 v54, v38, v52, s[28:29]
	v_cndmask_b32_e64 v55, v53, v38, s[28:29]
	v_cmp_le_u16_sdwa s[40:41], v55, v54 src0_sel:BYTE_0 src1_sel:BYTE_0
	s_and_b64 s[34:35], s[40:41], s[34:35]
	s_or_b64 s[30:31], s[30:31], s[34:35]
	v_cndmask_b32_e64 v26, v64, v65, s[30:31]
	v_cndmask_b32_e64 v34, v37, v36, s[30:31]
	v_lshl_add_u32 v35, v26, 3, v10
	v_add_u32_e32 v66, 1, v26
	v_add_u32_e32 v26, -1, v34
	v_lshl_add_u32 v17, v21, 3, v10
	v_lshl_add_u32 v16, v16, 3, v10
	v_min_u32_e32 v26, v66, v26
	ds_read_b64 v[20:21], v17 offset:2048
	ds_read_b64 v[16:17], v16 offset:2048
	v_add_u32_e32 v26, v11, v26
	ds_read_b64 v[34:35], v35 offset:2048
	ds_read_u8 v67, v26
	v_cndmask_b32_e64 v26, v15, v14, s[8:9]
	v_cndmask_b32_e64 v15, v65, v66, s[30:31]
	;; [unrolled: 1-line block ×4, first 2 shown]
	s_waitcnt lgkmcnt(0)
	v_cndmask_b32_e64 v29, v67, v54, s[30:31]
	v_cndmask_b32_e64 v67, v55, v67, s[30:31]
	;; [unrolled: 1-line block ×3, first 2 shown]
	v_cmp_lt_u32_e64 s[12:13], v15, v36
	v_cmp_le_u16_sdwa s[20:21], v67, v29 src0_sel:BYTE_0 src1_sel:BYTE_0
	v_cmp_ge_u32_e64 s[8:9], v14, v37
	s_and_b64 s[12:13], s[20:21], s[12:13]
	s_or_b64 s[8:9], s[8:9], s[12:13]
	v_cndmask_b32_e64 v14, v14, v15, s[8:9]
	v_lshl_add_u32 v14, v14, 3, v10
	ds_read_b64 v[14:15], v14 offset:2048
	v_cndmask_b32_e64 v27, v50, v51, s[24:25]
	v_cndmask_b32_e64 v49, v52, v53, s[28:29]
	v_cndmask_b32_e64 v48, v54, v55, s[30:31]
	v_cndmask_b32_e64 v29, v29, v67, s[8:9]
.LBB1645_186:
	s_or_b64 exec, exec, s[38:39]
	v_add_u32_e32 v36, 0x800, v31
	; wave barrier
	ds_write2_b64 v36, v[4:5], v[18:19] offset1:1
	ds_write2_b64 v13, v[32:33], v[22:23] offset0:2 offset1:3
	ds_write2_b64 v13, v[20:21], v[16:17] offset0:4 offset1:5
	v_lshlrev_b16_e32 v36, 8, v49
	v_lshlrev_b16_e32 v37, 8, v29
	v_or_b32_sdwa v36, v27, v36 dst_sel:DWORD dst_unused:UNUSED_PAD src0_sel:BYTE_0 src1_sel:DWORD
	v_or_b32_sdwa v37, v48, v37 dst_sel:WORD_1 dst_unused:UNUSED_PAD src0_sel:BYTE_0 src1_sel:DWORD
	v_or_b32_sdwa v37, v36, v37 dst_sel:DWORD dst_unused:UNUSED_PAD src0_sel:WORD_0 src1_sel:DWORD
	v_lshlrev_b16_e32 v36, 8, v38
	v_lshlrev_b16_e32 v50, 8, v28
	v_or_b32_sdwa v36, v26, v36 dst_sel:DWORD dst_unused:UNUSED_PAD src0_sel:BYTE_0 src1_sel:DWORD
	v_or_b32_sdwa v50, v39, v50 dst_sel:WORD_1 dst_unused:UNUSED_PAD src0_sel:BYTE_0 src1_sel:DWORD
	v_or_b32_sdwa v36, v36, v50 dst_sel:DWORD dst_unused:UNUSED_PAD src0_sel:WORD_0 src1_sel:DWORD
	v_and_b32_e32 v50, 0x3e0, v1
	ds_write_b64 v30, v[36:37]
	s_waitcnt lgkmcnt(4)
	ds_write2_b64 v13, v[34:35], v[14:15] offset0:6 offset1:7
	v_or_b32_e32 v36, 16, v50
	v_min_u32_e32 v36, v12, v36
	v_add_u32_e32 v37, 16, v36
	v_min_u32_e32 v37, v12, v37
	v_and_b32_e32 v51, 24, v1
	v_min_u32_e32 v51, v12, v51
	v_sub_u32_e32 v53, v36, v50
	v_sub_u32_e32 v52, v37, v36
	v_sub_u32_e64 v52, v51, v52 clamp
	v_min_u32_e32 v53, v51, v53
	v_cmp_lt_u32_e64 s[8:9], v52, v53
	; wave barrier
	s_and_saveexec_b64 s[12:13], s[8:9]
	s_cbranch_execz .LBB1645_190
; %bb.187:
	v_add_u32_e32 v54, v11, v50
	v_add3_u32 v55, v11, v36, v51
	s_mov_b64 s[20:21], 0
.LBB1645_188:                           ; =>This Inner Loop Header: Depth=1
	v_add_u32_e32 v64, v53, v52
	v_lshrrev_b32_e32 v64, 1, v64
	v_add_u32_e32 v65, v54, v64
	v_xad_u32 v66, v64, -1, v55
	ds_read_u8 v65, v65
	ds_read_u8 v66, v66
	v_add_u32_e32 v67, 1, v64
	s_waitcnt lgkmcnt(0)
	v_cmp_gt_u16_e64 s[8:9], v65, v66
	v_cndmask_b32_e64 v53, v53, v64, s[8:9]
	v_cndmask_b32_e64 v52, v67, v52, s[8:9]
	v_cmp_ge_u32_e64 s[8:9], v52, v53
	s_or_b64 s[20:21], s[8:9], s[20:21]
	s_andn2_b64 exec, exec, s[20:21]
	s_cbranch_execnz .LBB1645_188
; %bb.189:
	s_or_b64 exec, exec, s[20:21]
.LBB1645_190:
	s_or_b64 exec, exec, s[12:13]
	v_add_u32_e32 v51, v36, v51
	v_add_u32_e32 v50, v52, v50
	v_sub_u32_e32 v51, v51, v52
	v_cmp_le_u32_e64 s[8:9], v50, v36
	v_cmp_le_u32_e64 s[12:13], v51, v37
	s_or_b64 s[8:9], s[8:9], s[12:13]
	s_and_saveexec_b64 s[38:39], s[8:9]
	s_cbranch_execz .LBB1645_196
; %bb.191:
	v_cmp_lt_u32_e64 s[8:9], v50, v36
                                        ; implicit-def: $vgpr14
	s_and_saveexec_b64 s[12:13], s[8:9]
	s_cbranch_execz .LBB1645_193
; %bb.192:
	v_add_u32_e32 v4, v11, v50
	ds_read_u8 v14, v4
.LBB1645_193:
	s_or_b64 exec, exec, s[12:13]
	v_cmp_ge_u32_e64 s[20:21], v51, v37
	v_cmp_lt_u32_e64 s[12:13], v51, v37
                                        ; implicit-def: $vgpr15
	s_and_saveexec_b64 s[22:23], s[12:13]
	s_cbranch_execz .LBB1645_195
; %bb.194:
	v_add_u32_e32 v4, v11, v51
	ds_read_u8 v15, v4
.LBB1645_195:
	s_or_b64 exec, exec, s[22:23]
	s_waitcnt lgkmcnt(0)
	v_cmp_le_u16_sdwa s[12:13], v14, v15 src0_sel:BYTE_0 src1_sel:BYTE_0
	s_and_b64 s[8:9], s[8:9], s[12:13]
	s_or_b64 s[8:9], s[20:21], s[8:9]
	v_cndmask_b32_e64 v4, v51, v50, s[8:9]
	v_cndmask_b32_e64 v5, v37, v36, s[8:9]
	v_add_u32_e32 v16, 1, v4
	v_add_u32_e32 v5, -1, v5
	v_min_u32_e32 v5, v16, v5
	v_add_u32_e32 v5, v11, v5
	ds_read_u8 v5, v5
	v_cndmask_b32_e64 v17, v16, v51, s[8:9]
	v_cmp_ge_u32_e64 s[12:13], v17, v37
	v_lshl_add_u32 v4, v4, 3, v10
	s_waitcnt lgkmcnt(0)
	v_cndmask_b32_e64 v27, v5, v15, s[8:9]
	v_cndmask_b32_e64 v28, v14, v5, s[8:9]
	;; [unrolled: 1-line block ×3, first 2 shown]
	v_cmp_lt_u32_e64 s[20:21], v5, v36
	v_cmp_le_u16_sdwa s[22:23], v28, v27 src0_sel:BYTE_0 src1_sel:BYTE_0
	s_and_b64 s[20:21], s[22:23], s[20:21]
	s_or_b64 s[20:21], s[12:13], s[20:21]
	v_cndmask_b32_e64 v16, v17, v5, s[20:21]
	v_cndmask_b32_e64 v18, v37, v36, s[20:21]
	v_add_u32_e32 v19, 1, v16
	v_add_u32_e32 v18, -1, v18
	v_min_u32_e32 v18, v19, v18
	v_add_u32_e32 v18, v11, v18
	ds_read_u8 v18, v18
	v_cndmask_b32_e64 v5, v5, v19, s[20:21]
	v_cndmask_b32_e64 v17, v19, v17, s[20:21]
	v_cmp_lt_u32_e64 s[22:23], v5, v36
	v_cmp_ge_u32_e64 s[12:13], v17, v37
	s_waitcnt lgkmcnt(0)
	v_cndmask_b32_e64 v29, v18, v27, s[20:21]
	v_cndmask_b32_e64 v39, v28, v18, s[20:21]
	v_cmp_le_u16_sdwa s[24:25], v39, v29 src0_sel:BYTE_0 src1_sel:BYTE_0
	s_and_b64 s[22:23], s[24:25], s[22:23]
	s_or_b64 s[22:23], s[12:13], s[22:23]
	v_cndmask_b32_e64 v20, v17, v5, s[22:23]
	v_cndmask_b32_e64 v18, v37, v36, s[22:23]
	v_add_u32_e32 v19, 1, v20
	v_add_u32_e32 v18, -1, v18
	v_min_u32_e32 v18, v19, v18
	v_add_u32_e32 v18, v11, v18
	ds_read_u8 v18, v18
	v_cndmask_b32_e64 v21, v5, v19, s[22:23]
	v_cndmask_b32_e64 v17, v19, v17, s[22:23]
	v_cmp_lt_u32_e64 s[24:25], v21, v36
	v_cmp_ge_u32_e64 s[12:13], v17, v37
	s_waitcnt lgkmcnt(0)
	v_cndmask_b32_e64 v48, v18, v29, s[22:23]
	v_cndmask_b32_e64 v49, v39, v18, s[22:23]
	v_cmp_le_u16_sdwa s[28:29], v49, v48 src0_sel:BYTE_0 src1_sel:BYTE_0
	s_and_b64 s[24:25], s[28:29], s[24:25]
	s_or_b64 s[12:13], s[12:13], s[24:25]
	v_cndmask_b32_e64 v22, v17, v21, s[12:13]
	v_cndmask_b32_e64 v5, v37, v36, s[12:13]
	v_add_u32_e32 v23, 1, v22
	v_add_u32_e32 v5, -1, v5
	v_min_u32_e32 v5, v23, v5
	v_add_u32_e32 v5, v11, v5
	ds_read_u8 v26, v5
	v_lshl_add_u32 v16, v16, 3, v10
	v_lshl_add_u32 v20, v20, 3, v10
	ds_read_b64 v[32:33], v20 offset:2048
	ds_read_b64 v[4:5], v4 offset:2048
	;; [unrolled: 1-line block ×3, first 2 shown]
	s_waitcnt lgkmcnt(3)
	v_cndmask_b32_e64 v50, v26, v48, s[12:13]
	v_cndmask_b32_e64 v51, v49, v26, s[12:13]
	;; [unrolled: 1-line block ×4, first 2 shown]
	v_cmp_lt_u32_e64 s[28:29], v17, v36
	v_cmp_le_u16_sdwa s[30:31], v51, v50 src0_sel:BYTE_0 src1_sel:BYTE_0
	v_cmp_ge_u32_e64 s[24:25], v16, v37
	s_and_b64 s[28:29], s[30:31], s[28:29]
	s_or_b64 s[24:25], s[24:25], s[28:29]
	v_cndmask_b32_e64 v21, v16, v17, s[24:25]
	v_cndmask_b32_e64 v23, v37, v36, s[24:25]
	v_add_u32_e32 v26, 1, v21
	v_add_u32_e32 v23, -1, v23
	v_min_u32_e32 v23, v26, v23
	v_add_u32_e32 v23, v11, v23
	ds_read_u8 v34, v23
	v_lshl_add_u32 v20, v22, 3, v10
	ds_read_b64 v[22:23], v20 offset:2048
	v_cndmask_b32_e64 v39, v29, v39, s[22:23]
	s_waitcnt lgkmcnt(1)
	v_cndmask_b32_e64 v52, v34, v50, s[24:25]
	v_cndmask_b32_e64 v53, v51, v34, s[24:25]
	;; [unrolled: 1-line block ×4, first 2 shown]
	v_cmp_lt_u32_e64 s[30:31], v26, v36
	v_cmp_le_u16_sdwa s[34:35], v53, v52 src0_sel:BYTE_0 src1_sel:BYTE_0
	v_cmp_ge_u32_e64 s[28:29], v34, v37
	s_and_b64 s[30:31], s[34:35], s[30:31]
	s_or_b64 s[28:29], s[28:29], s[30:31]
	v_cndmask_b32_e64 v16, v34, v26, s[28:29]
	v_cndmask_b32_e64 v17, v37, v36, s[28:29]
	v_add_u32_e32 v35, 1, v16
	v_add_u32_e32 v17, -1, v17
	v_min_u32_e32 v17, v35, v17
	v_add_u32_e32 v17, v11, v17
	ds_read_u8 v38, v17
	v_cndmask_b32_e64 v65, v26, v35, s[28:29]
	v_cndmask_b32_e64 v64, v35, v34, s[28:29]
	v_cmp_lt_u32_e64 s[34:35], v65, v36
	v_cmp_ge_u32_e64 s[30:31], v64, v37
	s_waitcnt lgkmcnt(0)
	v_cndmask_b32_e64 v54, v38, v52, s[28:29]
	v_cndmask_b32_e64 v55, v53, v38, s[28:29]
	v_cmp_le_u16_sdwa s[40:41], v55, v54 src0_sel:BYTE_0 src1_sel:BYTE_0
	s_and_b64 s[34:35], s[40:41], s[34:35]
	s_or_b64 s[30:31], s[30:31], s[34:35]
	v_cndmask_b32_e64 v26, v64, v65, s[30:31]
	v_cndmask_b32_e64 v34, v37, v36, s[30:31]
	v_lshl_add_u32 v35, v26, 3, v10
	v_add_u32_e32 v66, 1, v26
	v_add_u32_e32 v26, -1, v34
	v_lshl_add_u32 v17, v21, 3, v10
	v_lshl_add_u32 v16, v16, 3, v10
	v_min_u32_e32 v26, v66, v26
	ds_read_b64 v[20:21], v17 offset:2048
	ds_read_b64 v[16:17], v16 offset:2048
	v_add_u32_e32 v26, v11, v26
	ds_read_b64 v[34:35], v35 offset:2048
	ds_read_u8 v67, v26
	v_cndmask_b32_e64 v26, v15, v14, s[8:9]
	v_cndmask_b32_e64 v15, v65, v66, s[30:31]
	;; [unrolled: 1-line block ×4, first 2 shown]
	s_waitcnt lgkmcnt(0)
	v_cndmask_b32_e64 v29, v67, v54, s[30:31]
	v_cndmask_b32_e64 v67, v55, v67, s[30:31]
	;; [unrolled: 1-line block ×3, first 2 shown]
	v_cmp_lt_u32_e64 s[12:13], v15, v36
	v_cmp_le_u16_sdwa s[20:21], v67, v29 src0_sel:BYTE_0 src1_sel:BYTE_0
	v_cmp_ge_u32_e64 s[8:9], v14, v37
	s_and_b64 s[12:13], s[20:21], s[12:13]
	s_or_b64 s[8:9], s[8:9], s[12:13]
	v_cndmask_b32_e64 v14, v14, v15, s[8:9]
	v_lshl_add_u32 v14, v14, 3, v10
	ds_read_b64 v[14:15], v14 offset:2048
	v_cndmask_b32_e64 v27, v50, v51, s[24:25]
	v_cndmask_b32_e64 v49, v52, v53, s[28:29]
	;; [unrolled: 1-line block ×4, first 2 shown]
.LBB1645_196:
	s_or_b64 exec, exec, s[38:39]
	v_add_u32_e32 v36, 0x800, v31
	; wave barrier
	ds_write2_b64 v36, v[4:5], v[18:19] offset1:1
	ds_write2_b64 v13, v[32:33], v[22:23] offset0:2 offset1:3
	ds_write2_b64 v13, v[20:21], v[16:17] offset0:4 offset1:5
	v_lshlrev_b16_e32 v36, 8, v49
	v_lshlrev_b16_e32 v37, 8, v29
	v_or_b32_sdwa v36, v27, v36 dst_sel:DWORD dst_unused:UNUSED_PAD src0_sel:BYTE_0 src1_sel:DWORD
	v_or_b32_sdwa v37, v48, v37 dst_sel:WORD_1 dst_unused:UNUSED_PAD src0_sel:BYTE_0 src1_sel:DWORD
	v_or_b32_sdwa v37, v36, v37 dst_sel:DWORD dst_unused:UNUSED_PAD src0_sel:WORD_0 src1_sel:DWORD
	v_lshlrev_b16_e32 v36, 8, v38
	v_lshlrev_b16_e32 v50, 8, v28
	v_or_b32_sdwa v36, v26, v36 dst_sel:DWORD dst_unused:UNUSED_PAD src0_sel:BYTE_0 src1_sel:DWORD
	v_or_b32_sdwa v50, v39, v50 dst_sel:WORD_1 dst_unused:UNUSED_PAD src0_sel:BYTE_0 src1_sel:DWORD
	v_or_b32_sdwa v36, v36, v50 dst_sel:DWORD dst_unused:UNUSED_PAD src0_sel:WORD_0 src1_sel:DWORD
	v_and_b32_e32 v50, 0x3c0, v1
	ds_write_b64 v30, v[36:37]
	s_waitcnt lgkmcnt(4)
	ds_write2_b64 v13, v[34:35], v[14:15] offset0:6 offset1:7
	v_or_b32_e32 v36, 32, v50
	v_min_u32_e32 v36, v12, v36
	v_add_u32_e32 v37, 32, v36
	v_min_u32_e32 v37, v12, v37
	v_and_b32_e32 v51, 56, v1
	v_min_u32_e32 v51, v12, v51
	v_sub_u32_e32 v53, v36, v50
	v_sub_u32_e32 v52, v37, v36
	v_sub_u32_e64 v52, v51, v52 clamp
	v_min_u32_e32 v53, v51, v53
	v_cmp_lt_u32_e64 s[8:9], v52, v53
	; wave barrier
	s_and_saveexec_b64 s[12:13], s[8:9]
	s_cbranch_execz .LBB1645_200
; %bb.197:
	v_add_u32_e32 v54, v11, v50
	v_add3_u32 v55, v11, v36, v51
	s_mov_b64 s[20:21], 0
.LBB1645_198:                           ; =>This Inner Loop Header: Depth=1
	v_add_u32_e32 v64, v53, v52
	v_lshrrev_b32_e32 v64, 1, v64
	v_add_u32_e32 v65, v54, v64
	v_xad_u32 v66, v64, -1, v55
	ds_read_u8 v65, v65
	ds_read_u8 v66, v66
	v_add_u32_e32 v67, 1, v64
	s_waitcnt lgkmcnt(0)
	v_cmp_gt_u16_e64 s[8:9], v65, v66
	v_cndmask_b32_e64 v53, v53, v64, s[8:9]
	v_cndmask_b32_e64 v52, v67, v52, s[8:9]
	v_cmp_ge_u32_e64 s[8:9], v52, v53
	s_or_b64 s[20:21], s[8:9], s[20:21]
	s_andn2_b64 exec, exec, s[20:21]
	s_cbranch_execnz .LBB1645_198
; %bb.199:
	s_or_b64 exec, exec, s[20:21]
.LBB1645_200:
	s_or_b64 exec, exec, s[12:13]
	v_add_u32_e32 v51, v36, v51
	v_add_u32_e32 v50, v52, v50
	v_sub_u32_e32 v51, v51, v52
	v_cmp_le_u32_e64 s[8:9], v50, v36
	v_cmp_le_u32_e64 s[12:13], v51, v37
	s_or_b64 s[8:9], s[8:9], s[12:13]
	s_and_saveexec_b64 s[38:39], s[8:9]
	s_cbranch_execz .LBB1645_206
; %bb.201:
	v_cmp_lt_u32_e64 s[8:9], v50, v36
                                        ; implicit-def: $vgpr14
	s_and_saveexec_b64 s[12:13], s[8:9]
	s_cbranch_execz .LBB1645_203
; %bb.202:
	v_add_u32_e32 v4, v11, v50
	ds_read_u8 v14, v4
.LBB1645_203:
	s_or_b64 exec, exec, s[12:13]
	v_cmp_ge_u32_e64 s[20:21], v51, v37
	v_cmp_lt_u32_e64 s[12:13], v51, v37
                                        ; implicit-def: $vgpr15
	s_and_saveexec_b64 s[22:23], s[12:13]
	s_cbranch_execz .LBB1645_205
; %bb.204:
	v_add_u32_e32 v4, v11, v51
	ds_read_u8 v15, v4
.LBB1645_205:
	s_or_b64 exec, exec, s[22:23]
	s_waitcnt lgkmcnt(0)
	v_cmp_le_u16_sdwa s[12:13], v14, v15 src0_sel:BYTE_0 src1_sel:BYTE_0
	s_and_b64 s[8:9], s[8:9], s[12:13]
	s_or_b64 s[8:9], s[20:21], s[8:9]
	v_cndmask_b32_e64 v4, v51, v50, s[8:9]
	v_cndmask_b32_e64 v5, v37, v36, s[8:9]
	v_add_u32_e32 v16, 1, v4
	v_add_u32_e32 v5, -1, v5
	v_min_u32_e32 v5, v16, v5
	v_add_u32_e32 v5, v11, v5
	ds_read_u8 v5, v5
	v_cndmask_b32_e64 v17, v16, v51, s[8:9]
	v_cmp_ge_u32_e64 s[12:13], v17, v37
	v_lshl_add_u32 v4, v4, 3, v10
	s_waitcnt lgkmcnt(0)
	v_cndmask_b32_e64 v27, v5, v15, s[8:9]
	v_cndmask_b32_e64 v28, v14, v5, s[8:9]
	;; [unrolled: 1-line block ×3, first 2 shown]
	v_cmp_lt_u32_e64 s[20:21], v5, v36
	v_cmp_le_u16_sdwa s[22:23], v28, v27 src0_sel:BYTE_0 src1_sel:BYTE_0
	s_and_b64 s[20:21], s[22:23], s[20:21]
	s_or_b64 s[20:21], s[12:13], s[20:21]
	v_cndmask_b32_e64 v16, v17, v5, s[20:21]
	v_cndmask_b32_e64 v18, v37, v36, s[20:21]
	v_add_u32_e32 v19, 1, v16
	v_add_u32_e32 v18, -1, v18
	v_min_u32_e32 v18, v19, v18
	v_add_u32_e32 v18, v11, v18
	ds_read_u8 v18, v18
	v_cndmask_b32_e64 v5, v5, v19, s[20:21]
	v_cndmask_b32_e64 v17, v19, v17, s[20:21]
	v_cmp_lt_u32_e64 s[22:23], v5, v36
	v_cmp_ge_u32_e64 s[12:13], v17, v37
	s_waitcnt lgkmcnt(0)
	v_cndmask_b32_e64 v29, v18, v27, s[20:21]
	v_cndmask_b32_e64 v39, v28, v18, s[20:21]
	v_cmp_le_u16_sdwa s[24:25], v39, v29 src0_sel:BYTE_0 src1_sel:BYTE_0
	s_and_b64 s[22:23], s[24:25], s[22:23]
	s_or_b64 s[22:23], s[12:13], s[22:23]
	v_cndmask_b32_e64 v20, v17, v5, s[22:23]
	v_cndmask_b32_e64 v18, v37, v36, s[22:23]
	v_add_u32_e32 v19, 1, v20
	v_add_u32_e32 v18, -1, v18
	v_min_u32_e32 v18, v19, v18
	v_add_u32_e32 v18, v11, v18
	ds_read_u8 v18, v18
	v_cndmask_b32_e64 v21, v5, v19, s[22:23]
	v_cndmask_b32_e64 v17, v19, v17, s[22:23]
	v_cmp_lt_u32_e64 s[24:25], v21, v36
	v_cmp_ge_u32_e64 s[12:13], v17, v37
	s_waitcnt lgkmcnt(0)
	v_cndmask_b32_e64 v48, v18, v29, s[22:23]
	v_cndmask_b32_e64 v49, v39, v18, s[22:23]
	v_cmp_le_u16_sdwa s[28:29], v49, v48 src0_sel:BYTE_0 src1_sel:BYTE_0
	s_and_b64 s[24:25], s[28:29], s[24:25]
	s_or_b64 s[12:13], s[12:13], s[24:25]
	v_cndmask_b32_e64 v22, v17, v21, s[12:13]
	v_cndmask_b32_e64 v5, v37, v36, s[12:13]
	v_add_u32_e32 v23, 1, v22
	v_add_u32_e32 v5, -1, v5
	v_min_u32_e32 v5, v23, v5
	v_add_u32_e32 v5, v11, v5
	ds_read_u8 v26, v5
	v_lshl_add_u32 v16, v16, 3, v10
	v_lshl_add_u32 v20, v20, 3, v10
	ds_read_b64 v[32:33], v20 offset:2048
	ds_read_b64 v[4:5], v4 offset:2048
	;; [unrolled: 1-line block ×3, first 2 shown]
	s_waitcnt lgkmcnt(3)
	v_cndmask_b32_e64 v50, v26, v48, s[12:13]
	v_cndmask_b32_e64 v51, v49, v26, s[12:13]
	;; [unrolled: 1-line block ×4, first 2 shown]
	v_cmp_lt_u32_e64 s[28:29], v17, v36
	v_cmp_le_u16_sdwa s[30:31], v51, v50 src0_sel:BYTE_0 src1_sel:BYTE_0
	v_cmp_ge_u32_e64 s[24:25], v16, v37
	s_and_b64 s[28:29], s[30:31], s[28:29]
	s_or_b64 s[24:25], s[24:25], s[28:29]
	v_cndmask_b32_e64 v21, v16, v17, s[24:25]
	v_cndmask_b32_e64 v23, v37, v36, s[24:25]
	v_add_u32_e32 v26, 1, v21
	v_add_u32_e32 v23, -1, v23
	v_min_u32_e32 v23, v26, v23
	v_add_u32_e32 v23, v11, v23
	ds_read_u8 v34, v23
	v_lshl_add_u32 v20, v22, 3, v10
	ds_read_b64 v[22:23], v20 offset:2048
	v_cndmask_b32_e64 v39, v29, v39, s[22:23]
	s_waitcnt lgkmcnt(1)
	v_cndmask_b32_e64 v52, v34, v50, s[24:25]
	v_cndmask_b32_e64 v53, v51, v34, s[24:25]
	;; [unrolled: 1-line block ×4, first 2 shown]
	v_cmp_lt_u32_e64 s[30:31], v26, v36
	v_cmp_le_u16_sdwa s[34:35], v53, v52 src0_sel:BYTE_0 src1_sel:BYTE_0
	v_cmp_ge_u32_e64 s[28:29], v34, v37
	s_and_b64 s[30:31], s[34:35], s[30:31]
	s_or_b64 s[28:29], s[28:29], s[30:31]
	v_cndmask_b32_e64 v16, v34, v26, s[28:29]
	v_cndmask_b32_e64 v17, v37, v36, s[28:29]
	v_add_u32_e32 v35, 1, v16
	v_add_u32_e32 v17, -1, v17
	v_min_u32_e32 v17, v35, v17
	v_add_u32_e32 v17, v11, v17
	ds_read_u8 v38, v17
	v_cndmask_b32_e64 v65, v26, v35, s[28:29]
	v_cndmask_b32_e64 v64, v35, v34, s[28:29]
	v_cmp_lt_u32_e64 s[34:35], v65, v36
	v_cmp_ge_u32_e64 s[30:31], v64, v37
	s_waitcnt lgkmcnt(0)
	v_cndmask_b32_e64 v54, v38, v52, s[28:29]
	v_cndmask_b32_e64 v55, v53, v38, s[28:29]
	v_cmp_le_u16_sdwa s[40:41], v55, v54 src0_sel:BYTE_0 src1_sel:BYTE_0
	s_and_b64 s[34:35], s[40:41], s[34:35]
	s_or_b64 s[30:31], s[30:31], s[34:35]
	v_cndmask_b32_e64 v26, v64, v65, s[30:31]
	v_cndmask_b32_e64 v34, v37, v36, s[30:31]
	v_lshl_add_u32 v35, v26, 3, v10
	v_add_u32_e32 v66, 1, v26
	v_add_u32_e32 v26, -1, v34
	v_lshl_add_u32 v17, v21, 3, v10
	v_lshl_add_u32 v16, v16, 3, v10
	v_min_u32_e32 v26, v66, v26
	ds_read_b64 v[20:21], v17 offset:2048
	ds_read_b64 v[16:17], v16 offset:2048
	v_add_u32_e32 v26, v11, v26
	ds_read_b64 v[34:35], v35 offset:2048
	ds_read_u8 v67, v26
	v_cndmask_b32_e64 v26, v15, v14, s[8:9]
	v_cndmask_b32_e64 v15, v65, v66, s[30:31]
	;; [unrolled: 1-line block ×4, first 2 shown]
	s_waitcnt lgkmcnt(0)
	v_cndmask_b32_e64 v29, v67, v54, s[30:31]
	v_cndmask_b32_e64 v67, v55, v67, s[30:31]
	;; [unrolled: 1-line block ×3, first 2 shown]
	v_cmp_lt_u32_e64 s[12:13], v15, v36
	v_cmp_le_u16_sdwa s[20:21], v67, v29 src0_sel:BYTE_0 src1_sel:BYTE_0
	v_cmp_ge_u32_e64 s[8:9], v14, v37
	s_and_b64 s[12:13], s[20:21], s[12:13]
	s_or_b64 s[8:9], s[8:9], s[12:13]
	v_cndmask_b32_e64 v14, v14, v15, s[8:9]
	v_lshl_add_u32 v14, v14, 3, v10
	ds_read_b64 v[14:15], v14 offset:2048
	v_cndmask_b32_e64 v27, v50, v51, s[24:25]
	v_cndmask_b32_e64 v49, v52, v53, s[28:29]
	;; [unrolled: 1-line block ×4, first 2 shown]
.LBB1645_206:
	s_or_b64 exec, exec, s[38:39]
	v_add_u32_e32 v31, 0x800, v31
	; wave barrier
	ds_write2_b64 v31, v[4:5], v[18:19] offset1:1
	ds_write2_b64 v13, v[32:33], v[22:23] offset0:2 offset1:3
	ds_write2_b64 v13, v[20:21], v[16:17] offset0:4 offset1:5
	v_lshlrev_b16_e32 v31, 8, v49
	v_lshlrev_b16_e32 v36, 8, v29
	v_or_b32_sdwa v31, v27, v31 dst_sel:DWORD dst_unused:UNUSED_PAD src0_sel:BYTE_0 src1_sel:DWORD
	v_or_b32_sdwa v36, v48, v36 dst_sel:WORD_1 dst_unused:UNUSED_PAD src0_sel:BYTE_0 src1_sel:DWORD
	v_or_b32_sdwa v37, v31, v36 dst_sel:DWORD dst_unused:UNUSED_PAD src0_sel:WORD_0 src1_sel:DWORD
	v_lshlrev_b16_e32 v31, 8, v38
	v_lshlrev_b16_e32 v36, 8, v28
	v_or_b32_sdwa v31, v26, v31 dst_sel:DWORD dst_unused:UNUSED_PAD src0_sel:BYTE_0 src1_sel:DWORD
	v_or_b32_sdwa v36, v39, v36 dst_sel:WORD_1 dst_unused:UNUSED_PAD src0_sel:BYTE_0 src1_sel:DWORD
	v_or_b32_sdwa v36, v31, v36 dst_sel:DWORD dst_unused:UNUSED_PAD src0_sel:WORD_0 src1_sel:DWORD
	ds_write_b64 v30, v[36:37]
	s_waitcnt lgkmcnt(4)
	ds_write2_b64 v13, v[34:35], v[14:15] offset0:6 offset1:7
	v_and_b32_e32 v30, 0x380, v1
	v_or_b32_e32 v1, 64, v30
	v_min_u32_e32 v1, v12, v1
	v_add_u32_e32 v13, 64, v1
	v_min_u32_e32 v13, v12, v13
	v_min_u32_e32 v12, v12, v0
	v_sub_u32_e32 v36, v1, v30
	v_sub_u32_e32 v31, v13, v1
	v_sub_u32_e64 v31, v12, v31 clamp
	v_min_u32_e32 v36, v12, v36
	v_cmp_lt_u32_e64 s[8:9], v31, v36
	; wave barrier
	s_and_saveexec_b64 s[12:13], s[8:9]
	s_cbranch_execz .LBB1645_210
; %bb.207:
	v_add_u32_e32 v37, v11, v30
	v_add3_u32 v50, v11, v1, v12
	s_mov_b64 s[20:21], 0
.LBB1645_208:                           ; =>This Inner Loop Header: Depth=1
	v_add_u32_e32 v51, v36, v31
	v_lshrrev_b32_e32 v51, 1, v51
	v_add_u32_e32 v52, v37, v51
	v_xad_u32 v53, v51, -1, v50
	ds_read_u8 v52, v52
	ds_read_u8 v53, v53
	v_add_u32_e32 v54, 1, v51
	s_waitcnt lgkmcnt(0)
	v_cmp_gt_u16_e64 s[8:9], v52, v53
	v_cndmask_b32_e64 v36, v36, v51, s[8:9]
	v_cndmask_b32_e64 v31, v54, v31, s[8:9]
	v_cmp_ge_u32_e64 s[8:9], v31, v36
	s_or_b64 s[20:21], s[8:9], s[20:21]
	s_andn2_b64 exec, exec, s[20:21]
	s_cbranch_execnz .LBB1645_208
; %bb.209:
	s_or_b64 exec, exec, s[20:21]
.LBB1645_210:
	s_or_b64 exec, exec, s[12:13]
	v_add_u32_e32 v12, v1, v12
	v_add_u32_e32 v30, v31, v30
	v_sub_u32_e32 v31, v12, v31
	v_cmp_le_u32_e64 s[8:9], v30, v1
	v_cmp_le_u32_e64 s[12:13], v31, v13
	s_or_b64 s[8:9], s[8:9], s[12:13]
	s_and_saveexec_b64 s[38:39], s[8:9]
	s_cbranch_execz .LBB1645_216
; %bb.211:
	v_cmp_lt_u32_e64 s[8:9], v30, v1
                                        ; implicit-def: $vgpr12
	s_and_saveexec_b64 s[12:13], s[8:9]
	s_cbranch_execz .LBB1645_213
; %bb.212:
	v_add_u32_e32 v4, v11, v30
	ds_read_u8 v12, v4
.LBB1645_213:
	s_or_b64 exec, exec, s[12:13]
	v_cmp_ge_u32_e64 s[20:21], v31, v13
	v_cmp_lt_u32_e64 s[12:13], v31, v13
                                        ; implicit-def: $vgpr14
	s_and_saveexec_b64 s[22:23], s[12:13]
	s_cbranch_execz .LBB1645_215
; %bb.214:
	v_add_u32_e32 v4, v11, v31
	ds_read_u8 v14, v4
.LBB1645_215:
	s_or_b64 exec, exec, s[22:23]
	s_waitcnt lgkmcnt(0)
	v_cmp_le_u16_sdwa s[12:13], v12, v14 src0_sel:BYTE_0 src1_sel:BYTE_0
	s_and_b64 s[8:9], s[8:9], s[12:13]
	s_or_b64 s[8:9], s[20:21], s[8:9]
	v_cndmask_b32_e64 v4, v31, v30, s[8:9]
	v_cndmask_b32_e64 v5, v13, v1, s[8:9]
	v_add_u32_e32 v15, 1, v4
	v_add_u32_e32 v5, -1, v5
	v_min_u32_e32 v5, v15, v5
	v_add_u32_e32 v5, v11, v5
	ds_read_u8 v5, v5
	v_cndmask_b32_e64 v16, v15, v31, s[8:9]
	v_cmp_ge_u32_e64 s[12:13], v16, v13
	v_lshl_add_u32 v4, v4, 3, v10
	s_waitcnt lgkmcnt(0)
	v_cndmask_b32_e64 v27, v5, v14, s[8:9]
	v_cndmask_b32_e64 v28, v12, v5, s[8:9]
	;; [unrolled: 1-line block ×3, first 2 shown]
	v_cmp_lt_u32_e64 s[20:21], v5, v1
	v_cmp_le_u16_sdwa s[22:23], v28, v27 src0_sel:BYTE_0 src1_sel:BYTE_0
	s_and_b64 s[20:21], s[22:23], s[20:21]
	s_or_b64 s[20:21], s[12:13], s[20:21]
	v_cndmask_b32_e64 v15, v16, v5, s[20:21]
	v_cndmask_b32_e64 v17, v13, v1, s[20:21]
	v_add_u32_e32 v18, 1, v15
	v_add_u32_e32 v17, -1, v17
	v_min_u32_e32 v17, v18, v17
	v_add_u32_e32 v17, v11, v17
	ds_read_u8 v17, v17
	v_cndmask_b32_e64 v5, v5, v18, s[20:21]
	v_cndmask_b32_e64 v16, v18, v16, s[20:21]
	v_cmp_lt_u32_e64 s[22:23], v5, v1
	v_cmp_ge_u32_e64 s[12:13], v16, v13
	s_waitcnt lgkmcnt(0)
	v_cndmask_b32_e64 v29, v17, v27, s[20:21]
	v_cndmask_b32_e64 v30, v28, v17, s[20:21]
	v_cmp_le_u16_sdwa s[24:25], v30, v29 src0_sel:BYTE_0 src1_sel:BYTE_0
	s_and_b64 s[22:23], s[24:25], s[22:23]
	s_or_b64 s[22:23], s[12:13], s[22:23]
	v_cndmask_b32_e64 v17, v16, v5, s[22:23]
	v_cndmask_b32_e64 v18, v13, v1, s[22:23]
	v_add_u32_e32 v19, 1, v17
	v_add_u32_e32 v18, -1, v18
	v_min_u32_e32 v18, v19, v18
	v_add_u32_e32 v18, v11, v18
	ds_read_u8 v18, v18
	v_cndmask_b32_e64 v20, v5, v19, s[22:23]
	v_cndmask_b32_e64 v16, v19, v16, s[22:23]
	v_cmp_lt_u32_e64 s[24:25], v20, v1
	v_cmp_ge_u32_e64 s[12:13], v16, v13
	s_waitcnt lgkmcnt(0)
	v_cndmask_b32_e64 v31, v18, v29, s[22:23]
	v_cndmask_b32_e64 v36, v30, v18, s[22:23]
	v_cmp_le_u16_sdwa s[28:29], v36, v31 src0_sel:BYTE_0 src1_sel:BYTE_0
	s_and_b64 s[24:25], s[28:29], s[24:25]
	s_or_b64 s[12:13], s[12:13], s[24:25]
	v_cndmask_b32_e64 v21, v16, v20, s[12:13]
	v_cndmask_b32_e64 v5, v13, v1, s[12:13]
	v_add_u32_e32 v22, 1, v21
	v_add_u32_e32 v5, -1, v5
	v_min_u32_e32 v5, v22, v5
	v_add_u32_e32 v5, v11, v5
	ds_read_u8 v23, v5
	v_lshl_add_u32 v15, v15, 3, v10
	v_lshl_add_u32 v17, v17, 3, v10
	ds_read_b64 v[32:33], v17 offset:2048
	ds_read_b64 v[4:5], v4 offset:2048
	ds_read_b64 v[18:19], v15 offset:2048
	s_waitcnt lgkmcnt(3)
	v_cndmask_b32_e64 v37, v23, v31, s[12:13]
	v_cndmask_b32_e64 v48, v36, v23, s[12:13]
	v_cndmask_b32_e64 v15, v22, v16, s[12:13]
	v_cndmask_b32_e64 v16, v20, v22, s[12:13]
	v_cmp_lt_u32_e64 s[28:29], v16, v1
	v_cmp_le_u16_sdwa s[30:31], v48, v37 src0_sel:BYTE_0 src1_sel:BYTE_0
	v_cmp_ge_u32_e64 s[24:25], v15, v13
	s_and_b64 s[28:29], s[30:31], s[28:29]
	s_or_b64 s[24:25], s[24:25], s[28:29]
	v_cndmask_b32_e64 v20, v15, v16, s[24:25]
	v_cndmask_b32_e64 v22, v13, v1, s[24:25]
	v_add_u32_e32 v26, 1, v20
	v_add_u32_e32 v22, -1, v22
	v_min_u32_e32 v22, v26, v22
	v_add_u32_e32 v22, v11, v22
	ds_read_u8 v34, v22
	v_cndmask_b32_e64 v15, v26, v15, s[24:25]
	v_cndmask_b32_e64 v26, v16, v26, s[24:25]
	v_cmp_lt_u32_e64 s[30:31], v26, v1
	v_cmp_ge_u32_e64 s[28:29], v15, v13
	s_waitcnt lgkmcnt(0)
	v_cndmask_b32_e64 v49, v34, v37, s[24:25]
	v_cndmask_b32_e64 v50, v48, v34, s[24:25]
	v_cmp_le_u16_sdwa s[34:35], v50, v49 src0_sel:BYTE_0 src1_sel:BYTE_0
	s_and_b64 s[30:31], s[34:35], s[30:31]
	v_lshl_add_u32 v17, v21, 3, v10
	s_or_b64 s[28:29], s[28:29], s[30:31]
	ds_read_b64 v[22:23], v17 offset:2048
	v_cndmask_b32_e64 v16, v15, v26, s[28:29]
	v_cndmask_b32_e64 v17, v13, v1, s[28:29]
	v_add_u32_e32 v34, 1, v16
	v_add_u32_e32 v17, -1, v17
	v_min_u32_e32 v17, v34, v17
	v_add_u32_e32 v17, v11, v17
	ds_read_u8 v35, v17
	v_cndmask_b32_e64 v53, v26, v34, s[28:29]
	v_cndmask_b32_e64 v15, v34, v15, s[28:29]
	v_cmp_lt_u32_e64 s[34:35], v53, v1
	v_cmp_ge_u32_e64 s[30:31], v15, v13
	s_waitcnt lgkmcnt(0)
	v_cndmask_b32_e64 v51, v35, v49, s[28:29]
	v_cndmask_b32_e64 v52, v50, v35, s[28:29]
	v_cmp_le_u16_sdwa s[40:41], v52, v51 src0_sel:BYTE_0 src1_sel:BYTE_0
	s_and_b64 s[34:35], s[40:41], s[34:35]
	s_or_b64 s[30:31], s[30:31], s[34:35]
	v_cndmask_b32_e64 v26, v15, v53, s[30:31]
	v_cndmask_b32_e64 v34, v13, v1, s[30:31]
	v_lshl_add_u32 v35, v26, 3, v10
	v_add_u32_e32 v54, 1, v26
	v_add_u32_e32 v26, -1, v34
	v_min_u32_e32 v26, v54, v26
	v_lshl_add_u32 v17, v20, 3, v10
	v_lshl_add_u32 v16, v16, 3, v10
	v_add_u32_e32 v11, v11, v26
	ds_read_b64 v[20:21], v17 offset:2048
	ds_read_b64 v[16:17], v16 offset:2048
	;; [unrolled: 1-line block ×3, first 2 shown]
	ds_read_u8 v11, v11
	v_cndmask_b32_e64 v26, v14, v12, s[8:9]
	v_cndmask_b32_e64 v14, v54, v15, s[30:31]
	v_cndmask_b32_e64 v15, v53, v54, s[30:31]
	v_cndmask_b32_e64 v38, v27, v28, s[20:21]
	s_waitcnt lgkmcnt(0)
	v_cndmask_b32_e64 v12, v11, v51, s[30:31]
	v_cndmask_b32_e64 v11, v52, v11, s[30:31]
	;; [unrolled: 1-line block ×3, first 2 shown]
	v_cmp_lt_u32_e64 s[12:13], v15, v1
	v_cmp_le_u16_sdwa s[20:21], v11, v12 src0_sel:BYTE_0 src1_sel:BYTE_0
	v_cmp_ge_u32_e64 s[8:9], v14, v13
	s_and_b64 s[12:13], s[20:21], s[12:13]
	s_or_b64 s[8:9], s[8:9], s[12:13]
	v_cndmask_b32_e64 v1, v14, v15, s[8:9]
	v_lshl_add_u32 v1, v1, 3, v10
	ds_read_b64 v[14:15], v1 offset:2048
	v_cndmask_b32_e64 v39, v29, v30, s[22:23]
	v_cndmask_b32_e64 v27, v37, v48, s[24:25]
	;; [unrolled: 1-line block ×5, first 2 shown]
.LBB1645_216:
	s_or_b64 exec, exec, s[38:39]
	; wave barrier
	s_waitcnt lgkmcnt(0)
	s_barrier
.LBB1645_217:
	s_or_b64 exec, exec, s[36:37]
	v_add_co_u32_e64 v1, s[8:9], v2, v8
	v_addc_co_u32_e64 v2, s[8:9], 0, v3, s[8:9]
	v_add_co_u32_e64 v0, s[8:9], v1, v0
	v_addc_co_u32_e64 v1, s[8:9], 0, v2, s[8:9]
	s_waitcnt lgkmcnt(0)
	; wave barrier
	s_and_saveexec_b64 s[8:9], vcc
	s_cbranch_execnz .LBB1645_243
; %bb.218:
	s_or_b64 exec, exec, s[8:9]
	s_and_saveexec_b64 s[8:9], s[4:5]
	s_cbranch_execnz .LBB1645_244
.LBB1645_219:
	s_or_b64 exec, exec, s[8:9]
	s_and_saveexec_b64 s[8:9], s[6:7]
	s_cbranch_execnz .LBB1645_245
.LBB1645_220:
	s_or_b64 exec, exec, s[8:9]
	s_and_saveexec_b64 s[8:9], s[18:19]
	s_cbranch_execnz .LBB1645_246
.LBB1645_221:
	s_or_b64 exec, exec, s[8:9]
	s_and_saveexec_b64 s[8:9], s[10:11]
	s_cbranch_execnz .LBB1645_247
.LBB1645_222:
	s_or_b64 exec, exec, s[8:9]
	s_and_saveexec_b64 s[8:9], s[26:27]
	s_cbranch_execnz .LBB1645_248
.LBB1645_223:
	s_or_b64 exec, exec, s[8:9]
	s_and_saveexec_b64 s[8:9], s[14:15]
	s_cbranch_execnz .LBB1645_249
.LBB1645_224:
	s_or_b64 exec, exec, s[8:9]
	s_and_saveexec_b64 s[8:9], s[16:17]
	s_cbranch_execz .LBB1645_226
.LBB1645_225:
	s_waitcnt vmcnt(0) lgkmcnt(0)
	flat_store_byte v[0:1], v29 offset:7
.LBB1645_226:
	s_or_b64 exec, exec, s[8:9]
	v_add_co_u32_e64 v0, s[8:9], v6, v24
	v_addc_co_u32_e64 v1, s[8:9], v7, v25, s[8:9]
	v_add_co_u32_e64 v0, s[8:9], v0, v9
	v_addc_co_u32_e64 v1, s[8:9], 0, v1, s[8:9]
	; wave barrier
	s_and_saveexec_b64 s[8:9], vcc
	s_cbranch_execnz .LBB1645_250
; %bb.227:
	s_or_b64 exec, exec, s[8:9]
	s_and_saveexec_b64 s[8:9], s[4:5]
	s_cbranch_execnz .LBB1645_251
.LBB1645_228:
	s_or_b64 exec, exec, s[8:9]
	s_and_saveexec_b64 s[4:5], s[6:7]
	s_cbranch_execnz .LBB1645_252
.LBB1645_229:
	s_or_b64 exec, exec, s[4:5]
	s_and_saveexec_b64 s[4:5], s[18:19]
	s_cbranch_execnz .LBB1645_253
.LBB1645_230:
	s_or_b64 exec, exec, s[4:5]
	s_and_saveexec_b64 s[4:5], s[10:11]
	s_cbranch_execnz .LBB1645_254
.LBB1645_231:
	s_or_b64 exec, exec, s[4:5]
	s_and_saveexec_b64 s[4:5], s[26:27]
	s_cbranch_execnz .LBB1645_255
.LBB1645_232:
	s_or_b64 exec, exec, s[4:5]
	s_and_saveexec_b64 s[4:5], s[14:15]
	s_cbranch_execnz .LBB1645_256
.LBB1645_233:
	s_or_b64 exec, exec, s[4:5]
	s_and_saveexec_b64 s[4:5], s[16:17]
	s_cbranch_execz .LBB1645_235
.LBB1645_234:
	s_waitcnt vmcnt(0) lgkmcnt(0)
	flat_store_dwordx2 v[0:1], v[14:15] offset:56
.LBB1645_235:
	s_or_b64 exec, exec, s[4:5]
	v_readlane_b32 s30, v40, 12
	v_readlane_b32 s31, v40, 13
	v_readlane_b32 s45, v40, 11
	v_readlane_b32 s44, v40, 10
	v_readlane_b32 s43, v40, 9
	v_readlane_b32 s42, v40, 8
	v_readlane_b32 s41, v40, 7
	v_readlane_b32 s40, v40, 6
	v_readlane_b32 s39, v40, 5
	v_readlane_b32 s38, v40, 4
	v_readlane_b32 s37, v40, 3
	v_readlane_b32 s36, v40, 2
	v_readlane_b32 s35, v40, 1
	v_readlane_b32 s34, v40, 0
	s_or_saveexec_b64 s[4:5], -1
	buffer_load_dword v40, off, s[0:3], s32 ; 4-byte Folded Reload
	s_mov_b64 exec, s[4:5]
	s_waitcnt vmcnt(0) lgkmcnt(0)
	s_setpc_b64 s[30:31]
.LBB1645_236:
	flat_load_dwordx2 v[4:5], v[36:37]
	s_or_b64 exec, exec, s[20:21]
	s_and_saveexec_b64 s[20:21], s[4:5]
                                        ; implicit-def: $vgpr16_vgpr17_vgpr18_vgpr19
	s_cbranch_execz .LBB1645_18
.LBB1645_237:
	flat_load_dwordx2 v[18:19], v[36:37] offset:8
	s_or_b64 exec, exec, s[20:21]
                                        ; implicit-def: $vgpr32_vgpr33
	s_and_saveexec_b64 s[20:21], s[6:7]
	s_cbranch_execz .LBB1645_19
.LBB1645_238:
	flat_load_dwordx2 v[32:33], v[36:37] offset:16
	s_or_b64 exec, exec, s[20:21]
	s_and_saveexec_b64 s[20:21], s[18:19]
                                        ; implicit-def: $vgpr20_vgpr21_vgpr22_vgpr23
	s_cbranch_execz .LBB1645_20
.LBB1645_239:
	flat_load_dwordx2 v[22:23], v[36:37] offset:24
	s_or_b64 exec, exec, s[20:21]
                                        ; implicit-def: $vgpr20_vgpr21
	s_and_saveexec_b64 s[20:21], s[10:11]
	s_cbranch_execz .LBB1645_21
.LBB1645_240:
	flat_load_dwordx2 v[20:21], v[36:37] offset:32
	s_or_b64 exec, exec, s[20:21]
	s_and_saveexec_b64 s[20:21], s[26:27]
                                        ; implicit-def: $vgpr14_vgpr15_vgpr16_vgpr17
	s_cbranch_execz .LBB1645_22
.LBB1645_241:
	flat_load_dwordx2 v[16:17], v[36:37] offset:40
	s_or_b64 exec, exec, s[20:21]
                                        ; implicit-def: $vgpr34_vgpr35
	s_and_saveexec_b64 s[20:21], s[14:15]
	s_cbranch_execz .LBB1645_23
.LBB1645_242:
	flat_load_dwordx2 v[34:35], v[36:37] offset:48
	s_or_b64 exec, exec, s[20:21]
	s_and_saveexec_b64 s[20:21], s[16:17]
                                        ; implicit-def: $vgpr12_vgpr13_vgpr14_vgpr15
	s_cbranch_execnz .LBB1645_24
	s_branch .LBB1645_25
.LBB1645_243:
	flat_store_byte v[0:1], v26
	s_or_b64 exec, exec, s[8:9]
	s_and_saveexec_b64 s[8:9], s[4:5]
	s_cbranch_execz .LBB1645_219
.LBB1645_244:
	s_waitcnt vmcnt(0) lgkmcnt(0)
	flat_store_byte v[0:1], v38 offset:1
	s_or_b64 exec, exec, s[8:9]
	s_and_saveexec_b64 s[8:9], s[6:7]
	s_cbranch_execz .LBB1645_220
.LBB1645_245:
	s_waitcnt vmcnt(0) lgkmcnt(0)
	flat_store_byte v[0:1], v39 offset:2
	s_or_b64 exec, exec, s[8:9]
	s_and_saveexec_b64 s[8:9], s[18:19]
	s_cbranch_execz .LBB1645_221
.LBB1645_246:
	s_waitcnt vmcnt(0) lgkmcnt(0)
	flat_store_byte v[0:1], v28 offset:3
	s_or_b64 exec, exec, s[8:9]
	s_and_saveexec_b64 s[8:9], s[10:11]
	s_cbranch_execz .LBB1645_222
.LBB1645_247:
	s_waitcnt vmcnt(0) lgkmcnt(0)
	flat_store_byte v[0:1], v27 offset:4
	s_or_b64 exec, exec, s[8:9]
	s_and_saveexec_b64 s[8:9], s[26:27]
	s_cbranch_execz .LBB1645_223
.LBB1645_248:
	s_waitcnt vmcnt(0) lgkmcnt(0)
	flat_store_byte v[0:1], v49 offset:5
	s_or_b64 exec, exec, s[8:9]
	s_and_saveexec_b64 s[8:9], s[14:15]
	s_cbranch_execz .LBB1645_224
.LBB1645_249:
	s_waitcnt vmcnt(0) lgkmcnt(0)
	flat_store_byte v[0:1], v48 offset:6
	s_or_b64 exec, exec, s[8:9]
	s_and_saveexec_b64 s[8:9], s[16:17]
	s_cbranch_execnz .LBB1645_225
	s_branch .LBB1645_226
.LBB1645_250:
	s_waitcnt vmcnt(0) lgkmcnt(0)
	flat_store_dwordx2 v[0:1], v[4:5]
	s_or_b64 exec, exec, s[8:9]
	s_and_saveexec_b64 s[8:9], s[4:5]
	s_cbranch_execz .LBB1645_228
.LBB1645_251:
	s_waitcnt vmcnt(0) lgkmcnt(0)
	flat_store_dwordx2 v[0:1], v[18:19] offset:8
	s_or_b64 exec, exec, s[8:9]
	s_and_saveexec_b64 s[4:5], s[6:7]
	s_cbranch_execz .LBB1645_229
.LBB1645_252:
	s_waitcnt vmcnt(0) lgkmcnt(0)
	flat_store_dwordx2 v[0:1], v[32:33] offset:16
	s_or_b64 exec, exec, s[4:5]
	s_and_saveexec_b64 s[4:5], s[18:19]
	s_cbranch_execz .LBB1645_230
.LBB1645_253:
	s_waitcnt vmcnt(0) lgkmcnt(0)
	flat_store_dwordx2 v[0:1], v[22:23] offset:24
	s_or_b64 exec, exec, s[4:5]
	s_and_saveexec_b64 s[4:5], s[10:11]
	s_cbranch_execz .LBB1645_231
.LBB1645_254:
	s_waitcnt vmcnt(0) lgkmcnt(0)
	flat_store_dwordx2 v[0:1], v[20:21] offset:32
	s_or_b64 exec, exec, s[4:5]
	s_and_saveexec_b64 s[4:5], s[26:27]
	s_cbranch_execz .LBB1645_232
.LBB1645_255:
	s_waitcnt vmcnt(0) lgkmcnt(0)
	flat_store_dwordx2 v[0:1], v[16:17] offset:40
	s_or_b64 exec, exec, s[4:5]
	s_and_saveexec_b64 s[4:5], s[14:15]
	s_cbranch_execz .LBB1645_233
.LBB1645_256:
	s_waitcnt vmcnt(0) lgkmcnt(0)
	flat_store_dwordx2 v[0:1], v[34:35] offset:48
	s_or_b64 exec, exec, s[4:5]
	s_and_saveexec_b64 s[4:5], s[16:17]
	s_cbranch_execnz .LBB1645_234
	s_branch .LBB1645_235
.Lfunc_end1645:
	.size	_ZN7rocprim17ROCPRIM_400000_NS6detail26segmented_warp_sort_helperINS1_20WarpSortHelperConfigILj16ELj8ELj256EEEblLi256ELb0EvE4sortIPKbPbPKlPlEEvT_T0_T1_T2_jjjjRNS5_12storage_typeE, .Lfunc_end1645-_ZN7rocprim17ROCPRIM_400000_NS6detail26segmented_warp_sort_helperINS1_20WarpSortHelperConfigILj16ELj8ELj256EEEblLi256ELb0EvE4sortIPKbPbPKlPlEEvT_T0_T1_T2_jjjjRNS5_12storage_typeE
                                        ; -- End function
	.section	.AMDGPU.csdata,"",@progbits
; Function info:
; codeLenInByte = 17272
; NumSgprs: 50
; NumVgprs: 69
; NumAgprs: 0
; TotalNumVgprs: 69
; ScratchSize: 8
; MemoryBound: 0
	.section	.text._ZN7rocprim17ROCPRIM_400000_NS6detail17trampoline_kernelINS0_14default_configENS1_36segmented_radix_sort_config_selectorIblEEZNS1_25segmented_radix_sort_implIS3_Lb0EPKbPbPKlPlN2at6native12_GLOBAL__N_18offset_tEEE10hipError_tPvRmT1_PNSt15iterator_traitsISK_E10value_typeET2_T3_PNSL_ISQ_E10value_typeET4_jRbjT5_SW_jjP12ihipStream_tbEUlT_E0_NS1_11comp_targetILNS1_3genE4ELNS1_11target_archE910ELNS1_3gpuE8ELNS1_3repE0EEENS1_60segmented_radix_sort_warp_sort_medium_config_static_selectorELNS0_4arch9wavefront6targetE1EEEvSK_,"axG",@progbits,_ZN7rocprim17ROCPRIM_400000_NS6detail17trampoline_kernelINS0_14default_configENS1_36segmented_radix_sort_config_selectorIblEEZNS1_25segmented_radix_sort_implIS3_Lb0EPKbPbPKlPlN2at6native12_GLOBAL__N_18offset_tEEE10hipError_tPvRmT1_PNSt15iterator_traitsISK_E10value_typeET2_T3_PNSL_ISQ_E10value_typeET4_jRbjT5_SW_jjP12ihipStream_tbEUlT_E0_NS1_11comp_targetILNS1_3genE4ELNS1_11target_archE910ELNS1_3gpuE8ELNS1_3repE0EEENS1_60segmented_radix_sort_warp_sort_medium_config_static_selectorELNS0_4arch9wavefront6targetE1EEEvSK_,comdat
	.globl	_ZN7rocprim17ROCPRIM_400000_NS6detail17trampoline_kernelINS0_14default_configENS1_36segmented_radix_sort_config_selectorIblEEZNS1_25segmented_radix_sort_implIS3_Lb0EPKbPbPKlPlN2at6native12_GLOBAL__N_18offset_tEEE10hipError_tPvRmT1_PNSt15iterator_traitsISK_E10value_typeET2_T3_PNSL_ISQ_E10value_typeET4_jRbjT5_SW_jjP12ihipStream_tbEUlT_E0_NS1_11comp_targetILNS1_3genE4ELNS1_11target_archE910ELNS1_3gpuE8ELNS1_3repE0EEENS1_60segmented_radix_sort_warp_sort_medium_config_static_selectorELNS0_4arch9wavefront6targetE1EEEvSK_ ; -- Begin function _ZN7rocprim17ROCPRIM_400000_NS6detail17trampoline_kernelINS0_14default_configENS1_36segmented_radix_sort_config_selectorIblEEZNS1_25segmented_radix_sort_implIS3_Lb0EPKbPbPKlPlN2at6native12_GLOBAL__N_18offset_tEEE10hipError_tPvRmT1_PNSt15iterator_traitsISK_E10value_typeET2_T3_PNSL_ISQ_E10value_typeET4_jRbjT5_SW_jjP12ihipStream_tbEUlT_E0_NS1_11comp_targetILNS1_3genE4ELNS1_11target_archE910ELNS1_3gpuE8ELNS1_3repE0EEENS1_60segmented_radix_sort_warp_sort_medium_config_static_selectorELNS0_4arch9wavefront6targetE1EEEvSK_
	.p2align	8
	.type	_ZN7rocprim17ROCPRIM_400000_NS6detail17trampoline_kernelINS0_14default_configENS1_36segmented_radix_sort_config_selectorIblEEZNS1_25segmented_radix_sort_implIS3_Lb0EPKbPbPKlPlN2at6native12_GLOBAL__N_18offset_tEEE10hipError_tPvRmT1_PNSt15iterator_traitsISK_E10value_typeET2_T3_PNSL_ISQ_E10value_typeET4_jRbjT5_SW_jjP12ihipStream_tbEUlT_E0_NS1_11comp_targetILNS1_3genE4ELNS1_11target_archE910ELNS1_3gpuE8ELNS1_3repE0EEENS1_60segmented_radix_sort_warp_sort_medium_config_static_selectorELNS0_4arch9wavefront6targetE1EEEvSK_,@function
_ZN7rocprim17ROCPRIM_400000_NS6detail17trampoline_kernelINS0_14default_configENS1_36segmented_radix_sort_config_selectorIblEEZNS1_25segmented_radix_sort_implIS3_Lb0EPKbPbPKlPlN2at6native12_GLOBAL__N_18offset_tEEE10hipError_tPvRmT1_PNSt15iterator_traitsISK_E10value_typeET2_T3_PNSL_ISQ_E10value_typeET4_jRbjT5_SW_jjP12ihipStream_tbEUlT_E0_NS1_11comp_targetILNS1_3genE4ELNS1_11target_archE910ELNS1_3gpuE8ELNS1_3repE0EEENS1_60segmented_radix_sort_warp_sort_medium_config_static_selectorELNS0_4arch9wavefront6targetE1EEEvSK_: ; @_ZN7rocprim17ROCPRIM_400000_NS6detail17trampoline_kernelINS0_14default_configENS1_36segmented_radix_sort_config_selectorIblEEZNS1_25segmented_radix_sort_implIS3_Lb0EPKbPbPKlPlN2at6native12_GLOBAL__N_18offset_tEEE10hipError_tPvRmT1_PNSt15iterator_traitsISK_E10value_typeET2_T3_PNSL_ISQ_E10value_typeET4_jRbjT5_SW_jjP12ihipStream_tbEUlT_E0_NS1_11comp_targetILNS1_3genE4ELNS1_11target_archE910ELNS1_3gpuE8ELNS1_3repE0EEENS1_60segmented_radix_sort_warp_sort_medium_config_static_selectorELNS0_4arch9wavefront6targetE1EEEvSK_
; %bb.0:
	s_add_u32 flat_scratch_lo, s6, s10
	s_addc_u32 flat_scratch_hi, s7, 0
	s_add_u32 s0, s0, s10
	s_load_dword s6, s[4:5], 0x64
	s_load_dword s10, s[4:5], 0x34
	s_addc_u32 s1, s1, 0
	v_bfe_u32 v1, v0, 10, 10
	v_bfe_u32 v2, v0, 20, 10
	s_waitcnt lgkmcnt(0)
	s_lshr_b32 s7, s6, 16
	s_and_b32 s6, s6, 0xffff
	v_mad_u32_u24 v1, v2, s7, v1
	v_and_b32_e32 v2, 0x3ff, v0
	v_mad_u64_u32 v[2:3], s[6:7], v1, s6, v[2:3]
	v_lshrrev_b32_e32 v1, 4, v2
	v_lshl_add_u32 v2, s8, 4, v1
	v_cmp_gt_u32_e32 vcc, s10, v2
	s_mov_b32 s32, 0
	s_and_saveexec_b64 s[6:7], vcc
	s_cbranch_execz .LBB1646_6
; %bb.1:
	s_load_dwordx2 s[6:7], s[4:5], 0x38
	s_load_dwordx4 s[12:15], s[4:5], 0x40
	v_mov_b32_e32 v3, 0
	v_lshlrev_b64 v[2:3], 2, v[2:3]
	s_waitcnt lgkmcnt(0)
	v_mov_b32_e32 v1, s7
	v_add_co_u32_e32 v2, vcc, s6, v2
	v_addc_co_u32_e32 v3, vcc, v1, v3, vcc
	global_load_dword v1, v[2:3], off
	s_waitcnt vmcnt(0)
	v_add_u32_e32 v2, s13, v1
	v_add_u32_e32 v1, s15, v1
	v_mul_lo_u32 v8, v2, s12
	v_mul_lo_u32 v41, v1, s14
	v_cmp_gt_u32_e32 vcc, v41, v8
	s_and_b64 exec, exec, vcc
	s_cbranch_execz .LBB1646_6
; %bb.2:
	s_load_dwordx4 s[56:59], s[4:5], 0x20
	s_load_dword s6, s[4:5], 0x30
	s_load_dwordx8 s[48:55], s[4:5], 0x0
	s_load_dwordx2 s[60:61], s[4:5], 0x50
	s_mov_b32 s46, s8
	s_mov_b32 s33, s9
	s_waitcnt lgkmcnt(0)
	s_bitcmp0_b32 s6, 0
	s_mov_b64 s[6:7], -1
	s_cbranch_scc0 .LBB1646_4
; %bb.3:
	s_add_u32 s8, s4, 0x58
	s_addc_u32 s9, s5, 0
	s_mov_b32 s12, s46
	s_mov_b32 s13, s33
	v_mov_b32_e32 v31, v0
	v_mov_b32_e32 v42, v0
	;; [unrolled: 1-line block ×13, first 2 shown]
	s_getpc_b64 s[6:7]
	s_add_u32 s6, s6, _ZN7rocprim17ROCPRIM_400000_NS6detail26segmented_warp_sort_helperINS1_20WarpSortHelperConfigILj16ELj8ELj256EEEblLi256ELb0EvE4sortIPKbPbPKlPlEEvT_T0_T1_T2_jjjjRNS5_12storage_typeE@rel32@lo+4
	s_addc_u32 s7, s7, _ZN7rocprim17ROCPRIM_400000_NS6detail26segmented_warp_sort_helperINS1_20WarpSortHelperConfigILj16ELj8ELj256EEEblLi256ELb0EvE4sortIPKbPbPKlPlEEvT_T0_T1_T2_jjjjRNS5_12storage_typeE@rel32@hi+12
	s_mov_b64 s[50:51], s[4:5]
	s_swappc_b64 s[30:31], s[6:7]
	v_mov_b32_e32 v0, v42
	s_mov_b64 s[4:5], s[50:51]
	s_mov_b64 s[6:7], 0
.LBB1646_4:
	s_andn2_b64 vcc, exec, s[6:7]
	s_cbranch_vccnz .LBB1646_6
; %bb.5:
	s_add_u32 s8, s4, 0x58
	s_addc_u32 s9, s5, 0
	s_mov_b32 s12, s46
	s_mov_b32 s13, s33
	v_mov_b32_e32 v31, v0
	v_mov_b32_e32 v0, s48
	;; [unrolled: 1-line block ×12, first 2 shown]
	s_getpc_b64 s[4:5]
	s_add_u32 s4, s4, _ZN7rocprim17ROCPRIM_400000_NS6detail26segmented_warp_sort_helperINS1_20WarpSortHelperConfigILj16ELj8ELj256EEEblLi256ELb0EvE4sortIPKbPbPKlPlEEvT_T0_T1_T2_jjjjRNS5_12storage_typeE@rel32@lo+4
	s_addc_u32 s5, s5, _ZN7rocprim17ROCPRIM_400000_NS6detail26segmented_warp_sort_helperINS1_20WarpSortHelperConfigILj16ELj8ELj256EEEblLi256ELb0EvE4sortIPKbPbPKlPlEEvT_T0_T1_T2_jjjjRNS5_12storage_typeE@rel32@hi+12
	s_swappc_b64 s[30:31], s[4:5]
.LBB1646_6:
	s_endpgm
	.section	.rodata,"a",@progbits
	.p2align	6, 0x0
	.amdhsa_kernel _ZN7rocprim17ROCPRIM_400000_NS6detail17trampoline_kernelINS0_14default_configENS1_36segmented_radix_sort_config_selectorIblEEZNS1_25segmented_radix_sort_implIS3_Lb0EPKbPbPKlPlN2at6native12_GLOBAL__N_18offset_tEEE10hipError_tPvRmT1_PNSt15iterator_traitsISK_E10value_typeET2_T3_PNSL_ISQ_E10value_typeET4_jRbjT5_SW_jjP12ihipStream_tbEUlT_E0_NS1_11comp_targetILNS1_3genE4ELNS1_11target_archE910ELNS1_3gpuE8ELNS1_3repE0EEENS1_60segmented_radix_sort_warp_sort_medium_config_static_selectorELNS0_4arch9wavefront6targetE1EEEvSK_
		.amdhsa_group_segment_fixed_size 18432
		.amdhsa_private_segment_fixed_size 8
		.amdhsa_kernarg_size 344
		.amdhsa_user_sgpr_count 8
		.amdhsa_user_sgpr_private_segment_buffer 1
		.amdhsa_user_sgpr_dispatch_ptr 0
		.amdhsa_user_sgpr_queue_ptr 0
		.amdhsa_user_sgpr_kernarg_segment_ptr 1
		.amdhsa_user_sgpr_dispatch_id 0
		.amdhsa_user_sgpr_flat_scratch_init 1
		.amdhsa_user_sgpr_kernarg_preload_length 0
		.amdhsa_user_sgpr_kernarg_preload_offset 0
		.amdhsa_user_sgpr_private_segment_size 0
		.amdhsa_uses_dynamic_stack 0
		.amdhsa_system_sgpr_private_segment_wavefront_offset 1
		.amdhsa_system_sgpr_workgroup_id_x 1
		.amdhsa_system_sgpr_workgroup_id_y 1
		.amdhsa_system_sgpr_workgroup_id_z 0
		.amdhsa_system_sgpr_workgroup_info 0
		.amdhsa_system_vgpr_workitem_id 2
		.amdhsa_next_free_vgpr 69
		.amdhsa_next_free_sgpr 62
		.amdhsa_accum_offset 72
		.amdhsa_reserve_vcc 1
		.amdhsa_reserve_flat_scratch 1
		.amdhsa_float_round_mode_32 0
		.amdhsa_float_round_mode_16_64 0
		.amdhsa_float_denorm_mode_32 3
		.amdhsa_float_denorm_mode_16_64 3
		.amdhsa_dx10_clamp 1
		.amdhsa_ieee_mode 1
		.amdhsa_fp16_overflow 0
		.amdhsa_tg_split 0
		.amdhsa_exception_fp_ieee_invalid_op 0
		.amdhsa_exception_fp_denorm_src 0
		.amdhsa_exception_fp_ieee_div_zero 0
		.amdhsa_exception_fp_ieee_overflow 0
		.amdhsa_exception_fp_ieee_underflow 0
		.amdhsa_exception_fp_ieee_inexact 0
		.amdhsa_exception_int_div_zero 0
	.end_amdhsa_kernel
	.section	.text._ZN7rocprim17ROCPRIM_400000_NS6detail17trampoline_kernelINS0_14default_configENS1_36segmented_radix_sort_config_selectorIblEEZNS1_25segmented_radix_sort_implIS3_Lb0EPKbPbPKlPlN2at6native12_GLOBAL__N_18offset_tEEE10hipError_tPvRmT1_PNSt15iterator_traitsISK_E10value_typeET2_T3_PNSL_ISQ_E10value_typeET4_jRbjT5_SW_jjP12ihipStream_tbEUlT_E0_NS1_11comp_targetILNS1_3genE4ELNS1_11target_archE910ELNS1_3gpuE8ELNS1_3repE0EEENS1_60segmented_radix_sort_warp_sort_medium_config_static_selectorELNS0_4arch9wavefront6targetE1EEEvSK_,"axG",@progbits,_ZN7rocprim17ROCPRIM_400000_NS6detail17trampoline_kernelINS0_14default_configENS1_36segmented_radix_sort_config_selectorIblEEZNS1_25segmented_radix_sort_implIS3_Lb0EPKbPbPKlPlN2at6native12_GLOBAL__N_18offset_tEEE10hipError_tPvRmT1_PNSt15iterator_traitsISK_E10value_typeET2_T3_PNSL_ISQ_E10value_typeET4_jRbjT5_SW_jjP12ihipStream_tbEUlT_E0_NS1_11comp_targetILNS1_3genE4ELNS1_11target_archE910ELNS1_3gpuE8ELNS1_3repE0EEENS1_60segmented_radix_sort_warp_sort_medium_config_static_selectorELNS0_4arch9wavefront6targetE1EEEvSK_,comdat
.Lfunc_end1646:
	.size	_ZN7rocprim17ROCPRIM_400000_NS6detail17trampoline_kernelINS0_14default_configENS1_36segmented_radix_sort_config_selectorIblEEZNS1_25segmented_radix_sort_implIS3_Lb0EPKbPbPKlPlN2at6native12_GLOBAL__N_18offset_tEEE10hipError_tPvRmT1_PNSt15iterator_traitsISK_E10value_typeET2_T3_PNSL_ISQ_E10value_typeET4_jRbjT5_SW_jjP12ihipStream_tbEUlT_E0_NS1_11comp_targetILNS1_3genE4ELNS1_11target_archE910ELNS1_3gpuE8ELNS1_3repE0EEENS1_60segmented_radix_sort_warp_sort_medium_config_static_selectorELNS0_4arch9wavefront6targetE1EEEvSK_, .Lfunc_end1646-_ZN7rocprim17ROCPRIM_400000_NS6detail17trampoline_kernelINS0_14default_configENS1_36segmented_radix_sort_config_selectorIblEEZNS1_25segmented_radix_sort_implIS3_Lb0EPKbPbPKlPlN2at6native12_GLOBAL__N_18offset_tEEE10hipError_tPvRmT1_PNSt15iterator_traitsISK_E10value_typeET2_T3_PNSL_ISQ_E10value_typeET4_jRbjT5_SW_jjP12ihipStream_tbEUlT_E0_NS1_11comp_targetILNS1_3genE4ELNS1_11target_archE910ELNS1_3gpuE8ELNS1_3repE0EEENS1_60segmented_radix_sort_warp_sort_medium_config_static_selectorELNS0_4arch9wavefront6targetE1EEEvSK_
                                        ; -- End function
	.section	.AMDGPU.csdata,"",@progbits
; Kernel info:
; codeLenInByte = 480
; NumSgprs: 68
; NumVgprs: 69
; NumAgprs: 0
; TotalNumVgprs: 69
; ScratchSize: 8
; MemoryBound: 0
; FloatMode: 240
; IeeeMode: 1
; LDSByteSize: 18432 bytes/workgroup (compile time only)
; SGPRBlocks: 8
; VGPRBlocks: 8
; NumSGPRsForWavesPerEU: 68
; NumVGPRsForWavesPerEU: 69
; AccumOffset: 72
; Occupancy: 3
; WaveLimiterHint : 0
; COMPUTE_PGM_RSRC2:SCRATCH_EN: 1
; COMPUTE_PGM_RSRC2:USER_SGPR: 8
; COMPUTE_PGM_RSRC2:TRAP_HANDLER: 0
; COMPUTE_PGM_RSRC2:TGID_X_EN: 1
; COMPUTE_PGM_RSRC2:TGID_Y_EN: 1
; COMPUTE_PGM_RSRC2:TGID_Z_EN: 0
; COMPUTE_PGM_RSRC2:TIDIG_COMP_CNT: 2
; COMPUTE_PGM_RSRC3_GFX90A:ACCUM_OFFSET: 17
; COMPUTE_PGM_RSRC3_GFX90A:TG_SPLIT: 0
	.section	.text._ZN7rocprim17ROCPRIM_400000_NS6detail17trampoline_kernelINS0_14default_configENS1_36segmented_radix_sort_config_selectorIblEEZNS1_25segmented_radix_sort_implIS3_Lb0EPKbPbPKlPlN2at6native12_GLOBAL__N_18offset_tEEE10hipError_tPvRmT1_PNSt15iterator_traitsISK_E10value_typeET2_T3_PNSL_ISQ_E10value_typeET4_jRbjT5_SW_jjP12ihipStream_tbEUlT_E0_NS1_11comp_targetILNS1_3genE3ELNS1_11target_archE908ELNS1_3gpuE7ELNS1_3repE0EEENS1_60segmented_radix_sort_warp_sort_medium_config_static_selectorELNS0_4arch9wavefront6targetE1EEEvSK_,"axG",@progbits,_ZN7rocprim17ROCPRIM_400000_NS6detail17trampoline_kernelINS0_14default_configENS1_36segmented_radix_sort_config_selectorIblEEZNS1_25segmented_radix_sort_implIS3_Lb0EPKbPbPKlPlN2at6native12_GLOBAL__N_18offset_tEEE10hipError_tPvRmT1_PNSt15iterator_traitsISK_E10value_typeET2_T3_PNSL_ISQ_E10value_typeET4_jRbjT5_SW_jjP12ihipStream_tbEUlT_E0_NS1_11comp_targetILNS1_3genE3ELNS1_11target_archE908ELNS1_3gpuE7ELNS1_3repE0EEENS1_60segmented_radix_sort_warp_sort_medium_config_static_selectorELNS0_4arch9wavefront6targetE1EEEvSK_,comdat
	.globl	_ZN7rocprim17ROCPRIM_400000_NS6detail17trampoline_kernelINS0_14default_configENS1_36segmented_radix_sort_config_selectorIblEEZNS1_25segmented_radix_sort_implIS3_Lb0EPKbPbPKlPlN2at6native12_GLOBAL__N_18offset_tEEE10hipError_tPvRmT1_PNSt15iterator_traitsISK_E10value_typeET2_T3_PNSL_ISQ_E10value_typeET4_jRbjT5_SW_jjP12ihipStream_tbEUlT_E0_NS1_11comp_targetILNS1_3genE3ELNS1_11target_archE908ELNS1_3gpuE7ELNS1_3repE0EEENS1_60segmented_radix_sort_warp_sort_medium_config_static_selectorELNS0_4arch9wavefront6targetE1EEEvSK_ ; -- Begin function _ZN7rocprim17ROCPRIM_400000_NS6detail17trampoline_kernelINS0_14default_configENS1_36segmented_radix_sort_config_selectorIblEEZNS1_25segmented_radix_sort_implIS3_Lb0EPKbPbPKlPlN2at6native12_GLOBAL__N_18offset_tEEE10hipError_tPvRmT1_PNSt15iterator_traitsISK_E10value_typeET2_T3_PNSL_ISQ_E10value_typeET4_jRbjT5_SW_jjP12ihipStream_tbEUlT_E0_NS1_11comp_targetILNS1_3genE3ELNS1_11target_archE908ELNS1_3gpuE7ELNS1_3repE0EEENS1_60segmented_radix_sort_warp_sort_medium_config_static_selectorELNS0_4arch9wavefront6targetE1EEEvSK_
	.p2align	8
	.type	_ZN7rocprim17ROCPRIM_400000_NS6detail17trampoline_kernelINS0_14default_configENS1_36segmented_radix_sort_config_selectorIblEEZNS1_25segmented_radix_sort_implIS3_Lb0EPKbPbPKlPlN2at6native12_GLOBAL__N_18offset_tEEE10hipError_tPvRmT1_PNSt15iterator_traitsISK_E10value_typeET2_T3_PNSL_ISQ_E10value_typeET4_jRbjT5_SW_jjP12ihipStream_tbEUlT_E0_NS1_11comp_targetILNS1_3genE3ELNS1_11target_archE908ELNS1_3gpuE7ELNS1_3repE0EEENS1_60segmented_radix_sort_warp_sort_medium_config_static_selectorELNS0_4arch9wavefront6targetE1EEEvSK_,@function
_ZN7rocprim17ROCPRIM_400000_NS6detail17trampoline_kernelINS0_14default_configENS1_36segmented_radix_sort_config_selectorIblEEZNS1_25segmented_radix_sort_implIS3_Lb0EPKbPbPKlPlN2at6native12_GLOBAL__N_18offset_tEEE10hipError_tPvRmT1_PNSt15iterator_traitsISK_E10value_typeET2_T3_PNSL_ISQ_E10value_typeET4_jRbjT5_SW_jjP12ihipStream_tbEUlT_E0_NS1_11comp_targetILNS1_3genE3ELNS1_11target_archE908ELNS1_3gpuE7ELNS1_3repE0EEENS1_60segmented_radix_sort_warp_sort_medium_config_static_selectorELNS0_4arch9wavefront6targetE1EEEvSK_: ; @_ZN7rocprim17ROCPRIM_400000_NS6detail17trampoline_kernelINS0_14default_configENS1_36segmented_radix_sort_config_selectorIblEEZNS1_25segmented_radix_sort_implIS3_Lb0EPKbPbPKlPlN2at6native12_GLOBAL__N_18offset_tEEE10hipError_tPvRmT1_PNSt15iterator_traitsISK_E10value_typeET2_T3_PNSL_ISQ_E10value_typeET4_jRbjT5_SW_jjP12ihipStream_tbEUlT_E0_NS1_11comp_targetILNS1_3genE3ELNS1_11target_archE908ELNS1_3gpuE7ELNS1_3repE0EEENS1_60segmented_radix_sort_warp_sort_medium_config_static_selectorELNS0_4arch9wavefront6targetE1EEEvSK_
; %bb.0:
	.section	.rodata,"a",@progbits
	.p2align	6, 0x0
	.amdhsa_kernel _ZN7rocprim17ROCPRIM_400000_NS6detail17trampoline_kernelINS0_14default_configENS1_36segmented_radix_sort_config_selectorIblEEZNS1_25segmented_radix_sort_implIS3_Lb0EPKbPbPKlPlN2at6native12_GLOBAL__N_18offset_tEEE10hipError_tPvRmT1_PNSt15iterator_traitsISK_E10value_typeET2_T3_PNSL_ISQ_E10value_typeET4_jRbjT5_SW_jjP12ihipStream_tbEUlT_E0_NS1_11comp_targetILNS1_3genE3ELNS1_11target_archE908ELNS1_3gpuE7ELNS1_3repE0EEENS1_60segmented_radix_sort_warp_sort_medium_config_static_selectorELNS0_4arch9wavefront6targetE1EEEvSK_
		.amdhsa_group_segment_fixed_size 0
		.amdhsa_private_segment_fixed_size 0
		.amdhsa_kernarg_size 88
		.amdhsa_user_sgpr_count 6
		.amdhsa_user_sgpr_private_segment_buffer 1
		.amdhsa_user_sgpr_dispatch_ptr 0
		.amdhsa_user_sgpr_queue_ptr 0
		.amdhsa_user_sgpr_kernarg_segment_ptr 1
		.amdhsa_user_sgpr_dispatch_id 0
		.amdhsa_user_sgpr_flat_scratch_init 0
		.amdhsa_user_sgpr_kernarg_preload_length 0
		.amdhsa_user_sgpr_kernarg_preload_offset 0
		.amdhsa_user_sgpr_private_segment_size 0
		.amdhsa_uses_dynamic_stack 0
		.amdhsa_system_sgpr_private_segment_wavefront_offset 0
		.amdhsa_system_sgpr_workgroup_id_x 1
		.amdhsa_system_sgpr_workgroup_id_y 0
		.amdhsa_system_sgpr_workgroup_id_z 0
		.amdhsa_system_sgpr_workgroup_info 0
		.amdhsa_system_vgpr_workitem_id 0
		.amdhsa_next_free_vgpr 1
		.amdhsa_next_free_sgpr 0
		.amdhsa_accum_offset 4
		.amdhsa_reserve_vcc 0
		.amdhsa_reserve_flat_scratch 0
		.amdhsa_float_round_mode_32 0
		.amdhsa_float_round_mode_16_64 0
		.amdhsa_float_denorm_mode_32 3
		.amdhsa_float_denorm_mode_16_64 3
		.amdhsa_dx10_clamp 1
		.amdhsa_ieee_mode 1
		.amdhsa_fp16_overflow 0
		.amdhsa_tg_split 0
		.amdhsa_exception_fp_ieee_invalid_op 0
		.amdhsa_exception_fp_denorm_src 0
		.amdhsa_exception_fp_ieee_div_zero 0
		.amdhsa_exception_fp_ieee_overflow 0
		.amdhsa_exception_fp_ieee_underflow 0
		.amdhsa_exception_fp_ieee_inexact 0
		.amdhsa_exception_int_div_zero 0
	.end_amdhsa_kernel
	.section	.text._ZN7rocprim17ROCPRIM_400000_NS6detail17trampoline_kernelINS0_14default_configENS1_36segmented_radix_sort_config_selectorIblEEZNS1_25segmented_radix_sort_implIS3_Lb0EPKbPbPKlPlN2at6native12_GLOBAL__N_18offset_tEEE10hipError_tPvRmT1_PNSt15iterator_traitsISK_E10value_typeET2_T3_PNSL_ISQ_E10value_typeET4_jRbjT5_SW_jjP12ihipStream_tbEUlT_E0_NS1_11comp_targetILNS1_3genE3ELNS1_11target_archE908ELNS1_3gpuE7ELNS1_3repE0EEENS1_60segmented_radix_sort_warp_sort_medium_config_static_selectorELNS0_4arch9wavefront6targetE1EEEvSK_,"axG",@progbits,_ZN7rocprim17ROCPRIM_400000_NS6detail17trampoline_kernelINS0_14default_configENS1_36segmented_radix_sort_config_selectorIblEEZNS1_25segmented_radix_sort_implIS3_Lb0EPKbPbPKlPlN2at6native12_GLOBAL__N_18offset_tEEE10hipError_tPvRmT1_PNSt15iterator_traitsISK_E10value_typeET2_T3_PNSL_ISQ_E10value_typeET4_jRbjT5_SW_jjP12ihipStream_tbEUlT_E0_NS1_11comp_targetILNS1_3genE3ELNS1_11target_archE908ELNS1_3gpuE7ELNS1_3repE0EEENS1_60segmented_radix_sort_warp_sort_medium_config_static_selectorELNS0_4arch9wavefront6targetE1EEEvSK_,comdat
.Lfunc_end1647:
	.size	_ZN7rocprim17ROCPRIM_400000_NS6detail17trampoline_kernelINS0_14default_configENS1_36segmented_radix_sort_config_selectorIblEEZNS1_25segmented_radix_sort_implIS3_Lb0EPKbPbPKlPlN2at6native12_GLOBAL__N_18offset_tEEE10hipError_tPvRmT1_PNSt15iterator_traitsISK_E10value_typeET2_T3_PNSL_ISQ_E10value_typeET4_jRbjT5_SW_jjP12ihipStream_tbEUlT_E0_NS1_11comp_targetILNS1_3genE3ELNS1_11target_archE908ELNS1_3gpuE7ELNS1_3repE0EEENS1_60segmented_radix_sort_warp_sort_medium_config_static_selectorELNS0_4arch9wavefront6targetE1EEEvSK_, .Lfunc_end1647-_ZN7rocprim17ROCPRIM_400000_NS6detail17trampoline_kernelINS0_14default_configENS1_36segmented_radix_sort_config_selectorIblEEZNS1_25segmented_radix_sort_implIS3_Lb0EPKbPbPKlPlN2at6native12_GLOBAL__N_18offset_tEEE10hipError_tPvRmT1_PNSt15iterator_traitsISK_E10value_typeET2_T3_PNSL_ISQ_E10value_typeET4_jRbjT5_SW_jjP12ihipStream_tbEUlT_E0_NS1_11comp_targetILNS1_3genE3ELNS1_11target_archE908ELNS1_3gpuE7ELNS1_3repE0EEENS1_60segmented_radix_sort_warp_sort_medium_config_static_selectorELNS0_4arch9wavefront6targetE1EEEvSK_
                                        ; -- End function
	.section	.AMDGPU.csdata,"",@progbits
; Kernel info:
; codeLenInByte = 0
; NumSgprs: 4
; NumVgprs: 0
; NumAgprs: 0
; TotalNumVgprs: 0
; ScratchSize: 0
; MemoryBound: 0
; FloatMode: 240
; IeeeMode: 1
; LDSByteSize: 0 bytes/workgroup (compile time only)
; SGPRBlocks: 0
; VGPRBlocks: 0
; NumSGPRsForWavesPerEU: 4
; NumVGPRsForWavesPerEU: 1
; AccumOffset: 4
; Occupancy: 8
; WaveLimiterHint : 0
; COMPUTE_PGM_RSRC2:SCRATCH_EN: 0
; COMPUTE_PGM_RSRC2:USER_SGPR: 6
; COMPUTE_PGM_RSRC2:TRAP_HANDLER: 0
; COMPUTE_PGM_RSRC2:TGID_X_EN: 1
; COMPUTE_PGM_RSRC2:TGID_Y_EN: 0
; COMPUTE_PGM_RSRC2:TGID_Z_EN: 0
; COMPUTE_PGM_RSRC2:TIDIG_COMP_CNT: 0
; COMPUTE_PGM_RSRC3_GFX90A:ACCUM_OFFSET: 0
; COMPUTE_PGM_RSRC3_GFX90A:TG_SPLIT: 0
	.section	.text._ZN7rocprim17ROCPRIM_400000_NS6detail17trampoline_kernelINS0_14default_configENS1_36segmented_radix_sort_config_selectorIblEEZNS1_25segmented_radix_sort_implIS3_Lb0EPKbPbPKlPlN2at6native12_GLOBAL__N_18offset_tEEE10hipError_tPvRmT1_PNSt15iterator_traitsISK_E10value_typeET2_T3_PNSL_ISQ_E10value_typeET4_jRbjT5_SW_jjP12ihipStream_tbEUlT_E0_NS1_11comp_targetILNS1_3genE2ELNS1_11target_archE906ELNS1_3gpuE6ELNS1_3repE0EEENS1_60segmented_radix_sort_warp_sort_medium_config_static_selectorELNS0_4arch9wavefront6targetE1EEEvSK_,"axG",@progbits,_ZN7rocprim17ROCPRIM_400000_NS6detail17trampoline_kernelINS0_14default_configENS1_36segmented_radix_sort_config_selectorIblEEZNS1_25segmented_radix_sort_implIS3_Lb0EPKbPbPKlPlN2at6native12_GLOBAL__N_18offset_tEEE10hipError_tPvRmT1_PNSt15iterator_traitsISK_E10value_typeET2_T3_PNSL_ISQ_E10value_typeET4_jRbjT5_SW_jjP12ihipStream_tbEUlT_E0_NS1_11comp_targetILNS1_3genE2ELNS1_11target_archE906ELNS1_3gpuE6ELNS1_3repE0EEENS1_60segmented_radix_sort_warp_sort_medium_config_static_selectorELNS0_4arch9wavefront6targetE1EEEvSK_,comdat
	.globl	_ZN7rocprim17ROCPRIM_400000_NS6detail17trampoline_kernelINS0_14default_configENS1_36segmented_radix_sort_config_selectorIblEEZNS1_25segmented_radix_sort_implIS3_Lb0EPKbPbPKlPlN2at6native12_GLOBAL__N_18offset_tEEE10hipError_tPvRmT1_PNSt15iterator_traitsISK_E10value_typeET2_T3_PNSL_ISQ_E10value_typeET4_jRbjT5_SW_jjP12ihipStream_tbEUlT_E0_NS1_11comp_targetILNS1_3genE2ELNS1_11target_archE906ELNS1_3gpuE6ELNS1_3repE0EEENS1_60segmented_radix_sort_warp_sort_medium_config_static_selectorELNS0_4arch9wavefront6targetE1EEEvSK_ ; -- Begin function _ZN7rocprim17ROCPRIM_400000_NS6detail17trampoline_kernelINS0_14default_configENS1_36segmented_radix_sort_config_selectorIblEEZNS1_25segmented_radix_sort_implIS3_Lb0EPKbPbPKlPlN2at6native12_GLOBAL__N_18offset_tEEE10hipError_tPvRmT1_PNSt15iterator_traitsISK_E10value_typeET2_T3_PNSL_ISQ_E10value_typeET4_jRbjT5_SW_jjP12ihipStream_tbEUlT_E0_NS1_11comp_targetILNS1_3genE2ELNS1_11target_archE906ELNS1_3gpuE6ELNS1_3repE0EEENS1_60segmented_radix_sort_warp_sort_medium_config_static_selectorELNS0_4arch9wavefront6targetE1EEEvSK_
	.p2align	8
	.type	_ZN7rocprim17ROCPRIM_400000_NS6detail17trampoline_kernelINS0_14default_configENS1_36segmented_radix_sort_config_selectorIblEEZNS1_25segmented_radix_sort_implIS3_Lb0EPKbPbPKlPlN2at6native12_GLOBAL__N_18offset_tEEE10hipError_tPvRmT1_PNSt15iterator_traitsISK_E10value_typeET2_T3_PNSL_ISQ_E10value_typeET4_jRbjT5_SW_jjP12ihipStream_tbEUlT_E0_NS1_11comp_targetILNS1_3genE2ELNS1_11target_archE906ELNS1_3gpuE6ELNS1_3repE0EEENS1_60segmented_radix_sort_warp_sort_medium_config_static_selectorELNS0_4arch9wavefront6targetE1EEEvSK_,@function
_ZN7rocprim17ROCPRIM_400000_NS6detail17trampoline_kernelINS0_14default_configENS1_36segmented_radix_sort_config_selectorIblEEZNS1_25segmented_radix_sort_implIS3_Lb0EPKbPbPKlPlN2at6native12_GLOBAL__N_18offset_tEEE10hipError_tPvRmT1_PNSt15iterator_traitsISK_E10value_typeET2_T3_PNSL_ISQ_E10value_typeET4_jRbjT5_SW_jjP12ihipStream_tbEUlT_E0_NS1_11comp_targetILNS1_3genE2ELNS1_11target_archE906ELNS1_3gpuE6ELNS1_3repE0EEENS1_60segmented_radix_sort_warp_sort_medium_config_static_selectorELNS0_4arch9wavefront6targetE1EEEvSK_: ; @_ZN7rocprim17ROCPRIM_400000_NS6detail17trampoline_kernelINS0_14default_configENS1_36segmented_radix_sort_config_selectorIblEEZNS1_25segmented_radix_sort_implIS3_Lb0EPKbPbPKlPlN2at6native12_GLOBAL__N_18offset_tEEE10hipError_tPvRmT1_PNSt15iterator_traitsISK_E10value_typeET2_T3_PNSL_ISQ_E10value_typeET4_jRbjT5_SW_jjP12ihipStream_tbEUlT_E0_NS1_11comp_targetILNS1_3genE2ELNS1_11target_archE906ELNS1_3gpuE6ELNS1_3repE0EEENS1_60segmented_radix_sort_warp_sort_medium_config_static_selectorELNS0_4arch9wavefront6targetE1EEEvSK_
; %bb.0:
	.section	.rodata,"a",@progbits
	.p2align	6, 0x0
	.amdhsa_kernel _ZN7rocprim17ROCPRIM_400000_NS6detail17trampoline_kernelINS0_14default_configENS1_36segmented_radix_sort_config_selectorIblEEZNS1_25segmented_radix_sort_implIS3_Lb0EPKbPbPKlPlN2at6native12_GLOBAL__N_18offset_tEEE10hipError_tPvRmT1_PNSt15iterator_traitsISK_E10value_typeET2_T3_PNSL_ISQ_E10value_typeET4_jRbjT5_SW_jjP12ihipStream_tbEUlT_E0_NS1_11comp_targetILNS1_3genE2ELNS1_11target_archE906ELNS1_3gpuE6ELNS1_3repE0EEENS1_60segmented_radix_sort_warp_sort_medium_config_static_selectorELNS0_4arch9wavefront6targetE1EEEvSK_
		.amdhsa_group_segment_fixed_size 0
		.amdhsa_private_segment_fixed_size 0
		.amdhsa_kernarg_size 88
		.amdhsa_user_sgpr_count 6
		.amdhsa_user_sgpr_private_segment_buffer 1
		.amdhsa_user_sgpr_dispatch_ptr 0
		.amdhsa_user_sgpr_queue_ptr 0
		.amdhsa_user_sgpr_kernarg_segment_ptr 1
		.amdhsa_user_sgpr_dispatch_id 0
		.amdhsa_user_sgpr_flat_scratch_init 0
		.amdhsa_user_sgpr_kernarg_preload_length 0
		.amdhsa_user_sgpr_kernarg_preload_offset 0
		.amdhsa_user_sgpr_private_segment_size 0
		.amdhsa_uses_dynamic_stack 0
		.amdhsa_system_sgpr_private_segment_wavefront_offset 0
		.amdhsa_system_sgpr_workgroup_id_x 1
		.amdhsa_system_sgpr_workgroup_id_y 0
		.amdhsa_system_sgpr_workgroup_id_z 0
		.amdhsa_system_sgpr_workgroup_info 0
		.amdhsa_system_vgpr_workitem_id 0
		.amdhsa_next_free_vgpr 1
		.amdhsa_next_free_sgpr 0
		.amdhsa_accum_offset 4
		.amdhsa_reserve_vcc 0
		.amdhsa_reserve_flat_scratch 0
		.amdhsa_float_round_mode_32 0
		.amdhsa_float_round_mode_16_64 0
		.amdhsa_float_denorm_mode_32 3
		.amdhsa_float_denorm_mode_16_64 3
		.amdhsa_dx10_clamp 1
		.amdhsa_ieee_mode 1
		.amdhsa_fp16_overflow 0
		.amdhsa_tg_split 0
		.amdhsa_exception_fp_ieee_invalid_op 0
		.amdhsa_exception_fp_denorm_src 0
		.amdhsa_exception_fp_ieee_div_zero 0
		.amdhsa_exception_fp_ieee_overflow 0
		.amdhsa_exception_fp_ieee_underflow 0
		.amdhsa_exception_fp_ieee_inexact 0
		.amdhsa_exception_int_div_zero 0
	.end_amdhsa_kernel
	.section	.text._ZN7rocprim17ROCPRIM_400000_NS6detail17trampoline_kernelINS0_14default_configENS1_36segmented_radix_sort_config_selectorIblEEZNS1_25segmented_radix_sort_implIS3_Lb0EPKbPbPKlPlN2at6native12_GLOBAL__N_18offset_tEEE10hipError_tPvRmT1_PNSt15iterator_traitsISK_E10value_typeET2_T3_PNSL_ISQ_E10value_typeET4_jRbjT5_SW_jjP12ihipStream_tbEUlT_E0_NS1_11comp_targetILNS1_3genE2ELNS1_11target_archE906ELNS1_3gpuE6ELNS1_3repE0EEENS1_60segmented_radix_sort_warp_sort_medium_config_static_selectorELNS0_4arch9wavefront6targetE1EEEvSK_,"axG",@progbits,_ZN7rocprim17ROCPRIM_400000_NS6detail17trampoline_kernelINS0_14default_configENS1_36segmented_radix_sort_config_selectorIblEEZNS1_25segmented_radix_sort_implIS3_Lb0EPKbPbPKlPlN2at6native12_GLOBAL__N_18offset_tEEE10hipError_tPvRmT1_PNSt15iterator_traitsISK_E10value_typeET2_T3_PNSL_ISQ_E10value_typeET4_jRbjT5_SW_jjP12ihipStream_tbEUlT_E0_NS1_11comp_targetILNS1_3genE2ELNS1_11target_archE906ELNS1_3gpuE6ELNS1_3repE0EEENS1_60segmented_radix_sort_warp_sort_medium_config_static_selectorELNS0_4arch9wavefront6targetE1EEEvSK_,comdat
.Lfunc_end1648:
	.size	_ZN7rocprim17ROCPRIM_400000_NS6detail17trampoline_kernelINS0_14default_configENS1_36segmented_radix_sort_config_selectorIblEEZNS1_25segmented_radix_sort_implIS3_Lb0EPKbPbPKlPlN2at6native12_GLOBAL__N_18offset_tEEE10hipError_tPvRmT1_PNSt15iterator_traitsISK_E10value_typeET2_T3_PNSL_ISQ_E10value_typeET4_jRbjT5_SW_jjP12ihipStream_tbEUlT_E0_NS1_11comp_targetILNS1_3genE2ELNS1_11target_archE906ELNS1_3gpuE6ELNS1_3repE0EEENS1_60segmented_radix_sort_warp_sort_medium_config_static_selectorELNS0_4arch9wavefront6targetE1EEEvSK_, .Lfunc_end1648-_ZN7rocprim17ROCPRIM_400000_NS6detail17trampoline_kernelINS0_14default_configENS1_36segmented_radix_sort_config_selectorIblEEZNS1_25segmented_radix_sort_implIS3_Lb0EPKbPbPKlPlN2at6native12_GLOBAL__N_18offset_tEEE10hipError_tPvRmT1_PNSt15iterator_traitsISK_E10value_typeET2_T3_PNSL_ISQ_E10value_typeET4_jRbjT5_SW_jjP12ihipStream_tbEUlT_E0_NS1_11comp_targetILNS1_3genE2ELNS1_11target_archE906ELNS1_3gpuE6ELNS1_3repE0EEENS1_60segmented_radix_sort_warp_sort_medium_config_static_selectorELNS0_4arch9wavefront6targetE1EEEvSK_
                                        ; -- End function
	.section	.AMDGPU.csdata,"",@progbits
; Kernel info:
; codeLenInByte = 0
; NumSgprs: 4
; NumVgprs: 0
; NumAgprs: 0
; TotalNumVgprs: 0
; ScratchSize: 0
; MemoryBound: 0
; FloatMode: 240
; IeeeMode: 1
; LDSByteSize: 0 bytes/workgroup (compile time only)
; SGPRBlocks: 0
; VGPRBlocks: 0
; NumSGPRsForWavesPerEU: 4
; NumVGPRsForWavesPerEU: 1
; AccumOffset: 4
; Occupancy: 8
; WaveLimiterHint : 0
; COMPUTE_PGM_RSRC2:SCRATCH_EN: 0
; COMPUTE_PGM_RSRC2:USER_SGPR: 6
; COMPUTE_PGM_RSRC2:TRAP_HANDLER: 0
; COMPUTE_PGM_RSRC2:TGID_X_EN: 1
; COMPUTE_PGM_RSRC2:TGID_Y_EN: 0
; COMPUTE_PGM_RSRC2:TGID_Z_EN: 0
; COMPUTE_PGM_RSRC2:TIDIG_COMP_CNT: 0
; COMPUTE_PGM_RSRC3_GFX90A:ACCUM_OFFSET: 0
; COMPUTE_PGM_RSRC3_GFX90A:TG_SPLIT: 0
	.section	.text._ZN7rocprim17ROCPRIM_400000_NS6detail17trampoline_kernelINS0_14default_configENS1_36segmented_radix_sort_config_selectorIblEEZNS1_25segmented_radix_sort_implIS3_Lb0EPKbPbPKlPlN2at6native12_GLOBAL__N_18offset_tEEE10hipError_tPvRmT1_PNSt15iterator_traitsISK_E10value_typeET2_T3_PNSL_ISQ_E10value_typeET4_jRbjT5_SW_jjP12ihipStream_tbEUlT_E0_NS1_11comp_targetILNS1_3genE10ELNS1_11target_archE1201ELNS1_3gpuE5ELNS1_3repE0EEENS1_60segmented_radix_sort_warp_sort_medium_config_static_selectorELNS0_4arch9wavefront6targetE1EEEvSK_,"axG",@progbits,_ZN7rocprim17ROCPRIM_400000_NS6detail17trampoline_kernelINS0_14default_configENS1_36segmented_radix_sort_config_selectorIblEEZNS1_25segmented_radix_sort_implIS3_Lb0EPKbPbPKlPlN2at6native12_GLOBAL__N_18offset_tEEE10hipError_tPvRmT1_PNSt15iterator_traitsISK_E10value_typeET2_T3_PNSL_ISQ_E10value_typeET4_jRbjT5_SW_jjP12ihipStream_tbEUlT_E0_NS1_11comp_targetILNS1_3genE10ELNS1_11target_archE1201ELNS1_3gpuE5ELNS1_3repE0EEENS1_60segmented_radix_sort_warp_sort_medium_config_static_selectorELNS0_4arch9wavefront6targetE1EEEvSK_,comdat
	.globl	_ZN7rocprim17ROCPRIM_400000_NS6detail17trampoline_kernelINS0_14default_configENS1_36segmented_radix_sort_config_selectorIblEEZNS1_25segmented_radix_sort_implIS3_Lb0EPKbPbPKlPlN2at6native12_GLOBAL__N_18offset_tEEE10hipError_tPvRmT1_PNSt15iterator_traitsISK_E10value_typeET2_T3_PNSL_ISQ_E10value_typeET4_jRbjT5_SW_jjP12ihipStream_tbEUlT_E0_NS1_11comp_targetILNS1_3genE10ELNS1_11target_archE1201ELNS1_3gpuE5ELNS1_3repE0EEENS1_60segmented_radix_sort_warp_sort_medium_config_static_selectorELNS0_4arch9wavefront6targetE1EEEvSK_ ; -- Begin function _ZN7rocprim17ROCPRIM_400000_NS6detail17trampoline_kernelINS0_14default_configENS1_36segmented_radix_sort_config_selectorIblEEZNS1_25segmented_radix_sort_implIS3_Lb0EPKbPbPKlPlN2at6native12_GLOBAL__N_18offset_tEEE10hipError_tPvRmT1_PNSt15iterator_traitsISK_E10value_typeET2_T3_PNSL_ISQ_E10value_typeET4_jRbjT5_SW_jjP12ihipStream_tbEUlT_E0_NS1_11comp_targetILNS1_3genE10ELNS1_11target_archE1201ELNS1_3gpuE5ELNS1_3repE0EEENS1_60segmented_radix_sort_warp_sort_medium_config_static_selectorELNS0_4arch9wavefront6targetE1EEEvSK_
	.p2align	8
	.type	_ZN7rocprim17ROCPRIM_400000_NS6detail17trampoline_kernelINS0_14default_configENS1_36segmented_radix_sort_config_selectorIblEEZNS1_25segmented_radix_sort_implIS3_Lb0EPKbPbPKlPlN2at6native12_GLOBAL__N_18offset_tEEE10hipError_tPvRmT1_PNSt15iterator_traitsISK_E10value_typeET2_T3_PNSL_ISQ_E10value_typeET4_jRbjT5_SW_jjP12ihipStream_tbEUlT_E0_NS1_11comp_targetILNS1_3genE10ELNS1_11target_archE1201ELNS1_3gpuE5ELNS1_3repE0EEENS1_60segmented_radix_sort_warp_sort_medium_config_static_selectorELNS0_4arch9wavefront6targetE1EEEvSK_,@function
_ZN7rocprim17ROCPRIM_400000_NS6detail17trampoline_kernelINS0_14default_configENS1_36segmented_radix_sort_config_selectorIblEEZNS1_25segmented_radix_sort_implIS3_Lb0EPKbPbPKlPlN2at6native12_GLOBAL__N_18offset_tEEE10hipError_tPvRmT1_PNSt15iterator_traitsISK_E10value_typeET2_T3_PNSL_ISQ_E10value_typeET4_jRbjT5_SW_jjP12ihipStream_tbEUlT_E0_NS1_11comp_targetILNS1_3genE10ELNS1_11target_archE1201ELNS1_3gpuE5ELNS1_3repE0EEENS1_60segmented_radix_sort_warp_sort_medium_config_static_selectorELNS0_4arch9wavefront6targetE1EEEvSK_: ; @_ZN7rocprim17ROCPRIM_400000_NS6detail17trampoline_kernelINS0_14default_configENS1_36segmented_radix_sort_config_selectorIblEEZNS1_25segmented_radix_sort_implIS3_Lb0EPKbPbPKlPlN2at6native12_GLOBAL__N_18offset_tEEE10hipError_tPvRmT1_PNSt15iterator_traitsISK_E10value_typeET2_T3_PNSL_ISQ_E10value_typeET4_jRbjT5_SW_jjP12ihipStream_tbEUlT_E0_NS1_11comp_targetILNS1_3genE10ELNS1_11target_archE1201ELNS1_3gpuE5ELNS1_3repE0EEENS1_60segmented_radix_sort_warp_sort_medium_config_static_selectorELNS0_4arch9wavefront6targetE1EEEvSK_
; %bb.0:
	.section	.rodata,"a",@progbits
	.p2align	6, 0x0
	.amdhsa_kernel _ZN7rocprim17ROCPRIM_400000_NS6detail17trampoline_kernelINS0_14default_configENS1_36segmented_radix_sort_config_selectorIblEEZNS1_25segmented_radix_sort_implIS3_Lb0EPKbPbPKlPlN2at6native12_GLOBAL__N_18offset_tEEE10hipError_tPvRmT1_PNSt15iterator_traitsISK_E10value_typeET2_T3_PNSL_ISQ_E10value_typeET4_jRbjT5_SW_jjP12ihipStream_tbEUlT_E0_NS1_11comp_targetILNS1_3genE10ELNS1_11target_archE1201ELNS1_3gpuE5ELNS1_3repE0EEENS1_60segmented_radix_sort_warp_sort_medium_config_static_selectorELNS0_4arch9wavefront6targetE1EEEvSK_
		.amdhsa_group_segment_fixed_size 0
		.amdhsa_private_segment_fixed_size 0
		.amdhsa_kernarg_size 88
		.amdhsa_user_sgpr_count 6
		.amdhsa_user_sgpr_private_segment_buffer 1
		.amdhsa_user_sgpr_dispatch_ptr 0
		.amdhsa_user_sgpr_queue_ptr 0
		.amdhsa_user_sgpr_kernarg_segment_ptr 1
		.amdhsa_user_sgpr_dispatch_id 0
		.amdhsa_user_sgpr_flat_scratch_init 0
		.amdhsa_user_sgpr_kernarg_preload_length 0
		.amdhsa_user_sgpr_kernarg_preload_offset 0
		.amdhsa_user_sgpr_private_segment_size 0
		.amdhsa_uses_dynamic_stack 0
		.amdhsa_system_sgpr_private_segment_wavefront_offset 0
		.amdhsa_system_sgpr_workgroup_id_x 1
		.amdhsa_system_sgpr_workgroup_id_y 0
		.amdhsa_system_sgpr_workgroup_id_z 0
		.amdhsa_system_sgpr_workgroup_info 0
		.amdhsa_system_vgpr_workitem_id 0
		.amdhsa_next_free_vgpr 1
		.amdhsa_next_free_sgpr 0
		.amdhsa_accum_offset 4
		.amdhsa_reserve_vcc 0
		.amdhsa_reserve_flat_scratch 0
		.amdhsa_float_round_mode_32 0
		.amdhsa_float_round_mode_16_64 0
		.amdhsa_float_denorm_mode_32 3
		.amdhsa_float_denorm_mode_16_64 3
		.amdhsa_dx10_clamp 1
		.amdhsa_ieee_mode 1
		.amdhsa_fp16_overflow 0
		.amdhsa_tg_split 0
		.amdhsa_exception_fp_ieee_invalid_op 0
		.amdhsa_exception_fp_denorm_src 0
		.amdhsa_exception_fp_ieee_div_zero 0
		.amdhsa_exception_fp_ieee_overflow 0
		.amdhsa_exception_fp_ieee_underflow 0
		.amdhsa_exception_fp_ieee_inexact 0
		.amdhsa_exception_int_div_zero 0
	.end_amdhsa_kernel
	.section	.text._ZN7rocprim17ROCPRIM_400000_NS6detail17trampoline_kernelINS0_14default_configENS1_36segmented_radix_sort_config_selectorIblEEZNS1_25segmented_radix_sort_implIS3_Lb0EPKbPbPKlPlN2at6native12_GLOBAL__N_18offset_tEEE10hipError_tPvRmT1_PNSt15iterator_traitsISK_E10value_typeET2_T3_PNSL_ISQ_E10value_typeET4_jRbjT5_SW_jjP12ihipStream_tbEUlT_E0_NS1_11comp_targetILNS1_3genE10ELNS1_11target_archE1201ELNS1_3gpuE5ELNS1_3repE0EEENS1_60segmented_radix_sort_warp_sort_medium_config_static_selectorELNS0_4arch9wavefront6targetE1EEEvSK_,"axG",@progbits,_ZN7rocprim17ROCPRIM_400000_NS6detail17trampoline_kernelINS0_14default_configENS1_36segmented_radix_sort_config_selectorIblEEZNS1_25segmented_radix_sort_implIS3_Lb0EPKbPbPKlPlN2at6native12_GLOBAL__N_18offset_tEEE10hipError_tPvRmT1_PNSt15iterator_traitsISK_E10value_typeET2_T3_PNSL_ISQ_E10value_typeET4_jRbjT5_SW_jjP12ihipStream_tbEUlT_E0_NS1_11comp_targetILNS1_3genE10ELNS1_11target_archE1201ELNS1_3gpuE5ELNS1_3repE0EEENS1_60segmented_radix_sort_warp_sort_medium_config_static_selectorELNS0_4arch9wavefront6targetE1EEEvSK_,comdat
.Lfunc_end1649:
	.size	_ZN7rocprim17ROCPRIM_400000_NS6detail17trampoline_kernelINS0_14default_configENS1_36segmented_radix_sort_config_selectorIblEEZNS1_25segmented_radix_sort_implIS3_Lb0EPKbPbPKlPlN2at6native12_GLOBAL__N_18offset_tEEE10hipError_tPvRmT1_PNSt15iterator_traitsISK_E10value_typeET2_T3_PNSL_ISQ_E10value_typeET4_jRbjT5_SW_jjP12ihipStream_tbEUlT_E0_NS1_11comp_targetILNS1_3genE10ELNS1_11target_archE1201ELNS1_3gpuE5ELNS1_3repE0EEENS1_60segmented_radix_sort_warp_sort_medium_config_static_selectorELNS0_4arch9wavefront6targetE1EEEvSK_, .Lfunc_end1649-_ZN7rocprim17ROCPRIM_400000_NS6detail17trampoline_kernelINS0_14default_configENS1_36segmented_radix_sort_config_selectorIblEEZNS1_25segmented_radix_sort_implIS3_Lb0EPKbPbPKlPlN2at6native12_GLOBAL__N_18offset_tEEE10hipError_tPvRmT1_PNSt15iterator_traitsISK_E10value_typeET2_T3_PNSL_ISQ_E10value_typeET4_jRbjT5_SW_jjP12ihipStream_tbEUlT_E0_NS1_11comp_targetILNS1_3genE10ELNS1_11target_archE1201ELNS1_3gpuE5ELNS1_3repE0EEENS1_60segmented_radix_sort_warp_sort_medium_config_static_selectorELNS0_4arch9wavefront6targetE1EEEvSK_
                                        ; -- End function
	.section	.AMDGPU.csdata,"",@progbits
; Kernel info:
; codeLenInByte = 0
; NumSgprs: 4
; NumVgprs: 0
; NumAgprs: 0
; TotalNumVgprs: 0
; ScratchSize: 0
; MemoryBound: 0
; FloatMode: 240
; IeeeMode: 1
; LDSByteSize: 0 bytes/workgroup (compile time only)
; SGPRBlocks: 0
; VGPRBlocks: 0
; NumSGPRsForWavesPerEU: 4
; NumVGPRsForWavesPerEU: 1
; AccumOffset: 4
; Occupancy: 8
; WaveLimiterHint : 0
; COMPUTE_PGM_RSRC2:SCRATCH_EN: 0
; COMPUTE_PGM_RSRC2:USER_SGPR: 6
; COMPUTE_PGM_RSRC2:TRAP_HANDLER: 0
; COMPUTE_PGM_RSRC2:TGID_X_EN: 1
; COMPUTE_PGM_RSRC2:TGID_Y_EN: 0
; COMPUTE_PGM_RSRC2:TGID_Z_EN: 0
; COMPUTE_PGM_RSRC2:TIDIG_COMP_CNT: 0
; COMPUTE_PGM_RSRC3_GFX90A:ACCUM_OFFSET: 0
; COMPUTE_PGM_RSRC3_GFX90A:TG_SPLIT: 0
	.section	.text._ZN7rocprim17ROCPRIM_400000_NS6detail17trampoline_kernelINS0_14default_configENS1_36segmented_radix_sort_config_selectorIblEEZNS1_25segmented_radix_sort_implIS3_Lb0EPKbPbPKlPlN2at6native12_GLOBAL__N_18offset_tEEE10hipError_tPvRmT1_PNSt15iterator_traitsISK_E10value_typeET2_T3_PNSL_ISQ_E10value_typeET4_jRbjT5_SW_jjP12ihipStream_tbEUlT_E0_NS1_11comp_targetILNS1_3genE10ELNS1_11target_archE1200ELNS1_3gpuE4ELNS1_3repE0EEENS1_60segmented_radix_sort_warp_sort_medium_config_static_selectorELNS0_4arch9wavefront6targetE1EEEvSK_,"axG",@progbits,_ZN7rocprim17ROCPRIM_400000_NS6detail17trampoline_kernelINS0_14default_configENS1_36segmented_radix_sort_config_selectorIblEEZNS1_25segmented_radix_sort_implIS3_Lb0EPKbPbPKlPlN2at6native12_GLOBAL__N_18offset_tEEE10hipError_tPvRmT1_PNSt15iterator_traitsISK_E10value_typeET2_T3_PNSL_ISQ_E10value_typeET4_jRbjT5_SW_jjP12ihipStream_tbEUlT_E0_NS1_11comp_targetILNS1_3genE10ELNS1_11target_archE1200ELNS1_3gpuE4ELNS1_3repE0EEENS1_60segmented_radix_sort_warp_sort_medium_config_static_selectorELNS0_4arch9wavefront6targetE1EEEvSK_,comdat
	.globl	_ZN7rocprim17ROCPRIM_400000_NS6detail17trampoline_kernelINS0_14default_configENS1_36segmented_radix_sort_config_selectorIblEEZNS1_25segmented_radix_sort_implIS3_Lb0EPKbPbPKlPlN2at6native12_GLOBAL__N_18offset_tEEE10hipError_tPvRmT1_PNSt15iterator_traitsISK_E10value_typeET2_T3_PNSL_ISQ_E10value_typeET4_jRbjT5_SW_jjP12ihipStream_tbEUlT_E0_NS1_11comp_targetILNS1_3genE10ELNS1_11target_archE1200ELNS1_3gpuE4ELNS1_3repE0EEENS1_60segmented_radix_sort_warp_sort_medium_config_static_selectorELNS0_4arch9wavefront6targetE1EEEvSK_ ; -- Begin function _ZN7rocprim17ROCPRIM_400000_NS6detail17trampoline_kernelINS0_14default_configENS1_36segmented_radix_sort_config_selectorIblEEZNS1_25segmented_radix_sort_implIS3_Lb0EPKbPbPKlPlN2at6native12_GLOBAL__N_18offset_tEEE10hipError_tPvRmT1_PNSt15iterator_traitsISK_E10value_typeET2_T3_PNSL_ISQ_E10value_typeET4_jRbjT5_SW_jjP12ihipStream_tbEUlT_E0_NS1_11comp_targetILNS1_3genE10ELNS1_11target_archE1200ELNS1_3gpuE4ELNS1_3repE0EEENS1_60segmented_radix_sort_warp_sort_medium_config_static_selectorELNS0_4arch9wavefront6targetE1EEEvSK_
	.p2align	8
	.type	_ZN7rocprim17ROCPRIM_400000_NS6detail17trampoline_kernelINS0_14default_configENS1_36segmented_radix_sort_config_selectorIblEEZNS1_25segmented_radix_sort_implIS3_Lb0EPKbPbPKlPlN2at6native12_GLOBAL__N_18offset_tEEE10hipError_tPvRmT1_PNSt15iterator_traitsISK_E10value_typeET2_T3_PNSL_ISQ_E10value_typeET4_jRbjT5_SW_jjP12ihipStream_tbEUlT_E0_NS1_11comp_targetILNS1_3genE10ELNS1_11target_archE1200ELNS1_3gpuE4ELNS1_3repE0EEENS1_60segmented_radix_sort_warp_sort_medium_config_static_selectorELNS0_4arch9wavefront6targetE1EEEvSK_,@function
_ZN7rocprim17ROCPRIM_400000_NS6detail17trampoline_kernelINS0_14default_configENS1_36segmented_radix_sort_config_selectorIblEEZNS1_25segmented_radix_sort_implIS3_Lb0EPKbPbPKlPlN2at6native12_GLOBAL__N_18offset_tEEE10hipError_tPvRmT1_PNSt15iterator_traitsISK_E10value_typeET2_T3_PNSL_ISQ_E10value_typeET4_jRbjT5_SW_jjP12ihipStream_tbEUlT_E0_NS1_11comp_targetILNS1_3genE10ELNS1_11target_archE1200ELNS1_3gpuE4ELNS1_3repE0EEENS1_60segmented_radix_sort_warp_sort_medium_config_static_selectorELNS0_4arch9wavefront6targetE1EEEvSK_: ; @_ZN7rocprim17ROCPRIM_400000_NS6detail17trampoline_kernelINS0_14default_configENS1_36segmented_radix_sort_config_selectorIblEEZNS1_25segmented_radix_sort_implIS3_Lb0EPKbPbPKlPlN2at6native12_GLOBAL__N_18offset_tEEE10hipError_tPvRmT1_PNSt15iterator_traitsISK_E10value_typeET2_T3_PNSL_ISQ_E10value_typeET4_jRbjT5_SW_jjP12ihipStream_tbEUlT_E0_NS1_11comp_targetILNS1_3genE10ELNS1_11target_archE1200ELNS1_3gpuE4ELNS1_3repE0EEENS1_60segmented_radix_sort_warp_sort_medium_config_static_selectorELNS0_4arch9wavefront6targetE1EEEvSK_
; %bb.0:
	.section	.rodata,"a",@progbits
	.p2align	6, 0x0
	.amdhsa_kernel _ZN7rocprim17ROCPRIM_400000_NS6detail17trampoline_kernelINS0_14default_configENS1_36segmented_radix_sort_config_selectorIblEEZNS1_25segmented_radix_sort_implIS3_Lb0EPKbPbPKlPlN2at6native12_GLOBAL__N_18offset_tEEE10hipError_tPvRmT1_PNSt15iterator_traitsISK_E10value_typeET2_T3_PNSL_ISQ_E10value_typeET4_jRbjT5_SW_jjP12ihipStream_tbEUlT_E0_NS1_11comp_targetILNS1_3genE10ELNS1_11target_archE1200ELNS1_3gpuE4ELNS1_3repE0EEENS1_60segmented_radix_sort_warp_sort_medium_config_static_selectorELNS0_4arch9wavefront6targetE1EEEvSK_
		.amdhsa_group_segment_fixed_size 0
		.amdhsa_private_segment_fixed_size 0
		.amdhsa_kernarg_size 88
		.amdhsa_user_sgpr_count 6
		.amdhsa_user_sgpr_private_segment_buffer 1
		.amdhsa_user_sgpr_dispatch_ptr 0
		.amdhsa_user_sgpr_queue_ptr 0
		.amdhsa_user_sgpr_kernarg_segment_ptr 1
		.amdhsa_user_sgpr_dispatch_id 0
		.amdhsa_user_sgpr_flat_scratch_init 0
		.amdhsa_user_sgpr_kernarg_preload_length 0
		.amdhsa_user_sgpr_kernarg_preload_offset 0
		.amdhsa_user_sgpr_private_segment_size 0
		.amdhsa_uses_dynamic_stack 0
		.amdhsa_system_sgpr_private_segment_wavefront_offset 0
		.amdhsa_system_sgpr_workgroup_id_x 1
		.amdhsa_system_sgpr_workgroup_id_y 0
		.amdhsa_system_sgpr_workgroup_id_z 0
		.amdhsa_system_sgpr_workgroup_info 0
		.amdhsa_system_vgpr_workitem_id 0
		.amdhsa_next_free_vgpr 1
		.amdhsa_next_free_sgpr 0
		.amdhsa_accum_offset 4
		.amdhsa_reserve_vcc 0
		.amdhsa_reserve_flat_scratch 0
		.amdhsa_float_round_mode_32 0
		.amdhsa_float_round_mode_16_64 0
		.amdhsa_float_denorm_mode_32 3
		.amdhsa_float_denorm_mode_16_64 3
		.amdhsa_dx10_clamp 1
		.amdhsa_ieee_mode 1
		.amdhsa_fp16_overflow 0
		.amdhsa_tg_split 0
		.amdhsa_exception_fp_ieee_invalid_op 0
		.amdhsa_exception_fp_denorm_src 0
		.amdhsa_exception_fp_ieee_div_zero 0
		.amdhsa_exception_fp_ieee_overflow 0
		.amdhsa_exception_fp_ieee_underflow 0
		.amdhsa_exception_fp_ieee_inexact 0
		.amdhsa_exception_int_div_zero 0
	.end_amdhsa_kernel
	.section	.text._ZN7rocprim17ROCPRIM_400000_NS6detail17trampoline_kernelINS0_14default_configENS1_36segmented_radix_sort_config_selectorIblEEZNS1_25segmented_radix_sort_implIS3_Lb0EPKbPbPKlPlN2at6native12_GLOBAL__N_18offset_tEEE10hipError_tPvRmT1_PNSt15iterator_traitsISK_E10value_typeET2_T3_PNSL_ISQ_E10value_typeET4_jRbjT5_SW_jjP12ihipStream_tbEUlT_E0_NS1_11comp_targetILNS1_3genE10ELNS1_11target_archE1200ELNS1_3gpuE4ELNS1_3repE0EEENS1_60segmented_radix_sort_warp_sort_medium_config_static_selectorELNS0_4arch9wavefront6targetE1EEEvSK_,"axG",@progbits,_ZN7rocprim17ROCPRIM_400000_NS6detail17trampoline_kernelINS0_14default_configENS1_36segmented_radix_sort_config_selectorIblEEZNS1_25segmented_radix_sort_implIS3_Lb0EPKbPbPKlPlN2at6native12_GLOBAL__N_18offset_tEEE10hipError_tPvRmT1_PNSt15iterator_traitsISK_E10value_typeET2_T3_PNSL_ISQ_E10value_typeET4_jRbjT5_SW_jjP12ihipStream_tbEUlT_E0_NS1_11comp_targetILNS1_3genE10ELNS1_11target_archE1200ELNS1_3gpuE4ELNS1_3repE0EEENS1_60segmented_radix_sort_warp_sort_medium_config_static_selectorELNS0_4arch9wavefront6targetE1EEEvSK_,comdat
.Lfunc_end1650:
	.size	_ZN7rocprim17ROCPRIM_400000_NS6detail17trampoline_kernelINS0_14default_configENS1_36segmented_radix_sort_config_selectorIblEEZNS1_25segmented_radix_sort_implIS3_Lb0EPKbPbPKlPlN2at6native12_GLOBAL__N_18offset_tEEE10hipError_tPvRmT1_PNSt15iterator_traitsISK_E10value_typeET2_T3_PNSL_ISQ_E10value_typeET4_jRbjT5_SW_jjP12ihipStream_tbEUlT_E0_NS1_11comp_targetILNS1_3genE10ELNS1_11target_archE1200ELNS1_3gpuE4ELNS1_3repE0EEENS1_60segmented_radix_sort_warp_sort_medium_config_static_selectorELNS0_4arch9wavefront6targetE1EEEvSK_, .Lfunc_end1650-_ZN7rocprim17ROCPRIM_400000_NS6detail17trampoline_kernelINS0_14default_configENS1_36segmented_radix_sort_config_selectorIblEEZNS1_25segmented_radix_sort_implIS3_Lb0EPKbPbPKlPlN2at6native12_GLOBAL__N_18offset_tEEE10hipError_tPvRmT1_PNSt15iterator_traitsISK_E10value_typeET2_T3_PNSL_ISQ_E10value_typeET4_jRbjT5_SW_jjP12ihipStream_tbEUlT_E0_NS1_11comp_targetILNS1_3genE10ELNS1_11target_archE1200ELNS1_3gpuE4ELNS1_3repE0EEENS1_60segmented_radix_sort_warp_sort_medium_config_static_selectorELNS0_4arch9wavefront6targetE1EEEvSK_
                                        ; -- End function
	.section	.AMDGPU.csdata,"",@progbits
; Kernel info:
; codeLenInByte = 0
; NumSgprs: 4
; NumVgprs: 0
; NumAgprs: 0
; TotalNumVgprs: 0
; ScratchSize: 0
; MemoryBound: 0
; FloatMode: 240
; IeeeMode: 1
; LDSByteSize: 0 bytes/workgroup (compile time only)
; SGPRBlocks: 0
; VGPRBlocks: 0
; NumSGPRsForWavesPerEU: 4
; NumVGPRsForWavesPerEU: 1
; AccumOffset: 4
; Occupancy: 8
; WaveLimiterHint : 0
; COMPUTE_PGM_RSRC2:SCRATCH_EN: 0
; COMPUTE_PGM_RSRC2:USER_SGPR: 6
; COMPUTE_PGM_RSRC2:TRAP_HANDLER: 0
; COMPUTE_PGM_RSRC2:TGID_X_EN: 1
; COMPUTE_PGM_RSRC2:TGID_Y_EN: 0
; COMPUTE_PGM_RSRC2:TGID_Z_EN: 0
; COMPUTE_PGM_RSRC2:TIDIG_COMP_CNT: 0
; COMPUTE_PGM_RSRC3_GFX90A:ACCUM_OFFSET: 0
; COMPUTE_PGM_RSRC3_GFX90A:TG_SPLIT: 0
	.section	.text._ZN7rocprim17ROCPRIM_400000_NS6detail17trampoline_kernelINS0_14default_configENS1_36segmented_radix_sort_config_selectorIblEEZNS1_25segmented_radix_sort_implIS3_Lb0EPKbPbPKlPlN2at6native12_GLOBAL__N_18offset_tEEE10hipError_tPvRmT1_PNSt15iterator_traitsISK_E10value_typeET2_T3_PNSL_ISQ_E10value_typeET4_jRbjT5_SW_jjP12ihipStream_tbEUlT_E0_NS1_11comp_targetILNS1_3genE9ELNS1_11target_archE1100ELNS1_3gpuE3ELNS1_3repE0EEENS1_60segmented_radix_sort_warp_sort_medium_config_static_selectorELNS0_4arch9wavefront6targetE1EEEvSK_,"axG",@progbits,_ZN7rocprim17ROCPRIM_400000_NS6detail17trampoline_kernelINS0_14default_configENS1_36segmented_radix_sort_config_selectorIblEEZNS1_25segmented_radix_sort_implIS3_Lb0EPKbPbPKlPlN2at6native12_GLOBAL__N_18offset_tEEE10hipError_tPvRmT1_PNSt15iterator_traitsISK_E10value_typeET2_T3_PNSL_ISQ_E10value_typeET4_jRbjT5_SW_jjP12ihipStream_tbEUlT_E0_NS1_11comp_targetILNS1_3genE9ELNS1_11target_archE1100ELNS1_3gpuE3ELNS1_3repE0EEENS1_60segmented_radix_sort_warp_sort_medium_config_static_selectorELNS0_4arch9wavefront6targetE1EEEvSK_,comdat
	.globl	_ZN7rocprim17ROCPRIM_400000_NS6detail17trampoline_kernelINS0_14default_configENS1_36segmented_radix_sort_config_selectorIblEEZNS1_25segmented_radix_sort_implIS3_Lb0EPKbPbPKlPlN2at6native12_GLOBAL__N_18offset_tEEE10hipError_tPvRmT1_PNSt15iterator_traitsISK_E10value_typeET2_T3_PNSL_ISQ_E10value_typeET4_jRbjT5_SW_jjP12ihipStream_tbEUlT_E0_NS1_11comp_targetILNS1_3genE9ELNS1_11target_archE1100ELNS1_3gpuE3ELNS1_3repE0EEENS1_60segmented_radix_sort_warp_sort_medium_config_static_selectorELNS0_4arch9wavefront6targetE1EEEvSK_ ; -- Begin function _ZN7rocprim17ROCPRIM_400000_NS6detail17trampoline_kernelINS0_14default_configENS1_36segmented_radix_sort_config_selectorIblEEZNS1_25segmented_radix_sort_implIS3_Lb0EPKbPbPKlPlN2at6native12_GLOBAL__N_18offset_tEEE10hipError_tPvRmT1_PNSt15iterator_traitsISK_E10value_typeET2_T3_PNSL_ISQ_E10value_typeET4_jRbjT5_SW_jjP12ihipStream_tbEUlT_E0_NS1_11comp_targetILNS1_3genE9ELNS1_11target_archE1100ELNS1_3gpuE3ELNS1_3repE0EEENS1_60segmented_radix_sort_warp_sort_medium_config_static_selectorELNS0_4arch9wavefront6targetE1EEEvSK_
	.p2align	8
	.type	_ZN7rocprim17ROCPRIM_400000_NS6detail17trampoline_kernelINS0_14default_configENS1_36segmented_radix_sort_config_selectorIblEEZNS1_25segmented_radix_sort_implIS3_Lb0EPKbPbPKlPlN2at6native12_GLOBAL__N_18offset_tEEE10hipError_tPvRmT1_PNSt15iterator_traitsISK_E10value_typeET2_T3_PNSL_ISQ_E10value_typeET4_jRbjT5_SW_jjP12ihipStream_tbEUlT_E0_NS1_11comp_targetILNS1_3genE9ELNS1_11target_archE1100ELNS1_3gpuE3ELNS1_3repE0EEENS1_60segmented_radix_sort_warp_sort_medium_config_static_selectorELNS0_4arch9wavefront6targetE1EEEvSK_,@function
_ZN7rocprim17ROCPRIM_400000_NS6detail17trampoline_kernelINS0_14default_configENS1_36segmented_radix_sort_config_selectorIblEEZNS1_25segmented_radix_sort_implIS3_Lb0EPKbPbPKlPlN2at6native12_GLOBAL__N_18offset_tEEE10hipError_tPvRmT1_PNSt15iterator_traitsISK_E10value_typeET2_T3_PNSL_ISQ_E10value_typeET4_jRbjT5_SW_jjP12ihipStream_tbEUlT_E0_NS1_11comp_targetILNS1_3genE9ELNS1_11target_archE1100ELNS1_3gpuE3ELNS1_3repE0EEENS1_60segmented_radix_sort_warp_sort_medium_config_static_selectorELNS0_4arch9wavefront6targetE1EEEvSK_: ; @_ZN7rocprim17ROCPRIM_400000_NS6detail17trampoline_kernelINS0_14default_configENS1_36segmented_radix_sort_config_selectorIblEEZNS1_25segmented_radix_sort_implIS3_Lb0EPKbPbPKlPlN2at6native12_GLOBAL__N_18offset_tEEE10hipError_tPvRmT1_PNSt15iterator_traitsISK_E10value_typeET2_T3_PNSL_ISQ_E10value_typeET4_jRbjT5_SW_jjP12ihipStream_tbEUlT_E0_NS1_11comp_targetILNS1_3genE9ELNS1_11target_archE1100ELNS1_3gpuE3ELNS1_3repE0EEENS1_60segmented_radix_sort_warp_sort_medium_config_static_selectorELNS0_4arch9wavefront6targetE1EEEvSK_
; %bb.0:
	.section	.rodata,"a",@progbits
	.p2align	6, 0x0
	.amdhsa_kernel _ZN7rocprim17ROCPRIM_400000_NS6detail17trampoline_kernelINS0_14default_configENS1_36segmented_radix_sort_config_selectorIblEEZNS1_25segmented_radix_sort_implIS3_Lb0EPKbPbPKlPlN2at6native12_GLOBAL__N_18offset_tEEE10hipError_tPvRmT1_PNSt15iterator_traitsISK_E10value_typeET2_T3_PNSL_ISQ_E10value_typeET4_jRbjT5_SW_jjP12ihipStream_tbEUlT_E0_NS1_11comp_targetILNS1_3genE9ELNS1_11target_archE1100ELNS1_3gpuE3ELNS1_3repE0EEENS1_60segmented_radix_sort_warp_sort_medium_config_static_selectorELNS0_4arch9wavefront6targetE1EEEvSK_
		.amdhsa_group_segment_fixed_size 0
		.amdhsa_private_segment_fixed_size 0
		.amdhsa_kernarg_size 88
		.amdhsa_user_sgpr_count 6
		.amdhsa_user_sgpr_private_segment_buffer 1
		.amdhsa_user_sgpr_dispatch_ptr 0
		.amdhsa_user_sgpr_queue_ptr 0
		.amdhsa_user_sgpr_kernarg_segment_ptr 1
		.amdhsa_user_sgpr_dispatch_id 0
		.amdhsa_user_sgpr_flat_scratch_init 0
		.amdhsa_user_sgpr_kernarg_preload_length 0
		.amdhsa_user_sgpr_kernarg_preload_offset 0
		.amdhsa_user_sgpr_private_segment_size 0
		.amdhsa_uses_dynamic_stack 0
		.amdhsa_system_sgpr_private_segment_wavefront_offset 0
		.amdhsa_system_sgpr_workgroup_id_x 1
		.amdhsa_system_sgpr_workgroup_id_y 0
		.amdhsa_system_sgpr_workgroup_id_z 0
		.amdhsa_system_sgpr_workgroup_info 0
		.amdhsa_system_vgpr_workitem_id 0
		.amdhsa_next_free_vgpr 1
		.amdhsa_next_free_sgpr 0
		.amdhsa_accum_offset 4
		.amdhsa_reserve_vcc 0
		.amdhsa_reserve_flat_scratch 0
		.amdhsa_float_round_mode_32 0
		.amdhsa_float_round_mode_16_64 0
		.amdhsa_float_denorm_mode_32 3
		.amdhsa_float_denorm_mode_16_64 3
		.amdhsa_dx10_clamp 1
		.amdhsa_ieee_mode 1
		.amdhsa_fp16_overflow 0
		.amdhsa_tg_split 0
		.amdhsa_exception_fp_ieee_invalid_op 0
		.amdhsa_exception_fp_denorm_src 0
		.amdhsa_exception_fp_ieee_div_zero 0
		.amdhsa_exception_fp_ieee_overflow 0
		.amdhsa_exception_fp_ieee_underflow 0
		.amdhsa_exception_fp_ieee_inexact 0
		.amdhsa_exception_int_div_zero 0
	.end_amdhsa_kernel
	.section	.text._ZN7rocprim17ROCPRIM_400000_NS6detail17trampoline_kernelINS0_14default_configENS1_36segmented_radix_sort_config_selectorIblEEZNS1_25segmented_radix_sort_implIS3_Lb0EPKbPbPKlPlN2at6native12_GLOBAL__N_18offset_tEEE10hipError_tPvRmT1_PNSt15iterator_traitsISK_E10value_typeET2_T3_PNSL_ISQ_E10value_typeET4_jRbjT5_SW_jjP12ihipStream_tbEUlT_E0_NS1_11comp_targetILNS1_3genE9ELNS1_11target_archE1100ELNS1_3gpuE3ELNS1_3repE0EEENS1_60segmented_radix_sort_warp_sort_medium_config_static_selectorELNS0_4arch9wavefront6targetE1EEEvSK_,"axG",@progbits,_ZN7rocprim17ROCPRIM_400000_NS6detail17trampoline_kernelINS0_14default_configENS1_36segmented_radix_sort_config_selectorIblEEZNS1_25segmented_radix_sort_implIS3_Lb0EPKbPbPKlPlN2at6native12_GLOBAL__N_18offset_tEEE10hipError_tPvRmT1_PNSt15iterator_traitsISK_E10value_typeET2_T3_PNSL_ISQ_E10value_typeET4_jRbjT5_SW_jjP12ihipStream_tbEUlT_E0_NS1_11comp_targetILNS1_3genE9ELNS1_11target_archE1100ELNS1_3gpuE3ELNS1_3repE0EEENS1_60segmented_radix_sort_warp_sort_medium_config_static_selectorELNS0_4arch9wavefront6targetE1EEEvSK_,comdat
.Lfunc_end1651:
	.size	_ZN7rocprim17ROCPRIM_400000_NS6detail17trampoline_kernelINS0_14default_configENS1_36segmented_radix_sort_config_selectorIblEEZNS1_25segmented_radix_sort_implIS3_Lb0EPKbPbPKlPlN2at6native12_GLOBAL__N_18offset_tEEE10hipError_tPvRmT1_PNSt15iterator_traitsISK_E10value_typeET2_T3_PNSL_ISQ_E10value_typeET4_jRbjT5_SW_jjP12ihipStream_tbEUlT_E0_NS1_11comp_targetILNS1_3genE9ELNS1_11target_archE1100ELNS1_3gpuE3ELNS1_3repE0EEENS1_60segmented_radix_sort_warp_sort_medium_config_static_selectorELNS0_4arch9wavefront6targetE1EEEvSK_, .Lfunc_end1651-_ZN7rocprim17ROCPRIM_400000_NS6detail17trampoline_kernelINS0_14default_configENS1_36segmented_radix_sort_config_selectorIblEEZNS1_25segmented_radix_sort_implIS3_Lb0EPKbPbPKlPlN2at6native12_GLOBAL__N_18offset_tEEE10hipError_tPvRmT1_PNSt15iterator_traitsISK_E10value_typeET2_T3_PNSL_ISQ_E10value_typeET4_jRbjT5_SW_jjP12ihipStream_tbEUlT_E0_NS1_11comp_targetILNS1_3genE9ELNS1_11target_archE1100ELNS1_3gpuE3ELNS1_3repE0EEENS1_60segmented_radix_sort_warp_sort_medium_config_static_selectorELNS0_4arch9wavefront6targetE1EEEvSK_
                                        ; -- End function
	.section	.AMDGPU.csdata,"",@progbits
; Kernel info:
; codeLenInByte = 0
; NumSgprs: 4
; NumVgprs: 0
; NumAgprs: 0
; TotalNumVgprs: 0
; ScratchSize: 0
; MemoryBound: 0
; FloatMode: 240
; IeeeMode: 1
; LDSByteSize: 0 bytes/workgroup (compile time only)
; SGPRBlocks: 0
; VGPRBlocks: 0
; NumSGPRsForWavesPerEU: 4
; NumVGPRsForWavesPerEU: 1
; AccumOffset: 4
; Occupancy: 8
; WaveLimiterHint : 0
; COMPUTE_PGM_RSRC2:SCRATCH_EN: 0
; COMPUTE_PGM_RSRC2:USER_SGPR: 6
; COMPUTE_PGM_RSRC2:TRAP_HANDLER: 0
; COMPUTE_PGM_RSRC2:TGID_X_EN: 1
; COMPUTE_PGM_RSRC2:TGID_Y_EN: 0
; COMPUTE_PGM_RSRC2:TGID_Z_EN: 0
; COMPUTE_PGM_RSRC2:TIDIG_COMP_CNT: 0
; COMPUTE_PGM_RSRC3_GFX90A:ACCUM_OFFSET: 0
; COMPUTE_PGM_RSRC3_GFX90A:TG_SPLIT: 0
	.section	.text._ZN7rocprim17ROCPRIM_400000_NS6detail17trampoline_kernelINS0_14default_configENS1_36segmented_radix_sort_config_selectorIblEEZNS1_25segmented_radix_sort_implIS3_Lb0EPKbPbPKlPlN2at6native12_GLOBAL__N_18offset_tEEE10hipError_tPvRmT1_PNSt15iterator_traitsISK_E10value_typeET2_T3_PNSL_ISQ_E10value_typeET4_jRbjT5_SW_jjP12ihipStream_tbEUlT_E0_NS1_11comp_targetILNS1_3genE8ELNS1_11target_archE1030ELNS1_3gpuE2ELNS1_3repE0EEENS1_60segmented_radix_sort_warp_sort_medium_config_static_selectorELNS0_4arch9wavefront6targetE1EEEvSK_,"axG",@progbits,_ZN7rocprim17ROCPRIM_400000_NS6detail17trampoline_kernelINS0_14default_configENS1_36segmented_radix_sort_config_selectorIblEEZNS1_25segmented_radix_sort_implIS3_Lb0EPKbPbPKlPlN2at6native12_GLOBAL__N_18offset_tEEE10hipError_tPvRmT1_PNSt15iterator_traitsISK_E10value_typeET2_T3_PNSL_ISQ_E10value_typeET4_jRbjT5_SW_jjP12ihipStream_tbEUlT_E0_NS1_11comp_targetILNS1_3genE8ELNS1_11target_archE1030ELNS1_3gpuE2ELNS1_3repE0EEENS1_60segmented_radix_sort_warp_sort_medium_config_static_selectorELNS0_4arch9wavefront6targetE1EEEvSK_,comdat
	.globl	_ZN7rocprim17ROCPRIM_400000_NS6detail17trampoline_kernelINS0_14default_configENS1_36segmented_radix_sort_config_selectorIblEEZNS1_25segmented_radix_sort_implIS3_Lb0EPKbPbPKlPlN2at6native12_GLOBAL__N_18offset_tEEE10hipError_tPvRmT1_PNSt15iterator_traitsISK_E10value_typeET2_T3_PNSL_ISQ_E10value_typeET4_jRbjT5_SW_jjP12ihipStream_tbEUlT_E0_NS1_11comp_targetILNS1_3genE8ELNS1_11target_archE1030ELNS1_3gpuE2ELNS1_3repE0EEENS1_60segmented_radix_sort_warp_sort_medium_config_static_selectorELNS0_4arch9wavefront6targetE1EEEvSK_ ; -- Begin function _ZN7rocprim17ROCPRIM_400000_NS6detail17trampoline_kernelINS0_14default_configENS1_36segmented_radix_sort_config_selectorIblEEZNS1_25segmented_radix_sort_implIS3_Lb0EPKbPbPKlPlN2at6native12_GLOBAL__N_18offset_tEEE10hipError_tPvRmT1_PNSt15iterator_traitsISK_E10value_typeET2_T3_PNSL_ISQ_E10value_typeET4_jRbjT5_SW_jjP12ihipStream_tbEUlT_E0_NS1_11comp_targetILNS1_3genE8ELNS1_11target_archE1030ELNS1_3gpuE2ELNS1_3repE0EEENS1_60segmented_radix_sort_warp_sort_medium_config_static_selectorELNS0_4arch9wavefront6targetE1EEEvSK_
	.p2align	8
	.type	_ZN7rocprim17ROCPRIM_400000_NS6detail17trampoline_kernelINS0_14default_configENS1_36segmented_radix_sort_config_selectorIblEEZNS1_25segmented_radix_sort_implIS3_Lb0EPKbPbPKlPlN2at6native12_GLOBAL__N_18offset_tEEE10hipError_tPvRmT1_PNSt15iterator_traitsISK_E10value_typeET2_T3_PNSL_ISQ_E10value_typeET4_jRbjT5_SW_jjP12ihipStream_tbEUlT_E0_NS1_11comp_targetILNS1_3genE8ELNS1_11target_archE1030ELNS1_3gpuE2ELNS1_3repE0EEENS1_60segmented_radix_sort_warp_sort_medium_config_static_selectorELNS0_4arch9wavefront6targetE1EEEvSK_,@function
_ZN7rocprim17ROCPRIM_400000_NS6detail17trampoline_kernelINS0_14default_configENS1_36segmented_radix_sort_config_selectorIblEEZNS1_25segmented_radix_sort_implIS3_Lb0EPKbPbPKlPlN2at6native12_GLOBAL__N_18offset_tEEE10hipError_tPvRmT1_PNSt15iterator_traitsISK_E10value_typeET2_T3_PNSL_ISQ_E10value_typeET4_jRbjT5_SW_jjP12ihipStream_tbEUlT_E0_NS1_11comp_targetILNS1_3genE8ELNS1_11target_archE1030ELNS1_3gpuE2ELNS1_3repE0EEENS1_60segmented_radix_sort_warp_sort_medium_config_static_selectorELNS0_4arch9wavefront6targetE1EEEvSK_: ; @_ZN7rocprim17ROCPRIM_400000_NS6detail17trampoline_kernelINS0_14default_configENS1_36segmented_radix_sort_config_selectorIblEEZNS1_25segmented_radix_sort_implIS3_Lb0EPKbPbPKlPlN2at6native12_GLOBAL__N_18offset_tEEE10hipError_tPvRmT1_PNSt15iterator_traitsISK_E10value_typeET2_T3_PNSL_ISQ_E10value_typeET4_jRbjT5_SW_jjP12ihipStream_tbEUlT_E0_NS1_11comp_targetILNS1_3genE8ELNS1_11target_archE1030ELNS1_3gpuE2ELNS1_3repE0EEENS1_60segmented_radix_sort_warp_sort_medium_config_static_selectorELNS0_4arch9wavefront6targetE1EEEvSK_
; %bb.0:
	.section	.rodata,"a",@progbits
	.p2align	6, 0x0
	.amdhsa_kernel _ZN7rocprim17ROCPRIM_400000_NS6detail17trampoline_kernelINS0_14default_configENS1_36segmented_radix_sort_config_selectorIblEEZNS1_25segmented_radix_sort_implIS3_Lb0EPKbPbPKlPlN2at6native12_GLOBAL__N_18offset_tEEE10hipError_tPvRmT1_PNSt15iterator_traitsISK_E10value_typeET2_T3_PNSL_ISQ_E10value_typeET4_jRbjT5_SW_jjP12ihipStream_tbEUlT_E0_NS1_11comp_targetILNS1_3genE8ELNS1_11target_archE1030ELNS1_3gpuE2ELNS1_3repE0EEENS1_60segmented_radix_sort_warp_sort_medium_config_static_selectorELNS0_4arch9wavefront6targetE1EEEvSK_
		.amdhsa_group_segment_fixed_size 0
		.amdhsa_private_segment_fixed_size 0
		.amdhsa_kernarg_size 88
		.amdhsa_user_sgpr_count 6
		.amdhsa_user_sgpr_private_segment_buffer 1
		.amdhsa_user_sgpr_dispatch_ptr 0
		.amdhsa_user_sgpr_queue_ptr 0
		.amdhsa_user_sgpr_kernarg_segment_ptr 1
		.amdhsa_user_sgpr_dispatch_id 0
		.amdhsa_user_sgpr_flat_scratch_init 0
		.amdhsa_user_sgpr_kernarg_preload_length 0
		.amdhsa_user_sgpr_kernarg_preload_offset 0
		.amdhsa_user_sgpr_private_segment_size 0
		.amdhsa_uses_dynamic_stack 0
		.amdhsa_system_sgpr_private_segment_wavefront_offset 0
		.amdhsa_system_sgpr_workgroup_id_x 1
		.amdhsa_system_sgpr_workgroup_id_y 0
		.amdhsa_system_sgpr_workgroup_id_z 0
		.amdhsa_system_sgpr_workgroup_info 0
		.amdhsa_system_vgpr_workitem_id 0
		.amdhsa_next_free_vgpr 1
		.amdhsa_next_free_sgpr 0
		.amdhsa_accum_offset 4
		.amdhsa_reserve_vcc 0
		.amdhsa_reserve_flat_scratch 0
		.amdhsa_float_round_mode_32 0
		.amdhsa_float_round_mode_16_64 0
		.amdhsa_float_denorm_mode_32 3
		.amdhsa_float_denorm_mode_16_64 3
		.amdhsa_dx10_clamp 1
		.amdhsa_ieee_mode 1
		.amdhsa_fp16_overflow 0
		.amdhsa_tg_split 0
		.amdhsa_exception_fp_ieee_invalid_op 0
		.amdhsa_exception_fp_denorm_src 0
		.amdhsa_exception_fp_ieee_div_zero 0
		.amdhsa_exception_fp_ieee_overflow 0
		.amdhsa_exception_fp_ieee_underflow 0
		.amdhsa_exception_fp_ieee_inexact 0
		.amdhsa_exception_int_div_zero 0
	.end_amdhsa_kernel
	.section	.text._ZN7rocprim17ROCPRIM_400000_NS6detail17trampoline_kernelINS0_14default_configENS1_36segmented_radix_sort_config_selectorIblEEZNS1_25segmented_radix_sort_implIS3_Lb0EPKbPbPKlPlN2at6native12_GLOBAL__N_18offset_tEEE10hipError_tPvRmT1_PNSt15iterator_traitsISK_E10value_typeET2_T3_PNSL_ISQ_E10value_typeET4_jRbjT5_SW_jjP12ihipStream_tbEUlT_E0_NS1_11comp_targetILNS1_3genE8ELNS1_11target_archE1030ELNS1_3gpuE2ELNS1_3repE0EEENS1_60segmented_radix_sort_warp_sort_medium_config_static_selectorELNS0_4arch9wavefront6targetE1EEEvSK_,"axG",@progbits,_ZN7rocprim17ROCPRIM_400000_NS6detail17trampoline_kernelINS0_14default_configENS1_36segmented_radix_sort_config_selectorIblEEZNS1_25segmented_radix_sort_implIS3_Lb0EPKbPbPKlPlN2at6native12_GLOBAL__N_18offset_tEEE10hipError_tPvRmT1_PNSt15iterator_traitsISK_E10value_typeET2_T3_PNSL_ISQ_E10value_typeET4_jRbjT5_SW_jjP12ihipStream_tbEUlT_E0_NS1_11comp_targetILNS1_3genE8ELNS1_11target_archE1030ELNS1_3gpuE2ELNS1_3repE0EEENS1_60segmented_radix_sort_warp_sort_medium_config_static_selectorELNS0_4arch9wavefront6targetE1EEEvSK_,comdat
.Lfunc_end1652:
	.size	_ZN7rocprim17ROCPRIM_400000_NS6detail17trampoline_kernelINS0_14default_configENS1_36segmented_radix_sort_config_selectorIblEEZNS1_25segmented_radix_sort_implIS3_Lb0EPKbPbPKlPlN2at6native12_GLOBAL__N_18offset_tEEE10hipError_tPvRmT1_PNSt15iterator_traitsISK_E10value_typeET2_T3_PNSL_ISQ_E10value_typeET4_jRbjT5_SW_jjP12ihipStream_tbEUlT_E0_NS1_11comp_targetILNS1_3genE8ELNS1_11target_archE1030ELNS1_3gpuE2ELNS1_3repE0EEENS1_60segmented_radix_sort_warp_sort_medium_config_static_selectorELNS0_4arch9wavefront6targetE1EEEvSK_, .Lfunc_end1652-_ZN7rocprim17ROCPRIM_400000_NS6detail17trampoline_kernelINS0_14default_configENS1_36segmented_radix_sort_config_selectorIblEEZNS1_25segmented_radix_sort_implIS3_Lb0EPKbPbPKlPlN2at6native12_GLOBAL__N_18offset_tEEE10hipError_tPvRmT1_PNSt15iterator_traitsISK_E10value_typeET2_T3_PNSL_ISQ_E10value_typeET4_jRbjT5_SW_jjP12ihipStream_tbEUlT_E0_NS1_11comp_targetILNS1_3genE8ELNS1_11target_archE1030ELNS1_3gpuE2ELNS1_3repE0EEENS1_60segmented_radix_sort_warp_sort_medium_config_static_selectorELNS0_4arch9wavefront6targetE1EEEvSK_
                                        ; -- End function
	.section	.AMDGPU.csdata,"",@progbits
; Kernel info:
; codeLenInByte = 0
; NumSgprs: 4
; NumVgprs: 0
; NumAgprs: 0
; TotalNumVgprs: 0
; ScratchSize: 0
; MemoryBound: 0
; FloatMode: 240
; IeeeMode: 1
; LDSByteSize: 0 bytes/workgroup (compile time only)
; SGPRBlocks: 0
; VGPRBlocks: 0
; NumSGPRsForWavesPerEU: 4
; NumVGPRsForWavesPerEU: 1
; AccumOffset: 4
; Occupancy: 8
; WaveLimiterHint : 0
; COMPUTE_PGM_RSRC2:SCRATCH_EN: 0
; COMPUTE_PGM_RSRC2:USER_SGPR: 6
; COMPUTE_PGM_RSRC2:TRAP_HANDLER: 0
; COMPUTE_PGM_RSRC2:TGID_X_EN: 1
; COMPUTE_PGM_RSRC2:TGID_Y_EN: 0
; COMPUTE_PGM_RSRC2:TGID_Z_EN: 0
; COMPUTE_PGM_RSRC2:TIDIG_COMP_CNT: 0
; COMPUTE_PGM_RSRC3_GFX90A:ACCUM_OFFSET: 0
; COMPUTE_PGM_RSRC3_GFX90A:TG_SPLIT: 0
	.section	.text._ZN7rocprim17ROCPRIM_400000_NS6detail17trampoline_kernelINS0_14default_configENS1_36segmented_radix_sort_config_selectorIblEEZNS1_25segmented_radix_sort_implIS3_Lb0EPKbPbPKlPlN2at6native12_GLOBAL__N_18offset_tEEE10hipError_tPvRmT1_PNSt15iterator_traitsISK_E10value_typeET2_T3_PNSL_ISQ_E10value_typeET4_jRbjT5_SW_jjP12ihipStream_tbEUlT_E1_NS1_11comp_targetILNS1_3genE0ELNS1_11target_archE4294967295ELNS1_3gpuE0ELNS1_3repE0EEENS1_59segmented_radix_sort_warp_sort_small_config_static_selectorELNS0_4arch9wavefront6targetE1EEEvSK_,"axG",@progbits,_ZN7rocprim17ROCPRIM_400000_NS6detail17trampoline_kernelINS0_14default_configENS1_36segmented_radix_sort_config_selectorIblEEZNS1_25segmented_radix_sort_implIS3_Lb0EPKbPbPKlPlN2at6native12_GLOBAL__N_18offset_tEEE10hipError_tPvRmT1_PNSt15iterator_traitsISK_E10value_typeET2_T3_PNSL_ISQ_E10value_typeET4_jRbjT5_SW_jjP12ihipStream_tbEUlT_E1_NS1_11comp_targetILNS1_3genE0ELNS1_11target_archE4294967295ELNS1_3gpuE0ELNS1_3repE0EEENS1_59segmented_radix_sort_warp_sort_small_config_static_selectorELNS0_4arch9wavefront6targetE1EEEvSK_,comdat
	.globl	_ZN7rocprim17ROCPRIM_400000_NS6detail17trampoline_kernelINS0_14default_configENS1_36segmented_radix_sort_config_selectorIblEEZNS1_25segmented_radix_sort_implIS3_Lb0EPKbPbPKlPlN2at6native12_GLOBAL__N_18offset_tEEE10hipError_tPvRmT1_PNSt15iterator_traitsISK_E10value_typeET2_T3_PNSL_ISQ_E10value_typeET4_jRbjT5_SW_jjP12ihipStream_tbEUlT_E1_NS1_11comp_targetILNS1_3genE0ELNS1_11target_archE4294967295ELNS1_3gpuE0ELNS1_3repE0EEENS1_59segmented_radix_sort_warp_sort_small_config_static_selectorELNS0_4arch9wavefront6targetE1EEEvSK_ ; -- Begin function _ZN7rocprim17ROCPRIM_400000_NS6detail17trampoline_kernelINS0_14default_configENS1_36segmented_radix_sort_config_selectorIblEEZNS1_25segmented_radix_sort_implIS3_Lb0EPKbPbPKlPlN2at6native12_GLOBAL__N_18offset_tEEE10hipError_tPvRmT1_PNSt15iterator_traitsISK_E10value_typeET2_T3_PNSL_ISQ_E10value_typeET4_jRbjT5_SW_jjP12ihipStream_tbEUlT_E1_NS1_11comp_targetILNS1_3genE0ELNS1_11target_archE4294967295ELNS1_3gpuE0ELNS1_3repE0EEENS1_59segmented_radix_sort_warp_sort_small_config_static_selectorELNS0_4arch9wavefront6targetE1EEEvSK_
	.p2align	8
	.type	_ZN7rocprim17ROCPRIM_400000_NS6detail17trampoline_kernelINS0_14default_configENS1_36segmented_radix_sort_config_selectorIblEEZNS1_25segmented_radix_sort_implIS3_Lb0EPKbPbPKlPlN2at6native12_GLOBAL__N_18offset_tEEE10hipError_tPvRmT1_PNSt15iterator_traitsISK_E10value_typeET2_T3_PNSL_ISQ_E10value_typeET4_jRbjT5_SW_jjP12ihipStream_tbEUlT_E1_NS1_11comp_targetILNS1_3genE0ELNS1_11target_archE4294967295ELNS1_3gpuE0ELNS1_3repE0EEENS1_59segmented_radix_sort_warp_sort_small_config_static_selectorELNS0_4arch9wavefront6targetE1EEEvSK_,@function
_ZN7rocprim17ROCPRIM_400000_NS6detail17trampoline_kernelINS0_14default_configENS1_36segmented_radix_sort_config_selectorIblEEZNS1_25segmented_radix_sort_implIS3_Lb0EPKbPbPKlPlN2at6native12_GLOBAL__N_18offset_tEEE10hipError_tPvRmT1_PNSt15iterator_traitsISK_E10value_typeET2_T3_PNSL_ISQ_E10value_typeET4_jRbjT5_SW_jjP12ihipStream_tbEUlT_E1_NS1_11comp_targetILNS1_3genE0ELNS1_11target_archE4294967295ELNS1_3gpuE0ELNS1_3repE0EEENS1_59segmented_radix_sort_warp_sort_small_config_static_selectorELNS0_4arch9wavefront6targetE1EEEvSK_: ; @_ZN7rocprim17ROCPRIM_400000_NS6detail17trampoline_kernelINS0_14default_configENS1_36segmented_radix_sort_config_selectorIblEEZNS1_25segmented_radix_sort_implIS3_Lb0EPKbPbPKlPlN2at6native12_GLOBAL__N_18offset_tEEE10hipError_tPvRmT1_PNSt15iterator_traitsISK_E10value_typeET2_T3_PNSL_ISQ_E10value_typeET4_jRbjT5_SW_jjP12ihipStream_tbEUlT_E1_NS1_11comp_targetILNS1_3genE0ELNS1_11target_archE4294967295ELNS1_3gpuE0ELNS1_3repE0EEENS1_59segmented_radix_sort_warp_sort_small_config_static_selectorELNS0_4arch9wavefront6targetE1EEEvSK_
; %bb.0:
	.section	.rodata,"a",@progbits
	.p2align	6, 0x0
	.amdhsa_kernel _ZN7rocprim17ROCPRIM_400000_NS6detail17trampoline_kernelINS0_14default_configENS1_36segmented_radix_sort_config_selectorIblEEZNS1_25segmented_radix_sort_implIS3_Lb0EPKbPbPKlPlN2at6native12_GLOBAL__N_18offset_tEEE10hipError_tPvRmT1_PNSt15iterator_traitsISK_E10value_typeET2_T3_PNSL_ISQ_E10value_typeET4_jRbjT5_SW_jjP12ihipStream_tbEUlT_E1_NS1_11comp_targetILNS1_3genE0ELNS1_11target_archE4294967295ELNS1_3gpuE0ELNS1_3repE0EEENS1_59segmented_radix_sort_warp_sort_small_config_static_selectorELNS0_4arch9wavefront6targetE1EEEvSK_
		.amdhsa_group_segment_fixed_size 0
		.amdhsa_private_segment_fixed_size 0
		.amdhsa_kernarg_size 88
		.amdhsa_user_sgpr_count 6
		.amdhsa_user_sgpr_private_segment_buffer 1
		.amdhsa_user_sgpr_dispatch_ptr 0
		.amdhsa_user_sgpr_queue_ptr 0
		.amdhsa_user_sgpr_kernarg_segment_ptr 1
		.amdhsa_user_sgpr_dispatch_id 0
		.amdhsa_user_sgpr_flat_scratch_init 0
		.amdhsa_user_sgpr_kernarg_preload_length 0
		.amdhsa_user_sgpr_kernarg_preload_offset 0
		.amdhsa_user_sgpr_private_segment_size 0
		.amdhsa_uses_dynamic_stack 0
		.amdhsa_system_sgpr_private_segment_wavefront_offset 0
		.amdhsa_system_sgpr_workgroup_id_x 1
		.amdhsa_system_sgpr_workgroup_id_y 0
		.amdhsa_system_sgpr_workgroup_id_z 0
		.amdhsa_system_sgpr_workgroup_info 0
		.amdhsa_system_vgpr_workitem_id 0
		.amdhsa_next_free_vgpr 1
		.amdhsa_next_free_sgpr 0
		.amdhsa_accum_offset 4
		.amdhsa_reserve_vcc 0
		.amdhsa_reserve_flat_scratch 0
		.amdhsa_float_round_mode_32 0
		.amdhsa_float_round_mode_16_64 0
		.amdhsa_float_denorm_mode_32 3
		.amdhsa_float_denorm_mode_16_64 3
		.amdhsa_dx10_clamp 1
		.amdhsa_ieee_mode 1
		.amdhsa_fp16_overflow 0
		.amdhsa_tg_split 0
		.amdhsa_exception_fp_ieee_invalid_op 0
		.amdhsa_exception_fp_denorm_src 0
		.amdhsa_exception_fp_ieee_div_zero 0
		.amdhsa_exception_fp_ieee_overflow 0
		.amdhsa_exception_fp_ieee_underflow 0
		.amdhsa_exception_fp_ieee_inexact 0
		.amdhsa_exception_int_div_zero 0
	.end_amdhsa_kernel
	.section	.text._ZN7rocprim17ROCPRIM_400000_NS6detail17trampoline_kernelINS0_14default_configENS1_36segmented_radix_sort_config_selectorIblEEZNS1_25segmented_radix_sort_implIS3_Lb0EPKbPbPKlPlN2at6native12_GLOBAL__N_18offset_tEEE10hipError_tPvRmT1_PNSt15iterator_traitsISK_E10value_typeET2_T3_PNSL_ISQ_E10value_typeET4_jRbjT5_SW_jjP12ihipStream_tbEUlT_E1_NS1_11comp_targetILNS1_3genE0ELNS1_11target_archE4294967295ELNS1_3gpuE0ELNS1_3repE0EEENS1_59segmented_radix_sort_warp_sort_small_config_static_selectorELNS0_4arch9wavefront6targetE1EEEvSK_,"axG",@progbits,_ZN7rocprim17ROCPRIM_400000_NS6detail17trampoline_kernelINS0_14default_configENS1_36segmented_radix_sort_config_selectorIblEEZNS1_25segmented_radix_sort_implIS3_Lb0EPKbPbPKlPlN2at6native12_GLOBAL__N_18offset_tEEE10hipError_tPvRmT1_PNSt15iterator_traitsISK_E10value_typeET2_T3_PNSL_ISQ_E10value_typeET4_jRbjT5_SW_jjP12ihipStream_tbEUlT_E1_NS1_11comp_targetILNS1_3genE0ELNS1_11target_archE4294967295ELNS1_3gpuE0ELNS1_3repE0EEENS1_59segmented_radix_sort_warp_sort_small_config_static_selectorELNS0_4arch9wavefront6targetE1EEEvSK_,comdat
.Lfunc_end1653:
	.size	_ZN7rocprim17ROCPRIM_400000_NS6detail17trampoline_kernelINS0_14default_configENS1_36segmented_radix_sort_config_selectorIblEEZNS1_25segmented_radix_sort_implIS3_Lb0EPKbPbPKlPlN2at6native12_GLOBAL__N_18offset_tEEE10hipError_tPvRmT1_PNSt15iterator_traitsISK_E10value_typeET2_T3_PNSL_ISQ_E10value_typeET4_jRbjT5_SW_jjP12ihipStream_tbEUlT_E1_NS1_11comp_targetILNS1_3genE0ELNS1_11target_archE4294967295ELNS1_3gpuE0ELNS1_3repE0EEENS1_59segmented_radix_sort_warp_sort_small_config_static_selectorELNS0_4arch9wavefront6targetE1EEEvSK_, .Lfunc_end1653-_ZN7rocprim17ROCPRIM_400000_NS6detail17trampoline_kernelINS0_14default_configENS1_36segmented_radix_sort_config_selectorIblEEZNS1_25segmented_radix_sort_implIS3_Lb0EPKbPbPKlPlN2at6native12_GLOBAL__N_18offset_tEEE10hipError_tPvRmT1_PNSt15iterator_traitsISK_E10value_typeET2_T3_PNSL_ISQ_E10value_typeET4_jRbjT5_SW_jjP12ihipStream_tbEUlT_E1_NS1_11comp_targetILNS1_3genE0ELNS1_11target_archE4294967295ELNS1_3gpuE0ELNS1_3repE0EEENS1_59segmented_radix_sort_warp_sort_small_config_static_selectorELNS0_4arch9wavefront6targetE1EEEvSK_
                                        ; -- End function
	.section	.AMDGPU.csdata,"",@progbits
; Kernel info:
; codeLenInByte = 0
; NumSgprs: 4
; NumVgprs: 0
; NumAgprs: 0
; TotalNumVgprs: 0
; ScratchSize: 0
; MemoryBound: 0
; FloatMode: 240
; IeeeMode: 1
; LDSByteSize: 0 bytes/workgroup (compile time only)
; SGPRBlocks: 0
; VGPRBlocks: 0
; NumSGPRsForWavesPerEU: 4
; NumVGPRsForWavesPerEU: 1
; AccumOffset: 4
; Occupancy: 8
; WaveLimiterHint : 0
; COMPUTE_PGM_RSRC2:SCRATCH_EN: 0
; COMPUTE_PGM_RSRC2:USER_SGPR: 6
; COMPUTE_PGM_RSRC2:TRAP_HANDLER: 0
; COMPUTE_PGM_RSRC2:TGID_X_EN: 1
; COMPUTE_PGM_RSRC2:TGID_Y_EN: 0
; COMPUTE_PGM_RSRC2:TGID_Z_EN: 0
; COMPUTE_PGM_RSRC2:TIDIG_COMP_CNT: 0
; COMPUTE_PGM_RSRC3_GFX90A:ACCUM_OFFSET: 0
; COMPUTE_PGM_RSRC3_GFX90A:TG_SPLIT: 0
	.section	.text._ZN7rocprim17ROCPRIM_400000_NS6detail17trampoline_kernelINS0_14default_configENS1_36segmented_radix_sort_config_selectorIblEEZNS1_25segmented_radix_sort_implIS3_Lb0EPKbPbPKlPlN2at6native12_GLOBAL__N_18offset_tEEE10hipError_tPvRmT1_PNSt15iterator_traitsISK_E10value_typeET2_T3_PNSL_ISQ_E10value_typeET4_jRbjT5_SW_jjP12ihipStream_tbEUlT_E1_NS1_11comp_targetILNS1_3genE5ELNS1_11target_archE942ELNS1_3gpuE9ELNS1_3repE0EEENS1_59segmented_radix_sort_warp_sort_small_config_static_selectorELNS0_4arch9wavefront6targetE1EEEvSK_,"axG",@progbits,_ZN7rocprim17ROCPRIM_400000_NS6detail17trampoline_kernelINS0_14default_configENS1_36segmented_radix_sort_config_selectorIblEEZNS1_25segmented_radix_sort_implIS3_Lb0EPKbPbPKlPlN2at6native12_GLOBAL__N_18offset_tEEE10hipError_tPvRmT1_PNSt15iterator_traitsISK_E10value_typeET2_T3_PNSL_ISQ_E10value_typeET4_jRbjT5_SW_jjP12ihipStream_tbEUlT_E1_NS1_11comp_targetILNS1_3genE5ELNS1_11target_archE942ELNS1_3gpuE9ELNS1_3repE0EEENS1_59segmented_radix_sort_warp_sort_small_config_static_selectorELNS0_4arch9wavefront6targetE1EEEvSK_,comdat
	.globl	_ZN7rocprim17ROCPRIM_400000_NS6detail17trampoline_kernelINS0_14default_configENS1_36segmented_radix_sort_config_selectorIblEEZNS1_25segmented_radix_sort_implIS3_Lb0EPKbPbPKlPlN2at6native12_GLOBAL__N_18offset_tEEE10hipError_tPvRmT1_PNSt15iterator_traitsISK_E10value_typeET2_T3_PNSL_ISQ_E10value_typeET4_jRbjT5_SW_jjP12ihipStream_tbEUlT_E1_NS1_11comp_targetILNS1_3genE5ELNS1_11target_archE942ELNS1_3gpuE9ELNS1_3repE0EEENS1_59segmented_radix_sort_warp_sort_small_config_static_selectorELNS0_4arch9wavefront6targetE1EEEvSK_ ; -- Begin function _ZN7rocprim17ROCPRIM_400000_NS6detail17trampoline_kernelINS0_14default_configENS1_36segmented_radix_sort_config_selectorIblEEZNS1_25segmented_radix_sort_implIS3_Lb0EPKbPbPKlPlN2at6native12_GLOBAL__N_18offset_tEEE10hipError_tPvRmT1_PNSt15iterator_traitsISK_E10value_typeET2_T3_PNSL_ISQ_E10value_typeET4_jRbjT5_SW_jjP12ihipStream_tbEUlT_E1_NS1_11comp_targetILNS1_3genE5ELNS1_11target_archE942ELNS1_3gpuE9ELNS1_3repE0EEENS1_59segmented_radix_sort_warp_sort_small_config_static_selectorELNS0_4arch9wavefront6targetE1EEEvSK_
	.p2align	8
	.type	_ZN7rocprim17ROCPRIM_400000_NS6detail17trampoline_kernelINS0_14default_configENS1_36segmented_radix_sort_config_selectorIblEEZNS1_25segmented_radix_sort_implIS3_Lb0EPKbPbPKlPlN2at6native12_GLOBAL__N_18offset_tEEE10hipError_tPvRmT1_PNSt15iterator_traitsISK_E10value_typeET2_T3_PNSL_ISQ_E10value_typeET4_jRbjT5_SW_jjP12ihipStream_tbEUlT_E1_NS1_11comp_targetILNS1_3genE5ELNS1_11target_archE942ELNS1_3gpuE9ELNS1_3repE0EEENS1_59segmented_radix_sort_warp_sort_small_config_static_selectorELNS0_4arch9wavefront6targetE1EEEvSK_,@function
_ZN7rocprim17ROCPRIM_400000_NS6detail17trampoline_kernelINS0_14default_configENS1_36segmented_radix_sort_config_selectorIblEEZNS1_25segmented_radix_sort_implIS3_Lb0EPKbPbPKlPlN2at6native12_GLOBAL__N_18offset_tEEE10hipError_tPvRmT1_PNSt15iterator_traitsISK_E10value_typeET2_T3_PNSL_ISQ_E10value_typeET4_jRbjT5_SW_jjP12ihipStream_tbEUlT_E1_NS1_11comp_targetILNS1_3genE5ELNS1_11target_archE942ELNS1_3gpuE9ELNS1_3repE0EEENS1_59segmented_radix_sort_warp_sort_small_config_static_selectorELNS0_4arch9wavefront6targetE1EEEvSK_: ; @_ZN7rocprim17ROCPRIM_400000_NS6detail17trampoline_kernelINS0_14default_configENS1_36segmented_radix_sort_config_selectorIblEEZNS1_25segmented_radix_sort_implIS3_Lb0EPKbPbPKlPlN2at6native12_GLOBAL__N_18offset_tEEE10hipError_tPvRmT1_PNSt15iterator_traitsISK_E10value_typeET2_T3_PNSL_ISQ_E10value_typeET4_jRbjT5_SW_jjP12ihipStream_tbEUlT_E1_NS1_11comp_targetILNS1_3genE5ELNS1_11target_archE942ELNS1_3gpuE9ELNS1_3repE0EEENS1_59segmented_radix_sort_warp_sort_small_config_static_selectorELNS0_4arch9wavefront6targetE1EEEvSK_
; %bb.0:
	.section	.rodata,"a",@progbits
	.p2align	6, 0x0
	.amdhsa_kernel _ZN7rocprim17ROCPRIM_400000_NS6detail17trampoline_kernelINS0_14default_configENS1_36segmented_radix_sort_config_selectorIblEEZNS1_25segmented_radix_sort_implIS3_Lb0EPKbPbPKlPlN2at6native12_GLOBAL__N_18offset_tEEE10hipError_tPvRmT1_PNSt15iterator_traitsISK_E10value_typeET2_T3_PNSL_ISQ_E10value_typeET4_jRbjT5_SW_jjP12ihipStream_tbEUlT_E1_NS1_11comp_targetILNS1_3genE5ELNS1_11target_archE942ELNS1_3gpuE9ELNS1_3repE0EEENS1_59segmented_radix_sort_warp_sort_small_config_static_selectorELNS0_4arch9wavefront6targetE1EEEvSK_
		.amdhsa_group_segment_fixed_size 0
		.amdhsa_private_segment_fixed_size 0
		.amdhsa_kernarg_size 88
		.amdhsa_user_sgpr_count 6
		.amdhsa_user_sgpr_private_segment_buffer 1
		.amdhsa_user_sgpr_dispatch_ptr 0
		.amdhsa_user_sgpr_queue_ptr 0
		.amdhsa_user_sgpr_kernarg_segment_ptr 1
		.amdhsa_user_sgpr_dispatch_id 0
		.amdhsa_user_sgpr_flat_scratch_init 0
		.amdhsa_user_sgpr_kernarg_preload_length 0
		.amdhsa_user_sgpr_kernarg_preload_offset 0
		.amdhsa_user_sgpr_private_segment_size 0
		.amdhsa_uses_dynamic_stack 0
		.amdhsa_system_sgpr_private_segment_wavefront_offset 0
		.amdhsa_system_sgpr_workgroup_id_x 1
		.amdhsa_system_sgpr_workgroup_id_y 0
		.amdhsa_system_sgpr_workgroup_id_z 0
		.amdhsa_system_sgpr_workgroup_info 0
		.amdhsa_system_vgpr_workitem_id 0
		.amdhsa_next_free_vgpr 1
		.amdhsa_next_free_sgpr 0
		.amdhsa_accum_offset 4
		.amdhsa_reserve_vcc 0
		.amdhsa_reserve_flat_scratch 0
		.amdhsa_float_round_mode_32 0
		.amdhsa_float_round_mode_16_64 0
		.amdhsa_float_denorm_mode_32 3
		.amdhsa_float_denorm_mode_16_64 3
		.amdhsa_dx10_clamp 1
		.amdhsa_ieee_mode 1
		.amdhsa_fp16_overflow 0
		.amdhsa_tg_split 0
		.amdhsa_exception_fp_ieee_invalid_op 0
		.amdhsa_exception_fp_denorm_src 0
		.amdhsa_exception_fp_ieee_div_zero 0
		.amdhsa_exception_fp_ieee_overflow 0
		.amdhsa_exception_fp_ieee_underflow 0
		.amdhsa_exception_fp_ieee_inexact 0
		.amdhsa_exception_int_div_zero 0
	.end_amdhsa_kernel
	.section	.text._ZN7rocprim17ROCPRIM_400000_NS6detail17trampoline_kernelINS0_14default_configENS1_36segmented_radix_sort_config_selectorIblEEZNS1_25segmented_radix_sort_implIS3_Lb0EPKbPbPKlPlN2at6native12_GLOBAL__N_18offset_tEEE10hipError_tPvRmT1_PNSt15iterator_traitsISK_E10value_typeET2_T3_PNSL_ISQ_E10value_typeET4_jRbjT5_SW_jjP12ihipStream_tbEUlT_E1_NS1_11comp_targetILNS1_3genE5ELNS1_11target_archE942ELNS1_3gpuE9ELNS1_3repE0EEENS1_59segmented_radix_sort_warp_sort_small_config_static_selectorELNS0_4arch9wavefront6targetE1EEEvSK_,"axG",@progbits,_ZN7rocprim17ROCPRIM_400000_NS6detail17trampoline_kernelINS0_14default_configENS1_36segmented_radix_sort_config_selectorIblEEZNS1_25segmented_radix_sort_implIS3_Lb0EPKbPbPKlPlN2at6native12_GLOBAL__N_18offset_tEEE10hipError_tPvRmT1_PNSt15iterator_traitsISK_E10value_typeET2_T3_PNSL_ISQ_E10value_typeET4_jRbjT5_SW_jjP12ihipStream_tbEUlT_E1_NS1_11comp_targetILNS1_3genE5ELNS1_11target_archE942ELNS1_3gpuE9ELNS1_3repE0EEENS1_59segmented_radix_sort_warp_sort_small_config_static_selectorELNS0_4arch9wavefront6targetE1EEEvSK_,comdat
.Lfunc_end1654:
	.size	_ZN7rocprim17ROCPRIM_400000_NS6detail17trampoline_kernelINS0_14default_configENS1_36segmented_radix_sort_config_selectorIblEEZNS1_25segmented_radix_sort_implIS3_Lb0EPKbPbPKlPlN2at6native12_GLOBAL__N_18offset_tEEE10hipError_tPvRmT1_PNSt15iterator_traitsISK_E10value_typeET2_T3_PNSL_ISQ_E10value_typeET4_jRbjT5_SW_jjP12ihipStream_tbEUlT_E1_NS1_11comp_targetILNS1_3genE5ELNS1_11target_archE942ELNS1_3gpuE9ELNS1_3repE0EEENS1_59segmented_radix_sort_warp_sort_small_config_static_selectorELNS0_4arch9wavefront6targetE1EEEvSK_, .Lfunc_end1654-_ZN7rocprim17ROCPRIM_400000_NS6detail17trampoline_kernelINS0_14default_configENS1_36segmented_radix_sort_config_selectorIblEEZNS1_25segmented_radix_sort_implIS3_Lb0EPKbPbPKlPlN2at6native12_GLOBAL__N_18offset_tEEE10hipError_tPvRmT1_PNSt15iterator_traitsISK_E10value_typeET2_T3_PNSL_ISQ_E10value_typeET4_jRbjT5_SW_jjP12ihipStream_tbEUlT_E1_NS1_11comp_targetILNS1_3genE5ELNS1_11target_archE942ELNS1_3gpuE9ELNS1_3repE0EEENS1_59segmented_radix_sort_warp_sort_small_config_static_selectorELNS0_4arch9wavefront6targetE1EEEvSK_
                                        ; -- End function
	.section	.AMDGPU.csdata,"",@progbits
; Kernel info:
; codeLenInByte = 0
; NumSgprs: 4
; NumVgprs: 0
; NumAgprs: 0
; TotalNumVgprs: 0
; ScratchSize: 0
; MemoryBound: 0
; FloatMode: 240
; IeeeMode: 1
; LDSByteSize: 0 bytes/workgroup (compile time only)
; SGPRBlocks: 0
; VGPRBlocks: 0
; NumSGPRsForWavesPerEU: 4
; NumVGPRsForWavesPerEU: 1
; AccumOffset: 4
; Occupancy: 8
; WaveLimiterHint : 0
; COMPUTE_PGM_RSRC2:SCRATCH_EN: 0
; COMPUTE_PGM_RSRC2:USER_SGPR: 6
; COMPUTE_PGM_RSRC2:TRAP_HANDLER: 0
; COMPUTE_PGM_RSRC2:TGID_X_EN: 1
; COMPUTE_PGM_RSRC2:TGID_Y_EN: 0
; COMPUTE_PGM_RSRC2:TGID_Z_EN: 0
; COMPUTE_PGM_RSRC2:TIDIG_COMP_CNT: 0
; COMPUTE_PGM_RSRC3_GFX90A:ACCUM_OFFSET: 0
; COMPUTE_PGM_RSRC3_GFX90A:TG_SPLIT: 0
	.text
	.p2align	2                               ; -- Begin function _ZN7rocprim17ROCPRIM_400000_NS6detail26segmented_warp_sort_helperINS1_20WarpSortHelperConfigILj8ELj4ELj256EEEblLi256ELb0EvE4sortIPKbPbPKlPlEEvT_T0_T1_T2_jjjjRNS5_12storage_typeE
	.type	_ZN7rocprim17ROCPRIM_400000_NS6detail26segmented_warp_sort_helperINS1_20WarpSortHelperConfigILj8ELj4ELj256EEEblLi256ELb0EvE4sortIPKbPbPKlPlEEvT_T0_T1_T2_jjjjRNS5_12storage_typeE,@function
_ZN7rocprim17ROCPRIM_400000_NS6detail26segmented_warp_sort_helperINS1_20WarpSortHelperConfigILj8ELj4ELj256EEEblLi256ELb0EvE4sortIPKbPbPKlPlEEvT_T0_T1_T2_jjjjRNS5_12storage_typeE: ; @_ZN7rocprim17ROCPRIM_400000_NS6detail26segmented_warp_sort_helperINS1_20WarpSortHelperConfigILj8ELj4ELj256EEEblLi256ELb0EvE4sortIPKbPbPKlPlEEvT_T0_T1_T2_jjjjRNS5_12storage_typeE
; %bb.0:
	s_waitcnt vmcnt(0) expcnt(0) lgkmcnt(0)
	v_add_co_u32_e32 v14, vcc, v0, v8
	v_mbcnt_lo_u32_b32 v0, -1, 0
	v_mbcnt_hi_u32_b32 v0, -1, v0
	v_addc_co_u32_e32 v15, vcc, 0, v1, vcc
	v_lshlrev_b32_e32 v1, 2, v0
	v_and_b32_e32 v0, 28, v1
	v_sub_u32_e32 v16, v9, v8
	v_add_co_u32_e32 v14, vcc, v14, v0
	v_mov_b32_e32 v9, 0
	v_addc_co_u32_e32 v15, vcc, 0, v15, vcc
	v_cmp_lt_u32_e64 s[4:5], v0, v16
	v_mov_b32_e32 v54, 1
	v_mov_b32_e32 v64, 1
	s_and_saveexec_b64 s[6:7], s[4:5]
	s_cbranch_execz .LBB1655_2
; %bb.1:
	flat_load_ubyte v64, v[14:15]
.LBB1655_2:
	s_or_b64 exec, exec, s[6:7]
	v_or_b32_e32 v17, 1, v0
	v_cmp_lt_u32_e64 s[6:7], v17, v16
	s_and_saveexec_b64 s[10:11], s[6:7]
	s_cbranch_execz .LBB1655_4
; %bb.3:
	flat_load_ubyte v54, v[14:15] offset:1
.LBB1655_4:
	s_or_b64 exec, exec, s[10:11]
	v_or_b32_e32 v17, 2, v0
	v_cmp_lt_u32_e64 s[16:17], v17, v16
	v_mov_b32_e32 v30, 1
	v_mov_b32_e32 v55, 1
	s_and_saveexec_b64 s[10:11], s[16:17]
	s_cbranch_execz .LBB1655_6
; %bb.5:
	flat_load_ubyte v55, v[14:15] offset:2
.LBB1655_6:
	s_or_b64 exec, exec, s[10:11]
	v_or_b32_e32 v17, 3, v0
	v_cmp_lt_u32_e64 s[10:11], v17, v16
	s_and_saveexec_b64 s[14:15], s[10:11]
	s_cbranch_execz .LBB1655_8
; %bb.7:
	flat_load_ubyte v30, v[14:15] offset:3
.LBB1655_8:
	s_or_b64 exec, exec, s[14:15]
	v_lshlrev_b64 v[52:53], 3, v[8:9]
	v_add_co_u32_e32 v4, vcc, v4, v52
	v_addc_co_u32_e32 v5, vcc, v5, v53, vcc
	v_lshlrev_b32_e32 v9, 3, v0
	v_add_co_u32_e32 v4, vcc, v4, v9
	v_addc_co_u32_e32 v5, vcc, 0, v5, vcc
	; wave barrier
                                        ; implicit-def: $vgpr48_vgpr49
	s_and_saveexec_b64 s[14:15], s[4:5]
	s_cbranch_execz .LBB1655_10
; %bb.9:
	flat_load_dwordx2 v[48:49], v[4:5]
.LBB1655_10:
	s_or_b64 exec, exec, s[14:15]
	s_and_saveexec_b64 s[14:15], s[6:7]
                                        ; implicit-def: $vgpr22_vgpr23_vgpr24_vgpr25_vgpr26_vgpr27_vgpr28_vgpr29
                                        ; implicit-def: $vgpr32_vgpr33_vgpr34_vgpr35_vgpr36_vgpr37_vgpr38_vgpr39
	s_cbranch_execz .LBB1655_96
; %bb.11:
	flat_load_dwordx2 v[50:51], v[4:5] offset:8
                                        ; implicit-def: $vgpr22_vgpr23_vgpr24_vgpr25_vgpr26_vgpr27_vgpr28_vgpr29
                                        ; implicit-def: $vgpr32_vgpr33_vgpr34_vgpr35_vgpr36_vgpr37_vgpr38_vgpr39
	s_or_b64 exec, exec, s[14:15]
                                        ; implicit-def: $vgpr18_vgpr19
	s_and_saveexec_b64 s[14:15], s[16:17]
	s_cbranch_execnz .LBB1655_97
.LBB1655_12:
	s_or_b64 exec, exec, s[14:15]
	s_and_saveexec_b64 s[14:15], s[10:11]
	s_cbranch_execz .LBB1655_14
.LBB1655_13:
	flat_load_dwordx2 v[38:39], v[4:5] offset:24
	s_waitcnt vmcnt(0) lgkmcnt(0)
	v_pk_mov_b32 v[20:21], v[38:39], v[38:39] op_sel:[0,1]
.LBB1655_14:
	s_or_b64 exec, exec, s[14:15]
	v_cmp_ne_u32_e32 vcc, 0, v10
	v_cmp_ne_u32_e64 s[14:15], 8, v11
	s_or_b64 s[14:15], vcc, s[14:15]
	v_bfe_u32 v4, v31, 10, 10
	v_bfe_u32 v5, v31, 20, 10
	; wave barrier
	s_and_saveexec_b64 s[18:19], s[14:15]
	s_xor_b64 s[26:27], exec, s[18:19]
	s_cbranch_execz .LBB1655_56
; %bb.15:
	s_load_dwordx2 s[18:19], s[8:9], 0x0
	v_cmp_ne_u32_e32 vcc, 0, v11
	v_cmp_ne_u32_e64 s[14:15], 0, v10
	s_xor_b64 s[14:15], s[14:15], vcc
	v_mov_b32_e32 v10, 0
	s_waitcnt lgkmcnt(0)
	s_cmp_lt_u32 s12, s18
	s_cselect_b32 s20, 12, 18
	s_cmp_lt_u32 s13, s19
	s_cselect_b32 s18, 14, 20
	s_add_u32 s18, s8, s18
	s_addc_u32 s19, s9, 0
	s_add_u32 s20, s8, s20
	s_addc_u32 s21, s9, 0
	global_load_ushort v11, v10, s[18:19]
	global_load_ushort v14, v10, s[20:21]
	v_and_b32_e32 v10, 0x3ff, v31
	v_cndmask_b32_e64 v22, 0, 1, s[14:15]
	s_movk_i32 s14, 0x400
	s_waitcnt vmcnt(0)
	v_mad_u32_u24 v4, v5, v11, v4
	v_mul_lo_u32 v4, v4, v14
	v_add_lshl_u32 v10, v4, v10, 2
	v_cmp_gt_u32_e32 vcc, s14, v10
	s_and_saveexec_b64 s[18:19], vcc
	s_cbranch_execz .LBB1655_25
; %bb.16:
	v_and_b32_e32 v4, v54, v22
	v_and_b32_e32 v5, v64, v22
	v_cmp_gt_u16_e32 vcc, v5, v4
	v_and_b32_e32 v5, v30, v22
	v_and_b32_e32 v4, v55, v22
	v_cndmask_b32_e32 v17, v51, v49, vcc
	v_cndmask_b32_e32 v16, v50, v48, vcc
	;; [unrolled: 1-line block ×4, first 2 shown]
	v_cmp_gt_u16_e64 s[14:15], v4, v5
	v_pk_mov_b32 v[18:19], v[26:27], v[26:27] op_sel:[0,1]
	v_pk_mov_b32 v[20:21], v[38:39], v[38:39] op_sel:[0,1]
	s_and_saveexec_b64 s[20:21], s[14:15]
; %bb.17:
	v_mov_b32_e32 v4, 0
	v_mov_b32_e32 v55, v30
	;; [unrolled: 1-line block ×3, first 2 shown]
	v_pk_mov_b32 v[18:19], v[38:39], v[38:39] op_sel:[0,1]
	v_pk_mov_b32 v[20:21], v[26:27], v[26:27] op_sel:[0,1]
; %bb.18:
	s_or_b64 exec, exec, s[20:21]
	v_cndmask_b32_e64 v11, v54, 1, vcc
	v_and_b32_e32 v5, v11, v22
	v_cmp_gt_u16_e64 s[14:15], v5, v4
	s_and_saveexec_b64 s[20:21], s[14:15]
	s_xor_b64 s[14:15], exec, s[20:21]
	s_cbranch_execz .LBB1655_20
; %bb.19:
	v_pk_mov_b32 v[38:39], v[20:21], v[20:21] op_sel:[0,1]
	v_pk_mov_b32 v[36:37], v[18:19], v[18:19] op_sel:[0,1]
	;; [unrolled: 1-line block ×4, first 2 shown]
	v_mov_b32_e32 v34, v18
	v_mov_b32_e32 v35, v19
	;; [unrolled: 1-line block ×6, first 2 shown]
	v_pk_mov_b32 v[14:15], v[32:33], v[32:33] op_sel:[0,1]
	v_mov_b32_e32 v5, 0
	v_pk_mov_b32 v[16:17], v[34:35], v[34:35] op_sel:[0,1]
	v_pk_mov_b32 v[18:19], v[36:37], v[36:37] op_sel:[0,1]
	;; [unrolled: 1-line block ×3, first 2 shown]
	v_mov_b32_e32 v11, v55
	v_mov_b32_e32 v55, 1
.LBB1655_20:
	s_or_b64 exec, exec, s[14:15]
	v_cndmask_b32_e32 v23, v64, v54, vcc
	v_and_b32_e32 v4, v23, v22
	v_cmp_gt_u16_e32 vcc, v4, v5
	v_and_b32_e32 v5, v30, v22
	v_and_b32_e32 v4, v55, v22
	v_cndmask_b32_e32 v51, v17, v15, vcc
	v_cndmask_b32_e32 v50, v16, v14, vcc
	;; [unrolled: 1-line block ×4, first 2 shown]
	v_cmp_gt_u16_e64 s[14:15], v4, v5
	s_and_saveexec_b64 s[20:21], s[14:15]
; %bb.21:
	v_pk_mov_b32 v[14:15], v[18:19], v[18:19] op_sel:[0,1]
	v_mov_b32_e32 v4, 0
	v_mov_b32_e32 v55, v30
	;; [unrolled: 1-line block ×3, first 2 shown]
	v_pk_mov_b32 v[18:19], v[20:21], v[20:21] op_sel:[0,1]
	v_pk_mov_b32 v[20:21], v[14:15], v[14:15] op_sel:[0,1]
; %bb.22:
	s_or_b64 exec, exec, s[20:21]
	v_cndmask_b32_e64 v54, v11, 1, vcc
	v_and_b32_e32 v5, v54, v22
	v_cmp_gt_u16_e64 s[14:15], v5, v4
	v_pk_mov_b32 v[4:5], v[18:19], v[18:19] op_sel:[0,1]
	s_and_saveexec_b64 s[20:21], s[14:15]
; %bb.23:
	v_mov_b32_e32 v14, 1
	v_pk_mov_b32 v[4:5], v[50:51], v[50:51] op_sel:[0,1]
	v_pk_mov_b32 v[50:51], v[18:19], v[18:19] op_sel:[0,1]
	v_mov_b32_e32 v54, v55
	v_mov_b32_e32 v55, v14
; %bb.24:
	s_or_b64 exec, exec, s[20:21]
	v_cndmask_b32_e32 v64, v23, v11, vcc
	v_pk_mov_b32 v[18:19], v[4:5], v[4:5] op_sel:[0,1]
.LBB1655_25:
	s_or_b64 exec, exec, s[18:19]
	v_and_b32_e32 v4, 0xffffff00, v10
	v_add_co_u32_e32 v10, vcc, v12, v4
	v_addc_co_u32_e32 v11, vcc, 0, v13, vcc
	s_movk_i32 s18, 0x400
	v_add_co_u32_e32 v12, vcc, v10, v1
	v_sub_u32_e64 v23, s18, v4 clamp
	v_mad_u64_u32 v[4:5], s[14:15], v4, 7, v[10:11]
	v_addc_co_u32_e32 v13, vcc, 0, v11, vcc
	v_lshlrev_b32_e32 v14, 3, v1
	v_lshlrev_b16_e32 v24, 8, v54
	v_lshlrev_b16_e32 v25, 8, v30
	v_add_co_u32_e32 v16, vcc, v4, v14
	v_or_b32_sdwa v24, v64, v24 dst_sel:DWORD dst_unused:UNUSED_PAD src0_sel:BYTE_0 src1_sel:DWORD
	v_or_b32_sdwa v25, v55, v25 dst_sel:WORD_1 dst_unused:UNUSED_PAD src0_sel:BYTE_0 src1_sel:DWORD
	v_addc_co_u32_e32 v17, vcc, 0, v5, vcc
	v_or_b32_sdwa v24, v24, v25 dst_sel:DWORD dst_unused:UNUSED_PAD src0_sel:WORD_0 src1_sel:DWORD
	flat_store_dwordx4 v[16:17], v[48:51] offset:1024
	flat_store_dword v[12:13], v24
	flat_store_dwordx4 v[16:17], v[18:21] offset:1040
	v_or_b32_e32 v24, 4, v1
	v_min_u32_e32 v24, v23, v24
	v_add_u32_e32 v25, 4, v24
	v_and_b32_e32 v26, 0x1f8, v1
	v_min_u32_e32 v25, v23, v25
	v_and_b32_e32 v27, 4, v1
	v_add_co_u32_e32 v14, vcc, s18, v16
	v_min_u32_e32 v27, v23, v27
	v_sub_u32_e32 v28, v24, v26
	v_sub_u32_e32 v29, v25, v24
	v_addc_co_u32_e32 v15, vcc, 0, v17, vcc
	v_sub_u32_e64 v29, v27, v29 clamp
	v_min_u32_e32 v28, v27, v28
	v_cmp_lt_u32_e32 vcc, v29, v28
	; wave barrier
	s_and_saveexec_b64 s[14:15], vcc
	s_cbranch_execz .LBB1655_29
; %bb.26:
	v_add_co_u32_e32 v31, vcc, v10, v26
	v_addc_co_u32_e32 v32, vcc, 0, v11, vcc
	v_add_co_u32_e32 v33, vcc, v10, v24
	v_addc_co_u32_e32 v34, vcc, 0, v11, vcc
	s_mov_b64 s[18:19], 0
.LBB1655_27:                            ; =>This Inner Loop Header: Depth=1
	v_add_u32_e32 v35, v28, v29
	v_lshrrev_b32_e32 v35, 1, v35
	v_add_co_u32_e32 v36, vcc, v31, v35
	v_xad_u32 v38, v35, -1, v27
	v_addc_co_u32_e32 v37, vcc, 0, v32, vcc
	v_add_co_u32_e32 v38, vcc, v33, v38
	v_addc_co_u32_e32 v39, vcc, 0, v34, vcc
	flat_load_ubyte v65, v[36:37]
	flat_load_ubyte v66, v[38:39]
	v_add_u32_e32 v36, 1, v35
	s_waitcnt vmcnt(0) lgkmcnt(0)
	v_and_b32_e32 v37, v65, v22
	v_and_b32_e32 v38, v66, v22
	v_cmp_gt_u16_e32 vcc, v37, v38
	v_cndmask_b32_e32 v28, v28, v35, vcc
	v_cndmask_b32_e32 v29, v36, v29, vcc
	v_cmp_ge_u32_e32 vcc, v29, v28
	s_or_b64 s[18:19], vcc, s[18:19]
	s_andn2_b64 exec, exec, s[18:19]
	s_cbranch_execnz .LBB1655_27
; %bb.28:
	s_or_b64 exec, exec, s[18:19]
.LBB1655_29:
	s_or_b64 exec, exec, s[14:15]
	v_add_u32_e32 v28, v29, v26
	v_add_u32_e32 v26, v24, v27
	v_sub_u32_e32 v29, v26, v29
	v_cmp_le_u32_e32 vcc, v28, v24
	v_cmp_le_u32_e64 s[14:15], v29, v25
	s_or_b64 s[14:15], vcc, s[14:15]
	s_and_saveexec_b64 s[28:29], s[14:15]
	s_cbranch_execz .LBB1655_35
; %bb.30:
	v_cmp_lt_u32_e32 vcc, v28, v24
                                        ; implicit-def: $vgpr26
	s_and_saveexec_b64 s[18:19], vcc
	s_cbranch_execz .LBB1655_32
; %bb.31:
	v_add_co_u32_e64 v18, s[14:15], v10, v28
	v_addc_co_u32_e64 v19, s[14:15], 0, v11, s[14:15]
	flat_load_ubyte v26, v[18:19]
.LBB1655_32:
	s_or_b64 exec, exec, s[18:19]
	v_cmp_ge_u32_e64 s[14:15], v29, v25
	v_cmp_lt_u32_e64 s[18:19], v29, v25
                                        ; implicit-def: $vgpr27
	s_and_saveexec_b64 s[20:21], s[18:19]
	s_cbranch_execz .LBB1655_34
; %bb.33:
	v_add_co_u32_e64 v18, s[18:19], v10, v29
	v_addc_co_u32_e64 v19, s[18:19], 0, v11, s[18:19]
	flat_load_ubyte v27, v[18:19]
.LBB1655_34:
	s_or_b64 exec, exec, s[20:21]
	s_waitcnt vmcnt(0) lgkmcnt(0)
	v_and_b32_e32 v18, v27, v22
	v_and_b32_e32 v19, v26, v22
	v_cmp_le_u16_e64 s[18:19], v19, v18
	s_and_b64 s[18:19], vcc, s[18:19]
	s_or_b64 vcc, s[14:15], s[18:19]
	v_cndmask_b32_e32 v20, v29, v28, vcc
	v_cndmask_b32_e32 v18, v25, v24, vcc
	v_add_u32_e32 v30, 1, v20
	v_add_u32_e32 v18, -1, v18
	v_min_u32_e32 v18, v30, v18
	v_add_co_u32_e64 v18, s[14:15], v10, v18
	v_addc_co_u32_e64 v19, s[14:15], 0, v11, s[14:15]
	flat_load_ubyte v31, v[18:19]
	v_mov_b32_e32 v21, 0
	v_lshlrev_b64 v[18:19], 3, v[20:21]
	v_cndmask_b32_e32 v32, v30, v29, vcc
	v_cndmask_b32_e32 v30, v28, v30, vcc
	v_cmp_lt_u32_e64 s[18:19], v30, v24
	v_cmp_ge_u32_e64 s[14:15], v32, v25
	v_cndmask_b32_e32 v64, v27, v26, vcc
	s_waitcnt vmcnt(0) lgkmcnt(0)
	v_cndmask_b32_e32 v33, v31, v27, vcc
	v_cndmask_b32_e32 v34, v26, v31, vcc
	v_and_b32_e32 v20, v33, v22
	v_and_b32_e32 v28, v34, v22
	v_cmp_le_u16_e64 s[20:21], v28, v20
	s_and_b64 s[18:19], s[20:21], s[18:19]
	s_or_b64 s[14:15], s[14:15], s[18:19]
	v_cndmask_b32_e64 v20, v32, v30, s[14:15]
	v_cndmask_b32_e64 v28, v25, v24, s[14:15]
	v_add_u32_e32 v31, 1, v20
	v_add_u32_e32 v28, -1, v28
	v_min_u32_e32 v28, v31, v28
	v_add_co_u32_e64 v28, s[18:19], v10, v28
	v_addc_co_u32_e64 v29, s[18:19], 0, v11, s[18:19]
	flat_load_ubyte v35, v[28:29]
	v_lshlrev_b64 v[28:29], 3, v[20:21]
	v_cndmask_b32_e64 v36, v30, v31, s[14:15]
	v_cndmask_b32_e64 v32, v31, v32, s[14:15]
	v_cmp_lt_u32_e64 s[20:21], v36, v24
	v_cmp_ge_u32_e64 s[18:19], v32, v25
	v_cndmask_b32_e64 v54, v33, v34, s[14:15]
	s_waitcnt vmcnt(0) lgkmcnt(0)
	v_cndmask_b32_e64 v37, v35, v33, s[14:15]
	v_cndmask_b32_e64 v35, v34, v35, s[14:15]
	v_and_b32_e32 v20, v37, v22
	v_and_b32_e32 v30, v35, v22
	v_cmp_le_u16_e64 s[22:23], v30, v20
	s_and_b64 s[20:21], s[22:23], s[20:21]
	s_or_b64 s[18:19], s[18:19], s[20:21]
	v_cndmask_b32_e64 v20, v32, v36, s[18:19]
	v_cndmask_b32_e64 v30, v25, v24, s[18:19]
	v_add_u32_e32 v38, 1, v20
	v_add_u32_e32 v30, -1, v30
	v_min_u32_e32 v30, v38, v30
	v_add_co_u32_e64 v30, s[20:21], v10, v30
	v_addc_co_u32_e64 v31, s[20:21], 0, v11, s[20:21]
	flat_load_ubyte v30, v[30:31]
	v_add_co_u32_e64 v18, s[20:21], v4, v18
	v_addc_co_u32_e64 v19, s[20:21], v5, v19, s[20:21]
	flat_load_dwordx2 v[48:49], v[18:19] offset:1024
	v_add_co_u32_e64 v18, s[20:21], v4, v28
	v_addc_co_u32_e64 v19, s[20:21], v5, v29, s[20:21]
	flat_load_dwordx2 v[50:51], v[18:19] offset:1024
	v_lshlrev_b64 v[18:19], 3, v[20:21]
	v_add_co_u32_e64 v18, s[20:21], v4, v18
	v_addc_co_u32_e64 v19, s[20:21], v5, v19, s[20:21]
	v_cndmask_b32_e64 v20, v38, v32, s[18:19]
	v_cndmask_b32_e64 v28, v36, v38, s[18:19]
	v_cmp_ge_u32_e64 s[20:21], v20, v25
	v_cmp_lt_u32_e64 s[22:23], v28, v24
	flat_load_dwordx2 v[18:19], v[18:19] offset:1024
	v_cndmask_b32_e64 v55, v37, v35, s[18:19]
	s_waitcnt vmcnt(0) lgkmcnt(0)
	v_cndmask_b32_e64 v24, v30, v37, s[18:19]
	v_cndmask_b32_e64 v25, v35, v30, s[18:19]
	v_and_b32_e32 v29, v24, v22
	v_and_b32_e32 v30, v25, v22
	v_cmp_le_u16_e64 s[24:25], v30, v29
	s_and_b64 s[22:23], s[24:25], s[22:23]
	s_or_b64 s[20:21], s[20:21], s[22:23]
	v_cndmask_b32_e64 v20, v20, v28, s[20:21]
	v_lshlrev_b64 v[20:21], 3, v[20:21]
	v_add_co_u32_e64 v20, s[22:23], v4, v20
	v_addc_co_u32_e64 v21, s[22:23], v5, v21, s[22:23]
	flat_load_dwordx2 v[20:21], v[20:21] offset:1024
	v_cndmask_b32_e64 v30, v24, v25, s[20:21]
.LBB1655_35:
	s_or_b64 exec, exec, s[28:29]
	v_lshlrev_b16_e32 v24, 8, v54
	v_lshlrev_b16_e32 v25, 8, v30
	v_or_b32_sdwa v24, v64, v24 dst_sel:DWORD dst_unused:UNUSED_PAD src0_sel:BYTE_0 src1_sel:DWORD
	v_or_b32_sdwa v25, v55, v25 dst_sel:WORD_1 dst_unused:UNUSED_PAD src0_sel:BYTE_0 src1_sel:DWORD
	v_or_b32_sdwa v24, v24, v25 dst_sel:DWORD dst_unused:UNUSED_PAD src0_sel:WORD_0 src1_sel:DWORD
	v_and_b32_e32 v26, 0x1f0, v1
	; wave barrier
	flat_store_dwordx4 v[16:17], v[48:51] offset:1024
	flat_store_dword v[12:13], v24
	s_waitcnt vmcnt(0) lgkmcnt(0)
	flat_store_dwordx4 v[14:15], v[18:21] offset:16
	v_or_b32_e32 v24, 8, v26
	v_min_u32_e32 v24, v23, v24
	v_add_u32_e32 v25, 8, v24
	v_min_u32_e32 v25, v23, v25
	v_and_b32_e32 v27, 12, v1
	v_min_u32_e32 v27, v23, v27
	v_sub_u32_e32 v28, v24, v26
	v_sub_u32_e32 v29, v25, v24
	v_sub_u32_e64 v29, v27, v29 clamp
	v_min_u32_e32 v28, v27, v28
	v_cmp_lt_u32_e32 vcc, v29, v28
	; wave barrier
	s_and_saveexec_b64 s[14:15], vcc
	s_cbranch_execz .LBB1655_39
; %bb.36:
	v_add_co_u32_e32 v31, vcc, v10, v26
	v_addc_co_u32_e32 v32, vcc, 0, v11, vcc
	v_add_co_u32_e32 v33, vcc, v10, v24
	v_addc_co_u32_e32 v34, vcc, 0, v11, vcc
	s_mov_b64 s[18:19], 0
.LBB1655_37:                            ; =>This Inner Loop Header: Depth=1
	v_add_u32_e32 v35, v28, v29
	v_lshrrev_b32_e32 v35, 1, v35
	v_add_co_u32_e32 v36, vcc, v31, v35
	v_xad_u32 v38, v35, -1, v27
	v_addc_co_u32_e32 v37, vcc, 0, v32, vcc
	v_add_co_u32_e32 v38, vcc, v33, v38
	v_addc_co_u32_e32 v39, vcc, 0, v34, vcc
	flat_load_ubyte v65, v[36:37]
	flat_load_ubyte v66, v[38:39]
	v_add_u32_e32 v36, 1, v35
	s_waitcnt vmcnt(0) lgkmcnt(0)
	v_and_b32_e32 v37, v65, v22
	v_and_b32_e32 v38, v66, v22
	v_cmp_gt_u16_e32 vcc, v37, v38
	v_cndmask_b32_e32 v28, v28, v35, vcc
	v_cndmask_b32_e32 v29, v36, v29, vcc
	v_cmp_ge_u32_e32 vcc, v29, v28
	s_or_b64 s[18:19], vcc, s[18:19]
	s_andn2_b64 exec, exec, s[18:19]
	s_cbranch_execnz .LBB1655_37
; %bb.38:
	s_or_b64 exec, exec, s[18:19]
.LBB1655_39:
	s_or_b64 exec, exec, s[14:15]
	v_add_u32_e32 v28, v29, v26
	v_add_u32_e32 v26, v24, v27
	v_sub_u32_e32 v29, v26, v29
	v_cmp_le_u32_e32 vcc, v28, v24
	v_cmp_le_u32_e64 s[14:15], v29, v25
	s_or_b64 s[14:15], vcc, s[14:15]
	s_and_saveexec_b64 s[28:29], s[14:15]
	s_cbranch_execz .LBB1655_45
; %bb.40:
	v_cmp_lt_u32_e32 vcc, v28, v24
                                        ; implicit-def: $vgpr26
	s_and_saveexec_b64 s[18:19], vcc
	s_cbranch_execz .LBB1655_42
; %bb.41:
	v_add_co_u32_e64 v18, s[14:15], v10, v28
	v_addc_co_u32_e64 v19, s[14:15], 0, v11, s[14:15]
	flat_load_ubyte v26, v[18:19]
.LBB1655_42:
	s_or_b64 exec, exec, s[18:19]
	v_cmp_ge_u32_e64 s[14:15], v29, v25
	v_cmp_lt_u32_e64 s[18:19], v29, v25
                                        ; implicit-def: $vgpr27
	s_and_saveexec_b64 s[20:21], s[18:19]
	s_cbranch_execz .LBB1655_44
; %bb.43:
	v_add_co_u32_e64 v18, s[18:19], v10, v29
	v_addc_co_u32_e64 v19, s[18:19], 0, v11, s[18:19]
	flat_load_ubyte v27, v[18:19]
.LBB1655_44:
	s_or_b64 exec, exec, s[20:21]
	s_waitcnt vmcnt(0) lgkmcnt(0)
	v_and_b32_e32 v18, v27, v22
	v_and_b32_e32 v19, v26, v22
	v_cmp_le_u16_e64 s[18:19], v19, v18
	s_and_b64 s[18:19], vcc, s[18:19]
	s_or_b64 vcc, s[14:15], s[18:19]
	v_cndmask_b32_e32 v20, v29, v28, vcc
	v_cndmask_b32_e32 v18, v25, v24, vcc
	v_add_u32_e32 v30, 1, v20
	v_add_u32_e32 v18, -1, v18
	v_min_u32_e32 v18, v30, v18
	v_add_co_u32_e64 v18, s[14:15], v10, v18
	v_addc_co_u32_e64 v19, s[14:15], 0, v11, s[14:15]
	flat_load_ubyte v31, v[18:19]
	v_mov_b32_e32 v21, 0
	v_lshlrev_b64 v[18:19], 3, v[20:21]
	v_cndmask_b32_e32 v32, v30, v29, vcc
	v_cndmask_b32_e32 v30, v28, v30, vcc
	v_cmp_lt_u32_e64 s[18:19], v30, v24
	v_cmp_ge_u32_e64 s[14:15], v32, v25
	v_cndmask_b32_e32 v64, v27, v26, vcc
	s_waitcnt vmcnt(0) lgkmcnt(0)
	v_cndmask_b32_e32 v33, v31, v27, vcc
	v_cndmask_b32_e32 v34, v26, v31, vcc
	v_and_b32_e32 v20, v33, v22
	v_and_b32_e32 v28, v34, v22
	v_cmp_le_u16_e64 s[20:21], v28, v20
	s_and_b64 s[18:19], s[20:21], s[18:19]
	s_or_b64 s[14:15], s[14:15], s[18:19]
	v_cndmask_b32_e64 v20, v32, v30, s[14:15]
	v_cndmask_b32_e64 v28, v25, v24, s[14:15]
	v_add_u32_e32 v31, 1, v20
	v_add_u32_e32 v28, -1, v28
	v_min_u32_e32 v28, v31, v28
	v_add_co_u32_e64 v28, s[18:19], v10, v28
	v_addc_co_u32_e64 v29, s[18:19], 0, v11, s[18:19]
	flat_load_ubyte v35, v[28:29]
	v_lshlrev_b64 v[28:29], 3, v[20:21]
	v_cndmask_b32_e64 v36, v30, v31, s[14:15]
	v_cndmask_b32_e64 v32, v31, v32, s[14:15]
	v_cmp_lt_u32_e64 s[20:21], v36, v24
	v_cmp_ge_u32_e64 s[18:19], v32, v25
	v_cndmask_b32_e64 v54, v33, v34, s[14:15]
	s_waitcnt vmcnt(0) lgkmcnt(0)
	v_cndmask_b32_e64 v37, v35, v33, s[14:15]
	v_cndmask_b32_e64 v35, v34, v35, s[14:15]
	v_and_b32_e32 v20, v37, v22
	v_and_b32_e32 v30, v35, v22
	v_cmp_le_u16_e64 s[22:23], v30, v20
	s_and_b64 s[20:21], s[22:23], s[20:21]
	s_or_b64 s[18:19], s[18:19], s[20:21]
	v_cndmask_b32_e64 v20, v32, v36, s[18:19]
	v_cndmask_b32_e64 v30, v25, v24, s[18:19]
	v_add_u32_e32 v38, 1, v20
	v_add_u32_e32 v30, -1, v30
	v_min_u32_e32 v30, v38, v30
	v_add_co_u32_e64 v30, s[20:21], v10, v30
	v_addc_co_u32_e64 v31, s[20:21], 0, v11, s[20:21]
	flat_load_ubyte v30, v[30:31]
	v_add_co_u32_e64 v18, s[20:21], v4, v18
	v_addc_co_u32_e64 v19, s[20:21], v5, v19, s[20:21]
	flat_load_dwordx2 v[48:49], v[18:19] offset:1024
	v_add_co_u32_e64 v18, s[20:21], v4, v28
	v_addc_co_u32_e64 v19, s[20:21], v5, v29, s[20:21]
	flat_load_dwordx2 v[50:51], v[18:19] offset:1024
	v_lshlrev_b64 v[18:19], 3, v[20:21]
	v_add_co_u32_e64 v18, s[20:21], v4, v18
	v_addc_co_u32_e64 v19, s[20:21], v5, v19, s[20:21]
	v_cndmask_b32_e64 v20, v38, v32, s[18:19]
	v_cndmask_b32_e64 v28, v36, v38, s[18:19]
	v_cmp_ge_u32_e64 s[20:21], v20, v25
	v_cmp_lt_u32_e64 s[22:23], v28, v24
	flat_load_dwordx2 v[18:19], v[18:19] offset:1024
	v_cndmask_b32_e64 v55, v37, v35, s[18:19]
	s_waitcnt vmcnt(0) lgkmcnt(0)
	v_cndmask_b32_e64 v24, v30, v37, s[18:19]
	v_cndmask_b32_e64 v25, v35, v30, s[18:19]
	v_and_b32_e32 v29, v24, v22
	v_and_b32_e32 v30, v25, v22
	v_cmp_le_u16_e64 s[24:25], v30, v29
	s_and_b64 s[22:23], s[24:25], s[22:23]
	s_or_b64 s[20:21], s[20:21], s[22:23]
	v_cndmask_b32_e64 v20, v20, v28, s[20:21]
	v_lshlrev_b64 v[20:21], 3, v[20:21]
	v_add_co_u32_e64 v20, s[22:23], v4, v20
	v_addc_co_u32_e64 v21, s[22:23], v5, v21, s[22:23]
	flat_load_dwordx2 v[20:21], v[20:21] offset:1024
	v_cndmask_b32_e64 v30, v24, v25, s[20:21]
.LBB1655_45:
	s_or_b64 exec, exec, s[28:29]
	; wave barrier
	flat_store_dwordx4 v[16:17], v[48:51] offset:1024
	v_lshlrev_b16_e32 v16, 8, v54
	v_lshlrev_b16_e32 v17, 8, v30
	v_or_b32_sdwa v16, v64, v16 dst_sel:DWORD dst_unused:UNUSED_PAD src0_sel:BYTE_0 src1_sel:DWORD
	v_or_b32_sdwa v17, v55, v17 dst_sel:WORD_1 dst_unused:UNUSED_PAD src0_sel:BYTE_0 src1_sel:DWORD
	v_or_b32_sdwa v16, v16, v17 dst_sel:DWORD dst_unused:UNUSED_PAD src0_sel:WORD_0 src1_sel:DWORD
	flat_store_dword v[12:13], v16
	s_waitcnt vmcnt(0) lgkmcnt(0)
	flat_store_dwordx4 v[14:15], v[18:21] offset:16
	v_and_b32_e32 v13, 0x1e0, v1
	v_or_b32_e32 v1, 16, v13
	v_min_u32_e32 v1, v23, v1
	v_add_u32_e32 v12, 16, v1
	v_min_u32_e32 v12, v23, v12
	v_min_u32_e32 v14, v23, v0
	v_sub_u32_e32 v15, v1, v13
	v_sub_u32_e32 v16, v12, v1
	v_sub_u32_e64 v16, v14, v16 clamp
	v_min_u32_e32 v15, v14, v15
	v_cmp_lt_u32_e32 vcc, v16, v15
	; wave barrier
	s_and_saveexec_b64 s[14:15], vcc
	s_cbranch_execz .LBB1655_49
; %bb.46:
	v_add_co_u32_e32 v17, vcc, v10, v13
	v_addc_co_u32_e32 v23, vcc, 0, v11, vcc
	v_add_co_u32_e32 v24, vcc, v10, v1
	v_addc_co_u32_e32 v25, vcc, 0, v11, vcc
	s_mov_b64 s[18:19], 0
.LBB1655_47:                            ; =>This Inner Loop Header: Depth=1
	v_add_u32_e32 v26, v15, v16
	v_lshrrev_b32_e32 v31, 1, v26
	v_add_co_u32_e32 v26, vcc, v17, v31
	v_xad_u32 v28, v31, -1, v14
	v_addc_co_u32_e32 v27, vcc, 0, v23, vcc
	v_add_co_u32_e32 v28, vcc, v24, v28
	v_addc_co_u32_e32 v29, vcc, 0, v25, vcc
	flat_load_ubyte v32, v[26:27]
	flat_load_ubyte v33, v[28:29]
	v_add_u32_e32 v26, 1, v31
	s_waitcnt vmcnt(0) lgkmcnt(0)
	v_and_b32_e32 v27, v32, v22
	v_and_b32_e32 v28, v33, v22
	v_cmp_gt_u16_e32 vcc, v27, v28
	v_cndmask_b32_e32 v15, v15, v31, vcc
	v_cndmask_b32_e32 v16, v26, v16, vcc
	v_cmp_ge_u32_e32 vcc, v16, v15
	s_or_b64 s[18:19], vcc, s[18:19]
	s_andn2_b64 exec, exec, s[18:19]
	s_cbranch_execnz .LBB1655_47
; %bb.48:
	s_or_b64 exec, exec, s[18:19]
.LBB1655_49:
	s_or_b64 exec, exec, s[14:15]
	v_add_u32_e32 v15, v16, v13
	v_add_u32_e32 v13, v1, v14
	v_sub_u32_e32 v16, v13, v16
	v_cmp_le_u32_e32 vcc, v15, v1
	v_cmp_le_u32_e64 s[14:15], v16, v12
	s_or_b64 s[14:15], vcc, s[14:15]
	s_and_saveexec_b64 s[28:29], s[14:15]
	s_cbranch_execz .LBB1655_55
; %bb.50:
	v_cmp_lt_u32_e32 vcc, v15, v1
                                        ; implicit-def: $vgpr13
	s_and_saveexec_b64 s[18:19], vcc
	s_cbranch_execz .LBB1655_52
; %bb.51:
	v_add_co_u32_e64 v18, s[14:15], v10, v15
	v_addc_co_u32_e64 v19, s[14:15], 0, v11, s[14:15]
	flat_load_ubyte v13, v[18:19]
.LBB1655_52:
	s_or_b64 exec, exec, s[18:19]
	v_cmp_ge_u32_e64 s[14:15], v16, v12
	v_cmp_lt_u32_e64 s[18:19], v16, v12
                                        ; implicit-def: $vgpr14
	s_and_saveexec_b64 s[20:21], s[18:19]
	s_cbranch_execz .LBB1655_54
; %bb.53:
	v_add_co_u32_e64 v18, s[18:19], v10, v16
	v_addc_co_u32_e64 v19, s[18:19], 0, v11, s[18:19]
	flat_load_ubyte v14, v[18:19]
.LBB1655_54:
	s_or_b64 exec, exec, s[20:21]
	s_waitcnt vmcnt(0) lgkmcnt(0)
	v_and_b32_e32 v17, v14, v22
	v_and_b32_e32 v18, v13, v22
	v_cmp_le_u16_e64 s[18:19], v18, v17
	s_and_b64 s[18:19], vcc, s[18:19]
	s_or_b64 vcc, s[14:15], s[18:19]
	v_cndmask_b32_e32 v20, v16, v15, vcc
	v_cndmask_b32_e32 v17, v12, v1, vcc
	v_add_u32_e32 v23, 1, v20
	v_add_u32_e32 v17, -1, v17
	v_min_u32_e32 v17, v23, v17
	v_add_co_u32_e64 v18, s[14:15], v10, v17
	v_addc_co_u32_e64 v19, s[14:15], 0, v11, s[14:15]
	flat_load_ubyte v17, v[18:19]
	v_cndmask_b32_e32 v24, v23, v16, vcc
	v_cndmask_b32_e32 v15, v15, v23, vcc
	v_cmp_lt_u32_e64 s[18:19], v15, v1
	v_cmp_ge_u32_e64 s[14:15], v24, v12
	v_mov_b32_e32 v21, 0
	v_lshlrev_b64 v[18:19], 3, v[20:21]
	v_cndmask_b32_e32 v64, v14, v13, vcc
	s_waitcnt vmcnt(0) lgkmcnt(0)
	v_cndmask_b32_e32 v23, v17, v14, vcc
	v_cndmask_b32_e32 v25, v13, v17, vcc
	v_and_b32_e32 v16, v23, v22
	v_and_b32_e32 v17, v25, v22
	v_cmp_le_u16_e64 s[20:21], v17, v16
	s_and_b64 s[18:19], s[20:21], s[18:19]
	s_or_b64 s[14:15], s[14:15], s[18:19]
	v_cndmask_b32_e64 v20, v24, v15, s[14:15]
	v_cndmask_b32_e64 v16, v12, v1, s[14:15]
	v_add_u32_e32 v26, 1, v20
	v_add_u32_e32 v16, -1, v16
	v_min_u32_e32 v16, v26, v16
	v_add_co_u32_e64 v16, s[18:19], v10, v16
	v_addc_co_u32_e64 v17, s[18:19], 0, v11, s[18:19]
	flat_load_ubyte v27, v[16:17]
	v_cndmask_b32_e64 v24, v26, v24, s[14:15]
	v_cndmask_b32_e64 v15, v15, v26, s[14:15]
	v_lshlrev_b64 v[16:17], 3, v[20:21]
	v_cmp_lt_u32_e64 s[20:21], v15, v1
	v_cmp_ge_u32_e64 s[18:19], v24, v12
	v_cndmask_b32_e64 v54, v23, v25, s[14:15]
	s_waitcnt vmcnt(0) lgkmcnt(0)
	v_cndmask_b32_e64 v26, v27, v23, s[14:15]
	v_cndmask_b32_e64 v27, v25, v27, s[14:15]
	v_and_b32_e32 v20, v26, v22
	v_and_b32_e32 v28, v27, v22
	v_cmp_le_u16_e64 s[22:23], v28, v20
	s_and_b64 s[20:21], s[22:23], s[20:21]
	s_or_b64 s[18:19], s[18:19], s[20:21]
	v_cndmask_b32_e64 v20, v24, v15, s[18:19]
	v_cndmask_b32_e64 v28, v12, v1, s[18:19]
	v_add_u32_e32 v29, 1, v20
	v_add_u32_e32 v28, -1, v28
	v_min_u32_e32 v28, v29, v28
	v_add_co_u32_e64 v10, s[20:21], v10, v28
	v_addc_co_u32_e64 v11, s[20:21], 0, v11, s[20:21]
	flat_load_ubyte v28, v[10:11]
	v_add_co_u32_e64 v10, s[20:21], v4, v18
	v_addc_co_u32_e64 v11, s[20:21], v5, v19, s[20:21]
	flat_load_dwordx2 v[48:49], v[10:11] offset:1024
	v_add_co_u32_e64 v10, s[20:21], v4, v16
	v_addc_co_u32_e64 v11, s[20:21], v5, v17, s[20:21]
	flat_load_dwordx2 v[50:51], v[10:11] offset:1024
	v_lshlrev_b64 v[10:11], 3, v[20:21]
	v_add_co_u32_e64 v10, s[20:21], v4, v10
	v_addc_co_u32_e64 v11, s[20:21], v5, v11, s[20:21]
	flat_load_dwordx2 v[18:19], v[10:11] offset:1024
	v_cndmask_b32_e64 v10, v29, v24, s[18:19]
	v_cndmask_b32_e64 v11, v15, v29, s[18:19]
	v_cmp_ge_u32_e64 s[20:21], v10, v12
	v_cmp_lt_u32_e64 s[22:23], v11, v1
	v_cndmask_b32_e64 v55, v26, v27, s[18:19]
	s_waitcnt vmcnt(0) lgkmcnt(0)
	v_cndmask_b32_e64 v1, v28, v26, s[18:19]
	v_cndmask_b32_e64 v12, v27, v28, s[18:19]
	v_and_b32_e32 v15, v1, v22
	v_and_b32_e32 v16, v12, v22
	v_cmp_le_u16_e64 s[24:25], v16, v15
	s_and_b64 s[22:23], s[24:25], s[22:23]
	s_or_b64 s[20:21], s[20:21], s[22:23]
	v_cndmask_b32_e64 v20, v10, v11, s[20:21]
	v_lshlrev_b64 v[10:11], 3, v[20:21]
	v_add_co_u32_e64 v4, s[22:23], v4, v10
	v_addc_co_u32_e64 v5, s[22:23], v5, v11, s[22:23]
	flat_load_dwordx2 v[20:21], v[4:5] offset:1024
	v_cndmask_b32_e64 v30, v1, v12, s[20:21]
.LBB1655_55:
	s_or_b64 exec, exec, s[28:29]
	; wave barrier
	s_waitcnt lgkmcnt(0)
	s_barrier
                                        ; implicit-def: $vgpr1
                                        ; implicit-def: $vgpr12
                                        ; implicit-def: $vgpr13
                                        ; implicit-def: $vgpr31
                                        ; implicit-def: $vgpr4
                                        ; implicit-def: $vgpr5
                                        ; implicit-def: $vgpr22_vgpr23_vgpr24_vgpr25_vgpr26_vgpr27_vgpr28_vgpr29
                                        ; implicit-def: $vgpr32_vgpr33_vgpr34_vgpr35_vgpr36_vgpr37_vgpr38_vgpr39
.LBB1655_56:
	s_andn2_saveexec_b64 s[20:21], s[26:27]
	s_cbranch_execz .LBB1655_92
; %bb.57:
	s_load_dwordx2 s[14:15], s[8:9], 0x0
	v_mov_b32_e32 v10, 0
	s_movk_i32 s18, 0x400
	s_waitcnt lgkmcnt(0)
	s_cmp_lt_u32 s12, s14
	s_cselect_b32 s14, 12, 18
	s_cmp_lt_u32 s13, s15
	s_cselect_b32 s12, 14, 20
	s_add_u32 s12, s8, s12
	s_addc_u32 s13, s9, 0
	s_add_u32 s8, s8, s14
	s_addc_u32 s9, s9, 0
	global_load_ushort v11, v10, s[12:13]
	global_load_ushort v14, v10, s[8:9]
	v_and_b32_e32 v10, 0x3ff, v31
	s_waitcnt vmcnt(0)
	v_mad_u32_u24 v4, v5, v11, v4
	v_mul_lo_u32 v4, v4, v14
	v_add_lshl_u32 v4, v4, v10, 2
	v_cmp_gt_u32_e32 vcc, s18, v4
	s_and_saveexec_b64 s[12:13], vcc
	s_cbranch_execz .LBB1655_61
; %bb.58:
	v_cmp_gt_u16_sdwa vcc, v64, v54 src0_sel:BYTE_0 src1_sel:BYTE_0
	v_cndmask_b32_e64 v5, v64, 0, vcc
	v_cndmask_b32_e64 v11, v54, 1, vcc
	v_cndmask_b32_e32 v14, v48, v50, vcc
	v_cndmask_b32_e32 v15, v49, v51, vcc
	v_cndmask_b32_e32 v16, v51, v49, vcc
	v_cndmask_b32_e32 v17, v50, v48, vcc
	v_cmp_gt_u16_sdwa vcc, v55, v30 src0_sel:BYTE_0 src1_sel:BYTE_0
	v_cndmask_b32_e64 v18, v55, 0, vcc
	v_cndmask_b32_e64 v10, v30, 1, vcc
	v_cndmask_b32_e32 v22, v38, v26, vcc
	v_cndmask_b32_e32 v19, v39, v27, vcc
	v_cndmask_b32_e32 v20, v27, v39, vcc
	v_cndmask_b32_e32 v21, v26, v38, vcc
	v_cmp_gt_u16_sdwa vcc, v11, v18 src0_sel:BYTE_0 src1_sel:BYTE_0
	v_cndmask_b32_e64 v11, v11, 0, vcc
	v_cndmask_b32_e64 v18, v18, 1, vcc
	v_cndmask_b32_e32 v23, v21, v17, vcc
	v_cndmask_b32_e32 v24, v20, v16, vcc
	v_cndmask_b32_e32 v17, v17, v21, vcc
	v_cndmask_b32_e32 v16, v16, v20, vcc
	v_cmp_gt_u16_sdwa vcc, v5, v11 src0_sel:BYTE_0 src1_sel:BYTE_0
	v_cmp_gt_u16_sdwa s[8:9], v18, v10 src0_sel:BYTE_0 src1_sel:BYTE_0
	v_cndmask_b32_e64 v54, v11, 1, vcc
	v_cndmask_b32_e64 v55, v18, 0, s[8:9]
	v_cndmask_b32_e32 v49, v15, v16, vcc
	v_cndmask_b32_e32 v48, v14, v17, vcc
	;; [unrolled: 1-line block ×4, first 2 shown]
	v_cndmask_b32_e64 v21, v19, v24, s[8:9]
	v_cndmask_b32_e64 v20, v22, v23, s[8:9]
	;; [unrolled: 1-line block ×4, first 2 shown]
	v_cmp_gt_u16_sdwa s[22:23], v54, v55 src0_sel:BYTE_0 src1_sel:BYTE_0
	s_and_saveexec_b64 s[14:15], s[22:23]
; %bb.59:
	v_pk_mov_b32 v[14:15], v[18:19], v[18:19] op_sel:[0,1]
	v_mov_b32_e32 v55, 1
	v_mov_b32_e32 v54, 0
	v_pk_mov_b32 v[18:19], v[50:51], v[50:51] op_sel:[0,1]
	v_pk_mov_b32 v[50:51], v[14:15], v[14:15] op_sel:[0,1]
; %bb.60:
	s_or_b64 exec, exec, s[14:15]
	v_cndmask_b32_e64 v64, v5, 0, vcc
	v_cndmask_b32_e64 v30, v10, 1, s[8:9]
.LBB1655_61:
	s_or_b64 exec, exec, s[12:13]
	v_and_b32_e32 v4, 0xffffff00, v4
	v_add_co_u32_e32 v10, vcc, v12, v4
	v_addc_co_u32_e32 v11, vcc, 0, v13, vcc
	v_add_co_u32_e32 v12, vcc, v10, v1
	v_sub_u32_e64 v22, s18, v4 clamp
	v_mad_u64_u32 v[4:5], s[8:9], v4, 7, v[10:11]
	v_addc_co_u32_e32 v13, vcc, 0, v11, vcc
	v_lshlrev_b32_e32 v14, 3, v1
	v_lshlrev_b16_e32 v23, 8, v54
	v_lshlrev_b16_e32 v24, 8, v30
	v_add_co_u32_e32 v16, vcc, v4, v14
	v_or_b32_sdwa v23, v64, v23 dst_sel:DWORD dst_unused:UNUSED_PAD src0_sel:BYTE_0 src1_sel:DWORD
	v_or_b32_sdwa v24, v55, v24 dst_sel:WORD_1 dst_unused:UNUSED_PAD src0_sel:BYTE_0 src1_sel:DWORD
	v_addc_co_u32_e32 v17, vcc, 0, v5, vcc
	v_or_b32_sdwa v23, v23, v24 dst_sel:DWORD dst_unused:UNUSED_PAD src0_sel:WORD_0 src1_sel:DWORD
	flat_store_dwordx4 v[16:17], v[48:51] offset:1024
	flat_store_dword v[12:13], v23
	flat_store_dwordx4 v[16:17], v[18:21] offset:1040
	v_or_b32_e32 v23, 4, v1
	v_min_u32_e32 v23, v22, v23
	v_add_u32_e32 v24, 4, v23
	v_and_b32_e32 v25, 0x1f8, v1
	v_min_u32_e32 v24, v22, v24
	v_and_b32_e32 v26, 4, v1
	v_add_co_u32_e32 v14, vcc, s18, v16
	v_min_u32_e32 v26, v22, v26
	v_sub_u32_e32 v27, v23, v25
	v_sub_u32_e32 v28, v24, v23
	v_addc_co_u32_e32 v15, vcc, 0, v17, vcc
	v_sub_u32_e64 v28, v26, v28 clamp
	v_min_u32_e32 v27, v26, v27
	v_cmp_lt_u32_e32 vcc, v28, v27
	; wave barrier
	s_and_saveexec_b64 s[8:9], vcc
	s_cbranch_execz .LBB1655_65
; %bb.62:
	v_add_co_u32_e32 v29, vcc, v10, v25
	v_addc_co_u32_e32 v31, vcc, 0, v11, vcc
	v_add_co_u32_e32 v32, vcc, v10, v23
	v_addc_co_u32_e32 v33, vcc, 0, v11, vcc
	s_mov_b64 s[12:13], 0
.LBB1655_63:                            ; =>This Inner Loop Header: Depth=1
	v_add_u32_e32 v34, v27, v28
	v_lshrrev_b32_e32 v38, 1, v34
	v_add_co_u32_e32 v34, vcc, v29, v38
	v_xad_u32 v36, v38, -1, v26
	v_addc_co_u32_e32 v35, vcc, 0, v31, vcc
	v_add_co_u32_e32 v36, vcc, v32, v36
	v_addc_co_u32_e32 v37, vcc, 0, v33, vcc
	flat_load_ubyte v39, v[34:35]
	flat_load_ubyte v65, v[36:37]
	v_add_u32_e32 v34, 1, v38
	s_waitcnt vmcnt(0) lgkmcnt(0)
	v_cmp_gt_u16_e32 vcc, v39, v65
	v_cndmask_b32_e32 v27, v27, v38, vcc
	v_cndmask_b32_e32 v28, v34, v28, vcc
	v_cmp_ge_u32_e32 vcc, v28, v27
	s_or_b64 s[12:13], vcc, s[12:13]
	s_andn2_b64 exec, exec, s[12:13]
	s_cbranch_execnz .LBB1655_63
; %bb.64:
	s_or_b64 exec, exec, s[12:13]
.LBB1655_65:
	s_or_b64 exec, exec, s[8:9]
	v_add_u32_e32 v27, v28, v25
	v_add_u32_e32 v25, v23, v26
	v_sub_u32_e32 v28, v25, v28
	v_cmp_le_u32_e32 vcc, v27, v23
	v_cmp_le_u32_e64 s[8:9], v28, v24
	s_or_b64 s[8:9], vcc, s[8:9]
	s_and_saveexec_b64 s[22:23], s[8:9]
	s_cbranch_execz .LBB1655_71
; %bb.66:
	v_cmp_lt_u32_e32 vcc, v27, v23
                                        ; implicit-def: $vgpr25
	s_and_saveexec_b64 s[12:13], vcc
	s_cbranch_execz .LBB1655_68
; %bb.67:
	v_add_co_u32_e64 v18, s[8:9], v10, v27
	v_addc_co_u32_e64 v19, s[8:9], 0, v11, s[8:9]
	flat_load_ubyte v25, v[18:19]
.LBB1655_68:
	s_or_b64 exec, exec, s[12:13]
	v_cmp_ge_u32_e64 s[8:9], v28, v24
	v_cmp_lt_u32_e64 s[12:13], v28, v24
                                        ; implicit-def: $vgpr26
	s_and_saveexec_b64 s[14:15], s[12:13]
	s_cbranch_execz .LBB1655_70
; %bb.69:
	v_add_co_u32_e64 v18, s[12:13], v10, v28
	v_addc_co_u32_e64 v19, s[12:13], 0, v11, s[12:13]
	flat_load_ubyte v26, v[18:19]
.LBB1655_70:
	s_or_b64 exec, exec, s[14:15]
	s_waitcnt vmcnt(0) lgkmcnt(0)
	v_cmp_le_u16_sdwa s[12:13], v25, v26 src0_sel:BYTE_0 src1_sel:BYTE_0
	s_and_b64 s[12:13], vcc, s[12:13]
	s_or_b64 vcc, s[8:9], s[12:13]
	v_cndmask_b32_e32 v20, v28, v27, vcc
	v_cndmask_b32_e32 v18, v24, v23, vcc
	v_add_u32_e32 v29, 1, v20
	v_add_u32_e32 v18, -1, v18
	v_min_u32_e32 v18, v29, v18
	v_add_co_u32_e64 v18, s[8:9], v10, v18
	v_addc_co_u32_e64 v19, s[8:9], 0, v11, s[8:9]
	flat_load_ubyte v30, v[18:19]
	v_cndmask_b32_e32 v27, v27, v29, vcc
	v_cndmask_b32_e32 v31, v29, v28, vcc
	v_cmp_lt_u32_e64 s[12:13], v27, v23
	v_cmp_ge_u32_e64 s[8:9], v31, v24
	v_mov_b32_e32 v21, 0
	v_lshlrev_b64 v[18:19], 3, v[20:21]
	v_cndmask_b32_e32 v64, v26, v25, vcc
	s_waitcnt vmcnt(0) lgkmcnt(0)
	v_cndmask_b32_e32 v32, v30, v26, vcc
	v_cndmask_b32_e32 v33, v25, v30, vcc
	v_cmp_le_u16_sdwa s[14:15], v33, v32 src0_sel:BYTE_0 src1_sel:BYTE_0
	s_and_b64 s[12:13], s[14:15], s[12:13]
	s_or_b64 s[8:9], s[8:9], s[12:13]
	v_cndmask_b32_e64 v20, v31, v27, s[8:9]
	v_cndmask_b32_e64 v28, v24, v23, s[8:9]
	v_add_u32_e32 v30, 1, v20
	v_add_u32_e32 v28, -1, v28
	v_min_u32_e32 v28, v30, v28
	v_add_co_u32_e64 v28, s[12:13], v10, v28
	v_addc_co_u32_e64 v29, s[12:13], 0, v11, s[12:13]
	flat_load_ubyte v34, v[28:29]
	v_cndmask_b32_e64 v27, v27, v30, s[8:9]
	v_cndmask_b32_e64 v35, v30, v31, s[8:9]
	v_cmp_lt_u32_e64 s[14:15], v27, v23
	v_cmp_ge_u32_e64 s[12:13], v35, v24
	v_lshlrev_b64 v[28:29], 3, v[20:21]
	v_cndmask_b32_e64 v54, v32, v33, s[8:9]
	s_waitcnt vmcnt(0) lgkmcnt(0)
	v_cndmask_b32_e64 v36, v34, v32, s[8:9]
	v_cndmask_b32_e64 v34, v33, v34, s[8:9]
	v_cmp_le_u16_sdwa s[18:19], v34, v36 src0_sel:BYTE_0 src1_sel:BYTE_0
	s_and_b64 s[14:15], s[18:19], s[14:15]
	s_or_b64 s[12:13], s[12:13], s[14:15]
	v_cndmask_b32_e64 v20, v35, v27, s[12:13]
	v_cndmask_b32_e64 v30, v24, v23, s[12:13]
	v_add_u32_e32 v37, 1, v20
	v_add_u32_e32 v30, -1, v30
	v_min_u32_e32 v30, v37, v30
	v_add_co_u32_e64 v30, s[14:15], v10, v30
	v_addc_co_u32_e64 v31, s[14:15], 0, v11, s[14:15]
	flat_load_ubyte v30, v[30:31]
	v_add_co_u32_e64 v18, s[14:15], v4, v18
	v_addc_co_u32_e64 v19, s[14:15], v5, v19, s[14:15]
	flat_load_dwordx2 v[48:49], v[18:19] offset:1024
	v_add_co_u32_e64 v18, s[14:15], v4, v28
	v_addc_co_u32_e64 v19, s[14:15], v5, v29, s[14:15]
	flat_load_dwordx2 v[50:51], v[18:19] offset:1024
	v_lshlrev_b64 v[18:19], 3, v[20:21]
	v_add_co_u32_e64 v18, s[14:15], v4, v18
	v_addc_co_u32_e64 v19, s[14:15], v5, v19, s[14:15]
	v_cndmask_b32_e64 v20, v37, v35, s[12:13]
	v_cndmask_b32_e64 v27, v27, v37, s[12:13]
	v_cmp_ge_u32_e64 s[14:15], v20, v24
	v_cmp_lt_u32_e64 s[18:19], v27, v23
	flat_load_dwordx2 v[18:19], v[18:19] offset:1024
	v_cndmask_b32_e64 v55, v36, v34, s[12:13]
	s_waitcnt vmcnt(0) lgkmcnt(0)
	v_cndmask_b32_e64 v23, v30, v36, s[12:13]
	v_cndmask_b32_e64 v24, v34, v30, s[12:13]
	v_cmp_le_u16_sdwa s[24:25], v24, v23 src0_sel:BYTE_0 src1_sel:BYTE_0
	s_and_b64 s[18:19], s[24:25], s[18:19]
	s_or_b64 s[14:15], s[14:15], s[18:19]
	v_cndmask_b32_e64 v20, v20, v27, s[14:15]
	v_lshlrev_b64 v[20:21], 3, v[20:21]
	v_add_co_u32_e64 v20, s[18:19], v4, v20
	v_addc_co_u32_e64 v21, s[18:19], v5, v21, s[18:19]
	flat_load_dwordx2 v[20:21], v[20:21] offset:1024
	v_cndmask_b32_e64 v30, v23, v24, s[14:15]
.LBB1655_71:
	s_or_b64 exec, exec, s[22:23]
	v_lshlrev_b16_e32 v23, 8, v54
	v_lshlrev_b16_e32 v24, 8, v30
	v_or_b32_sdwa v23, v64, v23 dst_sel:DWORD dst_unused:UNUSED_PAD src0_sel:BYTE_0 src1_sel:DWORD
	v_or_b32_sdwa v24, v55, v24 dst_sel:WORD_1 dst_unused:UNUSED_PAD src0_sel:BYTE_0 src1_sel:DWORD
	v_or_b32_sdwa v23, v23, v24 dst_sel:DWORD dst_unused:UNUSED_PAD src0_sel:WORD_0 src1_sel:DWORD
	v_and_b32_e32 v25, 0x1f0, v1
	; wave barrier
	flat_store_dwordx4 v[16:17], v[48:51] offset:1024
	flat_store_dword v[12:13], v23
	s_waitcnt vmcnt(0) lgkmcnt(0)
	flat_store_dwordx4 v[14:15], v[18:21] offset:16
	v_or_b32_e32 v23, 8, v25
	v_min_u32_e32 v23, v22, v23
	v_add_u32_e32 v24, 8, v23
	v_min_u32_e32 v24, v22, v24
	v_and_b32_e32 v26, 12, v1
	v_min_u32_e32 v26, v22, v26
	v_sub_u32_e32 v27, v23, v25
	v_sub_u32_e32 v28, v24, v23
	v_sub_u32_e64 v28, v26, v28 clamp
	v_min_u32_e32 v27, v26, v27
	v_cmp_lt_u32_e32 vcc, v28, v27
	; wave barrier
	s_and_saveexec_b64 s[8:9], vcc
	s_cbranch_execz .LBB1655_75
; %bb.72:
	v_add_co_u32_e32 v29, vcc, v10, v25
	v_addc_co_u32_e32 v31, vcc, 0, v11, vcc
	v_add_co_u32_e32 v32, vcc, v10, v23
	v_addc_co_u32_e32 v33, vcc, 0, v11, vcc
	s_mov_b64 s[12:13], 0
.LBB1655_73:                            ; =>This Inner Loop Header: Depth=1
	v_add_u32_e32 v34, v27, v28
	v_lshrrev_b32_e32 v38, 1, v34
	v_add_co_u32_e32 v34, vcc, v29, v38
	v_xad_u32 v36, v38, -1, v26
	v_addc_co_u32_e32 v35, vcc, 0, v31, vcc
	v_add_co_u32_e32 v36, vcc, v32, v36
	v_addc_co_u32_e32 v37, vcc, 0, v33, vcc
	flat_load_ubyte v39, v[34:35]
	flat_load_ubyte v65, v[36:37]
	v_add_u32_e32 v34, 1, v38
	s_waitcnt vmcnt(0) lgkmcnt(0)
	v_cmp_gt_u16_e32 vcc, v39, v65
	v_cndmask_b32_e32 v27, v27, v38, vcc
	v_cndmask_b32_e32 v28, v34, v28, vcc
	v_cmp_ge_u32_e32 vcc, v28, v27
	s_or_b64 s[12:13], vcc, s[12:13]
	s_andn2_b64 exec, exec, s[12:13]
	s_cbranch_execnz .LBB1655_73
; %bb.74:
	s_or_b64 exec, exec, s[12:13]
.LBB1655_75:
	s_or_b64 exec, exec, s[8:9]
	v_add_u32_e32 v27, v28, v25
	v_add_u32_e32 v25, v23, v26
	v_sub_u32_e32 v28, v25, v28
	v_cmp_le_u32_e32 vcc, v27, v23
	v_cmp_le_u32_e64 s[8:9], v28, v24
	s_or_b64 s[8:9], vcc, s[8:9]
	s_and_saveexec_b64 s[22:23], s[8:9]
	s_cbranch_execz .LBB1655_81
; %bb.76:
	v_cmp_lt_u32_e32 vcc, v27, v23
                                        ; implicit-def: $vgpr25
	s_and_saveexec_b64 s[12:13], vcc
	s_cbranch_execz .LBB1655_78
; %bb.77:
	v_add_co_u32_e64 v18, s[8:9], v10, v27
	v_addc_co_u32_e64 v19, s[8:9], 0, v11, s[8:9]
	flat_load_ubyte v25, v[18:19]
.LBB1655_78:
	s_or_b64 exec, exec, s[12:13]
	v_cmp_ge_u32_e64 s[8:9], v28, v24
	v_cmp_lt_u32_e64 s[12:13], v28, v24
                                        ; implicit-def: $vgpr26
	s_and_saveexec_b64 s[14:15], s[12:13]
	s_cbranch_execz .LBB1655_80
; %bb.79:
	v_add_co_u32_e64 v18, s[12:13], v10, v28
	v_addc_co_u32_e64 v19, s[12:13], 0, v11, s[12:13]
	flat_load_ubyte v26, v[18:19]
.LBB1655_80:
	s_or_b64 exec, exec, s[14:15]
	s_waitcnt vmcnt(0) lgkmcnt(0)
	v_cmp_le_u16_sdwa s[12:13], v25, v26 src0_sel:BYTE_0 src1_sel:BYTE_0
	s_and_b64 s[12:13], vcc, s[12:13]
	s_or_b64 vcc, s[8:9], s[12:13]
	v_cndmask_b32_e32 v20, v28, v27, vcc
	v_cndmask_b32_e32 v18, v24, v23, vcc
	v_add_u32_e32 v29, 1, v20
	v_add_u32_e32 v18, -1, v18
	v_min_u32_e32 v18, v29, v18
	v_add_co_u32_e64 v18, s[8:9], v10, v18
	v_addc_co_u32_e64 v19, s[8:9], 0, v11, s[8:9]
	flat_load_ubyte v30, v[18:19]
	v_cndmask_b32_e32 v27, v27, v29, vcc
	v_cndmask_b32_e32 v31, v29, v28, vcc
	v_cmp_lt_u32_e64 s[12:13], v27, v23
	v_cmp_ge_u32_e64 s[8:9], v31, v24
	v_mov_b32_e32 v21, 0
	v_lshlrev_b64 v[18:19], 3, v[20:21]
	v_cndmask_b32_e32 v64, v26, v25, vcc
	s_waitcnt vmcnt(0) lgkmcnt(0)
	v_cndmask_b32_e32 v32, v30, v26, vcc
	v_cndmask_b32_e32 v33, v25, v30, vcc
	v_cmp_le_u16_sdwa s[14:15], v33, v32 src0_sel:BYTE_0 src1_sel:BYTE_0
	s_and_b64 s[12:13], s[14:15], s[12:13]
	s_or_b64 s[8:9], s[8:9], s[12:13]
	v_cndmask_b32_e64 v20, v31, v27, s[8:9]
	v_cndmask_b32_e64 v28, v24, v23, s[8:9]
	v_add_u32_e32 v30, 1, v20
	v_add_u32_e32 v28, -1, v28
	v_min_u32_e32 v28, v30, v28
	v_add_co_u32_e64 v28, s[12:13], v10, v28
	v_addc_co_u32_e64 v29, s[12:13], 0, v11, s[12:13]
	flat_load_ubyte v34, v[28:29]
	v_cndmask_b32_e64 v27, v27, v30, s[8:9]
	v_cndmask_b32_e64 v35, v30, v31, s[8:9]
	v_cmp_lt_u32_e64 s[14:15], v27, v23
	v_cmp_ge_u32_e64 s[12:13], v35, v24
	v_lshlrev_b64 v[28:29], 3, v[20:21]
	v_cndmask_b32_e64 v54, v32, v33, s[8:9]
	s_waitcnt vmcnt(0) lgkmcnt(0)
	v_cndmask_b32_e64 v36, v34, v32, s[8:9]
	v_cndmask_b32_e64 v34, v33, v34, s[8:9]
	v_cmp_le_u16_sdwa s[18:19], v34, v36 src0_sel:BYTE_0 src1_sel:BYTE_0
	s_and_b64 s[14:15], s[18:19], s[14:15]
	s_or_b64 s[12:13], s[12:13], s[14:15]
	v_cndmask_b32_e64 v20, v35, v27, s[12:13]
	v_cndmask_b32_e64 v30, v24, v23, s[12:13]
	v_add_u32_e32 v37, 1, v20
	v_add_u32_e32 v30, -1, v30
	v_min_u32_e32 v30, v37, v30
	v_add_co_u32_e64 v30, s[14:15], v10, v30
	v_addc_co_u32_e64 v31, s[14:15], 0, v11, s[14:15]
	flat_load_ubyte v30, v[30:31]
	v_add_co_u32_e64 v18, s[14:15], v4, v18
	v_addc_co_u32_e64 v19, s[14:15], v5, v19, s[14:15]
	flat_load_dwordx2 v[48:49], v[18:19] offset:1024
	v_add_co_u32_e64 v18, s[14:15], v4, v28
	v_addc_co_u32_e64 v19, s[14:15], v5, v29, s[14:15]
	flat_load_dwordx2 v[50:51], v[18:19] offset:1024
	v_lshlrev_b64 v[18:19], 3, v[20:21]
	v_add_co_u32_e64 v18, s[14:15], v4, v18
	v_addc_co_u32_e64 v19, s[14:15], v5, v19, s[14:15]
	v_cndmask_b32_e64 v20, v37, v35, s[12:13]
	v_cndmask_b32_e64 v27, v27, v37, s[12:13]
	v_cmp_ge_u32_e64 s[14:15], v20, v24
	v_cmp_lt_u32_e64 s[18:19], v27, v23
	flat_load_dwordx2 v[18:19], v[18:19] offset:1024
	v_cndmask_b32_e64 v55, v36, v34, s[12:13]
	s_waitcnt vmcnt(0) lgkmcnt(0)
	v_cndmask_b32_e64 v23, v30, v36, s[12:13]
	v_cndmask_b32_e64 v24, v34, v30, s[12:13]
	v_cmp_le_u16_sdwa s[24:25], v24, v23 src0_sel:BYTE_0 src1_sel:BYTE_0
	s_and_b64 s[18:19], s[24:25], s[18:19]
	s_or_b64 s[14:15], s[14:15], s[18:19]
	v_cndmask_b32_e64 v20, v20, v27, s[14:15]
	v_lshlrev_b64 v[20:21], 3, v[20:21]
	v_add_co_u32_e64 v20, s[18:19], v4, v20
	v_addc_co_u32_e64 v21, s[18:19], v5, v21, s[18:19]
	flat_load_dwordx2 v[20:21], v[20:21] offset:1024
	v_cndmask_b32_e64 v30, v23, v24, s[14:15]
.LBB1655_81:
	s_or_b64 exec, exec, s[22:23]
	; wave barrier
	flat_store_dwordx4 v[16:17], v[48:51] offset:1024
	v_lshlrev_b16_e32 v16, 8, v54
	v_lshlrev_b16_e32 v17, 8, v30
	v_or_b32_sdwa v16, v64, v16 dst_sel:DWORD dst_unused:UNUSED_PAD src0_sel:BYTE_0 src1_sel:DWORD
	v_or_b32_sdwa v17, v55, v17 dst_sel:WORD_1 dst_unused:UNUSED_PAD src0_sel:BYTE_0 src1_sel:DWORD
	v_or_b32_sdwa v16, v16, v17 dst_sel:DWORD dst_unused:UNUSED_PAD src0_sel:WORD_0 src1_sel:DWORD
	flat_store_dword v[12:13], v16
	s_waitcnt vmcnt(0) lgkmcnt(0)
	flat_store_dwordx4 v[14:15], v[18:21] offset:16
	v_and_b32_e32 v13, 0x1e0, v1
	v_or_b32_e32 v1, 16, v13
	v_min_u32_e32 v1, v22, v1
	v_add_u32_e32 v12, 16, v1
	v_min_u32_e32 v12, v22, v12
	v_min_u32_e32 v14, v22, v0
	v_sub_u32_e32 v15, v1, v13
	v_sub_u32_e32 v16, v12, v1
	v_sub_u32_e64 v16, v14, v16 clamp
	v_min_u32_e32 v15, v14, v15
	v_cmp_lt_u32_e32 vcc, v16, v15
	; wave barrier
	s_and_saveexec_b64 s[8:9], vcc
	s_cbranch_execz .LBB1655_85
; %bb.82:
	v_add_co_u32_e32 v17, vcc, v10, v13
	v_addc_co_u32_e32 v22, vcc, 0, v11, vcc
	v_add_co_u32_e32 v23, vcc, v10, v1
	v_addc_co_u32_e32 v24, vcc, 0, v11, vcc
	s_mov_b64 s[12:13], 0
.LBB1655_83:                            ; =>This Inner Loop Header: Depth=1
	v_add_u32_e32 v25, v15, v16
	v_lshrrev_b32_e32 v25, 1, v25
	v_add_co_u32_e32 v26, vcc, v17, v25
	v_xad_u32 v28, v25, -1, v14
	v_addc_co_u32_e32 v27, vcc, 0, v22, vcc
	v_add_co_u32_e32 v28, vcc, v23, v28
	v_addc_co_u32_e32 v29, vcc, 0, v24, vcc
	flat_load_ubyte v31, v[26:27]
	flat_load_ubyte v32, v[28:29]
	v_add_u32_e32 v26, 1, v25
	s_waitcnt vmcnt(0) lgkmcnt(0)
	v_cmp_gt_u16_e32 vcc, v31, v32
	v_cndmask_b32_e32 v15, v15, v25, vcc
	v_cndmask_b32_e32 v16, v26, v16, vcc
	v_cmp_ge_u32_e32 vcc, v16, v15
	s_or_b64 s[12:13], vcc, s[12:13]
	s_andn2_b64 exec, exec, s[12:13]
	s_cbranch_execnz .LBB1655_83
; %bb.84:
	s_or_b64 exec, exec, s[12:13]
.LBB1655_85:
	s_or_b64 exec, exec, s[8:9]
	v_add_u32_e32 v15, v16, v13
	v_add_u32_e32 v13, v1, v14
	v_sub_u32_e32 v16, v13, v16
	v_cmp_le_u32_e32 vcc, v15, v1
	v_cmp_le_u32_e64 s[8:9], v16, v12
	s_or_b64 s[8:9], vcc, s[8:9]
	s_and_saveexec_b64 s[22:23], s[8:9]
	s_cbranch_execz .LBB1655_91
; %bb.86:
	v_cmp_lt_u32_e32 vcc, v15, v1
                                        ; implicit-def: $vgpr13
	s_and_saveexec_b64 s[12:13], vcc
	s_cbranch_execz .LBB1655_88
; %bb.87:
	v_add_co_u32_e64 v18, s[8:9], v10, v15
	v_addc_co_u32_e64 v19, s[8:9], 0, v11, s[8:9]
	flat_load_ubyte v13, v[18:19]
.LBB1655_88:
	s_or_b64 exec, exec, s[12:13]
	v_cmp_ge_u32_e64 s[8:9], v16, v12
	v_cmp_lt_u32_e64 s[12:13], v16, v12
                                        ; implicit-def: $vgpr14
	s_and_saveexec_b64 s[14:15], s[12:13]
	s_cbranch_execz .LBB1655_90
; %bb.89:
	v_add_co_u32_e64 v18, s[12:13], v10, v16
	v_addc_co_u32_e64 v19, s[12:13], 0, v11, s[12:13]
	flat_load_ubyte v14, v[18:19]
.LBB1655_90:
	s_or_b64 exec, exec, s[14:15]
	s_waitcnt vmcnt(0) lgkmcnt(0)
	v_cmp_le_u16_sdwa s[12:13], v13, v14 src0_sel:BYTE_0 src1_sel:BYTE_0
	s_and_b64 s[12:13], vcc, s[12:13]
	s_or_b64 vcc, s[8:9], s[12:13]
	v_cndmask_b32_e32 v20, v16, v15, vcc
	v_cndmask_b32_e32 v17, v12, v1, vcc
	v_add_u32_e32 v22, 1, v20
	v_add_u32_e32 v17, -1, v17
	v_min_u32_e32 v17, v22, v17
	v_add_co_u32_e64 v18, s[8:9], v10, v17
	v_addc_co_u32_e64 v19, s[8:9], 0, v11, s[8:9]
	flat_load_ubyte v17, v[18:19]
	v_cndmask_b32_e32 v23, v22, v16, vcc
	v_cndmask_b32_e32 v15, v15, v22, vcc
	v_cmp_lt_u32_e64 s[12:13], v15, v1
	v_cmp_ge_u32_e64 s[8:9], v23, v12
	v_mov_b32_e32 v21, 0
	v_lshlrev_b64 v[18:19], 3, v[20:21]
	v_cndmask_b32_e32 v64, v14, v13, vcc
	s_waitcnt vmcnt(0) lgkmcnt(0)
	v_cndmask_b32_e32 v22, v17, v14, vcc
	v_cndmask_b32_e32 v24, v13, v17, vcc
	v_cmp_le_u16_sdwa s[14:15], v24, v22 src0_sel:BYTE_0 src1_sel:BYTE_0
	s_and_b64 s[12:13], s[14:15], s[12:13]
	s_or_b64 s[8:9], s[8:9], s[12:13]
	v_cndmask_b32_e64 v20, v23, v15, s[8:9]
	v_cndmask_b32_e64 v16, v12, v1, s[8:9]
	v_add_u32_e32 v25, 1, v20
	v_add_u32_e32 v16, -1, v16
	v_min_u32_e32 v16, v25, v16
	v_add_co_u32_e64 v16, s[12:13], v10, v16
	v_addc_co_u32_e64 v17, s[12:13], 0, v11, s[12:13]
	flat_load_ubyte v26, v[16:17]
	v_cndmask_b32_e64 v23, v25, v23, s[8:9]
	v_cndmask_b32_e64 v15, v15, v25, s[8:9]
	v_cmp_lt_u32_e64 s[14:15], v15, v1
	v_cmp_ge_u32_e64 s[12:13], v23, v12
	v_lshlrev_b64 v[16:17], 3, v[20:21]
	v_cndmask_b32_e64 v54, v22, v24, s[8:9]
	s_waitcnt vmcnt(0) lgkmcnt(0)
	v_cndmask_b32_e64 v25, v26, v22, s[8:9]
	v_cndmask_b32_e64 v26, v24, v26, s[8:9]
	v_cmp_le_u16_sdwa s[18:19], v26, v25 src0_sel:BYTE_0 src1_sel:BYTE_0
	s_and_b64 s[14:15], s[18:19], s[14:15]
	s_or_b64 s[12:13], s[12:13], s[14:15]
	v_cndmask_b32_e64 v20, v23, v15, s[12:13]
	v_cndmask_b32_e64 v27, v12, v1, s[12:13]
	v_add_u32_e32 v28, 1, v20
	v_add_u32_e32 v27, -1, v27
	v_min_u32_e32 v27, v28, v27
	v_add_co_u32_e64 v10, s[14:15], v10, v27
	v_addc_co_u32_e64 v11, s[14:15], 0, v11, s[14:15]
	flat_load_ubyte v27, v[10:11]
	v_add_co_u32_e64 v10, s[14:15], v4, v18
	v_addc_co_u32_e64 v11, s[14:15], v5, v19, s[14:15]
	flat_load_dwordx2 v[48:49], v[10:11] offset:1024
	v_add_co_u32_e64 v10, s[14:15], v4, v16
	v_addc_co_u32_e64 v11, s[14:15], v5, v17, s[14:15]
	flat_load_dwordx2 v[50:51], v[10:11] offset:1024
	v_lshlrev_b64 v[10:11], 3, v[20:21]
	v_add_co_u32_e64 v10, s[14:15], v4, v10
	v_addc_co_u32_e64 v11, s[14:15], v5, v11, s[14:15]
	flat_load_dwordx2 v[18:19], v[10:11] offset:1024
	v_cndmask_b32_e64 v10, v28, v23, s[12:13]
	v_cndmask_b32_e64 v11, v15, v28, s[12:13]
	v_cmp_ge_u32_e64 s[14:15], v10, v12
	v_cmp_lt_u32_e64 s[18:19], v11, v1
	v_cndmask_b32_e64 v55, v25, v26, s[12:13]
	s_waitcnt vmcnt(0) lgkmcnt(0)
	v_cndmask_b32_e64 v1, v27, v25, s[12:13]
	v_cndmask_b32_e64 v12, v26, v27, s[12:13]
	v_cmp_le_u16_sdwa s[24:25], v12, v1 src0_sel:BYTE_0 src1_sel:BYTE_0
	s_and_b64 s[18:19], s[24:25], s[18:19]
	s_or_b64 s[14:15], s[14:15], s[18:19]
	v_cndmask_b32_e64 v20, v10, v11, s[14:15]
	v_lshlrev_b64 v[10:11], 3, v[20:21]
	v_add_co_u32_e64 v4, s[18:19], v4, v10
	v_addc_co_u32_e64 v5, s[18:19], v5, v11, s[18:19]
	flat_load_dwordx2 v[20:21], v[4:5] offset:1024
	v_cndmask_b32_e64 v30, v1, v12, s[14:15]
.LBB1655_91:
	s_or_b64 exec, exec, s[22:23]
	; wave barrier
	s_waitcnt lgkmcnt(0)
	s_barrier
.LBB1655_92:
	s_or_b64 exec, exec, s[20:21]
	v_add_co_u32_e32 v1, vcc, v2, v8
	v_addc_co_u32_e32 v2, vcc, 0, v3, vcc
	v_add_co_u32_e32 v0, vcc, v1, v0
	v_addc_co_u32_e32 v1, vcc, 0, v2, vcc
	s_waitcnt lgkmcnt(0)
	; wave barrier
	s_and_saveexec_b64 s[8:9], s[4:5]
	s_cbranch_execz .LBB1655_98
; %bb.93:
	s_waitcnt vmcnt(0) lgkmcnt(0)
	flat_store_byte v[0:1], v64
	s_or_b64 exec, exec, s[8:9]
	s_and_saveexec_b64 s[8:9], s[6:7]
	s_cbranch_execnz .LBB1655_99
.LBB1655_94:
	s_or_b64 exec, exec, s[8:9]
	s_and_saveexec_b64 s[8:9], s[16:17]
	s_cbranch_execz .LBB1655_100
.LBB1655_95:
	s_waitcnt vmcnt(0) lgkmcnt(0)
	flat_store_byte v[0:1], v55 offset:2
	s_or_b64 exec, exec, s[8:9]
	s_and_saveexec_b64 s[8:9], s[10:11]
	s_cbranch_execnz .LBB1655_101
	s_branch .LBB1655_102
.LBB1655_96:
	s_or_b64 exec, exec, s[14:15]
                                        ; implicit-def: $vgpr18_vgpr19
	s_and_saveexec_b64 s[14:15], s[16:17]
	s_cbranch_execz .LBB1655_12
.LBB1655_97:
	flat_load_dwordx2 v[26:27], v[4:5] offset:16
	s_waitcnt vmcnt(0) lgkmcnt(0)
	v_pk_mov_b32 v[18:19], v[26:27], v[26:27] op_sel:[0,1]
	s_or_b64 exec, exec, s[14:15]
	s_and_saveexec_b64 s[14:15], s[10:11]
	s_cbranch_execnz .LBB1655_13
	s_branch .LBB1655_14
.LBB1655_98:
	s_or_b64 exec, exec, s[8:9]
	s_and_saveexec_b64 s[8:9], s[6:7]
	s_cbranch_execz .LBB1655_94
.LBB1655_99:
	s_waitcnt vmcnt(0) lgkmcnt(0)
	flat_store_byte v[0:1], v54 offset:1
	s_or_b64 exec, exec, s[8:9]
	s_and_saveexec_b64 s[8:9], s[16:17]
	s_cbranch_execnz .LBB1655_95
.LBB1655_100:
	s_or_b64 exec, exec, s[8:9]
	s_and_saveexec_b64 s[8:9], s[10:11]
	s_cbranch_execz .LBB1655_102
.LBB1655_101:
	s_waitcnt vmcnt(0) lgkmcnt(0)
	flat_store_byte v[0:1], v30 offset:3
.LBB1655_102:
	s_or_b64 exec, exec, s[8:9]
	v_add_co_u32_e32 v0, vcc, v6, v52
	v_addc_co_u32_e32 v1, vcc, v7, v53, vcc
	v_add_co_u32_e32 v0, vcc, v0, v9
	v_addc_co_u32_e32 v1, vcc, 0, v1, vcc
	; wave barrier
	s_and_saveexec_b64 s[8:9], s[4:5]
	s_cbranch_execz .LBB1655_107
; %bb.103:
	s_waitcnt vmcnt(0) lgkmcnt(0)
	flat_store_dwordx2 v[0:1], v[48:49]
	s_or_b64 exec, exec, s[8:9]
	s_and_saveexec_b64 s[4:5], s[6:7]
	s_cbranch_execnz .LBB1655_108
.LBB1655_104:
	s_or_b64 exec, exec, s[4:5]
	s_and_saveexec_b64 s[4:5], s[16:17]
	s_cbranch_execz .LBB1655_109
.LBB1655_105:
	flat_store_dwordx2 v[0:1], v[18:19] offset:16
	s_or_b64 exec, exec, s[4:5]
	s_and_saveexec_b64 s[4:5], s[10:11]
	s_cbranch_execnz .LBB1655_110
.LBB1655_106:
	s_or_b64 exec, exec, s[4:5]
	s_waitcnt vmcnt(0) lgkmcnt(0)
	s_setpc_b64 s[30:31]
.LBB1655_107:
	s_or_b64 exec, exec, s[8:9]
	s_and_saveexec_b64 s[4:5], s[6:7]
	s_cbranch_execz .LBB1655_104
.LBB1655_108:
	s_waitcnt vmcnt(0) lgkmcnt(0)
	flat_store_dwordx2 v[0:1], v[50:51] offset:8
	s_or_b64 exec, exec, s[4:5]
	s_and_saveexec_b64 s[4:5], s[16:17]
	s_cbranch_execnz .LBB1655_105
.LBB1655_109:
	s_or_b64 exec, exec, s[4:5]
	s_and_saveexec_b64 s[4:5], s[10:11]
	s_cbranch_execz .LBB1655_106
.LBB1655_110:
	s_waitcnt vmcnt(0)
	flat_store_dwordx2 v[0:1], v[20:21] offset:24
	s_or_b64 exec, exec, s[4:5]
	s_waitcnt vmcnt(0) lgkmcnt(0)
	s_setpc_b64 s[30:31]
.Lfunc_end1655:
	.size	_ZN7rocprim17ROCPRIM_400000_NS6detail26segmented_warp_sort_helperINS1_20WarpSortHelperConfigILj8ELj4ELj256EEEblLi256ELb0EvE4sortIPKbPbPKlPlEEvT_T0_T1_T2_jjjjRNS5_12storage_typeE, .Lfunc_end1655-_ZN7rocprim17ROCPRIM_400000_NS6detail26segmented_warp_sort_helperINS1_20WarpSortHelperConfigILj8ELj4ELj256EEEblLi256ELb0EvE4sortIPKbPbPKlPlEEvT_T0_T1_T2_jjjjRNS5_12storage_typeE
                                        ; -- End function
	.section	.AMDGPU.csdata,"",@progbits
; Function info:
; codeLenInByte = 7248
; NumSgprs: 36
; NumVgprs: 67
; NumAgprs: 0
; TotalNumVgprs: 67
; ScratchSize: 0
; MemoryBound: 1
	.section	.text._ZN7rocprim17ROCPRIM_400000_NS6detail17trampoline_kernelINS0_14default_configENS1_36segmented_radix_sort_config_selectorIblEEZNS1_25segmented_radix_sort_implIS3_Lb0EPKbPbPKlPlN2at6native12_GLOBAL__N_18offset_tEEE10hipError_tPvRmT1_PNSt15iterator_traitsISK_E10value_typeET2_T3_PNSL_ISQ_E10value_typeET4_jRbjT5_SW_jjP12ihipStream_tbEUlT_E1_NS1_11comp_targetILNS1_3genE4ELNS1_11target_archE910ELNS1_3gpuE8ELNS1_3repE0EEENS1_59segmented_radix_sort_warp_sort_small_config_static_selectorELNS0_4arch9wavefront6targetE1EEEvSK_,"axG",@progbits,_ZN7rocprim17ROCPRIM_400000_NS6detail17trampoline_kernelINS0_14default_configENS1_36segmented_radix_sort_config_selectorIblEEZNS1_25segmented_radix_sort_implIS3_Lb0EPKbPbPKlPlN2at6native12_GLOBAL__N_18offset_tEEE10hipError_tPvRmT1_PNSt15iterator_traitsISK_E10value_typeET2_T3_PNSL_ISQ_E10value_typeET4_jRbjT5_SW_jjP12ihipStream_tbEUlT_E1_NS1_11comp_targetILNS1_3genE4ELNS1_11target_archE910ELNS1_3gpuE8ELNS1_3repE0EEENS1_59segmented_radix_sort_warp_sort_small_config_static_selectorELNS0_4arch9wavefront6targetE1EEEvSK_,comdat
	.globl	_ZN7rocprim17ROCPRIM_400000_NS6detail17trampoline_kernelINS0_14default_configENS1_36segmented_radix_sort_config_selectorIblEEZNS1_25segmented_radix_sort_implIS3_Lb0EPKbPbPKlPlN2at6native12_GLOBAL__N_18offset_tEEE10hipError_tPvRmT1_PNSt15iterator_traitsISK_E10value_typeET2_T3_PNSL_ISQ_E10value_typeET4_jRbjT5_SW_jjP12ihipStream_tbEUlT_E1_NS1_11comp_targetILNS1_3genE4ELNS1_11target_archE910ELNS1_3gpuE8ELNS1_3repE0EEENS1_59segmented_radix_sort_warp_sort_small_config_static_selectorELNS0_4arch9wavefront6targetE1EEEvSK_ ; -- Begin function _ZN7rocprim17ROCPRIM_400000_NS6detail17trampoline_kernelINS0_14default_configENS1_36segmented_radix_sort_config_selectorIblEEZNS1_25segmented_radix_sort_implIS3_Lb0EPKbPbPKlPlN2at6native12_GLOBAL__N_18offset_tEEE10hipError_tPvRmT1_PNSt15iterator_traitsISK_E10value_typeET2_T3_PNSL_ISQ_E10value_typeET4_jRbjT5_SW_jjP12ihipStream_tbEUlT_E1_NS1_11comp_targetILNS1_3genE4ELNS1_11target_archE910ELNS1_3gpuE8ELNS1_3repE0EEENS1_59segmented_radix_sort_warp_sort_small_config_static_selectorELNS0_4arch9wavefront6targetE1EEEvSK_
	.p2align	8
	.type	_ZN7rocprim17ROCPRIM_400000_NS6detail17trampoline_kernelINS0_14default_configENS1_36segmented_radix_sort_config_selectorIblEEZNS1_25segmented_radix_sort_implIS3_Lb0EPKbPbPKlPlN2at6native12_GLOBAL__N_18offset_tEEE10hipError_tPvRmT1_PNSt15iterator_traitsISK_E10value_typeET2_T3_PNSL_ISQ_E10value_typeET4_jRbjT5_SW_jjP12ihipStream_tbEUlT_E1_NS1_11comp_targetILNS1_3genE4ELNS1_11target_archE910ELNS1_3gpuE8ELNS1_3repE0EEENS1_59segmented_radix_sort_warp_sort_small_config_static_selectorELNS0_4arch9wavefront6targetE1EEEvSK_,@function
_ZN7rocprim17ROCPRIM_400000_NS6detail17trampoline_kernelINS0_14default_configENS1_36segmented_radix_sort_config_selectorIblEEZNS1_25segmented_radix_sort_implIS3_Lb0EPKbPbPKlPlN2at6native12_GLOBAL__N_18offset_tEEE10hipError_tPvRmT1_PNSt15iterator_traitsISK_E10value_typeET2_T3_PNSL_ISQ_E10value_typeET4_jRbjT5_SW_jjP12ihipStream_tbEUlT_E1_NS1_11comp_targetILNS1_3genE4ELNS1_11target_archE910ELNS1_3gpuE8ELNS1_3repE0EEENS1_59segmented_radix_sort_warp_sort_small_config_static_selectorELNS0_4arch9wavefront6targetE1EEEvSK_: ; @_ZN7rocprim17ROCPRIM_400000_NS6detail17trampoline_kernelINS0_14default_configENS1_36segmented_radix_sort_config_selectorIblEEZNS1_25segmented_radix_sort_implIS3_Lb0EPKbPbPKlPlN2at6native12_GLOBAL__N_18offset_tEEE10hipError_tPvRmT1_PNSt15iterator_traitsISK_E10value_typeET2_T3_PNSL_ISQ_E10value_typeET4_jRbjT5_SW_jjP12ihipStream_tbEUlT_E1_NS1_11comp_targetILNS1_3genE4ELNS1_11target_archE910ELNS1_3gpuE8ELNS1_3repE0EEENS1_59segmented_radix_sort_warp_sort_small_config_static_selectorELNS0_4arch9wavefront6targetE1EEEvSK_
; %bb.0:
	s_add_u32 flat_scratch_lo, s6, s10
	s_addc_u32 flat_scratch_hi, s7, 0
	s_add_u32 s0, s0, s10
	s_load_dword s6, s[4:5], 0x64
	s_load_dword s10, s[4:5], 0x34
	s_addc_u32 s1, s1, 0
	v_bfe_u32 v1, v0, 10, 10
	v_bfe_u32 v2, v0, 20, 10
	s_waitcnt lgkmcnt(0)
	s_lshr_b32 s7, s6, 16
	s_and_b32 s6, s6, 0xffff
	v_mad_u32_u24 v1, v2, s7, v1
	v_and_b32_e32 v2, 0x3ff, v0
	v_mad_u64_u32 v[2:3], s[6:7], v1, s6, v[2:3]
	v_lshrrev_b32_e32 v1, 3, v2
	v_lshl_add_u32 v2, s8, 5, v1
	v_cmp_gt_u32_e32 vcc, s10, v2
	s_mov_b32 s32, 0
	s_and_saveexec_b64 s[6:7], vcc
	s_cbranch_execz .LBB1656_6
; %bb.1:
	s_load_dwordx2 s[6:7], s[4:5], 0x38
	s_load_dwordx4 s[12:15], s[4:5], 0x40
	v_mov_b32_e32 v3, 0
	v_lshlrev_b64 v[2:3], 2, v[2:3]
	s_waitcnt lgkmcnt(0)
	v_mov_b32_e32 v1, s7
	v_sub_co_u32_e32 v2, vcc, s6, v2
	v_subb_co_u32_e32 v3, vcc, v1, v3, vcc
	global_load_dword v1, v[2:3], off offset:-4
	s_waitcnt vmcnt(0)
	v_add_u32_e32 v2, s13, v1
	v_add_u32_e32 v1, s15, v1
	v_mul_lo_u32 v8, v2, s12
	v_mul_lo_u32 v40, v1, s14
	v_cmp_gt_u32_e32 vcc, v40, v8
	s_and_b64 exec, exec, vcc
	s_cbranch_execz .LBB1656_6
; %bb.2:
	s_load_dwordx4 s[44:47], s[4:5], 0x20
	s_load_dword s6, s[4:5], 0x30
	s_load_dwordx8 s[36:43], s[4:5], 0x0
	s_load_dwordx2 s[48:49], s[4:5], 0x50
	s_mov_b32 s34, s8
	s_mov_b32 s33, s9
	s_waitcnt lgkmcnt(0)
	s_bitcmp0_b32 s6, 0
	s_mov_b64 s[6:7], -1
	s_cbranch_scc0 .LBB1656_4
; %bb.3:
	s_add_u32 s8, s4, 0x58
	s_mov_b64 s[6:7], src_shared_base
	s_addc_u32 s9, s5, 0
	s_mov_b32 s12, s34
	s_mov_b32 s13, s33
	v_mov_b32_e32 v31, v0
	v_mov_b32_e32 v41, v0
	;; [unrolled: 1-line block ×15, first 2 shown]
	s_getpc_b64 s[10:11]
	s_add_u32 s10, s10, _ZN7rocprim17ROCPRIM_400000_NS6detail26segmented_warp_sort_helperINS1_20WarpSortHelperConfigILj8ELj4ELj256EEEblLi256ELb0EvE4sortIPKbPbPKlPlEEvT_T0_T1_T2_jjjjRNS5_12storage_typeE@rel32@lo+4
	s_addc_u32 s11, s11, _ZN7rocprim17ROCPRIM_400000_NS6detail26segmented_warp_sort_helperINS1_20WarpSortHelperConfigILj8ELj4ELj256EEEblLi256ELb0EvE4sortIPKbPbPKlPlEEvT_T0_T1_T2_jjjjRNS5_12storage_typeE@rel32@hi+12
	s_mov_b64 s[38:39], s[4:5]
	s_swappc_b64 s[30:31], s[10:11]
	v_mov_b32_e32 v0, v41
	s_mov_b64 s[4:5], s[38:39]
	s_mov_b64 s[6:7], 0
.LBB1656_4:
	s_andn2_b64 vcc, exec, s[6:7]
	s_cbranch_vccnz .LBB1656_6
; %bb.5:
	s_add_u32 s8, s4, 0x58
	s_addc_u32 s9, s5, 0
	s_mov_b64 s[4:5], src_shared_base
	s_mov_b32 s12, s34
	s_mov_b32 s13, s33
	v_mov_b32_e32 v31, v0
	v_mov_b32_e32 v0, s36
	;; [unrolled: 1-line block ×14, first 2 shown]
	s_getpc_b64 s[6:7]
	s_add_u32 s6, s6, _ZN7rocprim17ROCPRIM_400000_NS6detail26segmented_warp_sort_helperINS1_20WarpSortHelperConfigILj8ELj4ELj256EEEblLi256ELb0EvE4sortIPKbPbPKlPlEEvT_T0_T1_T2_jjjjRNS5_12storage_typeE@rel32@lo+4
	s_addc_u32 s7, s7, _ZN7rocprim17ROCPRIM_400000_NS6detail26segmented_warp_sort_helperINS1_20WarpSortHelperConfigILj8ELj4ELj256EEEblLi256ELb0EvE4sortIPKbPbPKlPlEEvT_T0_T1_T2_jjjjRNS5_12storage_typeE@rel32@hi+12
	s_swappc_b64 s[30:31], s[6:7]
.LBB1656_6:
	s_endpgm
	.section	.rodata,"a",@progbits
	.p2align	6, 0x0
	.amdhsa_kernel _ZN7rocprim17ROCPRIM_400000_NS6detail17trampoline_kernelINS0_14default_configENS1_36segmented_radix_sort_config_selectorIblEEZNS1_25segmented_radix_sort_implIS3_Lb0EPKbPbPKlPlN2at6native12_GLOBAL__N_18offset_tEEE10hipError_tPvRmT1_PNSt15iterator_traitsISK_E10value_typeET2_T3_PNSL_ISQ_E10value_typeET4_jRbjT5_SW_jjP12ihipStream_tbEUlT_E1_NS1_11comp_targetILNS1_3genE4ELNS1_11target_archE910ELNS1_3gpuE8ELNS1_3repE0EEENS1_59segmented_radix_sort_warp_sort_small_config_static_selectorELNS0_4arch9wavefront6targetE1EEEvSK_
		.amdhsa_group_segment_fixed_size 9216
		.amdhsa_private_segment_fixed_size 0
		.amdhsa_kernarg_size 344
		.amdhsa_user_sgpr_count 8
		.amdhsa_user_sgpr_private_segment_buffer 1
		.amdhsa_user_sgpr_dispatch_ptr 0
		.amdhsa_user_sgpr_queue_ptr 0
		.amdhsa_user_sgpr_kernarg_segment_ptr 1
		.amdhsa_user_sgpr_dispatch_id 0
		.amdhsa_user_sgpr_flat_scratch_init 1
		.amdhsa_user_sgpr_kernarg_preload_length 0
		.amdhsa_user_sgpr_kernarg_preload_offset 0
		.amdhsa_user_sgpr_private_segment_size 0
		.amdhsa_uses_dynamic_stack 0
		.amdhsa_system_sgpr_private_segment_wavefront_offset 0
		.amdhsa_system_sgpr_workgroup_id_x 1
		.amdhsa_system_sgpr_workgroup_id_y 1
		.amdhsa_system_sgpr_workgroup_id_z 0
		.amdhsa_system_sgpr_workgroup_info 0
		.amdhsa_system_vgpr_workitem_id 2
		.amdhsa_next_free_vgpr 67
		.amdhsa_next_free_sgpr 50
		.amdhsa_accum_offset 68
		.amdhsa_reserve_vcc 1
		.amdhsa_reserve_flat_scratch 1
		.amdhsa_float_round_mode_32 0
		.amdhsa_float_round_mode_16_64 0
		.amdhsa_float_denorm_mode_32 3
		.amdhsa_float_denorm_mode_16_64 3
		.amdhsa_dx10_clamp 1
		.amdhsa_ieee_mode 1
		.amdhsa_fp16_overflow 0
		.amdhsa_tg_split 0
		.amdhsa_exception_fp_ieee_invalid_op 0
		.amdhsa_exception_fp_denorm_src 0
		.amdhsa_exception_fp_ieee_div_zero 0
		.amdhsa_exception_fp_ieee_overflow 0
		.amdhsa_exception_fp_ieee_underflow 0
		.amdhsa_exception_fp_ieee_inexact 0
		.amdhsa_exception_int_div_zero 0
	.end_amdhsa_kernel
	.section	.text._ZN7rocprim17ROCPRIM_400000_NS6detail17trampoline_kernelINS0_14default_configENS1_36segmented_radix_sort_config_selectorIblEEZNS1_25segmented_radix_sort_implIS3_Lb0EPKbPbPKlPlN2at6native12_GLOBAL__N_18offset_tEEE10hipError_tPvRmT1_PNSt15iterator_traitsISK_E10value_typeET2_T3_PNSL_ISQ_E10value_typeET4_jRbjT5_SW_jjP12ihipStream_tbEUlT_E1_NS1_11comp_targetILNS1_3genE4ELNS1_11target_archE910ELNS1_3gpuE8ELNS1_3repE0EEENS1_59segmented_radix_sort_warp_sort_small_config_static_selectorELNS0_4arch9wavefront6targetE1EEEvSK_,"axG",@progbits,_ZN7rocprim17ROCPRIM_400000_NS6detail17trampoline_kernelINS0_14default_configENS1_36segmented_radix_sort_config_selectorIblEEZNS1_25segmented_radix_sort_implIS3_Lb0EPKbPbPKlPlN2at6native12_GLOBAL__N_18offset_tEEE10hipError_tPvRmT1_PNSt15iterator_traitsISK_E10value_typeET2_T3_PNSL_ISQ_E10value_typeET4_jRbjT5_SW_jjP12ihipStream_tbEUlT_E1_NS1_11comp_targetILNS1_3genE4ELNS1_11target_archE910ELNS1_3gpuE8ELNS1_3repE0EEENS1_59segmented_radix_sort_warp_sort_small_config_static_selectorELNS0_4arch9wavefront6targetE1EEEvSK_,comdat
.Lfunc_end1656:
	.size	_ZN7rocprim17ROCPRIM_400000_NS6detail17trampoline_kernelINS0_14default_configENS1_36segmented_radix_sort_config_selectorIblEEZNS1_25segmented_radix_sort_implIS3_Lb0EPKbPbPKlPlN2at6native12_GLOBAL__N_18offset_tEEE10hipError_tPvRmT1_PNSt15iterator_traitsISK_E10value_typeET2_T3_PNSL_ISQ_E10value_typeET4_jRbjT5_SW_jjP12ihipStream_tbEUlT_E1_NS1_11comp_targetILNS1_3genE4ELNS1_11target_archE910ELNS1_3gpuE8ELNS1_3repE0EEENS1_59segmented_radix_sort_warp_sort_small_config_static_selectorELNS0_4arch9wavefront6targetE1EEEvSK_, .Lfunc_end1656-_ZN7rocprim17ROCPRIM_400000_NS6detail17trampoline_kernelINS0_14default_configENS1_36segmented_radix_sort_config_selectorIblEEZNS1_25segmented_radix_sort_implIS3_Lb0EPKbPbPKlPlN2at6native12_GLOBAL__N_18offset_tEEE10hipError_tPvRmT1_PNSt15iterator_traitsISK_E10value_typeET2_T3_PNSL_ISQ_E10value_typeET4_jRbjT5_SW_jjP12ihipStream_tbEUlT_E1_NS1_11comp_targetILNS1_3genE4ELNS1_11target_archE910ELNS1_3gpuE8ELNS1_3repE0EEENS1_59segmented_radix_sort_warp_sort_small_config_static_selectorELNS0_4arch9wavefront6targetE1EEEvSK_
                                        ; -- End function
	.section	.AMDGPU.csdata,"",@progbits
; Kernel info:
; codeLenInByte = 504
; NumSgprs: 56
; NumVgprs: 67
; NumAgprs: 0
; TotalNumVgprs: 67
; ScratchSize: 0
; MemoryBound: 0
; FloatMode: 240
; IeeeMode: 1
; LDSByteSize: 9216 bytes/workgroup (compile time only)
; SGPRBlocks: 6
; VGPRBlocks: 8
; NumSGPRsForWavesPerEU: 56
; NumVGPRsForWavesPerEU: 67
; AccumOffset: 68
; Occupancy: 7
; WaveLimiterHint : 0
; COMPUTE_PGM_RSRC2:SCRATCH_EN: 0
; COMPUTE_PGM_RSRC2:USER_SGPR: 8
; COMPUTE_PGM_RSRC2:TRAP_HANDLER: 0
; COMPUTE_PGM_RSRC2:TGID_X_EN: 1
; COMPUTE_PGM_RSRC2:TGID_Y_EN: 1
; COMPUTE_PGM_RSRC2:TGID_Z_EN: 0
; COMPUTE_PGM_RSRC2:TIDIG_COMP_CNT: 2
; COMPUTE_PGM_RSRC3_GFX90A:ACCUM_OFFSET: 16
; COMPUTE_PGM_RSRC3_GFX90A:TG_SPLIT: 0
	.section	.text._ZN7rocprim17ROCPRIM_400000_NS6detail17trampoline_kernelINS0_14default_configENS1_36segmented_radix_sort_config_selectorIblEEZNS1_25segmented_radix_sort_implIS3_Lb0EPKbPbPKlPlN2at6native12_GLOBAL__N_18offset_tEEE10hipError_tPvRmT1_PNSt15iterator_traitsISK_E10value_typeET2_T3_PNSL_ISQ_E10value_typeET4_jRbjT5_SW_jjP12ihipStream_tbEUlT_E1_NS1_11comp_targetILNS1_3genE3ELNS1_11target_archE908ELNS1_3gpuE7ELNS1_3repE0EEENS1_59segmented_radix_sort_warp_sort_small_config_static_selectorELNS0_4arch9wavefront6targetE1EEEvSK_,"axG",@progbits,_ZN7rocprim17ROCPRIM_400000_NS6detail17trampoline_kernelINS0_14default_configENS1_36segmented_radix_sort_config_selectorIblEEZNS1_25segmented_radix_sort_implIS3_Lb0EPKbPbPKlPlN2at6native12_GLOBAL__N_18offset_tEEE10hipError_tPvRmT1_PNSt15iterator_traitsISK_E10value_typeET2_T3_PNSL_ISQ_E10value_typeET4_jRbjT5_SW_jjP12ihipStream_tbEUlT_E1_NS1_11comp_targetILNS1_3genE3ELNS1_11target_archE908ELNS1_3gpuE7ELNS1_3repE0EEENS1_59segmented_radix_sort_warp_sort_small_config_static_selectorELNS0_4arch9wavefront6targetE1EEEvSK_,comdat
	.globl	_ZN7rocprim17ROCPRIM_400000_NS6detail17trampoline_kernelINS0_14default_configENS1_36segmented_radix_sort_config_selectorIblEEZNS1_25segmented_radix_sort_implIS3_Lb0EPKbPbPKlPlN2at6native12_GLOBAL__N_18offset_tEEE10hipError_tPvRmT1_PNSt15iterator_traitsISK_E10value_typeET2_T3_PNSL_ISQ_E10value_typeET4_jRbjT5_SW_jjP12ihipStream_tbEUlT_E1_NS1_11comp_targetILNS1_3genE3ELNS1_11target_archE908ELNS1_3gpuE7ELNS1_3repE0EEENS1_59segmented_radix_sort_warp_sort_small_config_static_selectorELNS0_4arch9wavefront6targetE1EEEvSK_ ; -- Begin function _ZN7rocprim17ROCPRIM_400000_NS6detail17trampoline_kernelINS0_14default_configENS1_36segmented_radix_sort_config_selectorIblEEZNS1_25segmented_radix_sort_implIS3_Lb0EPKbPbPKlPlN2at6native12_GLOBAL__N_18offset_tEEE10hipError_tPvRmT1_PNSt15iterator_traitsISK_E10value_typeET2_T3_PNSL_ISQ_E10value_typeET4_jRbjT5_SW_jjP12ihipStream_tbEUlT_E1_NS1_11comp_targetILNS1_3genE3ELNS1_11target_archE908ELNS1_3gpuE7ELNS1_3repE0EEENS1_59segmented_radix_sort_warp_sort_small_config_static_selectorELNS0_4arch9wavefront6targetE1EEEvSK_
	.p2align	8
	.type	_ZN7rocprim17ROCPRIM_400000_NS6detail17trampoline_kernelINS0_14default_configENS1_36segmented_radix_sort_config_selectorIblEEZNS1_25segmented_radix_sort_implIS3_Lb0EPKbPbPKlPlN2at6native12_GLOBAL__N_18offset_tEEE10hipError_tPvRmT1_PNSt15iterator_traitsISK_E10value_typeET2_T3_PNSL_ISQ_E10value_typeET4_jRbjT5_SW_jjP12ihipStream_tbEUlT_E1_NS1_11comp_targetILNS1_3genE3ELNS1_11target_archE908ELNS1_3gpuE7ELNS1_3repE0EEENS1_59segmented_radix_sort_warp_sort_small_config_static_selectorELNS0_4arch9wavefront6targetE1EEEvSK_,@function
_ZN7rocprim17ROCPRIM_400000_NS6detail17trampoline_kernelINS0_14default_configENS1_36segmented_radix_sort_config_selectorIblEEZNS1_25segmented_radix_sort_implIS3_Lb0EPKbPbPKlPlN2at6native12_GLOBAL__N_18offset_tEEE10hipError_tPvRmT1_PNSt15iterator_traitsISK_E10value_typeET2_T3_PNSL_ISQ_E10value_typeET4_jRbjT5_SW_jjP12ihipStream_tbEUlT_E1_NS1_11comp_targetILNS1_3genE3ELNS1_11target_archE908ELNS1_3gpuE7ELNS1_3repE0EEENS1_59segmented_radix_sort_warp_sort_small_config_static_selectorELNS0_4arch9wavefront6targetE1EEEvSK_: ; @_ZN7rocprim17ROCPRIM_400000_NS6detail17trampoline_kernelINS0_14default_configENS1_36segmented_radix_sort_config_selectorIblEEZNS1_25segmented_radix_sort_implIS3_Lb0EPKbPbPKlPlN2at6native12_GLOBAL__N_18offset_tEEE10hipError_tPvRmT1_PNSt15iterator_traitsISK_E10value_typeET2_T3_PNSL_ISQ_E10value_typeET4_jRbjT5_SW_jjP12ihipStream_tbEUlT_E1_NS1_11comp_targetILNS1_3genE3ELNS1_11target_archE908ELNS1_3gpuE7ELNS1_3repE0EEENS1_59segmented_radix_sort_warp_sort_small_config_static_selectorELNS0_4arch9wavefront6targetE1EEEvSK_
; %bb.0:
	.section	.rodata,"a",@progbits
	.p2align	6, 0x0
	.amdhsa_kernel _ZN7rocprim17ROCPRIM_400000_NS6detail17trampoline_kernelINS0_14default_configENS1_36segmented_radix_sort_config_selectorIblEEZNS1_25segmented_radix_sort_implIS3_Lb0EPKbPbPKlPlN2at6native12_GLOBAL__N_18offset_tEEE10hipError_tPvRmT1_PNSt15iterator_traitsISK_E10value_typeET2_T3_PNSL_ISQ_E10value_typeET4_jRbjT5_SW_jjP12ihipStream_tbEUlT_E1_NS1_11comp_targetILNS1_3genE3ELNS1_11target_archE908ELNS1_3gpuE7ELNS1_3repE0EEENS1_59segmented_radix_sort_warp_sort_small_config_static_selectorELNS0_4arch9wavefront6targetE1EEEvSK_
		.amdhsa_group_segment_fixed_size 0
		.amdhsa_private_segment_fixed_size 0
		.amdhsa_kernarg_size 88
		.amdhsa_user_sgpr_count 6
		.amdhsa_user_sgpr_private_segment_buffer 1
		.amdhsa_user_sgpr_dispatch_ptr 0
		.amdhsa_user_sgpr_queue_ptr 0
		.amdhsa_user_sgpr_kernarg_segment_ptr 1
		.amdhsa_user_sgpr_dispatch_id 0
		.amdhsa_user_sgpr_flat_scratch_init 0
		.amdhsa_user_sgpr_kernarg_preload_length 0
		.amdhsa_user_sgpr_kernarg_preload_offset 0
		.amdhsa_user_sgpr_private_segment_size 0
		.amdhsa_uses_dynamic_stack 0
		.amdhsa_system_sgpr_private_segment_wavefront_offset 0
		.amdhsa_system_sgpr_workgroup_id_x 1
		.amdhsa_system_sgpr_workgroup_id_y 0
		.amdhsa_system_sgpr_workgroup_id_z 0
		.amdhsa_system_sgpr_workgroup_info 0
		.amdhsa_system_vgpr_workitem_id 0
		.amdhsa_next_free_vgpr 1
		.amdhsa_next_free_sgpr 0
		.amdhsa_accum_offset 4
		.amdhsa_reserve_vcc 0
		.amdhsa_reserve_flat_scratch 0
		.amdhsa_float_round_mode_32 0
		.amdhsa_float_round_mode_16_64 0
		.amdhsa_float_denorm_mode_32 3
		.amdhsa_float_denorm_mode_16_64 3
		.amdhsa_dx10_clamp 1
		.amdhsa_ieee_mode 1
		.amdhsa_fp16_overflow 0
		.amdhsa_tg_split 0
		.amdhsa_exception_fp_ieee_invalid_op 0
		.amdhsa_exception_fp_denorm_src 0
		.amdhsa_exception_fp_ieee_div_zero 0
		.amdhsa_exception_fp_ieee_overflow 0
		.amdhsa_exception_fp_ieee_underflow 0
		.amdhsa_exception_fp_ieee_inexact 0
		.amdhsa_exception_int_div_zero 0
	.end_amdhsa_kernel
	.section	.text._ZN7rocprim17ROCPRIM_400000_NS6detail17trampoline_kernelINS0_14default_configENS1_36segmented_radix_sort_config_selectorIblEEZNS1_25segmented_radix_sort_implIS3_Lb0EPKbPbPKlPlN2at6native12_GLOBAL__N_18offset_tEEE10hipError_tPvRmT1_PNSt15iterator_traitsISK_E10value_typeET2_T3_PNSL_ISQ_E10value_typeET4_jRbjT5_SW_jjP12ihipStream_tbEUlT_E1_NS1_11comp_targetILNS1_3genE3ELNS1_11target_archE908ELNS1_3gpuE7ELNS1_3repE0EEENS1_59segmented_radix_sort_warp_sort_small_config_static_selectorELNS0_4arch9wavefront6targetE1EEEvSK_,"axG",@progbits,_ZN7rocprim17ROCPRIM_400000_NS6detail17trampoline_kernelINS0_14default_configENS1_36segmented_radix_sort_config_selectorIblEEZNS1_25segmented_radix_sort_implIS3_Lb0EPKbPbPKlPlN2at6native12_GLOBAL__N_18offset_tEEE10hipError_tPvRmT1_PNSt15iterator_traitsISK_E10value_typeET2_T3_PNSL_ISQ_E10value_typeET4_jRbjT5_SW_jjP12ihipStream_tbEUlT_E1_NS1_11comp_targetILNS1_3genE3ELNS1_11target_archE908ELNS1_3gpuE7ELNS1_3repE0EEENS1_59segmented_radix_sort_warp_sort_small_config_static_selectorELNS0_4arch9wavefront6targetE1EEEvSK_,comdat
.Lfunc_end1657:
	.size	_ZN7rocprim17ROCPRIM_400000_NS6detail17trampoline_kernelINS0_14default_configENS1_36segmented_radix_sort_config_selectorIblEEZNS1_25segmented_radix_sort_implIS3_Lb0EPKbPbPKlPlN2at6native12_GLOBAL__N_18offset_tEEE10hipError_tPvRmT1_PNSt15iterator_traitsISK_E10value_typeET2_T3_PNSL_ISQ_E10value_typeET4_jRbjT5_SW_jjP12ihipStream_tbEUlT_E1_NS1_11comp_targetILNS1_3genE3ELNS1_11target_archE908ELNS1_3gpuE7ELNS1_3repE0EEENS1_59segmented_radix_sort_warp_sort_small_config_static_selectorELNS0_4arch9wavefront6targetE1EEEvSK_, .Lfunc_end1657-_ZN7rocprim17ROCPRIM_400000_NS6detail17trampoline_kernelINS0_14default_configENS1_36segmented_radix_sort_config_selectorIblEEZNS1_25segmented_radix_sort_implIS3_Lb0EPKbPbPKlPlN2at6native12_GLOBAL__N_18offset_tEEE10hipError_tPvRmT1_PNSt15iterator_traitsISK_E10value_typeET2_T3_PNSL_ISQ_E10value_typeET4_jRbjT5_SW_jjP12ihipStream_tbEUlT_E1_NS1_11comp_targetILNS1_3genE3ELNS1_11target_archE908ELNS1_3gpuE7ELNS1_3repE0EEENS1_59segmented_radix_sort_warp_sort_small_config_static_selectorELNS0_4arch9wavefront6targetE1EEEvSK_
                                        ; -- End function
	.section	.AMDGPU.csdata,"",@progbits
; Kernel info:
; codeLenInByte = 0
; NumSgprs: 4
; NumVgprs: 0
; NumAgprs: 0
; TotalNumVgprs: 0
; ScratchSize: 0
; MemoryBound: 0
; FloatMode: 240
; IeeeMode: 1
; LDSByteSize: 0 bytes/workgroup (compile time only)
; SGPRBlocks: 0
; VGPRBlocks: 0
; NumSGPRsForWavesPerEU: 4
; NumVGPRsForWavesPerEU: 1
; AccumOffset: 4
; Occupancy: 8
; WaveLimiterHint : 0
; COMPUTE_PGM_RSRC2:SCRATCH_EN: 0
; COMPUTE_PGM_RSRC2:USER_SGPR: 6
; COMPUTE_PGM_RSRC2:TRAP_HANDLER: 0
; COMPUTE_PGM_RSRC2:TGID_X_EN: 1
; COMPUTE_PGM_RSRC2:TGID_Y_EN: 0
; COMPUTE_PGM_RSRC2:TGID_Z_EN: 0
; COMPUTE_PGM_RSRC2:TIDIG_COMP_CNT: 0
; COMPUTE_PGM_RSRC3_GFX90A:ACCUM_OFFSET: 0
; COMPUTE_PGM_RSRC3_GFX90A:TG_SPLIT: 0
	.section	.text._ZN7rocprim17ROCPRIM_400000_NS6detail17trampoline_kernelINS0_14default_configENS1_36segmented_radix_sort_config_selectorIblEEZNS1_25segmented_radix_sort_implIS3_Lb0EPKbPbPKlPlN2at6native12_GLOBAL__N_18offset_tEEE10hipError_tPvRmT1_PNSt15iterator_traitsISK_E10value_typeET2_T3_PNSL_ISQ_E10value_typeET4_jRbjT5_SW_jjP12ihipStream_tbEUlT_E1_NS1_11comp_targetILNS1_3genE2ELNS1_11target_archE906ELNS1_3gpuE6ELNS1_3repE0EEENS1_59segmented_radix_sort_warp_sort_small_config_static_selectorELNS0_4arch9wavefront6targetE1EEEvSK_,"axG",@progbits,_ZN7rocprim17ROCPRIM_400000_NS6detail17trampoline_kernelINS0_14default_configENS1_36segmented_radix_sort_config_selectorIblEEZNS1_25segmented_radix_sort_implIS3_Lb0EPKbPbPKlPlN2at6native12_GLOBAL__N_18offset_tEEE10hipError_tPvRmT1_PNSt15iterator_traitsISK_E10value_typeET2_T3_PNSL_ISQ_E10value_typeET4_jRbjT5_SW_jjP12ihipStream_tbEUlT_E1_NS1_11comp_targetILNS1_3genE2ELNS1_11target_archE906ELNS1_3gpuE6ELNS1_3repE0EEENS1_59segmented_radix_sort_warp_sort_small_config_static_selectorELNS0_4arch9wavefront6targetE1EEEvSK_,comdat
	.globl	_ZN7rocprim17ROCPRIM_400000_NS6detail17trampoline_kernelINS0_14default_configENS1_36segmented_radix_sort_config_selectorIblEEZNS1_25segmented_radix_sort_implIS3_Lb0EPKbPbPKlPlN2at6native12_GLOBAL__N_18offset_tEEE10hipError_tPvRmT1_PNSt15iterator_traitsISK_E10value_typeET2_T3_PNSL_ISQ_E10value_typeET4_jRbjT5_SW_jjP12ihipStream_tbEUlT_E1_NS1_11comp_targetILNS1_3genE2ELNS1_11target_archE906ELNS1_3gpuE6ELNS1_3repE0EEENS1_59segmented_radix_sort_warp_sort_small_config_static_selectorELNS0_4arch9wavefront6targetE1EEEvSK_ ; -- Begin function _ZN7rocprim17ROCPRIM_400000_NS6detail17trampoline_kernelINS0_14default_configENS1_36segmented_radix_sort_config_selectorIblEEZNS1_25segmented_radix_sort_implIS3_Lb0EPKbPbPKlPlN2at6native12_GLOBAL__N_18offset_tEEE10hipError_tPvRmT1_PNSt15iterator_traitsISK_E10value_typeET2_T3_PNSL_ISQ_E10value_typeET4_jRbjT5_SW_jjP12ihipStream_tbEUlT_E1_NS1_11comp_targetILNS1_3genE2ELNS1_11target_archE906ELNS1_3gpuE6ELNS1_3repE0EEENS1_59segmented_radix_sort_warp_sort_small_config_static_selectorELNS0_4arch9wavefront6targetE1EEEvSK_
	.p2align	8
	.type	_ZN7rocprim17ROCPRIM_400000_NS6detail17trampoline_kernelINS0_14default_configENS1_36segmented_radix_sort_config_selectorIblEEZNS1_25segmented_radix_sort_implIS3_Lb0EPKbPbPKlPlN2at6native12_GLOBAL__N_18offset_tEEE10hipError_tPvRmT1_PNSt15iterator_traitsISK_E10value_typeET2_T3_PNSL_ISQ_E10value_typeET4_jRbjT5_SW_jjP12ihipStream_tbEUlT_E1_NS1_11comp_targetILNS1_3genE2ELNS1_11target_archE906ELNS1_3gpuE6ELNS1_3repE0EEENS1_59segmented_radix_sort_warp_sort_small_config_static_selectorELNS0_4arch9wavefront6targetE1EEEvSK_,@function
_ZN7rocprim17ROCPRIM_400000_NS6detail17trampoline_kernelINS0_14default_configENS1_36segmented_radix_sort_config_selectorIblEEZNS1_25segmented_radix_sort_implIS3_Lb0EPKbPbPKlPlN2at6native12_GLOBAL__N_18offset_tEEE10hipError_tPvRmT1_PNSt15iterator_traitsISK_E10value_typeET2_T3_PNSL_ISQ_E10value_typeET4_jRbjT5_SW_jjP12ihipStream_tbEUlT_E1_NS1_11comp_targetILNS1_3genE2ELNS1_11target_archE906ELNS1_3gpuE6ELNS1_3repE0EEENS1_59segmented_radix_sort_warp_sort_small_config_static_selectorELNS0_4arch9wavefront6targetE1EEEvSK_: ; @_ZN7rocprim17ROCPRIM_400000_NS6detail17trampoline_kernelINS0_14default_configENS1_36segmented_radix_sort_config_selectorIblEEZNS1_25segmented_radix_sort_implIS3_Lb0EPKbPbPKlPlN2at6native12_GLOBAL__N_18offset_tEEE10hipError_tPvRmT1_PNSt15iterator_traitsISK_E10value_typeET2_T3_PNSL_ISQ_E10value_typeET4_jRbjT5_SW_jjP12ihipStream_tbEUlT_E1_NS1_11comp_targetILNS1_3genE2ELNS1_11target_archE906ELNS1_3gpuE6ELNS1_3repE0EEENS1_59segmented_radix_sort_warp_sort_small_config_static_selectorELNS0_4arch9wavefront6targetE1EEEvSK_
; %bb.0:
	.section	.rodata,"a",@progbits
	.p2align	6, 0x0
	.amdhsa_kernel _ZN7rocprim17ROCPRIM_400000_NS6detail17trampoline_kernelINS0_14default_configENS1_36segmented_radix_sort_config_selectorIblEEZNS1_25segmented_radix_sort_implIS3_Lb0EPKbPbPKlPlN2at6native12_GLOBAL__N_18offset_tEEE10hipError_tPvRmT1_PNSt15iterator_traitsISK_E10value_typeET2_T3_PNSL_ISQ_E10value_typeET4_jRbjT5_SW_jjP12ihipStream_tbEUlT_E1_NS1_11comp_targetILNS1_3genE2ELNS1_11target_archE906ELNS1_3gpuE6ELNS1_3repE0EEENS1_59segmented_radix_sort_warp_sort_small_config_static_selectorELNS0_4arch9wavefront6targetE1EEEvSK_
		.amdhsa_group_segment_fixed_size 0
		.amdhsa_private_segment_fixed_size 0
		.amdhsa_kernarg_size 88
		.amdhsa_user_sgpr_count 6
		.amdhsa_user_sgpr_private_segment_buffer 1
		.amdhsa_user_sgpr_dispatch_ptr 0
		.amdhsa_user_sgpr_queue_ptr 0
		.amdhsa_user_sgpr_kernarg_segment_ptr 1
		.amdhsa_user_sgpr_dispatch_id 0
		.amdhsa_user_sgpr_flat_scratch_init 0
		.amdhsa_user_sgpr_kernarg_preload_length 0
		.amdhsa_user_sgpr_kernarg_preload_offset 0
		.amdhsa_user_sgpr_private_segment_size 0
		.amdhsa_uses_dynamic_stack 0
		.amdhsa_system_sgpr_private_segment_wavefront_offset 0
		.amdhsa_system_sgpr_workgroup_id_x 1
		.amdhsa_system_sgpr_workgroup_id_y 0
		.amdhsa_system_sgpr_workgroup_id_z 0
		.amdhsa_system_sgpr_workgroup_info 0
		.amdhsa_system_vgpr_workitem_id 0
		.amdhsa_next_free_vgpr 1
		.amdhsa_next_free_sgpr 0
		.amdhsa_accum_offset 4
		.amdhsa_reserve_vcc 0
		.amdhsa_reserve_flat_scratch 0
		.amdhsa_float_round_mode_32 0
		.amdhsa_float_round_mode_16_64 0
		.amdhsa_float_denorm_mode_32 3
		.amdhsa_float_denorm_mode_16_64 3
		.amdhsa_dx10_clamp 1
		.amdhsa_ieee_mode 1
		.amdhsa_fp16_overflow 0
		.amdhsa_tg_split 0
		.amdhsa_exception_fp_ieee_invalid_op 0
		.amdhsa_exception_fp_denorm_src 0
		.amdhsa_exception_fp_ieee_div_zero 0
		.amdhsa_exception_fp_ieee_overflow 0
		.amdhsa_exception_fp_ieee_underflow 0
		.amdhsa_exception_fp_ieee_inexact 0
		.amdhsa_exception_int_div_zero 0
	.end_amdhsa_kernel
	.section	.text._ZN7rocprim17ROCPRIM_400000_NS6detail17trampoline_kernelINS0_14default_configENS1_36segmented_radix_sort_config_selectorIblEEZNS1_25segmented_radix_sort_implIS3_Lb0EPKbPbPKlPlN2at6native12_GLOBAL__N_18offset_tEEE10hipError_tPvRmT1_PNSt15iterator_traitsISK_E10value_typeET2_T3_PNSL_ISQ_E10value_typeET4_jRbjT5_SW_jjP12ihipStream_tbEUlT_E1_NS1_11comp_targetILNS1_3genE2ELNS1_11target_archE906ELNS1_3gpuE6ELNS1_3repE0EEENS1_59segmented_radix_sort_warp_sort_small_config_static_selectorELNS0_4arch9wavefront6targetE1EEEvSK_,"axG",@progbits,_ZN7rocprim17ROCPRIM_400000_NS6detail17trampoline_kernelINS0_14default_configENS1_36segmented_radix_sort_config_selectorIblEEZNS1_25segmented_radix_sort_implIS3_Lb0EPKbPbPKlPlN2at6native12_GLOBAL__N_18offset_tEEE10hipError_tPvRmT1_PNSt15iterator_traitsISK_E10value_typeET2_T3_PNSL_ISQ_E10value_typeET4_jRbjT5_SW_jjP12ihipStream_tbEUlT_E1_NS1_11comp_targetILNS1_3genE2ELNS1_11target_archE906ELNS1_3gpuE6ELNS1_3repE0EEENS1_59segmented_radix_sort_warp_sort_small_config_static_selectorELNS0_4arch9wavefront6targetE1EEEvSK_,comdat
.Lfunc_end1658:
	.size	_ZN7rocprim17ROCPRIM_400000_NS6detail17trampoline_kernelINS0_14default_configENS1_36segmented_radix_sort_config_selectorIblEEZNS1_25segmented_radix_sort_implIS3_Lb0EPKbPbPKlPlN2at6native12_GLOBAL__N_18offset_tEEE10hipError_tPvRmT1_PNSt15iterator_traitsISK_E10value_typeET2_T3_PNSL_ISQ_E10value_typeET4_jRbjT5_SW_jjP12ihipStream_tbEUlT_E1_NS1_11comp_targetILNS1_3genE2ELNS1_11target_archE906ELNS1_3gpuE6ELNS1_3repE0EEENS1_59segmented_radix_sort_warp_sort_small_config_static_selectorELNS0_4arch9wavefront6targetE1EEEvSK_, .Lfunc_end1658-_ZN7rocprim17ROCPRIM_400000_NS6detail17trampoline_kernelINS0_14default_configENS1_36segmented_radix_sort_config_selectorIblEEZNS1_25segmented_radix_sort_implIS3_Lb0EPKbPbPKlPlN2at6native12_GLOBAL__N_18offset_tEEE10hipError_tPvRmT1_PNSt15iterator_traitsISK_E10value_typeET2_T3_PNSL_ISQ_E10value_typeET4_jRbjT5_SW_jjP12ihipStream_tbEUlT_E1_NS1_11comp_targetILNS1_3genE2ELNS1_11target_archE906ELNS1_3gpuE6ELNS1_3repE0EEENS1_59segmented_radix_sort_warp_sort_small_config_static_selectorELNS0_4arch9wavefront6targetE1EEEvSK_
                                        ; -- End function
	.section	.AMDGPU.csdata,"",@progbits
; Kernel info:
; codeLenInByte = 0
; NumSgprs: 4
; NumVgprs: 0
; NumAgprs: 0
; TotalNumVgprs: 0
; ScratchSize: 0
; MemoryBound: 0
; FloatMode: 240
; IeeeMode: 1
; LDSByteSize: 0 bytes/workgroup (compile time only)
; SGPRBlocks: 0
; VGPRBlocks: 0
; NumSGPRsForWavesPerEU: 4
; NumVGPRsForWavesPerEU: 1
; AccumOffset: 4
; Occupancy: 8
; WaveLimiterHint : 0
; COMPUTE_PGM_RSRC2:SCRATCH_EN: 0
; COMPUTE_PGM_RSRC2:USER_SGPR: 6
; COMPUTE_PGM_RSRC2:TRAP_HANDLER: 0
; COMPUTE_PGM_RSRC2:TGID_X_EN: 1
; COMPUTE_PGM_RSRC2:TGID_Y_EN: 0
; COMPUTE_PGM_RSRC2:TGID_Z_EN: 0
; COMPUTE_PGM_RSRC2:TIDIG_COMP_CNT: 0
; COMPUTE_PGM_RSRC3_GFX90A:ACCUM_OFFSET: 0
; COMPUTE_PGM_RSRC3_GFX90A:TG_SPLIT: 0
	.section	.text._ZN7rocprim17ROCPRIM_400000_NS6detail17trampoline_kernelINS0_14default_configENS1_36segmented_radix_sort_config_selectorIblEEZNS1_25segmented_radix_sort_implIS3_Lb0EPKbPbPKlPlN2at6native12_GLOBAL__N_18offset_tEEE10hipError_tPvRmT1_PNSt15iterator_traitsISK_E10value_typeET2_T3_PNSL_ISQ_E10value_typeET4_jRbjT5_SW_jjP12ihipStream_tbEUlT_E1_NS1_11comp_targetILNS1_3genE10ELNS1_11target_archE1201ELNS1_3gpuE5ELNS1_3repE0EEENS1_59segmented_radix_sort_warp_sort_small_config_static_selectorELNS0_4arch9wavefront6targetE1EEEvSK_,"axG",@progbits,_ZN7rocprim17ROCPRIM_400000_NS6detail17trampoline_kernelINS0_14default_configENS1_36segmented_radix_sort_config_selectorIblEEZNS1_25segmented_radix_sort_implIS3_Lb0EPKbPbPKlPlN2at6native12_GLOBAL__N_18offset_tEEE10hipError_tPvRmT1_PNSt15iterator_traitsISK_E10value_typeET2_T3_PNSL_ISQ_E10value_typeET4_jRbjT5_SW_jjP12ihipStream_tbEUlT_E1_NS1_11comp_targetILNS1_3genE10ELNS1_11target_archE1201ELNS1_3gpuE5ELNS1_3repE0EEENS1_59segmented_radix_sort_warp_sort_small_config_static_selectorELNS0_4arch9wavefront6targetE1EEEvSK_,comdat
	.globl	_ZN7rocprim17ROCPRIM_400000_NS6detail17trampoline_kernelINS0_14default_configENS1_36segmented_radix_sort_config_selectorIblEEZNS1_25segmented_radix_sort_implIS3_Lb0EPKbPbPKlPlN2at6native12_GLOBAL__N_18offset_tEEE10hipError_tPvRmT1_PNSt15iterator_traitsISK_E10value_typeET2_T3_PNSL_ISQ_E10value_typeET4_jRbjT5_SW_jjP12ihipStream_tbEUlT_E1_NS1_11comp_targetILNS1_3genE10ELNS1_11target_archE1201ELNS1_3gpuE5ELNS1_3repE0EEENS1_59segmented_radix_sort_warp_sort_small_config_static_selectorELNS0_4arch9wavefront6targetE1EEEvSK_ ; -- Begin function _ZN7rocprim17ROCPRIM_400000_NS6detail17trampoline_kernelINS0_14default_configENS1_36segmented_radix_sort_config_selectorIblEEZNS1_25segmented_radix_sort_implIS3_Lb0EPKbPbPKlPlN2at6native12_GLOBAL__N_18offset_tEEE10hipError_tPvRmT1_PNSt15iterator_traitsISK_E10value_typeET2_T3_PNSL_ISQ_E10value_typeET4_jRbjT5_SW_jjP12ihipStream_tbEUlT_E1_NS1_11comp_targetILNS1_3genE10ELNS1_11target_archE1201ELNS1_3gpuE5ELNS1_3repE0EEENS1_59segmented_radix_sort_warp_sort_small_config_static_selectorELNS0_4arch9wavefront6targetE1EEEvSK_
	.p2align	8
	.type	_ZN7rocprim17ROCPRIM_400000_NS6detail17trampoline_kernelINS0_14default_configENS1_36segmented_radix_sort_config_selectorIblEEZNS1_25segmented_radix_sort_implIS3_Lb0EPKbPbPKlPlN2at6native12_GLOBAL__N_18offset_tEEE10hipError_tPvRmT1_PNSt15iterator_traitsISK_E10value_typeET2_T3_PNSL_ISQ_E10value_typeET4_jRbjT5_SW_jjP12ihipStream_tbEUlT_E1_NS1_11comp_targetILNS1_3genE10ELNS1_11target_archE1201ELNS1_3gpuE5ELNS1_3repE0EEENS1_59segmented_radix_sort_warp_sort_small_config_static_selectorELNS0_4arch9wavefront6targetE1EEEvSK_,@function
_ZN7rocprim17ROCPRIM_400000_NS6detail17trampoline_kernelINS0_14default_configENS1_36segmented_radix_sort_config_selectorIblEEZNS1_25segmented_radix_sort_implIS3_Lb0EPKbPbPKlPlN2at6native12_GLOBAL__N_18offset_tEEE10hipError_tPvRmT1_PNSt15iterator_traitsISK_E10value_typeET2_T3_PNSL_ISQ_E10value_typeET4_jRbjT5_SW_jjP12ihipStream_tbEUlT_E1_NS1_11comp_targetILNS1_3genE10ELNS1_11target_archE1201ELNS1_3gpuE5ELNS1_3repE0EEENS1_59segmented_radix_sort_warp_sort_small_config_static_selectorELNS0_4arch9wavefront6targetE1EEEvSK_: ; @_ZN7rocprim17ROCPRIM_400000_NS6detail17trampoline_kernelINS0_14default_configENS1_36segmented_radix_sort_config_selectorIblEEZNS1_25segmented_radix_sort_implIS3_Lb0EPKbPbPKlPlN2at6native12_GLOBAL__N_18offset_tEEE10hipError_tPvRmT1_PNSt15iterator_traitsISK_E10value_typeET2_T3_PNSL_ISQ_E10value_typeET4_jRbjT5_SW_jjP12ihipStream_tbEUlT_E1_NS1_11comp_targetILNS1_3genE10ELNS1_11target_archE1201ELNS1_3gpuE5ELNS1_3repE0EEENS1_59segmented_radix_sort_warp_sort_small_config_static_selectorELNS0_4arch9wavefront6targetE1EEEvSK_
; %bb.0:
	.section	.rodata,"a",@progbits
	.p2align	6, 0x0
	.amdhsa_kernel _ZN7rocprim17ROCPRIM_400000_NS6detail17trampoline_kernelINS0_14default_configENS1_36segmented_radix_sort_config_selectorIblEEZNS1_25segmented_radix_sort_implIS3_Lb0EPKbPbPKlPlN2at6native12_GLOBAL__N_18offset_tEEE10hipError_tPvRmT1_PNSt15iterator_traitsISK_E10value_typeET2_T3_PNSL_ISQ_E10value_typeET4_jRbjT5_SW_jjP12ihipStream_tbEUlT_E1_NS1_11comp_targetILNS1_3genE10ELNS1_11target_archE1201ELNS1_3gpuE5ELNS1_3repE0EEENS1_59segmented_radix_sort_warp_sort_small_config_static_selectorELNS0_4arch9wavefront6targetE1EEEvSK_
		.amdhsa_group_segment_fixed_size 0
		.amdhsa_private_segment_fixed_size 0
		.amdhsa_kernarg_size 88
		.amdhsa_user_sgpr_count 6
		.amdhsa_user_sgpr_private_segment_buffer 1
		.amdhsa_user_sgpr_dispatch_ptr 0
		.amdhsa_user_sgpr_queue_ptr 0
		.amdhsa_user_sgpr_kernarg_segment_ptr 1
		.amdhsa_user_sgpr_dispatch_id 0
		.amdhsa_user_sgpr_flat_scratch_init 0
		.amdhsa_user_sgpr_kernarg_preload_length 0
		.amdhsa_user_sgpr_kernarg_preload_offset 0
		.amdhsa_user_sgpr_private_segment_size 0
		.amdhsa_uses_dynamic_stack 0
		.amdhsa_system_sgpr_private_segment_wavefront_offset 0
		.amdhsa_system_sgpr_workgroup_id_x 1
		.amdhsa_system_sgpr_workgroup_id_y 0
		.amdhsa_system_sgpr_workgroup_id_z 0
		.amdhsa_system_sgpr_workgroup_info 0
		.amdhsa_system_vgpr_workitem_id 0
		.amdhsa_next_free_vgpr 1
		.amdhsa_next_free_sgpr 0
		.amdhsa_accum_offset 4
		.amdhsa_reserve_vcc 0
		.amdhsa_reserve_flat_scratch 0
		.amdhsa_float_round_mode_32 0
		.amdhsa_float_round_mode_16_64 0
		.amdhsa_float_denorm_mode_32 3
		.amdhsa_float_denorm_mode_16_64 3
		.amdhsa_dx10_clamp 1
		.amdhsa_ieee_mode 1
		.amdhsa_fp16_overflow 0
		.amdhsa_tg_split 0
		.amdhsa_exception_fp_ieee_invalid_op 0
		.amdhsa_exception_fp_denorm_src 0
		.amdhsa_exception_fp_ieee_div_zero 0
		.amdhsa_exception_fp_ieee_overflow 0
		.amdhsa_exception_fp_ieee_underflow 0
		.amdhsa_exception_fp_ieee_inexact 0
		.amdhsa_exception_int_div_zero 0
	.end_amdhsa_kernel
	.section	.text._ZN7rocprim17ROCPRIM_400000_NS6detail17trampoline_kernelINS0_14default_configENS1_36segmented_radix_sort_config_selectorIblEEZNS1_25segmented_radix_sort_implIS3_Lb0EPKbPbPKlPlN2at6native12_GLOBAL__N_18offset_tEEE10hipError_tPvRmT1_PNSt15iterator_traitsISK_E10value_typeET2_T3_PNSL_ISQ_E10value_typeET4_jRbjT5_SW_jjP12ihipStream_tbEUlT_E1_NS1_11comp_targetILNS1_3genE10ELNS1_11target_archE1201ELNS1_3gpuE5ELNS1_3repE0EEENS1_59segmented_radix_sort_warp_sort_small_config_static_selectorELNS0_4arch9wavefront6targetE1EEEvSK_,"axG",@progbits,_ZN7rocprim17ROCPRIM_400000_NS6detail17trampoline_kernelINS0_14default_configENS1_36segmented_radix_sort_config_selectorIblEEZNS1_25segmented_radix_sort_implIS3_Lb0EPKbPbPKlPlN2at6native12_GLOBAL__N_18offset_tEEE10hipError_tPvRmT1_PNSt15iterator_traitsISK_E10value_typeET2_T3_PNSL_ISQ_E10value_typeET4_jRbjT5_SW_jjP12ihipStream_tbEUlT_E1_NS1_11comp_targetILNS1_3genE10ELNS1_11target_archE1201ELNS1_3gpuE5ELNS1_3repE0EEENS1_59segmented_radix_sort_warp_sort_small_config_static_selectorELNS0_4arch9wavefront6targetE1EEEvSK_,comdat
.Lfunc_end1659:
	.size	_ZN7rocprim17ROCPRIM_400000_NS6detail17trampoline_kernelINS0_14default_configENS1_36segmented_radix_sort_config_selectorIblEEZNS1_25segmented_radix_sort_implIS3_Lb0EPKbPbPKlPlN2at6native12_GLOBAL__N_18offset_tEEE10hipError_tPvRmT1_PNSt15iterator_traitsISK_E10value_typeET2_T3_PNSL_ISQ_E10value_typeET4_jRbjT5_SW_jjP12ihipStream_tbEUlT_E1_NS1_11comp_targetILNS1_3genE10ELNS1_11target_archE1201ELNS1_3gpuE5ELNS1_3repE0EEENS1_59segmented_radix_sort_warp_sort_small_config_static_selectorELNS0_4arch9wavefront6targetE1EEEvSK_, .Lfunc_end1659-_ZN7rocprim17ROCPRIM_400000_NS6detail17trampoline_kernelINS0_14default_configENS1_36segmented_radix_sort_config_selectorIblEEZNS1_25segmented_radix_sort_implIS3_Lb0EPKbPbPKlPlN2at6native12_GLOBAL__N_18offset_tEEE10hipError_tPvRmT1_PNSt15iterator_traitsISK_E10value_typeET2_T3_PNSL_ISQ_E10value_typeET4_jRbjT5_SW_jjP12ihipStream_tbEUlT_E1_NS1_11comp_targetILNS1_3genE10ELNS1_11target_archE1201ELNS1_3gpuE5ELNS1_3repE0EEENS1_59segmented_radix_sort_warp_sort_small_config_static_selectorELNS0_4arch9wavefront6targetE1EEEvSK_
                                        ; -- End function
	.section	.AMDGPU.csdata,"",@progbits
; Kernel info:
; codeLenInByte = 0
; NumSgprs: 4
; NumVgprs: 0
; NumAgprs: 0
; TotalNumVgprs: 0
; ScratchSize: 0
; MemoryBound: 0
; FloatMode: 240
; IeeeMode: 1
; LDSByteSize: 0 bytes/workgroup (compile time only)
; SGPRBlocks: 0
; VGPRBlocks: 0
; NumSGPRsForWavesPerEU: 4
; NumVGPRsForWavesPerEU: 1
; AccumOffset: 4
; Occupancy: 8
; WaveLimiterHint : 0
; COMPUTE_PGM_RSRC2:SCRATCH_EN: 0
; COMPUTE_PGM_RSRC2:USER_SGPR: 6
; COMPUTE_PGM_RSRC2:TRAP_HANDLER: 0
; COMPUTE_PGM_RSRC2:TGID_X_EN: 1
; COMPUTE_PGM_RSRC2:TGID_Y_EN: 0
; COMPUTE_PGM_RSRC2:TGID_Z_EN: 0
; COMPUTE_PGM_RSRC2:TIDIG_COMP_CNT: 0
; COMPUTE_PGM_RSRC3_GFX90A:ACCUM_OFFSET: 0
; COMPUTE_PGM_RSRC3_GFX90A:TG_SPLIT: 0
	.section	.text._ZN7rocprim17ROCPRIM_400000_NS6detail17trampoline_kernelINS0_14default_configENS1_36segmented_radix_sort_config_selectorIblEEZNS1_25segmented_radix_sort_implIS3_Lb0EPKbPbPKlPlN2at6native12_GLOBAL__N_18offset_tEEE10hipError_tPvRmT1_PNSt15iterator_traitsISK_E10value_typeET2_T3_PNSL_ISQ_E10value_typeET4_jRbjT5_SW_jjP12ihipStream_tbEUlT_E1_NS1_11comp_targetILNS1_3genE10ELNS1_11target_archE1200ELNS1_3gpuE4ELNS1_3repE0EEENS1_59segmented_radix_sort_warp_sort_small_config_static_selectorELNS0_4arch9wavefront6targetE1EEEvSK_,"axG",@progbits,_ZN7rocprim17ROCPRIM_400000_NS6detail17trampoline_kernelINS0_14default_configENS1_36segmented_radix_sort_config_selectorIblEEZNS1_25segmented_radix_sort_implIS3_Lb0EPKbPbPKlPlN2at6native12_GLOBAL__N_18offset_tEEE10hipError_tPvRmT1_PNSt15iterator_traitsISK_E10value_typeET2_T3_PNSL_ISQ_E10value_typeET4_jRbjT5_SW_jjP12ihipStream_tbEUlT_E1_NS1_11comp_targetILNS1_3genE10ELNS1_11target_archE1200ELNS1_3gpuE4ELNS1_3repE0EEENS1_59segmented_radix_sort_warp_sort_small_config_static_selectorELNS0_4arch9wavefront6targetE1EEEvSK_,comdat
	.globl	_ZN7rocprim17ROCPRIM_400000_NS6detail17trampoline_kernelINS0_14default_configENS1_36segmented_radix_sort_config_selectorIblEEZNS1_25segmented_radix_sort_implIS3_Lb0EPKbPbPKlPlN2at6native12_GLOBAL__N_18offset_tEEE10hipError_tPvRmT1_PNSt15iterator_traitsISK_E10value_typeET2_T3_PNSL_ISQ_E10value_typeET4_jRbjT5_SW_jjP12ihipStream_tbEUlT_E1_NS1_11comp_targetILNS1_3genE10ELNS1_11target_archE1200ELNS1_3gpuE4ELNS1_3repE0EEENS1_59segmented_radix_sort_warp_sort_small_config_static_selectorELNS0_4arch9wavefront6targetE1EEEvSK_ ; -- Begin function _ZN7rocprim17ROCPRIM_400000_NS6detail17trampoline_kernelINS0_14default_configENS1_36segmented_radix_sort_config_selectorIblEEZNS1_25segmented_radix_sort_implIS3_Lb0EPKbPbPKlPlN2at6native12_GLOBAL__N_18offset_tEEE10hipError_tPvRmT1_PNSt15iterator_traitsISK_E10value_typeET2_T3_PNSL_ISQ_E10value_typeET4_jRbjT5_SW_jjP12ihipStream_tbEUlT_E1_NS1_11comp_targetILNS1_3genE10ELNS1_11target_archE1200ELNS1_3gpuE4ELNS1_3repE0EEENS1_59segmented_radix_sort_warp_sort_small_config_static_selectorELNS0_4arch9wavefront6targetE1EEEvSK_
	.p2align	8
	.type	_ZN7rocprim17ROCPRIM_400000_NS6detail17trampoline_kernelINS0_14default_configENS1_36segmented_radix_sort_config_selectorIblEEZNS1_25segmented_radix_sort_implIS3_Lb0EPKbPbPKlPlN2at6native12_GLOBAL__N_18offset_tEEE10hipError_tPvRmT1_PNSt15iterator_traitsISK_E10value_typeET2_T3_PNSL_ISQ_E10value_typeET4_jRbjT5_SW_jjP12ihipStream_tbEUlT_E1_NS1_11comp_targetILNS1_3genE10ELNS1_11target_archE1200ELNS1_3gpuE4ELNS1_3repE0EEENS1_59segmented_radix_sort_warp_sort_small_config_static_selectorELNS0_4arch9wavefront6targetE1EEEvSK_,@function
_ZN7rocprim17ROCPRIM_400000_NS6detail17trampoline_kernelINS0_14default_configENS1_36segmented_radix_sort_config_selectorIblEEZNS1_25segmented_radix_sort_implIS3_Lb0EPKbPbPKlPlN2at6native12_GLOBAL__N_18offset_tEEE10hipError_tPvRmT1_PNSt15iterator_traitsISK_E10value_typeET2_T3_PNSL_ISQ_E10value_typeET4_jRbjT5_SW_jjP12ihipStream_tbEUlT_E1_NS1_11comp_targetILNS1_3genE10ELNS1_11target_archE1200ELNS1_3gpuE4ELNS1_3repE0EEENS1_59segmented_radix_sort_warp_sort_small_config_static_selectorELNS0_4arch9wavefront6targetE1EEEvSK_: ; @_ZN7rocprim17ROCPRIM_400000_NS6detail17trampoline_kernelINS0_14default_configENS1_36segmented_radix_sort_config_selectorIblEEZNS1_25segmented_radix_sort_implIS3_Lb0EPKbPbPKlPlN2at6native12_GLOBAL__N_18offset_tEEE10hipError_tPvRmT1_PNSt15iterator_traitsISK_E10value_typeET2_T3_PNSL_ISQ_E10value_typeET4_jRbjT5_SW_jjP12ihipStream_tbEUlT_E1_NS1_11comp_targetILNS1_3genE10ELNS1_11target_archE1200ELNS1_3gpuE4ELNS1_3repE0EEENS1_59segmented_radix_sort_warp_sort_small_config_static_selectorELNS0_4arch9wavefront6targetE1EEEvSK_
; %bb.0:
	.section	.rodata,"a",@progbits
	.p2align	6, 0x0
	.amdhsa_kernel _ZN7rocprim17ROCPRIM_400000_NS6detail17trampoline_kernelINS0_14default_configENS1_36segmented_radix_sort_config_selectorIblEEZNS1_25segmented_radix_sort_implIS3_Lb0EPKbPbPKlPlN2at6native12_GLOBAL__N_18offset_tEEE10hipError_tPvRmT1_PNSt15iterator_traitsISK_E10value_typeET2_T3_PNSL_ISQ_E10value_typeET4_jRbjT5_SW_jjP12ihipStream_tbEUlT_E1_NS1_11comp_targetILNS1_3genE10ELNS1_11target_archE1200ELNS1_3gpuE4ELNS1_3repE0EEENS1_59segmented_radix_sort_warp_sort_small_config_static_selectorELNS0_4arch9wavefront6targetE1EEEvSK_
		.amdhsa_group_segment_fixed_size 0
		.amdhsa_private_segment_fixed_size 0
		.amdhsa_kernarg_size 88
		.amdhsa_user_sgpr_count 6
		.amdhsa_user_sgpr_private_segment_buffer 1
		.amdhsa_user_sgpr_dispatch_ptr 0
		.amdhsa_user_sgpr_queue_ptr 0
		.amdhsa_user_sgpr_kernarg_segment_ptr 1
		.amdhsa_user_sgpr_dispatch_id 0
		.amdhsa_user_sgpr_flat_scratch_init 0
		.amdhsa_user_sgpr_kernarg_preload_length 0
		.amdhsa_user_sgpr_kernarg_preload_offset 0
		.amdhsa_user_sgpr_private_segment_size 0
		.amdhsa_uses_dynamic_stack 0
		.amdhsa_system_sgpr_private_segment_wavefront_offset 0
		.amdhsa_system_sgpr_workgroup_id_x 1
		.amdhsa_system_sgpr_workgroup_id_y 0
		.amdhsa_system_sgpr_workgroup_id_z 0
		.amdhsa_system_sgpr_workgroup_info 0
		.amdhsa_system_vgpr_workitem_id 0
		.amdhsa_next_free_vgpr 1
		.amdhsa_next_free_sgpr 0
		.amdhsa_accum_offset 4
		.amdhsa_reserve_vcc 0
		.amdhsa_reserve_flat_scratch 0
		.amdhsa_float_round_mode_32 0
		.amdhsa_float_round_mode_16_64 0
		.amdhsa_float_denorm_mode_32 3
		.amdhsa_float_denorm_mode_16_64 3
		.amdhsa_dx10_clamp 1
		.amdhsa_ieee_mode 1
		.amdhsa_fp16_overflow 0
		.amdhsa_tg_split 0
		.amdhsa_exception_fp_ieee_invalid_op 0
		.amdhsa_exception_fp_denorm_src 0
		.amdhsa_exception_fp_ieee_div_zero 0
		.amdhsa_exception_fp_ieee_overflow 0
		.amdhsa_exception_fp_ieee_underflow 0
		.amdhsa_exception_fp_ieee_inexact 0
		.amdhsa_exception_int_div_zero 0
	.end_amdhsa_kernel
	.section	.text._ZN7rocprim17ROCPRIM_400000_NS6detail17trampoline_kernelINS0_14default_configENS1_36segmented_radix_sort_config_selectorIblEEZNS1_25segmented_radix_sort_implIS3_Lb0EPKbPbPKlPlN2at6native12_GLOBAL__N_18offset_tEEE10hipError_tPvRmT1_PNSt15iterator_traitsISK_E10value_typeET2_T3_PNSL_ISQ_E10value_typeET4_jRbjT5_SW_jjP12ihipStream_tbEUlT_E1_NS1_11comp_targetILNS1_3genE10ELNS1_11target_archE1200ELNS1_3gpuE4ELNS1_3repE0EEENS1_59segmented_radix_sort_warp_sort_small_config_static_selectorELNS0_4arch9wavefront6targetE1EEEvSK_,"axG",@progbits,_ZN7rocprim17ROCPRIM_400000_NS6detail17trampoline_kernelINS0_14default_configENS1_36segmented_radix_sort_config_selectorIblEEZNS1_25segmented_radix_sort_implIS3_Lb0EPKbPbPKlPlN2at6native12_GLOBAL__N_18offset_tEEE10hipError_tPvRmT1_PNSt15iterator_traitsISK_E10value_typeET2_T3_PNSL_ISQ_E10value_typeET4_jRbjT5_SW_jjP12ihipStream_tbEUlT_E1_NS1_11comp_targetILNS1_3genE10ELNS1_11target_archE1200ELNS1_3gpuE4ELNS1_3repE0EEENS1_59segmented_radix_sort_warp_sort_small_config_static_selectorELNS0_4arch9wavefront6targetE1EEEvSK_,comdat
.Lfunc_end1660:
	.size	_ZN7rocprim17ROCPRIM_400000_NS6detail17trampoline_kernelINS0_14default_configENS1_36segmented_radix_sort_config_selectorIblEEZNS1_25segmented_radix_sort_implIS3_Lb0EPKbPbPKlPlN2at6native12_GLOBAL__N_18offset_tEEE10hipError_tPvRmT1_PNSt15iterator_traitsISK_E10value_typeET2_T3_PNSL_ISQ_E10value_typeET4_jRbjT5_SW_jjP12ihipStream_tbEUlT_E1_NS1_11comp_targetILNS1_3genE10ELNS1_11target_archE1200ELNS1_3gpuE4ELNS1_3repE0EEENS1_59segmented_radix_sort_warp_sort_small_config_static_selectorELNS0_4arch9wavefront6targetE1EEEvSK_, .Lfunc_end1660-_ZN7rocprim17ROCPRIM_400000_NS6detail17trampoline_kernelINS0_14default_configENS1_36segmented_radix_sort_config_selectorIblEEZNS1_25segmented_radix_sort_implIS3_Lb0EPKbPbPKlPlN2at6native12_GLOBAL__N_18offset_tEEE10hipError_tPvRmT1_PNSt15iterator_traitsISK_E10value_typeET2_T3_PNSL_ISQ_E10value_typeET4_jRbjT5_SW_jjP12ihipStream_tbEUlT_E1_NS1_11comp_targetILNS1_3genE10ELNS1_11target_archE1200ELNS1_3gpuE4ELNS1_3repE0EEENS1_59segmented_radix_sort_warp_sort_small_config_static_selectorELNS0_4arch9wavefront6targetE1EEEvSK_
                                        ; -- End function
	.section	.AMDGPU.csdata,"",@progbits
; Kernel info:
; codeLenInByte = 0
; NumSgprs: 4
; NumVgprs: 0
; NumAgprs: 0
; TotalNumVgprs: 0
; ScratchSize: 0
; MemoryBound: 0
; FloatMode: 240
; IeeeMode: 1
; LDSByteSize: 0 bytes/workgroup (compile time only)
; SGPRBlocks: 0
; VGPRBlocks: 0
; NumSGPRsForWavesPerEU: 4
; NumVGPRsForWavesPerEU: 1
; AccumOffset: 4
; Occupancy: 8
; WaveLimiterHint : 0
; COMPUTE_PGM_RSRC2:SCRATCH_EN: 0
; COMPUTE_PGM_RSRC2:USER_SGPR: 6
; COMPUTE_PGM_RSRC2:TRAP_HANDLER: 0
; COMPUTE_PGM_RSRC2:TGID_X_EN: 1
; COMPUTE_PGM_RSRC2:TGID_Y_EN: 0
; COMPUTE_PGM_RSRC2:TGID_Z_EN: 0
; COMPUTE_PGM_RSRC2:TIDIG_COMP_CNT: 0
; COMPUTE_PGM_RSRC3_GFX90A:ACCUM_OFFSET: 0
; COMPUTE_PGM_RSRC3_GFX90A:TG_SPLIT: 0
	.section	.text._ZN7rocprim17ROCPRIM_400000_NS6detail17trampoline_kernelINS0_14default_configENS1_36segmented_radix_sort_config_selectorIblEEZNS1_25segmented_radix_sort_implIS3_Lb0EPKbPbPKlPlN2at6native12_GLOBAL__N_18offset_tEEE10hipError_tPvRmT1_PNSt15iterator_traitsISK_E10value_typeET2_T3_PNSL_ISQ_E10value_typeET4_jRbjT5_SW_jjP12ihipStream_tbEUlT_E1_NS1_11comp_targetILNS1_3genE9ELNS1_11target_archE1100ELNS1_3gpuE3ELNS1_3repE0EEENS1_59segmented_radix_sort_warp_sort_small_config_static_selectorELNS0_4arch9wavefront6targetE1EEEvSK_,"axG",@progbits,_ZN7rocprim17ROCPRIM_400000_NS6detail17trampoline_kernelINS0_14default_configENS1_36segmented_radix_sort_config_selectorIblEEZNS1_25segmented_radix_sort_implIS3_Lb0EPKbPbPKlPlN2at6native12_GLOBAL__N_18offset_tEEE10hipError_tPvRmT1_PNSt15iterator_traitsISK_E10value_typeET2_T3_PNSL_ISQ_E10value_typeET4_jRbjT5_SW_jjP12ihipStream_tbEUlT_E1_NS1_11comp_targetILNS1_3genE9ELNS1_11target_archE1100ELNS1_3gpuE3ELNS1_3repE0EEENS1_59segmented_radix_sort_warp_sort_small_config_static_selectorELNS0_4arch9wavefront6targetE1EEEvSK_,comdat
	.globl	_ZN7rocprim17ROCPRIM_400000_NS6detail17trampoline_kernelINS0_14default_configENS1_36segmented_radix_sort_config_selectorIblEEZNS1_25segmented_radix_sort_implIS3_Lb0EPKbPbPKlPlN2at6native12_GLOBAL__N_18offset_tEEE10hipError_tPvRmT1_PNSt15iterator_traitsISK_E10value_typeET2_T3_PNSL_ISQ_E10value_typeET4_jRbjT5_SW_jjP12ihipStream_tbEUlT_E1_NS1_11comp_targetILNS1_3genE9ELNS1_11target_archE1100ELNS1_3gpuE3ELNS1_3repE0EEENS1_59segmented_radix_sort_warp_sort_small_config_static_selectorELNS0_4arch9wavefront6targetE1EEEvSK_ ; -- Begin function _ZN7rocprim17ROCPRIM_400000_NS6detail17trampoline_kernelINS0_14default_configENS1_36segmented_radix_sort_config_selectorIblEEZNS1_25segmented_radix_sort_implIS3_Lb0EPKbPbPKlPlN2at6native12_GLOBAL__N_18offset_tEEE10hipError_tPvRmT1_PNSt15iterator_traitsISK_E10value_typeET2_T3_PNSL_ISQ_E10value_typeET4_jRbjT5_SW_jjP12ihipStream_tbEUlT_E1_NS1_11comp_targetILNS1_3genE9ELNS1_11target_archE1100ELNS1_3gpuE3ELNS1_3repE0EEENS1_59segmented_radix_sort_warp_sort_small_config_static_selectorELNS0_4arch9wavefront6targetE1EEEvSK_
	.p2align	8
	.type	_ZN7rocprim17ROCPRIM_400000_NS6detail17trampoline_kernelINS0_14default_configENS1_36segmented_radix_sort_config_selectorIblEEZNS1_25segmented_radix_sort_implIS3_Lb0EPKbPbPKlPlN2at6native12_GLOBAL__N_18offset_tEEE10hipError_tPvRmT1_PNSt15iterator_traitsISK_E10value_typeET2_T3_PNSL_ISQ_E10value_typeET4_jRbjT5_SW_jjP12ihipStream_tbEUlT_E1_NS1_11comp_targetILNS1_3genE9ELNS1_11target_archE1100ELNS1_3gpuE3ELNS1_3repE0EEENS1_59segmented_radix_sort_warp_sort_small_config_static_selectorELNS0_4arch9wavefront6targetE1EEEvSK_,@function
_ZN7rocprim17ROCPRIM_400000_NS6detail17trampoline_kernelINS0_14default_configENS1_36segmented_radix_sort_config_selectorIblEEZNS1_25segmented_radix_sort_implIS3_Lb0EPKbPbPKlPlN2at6native12_GLOBAL__N_18offset_tEEE10hipError_tPvRmT1_PNSt15iterator_traitsISK_E10value_typeET2_T3_PNSL_ISQ_E10value_typeET4_jRbjT5_SW_jjP12ihipStream_tbEUlT_E1_NS1_11comp_targetILNS1_3genE9ELNS1_11target_archE1100ELNS1_3gpuE3ELNS1_3repE0EEENS1_59segmented_radix_sort_warp_sort_small_config_static_selectorELNS0_4arch9wavefront6targetE1EEEvSK_: ; @_ZN7rocprim17ROCPRIM_400000_NS6detail17trampoline_kernelINS0_14default_configENS1_36segmented_radix_sort_config_selectorIblEEZNS1_25segmented_radix_sort_implIS3_Lb0EPKbPbPKlPlN2at6native12_GLOBAL__N_18offset_tEEE10hipError_tPvRmT1_PNSt15iterator_traitsISK_E10value_typeET2_T3_PNSL_ISQ_E10value_typeET4_jRbjT5_SW_jjP12ihipStream_tbEUlT_E1_NS1_11comp_targetILNS1_3genE9ELNS1_11target_archE1100ELNS1_3gpuE3ELNS1_3repE0EEENS1_59segmented_radix_sort_warp_sort_small_config_static_selectorELNS0_4arch9wavefront6targetE1EEEvSK_
; %bb.0:
	.section	.rodata,"a",@progbits
	.p2align	6, 0x0
	.amdhsa_kernel _ZN7rocprim17ROCPRIM_400000_NS6detail17trampoline_kernelINS0_14default_configENS1_36segmented_radix_sort_config_selectorIblEEZNS1_25segmented_radix_sort_implIS3_Lb0EPKbPbPKlPlN2at6native12_GLOBAL__N_18offset_tEEE10hipError_tPvRmT1_PNSt15iterator_traitsISK_E10value_typeET2_T3_PNSL_ISQ_E10value_typeET4_jRbjT5_SW_jjP12ihipStream_tbEUlT_E1_NS1_11comp_targetILNS1_3genE9ELNS1_11target_archE1100ELNS1_3gpuE3ELNS1_3repE0EEENS1_59segmented_radix_sort_warp_sort_small_config_static_selectorELNS0_4arch9wavefront6targetE1EEEvSK_
		.amdhsa_group_segment_fixed_size 0
		.amdhsa_private_segment_fixed_size 0
		.amdhsa_kernarg_size 88
		.amdhsa_user_sgpr_count 6
		.amdhsa_user_sgpr_private_segment_buffer 1
		.amdhsa_user_sgpr_dispatch_ptr 0
		.amdhsa_user_sgpr_queue_ptr 0
		.amdhsa_user_sgpr_kernarg_segment_ptr 1
		.amdhsa_user_sgpr_dispatch_id 0
		.amdhsa_user_sgpr_flat_scratch_init 0
		.amdhsa_user_sgpr_kernarg_preload_length 0
		.amdhsa_user_sgpr_kernarg_preload_offset 0
		.amdhsa_user_sgpr_private_segment_size 0
		.amdhsa_uses_dynamic_stack 0
		.amdhsa_system_sgpr_private_segment_wavefront_offset 0
		.amdhsa_system_sgpr_workgroup_id_x 1
		.amdhsa_system_sgpr_workgroup_id_y 0
		.amdhsa_system_sgpr_workgroup_id_z 0
		.amdhsa_system_sgpr_workgroup_info 0
		.amdhsa_system_vgpr_workitem_id 0
		.amdhsa_next_free_vgpr 1
		.amdhsa_next_free_sgpr 0
		.amdhsa_accum_offset 4
		.amdhsa_reserve_vcc 0
		.amdhsa_reserve_flat_scratch 0
		.amdhsa_float_round_mode_32 0
		.amdhsa_float_round_mode_16_64 0
		.amdhsa_float_denorm_mode_32 3
		.amdhsa_float_denorm_mode_16_64 3
		.amdhsa_dx10_clamp 1
		.amdhsa_ieee_mode 1
		.amdhsa_fp16_overflow 0
		.amdhsa_tg_split 0
		.amdhsa_exception_fp_ieee_invalid_op 0
		.amdhsa_exception_fp_denorm_src 0
		.amdhsa_exception_fp_ieee_div_zero 0
		.amdhsa_exception_fp_ieee_overflow 0
		.amdhsa_exception_fp_ieee_underflow 0
		.amdhsa_exception_fp_ieee_inexact 0
		.amdhsa_exception_int_div_zero 0
	.end_amdhsa_kernel
	.section	.text._ZN7rocprim17ROCPRIM_400000_NS6detail17trampoline_kernelINS0_14default_configENS1_36segmented_radix_sort_config_selectorIblEEZNS1_25segmented_radix_sort_implIS3_Lb0EPKbPbPKlPlN2at6native12_GLOBAL__N_18offset_tEEE10hipError_tPvRmT1_PNSt15iterator_traitsISK_E10value_typeET2_T3_PNSL_ISQ_E10value_typeET4_jRbjT5_SW_jjP12ihipStream_tbEUlT_E1_NS1_11comp_targetILNS1_3genE9ELNS1_11target_archE1100ELNS1_3gpuE3ELNS1_3repE0EEENS1_59segmented_radix_sort_warp_sort_small_config_static_selectorELNS0_4arch9wavefront6targetE1EEEvSK_,"axG",@progbits,_ZN7rocprim17ROCPRIM_400000_NS6detail17trampoline_kernelINS0_14default_configENS1_36segmented_radix_sort_config_selectorIblEEZNS1_25segmented_radix_sort_implIS3_Lb0EPKbPbPKlPlN2at6native12_GLOBAL__N_18offset_tEEE10hipError_tPvRmT1_PNSt15iterator_traitsISK_E10value_typeET2_T3_PNSL_ISQ_E10value_typeET4_jRbjT5_SW_jjP12ihipStream_tbEUlT_E1_NS1_11comp_targetILNS1_3genE9ELNS1_11target_archE1100ELNS1_3gpuE3ELNS1_3repE0EEENS1_59segmented_radix_sort_warp_sort_small_config_static_selectorELNS0_4arch9wavefront6targetE1EEEvSK_,comdat
.Lfunc_end1661:
	.size	_ZN7rocprim17ROCPRIM_400000_NS6detail17trampoline_kernelINS0_14default_configENS1_36segmented_radix_sort_config_selectorIblEEZNS1_25segmented_radix_sort_implIS3_Lb0EPKbPbPKlPlN2at6native12_GLOBAL__N_18offset_tEEE10hipError_tPvRmT1_PNSt15iterator_traitsISK_E10value_typeET2_T3_PNSL_ISQ_E10value_typeET4_jRbjT5_SW_jjP12ihipStream_tbEUlT_E1_NS1_11comp_targetILNS1_3genE9ELNS1_11target_archE1100ELNS1_3gpuE3ELNS1_3repE0EEENS1_59segmented_radix_sort_warp_sort_small_config_static_selectorELNS0_4arch9wavefront6targetE1EEEvSK_, .Lfunc_end1661-_ZN7rocprim17ROCPRIM_400000_NS6detail17trampoline_kernelINS0_14default_configENS1_36segmented_radix_sort_config_selectorIblEEZNS1_25segmented_radix_sort_implIS3_Lb0EPKbPbPKlPlN2at6native12_GLOBAL__N_18offset_tEEE10hipError_tPvRmT1_PNSt15iterator_traitsISK_E10value_typeET2_T3_PNSL_ISQ_E10value_typeET4_jRbjT5_SW_jjP12ihipStream_tbEUlT_E1_NS1_11comp_targetILNS1_3genE9ELNS1_11target_archE1100ELNS1_3gpuE3ELNS1_3repE0EEENS1_59segmented_radix_sort_warp_sort_small_config_static_selectorELNS0_4arch9wavefront6targetE1EEEvSK_
                                        ; -- End function
	.section	.AMDGPU.csdata,"",@progbits
; Kernel info:
; codeLenInByte = 0
; NumSgprs: 4
; NumVgprs: 0
; NumAgprs: 0
; TotalNumVgprs: 0
; ScratchSize: 0
; MemoryBound: 0
; FloatMode: 240
; IeeeMode: 1
; LDSByteSize: 0 bytes/workgroup (compile time only)
; SGPRBlocks: 0
; VGPRBlocks: 0
; NumSGPRsForWavesPerEU: 4
; NumVGPRsForWavesPerEU: 1
; AccumOffset: 4
; Occupancy: 8
; WaveLimiterHint : 0
; COMPUTE_PGM_RSRC2:SCRATCH_EN: 0
; COMPUTE_PGM_RSRC2:USER_SGPR: 6
; COMPUTE_PGM_RSRC2:TRAP_HANDLER: 0
; COMPUTE_PGM_RSRC2:TGID_X_EN: 1
; COMPUTE_PGM_RSRC2:TGID_Y_EN: 0
; COMPUTE_PGM_RSRC2:TGID_Z_EN: 0
; COMPUTE_PGM_RSRC2:TIDIG_COMP_CNT: 0
; COMPUTE_PGM_RSRC3_GFX90A:ACCUM_OFFSET: 0
; COMPUTE_PGM_RSRC3_GFX90A:TG_SPLIT: 0
	.section	.text._ZN7rocprim17ROCPRIM_400000_NS6detail17trampoline_kernelINS0_14default_configENS1_36segmented_radix_sort_config_selectorIblEEZNS1_25segmented_radix_sort_implIS3_Lb0EPKbPbPKlPlN2at6native12_GLOBAL__N_18offset_tEEE10hipError_tPvRmT1_PNSt15iterator_traitsISK_E10value_typeET2_T3_PNSL_ISQ_E10value_typeET4_jRbjT5_SW_jjP12ihipStream_tbEUlT_E1_NS1_11comp_targetILNS1_3genE8ELNS1_11target_archE1030ELNS1_3gpuE2ELNS1_3repE0EEENS1_59segmented_radix_sort_warp_sort_small_config_static_selectorELNS0_4arch9wavefront6targetE1EEEvSK_,"axG",@progbits,_ZN7rocprim17ROCPRIM_400000_NS6detail17trampoline_kernelINS0_14default_configENS1_36segmented_radix_sort_config_selectorIblEEZNS1_25segmented_radix_sort_implIS3_Lb0EPKbPbPKlPlN2at6native12_GLOBAL__N_18offset_tEEE10hipError_tPvRmT1_PNSt15iterator_traitsISK_E10value_typeET2_T3_PNSL_ISQ_E10value_typeET4_jRbjT5_SW_jjP12ihipStream_tbEUlT_E1_NS1_11comp_targetILNS1_3genE8ELNS1_11target_archE1030ELNS1_3gpuE2ELNS1_3repE0EEENS1_59segmented_radix_sort_warp_sort_small_config_static_selectorELNS0_4arch9wavefront6targetE1EEEvSK_,comdat
	.globl	_ZN7rocprim17ROCPRIM_400000_NS6detail17trampoline_kernelINS0_14default_configENS1_36segmented_radix_sort_config_selectorIblEEZNS1_25segmented_radix_sort_implIS3_Lb0EPKbPbPKlPlN2at6native12_GLOBAL__N_18offset_tEEE10hipError_tPvRmT1_PNSt15iterator_traitsISK_E10value_typeET2_T3_PNSL_ISQ_E10value_typeET4_jRbjT5_SW_jjP12ihipStream_tbEUlT_E1_NS1_11comp_targetILNS1_3genE8ELNS1_11target_archE1030ELNS1_3gpuE2ELNS1_3repE0EEENS1_59segmented_radix_sort_warp_sort_small_config_static_selectorELNS0_4arch9wavefront6targetE1EEEvSK_ ; -- Begin function _ZN7rocprim17ROCPRIM_400000_NS6detail17trampoline_kernelINS0_14default_configENS1_36segmented_radix_sort_config_selectorIblEEZNS1_25segmented_radix_sort_implIS3_Lb0EPKbPbPKlPlN2at6native12_GLOBAL__N_18offset_tEEE10hipError_tPvRmT1_PNSt15iterator_traitsISK_E10value_typeET2_T3_PNSL_ISQ_E10value_typeET4_jRbjT5_SW_jjP12ihipStream_tbEUlT_E1_NS1_11comp_targetILNS1_3genE8ELNS1_11target_archE1030ELNS1_3gpuE2ELNS1_3repE0EEENS1_59segmented_radix_sort_warp_sort_small_config_static_selectorELNS0_4arch9wavefront6targetE1EEEvSK_
	.p2align	8
	.type	_ZN7rocprim17ROCPRIM_400000_NS6detail17trampoline_kernelINS0_14default_configENS1_36segmented_radix_sort_config_selectorIblEEZNS1_25segmented_radix_sort_implIS3_Lb0EPKbPbPKlPlN2at6native12_GLOBAL__N_18offset_tEEE10hipError_tPvRmT1_PNSt15iterator_traitsISK_E10value_typeET2_T3_PNSL_ISQ_E10value_typeET4_jRbjT5_SW_jjP12ihipStream_tbEUlT_E1_NS1_11comp_targetILNS1_3genE8ELNS1_11target_archE1030ELNS1_3gpuE2ELNS1_3repE0EEENS1_59segmented_radix_sort_warp_sort_small_config_static_selectorELNS0_4arch9wavefront6targetE1EEEvSK_,@function
_ZN7rocprim17ROCPRIM_400000_NS6detail17trampoline_kernelINS0_14default_configENS1_36segmented_radix_sort_config_selectorIblEEZNS1_25segmented_radix_sort_implIS3_Lb0EPKbPbPKlPlN2at6native12_GLOBAL__N_18offset_tEEE10hipError_tPvRmT1_PNSt15iterator_traitsISK_E10value_typeET2_T3_PNSL_ISQ_E10value_typeET4_jRbjT5_SW_jjP12ihipStream_tbEUlT_E1_NS1_11comp_targetILNS1_3genE8ELNS1_11target_archE1030ELNS1_3gpuE2ELNS1_3repE0EEENS1_59segmented_radix_sort_warp_sort_small_config_static_selectorELNS0_4arch9wavefront6targetE1EEEvSK_: ; @_ZN7rocprim17ROCPRIM_400000_NS6detail17trampoline_kernelINS0_14default_configENS1_36segmented_radix_sort_config_selectorIblEEZNS1_25segmented_radix_sort_implIS3_Lb0EPKbPbPKlPlN2at6native12_GLOBAL__N_18offset_tEEE10hipError_tPvRmT1_PNSt15iterator_traitsISK_E10value_typeET2_T3_PNSL_ISQ_E10value_typeET4_jRbjT5_SW_jjP12ihipStream_tbEUlT_E1_NS1_11comp_targetILNS1_3genE8ELNS1_11target_archE1030ELNS1_3gpuE2ELNS1_3repE0EEENS1_59segmented_radix_sort_warp_sort_small_config_static_selectorELNS0_4arch9wavefront6targetE1EEEvSK_
; %bb.0:
	.section	.rodata,"a",@progbits
	.p2align	6, 0x0
	.amdhsa_kernel _ZN7rocprim17ROCPRIM_400000_NS6detail17trampoline_kernelINS0_14default_configENS1_36segmented_radix_sort_config_selectorIblEEZNS1_25segmented_radix_sort_implIS3_Lb0EPKbPbPKlPlN2at6native12_GLOBAL__N_18offset_tEEE10hipError_tPvRmT1_PNSt15iterator_traitsISK_E10value_typeET2_T3_PNSL_ISQ_E10value_typeET4_jRbjT5_SW_jjP12ihipStream_tbEUlT_E1_NS1_11comp_targetILNS1_3genE8ELNS1_11target_archE1030ELNS1_3gpuE2ELNS1_3repE0EEENS1_59segmented_radix_sort_warp_sort_small_config_static_selectorELNS0_4arch9wavefront6targetE1EEEvSK_
		.amdhsa_group_segment_fixed_size 0
		.amdhsa_private_segment_fixed_size 0
		.amdhsa_kernarg_size 88
		.amdhsa_user_sgpr_count 6
		.amdhsa_user_sgpr_private_segment_buffer 1
		.amdhsa_user_sgpr_dispatch_ptr 0
		.amdhsa_user_sgpr_queue_ptr 0
		.amdhsa_user_sgpr_kernarg_segment_ptr 1
		.amdhsa_user_sgpr_dispatch_id 0
		.amdhsa_user_sgpr_flat_scratch_init 0
		.amdhsa_user_sgpr_kernarg_preload_length 0
		.amdhsa_user_sgpr_kernarg_preload_offset 0
		.amdhsa_user_sgpr_private_segment_size 0
		.amdhsa_uses_dynamic_stack 0
		.amdhsa_system_sgpr_private_segment_wavefront_offset 0
		.amdhsa_system_sgpr_workgroup_id_x 1
		.amdhsa_system_sgpr_workgroup_id_y 0
		.amdhsa_system_sgpr_workgroup_id_z 0
		.amdhsa_system_sgpr_workgroup_info 0
		.amdhsa_system_vgpr_workitem_id 0
		.amdhsa_next_free_vgpr 1
		.amdhsa_next_free_sgpr 0
		.amdhsa_accum_offset 4
		.amdhsa_reserve_vcc 0
		.amdhsa_reserve_flat_scratch 0
		.amdhsa_float_round_mode_32 0
		.amdhsa_float_round_mode_16_64 0
		.amdhsa_float_denorm_mode_32 3
		.amdhsa_float_denorm_mode_16_64 3
		.amdhsa_dx10_clamp 1
		.amdhsa_ieee_mode 1
		.amdhsa_fp16_overflow 0
		.amdhsa_tg_split 0
		.amdhsa_exception_fp_ieee_invalid_op 0
		.amdhsa_exception_fp_denorm_src 0
		.amdhsa_exception_fp_ieee_div_zero 0
		.amdhsa_exception_fp_ieee_overflow 0
		.amdhsa_exception_fp_ieee_underflow 0
		.amdhsa_exception_fp_ieee_inexact 0
		.amdhsa_exception_int_div_zero 0
	.end_amdhsa_kernel
	.section	.text._ZN7rocprim17ROCPRIM_400000_NS6detail17trampoline_kernelINS0_14default_configENS1_36segmented_radix_sort_config_selectorIblEEZNS1_25segmented_radix_sort_implIS3_Lb0EPKbPbPKlPlN2at6native12_GLOBAL__N_18offset_tEEE10hipError_tPvRmT1_PNSt15iterator_traitsISK_E10value_typeET2_T3_PNSL_ISQ_E10value_typeET4_jRbjT5_SW_jjP12ihipStream_tbEUlT_E1_NS1_11comp_targetILNS1_3genE8ELNS1_11target_archE1030ELNS1_3gpuE2ELNS1_3repE0EEENS1_59segmented_radix_sort_warp_sort_small_config_static_selectorELNS0_4arch9wavefront6targetE1EEEvSK_,"axG",@progbits,_ZN7rocprim17ROCPRIM_400000_NS6detail17trampoline_kernelINS0_14default_configENS1_36segmented_radix_sort_config_selectorIblEEZNS1_25segmented_radix_sort_implIS3_Lb0EPKbPbPKlPlN2at6native12_GLOBAL__N_18offset_tEEE10hipError_tPvRmT1_PNSt15iterator_traitsISK_E10value_typeET2_T3_PNSL_ISQ_E10value_typeET4_jRbjT5_SW_jjP12ihipStream_tbEUlT_E1_NS1_11comp_targetILNS1_3genE8ELNS1_11target_archE1030ELNS1_3gpuE2ELNS1_3repE0EEENS1_59segmented_radix_sort_warp_sort_small_config_static_selectorELNS0_4arch9wavefront6targetE1EEEvSK_,comdat
.Lfunc_end1662:
	.size	_ZN7rocprim17ROCPRIM_400000_NS6detail17trampoline_kernelINS0_14default_configENS1_36segmented_radix_sort_config_selectorIblEEZNS1_25segmented_radix_sort_implIS3_Lb0EPKbPbPKlPlN2at6native12_GLOBAL__N_18offset_tEEE10hipError_tPvRmT1_PNSt15iterator_traitsISK_E10value_typeET2_T3_PNSL_ISQ_E10value_typeET4_jRbjT5_SW_jjP12ihipStream_tbEUlT_E1_NS1_11comp_targetILNS1_3genE8ELNS1_11target_archE1030ELNS1_3gpuE2ELNS1_3repE0EEENS1_59segmented_radix_sort_warp_sort_small_config_static_selectorELNS0_4arch9wavefront6targetE1EEEvSK_, .Lfunc_end1662-_ZN7rocprim17ROCPRIM_400000_NS6detail17trampoline_kernelINS0_14default_configENS1_36segmented_radix_sort_config_selectorIblEEZNS1_25segmented_radix_sort_implIS3_Lb0EPKbPbPKlPlN2at6native12_GLOBAL__N_18offset_tEEE10hipError_tPvRmT1_PNSt15iterator_traitsISK_E10value_typeET2_T3_PNSL_ISQ_E10value_typeET4_jRbjT5_SW_jjP12ihipStream_tbEUlT_E1_NS1_11comp_targetILNS1_3genE8ELNS1_11target_archE1030ELNS1_3gpuE2ELNS1_3repE0EEENS1_59segmented_radix_sort_warp_sort_small_config_static_selectorELNS0_4arch9wavefront6targetE1EEEvSK_
                                        ; -- End function
	.section	.AMDGPU.csdata,"",@progbits
; Kernel info:
; codeLenInByte = 0
; NumSgprs: 4
; NumVgprs: 0
; NumAgprs: 0
; TotalNumVgprs: 0
; ScratchSize: 0
; MemoryBound: 0
; FloatMode: 240
; IeeeMode: 1
; LDSByteSize: 0 bytes/workgroup (compile time only)
; SGPRBlocks: 0
; VGPRBlocks: 0
; NumSGPRsForWavesPerEU: 4
; NumVGPRsForWavesPerEU: 1
; AccumOffset: 4
; Occupancy: 8
; WaveLimiterHint : 0
; COMPUTE_PGM_RSRC2:SCRATCH_EN: 0
; COMPUTE_PGM_RSRC2:USER_SGPR: 6
; COMPUTE_PGM_RSRC2:TRAP_HANDLER: 0
; COMPUTE_PGM_RSRC2:TGID_X_EN: 1
; COMPUTE_PGM_RSRC2:TGID_Y_EN: 0
; COMPUTE_PGM_RSRC2:TGID_Z_EN: 0
; COMPUTE_PGM_RSRC2:TIDIG_COMP_CNT: 0
; COMPUTE_PGM_RSRC3_GFX90A:ACCUM_OFFSET: 0
; COMPUTE_PGM_RSRC3_GFX90A:TG_SPLIT: 0
	.section	.text._ZN7rocprim17ROCPRIM_400000_NS6detail17trampoline_kernelINS0_14default_configENS1_36segmented_radix_sort_config_selectorIblEEZNS1_25segmented_radix_sort_implIS3_Lb0EPKbPbPKlPlN2at6native12_GLOBAL__N_18offset_tEEE10hipError_tPvRmT1_PNSt15iterator_traitsISK_E10value_typeET2_T3_PNSL_ISQ_E10value_typeET4_jRbjT5_SW_jjP12ihipStream_tbEUlT_E2_NS1_11comp_targetILNS1_3genE0ELNS1_11target_archE4294967295ELNS1_3gpuE0ELNS1_3repE0EEENS1_30default_config_static_selectorELNS0_4arch9wavefront6targetE1EEEvSK_,"axG",@progbits,_ZN7rocprim17ROCPRIM_400000_NS6detail17trampoline_kernelINS0_14default_configENS1_36segmented_radix_sort_config_selectorIblEEZNS1_25segmented_radix_sort_implIS3_Lb0EPKbPbPKlPlN2at6native12_GLOBAL__N_18offset_tEEE10hipError_tPvRmT1_PNSt15iterator_traitsISK_E10value_typeET2_T3_PNSL_ISQ_E10value_typeET4_jRbjT5_SW_jjP12ihipStream_tbEUlT_E2_NS1_11comp_targetILNS1_3genE0ELNS1_11target_archE4294967295ELNS1_3gpuE0ELNS1_3repE0EEENS1_30default_config_static_selectorELNS0_4arch9wavefront6targetE1EEEvSK_,comdat
	.globl	_ZN7rocprim17ROCPRIM_400000_NS6detail17trampoline_kernelINS0_14default_configENS1_36segmented_radix_sort_config_selectorIblEEZNS1_25segmented_radix_sort_implIS3_Lb0EPKbPbPKlPlN2at6native12_GLOBAL__N_18offset_tEEE10hipError_tPvRmT1_PNSt15iterator_traitsISK_E10value_typeET2_T3_PNSL_ISQ_E10value_typeET4_jRbjT5_SW_jjP12ihipStream_tbEUlT_E2_NS1_11comp_targetILNS1_3genE0ELNS1_11target_archE4294967295ELNS1_3gpuE0ELNS1_3repE0EEENS1_30default_config_static_selectorELNS0_4arch9wavefront6targetE1EEEvSK_ ; -- Begin function _ZN7rocprim17ROCPRIM_400000_NS6detail17trampoline_kernelINS0_14default_configENS1_36segmented_radix_sort_config_selectorIblEEZNS1_25segmented_radix_sort_implIS3_Lb0EPKbPbPKlPlN2at6native12_GLOBAL__N_18offset_tEEE10hipError_tPvRmT1_PNSt15iterator_traitsISK_E10value_typeET2_T3_PNSL_ISQ_E10value_typeET4_jRbjT5_SW_jjP12ihipStream_tbEUlT_E2_NS1_11comp_targetILNS1_3genE0ELNS1_11target_archE4294967295ELNS1_3gpuE0ELNS1_3repE0EEENS1_30default_config_static_selectorELNS0_4arch9wavefront6targetE1EEEvSK_
	.p2align	8
	.type	_ZN7rocprim17ROCPRIM_400000_NS6detail17trampoline_kernelINS0_14default_configENS1_36segmented_radix_sort_config_selectorIblEEZNS1_25segmented_radix_sort_implIS3_Lb0EPKbPbPKlPlN2at6native12_GLOBAL__N_18offset_tEEE10hipError_tPvRmT1_PNSt15iterator_traitsISK_E10value_typeET2_T3_PNSL_ISQ_E10value_typeET4_jRbjT5_SW_jjP12ihipStream_tbEUlT_E2_NS1_11comp_targetILNS1_3genE0ELNS1_11target_archE4294967295ELNS1_3gpuE0ELNS1_3repE0EEENS1_30default_config_static_selectorELNS0_4arch9wavefront6targetE1EEEvSK_,@function
_ZN7rocprim17ROCPRIM_400000_NS6detail17trampoline_kernelINS0_14default_configENS1_36segmented_radix_sort_config_selectorIblEEZNS1_25segmented_radix_sort_implIS3_Lb0EPKbPbPKlPlN2at6native12_GLOBAL__N_18offset_tEEE10hipError_tPvRmT1_PNSt15iterator_traitsISK_E10value_typeET2_T3_PNSL_ISQ_E10value_typeET4_jRbjT5_SW_jjP12ihipStream_tbEUlT_E2_NS1_11comp_targetILNS1_3genE0ELNS1_11target_archE4294967295ELNS1_3gpuE0ELNS1_3repE0EEENS1_30default_config_static_selectorELNS0_4arch9wavefront6targetE1EEEvSK_: ; @_ZN7rocprim17ROCPRIM_400000_NS6detail17trampoline_kernelINS0_14default_configENS1_36segmented_radix_sort_config_selectorIblEEZNS1_25segmented_radix_sort_implIS3_Lb0EPKbPbPKlPlN2at6native12_GLOBAL__N_18offset_tEEE10hipError_tPvRmT1_PNSt15iterator_traitsISK_E10value_typeET2_T3_PNSL_ISQ_E10value_typeET4_jRbjT5_SW_jjP12ihipStream_tbEUlT_E2_NS1_11comp_targetILNS1_3genE0ELNS1_11target_archE4294967295ELNS1_3gpuE0ELNS1_3repE0EEENS1_30default_config_static_selectorELNS0_4arch9wavefront6targetE1EEEvSK_
; %bb.0:
	.section	.rodata,"a",@progbits
	.p2align	6, 0x0
	.amdhsa_kernel _ZN7rocprim17ROCPRIM_400000_NS6detail17trampoline_kernelINS0_14default_configENS1_36segmented_radix_sort_config_selectorIblEEZNS1_25segmented_radix_sort_implIS3_Lb0EPKbPbPKlPlN2at6native12_GLOBAL__N_18offset_tEEE10hipError_tPvRmT1_PNSt15iterator_traitsISK_E10value_typeET2_T3_PNSL_ISQ_E10value_typeET4_jRbjT5_SW_jjP12ihipStream_tbEUlT_E2_NS1_11comp_targetILNS1_3genE0ELNS1_11target_archE4294967295ELNS1_3gpuE0ELNS1_3repE0EEENS1_30default_config_static_selectorELNS0_4arch9wavefront6targetE1EEEvSK_
		.amdhsa_group_segment_fixed_size 0
		.amdhsa_private_segment_fixed_size 0
		.amdhsa_kernarg_size 80
		.amdhsa_user_sgpr_count 6
		.amdhsa_user_sgpr_private_segment_buffer 1
		.amdhsa_user_sgpr_dispatch_ptr 0
		.amdhsa_user_sgpr_queue_ptr 0
		.amdhsa_user_sgpr_kernarg_segment_ptr 1
		.amdhsa_user_sgpr_dispatch_id 0
		.amdhsa_user_sgpr_flat_scratch_init 0
		.amdhsa_user_sgpr_kernarg_preload_length 0
		.amdhsa_user_sgpr_kernarg_preload_offset 0
		.amdhsa_user_sgpr_private_segment_size 0
		.amdhsa_uses_dynamic_stack 0
		.amdhsa_system_sgpr_private_segment_wavefront_offset 0
		.amdhsa_system_sgpr_workgroup_id_x 1
		.amdhsa_system_sgpr_workgroup_id_y 0
		.amdhsa_system_sgpr_workgroup_id_z 0
		.amdhsa_system_sgpr_workgroup_info 0
		.amdhsa_system_vgpr_workitem_id 0
		.amdhsa_next_free_vgpr 1
		.amdhsa_next_free_sgpr 0
		.amdhsa_accum_offset 4
		.amdhsa_reserve_vcc 0
		.amdhsa_reserve_flat_scratch 0
		.amdhsa_float_round_mode_32 0
		.amdhsa_float_round_mode_16_64 0
		.amdhsa_float_denorm_mode_32 3
		.amdhsa_float_denorm_mode_16_64 3
		.amdhsa_dx10_clamp 1
		.amdhsa_ieee_mode 1
		.amdhsa_fp16_overflow 0
		.amdhsa_tg_split 0
		.amdhsa_exception_fp_ieee_invalid_op 0
		.amdhsa_exception_fp_denorm_src 0
		.amdhsa_exception_fp_ieee_div_zero 0
		.amdhsa_exception_fp_ieee_overflow 0
		.amdhsa_exception_fp_ieee_underflow 0
		.amdhsa_exception_fp_ieee_inexact 0
		.amdhsa_exception_int_div_zero 0
	.end_amdhsa_kernel
	.section	.text._ZN7rocprim17ROCPRIM_400000_NS6detail17trampoline_kernelINS0_14default_configENS1_36segmented_radix_sort_config_selectorIblEEZNS1_25segmented_radix_sort_implIS3_Lb0EPKbPbPKlPlN2at6native12_GLOBAL__N_18offset_tEEE10hipError_tPvRmT1_PNSt15iterator_traitsISK_E10value_typeET2_T3_PNSL_ISQ_E10value_typeET4_jRbjT5_SW_jjP12ihipStream_tbEUlT_E2_NS1_11comp_targetILNS1_3genE0ELNS1_11target_archE4294967295ELNS1_3gpuE0ELNS1_3repE0EEENS1_30default_config_static_selectorELNS0_4arch9wavefront6targetE1EEEvSK_,"axG",@progbits,_ZN7rocprim17ROCPRIM_400000_NS6detail17trampoline_kernelINS0_14default_configENS1_36segmented_radix_sort_config_selectorIblEEZNS1_25segmented_radix_sort_implIS3_Lb0EPKbPbPKlPlN2at6native12_GLOBAL__N_18offset_tEEE10hipError_tPvRmT1_PNSt15iterator_traitsISK_E10value_typeET2_T3_PNSL_ISQ_E10value_typeET4_jRbjT5_SW_jjP12ihipStream_tbEUlT_E2_NS1_11comp_targetILNS1_3genE0ELNS1_11target_archE4294967295ELNS1_3gpuE0ELNS1_3repE0EEENS1_30default_config_static_selectorELNS0_4arch9wavefront6targetE1EEEvSK_,comdat
.Lfunc_end1663:
	.size	_ZN7rocprim17ROCPRIM_400000_NS6detail17trampoline_kernelINS0_14default_configENS1_36segmented_radix_sort_config_selectorIblEEZNS1_25segmented_radix_sort_implIS3_Lb0EPKbPbPKlPlN2at6native12_GLOBAL__N_18offset_tEEE10hipError_tPvRmT1_PNSt15iterator_traitsISK_E10value_typeET2_T3_PNSL_ISQ_E10value_typeET4_jRbjT5_SW_jjP12ihipStream_tbEUlT_E2_NS1_11comp_targetILNS1_3genE0ELNS1_11target_archE4294967295ELNS1_3gpuE0ELNS1_3repE0EEENS1_30default_config_static_selectorELNS0_4arch9wavefront6targetE1EEEvSK_, .Lfunc_end1663-_ZN7rocprim17ROCPRIM_400000_NS6detail17trampoline_kernelINS0_14default_configENS1_36segmented_radix_sort_config_selectorIblEEZNS1_25segmented_radix_sort_implIS3_Lb0EPKbPbPKlPlN2at6native12_GLOBAL__N_18offset_tEEE10hipError_tPvRmT1_PNSt15iterator_traitsISK_E10value_typeET2_T3_PNSL_ISQ_E10value_typeET4_jRbjT5_SW_jjP12ihipStream_tbEUlT_E2_NS1_11comp_targetILNS1_3genE0ELNS1_11target_archE4294967295ELNS1_3gpuE0ELNS1_3repE0EEENS1_30default_config_static_selectorELNS0_4arch9wavefront6targetE1EEEvSK_
                                        ; -- End function
	.section	.AMDGPU.csdata,"",@progbits
; Kernel info:
; codeLenInByte = 0
; NumSgprs: 4
; NumVgprs: 0
; NumAgprs: 0
; TotalNumVgprs: 0
; ScratchSize: 0
; MemoryBound: 0
; FloatMode: 240
; IeeeMode: 1
; LDSByteSize: 0 bytes/workgroup (compile time only)
; SGPRBlocks: 0
; VGPRBlocks: 0
; NumSGPRsForWavesPerEU: 4
; NumVGPRsForWavesPerEU: 1
; AccumOffset: 4
; Occupancy: 8
; WaveLimiterHint : 0
; COMPUTE_PGM_RSRC2:SCRATCH_EN: 0
; COMPUTE_PGM_RSRC2:USER_SGPR: 6
; COMPUTE_PGM_RSRC2:TRAP_HANDLER: 0
; COMPUTE_PGM_RSRC2:TGID_X_EN: 1
; COMPUTE_PGM_RSRC2:TGID_Y_EN: 0
; COMPUTE_PGM_RSRC2:TGID_Z_EN: 0
; COMPUTE_PGM_RSRC2:TIDIG_COMP_CNT: 0
; COMPUTE_PGM_RSRC3_GFX90A:ACCUM_OFFSET: 0
; COMPUTE_PGM_RSRC3_GFX90A:TG_SPLIT: 0
	.section	.text._ZN7rocprim17ROCPRIM_400000_NS6detail17trampoline_kernelINS0_14default_configENS1_36segmented_radix_sort_config_selectorIblEEZNS1_25segmented_radix_sort_implIS3_Lb0EPKbPbPKlPlN2at6native12_GLOBAL__N_18offset_tEEE10hipError_tPvRmT1_PNSt15iterator_traitsISK_E10value_typeET2_T3_PNSL_ISQ_E10value_typeET4_jRbjT5_SW_jjP12ihipStream_tbEUlT_E2_NS1_11comp_targetILNS1_3genE5ELNS1_11target_archE942ELNS1_3gpuE9ELNS1_3repE0EEENS1_30default_config_static_selectorELNS0_4arch9wavefront6targetE1EEEvSK_,"axG",@progbits,_ZN7rocprim17ROCPRIM_400000_NS6detail17trampoline_kernelINS0_14default_configENS1_36segmented_radix_sort_config_selectorIblEEZNS1_25segmented_radix_sort_implIS3_Lb0EPKbPbPKlPlN2at6native12_GLOBAL__N_18offset_tEEE10hipError_tPvRmT1_PNSt15iterator_traitsISK_E10value_typeET2_T3_PNSL_ISQ_E10value_typeET4_jRbjT5_SW_jjP12ihipStream_tbEUlT_E2_NS1_11comp_targetILNS1_3genE5ELNS1_11target_archE942ELNS1_3gpuE9ELNS1_3repE0EEENS1_30default_config_static_selectorELNS0_4arch9wavefront6targetE1EEEvSK_,comdat
	.globl	_ZN7rocprim17ROCPRIM_400000_NS6detail17trampoline_kernelINS0_14default_configENS1_36segmented_radix_sort_config_selectorIblEEZNS1_25segmented_radix_sort_implIS3_Lb0EPKbPbPKlPlN2at6native12_GLOBAL__N_18offset_tEEE10hipError_tPvRmT1_PNSt15iterator_traitsISK_E10value_typeET2_T3_PNSL_ISQ_E10value_typeET4_jRbjT5_SW_jjP12ihipStream_tbEUlT_E2_NS1_11comp_targetILNS1_3genE5ELNS1_11target_archE942ELNS1_3gpuE9ELNS1_3repE0EEENS1_30default_config_static_selectorELNS0_4arch9wavefront6targetE1EEEvSK_ ; -- Begin function _ZN7rocprim17ROCPRIM_400000_NS6detail17trampoline_kernelINS0_14default_configENS1_36segmented_radix_sort_config_selectorIblEEZNS1_25segmented_radix_sort_implIS3_Lb0EPKbPbPKlPlN2at6native12_GLOBAL__N_18offset_tEEE10hipError_tPvRmT1_PNSt15iterator_traitsISK_E10value_typeET2_T3_PNSL_ISQ_E10value_typeET4_jRbjT5_SW_jjP12ihipStream_tbEUlT_E2_NS1_11comp_targetILNS1_3genE5ELNS1_11target_archE942ELNS1_3gpuE9ELNS1_3repE0EEENS1_30default_config_static_selectorELNS0_4arch9wavefront6targetE1EEEvSK_
	.p2align	8
	.type	_ZN7rocprim17ROCPRIM_400000_NS6detail17trampoline_kernelINS0_14default_configENS1_36segmented_radix_sort_config_selectorIblEEZNS1_25segmented_radix_sort_implIS3_Lb0EPKbPbPKlPlN2at6native12_GLOBAL__N_18offset_tEEE10hipError_tPvRmT1_PNSt15iterator_traitsISK_E10value_typeET2_T3_PNSL_ISQ_E10value_typeET4_jRbjT5_SW_jjP12ihipStream_tbEUlT_E2_NS1_11comp_targetILNS1_3genE5ELNS1_11target_archE942ELNS1_3gpuE9ELNS1_3repE0EEENS1_30default_config_static_selectorELNS0_4arch9wavefront6targetE1EEEvSK_,@function
_ZN7rocprim17ROCPRIM_400000_NS6detail17trampoline_kernelINS0_14default_configENS1_36segmented_radix_sort_config_selectorIblEEZNS1_25segmented_radix_sort_implIS3_Lb0EPKbPbPKlPlN2at6native12_GLOBAL__N_18offset_tEEE10hipError_tPvRmT1_PNSt15iterator_traitsISK_E10value_typeET2_T3_PNSL_ISQ_E10value_typeET4_jRbjT5_SW_jjP12ihipStream_tbEUlT_E2_NS1_11comp_targetILNS1_3genE5ELNS1_11target_archE942ELNS1_3gpuE9ELNS1_3repE0EEENS1_30default_config_static_selectorELNS0_4arch9wavefront6targetE1EEEvSK_: ; @_ZN7rocprim17ROCPRIM_400000_NS6detail17trampoline_kernelINS0_14default_configENS1_36segmented_radix_sort_config_selectorIblEEZNS1_25segmented_radix_sort_implIS3_Lb0EPKbPbPKlPlN2at6native12_GLOBAL__N_18offset_tEEE10hipError_tPvRmT1_PNSt15iterator_traitsISK_E10value_typeET2_T3_PNSL_ISQ_E10value_typeET4_jRbjT5_SW_jjP12ihipStream_tbEUlT_E2_NS1_11comp_targetILNS1_3genE5ELNS1_11target_archE942ELNS1_3gpuE9ELNS1_3repE0EEENS1_30default_config_static_selectorELNS0_4arch9wavefront6targetE1EEEvSK_
; %bb.0:
	.section	.rodata,"a",@progbits
	.p2align	6, 0x0
	.amdhsa_kernel _ZN7rocprim17ROCPRIM_400000_NS6detail17trampoline_kernelINS0_14default_configENS1_36segmented_radix_sort_config_selectorIblEEZNS1_25segmented_radix_sort_implIS3_Lb0EPKbPbPKlPlN2at6native12_GLOBAL__N_18offset_tEEE10hipError_tPvRmT1_PNSt15iterator_traitsISK_E10value_typeET2_T3_PNSL_ISQ_E10value_typeET4_jRbjT5_SW_jjP12ihipStream_tbEUlT_E2_NS1_11comp_targetILNS1_3genE5ELNS1_11target_archE942ELNS1_3gpuE9ELNS1_3repE0EEENS1_30default_config_static_selectorELNS0_4arch9wavefront6targetE1EEEvSK_
		.amdhsa_group_segment_fixed_size 0
		.amdhsa_private_segment_fixed_size 0
		.amdhsa_kernarg_size 80
		.amdhsa_user_sgpr_count 6
		.amdhsa_user_sgpr_private_segment_buffer 1
		.amdhsa_user_sgpr_dispatch_ptr 0
		.amdhsa_user_sgpr_queue_ptr 0
		.amdhsa_user_sgpr_kernarg_segment_ptr 1
		.amdhsa_user_sgpr_dispatch_id 0
		.amdhsa_user_sgpr_flat_scratch_init 0
		.amdhsa_user_sgpr_kernarg_preload_length 0
		.amdhsa_user_sgpr_kernarg_preload_offset 0
		.amdhsa_user_sgpr_private_segment_size 0
		.amdhsa_uses_dynamic_stack 0
		.amdhsa_system_sgpr_private_segment_wavefront_offset 0
		.amdhsa_system_sgpr_workgroup_id_x 1
		.amdhsa_system_sgpr_workgroup_id_y 0
		.amdhsa_system_sgpr_workgroup_id_z 0
		.amdhsa_system_sgpr_workgroup_info 0
		.amdhsa_system_vgpr_workitem_id 0
		.amdhsa_next_free_vgpr 1
		.amdhsa_next_free_sgpr 0
		.amdhsa_accum_offset 4
		.amdhsa_reserve_vcc 0
		.amdhsa_reserve_flat_scratch 0
		.amdhsa_float_round_mode_32 0
		.amdhsa_float_round_mode_16_64 0
		.amdhsa_float_denorm_mode_32 3
		.amdhsa_float_denorm_mode_16_64 3
		.amdhsa_dx10_clamp 1
		.amdhsa_ieee_mode 1
		.amdhsa_fp16_overflow 0
		.amdhsa_tg_split 0
		.amdhsa_exception_fp_ieee_invalid_op 0
		.amdhsa_exception_fp_denorm_src 0
		.amdhsa_exception_fp_ieee_div_zero 0
		.amdhsa_exception_fp_ieee_overflow 0
		.amdhsa_exception_fp_ieee_underflow 0
		.amdhsa_exception_fp_ieee_inexact 0
		.amdhsa_exception_int_div_zero 0
	.end_amdhsa_kernel
	.section	.text._ZN7rocprim17ROCPRIM_400000_NS6detail17trampoline_kernelINS0_14default_configENS1_36segmented_radix_sort_config_selectorIblEEZNS1_25segmented_radix_sort_implIS3_Lb0EPKbPbPKlPlN2at6native12_GLOBAL__N_18offset_tEEE10hipError_tPvRmT1_PNSt15iterator_traitsISK_E10value_typeET2_T3_PNSL_ISQ_E10value_typeET4_jRbjT5_SW_jjP12ihipStream_tbEUlT_E2_NS1_11comp_targetILNS1_3genE5ELNS1_11target_archE942ELNS1_3gpuE9ELNS1_3repE0EEENS1_30default_config_static_selectorELNS0_4arch9wavefront6targetE1EEEvSK_,"axG",@progbits,_ZN7rocprim17ROCPRIM_400000_NS6detail17trampoline_kernelINS0_14default_configENS1_36segmented_radix_sort_config_selectorIblEEZNS1_25segmented_radix_sort_implIS3_Lb0EPKbPbPKlPlN2at6native12_GLOBAL__N_18offset_tEEE10hipError_tPvRmT1_PNSt15iterator_traitsISK_E10value_typeET2_T3_PNSL_ISQ_E10value_typeET4_jRbjT5_SW_jjP12ihipStream_tbEUlT_E2_NS1_11comp_targetILNS1_3genE5ELNS1_11target_archE942ELNS1_3gpuE9ELNS1_3repE0EEENS1_30default_config_static_selectorELNS0_4arch9wavefront6targetE1EEEvSK_,comdat
.Lfunc_end1664:
	.size	_ZN7rocprim17ROCPRIM_400000_NS6detail17trampoline_kernelINS0_14default_configENS1_36segmented_radix_sort_config_selectorIblEEZNS1_25segmented_radix_sort_implIS3_Lb0EPKbPbPKlPlN2at6native12_GLOBAL__N_18offset_tEEE10hipError_tPvRmT1_PNSt15iterator_traitsISK_E10value_typeET2_T3_PNSL_ISQ_E10value_typeET4_jRbjT5_SW_jjP12ihipStream_tbEUlT_E2_NS1_11comp_targetILNS1_3genE5ELNS1_11target_archE942ELNS1_3gpuE9ELNS1_3repE0EEENS1_30default_config_static_selectorELNS0_4arch9wavefront6targetE1EEEvSK_, .Lfunc_end1664-_ZN7rocprim17ROCPRIM_400000_NS6detail17trampoline_kernelINS0_14default_configENS1_36segmented_radix_sort_config_selectorIblEEZNS1_25segmented_radix_sort_implIS3_Lb0EPKbPbPKlPlN2at6native12_GLOBAL__N_18offset_tEEE10hipError_tPvRmT1_PNSt15iterator_traitsISK_E10value_typeET2_T3_PNSL_ISQ_E10value_typeET4_jRbjT5_SW_jjP12ihipStream_tbEUlT_E2_NS1_11comp_targetILNS1_3genE5ELNS1_11target_archE942ELNS1_3gpuE9ELNS1_3repE0EEENS1_30default_config_static_selectorELNS0_4arch9wavefront6targetE1EEEvSK_
                                        ; -- End function
	.section	.AMDGPU.csdata,"",@progbits
; Kernel info:
; codeLenInByte = 0
; NumSgprs: 4
; NumVgprs: 0
; NumAgprs: 0
; TotalNumVgprs: 0
; ScratchSize: 0
; MemoryBound: 0
; FloatMode: 240
; IeeeMode: 1
; LDSByteSize: 0 bytes/workgroup (compile time only)
; SGPRBlocks: 0
; VGPRBlocks: 0
; NumSGPRsForWavesPerEU: 4
; NumVGPRsForWavesPerEU: 1
; AccumOffset: 4
; Occupancy: 8
; WaveLimiterHint : 0
; COMPUTE_PGM_RSRC2:SCRATCH_EN: 0
; COMPUTE_PGM_RSRC2:USER_SGPR: 6
; COMPUTE_PGM_RSRC2:TRAP_HANDLER: 0
; COMPUTE_PGM_RSRC2:TGID_X_EN: 1
; COMPUTE_PGM_RSRC2:TGID_Y_EN: 0
; COMPUTE_PGM_RSRC2:TGID_Z_EN: 0
; COMPUTE_PGM_RSRC2:TIDIG_COMP_CNT: 0
; COMPUTE_PGM_RSRC3_GFX90A:ACCUM_OFFSET: 0
; COMPUTE_PGM_RSRC3_GFX90A:TG_SPLIT: 0
	.section	.text._ZN7rocprim17ROCPRIM_400000_NS6detail17trampoline_kernelINS0_14default_configENS1_36segmented_radix_sort_config_selectorIblEEZNS1_25segmented_radix_sort_implIS3_Lb0EPKbPbPKlPlN2at6native12_GLOBAL__N_18offset_tEEE10hipError_tPvRmT1_PNSt15iterator_traitsISK_E10value_typeET2_T3_PNSL_ISQ_E10value_typeET4_jRbjT5_SW_jjP12ihipStream_tbEUlT_E2_NS1_11comp_targetILNS1_3genE4ELNS1_11target_archE910ELNS1_3gpuE8ELNS1_3repE0EEENS1_30default_config_static_selectorELNS0_4arch9wavefront6targetE1EEEvSK_,"axG",@progbits,_ZN7rocprim17ROCPRIM_400000_NS6detail17trampoline_kernelINS0_14default_configENS1_36segmented_radix_sort_config_selectorIblEEZNS1_25segmented_radix_sort_implIS3_Lb0EPKbPbPKlPlN2at6native12_GLOBAL__N_18offset_tEEE10hipError_tPvRmT1_PNSt15iterator_traitsISK_E10value_typeET2_T3_PNSL_ISQ_E10value_typeET4_jRbjT5_SW_jjP12ihipStream_tbEUlT_E2_NS1_11comp_targetILNS1_3genE4ELNS1_11target_archE910ELNS1_3gpuE8ELNS1_3repE0EEENS1_30default_config_static_selectorELNS0_4arch9wavefront6targetE1EEEvSK_,comdat
	.globl	_ZN7rocprim17ROCPRIM_400000_NS6detail17trampoline_kernelINS0_14default_configENS1_36segmented_radix_sort_config_selectorIblEEZNS1_25segmented_radix_sort_implIS3_Lb0EPKbPbPKlPlN2at6native12_GLOBAL__N_18offset_tEEE10hipError_tPvRmT1_PNSt15iterator_traitsISK_E10value_typeET2_T3_PNSL_ISQ_E10value_typeET4_jRbjT5_SW_jjP12ihipStream_tbEUlT_E2_NS1_11comp_targetILNS1_3genE4ELNS1_11target_archE910ELNS1_3gpuE8ELNS1_3repE0EEENS1_30default_config_static_selectorELNS0_4arch9wavefront6targetE1EEEvSK_ ; -- Begin function _ZN7rocprim17ROCPRIM_400000_NS6detail17trampoline_kernelINS0_14default_configENS1_36segmented_radix_sort_config_selectorIblEEZNS1_25segmented_radix_sort_implIS3_Lb0EPKbPbPKlPlN2at6native12_GLOBAL__N_18offset_tEEE10hipError_tPvRmT1_PNSt15iterator_traitsISK_E10value_typeET2_T3_PNSL_ISQ_E10value_typeET4_jRbjT5_SW_jjP12ihipStream_tbEUlT_E2_NS1_11comp_targetILNS1_3genE4ELNS1_11target_archE910ELNS1_3gpuE8ELNS1_3repE0EEENS1_30default_config_static_selectorELNS0_4arch9wavefront6targetE1EEEvSK_
	.p2align	8
	.type	_ZN7rocprim17ROCPRIM_400000_NS6detail17trampoline_kernelINS0_14default_configENS1_36segmented_radix_sort_config_selectorIblEEZNS1_25segmented_radix_sort_implIS3_Lb0EPKbPbPKlPlN2at6native12_GLOBAL__N_18offset_tEEE10hipError_tPvRmT1_PNSt15iterator_traitsISK_E10value_typeET2_T3_PNSL_ISQ_E10value_typeET4_jRbjT5_SW_jjP12ihipStream_tbEUlT_E2_NS1_11comp_targetILNS1_3genE4ELNS1_11target_archE910ELNS1_3gpuE8ELNS1_3repE0EEENS1_30default_config_static_selectorELNS0_4arch9wavefront6targetE1EEEvSK_,@function
_ZN7rocprim17ROCPRIM_400000_NS6detail17trampoline_kernelINS0_14default_configENS1_36segmented_radix_sort_config_selectorIblEEZNS1_25segmented_radix_sort_implIS3_Lb0EPKbPbPKlPlN2at6native12_GLOBAL__N_18offset_tEEE10hipError_tPvRmT1_PNSt15iterator_traitsISK_E10value_typeET2_T3_PNSL_ISQ_E10value_typeET4_jRbjT5_SW_jjP12ihipStream_tbEUlT_E2_NS1_11comp_targetILNS1_3genE4ELNS1_11target_archE910ELNS1_3gpuE8ELNS1_3repE0EEENS1_30default_config_static_selectorELNS0_4arch9wavefront6targetE1EEEvSK_: ; @_ZN7rocprim17ROCPRIM_400000_NS6detail17trampoline_kernelINS0_14default_configENS1_36segmented_radix_sort_config_selectorIblEEZNS1_25segmented_radix_sort_implIS3_Lb0EPKbPbPKlPlN2at6native12_GLOBAL__N_18offset_tEEE10hipError_tPvRmT1_PNSt15iterator_traitsISK_E10value_typeET2_T3_PNSL_ISQ_E10value_typeET4_jRbjT5_SW_jjP12ihipStream_tbEUlT_E2_NS1_11comp_targetILNS1_3genE4ELNS1_11target_archE910ELNS1_3gpuE8ELNS1_3repE0EEENS1_30default_config_static_selectorELNS0_4arch9wavefront6targetE1EEEvSK_
; %bb.0:
	s_add_u32 flat_scratch_lo, s6, s10
	s_addc_u32 flat_scratch_hi, s7, 0
	s_add_u32 s0, s0, s10
	s_mov_b32 s33, s9
	s_mov_b32 s50, s8
	s_load_dwordx4 s[8:11], s[4:5], 0x34
	s_addc_u32 s1, s1, 0
	s_mov_b32 s32, 0
	s_waitcnt lgkmcnt(0)
	s_add_i32 s51, s9, s50
	s_add_i32 s76, s11, s50
	s_mul_i32 s51, s51, s8
	s_mul_i32 s76, s76, s10
	s_cmp_le_u32 s76, s51
	s_cbranch_scc1 .LBB1665_686
; %bb.1:
	s_load_dword s6, s[4:5], 0x30
	s_load_dwordx4 s[64:67], s[4:5], 0x20
	s_load_dwordx4 s[68:71], s[4:5], 0x44
	s_load_dwordx8 s[56:63], s[4:5], 0x0
	s_waitcnt lgkmcnt(0)
	s_bitcmp1_b32 s6, 0
	s_cselect_b64 s[54:55], -1, 0
	s_sub_i32 s71, s76, s51
	s_cmpk_lt_u32 s71, 0x801
	s_mov_b64 s[6:7], -1
	s_cbranch_scc0 .LBB1665_15
; %bb.2:
	s_cmp_lt_u32 s71, 33
	s_cbranch_scc0 .LBB1665_9
; %bb.3:
	s_load_dword s6, s[4:5], 0x5c
	v_bfe_u32 v1, v0, 10, 10
	v_bfe_u32 v3, v0, 20, 10
	v_and_b32_e32 v2, 0x3ff, v0
	s_waitcnt lgkmcnt(0)
	s_lshr_b32 s7, s6, 16
	s_and_b32 s6, s6, 0xffff
	v_mad_u32_u24 v1, v3, s7, v1
	v_mad_u64_u32 v[2:3], s[6:7], v1, s6, v[2:3]
	v_cmp_gt_u32_e32 vcc, 8, v2
	s_and_saveexec_b64 s[34:35], vcc
	s_cbranch_execz .LBB1665_8
; %bb.4:
	s_and_b32 s6, s68, 1
	v_cndmask_b32_e64 v1, 0, 1, s[54:55]
	v_cmp_ne_u32_e32 vcc, s6, v1
	s_mov_b64 s[6:7], -1
	s_cbranch_vccnz .LBB1665_6
; %bb.5:
	s_add_u32 s8, s4, 0x50
	s_mov_b64 s[6:7], src_shared_base
	s_addc_u32 s9, s5, 0
	s_mov_b32 s12, s50
	s_mov_b32 s13, s33
	v_mov_b32_e32 v31, v0
	v_mov_b32_e32 v40, v0
	;; [unrolled: 1-line block ×16, first 2 shown]
	s_getpc_b64 s[10:11]
	s_add_u32 s10, s10, _ZN7rocprim17ROCPRIM_400000_NS6detail26segmented_warp_sort_helperINS1_20WarpSortHelperConfigILj8ELj4ELj256EEEblLi256ELb0EvE4sortIPKbPbPKlPlEEvT_T0_T1_T2_jjjjRNS5_12storage_typeE@rel32@lo+4
	s_addc_u32 s11, s11, _ZN7rocprim17ROCPRIM_400000_NS6detail26segmented_warp_sort_helperINS1_20WarpSortHelperConfigILj8ELj4ELj256EEEblLi256ELb0EvE4sortIPKbPbPKlPlEEvT_T0_T1_T2_jjjjRNS5_12storage_typeE@rel32@hi+12
	s_mov_b64 s[36:37], s[4:5]
	s_swappc_b64 s[30:31], s[10:11]
	v_mov_b32_e32 v0, v40
	s_mov_b64 s[4:5], s[36:37]
	s_mov_b64 s[6:7], 0
.LBB1665_6:
	s_andn2_b64 vcc, exec, s[6:7]
	s_cbranch_vccnz .LBB1665_8
; %bb.7:
	s_add_u32 s8, s4, 0x50
	s_mov_b64 s[6:7], src_shared_base
	s_addc_u32 s9, s5, 0
	s_mov_b32 s12, s50
	s_mov_b32 s13, s33
	v_mov_b32_e32 v31, v0
	v_mov_b32_e32 v40, v0
	;; [unrolled: 1-line block ×16, first 2 shown]
	s_getpc_b64 s[10:11]
	s_add_u32 s10, s10, _ZN7rocprim17ROCPRIM_400000_NS6detail26segmented_warp_sort_helperINS1_20WarpSortHelperConfigILj8ELj4ELj256EEEblLi256ELb0EvE4sortIPKbPbPKlPlEEvT_T0_T1_T2_jjjjRNS5_12storage_typeE@rel32@lo+4
	s_addc_u32 s11, s11, _ZN7rocprim17ROCPRIM_400000_NS6detail26segmented_warp_sort_helperINS1_20WarpSortHelperConfigILj8ELj4ELj256EEEblLi256ELb0EvE4sortIPKbPbPKlPlEEvT_T0_T1_T2_jjjjRNS5_12storage_typeE@rel32@hi+12
	s_mov_b64 s[36:37], s[4:5]
	s_swappc_b64 s[30:31], s[10:11]
	v_mov_b32_e32 v0, v40
	s_mov_b64 s[4:5], s[36:37]
.LBB1665_8:
	s_or_b64 exec, exec, s[34:35]
	s_mov_b64 s[6:7], 0
.LBB1665_9:
	s_andn2_b64 vcc, exec, s[6:7]
	s_cbranch_vccnz .LBB1665_14
; %bb.10:
	s_and_b32 s6, s68, 1
	v_cndmask_b32_e64 v1, 0, 1, s[54:55]
	v_cmp_ne_u32_e32 vcc, s6, v1
	s_mov_b64 s[6:7], -1
	s_cbranch_vccnz .LBB1665_12
; %bb.11:
	s_add_u32 s8, s4, 0x50
	s_mov_b64 s[6:7], src_shared_base
	s_addc_u32 s9, s5, 0
	s_mov_b32 s12, s50
	s_mov_b32 s13, s33
	v_mov_b32_e32 v31, v0
	v_mov_b32_e32 v41, v0
	;; [unrolled: 1-line block ×16, first 2 shown]
	s_getpc_b64 s[10:11]
	s_add_u32 s10, s10, _ZN7rocprim17ROCPRIM_400000_NS6detail40segmented_radix_sort_single_block_helperIblLj256ELj8ELb0EE4sortIPKbPbPKlPlEEbT_T0_T1_T2_jjjjRNS3_12storage_typeE@rel32@lo+4
	s_addc_u32 s11, s11, _ZN7rocprim17ROCPRIM_400000_NS6detail40segmented_radix_sort_single_block_helperIblLj256ELj8ELb0EE4sortIPKbPbPKlPlEEbT_T0_T1_T2_jjjjRNS3_12storage_typeE@rel32@hi+12
	s_mov_b64 s[48:49], s[4:5]
	s_swappc_b64 s[30:31], s[10:11]
	v_mov_b32_e32 v0, v41
	s_mov_b64 s[4:5], s[48:49]
	s_mov_b64 s[6:7], 0
.LBB1665_12:
	s_andn2_b64 vcc, exec, s[6:7]
	s_cbranch_vccnz .LBB1665_14
; %bb.13:
	s_add_u32 s8, s4, 0x50
	s_mov_b64 s[6:7], src_shared_base
	s_addc_u32 s9, s5, 0
	s_mov_b32 s12, s50
	s_mov_b32 s13, s33
	v_mov_b32_e32 v31, v0
	v_mov_b32_e32 v41, v0
	;; [unrolled: 1-line block ×16, first 2 shown]
	s_getpc_b64 s[10:11]
	s_add_u32 s10, s10, _ZN7rocprim17ROCPRIM_400000_NS6detail40segmented_radix_sort_single_block_helperIblLj256ELj8ELb0EE4sortIPKbPbPKlPlEEbT_T0_T1_T2_jjjjRNS3_12storage_typeE@rel32@lo+4
	s_addc_u32 s11, s11, _ZN7rocprim17ROCPRIM_400000_NS6detail40segmented_radix_sort_single_block_helperIblLj256ELj8ELb0EE4sortIPKbPbPKlPlEEbT_T0_T1_T2_jjjjRNS3_12storage_typeE@rel32@hi+12
	s_mov_b64 s[48:49], s[4:5]
	s_swappc_b64 s[30:31], s[10:11]
	v_mov_b32_e32 v0, v41
	s_mov_b64 s[4:5], s[48:49]
.LBB1665_14:
	s_mov_b64 s[6:7], 0
.LBB1665_15:
	s_andn2_b64 vcc, exec, s[6:7]
	s_cbranch_vccnz .LBB1665_686
; %bb.16:
	s_cmp_ge_u32 s69, s70
	s_cbranch_scc1 .LBB1665_686
; %bb.17:
	v_and_b32_e32 v2, 0x3ff, v0
	v_mov_b32_e32 v4, s61
	v_add_co_u32_e32 v28, vcc, s60, v2
	s_movk_i32 s6, 0x100
	v_addc_co_u32_e32 v29, vcc, 0, v4, vcc
	v_or_b32_e32 v4, 63, v2
	s_mov_b64 s[12:13], s[4:5]
	v_cmp_gt_u32_e64 s[4:5], s6, v2
	v_cmp_eq_u32_e64 s[6:7], v4, v2
	v_lshrrev_b32_e32 v4, 4, v2
	v_and_b32_e32 v35, 12, v4
	v_lshlrev_b32_e32 v4, 3, v2
	v_bfe_u32 v40, v0, 20, 10
	v_bfe_u32 v41, v0, 10, 10
	v_mul_u32_u24_e32 v0, 5, v2
	v_mov_b32_e32 v43, 0x410
	v_and_b32_e32 v39, 0x600, v4
	v_lshl_add_u32 v44, v0, 2, v43
	v_lshlrev_b32_e32 v0, 4, v2
	v_sub_u32_e32 v45, 0, v0
	v_lshlrev_b32_e32 v0, 3, v39
	v_mov_b32_e32 v4, s67
	v_add_co_u32_e32 v46, vcc, s66, v0
	v_addc_co_u32_e32 v47, vcc, 0, v4, vcc
	v_mov_b32_e32 v4, s61
	v_add_co_u32_e32 v48, vcc, s60, v39
	v_addc_co_u32_e32 v49, vcc, 0, v4, vcc
	v_mov_b32_e32 v4, s59
	v_add_co_u32_e32 v51, vcc, s58, v2
	v_addc_co_u32_e32 v52, vcc, 0, v4, vcc
	v_mov_b32_e32 v4, s65
	v_add_co_u32_e32 v53, vcc, s64, v0
	v_addc_co_u32_e32 v54, vcc, 0, v4, vcc
	v_mov_b32_e32 v4, s59
	v_add_co_u32_e32 v55, vcc, s58, v39
	v_addc_co_u32_e32 v56, vcc, 0, v4, vcc
	v_mov_b32_e32 v4, s57
	v_add_co_u32_e32 v57, vcc, s56, v2
	v_addc_co_u32_e32 v58, vcc, 0, v4, vcc
	v_mov_b32_e32 v4, s63
	v_add_co_u32_e32 v59, vcc, s62, v0
	v_addc_co_u32_e32 v60, vcc, 0, v4, vcc
	v_lshlrev_b32_e32 v3, 2, v2
	v_mov_b32_e32 v0, s57
	v_add_co_u32_e32 v61, vcc, s56, v39
	v_mad_u32_u24 v34, v2, 12, v3
	s_add_u32 s74, s12, 0x50
	s_movk_i32 s14, 0xff
	v_addc_co_u32_e32 v62, vcc, 0, v0, vcc
	v_mbcnt_lo_u32_b32 v0, -1, 0
	s_mov_b32 s73, 0
	v_mov_b32_e32 v1, 0
	v_or_b32_e32 v24, 0x100, v2
	v_or_b32_e32 v25, 0x200, v2
	;; [unrolled: 1-line block ×3, first 2 shown]
	v_and_b32_e32 v27, 3, v2
	v_or_b32_e32 v30, 0x400, v2
	v_or_b32_e32 v31, 0x500, v2
	v_or_b32_e32 v32, 0x600, v2
	v_or_b32_e32 v33, 0x700, v2
	v_or_b32_e32 v36, 0x4400, v35
	v_cmp_gt_u32_e64 s[8:9], 4, v2
	v_add_u32_e32 v37, 0x4400, v3
	v_cmp_lt_u32_e64 s[10:11], 63, v2
	v_add_u32_e32 v38, 0x43fc, v35
	s_addc_u32 s75, s13, 0
	v_add_u32_e32 v42, v34, v3
	v_cmp_eq_u32_e64 s[12:13], 0, v2
	v_cmp_ne_u32_e64 s[14:15], s14, v2
	v_mul_u32_u24_e32 v50, 7, v2
	v_mov_b32_e32 v63, 1
	v_mbcnt_hi_u32_b32 v64, -1, v0
	s_mov_b32 s68, s69
	s_branch .LBB1665_20
.LBB1665_18:                            ;   in Loop: Header=BB1665_20 Depth=1
	s_waitcnt lgkmcnt(0)
	s_barrier
.LBB1665_19:                            ;   in Loop: Header=BB1665_20 Depth=1
	s_add_i32 s68, s68, 8
	s_cmp_ge_u32 s68, s70
	s_cbranch_scc1 .LBB1665_686
.LBB1665_20:                            ; =>This Loop Header: Depth=1
                                        ;     Child Loop BB1665_24 Depth 2
                                        ;     Child Loop BB1665_74 Depth 2
	;; [unrolled: 1-line block ×8, first 2 shown]
	s_sub_i32 s16, s70, s68
	s_min_u32 s16, s16, 8
	s_lshl_b32 s16, -1, s16
	s_xor_b64 s[54:55], s[54:55], -1
	s_not_b32 s77, s16
	s_cmp_lg_u32 s68, s69
	s_mov_b64 s[16:17], -1
	ds_write2st64_b32 v3, v1, v1 offset1:4
	ds_write2st64_b32 v3, v1, v1 offset0:8 offset1:12
	s_waitcnt lgkmcnt(0)
	s_cbranch_scc0 .LBB1665_354
; %bb.21:                               ;   in Loop: Header=BB1665_20 Depth=1
	s_and_b64 vcc, exec, s[54:55]
	s_cbranch_vccz .LBB1665_187
; %bb.22:                               ;   in Loop: Header=BB1665_20 Depth=1
	s_mov_b32 s20, s71
	s_mov_b32 s22, s51
	s_barrier
	s_waitcnt lgkmcnt(0)
                                        ; implicit-def: $vgpr0
                                        ; implicit-def: $vgpr6
                                        ; implicit-def: $vgpr7
                                        ; implicit-def: $vgpr8
                                        ; implicit-def: $vgpr9
                                        ; implicit-def: $vgpr10
                                        ; implicit-def: $vgpr11
                                        ; implicit-def: $vgpr12
	s_branch .LBB1665_24
.LBB1665_23:                            ;   in Loop: Header=BB1665_24 Depth=2
	s_or_b64 exec, exec, s[16:17]
	s_addk_i32 s20, 0xf800
	s_cmp_ge_u32 s21, s76
	s_mov_b32 s22, s21
	s_cbranch_scc1 .LBB1665_62
.LBB1665_24:                            ;   Parent Loop BB1665_20 Depth=1
                                        ; =>  This Inner Loop Header: Depth=2
	s_add_i32 s21, s22, 0x800
	s_cmp_gt_u32 s21, s76
	s_cbranch_scc1 .LBB1665_27
; %bb.25:                               ;   in Loop: Header=BB1665_24 Depth=2
	v_add_co_u32_e32 v4, vcc, s22, v28
	v_addc_co_u32_e32 v5, vcc, 0, v29, vcc
	global_load_ubyte v20, v[4:5], off offset:1536
	global_load_ubyte v19, v[4:5], off offset:1280
	;; [unrolled: 1-line block ×6, first 2 shown]
	global_load_ubyte v14, v[4:5], off
	v_add_co_u32_e32 v4, vcc, 0x700, v4
	v_addc_co_u32_e32 v5, vcc, 0, v5, vcc
	s_mov_b64 s[16:17], -1
	s_movk_i32 s25, 0x800
	s_cbranch_execz .LBB1665_28
; %bb.26:                               ;   in Loop: Header=BB1665_24 Depth=2
                                        ; implicit-def: $vgpr0
                                        ; implicit-def: $vgpr6
                                        ; implicit-def: $vgpr7
                                        ; implicit-def: $vgpr8
                                        ; implicit-def: $vgpr9
                                        ; implicit-def: $vgpr10
                                        ; implicit-def: $vgpr11
                                        ; implicit-def: $vgpr12
	v_mov_b32_e32 v13, s20
	s_and_saveexec_b64 s[18:19], s[16:17]
	s_cbranch_execnz .LBB1665_39
	s_branch .LBB1665_40
.LBB1665_27:                            ;   in Loop: Header=BB1665_24 Depth=2
	s_mov_b64 s[16:17], 0
                                        ; implicit-def: $sgpr25
                                        ; implicit-def: $vgpr14
                                        ; implicit-def: $vgpr15
                                        ; implicit-def: $vgpr16
                                        ; implicit-def: $vgpr17
                                        ; implicit-def: $vgpr18
                                        ; implicit-def: $vgpr19
                                        ; implicit-def: $vgpr20
                                        ; implicit-def: $vgpr4_vgpr5
.LBB1665_28:                            ;   in Loop: Header=BB1665_24 Depth=2
	s_add_u32 s23, s60, s22
	s_addc_u32 s24, s61, 0
	v_cmp_gt_u32_e32 vcc, s20, v2
	s_and_saveexec_b64 s[18:19], vcc
	s_cbranch_execz .LBB1665_56
; %bb.29:                               ;   in Loop: Header=BB1665_24 Depth=2
	v_mov_b32_e32 v0, s24
	v_add_co_u32_e32 v4, vcc, s23, v2
	v_addc_co_u32_e32 v5, vcc, 0, v0, vcc
	global_load_ubyte v0, v[4:5], off
	s_or_b64 exec, exec, s[18:19]
	v_cmp_gt_u32_e32 vcc, s20, v24
	s_and_saveexec_b64 s[18:19], vcc
	s_cbranch_execnz .LBB1665_57
.LBB1665_30:                            ;   in Loop: Header=BB1665_24 Depth=2
	s_or_b64 exec, exec, s[18:19]
	v_cmp_gt_u32_e32 vcc, s20, v25
	s_and_saveexec_b64 s[18:19], vcc
	s_cbranch_execz .LBB1665_58
.LBB1665_31:                            ;   in Loop: Header=BB1665_24 Depth=2
	v_mov_b32_e32 v5, s24
	v_add_co_u32_e32 v4, vcc, s23, v2
	v_addc_co_u32_e32 v5, vcc, 0, v5, vcc
	global_load_ubyte v7, v[4:5], off offset:512
	s_or_b64 exec, exec, s[18:19]
	v_cmp_gt_u32_e32 vcc, s20, v26
	s_and_saveexec_b64 s[18:19], vcc
	s_cbranch_execnz .LBB1665_59
.LBB1665_32:                            ;   in Loop: Header=BB1665_24 Depth=2
	s_or_b64 exec, exec, s[18:19]
	v_cmp_gt_u32_e32 vcc, s20, v30
	s_and_saveexec_b64 s[18:19], vcc
	s_cbranch_execz .LBB1665_60
.LBB1665_33:                            ;   in Loop: Header=BB1665_24 Depth=2
	v_mov_b32_e32 v5, s24
	v_add_co_u32_e32 v4, vcc, s23, v2
	v_addc_co_u32_e32 v5, vcc, 0, v5, vcc
	global_load_ubyte v9, v[4:5], off offset:1024
	s_or_b64 exec, exec, s[18:19]
	v_cmp_gt_u32_e32 vcc, s20, v31
	s_and_saveexec_b64 s[18:19], vcc
	s_cbranch_execnz .LBB1665_61
.LBB1665_34:                            ;   in Loop: Header=BB1665_24 Depth=2
	s_or_b64 exec, exec, s[18:19]
	v_cmp_gt_u32_e32 vcc, s20, v32
	s_and_saveexec_b64 s[18:19], vcc
	s_cbranch_execz .LBB1665_36
.LBB1665_35:                            ;   in Loop: Header=BB1665_24 Depth=2
	v_mov_b32_e32 v5, s24
	v_add_co_u32_e32 v4, vcc, s23, v2
	v_addc_co_u32_e32 v5, vcc, 0, v5, vcc
	global_load_ubyte v11, v[4:5], off offset:1536
.LBB1665_36:                            ;   in Loop: Header=BB1665_24 Depth=2
	s_or_b64 exec, exec, s[18:19]
	v_cmp_gt_u32_e32 vcc, s20, v33
                                        ; implicit-def: $sgpr25
                                        ; implicit-def: $vgpr4_vgpr5
	s_and_saveexec_b64 s[18:19], vcc
	s_cbranch_execz .LBB1665_38
; %bb.37:                               ;   in Loop: Header=BB1665_24 Depth=2
	v_mov_b32_e32 v4, s24
	v_add_co_u32_e32 v5, vcc, s23, v2
	s_waitcnt vmcnt(0)
	v_addc_co_u32_e32 v12, vcc, 0, v4, vcc
	v_add_co_u32_e32 v4, vcc, 0x700, v5
	s_sub_i32 s25, s76, s22
	v_addc_co_u32_e32 v5, vcc, 0, v12, vcc
	s_or_b64 s[16:17], s[16:17], exec
                                        ; implicit-def: $vgpr12
.LBB1665_38:                            ;   in Loop: Header=BB1665_24 Depth=2
	s_or_b64 exec, exec, s[18:19]
	s_waitcnt vmcnt(0)
	v_mov_b32_e32 v14, v0
	v_mov_b32_e32 v15, v6
	;; [unrolled: 1-line block ×8, first 2 shown]
	s_and_saveexec_b64 s[18:19], s[16:17]
	s_cbranch_execz .LBB1665_40
.LBB1665_39:                            ;   in Loop: Header=BB1665_24 Depth=2
	global_load_ubyte v12, v[4:5], off
	v_mov_b32_e32 v13, s25
	s_waitcnt vmcnt(1)
	v_mov_b32_e32 v0, v14
	v_mov_b32_e32 v6, v15
	;; [unrolled: 1-line block ×7, first 2 shown]
.LBB1665_40:                            ;   in Loop: Header=BB1665_24 Depth=2
	s_or_b64 exec, exec, s[18:19]
	v_cmp_lt_u32_e32 vcc, v2, v13
	s_and_saveexec_b64 s[16:17], vcc
	s_cbranch_execz .LBB1665_48
; %bb.41:                               ;   in Loop: Header=BB1665_24 Depth=2
	v_and_b32_e32 v4, 1, v0
	v_lshrrev_b32_e32 v4, s68, v4
	v_and_b32_e32 v4, s77, v4
	v_lshlrev_b32_e32 v5, 2, v27
	v_lshl_or_b32 v4, v4, 4, v5
	ds_add_u32 v4, v63
	s_or_b64 exec, exec, s[16:17]
	v_cmp_lt_u32_e32 vcc, v24, v13
	s_and_saveexec_b64 s[16:17], vcc
	s_cbranch_execnz .LBB1665_49
.LBB1665_42:                            ;   in Loop: Header=BB1665_24 Depth=2
	s_or_b64 exec, exec, s[16:17]
	v_cmp_lt_u32_e32 vcc, v25, v13
	s_and_saveexec_b64 s[16:17], vcc
	s_cbranch_execz .LBB1665_50
.LBB1665_43:                            ;   in Loop: Header=BB1665_24 Depth=2
	v_and_b32_e32 v4, 1, v7
	v_lshrrev_b32_e32 v4, s68, v4
	v_and_b32_e32 v4, s77, v4
	v_lshlrev_b32_e32 v5, 2, v27
	v_lshl_or_b32 v4, v4, 4, v5
	ds_add_u32 v4, v63
	s_or_b64 exec, exec, s[16:17]
	v_cmp_lt_u32_e32 vcc, v26, v13
	s_and_saveexec_b64 s[16:17], vcc
	s_cbranch_execnz .LBB1665_51
.LBB1665_44:                            ;   in Loop: Header=BB1665_24 Depth=2
	s_or_b64 exec, exec, s[16:17]
	v_cmp_lt_u32_e32 vcc, v30, v13
	s_and_saveexec_b64 s[16:17], vcc
	s_cbranch_execz .LBB1665_52
.LBB1665_45:                            ;   in Loop: Header=BB1665_24 Depth=2
	v_and_b32_e32 v4, 1, v9
	v_lshrrev_b32_e32 v4, s68, v4
	v_and_b32_e32 v4, s77, v4
	v_lshlrev_b32_e32 v5, 2, v27
	v_lshl_or_b32 v4, v4, 4, v5
	ds_add_u32 v4, v63
	s_or_b64 exec, exec, s[16:17]
	v_cmp_lt_u32_e32 vcc, v31, v13
	s_and_saveexec_b64 s[16:17], vcc
	s_cbranch_execnz .LBB1665_53
.LBB1665_46:                            ;   in Loop: Header=BB1665_24 Depth=2
	s_or_b64 exec, exec, s[16:17]
	v_cmp_lt_u32_e32 vcc, v32, v13
	s_and_saveexec_b64 s[16:17], vcc
	s_cbranch_execz .LBB1665_54
.LBB1665_47:                            ;   in Loop: Header=BB1665_24 Depth=2
	v_and_b32_e32 v4, 1, v11
	v_lshrrev_b32_e32 v4, s68, v4
	v_and_b32_e32 v4, s77, v4
	v_lshlrev_b32_e32 v5, 2, v27
	v_lshl_or_b32 v4, v4, 4, v5
	ds_add_u32 v4, v63
	s_or_b64 exec, exec, s[16:17]
	v_cmp_lt_u32_e32 vcc, v33, v13
	s_and_saveexec_b64 s[16:17], vcc
	s_cbranch_execz .LBB1665_23
	s_branch .LBB1665_55
.LBB1665_48:                            ;   in Loop: Header=BB1665_24 Depth=2
	s_or_b64 exec, exec, s[16:17]
	v_cmp_lt_u32_e32 vcc, v24, v13
	s_and_saveexec_b64 s[16:17], vcc
	s_cbranch_execz .LBB1665_42
.LBB1665_49:                            ;   in Loop: Header=BB1665_24 Depth=2
	v_and_b32_e32 v4, 1, v6
	v_lshrrev_b32_e32 v4, s68, v4
	v_and_b32_e32 v4, s77, v4
	v_lshlrev_b32_e32 v5, 2, v27
	v_lshl_or_b32 v4, v4, 4, v5
	ds_add_u32 v4, v63
	s_or_b64 exec, exec, s[16:17]
	v_cmp_lt_u32_e32 vcc, v25, v13
	s_and_saveexec_b64 s[16:17], vcc
	s_cbranch_execnz .LBB1665_43
.LBB1665_50:                            ;   in Loop: Header=BB1665_24 Depth=2
	s_or_b64 exec, exec, s[16:17]
	v_cmp_lt_u32_e32 vcc, v26, v13
	s_and_saveexec_b64 s[16:17], vcc
	s_cbranch_execz .LBB1665_44
.LBB1665_51:                            ;   in Loop: Header=BB1665_24 Depth=2
	v_and_b32_e32 v4, 1, v8
	v_lshrrev_b32_e32 v4, s68, v4
	v_and_b32_e32 v4, s77, v4
	v_lshlrev_b32_e32 v5, 2, v27
	v_lshl_or_b32 v4, v4, 4, v5
	ds_add_u32 v4, v63
	s_or_b64 exec, exec, s[16:17]
	v_cmp_lt_u32_e32 vcc, v30, v13
	s_and_saveexec_b64 s[16:17], vcc
	s_cbranch_execnz .LBB1665_45
.LBB1665_52:                            ;   in Loop: Header=BB1665_24 Depth=2
	s_or_b64 exec, exec, s[16:17]
	v_cmp_lt_u32_e32 vcc, v31, v13
	s_and_saveexec_b64 s[16:17], vcc
	s_cbranch_execz .LBB1665_46
.LBB1665_53:                            ;   in Loop: Header=BB1665_24 Depth=2
	v_and_b32_e32 v4, 1, v10
	v_lshrrev_b32_e32 v4, s68, v4
	v_and_b32_e32 v4, s77, v4
	v_lshlrev_b32_e32 v5, 2, v27
	v_lshl_or_b32 v4, v4, 4, v5
	ds_add_u32 v4, v63
	s_or_b64 exec, exec, s[16:17]
	v_cmp_lt_u32_e32 vcc, v32, v13
	s_and_saveexec_b64 s[16:17], vcc
	s_cbranch_execnz .LBB1665_47
.LBB1665_54:                            ;   in Loop: Header=BB1665_24 Depth=2
	s_or_b64 exec, exec, s[16:17]
	v_cmp_lt_u32_e32 vcc, v33, v13
	s_and_saveexec_b64 s[16:17], vcc
	s_cbranch_execz .LBB1665_23
.LBB1665_55:                            ;   in Loop: Header=BB1665_24 Depth=2
	s_waitcnt vmcnt(0)
	v_and_b32_e32 v4, 1, v12
	v_lshrrev_b32_e32 v4, s68, v4
	v_and_b32_e32 v4, s77, v4
	v_lshlrev_b32_e32 v5, 2, v27
	v_lshl_or_b32 v4, v4, 4, v5
	ds_add_u32 v4, v63
	s_branch .LBB1665_23
.LBB1665_56:                            ;   in Loop: Header=BB1665_24 Depth=2
	s_or_b64 exec, exec, s[18:19]
	v_cmp_gt_u32_e32 vcc, s20, v24
	s_and_saveexec_b64 s[18:19], vcc
	s_cbranch_execz .LBB1665_30
.LBB1665_57:                            ;   in Loop: Header=BB1665_24 Depth=2
	v_mov_b32_e32 v5, s24
	v_add_co_u32_e32 v4, vcc, s23, v2
	v_addc_co_u32_e32 v5, vcc, 0, v5, vcc
	global_load_ubyte v6, v[4:5], off offset:256
	s_or_b64 exec, exec, s[18:19]
	v_cmp_gt_u32_e32 vcc, s20, v25
	s_and_saveexec_b64 s[18:19], vcc
	s_cbranch_execnz .LBB1665_31
.LBB1665_58:                            ;   in Loop: Header=BB1665_24 Depth=2
	s_or_b64 exec, exec, s[18:19]
	v_cmp_gt_u32_e32 vcc, s20, v26
	s_and_saveexec_b64 s[18:19], vcc
	s_cbranch_execz .LBB1665_32
.LBB1665_59:                            ;   in Loop: Header=BB1665_24 Depth=2
	v_mov_b32_e32 v5, s24
	v_add_co_u32_e32 v4, vcc, s23, v2
	v_addc_co_u32_e32 v5, vcc, 0, v5, vcc
	global_load_ubyte v8, v[4:5], off offset:768
	s_or_b64 exec, exec, s[18:19]
	v_cmp_gt_u32_e32 vcc, s20, v30
	s_and_saveexec_b64 s[18:19], vcc
	s_cbranch_execnz .LBB1665_33
.LBB1665_60:                            ;   in Loop: Header=BB1665_24 Depth=2
	s_or_b64 exec, exec, s[18:19]
	v_cmp_gt_u32_e32 vcc, s20, v31
	s_and_saveexec_b64 s[18:19], vcc
	s_cbranch_execz .LBB1665_34
.LBB1665_61:                            ;   in Loop: Header=BB1665_24 Depth=2
	v_mov_b32_e32 v5, s24
	v_add_co_u32_e32 v4, vcc, s23, v2
	v_addc_co_u32_e32 v5, vcc, 0, v5, vcc
	global_load_ubyte v10, v[4:5], off offset:1280
	s_or_b64 exec, exec, s[18:19]
	v_cmp_gt_u32_e32 vcc, s20, v32
	s_and_saveexec_b64 s[18:19], vcc
	s_cbranch_execz .LBB1665_36
	s_branch .LBB1665_35
.LBB1665_62:                            ;   in Loop: Header=BB1665_20 Depth=1
	v_mov_b32_e32 v0, 0
	s_waitcnt lgkmcnt(0)
	s_barrier
	s_and_saveexec_b64 s[16:17], s[4:5]
	s_cbranch_execz .LBB1665_64
; %bb.63:                               ;   in Loop: Header=BB1665_20 Depth=1
	ds_read2_b64 v[4:7], v34 offset1:1
	s_waitcnt lgkmcnt(0)
	v_add_u32_e32 v0, v5, v4
	v_add3_u32 v0, v0, v6, v7
.LBB1665_64:                            ;   in Loop: Header=BB1665_20 Depth=1
	s_or_b64 exec, exec, s[16:17]
	v_and_b32_e32 v4, 15, v64
	v_mov_b32_dpp v5, v0 row_shr:1 row_mask:0xf bank_mask:0xf
	v_cmp_eq_u32_e64 s[16:17], 0, v4
	v_cndmask_b32_e64 v5, v5, 0, s[16:17]
	v_add_u32_e32 v0, v5, v0
	v_cmp_lt_u32_e64 s[18:19], 1, v4
	v_cmp_lt_u32_e64 s[20:21], 3, v4
	v_mov_b32_dpp v5, v0 row_shr:2 row_mask:0xf bank_mask:0xf
	v_cndmask_b32_e64 v5, 0, v5, s[18:19]
	v_add_u32_e32 v0, v0, v5
	v_cmp_lt_u32_e64 s[22:23], 7, v4
	v_cmp_lt_u32_e64 s[26:27], 31, v64
	v_mov_b32_dpp v5, v0 row_shr:4 row_mask:0xf bank_mask:0xf
	v_cndmask_b32_e64 v5, 0, v5, s[20:21]
	v_add_u32_e32 v0, v0, v5
	v_and_b32_e32 v6, 16, v64
	v_cmp_eq_u32_e64 s[24:25], 0, v6
	v_mov_b32_dpp v5, v0 row_shr:8 row_mask:0xf bank_mask:0xf
	v_cndmask_b32_e64 v4, 0, v5, s[22:23]
	v_add_u32_e32 v0, v0, v4
	v_bfe_i32 v5, v64, 4, 1
	s_nop 0
	v_mov_b32_dpp v4, v0 row_bcast:15 row_mask:0xf bank_mask:0xf
	v_and_b32_e32 v4, v5, v4
	v_add_u32_e32 v0, v0, v4
	s_nop 1
	v_mov_b32_dpp v4, v0 row_bcast:31 row_mask:0xf bank_mask:0xf
	v_cndmask_b32_e64 v4, 0, v4, s[26:27]
	v_add_u32_e32 v4, v0, v4
	s_and_saveexec_b64 s[28:29], s[6:7]
	s_cbranch_execz .LBB1665_66
; %bb.65:                               ;   in Loop: Header=BB1665_20 Depth=1
	ds_write_b32 v36, v4
.LBB1665_66:                            ;   in Loop: Header=BB1665_20 Depth=1
	s_or_b64 exec, exec, s[28:29]
	v_and_b32_e32 v0, 3, v64
	s_waitcnt lgkmcnt(0)
	s_barrier
	s_and_saveexec_b64 s[28:29], s[8:9]
	s_cbranch_execz .LBB1665_68
; %bb.67:                               ;   in Loop: Header=BB1665_20 Depth=1
	ds_read_b32 v5, v37
	v_cmp_ne_u32_e32 vcc, 0, v0
	s_waitcnt lgkmcnt(0)
	v_mov_b32_dpp v6, v5 row_shr:1 row_mask:0xf bank_mask:0xf
	v_cndmask_b32_e32 v6, 0, v6, vcc
	v_add_u32_e32 v5, v6, v5
	v_cmp_lt_u32_e32 vcc, 1, v0
	s_nop 0
	v_mov_b32_dpp v6, v5 row_shr:2 row_mask:0xf bank_mask:0xf
	v_cndmask_b32_e32 v6, 0, v6, vcc
	v_add_u32_e32 v5, v5, v6
	ds_write_b32 v37, v5
.LBB1665_68:                            ;   in Loop: Header=BB1665_20 Depth=1
	s_or_b64 exec, exec, s[28:29]
	v_mov_b32_e32 v5, 0
	s_waitcnt lgkmcnt(0)
	s_barrier
	s_and_saveexec_b64 s[28:29], s[10:11]
	s_cbranch_execz .LBB1665_70
; %bb.69:                               ;   in Loop: Header=BB1665_20 Depth=1
	ds_read_b32 v5, v38
.LBB1665_70:                            ;   in Loop: Header=BB1665_20 Depth=1
	s_or_b64 exec, exec, s[28:29]
	v_add_u32_e32 v6, -1, v64
	v_and_b32_e32 v7, 64, v64
	v_cmp_lt_i32_e32 vcc, v6, v7
	v_cndmask_b32_e32 v6, v6, v64, vcc
	s_waitcnt lgkmcnt(0)
	v_add_u32_e32 v4, v5, v4
	v_lshlrev_b32_e32 v65, 2, v6
	ds_bpermute_b32 v4, v65, v4
	v_cmp_eq_u32_e64 s[28:29], 0, v64
	s_waitcnt lgkmcnt(0)
	s_barrier
	s_and_saveexec_b64 s[30:31], s[4:5]
	s_cbranch_execz .LBB1665_72
; %bb.71:                               ;   in Loop: Header=BB1665_20 Depth=1
	v_cndmask_b32_e64 v4, v4, v5, s[28:29]
	v_add_u32_e32 v4, s51, v4
	ds_write_b32 v3, v4
.LBB1665_72:                            ;   in Loop: Header=BB1665_20 Depth=1
	s_or_b64 exec, exec, s[30:31]
	s_load_dword s30, s[74:75], 0x4
	s_load_dword s36, s[74:75], 0xc
	v_cmp_lt_u32_e64 s[34:35], 1, v0
	s_mov_b32 s78, s71
	s_mov_b32 s72, s51
	s_waitcnt lgkmcnt(0)
	s_cmp_lt_u32 s33, s30
	s_cselect_b32 s30, 14, 20
	s_add_u32 s30, s74, s30
	s_addc_u32 s31, s75, 0
	global_load_ushort v20, v1, s[30:31]
	v_cmp_eq_u32_e64 s[30:31], 0, v0
	v_and_b32_e32 v0, 63, v64
	v_add_co_u32_e32 v74, vcc, v48, v0
	v_lshlrev_b32_e32 v21, 3, v0
	v_addc_co_u32_e32 v76, vcc, 0, v49, vcc
	v_add_co_u32_e32 v77, vcc, v46, v21
	v_or_b32_e32 v72, v0, v39
	v_addc_co_u32_e32 v78, vcc, 0, v47, vcc
	s_and_b32 s36, s36, 0xffff
	v_add_co_u32_e32 v86, vcc, 0x1c0, v74
	v_or_b32_e32 v79, 64, v72
	v_or_b32_e32 v80, 0x80, v72
	;; [unrolled: 1-line block ×7, first 2 shown]
	v_addc_co_u32_e32 v87, vcc, 0, v76, vcc
                                        ; implicit-def: $vgpr4_vgpr5
                                        ; implicit-def: $vgpr6_vgpr7
                                        ; implicit-def: $vgpr8_vgpr9
                                        ; implicit-def: $vgpr10_vgpr11
                                        ; implicit-def: $vgpr12_vgpr13
                                        ; implicit-def: $vgpr14_vgpr15
                                        ; implicit-def: $vgpr16_vgpr17
                                        ; implicit-def: $vgpr18_vgpr19
                                        ; implicit-def: $vgpr66
                                        ; implicit-def: $vgpr67
                                        ; implicit-def: $vgpr68
                                        ; implicit-def: $vgpr69
                                        ; implicit-def: $vgpr70
                                        ; implicit-def: $vgpr71
                                        ; implicit-def: $vgpr73
                                        ; implicit-def: $vgpr75
	s_waitcnt vmcnt(0)
	v_mad_u32_u24 v0, v40, v20, v41
	v_mad_u64_u32 v[20:21], s[36:37], v0, s36, v[2:3]
	v_lshrrev_b32_e32 v88, 6, v20
	s_branch .LBB1665_74
.LBB1665_73:                            ;   in Loop: Header=BB1665_74 Depth=2
	s_or_b64 exec, exec, s[36:37]
	s_addk_i32 s78, 0xf800
	s_cmp_lt_u32 s79, s76
	s_mov_b32 s72, s79
	s_cbranch_scc0 .LBB1665_186
.LBB1665_74:                            ;   Parent Loop BB1665_20 Depth=1
                                        ; =>  This Inner Loop Header: Depth=2
	s_add_i32 s79, s72, 0x800
	s_cmp_gt_u32 s79, s76
	s_cbranch_scc1 .LBB1665_77
; %bb.75:                               ;   in Loop: Header=BB1665_74 Depth=2
	v_add_co_u32_e32 v20, vcc, s72, v74
	v_addc_co_u32_e32 v21, vcc, 0, v76, vcc
	global_load_ubyte v89, v[20:21], off
	global_load_ubyte v90, v[20:21], off offset:64
	global_load_ubyte v91, v[20:21], off offset:128
	global_load_ubyte v92, v[20:21], off offset:192
	global_load_ubyte v93, v[20:21], off offset:256
	global_load_ubyte v94, v[20:21], off offset:320
	global_load_ubyte v95, v[20:21], off offset:384
	s_mov_b64 s[36:37], -1
	s_movk_i32 s40, 0x800
	s_cbranch_execz .LBB1665_78
; %bb.76:                               ;   in Loop: Header=BB1665_74 Depth=2
                                        ; implicit-def: $sgpr38
	v_mov_b32_e32 v96, s38
	v_mov_b32_e32 v0, s78
	s_and_saveexec_b64 s[38:39], s[36:37]
	s_cbranch_execnz .LBB1665_93
	s_branch .LBB1665_94
.LBB1665_77:                            ;   in Loop: Header=BB1665_74 Depth=2
	s_mov_b64 s[36:37], 0
                                        ; implicit-def: $sgpr40
                                        ; implicit-def: $vgpr89
                                        ; implicit-def: $vgpr90
                                        ; implicit-def: $vgpr91
                                        ; implicit-def: $vgpr92
                                        ; implicit-def: $vgpr93
                                        ; implicit-def: $vgpr94
                                        ; implicit-def: $vgpr95
.LBB1665_78:                            ;   in Loop: Header=BB1665_74 Depth=2
	v_add_co_u32_e32 v20, vcc, s72, v74
	v_addc_co_u32_e32 v21, vcc, 0, v76, vcc
	v_cmp_gt_u32_e32 vcc, s78, v72
	s_waitcnt vmcnt(5)
	v_mov_b32_e32 v90, 1
	v_mov_b32_e32 v89, 1
	s_and_saveexec_b64 s[36:37], vcc
	s_cbranch_execz .LBB1665_80
; %bb.79:                               ;   in Loop: Header=BB1665_74 Depth=2
	global_load_ubyte v89, v[20:21], off
.LBB1665_80:                            ;   in Loop: Header=BB1665_74 Depth=2
	s_or_b64 exec, exec, s[36:37]
	v_cmp_gt_u32_e32 vcc, s78, v79
	s_and_saveexec_b64 s[36:37], vcc
	s_cbranch_execz .LBB1665_82
; %bb.81:                               ;   in Loop: Header=BB1665_74 Depth=2
	global_load_ubyte v90, v[20:21], off offset:64
.LBB1665_82:                            ;   in Loop: Header=BB1665_74 Depth=2
	s_or_b64 exec, exec, s[36:37]
	v_cmp_gt_u32_e32 vcc, s78, v80
	s_waitcnt vmcnt(3)
	v_mov_b32_e32 v92, 1
	v_mov_b32_e32 v91, 1
	s_and_saveexec_b64 s[36:37], vcc
	s_cbranch_execz .LBB1665_84
; %bb.83:                               ;   in Loop: Header=BB1665_74 Depth=2
	global_load_ubyte v91, v[20:21], off offset:128
.LBB1665_84:                            ;   in Loop: Header=BB1665_74 Depth=2
	s_or_b64 exec, exec, s[36:37]
	v_cmp_gt_u32_e32 vcc, s78, v81
	s_and_saveexec_b64 s[36:37], vcc
	s_cbranch_execz .LBB1665_86
; %bb.85:                               ;   in Loop: Header=BB1665_74 Depth=2
	global_load_ubyte v92, v[20:21], off offset:192
.LBB1665_86:                            ;   in Loop: Header=BB1665_74 Depth=2
	s_or_b64 exec, exec, s[36:37]
	v_cmp_gt_u32_e32 vcc, s78, v82
	s_waitcnt vmcnt(1)
	v_mov_b32_e32 v94, 1
	v_mov_b32_e32 v93, 1
	s_and_saveexec_b64 s[36:37], vcc
	s_cbranch_execz .LBB1665_88
; %bb.87:                               ;   in Loop: Header=BB1665_74 Depth=2
	global_load_ubyte v93, v[20:21], off offset:256
.LBB1665_88:                            ;   in Loop: Header=BB1665_74 Depth=2
	s_or_b64 exec, exec, s[36:37]
	v_cmp_gt_u32_e32 vcc, s78, v83
	s_and_saveexec_b64 s[36:37], vcc
	s_cbranch_execz .LBB1665_90
; %bb.89:                               ;   in Loop: Header=BB1665_74 Depth=2
	global_load_ubyte v94, v[20:21], off offset:320
.LBB1665_90:                            ;   in Loop: Header=BB1665_74 Depth=2
	s_or_b64 exec, exec, s[36:37]
	v_cmp_gt_u32_e32 vcc, s78, v84
	s_waitcnt vmcnt(0)
	v_mov_b32_e32 v95, 1
	s_and_saveexec_b64 s[36:37], vcc
	s_cbranch_execz .LBB1665_92
; %bb.91:                               ;   in Loop: Header=BB1665_74 Depth=2
	global_load_ubyte v95, v[20:21], off offset:384
.LBB1665_92:                            ;   in Loop: Header=BB1665_74 Depth=2
	s_or_b64 exec, exec, s[36:37]
	s_sub_i32 s40, s76, s72
	v_cmp_gt_u32_e64 s[36:37], s78, v85
	s_mov_b32 s38, 1
	v_mov_b32_e32 v96, s38
	v_mov_b32_e32 v0, s78
	s_and_saveexec_b64 s[38:39], s[36:37]
	s_cbranch_execz .LBB1665_94
.LBB1665_93:                            ;   in Loop: Header=BB1665_74 Depth=2
	v_mov_b32_e32 v0, s73
	v_add_co_u32_e32 v20, vcc, s72, v86
	v_addc_co_u32_e32 v21, vcc, v87, v0, vcc
	global_load_ubyte v96, v[20:21], off
	v_mov_b32_e32 v0, s40
.LBB1665_94:                            ;   in Loop: Header=BB1665_74 Depth=2
	s_or_b64 exec, exec, s[38:39]
	v_add_u32_e32 v20, 0x410, v42
	ds_write2_b32 v20, v1, v1 offset1:1
	ds_write2_b32 v44, v1, v1 offset0:2 offset1:3
	ds_write_b32 v44, v1 offset:16
	s_waitcnt vmcnt(6)
	v_lshrrev_b32_sdwa v20, s68, v89 dst_sel:DWORD dst_unused:UNUSED_PAD src0_sel:DWORD src1_sel:BYTE_0
	v_and_b32_e32 v20, s77, v20
	v_mad_u32_u24 v21, v20, 5, v88
	v_cmp_ne_u32_e32 vcc, 0, v20
	v_add_co_u32_e64 v20, s[36:37], -1, v20
	v_lshl_add_u32 v98, v21, 2, v43
	v_addc_co_u32_e64 v21, s[36:37], 0, -1, s[36:37]
	v_xor_b32_e32 v20, vcc_lo, v20
	v_xor_b32_e32 v21, vcc_hi, v21
	v_and_b32_e32 v20, exec_lo, v20
	v_and_b32_e32 v21, exec_hi, v21
	v_mbcnt_lo_u32_b32 v22, v20, 0
	v_mbcnt_hi_u32_b32 v97, v21, v22
	v_cmp_eq_u32_e32 vcc, 0, v97
	v_cmp_ne_u64_e64 s[36:37], 0, v[20:21]
	s_and_b64 s[38:39], s[36:37], vcc
	s_waitcnt lgkmcnt(0)
	s_barrier
	s_waitcnt lgkmcnt(0)
	; wave barrier
	s_and_saveexec_b64 s[36:37], s[38:39]
	s_cbranch_execz .LBB1665_96
; %bb.95:                               ;   in Loop: Header=BB1665_74 Depth=2
	v_bcnt_u32_b32 v20, v20, 0
	v_bcnt_u32_b32 v20, v21, v20
	ds_write_b32 v98, v20
.LBB1665_96:                            ;   in Loop: Header=BB1665_74 Depth=2
	s_or_b64 exec, exec, s[36:37]
	s_waitcnt vmcnt(5)
	v_lshrrev_b32_sdwa v20, s68, v90 dst_sel:DWORD dst_unused:UNUSED_PAD src0_sel:DWORD src1_sel:BYTE_0
	v_and_b32_e32 v20, s77, v20
	v_mul_u32_u24_e32 v21, 5, v20
	v_add_lshl_u32 v21, v21, v88, 2
	v_cmp_ne_u32_e32 vcc, 0, v20
	v_add_co_u32_e64 v20, s[36:37], -1, v20
	; wave barrier
	v_add_u32_e32 v101, 0x410, v21
	ds_read_b32 v99, v21 offset:1040
	v_addc_co_u32_e64 v21, s[36:37], 0, -1, s[36:37]
	v_xor_b32_e32 v20, vcc_lo, v20
	v_xor_b32_e32 v21, vcc_hi, v21
	v_and_b32_e32 v20, exec_lo, v20
	v_and_b32_e32 v21, exec_hi, v21
	v_mbcnt_lo_u32_b32 v22, v20, 0
	v_mbcnt_hi_u32_b32 v100, v21, v22
	v_cmp_eq_u32_e32 vcc, 0, v100
	v_cmp_ne_u64_e64 s[36:37], 0, v[20:21]
	s_and_b64 s[38:39], s[36:37], vcc
	; wave barrier
	s_and_saveexec_b64 s[36:37], s[38:39]
	s_cbranch_execz .LBB1665_98
; %bb.97:                               ;   in Loop: Header=BB1665_74 Depth=2
	v_bcnt_u32_b32 v20, v20, 0
	v_bcnt_u32_b32 v20, v21, v20
	s_waitcnt lgkmcnt(0)
	v_add_u32_e32 v20, v99, v20
	ds_write_b32 v101, v20
.LBB1665_98:                            ;   in Loop: Header=BB1665_74 Depth=2
	s_or_b64 exec, exec, s[36:37]
	s_waitcnt vmcnt(4)
	v_lshrrev_b32_sdwa v20, s68, v91 dst_sel:DWORD dst_unused:UNUSED_PAD src0_sel:DWORD src1_sel:BYTE_0
	v_and_b32_e32 v20, s77, v20
	v_mul_u32_u24_e32 v21, 5, v20
	v_add_lshl_u32 v21, v21, v88, 2
	v_cmp_ne_u32_e32 vcc, 0, v20
	v_add_co_u32_e64 v20, s[36:37], -1, v20
	; wave barrier
	v_add_u32_e32 v102, 0x410, v21
	ds_read_b32 v104, v21 offset:1040
	v_addc_co_u32_e64 v21, s[36:37], 0, -1, s[36:37]
	v_xor_b32_e32 v20, vcc_lo, v20
	v_xor_b32_e32 v21, vcc_hi, v21
	v_and_b32_e32 v20, exec_lo, v20
	v_and_b32_e32 v21, exec_hi, v21
	v_mbcnt_lo_u32_b32 v22, v20, 0
	v_mbcnt_hi_u32_b32 v105, v21, v22
	v_cmp_eq_u32_e32 vcc, 0, v105
	v_cmp_ne_u64_e64 s[36:37], 0, v[20:21]
	s_and_b64 s[38:39], s[36:37], vcc
	; wave barrier
	s_and_saveexec_b64 s[36:37], s[38:39]
	s_cbranch_execz .LBB1665_100
; %bb.99:                               ;   in Loop: Header=BB1665_74 Depth=2
	v_bcnt_u32_b32 v20, v20, 0
	v_bcnt_u32_b32 v20, v21, v20
	s_waitcnt lgkmcnt(0)
	v_add_u32_e32 v20, v104, v20
	ds_write_b32 v102, v20
.LBB1665_100:                           ;   in Loop: Header=BB1665_74 Depth=2
	s_or_b64 exec, exec, s[36:37]
	s_waitcnt vmcnt(3)
	v_lshrrev_b32_sdwa v20, s68, v92 dst_sel:DWORD dst_unused:UNUSED_PAD src0_sel:DWORD src1_sel:BYTE_0
	v_and_b32_e32 v20, s77, v20
	v_mul_u32_u24_e32 v21, 5, v20
	v_add_lshl_u32 v21, v21, v88, 2
	v_cmp_ne_u32_e32 vcc, 0, v20
	v_add_co_u32_e64 v20, s[36:37], -1, v20
	; wave barrier
	v_add_u32_e32 v103, 0x410, v21
	ds_read_b32 v106, v21 offset:1040
	v_addc_co_u32_e64 v21, s[36:37], 0, -1, s[36:37]
	v_xor_b32_e32 v20, vcc_lo, v20
	v_xor_b32_e32 v21, vcc_hi, v21
	v_and_b32_e32 v20, exec_lo, v20
	v_and_b32_e32 v21, exec_hi, v21
	v_mbcnt_lo_u32_b32 v22, v20, 0
	v_mbcnt_hi_u32_b32 v107, v21, v22
	v_cmp_eq_u32_e32 vcc, 0, v107
	v_cmp_ne_u64_e64 s[36:37], 0, v[20:21]
	s_and_b64 s[38:39], s[36:37], vcc
	; wave barrier
	s_and_saveexec_b64 s[36:37], s[38:39]
	s_cbranch_execz .LBB1665_102
; %bb.101:                              ;   in Loop: Header=BB1665_74 Depth=2
	v_bcnt_u32_b32 v20, v20, 0
	v_bcnt_u32_b32 v20, v21, v20
	s_waitcnt lgkmcnt(0)
	v_add_u32_e32 v20, v106, v20
	ds_write_b32 v103, v20
.LBB1665_102:                           ;   in Loop: Header=BB1665_74 Depth=2
	s_or_b64 exec, exec, s[36:37]
	s_waitcnt vmcnt(2)
	v_lshrrev_b32_sdwa v20, s68, v93 dst_sel:DWORD dst_unused:UNUSED_PAD src0_sel:DWORD src1_sel:BYTE_0
	v_and_b32_e32 v20, s77, v20
	v_mul_u32_u24_e32 v21, 5, v20
	v_add_lshl_u32 v21, v21, v88, 2
	v_cmp_ne_u32_e32 vcc, 0, v20
	v_add_co_u32_e64 v20, s[36:37], -1, v20
	; wave barrier
	v_add_u32_e32 v110, 0x410, v21
	ds_read_b32 v108, v21 offset:1040
	v_addc_co_u32_e64 v21, s[36:37], 0, -1, s[36:37]
	v_xor_b32_e32 v20, vcc_lo, v20
	v_xor_b32_e32 v21, vcc_hi, v21
	v_and_b32_e32 v20, exec_lo, v20
	v_and_b32_e32 v21, exec_hi, v21
	v_mbcnt_lo_u32_b32 v22, v20, 0
	v_mbcnt_hi_u32_b32 v109, v21, v22
	v_cmp_eq_u32_e32 vcc, 0, v109
	v_cmp_ne_u64_e64 s[36:37], 0, v[20:21]
	s_and_b64 s[38:39], s[36:37], vcc
	; wave barrier
	s_and_saveexec_b64 s[36:37], s[38:39]
	s_cbranch_execz .LBB1665_104
; %bb.103:                              ;   in Loop: Header=BB1665_74 Depth=2
	v_bcnt_u32_b32 v20, v20, 0
	v_bcnt_u32_b32 v20, v21, v20
	s_waitcnt lgkmcnt(0)
	v_add_u32_e32 v20, v108, v20
	ds_write_b32 v110, v20
.LBB1665_104:                           ;   in Loop: Header=BB1665_74 Depth=2
	;; [unrolled: 31-line block ×4, first 2 shown]
	s_or_b64 exec, exec, s[36:37]
	v_lshrrev_b32_sdwa v20, s68, v96 dst_sel:DWORD dst_unused:UNUSED_PAD src0_sel:DWORD src1_sel:BYTE_0
	v_and_b32_e32 v20, s77, v20
	v_mul_u32_u24_e32 v21, 5, v20
	v_add_lshl_u32 v21, v21, v88, 2
	v_cmp_ne_u32_e32 vcc, 0, v20
	v_add_co_u32_e64 v20, s[36:37], -1, v20
	; wave barrier
	v_add_u32_e32 v119, 0x410, v21
	ds_read_b32 v117, v21 offset:1040
	v_addc_co_u32_e64 v21, s[36:37], 0, -1, s[36:37]
	v_xor_b32_e32 v20, vcc_lo, v20
	v_xor_b32_e32 v21, vcc_hi, v21
	v_and_b32_e32 v20, exec_lo, v20
	v_and_b32_e32 v21, exec_hi, v21
	v_mbcnt_lo_u32_b32 v22, v20, 0
	v_mbcnt_hi_u32_b32 v118, v21, v22
	v_cmp_eq_u32_e32 vcc, 0, v118
	v_cmp_ne_u64_e64 s[36:37], 0, v[20:21]
	s_and_b64 s[38:39], s[36:37], vcc
	; wave barrier
	s_and_saveexec_b64 s[36:37], s[38:39]
	s_cbranch_execz .LBB1665_110
; %bb.109:                              ;   in Loop: Header=BB1665_74 Depth=2
	v_bcnt_u32_b32 v20, v20, 0
	v_bcnt_u32_b32 v20, v21, v20
	s_waitcnt lgkmcnt(0)
	v_add_u32_e32 v20, v117, v20
	ds_write_b32 v119, v20
.LBB1665_110:                           ;   in Loop: Header=BB1665_74 Depth=2
	s_or_b64 exec, exec, s[36:37]
	; wave barrier
	s_waitcnt lgkmcnt(0)
	s_barrier
	ds_read_b32 v120, v42 offset:1040
	ds_read2_b32 v[22:23], v44 offset0:1 offset1:2
	ds_read2_b32 v[20:21], v44 offset0:3 offset1:4
	s_waitcnt lgkmcnt(1)
	v_add3_u32 v121, v22, v120, v23
	s_waitcnt lgkmcnt(0)
	v_add3_u32 v21, v121, v20, v21
	s_nop 1
	v_mov_b32_dpp v121, v21 row_shr:1 row_mask:0xf bank_mask:0xf
	v_cndmask_b32_e64 v121, v121, 0, s[16:17]
	v_add_u32_e32 v21, v121, v21
	s_nop 1
	v_mov_b32_dpp v121, v21 row_shr:2 row_mask:0xf bank_mask:0xf
	v_cndmask_b32_e64 v121, 0, v121, s[18:19]
	v_add_u32_e32 v21, v21, v121
	;; [unrolled: 4-line block ×4, first 2 shown]
	s_nop 1
	v_mov_b32_dpp v121, v21 row_bcast:15 row_mask:0xf bank_mask:0xf
	v_cndmask_b32_e64 v121, v121, 0, s[24:25]
	v_add_u32_e32 v21, v21, v121
	s_nop 1
	v_mov_b32_dpp v121, v21 row_bcast:31 row_mask:0xf bank_mask:0xf
	v_cndmask_b32_e64 v121, 0, v121, s[26:27]
	v_add_u32_e32 v21, v21, v121
	s_and_saveexec_b64 s[36:37], s[6:7]
	s_cbranch_execz .LBB1665_112
; %bb.111:                              ;   in Loop: Header=BB1665_74 Depth=2
	ds_write_b32 v35, v21 offset:1024
.LBB1665_112:                           ;   in Loop: Header=BB1665_74 Depth=2
	s_or_b64 exec, exec, s[36:37]
	s_waitcnt lgkmcnt(0)
	s_barrier
	s_and_saveexec_b64 s[36:37], s[8:9]
	s_cbranch_execz .LBB1665_114
; %bb.113:                              ;   in Loop: Header=BB1665_74 Depth=2
	v_add_u32_e32 v121, v42, v45
	ds_read_b32 v122, v121 offset:1024
	s_waitcnt lgkmcnt(0)
	s_nop 0
	v_mov_b32_dpp v123, v122 row_shr:1 row_mask:0xf bank_mask:0xf
	v_cndmask_b32_e64 v123, v123, 0, s[30:31]
	v_add_u32_e32 v122, v123, v122
	s_nop 1
	v_mov_b32_dpp v123, v122 row_shr:2 row_mask:0xf bank_mask:0xf
	v_cndmask_b32_e64 v123, 0, v123, s[34:35]
	v_add_u32_e32 v122, v122, v123
	ds_write_b32 v121, v122 offset:1024
.LBB1665_114:                           ;   in Loop: Header=BB1665_74 Depth=2
	s_or_b64 exec, exec, s[36:37]
	v_mov_b32_e32 v121, 0
	s_waitcnt lgkmcnt(0)
	s_barrier
	s_and_saveexec_b64 s[36:37], s[10:11]
	s_cbranch_execz .LBB1665_116
; %bb.115:                              ;   in Loop: Header=BB1665_74 Depth=2
	ds_read_b32 v121, v35 offset:1020
.LBB1665_116:                           ;   in Loop: Header=BB1665_74 Depth=2
	s_or_b64 exec, exec, s[36:37]
	s_waitcnt lgkmcnt(0)
	v_add_u32_e32 v21, v121, v21
	ds_bpermute_b32 v21, v65, v21
	s_waitcnt lgkmcnt(0)
	v_cndmask_b32_e64 v21, v21, v121, s[28:29]
	v_cndmask_b32_e64 v21, v21, 0, s[12:13]
	v_add_u32_e32 v120, v21, v120
	ds_write_b32 v42, v21 offset:1040
	v_add_u32_e32 v21, v120, v22
	v_add_u32_e32 v22, v21, v23
	;; [unrolled: 1-line block ×3, first 2 shown]
	ds_write2_b32 v44, v120, v21 offset0:1 offset1:2
	ds_write2_b32 v44, v22, v20 offset0:3 offset1:4
	s_waitcnt lgkmcnt(0)
	s_barrier
	ds_read_b32 v20, v101
	ds_read_b32 v21, v102
	;; [unrolled: 1-line block ×8, first 2 shown]
	ds_read_b32 v101, v42 offset:1040
	v_mov_b32_e32 v22, 0x800
	s_and_saveexec_b64 s[36:37], s[14:15]
	s_cbranch_execz .LBB1665_118
; %bb.117:                              ;   in Loop: Header=BB1665_74 Depth=2
	ds_read_b32 v22, v42 offset:1060
.LBB1665_118:                           ;   in Loop: Header=BB1665_74 Depth=2
	s_or_b64 exec, exec, s[36:37]
	s_waitcnt lgkmcnt(0)
	s_barrier
	s_and_saveexec_b64 s[36:37], s[4:5]
	s_cbranch_execz .LBB1665_120
; %bb.119:                              ;   in Loop: Header=BB1665_74 Depth=2
	ds_read_b32 v102, v3
	s_waitcnt lgkmcnt(0)
	v_sub_u32_e32 v101, v102, v101
	ds_write_b32 v3, v101
.LBB1665_120:                           ;   in Loop: Header=BB1665_74 Depth=2
	s_or_b64 exec, exec, s[36:37]
	v_add_u32_e32 v103, v98, v97
	v_add3_u32 v102, v100, v99, v20
	v_add3_u32 v101, v105, v104, v21
	;; [unrolled: 1-line block ×7, first 2 shown]
	v_cmp_lt_u32_e64 s[48:49], v2, v0
	ds_write_b8 v103, v89 offset:1024
	ds_write_b8 v102, v90 offset:1024
	;; [unrolled: 1-line block ×8, first 2 shown]
	s_waitcnt lgkmcnt(0)
	s_barrier
	s_and_saveexec_b64 s[36:37], s[48:49]
	s_cbranch_execz .LBB1665_128
; %bb.121:                              ;   in Loop: Header=BB1665_74 Depth=2
	ds_read_u8 v20, v2 offset:1024
	s_waitcnt lgkmcnt(0)
	v_and_b32_e32 v21, 1, v20
	v_lshrrev_b32_e32 v21, s68, v21
	v_and_b32_e32 v21, s77, v21
	v_lshlrev_b32_e32 v21, 2, v21
	ds_read_b32 v21, v21
	s_waitcnt lgkmcnt(0)
	v_add_u32_e32 v21, v21, v2
	global_store_byte v21, v20, s[58:59]
	s_or_b64 exec, exec, s[36:37]
	v_cmp_lt_u32_e64 s[46:47], v24, v0
	s_and_saveexec_b64 s[36:37], s[46:47]
	s_cbranch_execnz .LBB1665_129
.LBB1665_122:                           ;   in Loop: Header=BB1665_74 Depth=2
	s_or_b64 exec, exec, s[36:37]
	v_cmp_lt_u32_e64 s[44:45], v25, v0
	s_and_saveexec_b64 s[36:37], s[44:45]
	s_cbranch_execz .LBB1665_130
.LBB1665_123:                           ;   in Loop: Header=BB1665_74 Depth=2
	ds_read_u8 v20, v30 offset:512
	s_waitcnt lgkmcnt(0)
	v_and_b32_e32 v21, 1, v20
	v_lshrrev_b32_e32 v21, s68, v21
	v_and_b32_e32 v21, s77, v21
	v_lshlrev_b32_e32 v21, 2, v21
	ds_read_b32 v21, v21
	s_waitcnt lgkmcnt(0)
	v_add_u32_e32 v21, v21, v25
	global_store_byte v21, v20, s[58:59]
	s_or_b64 exec, exec, s[36:37]
	v_cmp_lt_u32_e64 s[42:43], v26, v0
	s_and_saveexec_b64 s[36:37], s[42:43]
	s_cbranch_execnz .LBB1665_131
.LBB1665_124:                           ;   in Loop: Header=BB1665_74 Depth=2
	s_or_b64 exec, exec, s[36:37]
	v_cmp_lt_u32_e64 s[40:41], v30, v0
	s_and_saveexec_b64 s[36:37], s[40:41]
	s_cbranch_execz .LBB1665_132
.LBB1665_125:                           ;   in Loop: Header=BB1665_74 Depth=2
	ds_read_u8 v20, v30 offset:1024
	s_waitcnt lgkmcnt(0)
	v_and_b32_e32 v21, 1, v20
	v_lshrrev_b32_e32 v21, s68, v21
	v_and_b32_e32 v21, s77, v21
	v_lshlrev_b32_e32 v21, 2, v21
	ds_read_b32 v21, v21
	s_waitcnt lgkmcnt(0)
	v_add_u32_e32 v21, v21, v30
	global_store_byte v21, v20, s[58:59]
	s_or_b64 exec, exec, s[36:37]
	v_cmp_lt_u32_e64 s[38:39], v31, v0
	s_and_saveexec_b64 s[36:37], s[38:39]
	s_cbranch_execnz .LBB1665_133
.LBB1665_126:                           ;   in Loop: Header=BB1665_74 Depth=2
	s_or_b64 exec, exec, s[36:37]
	v_cmp_lt_u32_e64 s[36:37], v32, v0
	s_and_saveexec_b64 s[52:53], s[36:37]
	s_cbranch_execz .LBB1665_134
.LBB1665_127:                           ;   in Loop: Header=BB1665_74 Depth=2
	ds_read_u8 v20, v30 offset:1536
	s_waitcnt lgkmcnt(0)
	v_and_b32_e32 v21, 1, v20
	v_lshrrev_b32_e32 v21, s68, v21
	v_and_b32_e32 v21, s77, v21
	v_lshlrev_b32_e32 v21, 2, v21
	ds_read_b32 v21, v21
	s_waitcnt lgkmcnt(0)
	v_add_u32_e32 v21, v21, v32
	global_store_byte v21, v20, s[58:59]
	s_or_b64 exec, exec, s[52:53]
	v_cmp_lt_u32_e32 vcc, v33, v0
	s_and_saveexec_b64 s[52:53], vcc
	s_cbranch_execnz .LBB1665_135
	s_branch .LBB1665_136
.LBB1665_128:                           ;   in Loop: Header=BB1665_74 Depth=2
	s_or_b64 exec, exec, s[36:37]
	v_cmp_lt_u32_e64 s[46:47], v24, v0
	s_and_saveexec_b64 s[36:37], s[46:47]
	s_cbranch_execz .LBB1665_122
.LBB1665_129:                           ;   in Loop: Header=BB1665_74 Depth=2
	ds_read_u8 v20, v30 offset:256
	s_waitcnt lgkmcnt(0)
	v_and_b32_e32 v21, 1, v20
	v_lshrrev_b32_e32 v21, s68, v21
	v_and_b32_e32 v21, s77, v21
	v_lshlrev_b32_e32 v21, 2, v21
	ds_read_b32 v21, v21
	s_waitcnt lgkmcnt(0)
	v_add_u32_e32 v21, v21, v24
	global_store_byte v21, v20, s[58:59]
	s_or_b64 exec, exec, s[36:37]
	v_cmp_lt_u32_e64 s[44:45], v25, v0
	s_and_saveexec_b64 s[36:37], s[44:45]
	s_cbranch_execnz .LBB1665_123
.LBB1665_130:                           ;   in Loop: Header=BB1665_74 Depth=2
	s_or_b64 exec, exec, s[36:37]
	v_cmp_lt_u32_e64 s[42:43], v26, v0
	s_and_saveexec_b64 s[36:37], s[42:43]
	s_cbranch_execz .LBB1665_124
.LBB1665_131:                           ;   in Loop: Header=BB1665_74 Depth=2
	ds_read_u8 v20, v30 offset:768
	s_waitcnt lgkmcnt(0)
	v_and_b32_e32 v21, 1, v20
	v_lshrrev_b32_e32 v21, s68, v21
	v_and_b32_e32 v21, s77, v21
	v_lshlrev_b32_e32 v21, 2, v21
	ds_read_b32 v21, v21
	s_waitcnt lgkmcnt(0)
	v_add_u32_e32 v21, v21, v26
	global_store_byte v21, v20, s[58:59]
	s_or_b64 exec, exec, s[36:37]
	v_cmp_lt_u32_e64 s[40:41], v30, v0
	s_and_saveexec_b64 s[36:37], s[40:41]
	s_cbranch_execnz .LBB1665_125
.LBB1665_132:                           ;   in Loop: Header=BB1665_74 Depth=2
	s_or_b64 exec, exec, s[36:37]
	v_cmp_lt_u32_e64 s[38:39], v31, v0
	s_and_saveexec_b64 s[36:37], s[38:39]
	s_cbranch_execz .LBB1665_126
.LBB1665_133:                           ;   in Loop: Header=BB1665_74 Depth=2
	ds_read_u8 v20, v30 offset:1280
	s_waitcnt lgkmcnt(0)
	v_and_b32_e32 v21, 1, v20
	v_lshrrev_b32_e32 v21, s68, v21
	v_and_b32_e32 v21, s77, v21
	v_lshlrev_b32_e32 v21, 2, v21
	ds_read_b32 v21, v21
	s_waitcnt lgkmcnt(0)
	v_add_u32_e32 v21, v21, v31
	global_store_byte v21, v20, s[58:59]
	s_or_b64 exec, exec, s[36:37]
	v_cmp_lt_u32_e64 s[36:37], v32, v0
	s_and_saveexec_b64 s[52:53], s[36:37]
	s_cbranch_execnz .LBB1665_127
.LBB1665_134:                           ;   in Loop: Header=BB1665_74 Depth=2
	s_or_b64 exec, exec, s[52:53]
	v_cmp_lt_u32_e32 vcc, v33, v0
	s_and_saveexec_b64 s[52:53], vcc
	s_cbranch_execz .LBB1665_136
.LBB1665_135:                           ;   in Loop: Header=BB1665_74 Depth=2
	ds_read_u8 v20, v30 offset:1792
	s_waitcnt lgkmcnt(0)
	v_and_b32_e32 v21, 1, v20
	v_lshrrev_b32_e32 v21, s68, v21
	v_and_b32_e32 v21, s77, v21
	v_lshlrev_b32_e32 v21, 2, v21
	ds_read_b32 v21, v21
	s_waitcnt lgkmcnt(0)
	v_add_u32_e32 v21, v21, v33
	global_store_byte v21, v20, s[58:59]
.LBB1665_136:                           ;   in Loop: Header=BB1665_74 Depth=2
	s_or_b64 exec, exec, s[52:53]
	s_lshl_b64 s[52:53], s[72:73], 3
	v_mov_b32_e32 v21, s53
	v_add_co_u32_e64 v20, s[52:53], s52, v77
	v_addc_co_u32_e64 v21, s[52:53], v78, v21, s[52:53]
	v_cmp_lt_u32_e64 s[52:53], v72, v0
	s_and_saveexec_b64 s[62:63], s[52:53]
	s_xor_b64 s[52:53], exec, s[62:63]
	s_cbranch_execz .LBB1665_152
; %bb.137:                              ;   in Loop: Header=BB1665_74 Depth=2
	global_load_dwordx2 v[18:19], v[20:21], off
	s_or_b64 exec, exec, s[52:53]
	v_cmp_lt_u32_e64 s[52:53], v79, v0
	s_and_saveexec_b64 s[62:63], s[52:53]
	s_cbranch_execnz .LBB1665_153
.LBB1665_138:                           ;   in Loop: Header=BB1665_74 Depth=2
	s_or_b64 exec, exec, s[62:63]
	v_cmp_lt_u32_e64 s[52:53], v80, v0
	s_and_saveexec_b64 s[62:63], s[52:53]
	s_cbranch_execz .LBB1665_154
.LBB1665_139:                           ;   in Loop: Header=BB1665_74 Depth=2
	global_load_dwordx2 v[14:15], v[20:21], off offset:1024
	s_or_b64 exec, exec, s[62:63]
	v_cmp_lt_u32_e64 s[52:53], v81, v0
	s_and_saveexec_b64 s[62:63], s[52:53]
	s_cbranch_execnz .LBB1665_155
.LBB1665_140:                           ;   in Loop: Header=BB1665_74 Depth=2
	s_or_b64 exec, exec, s[62:63]
	v_cmp_lt_u32_e64 s[52:53], v82, v0
	s_and_saveexec_b64 s[62:63], s[52:53]
	s_cbranch_execz .LBB1665_156
.LBB1665_141:                           ;   in Loop: Header=BB1665_74 Depth=2
	global_load_dwordx2 v[10:11], v[20:21], off offset:2048
	s_or_b64 exec, exec, s[62:63]
	v_cmp_lt_u32_e64 s[52:53], v83, v0
	s_and_saveexec_b64 s[62:63], s[52:53]
	s_cbranch_execnz .LBB1665_157
.LBB1665_142:                           ;   in Loop: Header=BB1665_74 Depth=2
	s_or_b64 exec, exec, s[62:63]
	v_cmp_lt_u32_e64 s[52:53], v84, v0
	s_and_saveexec_b64 s[62:63], s[52:53]
	s_cbranch_execz .LBB1665_158
.LBB1665_143:                           ;   in Loop: Header=BB1665_74 Depth=2
	global_load_dwordx2 v[6:7], v[20:21], off offset:3072
	s_or_b64 exec, exec, s[62:63]
	v_cmp_lt_u32_e64 s[52:53], v85, v0
	s_and_saveexec_b64 s[62:63], s[52:53]
	s_cbranch_execnz .LBB1665_159
.LBB1665_144:                           ;   in Loop: Header=BB1665_74 Depth=2
	s_or_b64 exec, exec, s[62:63]
	s_and_saveexec_b64 s[52:53], s[48:49]
	s_cbranch_execz .LBB1665_160
.LBB1665_145:                           ;   in Loop: Header=BB1665_74 Depth=2
	ds_read_u8 v0, v2 offset:1024
	s_waitcnt lgkmcnt(0)
	v_lshrrev_b32_e32 v0, s68, v0
	v_and_b32_e32 v75, s77, v0
	s_or_b64 exec, exec, s[52:53]
	s_and_saveexec_b64 s[52:53], s[46:47]
	s_cbranch_execnz .LBB1665_161
.LBB1665_146:                           ;   in Loop: Header=BB1665_74 Depth=2
	s_or_b64 exec, exec, s[52:53]
	s_and_saveexec_b64 s[52:53], s[44:45]
	s_cbranch_execz .LBB1665_162
.LBB1665_147:                           ;   in Loop: Header=BB1665_74 Depth=2
	ds_read_u8 v0, v30 offset:512
	s_waitcnt lgkmcnt(0)
	v_lshrrev_b32_e32 v0, s68, v0
	v_and_b32_e32 v71, s77, v0
	s_or_b64 exec, exec, s[52:53]
	s_and_saveexec_b64 s[52:53], s[42:43]
	s_cbranch_execnz .LBB1665_163
.LBB1665_148:                           ;   in Loop: Header=BB1665_74 Depth=2
	s_or_b64 exec, exec, s[52:53]
	s_and_saveexec_b64 s[52:53], s[40:41]
	s_cbranch_execz .LBB1665_164
.LBB1665_149:                           ;   in Loop: Header=BB1665_74 Depth=2
	ds_read_u8 v0, v30 offset:1024
	s_waitcnt lgkmcnt(0)
	v_lshrrev_b32_e32 v0, s68, v0
	v_and_b32_e32 v69, s77, v0
	s_or_b64 exec, exec, s[52:53]
	s_and_saveexec_b64 s[52:53], s[38:39]
	s_cbranch_execnz .LBB1665_165
.LBB1665_150:                           ;   in Loop: Header=BB1665_74 Depth=2
	s_or_b64 exec, exec, s[52:53]
	s_and_saveexec_b64 s[52:53], s[36:37]
	s_cbranch_execz .LBB1665_166
.LBB1665_151:                           ;   in Loop: Header=BB1665_74 Depth=2
	ds_read_u8 v0, v30 offset:1536
	s_waitcnt lgkmcnt(0)
	v_lshrrev_b32_e32 v0, s68, v0
	v_and_b32_e32 v67, s77, v0
	s_or_b64 exec, exec, s[52:53]
	s_and_saveexec_b64 s[52:53], vcc
	s_cbranch_execnz .LBB1665_167
	s_branch .LBB1665_168
.LBB1665_152:                           ;   in Loop: Header=BB1665_74 Depth=2
	s_or_b64 exec, exec, s[52:53]
	v_cmp_lt_u32_e64 s[52:53], v79, v0
	s_and_saveexec_b64 s[62:63], s[52:53]
	s_cbranch_execz .LBB1665_138
.LBB1665_153:                           ;   in Loop: Header=BB1665_74 Depth=2
	global_load_dwordx2 v[16:17], v[20:21], off offset:512
	s_or_b64 exec, exec, s[62:63]
	v_cmp_lt_u32_e64 s[52:53], v80, v0
	s_and_saveexec_b64 s[62:63], s[52:53]
	s_cbranch_execnz .LBB1665_139
.LBB1665_154:                           ;   in Loop: Header=BB1665_74 Depth=2
	s_or_b64 exec, exec, s[62:63]
	v_cmp_lt_u32_e64 s[52:53], v81, v0
	s_and_saveexec_b64 s[62:63], s[52:53]
	s_cbranch_execz .LBB1665_140
.LBB1665_155:                           ;   in Loop: Header=BB1665_74 Depth=2
	global_load_dwordx2 v[12:13], v[20:21], off offset:1536
	s_or_b64 exec, exec, s[62:63]
	v_cmp_lt_u32_e64 s[52:53], v82, v0
	s_and_saveexec_b64 s[62:63], s[52:53]
	s_cbranch_execnz .LBB1665_141
.LBB1665_156:                           ;   in Loop: Header=BB1665_74 Depth=2
	s_or_b64 exec, exec, s[62:63]
	v_cmp_lt_u32_e64 s[52:53], v83, v0
	s_and_saveexec_b64 s[62:63], s[52:53]
	s_cbranch_execz .LBB1665_142
.LBB1665_157:                           ;   in Loop: Header=BB1665_74 Depth=2
	global_load_dwordx2 v[8:9], v[20:21], off offset:2560
	s_or_b64 exec, exec, s[62:63]
	v_cmp_lt_u32_e64 s[52:53], v84, v0
	s_and_saveexec_b64 s[62:63], s[52:53]
	s_cbranch_execnz .LBB1665_143
.LBB1665_158:                           ;   in Loop: Header=BB1665_74 Depth=2
	s_or_b64 exec, exec, s[62:63]
	v_cmp_lt_u32_e64 s[52:53], v85, v0
	s_and_saveexec_b64 s[62:63], s[52:53]
	s_cbranch_execz .LBB1665_144
.LBB1665_159:                           ;   in Loop: Header=BB1665_74 Depth=2
	global_load_dwordx2 v[4:5], v[20:21], off offset:3584
	s_or_b64 exec, exec, s[62:63]
	s_and_saveexec_b64 s[52:53], s[48:49]
	s_cbranch_execnz .LBB1665_145
.LBB1665_160:                           ;   in Loop: Header=BB1665_74 Depth=2
	s_or_b64 exec, exec, s[52:53]
	s_and_saveexec_b64 s[52:53], s[46:47]
	s_cbranch_execz .LBB1665_146
.LBB1665_161:                           ;   in Loop: Header=BB1665_74 Depth=2
	ds_read_u8 v0, v30 offset:256
	s_waitcnt lgkmcnt(0)
	v_lshrrev_b32_e32 v0, s68, v0
	v_and_b32_e32 v73, s77, v0
	s_or_b64 exec, exec, s[52:53]
	s_and_saveexec_b64 s[52:53], s[44:45]
	s_cbranch_execnz .LBB1665_147
.LBB1665_162:                           ;   in Loop: Header=BB1665_74 Depth=2
	s_or_b64 exec, exec, s[52:53]
	s_and_saveexec_b64 s[52:53], s[42:43]
	s_cbranch_execz .LBB1665_148
.LBB1665_163:                           ;   in Loop: Header=BB1665_74 Depth=2
	ds_read_u8 v0, v30 offset:768
	s_waitcnt lgkmcnt(0)
	v_lshrrev_b32_e32 v0, s68, v0
	v_and_b32_e32 v70, s77, v0
	s_or_b64 exec, exec, s[52:53]
	s_and_saveexec_b64 s[52:53], s[40:41]
	s_cbranch_execnz .LBB1665_149
.LBB1665_164:                           ;   in Loop: Header=BB1665_74 Depth=2
	s_or_b64 exec, exec, s[52:53]
	s_and_saveexec_b64 s[52:53], s[38:39]
	s_cbranch_execz .LBB1665_150
.LBB1665_165:                           ;   in Loop: Header=BB1665_74 Depth=2
	ds_read_u8 v0, v30 offset:1280
	s_waitcnt lgkmcnt(0)
	v_lshrrev_b32_e32 v0, s68, v0
	v_and_b32_e32 v68, s77, v0
	s_or_b64 exec, exec, s[52:53]
	s_and_saveexec_b64 s[52:53], s[36:37]
	s_cbranch_execnz .LBB1665_151
.LBB1665_166:                           ;   in Loop: Header=BB1665_74 Depth=2
	s_or_b64 exec, exec, s[52:53]
	s_and_saveexec_b64 s[52:53], vcc
	s_cbranch_execz .LBB1665_168
.LBB1665_167:                           ;   in Loop: Header=BB1665_74 Depth=2
	ds_read_u8 v0, v30 offset:1792
	s_waitcnt lgkmcnt(0)
	v_lshrrev_b32_e32 v0, s68, v0
	v_and_b32_e32 v66, s77, v0
.LBB1665_168:                           ;   in Loop: Header=BB1665_74 Depth=2
	s_or_b64 exec, exec, s[52:53]
	v_lshlrev_b32_e32 v0, 3, v103
	s_barrier
	s_waitcnt vmcnt(0)
	ds_write_b64 v0, v[18:19] offset:1024
	v_lshlrev_b32_e32 v0, 3, v102
	ds_write_b64 v0, v[16:17] offset:1024
	v_lshlrev_b32_e32 v0, 3, v101
	;; [unrolled: 2-line block ×7, first 2 shown]
	ds_write_b64 v0, v[4:5] offset:1024
	s_waitcnt lgkmcnt(0)
	s_barrier
	s_and_saveexec_b64 s[52:53], s[48:49]
	s_cbranch_execz .LBB1665_176
; %bb.169:                              ;   in Loop: Header=BB1665_74 Depth=2
	v_lshlrev_b32_e32 v0, 2, v75
	ds_read_b32 v0, v0
	v_add_u32_e32 v20, v2, v50
	ds_read_b64 v[20:21], v20 offset:1024
	v_mov_b32_e32 v23, s65
	s_waitcnt lgkmcnt(1)
	v_add_u32_e32 v0, v0, v2
	v_lshlrev_b64 v[90:91], 3, v[0:1]
	v_add_co_u32_e64 v90, s[48:49], s64, v90
	v_addc_co_u32_e64 v91, s[48:49], v23, v91, s[48:49]
	s_waitcnt lgkmcnt(0)
	global_store_dwordx2 v[90:91], v[20:21], off
	s_or_b64 exec, exec, s[52:53]
	s_and_saveexec_b64 s[48:49], s[46:47]
	s_cbranch_execnz .LBB1665_177
.LBB1665_170:                           ;   in Loop: Header=BB1665_74 Depth=2
	s_or_b64 exec, exec, s[48:49]
	s_and_saveexec_b64 s[46:47], s[44:45]
	s_cbranch_execz .LBB1665_178
.LBB1665_171:                           ;   in Loop: Header=BB1665_74 Depth=2
	v_lshlrev_b32_e32 v0, 2, v71
	ds_read_b32 v0, v0
	v_add_u32_e32 v20, v30, v50
	ds_read_b64 v[20:21], v20 offset:4096
	v_mov_b32_e32 v23, s65
	s_waitcnt lgkmcnt(1)
	v_add_u32_e32 v0, v0, v25
	v_lshlrev_b64 v[90:91], 3, v[0:1]
	v_add_co_u32_e64 v90, s[44:45], s64, v90
	v_addc_co_u32_e64 v91, s[44:45], v23, v91, s[44:45]
	s_waitcnt lgkmcnt(0)
	global_store_dwordx2 v[90:91], v[20:21], off
	s_or_b64 exec, exec, s[46:47]
	s_and_saveexec_b64 s[44:45], s[42:43]
	s_cbranch_execnz .LBB1665_179
.LBB1665_172:                           ;   in Loop: Header=BB1665_74 Depth=2
	s_or_b64 exec, exec, s[44:45]
	s_and_saveexec_b64 s[42:43], s[40:41]
	s_cbranch_execz .LBB1665_180
.LBB1665_173:                           ;   in Loop: Header=BB1665_74 Depth=2
	v_lshlrev_b32_e32 v0, 2, v69
	ds_read_b32 v0, v0
	v_add_u32_e32 v20, v30, v50
	ds_read_b64 v[20:21], v20 offset:8192
	v_mov_b32_e32 v23, s65
	s_waitcnt lgkmcnt(1)
	v_add_u32_e32 v0, v0, v30
	v_lshlrev_b64 v[90:91], 3, v[0:1]
	v_add_co_u32_e64 v90, s[40:41], s64, v90
	v_addc_co_u32_e64 v91, s[40:41], v23, v91, s[40:41]
	s_waitcnt lgkmcnt(0)
	global_store_dwordx2 v[90:91], v[20:21], off
	s_or_b64 exec, exec, s[42:43]
	s_and_saveexec_b64 s[40:41], s[38:39]
	s_cbranch_execnz .LBB1665_181
.LBB1665_174:                           ;   in Loop: Header=BB1665_74 Depth=2
	s_or_b64 exec, exec, s[40:41]
	s_and_saveexec_b64 s[38:39], s[36:37]
	s_cbranch_execz .LBB1665_182
.LBB1665_175:                           ;   in Loop: Header=BB1665_74 Depth=2
	v_lshlrev_b32_e32 v0, 2, v67
	ds_read_b32 v0, v0
	v_add_u32_e32 v20, v30, v50
	ds_read_b64 v[20:21], v20 offset:12288
	v_mov_b32_e32 v23, s65
	s_waitcnt lgkmcnt(1)
	v_add_u32_e32 v0, v0, v32
	v_lshlrev_b64 v[90:91], 3, v[0:1]
	v_add_co_u32_e64 v90, s[36:37], s64, v90
	v_addc_co_u32_e64 v91, s[36:37], v23, v91, s[36:37]
	s_waitcnt lgkmcnt(0)
	global_store_dwordx2 v[90:91], v[20:21], off
	s_or_b64 exec, exec, s[38:39]
	s_and_saveexec_b64 s[36:37], vcc
	s_cbranch_execnz .LBB1665_183
	s_branch .LBB1665_184
.LBB1665_176:                           ;   in Loop: Header=BB1665_74 Depth=2
	s_or_b64 exec, exec, s[52:53]
	s_and_saveexec_b64 s[48:49], s[46:47]
	s_cbranch_execz .LBB1665_170
.LBB1665_177:                           ;   in Loop: Header=BB1665_74 Depth=2
	v_lshlrev_b32_e32 v0, 2, v73
	ds_read_b32 v0, v0
	v_add_u32_e32 v20, v30, v50
	ds_read_b64 v[20:21], v20 offset:2048
	v_mov_b32_e32 v23, s65
	s_waitcnt lgkmcnt(1)
	v_add_u32_e32 v0, v0, v24
	v_lshlrev_b64 v[90:91], 3, v[0:1]
	v_add_co_u32_e64 v90, s[46:47], s64, v90
	v_addc_co_u32_e64 v91, s[46:47], v23, v91, s[46:47]
	s_waitcnt lgkmcnt(0)
	global_store_dwordx2 v[90:91], v[20:21], off
	s_or_b64 exec, exec, s[48:49]
	s_and_saveexec_b64 s[46:47], s[44:45]
	s_cbranch_execnz .LBB1665_171
.LBB1665_178:                           ;   in Loop: Header=BB1665_74 Depth=2
	s_or_b64 exec, exec, s[46:47]
	s_and_saveexec_b64 s[44:45], s[42:43]
	s_cbranch_execz .LBB1665_172
.LBB1665_179:                           ;   in Loop: Header=BB1665_74 Depth=2
	v_lshlrev_b32_e32 v0, 2, v70
	ds_read_b32 v0, v0
	v_add_u32_e32 v20, v30, v50
	ds_read_b64 v[20:21], v20 offset:6144
	v_mov_b32_e32 v23, s65
	s_waitcnt lgkmcnt(1)
	v_add_u32_e32 v0, v0, v26
	v_lshlrev_b64 v[90:91], 3, v[0:1]
	v_add_co_u32_e64 v90, s[42:43], s64, v90
	v_addc_co_u32_e64 v91, s[42:43], v23, v91, s[42:43]
	s_waitcnt lgkmcnt(0)
	global_store_dwordx2 v[90:91], v[20:21], off
	s_or_b64 exec, exec, s[44:45]
	s_and_saveexec_b64 s[42:43], s[40:41]
	s_cbranch_execnz .LBB1665_173
.LBB1665_180:                           ;   in Loop: Header=BB1665_74 Depth=2
	s_or_b64 exec, exec, s[42:43]
	s_and_saveexec_b64 s[40:41], s[38:39]
	s_cbranch_execz .LBB1665_174
.LBB1665_181:                           ;   in Loop: Header=BB1665_74 Depth=2
	v_lshlrev_b32_e32 v0, 2, v68
	ds_read_b32 v0, v0
	v_add_u32_e32 v20, v30, v50
	ds_read_b64 v[20:21], v20 offset:10240
	v_mov_b32_e32 v23, s65
	s_waitcnt lgkmcnt(1)
	v_add_u32_e32 v0, v0, v31
	v_lshlrev_b64 v[90:91], 3, v[0:1]
	v_add_co_u32_e64 v90, s[38:39], s64, v90
	v_addc_co_u32_e64 v91, s[38:39], v23, v91, s[38:39]
	s_waitcnt lgkmcnt(0)
	global_store_dwordx2 v[90:91], v[20:21], off
	s_or_b64 exec, exec, s[40:41]
	s_and_saveexec_b64 s[38:39], s[36:37]
	s_cbranch_execnz .LBB1665_175
.LBB1665_182:                           ;   in Loop: Header=BB1665_74 Depth=2
	s_or_b64 exec, exec, s[38:39]
	s_and_saveexec_b64 s[36:37], vcc
	s_cbranch_execz .LBB1665_184
.LBB1665_183:                           ;   in Loop: Header=BB1665_74 Depth=2
	v_lshlrev_b32_e32 v0, 2, v66
	ds_read_b32 v0, v0
	v_add_u32_e32 v20, v30, v50
	ds_read_b64 v[20:21], v20 offset:14336
	v_mov_b32_e32 v23, s65
	s_waitcnt lgkmcnt(1)
	v_add_u32_e32 v0, v0, v33
	v_lshlrev_b64 v[90:91], 3, v[0:1]
	v_add_co_u32_e32 v90, vcc, s64, v90
	v_addc_co_u32_e32 v91, vcc, v23, v91, vcc
	s_waitcnt lgkmcnt(0)
	global_store_dwordx2 v[90:91], v[20:21], off
.LBB1665_184:                           ;   in Loop: Header=BB1665_74 Depth=2
	s_or_b64 exec, exec, s[36:37]
	s_barrier
	s_and_saveexec_b64 s[36:37], s[4:5]
	s_cbranch_execz .LBB1665_73
; %bb.185:                              ;   in Loop: Header=BB1665_74 Depth=2
	ds_read_b32 v0, v3
	s_waitcnt lgkmcnt(0)
	v_add_u32_e32 v0, v0, v22
	ds_write_b32 v3, v0
	s_branch .LBB1665_73
.LBB1665_186:                           ;   in Loop: Header=BB1665_20 Depth=1
	s_waitcnt lgkmcnt(0)
	s_barrier
	s_mov_b64 s[16:17], 0
.LBB1665_187:                           ;   in Loop: Header=BB1665_20 Depth=1
	s_and_b64 vcc, exec, s[16:17]
	s_cbranch_vccz .LBB1665_353
; %bb.188:                              ;   in Loop: Header=BB1665_20 Depth=1
	s_mov_b32 s20, s71
	s_mov_b32 s22, s51
	s_barrier
	s_waitcnt lgkmcnt(0)
                                        ; implicit-def: $vgpr0
                                        ; implicit-def: $vgpr6
                                        ; implicit-def: $vgpr7
                                        ; implicit-def: $vgpr8
                                        ; implicit-def: $vgpr9
                                        ; implicit-def: $vgpr10
                                        ; implicit-def: $vgpr11
                                        ; implicit-def: $vgpr12
	s_branch .LBB1665_190
.LBB1665_189:                           ;   in Loop: Header=BB1665_190 Depth=2
	s_or_b64 exec, exec, s[16:17]
	s_addk_i32 s20, 0xf800
	s_cmp_ge_u32 s21, s76
	s_mov_b32 s22, s21
	s_cbranch_scc1 .LBB1665_228
.LBB1665_190:                           ;   Parent Loop BB1665_20 Depth=1
                                        ; =>  This Inner Loop Header: Depth=2
	s_add_i32 s21, s22, 0x800
	s_cmp_gt_u32 s21, s76
	s_cbranch_scc1 .LBB1665_193
; %bb.191:                              ;   in Loop: Header=BB1665_190 Depth=2
	v_add_co_u32_e32 v4, vcc, s22, v51
	v_addc_co_u32_e32 v5, vcc, 0, v52, vcc
	global_load_ubyte v20, v[4:5], off offset:1536
	global_load_ubyte v19, v[4:5], off offset:1280
	;; [unrolled: 1-line block ×6, first 2 shown]
	global_load_ubyte v14, v[4:5], off
	v_add_co_u32_e32 v4, vcc, 0x700, v4
	v_addc_co_u32_e32 v5, vcc, 0, v5, vcc
	s_mov_b64 s[16:17], -1
	s_movk_i32 s25, 0x800
	s_cbranch_execz .LBB1665_194
; %bb.192:                              ;   in Loop: Header=BB1665_190 Depth=2
                                        ; implicit-def: $vgpr0
                                        ; implicit-def: $vgpr6
                                        ; implicit-def: $vgpr7
                                        ; implicit-def: $vgpr8
                                        ; implicit-def: $vgpr9
                                        ; implicit-def: $vgpr10
                                        ; implicit-def: $vgpr11
                                        ; implicit-def: $vgpr12
	v_mov_b32_e32 v13, s20
	s_and_saveexec_b64 s[18:19], s[16:17]
	s_cbranch_execnz .LBB1665_205
	s_branch .LBB1665_206
.LBB1665_193:                           ;   in Loop: Header=BB1665_190 Depth=2
	s_mov_b64 s[16:17], 0
                                        ; implicit-def: $sgpr25
                                        ; implicit-def: $vgpr14
                                        ; implicit-def: $vgpr15
                                        ; implicit-def: $vgpr16
                                        ; implicit-def: $vgpr17
                                        ; implicit-def: $vgpr18
                                        ; implicit-def: $vgpr19
                                        ; implicit-def: $vgpr20
                                        ; implicit-def: $vgpr4_vgpr5
.LBB1665_194:                           ;   in Loop: Header=BB1665_190 Depth=2
	s_add_u32 s23, s58, s22
	s_addc_u32 s24, s59, 0
	v_cmp_gt_u32_e32 vcc, s20, v2
	s_and_saveexec_b64 s[18:19], vcc
	s_cbranch_execz .LBB1665_222
; %bb.195:                              ;   in Loop: Header=BB1665_190 Depth=2
	v_mov_b32_e32 v0, s24
	v_add_co_u32_e32 v4, vcc, s23, v2
	v_addc_co_u32_e32 v5, vcc, 0, v0, vcc
	global_load_ubyte v0, v[4:5], off
	s_or_b64 exec, exec, s[18:19]
	v_cmp_gt_u32_e32 vcc, s20, v24
	s_and_saveexec_b64 s[18:19], vcc
	s_cbranch_execnz .LBB1665_223
.LBB1665_196:                           ;   in Loop: Header=BB1665_190 Depth=2
	s_or_b64 exec, exec, s[18:19]
	v_cmp_gt_u32_e32 vcc, s20, v25
	s_and_saveexec_b64 s[18:19], vcc
	s_cbranch_execz .LBB1665_224
.LBB1665_197:                           ;   in Loop: Header=BB1665_190 Depth=2
	v_mov_b32_e32 v5, s24
	v_add_co_u32_e32 v4, vcc, s23, v2
	v_addc_co_u32_e32 v5, vcc, 0, v5, vcc
	global_load_ubyte v7, v[4:5], off offset:512
	s_or_b64 exec, exec, s[18:19]
	v_cmp_gt_u32_e32 vcc, s20, v26
	s_and_saveexec_b64 s[18:19], vcc
	s_cbranch_execnz .LBB1665_225
.LBB1665_198:                           ;   in Loop: Header=BB1665_190 Depth=2
	s_or_b64 exec, exec, s[18:19]
	v_cmp_gt_u32_e32 vcc, s20, v30
	s_and_saveexec_b64 s[18:19], vcc
	s_cbranch_execz .LBB1665_226
.LBB1665_199:                           ;   in Loop: Header=BB1665_190 Depth=2
	v_mov_b32_e32 v5, s24
	v_add_co_u32_e32 v4, vcc, s23, v2
	v_addc_co_u32_e32 v5, vcc, 0, v5, vcc
	global_load_ubyte v9, v[4:5], off offset:1024
	s_or_b64 exec, exec, s[18:19]
	v_cmp_gt_u32_e32 vcc, s20, v31
	s_and_saveexec_b64 s[18:19], vcc
	s_cbranch_execnz .LBB1665_227
.LBB1665_200:                           ;   in Loop: Header=BB1665_190 Depth=2
	s_or_b64 exec, exec, s[18:19]
	v_cmp_gt_u32_e32 vcc, s20, v32
	s_and_saveexec_b64 s[18:19], vcc
	s_cbranch_execz .LBB1665_202
.LBB1665_201:                           ;   in Loop: Header=BB1665_190 Depth=2
	v_mov_b32_e32 v5, s24
	v_add_co_u32_e32 v4, vcc, s23, v2
	v_addc_co_u32_e32 v5, vcc, 0, v5, vcc
	global_load_ubyte v11, v[4:5], off offset:1536
.LBB1665_202:                           ;   in Loop: Header=BB1665_190 Depth=2
	s_or_b64 exec, exec, s[18:19]
	v_cmp_gt_u32_e32 vcc, s20, v33
                                        ; implicit-def: $sgpr25
                                        ; implicit-def: $vgpr4_vgpr5
	s_and_saveexec_b64 s[18:19], vcc
	s_cbranch_execz .LBB1665_204
; %bb.203:                              ;   in Loop: Header=BB1665_190 Depth=2
	v_mov_b32_e32 v4, s24
	v_add_co_u32_e32 v5, vcc, s23, v2
	s_waitcnt vmcnt(0)
	v_addc_co_u32_e32 v12, vcc, 0, v4, vcc
	v_add_co_u32_e32 v4, vcc, 0x700, v5
	s_sub_i32 s25, s76, s22
	v_addc_co_u32_e32 v5, vcc, 0, v12, vcc
	s_or_b64 s[16:17], s[16:17], exec
                                        ; implicit-def: $vgpr12
.LBB1665_204:                           ;   in Loop: Header=BB1665_190 Depth=2
	s_or_b64 exec, exec, s[18:19]
	s_waitcnt vmcnt(0)
	v_mov_b32_e32 v14, v0
	v_mov_b32_e32 v15, v6
	;; [unrolled: 1-line block ×8, first 2 shown]
	s_and_saveexec_b64 s[18:19], s[16:17]
	s_cbranch_execz .LBB1665_206
.LBB1665_205:                           ;   in Loop: Header=BB1665_190 Depth=2
	global_load_ubyte v12, v[4:5], off
	v_mov_b32_e32 v13, s25
	s_waitcnt vmcnt(1)
	v_mov_b32_e32 v0, v14
	v_mov_b32_e32 v6, v15
	v_mov_b32_e32 v7, v16
	v_mov_b32_e32 v8, v17
	v_mov_b32_e32 v9, v18
	v_mov_b32_e32 v10, v19
	v_mov_b32_e32 v11, v20
.LBB1665_206:                           ;   in Loop: Header=BB1665_190 Depth=2
	s_or_b64 exec, exec, s[18:19]
	v_cmp_lt_u32_e32 vcc, v2, v13
	s_and_saveexec_b64 s[16:17], vcc
	s_cbranch_execz .LBB1665_214
; %bb.207:                              ;   in Loop: Header=BB1665_190 Depth=2
	v_and_b32_e32 v4, 1, v0
	v_lshrrev_b32_e32 v4, s68, v4
	v_and_b32_e32 v4, s77, v4
	v_lshlrev_b32_e32 v5, 2, v27
	v_lshl_or_b32 v4, v4, 4, v5
	ds_add_u32 v4, v63
	s_or_b64 exec, exec, s[16:17]
	v_cmp_lt_u32_e32 vcc, v24, v13
	s_and_saveexec_b64 s[16:17], vcc
	s_cbranch_execnz .LBB1665_215
.LBB1665_208:                           ;   in Loop: Header=BB1665_190 Depth=2
	s_or_b64 exec, exec, s[16:17]
	v_cmp_lt_u32_e32 vcc, v25, v13
	s_and_saveexec_b64 s[16:17], vcc
	s_cbranch_execz .LBB1665_216
.LBB1665_209:                           ;   in Loop: Header=BB1665_190 Depth=2
	v_and_b32_e32 v4, 1, v7
	v_lshrrev_b32_e32 v4, s68, v4
	v_and_b32_e32 v4, s77, v4
	v_lshlrev_b32_e32 v5, 2, v27
	v_lshl_or_b32 v4, v4, 4, v5
	ds_add_u32 v4, v63
	s_or_b64 exec, exec, s[16:17]
	v_cmp_lt_u32_e32 vcc, v26, v13
	s_and_saveexec_b64 s[16:17], vcc
	s_cbranch_execnz .LBB1665_217
.LBB1665_210:                           ;   in Loop: Header=BB1665_190 Depth=2
	s_or_b64 exec, exec, s[16:17]
	v_cmp_lt_u32_e32 vcc, v30, v13
	s_and_saveexec_b64 s[16:17], vcc
	s_cbranch_execz .LBB1665_218
.LBB1665_211:                           ;   in Loop: Header=BB1665_190 Depth=2
	v_and_b32_e32 v4, 1, v9
	v_lshrrev_b32_e32 v4, s68, v4
	v_and_b32_e32 v4, s77, v4
	v_lshlrev_b32_e32 v5, 2, v27
	v_lshl_or_b32 v4, v4, 4, v5
	ds_add_u32 v4, v63
	s_or_b64 exec, exec, s[16:17]
	v_cmp_lt_u32_e32 vcc, v31, v13
	s_and_saveexec_b64 s[16:17], vcc
	s_cbranch_execnz .LBB1665_219
.LBB1665_212:                           ;   in Loop: Header=BB1665_190 Depth=2
	s_or_b64 exec, exec, s[16:17]
	v_cmp_lt_u32_e32 vcc, v32, v13
	s_and_saveexec_b64 s[16:17], vcc
	s_cbranch_execz .LBB1665_220
.LBB1665_213:                           ;   in Loop: Header=BB1665_190 Depth=2
	v_and_b32_e32 v4, 1, v11
	v_lshrrev_b32_e32 v4, s68, v4
	v_and_b32_e32 v4, s77, v4
	v_lshlrev_b32_e32 v5, 2, v27
	v_lshl_or_b32 v4, v4, 4, v5
	ds_add_u32 v4, v63
	s_or_b64 exec, exec, s[16:17]
	v_cmp_lt_u32_e32 vcc, v33, v13
	s_and_saveexec_b64 s[16:17], vcc
	s_cbranch_execz .LBB1665_189
	s_branch .LBB1665_221
.LBB1665_214:                           ;   in Loop: Header=BB1665_190 Depth=2
	s_or_b64 exec, exec, s[16:17]
	v_cmp_lt_u32_e32 vcc, v24, v13
	s_and_saveexec_b64 s[16:17], vcc
	s_cbranch_execz .LBB1665_208
.LBB1665_215:                           ;   in Loop: Header=BB1665_190 Depth=2
	v_and_b32_e32 v4, 1, v6
	v_lshrrev_b32_e32 v4, s68, v4
	v_and_b32_e32 v4, s77, v4
	v_lshlrev_b32_e32 v5, 2, v27
	v_lshl_or_b32 v4, v4, 4, v5
	ds_add_u32 v4, v63
	s_or_b64 exec, exec, s[16:17]
	v_cmp_lt_u32_e32 vcc, v25, v13
	s_and_saveexec_b64 s[16:17], vcc
	s_cbranch_execnz .LBB1665_209
.LBB1665_216:                           ;   in Loop: Header=BB1665_190 Depth=2
	s_or_b64 exec, exec, s[16:17]
	v_cmp_lt_u32_e32 vcc, v26, v13
	s_and_saveexec_b64 s[16:17], vcc
	s_cbranch_execz .LBB1665_210
.LBB1665_217:                           ;   in Loop: Header=BB1665_190 Depth=2
	v_and_b32_e32 v4, 1, v8
	v_lshrrev_b32_e32 v4, s68, v4
	v_and_b32_e32 v4, s77, v4
	v_lshlrev_b32_e32 v5, 2, v27
	v_lshl_or_b32 v4, v4, 4, v5
	ds_add_u32 v4, v63
	s_or_b64 exec, exec, s[16:17]
	v_cmp_lt_u32_e32 vcc, v30, v13
	s_and_saveexec_b64 s[16:17], vcc
	s_cbranch_execnz .LBB1665_211
.LBB1665_218:                           ;   in Loop: Header=BB1665_190 Depth=2
	s_or_b64 exec, exec, s[16:17]
	v_cmp_lt_u32_e32 vcc, v31, v13
	s_and_saveexec_b64 s[16:17], vcc
	s_cbranch_execz .LBB1665_212
.LBB1665_219:                           ;   in Loop: Header=BB1665_190 Depth=2
	v_and_b32_e32 v4, 1, v10
	v_lshrrev_b32_e32 v4, s68, v4
	v_and_b32_e32 v4, s77, v4
	v_lshlrev_b32_e32 v5, 2, v27
	v_lshl_or_b32 v4, v4, 4, v5
	ds_add_u32 v4, v63
	s_or_b64 exec, exec, s[16:17]
	v_cmp_lt_u32_e32 vcc, v32, v13
	s_and_saveexec_b64 s[16:17], vcc
	s_cbranch_execnz .LBB1665_213
.LBB1665_220:                           ;   in Loop: Header=BB1665_190 Depth=2
	s_or_b64 exec, exec, s[16:17]
	v_cmp_lt_u32_e32 vcc, v33, v13
	s_and_saveexec_b64 s[16:17], vcc
	s_cbranch_execz .LBB1665_189
.LBB1665_221:                           ;   in Loop: Header=BB1665_190 Depth=2
	s_waitcnt vmcnt(0)
	v_and_b32_e32 v4, 1, v12
	v_lshrrev_b32_e32 v4, s68, v4
	v_and_b32_e32 v4, s77, v4
	v_lshlrev_b32_e32 v5, 2, v27
	v_lshl_or_b32 v4, v4, 4, v5
	ds_add_u32 v4, v63
	s_branch .LBB1665_189
.LBB1665_222:                           ;   in Loop: Header=BB1665_190 Depth=2
	s_or_b64 exec, exec, s[18:19]
	v_cmp_gt_u32_e32 vcc, s20, v24
	s_and_saveexec_b64 s[18:19], vcc
	s_cbranch_execz .LBB1665_196
.LBB1665_223:                           ;   in Loop: Header=BB1665_190 Depth=2
	v_mov_b32_e32 v5, s24
	v_add_co_u32_e32 v4, vcc, s23, v2
	v_addc_co_u32_e32 v5, vcc, 0, v5, vcc
	global_load_ubyte v6, v[4:5], off offset:256
	s_or_b64 exec, exec, s[18:19]
	v_cmp_gt_u32_e32 vcc, s20, v25
	s_and_saveexec_b64 s[18:19], vcc
	s_cbranch_execnz .LBB1665_197
.LBB1665_224:                           ;   in Loop: Header=BB1665_190 Depth=2
	s_or_b64 exec, exec, s[18:19]
	v_cmp_gt_u32_e32 vcc, s20, v26
	s_and_saveexec_b64 s[18:19], vcc
	s_cbranch_execz .LBB1665_198
.LBB1665_225:                           ;   in Loop: Header=BB1665_190 Depth=2
	v_mov_b32_e32 v5, s24
	v_add_co_u32_e32 v4, vcc, s23, v2
	v_addc_co_u32_e32 v5, vcc, 0, v5, vcc
	global_load_ubyte v8, v[4:5], off offset:768
	s_or_b64 exec, exec, s[18:19]
	v_cmp_gt_u32_e32 vcc, s20, v30
	s_and_saveexec_b64 s[18:19], vcc
	s_cbranch_execnz .LBB1665_199
.LBB1665_226:                           ;   in Loop: Header=BB1665_190 Depth=2
	s_or_b64 exec, exec, s[18:19]
	v_cmp_gt_u32_e32 vcc, s20, v31
	s_and_saveexec_b64 s[18:19], vcc
	s_cbranch_execz .LBB1665_200
.LBB1665_227:                           ;   in Loop: Header=BB1665_190 Depth=2
	v_mov_b32_e32 v5, s24
	v_add_co_u32_e32 v4, vcc, s23, v2
	v_addc_co_u32_e32 v5, vcc, 0, v5, vcc
	global_load_ubyte v10, v[4:5], off offset:1280
	s_or_b64 exec, exec, s[18:19]
	v_cmp_gt_u32_e32 vcc, s20, v32
	s_and_saveexec_b64 s[18:19], vcc
	s_cbranch_execz .LBB1665_202
	s_branch .LBB1665_201
.LBB1665_228:                           ;   in Loop: Header=BB1665_20 Depth=1
	v_mov_b32_e32 v0, 0
	s_waitcnt lgkmcnt(0)
	s_barrier
	s_and_saveexec_b64 s[16:17], s[4:5]
	s_cbranch_execz .LBB1665_230
; %bb.229:                              ;   in Loop: Header=BB1665_20 Depth=1
	ds_read2_b64 v[4:7], v34 offset1:1
	s_waitcnt lgkmcnt(0)
	v_add_u32_e32 v0, v5, v4
	v_add3_u32 v0, v0, v6, v7
.LBB1665_230:                           ;   in Loop: Header=BB1665_20 Depth=1
	s_or_b64 exec, exec, s[16:17]
	v_and_b32_e32 v4, 15, v64
	v_mov_b32_dpp v5, v0 row_shr:1 row_mask:0xf bank_mask:0xf
	v_cmp_eq_u32_e64 s[16:17], 0, v4
	v_cndmask_b32_e64 v5, v5, 0, s[16:17]
	v_add_u32_e32 v0, v5, v0
	v_cmp_lt_u32_e64 s[18:19], 1, v4
	v_cmp_lt_u32_e64 s[20:21], 3, v4
	v_mov_b32_dpp v5, v0 row_shr:2 row_mask:0xf bank_mask:0xf
	v_cndmask_b32_e64 v5, 0, v5, s[18:19]
	v_add_u32_e32 v0, v0, v5
	v_cmp_lt_u32_e64 s[22:23], 7, v4
	v_cmp_lt_u32_e64 s[26:27], 31, v64
	v_mov_b32_dpp v5, v0 row_shr:4 row_mask:0xf bank_mask:0xf
	v_cndmask_b32_e64 v5, 0, v5, s[20:21]
	v_add_u32_e32 v0, v0, v5
	v_and_b32_e32 v6, 16, v64
	v_cmp_eq_u32_e64 s[24:25], 0, v6
	v_mov_b32_dpp v5, v0 row_shr:8 row_mask:0xf bank_mask:0xf
	v_cndmask_b32_e64 v4, 0, v5, s[22:23]
	v_add_u32_e32 v0, v0, v4
	v_bfe_i32 v5, v64, 4, 1
	s_nop 0
	v_mov_b32_dpp v4, v0 row_bcast:15 row_mask:0xf bank_mask:0xf
	v_and_b32_e32 v4, v5, v4
	v_add_u32_e32 v0, v0, v4
	s_nop 1
	v_mov_b32_dpp v4, v0 row_bcast:31 row_mask:0xf bank_mask:0xf
	v_cndmask_b32_e64 v4, 0, v4, s[26:27]
	v_add_u32_e32 v4, v0, v4
	s_and_saveexec_b64 s[28:29], s[6:7]
	s_cbranch_execz .LBB1665_232
; %bb.231:                              ;   in Loop: Header=BB1665_20 Depth=1
	ds_write_b32 v36, v4
.LBB1665_232:                           ;   in Loop: Header=BB1665_20 Depth=1
	s_or_b64 exec, exec, s[28:29]
	v_and_b32_e32 v0, 3, v64
	s_waitcnt lgkmcnt(0)
	s_barrier
	s_and_saveexec_b64 s[28:29], s[8:9]
	s_cbranch_execz .LBB1665_234
; %bb.233:                              ;   in Loop: Header=BB1665_20 Depth=1
	ds_read_b32 v5, v37
	v_cmp_ne_u32_e32 vcc, 0, v0
	s_waitcnt lgkmcnt(0)
	v_mov_b32_dpp v6, v5 row_shr:1 row_mask:0xf bank_mask:0xf
	v_cndmask_b32_e32 v6, 0, v6, vcc
	v_add_u32_e32 v5, v6, v5
	v_cmp_lt_u32_e32 vcc, 1, v0
	s_nop 0
	v_mov_b32_dpp v6, v5 row_shr:2 row_mask:0xf bank_mask:0xf
	v_cndmask_b32_e32 v6, 0, v6, vcc
	v_add_u32_e32 v5, v5, v6
	ds_write_b32 v37, v5
.LBB1665_234:                           ;   in Loop: Header=BB1665_20 Depth=1
	s_or_b64 exec, exec, s[28:29]
	v_mov_b32_e32 v5, 0
	s_waitcnt lgkmcnt(0)
	s_barrier
	s_and_saveexec_b64 s[28:29], s[10:11]
	s_cbranch_execz .LBB1665_236
; %bb.235:                              ;   in Loop: Header=BB1665_20 Depth=1
	ds_read_b32 v5, v38
.LBB1665_236:                           ;   in Loop: Header=BB1665_20 Depth=1
	s_or_b64 exec, exec, s[28:29]
	v_add_u32_e32 v6, -1, v64
	v_and_b32_e32 v7, 64, v64
	v_cmp_lt_i32_e32 vcc, v6, v7
	v_cndmask_b32_e32 v6, v6, v64, vcc
	s_waitcnt lgkmcnt(0)
	v_add_u32_e32 v4, v5, v4
	v_lshlrev_b32_e32 v65, 2, v6
	ds_bpermute_b32 v4, v65, v4
	v_cmp_eq_u32_e64 s[28:29], 0, v64
	s_waitcnt lgkmcnt(0)
	s_barrier
	s_and_saveexec_b64 s[30:31], s[4:5]
	s_cbranch_execz .LBB1665_238
; %bb.237:                              ;   in Loop: Header=BB1665_20 Depth=1
	v_cndmask_b32_e64 v4, v4, v5, s[28:29]
	v_add_u32_e32 v4, s51, v4
	ds_write_b32 v3, v4
.LBB1665_238:                           ;   in Loop: Header=BB1665_20 Depth=1
	s_or_b64 exec, exec, s[30:31]
	s_load_dwordx2 s[30:31], s[74:75], 0x0
	s_mov_b32 s78, s71
	s_mov_b32 s72, s51
                                        ; implicit-def: $vgpr4_vgpr5
                                        ; implicit-def: $vgpr6_vgpr7
                                        ; implicit-def: $vgpr8_vgpr9
                                        ; implicit-def: $vgpr10_vgpr11
                                        ; implicit-def: $vgpr12_vgpr13
                                        ; implicit-def: $vgpr14_vgpr15
                                        ; implicit-def: $vgpr16_vgpr17
                                        ; implicit-def: $vgpr18_vgpr19
                                        ; implicit-def: $vgpr66
                                        ; implicit-def: $vgpr67
                                        ; implicit-def: $vgpr68
                                        ; implicit-def: $vgpr69
                                        ; implicit-def: $vgpr70
                                        ; implicit-def: $vgpr71
                                        ; implicit-def: $vgpr73
                                        ; implicit-def: $vgpr75
	s_waitcnt lgkmcnt(0)
	s_cmp_lt_u32 s50, s30
	s_cselect_b32 s34, 12, 18
	s_cmp_lt_u32 s33, s31
	s_cselect_b32 s30, 14, 20
	s_add_u32 s30, s74, s30
	s_addc_u32 s31, s75, 0
	s_add_u32 s34, s74, s34
	global_load_ushort v20, v1, s[30:31]
	s_addc_u32 s35, s75, 0
	global_load_ushort v21, v1, s[34:35]
	v_cmp_eq_u32_e64 s[30:31], 0, v0
	v_cmp_lt_u32_e64 s[34:35], 1, v0
	v_and_b32_e32 v0, 63, v64
	v_add_co_u32_e32 v74, vcc, v55, v0
	v_lshlrev_b32_e32 v22, 3, v0
	v_addc_co_u32_e32 v76, vcc, 0, v56, vcc
	v_add_co_u32_e32 v77, vcc, v53, v22
	v_or_b32_e32 v72, v0, v39
	v_addc_co_u32_e32 v78, vcc, 0, v54, vcc
	v_add_co_u32_e32 v86, vcc, 0x1c0, v74
	v_or_b32_e32 v79, 64, v72
	v_or_b32_e32 v80, 0x80, v72
	;; [unrolled: 1-line block ×7, first 2 shown]
	v_addc_co_u32_e32 v87, vcc, 0, v76, vcc
	s_waitcnt vmcnt(1)
	v_mad_u32_u24 v0, v40, v20, v41
	s_waitcnt vmcnt(0)
	v_mad_u64_u32 v[20:21], s[36:37], v0, v21, v[2:3]
	v_lshrrev_b32_e32 v88, 6, v20
	s_branch .LBB1665_240
.LBB1665_239:                           ;   in Loop: Header=BB1665_240 Depth=2
	s_or_b64 exec, exec, s[36:37]
	s_addk_i32 s78, 0xf800
	s_cmp_lt_u32 s79, s76
	s_mov_b32 s72, s79
	s_cbranch_scc0 .LBB1665_352
.LBB1665_240:                           ;   Parent Loop BB1665_20 Depth=1
                                        ; =>  This Inner Loop Header: Depth=2
	s_add_i32 s79, s72, 0x800
	s_cmp_gt_u32 s79, s76
	s_cbranch_scc1 .LBB1665_243
; %bb.241:                              ;   in Loop: Header=BB1665_240 Depth=2
	v_add_co_u32_e32 v20, vcc, s72, v74
	v_addc_co_u32_e32 v21, vcc, 0, v76, vcc
	global_load_ubyte v89, v[20:21], off
	global_load_ubyte v90, v[20:21], off offset:64
	global_load_ubyte v91, v[20:21], off offset:128
	;; [unrolled: 1-line block ×6, first 2 shown]
	s_mov_b64 s[36:37], -1
	s_movk_i32 s40, 0x800
	s_cbranch_execz .LBB1665_244
; %bb.242:                              ;   in Loop: Header=BB1665_240 Depth=2
                                        ; implicit-def: $sgpr38
	v_mov_b32_e32 v96, s38
	v_mov_b32_e32 v0, s78
	s_and_saveexec_b64 s[38:39], s[36:37]
	s_cbranch_execnz .LBB1665_259
	s_branch .LBB1665_260
.LBB1665_243:                           ;   in Loop: Header=BB1665_240 Depth=2
	s_mov_b64 s[36:37], 0
                                        ; implicit-def: $sgpr40
                                        ; implicit-def: $vgpr89
                                        ; implicit-def: $vgpr90
                                        ; implicit-def: $vgpr91
                                        ; implicit-def: $vgpr92
                                        ; implicit-def: $vgpr93
                                        ; implicit-def: $vgpr94
                                        ; implicit-def: $vgpr95
.LBB1665_244:                           ;   in Loop: Header=BB1665_240 Depth=2
	v_add_co_u32_e32 v20, vcc, s72, v74
	v_addc_co_u32_e32 v21, vcc, 0, v76, vcc
	v_cmp_gt_u32_e32 vcc, s78, v72
	s_waitcnt vmcnt(5)
	v_mov_b32_e32 v90, 1
	v_mov_b32_e32 v89, 1
	s_and_saveexec_b64 s[36:37], vcc
	s_cbranch_execz .LBB1665_246
; %bb.245:                              ;   in Loop: Header=BB1665_240 Depth=2
	global_load_ubyte v89, v[20:21], off
.LBB1665_246:                           ;   in Loop: Header=BB1665_240 Depth=2
	s_or_b64 exec, exec, s[36:37]
	v_cmp_gt_u32_e32 vcc, s78, v79
	s_and_saveexec_b64 s[36:37], vcc
	s_cbranch_execz .LBB1665_248
; %bb.247:                              ;   in Loop: Header=BB1665_240 Depth=2
	global_load_ubyte v90, v[20:21], off offset:64
.LBB1665_248:                           ;   in Loop: Header=BB1665_240 Depth=2
	s_or_b64 exec, exec, s[36:37]
	v_cmp_gt_u32_e32 vcc, s78, v80
	s_waitcnt vmcnt(3)
	v_mov_b32_e32 v92, 1
	v_mov_b32_e32 v91, 1
	s_and_saveexec_b64 s[36:37], vcc
	s_cbranch_execz .LBB1665_250
; %bb.249:                              ;   in Loop: Header=BB1665_240 Depth=2
	global_load_ubyte v91, v[20:21], off offset:128
.LBB1665_250:                           ;   in Loop: Header=BB1665_240 Depth=2
	s_or_b64 exec, exec, s[36:37]
	v_cmp_gt_u32_e32 vcc, s78, v81
	s_and_saveexec_b64 s[36:37], vcc
	s_cbranch_execz .LBB1665_252
; %bb.251:                              ;   in Loop: Header=BB1665_240 Depth=2
	global_load_ubyte v92, v[20:21], off offset:192
.LBB1665_252:                           ;   in Loop: Header=BB1665_240 Depth=2
	s_or_b64 exec, exec, s[36:37]
	v_cmp_gt_u32_e32 vcc, s78, v82
	s_waitcnt vmcnt(1)
	v_mov_b32_e32 v94, 1
	v_mov_b32_e32 v93, 1
	s_and_saveexec_b64 s[36:37], vcc
	s_cbranch_execz .LBB1665_254
; %bb.253:                              ;   in Loop: Header=BB1665_240 Depth=2
	global_load_ubyte v93, v[20:21], off offset:256
.LBB1665_254:                           ;   in Loop: Header=BB1665_240 Depth=2
	s_or_b64 exec, exec, s[36:37]
	v_cmp_gt_u32_e32 vcc, s78, v83
	s_and_saveexec_b64 s[36:37], vcc
	s_cbranch_execz .LBB1665_256
; %bb.255:                              ;   in Loop: Header=BB1665_240 Depth=2
	global_load_ubyte v94, v[20:21], off offset:320
.LBB1665_256:                           ;   in Loop: Header=BB1665_240 Depth=2
	s_or_b64 exec, exec, s[36:37]
	v_cmp_gt_u32_e32 vcc, s78, v84
	s_waitcnt vmcnt(0)
	v_mov_b32_e32 v95, 1
	s_and_saveexec_b64 s[36:37], vcc
	s_cbranch_execz .LBB1665_258
; %bb.257:                              ;   in Loop: Header=BB1665_240 Depth=2
	global_load_ubyte v95, v[20:21], off offset:384
.LBB1665_258:                           ;   in Loop: Header=BB1665_240 Depth=2
	s_or_b64 exec, exec, s[36:37]
	s_sub_i32 s40, s76, s72
	v_cmp_gt_u32_e64 s[36:37], s78, v85
	s_mov_b32 s38, 1
	v_mov_b32_e32 v96, s38
	v_mov_b32_e32 v0, s78
	s_and_saveexec_b64 s[38:39], s[36:37]
	s_cbranch_execz .LBB1665_260
.LBB1665_259:                           ;   in Loop: Header=BB1665_240 Depth=2
	v_mov_b32_e32 v0, s73
	v_add_co_u32_e32 v20, vcc, s72, v86
	v_addc_co_u32_e32 v21, vcc, v87, v0, vcc
	global_load_ubyte v96, v[20:21], off
	v_mov_b32_e32 v0, s40
.LBB1665_260:                           ;   in Loop: Header=BB1665_240 Depth=2
	s_or_b64 exec, exec, s[38:39]
	v_add_u32_e32 v20, 0x410, v42
	ds_write2_b32 v20, v1, v1 offset1:1
	ds_write2_b32 v44, v1, v1 offset0:2 offset1:3
	ds_write_b32 v44, v1 offset:16
	s_waitcnt vmcnt(6)
	v_lshrrev_b32_sdwa v20, s68, v89 dst_sel:DWORD dst_unused:UNUSED_PAD src0_sel:DWORD src1_sel:BYTE_0
	v_and_b32_e32 v20, s77, v20
	v_mad_u32_u24 v21, v20, 5, v88
	v_cmp_ne_u32_e32 vcc, 0, v20
	v_add_co_u32_e64 v20, s[36:37], -1, v20
	v_lshl_add_u32 v98, v21, 2, v43
	v_addc_co_u32_e64 v21, s[36:37], 0, -1, s[36:37]
	v_xor_b32_e32 v20, vcc_lo, v20
	v_xor_b32_e32 v21, vcc_hi, v21
	v_and_b32_e32 v20, exec_lo, v20
	v_and_b32_e32 v21, exec_hi, v21
	v_mbcnt_lo_u32_b32 v22, v20, 0
	v_mbcnt_hi_u32_b32 v97, v21, v22
	v_cmp_eq_u32_e32 vcc, 0, v97
	v_cmp_ne_u64_e64 s[36:37], 0, v[20:21]
	s_and_b64 s[38:39], s[36:37], vcc
	s_waitcnt lgkmcnt(0)
	s_barrier
	s_waitcnt lgkmcnt(0)
	; wave barrier
	s_and_saveexec_b64 s[36:37], s[38:39]
	s_cbranch_execz .LBB1665_262
; %bb.261:                              ;   in Loop: Header=BB1665_240 Depth=2
	v_bcnt_u32_b32 v20, v20, 0
	v_bcnt_u32_b32 v20, v21, v20
	ds_write_b32 v98, v20
.LBB1665_262:                           ;   in Loop: Header=BB1665_240 Depth=2
	s_or_b64 exec, exec, s[36:37]
	s_waitcnt vmcnt(5)
	v_lshrrev_b32_sdwa v20, s68, v90 dst_sel:DWORD dst_unused:UNUSED_PAD src0_sel:DWORD src1_sel:BYTE_0
	v_and_b32_e32 v20, s77, v20
	v_mul_u32_u24_e32 v21, 5, v20
	v_add_lshl_u32 v21, v21, v88, 2
	v_cmp_ne_u32_e32 vcc, 0, v20
	v_add_co_u32_e64 v20, s[36:37], -1, v20
	; wave barrier
	v_add_u32_e32 v101, 0x410, v21
	ds_read_b32 v99, v21 offset:1040
	v_addc_co_u32_e64 v21, s[36:37], 0, -1, s[36:37]
	v_xor_b32_e32 v20, vcc_lo, v20
	v_xor_b32_e32 v21, vcc_hi, v21
	v_and_b32_e32 v20, exec_lo, v20
	v_and_b32_e32 v21, exec_hi, v21
	v_mbcnt_lo_u32_b32 v22, v20, 0
	v_mbcnt_hi_u32_b32 v100, v21, v22
	v_cmp_eq_u32_e32 vcc, 0, v100
	v_cmp_ne_u64_e64 s[36:37], 0, v[20:21]
	s_and_b64 s[38:39], s[36:37], vcc
	; wave barrier
	s_and_saveexec_b64 s[36:37], s[38:39]
	s_cbranch_execz .LBB1665_264
; %bb.263:                              ;   in Loop: Header=BB1665_240 Depth=2
	v_bcnt_u32_b32 v20, v20, 0
	v_bcnt_u32_b32 v20, v21, v20
	s_waitcnt lgkmcnt(0)
	v_add_u32_e32 v20, v99, v20
	ds_write_b32 v101, v20
.LBB1665_264:                           ;   in Loop: Header=BB1665_240 Depth=2
	s_or_b64 exec, exec, s[36:37]
	s_waitcnt vmcnt(4)
	v_lshrrev_b32_sdwa v20, s68, v91 dst_sel:DWORD dst_unused:UNUSED_PAD src0_sel:DWORD src1_sel:BYTE_0
	v_and_b32_e32 v20, s77, v20
	v_mul_u32_u24_e32 v21, 5, v20
	v_add_lshl_u32 v21, v21, v88, 2
	v_cmp_ne_u32_e32 vcc, 0, v20
	v_add_co_u32_e64 v20, s[36:37], -1, v20
	; wave barrier
	v_add_u32_e32 v102, 0x410, v21
	ds_read_b32 v104, v21 offset:1040
	v_addc_co_u32_e64 v21, s[36:37], 0, -1, s[36:37]
	v_xor_b32_e32 v20, vcc_lo, v20
	v_xor_b32_e32 v21, vcc_hi, v21
	v_and_b32_e32 v20, exec_lo, v20
	v_and_b32_e32 v21, exec_hi, v21
	v_mbcnt_lo_u32_b32 v22, v20, 0
	v_mbcnt_hi_u32_b32 v105, v21, v22
	v_cmp_eq_u32_e32 vcc, 0, v105
	v_cmp_ne_u64_e64 s[36:37], 0, v[20:21]
	s_and_b64 s[38:39], s[36:37], vcc
	; wave barrier
	s_and_saveexec_b64 s[36:37], s[38:39]
	s_cbranch_execz .LBB1665_266
; %bb.265:                              ;   in Loop: Header=BB1665_240 Depth=2
	v_bcnt_u32_b32 v20, v20, 0
	v_bcnt_u32_b32 v20, v21, v20
	s_waitcnt lgkmcnt(0)
	v_add_u32_e32 v20, v104, v20
	ds_write_b32 v102, v20
.LBB1665_266:                           ;   in Loop: Header=BB1665_240 Depth=2
	;; [unrolled: 31-line block ×6, first 2 shown]
	s_or_b64 exec, exec, s[36:37]
	v_lshrrev_b32_sdwa v20, s68, v96 dst_sel:DWORD dst_unused:UNUSED_PAD src0_sel:DWORD src1_sel:BYTE_0
	v_and_b32_e32 v20, s77, v20
	v_mul_u32_u24_e32 v21, 5, v20
	v_add_lshl_u32 v21, v21, v88, 2
	v_cmp_ne_u32_e32 vcc, 0, v20
	v_add_co_u32_e64 v20, s[36:37], -1, v20
	; wave barrier
	v_add_u32_e32 v119, 0x410, v21
	ds_read_b32 v117, v21 offset:1040
	v_addc_co_u32_e64 v21, s[36:37], 0, -1, s[36:37]
	v_xor_b32_e32 v20, vcc_lo, v20
	v_xor_b32_e32 v21, vcc_hi, v21
	v_and_b32_e32 v20, exec_lo, v20
	v_and_b32_e32 v21, exec_hi, v21
	v_mbcnt_lo_u32_b32 v22, v20, 0
	v_mbcnt_hi_u32_b32 v118, v21, v22
	v_cmp_eq_u32_e32 vcc, 0, v118
	v_cmp_ne_u64_e64 s[36:37], 0, v[20:21]
	s_and_b64 s[38:39], s[36:37], vcc
	; wave barrier
	s_and_saveexec_b64 s[36:37], s[38:39]
	s_cbranch_execz .LBB1665_276
; %bb.275:                              ;   in Loop: Header=BB1665_240 Depth=2
	v_bcnt_u32_b32 v20, v20, 0
	v_bcnt_u32_b32 v20, v21, v20
	s_waitcnt lgkmcnt(0)
	v_add_u32_e32 v20, v117, v20
	ds_write_b32 v119, v20
.LBB1665_276:                           ;   in Loop: Header=BB1665_240 Depth=2
	s_or_b64 exec, exec, s[36:37]
	; wave barrier
	s_waitcnt lgkmcnt(0)
	s_barrier
	ds_read_b32 v120, v42 offset:1040
	ds_read2_b32 v[22:23], v44 offset0:1 offset1:2
	ds_read2_b32 v[20:21], v44 offset0:3 offset1:4
	s_waitcnt lgkmcnt(1)
	v_add3_u32 v121, v22, v120, v23
	s_waitcnt lgkmcnt(0)
	v_add3_u32 v21, v121, v20, v21
	s_nop 1
	v_mov_b32_dpp v121, v21 row_shr:1 row_mask:0xf bank_mask:0xf
	v_cndmask_b32_e64 v121, v121, 0, s[16:17]
	v_add_u32_e32 v21, v121, v21
	s_nop 1
	v_mov_b32_dpp v121, v21 row_shr:2 row_mask:0xf bank_mask:0xf
	v_cndmask_b32_e64 v121, 0, v121, s[18:19]
	v_add_u32_e32 v21, v21, v121
	;; [unrolled: 4-line block ×4, first 2 shown]
	s_nop 1
	v_mov_b32_dpp v121, v21 row_bcast:15 row_mask:0xf bank_mask:0xf
	v_cndmask_b32_e64 v121, v121, 0, s[24:25]
	v_add_u32_e32 v21, v21, v121
	s_nop 1
	v_mov_b32_dpp v121, v21 row_bcast:31 row_mask:0xf bank_mask:0xf
	v_cndmask_b32_e64 v121, 0, v121, s[26:27]
	v_add_u32_e32 v21, v21, v121
	s_and_saveexec_b64 s[36:37], s[6:7]
	s_cbranch_execz .LBB1665_278
; %bb.277:                              ;   in Loop: Header=BB1665_240 Depth=2
	ds_write_b32 v35, v21 offset:1024
.LBB1665_278:                           ;   in Loop: Header=BB1665_240 Depth=2
	s_or_b64 exec, exec, s[36:37]
	s_waitcnt lgkmcnt(0)
	s_barrier
	s_and_saveexec_b64 s[36:37], s[8:9]
	s_cbranch_execz .LBB1665_280
; %bb.279:                              ;   in Loop: Header=BB1665_240 Depth=2
	v_add_u32_e32 v121, v42, v45
	ds_read_b32 v122, v121 offset:1024
	s_waitcnt lgkmcnt(0)
	s_nop 0
	v_mov_b32_dpp v123, v122 row_shr:1 row_mask:0xf bank_mask:0xf
	v_cndmask_b32_e64 v123, v123, 0, s[30:31]
	v_add_u32_e32 v122, v123, v122
	s_nop 1
	v_mov_b32_dpp v123, v122 row_shr:2 row_mask:0xf bank_mask:0xf
	v_cndmask_b32_e64 v123, 0, v123, s[34:35]
	v_add_u32_e32 v122, v122, v123
	ds_write_b32 v121, v122 offset:1024
.LBB1665_280:                           ;   in Loop: Header=BB1665_240 Depth=2
	s_or_b64 exec, exec, s[36:37]
	v_mov_b32_e32 v121, 0
	s_waitcnt lgkmcnt(0)
	s_barrier
	s_and_saveexec_b64 s[36:37], s[10:11]
	s_cbranch_execz .LBB1665_282
; %bb.281:                              ;   in Loop: Header=BB1665_240 Depth=2
	ds_read_b32 v121, v35 offset:1020
.LBB1665_282:                           ;   in Loop: Header=BB1665_240 Depth=2
	s_or_b64 exec, exec, s[36:37]
	s_waitcnt lgkmcnt(0)
	v_add_u32_e32 v21, v121, v21
	ds_bpermute_b32 v21, v65, v21
	s_waitcnt lgkmcnt(0)
	v_cndmask_b32_e64 v21, v21, v121, s[28:29]
	v_cndmask_b32_e64 v21, v21, 0, s[12:13]
	v_add_u32_e32 v120, v21, v120
	ds_write_b32 v42, v21 offset:1040
	v_add_u32_e32 v21, v120, v22
	v_add_u32_e32 v22, v21, v23
	;; [unrolled: 1-line block ×3, first 2 shown]
	ds_write2_b32 v44, v120, v21 offset0:1 offset1:2
	ds_write2_b32 v44, v22, v20 offset0:3 offset1:4
	s_waitcnt lgkmcnt(0)
	s_barrier
	ds_read_b32 v20, v101
	ds_read_b32 v21, v102
	;; [unrolled: 1-line block ×8, first 2 shown]
	ds_read_b32 v101, v42 offset:1040
	v_mov_b32_e32 v22, 0x800
	s_and_saveexec_b64 s[36:37], s[14:15]
	s_cbranch_execz .LBB1665_284
; %bb.283:                              ;   in Loop: Header=BB1665_240 Depth=2
	ds_read_b32 v22, v42 offset:1060
.LBB1665_284:                           ;   in Loop: Header=BB1665_240 Depth=2
	s_or_b64 exec, exec, s[36:37]
	s_waitcnt lgkmcnt(0)
	s_barrier
	s_and_saveexec_b64 s[36:37], s[4:5]
	s_cbranch_execz .LBB1665_286
; %bb.285:                              ;   in Loop: Header=BB1665_240 Depth=2
	ds_read_b32 v102, v3
	s_waitcnt lgkmcnt(0)
	v_sub_u32_e32 v101, v102, v101
	ds_write_b32 v3, v101
.LBB1665_286:                           ;   in Loop: Header=BB1665_240 Depth=2
	s_or_b64 exec, exec, s[36:37]
	v_add_u32_e32 v103, v98, v97
	v_add3_u32 v102, v100, v99, v20
	v_add3_u32 v101, v105, v104, v21
	;; [unrolled: 1-line block ×7, first 2 shown]
	v_cmp_lt_u32_e64 s[48:49], v2, v0
	ds_write_b8 v103, v89 offset:1024
	ds_write_b8 v102, v90 offset:1024
	;; [unrolled: 1-line block ×8, first 2 shown]
	s_waitcnt lgkmcnt(0)
	s_barrier
	s_and_saveexec_b64 s[36:37], s[48:49]
	s_cbranch_execz .LBB1665_294
; %bb.287:                              ;   in Loop: Header=BB1665_240 Depth=2
	ds_read_u8 v20, v2 offset:1024
	s_waitcnt lgkmcnt(0)
	v_and_b32_e32 v21, 1, v20
	v_lshrrev_b32_e32 v21, s68, v21
	v_and_b32_e32 v21, s77, v21
	v_lshlrev_b32_e32 v21, 2, v21
	ds_read_b32 v21, v21
	s_waitcnt lgkmcnt(0)
	v_add_u32_e32 v21, v21, v2
	global_store_byte v21, v20, s[60:61]
	s_or_b64 exec, exec, s[36:37]
	v_cmp_lt_u32_e64 s[46:47], v24, v0
	s_and_saveexec_b64 s[36:37], s[46:47]
	s_cbranch_execnz .LBB1665_295
.LBB1665_288:                           ;   in Loop: Header=BB1665_240 Depth=2
	s_or_b64 exec, exec, s[36:37]
	v_cmp_lt_u32_e64 s[44:45], v25, v0
	s_and_saveexec_b64 s[36:37], s[44:45]
	s_cbranch_execz .LBB1665_296
.LBB1665_289:                           ;   in Loop: Header=BB1665_240 Depth=2
	ds_read_u8 v20, v30 offset:512
	s_waitcnt lgkmcnt(0)
	v_and_b32_e32 v21, 1, v20
	v_lshrrev_b32_e32 v21, s68, v21
	v_and_b32_e32 v21, s77, v21
	v_lshlrev_b32_e32 v21, 2, v21
	ds_read_b32 v21, v21
	s_waitcnt lgkmcnt(0)
	v_add_u32_e32 v21, v21, v25
	global_store_byte v21, v20, s[60:61]
	s_or_b64 exec, exec, s[36:37]
	v_cmp_lt_u32_e64 s[42:43], v26, v0
	s_and_saveexec_b64 s[36:37], s[42:43]
	s_cbranch_execnz .LBB1665_297
.LBB1665_290:                           ;   in Loop: Header=BB1665_240 Depth=2
	s_or_b64 exec, exec, s[36:37]
	v_cmp_lt_u32_e64 s[40:41], v30, v0
	s_and_saveexec_b64 s[36:37], s[40:41]
	s_cbranch_execz .LBB1665_298
.LBB1665_291:                           ;   in Loop: Header=BB1665_240 Depth=2
	ds_read_u8 v20, v30 offset:1024
	s_waitcnt lgkmcnt(0)
	v_and_b32_e32 v21, 1, v20
	v_lshrrev_b32_e32 v21, s68, v21
	v_and_b32_e32 v21, s77, v21
	v_lshlrev_b32_e32 v21, 2, v21
	ds_read_b32 v21, v21
	s_waitcnt lgkmcnt(0)
	v_add_u32_e32 v21, v21, v30
	global_store_byte v21, v20, s[60:61]
	s_or_b64 exec, exec, s[36:37]
	v_cmp_lt_u32_e64 s[38:39], v31, v0
	s_and_saveexec_b64 s[36:37], s[38:39]
	s_cbranch_execnz .LBB1665_299
.LBB1665_292:                           ;   in Loop: Header=BB1665_240 Depth=2
	s_or_b64 exec, exec, s[36:37]
	v_cmp_lt_u32_e64 s[36:37], v32, v0
	s_and_saveexec_b64 s[52:53], s[36:37]
	s_cbranch_execz .LBB1665_300
.LBB1665_293:                           ;   in Loop: Header=BB1665_240 Depth=2
	ds_read_u8 v20, v30 offset:1536
	s_waitcnt lgkmcnt(0)
	v_and_b32_e32 v21, 1, v20
	v_lshrrev_b32_e32 v21, s68, v21
	v_and_b32_e32 v21, s77, v21
	v_lshlrev_b32_e32 v21, 2, v21
	ds_read_b32 v21, v21
	s_waitcnt lgkmcnt(0)
	v_add_u32_e32 v21, v21, v32
	global_store_byte v21, v20, s[60:61]
	s_or_b64 exec, exec, s[52:53]
	v_cmp_lt_u32_e32 vcc, v33, v0
	s_and_saveexec_b64 s[52:53], vcc
	s_cbranch_execnz .LBB1665_301
	s_branch .LBB1665_302
.LBB1665_294:                           ;   in Loop: Header=BB1665_240 Depth=2
	s_or_b64 exec, exec, s[36:37]
	v_cmp_lt_u32_e64 s[46:47], v24, v0
	s_and_saveexec_b64 s[36:37], s[46:47]
	s_cbranch_execz .LBB1665_288
.LBB1665_295:                           ;   in Loop: Header=BB1665_240 Depth=2
	ds_read_u8 v20, v30 offset:256
	s_waitcnt lgkmcnt(0)
	v_and_b32_e32 v21, 1, v20
	v_lshrrev_b32_e32 v21, s68, v21
	v_and_b32_e32 v21, s77, v21
	v_lshlrev_b32_e32 v21, 2, v21
	ds_read_b32 v21, v21
	s_waitcnt lgkmcnt(0)
	v_add_u32_e32 v21, v21, v24
	global_store_byte v21, v20, s[60:61]
	s_or_b64 exec, exec, s[36:37]
	v_cmp_lt_u32_e64 s[44:45], v25, v0
	s_and_saveexec_b64 s[36:37], s[44:45]
	s_cbranch_execnz .LBB1665_289
.LBB1665_296:                           ;   in Loop: Header=BB1665_240 Depth=2
	s_or_b64 exec, exec, s[36:37]
	v_cmp_lt_u32_e64 s[42:43], v26, v0
	s_and_saveexec_b64 s[36:37], s[42:43]
	s_cbranch_execz .LBB1665_290
.LBB1665_297:                           ;   in Loop: Header=BB1665_240 Depth=2
	ds_read_u8 v20, v30 offset:768
	s_waitcnt lgkmcnt(0)
	v_and_b32_e32 v21, 1, v20
	v_lshrrev_b32_e32 v21, s68, v21
	v_and_b32_e32 v21, s77, v21
	v_lshlrev_b32_e32 v21, 2, v21
	ds_read_b32 v21, v21
	s_waitcnt lgkmcnt(0)
	v_add_u32_e32 v21, v21, v26
	global_store_byte v21, v20, s[60:61]
	s_or_b64 exec, exec, s[36:37]
	v_cmp_lt_u32_e64 s[40:41], v30, v0
	s_and_saveexec_b64 s[36:37], s[40:41]
	s_cbranch_execnz .LBB1665_291
.LBB1665_298:                           ;   in Loop: Header=BB1665_240 Depth=2
	s_or_b64 exec, exec, s[36:37]
	v_cmp_lt_u32_e64 s[38:39], v31, v0
	s_and_saveexec_b64 s[36:37], s[38:39]
	s_cbranch_execz .LBB1665_292
.LBB1665_299:                           ;   in Loop: Header=BB1665_240 Depth=2
	ds_read_u8 v20, v30 offset:1280
	s_waitcnt lgkmcnt(0)
	v_and_b32_e32 v21, 1, v20
	v_lshrrev_b32_e32 v21, s68, v21
	v_and_b32_e32 v21, s77, v21
	v_lshlrev_b32_e32 v21, 2, v21
	ds_read_b32 v21, v21
	s_waitcnt lgkmcnt(0)
	v_add_u32_e32 v21, v21, v31
	global_store_byte v21, v20, s[60:61]
	s_or_b64 exec, exec, s[36:37]
	v_cmp_lt_u32_e64 s[36:37], v32, v0
	s_and_saveexec_b64 s[52:53], s[36:37]
	s_cbranch_execnz .LBB1665_293
.LBB1665_300:                           ;   in Loop: Header=BB1665_240 Depth=2
	s_or_b64 exec, exec, s[52:53]
	v_cmp_lt_u32_e32 vcc, v33, v0
	s_and_saveexec_b64 s[52:53], vcc
	s_cbranch_execz .LBB1665_302
.LBB1665_301:                           ;   in Loop: Header=BB1665_240 Depth=2
	ds_read_u8 v20, v30 offset:1792
	s_waitcnt lgkmcnt(0)
	v_and_b32_e32 v21, 1, v20
	v_lshrrev_b32_e32 v21, s68, v21
	v_and_b32_e32 v21, s77, v21
	v_lshlrev_b32_e32 v21, 2, v21
	ds_read_b32 v21, v21
	s_waitcnt lgkmcnt(0)
	v_add_u32_e32 v21, v21, v33
	global_store_byte v21, v20, s[60:61]
.LBB1665_302:                           ;   in Loop: Header=BB1665_240 Depth=2
	s_or_b64 exec, exec, s[52:53]
	s_lshl_b64 s[52:53], s[72:73], 3
	v_mov_b32_e32 v21, s53
	v_add_co_u32_e64 v20, s[52:53], s52, v77
	v_addc_co_u32_e64 v21, s[52:53], v78, v21, s[52:53]
	v_cmp_lt_u32_e64 s[52:53], v72, v0
	s_and_saveexec_b64 s[62:63], s[52:53]
	s_xor_b64 s[52:53], exec, s[62:63]
	s_cbranch_execz .LBB1665_318
; %bb.303:                              ;   in Loop: Header=BB1665_240 Depth=2
	global_load_dwordx2 v[18:19], v[20:21], off
	s_or_b64 exec, exec, s[52:53]
	v_cmp_lt_u32_e64 s[52:53], v79, v0
	s_and_saveexec_b64 s[62:63], s[52:53]
	s_cbranch_execnz .LBB1665_319
.LBB1665_304:                           ;   in Loop: Header=BB1665_240 Depth=2
	s_or_b64 exec, exec, s[62:63]
	v_cmp_lt_u32_e64 s[52:53], v80, v0
	s_and_saveexec_b64 s[62:63], s[52:53]
	s_cbranch_execz .LBB1665_320
.LBB1665_305:                           ;   in Loop: Header=BB1665_240 Depth=2
	global_load_dwordx2 v[14:15], v[20:21], off offset:1024
	s_or_b64 exec, exec, s[62:63]
	v_cmp_lt_u32_e64 s[52:53], v81, v0
	s_and_saveexec_b64 s[62:63], s[52:53]
	s_cbranch_execnz .LBB1665_321
.LBB1665_306:                           ;   in Loop: Header=BB1665_240 Depth=2
	s_or_b64 exec, exec, s[62:63]
	v_cmp_lt_u32_e64 s[52:53], v82, v0
	s_and_saveexec_b64 s[62:63], s[52:53]
	s_cbranch_execz .LBB1665_322
.LBB1665_307:                           ;   in Loop: Header=BB1665_240 Depth=2
	global_load_dwordx2 v[10:11], v[20:21], off offset:2048
	s_or_b64 exec, exec, s[62:63]
	v_cmp_lt_u32_e64 s[52:53], v83, v0
	s_and_saveexec_b64 s[62:63], s[52:53]
	s_cbranch_execnz .LBB1665_323
.LBB1665_308:                           ;   in Loop: Header=BB1665_240 Depth=2
	s_or_b64 exec, exec, s[62:63]
	v_cmp_lt_u32_e64 s[52:53], v84, v0
	s_and_saveexec_b64 s[62:63], s[52:53]
	s_cbranch_execz .LBB1665_324
.LBB1665_309:                           ;   in Loop: Header=BB1665_240 Depth=2
	global_load_dwordx2 v[6:7], v[20:21], off offset:3072
	s_or_b64 exec, exec, s[62:63]
	v_cmp_lt_u32_e64 s[52:53], v85, v0
	s_and_saveexec_b64 s[62:63], s[52:53]
	s_cbranch_execnz .LBB1665_325
.LBB1665_310:                           ;   in Loop: Header=BB1665_240 Depth=2
	s_or_b64 exec, exec, s[62:63]
	s_and_saveexec_b64 s[52:53], s[48:49]
	s_cbranch_execz .LBB1665_326
.LBB1665_311:                           ;   in Loop: Header=BB1665_240 Depth=2
	ds_read_u8 v0, v2 offset:1024
	s_waitcnt lgkmcnt(0)
	v_lshrrev_b32_e32 v0, s68, v0
	v_and_b32_e32 v75, s77, v0
	s_or_b64 exec, exec, s[52:53]
	s_and_saveexec_b64 s[52:53], s[46:47]
	s_cbranch_execnz .LBB1665_327
.LBB1665_312:                           ;   in Loop: Header=BB1665_240 Depth=2
	s_or_b64 exec, exec, s[52:53]
	s_and_saveexec_b64 s[52:53], s[44:45]
	s_cbranch_execz .LBB1665_328
.LBB1665_313:                           ;   in Loop: Header=BB1665_240 Depth=2
	ds_read_u8 v0, v30 offset:512
	s_waitcnt lgkmcnt(0)
	v_lshrrev_b32_e32 v0, s68, v0
	v_and_b32_e32 v71, s77, v0
	s_or_b64 exec, exec, s[52:53]
	s_and_saveexec_b64 s[52:53], s[42:43]
	s_cbranch_execnz .LBB1665_329
.LBB1665_314:                           ;   in Loop: Header=BB1665_240 Depth=2
	s_or_b64 exec, exec, s[52:53]
	s_and_saveexec_b64 s[52:53], s[40:41]
	s_cbranch_execz .LBB1665_330
.LBB1665_315:                           ;   in Loop: Header=BB1665_240 Depth=2
	ds_read_u8 v0, v30 offset:1024
	s_waitcnt lgkmcnt(0)
	v_lshrrev_b32_e32 v0, s68, v0
	v_and_b32_e32 v69, s77, v0
	s_or_b64 exec, exec, s[52:53]
	s_and_saveexec_b64 s[52:53], s[38:39]
	s_cbranch_execnz .LBB1665_331
.LBB1665_316:                           ;   in Loop: Header=BB1665_240 Depth=2
	s_or_b64 exec, exec, s[52:53]
	s_and_saveexec_b64 s[52:53], s[36:37]
	s_cbranch_execz .LBB1665_332
.LBB1665_317:                           ;   in Loop: Header=BB1665_240 Depth=2
	ds_read_u8 v0, v30 offset:1536
	s_waitcnt lgkmcnt(0)
	v_lshrrev_b32_e32 v0, s68, v0
	v_and_b32_e32 v67, s77, v0
	s_or_b64 exec, exec, s[52:53]
	s_and_saveexec_b64 s[52:53], vcc
	s_cbranch_execnz .LBB1665_333
	s_branch .LBB1665_334
.LBB1665_318:                           ;   in Loop: Header=BB1665_240 Depth=2
	s_or_b64 exec, exec, s[52:53]
	v_cmp_lt_u32_e64 s[52:53], v79, v0
	s_and_saveexec_b64 s[62:63], s[52:53]
	s_cbranch_execz .LBB1665_304
.LBB1665_319:                           ;   in Loop: Header=BB1665_240 Depth=2
	global_load_dwordx2 v[16:17], v[20:21], off offset:512
	s_or_b64 exec, exec, s[62:63]
	v_cmp_lt_u32_e64 s[52:53], v80, v0
	s_and_saveexec_b64 s[62:63], s[52:53]
	s_cbranch_execnz .LBB1665_305
.LBB1665_320:                           ;   in Loop: Header=BB1665_240 Depth=2
	s_or_b64 exec, exec, s[62:63]
	v_cmp_lt_u32_e64 s[52:53], v81, v0
	s_and_saveexec_b64 s[62:63], s[52:53]
	s_cbranch_execz .LBB1665_306
.LBB1665_321:                           ;   in Loop: Header=BB1665_240 Depth=2
	global_load_dwordx2 v[12:13], v[20:21], off offset:1536
	s_or_b64 exec, exec, s[62:63]
	v_cmp_lt_u32_e64 s[52:53], v82, v0
	s_and_saveexec_b64 s[62:63], s[52:53]
	s_cbranch_execnz .LBB1665_307
.LBB1665_322:                           ;   in Loop: Header=BB1665_240 Depth=2
	s_or_b64 exec, exec, s[62:63]
	v_cmp_lt_u32_e64 s[52:53], v83, v0
	s_and_saveexec_b64 s[62:63], s[52:53]
	s_cbranch_execz .LBB1665_308
.LBB1665_323:                           ;   in Loop: Header=BB1665_240 Depth=2
	global_load_dwordx2 v[8:9], v[20:21], off offset:2560
	s_or_b64 exec, exec, s[62:63]
	v_cmp_lt_u32_e64 s[52:53], v84, v0
	s_and_saveexec_b64 s[62:63], s[52:53]
	s_cbranch_execnz .LBB1665_309
.LBB1665_324:                           ;   in Loop: Header=BB1665_240 Depth=2
	s_or_b64 exec, exec, s[62:63]
	v_cmp_lt_u32_e64 s[52:53], v85, v0
	s_and_saveexec_b64 s[62:63], s[52:53]
	s_cbranch_execz .LBB1665_310
.LBB1665_325:                           ;   in Loop: Header=BB1665_240 Depth=2
	global_load_dwordx2 v[4:5], v[20:21], off offset:3584
	s_or_b64 exec, exec, s[62:63]
	s_and_saveexec_b64 s[52:53], s[48:49]
	s_cbranch_execnz .LBB1665_311
.LBB1665_326:                           ;   in Loop: Header=BB1665_240 Depth=2
	s_or_b64 exec, exec, s[52:53]
	s_and_saveexec_b64 s[52:53], s[46:47]
	s_cbranch_execz .LBB1665_312
.LBB1665_327:                           ;   in Loop: Header=BB1665_240 Depth=2
	ds_read_u8 v0, v30 offset:256
	s_waitcnt lgkmcnt(0)
	v_lshrrev_b32_e32 v0, s68, v0
	v_and_b32_e32 v73, s77, v0
	s_or_b64 exec, exec, s[52:53]
	s_and_saveexec_b64 s[52:53], s[44:45]
	s_cbranch_execnz .LBB1665_313
.LBB1665_328:                           ;   in Loop: Header=BB1665_240 Depth=2
	s_or_b64 exec, exec, s[52:53]
	s_and_saveexec_b64 s[52:53], s[42:43]
	s_cbranch_execz .LBB1665_314
.LBB1665_329:                           ;   in Loop: Header=BB1665_240 Depth=2
	ds_read_u8 v0, v30 offset:768
	s_waitcnt lgkmcnt(0)
	v_lshrrev_b32_e32 v0, s68, v0
	v_and_b32_e32 v70, s77, v0
	s_or_b64 exec, exec, s[52:53]
	s_and_saveexec_b64 s[52:53], s[40:41]
	s_cbranch_execnz .LBB1665_315
.LBB1665_330:                           ;   in Loop: Header=BB1665_240 Depth=2
	s_or_b64 exec, exec, s[52:53]
	s_and_saveexec_b64 s[52:53], s[38:39]
	s_cbranch_execz .LBB1665_316
.LBB1665_331:                           ;   in Loop: Header=BB1665_240 Depth=2
	ds_read_u8 v0, v30 offset:1280
	s_waitcnt lgkmcnt(0)
	v_lshrrev_b32_e32 v0, s68, v0
	v_and_b32_e32 v68, s77, v0
	s_or_b64 exec, exec, s[52:53]
	s_and_saveexec_b64 s[52:53], s[36:37]
	s_cbranch_execnz .LBB1665_317
.LBB1665_332:                           ;   in Loop: Header=BB1665_240 Depth=2
	s_or_b64 exec, exec, s[52:53]
	s_and_saveexec_b64 s[52:53], vcc
	s_cbranch_execz .LBB1665_334
.LBB1665_333:                           ;   in Loop: Header=BB1665_240 Depth=2
	ds_read_u8 v0, v30 offset:1792
	s_waitcnt lgkmcnt(0)
	v_lshrrev_b32_e32 v0, s68, v0
	v_and_b32_e32 v66, s77, v0
.LBB1665_334:                           ;   in Loop: Header=BB1665_240 Depth=2
	s_or_b64 exec, exec, s[52:53]
	v_lshlrev_b32_e32 v0, 3, v103
	s_barrier
	s_waitcnt vmcnt(0)
	ds_write_b64 v0, v[18:19] offset:1024
	v_lshlrev_b32_e32 v0, 3, v102
	ds_write_b64 v0, v[16:17] offset:1024
	v_lshlrev_b32_e32 v0, 3, v101
	;; [unrolled: 2-line block ×7, first 2 shown]
	ds_write_b64 v0, v[4:5] offset:1024
	s_waitcnt lgkmcnt(0)
	s_barrier
	s_and_saveexec_b64 s[52:53], s[48:49]
	s_cbranch_execz .LBB1665_342
; %bb.335:                              ;   in Loop: Header=BB1665_240 Depth=2
	v_lshlrev_b32_e32 v0, 2, v75
	ds_read_b32 v0, v0
	v_add_u32_e32 v20, v2, v50
	ds_read_b64 v[20:21], v20 offset:1024
	v_mov_b32_e32 v23, s67
	s_waitcnt lgkmcnt(1)
	v_add_u32_e32 v0, v0, v2
	v_lshlrev_b64 v[90:91], 3, v[0:1]
	v_add_co_u32_e64 v90, s[48:49], s66, v90
	v_addc_co_u32_e64 v91, s[48:49], v23, v91, s[48:49]
	s_waitcnt lgkmcnt(0)
	global_store_dwordx2 v[90:91], v[20:21], off
	s_or_b64 exec, exec, s[52:53]
	s_and_saveexec_b64 s[48:49], s[46:47]
	s_cbranch_execnz .LBB1665_343
.LBB1665_336:                           ;   in Loop: Header=BB1665_240 Depth=2
	s_or_b64 exec, exec, s[48:49]
	s_and_saveexec_b64 s[46:47], s[44:45]
	s_cbranch_execz .LBB1665_344
.LBB1665_337:                           ;   in Loop: Header=BB1665_240 Depth=2
	v_lshlrev_b32_e32 v0, 2, v71
	ds_read_b32 v0, v0
	v_add_u32_e32 v20, v30, v50
	ds_read_b64 v[20:21], v20 offset:4096
	v_mov_b32_e32 v23, s67
	s_waitcnt lgkmcnt(1)
	v_add_u32_e32 v0, v0, v25
	v_lshlrev_b64 v[90:91], 3, v[0:1]
	v_add_co_u32_e64 v90, s[44:45], s66, v90
	v_addc_co_u32_e64 v91, s[44:45], v23, v91, s[44:45]
	s_waitcnt lgkmcnt(0)
	global_store_dwordx2 v[90:91], v[20:21], off
	s_or_b64 exec, exec, s[46:47]
	s_and_saveexec_b64 s[44:45], s[42:43]
	s_cbranch_execnz .LBB1665_345
.LBB1665_338:                           ;   in Loop: Header=BB1665_240 Depth=2
	s_or_b64 exec, exec, s[44:45]
	s_and_saveexec_b64 s[42:43], s[40:41]
	s_cbranch_execz .LBB1665_346
.LBB1665_339:                           ;   in Loop: Header=BB1665_240 Depth=2
	v_lshlrev_b32_e32 v0, 2, v69
	ds_read_b32 v0, v0
	v_add_u32_e32 v20, v30, v50
	ds_read_b64 v[20:21], v20 offset:8192
	v_mov_b32_e32 v23, s67
	s_waitcnt lgkmcnt(1)
	v_add_u32_e32 v0, v0, v30
	v_lshlrev_b64 v[90:91], 3, v[0:1]
	v_add_co_u32_e64 v90, s[40:41], s66, v90
	v_addc_co_u32_e64 v91, s[40:41], v23, v91, s[40:41]
	s_waitcnt lgkmcnt(0)
	global_store_dwordx2 v[90:91], v[20:21], off
	s_or_b64 exec, exec, s[42:43]
	s_and_saveexec_b64 s[40:41], s[38:39]
	s_cbranch_execnz .LBB1665_347
.LBB1665_340:                           ;   in Loop: Header=BB1665_240 Depth=2
	s_or_b64 exec, exec, s[40:41]
	s_and_saveexec_b64 s[38:39], s[36:37]
	s_cbranch_execz .LBB1665_348
.LBB1665_341:                           ;   in Loop: Header=BB1665_240 Depth=2
	v_lshlrev_b32_e32 v0, 2, v67
	ds_read_b32 v0, v0
	v_add_u32_e32 v20, v30, v50
	ds_read_b64 v[20:21], v20 offset:12288
	v_mov_b32_e32 v23, s67
	s_waitcnt lgkmcnt(1)
	v_add_u32_e32 v0, v0, v32
	v_lshlrev_b64 v[90:91], 3, v[0:1]
	v_add_co_u32_e64 v90, s[36:37], s66, v90
	v_addc_co_u32_e64 v91, s[36:37], v23, v91, s[36:37]
	s_waitcnt lgkmcnt(0)
	global_store_dwordx2 v[90:91], v[20:21], off
	s_or_b64 exec, exec, s[38:39]
	s_and_saveexec_b64 s[36:37], vcc
	s_cbranch_execnz .LBB1665_349
	s_branch .LBB1665_350
.LBB1665_342:                           ;   in Loop: Header=BB1665_240 Depth=2
	s_or_b64 exec, exec, s[52:53]
	s_and_saveexec_b64 s[48:49], s[46:47]
	s_cbranch_execz .LBB1665_336
.LBB1665_343:                           ;   in Loop: Header=BB1665_240 Depth=2
	v_lshlrev_b32_e32 v0, 2, v73
	ds_read_b32 v0, v0
	v_add_u32_e32 v20, v30, v50
	ds_read_b64 v[20:21], v20 offset:2048
	v_mov_b32_e32 v23, s67
	s_waitcnt lgkmcnt(1)
	v_add_u32_e32 v0, v0, v24
	v_lshlrev_b64 v[90:91], 3, v[0:1]
	v_add_co_u32_e64 v90, s[46:47], s66, v90
	v_addc_co_u32_e64 v91, s[46:47], v23, v91, s[46:47]
	s_waitcnt lgkmcnt(0)
	global_store_dwordx2 v[90:91], v[20:21], off
	s_or_b64 exec, exec, s[48:49]
	s_and_saveexec_b64 s[46:47], s[44:45]
	s_cbranch_execnz .LBB1665_337
.LBB1665_344:                           ;   in Loop: Header=BB1665_240 Depth=2
	s_or_b64 exec, exec, s[46:47]
	s_and_saveexec_b64 s[44:45], s[42:43]
	s_cbranch_execz .LBB1665_338
.LBB1665_345:                           ;   in Loop: Header=BB1665_240 Depth=2
	v_lshlrev_b32_e32 v0, 2, v70
	ds_read_b32 v0, v0
	v_add_u32_e32 v20, v30, v50
	ds_read_b64 v[20:21], v20 offset:6144
	v_mov_b32_e32 v23, s67
	s_waitcnt lgkmcnt(1)
	v_add_u32_e32 v0, v0, v26
	v_lshlrev_b64 v[90:91], 3, v[0:1]
	v_add_co_u32_e64 v90, s[42:43], s66, v90
	v_addc_co_u32_e64 v91, s[42:43], v23, v91, s[42:43]
	s_waitcnt lgkmcnt(0)
	global_store_dwordx2 v[90:91], v[20:21], off
	s_or_b64 exec, exec, s[44:45]
	s_and_saveexec_b64 s[42:43], s[40:41]
	s_cbranch_execnz .LBB1665_339
.LBB1665_346:                           ;   in Loop: Header=BB1665_240 Depth=2
	s_or_b64 exec, exec, s[42:43]
	s_and_saveexec_b64 s[40:41], s[38:39]
	s_cbranch_execz .LBB1665_340
.LBB1665_347:                           ;   in Loop: Header=BB1665_240 Depth=2
	v_lshlrev_b32_e32 v0, 2, v68
	ds_read_b32 v0, v0
	v_add_u32_e32 v20, v30, v50
	ds_read_b64 v[20:21], v20 offset:10240
	v_mov_b32_e32 v23, s67
	s_waitcnt lgkmcnt(1)
	v_add_u32_e32 v0, v0, v31
	v_lshlrev_b64 v[90:91], 3, v[0:1]
	v_add_co_u32_e64 v90, s[38:39], s66, v90
	v_addc_co_u32_e64 v91, s[38:39], v23, v91, s[38:39]
	s_waitcnt lgkmcnt(0)
	global_store_dwordx2 v[90:91], v[20:21], off
	s_or_b64 exec, exec, s[40:41]
	s_and_saveexec_b64 s[38:39], s[36:37]
	s_cbranch_execnz .LBB1665_341
.LBB1665_348:                           ;   in Loop: Header=BB1665_240 Depth=2
	s_or_b64 exec, exec, s[38:39]
	s_and_saveexec_b64 s[36:37], vcc
	s_cbranch_execz .LBB1665_350
.LBB1665_349:                           ;   in Loop: Header=BB1665_240 Depth=2
	v_lshlrev_b32_e32 v0, 2, v66
	ds_read_b32 v0, v0
	v_add_u32_e32 v20, v30, v50
	ds_read_b64 v[20:21], v20 offset:14336
	v_mov_b32_e32 v23, s67
	s_waitcnt lgkmcnt(1)
	v_add_u32_e32 v0, v0, v33
	v_lshlrev_b64 v[90:91], 3, v[0:1]
	v_add_co_u32_e32 v90, vcc, s66, v90
	v_addc_co_u32_e32 v91, vcc, v23, v91, vcc
	s_waitcnt lgkmcnt(0)
	global_store_dwordx2 v[90:91], v[20:21], off
.LBB1665_350:                           ;   in Loop: Header=BB1665_240 Depth=2
	s_or_b64 exec, exec, s[36:37]
	s_barrier
	s_and_saveexec_b64 s[36:37], s[4:5]
	s_cbranch_execz .LBB1665_239
; %bb.351:                              ;   in Loop: Header=BB1665_240 Depth=2
	ds_read_b32 v0, v3
	s_waitcnt lgkmcnt(0)
	v_add_u32_e32 v0, v0, v22
	ds_write_b32 v3, v0
	s_branch .LBB1665_239
.LBB1665_352:                           ;   in Loop: Header=BB1665_20 Depth=1
	s_waitcnt lgkmcnt(0)
	s_barrier
.LBB1665_353:                           ;   in Loop: Header=BB1665_20 Depth=1
	s_mov_b64 s[16:17], 0
.LBB1665_354:                           ;   in Loop: Header=BB1665_20 Depth=1
	s_andn2_b64 vcc, exec, s[16:17]
	s_cbranch_vccnz .LBB1665_19
; %bb.355:                              ;   in Loop: Header=BB1665_20 Depth=1
	s_mov_b64 s[16:17], -1
	s_and_b64 vcc, exec, s[54:55]
	s_cbranch_vccz .LBB1665_521
; %bb.356:                              ;   in Loop: Header=BB1665_20 Depth=1
	s_mov_b32 s20, s71
	s_mov_b32 s22, s51
	s_barrier
	s_waitcnt lgkmcnt(0)
                                        ; implicit-def: $vgpr0
                                        ; implicit-def: $vgpr6
                                        ; implicit-def: $vgpr7
                                        ; implicit-def: $vgpr8
                                        ; implicit-def: $vgpr9
                                        ; implicit-def: $vgpr10
                                        ; implicit-def: $vgpr11
                                        ; implicit-def: $vgpr12
	s_branch .LBB1665_358
.LBB1665_357:                           ;   in Loop: Header=BB1665_358 Depth=2
	s_or_b64 exec, exec, s[16:17]
	s_addk_i32 s20, 0xf800
	s_cmp_ge_u32 s21, s76
	s_mov_b32 s22, s21
	s_cbranch_scc1 .LBB1665_396
.LBB1665_358:                           ;   Parent Loop BB1665_20 Depth=1
                                        ; =>  This Inner Loop Header: Depth=2
	s_add_i32 s21, s22, 0x800
	s_cmp_gt_u32 s21, s76
	s_cbranch_scc1 .LBB1665_361
; %bb.359:                              ;   in Loop: Header=BB1665_358 Depth=2
	v_add_co_u32_e32 v4, vcc, s22, v57
	v_addc_co_u32_e32 v5, vcc, 0, v58, vcc
	global_load_ubyte v20, v[4:5], off offset:1536
	global_load_ubyte v19, v[4:5], off offset:1280
	;; [unrolled: 1-line block ×6, first 2 shown]
	global_load_ubyte v14, v[4:5], off
	v_add_co_u32_e32 v4, vcc, 0x700, v4
	v_addc_co_u32_e32 v5, vcc, 0, v5, vcc
	s_mov_b64 s[16:17], -1
	s_movk_i32 s25, 0x800
	s_cbranch_execz .LBB1665_362
; %bb.360:                              ;   in Loop: Header=BB1665_358 Depth=2
                                        ; implicit-def: $vgpr0
                                        ; implicit-def: $vgpr6
                                        ; implicit-def: $vgpr7
                                        ; implicit-def: $vgpr8
                                        ; implicit-def: $vgpr9
                                        ; implicit-def: $vgpr10
                                        ; implicit-def: $vgpr11
                                        ; implicit-def: $vgpr12
	v_mov_b32_e32 v13, s20
	s_and_saveexec_b64 s[18:19], s[16:17]
	s_cbranch_execnz .LBB1665_373
	s_branch .LBB1665_374
.LBB1665_361:                           ;   in Loop: Header=BB1665_358 Depth=2
	s_mov_b64 s[16:17], 0
                                        ; implicit-def: $sgpr25
                                        ; implicit-def: $vgpr14
                                        ; implicit-def: $vgpr15
                                        ; implicit-def: $vgpr16
                                        ; implicit-def: $vgpr17
                                        ; implicit-def: $vgpr18
                                        ; implicit-def: $vgpr19
                                        ; implicit-def: $vgpr20
                                        ; implicit-def: $vgpr4_vgpr5
.LBB1665_362:                           ;   in Loop: Header=BB1665_358 Depth=2
	s_add_u32 s23, s56, s22
	s_addc_u32 s24, s57, 0
	v_cmp_gt_u32_e32 vcc, s20, v2
	s_and_saveexec_b64 s[18:19], vcc
	s_cbranch_execz .LBB1665_390
; %bb.363:                              ;   in Loop: Header=BB1665_358 Depth=2
	v_mov_b32_e32 v0, s24
	v_add_co_u32_e32 v4, vcc, s23, v2
	v_addc_co_u32_e32 v5, vcc, 0, v0, vcc
	global_load_ubyte v0, v[4:5], off
	s_or_b64 exec, exec, s[18:19]
	v_cmp_gt_u32_e32 vcc, s20, v24
	s_and_saveexec_b64 s[18:19], vcc
	s_cbranch_execnz .LBB1665_391
.LBB1665_364:                           ;   in Loop: Header=BB1665_358 Depth=2
	s_or_b64 exec, exec, s[18:19]
	v_cmp_gt_u32_e32 vcc, s20, v25
	s_and_saveexec_b64 s[18:19], vcc
	s_cbranch_execz .LBB1665_392
.LBB1665_365:                           ;   in Loop: Header=BB1665_358 Depth=2
	v_mov_b32_e32 v5, s24
	v_add_co_u32_e32 v4, vcc, s23, v2
	v_addc_co_u32_e32 v5, vcc, 0, v5, vcc
	global_load_ubyte v7, v[4:5], off offset:512
	s_or_b64 exec, exec, s[18:19]
	v_cmp_gt_u32_e32 vcc, s20, v26
	s_and_saveexec_b64 s[18:19], vcc
	s_cbranch_execnz .LBB1665_393
.LBB1665_366:                           ;   in Loop: Header=BB1665_358 Depth=2
	s_or_b64 exec, exec, s[18:19]
	v_cmp_gt_u32_e32 vcc, s20, v30
	s_and_saveexec_b64 s[18:19], vcc
	s_cbranch_execz .LBB1665_394
.LBB1665_367:                           ;   in Loop: Header=BB1665_358 Depth=2
	v_mov_b32_e32 v5, s24
	v_add_co_u32_e32 v4, vcc, s23, v2
	v_addc_co_u32_e32 v5, vcc, 0, v5, vcc
	global_load_ubyte v9, v[4:5], off offset:1024
	s_or_b64 exec, exec, s[18:19]
	v_cmp_gt_u32_e32 vcc, s20, v31
	s_and_saveexec_b64 s[18:19], vcc
	s_cbranch_execnz .LBB1665_395
.LBB1665_368:                           ;   in Loop: Header=BB1665_358 Depth=2
	s_or_b64 exec, exec, s[18:19]
	v_cmp_gt_u32_e32 vcc, s20, v32
	s_and_saveexec_b64 s[18:19], vcc
	s_cbranch_execz .LBB1665_370
.LBB1665_369:                           ;   in Loop: Header=BB1665_358 Depth=2
	v_mov_b32_e32 v5, s24
	v_add_co_u32_e32 v4, vcc, s23, v2
	v_addc_co_u32_e32 v5, vcc, 0, v5, vcc
	global_load_ubyte v11, v[4:5], off offset:1536
.LBB1665_370:                           ;   in Loop: Header=BB1665_358 Depth=2
	s_or_b64 exec, exec, s[18:19]
	v_cmp_gt_u32_e32 vcc, s20, v33
                                        ; implicit-def: $sgpr25
                                        ; implicit-def: $vgpr4_vgpr5
	s_and_saveexec_b64 s[18:19], vcc
	s_cbranch_execz .LBB1665_372
; %bb.371:                              ;   in Loop: Header=BB1665_358 Depth=2
	v_mov_b32_e32 v4, s24
	v_add_co_u32_e32 v5, vcc, s23, v2
	s_waitcnt vmcnt(0)
	v_addc_co_u32_e32 v12, vcc, 0, v4, vcc
	v_add_co_u32_e32 v4, vcc, 0x700, v5
	s_sub_i32 s25, s76, s22
	v_addc_co_u32_e32 v5, vcc, 0, v12, vcc
	s_or_b64 s[16:17], s[16:17], exec
                                        ; implicit-def: $vgpr12
.LBB1665_372:                           ;   in Loop: Header=BB1665_358 Depth=2
	s_or_b64 exec, exec, s[18:19]
	s_waitcnt vmcnt(0)
	v_mov_b32_e32 v14, v0
	v_mov_b32_e32 v15, v6
	;; [unrolled: 1-line block ×8, first 2 shown]
	s_and_saveexec_b64 s[18:19], s[16:17]
	s_cbranch_execz .LBB1665_374
.LBB1665_373:                           ;   in Loop: Header=BB1665_358 Depth=2
	global_load_ubyte v12, v[4:5], off
	v_mov_b32_e32 v13, s25
	s_waitcnt vmcnt(1)
	v_mov_b32_e32 v0, v14
	v_mov_b32_e32 v6, v15
	;; [unrolled: 1-line block ×7, first 2 shown]
.LBB1665_374:                           ;   in Loop: Header=BB1665_358 Depth=2
	s_or_b64 exec, exec, s[18:19]
	v_cmp_lt_u32_e32 vcc, v2, v13
	s_and_saveexec_b64 s[16:17], vcc
	s_cbranch_execz .LBB1665_382
; %bb.375:                              ;   in Loop: Header=BB1665_358 Depth=2
	v_and_b32_e32 v4, 1, v0
	v_lshrrev_b32_e32 v4, s69, v4
	v_and_b32_e32 v4, s77, v4
	v_lshlrev_b32_e32 v5, 2, v27
	v_lshl_or_b32 v4, v4, 4, v5
	ds_add_u32 v4, v63
	s_or_b64 exec, exec, s[16:17]
	v_cmp_lt_u32_e32 vcc, v24, v13
	s_and_saveexec_b64 s[16:17], vcc
	s_cbranch_execnz .LBB1665_383
.LBB1665_376:                           ;   in Loop: Header=BB1665_358 Depth=2
	s_or_b64 exec, exec, s[16:17]
	v_cmp_lt_u32_e32 vcc, v25, v13
	s_and_saveexec_b64 s[16:17], vcc
	s_cbranch_execz .LBB1665_384
.LBB1665_377:                           ;   in Loop: Header=BB1665_358 Depth=2
	v_and_b32_e32 v4, 1, v7
	v_lshrrev_b32_e32 v4, s69, v4
	v_and_b32_e32 v4, s77, v4
	v_lshlrev_b32_e32 v5, 2, v27
	v_lshl_or_b32 v4, v4, 4, v5
	ds_add_u32 v4, v63
	s_or_b64 exec, exec, s[16:17]
	v_cmp_lt_u32_e32 vcc, v26, v13
	s_and_saveexec_b64 s[16:17], vcc
	s_cbranch_execnz .LBB1665_385
.LBB1665_378:                           ;   in Loop: Header=BB1665_358 Depth=2
	s_or_b64 exec, exec, s[16:17]
	v_cmp_lt_u32_e32 vcc, v30, v13
	s_and_saveexec_b64 s[16:17], vcc
	s_cbranch_execz .LBB1665_386
.LBB1665_379:                           ;   in Loop: Header=BB1665_358 Depth=2
	v_and_b32_e32 v4, 1, v9
	v_lshrrev_b32_e32 v4, s69, v4
	v_and_b32_e32 v4, s77, v4
	v_lshlrev_b32_e32 v5, 2, v27
	v_lshl_or_b32 v4, v4, 4, v5
	ds_add_u32 v4, v63
	s_or_b64 exec, exec, s[16:17]
	v_cmp_lt_u32_e32 vcc, v31, v13
	s_and_saveexec_b64 s[16:17], vcc
	s_cbranch_execnz .LBB1665_387
.LBB1665_380:                           ;   in Loop: Header=BB1665_358 Depth=2
	s_or_b64 exec, exec, s[16:17]
	v_cmp_lt_u32_e32 vcc, v32, v13
	s_and_saveexec_b64 s[16:17], vcc
	s_cbranch_execz .LBB1665_388
.LBB1665_381:                           ;   in Loop: Header=BB1665_358 Depth=2
	v_and_b32_e32 v4, 1, v11
	v_lshrrev_b32_e32 v4, s69, v4
	v_and_b32_e32 v4, s77, v4
	v_lshlrev_b32_e32 v5, 2, v27
	v_lshl_or_b32 v4, v4, 4, v5
	ds_add_u32 v4, v63
	s_or_b64 exec, exec, s[16:17]
	v_cmp_lt_u32_e32 vcc, v33, v13
	s_and_saveexec_b64 s[16:17], vcc
	s_cbranch_execz .LBB1665_357
	s_branch .LBB1665_389
.LBB1665_382:                           ;   in Loop: Header=BB1665_358 Depth=2
	s_or_b64 exec, exec, s[16:17]
	v_cmp_lt_u32_e32 vcc, v24, v13
	s_and_saveexec_b64 s[16:17], vcc
	s_cbranch_execz .LBB1665_376
.LBB1665_383:                           ;   in Loop: Header=BB1665_358 Depth=2
	v_and_b32_e32 v4, 1, v6
	v_lshrrev_b32_e32 v4, s69, v4
	v_and_b32_e32 v4, s77, v4
	v_lshlrev_b32_e32 v5, 2, v27
	v_lshl_or_b32 v4, v4, 4, v5
	ds_add_u32 v4, v63
	s_or_b64 exec, exec, s[16:17]
	v_cmp_lt_u32_e32 vcc, v25, v13
	s_and_saveexec_b64 s[16:17], vcc
	s_cbranch_execnz .LBB1665_377
.LBB1665_384:                           ;   in Loop: Header=BB1665_358 Depth=2
	s_or_b64 exec, exec, s[16:17]
	v_cmp_lt_u32_e32 vcc, v26, v13
	s_and_saveexec_b64 s[16:17], vcc
	s_cbranch_execz .LBB1665_378
.LBB1665_385:                           ;   in Loop: Header=BB1665_358 Depth=2
	v_and_b32_e32 v4, 1, v8
	v_lshrrev_b32_e32 v4, s69, v4
	v_and_b32_e32 v4, s77, v4
	v_lshlrev_b32_e32 v5, 2, v27
	v_lshl_or_b32 v4, v4, 4, v5
	ds_add_u32 v4, v63
	s_or_b64 exec, exec, s[16:17]
	v_cmp_lt_u32_e32 vcc, v30, v13
	s_and_saveexec_b64 s[16:17], vcc
	s_cbranch_execnz .LBB1665_379
.LBB1665_386:                           ;   in Loop: Header=BB1665_358 Depth=2
	s_or_b64 exec, exec, s[16:17]
	v_cmp_lt_u32_e32 vcc, v31, v13
	s_and_saveexec_b64 s[16:17], vcc
	s_cbranch_execz .LBB1665_380
.LBB1665_387:                           ;   in Loop: Header=BB1665_358 Depth=2
	v_and_b32_e32 v4, 1, v10
	v_lshrrev_b32_e32 v4, s69, v4
	v_and_b32_e32 v4, s77, v4
	v_lshlrev_b32_e32 v5, 2, v27
	v_lshl_or_b32 v4, v4, 4, v5
	ds_add_u32 v4, v63
	s_or_b64 exec, exec, s[16:17]
	v_cmp_lt_u32_e32 vcc, v32, v13
	s_and_saveexec_b64 s[16:17], vcc
	s_cbranch_execnz .LBB1665_381
.LBB1665_388:                           ;   in Loop: Header=BB1665_358 Depth=2
	s_or_b64 exec, exec, s[16:17]
	v_cmp_lt_u32_e32 vcc, v33, v13
	s_and_saveexec_b64 s[16:17], vcc
	s_cbranch_execz .LBB1665_357
.LBB1665_389:                           ;   in Loop: Header=BB1665_358 Depth=2
	s_waitcnt vmcnt(0)
	v_and_b32_e32 v4, 1, v12
	v_lshrrev_b32_e32 v4, s69, v4
	v_and_b32_e32 v4, s77, v4
	v_lshlrev_b32_e32 v5, 2, v27
	v_lshl_or_b32 v4, v4, 4, v5
	ds_add_u32 v4, v63
	s_branch .LBB1665_357
.LBB1665_390:                           ;   in Loop: Header=BB1665_358 Depth=2
	s_or_b64 exec, exec, s[18:19]
	v_cmp_gt_u32_e32 vcc, s20, v24
	s_and_saveexec_b64 s[18:19], vcc
	s_cbranch_execz .LBB1665_364
.LBB1665_391:                           ;   in Loop: Header=BB1665_358 Depth=2
	v_mov_b32_e32 v5, s24
	v_add_co_u32_e32 v4, vcc, s23, v2
	v_addc_co_u32_e32 v5, vcc, 0, v5, vcc
	global_load_ubyte v6, v[4:5], off offset:256
	s_or_b64 exec, exec, s[18:19]
	v_cmp_gt_u32_e32 vcc, s20, v25
	s_and_saveexec_b64 s[18:19], vcc
	s_cbranch_execnz .LBB1665_365
.LBB1665_392:                           ;   in Loop: Header=BB1665_358 Depth=2
	s_or_b64 exec, exec, s[18:19]
	v_cmp_gt_u32_e32 vcc, s20, v26
	s_and_saveexec_b64 s[18:19], vcc
	s_cbranch_execz .LBB1665_366
.LBB1665_393:                           ;   in Loop: Header=BB1665_358 Depth=2
	v_mov_b32_e32 v5, s24
	v_add_co_u32_e32 v4, vcc, s23, v2
	v_addc_co_u32_e32 v5, vcc, 0, v5, vcc
	global_load_ubyte v8, v[4:5], off offset:768
	s_or_b64 exec, exec, s[18:19]
	v_cmp_gt_u32_e32 vcc, s20, v30
	s_and_saveexec_b64 s[18:19], vcc
	s_cbranch_execnz .LBB1665_367
.LBB1665_394:                           ;   in Loop: Header=BB1665_358 Depth=2
	s_or_b64 exec, exec, s[18:19]
	v_cmp_gt_u32_e32 vcc, s20, v31
	s_and_saveexec_b64 s[18:19], vcc
	s_cbranch_execz .LBB1665_368
.LBB1665_395:                           ;   in Loop: Header=BB1665_358 Depth=2
	v_mov_b32_e32 v5, s24
	v_add_co_u32_e32 v4, vcc, s23, v2
	v_addc_co_u32_e32 v5, vcc, 0, v5, vcc
	global_load_ubyte v10, v[4:5], off offset:1280
	s_or_b64 exec, exec, s[18:19]
	v_cmp_gt_u32_e32 vcc, s20, v32
	s_and_saveexec_b64 s[18:19], vcc
	s_cbranch_execz .LBB1665_370
	s_branch .LBB1665_369
.LBB1665_396:                           ;   in Loop: Header=BB1665_20 Depth=1
	v_mov_b32_e32 v0, 0
	s_waitcnt lgkmcnt(0)
	s_barrier
	s_and_saveexec_b64 s[16:17], s[4:5]
	s_cbranch_execz .LBB1665_398
; %bb.397:                              ;   in Loop: Header=BB1665_20 Depth=1
	ds_read2_b64 v[4:7], v34 offset1:1
	s_waitcnt lgkmcnt(0)
	v_add_u32_e32 v0, v5, v4
	v_add3_u32 v0, v0, v6, v7
.LBB1665_398:                           ;   in Loop: Header=BB1665_20 Depth=1
	s_or_b64 exec, exec, s[16:17]
	v_and_b32_e32 v4, 15, v64
	v_mov_b32_dpp v5, v0 row_shr:1 row_mask:0xf bank_mask:0xf
	v_cmp_eq_u32_e64 s[16:17], 0, v4
	v_cndmask_b32_e64 v5, v5, 0, s[16:17]
	v_add_u32_e32 v0, v5, v0
	v_cmp_lt_u32_e64 s[18:19], 1, v4
	v_cmp_lt_u32_e64 s[20:21], 3, v4
	v_mov_b32_dpp v5, v0 row_shr:2 row_mask:0xf bank_mask:0xf
	v_cndmask_b32_e64 v5, 0, v5, s[18:19]
	v_add_u32_e32 v0, v0, v5
	v_cmp_lt_u32_e64 s[22:23], 7, v4
	v_cmp_lt_u32_e64 s[26:27], 31, v64
	v_mov_b32_dpp v5, v0 row_shr:4 row_mask:0xf bank_mask:0xf
	v_cndmask_b32_e64 v5, 0, v5, s[20:21]
	v_add_u32_e32 v0, v0, v5
	v_and_b32_e32 v6, 16, v64
	v_cmp_eq_u32_e64 s[24:25], 0, v6
	v_mov_b32_dpp v5, v0 row_shr:8 row_mask:0xf bank_mask:0xf
	v_cndmask_b32_e64 v4, 0, v5, s[22:23]
	v_add_u32_e32 v0, v0, v4
	v_bfe_i32 v5, v64, 4, 1
	s_nop 0
	v_mov_b32_dpp v4, v0 row_bcast:15 row_mask:0xf bank_mask:0xf
	v_and_b32_e32 v4, v5, v4
	v_add_u32_e32 v0, v0, v4
	s_nop 1
	v_mov_b32_dpp v4, v0 row_bcast:31 row_mask:0xf bank_mask:0xf
	v_cndmask_b32_e64 v4, 0, v4, s[26:27]
	v_add_u32_e32 v4, v0, v4
	s_and_saveexec_b64 s[28:29], s[6:7]
	s_cbranch_execz .LBB1665_400
; %bb.399:                              ;   in Loop: Header=BB1665_20 Depth=1
	ds_write_b32 v36, v4
.LBB1665_400:                           ;   in Loop: Header=BB1665_20 Depth=1
	s_or_b64 exec, exec, s[28:29]
	v_and_b32_e32 v0, 3, v64
	s_waitcnt lgkmcnt(0)
	s_barrier
	s_and_saveexec_b64 s[28:29], s[8:9]
	s_cbranch_execz .LBB1665_402
; %bb.401:                              ;   in Loop: Header=BB1665_20 Depth=1
	ds_read_b32 v5, v37
	v_cmp_ne_u32_e32 vcc, 0, v0
	s_waitcnt lgkmcnt(0)
	v_mov_b32_dpp v6, v5 row_shr:1 row_mask:0xf bank_mask:0xf
	v_cndmask_b32_e32 v6, 0, v6, vcc
	v_add_u32_e32 v5, v6, v5
	v_cmp_lt_u32_e32 vcc, 1, v0
	s_nop 0
	v_mov_b32_dpp v6, v5 row_shr:2 row_mask:0xf bank_mask:0xf
	v_cndmask_b32_e32 v6, 0, v6, vcc
	v_add_u32_e32 v5, v5, v6
	ds_write_b32 v37, v5
.LBB1665_402:                           ;   in Loop: Header=BB1665_20 Depth=1
	s_or_b64 exec, exec, s[28:29]
	v_mov_b32_e32 v5, 0
	s_waitcnt lgkmcnt(0)
	s_barrier
	s_and_saveexec_b64 s[28:29], s[10:11]
	s_cbranch_execz .LBB1665_404
; %bb.403:                              ;   in Loop: Header=BB1665_20 Depth=1
	ds_read_b32 v5, v38
.LBB1665_404:                           ;   in Loop: Header=BB1665_20 Depth=1
	s_or_b64 exec, exec, s[28:29]
	v_add_u32_e32 v6, -1, v64
	v_and_b32_e32 v7, 64, v64
	v_cmp_lt_i32_e32 vcc, v6, v7
	v_cndmask_b32_e32 v6, v6, v64, vcc
	s_waitcnt lgkmcnt(0)
	v_add_u32_e32 v4, v5, v4
	v_lshlrev_b32_e32 v65, 2, v6
	ds_bpermute_b32 v4, v65, v4
	v_cmp_eq_u32_e64 s[28:29], 0, v64
	s_waitcnt lgkmcnt(0)
	s_barrier
	s_and_saveexec_b64 s[30:31], s[4:5]
	s_cbranch_execz .LBB1665_406
; %bb.405:                              ;   in Loop: Header=BB1665_20 Depth=1
	v_cndmask_b32_e64 v4, v4, v5, s[28:29]
	v_add_u32_e32 v4, s51, v4
	ds_write_b32 v3, v4
.LBB1665_406:                           ;   in Loop: Header=BB1665_20 Depth=1
	s_or_b64 exec, exec, s[30:31]
	s_load_dwordx2 s[30:31], s[74:75], 0x0
	s_mov_b32 s78, s71
	s_mov_b32 s72, s51
                                        ; implicit-def: $vgpr4_vgpr5
                                        ; implicit-def: $vgpr6_vgpr7
                                        ; implicit-def: $vgpr8_vgpr9
                                        ; implicit-def: $vgpr10_vgpr11
                                        ; implicit-def: $vgpr12_vgpr13
                                        ; implicit-def: $vgpr14_vgpr15
                                        ; implicit-def: $vgpr16_vgpr17
                                        ; implicit-def: $vgpr18_vgpr19
                                        ; implicit-def: $vgpr66
                                        ; implicit-def: $vgpr67
                                        ; implicit-def: $vgpr68
                                        ; implicit-def: $vgpr69
                                        ; implicit-def: $vgpr70
                                        ; implicit-def: $vgpr71
                                        ; implicit-def: $vgpr73
                                        ; implicit-def: $vgpr75
	s_waitcnt lgkmcnt(0)
	s_cmp_lt_u32 s50, s30
	s_cselect_b32 s34, 12, 18
	s_cmp_lt_u32 s33, s31
	s_cselect_b32 s30, 14, 20
	s_add_u32 s30, s74, s30
	s_addc_u32 s31, s75, 0
	s_add_u32 s34, s74, s34
	global_load_ushort v20, v1, s[30:31]
	s_addc_u32 s35, s75, 0
	global_load_ushort v21, v1, s[34:35]
	v_cmp_eq_u32_e64 s[30:31], 0, v0
	v_cmp_lt_u32_e64 s[34:35], 1, v0
	v_and_b32_e32 v0, 63, v64
	v_add_co_u32_e32 v74, vcc, v61, v0
	v_lshlrev_b32_e32 v22, 3, v0
	v_addc_co_u32_e32 v76, vcc, 0, v62, vcc
	v_add_co_u32_e32 v77, vcc, v59, v22
	v_or_b32_e32 v72, v0, v39
	v_addc_co_u32_e32 v78, vcc, 0, v60, vcc
	v_add_co_u32_e32 v86, vcc, 0x1c0, v74
	v_or_b32_e32 v79, 64, v72
	v_or_b32_e32 v80, 0x80, v72
	;; [unrolled: 1-line block ×7, first 2 shown]
	v_addc_co_u32_e32 v87, vcc, 0, v76, vcc
	s_waitcnt vmcnt(1)
	v_mad_u32_u24 v0, v40, v20, v41
	s_waitcnt vmcnt(0)
	v_mad_u64_u32 v[20:21], s[36:37], v0, v21, v[2:3]
	v_lshrrev_b32_e32 v88, 6, v20
	s_branch .LBB1665_408
.LBB1665_407:                           ;   in Loop: Header=BB1665_408 Depth=2
	s_or_b64 exec, exec, s[36:37]
	s_addk_i32 s78, 0xf800
	s_cmp_lt_u32 s79, s76
	s_mov_b32 s72, s79
	s_cbranch_scc0 .LBB1665_520
.LBB1665_408:                           ;   Parent Loop BB1665_20 Depth=1
                                        ; =>  This Inner Loop Header: Depth=2
	s_add_i32 s79, s72, 0x800
	s_cmp_gt_u32 s79, s76
	s_cbranch_scc1 .LBB1665_411
; %bb.409:                              ;   in Loop: Header=BB1665_408 Depth=2
	v_add_co_u32_e32 v20, vcc, s72, v74
	v_addc_co_u32_e32 v21, vcc, 0, v76, vcc
	global_load_ubyte v89, v[20:21], off
	global_load_ubyte v90, v[20:21], off offset:64
	global_load_ubyte v91, v[20:21], off offset:128
	;; [unrolled: 1-line block ×6, first 2 shown]
	s_mov_b64 s[36:37], -1
	s_movk_i32 s40, 0x800
	s_cbranch_execz .LBB1665_412
; %bb.410:                              ;   in Loop: Header=BB1665_408 Depth=2
                                        ; implicit-def: $sgpr38
	v_mov_b32_e32 v96, s38
	v_mov_b32_e32 v0, s78
	s_and_saveexec_b64 s[38:39], s[36:37]
	s_cbranch_execnz .LBB1665_427
	s_branch .LBB1665_428
.LBB1665_411:                           ;   in Loop: Header=BB1665_408 Depth=2
	s_mov_b64 s[36:37], 0
                                        ; implicit-def: $sgpr40
                                        ; implicit-def: $vgpr89
                                        ; implicit-def: $vgpr90
                                        ; implicit-def: $vgpr91
                                        ; implicit-def: $vgpr92
                                        ; implicit-def: $vgpr93
                                        ; implicit-def: $vgpr94
                                        ; implicit-def: $vgpr95
.LBB1665_412:                           ;   in Loop: Header=BB1665_408 Depth=2
	v_add_co_u32_e32 v20, vcc, s72, v74
	v_addc_co_u32_e32 v21, vcc, 0, v76, vcc
	v_cmp_gt_u32_e32 vcc, s78, v72
	s_waitcnt vmcnt(5)
	v_mov_b32_e32 v90, 1
	v_mov_b32_e32 v89, 1
	s_and_saveexec_b64 s[36:37], vcc
	s_cbranch_execz .LBB1665_414
; %bb.413:                              ;   in Loop: Header=BB1665_408 Depth=2
	global_load_ubyte v89, v[20:21], off
.LBB1665_414:                           ;   in Loop: Header=BB1665_408 Depth=2
	s_or_b64 exec, exec, s[36:37]
	v_cmp_gt_u32_e32 vcc, s78, v79
	s_and_saveexec_b64 s[36:37], vcc
	s_cbranch_execz .LBB1665_416
; %bb.415:                              ;   in Loop: Header=BB1665_408 Depth=2
	global_load_ubyte v90, v[20:21], off offset:64
.LBB1665_416:                           ;   in Loop: Header=BB1665_408 Depth=2
	s_or_b64 exec, exec, s[36:37]
	v_cmp_gt_u32_e32 vcc, s78, v80
	s_waitcnt vmcnt(3)
	v_mov_b32_e32 v92, 1
	v_mov_b32_e32 v91, 1
	s_and_saveexec_b64 s[36:37], vcc
	s_cbranch_execz .LBB1665_418
; %bb.417:                              ;   in Loop: Header=BB1665_408 Depth=2
	global_load_ubyte v91, v[20:21], off offset:128
.LBB1665_418:                           ;   in Loop: Header=BB1665_408 Depth=2
	s_or_b64 exec, exec, s[36:37]
	v_cmp_gt_u32_e32 vcc, s78, v81
	s_and_saveexec_b64 s[36:37], vcc
	s_cbranch_execz .LBB1665_420
; %bb.419:                              ;   in Loop: Header=BB1665_408 Depth=2
	global_load_ubyte v92, v[20:21], off offset:192
.LBB1665_420:                           ;   in Loop: Header=BB1665_408 Depth=2
	s_or_b64 exec, exec, s[36:37]
	v_cmp_gt_u32_e32 vcc, s78, v82
	s_waitcnt vmcnt(1)
	v_mov_b32_e32 v94, 1
	v_mov_b32_e32 v93, 1
	s_and_saveexec_b64 s[36:37], vcc
	s_cbranch_execz .LBB1665_422
; %bb.421:                              ;   in Loop: Header=BB1665_408 Depth=2
	global_load_ubyte v93, v[20:21], off offset:256
.LBB1665_422:                           ;   in Loop: Header=BB1665_408 Depth=2
	s_or_b64 exec, exec, s[36:37]
	v_cmp_gt_u32_e32 vcc, s78, v83
	s_and_saveexec_b64 s[36:37], vcc
	s_cbranch_execz .LBB1665_424
; %bb.423:                              ;   in Loop: Header=BB1665_408 Depth=2
	global_load_ubyte v94, v[20:21], off offset:320
.LBB1665_424:                           ;   in Loop: Header=BB1665_408 Depth=2
	s_or_b64 exec, exec, s[36:37]
	v_cmp_gt_u32_e32 vcc, s78, v84
	s_waitcnt vmcnt(0)
	v_mov_b32_e32 v95, 1
	s_and_saveexec_b64 s[36:37], vcc
	s_cbranch_execz .LBB1665_426
; %bb.425:                              ;   in Loop: Header=BB1665_408 Depth=2
	global_load_ubyte v95, v[20:21], off offset:384
.LBB1665_426:                           ;   in Loop: Header=BB1665_408 Depth=2
	s_or_b64 exec, exec, s[36:37]
	s_sub_i32 s40, s76, s72
	v_cmp_gt_u32_e64 s[36:37], s78, v85
	s_mov_b32 s38, 1
	v_mov_b32_e32 v96, s38
	v_mov_b32_e32 v0, s78
	s_and_saveexec_b64 s[38:39], s[36:37]
	s_cbranch_execz .LBB1665_428
.LBB1665_427:                           ;   in Loop: Header=BB1665_408 Depth=2
	v_mov_b32_e32 v0, s73
	v_add_co_u32_e32 v20, vcc, s72, v86
	v_addc_co_u32_e32 v21, vcc, v87, v0, vcc
	global_load_ubyte v96, v[20:21], off
	v_mov_b32_e32 v0, s40
.LBB1665_428:                           ;   in Loop: Header=BB1665_408 Depth=2
	s_or_b64 exec, exec, s[38:39]
	v_add_u32_e32 v20, 0x410, v42
	ds_write2_b32 v20, v1, v1 offset1:1
	ds_write2_b32 v44, v1, v1 offset0:2 offset1:3
	ds_write_b32 v44, v1 offset:16
	s_waitcnt vmcnt(6)
	v_lshrrev_b32_sdwa v20, s69, v89 dst_sel:DWORD dst_unused:UNUSED_PAD src0_sel:DWORD src1_sel:BYTE_0
	v_and_b32_e32 v20, s77, v20
	v_mad_u32_u24 v21, v20, 5, v88
	v_cmp_ne_u32_e32 vcc, 0, v20
	v_add_co_u32_e64 v20, s[36:37], -1, v20
	v_lshl_add_u32 v98, v21, 2, v43
	v_addc_co_u32_e64 v21, s[36:37], 0, -1, s[36:37]
	v_xor_b32_e32 v20, vcc_lo, v20
	v_xor_b32_e32 v21, vcc_hi, v21
	v_and_b32_e32 v20, exec_lo, v20
	v_and_b32_e32 v21, exec_hi, v21
	v_mbcnt_lo_u32_b32 v22, v20, 0
	v_mbcnt_hi_u32_b32 v97, v21, v22
	v_cmp_eq_u32_e32 vcc, 0, v97
	v_cmp_ne_u64_e64 s[36:37], 0, v[20:21]
	s_and_b64 s[38:39], s[36:37], vcc
	s_waitcnt lgkmcnt(0)
	s_barrier
	s_waitcnt lgkmcnt(0)
	; wave barrier
	s_and_saveexec_b64 s[36:37], s[38:39]
	s_cbranch_execz .LBB1665_430
; %bb.429:                              ;   in Loop: Header=BB1665_408 Depth=2
	v_bcnt_u32_b32 v20, v20, 0
	v_bcnt_u32_b32 v20, v21, v20
	ds_write_b32 v98, v20
.LBB1665_430:                           ;   in Loop: Header=BB1665_408 Depth=2
	s_or_b64 exec, exec, s[36:37]
	s_waitcnt vmcnt(5)
	v_lshrrev_b32_sdwa v20, s69, v90 dst_sel:DWORD dst_unused:UNUSED_PAD src0_sel:DWORD src1_sel:BYTE_0
	v_and_b32_e32 v20, s77, v20
	v_mul_u32_u24_e32 v21, 5, v20
	v_add_lshl_u32 v21, v21, v88, 2
	v_cmp_ne_u32_e32 vcc, 0, v20
	v_add_co_u32_e64 v20, s[36:37], -1, v20
	; wave barrier
	v_add_u32_e32 v101, 0x410, v21
	ds_read_b32 v99, v21 offset:1040
	v_addc_co_u32_e64 v21, s[36:37], 0, -1, s[36:37]
	v_xor_b32_e32 v20, vcc_lo, v20
	v_xor_b32_e32 v21, vcc_hi, v21
	v_and_b32_e32 v20, exec_lo, v20
	v_and_b32_e32 v21, exec_hi, v21
	v_mbcnt_lo_u32_b32 v22, v20, 0
	v_mbcnt_hi_u32_b32 v100, v21, v22
	v_cmp_eq_u32_e32 vcc, 0, v100
	v_cmp_ne_u64_e64 s[36:37], 0, v[20:21]
	s_and_b64 s[38:39], s[36:37], vcc
	; wave barrier
	s_and_saveexec_b64 s[36:37], s[38:39]
	s_cbranch_execz .LBB1665_432
; %bb.431:                              ;   in Loop: Header=BB1665_408 Depth=2
	v_bcnt_u32_b32 v20, v20, 0
	v_bcnt_u32_b32 v20, v21, v20
	s_waitcnt lgkmcnt(0)
	v_add_u32_e32 v20, v99, v20
	ds_write_b32 v101, v20
.LBB1665_432:                           ;   in Loop: Header=BB1665_408 Depth=2
	s_or_b64 exec, exec, s[36:37]
	s_waitcnt vmcnt(4)
	v_lshrrev_b32_sdwa v20, s69, v91 dst_sel:DWORD dst_unused:UNUSED_PAD src0_sel:DWORD src1_sel:BYTE_0
	v_and_b32_e32 v20, s77, v20
	v_mul_u32_u24_e32 v21, 5, v20
	v_add_lshl_u32 v21, v21, v88, 2
	v_cmp_ne_u32_e32 vcc, 0, v20
	v_add_co_u32_e64 v20, s[36:37], -1, v20
	; wave barrier
	v_add_u32_e32 v102, 0x410, v21
	ds_read_b32 v104, v21 offset:1040
	v_addc_co_u32_e64 v21, s[36:37], 0, -1, s[36:37]
	v_xor_b32_e32 v20, vcc_lo, v20
	v_xor_b32_e32 v21, vcc_hi, v21
	v_and_b32_e32 v20, exec_lo, v20
	v_and_b32_e32 v21, exec_hi, v21
	v_mbcnt_lo_u32_b32 v22, v20, 0
	v_mbcnt_hi_u32_b32 v105, v21, v22
	v_cmp_eq_u32_e32 vcc, 0, v105
	v_cmp_ne_u64_e64 s[36:37], 0, v[20:21]
	s_and_b64 s[38:39], s[36:37], vcc
	; wave barrier
	s_and_saveexec_b64 s[36:37], s[38:39]
	s_cbranch_execz .LBB1665_434
; %bb.433:                              ;   in Loop: Header=BB1665_408 Depth=2
	v_bcnt_u32_b32 v20, v20, 0
	v_bcnt_u32_b32 v20, v21, v20
	s_waitcnt lgkmcnt(0)
	v_add_u32_e32 v20, v104, v20
	ds_write_b32 v102, v20
.LBB1665_434:                           ;   in Loop: Header=BB1665_408 Depth=2
	;; [unrolled: 31-line block ×6, first 2 shown]
	s_or_b64 exec, exec, s[36:37]
	v_lshrrev_b32_sdwa v20, s69, v96 dst_sel:DWORD dst_unused:UNUSED_PAD src0_sel:DWORD src1_sel:BYTE_0
	v_and_b32_e32 v20, s77, v20
	v_mul_u32_u24_e32 v21, 5, v20
	v_add_lshl_u32 v21, v21, v88, 2
	v_cmp_ne_u32_e32 vcc, 0, v20
	v_add_co_u32_e64 v20, s[36:37], -1, v20
	; wave barrier
	v_add_u32_e32 v119, 0x410, v21
	ds_read_b32 v117, v21 offset:1040
	v_addc_co_u32_e64 v21, s[36:37], 0, -1, s[36:37]
	v_xor_b32_e32 v20, vcc_lo, v20
	v_xor_b32_e32 v21, vcc_hi, v21
	v_and_b32_e32 v20, exec_lo, v20
	v_and_b32_e32 v21, exec_hi, v21
	v_mbcnt_lo_u32_b32 v22, v20, 0
	v_mbcnt_hi_u32_b32 v118, v21, v22
	v_cmp_eq_u32_e32 vcc, 0, v118
	v_cmp_ne_u64_e64 s[36:37], 0, v[20:21]
	s_and_b64 s[38:39], s[36:37], vcc
	; wave barrier
	s_and_saveexec_b64 s[36:37], s[38:39]
	s_cbranch_execz .LBB1665_444
; %bb.443:                              ;   in Loop: Header=BB1665_408 Depth=2
	v_bcnt_u32_b32 v20, v20, 0
	v_bcnt_u32_b32 v20, v21, v20
	s_waitcnt lgkmcnt(0)
	v_add_u32_e32 v20, v117, v20
	ds_write_b32 v119, v20
.LBB1665_444:                           ;   in Loop: Header=BB1665_408 Depth=2
	s_or_b64 exec, exec, s[36:37]
	; wave barrier
	s_waitcnt lgkmcnt(0)
	s_barrier
	ds_read_b32 v120, v42 offset:1040
	ds_read2_b32 v[22:23], v44 offset0:1 offset1:2
	ds_read2_b32 v[20:21], v44 offset0:3 offset1:4
	s_waitcnt lgkmcnt(1)
	v_add3_u32 v121, v22, v120, v23
	s_waitcnt lgkmcnt(0)
	v_add3_u32 v21, v121, v20, v21
	s_nop 1
	v_mov_b32_dpp v121, v21 row_shr:1 row_mask:0xf bank_mask:0xf
	v_cndmask_b32_e64 v121, v121, 0, s[16:17]
	v_add_u32_e32 v21, v121, v21
	s_nop 1
	v_mov_b32_dpp v121, v21 row_shr:2 row_mask:0xf bank_mask:0xf
	v_cndmask_b32_e64 v121, 0, v121, s[18:19]
	v_add_u32_e32 v21, v21, v121
	;; [unrolled: 4-line block ×4, first 2 shown]
	s_nop 1
	v_mov_b32_dpp v121, v21 row_bcast:15 row_mask:0xf bank_mask:0xf
	v_cndmask_b32_e64 v121, v121, 0, s[24:25]
	v_add_u32_e32 v21, v21, v121
	s_nop 1
	v_mov_b32_dpp v121, v21 row_bcast:31 row_mask:0xf bank_mask:0xf
	v_cndmask_b32_e64 v121, 0, v121, s[26:27]
	v_add_u32_e32 v21, v21, v121
	s_and_saveexec_b64 s[36:37], s[6:7]
	s_cbranch_execz .LBB1665_446
; %bb.445:                              ;   in Loop: Header=BB1665_408 Depth=2
	ds_write_b32 v35, v21 offset:1024
.LBB1665_446:                           ;   in Loop: Header=BB1665_408 Depth=2
	s_or_b64 exec, exec, s[36:37]
	s_waitcnt lgkmcnt(0)
	s_barrier
	s_and_saveexec_b64 s[36:37], s[8:9]
	s_cbranch_execz .LBB1665_448
; %bb.447:                              ;   in Loop: Header=BB1665_408 Depth=2
	v_add_u32_e32 v121, v42, v45
	ds_read_b32 v122, v121 offset:1024
	s_waitcnt lgkmcnt(0)
	s_nop 0
	v_mov_b32_dpp v123, v122 row_shr:1 row_mask:0xf bank_mask:0xf
	v_cndmask_b32_e64 v123, v123, 0, s[30:31]
	v_add_u32_e32 v122, v123, v122
	s_nop 1
	v_mov_b32_dpp v123, v122 row_shr:2 row_mask:0xf bank_mask:0xf
	v_cndmask_b32_e64 v123, 0, v123, s[34:35]
	v_add_u32_e32 v122, v122, v123
	ds_write_b32 v121, v122 offset:1024
.LBB1665_448:                           ;   in Loop: Header=BB1665_408 Depth=2
	s_or_b64 exec, exec, s[36:37]
	v_mov_b32_e32 v121, 0
	s_waitcnt lgkmcnt(0)
	s_barrier
	s_and_saveexec_b64 s[36:37], s[10:11]
	s_cbranch_execz .LBB1665_450
; %bb.449:                              ;   in Loop: Header=BB1665_408 Depth=2
	ds_read_b32 v121, v35 offset:1020
.LBB1665_450:                           ;   in Loop: Header=BB1665_408 Depth=2
	s_or_b64 exec, exec, s[36:37]
	s_waitcnt lgkmcnt(0)
	v_add_u32_e32 v21, v121, v21
	ds_bpermute_b32 v21, v65, v21
	s_waitcnt lgkmcnt(0)
	v_cndmask_b32_e64 v21, v21, v121, s[28:29]
	v_cndmask_b32_e64 v21, v21, 0, s[12:13]
	v_add_u32_e32 v120, v21, v120
	ds_write_b32 v42, v21 offset:1040
	v_add_u32_e32 v21, v120, v22
	v_add_u32_e32 v22, v21, v23
	v_add_u32_e32 v20, v22, v20
	ds_write2_b32 v44, v120, v21 offset0:1 offset1:2
	ds_write2_b32 v44, v22, v20 offset0:3 offset1:4
	s_waitcnt lgkmcnt(0)
	s_barrier
	ds_read_b32 v20, v101
	ds_read_b32 v21, v102
	;; [unrolled: 1-line block ×8, first 2 shown]
	ds_read_b32 v101, v42 offset:1040
	v_mov_b32_e32 v22, 0x800
	s_and_saveexec_b64 s[36:37], s[14:15]
	s_cbranch_execz .LBB1665_452
; %bb.451:                              ;   in Loop: Header=BB1665_408 Depth=2
	ds_read_b32 v22, v42 offset:1060
.LBB1665_452:                           ;   in Loop: Header=BB1665_408 Depth=2
	s_or_b64 exec, exec, s[36:37]
	s_waitcnt lgkmcnt(0)
	s_barrier
	s_and_saveexec_b64 s[36:37], s[4:5]
	s_cbranch_execz .LBB1665_454
; %bb.453:                              ;   in Loop: Header=BB1665_408 Depth=2
	ds_read_b32 v102, v3
	s_waitcnt lgkmcnt(0)
	v_sub_u32_e32 v101, v102, v101
	ds_write_b32 v3, v101
.LBB1665_454:                           ;   in Loop: Header=BB1665_408 Depth=2
	s_or_b64 exec, exec, s[36:37]
	v_add_u32_e32 v103, v98, v97
	v_add3_u32 v102, v100, v99, v20
	v_add3_u32 v101, v105, v104, v21
	;; [unrolled: 1-line block ×7, first 2 shown]
	v_cmp_lt_u32_e64 s[48:49], v2, v0
	ds_write_b8 v103, v89 offset:1024
	ds_write_b8 v102, v90 offset:1024
	;; [unrolled: 1-line block ×8, first 2 shown]
	s_waitcnt lgkmcnt(0)
	s_barrier
	s_and_saveexec_b64 s[36:37], s[48:49]
	s_cbranch_execz .LBB1665_462
; %bb.455:                              ;   in Loop: Header=BB1665_408 Depth=2
	ds_read_u8 v20, v2 offset:1024
	s_waitcnt lgkmcnt(0)
	v_and_b32_e32 v21, 1, v20
	v_lshrrev_b32_e32 v21, s69, v21
	v_and_b32_e32 v21, s77, v21
	v_lshlrev_b32_e32 v21, 2, v21
	ds_read_b32 v21, v21
	s_waitcnt lgkmcnt(0)
	v_add_u32_e32 v21, v21, v2
	global_store_byte v21, v20, s[58:59]
	s_or_b64 exec, exec, s[36:37]
	v_cmp_lt_u32_e64 s[46:47], v24, v0
	s_and_saveexec_b64 s[36:37], s[46:47]
	s_cbranch_execnz .LBB1665_463
.LBB1665_456:                           ;   in Loop: Header=BB1665_408 Depth=2
	s_or_b64 exec, exec, s[36:37]
	v_cmp_lt_u32_e64 s[44:45], v25, v0
	s_and_saveexec_b64 s[36:37], s[44:45]
	s_cbranch_execz .LBB1665_464
.LBB1665_457:                           ;   in Loop: Header=BB1665_408 Depth=2
	ds_read_u8 v20, v30 offset:512
	s_waitcnt lgkmcnt(0)
	v_and_b32_e32 v21, 1, v20
	v_lshrrev_b32_e32 v21, s69, v21
	v_and_b32_e32 v21, s77, v21
	v_lshlrev_b32_e32 v21, 2, v21
	ds_read_b32 v21, v21
	s_waitcnt lgkmcnt(0)
	v_add_u32_e32 v21, v21, v25
	global_store_byte v21, v20, s[58:59]
	s_or_b64 exec, exec, s[36:37]
	v_cmp_lt_u32_e64 s[42:43], v26, v0
	s_and_saveexec_b64 s[36:37], s[42:43]
	s_cbranch_execnz .LBB1665_465
.LBB1665_458:                           ;   in Loop: Header=BB1665_408 Depth=2
	s_or_b64 exec, exec, s[36:37]
	v_cmp_lt_u32_e64 s[40:41], v30, v0
	s_and_saveexec_b64 s[36:37], s[40:41]
	s_cbranch_execz .LBB1665_466
.LBB1665_459:                           ;   in Loop: Header=BB1665_408 Depth=2
	ds_read_u8 v20, v30 offset:1024
	s_waitcnt lgkmcnt(0)
	v_and_b32_e32 v21, 1, v20
	v_lshrrev_b32_e32 v21, s69, v21
	v_and_b32_e32 v21, s77, v21
	v_lshlrev_b32_e32 v21, 2, v21
	ds_read_b32 v21, v21
	s_waitcnt lgkmcnt(0)
	v_add_u32_e32 v21, v21, v30
	global_store_byte v21, v20, s[58:59]
	s_or_b64 exec, exec, s[36:37]
	v_cmp_lt_u32_e64 s[38:39], v31, v0
	s_and_saveexec_b64 s[36:37], s[38:39]
	s_cbranch_execnz .LBB1665_467
.LBB1665_460:                           ;   in Loop: Header=BB1665_408 Depth=2
	s_or_b64 exec, exec, s[36:37]
	v_cmp_lt_u32_e64 s[36:37], v32, v0
	s_and_saveexec_b64 s[52:53], s[36:37]
	s_cbranch_execz .LBB1665_468
.LBB1665_461:                           ;   in Loop: Header=BB1665_408 Depth=2
	ds_read_u8 v20, v30 offset:1536
	s_waitcnt lgkmcnt(0)
	v_and_b32_e32 v21, 1, v20
	v_lshrrev_b32_e32 v21, s69, v21
	v_and_b32_e32 v21, s77, v21
	v_lshlrev_b32_e32 v21, 2, v21
	ds_read_b32 v21, v21
	s_waitcnt lgkmcnt(0)
	v_add_u32_e32 v21, v21, v32
	global_store_byte v21, v20, s[58:59]
	s_or_b64 exec, exec, s[52:53]
	v_cmp_lt_u32_e32 vcc, v33, v0
	s_and_saveexec_b64 s[52:53], vcc
	s_cbranch_execnz .LBB1665_469
	s_branch .LBB1665_470
.LBB1665_462:                           ;   in Loop: Header=BB1665_408 Depth=2
	s_or_b64 exec, exec, s[36:37]
	v_cmp_lt_u32_e64 s[46:47], v24, v0
	s_and_saveexec_b64 s[36:37], s[46:47]
	s_cbranch_execz .LBB1665_456
.LBB1665_463:                           ;   in Loop: Header=BB1665_408 Depth=2
	ds_read_u8 v20, v30 offset:256
	s_waitcnt lgkmcnt(0)
	v_and_b32_e32 v21, 1, v20
	v_lshrrev_b32_e32 v21, s69, v21
	v_and_b32_e32 v21, s77, v21
	v_lshlrev_b32_e32 v21, 2, v21
	ds_read_b32 v21, v21
	s_waitcnt lgkmcnt(0)
	v_add_u32_e32 v21, v21, v24
	global_store_byte v21, v20, s[58:59]
	s_or_b64 exec, exec, s[36:37]
	v_cmp_lt_u32_e64 s[44:45], v25, v0
	s_and_saveexec_b64 s[36:37], s[44:45]
	s_cbranch_execnz .LBB1665_457
.LBB1665_464:                           ;   in Loop: Header=BB1665_408 Depth=2
	s_or_b64 exec, exec, s[36:37]
	v_cmp_lt_u32_e64 s[42:43], v26, v0
	s_and_saveexec_b64 s[36:37], s[42:43]
	s_cbranch_execz .LBB1665_458
.LBB1665_465:                           ;   in Loop: Header=BB1665_408 Depth=2
	ds_read_u8 v20, v30 offset:768
	s_waitcnt lgkmcnt(0)
	v_and_b32_e32 v21, 1, v20
	v_lshrrev_b32_e32 v21, s69, v21
	v_and_b32_e32 v21, s77, v21
	v_lshlrev_b32_e32 v21, 2, v21
	ds_read_b32 v21, v21
	s_waitcnt lgkmcnt(0)
	v_add_u32_e32 v21, v21, v26
	global_store_byte v21, v20, s[58:59]
	s_or_b64 exec, exec, s[36:37]
	v_cmp_lt_u32_e64 s[40:41], v30, v0
	s_and_saveexec_b64 s[36:37], s[40:41]
	s_cbranch_execnz .LBB1665_459
.LBB1665_466:                           ;   in Loop: Header=BB1665_408 Depth=2
	s_or_b64 exec, exec, s[36:37]
	v_cmp_lt_u32_e64 s[38:39], v31, v0
	s_and_saveexec_b64 s[36:37], s[38:39]
	s_cbranch_execz .LBB1665_460
.LBB1665_467:                           ;   in Loop: Header=BB1665_408 Depth=2
	ds_read_u8 v20, v30 offset:1280
	s_waitcnt lgkmcnt(0)
	v_and_b32_e32 v21, 1, v20
	v_lshrrev_b32_e32 v21, s69, v21
	v_and_b32_e32 v21, s77, v21
	v_lshlrev_b32_e32 v21, 2, v21
	ds_read_b32 v21, v21
	s_waitcnt lgkmcnt(0)
	v_add_u32_e32 v21, v21, v31
	global_store_byte v21, v20, s[58:59]
	s_or_b64 exec, exec, s[36:37]
	v_cmp_lt_u32_e64 s[36:37], v32, v0
	s_and_saveexec_b64 s[52:53], s[36:37]
	s_cbranch_execnz .LBB1665_461
.LBB1665_468:                           ;   in Loop: Header=BB1665_408 Depth=2
	s_or_b64 exec, exec, s[52:53]
	v_cmp_lt_u32_e32 vcc, v33, v0
	s_and_saveexec_b64 s[52:53], vcc
	s_cbranch_execz .LBB1665_470
.LBB1665_469:                           ;   in Loop: Header=BB1665_408 Depth=2
	ds_read_u8 v20, v30 offset:1792
	s_waitcnt lgkmcnt(0)
	v_and_b32_e32 v21, 1, v20
	v_lshrrev_b32_e32 v21, s69, v21
	v_and_b32_e32 v21, s77, v21
	v_lshlrev_b32_e32 v21, 2, v21
	ds_read_b32 v21, v21
	s_waitcnt lgkmcnt(0)
	v_add_u32_e32 v21, v21, v33
	global_store_byte v21, v20, s[58:59]
.LBB1665_470:                           ;   in Loop: Header=BB1665_408 Depth=2
	s_or_b64 exec, exec, s[52:53]
	s_lshl_b64 s[52:53], s[72:73], 3
	v_mov_b32_e32 v21, s53
	v_add_co_u32_e64 v20, s[52:53], s52, v77
	v_addc_co_u32_e64 v21, s[52:53], v78, v21, s[52:53]
	v_cmp_lt_u32_e64 s[52:53], v72, v0
	s_and_saveexec_b64 s[62:63], s[52:53]
	s_xor_b64 s[52:53], exec, s[62:63]
	s_cbranch_execz .LBB1665_486
; %bb.471:                              ;   in Loop: Header=BB1665_408 Depth=2
	global_load_dwordx2 v[18:19], v[20:21], off
	s_or_b64 exec, exec, s[52:53]
	v_cmp_lt_u32_e64 s[52:53], v79, v0
	s_and_saveexec_b64 s[62:63], s[52:53]
	s_cbranch_execnz .LBB1665_487
.LBB1665_472:                           ;   in Loop: Header=BB1665_408 Depth=2
	s_or_b64 exec, exec, s[62:63]
	v_cmp_lt_u32_e64 s[52:53], v80, v0
	s_and_saveexec_b64 s[62:63], s[52:53]
	s_cbranch_execz .LBB1665_488
.LBB1665_473:                           ;   in Loop: Header=BB1665_408 Depth=2
	global_load_dwordx2 v[14:15], v[20:21], off offset:1024
	s_or_b64 exec, exec, s[62:63]
	v_cmp_lt_u32_e64 s[52:53], v81, v0
	s_and_saveexec_b64 s[62:63], s[52:53]
	s_cbranch_execnz .LBB1665_489
.LBB1665_474:                           ;   in Loop: Header=BB1665_408 Depth=2
	s_or_b64 exec, exec, s[62:63]
	v_cmp_lt_u32_e64 s[52:53], v82, v0
	s_and_saveexec_b64 s[62:63], s[52:53]
	s_cbranch_execz .LBB1665_490
.LBB1665_475:                           ;   in Loop: Header=BB1665_408 Depth=2
	global_load_dwordx2 v[10:11], v[20:21], off offset:2048
	s_or_b64 exec, exec, s[62:63]
	v_cmp_lt_u32_e64 s[52:53], v83, v0
	s_and_saveexec_b64 s[62:63], s[52:53]
	s_cbranch_execnz .LBB1665_491
.LBB1665_476:                           ;   in Loop: Header=BB1665_408 Depth=2
	s_or_b64 exec, exec, s[62:63]
	v_cmp_lt_u32_e64 s[52:53], v84, v0
	s_and_saveexec_b64 s[62:63], s[52:53]
	s_cbranch_execz .LBB1665_492
.LBB1665_477:                           ;   in Loop: Header=BB1665_408 Depth=2
	global_load_dwordx2 v[6:7], v[20:21], off offset:3072
	s_or_b64 exec, exec, s[62:63]
	v_cmp_lt_u32_e64 s[52:53], v85, v0
	s_and_saveexec_b64 s[62:63], s[52:53]
	s_cbranch_execnz .LBB1665_493
.LBB1665_478:                           ;   in Loop: Header=BB1665_408 Depth=2
	s_or_b64 exec, exec, s[62:63]
	s_and_saveexec_b64 s[52:53], s[48:49]
	s_cbranch_execz .LBB1665_494
.LBB1665_479:                           ;   in Loop: Header=BB1665_408 Depth=2
	ds_read_u8 v0, v2 offset:1024
	s_waitcnt lgkmcnt(0)
	v_lshrrev_b32_e32 v0, s69, v0
	v_and_b32_e32 v75, s77, v0
	s_or_b64 exec, exec, s[52:53]
	s_and_saveexec_b64 s[52:53], s[46:47]
	s_cbranch_execnz .LBB1665_495
.LBB1665_480:                           ;   in Loop: Header=BB1665_408 Depth=2
	s_or_b64 exec, exec, s[52:53]
	s_and_saveexec_b64 s[52:53], s[44:45]
	s_cbranch_execz .LBB1665_496
.LBB1665_481:                           ;   in Loop: Header=BB1665_408 Depth=2
	ds_read_u8 v0, v30 offset:512
	s_waitcnt lgkmcnt(0)
	v_lshrrev_b32_e32 v0, s69, v0
	v_and_b32_e32 v71, s77, v0
	s_or_b64 exec, exec, s[52:53]
	s_and_saveexec_b64 s[52:53], s[42:43]
	s_cbranch_execnz .LBB1665_497
.LBB1665_482:                           ;   in Loop: Header=BB1665_408 Depth=2
	s_or_b64 exec, exec, s[52:53]
	s_and_saveexec_b64 s[52:53], s[40:41]
	s_cbranch_execz .LBB1665_498
.LBB1665_483:                           ;   in Loop: Header=BB1665_408 Depth=2
	ds_read_u8 v0, v30 offset:1024
	s_waitcnt lgkmcnt(0)
	v_lshrrev_b32_e32 v0, s69, v0
	v_and_b32_e32 v69, s77, v0
	s_or_b64 exec, exec, s[52:53]
	s_and_saveexec_b64 s[52:53], s[38:39]
	s_cbranch_execnz .LBB1665_499
.LBB1665_484:                           ;   in Loop: Header=BB1665_408 Depth=2
	s_or_b64 exec, exec, s[52:53]
	s_and_saveexec_b64 s[52:53], s[36:37]
	s_cbranch_execz .LBB1665_500
.LBB1665_485:                           ;   in Loop: Header=BB1665_408 Depth=2
	ds_read_u8 v0, v30 offset:1536
	s_waitcnt lgkmcnt(0)
	v_lshrrev_b32_e32 v0, s69, v0
	v_and_b32_e32 v67, s77, v0
	s_or_b64 exec, exec, s[52:53]
	s_and_saveexec_b64 s[52:53], vcc
	s_cbranch_execnz .LBB1665_501
	s_branch .LBB1665_502
.LBB1665_486:                           ;   in Loop: Header=BB1665_408 Depth=2
	s_or_b64 exec, exec, s[52:53]
	v_cmp_lt_u32_e64 s[52:53], v79, v0
	s_and_saveexec_b64 s[62:63], s[52:53]
	s_cbranch_execz .LBB1665_472
.LBB1665_487:                           ;   in Loop: Header=BB1665_408 Depth=2
	global_load_dwordx2 v[16:17], v[20:21], off offset:512
	s_or_b64 exec, exec, s[62:63]
	v_cmp_lt_u32_e64 s[52:53], v80, v0
	s_and_saveexec_b64 s[62:63], s[52:53]
	s_cbranch_execnz .LBB1665_473
.LBB1665_488:                           ;   in Loop: Header=BB1665_408 Depth=2
	s_or_b64 exec, exec, s[62:63]
	v_cmp_lt_u32_e64 s[52:53], v81, v0
	s_and_saveexec_b64 s[62:63], s[52:53]
	s_cbranch_execz .LBB1665_474
.LBB1665_489:                           ;   in Loop: Header=BB1665_408 Depth=2
	global_load_dwordx2 v[12:13], v[20:21], off offset:1536
	s_or_b64 exec, exec, s[62:63]
	v_cmp_lt_u32_e64 s[52:53], v82, v0
	s_and_saveexec_b64 s[62:63], s[52:53]
	s_cbranch_execnz .LBB1665_475
.LBB1665_490:                           ;   in Loop: Header=BB1665_408 Depth=2
	s_or_b64 exec, exec, s[62:63]
	v_cmp_lt_u32_e64 s[52:53], v83, v0
	s_and_saveexec_b64 s[62:63], s[52:53]
	s_cbranch_execz .LBB1665_476
.LBB1665_491:                           ;   in Loop: Header=BB1665_408 Depth=2
	global_load_dwordx2 v[8:9], v[20:21], off offset:2560
	s_or_b64 exec, exec, s[62:63]
	v_cmp_lt_u32_e64 s[52:53], v84, v0
	s_and_saveexec_b64 s[62:63], s[52:53]
	s_cbranch_execnz .LBB1665_477
.LBB1665_492:                           ;   in Loop: Header=BB1665_408 Depth=2
	s_or_b64 exec, exec, s[62:63]
	v_cmp_lt_u32_e64 s[52:53], v85, v0
	s_and_saveexec_b64 s[62:63], s[52:53]
	s_cbranch_execz .LBB1665_478
.LBB1665_493:                           ;   in Loop: Header=BB1665_408 Depth=2
	global_load_dwordx2 v[4:5], v[20:21], off offset:3584
	s_or_b64 exec, exec, s[62:63]
	s_and_saveexec_b64 s[52:53], s[48:49]
	s_cbranch_execnz .LBB1665_479
.LBB1665_494:                           ;   in Loop: Header=BB1665_408 Depth=2
	s_or_b64 exec, exec, s[52:53]
	s_and_saveexec_b64 s[52:53], s[46:47]
	s_cbranch_execz .LBB1665_480
.LBB1665_495:                           ;   in Loop: Header=BB1665_408 Depth=2
	ds_read_u8 v0, v30 offset:256
	s_waitcnt lgkmcnt(0)
	v_lshrrev_b32_e32 v0, s69, v0
	v_and_b32_e32 v73, s77, v0
	s_or_b64 exec, exec, s[52:53]
	s_and_saveexec_b64 s[52:53], s[44:45]
	s_cbranch_execnz .LBB1665_481
.LBB1665_496:                           ;   in Loop: Header=BB1665_408 Depth=2
	s_or_b64 exec, exec, s[52:53]
	s_and_saveexec_b64 s[52:53], s[42:43]
	s_cbranch_execz .LBB1665_482
.LBB1665_497:                           ;   in Loop: Header=BB1665_408 Depth=2
	ds_read_u8 v0, v30 offset:768
	s_waitcnt lgkmcnt(0)
	v_lshrrev_b32_e32 v0, s69, v0
	v_and_b32_e32 v70, s77, v0
	s_or_b64 exec, exec, s[52:53]
	s_and_saveexec_b64 s[52:53], s[40:41]
	s_cbranch_execnz .LBB1665_483
.LBB1665_498:                           ;   in Loop: Header=BB1665_408 Depth=2
	s_or_b64 exec, exec, s[52:53]
	s_and_saveexec_b64 s[52:53], s[38:39]
	s_cbranch_execz .LBB1665_484
.LBB1665_499:                           ;   in Loop: Header=BB1665_408 Depth=2
	ds_read_u8 v0, v30 offset:1280
	s_waitcnt lgkmcnt(0)
	v_lshrrev_b32_e32 v0, s69, v0
	v_and_b32_e32 v68, s77, v0
	s_or_b64 exec, exec, s[52:53]
	s_and_saveexec_b64 s[52:53], s[36:37]
	s_cbranch_execnz .LBB1665_485
.LBB1665_500:                           ;   in Loop: Header=BB1665_408 Depth=2
	s_or_b64 exec, exec, s[52:53]
	s_and_saveexec_b64 s[52:53], vcc
	s_cbranch_execz .LBB1665_502
.LBB1665_501:                           ;   in Loop: Header=BB1665_408 Depth=2
	ds_read_u8 v0, v30 offset:1792
	s_waitcnt lgkmcnt(0)
	v_lshrrev_b32_e32 v0, s69, v0
	v_and_b32_e32 v66, s77, v0
.LBB1665_502:                           ;   in Loop: Header=BB1665_408 Depth=2
	s_or_b64 exec, exec, s[52:53]
	v_lshlrev_b32_e32 v0, 3, v103
	s_barrier
	s_waitcnt vmcnt(0)
	ds_write_b64 v0, v[18:19] offset:1024
	v_lshlrev_b32_e32 v0, 3, v102
	ds_write_b64 v0, v[16:17] offset:1024
	v_lshlrev_b32_e32 v0, 3, v101
	;; [unrolled: 2-line block ×7, first 2 shown]
	ds_write_b64 v0, v[4:5] offset:1024
	s_waitcnt lgkmcnt(0)
	s_barrier
	s_and_saveexec_b64 s[52:53], s[48:49]
	s_cbranch_execz .LBB1665_510
; %bb.503:                              ;   in Loop: Header=BB1665_408 Depth=2
	v_lshlrev_b32_e32 v0, 2, v75
	ds_read_b32 v0, v0
	v_add_u32_e32 v20, v2, v50
	ds_read_b64 v[20:21], v20 offset:1024
	v_mov_b32_e32 v23, s65
	s_waitcnt lgkmcnt(1)
	v_add_u32_e32 v0, v0, v2
	v_lshlrev_b64 v[90:91], 3, v[0:1]
	v_add_co_u32_e64 v90, s[48:49], s64, v90
	v_addc_co_u32_e64 v91, s[48:49], v23, v91, s[48:49]
	s_waitcnt lgkmcnt(0)
	global_store_dwordx2 v[90:91], v[20:21], off
	s_or_b64 exec, exec, s[52:53]
	s_and_saveexec_b64 s[48:49], s[46:47]
	s_cbranch_execnz .LBB1665_511
.LBB1665_504:                           ;   in Loop: Header=BB1665_408 Depth=2
	s_or_b64 exec, exec, s[48:49]
	s_and_saveexec_b64 s[46:47], s[44:45]
	s_cbranch_execz .LBB1665_512
.LBB1665_505:                           ;   in Loop: Header=BB1665_408 Depth=2
	v_lshlrev_b32_e32 v0, 2, v71
	ds_read_b32 v0, v0
	v_add_u32_e32 v20, v30, v50
	ds_read_b64 v[20:21], v20 offset:4096
	v_mov_b32_e32 v23, s65
	s_waitcnt lgkmcnt(1)
	v_add_u32_e32 v0, v0, v25
	v_lshlrev_b64 v[90:91], 3, v[0:1]
	v_add_co_u32_e64 v90, s[44:45], s64, v90
	v_addc_co_u32_e64 v91, s[44:45], v23, v91, s[44:45]
	s_waitcnt lgkmcnt(0)
	global_store_dwordx2 v[90:91], v[20:21], off
	s_or_b64 exec, exec, s[46:47]
	s_and_saveexec_b64 s[44:45], s[42:43]
	s_cbranch_execnz .LBB1665_513
.LBB1665_506:                           ;   in Loop: Header=BB1665_408 Depth=2
	s_or_b64 exec, exec, s[44:45]
	s_and_saveexec_b64 s[42:43], s[40:41]
	s_cbranch_execz .LBB1665_514
.LBB1665_507:                           ;   in Loop: Header=BB1665_408 Depth=2
	v_lshlrev_b32_e32 v0, 2, v69
	ds_read_b32 v0, v0
	v_add_u32_e32 v20, v30, v50
	ds_read_b64 v[20:21], v20 offset:8192
	v_mov_b32_e32 v23, s65
	s_waitcnt lgkmcnt(1)
	v_add_u32_e32 v0, v0, v30
	v_lshlrev_b64 v[90:91], 3, v[0:1]
	v_add_co_u32_e64 v90, s[40:41], s64, v90
	v_addc_co_u32_e64 v91, s[40:41], v23, v91, s[40:41]
	s_waitcnt lgkmcnt(0)
	global_store_dwordx2 v[90:91], v[20:21], off
	s_or_b64 exec, exec, s[42:43]
	s_and_saveexec_b64 s[40:41], s[38:39]
	s_cbranch_execnz .LBB1665_515
.LBB1665_508:                           ;   in Loop: Header=BB1665_408 Depth=2
	s_or_b64 exec, exec, s[40:41]
	s_and_saveexec_b64 s[38:39], s[36:37]
	s_cbranch_execz .LBB1665_516
.LBB1665_509:                           ;   in Loop: Header=BB1665_408 Depth=2
	v_lshlrev_b32_e32 v0, 2, v67
	ds_read_b32 v0, v0
	v_add_u32_e32 v20, v30, v50
	ds_read_b64 v[20:21], v20 offset:12288
	v_mov_b32_e32 v23, s65
	s_waitcnt lgkmcnt(1)
	v_add_u32_e32 v0, v0, v32
	v_lshlrev_b64 v[90:91], 3, v[0:1]
	v_add_co_u32_e64 v90, s[36:37], s64, v90
	v_addc_co_u32_e64 v91, s[36:37], v23, v91, s[36:37]
	s_waitcnt lgkmcnt(0)
	global_store_dwordx2 v[90:91], v[20:21], off
	s_or_b64 exec, exec, s[38:39]
	s_and_saveexec_b64 s[36:37], vcc
	s_cbranch_execnz .LBB1665_517
	s_branch .LBB1665_518
.LBB1665_510:                           ;   in Loop: Header=BB1665_408 Depth=2
	s_or_b64 exec, exec, s[52:53]
	s_and_saveexec_b64 s[48:49], s[46:47]
	s_cbranch_execz .LBB1665_504
.LBB1665_511:                           ;   in Loop: Header=BB1665_408 Depth=2
	v_lshlrev_b32_e32 v0, 2, v73
	ds_read_b32 v0, v0
	v_add_u32_e32 v20, v30, v50
	ds_read_b64 v[20:21], v20 offset:2048
	v_mov_b32_e32 v23, s65
	s_waitcnt lgkmcnt(1)
	v_add_u32_e32 v0, v0, v24
	v_lshlrev_b64 v[90:91], 3, v[0:1]
	v_add_co_u32_e64 v90, s[46:47], s64, v90
	v_addc_co_u32_e64 v91, s[46:47], v23, v91, s[46:47]
	s_waitcnt lgkmcnt(0)
	global_store_dwordx2 v[90:91], v[20:21], off
	s_or_b64 exec, exec, s[48:49]
	s_and_saveexec_b64 s[46:47], s[44:45]
	s_cbranch_execnz .LBB1665_505
.LBB1665_512:                           ;   in Loop: Header=BB1665_408 Depth=2
	s_or_b64 exec, exec, s[46:47]
	s_and_saveexec_b64 s[44:45], s[42:43]
	s_cbranch_execz .LBB1665_506
.LBB1665_513:                           ;   in Loop: Header=BB1665_408 Depth=2
	v_lshlrev_b32_e32 v0, 2, v70
	ds_read_b32 v0, v0
	v_add_u32_e32 v20, v30, v50
	ds_read_b64 v[20:21], v20 offset:6144
	v_mov_b32_e32 v23, s65
	s_waitcnt lgkmcnt(1)
	v_add_u32_e32 v0, v0, v26
	v_lshlrev_b64 v[90:91], 3, v[0:1]
	v_add_co_u32_e64 v90, s[42:43], s64, v90
	v_addc_co_u32_e64 v91, s[42:43], v23, v91, s[42:43]
	s_waitcnt lgkmcnt(0)
	global_store_dwordx2 v[90:91], v[20:21], off
	s_or_b64 exec, exec, s[44:45]
	s_and_saveexec_b64 s[42:43], s[40:41]
	s_cbranch_execnz .LBB1665_507
.LBB1665_514:                           ;   in Loop: Header=BB1665_408 Depth=2
	s_or_b64 exec, exec, s[42:43]
	s_and_saveexec_b64 s[40:41], s[38:39]
	s_cbranch_execz .LBB1665_508
.LBB1665_515:                           ;   in Loop: Header=BB1665_408 Depth=2
	v_lshlrev_b32_e32 v0, 2, v68
	ds_read_b32 v0, v0
	v_add_u32_e32 v20, v30, v50
	ds_read_b64 v[20:21], v20 offset:10240
	v_mov_b32_e32 v23, s65
	s_waitcnt lgkmcnt(1)
	v_add_u32_e32 v0, v0, v31
	v_lshlrev_b64 v[90:91], 3, v[0:1]
	v_add_co_u32_e64 v90, s[38:39], s64, v90
	v_addc_co_u32_e64 v91, s[38:39], v23, v91, s[38:39]
	s_waitcnt lgkmcnt(0)
	global_store_dwordx2 v[90:91], v[20:21], off
	s_or_b64 exec, exec, s[40:41]
	s_and_saveexec_b64 s[38:39], s[36:37]
	s_cbranch_execnz .LBB1665_509
.LBB1665_516:                           ;   in Loop: Header=BB1665_408 Depth=2
	s_or_b64 exec, exec, s[38:39]
	s_and_saveexec_b64 s[36:37], vcc
	s_cbranch_execz .LBB1665_518
.LBB1665_517:                           ;   in Loop: Header=BB1665_408 Depth=2
	v_lshlrev_b32_e32 v0, 2, v66
	ds_read_b32 v0, v0
	v_add_u32_e32 v20, v30, v50
	ds_read_b64 v[20:21], v20 offset:14336
	v_mov_b32_e32 v23, s65
	s_waitcnt lgkmcnt(1)
	v_add_u32_e32 v0, v0, v33
	v_lshlrev_b64 v[90:91], 3, v[0:1]
	v_add_co_u32_e32 v90, vcc, s64, v90
	v_addc_co_u32_e32 v91, vcc, v23, v91, vcc
	s_waitcnt lgkmcnt(0)
	global_store_dwordx2 v[90:91], v[20:21], off
.LBB1665_518:                           ;   in Loop: Header=BB1665_408 Depth=2
	s_or_b64 exec, exec, s[36:37]
	s_barrier
	s_and_saveexec_b64 s[36:37], s[4:5]
	s_cbranch_execz .LBB1665_407
; %bb.519:                              ;   in Loop: Header=BB1665_408 Depth=2
	ds_read_b32 v0, v3
	s_waitcnt lgkmcnt(0)
	v_add_u32_e32 v0, v0, v22
	ds_write_b32 v3, v0
	s_branch .LBB1665_407
.LBB1665_520:                           ;   in Loop: Header=BB1665_20 Depth=1
	s_waitcnt lgkmcnt(0)
	s_barrier
	s_mov_b64 s[16:17], 0
.LBB1665_521:                           ;   in Loop: Header=BB1665_20 Depth=1
	s_and_b64 vcc, exec, s[16:17]
	s_cbranch_vccz .LBB1665_19
; %bb.522:                              ;   in Loop: Header=BB1665_20 Depth=1
	s_mov_b32 s20, s71
	s_mov_b32 s22, s51
	s_barrier
	s_waitcnt lgkmcnt(0)
                                        ; implicit-def: $vgpr0
                                        ; implicit-def: $vgpr6
                                        ; implicit-def: $vgpr7
                                        ; implicit-def: $vgpr8
                                        ; implicit-def: $vgpr9
                                        ; implicit-def: $vgpr10
                                        ; implicit-def: $vgpr11
                                        ; implicit-def: $vgpr12
	s_branch .LBB1665_524
.LBB1665_523:                           ;   in Loop: Header=BB1665_524 Depth=2
	s_or_b64 exec, exec, s[16:17]
	s_addk_i32 s20, 0xf800
	s_cmp_ge_u32 s21, s76
	s_mov_b32 s22, s21
	s_cbranch_scc1 .LBB1665_562
.LBB1665_524:                           ;   Parent Loop BB1665_20 Depth=1
                                        ; =>  This Inner Loop Header: Depth=2
	s_add_i32 s21, s22, 0x800
	s_cmp_gt_u32 s21, s76
	s_cbranch_scc1 .LBB1665_527
; %bb.525:                              ;   in Loop: Header=BB1665_524 Depth=2
	v_add_co_u32_e32 v4, vcc, s22, v57
	v_addc_co_u32_e32 v5, vcc, 0, v58, vcc
	global_load_ubyte v20, v[4:5], off offset:1536
	global_load_ubyte v19, v[4:5], off offset:1280
	global_load_ubyte v18, v[4:5], off offset:1024
	global_load_ubyte v17, v[4:5], off offset:768
	global_load_ubyte v16, v[4:5], off offset:512
	global_load_ubyte v15, v[4:5], off offset:256
	global_load_ubyte v14, v[4:5], off
	v_add_co_u32_e32 v4, vcc, 0x700, v4
	v_addc_co_u32_e32 v5, vcc, 0, v5, vcc
	s_mov_b64 s[16:17], -1
	s_movk_i32 s25, 0x800
	s_cbranch_execz .LBB1665_528
; %bb.526:                              ;   in Loop: Header=BB1665_524 Depth=2
                                        ; implicit-def: $vgpr0
                                        ; implicit-def: $vgpr6
                                        ; implicit-def: $vgpr7
                                        ; implicit-def: $vgpr8
                                        ; implicit-def: $vgpr9
                                        ; implicit-def: $vgpr10
                                        ; implicit-def: $vgpr11
                                        ; implicit-def: $vgpr12
	v_mov_b32_e32 v13, s20
	s_and_saveexec_b64 s[18:19], s[16:17]
	s_cbranch_execnz .LBB1665_539
	s_branch .LBB1665_540
.LBB1665_527:                           ;   in Loop: Header=BB1665_524 Depth=2
	s_mov_b64 s[16:17], 0
                                        ; implicit-def: $sgpr25
                                        ; implicit-def: $vgpr14
                                        ; implicit-def: $vgpr15
                                        ; implicit-def: $vgpr16
                                        ; implicit-def: $vgpr17
                                        ; implicit-def: $vgpr18
                                        ; implicit-def: $vgpr19
                                        ; implicit-def: $vgpr20
                                        ; implicit-def: $vgpr4_vgpr5
.LBB1665_528:                           ;   in Loop: Header=BB1665_524 Depth=2
	s_add_u32 s23, s56, s22
	s_addc_u32 s24, s57, 0
	v_cmp_gt_u32_e32 vcc, s20, v2
	s_and_saveexec_b64 s[18:19], vcc
	s_cbranch_execz .LBB1665_556
; %bb.529:                              ;   in Loop: Header=BB1665_524 Depth=2
	v_mov_b32_e32 v0, s24
	v_add_co_u32_e32 v4, vcc, s23, v2
	v_addc_co_u32_e32 v5, vcc, 0, v0, vcc
	global_load_ubyte v0, v[4:5], off
	s_or_b64 exec, exec, s[18:19]
	v_cmp_gt_u32_e32 vcc, s20, v24
	s_and_saveexec_b64 s[18:19], vcc
	s_cbranch_execnz .LBB1665_557
.LBB1665_530:                           ;   in Loop: Header=BB1665_524 Depth=2
	s_or_b64 exec, exec, s[18:19]
	v_cmp_gt_u32_e32 vcc, s20, v25
	s_and_saveexec_b64 s[18:19], vcc
	s_cbranch_execz .LBB1665_558
.LBB1665_531:                           ;   in Loop: Header=BB1665_524 Depth=2
	v_mov_b32_e32 v5, s24
	v_add_co_u32_e32 v4, vcc, s23, v2
	v_addc_co_u32_e32 v5, vcc, 0, v5, vcc
	global_load_ubyte v7, v[4:5], off offset:512
	s_or_b64 exec, exec, s[18:19]
	v_cmp_gt_u32_e32 vcc, s20, v26
	s_and_saveexec_b64 s[18:19], vcc
	s_cbranch_execnz .LBB1665_559
.LBB1665_532:                           ;   in Loop: Header=BB1665_524 Depth=2
	s_or_b64 exec, exec, s[18:19]
	v_cmp_gt_u32_e32 vcc, s20, v30
	s_and_saveexec_b64 s[18:19], vcc
	s_cbranch_execz .LBB1665_560
.LBB1665_533:                           ;   in Loop: Header=BB1665_524 Depth=2
	v_mov_b32_e32 v5, s24
	v_add_co_u32_e32 v4, vcc, s23, v2
	v_addc_co_u32_e32 v5, vcc, 0, v5, vcc
	global_load_ubyte v9, v[4:5], off offset:1024
	s_or_b64 exec, exec, s[18:19]
	v_cmp_gt_u32_e32 vcc, s20, v31
	s_and_saveexec_b64 s[18:19], vcc
	s_cbranch_execnz .LBB1665_561
.LBB1665_534:                           ;   in Loop: Header=BB1665_524 Depth=2
	s_or_b64 exec, exec, s[18:19]
	v_cmp_gt_u32_e32 vcc, s20, v32
	s_and_saveexec_b64 s[18:19], vcc
	s_cbranch_execz .LBB1665_536
.LBB1665_535:                           ;   in Loop: Header=BB1665_524 Depth=2
	v_mov_b32_e32 v5, s24
	v_add_co_u32_e32 v4, vcc, s23, v2
	v_addc_co_u32_e32 v5, vcc, 0, v5, vcc
	global_load_ubyte v11, v[4:5], off offset:1536
.LBB1665_536:                           ;   in Loop: Header=BB1665_524 Depth=2
	s_or_b64 exec, exec, s[18:19]
	v_cmp_gt_u32_e32 vcc, s20, v33
                                        ; implicit-def: $sgpr25
                                        ; implicit-def: $vgpr4_vgpr5
	s_and_saveexec_b64 s[18:19], vcc
	s_cbranch_execz .LBB1665_538
; %bb.537:                              ;   in Loop: Header=BB1665_524 Depth=2
	v_mov_b32_e32 v4, s24
	v_add_co_u32_e32 v5, vcc, s23, v2
	s_waitcnt vmcnt(0)
	v_addc_co_u32_e32 v12, vcc, 0, v4, vcc
	v_add_co_u32_e32 v4, vcc, 0x700, v5
	s_sub_i32 s25, s76, s22
	v_addc_co_u32_e32 v5, vcc, 0, v12, vcc
	s_or_b64 s[16:17], s[16:17], exec
                                        ; implicit-def: $vgpr12
.LBB1665_538:                           ;   in Loop: Header=BB1665_524 Depth=2
	s_or_b64 exec, exec, s[18:19]
	s_waitcnt vmcnt(0)
	v_mov_b32_e32 v14, v0
	v_mov_b32_e32 v15, v6
	;; [unrolled: 1-line block ×8, first 2 shown]
	s_and_saveexec_b64 s[18:19], s[16:17]
	s_cbranch_execz .LBB1665_540
.LBB1665_539:                           ;   in Loop: Header=BB1665_524 Depth=2
	global_load_ubyte v12, v[4:5], off
	v_mov_b32_e32 v13, s25
	s_waitcnt vmcnt(1)
	v_mov_b32_e32 v0, v14
	v_mov_b32_e32 v6, v15
	;; [unrolled: 1-line block ×7, first 2 shown]
.LBB1665_540:                           ;   in Loop: Header=BB1665_524 Depth=2
	s_or_b64 exec, exec, s[18:19]
	v_cmp_lt_u32_e32 vcc, v2, v13
	v_lshlrev_b32_e32 v4, 2, v27
	s_and_saveexec_b64 s[16:17], vcc
	s_cbranch_execz .LBB1665_548
; %bb.541:                              ;   in Loop: Header=BB1665_524 Depth=2
	v_and_b32_e32 v5, 1, v0
	v_lshrrev_b32_e32 v5, s69, v5
	v_and_b32_e32 v5, s77, v5
	v_lshl_or_b32 v5, v5, 4, v4
	ds_add_u32 v5, v63
	s_or_b64 exec, exec, s[16:17]
	v_cmp_lt_u32_e32 vcc, v24, v13
	s_and_saveexec_b64 s[16:17], vcc
	s_cbranch_execnz .LBB1665_549
.LBB1665_542:                           ;   in Loop: Header=BB1665_524 Depth=2
	s_or_b64 exec, exec, s[16:17]
	v_cmp_lt_u32_e32 vcc, v25, v13
	s_and_saveexec_b64 s[16:17], vcc
	s_cbranch_execz .LBB1665_550
.LBB1665_543:                           ;   in Loop: Header=BB1665_524 Depth=2
	v_and_b32_e32 v5, 1, v7
	v_lshrrev_b32_e32 v5, s69, v5
	v_and_b32_e32 v5, s77, v5
	v_lshl_or_b32 v5, v5, 4, v4
	ds_add_u32 v5, v63
	s_or_b64 exec, exec, s[16:17]
	v_cmp_lt_u32_e32 vcc, v26, v13
	s_and_saveexec_b64 s[16:17], vcc
	s_cbranch_execnz .LBB1665_551
.LBB1665_544:                           ;   in Loop: Header=BB1665_524 Depth=2
	s_or_b64 exec, exec, s[16:17]
	v_cmp_lt_u32_e32 vcc, v30, v13
	s_and_saveexec_b64 s[16:17], vcc
	s_cbranch_execz .LBB1665_552
.LBB1665_545:                           ;   in Loop: Header=BB1665_524 Depth=2
	v_and_b32_e32 v5, 1, v9
	v_lshrrev_b32_e32 v5, s69, v5
	v_and_b32_e32 v5, s77, v5
	v_lshl_or_b32 v5, v5, 4, v4
	ds_add_u32 v5, v63
	s_or_b64 exec, exec, s[16:17]
	v_cmp_lt_u32_e32 vcc, v31, v13
	s_and_saveexec_b64 s[16:17], vcc
	s_cbranch_execnz .LBB1665_553
.LBB1665_546:                           ;   in Loop: Header=BB1665_524 Depth=2
	s_or_b64 exec, exec, s[16:17]
	v_cmp_lt_u32_e32 vcc, v32, v13
	s_and_saveexec_b64 s[16:17], vcc
	s_cbranch_execz .LBB1665_554
.LBB1665_547:                           ;   in Loop: Header=BB1665_524 Depth=2
	v_and_b32_e32 v5, 1, v11
	v_lshrrev_b32_e32 v5, s69, v5
	v_and_b32_e32 v5, s77, v5
	v_lshl_or_b32 v5, v5, 4, v4
	ds_add_u32 v5, v63
	s_or_b64 exec, exec, s[16:17]
	v_cmp_lt_u32_e32 vcc, v33, v13
	s_and_saveexec_b64 s[16:17], vcc
	s_cbranch_execz .LBB1665_523
	s_branch .LBB1665_555
.LBB1665_548:                           ;   in Loop: Header=BB1665_524 Depth=2
	s_or_b64 exec, exec, s[16:17]
	v_cmp_lt_u32_e32 vcc, v24, v13
	s_and_saveexec_b64 s[16:17], vcc
	s_cbranch_execz .LBB1665_542
.LBB1665_549:                           ;   in Loop: Header=BB1665_524 Depth=2
	v_and_b32_e32 v5, 1, v6
	v_lshrrev_b32_e32 v5, s69, v5
	v_and_b32_e32 v5, s77, v5
	v_lshl_or_b32 v5, v5, 4, v4
	ds_add_u32 v5, v63
	s_or_b64 exec, exec, s[16:17]
	v_cmp_lt_u32_e32 vcc, v25, v13
	s_and_saveexec_b64 s[16:17], vcc
	s_cbranch_execnz .LBB1665_543
.LBB1665_550:                           ;   in Loop: Header=BB1665_524 Depth=2
	s_or_b64 exec, exec, s[16:17]
	v_cmp_lt_u32_e32 vcc, v26, v13
	s_and_saveexec_b64 s[16:17], vcc
	s_cbranch_execz .LBB1665_544
.LBB1665_551:                           ;   in Loop: Header=BB1665_524 Depth=2
	v_and_b32_e32 v5, 1, v8
	v_lshrrev_b32_e32 v5, s69, v5
	v_and_b32_e32 v5, s77, v5
	v_lshl_or_b32 v5, v5, 4, v4
	ds_add_u32 v5, v63
	s_or_b64 exec, exec, s[16:17]
	v_cmp_lt_u32_e32 vcc, v30, v13
	s_and_saveexec_b64 s[16:17], vcc
	s_cbranch_execnz .LBB1665_545
.LBB1665_552:                           ;   in Loop: Header=BB1665_524 Depth=2
	s_or_b64 exec, exec, s[16:17]
	v_cmp_lt_u32_e32 vcc, v31, v13
	s_and_saveexec_b64 s[16:17], vcc
	s_cbranch_execz .LBB1665_546
.LBB1665_553:                           ;   in Loop: Header=BB1665_524 Depth=2
	v_and_b32_e32 v5, 1, v10
	v_lshrrev_b32_e32 v5, s69, v5
	v_and_b32_e32 v5, s77, v5
	v_lshl_or_b32 v5, v5, 4, v4
	ds_add_u32 v5, v63
	s_or_b64 exec, exec, s[16:17]
	v_cmp_lt_u32_e32 vcc, v32, v13
	s_and_saveexec_b64 s[16:17], vcc
	s_cbranch_execnz .LBB1665_547
.LBB1665_554:                           ;   in Loop: Header=BB1665_524 Depth=2
	s_or_b64 exec, exec, s[16:17]
	v_cmp_lt_u32_e32 vcc, v33, v13
	s_and_saveexec_b64 s[16:17], vcc
	s_cbranch_execz .LBB1665_523
.LBB1665_555:                           ;   in Loop: Header=BB1665_524 Depth=2
	s_waitcnt vmcnt(0)
	v_and_b32_e32 v5, 1, v12
	v_lshrrev_b32_e32 v5, s69, v5
	v_and_b32_e32 v5, s77, v5
	v_lshl_or_b32 v4, v5, 4, v4
	ds_add_u32 v4, v63
	s_branch .LBB1665_523
.LBB1665_556:                           ;   in Loop: Header=BB1665_524 Depth=2
	s_or_b64 exec, exec, s[18:19]
	v_cmp_gt_u32_e32 vcc, s20, v24
	s_and_saveexec_b64 s[18:19], vcc
	s_cbranch_execz .LBB1665_530
.LBB1665_557:                           ;   in Loop: Header=BB1665_524 Depth=2
	v_mov_b32_e32 v5, s24
	v_add_co_u32_e32 v4, vcc, s23, v2
	v_addc_co_u32_e32 v5, vcc, 0, v5, vcc
	global_load_ubyte v6, v[4:5], off offset:256
	s_or_b64 exec, exec, s[18:19]
	v_cmp_gt_u32_e32 vcc, s20, v25
	s_and_saveexec_b64 s[18:19], vcc
	s_cbranch_execnz .LBB1665_531
.LBB1665_558:                           ;   in Loop: Header=BB1665_524 Depth=2
	s_or_b64 exec, exec, s[18:19]
	v_cmp_gt_u32_e32 vcc, s20, v26
	s_and_saveexec_b64 s[18:19], vcc
	s_cbranch_execz .LBB1665_532
.LBB1665_559:                           ;   in Loop: Header=BB1665_524 Depth=2
	v_mov_b32_e32 v5, s24
	v_add_co_u32_e32 v4, vcc, s23, v2
	v_addc_co_u32_e32 v5, vcc, 0, v5, vcc
	global_load_ubyte v8, v[4:5], off offset:768
	s_or_b64 exec, exec, s[18:19]
	v_cmp_gt_u32_e32 vcc, s20, v30
	s_and_saveexec_b64 s[18:19], vcc
	s_cbranch_execnz .LBB1665_533
.LBB1665_560:                           ;   in Loop: Header=BB1665_524 Depth=2
	s_or_b64 exec, exec, s[18:19]
	v_cmp_gt_u32_e32 vcc, s20, v31
	s_and_saveexec_b64 s[18:19], vcc
	s_cbranch_execz .LBB1665_534
.LBB1665_561:                           ;   in Loop: Header=BB1665_524 Depth=2
	v_mov_b32_e32 v5, s24
	v_add_co_u32_e32 v4, vcc, s23, v2
	v_addc_co_u32_e32 v5, vcc, 0, v5, vcc
	global_load_ubyte v10, v[4:5], off offset:1280
	s_or_b64 exec, exec, s[18:19]
	v_cmp_gt_u32_e32 vcc, s20, v32
	s_and_saveexec_b64 s[18:19], vcc
	s_cbranch_execz .LBB1665_536
	s_branch .LBB1665_535
.LBB1665_562:                           ;   in Loop: Header=BB1665_20 Depth=1
	v_mov_b32_e32 v0, 0
	s_waitcnt lgkmcnt(0)
	s_barrier
	s_and_saveexec_b64 s[16:17], s[4:5]
	s_cbranch_execz .LBB1665_564
; %bb.563:                              ;   in Loop: Header=BB1665_20 Depth=1
	ds_read2_b64 v[4:7], v34 offset1:1
	s_waitcnt lgkmcnt(0)
	v_add_u32_e32 v0, v5, v4
	v_add3_u32 v0, v0, v6, v7
.LBB1665_564:                           ;   in Loop: Header=BB1665_20 Depth=1
	s_or_b64 exec, exec, s[16:17]
	v_and_b32_e32 v4, 15, v64
	v_mov_b32_dpp v5, v0 row_shr:1 row_mask:0xf bank_mask:0xf
	v_cmp_eq_u32_e64 s[16:17], 0, v4
	v_cndmask_b32_e64 v5, v5, 0, s[16:17]
	v_add_u32_e32 v0, v5, v0
	v_cmp_lt_u32_e64 s[18:19], 1, v4
	v_cmp_lt_u32_e64 s[20:21], 3, v4
	v_mov_b32_dpp v5, v0 row_shr:2 row_mask:0xf bank_mask:0xf
	v_cndmask_b32_e64 v5, 0, v5, s[18:19]
	v_add_u32_e32 v0, v0, v5
	v_cmp_lt_u32_e64 s[22:23], 7, v4
	v_cmp_lt_u32_e64 s[26:27], 31, v64
	v_mov_b32_dpp v5, v0 row_shr:4 row_mask:0xf bank_mask:0xf
	v_cndmask_b32_e64 v5, 0, v5, s[20:21]
	v_add_u32_e32 v0, v0, v5
	v_and_b32_e32 v6, 16, v64
	v_cmp_eq_u32_e64 s[24:25], 0, v6
	v_mov_b32_dpp v5, v0 row_shr:8 row_mask:0xf bank_mask:0xf
	v_cndmask_b32_e64 v4, 0, v5, s[22:23]
	v_add_u32_e32 v0, v0, v4
	v_bfe_i32 v5, v64, 4, 1
	s_nop 0
	v_mov_b32_dpp v4, v0 row_bcast:15 row_mask:0xf bank_mask:0xf
	v_and_b32_e32 v4, v5, v4
	v_add_u32_e32 v0, v0, v4
	s_nop 1
	v_mov_b32_dpp v4, v0 row_bcast:31 row_mask:0xf bank_mask:0xf
	v_cndmask_b32_e64 v4, 0, v4, s[26:27]
	v_add_u32_e32 v4, v0, v4
	s_and_saveexec_b64 s[28:29], s[6:7]
	s_cbranch_execz .LBB1665_566
; %bb.565:                              ;   in Loop: Header=BB1665_20 Depth=1
	ds_write_b32 v36, v4
.LBB1665_566:                           ;   in Loop: Header=BB1665_20 Depth=1
	s_or_b64 exec, exec, s[28:29]
	v_and_b32_e32 v0, 3, v64
	s_waitcnt lgkmcnt(0)
	s_barrier
	s_and_saveexec_b64 s[28:29], s[8:9]
	s_cbranch_execz .LBB1665_568
; %bb.567:                              ;   in Loop: Header=BB1665_20 Depth=1
	ds_read_b32 v5, v37
	v_cmp_ne_u32_e32 vcc, 0, v0
	s_waitcnt lgkmcnt(0)
	v_mov_b32_dpp v6, v5 row_shr:1 row_mask:0xf bank_mask:0xf
	v_cndmask_b32_e32 v6, 0, v6, vcc
	v_add_u32_e32 v5, v6, v5
	v_cmp_lt_u32_e32 vcc, 1, v0
	s_nop 0
	v_mov_b32_dpp v6, v5 row_shr:2 row_mask:0xf bank_mask:0xf
	v_cndmask_b32_e32 v6, 0, v6, vcc
	v_add_u32_e32 v5, v5, v6
	ds_write_b32 v37, v5
.LBB1665_568:                           ;   in Loop: Header=BB1665_20 Depth=1
	s_or_b64 exec, exec, s[28:29]
	v_mov_b32_e32 v5, 0
	s_waitcnt lgkmcnt(0)
	s_barrier
	s_and_saveexec_b64 s[28:29], s[10:11]
	s_cbranch_execz .LBB1665_570
; %bb.569:                              ;   in Loop: Header=BB1665_20 Depth=1
	ds_read_b32 v5, v38
.LBB1665_570:                           ;   in Loop: Header=BB1665_20 Depth=1
	s_or_b64 exec, exec, s[28:29]
	v_add_u32_e32 v6, -1, v64
	v_and_b32_e32 v7, 64, v64
	v_cmp_lt_i32_e32 vcc, v6, v7
	v_cndmask_b32_e32 v6, v6, v64, vcc
	s_waitcnt lgkmcnt(0)
	v_add_u32_e32 v4, v5, v4
	v_lshlrev_b32_e32 v65, 2, v6
	ds_bpermute_b32 v4, v65, v4
	v_cmp_eq_u32_e64 s[28:29], 0, v64
	s_waitcnt lgkmcnt(0)
	s_barrier
	s_and_saveexec_b64 s[30:31], s[4:5]
	s_cbranch_execz .LBB1665_572
; %bb.571:                              ;   in Loop: Header=BB1665_20 Depth=1
	v_cndmask_b32_e64 v4, v4, v5, s[28:29]
	v_add_u32_e32 v4, s51, v4
	ds_write_b32 v3, v4
.LBB1665_572:                           ;   in Loop: Header=BB1665_20 Depth=1
	s_or_b64 exec, exec, s[30:31]
	s_load_dwordx2 s[30:31], s[74:75], 0x0
	s_mov_b32 s78, s71
	s_mov_b32 s72, s51
                                        ; implicit-def: $vgpr4_vgpr5
                                        ; implicit-def: $vgpr6_vgpr7
                                        ; implicit-def: $vgpr8_vgpr9
                                        ; implicit-def: $vgpr10_vgpr11
                                        ; implicit-def: $vgpr12_vgpr13
                                        ; implicit-def: $vgpr14_vgpr15
                                        ; implicit-def: $vgpr16_vgpr17
                                        ; implicit-def: $vgpr18_vgpr19
                                        ; implicit-def: $vgpr66
                                        ; implicit-def: $vgpr67
                                        ; implicit-def: $vgpr68
                                        ; implicit-def: $vgpr69
                                        ; implicit-def: $vgpr70
                                        ; implicit-def: $vgpr71
                                        ; implicit-def: $vgpr73
                                        ; implicit-def: $vgpr75
	s_waitcnt lgkmcnt(0)
	s_cmp_lt_u32 s50, s30
	s_cselect_b32 s34, 12, 18
	s_cmp_lt_u32 s33, s31
	s_cselect_b32 s30, 14, 20
	s_add_u32 s30, s74, s30
	s_addc_u32 s31, s75, 0
	s_add_u32 s34, s74, s34
	global_load_ushort v20, v1, s[30:31]
	s_addc_u32 s35, s75, 0
	global_load_ushort v21, v1, s[34:35]
	v_cmp_eq_u32_e64 s[30:31], 0, v0
	v_cmp_lt_u32_e64 s[34:35], 1, v0
	v_and_b32_e32 v0, 63, v64
	v_add_co_u32_e32 v74, vcc, v61, v0
	v_lshlrev_b32_e32 v22, 3, v0
	v_addc_co_u32_e32 v76, vcc, 0, v62, vcc
	v_add_co_u32_e32 v77, vcc, v59, v22
	v_or_b32_e32 v72, v0, v39
	v_addc_co_u32_e32 v78, vcc, 0, v60, vcc
	v_add_co_u32_e32 v86, vcc, 0x1c0, v74
	v_or_b32_e32 v79, 64, v72
	v_or_b32_e32 v80, 0x80, v72
	;; [unrolled: 1-line block ×7, first 2 shown]
	v_addc_co_u32_e32 v87, vcc, 0, v76, vcc
	s_waitcnt vmcnt(1)
	v_mad_u32_u24 v0, v40, v20, v41
	s_waitcnt vmcnt(0)
	v_mad_u64_u32 v[20:21], s[36:37], v0, v21, v[2:3]
	v_lshrrev_b32_e32 v88, 6, v20
	s_branch .LBB1665_574
.LBB1665_573:                           ;   in Loop: Header=BB1665_574 Depth=2
	s_or_b64 exec, exec, s[36:37]
	s_addk_i32 s78, 0xf800
	s_cmp_lt_u32 s79, s76
	s_mov_b32 s72, s79
	s_cbranch_scc0 .LBB1665_18
.LBB1665_574:                           ;   Parent Loop BB1665_20 Depth=1
                                        ; =>  This Inner Loop Header: Depth=2
	s_add_i32 s79, s72, 0x800
	s_cmp_gt_u32 s79, s76
	s_cbranch_scc1 .LBB1665_577
; %bb.575:                              ;   in Loop: Header=BB1665_574 Depth=2
	v_add_co_u32_e32 v20, vcc, s72, v74
	v_addc_co_u32_e32 v21, vcc, 0, v76, vcc
	global_load_ubyte v89, v[20:21], off
	global_load_ubyte v90, v[20:21], off offset:64
	global_load_ubyte v91, v[20:21], off offset:128
	global_load_ubyte v92, v[20:21], off offset:192
	global_load_ubyte v93, v[20:21], off offset:256
	global_load_ubyte v94, v[20:21], off offset:320
	global_load_ubyte v95, v[20:21], off offset:384
	s_mov_b64 s[36:37], -1
	s_movk_i32 s40, 0x800
	s_cbranch_execz .LBB1665_578
; %bb.576:                              ;   in Loop: Header=BB1665_574 Depth=2
                                        ; implicit-def: $sgpr38
	v_mov_b32_e32 v96, s38
	v_mov_b32_e32 v0, s78
	s_and_saveexec_b64 s[38:39], s[36:37]
	s_cbranch_execnz .LBB1665_593
	s_branch .LBB1665_594
.LBB1665_577:                           ;   in Loop: Header=BB1665_574 Depth=2
	s_mov_b64 s[36:37], 0
                                        ; implicit-def: $sgpr40
                                        ; implicit-def: $vgpr89
                                        ; implicit-def: $vgpr90
                                        ; implicit-def: $vgpr91
                                        ; implicit-def: $vgpr92
                                        ; implicit-def: $vgpr93
                                        ; implicit-def: $vgpr94
                                        ; implicit-def: $vgpr95
.LBB1665_578:                           ;   in Loop: Header=BB1665_574 Depth=2
	v_add_co_u32_e32 v20, vcc, s72, v74
	v_addc_co_u32_e32 v21, vcc, 0, v76, vcc
	v_cmp_gt_u32_e32 vcc, s78, v72
	s_waitcnt vmcnt(5)
	v_mov_b32_e32 v90, 1
	v_mov_b32_e32 v89, 1
	s_and_saveexec_b64 s[36:37], vcc
	s_cbranch_execz .LBB1665_580
; %bb.579:                              ;   in Loop: Header=BB1665_574 Depth=2
	global_load_ubyte v89, v[20:21], off
.LBB1665_580:                           ;   in Loop: Header=BB1665_574 Depth=2
	s_or_b64 exec, exec, s[36:37]
	v_cmp_gt_u32_e32 vcc, s78, v79
	s_and_saveexec_b64 s[36:37], vcc
	s_cbranch_execz .LBB1665_582
; %bb.581:                              ;   in Loop: Header=BB1665_574 Depth=2
	global_load_ubyte v90, v[20:21], off offset:64
.LBB1665_582:                           ;   in Loop: Header=BB1665_574 Depth=2
	s_or_b64 exec, exec, s[36:37]
	v_cmp_gt_u32_e32 vcc, s78, v80
	s_waitcnt vmcnt(3)
	v_mov_b32_e32 v92, 1
	v_mov_b32_e32 v91, 1
	s_and_saveexec_b64 s[36:37], vcc
	s_cbranch_execz .LBB1665_584
; %bb.583:                              ;   in Loop: Header=BB1665_574 Depth=2
	global_load_ubyte v91, v[20:21], off offset:128
.LBB1665_584:                           ;   in Loop: Header=BB1665_574 Depth=2
	s_or_b64 exec, exec, s[36:37]
	v_cmp_gt_u32_e32 vcc, s78, v81
	s_and_saveexec_b64 s[36:37], vcc
	s_cbranch_execz .LBB1665_586
; %bb.585:                              ;   in Loop: Header=BB1665_574 Depth=2
	global_load_ubyte v92, v[20:21], off offset:192
.LBB1665_586:                           ;   in Loop: Header=BB1665_574 Depth=2
	s_or_b64 exec, exec, s[36:37]
	v_cmp_gt_u32_e32 vcc, s78, v82
	s_waitcnt vmcnt(1)
	v_mov_b32_e32 v94, 1
	v_mov_b32_e32 v93, 1
	s_and_saveexec_b64 s[36:37], vcc
	s_cbranch_execz .LBB1665_588
; %bb.587:                              ;   in Loop: Header=BB1665_574 Depth=2
	global_load_ubyte v93, v[20:21], off offset:256
.LBB1665_588:                           ;   in Loop: Header=BB1665_574 Depth=2
	s_or_b64 exec, exec, s[36:37]
	v_cmp_gt_u32_e32 vcc, s78, v83
	s_and_saveexec_b64 s[36:37], vcc
	s_cbranch_execz .LBB1665_590
; %bb.589:                              ;   in Loop: Header=BB1665_574 Depth=2
	global_load_ubyte v94, v[20:21], off offset:320
.LBB1665_590:                           ;   in Loop: Header=BB1665_574 Depth=2
	s_or_b64 exec, exec, s[36:37]
	v_cmp_gt_u32_e32 vcc, s78, v84
	s_waitcnt vmcnt(0)
	v_mov_b32_e32 v95, 1
	s_and_saveexec_b64 s[36:37], vcc
	s_cbranch_execz .LBB1665_592
; %bb.591:                              ;   in Loop: Header=BB1665_574 Depth=2
	global_load_ubyte v95, v[20:21], off offset:384
.LBB1665_592:                           ;   in Loop: Header=BB1665_574 Depth=2
	s_or_b64 exec, exec, s[36:37]
	s_sub_i32 s40, s76, s72
	v_cmp_gt_u32_e64 s[36:37], s78, v85
	s_mov_b32 s38, 1
	v_mov_b32_e32 v96, s38
	v_mov_b32_e32 v0, s78
	s_and_saveexec_b64 s[38:39], s[36:37]
	s_cbranch_execz .LBB1665_594
.LBB1665_593:                           ;   in Loop: Header=BB1665_574 Depth=2
	v_mov_b32_e32 v0, s73
	v_add_co_u32_e32 v20, vcc, s72, v86
	v_addc_co_u32_e32 v21, vcc, v87, v0, vcc
	global_load_ubyte v96, v[20:21], off
	v_mov_b32_e32 v0, s40
.LBB1665_594:                           ;   in Loop: Header=BB1665_574 Depth=2
	s_or_b64 exec, exec, s[38:39]
	v_add_u32_e32 v20, 0x410, v42
	ds_write2_b32 v20, v1, v1 offset1:1
	ds_write2_b32 v44, v1, v1 offset0:2 offset1:3
	ds_write_b32 v44, v1 offset:16
	s_waitcnt vmcnt(6)
	v_lshrrev_b32_sdwa v20, s69, v89 dst_sel:DWORD dst_unused:UNUSED_PAD src0_sel:DWORD src1_sel:BYTE_0
	v_and_b32_e32 v20, s77, v20
	v_mad_u32_u24 v21, v20, 5, v88
	v_cmp_ne_u32_e32 vcc, 0, v20
	v_add_co_u32_e64 v20, s[36:37], -1, v20
	v_lshl_add_u32 v98, v21, 2, v43
	v_addc_co_u32_e64 v21, s[36:37], 0, -1, s[36:37]
	v_xor_b32_e32 v20, vcc_lo, v20
	v_xor_b32_e32 v21, vcc_hi, v21
	v_and_b32_e32 v20, exec_lo, v20
	v_and_b32_e32 v21, exec_hi, v21
	v_mbcnt_lo_u32_b32 v22, v20, 0
	v_mbcnt_hi_u32_b32 v97, v21, v22
	v_cmp_eq_u32_e32 vcc, 0, v97
	v_cmp_ne_u64_e64 s[36:37], 0, v[20:21]
	s_and_b64 s[38:39], s[36:37], vcc
	s_waitcnt lgkmcnt(0)
	s_barrier
	s_waitcnt lgkmcnt(0)
	; wave barrier
	s_and_saveexec_b64 s[36:37], s[38:39]
	s_cbranch_execz .LBB1665_596
; %bb.595:                              ;   in Loop: Header=BB1665_574 Depth=2
	v_bcnt_u32_b32 v20, v20, 0
	v_bcnt_u32_b32 v20, v21, v20
	ds_write_b32 v98, v20
.LBB1665_596:                           ;   in Loop: Header=BB1665_574 Depth=2
	s_or_b64 exec, exec, s[36:37]
	s_waitcnt vmcnt(5)
	v_lshrrev_b32_sdwa v20, s69, v90 dst_sel:DWORD dst_unused:UNUSED_PAD src0_sel:DWORD src1_sel:BYTE_0
	v_and_b32_e32 v20, s77, v20
	v_mul_u32_u24_e32 v21, 5, v20
	v_add_lshl_u32 v21, v21, v88, 2
	v_cmp_ne_u32_e32 vcc, 0, v20
	v_add_co_u32_e64 v20, s[36:37], -1, v20
	; wave barrier
	v_add_u32_e32 v101, 0x410, v21
	ds_read_b32 v99, v21 offset:1040
	v_addc_co_u32_e64 v21, s[36:37], 0, -1, s[36:37]
	v_xor_b32_e32 v20, vcc_lo, v20
	v_xor_b32_e32 v21, vcc_hi, v21
	v_and_b32_e32 v20, exec_lo, v20
	v_and_b32_e32 v21, exec_hi, v21
	v_mbcnt_lo_u32_b32 v22, v20, 0
	v_mbcnt_hi_u32_b32 v100, v21, v22
	v_cmp_eq_u32_e32 vcc, 0, v100
	v_cmp_ne_u64_e64 s[36:37], 0, v[20:21]
	s_and_b64 s[38:39], s[36:37], vcc
	; wave barrier
	s_and_saveexec_b64 s[36:37], s[38:39]
	s_cbranch_execz .LBB1665_598
; %bb.597:                              ;   in Loop: Header=BB1665_574 Depth=2
	v_bcnt_u32_b32 v20, v20, 0
	v_bcnt_u32_b32 v20, v21, v20
	s_waitcnt lgkmcnt(0)
	v_add_u32_e32 v20, v99, v20
	ds_write_b32 v101, v20
.LBB1665_598:                           ;   in Loop: Header=BB1665_574 Depth=2
	s_or_b64 exec, exec, s[36:37]
	s_waitcnt vmcnt(4)
	v_lshrrev_b32_sdwa v20, s69, v91 dst_sel:DWORD dst_unused:UNUSED_PAD src0_sel:DWORD src1_sel:BYTE_0
	v_and_b32_e32 v20, s77, v20
	v_mul_u32_u24_e32 v21, 5, v20
	v_add_lshl_u32 v21, v21, v88, 2
	v_cmp_ne_u32_e32 vcc, 0, v20
	v_add_co_u32_e64 v20, s[36:37], -1, v20
	; wave barrier
	v_add_u32_e32 v102, 0x410, v21
	ds_read_b32 v104, v21 offset:1040
	v_addc_co_u32_e64 v21, s[36:37], 0, -1, s[36:37]
	v_xor_b32_e32 v20, vcc_lo, v20
	v_xor_b32_e32 v21, vcc_hi, v21
	v_and_b32_e32 v20, exec_lo, v20
	v_and_b32_e32 v21, exec_hi, v21
	v_mbcnt_lo_u32_b32 v22, v20, 0
	v_mbcnt_hi_u32_b32 v105, v21, v22
	v_cmp_eq_u32_e32 vcc, 0, v105
	v_cmp_ne_u64_e64 s[36:37], 0, v[20:21]
	s_and_b64 s[38:39], s[36:37], vcc
	; wave barrier
	s_and_saveexec_b64 s[36:37], s[38:39]
	s_cbranch_execz .LBB1665_600
; %bb.599:                              ;   in Loop: Header=BB1665_574 Depth=2
	v_bcnt_u32_b32 v20, v20, 0
	v_bcnt_u32_b32 v20, v21, v20
	s_waitcnt lgkmcnt(0)
	v_add_u32_e32 v20, v104, v20
	ds_write_b32 v102, v20
.LBB1665_600:                           ;   in Loop: Header=BB1665_574 Depth=2
	;; [unrolled: 31-line block ×6, first 2 shown]
	s_or_b64 exec, exec, s[36:37]
	v_lshrrev_b32_sdwa v20, s69, v96 dst_sel:DWORD dst_unused:UNUSED_PAD src0_sel:DWORD src1_sel:BYTE_0
	v_and_b32_e32 v20, s77, v20
	v_mul_u32_u24_e32 v21, 5, v20
	v_add_lshl_u32 v21, v21, v88, 2
	v_cmp_ne_u32_e32 vcc, 0, v20
	v_add_co_u32_e64 v20, s[36:37], -1, v20
	; wave barrier
	v_add_u32_e32 v119, 0x410, v21
	ds_read_b32 v117, v21 offset:1040
	v_addc_co_u32_e64 v21, s[36:37], 0, -1, s[36:37]
	v_xor_b32_e32 v20, vcc_lo, v20
	v_xor_b32_e32 v21, vcc_hi, v21
	v_and_b32_e32 v20, exec_lo, v20
	v_and_b32_e32 v21, exec_hi, v21
	v_mbcnt_lo_u32_b32 v22, v20, 0
	v_mbcnt_hi_u32_b32 v118, v21, v22
	v_cmp_eq_u32_e32 vcc, 0, v118
	v_cmp_ne_u64_e64 s[36:37], 0, v[20:21]
	s_and_b64 s[38:39], s[36:37], vcc
	; wave barrier
	s_and_saveexec_b64 s[36:37], s[38:39]
	s_cbranch_execz .LBB1665_610
; %bb.609:                              ;   in Loop: Header=BB1665_574 Depth=2
	v_bcnt_u32_b32 v20, v20, 0
	v_bcnt_u32_b32 v20, v21, v20
	s_waitcnt lgkmcnt(0)
	v_add_u32_e32 v20, v117, v20
	ds_write_b32 v119, v20
.LBB1665_610:                           ;   in Loop: Header=BB1665_574 Depth=2
	s_or_b64 exec, exec, s[36:37]
	; wave barrier
	s_waitcnt lgkmcnt(0)
	s_barrier
	ds_read_b32 v120, v42 offset:1040
	ds_read2_b32 v[22:23], v44 offset0:1 offset1:2
	ds_read2_b32 v[20:21], v44 offset0:3 offset1:4
	s_waitcnt lgkmcnt(1)
	v_add3_u32 v121, v22, v120, v23
	s_waitcnt lgkmcnt(0)
	v_add3_u32 v21, v121, v20, v21
	s_nop 1
	v_mov_b32_dpp v121, v21 row_shr:1 row_mask:0xf bank_mask:0xf
	v_cndmask_b32_e64 v121, v121, 0, s[16:17]
	v_add_u32_e32 v21, v121, v21
	s_nop 1
	v_mov_b32_dpp v121, v21 row_shr:2 row_mask:0xf bank_mask:0xf
	v_cndmask_b32_e64 v121, 0, v121, s[18:19]
	v_add_u32_e32 v21, v21, v121
	;; [unrolled: 4-line block ×4, first 2 shown]
	s_nop 1
	v_mov_b32_dpp v121, v21 row_bcast:15 row_mask:0xf bank_mask:0xf
	v_cndmask_b32_e64 v121, v121, 0, s[24:25]
	v_add_u32_e32 v21, v21, v121
	s_nop 1
	v_mov_b32_dpp v121, v21 row_bcast:31 row_mask:0xf bank_mask:0xf
	v_cndmask_b32_e64 v121, 0, v121, s[26:27]
	v_add_u32_e32 v21, v21, v121
	s_and_saveexec_b64 s[36:37], s[6:7]
	s_cbranch_execz .LBB1665_612
; %bb.611:                              ;   in Loop: Header=BB1665_574 Depth=2
	ds_write_b32 v35, v21 offset:1024
.LBB1665_612:                           ;   in Loop: Header=BB1665_574 Depth=2
	s_or_b64 exec, exec, s[36:37]
	s_waitcnt lgkmcnt(0)
	s_barrier
	s_and_saveexec_b64 s[36:37], s[8:9]
	s_cbranch_execz .LBB1665_614
; %bb.613:                              ;   in Loop: Header=BB1665_574 Depth=2
	v_add_u32_e32 v121, v42, v45
	ds_read_b32 v122, v121 offset:1024
	s_waitcnt lgkmcnt(0)
	s_nop 0
	v_mov_b32_dpp v123, v122 row_shr:1 row_mask:0xf bank_mask:0xf
	v_cndmask_b32_e64 v123, v123, 0, s[30:31]
	v_add_u32_e32 v122, v123, v122
	s_nop 1
	v_mov_b32_dpp v123, v122 row_shr:2 row_mask:0xf bank_mask:0xf
	v_cndmask_b32_e64 v123, 0, v123, s[34:35]
	v_add_u32_e32 v122, v122, v123
	ds_write_b32 v121, v122 offset:1024
.LBB1665_614:                           ;   in Loop: Header=BB1665_574 Depth=2
	s_or_b64 exec, exec, s[36:37]
	v_mov_b32_e32 v121, 0
	s_waitcnt lgkmcnt(0)
	s_barrier
	s_and_saveexec_b64 s[36:37], s[10:11]
	s_cbranch_execz .LBB1665_616
; %bb.615:                              ;   in Loop: Header=BB1665_574 Depth=2
	ds_read_b32 v121, v35 offset:1020
.LBB1665_616:                           ;   in Loop: Header=BB1665_574 Depth=2
	s_or_b64 exec, exec, s[36:37]
	s_waitcnt lgkmcnt(0)
	v_add_u32_e32 v21, v121, v21
	ds_bpermute_b32 v21, v65, v21
	s_waitcnt lgkmcnt(0)
	v_cndmask_b32_e64 v21, v21, v121, s[28:29]
	v_cndmask_b32_e64 v21, v21, 0, s[12:13]
	v_add_u32_e32 v120, v21, v120
	ds_write_b32 v42, v21 offset:1040
	v_add_u32_e32 v21, v120, v22
	v_add_u32_e32 v22, v21, v23
	;; [unrolled: 1-line block ×3, first 2 shown]
	ds_write2_b32 v44, v120, v21 offset0:1 offset1:2
	ds_write2_b32 v44, v22, v20 offset0:3 offset1:4
	s_waitcnt lgkmcnt(0)
	s_barrier
	ds_read_b32 v20, v101
	ds_read_b32 v21, v102
	;; [unrolled: 1-line block ×8, first 2 shown]
	ds_read_b32 v101, v42 offset:1040
	v_mov_b32_e32 v22, 0x800
	s_and_saveexec_b64 s[36:37], s[14:15]
	s_cbranch_execz .LBB1665_618
; %bb.617:                              ;   in Loop: Header=BB1665_574 Depth=2
	ds_read_b32 v22, v42 offset:1060
.LBB1665_618:                           ;   in Loop: Header=BB1665_574 Depth=2
	s_or_b64 exec, exec, s[36:37]
	s_waitcnt lgkmcnt(0)
	s_barrier
	s_and_saveexec_b64 s[36:37], s[4:5]
	s_cbranch_execz .LBB1665_620
; %bb.619:                              ;   in Loop: Header=BB1665_574 Depth=2
	ds_read_b32 v102, v3
	s_waitcnt lgkmcnt(0)
	v_sub_u32_e32 v101, v102, v101
	ds_write_b32 v3, v101
.LBB1665_620:                           ;   in Loop: Header=BB1665_574 Depth=2
	s_or_b64 exec, exec, s[36:37]
	v_add_u32_e32 v103, v98, v97
	v_add3_u32 v102, v100, v99, v20
	v_add3_u32 v101, v105, v104, v21
	;; [unrolled: 1-line block ×7, first 2 shown]
	v_cmp_lt_u32_e64 s[48:49], v2, v0
	ds_write_b8 v103, v89 offset:1024
	ds_write_b8 v102, v90 offset:1024
	;; [unrolled: 1-line block ×8, first 2 shown]
	s_waitcnt lgkmcnt(0)
	s_barrier
	s_and_saveexec_b64 s[36:37], s[48:49]
	s_cbranch_execz .LBB1665_628
; %bb.621:                              ;   in Loop: Header=BB1665_574 Depth=2
	ds_read_u8 v20, v2 offset:1024
	s_waitcnt lgkmcnt(0)
	v_and_b32_e32 v21, 1, v20
	v_lshrrev_b32_e32 v21, s69, v21
	v_and_b32_e32 v21, s77, v21
	v_lshlrev_b32_e32 v21, 2, v21
	ds_read_b32 v21, v21
	s_waitcnt lgkmcnt(0)
	v_add_u32_e32 v21, v21, v2
	global_store_byte v21, v20, s[60:61]
	s_or_b64 exec, exec, s[36:37]
	v_cmp_lt_u32_e64 s[46:47], v24, v0
	s_and_saveexec_b64 s[36:37], s[46:47]
	s_cbranch_execnz .LBB1665_629
.LBB1665_622:                           ;   in Loop: Header=BB1665_574 Depth=2
	s_or_b64 exec, exec, s[36:37]
	v_cmp_lt_u32_e64 s[44:45], v25, v0
	s_and_saveexec_b64 s[36:37], s[44:45]
	s_cbranch_execz .LBB1665_630
.LBB1665_623:                           ;   in Loop: Header=BB1665_574 Depth=2
	ds_read_u8 v20, v30 offset:512
	s_waitcnt lgkmcnt(0)
	v_and_b32_e32 v21, 1, v20
	v_lshrrev_b32_e32 v21, s69, v21
	v_and_b32_e32 v21, s77, v21
	v_lshlrev_b32_e32 v21, 2, v21
	ds_read_b32 v21, v21
	s_waitcnt lgkmcnt(0)
	v_add_u32_e32 v21, v21, v25
	global_store_byte v21, v20, s[60:61]
	s_or_b64 exec, exec, s[36:37]
	v_cmp_lt_u32_e64 s[42:43], v26, v0
	s_and_saveexec_b64 s[36:37], s[42:43]
	s_cbranch_execnz .LBB1665_631
.LBB1665_624:                           ;   in Loop: Header=BB1665_574 Depth=2
	s_or_b64 exec, exec, s[36:37]
	v_cmp_lt_u32_e64 s[40:41], v30, v0
	s_and_saveexec_b64 s[36:37], s[40:41]
	s_cbranch_execz .LBB1665_632
.LBB1665_625:                           ;   in Loop: Header=BB1665_574 Depth=2
	ds_read_u8 v20, v30 offset:1024
	s_waitcnt lgkmcnt(0)
	v_and_b32_e32 v21, 1, v20
	v_lshrrev_b32_e32 v21, s69, v21
	v_and_b32_e32 v21, s77, v21
	v_lshlrev_b32_e32 v21, 2, v21
	ds_read_b32 v21, v21
	s_waitcnt lgkmcnt(0)
	v_add_u32_e32 v21, v21, v30
	global_store_byte v21, v20, s[60:61]
	s_or_b64 exec, exec, s[36:37]
	v_cmp_lt_u32_e64 s[38:39], v31, v0
	s_and_saveexec_b64 s[36:37], s[38:39]
	s_cbranch_execnz .LBB1665_633
.LBB1665_626:                           ;   in Loop: Header=BB1665_574 Depth=2
	s_or_b64 exec, exec, s[36:37]
	v_cmp_lt_u32_e64 s[36:37], v32, v0
	s_and_saveexec_b64 s[52:53], s[36:37]
	s_cbranch_execz .LBB1665_634
.LBB1665_627:                           ;   in Loop: Header=BB1665_574 Depth=2
	ds_read_u8 v20, v30 offset:1536
	s_waitcnt lgkmcnt(0)
	v_and_b32_e32 v21, 1, v20
	v_lshrrev_b32_e32 v21, s69, v21
	v_and_b32_e32 v21, s77, v21
	v_lshlrev_b32_e32 v21, 2, v21
	ds_read_b32 v21, v21
	s_waitcnt lgkmcnt(0)
	v_add_u32_e32 v21, v21, v32
	global_store_byte v21, v20, s[60:61]
	s_or_b64 exec, exec, s[52:53]
	v_cmp_lt_u32_e32 vcc, v33, v0
	s_and_saveexec_b64 s[52:53], vcc
	s_cbranch_execnz .LBB1665_635
	s_branch .LBB1665_636
.LBB1665_628:                           ;   in Loop: Header=BB1665_574 Depth=2
	s_or_b64 exec, exec, s[36:37]
	v_cmp_lt_u32_e64 s[46:47], v24, v0
	s_and_saveexec_b64 s[36:37], s[46:47]
	s_cbranch_execz .LBB1665_622
.LBB1665_629:                           ;   in Loop: Header=BB1665_574 Depth=2
	ds_read_u8 v20, v30 offset:256
	s_waitcnt lgkmcnt(0)
	v_and_b32_e32 v21, 1, v20
	v_lshrrev_b32_e32 v21, s69, v21
	v_and_b32_e32 v21, s77, v21
	v_lshlrev_b32_e32 v21, 2, v21
	ds_read_b32 v21, v21
	s_waitcnt lgkmcnt(0)
	v_add_u32_e32 v21, v21, v24
	global_store_byte v21, v20, s[60:61]
	s_or_b64 exec, exec, s[36:37]
	v_cmp_lt_u32_e64 s[44:45], v25, v0
	s_and_saveexec_b64 s[36:37], s[44:45]
	s_cbranch_execnz .LBB1665_623
.LBB1665_630:                           ;   in Loop: Header=BB1665_574 Depth=2
	s_or_b64 exec, exec, s[36:37]
	v_cmp_lt_u32_e64 s[42:43], v26, v0
	s_and_saveexec_b64 s[36:37], s[42:43]
	s_cbranch_execz .LBB1665_624
.LBB1665_631:                           ;   in Loop: Header=BB1665_574 Depth=2
	ds_read_u8 v20, v30 offset:768
	s_waitcnt lgkmcnt(0)
	v_and_b32_e32 v21, 1, v20
	v_lshrrev_b32_e32 v21, s69, v21
	v_and_b32_e32 v21, s77, v21
	v_lshlrev_b32_e32 v21, 2, v21
	ds_read_b32 v21, v21
	s_waitcnt lgkmcnt(0)
	v_add_u32_e32 v21, v21, v26
	global_store_byte v21, v20, s[60:61]
	s_or_b64 exec, exec, s[36:37]
	v_cmp_lt_u32_e64 s[40:41], v30, v0
	s_and_saveexec_b64 s[36:37], s[40:41]
	s_cbranch_execnz .LBB1665_625
.LBB1665_632:                           ;   in Loop: Header=BB1665_574 Depth=2
	s_or_b64 exec, exec, s[36:37]
	v_cmp_lt_u32_e64 s[38:39], v31, v0
	s_and_saveexec_b64 s[36:37], s[38:39]
	s_cbranch_execz .LBB1665_626
.LBB1665_633:                           ;   in Loop: Header=BB1665_574 Depth=2
	ds_read_u8 v20, v30 offset:1280
	s_waitcnt lgkmcnt(0)
	v_and_b32_e32 v21, 1, v20
	v_lshrrev_b32_e32 v21, s69, v21
	v_and_b32_e32 v21, s77, v21
	v_lshlrev_b32_e32 v21, 2, v21
	ds_read_b32 v21, v21
	s_waitcnt lgkmcnt(0)
	v_add_u32_e32 v21, v21, v31
	global_store_byte v21, v20, s[60:61]
	s_or_b64 exec, exec, s[36:37]
	v_cmp_lt_u32_e64 s[36:37], v32, v0
	s_and_saveexec_b64 s[52:53], s[36:37]
	s_cbranch_execnz .LBB1665_627
.LBB1665_634:                           ;   in Loop: Header=BB1665_574 Depth=2
	s_or_b64 exec, exec, s[52:53]
	v_cmp_lt_u32_e32 vcc, v33, v0
	s_and_saveexec_b64 s[52:53], vcc
	s_cbranch_execz .LBB1665_636
.LBB1665_635:                           ;   in Loop: Header=BB1665_574 Depth=2
	ds_read_u8 v20, v30 offset:1792
	s_waitcnt lgkmcnt(0)
	v_and_b32_e32 v21, 1, v20
	v_lshrrev_b32_e32 v21, s69, v21
	v_and_b32_e32 v21, s77, v21
	v_lshlrev_b32_e32 v21, 2, v21
	ds_read_b32 v21, v21
	s_waitcnt lgkmcnt(0)
	v_add_u32_e32 v21, v21, v33
	global_store_byte v21, v20, s[60:61]
.LBB1665_636:                           ;   in Loop: Header=BB1665_574 Depth=2
	s_or_b64 exec, exec, s[52:53]
	s_lshl_b64 s[52:53], s[72:73], 3
	v_mov_b32_e32 v21, s53
	v_add_co_u32_e64 v20, s[52:53], s52, v77
	v_addc_co_u32_e64 v21, s[52:53], v78, v21, s[52:53]
	v_cmp_lt_u32_e64 s[52:53], v72, v0
	s_and_saveexec_b64 s[62:63], s[52:53]
	s_xor_b64 s[52:53], exec, s[62:63]
	s_cbranch_execz .LBB1665_652
; %bb.637:                              ;   in Loop: Header=BB1665_574 Depth=2
	global_load_dwordx2 v[18:19], v[20:21], off
	s_or_b64 exec, exec, s[52:53]
	v_cmp_lt_u32_e64 s[52:53], v79, v0
	s_and_saveexec_b64 s[62:63], s[52:53]
	s_cbranch_execnz .LBB1665_653
.LBB1665_638:                           ;   in Loop: Header=BB1665_574 Depth=2
	s_or_b64 exec, exec, s[62:63]
	v_cmp_lt_u32_e64 s[52:53], v80, v0
	s_and_saveexec_b64 s[62:63], s[52:53]
	s_cbranch_execz .LBB1665_654
.LBB1665_639:                           ;   in Loop: Header=BB1665_574 Depth=2
	global_load_dwordx2 v[14:15], v[20:21], off offset:1024
	s_or_b64 exec, exec, s[62:63]
	v_cmp_lt_u32_e64 s[52:53], v81, v0
	s_and_saveexec_b64 s[62:63], s[52:53]
	s_cbranch_execnz .LBB1665_655
.LBB1665_640:                           ;   in Loop: Header=BB1665_574 Depth=2
	s_or_b64 exec, exec, s[62:63]
	v_cmp_lt_u32_e64 s[52:53], v82, v0
	s_and_saveexec_b64 s[62:63], s[52:53]
	s_cbranch_execz .LBB1665_656
.LBB1665_641:                           ;   in Loop: Header=BB1665_574 Depth=2
	global_load_dwordx2 v[10:11], v[20:21], off offset:2048
	s_or_b64 exec, exec, s[62:63]
	v_cmp_lt_u32_e64 s[52:53], v83, v0
	s_and_saveexec_b64 s[62:63], s[52:53]
	s_cbranch_execnz .LBB1665_657
.LBB1665_642:                           ;   in Loop: Header=BB1665_574 Depth=2
	s_or_b64 exec, exec, s[62:63]
	v_cmp_lt_u32_e64 s[52:53], v84, v0
	s_and_saveexec_b64 s[62:63], s[52:53]
	s_cbranch_execz .LBB1665_658
.LBB1665_643:                           ;   in Loop: Header=BB1665_574 Depth=2
	global_load_dwordx2 v[6:7], v[20:21], off offset:3072
	s_or_b64 exec, exec, s[62:63]
	v_cmp_lt_u32_e64 s[52:53], v85, v0
	s_and_saveexec_b64 s[62:63], s[52:53]
	s_cbranch_execnz .LBB1665_659
.LBB1665_644:                           ;   in Loop: Header=BB1665_574 Depth=2
	s_or_b64 exec, exec, s[62:63]
	s_and_saveexec_b64 s[52:53], s[48:49]
	s_cbranch_execz .LBB1665_660
.LBB1665_645:                           ;   in Loop: Header=BB1665_574 Depth=2
	ds_read_u8 v0, v2 offset:1024
	s_waitcnt lgkmcnt(0)
	v_lshrrev_b32_e32 v0, s69, v0
	v_and_b32_e32 v75, s77, v0
	s_or_b64 exec, exec, s[52:53]
	s_and_saveexec_b64 s[52:53], s[46:47]
	s_cbranch_execnz .LBB1665_661
.LBB1665_646:                           ;   in Loop: Header=BB1665_574 Depth=2
	s_or_b64 exec, exec, s[52:53]
	s_and_saveexec_b64 s[52:53], s[44:45]
	s_cbranch_execz .LBB1665_662
.LBB1665_647:                           ;   in Loop: Header=BB1665_574 Depth=2
	ds_read_u8 v0, v30 offset:512
	s_waitcnt lgkmcnt(0)
	v_lshrrev_b32_e32 v0, s69, v0
	v_and_b32_e32 v71, s77, v0
	s_or_b64 exec, exec, s[52:53]
	s_and_saveexec_b64 s[52:53], s[42:43]
	s_cbranch_execnz .LBB1665_663
.LBB1665_648:                           ;   in Loop: Header=BB1665_574 Depth=2
	s_or_b64 exec, exec, s[52:53]
	s_and_saveexec_b64 s[52:53], s[40:41]
	s_cbranch_execz .LBB1665_664
.LBB1665_649:                           ;   in Loop: Header=BB1665_574 Depth=2
	ds_read_u8 v0, v30 offset:1024
	s_waitcnt lgkmcnt(0)
	v_lshrrev_b32_e32 v0, s69, v0
	v_and_b32_e32 v69, s77, v0
	s_or_b64 exec, exec, s[52:53]
	s_and_saveexec_b64 s[52:53], s[38:39]
	s_cbranch_execnz .LBB1665_665
.LBB1665_650:                           ;   in Loop: Header=BB1665_574 Depth=2
	s_or_b64 exec, exec, s[52:53]
	s_and_saveexec_b64 s[52:53], s[36:37]
	s_cbranch_execz .LBB1665_666
.LBB1665_651:                           ;   in Loop: Header=BB1665_574 Depth=2
	ds_read_u8 v0, v30 offset:1536
	s_waitcnt lgkmcnt(0)
	v_lshrrev_b32_e32 v0, s69, v0
	v_and_b32_e32 v67, s77, v0
	s_or_b64 exec, exec, s[52:53]
	s_and_saveexec_b64 s[52:53], vcc
	s_cbranch_execnz .LBB1665_667
	s_branch .LBB1665_668
.LBB1665_652:                           ;   in Loop: Header=BB1665_574 Depth=2
	s_or_b64 exec, exec, s[52:53]
	v_cmp_lt_u32_e64 s[52:53], v79, v0
	s_and_saveexec_b64 s[62:63], s[52:53]
	s_cbranch_execz .LBB1665_638
.LBB1665_653:                           ;   in Loop: Header=BB1665_574 Depth=2
	global_load_dwordx2 v[16:17], v[20:21], off offset:512
	s_or_b64 exec, exec, s[62:63]
	v_cmp_lt_u32_e64 s[52:53], v80, v0
	s_and_saveexec_b64 s[62:63], s[52:53]
	s_cbranch_execnz .LBB1665_639
.LBB1665_654:                           ;   in Loop: Header=BB1665_574 Depth=2
	s_or_b64 exec, exec, s[62:63]
	v_cmp_lt_u32_e64 s[52:53], v81, v0
	s_and_saveexec_b64 s[62:63], s[52:53]
	s_cbranch_execz .LBB1665_640
.LBB1665_655:                           ;   in Loop: Header=BB1665_574 Depth=2
	global_load_dwordx2 v[12:13], v[20:21], off offset:1536
	s_or_b64 exec, exec, s[62:63]
	v_cmp_lt_u32_e64 s[52:53], v82, v0
	s_and_saveexec_b64 s[62:63], s[52:53]
	s_cbranch_execnz .LBB1665_641
.LBB1665_656:                           ;   in Loop: Header=BB1665_574 Depth=2
	s_or_b64 exec, exec, s[62:63]
	v_cmp_lt_u32_e64 s[52:53], v83, v0
	s_and_saveexec_b64 s[62:63], s[52:53]
	s_cbranch_execz .LBB1665_642
.LBB1665_657:                           ;   in Loop: Header=BB1665_574 Depth=2
	global_load_dwordx2 v[8:9], v[20:21], off offset:2560
	s_or_b64 exec, exec, s[62:63]
	v_cmp_lt_u32_e64 s[52:53], v84, v0
	s_and_saveexec_b64 s[62:63], s[52:53]
	s_cbranch_execnz .LBB1665_643
.LBB1665_658:                           ;   in Loop: Header=BB1665_574 Depth=2
	s_or_b64 exec, exec, s[62:63]
	v_cmp_lt_u32_e64 s[52:53], v85, v0
	s_and_saveexec_b64 s[62:63], s[52:53]
	s_cbranch_execz .LBB1665_644
.LBB1665_659:                           ;   in Loop: Header=BB1665_574 Depth=2
	global_load_dwordx2 v[4:5], v[20:21], off offset:3584
	s_or_b64 exec, exec, s[62:63]
	s_and_saveexec_b64 s[52:53], s[48:49]
	s_cbranch_execnz .LBB1665_645
.LBB1665_660:                           ;   in Loop: Header=BB1665_574 Depth=2
	s_or_b64 exec, exec, s[52:53]
	s_and_saveexec_b64 s[52:53], s[46:47]
	s_cbranch_execz .LBB1665_646
.LBB1665_661:                           ;   in Loop: Header=BB1665_574 Depth=2
	ds_read_u8 v0, v30 offset:256
	s_waitcnt lgkmcnt(0)
	v_lshrrev_b32_e32 v0, s69, v0
	v_and_b32_e32 v73, s77, v0
	s_or_b64 exec, exec, s[52:53]
	s_and_saveexec_b64 s[52:53], s[44:45]
	s_cbranch_execnz .LBB1665_647
.LBB1665_662:                           ;   in Loop: Header=BB1665_574 Depth=2
	s_or_b64 exec, exec, s[52:53]
	s_and_saveexec_b64 s[52:53], s[42:43]
	s_cbranch_execz .LBB1665_648
.LBB1665_663:                           ;   in Loop: Header=BB1665_574 Depth=2
	ds_read_u8 v0, v30 offset:768
	s_waitcnt lgkmcnt(0)
	v_lshrrev_b32_e32 v0, s69, v0
	v_and_b32_e32 v70, s77, v0
	s_or_b64 exec, exec, s[52:53]
	s_and_saveexec_b64 s[52:53], s[40:41]
	s_cbranch_execnz .LBB1665_649
.LBB1665_664:                           ;   in Loop: Header=BB1665_574 Depth=2
	s_or_b64 exec, exec, s[52:53]
	s_and_saveexec_b64 s[52:53], s[38:39]
	s_cbranch_execz .LBB1665_650
.LBB1665_665:                           ;   in Loop: Header=BB1665_574 Depth=2
	ds_read_u8 v0, v30 offset:1280
	s_waitcnt lgkmcnt(0)
	v_lshrrev_b32_e32 v0, s69, v0
	v_and_b32_e32 v68, s77, v0
	s_or_b64 exec, exec, s[52:53]
	s_and_saveexec_b64 s[52:53], s[36:37]
	s_cbranch_execnz .LBB1665_651
.LBB1665_666:                           ;   in Loop: Header=BB1665_574 Depth=2
	s_or_b64 exec, exec, s[52:53]
	s_and_saveexec_b64 s[52:53], vcc
	s_cbranch_execz .LBB1665_668
.LBB1665_667:                           ;   in Loop: Header=BB1665_574 Depth=2
	ds_read_u8 v0, v30 offset:1792
	s_waitcnt lgkmcnt(0)
	v_lshrrev_b32_e32 v0, s69, v0
	v_and_b32_e32 v66, s77, v0
.LBB1665_668:                           ;   in Loop: Header=BB1665_574 Depth=2
	s_or_b64 exec, exec, s[52:53]
	v_lshlrev_b32_e32 v0, 3, v103
	s_barrier
	s_waitcnt vmcnt(0)
	ds_write_b64 v0, v[18:19] offset:1024
	v_lshlrev_b32_e32 v0, 3, v102
	ds_write_b64 v0, v[16:17] offset:1024
	v_lshlrev_b32_e32 v0, 3, v101
	;; [unrolled: 2-line block ×7, first 2 shown]
	ds_write_b64 v0, v[4:5] offset:1024
	s_waitcnt lgkmcnt(0)
	s_barrier
	s_and_saveexec_b64 s[52:53], s[48:49]
	s_cbranch_execz .LBB1665_676
; %bb.669:                              ;   in Loop: Header=BB1665_574 Depth=2
	v_lshlrev_b32_e32 v0, 2, v75
	ds_read_b32 v0, v0
	v_add_u32_e32 v20, v2, v50
	ds_read_b64 v[20:21], v20 offset:1024
	v_mov_b32_e32 v23, s67
	s_waitcnt lgkmcnt(1)
	v_add_u32_e32 v0, v0, v2
	v_lshlrev_b64 v[90:91], 3, v[0:1]
	v_add_co_u32_e64 v90, s[48:49], s66, v90
	v_addc_co_u32_e64 v91, s[48:49], v23, v91, s[48:49]
	s_waitcnt lgkmcnt(0)
	global_store_dwordx2 v[90:91], v[20:21], off
	s_or_b64 exec, exec, s[52:53]
	v_add_u32_e32 v20, v30, v50
	s_and_saveexec_b64 s[48:49], s[46:47]
	s_cbranch_execnz .LBB1665_677
.LBB1665_670:                           ;   in Loop: Header=BB1665_574 Depth=2
	s_or_b64 exec, exec, s[48:49]
	s_and_saveexec_b64 s[46:47], s[44:45]
	s_cbranch_execz .LBB1665_678
.LBB1665_671:                           ;   in Loop: Header=BB1665_574 Depth=2
	v_lshlrev_b32_e32 v0, 2, v71
	ds_read_b32 v0, v0
	ds_read_b64 v[90:91], v20 offset:4096
	v_mov_b32_e32 v21, s67
	s_waitcnt lgkmcnt(1)
	v_add_u32_e32 v0, v0, v25
	v_lshlrev_b64 v[92:93], 3, v[0:1]
	v_add_co_u32_e64 v92, s[44:45], s66, v92
	v_addc_co_u32_e64 v93, s[44:45], v21, v93, s[44:45]
	s_waitcnt lgkmcnt(0)
	global_store_dwordx2 v[92:93], v[90:91], off
	s_or_b64 exec, exec, s[46:47]
	s_and_saveexec_b64 s[44:45], s[42:43]
	s_cbranch_execnz .LBB1665_679
.LBB1665_672:                           ;   in Loop: Header=BB1665_574 Depth=2
	s_or_b64 exec, exec, s[44:45]
	s_and_saveexec_b64 s[42:43], s[40:41]
	s_cbranch_execz .LBB1665_680
.LBB1665_673:                           ;   in Loop: Header=BB1665_574 Depth=2
	v_lshlrev_b32_e32 v0, 2, v69
	ds_read_b32 v0, v0
	ds_read_b64 v[90:91], v20 offset:8192
	v_mov_b32_e32 v21, s67
	s_waitcnt lgkmcnt(1)
	v_add_u32_e32 v0, v0, v30
	v_lshlrev_b64 v[92:93], 3, v[0:1]
	v_add_co_u32_e64 v92, s[40:41], s66, v92
	v_addc_co_u32_e64 v93, s[40:41], v21, v93, s[40:41]
	s_waitcnt lgkmcnt(0)
	global_store_dwordx2 v[92:93], v[90:91], off
	s_or_b64 exec, exec, s[42:43]
	s_and_saveexec_b64 s[40:41], s[38:39]
	s_cbranch_execnz .LBB1665_681
.LBB1665_674:                           ;   in Loop: Header=BB1665_574 Depth=2
	s_or_b64 exec, exec, s[40:41]
	s_and_saveexec_b64 s[38:39], s[36:37]
	s_cbranch_execz .LBB1665_682
.LBB1665_675:                           ;   in Loop: Header=BB1665_574 Depth=2
	v_lshlrev_b32_e32 v0, 2, v67
	ds_read_b32 v0, v0
	ds_read_b64 v[90:91], v20 offset:12288
	v_mov_b32_e32 v21, s67
	s_waitcnt lgkmcnt(1)
	v_add_u32_e32 v0, v0, v32
	v_lshlrev_b64 v[92:93], 3, v[0:1]
	v_add_co_u32_e64 v92, s[36:37], s66, v92
	v_addc_co_u32_e64 v93, s[36:37], v21, v93, s[36:37]
	s_waitcnt lgkmcnt(0)
	global_store_dwordx2 v[92:93], v[90:91], off
	s_or_b64 exec, exec, s[38:39]
	s_and_saveexec_b64 s[36:37], vcc
	s_cbranch_execnz .LBB1665_683
	s_branch .LBB1665_684
.LBB1665_676:                           ;   in Loop: Header=BB1665_574 Depth=2
	s_or_b64 exec, exec, s[52:53]
	v_add_u32_e32 v20, v30, v50
	s_and_saveexec_b64 s[48:49], s[46:47]
	s_cbranch_execz .LBB1665_670
.LBB1665_677:                           ;   in Loop: Header=BB1665_574 Depth=2
	v_lshlrev_b32_e32 v0, 2, v73
	ds_read_b32 v0, v0
	ds_read_b64 v[90:91], v20 offset:2048
	v_mov_b32_e32 v21, s67
	s_waitcnt lgkmcnt(1)
	v_add_u32_e32 v0, v0, v24
	v_lshlrev_b64 v[92:93], 3, v[0:1]
	v_add_co_u32_e64 v92, s[46:47], s66, v92
	v_addc_co_u32_e64 v93, s[46:47], v21, v93, s[46:47]
	s_waitcnt lgkmcnt(0)
	global_store_dwordx2 v[92:93], v[90:91], off
	s_or_b64 exec, exec, s[48:49]
	s_and_saveexec_b64 s[46:47], s[44:45]
	s_cbranch_execnz .LBB1665_671
.LBB1665_678:                           ;   in Loop: Header=BB1665_574 Depth=2
	s_or_b64 exec, exec, s[46:47]
	s_and_saveexec_b64 s[44:45], s[42:43]
	s_cbranch_execz .LBB1665_672
.LBB1665_679:                           ;   in Loop: Header=BB1665_574 Depth=2
	v_lshlrev_b32_e32 v0, 2, v70
	ds_read_b32 v0, v0
	ds_read_b64 v[90:91], v20 offset:6144
	v_mov_b32_e32 v21, s67
	s_waitcnt lgkmcnt(1)
	v_add_u32_e32 v0, v0, v26
	v_lshlrev_b64 v[92:93], 3, v[0:1]
	v_add_co_u32_e64 v92, s[42:43], s66, v92
	v_addc_co_u32_e64 v93, s[42:43], v21, v93, s[42:43]
	s_waitcnt lgkmcnt(0)
	global_store_dwordx2 v[92:93], v[90:91], off
	s_or_b64 exec, exec, s[44:45]
	s_and_saveexec_b64 s[42:43], s[40:41]
	s_cbranch_execnz .LBB1665_673
.LBB1665_680:                           ;   in Loop: Header=BB1665_574 Depth=2
	s_or_b64 exec, exec, s[42:43]
	s_and_saveexec_b64 s[40:41], s[38:39]
	s_cbranch_execz .LBB1665_674
.LBB1665_681:                           ;   in Loop: Header=BB1665_574 Depth=2
	v_lshlrev_b32_e32 v0, 2, v68
	ds_read_b32 v0, v0
	ds_read_b64 v[90:91], v20 offset:10240
	v_mov_b32_e32 v21, s67
	s_waitcnt lgkmcnt(1)
	v_add_u32_e32 v0, v0, v31
	v_lshlrev_b64 v[92:93], 3, v[0:1]
	v_add_co_u32_e64 v92, s[38:39], s66, v92
	v_addc_co_u32_e64 v93, s[38:39], v21, v93, s[38:39]
	s_waitcnt lgkmcnt(0)
	global_store_dwordx2 v[92:93], v[90:91], off
	s_or_b64 exec, exec, s[40:41]
	s_and_saveexec_b64 s[38:39], s[36:37]
	s_cbranch_execnz .LBB1665_675
.LBB1665_682:                           ;   in Loop: Header=BB1665_574 Depth=2
	s_or_b64 exec, exec, s[38:39]
	s_and_saveexec_b64 s[36:37], vcc
	s_cbranch_execz .LBB1665_684
.LBB1665_683:                           ;   in Loop: Header=BB1665_574 Depth=2
	v_lshlrev_b32_e32 v0, 2, v66
	ds_read_b32 v0, v0
	ds_read_b64 v[20:21], v20 offset:14336
	v_mov_b32_e32 v23, s67
	s_waitcnt lgkmcnt(1)
	v_add_u32_e32 v0, v0, v33
	v_lshlrev_b64 v[90:91], 3, v[0:1]
	v_add_co_u32_e32 v90, vcc, s66, v90
	v_addc_co_u32_e32 v91, vcc, v23, v91, vcc
	s_waitcnt lgkmcnt(0)
	global_store_dwordx2 v[90:91], v[20:21], off
.LBB1665_684:                           ;   in Loop: Header=BB1665_574 Depth=2
	s_or_b64 exec, exec, s[36:37]
	s_barrier
	s_and_saveexec_b64 s[36:37], s[4:5]
	s_cbranch_execz .LBB1665_573
; %bb.685:                              ;   in Loop: Header=BB1665_574 Depth=2
	ds_read_b32 v0, v3
	s_waitcnt lgkmcnt(0)
	v_add_u32_e32 v0, v0, v22
	ds_write_b32 v3, v0
	s_branch .LBB1665_573
.LBB1665_686:
	s_endpgm
	.section	.rodata,"a",@progbits
	.p2align	6, 0x0
	.amdhsa_kernel _ZN7rocprim17ROCPRIM_400000_NS6detail17trampoline_kernelINS0_14default_configENS1_36segmented_radix_sort_config_selectorIblEEZNS1_25segmented_radix_sort_implIS3_Lb0EPKbPbPKlPlN2at6native12_GLOBAL__N_18offset_tEEE10hipError_tPvRmT1_PNSt15iterator_traitsISK_E10value_typeET2_T3_PNSL_ISQ_E10value_typeET4_jRbjT5_SW_jjP12ihipStream_tbEUlT_E2_NS1_11comp_targetILNS1_3genE4ELNS1_11target_archE910ELNS1_3gpuE8ELNS1_3repE0EEENS1_30default_config_static_selectorELNS0_4arch9wavefront6targetE1EEEvSK_
		.amdhsa_group_segment_fixed_size 17424
		.amdhsa_private_segment_fixed_size 8
		.amdhsa_kernarg_size 336
		.amdhsa_user_sgpr_count 8
		.amdhsa_user_sgpr_private_segment_buffer 1
		.amdhsa_user_sgpr_dispatch_ptr 0
		.amdhsa_user_sgpr_queue_ptr 0
		.amdhsa_user_sgpr_kernarg_segment_ptr 1
		.amdhsa_user_sgpr_dispatch_id 0
		.amdhsa_user_sgpr_flat_scratch_init 1
		.amdhsa_user_sgpr_kernarg_preload_length 0
		.amdhsa_user_sgpr_kernarg_preload_offset 0
		.amdhsa_user_sgpr_private_segment_size 0
		.amdhsa_uses_dynamic_stack 0
		.amdhsa_system_sgpr_private_segment_wavefront_offset 1
		.amdhsa_system_sgpr_workgroup_id_x 1
		.amdhsa_system_sgpr_workgroup_id_y 1
		.amdhsa_system_sgpr_workgroup_id_z 0
		.amdhsa_system_sgpr_workgroup_info 0
		.amdhsa_system_vgpr_workitem_id 2
		.amdhsa_next_free_vgpr 179
		.amdhsa_next_free_sgpr 80
		.amdhsa_accum_offset 180
		.amdhsa_reserve_vcc 1
		.amdhsa_reserve_flat_scratch 1
		.amdhsa_float_round_mode_32 0
		.amdhsa_float_round_mode_16_64 0
		.amdhsa_float_denorm_mode_32 3
		.amdhsa_float_denorm_mode_16_64 3
		.amdhsa_dx10_clamp 1
		.amdhsa_ieee_mode 1
		.amdhsa_fp16_overflow 0
		.amdhsa_tg_split 0
		.amdhsa_exception_fp_ieee_invalid_op 0
		.amdhsa_exception_fp_denorm_src 0
		.amdhsa_exception_fp_ieee_div_zero 0
		.amdhsa_exception_fp_ieee_overflow 0
		.amdhsa_exception_fp_ieee_underflow 0
		.amdhsa_exception_fp_ieee_inexact 0
		.amdhsa_exception_int_div_zero 0
	.end_amdhsa_kernel
	.section	.text._ZN7rocprim17ROCPRIM_400000_NS6detail17trampoline_kernelINS0_14default_configENS1_36segmented_radix_sort_config_selectorIblEEZNS1_25segmented_radix_sort_implIS3_Lb0EPKbPbPKlPlN2at6native12_GLOBAL__N_18offset_tEEE10hipError_tPvRmT1_PNSt15iterator_traitsISK_E10value_typeET2_T3_PNSL_ISQ_E10value_typeET4_jRbjT5_SW_jjP12ihipStream_tbEUlT_E2_NS1_11comp_targetILNS1_3genE4ELNS1_11target_archE910ELNS1_3gpuE8ELNS1_3repE0EEENS1_30default_config_static_selectorELNS0_4arch9wavefront6targetE1EEEvSK_,"axG",@progbits,_ZN7rocprim17ROCPRIM_400000_NS6detail17trampoline_kernelINS0_14default_configENS1_36segmented_radix_sort_config_selectorIblEEZNS1_25segmented_radix_sort_implIS3_Lb0EPKbPbPKlPlN2at6native12_GLOBAL__N_18offset_tEEE10hipError_tPvRmT1_PNSt15iterator_traitsISK_E10value_typeET2_T3_PNSL_ISQ_E10value_typeET4_jRbjT5_SW_jjP12ihipStream_tbEUlT_E2_NS1_11comp_targetILNS1_3genE4ELNS1_11target_archE910ELNS1_3gpuE8ELNS1_3repE0EEENS1_30default_config_static_selectorELNS0_4arch9wavefront6targetE1EEEvSK_,comdat
.Lfunc_end1665:
	.size	_ZN7rocprim17ROCPRIM_400000_NS6detail17trampoline_kernelINS0_14default_configENS1_36segmented_radix_sort_config_selectorIblEEZNS1_25segmented_radix_sort_implIS3_Lb0EPKbPbPKlPlN2at6native12_GLOBAL__N_18offset_tEEE10hipError_tPvRmT1_PNSt15iterator_traitsISK_E10value_typeET2_T3_PNSL_ISQ_E10value_typeET4_jRbjT5_SW_jjP12ihipStream_tbEUlT_E2_NS1_11comp_targetILNS1_3genE4ELNS1_11target_archE910ELNS1_3gpuE8ELNS1_3repE0EEENS1_30default_config_static_selectorELNS0_4arch9wavefront6targetE1EEEvSK_, .Lfunc_end1665-_ZN7rocprim17ROCPRIM_400000_NS6detail17trampoline_kernelINS0_14default_configENS1_36segmented_radix_sort_config_selectorIblEEZNS1_25segmented_radix_sort_implIS3_Lb0EPKbPbPKlPlN2at6native12_GLOBAL__N_18offset_tEEE10hipError_tPvRmT1_PNSt15iterator_traitsISK_E10value_typeET2_T3_PNSL_ISQ_E10value_typeET4_jRbjT5_SW_jjP12ihipStream_tbEUlT_E2_NS1_11comp_targetILNS1_3genE4ELNS1_11target_archE910ELNS1_3gpuE8ELNS1_3repE0EEENS1_30default_config_static_selectorELNS0_4arch9wavefront6targetE1EEEvSK_
                                        ; -- End function
	.section	.AMDGPU.csdata,"",@progbits
; Kernel info:
; codeLenInByte = 27676
; NumSgprs: 86
; NumVgprs: 179
; NumAgprs: 0
; TotalNumVgprs: 179
; ScratchSize: 8
; MemoryBound: 0
; FloatMode: 240
; IeeeMode: 1
; LDSByteSize: 17424 bytes/workgroup (compile time only)
; SGPRBlocks: 10
; VGPRBlocks: 22
; NumSGPRsForWavesPerEU: 86
; NumVGPRsForWavesPerEU: 179
; AccumOffset: 180
; Occupancy: 2
; WaveLimiterHint : 1
; COMPUTE_PGM_RSRC2:SCRATCH_EN: 1
; COMPUTE_PGM_RSRC2:USER_SGPR: 8
; COMPUTE_PGM_RSRC2:TRAP_HANDLER: 0
; COMPUTE_PGM_RSRC2:TGID_X_EN: 1
; COMPUTE_PGM_RSRC2:TGID_Y_EN: 1
; COMPUTE_PGM_RSRC2:TGID_Z_EN: 0
; COMPUTE_PGM_RSRC2:TIDIG_COMP_CNT: 2
; COMPUTE_PGM_RSRC3_GFX90A:ACCUM_OFFSET: 44
; COMPUTE_PGM_RSRC3_GFX90A:TG_SPLIT: 0
	.section	.text._ZN7rocprim17ROCPRIM_400000_NS6detail17trampoline_kernelINS0_14default_configENS1_36segmented_radix_sort_config_selectorIblEEZNS1_25segmented_radix_sort_implIS3_Lb0EPKbPbPKlPlN2at6native12_GLOBAL__N_18offset_tEEE10hipError_tPvRmT1_PNSt15iterator_traitsISK_E10value_typeET2_T3_PNSL_ISQ_E10value_typeET4_jRbjT5_SW_jjP12ihipStream_tbEUlT_E2_NS1_11comp_targetILNS1_3genE3ELNS1_11target_archE908ELNS1_3gpuE7ELNS1_3repE0EEENS1_30default_config_static_selectorELNS0_4arch9wavefront6targetE1EEEvSK_,"axG",@progbits,_ZN7rocprim17ROCPRIM_400000_NS6detail17trampoline_kernelINS0_14default_configENS1_36segmented_radix_sort_config_selectorIblEEZNS1_25segmented_radix_sort_implIS3_Lb0EPKbPbPKlPlN2at6native12_GLOBAL__N_18offset_tEEE10hipError_tPvRmT1_PNSt15iterator_traitsISK_E10value_typeET2_T3_PNSL_ISQ_E10value_typeET4_jRbjT5_SW_jjP12ihipStream_tbEUlT_E2_NS1_11comp_targetILNS1_3genE3ELNS1_11target_archE908ELNS1_3gpuE7ELNS1_3repE0EEENS1_30default_config_static_selectorELNS0_4arch9wavefront6targetE1EEEvSK_,comdat
	.globl	_ZN7rocprim17ROCPRIM_400000_NS6detail17trampoline_kernelINS0_14default_configENS1_36segmented_radix_sort_config_selectorIblEEZNS1_25segmented_radix_sort_implIS3_Lb0EPKbPbPKlPlN2at6native12_GLOBAL__N_18offset_tEEE10hipError_tPvRmT1_PNSt15iterator_traitsISK_E10value_typeET2_T3_PNSL_ISQ_E10value_typeET4_jRbjT5_SW_jjP12ihipStream_tbEUlT_E2_NS1_11comp_targetILNS1_3genE3ELNS1_11target_archE908ELNS1_3gpuE7ELNS1_3repE0EEENS1_30default_config_static_selectorELNS0_4arch9wavefront6targetE1EEEvSK_ ; -- Begin function _ZN7rocprim17ROCPRIM_400000_NS6detail17trampoline_kernelINS0_14default_configENS1_36segmented_radix_sort_config_selectorIblEEZNS1_25segmented_radix_sort_implIS3_Lb0EPKbPbPKlPlN2at6native12_GLOBAL__N_18offset_tEEE10hipError_tPvRmT1_PNSt15iterator_traitsISK_E10value_typeET2_T3_PNSL_ISQ_E10value_typeET4_jRbjT5_SW_jjP12ihipStream_tbEUlT_E2_NS1_11comp_targetILNS1_3genE3ELNS1_11target_archE908ELNS1_3gpuE7ELNS1_3repE0EEENS1_30default_config_static_selectorELNS0_4arch9wavefront6targetE1EEEvSK_
	.p2align	8
	.type	_ZN7rocprim17ROCPRIM_400000_NS6detail17trampoline_kernelINS0_14default_configENS1_36segmented_radix_sort_config_selectorIblEEZNS1_25segmented_radix_sort_implIS3_Lb0EPKbPbPKlPlN2at6native12_GLOBAL__N_18offset_tEEE10hipError_tPvRmT1_PNSt15iterator_traitsISK_E10value_typeET2_T3_PNSL_ISQ_E10value_typeET4_jRbjT5_SW_jjP12ihipStream_tbEUlT_E2_NS1_11comp_targetILNS1_3genE3ELNS1_11target_archE908ELNS1_3gpuE7ELNS1_3repE0EEENS1_30default_config_static_selectorELNS0_4arch9wavefront6targetE1EEEvSK_,@function
_ZN7rocprim17ROCPRIM_400000_NS6detail17trampoline_kernelINS0_14default_configENS1_36segmented_radix_sort_config_selectorIblEEZNS1_25segmented_radix_sort_implIS3_Lb0EPKbPbPKlPlN2at6native12_GLOBAL__N_18offset_tEEE10hipError_tPvRmT1_PNSt15iterator_traitsISK_E10value_typeET2_T3_PNSL_ISQ_E10value_typeET4_jRbjT5_SW_jjP12ihipStream_tbEUlT_E2_NS1_11comp_targetILNS1_3genE3ELNS1_11target_archE908ELNS1_3gpuE7ELNS1_3repE0EEENS1_30default_config_static_selectorELNS0_4arch9wavefront6targetE1EEEvSK_: ; @_ZN7rocprim17ROCPRIM_400000_NS6detail17trampoline_kernelINS0_14default_configENS1_36segmented_radix_sort_config_selectorIblEEZNS1_25segmented_radix_sort_implIS3_Lb0EPKbPbPKlPlN2at6native12_GLOBAL__N_18offset_tEEE10hipError_tPvRmT1_PNSt15iterator_traitsISK_E10value_typeET2_T3_PNSL_ISQ_E10value_typeET4_jRbjT5_SW_jjP12ihipStream_tbEUlT_E2_NS1_11comp_targetILNS1_3genE3ELNS1_11target_archE908ELNS1_3gpuE7ELNS1_3repE0EEENS1_30default_config_static_selectorELNS0_4arch9wavefront6targetE1EEEvSK_
; %bb.0:
	.section	.rodata,"a",@progbits
	.p2align	6, 0x0
	.amdhsa_kernel _ZN7rocprim17ROCPRIM_400000_NS6detail17trampoline_kernelINS0_14default_configENS1_36segmented_radix_sort_config_selectorIblEEZNS1_25segmented_radix_sort_implIS3_Lb0EPKbPbPKlPlN2at6native12_GLOBAL__N_18offset_tEEE10hipError_tPvRmT1_PNSt15iterator_traitsISK_E10value_typeET2_T3_PNSL_ISQ_E10value_typeET4_jRbjT5_SW_jjP12ihipStream_tbEUlT_E2_NS1_11comp_targetILNS1_3genE3ELNS1_11target_archE908ELNS1_3gpuE7ELNS1_3repE0EEENS1_30default_config_static_selectorELNS0_4arch9wavefront6targetE1EEEvSK_
		.amdhsa_group_segment_fixed_size 0
		.amdhsa_private_segment_fixed_size 0
		.amdhsa_kernarg_size 80
		.amdhsa_user_sgpr_count 6
		.amdhsa_user_sgpr_private_segment_buffer 1
		.amdhsa_user_sgpr_dispatch_ptr 0
		.amdhsa_user_sgpr_queue_ptr 0
		.amdhsa_user_sgpr_kernarg_segment_ptr 1
		.amdhsa_user_sgpr_dispatch_id 0
		.amdhsa_user_sgpr_flat_scratch_init 0
		.amdhsa_user_sgpr_kernarg_preload_length 0
		.amdhsa_user_sgpr_kernarg_preload_offset 0
		.amdhsa_user_sgpr_private_segment_size 0
		.amdhsa_uses_dynamic_stack 0
		.amdhsa_system_sgpr_private_segment_wavefront_offset 0
		.amdhsa_system_sgpr_workgroup_id_x 1
		.amdhsa_system_sgpr_workgroup_id_y 0
		.amdhsa_system_sgpr_workgroup_id_z 0
		.amdhsa_system_sgpr_workgroup_info 0
		.amdhsa_system_vgpr_workitem_id 0
		.amdhsa_next_free_vgpr 1
		.amdhsa_next_free_sgpr 0
		.amdhsa_accum_offset 4
		.amdhsa_reserve_vcc 0
		.amdhsa_reserve_flat_scratch 0
		.amdhsa_float_round_mode_32 0
		.amdhsa_float_round_mode_16_64 0
		.amdhsa_float_denorm_mode_32 3
		.amdhsa_float_denorm_mode_16_64 3
		.amdhsa_dx10_clamp 1
		.amdhsa_ieee_mode 1
		.amdhsa_fp16_overflow 0
		.amdhsa_tg_split 0
		.amdhsa_exception_fp_ieee_invalid_op 0
		.amdhsa_exception_fp_denorm_src 0
		.amdhsa_exception_fp_ieee_div_zero 0
		.amdhsa_exception_fp_ieee_overflow 0
		.amdhsa_exception_fp_ieee_underflow 0
		.amdhsa_exception_fp_ieee_inexact 0
		.amdhsa_exception_int_div_zero 0
	.end_amdhsa_kernel
	.section	.text._ZN7rocprim17ROCPRIM_400000_NS6detail17trampoline_kernelINS0_14default_configENS1_36segmented_radix_sort_config_selectorIblEEZNS1_25segmented_radix_sort_implIS3_Lb0EPKbPbPKlPlN2at6native12_GLOBAL__N_18offset_tEEE10hipError_tPvRmT1_PNSt15iterator_traitsISK_E10value_typeET2_T3_PNSL_ISQ_E10value_typeET4_jRbjT5_SW_jjP12ihipStream_tbEUlT_E2_NS1_11comp_targetILNS1_3genE3ELNS1_11target_archE908ELNS1_3gpuE7ELNS1_3repE0EEENS1_30default_config_static_selectorELNS0_4arch9wavefront6targetE1EEEvSK_,"axG",@progbits,_ZN7rocprim17ROCPRIM_400000_NS6detail17trampoline_kernelINS0_14default_configENS1_36segmented_radix_sort_config_selectorIblEEZNS1_25segmented_radix_sort_implIS3_Lb0EPKbPbPKlPlN2at6native12_GLOBAL__N_18offset_tEEE10hipError_tPvRmT1_PNSt15iterator_traitsISK_E10value_typeET2_T3_PNSL_ISQ_E10value_typeET4_jRbjT5_SW_jjP12ihipStream_tbEUlT_E2_NS1_11comp_targetILNS1_3genE3ELNS1_11target_archE908ELNS1_3gpuE7ELNS1_3repE0EEENS1_30default_config_static_selectorELNS0_4arch9wavefront6targetE1EEEvSK_,comdat
.Lfunc_end1666:
	.size	_ZN7rocprim17ROCPRIM_400000_NS6detail17trampoline_kernelINS0_14default_configENS1_36segmented_radix_sort_config_selectorIblEEZNS1_25segmented_radix_sort_implIS3_Lb0EPKbPbPKlPlN2at6native12_GLOBAL__N_18offset_tEEE10hipError_tPvRmT1_PNSt15iterator_traitsISK_E10value_typeET2_T3_PNSL_ISQ_E10value_typeET4_jRbjT5_SW_jjP12ihipStream_tbEUlT_E2_NS1_11comp_targetILNS1_3genE3ELNS1_11target_archE908ELNS1_3gpuE7ELNS1_3repE0EEENS1_30default_config_static_selectorELNS0_4arch9wavefront6targetE1EEEvSK_, .Lfunc_end1666-_ZN7rocprim17ROCPRIM_400000_NS6detail17trampoline_kernelINS0_14default_configENS1_36segmented_radix_sort_config_selectorIblEEZNS1_25segmented_radix_sort_implIS3_Lb0EPKbPbPKlPlN2at6native12_GLOBAL__N_18offset_tEEE10hipError_tPvRmT1_PNSt15iterator_traitsISK_E10value_typeET2_T3_PNSL_ISQ_E10value_typeET4_jRbjT5_SW_jjP12ihipStream_tbEUlT_E2_NS1_11comp_targetILNS1_3genE3ELNS1_11target_archE908ELNS1_3gpuE7ELNS1_3repE0EEENS1_30default_config_static_selectorELNS0_4arch9wavefront6targetE1EEEvSK_
                                        ; -- End function
	.section	.AMDGPU.csdata,"",@progbits
; Kernel info:
; codeLenInByte = 0
; NumSgprs: 4
; NumVgprs: 0
; NumAgprs: 0
; TotalNumVgprs: 0
; ScratchSize: 0
; MemoryBound: 0
; FloatMode: 240
; IeeeMode: 1
; LDSByteSize: 0 bytes/workgroup (compile time only)
; SGPRBlocks: 0
; VGPRBlocks: 0
; NumSGPRsForWavesPerEU: 4
; NumVGPRsForWavesPerEU: 1
; AccumOffset: 4
; Occupancy: 8
; WaveLimiterHint : 0
; COMPUTE_PGM_RSRC2:SCRATCH_EN: 0
; COMPUTE_PGM_RSRC2:USER_SGPR: 6
; COMPUTE_PGM_RSRC2:TRAP_HANDLER: 0
; COMPUTE_PGM_RSRC2:TGID_X_EN: 1
; COMPUTE_PGM_RSRC2:TGID_Y_EN: 0
; COMPUTE_PGM_RSRC2:TGID_Z_EN: 0
; COMPUTE_PGM_RSRC2:TIDIG_COMP_CNT: 0
; COMPUTE_PGM_RSRC3_GFX90A:ACCUM_OFFSET: 0
; COMPUTE_PGM_RSRC3_GFX90A:TG_SPLIT: 0
	.section	.text._ZN7rocprim17ROCPRIM_400000_NS6detail17trampoline_kernelINS0_14default_configENS1_36segmented_radix_sort_config_selectorIblEEZNS1_25segmented_radix_sort_implIS3_Lb0EPKbPbPKlPlN2at6native12_GLOBAL__N_18offset_tEEE10hipError_tPvRmT1_PNSt15iterator_traitsISK_E10value_typeET2_T3_PNSL_ISQ_E10value_typeET4_jRbjT5_SW_jjP12ihipStream_tbEUlT_E2_NS1_11comp_targetILNS1_3genE2ELNS1_11target_archE906ELNS1_3gpuE6ELNS1_3repE0EEENS1_30default_config_static_selectorELNS0_4arch9wavefront6targetE1EEEvSK_,"axG",@progbits,_ZN7rocprim17ROCPRIM_400000_NS6detail17trampoline_kernelINS0_14default_configENS1_36segmented_radix_sort_config_selectorIblEEZNS1_25segmented_radix_sort_implIS3_Lb0EPKbPbPKlPlN2at6native12_GLOBAL__N_18offset_tEEE10hipError_tPvRmT1_PNSt15iterator_traitsISK_E10value_typeET2_T3_PNSL_ISQ_E10value_typeET4_jRbjT5_SW_jjP12ihipStream_tbEUlT_E2_NS1_11comp_targetILNS1_3genE2ELNS1_11target_archE906ELNS1_3gpuE6ELNS1_3repE0EEENS1_30default_config_static_selectorELNS0_4arch9wavefront6targetE1EEEvSK_,comdat
	.globl	_ZN7rocprim17ROCPRIM_400000_NS6detail17trampoline_kernelINS0_14default_configENS1_36segmented_radix_sort_config_selectorIblEEZNS1_25segmented_radix_sort_implIS3_Lb0EPKbPbPKlPlN2at6native12_GLOBAL__N_18offset_tEEE10hipError_tPvRmT1_PNSt15iterator_traitsISK_E10value_typeET2_T3_PNSL_ISQ_E10value_typeET4_jRbjT5_SW_jjP12ihipStream_tbEUlT_E2_NS1_11comp_targetILNS1_3genE2ELNS1_11target_archE906ELNS1_3gpuE6ELNS1_3repE0EEENS1_30default_config_static_selectorELNS0_4arch9wavefront6targetE1EEEvSK_ ; -- Begin function _ZN7rocprim17ROCPRIM_400000_NS6detail17trampoline_kernelINS0_14default_configENS1_36segmented_radix_sort_config_selectorIblEEZNS1_25segmented_radix_sort_implIS3_Lb0EPKbPbPKlPlN2at6native12_GLOBAL__N_18offset_tEEE10hipError_tPvRmT1_PNSt15iterator_traitsISK_E10value_typeET2_T3_PNSL_ISQ_E10value_typeET4_jRbjT5_SW_jjP12ihipStream_tbEUlT_E2_NS1_11comp_targetILNS1_3genE2ELNS1_11target_archE906ELNS1_3gpuE6ELNS1_3repE0EEENS1_30default_config_static_selectorELNS0_4arch9wavefront6targetE1EEEvSK_
	.p2align	8
	.type	_ZN7rocprim17ROCPRIM_400000_NS6detail17trampoline_kernelINS0_14default_configENS1_36segmented_radix_sort_config_selectorIblEEZNS1_25segmented_radix_sort_implIS3_Lb0EPKbPbPKlPlN2at6native12_GLOBAL__N_18offset_tEEE10hipError_tPvRmT1_PNSt15iterator_traitsISK_E10value_typeET2_T3_PNSL_ISQ_E10value_typeET4_jRbjT5_SW_jjP12ihipStream_tbEUlT_E2_NS1_11comp_targetILNS1_3genE2ELNS1_11target_archE906ELNS1_3gpuE6ELNS1_3repE0EEENS1_30default_config_static_selectorELNS0_4arch9wavefront6targetE1EEEvSK_,@function
_ZN7rocprim17ROCPRIM_400000_NS6detail17trampoline_kernelINS0_14default_configENS1_36segmented_radix_sort_config_selectorIblEEZNS1_25segmented_radix_sort_implIS3_Lb0EPKbPbPKlPlN2at6native12_GLOBAL__N_18offset_tEEE10hipError_tPvRmT1_PNSt15iterator_traitsISK_E10value_typeET2_T3_PNSL_ISQ_E10value_typeET4_jRbjT5_SW_jjP12ihipStream_tbEUlT_E2_NS1_11comp_targetILNS1_3genE2ELNS1_11target_archE906ELNS1_3gpuE6ELNS1_3repE0EEENS1_30default_config_static_selectorELNS0_4arch9wavefront6targetE1EEEvSK_: ; @_ZN7rocprim17ROCPRIM_400000_NS6detail17trampoline_kernelINS0_14default_configENS1_36segmented_radix_sort_config_selectorIblEEZNS1_25segmented_radix_sort_implIS3_Lb0EPKbPbPKlPlN2at6native12_GLOBAL__N_18offset_tEEE10hipError_tPvRmT1_PNSt15iterator_traitsISK_E10value_typeET2_T3_PNSL_ISQ_E10value_typeET4_jRbjT5_SW_jjP12ihipStream_tbEUlT_E2_NS1_11comp_targetILNS1_3genE2ELNS1_11target_archE906ELNS1_3gpuE6ELNS1_3repE0EEENS1_30default_config_static_selectorELNS0_4arch9wavefront6targetE1EEEvSK_
; %bb.0:
	.section	.rodata,"a",@progbits
	.p2align	6, 0x0
	.amdhsa_kernel _ZN7rocprim17ROCPRIM_400000_NS6detail17trampoline_kernelINS0_14default_configENS1_36segmented_radix_sort_config_selectorIblEEZNS1_25segmented_radix_sort_implIS3_Lb0EPKbPbPKlPlN2at6native12_GLOBAL__N_18offset_tEEE10hipError_tPvRmT1_PNSt15iterator_traitsISK_E10value_typeET2_T3_PNSL_ISQ_E10value_typeET4_jRbjT5_SW_jjP12ihipStream_tbEUlT_E2_NS1_11comp_targetILNS1_3genE2ELNS1_11target_archE906ELNS1_3gpuE6ELNS1_3repE0EEENS1_30default_config_static_selectorELNS0_4arch9wavefront6targetE1EEEvSK_
		.amdhsa_group_segment_fixed_size 0
		.amdhsa_private_segment_fixed_size 0
		.amdhsa_kernarg_size 80
		.amdhsa_user_sgpr_count 6
		.amdhsa_user_sgpr_private_segment_buffer 1
		.amdhsa_user_sgpr_dispatch_ptr 0
		.amdhsa_user_sgpr_queue_ptr 0
		.amdhsa_user_sgpr_kernarg_segment_ptr 1
		.amdhsa_user_sgpr_dispatch_id 0
		.amdhsa_user_sgpr_flat_scratch_init 0
		.amdhsa_user_sgpr_kernarg_preload_length 0
		.amdhsa_user_sgpr_kernarg_preload_offset 0
		.amdhsa_user_sgpr_private_segment_size 0
		.amdhsa_uses_dynamic_stack 0
		.amdhsa_system_sgpr_private_segment_wavefront_offset 0
		.amdhsa_system_sgpr_workgroup_id_x 1
		.amdhsa_system_sgpr_workgroup_id_y 0
		.amdhsa_system_sgpr_workgroup_id_z 0
		.amdhsa_system_sgpr_workgroup_info 0
		.amdhsa_system_vgpr_workitem_id 0
		.amdhsa_next_free_vgpr 1
		.amdhsa_next_free_sgpr 0
		.amdhsa_accum_offset 4
		.amdhsa_reserve_vcc 0
		.amdhsa_reserve_flat_scratch 0
		.amdhsa_float_round_mode_32 0
		.amdhsa_float_round_mode_16_64 0
		.amdhsa_float_denorm_mode_32 3
		.amdhsa_float_denorm_mode_16_64 3
		.amdhsa_dx10_clamp 1
		.amdhsa_ieee_mode 1
		.amdhsa_fp16_overflow 0
		.amdhsa_tg_split 0
		.amdhsa_exception_fp_ieee_invalid_op 0
		.amdhsa_exception_fp_denorm_src 0
		.amdhsa_exception_fp_ieee_div_zero 0
		.amdhsa_exception_fp_ieee_overflow 0
		.amdhsa_exception_fp_ieee_underflow 0
		.amdhsa_exception_fp_ieee_inexact 0
		.amdhsa_exception_int_div_zero 0
	.end_amdhsa_kernel
	.section	.text._ZN7rocprim17ROCPRIM_400000_NS6detail17trampoline_kernelINS0_14default_configENS1_36segmented_radix_sort_config_selectorIblEEZNS1_25segmented_radix_sort_implIS3_Lb0EPKbPbPKlPlN2at6native12_GLOBAL__N_18offset_tEEE10hipError_tPvRmT1_PNSt15iterator_traitsISK_E10value_typeET2_T3_PNSL_ISQ_E10value_typeET4_jRbjT5_SW_jjP12ihipStream_tbEUlT_E2_NS1_11comp_targetILNS1_3genE2ELNS1_11target_archE906ELNS1_3gpuE6ELNS1_3repE0EEENS1_30default_config_static_selectorELNS0_4arch9wavefront6targetE1EEEvSK_,"axG",@progbits,_ZN7rocprim17ROCPRIM_400000_NS6detail17trampoline_kernelINS0_14default_configENS1_36segmented_radix_sort_config_selectorIblEEZNS1_25segmented_radix_sort_implIS3_Lb0EPKbPbPKlPlN2at6native12_GLOBAL__N_18offset_tEEE10hipError_tPvRmT1_PNSt15iterator_traitsISK_E10value_typeET2_T3_PNSL_ISQ_E10value_typeET4_jRbjT5_SW_jjP12ihipStream_tbEUlT_E2_NS1_11comp_targetILNS1_3genE2ELNS1_11target_archE906ELNS1_3gpuE6ELNS1_3repE0EEENS1_30default_config_static_selectorELNS0_4arch9wavefront6targetE1EEEvSK_,comdat
.Lfunc_end1667:
	.size	_ZN7rocprim17ROCPRIM_400000_NS6detail17trampoline_kernelINS0_14default_configENS1_36segmented_radix_sort_config_selectorIblEEZNS1_25segmented_radix_sort_implIS3_Lb0EPKbPbPKlPlN2at6native12_GLOBAL__N_18offset_tEEE10hipError_tPvRmT1_PNSt15iterator_traitsISK_E10value_typeET2_T3_PNSL_ISQ_E10value_typeET4_jRbjT5_SW_jjP12ihipStream_tbEUlT_E2_NS1_11comp_targetILNS1_3genE2ELNS1_11target_archE906ELNS1_3gpuE6ELNS1_3repE0EEENS1_30default_config_static_selectorELNS0_4arch9wavefront6targetE1EEEvSK_, .Lfunc_end1667-_ZN7rocprim17ROCPRIM_400000_NS6detail17trampoline_kernelINS0_14default_configENS1_36segmented_radix_sort_config_selectorIblEEZNS1_25segmented_radix_sort_implIS3_Lb0EPKbPbPKlPlN2at6native12_GLOBAL__N_18offset_tEEE10hipError_tPvRmT1_PNSt15iterator_traitsISK_E10value_typeET2_T3_PNSL_ISQ_E10value_typeET4_jRbjT5_SW_jjP12ihipStream_tbEUlT_E2_NS1_11comp_targetILNS1_3genE2ELNS1_11target_archE906ELNS1_3gpuE6ELNS1_3repE0EEENS1_30default_config_static_selectorELNS0_4arch9wavefront6targetE1EEEvSK_
                                        ; -- End function
	.section	.AMDGPU.csdata,"",@progbits
; Kernel info:
; codeLenInByte = 0
; NumSgprs: 4
; NumVgprs: 0
; NumAgprs: 0
; TotalNumVgprs: 0
; ScratchSize: 0
; MemoryBound: 0
; FloatMode: 240
; IeeeMode: 1
; LDSByteSize: 0 bytes/workgroup (compile time only)
; SGPRBlocks: 0
; VGPRBlocks: 0
; NumSGPRsForWavesPerEU: 4
; NumVGPRsForWavesPerEU: 1
; AccumOffset: 4
; Occupancy: 8
; WaveLimiterHint : 0
; COMPUTE_PGM_RSRC2:SCRATCH_EN: 0
; COMPUTE_PGM_RSRC2:USER_SGPR: 6
; COMPUTE_PGM_RSRC2:TRAP_HANDLER: 0
; COMPUTE_PGM_RSRC2:TGID_X_EN: 1
; COMPUTE_PGM_RSRC2:TGID_Y_EN: 0
; COMPUTE_PGM_RSRC2:TGID_Z_EN: 0
; COMPUTE_PGM_RSRC2:TIDIG_COMP_CNT: 0
; COMPUTE_PGM_RSRC3_GFX90A:ACCUM_OFFSET: 0
; COMPUTE_PGM_RSRC3_GFX90A:TG_SPLIT: 0
	.section	.text._ZN7rocprim17ROCPRIM_400000_NS6detail17trampoline_kernelINS0_14default_configENS1_36segmented_radix_sort_config_selectorIblEEZNS1_25segmented_radix_sort_implIS3_Lb0EPKbPbPKlPlN2at6native12_GLOBAL__N_18offset_tEEE10hipError_tPvRmT1_PNSt15iterator_traitsISK_E10value_typeET2_T3_PNSL_ISQ_E10value_typeET4_jRbjT5_SW_jjP12ihipStream_tbEUlT_E2_NS1_11comp_targetILNS1_3genE10ELNS1_11target_archE1201ELNS1_3gpuE5ELNS1_3repE0EEENS1_30default_config_static_selectorELNS0_4arch9wavefront6targetE1EEEvSK_,"axG",@progbits,_ZN7rocprim17ROCPRIM_400000_NS6detail17trampoline_kernelINS0_14default_configENS1_36segmented_radix_sort_config_selectorIblEEZNS1_25segmented_radix_sort_implIS3_Lb0EPKbPbPKlPlN2at6native12_GLOBAL__N_18offset_tEEE10hipError_tPvRmT1_PNSt15iterator_traitsISK_E10value_typeET2_T3_PNSL_ISQ_E10value_typeET4_jRbjT5_SW_jjP12ihipStream_tbEUlT_E2_NS1_11comp_targetILNS1_3genE10ELNS1_11target_archE1201ELNS1_3gpuE5ELNS1_3repE0EEENS1_30default_config_static_selectorELNS0_4arch9wavefront6targetE1EEEvSK_,comdat
	.globl	_ZN7rocprim17ROCPRIM_400000_NS6detail17trampoline_kernelINS0_14default_configENS1_36segmented_radix_sort_config_selectorIblEEZNS1_25segmented_radix_sort_implIS3_Lb0EPKbPbPKlPlN2at6native12_GLOBAL__N_18offset_tEEE10hipError_tPvRmT1_PNSt15iterator_traitsISK_E10value_typeET2_T3_PNSL_ISQ_E10value_typeET4_jRbjT5_SW_jjP12ihipStream_tbEUlT_E2_NS1_11comp_targetILNS1_3genE10ELNS1_11target_archE1201ELNS1_3gpuE5ELNS1_3repE0EEENS1_30default_config_static_selectorELNS0_4arch9wavefront6targetE1EEEvSK_ ; -- Begin function _ZN7rocprim17ROCPRIM_400000_NS6detail17trampoline_kernelINS0_14default_configENS1_36segmented_radix_sort_config_selectorIblEEZNS1_25segmented_radix_sort_implIS3_Lb0EPKbPbPKlPlN2at6native12_GLOBAL__N_18offset_tEEE10hipError_tPvRmT1_PNSt15iterator_traitsISK_E10value_typeET2_T3_PNSL_ISQ_E10value_typeET4_jRbjT5_SW_jjP12ihipStream_tbEUlT_E2_NS1_11comp_targetILNS1_3genE10ELNS1_11target_archE1201ELNS1_3gpuE5ELNS1_3repE0EEENS1_30default_config_static_selectorELNS0_4arch9wavefront6targetE1EEEvSK_
	.p2align	8
	.type	_ZN7rocprim17ROCPRIM_400000_NS6detail17trampoline_kernelINS0_14default_configENS1_36segmented_radix_sort_config_selectorIblEEZNS1_25segmented_radix_sort_implIS3_Lb0EPKbPbPKlPlN2at6native12_GLOBAL__N_18offset_tEEE10hipError_tPvRmT1_PNSt15iterator_traitsISK_E10value_typeET2_T3_PNSL_ISQ_E10value_typeET4_jRbjT5_SW_jjP12ihipStream_tbEUlT_E2_NS1_11comp_targetILNS1_3genE10ELNS1_11target_archE1201ELNS1_3gpuE5ELNS1_3repE0EEENS1_30default_config_static_selectorELNS0_4arch9wavefront6targetE1EEEvSK_,@function
_ZN7rocprim17ROCPRIM_400000_NS6detail17trampoline_kernelINS0_14default_configENS1_36segmented_radix_sort_config_selectorIblEEZNS1_25segmented_radix_sort_implIS3_Lb0EPKbPbPKlPlN2at6native12_GLOBAL__N_18offset_tEEE10hipError_tPvRmT1_PNSt15iterator_traitsISK_E10value_typeET2_T3_PNSL_ISQ_E10value_typeET4_jRbjT5_SW_jjP12ihipStream_tbEUlT_E2_NS1_11comp_targetILNS1_3genE10ELNS1_11target_archE1201ELNS1_3gpuE5ELNS1_3repE0EEENS1_30default_config_static_selectorELNS0_4arch9wavefront6targetE1EEEvSK_: ; @_ZN7rocprim17ROCPRIM_400000_NS6detail17trampoline_kernelINS0_14default_configENS1_36segmented_radix_sort_config_selectorIblEEZNS1_25segmented_radix_sort_implIS3_Lb0EPKbPbPKlPlN2at6native12_GLOBAL__N_18offset_tEEE10hipError_tPvRmT1_PNSt15iterator_traitsISK_E10value_typeET2_T3_PNSL_ISQ_E10value_typeET4_jRbjT5_SW_jjP12ihipStream_tbEUlT_E2_NS1_11comp_targetILNS1_3genE10ELNS1_11target_archE1201ELNS1_3gpuE5ELNS1_3repE0EEENS1_30default_config_static_selectorELNS0_4arch9wavefront6targetE1EEEvSK_
; %bb.0:
	.section	.rodata,"a",@progbits
	.p2align	6, 0x0
	.amdhsa_kernel _ZN7rocprim17ROCPRIM_400000_NS6detail17trampoline_kernelINS0_14default_configENS1_36segmented_radix_sort_config_selectorIblEEZNS1_25segmented_radix_sort_implIS3_Lb0EPKbPbPKlPlN2at6native12_GLOBAL__N_18offset_tEEE10hipError_tPvRmT1_PNSt15iterator_traitsISK_E10value_typeET2_T3_PNSL_ISQ_E10value_typeET4_jRbjT5_SW_jjP12ihipStream_tbEUlT_E2_NS1_11comp_targetILNS1_3genE10ELNS1_11target_archE1201ELNS1_3gpuE5ELNS1_3repE0EEENS1_30default_config_static_selectorELNS0_4arch9wavefront6targetE1EEEvSK_
		.amdhsa_group_segment_fixed_size 0
		.amdhsa_private_segment_fixed_size 0
		.amdhsa_kernarg_size 80
		.amdhsa_user_sgpr_count 6
		.amdhsa_user_sgpr_private_segment_buffer 1
		.amdhsa_user_sgpr_dispatch_ptr 0
		.amdhsa_user_sgpr_queue_ptr 0
		.amdhsa_user_sgpr_kernarg_segment_ptr 1
		.amdhsa_user_sgpr_dispatch_id 0
		.amdhsa_user_sgpr_flat_scratch_init 0
		.amdhsa_user_sgpr_kernarg_preload_length 0
		.amdhsa_user_sgpr_kernarg_preload_offset 0
		.amdhsa_user_sgpr_private_segment_size 0
		.amdhsa_uses_dynamic_stack 0
		.amdhsa_system_sgpr_private_segment_wavefront_offset 0
		.amdhsa_system_sgpr_workgroup_id_x 1
		.amdhsa_system_sgpr_workgroup_id_y 0
		.amdhsa_system_sgpr_workgroup_id_z 0
		.amdhsa_system_sgpr_workgroup_info 0
		.amdhsa_system_vgpr_workitem_id 0
		.amdhsa_next_free_vgpr 1
		.amdhsa_next_free_sgpr 0
		.amdhsa_accum_offset 4
		.amdhsa_reserve_vcc 0
		.amdhsa_reserve_flat_scratch 0
		.amdhsa_float_round_mode_32 0
		.amdhsa_float_round_mode_16_64 0
		.amdhsa_float_denorm_mode_32 3
		.amdhsa_float_denorm_mode_16_64 3
		.amdhsa_dx10_clamp 1
		.amdhsa_ieee_mode 1
		.amdhsa_fp16_overflow 0
		.amdhsa_tg_split 0
		.amdhsa_exception_fp_ieee_invalid_op 0
		.amdhsa_exception_fp_denorm_src 0
		.amdhsa_exception_fp_ieee_div_zero 0
		.amdhsa_exception_fp_ieee_overflow 0
		.amdhsa_exception_fp_ieee_underflow 0
		.amdhsa_exception_fp_ieee_inexact 0
		.amdhsa_exception_int_div_zero 0
	.end_amdhsa_kernel
	.section	.text._ZN7rocprim17ROCPRIM_400000_NS6detail17trampoline_kernelINS0_14default_configENS1_36segmented_radix_sort_config_selectorIblEEZNS1_25segmented_radix_sort_implIS3_Lb0EPKbPbPKlPlN2at6native12_GLOBAL__N_18offset_tEEE10hipError_tPvRmT1_PNSt15iterator_traitsISK_E10value_typeET2_T3_PNSL_ISQ_E10value_typeET4_jRbjT5_SW_jjP12ihipStream_tbEUlT_E2_NS1_11comp_targetILNS1_3genE10ELNS1_11target_archE1201ELNS1_3gpuE5ELNS1_3repE0EEENS1_30default_config_static_selectorELNS0_4arch9wavefront6targetE1EEEvSK_,"axG",@progbits,_ZN7rocprim17ROCPRIM_400000_NS6detail17trampoline_kernelINS0_14default_configENS1_36segmented_radix_sort_config_selectorIblEEZNS1_25segmented_radix_sort_implIS3_Lb0EPKbPbPKlPlN2at6native12_GLOBAL__N_18offset_tEEE10hipError_tPvRmT1_PNSt15iterator_traitsISK_E10value_typeET2_T3_PNSL_ISQ_E10value_typeET4_jRbjT5_SW_jjP12ihipStream_tbEUlT_E2_NS1_11comp_targetILNS1_3genE10ELNS1_11target_archE1201ELNS1_3gpuE5ELNS1_3repE0EEENS1_30default_config_static_selectorELNS0_4arch9wavefront6targetE1EEEvSK_,comdat
.Lfunc_end1668:
	.size	_ZN7rocprim17ROCPRIM_400000_NS6detail17trampoline_kernelINS0_14default_configENS1_36segmented_radix_sort_config_selectorIblEEZNS1_25segmented_radix_sort_implIS3_Lb0EPKbPbPKlPlN2at6native12_GLOBAL__N_18offset_tEEE10hipError_tPvRmT1_PNSt15iterator_traitsISK_E10value_typeET2_T3_PNSL_ISQ_E10value_typeET4_jRbjT5_SW_jjP12ihipStream_tbEUlT_E2_NS1_11comp_targetILNS1_3genE10ELNS1_11target_archE1201ELNS1_3gpuE5ELNS1_3repE0EEENS1_30default_config_static_selectorELNS0_4arch9wavefront6targetE1EEEvSK_, .Lfunc_end1668-_ZN7rocprim17ROCPRIM_400000_NS6detail17trampoline_kernelINS0_14default_configENS1_36segmented_radix_sort_config_selectorIblEEZNS1_25segmented_radix_sort_implIS3_Lb0EPKbPbPKlPlN2at6native12_GLOBAL__N_18offset_tEEE10hipError_tPvRmT1_PNSt15iterator_traitsISK_E10value_typeET2_T3_PNSL_ISQ_E10value_typeET4_jRbjT5_SW_jjP12ihipStream_tbEUlT_E2_NS1_11comp_targetILNS1_3genE10ELNS1_11target_archE1201ELNS1_3gpuE5ELNS1_3repE0EEENS1_30default_config_static_selectorELNS0_4arch9wavefront6targetE1EEEvSK_
                                        ; -- End function
	.section	.AMDGPU.csdata,"",@progbits
; Kernel info:
; codeLenInByte = 0
; NumSgprs: 4
; NumVgprs: 0
; NumAgprs: 0
; TotalNumVgprs: 0
; ScratchSize: 0
; MemoryBound: 0
; FloatMode: 240
; IeeeMode: 1
; LDSByteSize: 0 bytes/workgroup (compile time only)
; SGPRBlocks: 0
; VGPRBlocks: 0
; NumSGPRsForWavesPerEU: 4
; NumVGPRsForWavesPerEU: 1
; AccumOffset: 4
; Occupancy: 8
; WaveLimiterHint : 0
; COMPUTE_PGM_RSRC2:SCRATCH_EN: 0
; COMPUTE_PGM_RSRC2:USER_SGPR: 6
; COMPUTE_PGM_RSRC2:TRAP_HANDLER: 0
; COMPUTE_PGM_RSRC2:TGID_X_EN: 1
; COMPUTE_PGM_RSRC2:TGID_Y_EN: 0
; COMPUTE_PGM_RSRC2:TGID_Z_EN: 0
; COMPUTE_PGM_RSRC2:TIDIG_COMP_CNT: 0
; COMPUTE_PGM_RSRC3_GFX90A:ACCUM_OFFSET: 0
; COMPUTE_PGM_RSRC3_GFX90A:TG_SPLIT: 0
	.section	.text._ZN7rocprim17ROCPRIM_400000_NS6detail17trampoline_kernelINS0_14default_configENS1_36segmented_radix_sort_config_selectorIblEEZNS1_25segmented_radix_sort_implIS3_Lb0EPKbPbPKlPlN2at6native12_GLOBAL__N_18offset_tEEE10hipError_tPvRmT1_PNSt15iterator_traitsISK_E10value_typeET2_T3_PNSL_ISQ_E10value_typeET4_jRbjT5_SW_jjP12ihipStream_tbEUlT_E2_NS1_11comp_targetILNS1_3genE10ELNS1_11target_archE1200ELNS1_3gpuE4ELNS1_3repE0EEENS1_30default_config_static_selectorELNS0_4arch9wavefront6targetE1EEEvSK_,"axG",@progbits,_ZN7rocprim17ROCPRIM_400000_NS6detail17trampoline_kernelINS0_14default_configENS1_36segmented_radix_sort_config_selectorIblEEZNS1_25segmented_radix_sort_implIS3_Lb0EPKbPbPKlPlN2at6native12_GLOBAL__N_18offset_tEEE10hipError_tPvRmT1_PNSt15iterator_traitsISK_E10value_typeET2_T3_PNSL_ISQ_E10value_typeET4_jRbjT5_SW_jjP12ihipStream_tbEUlT_E2_NS1_11comp_targetILNS1_3genE10ELNS1_11target_archE1200ELNS1_3gpuE4ELNS1_3repE0EEENS1_30default_config_static_selectorELNS0_4arch9wavefront6targetE1EEEvSK_,comdat
	.globl	_ZN7rocprim17ROCPRIM_400000_NS6detail17trampoline_kernelINS0_14default_configENS1_36segmented_radix_sort_config_selectorIblEEZNS1_25segmented_radix_sort_implIS3_Lb0EPKbPbPKlPlN2at6native12_GLOBAL__N_18offset_tEEE10hipError_tPvRmT1_PNSt15iterator_traitsISK_E10value_typeET2_T3_PNSL_ISQ_E10value_typeET4_jRbjT5_SW_jjP12ihipStream_tbEUlT_E2_NS1_11comp_targetILNS1_3genE10ELNS1_11target_archE1200ELNS1_3gpuE4ELNS1_3repE0EEENS1_30default_config_static_selectorELNS0_4arch9wavefront6targetE1EEEvSK_ ; -- Begin function _ZN7rocprim17ROCPRIM_400000_NS6detail17trampoline_kernelINS0_14default_configENS1_36segmented_radix_sort_config_selectorIblEEZNS1_25segmented_radix_sort_implIS3_Lb0EPKbPbPKlPlN2at6native12_GLOBAL__N_18offset_tEEE10hipError_tPvRmT1_PNSt15iterator_traitsISK_E10value_typeET2_T3_PNSL_ISQ_E10value_typeET4_jRbjT5_SW_jjP12ihipStream_tbEUlT_E2_NS1_11comp_targetILNS1_3genE10ELNS1_11target_archE1200ELNS1_3gpuE4ELNS1_3repE0EEENS1_30default_config_static_selectorELNS0_4arch9wavefront6targetE1EEEvSK_
	.p2align	8
	.type	_ZN7rocprim17ROCPRIM_400000_NS6detail17trampoline_kernelINS0_14default_configENS1_36segmented_radix_sort_config_selectorIblEEZNS1_25segmented_radix_sort_implIS3_Lb0EPKbPbPKlPlN2at6native12_GLOBAL__N_18offset_tEEE10hipError_tPvRmT1_PNSt15iterator_traitsISK_E10value_typeET2_T3_PNSL_ISQ_E10value_typeET4_jRbjT5_SW_jjP12ihipStream_tbEUlT_E2_NS1_11comp_targetILNS1_3genE10ELNS1_11target_archE1200ELNS1_3gpuE4ELNS1_3repE0EEENS1_30default_config_static_selectorELNS0_4arch9wavefront6targetE1EEEvSK_,@function
_ZN7rocprim17ROCPRIM_400000_NS6detail17trampoline_kernelINS0_14default_configENS1_36segmented_radix_sort_config_selectorIblEEZNS1_25segmented_radix_sort_implIS3_Lb0EPKbPbPKlPlN2at6native12_GLOBAL__N_18offset_tEEE10hipError_tPvRmT1_PNSt15iterator_traitsISK_E10value_typeET2_T3_PNSL_ISQ_E10value_typeET4_jRbjT5_SW_jjP12ihipStream_tbEUlT_E2_NS1_11comp_targetILNS1_3genE10ELNS1_11target_archE1200ELNS1_3gpuE4ELNS1_3repE0EEENS1_30default_config_static_selectorELNS0_4arch9wavefront6targetE1EEEvSK_: ; @_ZN7rocprim17ROCPRIM_400000_NS6detail17trampoline_kernelINS0_14default_configENS1_36segmented_radix_sort_config_selectorIblEEZNS1_25segmented_radix_sort_implIS3_Lb0EPKbPbPKlPlN2at6native12_GLOBAL__N_18offset_tEEE10hipError_tPvRmT1_PNSt15iterator_traitsISK_E10value_typeET2_T3_PNSL_ISQ_E10value_typeET4_jRbjT5_SW_jjP12ihipStream_tbEUlT_E2_NS1_11comp_targetILNS1_3genE10ELNS1_11target_archE1200ELNS1_3gpuE4ELNS1_3repE0EEENS1_30default_config_static_selectorELNS0_4arch9wavefront6targetE1EEEvSK_
; %bb.0:
	.section	.rodata,"a",@progbits
	.p2align	6, 0x0
	.amdhsa_kernel _ZN7rocprim17ROCPRIM_400000_NS6detail17trampoline_kernelINS0_14default_configENS1_36segmented_radix_sort_config_selectorIblEEZNS1_25segmented_radix_sort_implIS3_Lb0EPKbPbPKlPlN2at6native12_GLOBAL__N_18offset_tEEE10hipError_tPvRmT1_PNSt15iterator_traitsISK_E10value_typeET2_T3_PNSL_ISQ_E10value_typeET4_jRbjT5_SW_jjP12ihipStream_tbEUlT_E2_NS1_11comp_targetILNS1_3genE10ELNS1_11target_archE1200ELNS1_3gpuE4ELNS1_3repE0EEENS1_30default_config_static_selectorELNS0_4arch9wavefront6targetE1EEEvSK_
		.amdhsa_group_segment_fixed_size 0
		.amdhsa_private_segment_fixed_size 0
		.amdhsa_kernarg_size 80
		.amdhsa_user_sgpr_count 6
		.amdhsa_user_sgpr_private_segment_buffer 1
		.amdhsa_user_sgpr_dispatch_ptr 0
		.amdhsa_user_sgpr_queue_ptr 0
		.amdhsa_user_sgpr_kernarg_segment_ptr 1
		.amdhsa_user_sgpr_dispatch_id 0
		.amdhsa_user_sgpr_flat_scratch_init 0
		.amdhsa_user_sgpr_kernarg_preload_length 0
		.amdhsa_user_sgpr_kernarg_preload_offset 0
		.amdhsa_user_sgpr_private_segment_size 0
		.amdhsa_uses_dynamic_stack 0
		.amdhsa_system_sgpr_private_segment_wavefront_offset 0
		.amdhsa_system_sgpr_workgroup_id_x 1
		.amdhsa_system_sgpr_workgroup_id_y 0
		.amdhsa_system_sgpr_workgroup_id_z 0
		.amdhsa_system_sgpr_workgroup_info 0
		.amdhsa_system_vgpr_workitem_id 0
		.amdhsa_next_free_vgpr 1
		.amdhsa_next_free_sgpr 0
		.amdhsa_accum_offset 4
		.amdhsa_reserve_vcc 0
		.amdhsa_reserve_flat_scratch 0
		.amdhsa_float_round_mode_32 0
		.amdhsa_float_round_mode_16_64 0
		.amdhsa_float_denorm_mode_32 3
		.amdhsa_float_denorm_mode_16_64 3
		.amdhsa_dx10_clamp 1
		.amdhsa_ieee_mode 1
		.amdhsa_fp16_overflow 0
		.amdhsa_tg_split 0
		.amdhsa_exception_fp_ieee_invalid_op 0
		.amdhsa_exception_fp_denorm_src 0
		.amdhsa_exception_fp_ieee_div_zero 0
		.amdhsa_exception_fp_ieee_overflow 0
		.amdhsa_exception_fp_ieee_underflow 0
		.amdhsa_exception_fp_ieee_inexact 0
		.amdhsa_exception_int_div_zero 0
	.end_amdhsa_kernel
	.section	.text._ZN7rocprim17ROCPRIM_400000_NS6detail17trampoline_kernelINS0_14default_configENS1_36segmented_radix_sort_config_selectorIblEEZNS1_25segmented_radix_sort_implIS3_Lb0EPKbPbPKlPlN2at6native12_GLOBAL__N_18offset_tEEE10hipError_tPvRmT1_PNSt15iterator_traitsISK_E10value_typeET2_T3_PNSL_ISQ_E10value_typeET4_jRbjT5_SW_jjP12ihipStream_tbEUlT_E2_NS1_11comp_targetILNS1_3genE10ELNS1_11target_archE1200ELNS1_3gpuE4ELNS1_3repE0EEENS1_30default_config_static_selectorELNS0_4arch9wavefront6targetE1EEEvSK_,"axG",@progbits,_ZN7rocprim17ROCPRIM_400000_NS6detail17trampoline_kernelINS0_14default_configENS1_36segmented_radix_sort_config_selectorIblEEZNS1_25segmented_radix_sort_implIS3_Lb0EPKbPbPKlPlN2at6native12_GLOBAL__N_18offset_tEEE10hipError_tPvRmT1_PNSt15iterator_traitsISK_E10value_typeET2_T3_PNSL_ISQ_E10value_typeET4_jRbjT5_SW_jjP12ihipStream_tbEUlT_E2_NS1_11comp_targetILNS1_3genE10ELNS1_11target_archE1200ELNS1_3gpuE4ELNS1_3repE0EEENS1_30default_config_static_selectorELNS0_4arch9wavefront6targetE1EEEvSK_,comdat
.Lfunc_end1669:
	.size	_ZN7rocprim17ROCPRIM_400000_NS6detail17trampoline_kernelINS0_14default_configENS1_36segmented_radix_sort_config_selectorIblEEZNS1_25segmented_radix_sort_implIS3_Lb0EPKbPbPKlPlN2at6native12_GLOBAL__N_18offset_tEEE10hipError_tPvRmT1_PNSt15iterator_traitsISK_E10value_typeET2_T3_PNSL_ISQ_E10value_typeET4_jRbjT5_SW_jjP12ihipStream_tbEUlT_E2_NS1_11comp_targetILNS1_3genE10ELNS1_11target_archE1200ELNS1_3gpuE4ELNS1_3repE0EEENS1_30default_config_static_selectorELNS0_4arch9wavefront6targetE1EEEvSK_, .Lfunc_end1669-_ZN7rocprim17ROCPRIM_400000_NS6detail17trampoline_kernelINS0_14default_configENS1_36segmented_radix_sort_config_selectorIblEEZNS1_25segmented_radix_sort_implIS3_Lb0EPKbPbPKlPlN2at6native12_GLOBAL__N_18offset_tEEE10hipError_tPvRmT1_PNSt15iterator_traitsISK_E10value_typeET2_T3_PNSL_ISQ_E10value_typeET4_jRbjT5_SW_jjP12ihipStream_tbEUlT_E2_NS1_11comp_targetILNS1_3genE10ELNS1_11target_archE1200ELNS1_3gpuE4ELNS1_3repE0EEENS1_30default_config_static_selectorELNS0_4arch9wavefront6targetE1EEEvSK_
                                        ; -- End function
	.section	.AMDGPU.csdata,"",@progbits
; Kernel info:
; codeLenInByte = 0
; NumSgprs: 4
; NumVgprs: 0
; NumAgprs: 0
; TotalNumVgprs: 0
; ScratchSize: 0
; MemoryBound: 0
; FloatMode: 240
; IeeeMode: 1
; LDSByteSize: 0 bytes/workgroup (compile time only)
; SGPRBlocks: 0
; VGPRBlocks: 0
; NumSGPRsForWavesPerEU: 4
; NumVGPRsForWavesPerEU: 1
; AccumOffset: 4
; Occupancy: 8
; WaveLimiterHint : 0
; COMPUTE_PGM_RSRC2:SCRATCH_EN: 0
; COMPUTE_PGM_RSRC2:USER_SGPR: 6
; COMPUTE_PGM_RSRC2:TRAP_HANDLER: 0
; COMPUTE_PGM_RSRC2:TGID_X_EN: 1
; COMPUTE_PGM_RSRC2:TGID_Y_EN: 0
; COMPUTE_PGM_RSRC2:TGID_Z_EN: 0
; COMPUTE_PGM_RSRC2:TIDIG_COMP_CNT: 0
; COMPUTE_PGM_RSRC3_GFX90A:ACCUM_OFFSET: 0
; COMPUTE_PGM_RSRC3_GFX90A:TG_SPLIT: 0
	.section	.text._ZN7rocprim17ROCPRIM_400000_NS6detail17trampoline_kernelINS0_14default_configENS1_36segmented_radix_sort_config_selectorIblEEZNS1_25segmented_radix_sort_implIS3_Lb0EPKbPbPKlPlN2at6native12_GLOBAL__N_18offset_tEEE10hipError_tPvRmT1_PNSt15iterator_traitsISK_E10value_typeET2_T3_PNSL_ISQ_E10value_typeET4_jRbjT5_SW_jjP12ihipStream_tbEUlT_E2_NS1_11comp_targetILNS1_3genE9ELNS1_11target_archE1100ELNS1_3gpuE3ELNS1_3repE0EEENS1_30default_config_static_selectorELNS0_4arch9wavefront6targetE1EEEvSK_,"axG",@progbits,_ZN7rocprim17ROCPRIM_400000_NS6detail17trampoline_kernelINS0_14default_configENS1_36segmented_radix_sort_config_selectorIblEEZNS1_25segmented_radix_sort_implIS3_Lb0EPKbPbPKlPlN2at6native12_GLOBAL__N_18offset_tEEE10hipError_tPvRmT1_PNSt15iterator_traitsISK_E10value_typeET2_T3_PNSL_ISQ_E10value_typeET4_jRbjT5_SW_jjP12ihipStream_tbEUlT_E2_NS1_11comp_targetILNS1_3genE9ELNS1_11target_archE1100ELNS1_3gpuE3ELNS1_3repE0EEENS1_30default_config_static_selectorELNS0_4arch9wavefront6targetE1EEEvSK_,comdat
	.globl	_ZN7rocprim17ROCPRIM_400000_NS6detail17trampoline_kernelINS0_14default_configENS1_36segmented_radix_sort_config_selectorIblEEZNS1_25segmented_radix_sort_implIS3_Lb0EPKbPbPKlPlN2at6native12_GLOBAL__N_18offset_tEEE10hipError_tPvRmT1_PNSt15iterator_traitsISK_E10value_typeET2_T3_PNSL_ISQ_E10value_typeET4_jRbjT5_SW_jjP12ihipStream_tbEUlT_E2_NS1_11comp_targetILNS1_3genE9ELNS1_11target_archE1100ELNS1_3gpuE3ELNS1_3repE0EEENS1_30default_config_static_selectorELNS0_4arch9wavefront6targetE1EEEvSK_ ; -- Begin function _ZN7rocprim17ROCPRIM_400000_NS6detail17trampoline_kernelINS0_14default_configENS1_36segmented_radix_sort_config_selectorIblEEZNS1_25segmented_radix_sort_implIS3_Lb0EPKbPbPKlPlN2at6native12_GLOBAL__N_18offset_tEEE10hipError_tPvRmT1_PNSt15iterator_traitsISK_E10value_typeET2_T3_PNSL_ISQ_E10value_typeET4_jRbjT5_SW_jjP12ihipStream_tbEUlT_E2_NS1_11comp_targetILNS1_3genE9ELNS1_11target_archE1100ELNS1_3gpuE3ELNS1_3repE0EEENS1_30default_config_static_selectorELNS0_4arch9wavefront6targetE1EEEvSK_
	.p2align	8
	.type	_ZN7rocprim17ROCPRIM_400000_NS6detail17trampoline_kernelINS0_14default_configENS1_36segmented_radix_sort_config_selectorIblEEZNS1_25segmented_radix_sort_implIS3_Lb0EPKbPbPKlPlN2at6native12_GLOBAL__N_18offset_tEEE10hipError_tPvRmT1_PNSt15iterator_traitsISK_E10value_typeET2_T3_PNSL_ISQ_E10value_typeET4_jRbjT5_SW_jjP12ihipStream_tbEUlT_E2_NS1_11comp_targetILNS1_3genE9ELNS1_11target_archE1100ELNS1_3gpuE3ELNS1_3repE0EEENS1_30default_config_static_selectorELNS0_4arch9wavefront6targetE1EEEvSK_,@function
_ZN7rocprim17ROCPRIM_400000_NS6detail17trampoline_kernelINS0_14default_configENS1_36segmented_radix_sort_config_selectorIblEEZNS1_25segmented_radix_sort_implIS3_Lb0EPKbPbPKlPlN2at6native12_GLOBAL__N_18offset_tEEE10hipError_tPvRmT1_PNSt15iterator_traitsISK_E10value_typeET2_T3_PNSL_ISQ_E10value_typeET4_jRbjT5_SW_jjP12ihipStream_tbEUlT_E2_NS1_11comp_targetILNS1_3genE9ELNS1_11target_archE1100ELNS1_3gpuE3ELNS1_3repE0EEENS1_30default_config_static_selectorELNS0_4arch9wavefront6targetE1EEEvSK_: ; @_ZN7rocprim17ROCPRIM_400000_NS6detail17trampoline_kernelINS0_14default_configENS1_36segmented_radix_sort_config_selectorIblEEZNS1_25segmented_radix_sort_implIS3_Lb0EPKbPbPKlPlN2at6native12_GLOBAL__N_18offset_tEEE10hipError_tPvRmT1_PNSt15iterator_traitsISK_E10value_typeET2_T3_PNSL_ISQ_E10value_typeET4_jRbjT5_SW_jjP12ihipStream_tbEUlT_E2_NS1_11comp_targetILNS1_3genE9ELNS1_11target_archE1100ELNS1_3gpuE3ELNS1_3repE0EEENS1_30default_config_static_selectorELNS0_4arch9wavefront6targetE1EEEvSK_
; %bb.0:
	.section	.rodata,"a",@progbits
	.p2align	6, 0x0
	.amdhsa_kernel _ZN7rocprim17ROCPRIM_400000_NS6detail17trampoline_kernelINS0_14default_configENS1_36segmented_radix_sort_config_selectorIblEEZNS1_25segmented_radix_sort_implIS3_Lb0EPKbPbPKlPlN2at6native12_GLOBAL__N_18offset_tEEE10hipError_tPvRmT1_PNSt15iterator_traitsISK_E10value_typeET2_T3_PNSL_ISQ_E10value_typeET4_jRbjT5_SW_jjP12ihipStream_tbEUlT_E2_NS1_11comp_targetILNS1_3genE9ELNS1_11target_archE1100ELNS1_3gpuE3ELNS1_3repE0EEENS1_30default_config_static_selectorELNS0_4arch9wavefront6targetE1EEEvSK_
		.amdhsa_group_segment_fixed_size 0
		.amdhsa_private_segment_fixed_size 0
		.amdhsa_kernarg_size 80
		.amdhsa_user_sgpr_count 6
		.amdhsa_user_sgpr_private_segment_buffer 1
		.amdhsa_user_sgpr_dispatch_ptr 0
		.amdhsa_user_sgpr_queue_ptr 0
		.amdhsa_user_sgpr_kernarg_segment_ptr 1
		.amdhsa_user_sgpr_dispatch_id 0
		.amdhsa_user_sgpr_flat_scratch_init 0
		.amdhsa_user_sgpr_kernarg_preload_length 0
		.amdhsa_user_sgpr_kernarg_preload_offset 0
		.amdhsa_user_sgpr_private_segment_size 0
		.amdhsa_uses_dynamic_stack 0
		.amdhsa_system_sgpr_private_segment_wavefront_offset 0
		.amdhsa_system_sgpr_workgroup_id_x 1
		.amdhsa_system_sgpr_workgroup_id_y 0
		.amdhsa_system_sgpr_workgroup_id_z 0
		.amdhsa_system_sgpr_workgroup_info 0
		.amdhsa_system_vgpr_workitem_id 0
		.amdhsa_next_free_vgpr 1
		.amdhsa_next_free_sgpr 0
		.amdhsa_accum_offset 4
		.amdhsa_reserve_vcc 0
		.amdhsa_reserve_flat_scratch 0
		.amdhsa_float_round_mode_32 0
		.amdhsa_float_round_mode_16_64 0
		.amdhsa_float_denorm_mode_32 3
		.amdhsa_float_denorm_mode_16_64 3
		.amdhsa_dx10_clamp 1
		.amdhsa_ieee_mode 1
		.amdhsa_fp16_overflow 0
		.amdhsa_tg_split 0
		.amdhsa_exception_fp_ieee_invalid_op 0
		.amdhsa_exception_fp_denorm_src 0
		.amdhsa_exception_fp_ieee_div_zero 0
		.amdhsa_exception_fp_ieee_overflow 0
		.amdhsa_exception_fp_ieee_underflow 0
		.amdhsa_exception_fp_ieee_inexact 0
		.amdhsa_exception_int_div_zero 0
	.end_amdhsa_kernel
	.section	.text._ZN7rocprim17ROCPRIM_400000_NS6detail17trampoline_kernelINS0_14default_configENS1_36segmented_radix_sort_config_selectorIblEEZNS1_25segmented_radix_sort_implIS3_Lb0EPKbPbPKlPlN2at6native12_GLOBAL__N_18offset_tEEE10hipError_tPvRmT1_PNSt15iterator_traitsISK_E10value_typeET2_T3_PNSL_ISQ_E10value_typeET4_jRbjT5_SW_jjP12ihipStream_tbEUlT_E2_NS1_11comp_targetILNS1_3genE9ELNS1_11target_archE1100ELNS1_3gpuE3ELNS1_3repE0EEENS1_30default_config_static_selectorELNS0_4arch9wavefront6targetE1EEEvSK_,"axG",@progbits,_ZN7rocprim17ROCPRIM_400000_NS6detail17trampoline_kernelINS0_14default_configENS1_36segmented_radix_sort_config_selectorIblEEZNS1_25segmented_radix_sort_implIS3_Lb0EPKbPbPKlPlN2at6native12_GLOBAL__N_18offset_tEEE10hipError_tPvRmT1_PNSt15iterator_traitsISK_E10value_typeET2_T3_PNSL_ISQ_E10value_typeET4_jRbjT5_SW_jjP12ihipStream_tbEUlT_E2_NS1_11comp_targetILNS1_3genE9ELNS1_11target_archE1100ELNS1_3gpuE3ELNS1_3repE0EEENS1_30default_config_static_selectorELNS0_4arch9wavefront6targetE1EEEvSK_,comdat
.Lfunc_end1670:
	.size	_ZN7rocprim17ROCPRIM_400000_NS6detail17trampoline_kernelINS0_14default_configENS1_36segmented_radix_sort_config_selectorIblEEZNS1_25segmented_radix_sort_implIS3_Lb0EPKbPbPKlPlN2at6native12_GLOBAL__N_18offset_tEEE10hipError_tPvRmT1_PNSt15iterator_traitsISK_E10value_typeET2_T3_PNSL_ISQ_E10value_typeET4_jRbjT5_SW_jjP12ihipStream_tbEUlT_E2_NS1_11comp_targetILNS1_3genE9ELNS1_11target_archE1100ELNS1_3gpuE3ELNS1_3repE0EEENS1_30default_config_static_selectorELNS0_4arch9wavefront6targetE1EEEvSK_, .Lfunc_end1670-_ZN7rocprim17ROCPRIM_400000_NS6detail17trampoline_kernelINS0_14default_configENS1_36segmented_radix_sort_config_selectorIblEEZNS1_25segmented_radix_sort_implIS3_Lb0EPKbPbPKlPlN2at6native12_GLOBAL__N_18offset_tEEE10hipError_tPvRmT1_PNSt15iterator_traitsISK_E10value_typeET2_T3_PNSL_ISQ_E10value_typeET4_jRbjT5_SW_jjP12ihipStream_tbEUlT_E2_NS1_11comp_targetILNS1_3genE9ELNS1_11target_archE1100ELNS1_3gpuE3ELNS1_3repE0EEENS1_30default_config_static_selectorELNS0_4arch9wavefront6targetE1EEEvSK_
                                        ; -- End function
	.section	.AMDGPU.csdata,"",@progbits
; Kernel info:
; codeLenInByte = 0
; NumSgprs: 4
; NumVgprs: 0
; NumAgprs: 0
; TotalNumVgprs: 0
; ScratchSize: 0
; MemoryBound: 0
; FloatMode: 240
; IeeeMode: 1
; LDSByteSize: 0 bytes/workgroup (compile time only)
; SGPRBlocks: 0
; VGPRBlocks: 0
; NumSGPRsForWavesPerEU: 4
; NumVGPRsForWavesPerEU: 1
; AccumOffset: 4
; Occupancy: 8
; WaveLimiterHint : 0
; COMPUTE_PGM_RSRC2:SCRATCH_EN: 0
; COMPUTE_PGM_RSRC2:USER_SGPR: 6
; COMPUTE_PGM_RSRC2:TRAP_HANDLER: 0
; COMPUTE_PGM_RSRC2:TGID_X_EN: 1
; COMPUTE_PGM_RSRC2:TGID_Y_EN: 0
; COMPUTE_PGM_RSRC2:TGID_Z_EN: 0
; COMPUTE_PGM_RSRC2:TIDIG_COMP_CNT: 0
; COMPUTE_PGM_RSRC3_GFX90A:ACCUM_OFFSET: 0
; COMPUTE_PGM_RSRC3_GFX90A:TG_SPLIT: 0
	.section	.text._ZN7rocprim17ROCPRIM_400000_NS6detail17trampoline_kernelINS0_14default_configENS1_36segmented_radix_sort_config_selectorIblEEZNS1_25segmented_radix_sort_implIS3_Lb0EPKbPbPKlPlN2at6native12_GLOBAL__N_18offset_tEEE10hipError_tPvRmT1_PNSt15iterator_traitsISK_E10value_typeET2_T3_PNSL_ISQ_E10value_typeET4_jRbjT5_SW_jjP12ihipStream_tbEUlT_E2_NS1_11comp_targetILNS1_3genE8ELNS1_11target_archE1030ELNS1_3gpuE2ELNS1_3repE0EEENS1_30default_config_static_selectorELNS0_4arch9wavefront6targetE1EEEvSK_,"axG",@progbits,_ZN7rocprim17ROCPRIM_400000_NS6detail17trampoline_kernelINS0_14default_configENS1_36segmented_radix_sort_config_selectorIblEEZNS1_25segmented_radix_sort_implIS3_Lb0EPKbPbPKlPlN2at6native12_GLOBAL__N_18offset_tEEE10hipError_tPvRmT1_PNSt15iterator_traitsISK_E10value_typeET2_T3_PNSL_ISQ_E10value_typeET4_jRbjT5_SW_jjP12ihipStream_tbEUlT_E2_NS1_11comp_targetILNS1_3genE8ELNS1_11target_archE1030ELNS1_3gpuE2ELNS1_3repE0EEENS1_30default_config_static_selectorELNS0_4arch9wavefront6targetE1EEEvSK_,comdat
	.globl	_ZN7rocprim17ROCPRIM_400000_NS6detail17trampoline_kernelINS0_14default_configENS1_36segmented_radix_sort_config_selectorIblEEZNS1_25segmented_radix_sort_implIS3_Lb0EPKbPbPKlPlN2at6native12_GLOBAL__N_18offset_tEEE10hipError_tPvRmT1_PNSt15iterator_traitsISK_E10value_typeET2_T3_PNSL_ISQ_E10value_typeET4_jRbjT5_SW_jjP12ihipStream_tbEUlT_E2_NS1_11comp_targetILNS1_3genE8ELNS1_11target_archE1030ELNS1_3gpuE2ELNS1_3repE0EEENS1_30default_config_static_selectorELNS0_4arch9wavefront6targetE1EEEvSK_ ; -- Begin function _ZN7rocprim17ROCPRIM_400000_NS6detail17trampoline_kernelINS0_14default_configENS1_36segmented_radix_sort_config_selectorIblEEZNS1_25segmented_radix_sort_implIS3_Lb0EPKbPbPKlPlN2at6native12_GLOBAL__N_18offset_tEEE10hipError_tPvRmT1_PNSt15iterator_traitsISK_E10value_typeET2_T3_PNSL_ISQ_E10value_typeET4_jRbjT5_SW_jjP12ihipStream_tbEUlT_E2_NS1_11comp_targetILNS1_3genE8ELNS1_11target_archE1030ELNS1_3gpuE2ELNS1_3repE0EEENS1_30default_config_static_selectorELNS0_4arch9wavefront6targetE1EEEvSK_
	.p2align	8
	.type	_ZN7rocprim17ROCPRIM_400000_NS6detail17trampoline_kernelINS0_14default_configENS1_36segmented_radix_sort_config_selectorIblEEZNS1_25segmented_radix_sort_implIS3_Lb0EPKbPbPKlPlN2at6native12_GLOBAL__N_18offset_tEEE10hipError_tPvRmT1_PNSt15iterator_traitsISK_E10value_typeET2_T3_PNSL_ISQ_E10value_typeET4_jRbjT5_SW_jjP12ihipStream_tbEUlT_E2_NS1_11comp_targetILNS1_3genE8ELNS1_11target_archE1030ELNS1_3gpuE2ELNS1_3repE0EEENS1_30default_config_static_selectorELNS0_4arch9wavefront6targetE1EEEvSK_,@function
_ZN7rocprim17ROCPRIM_400000_NS6detail17trampoline_kernelINS0_14default_configENS1_36segmented_radix_sort_config_selectorIblEEZNS1_25segmented_radix_sort_implIS3_Lb0EPKbPbPKlPlN2at6native12_GLOBAL__N_18offset_tEEE10hipError_tPvRmT1_PNSt15iterator_traitsISK_E10value_typeET2_T3_PNSL_ISQ_E10value_typeET4_jRbjT5_SW_jjP12ihipStream_tbEUlT_E2_NS1_11comp_targetILNS1_3genE8ELNS1_11target_archE1030ELNS1_3gpuE2ELNS1_3repE0EEENS1_30default_config_static_selectorELNS0_4arch9wavefront6targetE1EEEvSK_: ; @_ZN7rocprim17ROCPRIM_400000_NS6detail17trampoline_kernelINS0_14default_configENS1_36segmented_radix_sort_config_selectorIblEEZNS1_25segmented_radix_sort_implIS3_Lb0EPKbPbPKlPlN2at6native12_GLOBAL__N_18offset_tEEE10hipError_tPvRmT1_PNSt15iterator_traitsISK_E10value_typeET2_T3_PNSL_ISQ_E10value_typeET4_jRbjT5_SW_jjP12ihipStream_tbEUlT_E2_NS1_11comp_targetILNS1_3genE8ELNS1_11target_archE1030ELNS1_3gpuE2ELNS1_3repE0EEENS1_30default_config_static_selectorELNS0_4arch9wavefront6targetE1EEEvSK_
; %bb.0:
	.section	.rodata,"a",@progbits
	.p2align	6, 0x0
	.amdhsa_kernel _ZN7rocprim17ROCPRIM_400000_NS6detail17trampoline_kernelINS0_14default_configENS1_36segmented_radix_sort_config_selectorIblEEZNS1_25segmented_radix_sort_implIS3_Lb0EPKbPbPKlPlN2at6native12_GLOBAL__N_18offset_tEEE10hipError_tPvRmT1_PNSt15iterator_traitsISK_E10value_typeET2_T3_PNSL_ISQ_E10value_typeET4_jRbjT5_SW_jjP12ihipStream_tbEUlT_E2_NS1_11comp_targetILNS1_3genE8ELNS1_11target_archE1030ELNS1_3gpuE2ELNS1_3repE0EEENS1_30default_config_static_selectorELNS0_4arch9wavefront6targetE1EEEvSK_
		.amdhsa_group_segment_fixed_size 0
		.amdhsa_private_segment_fixed_size 0
		.amdhsa_kernarg_size 80
		.amdhsa_user_sgpr_count 6
		.amdhsa_user_sgpr_private_segment_buffer 1
		.amdhsa_user_sgpr_dispatch_ptr 0
		.amdhsa_user_sgpr_queue_ptr 0
		.amdhsa_user_sgpr_kernarg_segment_ptr 1
		.amdhsa_user_sgpr_dispatch_id 0
		.amdhsa_user_sgpr_flat_scratch_init 0
		.amdhsa_user_sgpr_kernarg_preload_length 0
		.amdhsa_user_sgpr_kernarg_preload_offset 0
		.amdhsa_user_sgpr_private_segment_size 0
		.amdhsa_uses_dynamic_stack 0
		.amdhsa_system_sgpr_private_segment_wavefront_offset 0
		.amdhsa_system_sgpr_workgroup_id_x 1
		.amdhsa_system_sgpr_workgroup_id_y 0
		.amdhsa_system_sgpr_workgroup_id_z 0
		.amdhsa_system_sgpr_workgroup_info 0
		.amdhsa_system_vgpr_workitem_id 0
		.amdhsa_next_free_vgpr 1
		.amdhsa_next_free_sgpr 0
		.amdhsa_accum_offset 4
		.amdhsa_reserve_vcc 0
		.amdhsa_reserve_flat_scratch 0
		.amdhsa_float_round_mode_32 0
		.amdhsa_float_round_mode_16_64 0
		.amdhsa_float_denorm_mode_32 3
		.amdhsa_float_denorm_mode_16_64 3
		.amdhsa_dx10_clamp 1
		.amdhsa_ieee_mode 1
		.amdhsa_fp16_overflow 0
		.amdhsa_tg_split 0
		.amdhsa_exception_fp_ieee_invalid_op 0
		.amdhsa_exception_fp_denorm_src 0
		.amdhsa_exception_fp_ieee_div_zero 0
		.amdhsa_exception_fp_ieee_overflow 0
		.amdhsa_exception_fp_ieee_underflow 0
		.amdhsa_exception_fp_ieee_inexact 0
		.amdhsa_exception_int_div_zero 0
	.end_amdhsa_kernel
	.section	.text._ZN7rocprim17ROCPRIM_400000_NS6detail17trampoline_kernelINS0_14default_configENS1_36segmented_radix_sort_config_selectorIblEEZNS1_25segmented_radix_sort_implIS3_Lb0EPKbPbPKlPlN2at6native12_GLOBAL__N_18offset_tEEE10hipError_tPvRmT1_PNSt15iterator_traitsISK_E10value_typeET2_T3_PNSL_ISQ_E10value_typeET4_jRbjT5_SW_jjP12ihipStream_tbEUlT_E2_NS1_11comp_targetILNS1_3genE8ELNS1_11target_archE1030ELNS1_3gpuE2ELNS1_3repE0EEENS1_30default_config_static_selectorELNS0_4arch9wavefront6targetE1EEEvSK_,"axG",@progbits,_ZN7rocprim17ROCPRIM_400000_NS6detail17trampoline_kernelINS0_14default_configENS1_36segmented_radix_sort_config_selectorIblEEZNS1_25segmented_radix_sort_implIS3_Lb0EPKbPbPKlPlN2at6native12_GLOBAL__N_18offset_tEEE10hipError_tPvRmT1_PNSt15iterator_traitsISK_E10value_typeET2_T3_PNSL_ISQ_E10value_typeET4_jRbjT5_SW_jjP12ihipStream_tbEUlT_E2_NS1_11comp_targetILNS1_3genE8ELNS1_11target_archE1030ELNS1_3gpuE2ELNS1_3repE0EEENS1_30default_config_static_selectorELNS0_4arch9wavefront6targetE1EEEvSK_,comdat
.Lfunc_end1671:
	.size	_ZN7rocprim17ROCPRIM_400000_NS6detail17trampoline_kernelINS0_14default_configENS1_36segmented_radix_sort_config_selectorIblEEZNS1_25segmented_radix_sort_implIS3_Lb0EPKbPbPKlPlN2at6native12_GLOBAL__N_18offset_tEEE10hipError_tPvRmT1_PNSt15iterator_traitsISK_E10value_typeET2_T3_PNSL_ISQ_E10value_typeET4_jRbjT5_SW_jjP12ihipStream_tbEUlT_E2_NS1_11comp_targetILNS1_3genE8ELNS1_11target_archE1030ELNS1_3gpuE2ELNS1_3repE0EEENS1_30default_config_static_selectorELNS0_4arch9wavefront6targetE1EEEvSK_, .Lfunc_end1671-_ZN7rocprim17ROCPRIM_400000_NS6detail17trampoline_kernelINS0_14default_configENS1_36segmented_radix_sort_config_selectorIblEEZNS1_25segmented_radix_sort_implIS3_Lb0EPKbPbPKlPlN2at6native12_GLOBAL__N_18offset_tEEE10hipError_tPvRmT1_PNSt15iterator_traitsISK_E10value_typeET2_T3_PNSL_ISQ_E10value_typeET4_jRbjT5_SW_jjP12ihipStream_tbEUlT_E2_NS1_11comp_targetILNS1_3genE8ELNS1_11target_archE1030ELNS1_3gpuE2ELNS1_3repE0EEENS1_30default_config_static_selectorELNS0_4arch9wavefront6targetE1EEEvSK_
                                        ; -- End function
	.section	.AMDGPU.csdata,"",@progbits
; Kernel info:
; codeLenInByte = 0
; NumSgprs: 4
; NumVgprs: 0
; NumAgprs: 0
; TotalNumVgprs: 0
; ScratchSize: 0
; MemoryBound: 0
; FloatMode: 240
; IeeeMode: 1
; LDSByteSize: 0 bytes/workgroup (compile time only)
; SGPRBlocks: 0
; VGPRBlocks: 0
; NumSGPRsForWavesPerEU: 4
; NumVGPRsForWavesPerEU: 1
; AccumOffset: 4
; Occupancy: 8
; WaveLimiterHint : 0
; COMPUTE_PGM_RSRC2:SCRATCH_EN: 0
; COMPUTE_PGM_RSRC2:USER_SGPR: 6
; COMPUTE_PGM_RSRC2:TRAP_HANDLER: 0
; COMPUTE_PGM_RSRC2:TGID_X_EN: 1
; COMPUTE_PGM_RSRC2:TGID_Y_EN: 0
; COMPUTE_PGM_RSRC2:TGID_Z_EN: 0
; COMPUTE_PGM_RSRC2:TIDIG_COMP_CNT: 0
; COMPUTE_PGM_RSRC3_GFX90A:ACCUM_OFFSET: 0
; COMPUTE_PGM_RSRC3_GFX90A:TG_SPLIT: 0
	.section	.text._ZN2at6native12_GLOBAL__N_123sort_postprocess_kernelIN3c104HalfEEEvPKT_PS5_PlPK15HIP_vector_typeIiLj2EEii,"axG",@progbits,_ZN2at6native12_GLOBAL__N_123sort_postprocess_kernelIN3c104HalfEEEvPKT_PS5_PlPK15HIP_vector_typeIiLj2EEii,comdat
	.globl	_ZN2at6native12_GLOBAL__N_123sort_postprocess_kernelIN3c104HalfEEEvPKT_PS5_PlPK15HIP_vector_typeIiLj2EEii ; -- Begin function _ZN2at6native12_GLOBAL__N_123sort_postprocess_kernelIN3c104HalfEEEvPKT_PS5_PlPK15HIP_vector_typeIiLj2EEii
	.p2align	8
	.type	_ZN2at6native12_GLOBAL__N_123sort_postprocess_kernelIN3c104HalfEEEvPKT_PS5_PlPK15HIP_vector_typeIiLj2EEii,@function
_ZN2at6native12_GLOBAL__N_123sort_postprocess_kernelIN3c104HalfEEEvPKT_PS5_PlPK15HIP_vector_typeIiLj2EEii: ; @_ZN2at6native12_GLOBAL__N_123sort_postprocess_kernelIN3c104HalfEEEvPKT_PS5_PlPK15HIP_vector_typeIiLj2EEii
; %bb.0:
	s_load_dword s0, s[4:5], 0x34
	s_load_dwordx2 s[8:9], s[4:5], 0x20
	s_add_u32 s2, s4, 40
	s_addc_u32 s3, s5, 0
	v_mov_b32_e32 v1, 0
	s_waitcnt lgkmcnt(0)
	s_and_b32 s7, s0, 0xffff
	v_mov_b32_e32 v2, s6
	v_mad_u64_u32 v[0:1], s[0:1], s7, v2, v[0:1]
	s_mul_i32 s0, s9, s8
	s_ashr_i32 s1, s0, 31
	v_cmp_gt_i64_e32 vcc, s[0:1], v[0:1]
	s_and_saveexec_b64 s[10:11], vcc
	s_cbranch_execz .LBB1672_3
; %bb.1:
	s_abs_i32 s6, s9
	v_cvt_f32_u32_e32 v2, s6
	s_load_dwordx8 s[8:15], s[4:5], 0x0
	s_load_dword s16, s[2:3], 0x0
	s_sub_i32 s17, 0, s6
	s_mov_b32 s5, 0
	v_rcp_iflag_f32_e32 v2, v2
	s_mov_b64 s[2:3], 0
	s_waitcnt lgkmcnt(0)
	s_mul_i32 s4, s16, s7
	v_mov_b32_e32 v3, s11
	v_mul_f32_e32 v2, 0x4f7ffffe, v2
	v_cvt_u32_f32_e32 v5, v2
	v_mov_b32_e32 v2, s9
	v_mov_b32_e32 v4, s13
	v_mov_b32_e32 v7, s5
	v_mul_lo_u32 v6, s17, v5
	v_mul_hi_u32 v6, v5, v6
	v_add_u32_e32 v5, v5, v6
	v_mov_b32_e32 v6, s15
.LBB1672_2:                             ; =>This Inner Loop Header: Depth=1
	v_sub_u32_e32 v9, 0, v0
	v_max_i32_e32 v9, v0, v9
	v_mul_hi_u32 v11, v9, v5
	v_mul_lo_u32 v11, v11, s6
	v_sub_u32_e32 v9, v9, v11
	v_subrev_u32_e32 v11, s6, v9
	v_cmp_le_u32_e32 vcc, s6, v9
	v_cndmask_b32_e32 v9, v9, v11, vcc
	v_subrev_u32_e32 v11, s6, v9
	v_cmp_le_u32_e32 vcc, s6, v9
	v_ashrrev_i32_e32 v8, 31, v0
	v_cndmask_b32_e32 v9, v9, v11, vcc
	v_add_u32_e32 v10, v0, v8
	v_xor_b32_e32 v9, v9, v8
	v_sub_u32_e32 v10, v10, v9
	v_ashrrev_i32_e32 v11, 31, v10
	v_sub_u32_e32 v8, v9, v8
	v_lshlrev_b64 v[12:13], 3, v[10:11]
	v_ashrrev_i32_e32 v9, 31, v8
	v_add_co_u32_e32 v16, vcc, s14, v12
	v_lshlrev_b64 v[14:15], 3, v[8:9]
	v_addc_co_u32_e32 v17, vcc, v6, v13, vcc
	v_add_co_u32_e32 v16, vcc, v16, v14
	v_addc_co_u32_e32 v17, vcc, v17, v15, vcc
	global_load_dword v16, v[16:17], off offset:4
	v_lshlrev_b64 v[10:11], 1, v[10:11]
	v_add_co_u32_e32 v20, vcc, s8, v10
	v_addc_co_u32_e32 v21, vcc, v2, v11, vcc
	v_lshlrev_b64 v[8:9], 1, v[8:9]
	s_waitcnt vmcnt(0)
	v_ashrrev_i32_e32 v17, 31, v16
	v_lshlrev_b64 v[18:19], 1, v[16:17]
	v_add_co_u32_e32 v18, vcc, v20, v18
	v_addc_co_u32_e32 v19, vcc, v21, v19, vcc
	global_load_ushort v18, v[18:19], off
	v_add_co_u32_e32 v0, vcc, s4, v0
	v_addc_co_u32_e32 v1, vcc, v1, v7, vcc
	v_cmp_le_i64_e32 vcc, s[0:1], v[0:1]
	s_or_b64 s[2:3], vcc, s[2:3]
	v_add_co_u32_e32 v19, vcc, s10, v10
	v_addc_co_u32_e32 v20, vcc, v3, v11, vcc
	v_add_co_u32_e32 v10, vcc, s12, v12
	v_addc_co_u32_e32 v11, vcc, v4, v13, vcc
	;; [unrolled: 2-line block ×4, first 2 shown]
	global_store_dwordx2 v[10:11], v[16:17], off
	s_waitcnt vmcnt(1)
	global_store_short v[8:9], v18, off
	s_andn2_b64 exec, exec, s[2:3]
	s_cbranch_execnz .LBB1672_2
.LBB1672_3:
	s_endpgm
	.section	.rodata,"a",@progbits
	.p2align	6, 0x0
	.amdhsa_kernel _ZN2at6native12_GLOBAL__N_123sort_postprocess_kernelIN3c104HalfEEEvPKT_PS5_PlPK15HIP_vector_typeIiLj2EEii
		.amdhsa_group_segment_fixed_size 0
		.amdhsa_private_segment_fixed_size 0
		.amdhsa_kernarg_size 296
		.amdhsa_user_sgpr_count 6
		.amdhsa_user_sgpr_private_segment_buffer 1
		.amdhsa_user_sgpr_dispatch_ptr 0
		.amdhsa_user_sgpr_queue_ptr 0
		.amdhsa_user_sgpr_kernarg_segment_ptr 1
		.amdhsa_user_sgpr_dispatch_id 0
		.amdhsa_user_sgpr_flat_scratch_init 0
		.amdhsa_user_sgpr_kernarg_preload_length 0
		.amdhsa_user_sgpr_kernarg_preload_offset 0
		.amdhsa_user_sgpr_private_segment_size 0
		.amdhsa_uses_dynamic_stack 0
		.amdhsa_system_sgpr_private_segment_wavefront_offset 0
		.amdhsa_system_sgpr_workgroup_id_x 1
		.amdhsa_system_sgpr_workgroup_id_y 0
		.amdhsa_system_sgpr_workgroup_id_z 0
		.amdhsa_system_sgpr_workgroup_info 0
		.amdhsa_system_vgpr_workitem_id 0
		.amdhsa_next_free_vgpr 22
		.amdhsa_next_free_sgpr 18
		.amdhsa_accum_offset 24
		.amdhsa_reserve_vcc 1
		.amdhsa_reserve_flat_scratch 0
		.amdhsa_float_round_mode_32 0
		.amdhsa_float_round_mode_16_64 0
		.amdhsa_float_denorm_mode_32 3
		.amdhsa_float_denorm_mode_16_64 3
		.amdhsa_dx10_clamp 1
		.amdhsa_ieee_mode 1
		.amdhsa_fp16_overflow 0
		.amdhsa_tg_split 0
		.amdhsa_exception_fp_ieee_invalid_op 0
		.amdhsa_exception_fp_denorm_src 0
		.amdhsa_exception_fp_ieee_div_zero 0
		.amdhsa_exception_fp_ieee_overflow 0
		.amdhsa_exception_fp_ieee_underflow 0
		.amdhsa_exception_fp_ieee_inexact 0
		.amdhsa_exception_int_div_zero 0
	.end_amdhsa_kernel
	.section	.text._ZN2at6native12_GLOBAL__N_123sort_postprocess_kernelIN3c104HalfEEEvPKT_PS5_PlPK15HIP_vector_typeIiLj2EEii,"axG",@progbits,_ZN2at6native12_GLOBAL__N_123sort_postprocess_kernelIN3c104HalfEEEvPKT_PS5_PlPK15HIP_vector_typeIiLj2EEii,comdat
.Lfunc_end1672:
	.size	_ZN2at6native12_GLOBAL__N_123sort_postprocess_kernelIN3c104HalfEEEvPKT_PS5_PlPK15HIP_vector_typeIiLj2EEii, .Lfunc_end1672-_ZN2at6native12_GLOBAL__N_123sort_postprocess_kernelIN3c104HalfEEEvPKT_PS5_PlPK15HIP_vector_typeIiLj2EEii
                                        ; -- End function
	.section	.AMDGPU.csdata,"",@progbits
; Kernel info:
; codeLenInByte = 428
; NumSgprs: 22
; NumVgprs: 22
; NumAgprs: 0
; TotalNumVgprs: 22
; ScratchSize: 0
; MemoryBound: 0
; FloatMode: 240
; IeeeMode: 1
; LDSByteSize: 0 bytes/workgroup (compile time only)
; SGPRBlocks: 2
; VGPRBlocks: 2
; NumSGPRsForWavesPerEU: 22
; NumVGPRsForWavesPerEU: 22
; AccumOffset: 24
; Occupancy: 8
; WaveLimiterHint : 1
; COMPUTE_PGM_RSRC2:SCRATCH_EN: 0
; COMPUTE_PGM_RSRC2:USER_SGPR: 6
; COMPUTE_PGM_RSRC2:TRAP_HANDLER: 0
; COMPUTE_PGM_RSRC2:TGID_X_EN: 1
; COMPUTE_PGM_RSRC2:TGID_Y_EN: 0
; COMPUTE_PGM_RSRC2:TGID_Z_EN: 0
; COMPUTE_PGM_RSRC2:TIDIG_COMP_CNT: 0
; COMPUTE_PGM_RSRC3_GFX90A:ACCUM_OFFSET: 5
; COMPUTE_PGM_RSRC3_GFX90A:TG_SPLIT: 0
	.section	.text._ZN7rocprim17ROCPRIM_400000_NS6detail17trampoline_kernelINS0_13select_configILj256ELj13ELNS0_17block_load_methodE3ELS4_3ELS4_3ELNS0_20block_scan_algorithmE0ELj4294967295EEENS1_25partition_config_selectorILNS1_17partition_subalgoE4EjNS0_10empty_typeEbEEZZNS1_14partition_implILS8_4ELb0ES6_15HIP_vector_typeIjLj2EENS0_17counting_iteratorIjlEEPS9_SG_NS0_5tupleIJPjSI_NS0_16reverse_iteratorISI_EEEEENSH_IJSG_SG_SG_EEES9_SI_JZNS1_25segmented_radix_sort_implINS0_14default_configELb1EPK6__halfPSP_PKlPlN2at6native12_GLOBAL__N_18offset_tEEE10hipError_tPvRmT1_PNSt15iterator_traitsIS13_E10value_typeET2_T3_PNS14_IS19_E10value_typeET4_jRbjT5_S1F_jjP12ihipStream_tbEUljE_ZNSN_ISO_Lb1ESR_SS_SU_SV_SZ_EES10_S11_S12_S13_S17_S18_S19_S1C_S1D_jS1E_jS1F_S1F_jjS1H_bEUljE0_EEES10_S11_S12_S19_S1D_S1F_T6_T7_T9_mT8_S1H_bDpT10_ENKUlT_T0_E_clISt17integral_constantIbLb0EES1V_EEDaS1Q_S1R_EUlS1Q_E_NS1_11comp_targetILNS1_3genE0ELNS1_11target_archE4294967295ELNS1_3gpuE0ELNS1_3repE0EEENS1_30default_config_static_selectorELNS0_4arch9wavefront6targetE1EEEvS13_,"axG",@progbits,_ZN7rocprim17ROCPRIM_400000_NS6detail17trampoline_kernelINS0_13select_configILj256ELj13ELNS0_17block_load_methodE3ELS4_3ELS4_3ELNS0_20block_scan_algorithmE0ELj4294967295EEENS1_25partition_config_selectorILNS1_17partition_subalgoE4EjNS0_10empty_typeEbEEZZNS1_14partition_implILS8_4ELb0ES6_15HIP_vector_typeIjLj2EENS0_17counting_iteratorIjlEEPS9_SG_NS0_5tupleIJPjSI_NS0_16reverse_iteratorISI_EEEEENSH_IJSG_SG_SG_EEES9_SI_JZNS1_25segmented_radix_sort_implINS0_14default_configELb1EPK6__halfPSP_PKlPlN2at6native12_GLOBAL__N_18offset_tEEE10hipError_tPvRmT1_PNSt15iterator_traitsIS13_E10value_typeET2_T3_PNS14_IS19_E10value_typeET4_jRbjT5_S1F_jjP12ihipStream_tbEUljE_ZNSN_ISO_Lb1ESR_SS_SU_SV_SZ_EES10_S11_S12_S13_S17_S18_S19_S1C_S1D_jS1E_jS1F_S1F_jjS1H_bEUljE0_EEES10_S11_S12_S19_S1D_S1F_T6_T7_T9_mT8_S1H_bDpT10_ENKUlT_T0_E_clISt17integral_constantIbLb0EES1V_EEDaS1Q_S1R_EUlS1Q_E_NS1_11comp_targetILNS1_3genE0ELNS1_11target_archE4294967295ELNS1_3gpuE0ELNS1_3repE0EEENS1_30default_config_static_selectorELNS0_4arch9wavefront6targetE1EEEvS13_,comdat
	.globl	_ZN7rocprim17ROCPRIM_400000_NS6detail17trampoline_kernelINS0_13select_configILj256ELj13ELNS0_17block_load_methodE3ELS4_3ELS4_3ELNS0_20block_scan_algorithmE0ELj4294967295EEENS1_25partition_config_selectorILNS1_17partition_subalgoE4EjNS0_10empty_typeEbEEZZNS1_14partition_implILS8_4ELb0ES6_15HIP_vector_typeIjLj2EENS0_17counting_iteratorIjlEEPS9_SG_NS0_5tupleIJPjSI_NS0_16reverse_iteratorISI_EEEEENSH_IJSG_SG_SG_EEES9_SI_JZNS1_25segmented_radix_sort_implINS0_14default_configELb1EPK6__halfPSP_PKlPlN2at6native12_GLOBAL__N_18offset_tEEE10hipError_tPvRmT1_PNSt15iterator_traitsIS13_E10value_typeET2_T3_PNS14_IS19_E10value_typeET4_jRbjT5_S1F_jjP12ihipStream_tbEUljE_ZNSN_ISO_Lb1ESR_SS_SU_SV_SZ_EES10_S11_S12_S13_S17_S18_S19_S1C_S1D_jS1E_jS1F_S1F_jjS1H_bEUljE0_EEES10_S11_S12_S19_S1D_S1F_T6_T7_T9_mT8_S1H_bDpT10_ENKUlT_T0_E_clISt17integral_constantIbLb0EES1V_EEDaS1Q_S1R_EUlS1Q_E_NS1_11comp_targetILNS1_3genE0ELNS1_11target_archE4294967295ELNS1_3gpuE0ELNS1_3repE0EEENS1_30default_config_static_selectorELNS0_4arch9wavefront6targetE1EEEvS13_ ; -- Begin function _ZN7rocprim17ROCPRIM_400000_NS6detail17trampoline_kernelINS0_13select_configILj256ELj13ELNS0_17block_load_methodE3ELS4_3ELS4_3ELNS0_20block_scan_algorithmE0ELj4294967295EEENS1_25partition_config_selectorILNS1_17partition_subalgoE4EjNS0_10empty_typeEbEEZZNS1_14partition_implILS8_4ELb0ES6_15HIP_vector_typeIjLj2EENS0_17counting_iteratorIjlEEPS9_SG_NS0_5tupleIJPjSI_NS0_16reverse_iteratorISI_EEEEENSH_IJSG_SG_SG_EEES9_SI_JZNS1_25segmented_radix_sort_implINS0_14default_configELb1EPK6__halfPSP_PKlPlN2at6native12_GLOBAL__N_18offset_tEEE10hipError_tPvRmT1_PNSt15iterator_traitsIS13_E10value_typeET2_T3_PNS14_IS19_E10value_typeET4_jRbjT5_S1F_jjP12ihipStream_tbEUljE_ZNSN_ISO_Lb1ESR_SS_SU_SV_SZ_EES10_S11_S12_S13_S17_S18_S19_S1C_S1D_jS1E_jS1F_S1F_jjS1H_bEUljE0_EEES10_S11_S12_S19_S1D_S1F_T6_T7_T9_mT8_S1H_bDpT10_ENKUlT_T0_E_clISt17integral_constantIbLb0EES1V_EEDaS1Q_S1R_EUlS1Q_E_NS1_11comp_targetILNS1_3genE0ELNS1_11target_archE4294967295ELNS1_3gpuE0ELNS1_3repE0EEENS1_30default_config_static_selectorELNS0_4arch9wavefront6targetE1EEEvS13_
	.p2align	8
	.type	_ZN7rocprim17ROCPRIM_400000_NS6detail17trampoline_kernelINS0_13select_configILj256ELj13ELNS0_17block_load_methodE3ELS4_3ELS4_3ELNS0_20block_scan_algorithmE0ELj4294967295EEENS1_25partition_config_selectorILNS1_17partition_subalgoE4EjNS0_10empty_typeEbEEZZNS1_14partition_implILS8_4ELb0ES6_15HIP_vector_typeIjLj2EENS0_17counting_iteratorIjlEEPS9_SG_NS0_5tupleIJPjSI_NS0_16reverse_iteratorISI_EEEEENSH_IJSG_SG_SG_EEES9_SI_JZNS1_25segmented_radix_sort_implINS0_14default_configELb1EPK6__halfPSP_PKlPlN2at6native12_GLOBAL__N_18offset_tEEE10hipError_tPvRmT1_PNSt15iterator_traitsIS13_E10value_typeET2_T3_PNS14_IS19_E10value_typeET4_jRbjT5_S1F_jjP12ihipStream_tbEUljE_ZNSN_ISO_Lb1ESR_SS_SU_SV_SZ_EES10_S11_S12_S13_S17_S18_S19_S1C_S1D_jS1E_jS1F_S1F_jjS1H_bEUljE0_EEES10_S11_S12_S19_S1D_S1F_T6_T7_T9_mT8_S1H_bDpT10_ENKUlT_T0_E_clISt17integral_constantIbLb0EES1V_EEDaS1Q_S1R_EUlS1Q_E_NS1_11comp_targetILNS1_3genE0ELNS1_11target_archE4294967295ELNS1_3gpuE0ELNS1_3repE0EEENS1_30default_config_static_selectorELNS0_4arch9wavefront6targetE1EEEvS13_,@function
_ZN7rocprim17ROCPRIM_400000_NS6detail17trampoline_kernelINS0_13select_configILj256ELj13ELNS0_17block_load_methodE3ELS4_3ELS4_3ELNS0_20block_scan_algorithmE0ELj4294967295EEENS1_25partition_config_selectorILNS1_17partition_subalgoE4EjNS0_10empty_typeEbEEZZNS1_14partition_implILS8_4ELb0ES6_15HIP_vector_typeIjLj2EENS0_17counting_iteratorIjlEEPS9_SG_NS0_5tupleIJPjSI_NS0_16reverse_iteratorISI_EEEEENSH_IJSG_SG_SG_EEES9_SI_JZNS1_25segmented_radix_sort_implINS0_14default_configELb1EPK6__halfPSP_PKlPlN2at6native12_GLOBAL__N_18offset_tEEE10hipError_tPvRmT1_PNSt15iterator_traitsIS13_E10value_typeET2_T3_PNS14_IS19_E10value_typeET4_jRbjT5_S1F_jjP12ihipStream_tbEUljE_ZNSN_ISO_Lb1ESR_SS_SU_SV_SZ_EES10_S11_S12_S13_S17_S18_S19_S1C_S1D_jS1E_jS1F_S1F_jjS1H_bEUljE0_EEES10_S11_S12_S19_S1D_S1F_T6_T7_T9_mT8_S1H_bDpT10_ENKUlT_T0_E_clISt17integral_constantIbLb0EES1V_EEDaS1Q_S1R_EUlS1Q_E_NS1_11comp_targetILNS1_3genE0ELNS1_11target_archE4294967295ELNS1_3gpuE0ELNS1_3repE0EEENS1_30default_config_static_selectorELNS0_4arch9wavefront6targetE1EEEvS13_: ; @_ZN7rocprim17ROCPRIM_400000_NS6detail17trampoline_kernelINS0_13select_configILj256ELj13ELNS0_17block_load_methodE3ELS4_3ELS4_3ELNS0_20block_scan_algorithmE0ELj4294967295EEENS1_25partition_config_selectorILNS1_17partition_subalgoE4EjNS0_10empty_typeEbEEZZNS1_14partition_implILS8_4ELb0ES6_15HIP_vector_typeIjLj2EENS0_17counting_iteratorIjlEEPS9_SG_NS0_5tupleIJPjSI_NS0_16reverse_iteratorISI_EEEEENSH_IJSG_SG_SG_EEES9_SI_JZNS1_25segmented_radix_sort_implINS0_14default_configELb1EPK6__halfPSP_PKlPlN2at6native12_GLOBAL__N_18offset_tEEE10hipError_tPvRmT1_PNSt15iterator_traitsIS13_E10value_typeET2_T3_PNS14_IS19_E10value_typeET4_jRbjT5_S1F_jjP12ihipStream_tbEUljE_ZNSN_ISO_Lb1ESR_SS_SU_SV_SZ_EES10_S11_S12_S13_S17_S18_S19_S1C_S1D_jS1E_jS1F_S1F_jjS1H_bEUljE0_EEES10_S11_S12_S19_S1D_S1F_T6_T7_T9_mT8_S1H_bDpT10_ENKUlT_T0_E_clISt17integral_constantIbLb0EES1V_EEDaS1Q_S1R_EUlS1Q_E_NS1_11comp_targetILNS1_3genE0ELNS1_11target_archE4294967295ELNS1_3gpuE0ELNS1_3repE0EEENS1_30default_config_static_selectorELNS0_4arch9wavefront6targetE1EEEvS13_
; %bb.0:
	.section	.rodata,"a",@progbits
	.p2align	6, 0x0
	.amdhsa_kernel _ZN7rocprim17ROCPRIM_400000_NS6detail17trampoline_kernelINS0_13select_configILj256ELj13ELNS0_17block_load_methodE3ELS4_3ELS4_3ELNS0_20block_scan_algorithmE0ELj4294967295EEENS1_25partition_config_selectorILNS1_17partition_subalgoE4EjNS0_10empty_typeEbEEZZNS1_14partition_implILS8_4ELb0ES6_15HIP_vector_typeIjLj2EENS0_17counting_iteratorIjlEEPS9_SG_NS0_5tupleIJPjSI_NS0_16reverse_iteratorISI_EEEEENSH_IJSG_SG_SG_EEES9_SI_JZNS1_25segmented_radix_sort_implINS0_14default_configELb1EPK6__halfPSP_PKlPlN2at6native12_GLOBAL__N_18offset_tEEE10hipError_tPvRmT1_PNSt15iterator_traitsIS13_E10value_typeET2_T3_PNS14_IS19_E10value_typeET4_jRbjT5_S1F_jjP12ihipStream_tbEUljE_ZNSN_ISO_Lb1ESR_SS_SU_SV_SZ_EES10_S11_S12_S13_S17_S18_S19_S1C_S1D_jS1E_jS1F_S1F_jjS1H_bEUljE0_EEES10_S11_S12_S19_S1D_S1F_T6_T7_T9_mT8_S1H_bDpT10_ENKUlT_T0_E_clISt17integral_constantIbLb0EES1V_EEDaS1Q_S1R_EUlS1Q_E_NS1_11comp_targetILNS1_3genE0ELNS1_11target_archE4294967295ELNS1_3gpuE0ELNS1_3repE0EEENS1_30default_config_static_selectorELNS0_4arch9wavefront6targetE1EEEvS13_
		.amdhsa_group_segment_fixed_size 0
		.amdhsa_private_segment_fixed_size 0
		.amdhsa_kernarg_size 176
		.amdhsa_user_sgpr_count 6
		.amdhsa_user_sgpr_private_segment_buffer 1
		.amdhsa_user_sgpr_dispatch_ptr 0
		.amdhsa_user_sgpr_queue_ptr 0
		.amdhsa_user_sgpr_kernarg_segment_ptr 1
		.amdhsa_user_sgpr_dispatch_id 0
		.amdhsa_user_sgpr_flat_scratch_init 0
		.amdhsa_user_sgpr_kernarg_preload_length 0
		.amdhsa_user_sgpr_kernarg_preload_offset 0
		.amdhsa_user_sgpr_private_segment_size 0
		.amdhsa_uses_dynamic_stack 0
		.amdhsa_system_sgpr_private_segment_wavefront_offset 0
		.amdhsa_system_sgpr_workgroup_id_x 1
		.amdhsa_system_sgpr_workgroup_id_y 0
		.amdhsa_system_sgpr_workgroup_id_z 0
		.amdhsa_system_sgpr_workgroup_info 0
		.amdhsa_system_vgpr_workitem_id 0
		.amdhsa_next_free_vgpr 1
		.amdhsa_next_free_sgpr 0
		.amdhsa_accum_offset 4
		.amdhsa_reserve_vcc 0
		.amdhsa_reserve_flat_scratch 0
		.amdhsa_float_round_mode_32 0
		.amdhsa_float_round_mode_16_64 0
		.amdhsa_float_denorm_mode_32 3
		.amdhsa_float_denorm_mode_16_64 3
		.amdhsa_dx10_clamp 1
		.amdhsa_ieee_mode 1
		.amdhsa_fp16_overflow 0
		.amdhsa_tg_split 0
		.amdhsa_exception_fp_ieee_invalid_op 0
		.amdhsa_exception_fp_denorm_src 0
		.amdhsa_exception_fp_ieee_div_zero 0
		.amdhsa_exception_fp_ieee_overflow 0
		.amdhsa_exception_fp_ieee_underflow 0
		.amdhsa_exception_fp_ieee_inexact 0
		.amdhsa_exception_int_div_zero 0
	.end_amdhsa_kernel
	.section	.text._ZN7rocprim17ROCPRIM_400000_NS6detail17trampoline_kernelINS0_13select_configILj256ELj13ELNS0_17block_load_methodE3ELS4_3ELS4_3ELNS0_20block_scan_algorithmE0ELj4294967295EEENS1_25partition_config_selectorILNS1_17partition_subalgoE4EjNS0_10empty_typeEbEEZZNS1_14partition_implILS8_4ELb0ES6_15HIP_vector_typeIjLj2EENS0_17counting_iteratorIjlEEPS9_SG_NS0_5tupleIJPjSI_NS0_16reverse_iteratorISI_EEEEENSH_IJSG_SG_SG_EEES9_SI_JZNS1_25segmented_radix_sort_implINS0_14default_configELb1EPK6__halfPSP_PKlPlN2at6native12_GLOBAL__N_18offset_tEEE10hipError_tPvRmT1_PNSt15iterator_traitsIS13_E10value_typeET2_T3_PNS14_IS19_E10value_typeET4_jRbjT5_S1F_jjP12ihipStream_tbEUljE_ZNSN_ISO_Lb1ESR_SS_SU_SV_SZ_EES10_S11_S12_S13_S17_S18_S19_S1C_S1D_jS1E_jS1F_S1F_jjS1H_bEUljE0_EEES10_S11_S12_S19_S1D_S1F_T6_T7_T9_mT8_S1H_bDpT10_ENKUlT_T0_E_clISt17integral_constantIbLb0EES1V_EEDaS1Q_S1R_EUlS1Q_E_NS1_11comp_targetILNS1_3genE0ELNS1_11target_archE4294967295ELNS1_3gpuE0ELNS1_3repE0EEENS1_30default_config_static_selectorELNS0_4arch9wavefront6targetE1EEEvS13_,"axG",@progbits,_ZN7rocprim17ROCPRIM_400000_NS6detail17trampoline_kernelINS0_13select_configILj256ELj13ELNS0_17block_load_methodE3ELS4_3ELS4_3ELNS0_20block_scan_algorithmE0ELj4294967295EEENS1_25partition_config_selectorILNS1_17partition_subalgoE4EjNS0_10empty_typeEbEEZZNS1_14partition_implILS8_4ELb0ES6_15HIP_vector_typeIjLj2EENS0_17counting_iteratorIjlEEPS9_SG_NS0_5tupleIJPjSI_NS0_16reverse_iteratorISI_EEEEENSH_IJSG_SG_SG_EEES9_SI_JZNS1_25segmented_radix_sort_implINS0_14default_configELb1EPK6__halfPSP_PKlPlN2at6native12_GLOBAL__N_18offset_tEEE10hipError_tPvRmT1_PNSt15iterator_traitsIS13_E10value_typeET2_T3_PNS14_IS19_E10value_typeET4_jRbjT5_S1F_jjP12ihipStream_tbEUljE_ZNSN_ISO_Lb1ESR_SS_SU_SV_SZ_EES10_S11_S12_S13_S17_S18_S19_S1C_S1D_jS1E_jS1F_S1F_jjS1H_bEUljE0_EEES10_S11_S12_S19_S1D_S1F_T6_T7_T9_mT8_S1H_bDpT10_ENKUlT_T0_E_clISt17integral_constantIbLb0EES1V_EEDaS1Q_S1R_EUlS1Q_E_NS1_11comp_targetILNS1_3genE0ELNS1_11target_archE4294967295ELNS1_3gpuE0ELNS1_3repE0EEENS1_30default_config_static_selectorELNS0_4arch9wavefront6targetE1EEEvS13_,comdat
.Lfunc_end1673:
	.size	_ZN7rocprim17ROCPRIM_400000_NS6detail17trampoline_kernelINS0_13select_configILj256ELj13ELNS0_17block_load_methodE3ELS4_3ELS4_3ELNS0_20block_scan_algorithmE0ELj4294967295EEENS1_25partition_config_selectorILNS1_17partition_subalgoE4EjNS0_10empty_typeEbEEZZNS1_14partition_implILS8_4ELb0ES6_15HIP_vector_typeIjLj2EENS0_17counting_iteratorIjlEEPS9_SG_NS0_5tupleIJPjSI_NS0_16reverse_iteratorISI_EEEEENSH_IJSG_SG_SG_EEES9_SI_JZNS1_25segmented_radix_sort_implINS0_14default_configELb1EPK6__halfPSP_PKlPlN2at6native12_GLOBAL__N_18offset_tEEE10hipError_tPvRmT1_PNSt15iterator_traitsIS13_E10value_typeET2_T3_PNS14_IS19_E10value_typeET4_jRbjT5_S1F_jjP12ihipStream_tbEUljE_ZNSN_ISO_Lb1ESR_SS_SU_SV_SZ_EES10_S11_S12_S13_S17_S18_S19_S1C_S1D_jS1E_jS1F_S1F_jjS1H_bEUljE0_EEES10_S11_S12_S19_S1D_S1F_T6_T7_T9_mT8_S1H_bDpT10_ENKUlT_T0_E_clISt17integral_constantIbLb0EES1V_EEDaS1Q_S1R_EUlS1Q_E_NS1_11comp_targetILNS1_3genE0ELNS1_11target_archE4294967295ELNS1_3gpuE0ELNS1_3repE0EEENS1_30default_config_static_selectorELNS0_4arch9wavefront6targetE1EEEvS13_, .Lfunc_end1673-_ZN7rocprim17ROCPRIM_400000_NS6detail17trampoline_kernelINS0_13select_configILj256ELj13ELNS0_17block_load_methodE3ELS4_3ELS4_3ELNS0_20block_scan_algorithmE0ELj4294967295EEENS1_25partition_config_selectorILNS1_17partition_subalgoE4EjNS0_10empty_typeEbEEZZNS1_14partition_implILS8_4ELb0ES6_15HIP_vector_typeIjLj2EENS0_17counting_iteratorIjlEEPS9_SG_NS0_5tupleIJPjSI_NS0_16reverse_iteratorISI_EEEEENSH_IJSG_SG_SG_EEES9_SI_JZNS1_25segmented_radix_sort_implINS0_14default_configELb1EPK6__halfPSP_PKlPlN2at6native12_GLOBAL__N_18offset_tEEE10hipError_tPvRmT1_PNSt15iterator_traitsIS13_E10value_typeET2_T3_PNS14_IS19_E10value_typeET4_jRbjT5_S1F_jjP12ihipStream_tbEUljE_ZNSN_ISO_Lb1ESR_SS_SU_SV_SZ_EES10_S11_S12_S13_S17_S18_S19_S1C_S1D_jS1E_jS1F_S1F_jjS1H_bEUljE0_EEES10_S11_S12_S19_S1D_S1F_T6_T7_T9_mT8_S1H_bDpT10_ENKUlT_T0_E_clISt17integral_constantIbLb0EES1V_EEDaS1Q_S1R_EUlS1Q_E_NS1_11comp_targetILNS1_3genE0ELNS1_11target_archE4294967295ELNS1_3gpuE0ELNS1_3repE0EEENS1_30default_config_static_selectorELNS0_4arch9wavefront6targetE1EEEvS13_
                                        ; -- End function
	.section	.AMDGPU.csdata,"",@progbits
; Kernel info:
; codeLenInByte = 0
; NumSgprs: 4
; NumVgprs: 0
; NumAgprs: 0
; TotalNumVgprs: 0
; ScratchSize: 0
; MemoryBound: 0
; FloatMode: 240
; IeeeMode: 1
; LDSByteSize: 0 bytes/workgroup (compile time only)
; SGPRBlocks: 0
; VGPRBlocks: 0
; NumSGPRsForWavesPerEU: 4
; NumVGPRsForWavesPerEU: 1
; AccumOffset: 4
; Occupancy: 8
; WaveLimiterHint : 0
; COMPUTE_PGM_RSRC2:SCRATCH_EN: 0
; COMPUTE_PGM_RSRC2:USER_SGPR: 6
; COMPUTE_PGM_RSRC2:TRAP_HANDLER: 0
; COMPUTE_PGM_RSRC2:TGID_X_EN: 1
; COMPUTE_PGM_RSRC2:TGID_Y_EN: 0
; COMPUTE_PGM_RSRC2:TGID_Z_EN: 0
; COMPUTE_PGM_RSRC2:TIDIG_COMP_CNT: 0
; COMPUTE_PGM_RSRC3_GFX90A:ACCUM_OFFSET: 0
; COMPUTE_PGM_RSRC3_GFX90A:TG_SPLIT: 0
	.section	.text._ZN7rocprim17ROCPRIM_400000_NS6detail17trampoline_kernelINS0_13select_configILj256ELj13ELNS0_17block_load_methodE3ELS4_3ELS4_3ELNS0_20block_scan_algorithmE0ELj4294967295EEENS1_25partition_config_selectorILNS1_17partition_subalgoE4EjNS0_10empty_typeEbEEZZNS1_14partition_implILS8_4ELb0ES6_15HIP_vector_typeIjLj2EENS0_17counting_iteratorIjlEEPS9_SG_NS0_5tupleIJPjSI_NS0_16reverse_iteratorISI_EEEEENSH_IJSG_SG_SG_EEES9_SI_JZNS1_25segmented_radix_sort_implINS0_14default_configELb1EPK6__halfPSP_PKlPlN2at6native12_GLOBAL__N_18offset_tEEE10hipError_tPvRmT1_PNSt15iterator_traitsIS13_E10value_typeET2_T3_PNS14_IS19_E10value_typeET4_jRbjT5_S1F_jjP12ihipStream_tbEUljE_ZNSN_ISO_Lb1ESR_SS_SU_SV_SZ_EES10_S11_S12_S13_S17_S18_S19_S1C_S1D_jS1E_jS1F_S1F_jjS1H_bEUljE0_EEES10_S11_S12_S19_S1D_S1F_T6_T7_T9_mT8_S1H_bDpT10_ENKUlT_T0_E_clISt17integral_constantIbLb0EES1V_EEDaS1Q_S1R_EUlS1Q_E_NS1_11comp_targetILNS1_3genE5ELNS1_11target_archE942ELNS1_3gpuE9ELNS1_3repE0EEENS1_30default_config_static_selectorELNS0_4arch9wavefront6targetE1EEEvS13_,"axG",@progbits,_ZN7rocprim17ROCPRIM_400000_NS6detail17trampoline_kernelINS0_13select_configILj256ELj13ELNS0_17block_load_methodE3ELS4_3ELS4_3ELNS0_20block_scan_algorithmE0ELj4294967295EEENS1_25partition_config_selectorILNS1_17partition_subalgoE4EjNS0_10empty_typeEbEEZZNS1_14partition_implILS8_4ELb0ES6_15HIP_vector_typeIjLj2EENS0_17counting_iteratorIjlEEPS9_SG_NS0_5tupleIJPjSI_NS0_16reverse_iteratorISI_EEEEENSH_IJSG_SG_SG_EEES9_SI_JZNS1_25segmented_radix_sort_implINS0_14default_configELb1EPK6__halfPSP_PKlPlN2at6native12_GLOBAL__N_18offset_tEEE10hipError_tPvRmT1_PNSt15iterator_traitsIS13_E10value_typeET2_T3_PNS14_IS19_E10value_typeET4_jRbjT5_S1F_jjP12ihipStream_tbEUljE_ZNSN_ISO_Lb1ESR_SS_SU_SV_SZ_EES10_S11_S12_S13_S17_S18_S19_S1C_S1D_jS1E_jS1F_S1F_jjS1H_bEUljE0_EEES10_S11_S12_S19_S1D_S1F_T6_T7_T9_mT8_S1H_bDpT10_ENKUlT_T0_E_clISt17integral_constantIbLb0EES1V_EEDaS1Q_S1R_EUlS1Q_E_NS1_11comp_targetILNS1_3genE5ELNS1_11target_archE942ELNS1_3gpuE9ELNS1_3repE0EEENS1_30default_config_static_selectorELNS0_4arch9wavefront6targetE1EEEvS13_,comdat
	.globl	_ZN7rocprim17ROCPRIM_400000_NS6detail17trampoline_kernelINS0_13select_configILj256ELj13ELNS0_17block_load_methodE3ELS4_3ELS4_3ELNS0_20block_scan_algorithmE0ELj4294967295EEENS1_25partition_config_selectorILNS1_17partition_subalgoE4EjNS0_10empty_typeEbEEZZNS1_14partition_implILS8_4ELb0ES6_15HIP_vector_typeIjLj2EENS0_17counting_iteratorIjlEEPS9_SG_NS0_5tupleIJPjSI_NS0_16reverse_iteratorISI_EEEEENSH_IJSG_SG_SG_EEES9_SI_JZNS1_25segmented_radix_sort_implINS0_14default_configELb1EPK6__halfPSP_PKlPlN2at6native12_GLOBAL__N_18offset_tEEE10hipError_tPvRmT1_PNSt15iterator_traitsIS13_E10value_typeET2_T3_PNS14_IS19_E10value_typeET4_jRbjT5_S1F_jjP12ihipStream_tbEUljE_ZNSN_ISO_Lb1ESR_SS_SU_SV_SZ_EES10_S11_S12_S13_S17_S18_S19_S1C_S1D_jS1E_jS1F_S1F_jjS1H_bEUljE0_EEES10_S11_S12_S19_S1D_S1F_T6_T7_T9_mT8_S1H_bDpT10_ENKUlT_T0_E_clISt17integral_constantIbLb0EES1V_EEDaS1Q_S1R_EUlS1Q_E_NS1_11comp_targetILNS1_3genE5ELNS1_11target_archE942ELNS1_3gpuE9ELNS1_3repE0EEENS1_30default_config_static_selectorELNS0_4arch9wavefront6targetE1EEEvS13_ ; -- Begin function _ZN7rocprim17ROCPRIM_400000_NS6detail17trampoline_kernelINS0_13select_configILj256ELj13ELNS0_17block_load_methodE3ELS4_3ELS4_3ELNS0_20block_scan_algorithmE0ELj4294967295EEENS1_25partition_config_selectorILNS1_17partition_subalgoE4EjNS0_10empty_typeEbEEZZNS1_14partition_implILS8_4ELb0ES6_15HIP_vector_typeIjLj2EENS0_17counting_iteratorIjlEEPS9_SG_NS0_5tupleIJPjSI_NS0_16reverse_iteratorISI_EEEEENSH_IJSG_SG_SG_EEES9_SI_JZNS1_25segmented_radix_sort_implINS0_14default_configELb1EPK6__halfPSP_PKlPlN2at6native12_GLOBAL__N_18offset_tEEE10hipError_tPvRmT1_PNSt15iterator_traitsIS13_E10value_typeET2_T3_PNS14_IS19_E10value_typeET4_jRbjT5_S1F_jjP12ihipStream_tbEUljE_ZNSN_ISO_Lb1ESR_SS_SU_SV_SZ_EES10_S11_S12_S13_S17_S18_S19_S1C_S1D_jS1E_jS1F_S1F_jjS1H_bEUljE0_EEES10_S11_S12_S19_S1D_S1F_T6_T7_T9_mT8_S1H_bDpT10_ENKUlT_T0_E_clISt17integral_constantIbLb0EES1V_EEDaS1Q_S1R_EUlS1Q_E_NS1_11comp_targetILNS1_3genE5ELNS1_11target_archE942ELNS1_3gpuE9ELNS1_3repE0EEENS1_30default_config_static_selectorELNS0_4arch9wavefront6targetE1EEEvS13_
	.p2align	8
	.type	_ZN7rocprim17ROCPRIM_400000_NS6detail17trampoline_kernelINS0_13select_configILj256ELj13ELNS0_17block_load_methodE3ELS4_3ELS4_3ELNS0_20block_scan_algorithmE0ELj4294967295EEENS1_25partition_config_selectorILNS1_17partition_subalgoE4EjNS0_10empty_typeEbEEZZNS1_14partition_implILS8_4ELb0ES6_15HIP_vector_typeIjLj2EENS0_17counting_iteratorIjlEEPS9_SG_NS0_5tupleIJPjSI_NS0_16reverse_iteratorISI_EEEEENSH_IJSG_SG_SG_EEES9_SI_JZNS1_25segmented_radix_sort_implINS0_14default_configELb1EPK6__halfPSP_PKlPlN2at6native12_GLOBAL__N_18offset_tEEE10hipError_tPvRmT1_PNSt15iterator_traitsIS13_E10value_typeET2_T3_PNS14_IS19_E10value_typeET4_jRbjT5_S1F_jjP12ihipStream_tbEUljE_ZNSN_ISO_Lb1ESR_SS_SU_SV_SZ_EES10_S11_S12_S13_S17_S18_S19_S1C_S1D_jS1E_jS1F_S1F_jjS1H_bEUljE0_EEES10_S11_S12_S19_S1D_S1F_T6_T7_T9_mT8_S1H_bDpT10_ENKUlT_T0_E_clISt17integral_constantIbLb0EES1V_EEDaS1Q_S1R_EUlS1Q_E_NS1_11comp_targetILNS1_3genE5ELNS1_11target_archE942ELNS1_3gpuE9ELNS1_3repE0EEENS1_30default_config_static_selectorELNS0_4arch9wavefront6targetE1EEEvS13_,@function
_ZN7rocprim17ROCPRIM_400000_NS6detail17trampoline_kernelINS0_13select_configILj256ELj13ELNS0_17block_load_methodE3ELS4_3ELS4_3ELNS0_20block_scan_algorithmE0ELj4294967295EEENS1_25partition_config_selectorILNS1_17partition_subalgoE4EjNS0_10empty_typeEbEEZZNS1_14partition_implILS8_4ELb0ES6_15HIP_vector_typeIjLj2EENS0_17counting_iteratorIjlEEPS9_SG_NS0_5tupleIJPjSI_NS0_16reverse_iteratorISI_EEEEENSH_IJSG_SG_SG_EEES9_SI_JZNS1_25segmented_radix_sort_implINS0_14default_configELb1EPK6__halfPSP_PKlPlN2at6native12_GLOBAL__N_18offset_tEEE10hipError_tPvRmT1_PNSt15iterator_traitsIS13_E10value_typeET2_T3_PNS14_IS19_E10value_typeET4_jRbjT5_S1F_jjP12ihipStream_tbEUljE_ZNSN_ISO_Lb1ESR_SS_SU_SV_SZ_EES10_S11_S12_S13_S17_S18_S19_S1C_S1D_jS1E_jS1F_S1F_jjS1H_bEUljE0_EEES10_S11_S12_S19_S1D_S1F_T6_T7_T9_mT8_S1H_bDpT10_ENKUlT_T0_E_clISt17integral_constantIbLb0EES1V_EEDaS1Q_S1R_EUlS1Q_E_NS1_11comp_targetILNS1_3genE5ELNS1_11target_archE942ELNS1_3gpuE9ELNS1_3repE0EEENS1_30default_config_static_selectorELNS0_4arch9wavefront6targetE1EEEvS13_: ; @_ZN7rocprim17ROCPRIM_400000_NS6detail17trampoline_kernelINS0_13select_configILj256ELj13ELNS0_17block_load_methodE3ELS4_3ELS4_3ELNS0_20block_scan_algorithmE0ELj4294967295EEENS1_25partition_config_selectorILNS1_17partition_subalgoE4EjNS0_10empty_typeEbEEZZNS1_14partition_implILS8_4ELb0ES6_15HIP_vector_typeIjLj2EENS0_17counting_iteratorIjlEEPS9_SG_NS0_5tupleIJPjSI_NS0_16reverse_iteratorISI_EEEEENSH_IJSG_SG_SG_EEES9_SI_JZNS1_25segmented_radix_sort_implINS0_14default_configELb1EPK6__halfPSP_PKlPlN2at6native12_GLOBAL__N_18offset_tEEE10hipError_tPvRmT1_PNSt15iterator_traitsIS13_E10value_typeET2_T3_PNS14_IS19_E10value_typeET4_jRbjT5_S1F_jjP12ihipStream_tbEUljE_ZNSN_ISO_Lb1ESR_SS_SU_SV_SZ_EES10_S11_S12_S13_S17_S18_S19_S1C_S1D_jS1E_jS1F_S1F_jjS1H_bEUljE0_EEES10_S11_S12_S19_S1D_S1F_T6_T7_T9_mT8_S1H_bDpT10_ENKUlT_T0_E_clISt17integral_constantIbLb0EES1V_EEDaS1Q_S1R_EUlS1Q_E_NS1_11comp_targetILNS1_3genE5ELNS1_11target_archE942ELNS1_3gpuE9ELNS1_3repE0EEENS1_30default_config_static_selectorELNS0_4arch9wavefront6targetE1EEEvS13_
; %bb.0:
	.section	.rodata,"a",@progbits
	.p2align	6, 0x0
	.amdhsa_kernel _ZN7rocprim17ROCPRIM_400000_NS6detail17trampoline_kernelINS0_13select_configILj256ELj13ELNS0_17block_load_methodE3ELS4_3ELS4_3ELNS0_20block_scan_algorithmE0ELj4294967295EEENS1_25partition_config_selectorILNS1_17partition_subalgoE4EjNS0_10empty_typeEbEEZZNS1_14partition_implILS8_4ELb0ES6_15HIP_vector_typeIjLj2EENS0_17counting_iteratorIjlEEPS9_SG_NS0_5tupleIJPjSI_NS0_16reverse_iteratorISI_EEEEENSH_IJSG_SG_SG_EEES9_SI_JZNS1_25segmented_radix_sort_implINS0_14default_configELb1EPK6__halfPSP_PKlPlN2at6native12_GLOBAL__N_18offset_tEEE10hipError_tPvRmT1_PNSt15iterator_traitsIS13_E10value_typeET2_T3_PNS14_IS19_E10value_typeET4_jRbjT5_S1F_jjP12ihipStream_tbEUljE_ZNSN_ISO_Lb1ESR_SS_SU_SV_SZ_EES10_S11_S12_S13_S17_S18_S19_S1C_S1D_jS1E_jS1F_S1F_jjS1H_bEUljE0_EEES10_S11_S12_S19_S1D_S1F_T6_T7_T9_mT8_S1H_bDpT10_ENKUlT_T0_E_clISt17integral_constantIbLb0EES1V_EEDaS1Q_S1R_EUlS1Q_E_NS1_11comp_targetILNS1_3genE5ELNS1_11target_archE942ELNS1_3gpuE9ELNS1_3repE0EEENS1_30default_config_static_selectorELNS0_4arch9wavefront6targetE1EEEvS13_
		.amdhsa_group_segment_fixed_size 0
		.amdhsa_private_segment_fixed_size 0
		.amdhsa_kernarg_size 176
		.amdhsa_user_sgpr_count 6
		.amdhsa_user_sgpr_private_segment_buffer 1
		.amdhsa_user_sgpr_dispatch_ptr 0
		.amdhsa_user_sgpr_queue_ptr 0
		.amdhsa_user_sgpr_kernarg_segment_ptr 1
		.amdhsa_user_sgpr_dispatch_id 0
		.amdhsa_user_sgpr_flat_scratch_init 0
		.amdhsa_user_sgpr_kernarg_preload_length 0
		.amdhsa_user_sgpr_kernarg_preload_offset 0
		.amdhsa_user_sgpr_private_segment_size 0
		.amdhsa_uses_dynamic_stack 0
		.amdhsa_system_sgpr_private_segment_wavefront_offset 0
		.amdhsa_system_sgpr_workgroup_id_x 1
		.amdhsa_system_sgpr_workgroup_id_y 0
		.amdhsa_system_sgpr_workgroup_id_z 0
		.amdhsa_system_sgpr_workgroup_info 0
		.amdhsa_system_vgpr_workitem_id 0
		.amdhsa_next_free_vgpr 1
		.amdhsa_next_free_sgpr 0
		.amdhsa_accum_offset 4
		.amdhsa_reserve_vcc 0
		.amdhsa_reserve_flat_scratch 0
		.amdhsa_float_round_mode_32 0
		.amdhsa_float_round_mode_16_64 0
		.amdhsa_float_denorm_mode_32 3
		.amdhsa_float_denorm_mode_16_64 3
		.amdhsa_dx10_clamp 1
		.amdhsa_ieee_mode 1
		.amdhsa_fp16_overflow 0
		.amdhsa_tg_split 0
		.amdhsa_exception_fp_ieee_invalid_op 0
		.amdhsa_exception_fp_denorm_src 0
		.amdhsa_exception_fp_ieee_div_zero 0
		.amdhsa_exception_fp_ieee_overflow 0
		.amdhsa_exception_fp_ieee_underflow 0
		.amdhsa_exception_fp_ieee_inexact 0
		.amdhsa_exception_int_div_zero 0
	.end_amdhsa_kernel
	.section	.text._ZN7rocprim17ROCPRIM_400000_NS6detail17trampoline_kernelINS0_13select_configILj256ELj13ELNS0_17block_load_methodE3ELS4_3ELS4_3ELNS0_20block_scan_algorithmE0ELj4294967295EEENS1_25partition_config_selectorILNS1_17partition_subalgoE4EjNS0_10empty_typeEbEEZZNS1_14partition_implILS8_4ELb0ES6_15HIP_vector_typeIjLj2EENS0_17counting_iteratorIjlEEPS9_SG_NS0_5tupleIJPjSI_NS0_16reverse_iteratorISI_EEEEENSH_IJSG_SG_SG_EEES9_SI_JZNS1_25segmented_radix_sort_implINS0_14default_configELb1EPK6__halfPSP_PKlPlN2at6native12_GLOBAL__N_18offset_tEEE10hipError_tPvRmT1_PNSt15iterator_traitsIS13_E10value_typeET2_T3_PNS14_IS19_E10value_typeET4_jRbjT5_S1F_jjP12ihipStream_tbEUljE_ZNSN_ISO_Lb1ESR_SS_SU_SV_SZ_EES10_S11_S12_S13_S17_S18_S19_S1C_S1D_jS1E_jS1F_S1F_jjS1H_bEUljE0_EEES10_S11_S12_S19_S1D_S1F_T6_T7_T9_mT8_S1H_bDpT10_ENKUlT_T0_E_clISt17integral_constantIbLb0EES1V_EEDaS1Q_S1R_EUlS1Q_E_NS1_11comp_targetILNS1_3genE5ELNS1_11target_archE942ELNS1_3gpuE9ELNS1_3repE0EEENS1_30default_config_static_selectorELNS0_4arch9wavefront6targetE1EEEvS13_,"axG",@progbits,_ZN7rocprim17ROCPRIM_400000_NS6detail17trampoline_kernelINS0_13select_configILj256ELj13ELNS0_17block_load_methodE3ELS4_3ELS4_3ELNS0_20block_scan_algorithmE0ELj4294967295EEENS1_25partition_config_selectorILNS1_17partition_subalgoE4EjNS0_10empty_typeEbEEZZNS1_14partition_implILS8_4ELb0ES6_15HIP_vector_typeIjLj2EENS0_17counting_iteratorIjlEEPS9_SG_NS0_5tupleIJPjSI_NS0_16reverse_iteratorISI_EEEEENSH_IJSG_SG_SG_EEES9_SI_JZNS1_25segmented_radix_sort_implINS0_14default_configELb1EPK6__halfPSP_PKlPlN2at6native12_GLOBAL__N_18offset_tEEE10hipError_tPvRmT1_PNSt15iterator_traitsIS13_E10value_typeET2_T3_PNS14_IS19_E10value_typeET4_jRbjT5_S1F_jjP12ihipStream_tbEUljE_ZNSN_ISO_Lb1ESR_SS_SU_SV_SZ_EES10_S11_S12_S13_S17_S18_S19_S1C_S1D_jS1E_jS1F_S1F_jjS1H_bEUljE0_EEES10_S11_S12_S19_S1D_S1F_T6_T7_T9_mT8_S1H_bDpT10_ENKUlT_T0_E_clISt17integral_constantIbLb0EES1V_EEDaS1Q_S1R_EUlS1Q_E_NS1_11comp_targetILNS1_3genE5ELNS1_11target_archE942ELNS1_3gpuE9ELNS1_3repE0EEENS1_30default_config_static_selectorELNS0_4arch9wavefront6targetE1EEEvS13_,comdat
.Lfunc_end1674:
	.size	_ZN7rocprim17ROCPRIM_400000_NS6detail17trampoline_kernelINS0_13select_configILj256ELj13ELNS0_17block_load_methodE3ELS4_3ELS4_3ELNS0_20block_scan_algorithmE0ELj4294967295EEENS1_25partition_config_selectorILNS1_17partition_subalgoE4EjNS0_10empty_typeEbEEZZNS1_14partition_implILS8_4ELb0ES6_15HIP_vector_typeIjLj2EENS0_17counting_iteratorIjlEEPS9_SG_NS0_5tupleIJPjSI_NS0_16reverse_iteratorISI_EEEEENSH_IJSG_SG_SG_EEES9_SI_JZNS1_25segmented_radix_sort_implINS0_14default_configELb1EPK6__halfPSP_PKlPlN2at6native12_GLOBAL__N_18offset_tEEE10hipError_tPvRmT1_PNSt15iterator_traitsIS13_E10value_typeET2_T3_PNS14_IS19_E10value_typeET4_jRbjT5_S1F_jjP12ihipStream_tbEUljE_ZNSN_ISO_Lb1ESR_SS_SU_SV_SZ_EES10_S11_S12_S13_S17_S18_S19_S1C_S1D_jS1E_jS1F_S1F_jjS1H_bEUljE0_EEES10_S11_S12_S19_S1D_S1F_T6_T7_T9_mT8_S1H_bDpT10_ENKUlT_T0_E_clISt17integral_constantIbLb0EES1V_EEDaS1Q_S1R_EUlS1Q_E_NS1_11comp_targetILNS1_3genE5ELNS1_11target_archE942ELNS1_3gpuE9ELNS1_3repE0EEENS1_30default_config_static_selectorELNS0_4arch9wavefront6targetE1EEEvS13_, .Lfunc_end1674-_ZN7rocprim17ROCPRIM_400000_NS6detail17trampoline_kernelINS0_13select_configILj256ELj13ELNS0_17block_load_methodE3ELS4_3ELS4_3ELNS0_20block_scan_algorithmE0ELj4294967295EEENS1_25partition_config_selectorILNS1_17partition_subalgoE4EjNS0_10empty_typeEbEEZZNS1_14partition_implILS8_4ELb0ES6_15HIP_vector_typeIjLj2EENS0_17counting_iteratorIjlEEPS9_SG_NS0_5tupleIJPjSI_NS0_16reverse_iteratorISI_EEEEENSH_IJSG_SG_SG_EEES9_SI_JZNS1_25segmented_radix_sort_implINS0_14default_configELb1EPK6__halfPSP_PKlPlN2at6native12_GLOBAL__N_18offset_tEEE10hipError_tPvRmT1_PNSt15iterator_traitsIS13_E10value_typeET2_T3_PNS14_IS19_E10value_typeET4_jRbjT5_S1F_jjP12ihipStream_tbEUljE_ZNSN_ISO_Lb1ESR_SS_SU_SV_SZ_EES10_S11_S12_S13_S17_S18_S19_S1C_S1D_jS1E_jS1F_S1F_jjS1H_bEUljE0_EEES10_S11_S12_S19_S1D_S1F_T6_T7_T9_mT8_S1H_bDpT10_ENKUlT_T0_E_clISt17integral_constantIbLb0EES1V_EEDaS1Q_S1R_EUlS1Q_E_NS1_11comp_targetILNS1_3genE5ELNS1_11target_archE942ELNS1_3gpuE9ELNS1_3repE0EEENS1_30default_config_static_selectorELNS0_4arch9wavefront6targetE1EEEvS13_
                                        ; -- End function
	.section	.AMDGPU.csdata,"",@progbits
; Kernel info:
; codeLenInByte = 0
; NumSgprs: 4
; NumVgprs: 0
; NumAgprs: 0
; TotalNumVgprs: 0
; ScratchSize: 0
; MemoryBound: 0
; FloatMode: 240
; IeeeMode: 1
; LDSByteSize: 0 bytes/workgroup (compile time only)
; SGPRBlocks: 0
; VGPRBlocks: 0
; NumSGPRsForWavesPerEU: 4
; NumVGPRsForWavesPerEU: 1
; AccumOffset: 4
; Occupancy: 8
; WaveLimiterHint : 0
; COMPUTE_PGM_RSRC2:SCRATCH_EN: 0
; COMPUTE_PGM_RSRC2:USER_SGPR: 6
; COMPUTE_PGM_RSRC2:TRAP_HANDLER: 0
; COMPUTE_PGM_RSRC2:TGID_X_EN: 1
; COMPUTE_PGM_RSRC2:TGID_Y_EN: 0
; COMPUTE_PGM_RSRC2:TGID_Z_EN: 0
; COMPUTE_PGM_RSRC2:TIDIG_COMP_CNT: 0
; COMPUTE_PGM_RSRC3_GFX90A:ACCUM_OFFSET: 0
; COMPUTE_PGM_RSRC3_GFX90A:TG_SPLIT: 0
	.section	.text._ZN7rocprim17ROCPRIM_400000_NS6detail17trampoline_kernelINS0_13select_configILj256ELj13ELNS0_17block_load_methodE3ELS4_3ELS4_3ELNS0_20block_scan_algorithmE0ELj4294967295EEENS1_25partition_config_selectorILNS1_17partition_subalgoE4EjNS0_10empty_typeEbEEZZNS1_14partition_implILS8_4ELb0ES6_15HIP_vector_typeIjLj2EENS0_17counting_iteratorIjlEEPS9_SG_NS0_5tupleIJPjSI_NS0_16reverse_iteratorISI_EEEEENSH_IJSG_SG_SG_EEES9_SI_JZNS1_25segmented_radix_sort_implINS0_14default_configELb1EPK6__halfPSP_PKlPlN2at6native12_GLOBAL__N_18offset_tEEE10hipError_tPvRmT1_PNSt15iterator_traitsIS13_E10value_typeET2_T3_PNS14_IS19_E10value_typeET4_jRbjT5_S1F_jjP12ihipStream_tbEUljE_ZNSN_ISO_Lb1ESR_SS_SU_SV_SZ_EES10_S11_S12_S13_S17_S18_S19_S1C_S1D_jS1E_jS1F_S1F_jjS1H_bEUljE0_EEES10_S11_S12_S19_S1D_S1F_T6_T7_T9_mT8_S1H_bDpT10_ENKUlT_T0_E_clISt17integral_constantIbLb0EES1V_EEDaS1Q_S1R_EUlS1Q_E_NS1_11comp_targetILNS1_3genE4ELNS1_11target_archE910ELNS1_3gpuE8ELNS1_3repE0EEENS1_30default_config_static_selectorELNS0_4arch9wavefront6targetE1EEEvS13_,"axG",@progbits,_ZN7rocprim17ROCPRIM_400000_NS6detail17trampoline_kernelINS0_13select_configILj256ELj13ELNS0_17block_load_methodE3ELS4_3ELS4_3ELNS0_20block_scan_algorithmE0ELj4294967295EEENS1_25partition_config_selectorILNS1_17partition_subalgoE4EjNS0_10empty_typeEbEEZZNS1_14partition_implILS8_4ELb0ES6_15HIP_vector_typeIjLj2EENS0_17counting_iteratorIjlEEPS9_SG_NS0_5tupleIJPjSI_NS0_16reverse_iteratorISI_EEEEENSH_IJSG_SG_SG_EEES9_SI_JZNS1_25segmented_radix_sort_implINS0_14default_configELb1EPK6__halfPSP_PKlPlN2at6native12_GLOBAL__N_18offset_tEEE10hipError_tPvRmT1_PNSt15iterator_traitsIS13_E10value_typeET2_T3_PNS14_IS19_E10value_typeET4_jRbjT5_S1F_jjP12ihipStream_tbEUljE_ZNSN_ISO_Lb1ESR_SS_SU_SV_SZ_EES10_S11_S12_S13_S17_S18_S19_S1C_S1D_jS1E_jS1F_S1F_jjS1H_bEUljE0_EEES10_S11_S12_S19_S1D_S1F_T6_T7_T9_mT8_S1H_bDpT10_ENKUlT_T0_E_clISt17integral_constantIbLb0EES1V_EEDaS1Q_S1R_EUlS1Q_E_NS1_11comp_targetILNS1_3genE4ELNS1_11target_archE910ELNS1_3gpuE8ELNS1_3repE0EEENS1_30default_config_static_selectorELNS0_4arch9wavefront6targetE1EEEvS13_,comdat
	.globl	_ZN7rocprim17ROCPRIM_400000_NS6detail17trampoline_kernelINS0_13select_configILj256ELj13ELNS0_17block_load_methodE3ELS4_3ELS4_3ELNS0_20block_scan_algorithmE0ELj4294967295EEENS1_25partition_config_selectorILNS1_17partition_subalgoE4EjNS0_10empty_typeEbEEZZNS1_14partition_implILS8_4ELb0ES6_15HIP_vector_typeIjLj2EENS0_17counting_iteratorIjlEEPS9_SG_NS0_5tupleIJPjSI_NS0_16reverse_iteratorISI_EEEEENSH_IJSG_SG_SG_EEES9_SI_JZNS1_25segmented_radix_sort_implINS0_14default_configELb1EPK6__halfPSP_PKlPlN2at6native12_GLOBAL__N_18offset_tEEE10hipError_tPvRmT1_PNSt15iterator_traitsIS13_E10value_typeET2_T3_PNS14_IS19_E10value_typeET4_jRbjT5_S1F_jjP12ihipStream_tbEUljE_ZNSN_ISO_Lb1ESR_SS_SU_SV_SZ_EES10_S11_S12_S13_S17_S18_S19_S1C_S1D_jS1E_jS1F_S1F_jjS1H_bEUljE0_EEES10_S11_S12_S19_S1D_S1F_T6_T7_T9_mT8_S1H_bDpT10_ENKUlT_T0_E_clISt17integral_constantIbLb0EES1V_EEDaS1Q_S1R_EUlS1Q_E_NS1_11comp_targetILNS1_3genE4ELNS1_11target_archE910ELNS1_3gpuE8ELNS1_3repE0EEENS1_30default_config_static_selectorELNS0_4arch9wavefront6targetE1EEEvS13_ ; -- Begin function _ZN7rocprim17ROCPRIM_400000_NS6detail17trampoline_kernelINS0_13select_configILj256ELj13ELNS0_17block_load_methodE3ELS4_3ELS4_3ELNS0_20block_scan_algorithmE0ELj4294967295EEENS1_25partition_config_selectorILNS1_17partition_subalgoE4EjNS0_10empty_typeEbEEZZNS1_14partition_implILS8_4ELb0ES6_15HIP_vector_typeIjLj2EENS0_17counting_iteratorIjlEEPS9_SG_NS0_5tupleIJPjSI_NS0_16reverse_iteratorISI_EEEEENSH_IJSG_SG_SG_EEES9_SI_JZNS1_25segmented_radix_sort_implINS0_14default_configELb1EPK6__halfPSP_PKlPlN2at6native12_GLOBAL__N_18offset_tEEE10hipError_tPvRmT1_PNSt15iterator_traitsIS13_E10value_typeET2_T3_PNS14_IS19_E10value_typeET4_jRbjT5_S1F_jjP12ihipStream_tbEUljE_ZNSN_ISO_Lb1ESR_SS_SU_SV_SZ_EES10_S11_S12_S13_S17_S18_S19_S1C_S1D_jS1E_jS1F_S1F_jjS1H_bEUljE0_EEES10_S11_S12_S19_S1D_S1F_T6_T7_T9_mT8_S1H_bDpT10_ENKUlT_T0_E_clISt17integral_constantIbLb0EES1V_EEDaS1Q_S1R_EUlS1Q_E_NS1_11comp_targetILNS1_3genE4ELNS1_11target_archE910ELNS1_3gpuE8ELNS1_3repE0EEENS1_30default_config_static_selectorELNS0_4arch9wavefront6targetE1EEEvS13_
	.p2align	8
	.type	_ZN7rocprim17ROCPRIM_400000_NS6detail17trampoline_kernelINS0_13select_configILj256ELj13ELNS0_17block_load_methodE3ELS4_3ELS4_3ELNS0_20block_scan_algorithmE0ELj4294967295EEENS1_25partition_config_selectorILNS1_17partition_subalgoE4EjNS0_10empty_typeEbEEZZNS1_14partition_implILS8_4ELb0ES6_15HIP_vector_typeIjLj2EENS0_17counting_iteratorIjlEEPS9_SG_NS0_5tupleIJPjSI_NS0_16reverse_iteratorISI_EEEEENSH_IJSG_SG_SG_EEES9_SI_JZNS1_25segmented_radix_sort_implINS0_14default_configELb1EPK6__halfPSP_PKlPlN2at6native12_GLOBAL__N_18offset_tEEE10hipError_tPvRmT1_PNSt15iterator_traitsIS13_E10value_typeET2_T3_PNS14_IS19_E10value_typeET4_jRbjT5_S1F_jjP12ihipStream_tbEUljE_ZNSN_ISO_Lb1ESR_SS_SU_SV_SZ_EES10_S11_S12_S13_S17_S18_S19_S1C_S1D_jS1E_jS1F_S1F_jjS1H_bEUljE0_EEES10_S11_S12_S19_S1D_S1F_T6_T7_T9_mT8_S1H_bDpT10_ENKUlT_T0_E_clISt17integral_constantIbLb0EES1V_EEDaS1Q_S1R_EUlS1Q_E_NS1_11comp_targetILNS1_3genE4ELNS1_11target_archE910ELNS1_3gpuE8ELNS1_3repE0EEENS1_30default_config_static_selectorELNS0_4arch9wavefront6targetE1EEEvS13_,@function
_ZN7rocprim17ROCPRIM_400000_NS6detail17trampoline_kernelINS0_13select_configILj256ELj13ELNS0_17block_load_methodE3ELS4_3ELS4_3ELNS0_20block_scan_algorithmE0ELj4294967295EEENS1_25partition_config_selectorILNS1_17partition_subalgoE4EjNS0_10empty_typeEbEEZZNS1_14partition_implILS8_4ELb0ES6_15HIP_vector_typeIjLj2EENS0_17counting_iteratorIjlEEPS9_SG_NS0_5tupleIJPjSI_NS0_16reverse_iteratorISI_EEEEENSH_IJSG_SG_SG_EEES9_SI_JZNS1_25segmented_radix_sort_implINS0_14default_configELb1EPK6__halfPSP_PKlPlN2at6native12_GLOBAL__N_18offset_tEEE10hipError_tPvRmT1_PNSt15iterator_traitsIS13_E10value_typeET2_T3_PNS14_IS19_E10value_typeET4_jRbjT5_S1F_jjP12ihipStream_tbEUljE_ZNSN_ISO_Lb1ESR_SS_SU_SV_SZ_EES10_S11_S12_S13_S17_S18_S19_S1C_S1D_jS1E_jS1F_S1F_jjS1H_bEUljE0_EEES10_S11_S12_S19_S1D_S1F_T6_T7_T9_mT8_S1H_bDpT10_ENKUlT_T0_E_clISt17integral_constantIbLb0EES1V_EEDaS1Q_S1R_EUlS1Q_E_NS1_11comp_targetILNS1_3genE4ELNS1_11target_archE910ELNS1_3gpuE8ELNS1_3repE0EEENS1_30default_config_static_selectorELNS0_4arch9wavefront6targetE1EEEvS13_: ; @_ZN7rocprim17ROCPRIM_400000_NS6detail17trampoline_kernelINS0_13select_configILj256ELj13ELNS0_17block_load_methodE3ELS4_3ELS4_3ELNS0_20block_scan_algorithmE0ELj4294967295EEENS1_25partition_config_selectorILNS1_17partition_subalgoE4EjNS0_10empty_typeEbEEZZNS1_14partition_implILS8_4ELb0ES6_15HIP_vector_typeIjLj2EENS0_17counting_iteratorIjlEEPS9_SG_NS0_5tupleIJPjSI_NS0_16reverse_iteratorISI_EEEEENSH_IJSG_SG_SG_EEES9_SI_JZNS1_25segmented_radix_sort_implINS0_14default_configELb1EPK6__halfPSP_PKlPlN2at6native12_GLOBAL__N_18offset_tEEE10hipError_tPvRmT1_PNSt15iterator_traitsIS13_E10value_typeET2_T3_PNS14_IS19_E10value_typeET4_jRbjT5_S1F_jjP12ihipStream_tbEUljE_ZNSN_ISO_Lb1ESR_SS_SU_SV_SZ_EES10_S11_S12_S13_S17_S18_S19_S1C_S1D_jS1E_jS1F_S1F_jjS1H_bEUljE0_EEES10_S11_S12_S19_S1D_S1F_T6_T7_T9_mT8_S1H_bDpT10_ENKUlT_T0_E_clISt17integral_constantIbLb0EES1V_EEDaS1Q_S1R_EUlS1Q_E_NS1_11comp_targetILNS1_3genE4ELNS1_11target_archE910ELNS1_3gpuE8ELNS1_3repE0EEENS1_30default_config_static_selectorELNS0_4arch9wavefront6targetE1EEEvS13_
; %bb.0:
	s_load_dwordx2 s[0:1], s[4:5], 0x68
	s_load_dword s7, s[4:5], 0x8
	s_load_dwordx2 s[56:57], s[4:5], 0x10
	s_load_dwordx4 s[44:47], s[4:5], 0x58
	s_mul_i32 s33, s6, 0xd00
	s_waitcnt lgkmcnt(0)
	v_mov_b32_e32 v3, s1
	v_mov_b32_e32 v2, s0
	s_load_dword s1, s[4:5], 0x80
	s_load_dwordx2 s[60:61], s[4:5], 0xa8
	s_load_dwordx8 s[36:43], s[4:5], 0x88
	s_load_dwordx4 s[48:51], s[46:47], 0x0
	s_waitcnt lgkmcnt(0)
	s_add_i32 s8, s1, -1
	s_mulk_i32 s1, 0xd00
	s_add_u32 s2, s56, s1
	s_addc_u32 s3, s57, 0
	s_cmp_eq_u32 s6, s8
	s_cselect_b64 s[30:31], -1, 0
	s_cmp_lg_u32 s6, s8
	v_cmp_lt_u64_e32 vcc, s[2:3], v[2:3]
	s_cselect_b64 s[2:3], -1, 0
	s_add_i32 s7, s7, s33
	s_or_b64 s[2:3], s[2:3], vcc
	s_add_i32 s7, s7, s56
	v_add_u32_e32 v1, s7, v0
	s_mov_b64 s[8:9], -1
	s_and_b64 vcc, exec, s[2:3]
	s_cbranch_vccz .LBB1675_2
; %bb.1:
	v_add_u32_e32 v2, 0x100, v1
	v_lshlrev_b32_e32 v14, 2, v0
	v_add_u32_e32 v3, 0x200, v1
	v_add_u32_e32 v4, 0x300, v1
	v_add_u32_e32 v5, 0x400, v1
	v_add_u32_e32 v6, 0x500, v1
	v_add_u32_e32 v7, 0x600, v1
	v_add_u32_e32 v8, 0x700, v1
	v_add_u32_e32 v9, 0x800, v1
	v_add_u32_e32 v10, 0x900, v1
	v_add_u32_e32 v11, 0xa00, v1
	v_add_u32_e32 v12, 0xb00, v1
	v_add_u32_e32 v13, 0xc00, v1
	ds_write2st64_b32 v14, v1, v2 offset1:4
	ds_write2st64_b32 v14, v3, v4 offset0:8 offset1:12
	ds_write2st64_b32 v14, v5, v6 offset0:16 offset1:20
	;; [unrolled: 1-line block ×5, first 2 shown]
	ds_write_b32 v14, v13 offset:12288
	s_waitcnt lgkmcnt(0)
	s_barrier
	s_mov_b64 s[8:9], 0
.LBB1675_2:
	s_andn2_b64 vcc, exec, s[8:9]
	s_add_i32 s1, s1, s56
	s_cbranch_vccnz .LBB1675_4
; %bb.3:
	v_add_u32_e32 v2, 0x100, v1
	v_lshlrev_b32_e32 v14, 2, v0
	v_add_u32_e32 v3, 0x200, v1
	v_add_u32_e32 v4, 0x300, v1
	;; [unrolled: 1-line block ×11, first 2 shown]
	ds_write2st64_b32 v14, v1, v2 offset1:4
	ds_write2st64_b32 v14, v3, v4 offset0:8 offset1:12
	ds_write2st64_b32 v14, v5, v6 offset0:16 offset1:20
	ds_write2st64_b32 v14, v7, v8 offset0:24 offset1:28
	ds_write2st64_b32 v14, v9, v10 offset0:32 offset1:36
	ds_write2st64_b32 v14, v11, v12 offset0:40 offset1:44
	ds_write_b32 v14, v13 offset:12288
	s_waitcnt lgkmcnt(0)
	s_barrier
.LBB1675_4:
	v_mul_u32_u24_e32 v31, 13, v0
	v_lshlrev_b32_e32 v1, 2, v31
	s_load_dwordx4 s[52:55], s[4:5], 0x28
	s_load_dwordx2 s[34:35], s[4:5], 0x38
	s_waitcnt lgkmcnt(0)
	ds_read2_b32 v[18:19], v1 offset1:1
	ds_read2_b32 v[16:17], v1 offset0:2 offset1:3
	ds_read2_b32 v[14:15], v1 offset0:4 offset1:5
	;; [unrolled: 1-line block ×5, first 2 shown]
	ds_read_b32 v30, v1 offset:48
	v_cndmask_b32_e64 v1, 0, 1, s[2:3]
	s_sub_i32 s7, s0, s1
	v_cmp_ne_u32_e64 s[0:1], 1, v1
	s_andn2_b64 vcc, exec, s[2:3]
	s_waitcnt lgkmcnt(0)
	s_barrier
	s_cbranch_vccnz .LBB1675_32
; %bb.5:
	v_add_u32_e32 v1, s37, v18
	v_add_u32_e32 v2, s39, v18
	v_mul_lo_u32 v1, v1, s36
	v_mul_lo_u32 v2, v2, s38
	v_sub_u32_e32 v1, v1, v2
	v_cmp_lt_u32_e32 vcc, s40, v1
	v_cmp_ge_u32_e64 s[2:3], s40, v1
	s_mov_b64 s[64:65], 0
	s_mov_b64 s[62:63], 0
	s_and_saveexec_b64 s[8:9], s[2:3]
; %bb.6:
	v_add_u32_e32 v1, s42, v18
	v_add_u32_e32 v2, s60, v18
	v_mul_lo_u32 v1, v1, s41
	v_mul_lo_u32 v2, v2, s43
	v_sub_u32_e32 v1, v1, v2
	v_cmp_lt_u32_e64 s[2:3], s61, v1
	s_and_b64 s[62:63], s[2:3], exec
; %bb.7:
	s_or_b64 exec, exec, s[8:9]
	v_add_u32_e32 v1, s37, v19
	v_add_u32_e32 v2, s39, v19
	v_mul_lo_u32 v1, v1, s36
	v_mul_lo_u32 v2, v2, s38
	v_sub_u32_e32 v1, v1, v2
	v_cmp_lt_u32_e64 s[2:3], s40, v1
	v_cmp_ge_u32_e64 s[8:9], s40, v1
	s_and_saveexec_b64 s[10:11], s[8:9]
; %bb.8:
	v_add_u32_e32 v1, s42, v19
	v_add_u32_e32 v2, s60, v19
	v_mul_lo_u32 v1, v1, s41
	v_mul_lo_u32 v2, v2, s43
	v_sub_u32_e32 v1, v1, v2
	v_cmp_lt_u32_e64 s[8:9], s61, v1
	s_and_b64 s[64:65], s[8:9], exec
; %bb.9:
	s_or_b64 exec, exec, s[10:11]
	v_add_u32_e32 v1, s37, v16
	v_add_u32_e32 v2, s39, v16
	v_mul_lo_u32 v1, v1, s36
	v_mul_lo_u32 v2, v2, s38
	v_sub_u32_e32 v1, v1, v2
	v_cmp_lt_u32_e64 s[26:27], s40, v1
	v_cmp_ge_u32_e64 s[8:9], s40, v1
	s_mov_b64 s[68:69], 0
	s_mov_b64 s[66:67], 0
	s_and_saveexec_b64 s[10:11], s[8:9]
; %bb.10:
	v_add_u32_e32 v1, s42, v16
	v_add_u32_e32 v2, s60, v16
	v_mul_lo_u32 v1, v1, s41
	v_mul_lo_u32 v2, v2, s43
	v_sub_u32_e32 v1, v1, v2
	v_cmp_lt_u32_e64 s[8:9], s61, v1
	s_and_b64 s[66:67], s[8:9], exec
; %bb.11:
	s_or_b64 exec, exec, s[10:11]
	v_add_u32_e32 v1, s37, v17
	v_add_u32_e32 v2, s39, v17
	v_mul_lo_u32 v1, v1, s36
	v_mul_lo_u32 v2, v2, s38
	v_sub_u32_e32 v1, v1, v2
	v_cmp_lt_u32_e64 s[8:9], s40, v1
	v_cmp_ge_u32_e64 s[10:11], s40, v1
	s_and_saveexec_b64 s[12:13], s[10:11]
; %bb.12:
	v_add_u32_e32 v1, s42, v17
	v_add_u32_e32 v2, s60, v17
	v_mul_lo_u32 v1, v1, s41
	v_mul_lo_u32 v2, v2, s43
	v_sub_u32_e32 v1, v1, v2
	v_cmp_lt_u32_e64 s[10:11], s61, v1
	s_and_b64 s[68:69], s[10:11], exec
; %bb.13:
	s_or_b64 exec, exec, s[12:13]
	v_add_u32_e32 v1, s37, v14
	v_add_u32_e32 v2, s39, v14
	v_mul_lo_u32 v1, v1, s36
	v_mul_lo_u32 v2, v2, s38
	v_sub_u32_e32 v1, v1, v2
	v_cmp_lt_u32_e64 s[10:11], s40, v1
	;; [unrolled: 38-line block ×5, first 2 shown]
	v_cmp_ge_u32_e64 s[24:25], s40, v1
	s_mov_b64 s[84:85], 0
	s_mov_b64 s[86:87], 0
	s_and_saveexec_b64 s[28:29], s[24:25]
; %bb.26:
	v_add_u32_e32 v1, s42, v8
	v_add_u32_e32 v2, s60, v8
	v_mul_lo_u32 v1, v1, s41
	v_mul_lo_u32 v2, v2, s43
	v_sub_u32_e32 v1, v1, v2
	v_cmp_lt_u32_e64 s[24:25], s61, v1
	s_and_b64 s[86:87], s[24:25], exec
; %bb.27:
	s_or_b64 exec, exec, s[28:29]
	v_add_u32_e32 v1, s37, v9
	v_add_u32_e32 v2, s39, v9
	v_mul_lo_u32 v1, v1, s36
	v_mul_lo_u32 v2, v2, s38
	v_sub_u32_e32 v1, v1, v2
	v_cmp_lt_u32_e64 s[24:25], s40, v1
	v_cmp_ge_u32_e64 s[28:29], s40, v1
	s_and_saveexec_b64 s[46:47], s[28:29]
; %bb.28:
	v_add_u32_e32 v1, s42, v9
	v_add_u32_e32 v2, s60, v9
	v_mul_lo_u32 v1, v1, s41
	v_mul_lo_u32 v2, v2, s43
	v_sub_u32_e32 v1, v1, v2
	v_cmp_lt_u32_e64 s[28:29], s61, v1
	s_and_b64 s[84:85], s[28:29], exec
; %bb.29:
	s_or_b64 exec, exec, s[46:47]
	v_add_u32_e32 v1, s37, v30
	v_add_u32_e32 v2, s39, v30
	v_mul_lo_u32 v1, v1, s36
	v_mul_lo_u32 v2, v2, s38
	v_sub_u32_e32 v1, v1, v2
	v_cmp_ge_u32_e64 s[28:29], s40, v1
	s_mov_b64 s[46:47], -1
	s_mov_b64 s[78:79], 0
	s_mov_b64 s[58:59], 0
	s_and_saveexec_b64 s[88:89], s[28:29]
; %bb.30:
	v_add_u32_e32 v1, s42, v30
	v_add_u32_e32 v2, s60, v30
	v_mul_lo_u32 v1, v1, s41
	v_mul_lo_u32 v2, v2, s43
	v_sub_u32_e32 v1, v1, v2
	v_cmp_lt_u32_e64 s[28:29], s61, v1
	s_and_b64 s[58:59], s[28:29], exec
	s_xor_b64 s[46:47], exec, -1
; %bb.31:
	s_or_b64 exec, exec, s[88:89]
	v_cndmask_b32_e64 v52, 0, 1, s[86:87]
	v_cndmask_b32_e64 v55, 0, 1, s[24:25]
	;; [unrolled: 1-line block ×22, first 2 shown]
	v_cndmask_b32_e64 v32, 0, 1, vcc
	v_cndmask_b32_e64 v54, 0, 1, s[84:85]
	s_load_dwordx2 s[12:13], s[4:5], 0x78
	s_add_i32 s18, s7, 0xd00
	s_and_b64 vcc, exec, s[78:79]
	s_cbranch_vccnz .LBB1675_33
	s_branch .LBB1675_86
.LBB1675_32:
                                        ; implicit-def: $sgpr46_sgpr47
                                        ; implicit-def: $sgpr58_sgpr59
                                        ; implicit-def: $vgpr54
                                        ; implicit-def: $vgpr52
                                        ; implicit-def: $vgpr50
                                        ; implicit-def: $vgpr48
                                        ; implicit-def: $vgpr46
                                        ; implicit-def: $vgpr44
                                        ; implicit-def: $vgpr42
                                        ; implicit-def: $vgpr40
                                        ; implicit-def: $vgpr38
                                        ; implicit-def: $vgpr32
                                        ; implicit-def: $vgpr34
                                        ; implicit-def: $vgpr36
                                        ; implicit-def: $vgpr39
                                        ; implicit-def: $vgpr41
                                        ; implicit-def: $vgpr43
                                        ; implicit-def: $vgpr45
                                        ; implicit-def: $vgpr47
                                        ; implicit-def: $vgpr49
                                        ; implicit-def: $vgpr51
                                        ; implicit-def: $vgpr53
                                        ; implicit-def: $vgpr55
                                        ; implicit-def: $vgpr33
                                        ; implicit-def: $vgpr35
                                        ; implicit-def: $vgpr37
	s_load_dwordx2 s[12:13], s[4:5], 0x78
	s_add_i32 s18, s7, 0xd00
	s_cbranch_execz .LBB1675_86
.LBB1675_33:
	v_cmp_gt_u32_e32 vcc, s18, v31
	v_mov_b32_e32 v33, 0
	v_mov_b32_e32 v32, 0
	s_and_saveexec_b64 s[4:5], vcc
	s_cbranch_execz .LBB1675_37
; %bb.34:
	v_add_u32_e32 v1, s37, v18
	v_add_u32_e32 v2, s39, v18
	v_mul_lo_u32 v1, v1, s36
	v_mul_lo_u32 v2, v2, s38
	v_sub_u32_e32 v1, v1, v2
	v_cmp_lt_u32_e32 vcc, s40, v1
	v_cmp_ge_u32_e64 s[2:3], s40, v1
	s_mov_b64 s[10:11], 0
	s_and_saveexec_b64 s[8:9], s[2:3]
; %bb.35:
	v_add_u32_e32 v1, s42, v18
	v_add_u32_e32 v2, s60, v18
	v_mul_lo_u32 v1, v1, s41
	v_mul_lo_u32 v2, v2, s43
	v_sub_u32_e32 v1, v1, v2
	v_cmp_lt_u32_e64 s[2:3], s61, v1
	s_and_b64 s[10:11], s[2:3], exec
; %bb.36:
	s_or_b64 exec, exec, s[8:9]
	v_cndmask_b32_e64 v32, 0, 1, vcc
	v_cndmask_b32_e64 v33, 0, 1, s[10:11]
.LBB1675_37:
	s_or_b64 exec, exec, s[4:5]
	v_add_u32_e32 v1, 1, v31
	v_cmp_gt_u32_e32 vcc, s18, v1
	v_mov_b32_e32 v34, 0
	v_mov_b32_e32 v35, 0
	s_and_saveexec_b64 s[4:5], vcc
	s_cbranch_execz .LBB1675_41
; %bb.38:
	v_add_u32_e32 v1, s37, v19
	v_add_u32_e32 v2, s39, v19
	v_mul_lo_u32 v1, v1, s36
	v_mul_lo_u32 v2, v2, s38
	v_sub_u32_e32 v1, v1, v2
	v_cmp_lt_u32_e32 vcc, s40, v1
	v_cmp_ge_u32_e64 s[2:3], s40, v1
	s_mov_b64 s[10:11], 0
	s_and_saveexec_b64 s[8:9], s[2:3]
; %bb.39:
	v_add_u32_e32 v1, s42, v19
	v_add_u32_e32 v2, s60, v19
	v_mul_lo_u32 v1, v1, s41
	v_mul_lo_u32 v2, v2, s43
	v_sub_u32_e32 v1, v1, v2
	v_cmp_lt_u32_e64 s[2:3], s61, v1
	s_and_b64 s[10:11], s[2:3], exec
; %bb.40:
	s_or_b64 exec, exec, s[8:9]
	v_cndmask_b32_e64 v34, 0, 1, vcc
	v_cndmask_b32_e64 v35, 0, 1, s[10:11]
.LBB1675_41:
	s_or_b64 exec, exec, s[4:5]
	v_add_u32_e32 v1, 2, v31
	;; [unrolled: 30-line block ×12, first 2 shown]
	v_cmp_gt_u32_e32 vcc, s18, v1
	s_mov_b64 s[46:47], 0
	s_mov_b64 s[58:59], 0
	s_and_saveexec_b64 s[2:3], vcc
	s_cbranch_execz .LBB1675_85
; %bb.82:
	v_add_u32_e32 v1, s37, v30
	v_add_u32_e32 v2, s39, v30
	v_mul_lo_u32 v1, v1, s36
	v_mul_lo_u32 v2, v2, s38
	v_sub_u32_e32 v1, v1, v2
	v_cmp_ge_u32_e32 vcc, s40, v1
	s_mov_b64 s[8:9], -1
	s_mov_b64 s[10:11], 0
	s_and_saveexec_b64 s[4:5], vcc
; %bb.83:
	v_add_u32_e32 v1, s42, v30
	v_add_u32_e32 v2, s60, v30
	v_mul_lo_u32 v1, v1, s41
	v_mul_lo_u32 v2, v2, s43
	v_sub_u32_e32 v1, v1, v2
	v_cmp_lt_u32_e32 vcc, s61, v1
	s_and_b64 s[10:11], vcc, exec
	s_xor_b64 s[8:9], exec, -1
; %bb.84:
	s_or_b64 exec, exec, s[4:5]
	s_and_b64 s[58:59], s[10:11], exec
	s_and_b64 s[46:47], s[8:9], exec
.LBB1675_85:
	s_or_b64 exec, exec, s[2:3]
.LBB1675_86:
	v_and_b32_e32 v63, 0xff, v33
	v_and_b32_e32 v74, 0xff, v35
	;; [unrolled: 1-line block ×5, first 2 shown]
	v_add3_u32 v2, v74, v65, v63
	v_and_b32_e32 v76, 0xff, v42
	v_and_b32_e32 v69, 0xff, v44
	v_add3_u32 v2, v2, v75, v67
	v_and_b32_e32 v62, 0xff, v32
	v_and_b32_e32 v56, 0xff, v34
	;; [unrolled: 1-line block ×5, first 2 shown]
	v_add3_u32 v2, v2, v76, v69
	v_and_b32_e32 v57, 0xff, v39
	v_and_b32_e32 v66, 0xff, v41
	;; [unrolled: 1-line block ×4, first 2 shown]
	v_add3_u32 v3, v56, v64, v62
	v_add3_u32 v2, v2, v77, v71
	v_and_b32_e32 v58, 0xff, v43
	v_and_b32_e32 v68, 0xff, v45
	;; [unrolled: 1-line block ×3, first 2 shown]
	v_cndmask_b32_e64 v1, 0, 1, s[58:59]
	v_add3_u32 v3, v3, v57, v66
	v_add3_u32 v2, v2, v78, v73
	v_and_b32_e32 v59, 0xff, v47
	v_and_b32_e32 v70, 0xff, v49
	v_add3_u32 v3, v3, v58, v68
	v_add3_u32 v86, v2, v79, v1
	v_mbcnt_lo_u32_b32 v1, -1, 0
	v_and_b32_e32 v60, 0xff, v51
	v_and_b32_e32 v72, 0xff, v53
	v_add3_u32 v3, v3, v59, v70
	v_mbcnt_hi_u32_b32 v80, -1, v1
	v_and_b32_e32 v61, 0xff, v55
	v_add3_u32 v3, v3, v60, v72
	v_cndmask_b32_e64 v4, 0, 1, s[46:47]
	v_and_b32_e32 v84, 15, v80
	s_cmp_lg_u32 s6, 0
	v_add3_u32 v85, v3, v61, v4
	v_cmp_eq_u32_e64 s[4:5], 0, v84
	v_cmp_lt_u32_e64 s[2:3], 1, v84
	v_cmp_lt_u32_e64 s[8:9], 3, v84
	;; [unrolled: 1-line block ×3, first 2 shown]
	v_and_b32_e32 v83, 16, v80
	v_cmp_lt_u32_e32 vcc, 31, v80
	v_lshrrev_b32_e32 v81, 6, v0
	v_or_b32_e32 v82, 63, v0
	s_cbranch_scc0 .LBB1675_115
; %bb.87:
	v_mov_b32_dpp v1, v85 row_shr:1 row_mask:0xf bank_mask:0xf
	v_mov_b32_dpp v2, v86 row_shr:1 row_mask:0xf bank_mask:0xf
	v_add_u32_e32 v1, v1, v85
	v_add_u32_e32 v2, v2, v86
	v_cndmask_b32_e64 v2, v2, v86, s[4:5]
	v_cndmask_b32_e64 v1, v1, v85, s[4:5]
	s_nop 0
	v_mov_b32_dpp v4, v2 row_shr:2 row_mask:0xf bank_mask:0xf
	v_mov_b32_dpp v3, v1 row_shr:2 row_mask:0xf bank_mask:0xf
	v_add_u32_e32 v3, v1, v3
	v_add_u32_e32 v4, v2, v4
	v_cndmask_b32_e64 v2, v2, v4, s[2:3]
	v_cndmask_b32_e64 v1, v1, v3, s[2:3]
	s_nop 0
	v_mov_b32_dpp v4, v2 row_shr:4 row_mask:0xf bank_mask:0xf
	v_mov_b32_dpp v3, v1 row_shr:4 row_mask:0xf bank_mask:0xf
	v_add_u32_e32 v3, v1, v3
	v_add_u32_e32 v4, v2, v4
	v_cndmask_b32_e64 v2, v2, v4, s[8:9]
	v_cndmask_b32_e64 v1, v1, v3, s[8:9]
	v_cmp_eq_u32_e64 s[8:9], 0, v83
	v_mov_b32_dpp v4, v2 row_shr:8 row_mask:0xf bank_mask:0xf
	v_mov_b32_dpp v3, v1 row_shr:8 row_mask:0xf bank_mask:0xf
	v_add_u32_e32 v3, v1, v3
	v_add_u32_e32 v4, v2, v4
	v_cndmask_b32_e64 v2, v2, v4, s[10:11]
	v_cndmask_b32_e64 v1, v1, v3, s[10:11]
	s_nop 0
	v_mov_b32_dpp v4, v2 row_bcast:15 row_mask:0xf bank_mask:0xf
	v_mov_b32_dpp v3, v1 row_bcast:15 row_mask:0xf bank_mask:0xf
	v_add_u32_e32 v3, v1, v3
	v_add_u32_e32 v4, v2, v4
	v_cndmask_b32_e64 v2, v4, v2, s[8:9]
	v_cndmask_b32_e64 v1, v3, v1, s[8:9]
	s_nop 0
	v_mov_b32_dpp v4, v2 row_bcast:31 row_mask:0xf bank_mask:0xf
	v_mov_b32_dpp v3, v1 row_bcast:31 row_mask:0xf bank_mask:0xf
	v_add_u32_e32 v4, v2, v4
	v_add_u32_e32 v5, v1, v3
	v_cndmask_b32_e32 v3, v2, v4, vcc
	v_cndmask_b32_e32 v2, v1, v5, vcc
	v_cmp_eq_u32_e32 vcc, v82, v0
	s_and_saveexec_b64 s[8:9], vcc
	s_cbranch_execz .LBB1675_89
; %bb.88:
	v_lshlrev_b32_e32 v1, 3, v81
	ds_write_b64 v1, v[2:3]
.LBB1675_89:
	s_or_b64 exec, exec, s[8:9]
	v_cmp_gt_u32_e32 vcc, 4, v0
	s_waitcnt lgkmcnt(0)
	s_barrier
	s_and_saveexec_b64 s[8:9], vcc
	s_cbranch_execz .LBB1675_91
; %bb.90:
	v_lshlrev_b32_e32 v1, 3, v0
	ds_read_b64 v[4:5], v1
	v_and_b32_e32 v6, 3, v80
	v_cmp_eq_u32_e32 vcc, 0, v6
	s_waitcnt lgkmcnt(0)
	v_mov_b32_dpp v7, v4 row_shr:1 row_mask:0xf bank_mask:0xf
	v_mov_b32_dpp v20, v5 row_shr:1 row_mask:0xf bank_mask:0xf
	v_add_u32_e32 v7, v7, v4
	v_add_u32_e32 v20, v20, v5
	v_cndmask_b32_e32 v5, v20, v5, vcc
	v_cndmask_b32_e32 v4, v7, v4, vcc
	v_cmp_lt_u32_e32 vcc, 1, v6
	v_mov_b32_dpp v20, v5 row_shr:2 row_mask:0xf bank_mask:0xf
	v_mov_b32_dpp v7, v4 row_shr:2 row_mask:0xf bank_mask:0xf
	v_cndmask_b32_e32 v6, 0, v7, vcc
	v_cndmask_b32_e32 v7, 0, v20, vcc
	v_add_u32_e32 v5, v7, v5
	v_add_u32_e32 v4, v6, v4
	ds_write_b64 v1, v[4:5]
.LBB1675_91:
	s_or_b64 exec, exec, s[8:9]
	v_cmp_gt_u32_e32 vcc, 64, v0
	v_cmp_lt_u32_e64 s[8:9], 63, v0
	s_waitcnt lgkmcnt(0)
	s_barrier
	s_waitcnt lgkmcnt(0)
                                        ; implicit-def: $vgpr21
	s_and_saveexec_b64 s[10:11], s[8:9]
	s_xor_b64 s[8:9], exec, s[10:11]
	s_cbranch_execz .LBB1675_93
; %bb.92:
	v_lshl_add_u32 v1, v81, 3, -8
	ds_read_b64 v[20:21], v1
	s_waitcnt lgkmcnt(0)
	v_add_u32_e32 v3, v21, v3
	v_add_u32_e32 v2, v20, v2
.LBB1675_93:
	s_andn2_saveexec_b64 s[8:9], s[8:9]
; %bb.94:
                                        ; implicit-def: $vgpr20
; %bb.95:
	s_or_b64 exec, exec, s[8:9]
	v_add_u32_e32 v1, -1, v80
	v_and_b32_e32 v4, 64, v80
	v_cmp_lt_i32_e64 s[8:9], v1, v4
	v_cndmask_b32_e64 v1, v1, v80, s[8:9]
	v_lshlrev_b32_e32 v4, 2, v1
	ds_bpermute_b32 v1, v4, v2
	ds_bpermute_b32 v87, v4, v3
	v_cmp_eq_u32_e64 s[8:9], 0, v80
	s_and_saveexec_b64 s[10:11], vcc
	s_cbranch_execz .LBB1675_114
; %bb.96:
	v_mov_b32_e32 v7, 0
	ds_read_b64 v[22:23], v7 offset:24
	s_and_saveexec_b64 s[14:15], s[8:9]
	s_cbranch_execz .LBB1675_98
; %bb.97:
	s_add_i32 s16, s6, 64
	s_mov_b32 s17, 0
	s_lshl_b64 s[16:17], s[16:17], 4
	s_waitcnt lgkmcnt(0)
	v_and_b32_e32 v2, 0xff000000, v23
	v_and_b32_e32 v3, 0xff0000, v23
	s_add_u32 s16, s12, s16
	v_or_b32_e32 v2, v3, v2
	v_and_b32_e32 v3, 0xff00, v23
	s_addc_u32 s17, s13, s17
	v_or_b32_e32 v2, v2, v3
	v_or_b32_sdwa v5, v2, v23 dst_sel:DWORD dst_unused:UNUSED_PAD src0_sel:DWORD src1_sel:BYTE_0
	v_mov_b32_e32 v6, 1
	v_mov_b32_e32 v4, v22
	v_pk_mov_b32 v[2:3], s[16:17], s[16:17] op_sel:[0,1]
	;;#ASMSTART
	global_store_dwordx4 v[2:3], v[4:7] off	
s_waitcnt vmcnt(0)
	;;#ASMEND
.LBB1675_98:
	s_or_b64 exec, exec, s[14:15]
	v_xad_u32 v24, v80, -1, s6
	v_add_u32_e32 v6, 64, v24
	v_lshlrev_b64 v[2:3], 4, v[6:7]
	v_mov_b32_e32 v4, s13
	v_add_co_u32_e32 v26, vcc, s12, v2
	v_addc_co_u32_e32 v27, vcc, v4, v3, vcc
	;;#ASMSTART
	global_load_dwordx4 v[2:5], v[26:27] off glc	
s_waitcnt vmcnt(0)
	;;#ASMEND
	v_and_b32_e32 v5, 0xff, v3
	v_and_b32_e32 v6, 0xff00, v3
	v_or3_b32 v5, 0, v5, v6
	v_or3_b32 v2, v2, 0, 0
	v_and_b32_e32 v6, 0xff000000, v3
	v_and_b32_e32 v3, 0xff0000, v3
	v_or3_b32 v3, v5, v3, v6
	v_or3_b32 v2, v2, 0, 0
	v_cmp_eq_u16_sdwa s[16:17], v4, v7 src0_sel:BYTE_0 src1_sel:DWORD
	s_and_saveexec_b64 s[14:15], s[16:17]
	s_cbranch_execz .LBB1675_102
; %bb.99:
	s_mov_b64 s[16:17], 0
	v_mov_b32_e32 v6, 0
.LBB1675_100:                           ; =>This Inner Loop Header: Depth=1
	;;#ASMSTART
	global_load_dwordx4 v[2:5], v[26:27] off glc	
s_waitcnt vmcnt(0)
	;;#ASMEND
	v_cmp_ne_u16_sdwa s[20:21], v4, v6 src0_sel:BYTE_0 src1_sel:DWORD
	s_or_b64 s[16:17], s[20:21], s[16:17]
	s_andn2_b64 exec, exec, s[16:17]
	s_cbranch_execnz .LBB1675_100
; %bb.101:
	s_or_b64 exec, exec, s[16:17]
.LBB1675_102:
	s_or_b64 exec, exec, s[14:15]
	v_and_b32_e32 v89, 63, v80
	v_cmp_ne_u32_e32 vcc, 63, v89
	v_mov_b32_e32 v88, 2
	v_addc_co_u32_e32 v26, vcc, 0, v80, vcc
	v_cmp_eq_u16_sdwa s[14:15], v4, v88 src0_sel:BYTE_0 src1_sel:DWORD
	v_lshlrev_b64 v[6:7], v80, -1
	v_lshlrev_b32_e32 v90, 2, v26
	v_and_b32_e32 v5, s15, v7
	ds_bpermute_b32 v26, v90, v2
	ds_bpermute_b32 v27, v90, v3
	v_or_b32_e32 v5, 0x80000000, v5
	v_and_b32_e32 v25, s14, v6
	v_ffbl_b32_e32 v5, v5
	v_add_u32_e32 v5, 32, v5
	v_ffbl_b32_e32 v25, v25
	v_min_u32_e32 v5, v25, v5
	s_waitcnt lgkmcnt(1)
	v_add_u32_e32 v25, v26, v2
	s_waitcnt lgkmcnt(0)
	v_add_u32_e32 v26, v27, v3
	v_cmp_lt_u32_e32 vcc, v89, v5
	v_cndmask_b32_e32 v3, v3, v26, vcc
	v_cndmask_b32_e32 v2, v2, v25, vcc
	v_cmp_gt_u32_e32 vcc, 62, v89
	v_cndmask_b32_e64 v25, 0, 1, vcc
	v_lshlrev_b32_e32 v25, 1, v25
	v_add_lshl_u32 v91, v25, v80, 2
	ds_bpermute_b32 v25, v91, v2
	ds_bpermute_b32 v26, v91, v3
	v_add_u32_e32 v92, 2, v89
	v_cmp_gt_u32_e32 vcc, v92, v5
	v_add_u32_e32 v94, 4, v89
	s_waitcnt lgkmcnt(1)
	v_add_u32_e32 v25, v2, v25
	s_waitcnt lgkmcnt(0)
	v_add_u32_e32 v26, v3, v26
	v_cndmask_b32_e32 v3, v26, v3, vcc
	v_cndmask_b32_e32 v2, v25, v2, vcc
	v_cmp_gt_u32_e32 vcc, 60, v89
	v_cndmask_b32_e64 v25, 0, 1, vcc
	v_lshlrev_b32_e32 v25, 2, v25
	v_add_lshl_u32 v93, v25, v80, 2
	ds_bpermute_b32 v25, v93, v2
	ds_bpermute_b32 v26, v93, v3
	v_cmp_gt_u32_e32 vcc, v94, v5
	v_add_u32_e32 v96, 8, v89
	v_add_u32_e32 v98, 16, v89
	s_waitcnt lgkmcnt(1)
	v_add_u32_e32 v25, v2, v25
	s_waitcnt lgkmcnt(0)
	v_add_u32_e32 v26, v3, v26
	v_cndmask_b32_e32 v3, v26, v3, vcc
	v_cndmask_b32_e32 v2, v25, v2, vcc
	v_cmp_gt_u32_e32 vcc, 56, v89
	v_cndmask_b32_e64 v25, 0, 1, vcc
	v_lshlrev_b32_e32 v25, 3, v25
	v_add_lshl_u32 v95, v25, v80, 2
	ds_bpermute_b32 v25, v95, v2
	ds_bpermute_b32 v26, v95, v3
	v_cmp_gt_u32_e32 vcc, v96, v5
	v_add_u32_e32 v100, 32, v89
	s_waitcnt lgkmcnt(1)
	v_add_u32_e32 v25, v2, v25
	s_waitcnt lgkmcnt(0)
	v_add_u32_e32 v26, v3, v26
	v_cndmask_b32_e32 v3, v26, v3, vcc
	v_cndmask_b32_e32 v2, v25, v2, vcc
	v_cmp_gt_u32_e32 vcc, 48, v89
	v_cndmask_b32_e64 v25, 0, 1, vcc
	v_lshlrev_b32_e32 v25, 4, v25
	v_add_lshl_u32 v97, v25, v80, 2
	ds_bpermute_b32 v25, v97, v2
	ds_bpermute_b32 v26, v97, v3
	v_cmp_gt_u32_e32 vcc, v98, v5
	s_waitcnt lgkmcnt(1)
	v_add_u32_e32 v25, v2, v25
	s_waitcnt lgkmcnt(0)
	v_add_u32_e32 v26, v3, v26
	v_cndmask_b32_e32 v3, v26, v3, vcc
	v_cndmask_b32_e32 v2, v25, v2, vcc
	v_cmp_gt_u32_e32 vcc, 32, v89
	v_cndmask_b32_e64 v25, 0, 1, vcc
	v_lshlrev_b32_e32 v25, 5, v25
	v_add_lshl_u32 v99, v25, v80, 2
	ds_bpermute_b32 v25, v99, v2
	ds_bpermute_b32 v26, v99, v3
	v_cmp_le_u32_e32 vcc, v100, v5
	s_waitcnt lgkmcnt(1)
	v_cndmask_b32_e32 v5, 0, v25, vcc
	s_waitcnt lgkmcnt(0)
	v_cndmask_b32_e32 v25, 0, v26, vcc
	v_add_u32_e32 v3, v3, v25
	v_add_u32_e32 v2, v2, v5
	v_mov_b32_e32 v25, 0
	s_branch .LBB1675_104
.LBB1675_103:                           ;   in Loop: Header=BB1675_104 Depth=1
	s_or_b64 exec, exec, s[14:15]
	v_cmp_eq_u16_sdwa s[14:15], v4, v88 src0_sel:BYTE_0 src1_sel:DWORD
	v_and_b32_e32 v5, s15, v7
	ds_bpermute_b32 v29, v90, v2
	ds_bpermute_b32 v101, v90, v3
	v_or_b32_e32 v5, 0x80000000, v5
	v_and_b32_e32 v28, s14, v6
	v_ffbl_b32_e32 v5, v5
	v_add_u32_e32 v5, 32, v5
	v_ffbl_b32_e32 v28, v28
	v_min_u32_e32 v5, v28, v5
	s_waitcnt lgkmcnt(1)
	v_add_u32_e32 v28, v29, v2
	s_waitcnt lgkmcnt(0)
	v_add_u32_e32 v29, v101, v3
	v_cmp_lt_u32_e32 vcc, v89, v5
	v_cndmask_b32_e32 v3, v3, v29, vcc
	v_cndmask_b32_e32 v2, v2, v28, vcc
	ds_bpermute_b32 v28, v91, v2
	ds_bpermute_b32 v29, v91, v3
	v_cmp_gt_u32_e32 vcc, v92, v5
	v_subrev_u32_e32 v24, 64, v24
	s_waitcnt lgkmcnt(1)
	v_add_u32_e32 v28, v2, v28
	s_waitcnt lgkmcnt(0)
	v_add_u32_e32 v29, v3, v29
	v_cndmask_b32_e32 v3, v29, v3, vcc
	v_cndmask_b32_e32 v2, v28, v2, vcc
	ds_bpermute_b32 v28, v93, v2
	ds_bpermute_b32 v29, v93, v3
	v_cmp_gt_u32_e32 vcc, v94, v5
	s_waitcnt lgkmcnt(1)
	v_add_u32_e32 v28, v2, v28
	s_waitcnt lgkmcnt(0)
	v_add_u32_e32 v29, v3, v29
	v_cndmask_b32_e32 v3, v29, v3, vcc
	v_cndmask_b32_e32 v2, v28, v2, vcc
	ds_bpermute_b32 v28, v95, v2
	ds_bpermute_b32 v29, v95, v3
	v_cmp_gt_u32_e32 vcc, v96, v5
	;; [unrolled: 9-line block ×3, first 2 shown]
	s_waitcnt lgkmcnt(1)
	v_add_u32_e32 v28, v2, v28
	s_waitcnt lgkmcnt(0)
	v_add_u32_e32 v29, v3, v29
	v_cndmask_b32_e32 v3, v29, v3, vcc
	v_cndmask_b32_e32 v2, v28, v2, vcc
	ds_bpermute_b32 v28, v99, v2
	ds_bpermute_b32 v29, v99, v3
	v_cmp_le_u32_e32 vcc, v100, v5
	s_waitcnt lgkmcnt(1)
	v_cndmask_b32_e32 v5, 0, v28, vcc
	s_waitcnt lgkmcnt(0)
	v_cndmask_b32_e32 v28, 0, v29, vcc
	v_add3_u32 v3, v28, v27, v3
	v_add3_u32 v2, v5, v26, v2
.LBB1675_104:                           ; =>This Loop Header: Depth=1
                                        ;     Child Loop BB1675_107 Depth 2
	v_cmp_ne_u16_sdwa s[14:15], v4, v88 src0_sel:BYTE_0 src1_sel:DWORD
	v_cndmask_b32_e64 v4, 0, 1, s[14:15]
	;;#ASMSTART
	;;#ASMEND
	v_cmp_ne_u32_e32 vcc, 0, v4
	s_cmp_lg_u64 vcc, exec
	v_pk_mov_b32 v[26:27], v[2:3], v[2:3] op_sel:[0,1]
	s_cbranch_scc1 .LBB1675_109
; %bb.105:                              ;   in Loop: Header=BB1675_104 Depth=1
	v_lshlrev_b64 v[2:3], 4, v[24:25]
	v_mov_b32_e32 v4, s13
	v_add_co_u32_e32 v28, vcc, s12, v2
	v_addc_co_u32_e32 v29, vcc, v4, v3, vcc
	;;#ASMSTART
	global_load_dwordx4 v[2:5], v[28:29] off glc	
s_waitcnt vmcnt(0)
	;;#ASMEND
	v_and_b32_e32 v5, 0xff, v3
	v_and_b32_e32 v101, 0xff00, v3
	v_or3_b32 v5, 0, v5, v101
	v_or3_b32 v2, v2, 0, 0
	v_and_b32_e32 v101, 0xff000000, v3
	v_and_b32_e32 v3, 0xff0000, v3
	v_or3_b32 v3, v5, v3, v101
	v_or3_b32 v2, v2, 0, 0
	v_cmp_eq_u16_sdwa s[16:17], v4, v25 src0_sel:BYTE_0 src1_sel:DWORD
	s_and_saveexec_b64 s[14:15], s[16:17]
	s_cbranch_execz .LBB1675_103
; %bb.106:                              ;   in Loop: Header=BB1675_104 Depth=1
	s_mov_b64 s[16:17], 0
.LBB1675_107:                           ;   Parent Loop BB1675_104 Depth=1
                                        ; =>  This Inner Loop Header: Depth=2
	;;#ASMSTART
	global_load_dwordx4 v[2:5], v[28:29] off glc	
s_waitcnt vmcnt(0)
	;;#ASMEND
	v_cmp_ne_u16_sdwa s[20:21], v4, v25 src0_sel:BYTE_0 src1_sel:DWORD
	s_or_b64 s[16:17], s[20:21], s[16:17]
	s_andn2_b64 exec, exec, s[16:17]
	s_cbranch_execnz .LBB1675_107
; %bb.108:                              ;   in Loop: Header=BB1675_104 Depth=1
	s_or_b64 exec, exec, s[16:17]
	s_branch .LBB1675_103
.LBB1675_109:                           ;   in Loop: Header=BB1675_104 Depth=1
                                        ; implicit-def: $vgpr4
                                        ; implicit-def: $vgpr2_vgpr3
	s_cbranch_execz .LBB1675_104
; %bb.110:
	s_and_saveexec_b64 s[14:15], s[8:9]
	s_cbranch_execz .LBB1675_112
; %bb.111:
	s_add_i32 s6, s6, 64
	s_mov_b32 s7, 0
	v_add_u32_e32 v3, v27, v23
	s_lshl_b64 s[6:7], s[6:7], 4
	s_add_u32 s6, s12, s6
	v_and_b32_e32 v4, 0xff000000, v3
	v_and_b32_e32 v6, 0xff0000, v3
	s_addc_u32 s7, s13, s7
	v_or_b32_e32 v4, v6, v4
	v_and_b32_e32 v6, 0xff00, v3
	v_and_b32_e32 v3, 0xff, v3
	v_add_u32_e32 v2, v26, v22
	v_mov_b32_e32 v5, 0
	v_or3_b32 v3, v4, v6, v3
	v_mov_b32_e32 v4, 2
	v_pk_mov_b32 v[6:7], s[6:7], s[6:7] op_sel:[0,1]
	;;#ASMSTART
	global_store_dwordx4 v[6:7], v[2:5] off	
s_waitcnt vmcnt(0)
	;;#ASMEND
	s_movk_i32 s6, 0x3400
	v_add_u32_e64 v2, s6, 0
	ds_write2_b32 v2, v22, v23 offset1:2
	ds_write2_b32 v2, v26, v27 offset0:4 offset1:6
.LBB1675_112:
	s_or_b64 exec, exec, s[14:15]
	v_cmp_eq_u32_e32 vcc, 0, v0
	s_and_b64 exec, exec, vcc
	s_cbranch_execz .LBB1675_114
; %bb.113:
	v_mov_b32_e32 v2, 0
	ds_write_b64 v2, v[26:27] offset:24
.LBB1675_114:
	s_or_b64 exec, exec, s[10:11]
	v_mov_b32_e32 v2, 0
	s_waitcnt lgkmcnt(0)
	s_barrier
	ds_read_b64 v[6:7], v2 offset:24
	s_movk_i32 s6, 0x3400
	v_cndmask_b32_e64 v2, v87, v21, s[8:9]
	v_cndmask_b32_e64 v1, v1, v20, s[8:9]
	v_add_u32_e64 v4, s6, 0
	s_waitcnt lgkmcnt(0)
	v_add_u32_e32 v20, v6, v1
	v_add_u32_e32 v1, v7, v2
	s_barrier
	ds_read2_b32 v[2:3], v4 offset1:2
	ds_read2_b32 v[4:5], v4 offset0:4 offset1:6
	v_cmp_eq_u32_e32 vcc, 0, v0
	v_cndmask_b32_e32 v1, v1, v7, vcc
	v_cndmask_b32_e32 v20, v20, v6, vcc
	s_branch .LBB1675_125
.LBB1675_115:
                                        ; implicit-def: $vgpr1
                                        ; implicit-def: $vgpr4
                                        ; implicit-def: $vgpr2
                                        ; implicit-def: $vgpr20_vgpr21
	s_cbranch_execz .LBB1675_125
; %bb.116:
	s_nop 0
	v_mov_b32_dpp v1, v85 row_shr:1 row_mask:0xf bank_mask:0xf
	s_waitcnt lgkmcnt(0)
	v_mov_b32_dpp v2, v86 row_shr:1 row_mask:0xf bank_mask:0xf
	v_add_u32_e32 v1, v1, v85
	v_add_u32_e32 v2, v2, v86
	v_cndmask_b32_e64 v2, v2, v86, s[4:5]
	v_cndmask_b32_e64 v1, v1, v85, s[4:5]
	v_cmp_lt_u32_e32 vcc, 3, v84
	v_mov_b32_dpp v4, v2 row_shr:2 row_mask:0xf bank_mask:0xf
	v_mov_b32_dpp v3, v1 row_shr:2 row_mask:0xf bank_mask:0xf
	v_add_u32_e32 v3, v1, v3
	v_add_u32_e32 v4, v2, v4
	v_cndmask_b32_e64 v2, v2, v4, s[2:3]
	v_cndmask_b32_e64 v1, v1, v3, s[2:3]
	s_nop 0
	v_mov_b32_dpp v4, v2 row_shr:4 row_mask:0xf bank_mask:0xf
	v_mov_b32_dpp v3, v1 row_shr:4 row_mask:0xf bank_mask:0xf
	v_add_u32_e32 v3, v1, v3
	v_add_u32_e32 v4, v2, v4
	v_cndmask_b32_e32 v2, v2, v4, vcc
	v_cndmask_b32_e32 v1, v1, v3, vcc
	v_cmp_lt_u32_e32 vcc, 7, v84
	v_mov_b32_dpp v4, v2 row_shr:8 row_mask:0xf bank_mask:0xf
	v_mov_b32_dpp v3, v1 row_shr:8 row_mask:0xf bank_mask:0xf
	v_add_u32_e32 v3, v1, v3
	v_add_u32_e32 v4, v2, v4
	v_cndmask_b32_e32 v2, v2, v4, vcc
	v_cndmask_b32_e32 v1, v1, v3, vcc
	v_cmp_eq_u32_e32 vcc, 0, v83
	v_mov_b32_dpp v4, v2 row_bcast:15 row_mask:0xf bank_mask:0xf
	v_mov_b32_dpp v3, v1 row_bcast:15 row_mask:0xf bank_mask:0xf
	v_add_u32_e32 v3, v1, v3
	v_add_u32_e32 v4, v2, v4
	v_cndmask_b32_e32 v2, v4, v2, vcc
	v_cndmask_b32_e32 v1, v3, v1, vcc
	v_cmp_lt_u32_e32 vcc, 31, v80
	v_mov_b32_dpp v4, v2 row_bcast:31 row_mask:0xf bank_mask:0xf
	v_mov_b32_dpp v3, v1 row_bcast:31 row_mask:0xf bank_mask:0xf
	v_add_u32_e32 v4, v2, v4
	v_add_u32_e32 v5, v1, v3
	v_cndmask_b32_e32 v3, v2, v4, vcc
	v_cndmask_b32_e32 v2, v1, v5, vcc
	v_cmp_eq_u32_e32 vcc, v82, v0
	s_and_saveexec_b64 s[2:3], vcc
	s_cbranch_execz .LBB1675_118
; %bb.117:
	v_lshlrev_b32_e32 v1, 3, v81
	ds_write_b64 v1, v[2:3]
.LBB1675_118:
	s_or_b64 exec, exec, s[2:3]
	v_cmp_gt_u32_e32 vcc, 4, v0
	s_waitcnt lgkmcnt(0)
	s_barrier
	s_and_saveexec_b64 s[2:3], vcc
	s_cbranch_execz .LBB1675_120
; %bb.119:
	v_lshlrev_b32_e32 v1, 3, v0
	ds_read_b64 v[4:5], v1
	v_and_b32_e32 v6, 3, v80
	v_cmp_eq_u32_e32 vcc, 0, v6
	s_waitcnt lgkmcnt(0)
	v_mov_b32_dpp v7, v4 row_shr:1 row_mask:0xf bank_mask:0xf
	v_mov_b32_dpp v20, v5 row_shr:1 row_mask:0xf bank_mask:0xf
	v_add_u32_e32 v7, v7, v4
	v_add_u32_e32 v20, v20, v5
	v_cndmask_b32_e32 v5, v20, v5, vcc
	v_cndmask_b32_e32 v4, v7, v4, vcc
	v_cmp_lt_u32_e32 vcc, 1, v6
	v_mov_b32_dpp v20, v5 row_shr:2 row_mask:0xf bank_mask:0xf
	v_mov_b32_dpp v7, v4 row_shr:2 row_mask:0xf bank_mask:0xf
	v_cndmask_b32_e32 v6, 0, v7, vcc
	v_cndmask_b32_e32 v7, 0, v20, vcc
	v_add_u32_e32 v5, v7, v5
	v_add_u32_e32 v4, v6, v4
	ds_write_b64 v1, v[4:5]
.LBB1675_120:
	s_or_b64 exec, exec, s[2:3]
	v_cmp_lt_u32_e32 vcc, 63, v0
	v_mov_b32_e32 v4, 0
	v_mov_b32_e32 v6, 0
	;; [unrolled: 1-line block ×3, first 2 shown]
	s_waitcnt lgkmcnt(0)
	s_barrier
	s_and_saveexec_b64 s[2:3], vcc
	s_cbranch_execz .LBB1675_122
; %bb.121:
	v_lshl_add_u32 v1, v81, 3, -8
	ds_read_b64 v[6:7], v1
.LBB1675_122:
	s_or_b64 exec, exec, s[2:3]
	s_waitcnt lgkmcnt(0)
	v_add_u32_e32 v5, v7, v3
	v_add_u32_e32 v1, v6, v2
	v_add_u32_e32 v2, -1, v80
	v_and_b32_e32 v3, 64, v80
	v_cmp_lt_i32_e32 vcc, v2, v3
	v_cndmask_b32_e32 v2, v2, v80, vcc
	v_lshlrev_b32_e32 v20, 2, v2
	ds_read_b64 v[2:3], v4 offset:24
	ds_bpermute_b32 v1, v20, v1
	ds_bpermute_b32 v20, v20, v5
	v_cmp_eq_u32_e32 vcc, 0, v0
	s_waitcnt lgkmcnt(2)
	v_readfirstlane_b32 s4, v3
	s_and_saveexec_b64 s[2:3], vcc
	s_cbranch_execz .LBB1675_124
; %bb.123:
	s_add_u32 s6, s12, 0x400
	s_mov_b32 s8, 0
	s_addc_u32 s7, s13, 0
	s_and_b32 s9, s4, 0xff000000
	s_and_b32 s11, s4, 0xff0000
	s_mov_b32 s10, s8
	s_or_b64 s[10:11], s[10:11], s[8:9]
	s_and_b32 s9, s4, 0xff00
	s_or_b64 s[10:11], s[10:11], s[8:9]
	s_and_b32 s9, s4, 0xff
	s_or_b64 s[8:9], s[10:11], s[8:9]
	v_mov_b32_e32 v3, s9
	v_mov_b32_e32 v4, 2
	;; [unrolled: 1-line block ×3, first 2 shown]
	v_pk_mov_b32 v[22:23], s[6:7], s[6:7] op_sel:[0,1]
	;;#ASMSTART
	global_store_dwordx4 v[22:23], v[2:5] off	
s_waitcnt vmcnt(0)
	;;#ASMEND
.LBB1675_124:
	s_or_b64 exec, exec, s[2:3]
	v_cmp_eq_u32_e64 s[2:3], 0, v80
	s_waitcnt lgkmcnt(1)
	v_cndmask_b32_e64 v3, v1, v6, s[2:3]
	s_waitcnt lgkmcnt(0)
	v_cndmask_b32_e64 v1, v20, v7, s[2:3]
	v_mov_b32_e32 v4, 0
	v_cndmask_b32_e64 v1, v1, 0, vcc
	v_cndmask_b32_e64 v20, v3, 0, vcc
	s_barrier
	v_mov_b32_e32 v3, s4
	v_mov_b32_e32 v5, 0
.LBB1675_125:
	v_add_u32_e32 v24, v1, v63
	v_add_u32_e32 v25, v24, v74
	;; [unrolled: 1-line block ×14, first 2 shown]
	v_mov_b32_e32 v7, s49
	s_waitcnt lgkmcnt(0)
	v_add_co_u32_e32 v6, vcc, s48, v4
	v_add_u32_e32 v64, v58, v68
	v_add_u32_e32 v68, v66, v71
	v_addc_co_u32_e32 v7, vcc, 0, v7, vcc
	v_add_u32_e32 v69, v68, v78
	v_mov_b32_e32 v22, s51
	v_sub_co_u32_e32 v23, vcc, s50, v2
	v_add_u32_e32 v71, v69, v73
	v_subbrev_co_u32_e32 v73, vcc, 0, v22, vcc
	v_add_co_u32_e32 v22, vcc, v23, v5
	v_addc_co_u32_e32 v23, vcc, 0, v73, vcc
	v_lshlrev_b32_e32 v73, 1, v2
	v_sub_u32_e32 v1, v1, v5
	v_add_u32_e32 v74, v73, v3
	v_sub_u32_e32 v20, v20, v4
	v_add_u32_e32 v1, v1, v2
	v_add_u32_e32 v31, v74, v31
	v_and_b32_e32 v33, 1, v33
	v_add_u32_e32 v74, v20, v1
	v_and_b32_e32 v32, 1, v32
	v_sub_u32_e32 v74, v31, v74
	v_cmp_eq_u32_e32 vcc, 1, v33
	v_cndmask_b32_e32 v1, v74, v1, vcc
	v_cmp_eq_u32_e32 vcc, 1, v32
	v_cndmask_b32_e32 v1, v1, v20, vcc
	v_lshlrev_b32_e32 v1, 2, v1
	v_sub_u32_e32 v20, v24, v5
	ds_write_b32 v1, v18
	v_sub_u32_e32 v1, v21, v4
	v_add_u32_e32 v20, v20, v2
	v_add_u32_e32 v24, v20, v1
	v_and_b32_e32 v21, 1, v35
	v_sub_u32_e32 v24, v31, v24
	v_and_b32_e32 v18, 1, v34
	v_add_u32_e32 v24, 1, v24
	v_cmp_eq_u32_e32 vcc, 1, v21
	v_cndmask_b32_e32 v20, v24, v20, vcc
	v_cmp_eq_u32_e32 vcc, 1, v18
	v_cndmask_b32_e32 v1, v20, v1, vcc
	v_lshlrev_b32_e32 v1, 2, v1
	ds_write_b32 v1, v19
	v_sub_u32_e32 v19, v25, v5
	v_sub_u32_e32 v1, v26, v4
	v_add_u32_e32 v19, v19, v2
	v_add_u32_e32 v21, v19, v1
	v_and_b32_e32 v20, 1, v37
	v_sub_u32_e32 v21, v31, v21
	v_and_b32_e32 v18, 1, v36
	v_add_u32_e32 v21, 2, v21
	v_cmp_eq_u32_e32 vcc, 1, v20
	v_cndmask_b32_e32 v19, v21, v19, vcc
	v_cmp_eq_u32_e32 vcc, 1, v18
	v_cndmask_b32_e32 v1, v19, v1, vcc
	v_lshlrev_b32_e32 v1, 2, v1
	v_sub_u32_e32 v18, v28, v5
	ds_write_b32 v1, v16
	v_sub_u32_e32 v1, v27, v4
	v_add_u32_e32 v18, v18, v2
	v_add_u32_e32 v20, v1, v18
	v_and_b32_e32 v19, 1, v38
	v_sub_u32_e32 v20, v31, v20
	v_and_b32_e32 v16, 1, v39
	v_add_u32_e32 v20, 3, v20
	v_cmp_eq_u32_e32 vcc, 1, v19
	v_cndmask_b32_e32 v18, v20, v18, vcc
	v_cmp_eq_u32_e32 vcc, 1, v16
	v_cndmask_b32_e32 v1, v18, v1, vcc
	v_lshlrev_b32_e32 v1, 2, v1
	ds_write_b32 v1, v17
	v_sub_u32_e32 v17, v29, v5
	v_sub_u32_e32 v1, v56, v4
	v_add_u32_e32 v17, v17, v2
	v_add_u32_e32 v19, v1, v17
	v_and_b32_e32 v18, 1, v40
	v_sub_u32_e32 v19, v31, v19
	v_and_b32_e32 v16, 1, v41
	v_add_u32_e32 v19, 4, v19
	;; [unrolled: 28-line block ×3, first 2 shown]
	v_cmp_eq_u32_e32 vcc, 1, v16
	v_cndmask_b32_e32 v15, v17, v15, vcc
	v_cmp_eq_u32_e32 vcc, 1, v14
	v_cndmask_b32_e32 v1, v15, v1, vcc
	v_lshlrev_b32_e32 v1, 2, v1
	v_sub_u32_e32 v14, v65, v5
	ds_write_b32 v1, v12
	v_sub_u32_e32 v1, v64, v4
	v_add_u32_e32 v14, v14, v2
	v_add_u32_e32 v16, v1, v14
	v_and_b32_e32 v15, 1, v46
	v_sub_u32_e32 v16, v31, v16
	v_and_b32_e32 v12, 1, v47
	v_add_u32_e32 v16, 7, v16
	v_cmp_eq_u32_e32 vcc, 1, v15
	v_cndmask_b32_e32 v14, v16, v14, vcc
	v_cmp_eq_u32_e32 vcc, 1, v12
	v_cndmask_b32_e32 v1, v14, v1, vcc
	v_lshlrev_b32_e32 v1, 2, v1
	v_add_u32_e32 v59, v64, v59
	ds_write_b32 v1, v13
	v_sub_u32_e32 v13, v66, v5
	v_sub_u32_e32 v1, v59, v4
	v_add_u32_e32 v13, v13, v2
	v_add_u32_e32 v15, v1, v13
	v_and_b32_e32 v14, 1, v48
	v_sub_u32_e32 v15, v31, v15
	v_and_b32_e32 v12, 1, v49
	v_add_u32_e32 v15, 8, v15
	v_cmp_eq_u32_e32 vcc, 1, v14
	v_cndmask_b32_e32 v13, v15, v13, vcc
	v_cmp_eq_u32_e32 vcc, 1, v12
	v_cndmask_b32_e32 v1, v13, v1, vcc
	v_add_u32_e32 v67, v59, v70
	v_lshlrev_b32_e32 v1, 2, v1
	v_sub_u32_e32 v12, v68, v5
	ds_write_b32 v1, v10
	v_sub_u32_e32 v1, v67, v4
	v_add_u32_e32 v12, v12, v2
	v_add_u32_e32 v14, v1, v12
	v_and_b32_e32 v13, 1, v50
	v_sub_u32_e32 v14, v31, v14
	v_and_b32_e32 v10, 1, v51
	v_add_u32_e32 v14, 9, v14
	v_cmp_eq_u32_e32 vcc, 1, v13
	v_cndmask_b32_e32 v12, v14, v12, vcc
	v_cmp_eq_u32_e32 vcc, 1, v10
	v_cndmask_b32_e32 v1, v12, v1, vcc
	v_lshlrev_b32_e32 v1, 2, v1
	v_add_u32_e32 v60, v67, v60
	ds_write_b32 v1, v11
	v_sub_u32_e32 v11, v69, v5
	v_sub_u32_e32 v1, v60, v4
	v_add_u32_e32 v11, v11, v2
	v_add_u32_e32 v13, v1, v11
	v_and_b32_e32 v12, 1, v52
	v_sub_u32_e32 v13, v31, v13
	v_and_b32_e32 v10, 1, v53
	v_add_u32_e32 v13, 10, v13
	v_cmp_eq_u32_e32 vcc, 1, v12
	v_cndmask_b32_e32 v11, v13, v11, vcc
	v_cmp_eq_u32_e32 vcc, 1, v10
	v_cndmask_b32_e32 v1, v11, v1, vcc
	v_add_u32_e32 v70, v60, v72
	v_lshlrev_b32_e32 v1, 2, v1
	v_sub_u32_e32 v10, v71, v5
	ds_write_b32 v1, v8
	v_sub_u32_e32 v1, v70, v4
	v_add_u32_e32 v10, v10, v2
	v_add_u32_e32 v12, v1, v10
	v_and_b32_e32 v11, 1, v54
	v_sub_u32_e32 v12, v31, v12
	v_and_b32_e32 v8, 1, v55
	v_add_u32_e32 v12, 11, v12
	v_cmp_eq_u32_e32 vcc, 1, v11
	v_cndmask_b32_e32 v10, v12, v10, vcc
	v_cmp_eq_u32_e32 vcc, 1, v8
	v_cndmask_b32_e32 v1, v10, v1, vcc
	v_add_u32_e32 v72, v71, v79
	v_add_u32_e32 v61, v70, v61
	v_lshlrev_b32_e32 v1, 2, v1
	ds_write_b32 v1, v9
	v_sub_u32_e32 v1, v61, v4
	v_sub_u32_e32 v4, v72, v5
	v_add_u32_e32 v4, v4, v2
	v_add_u32_e32 v8, v1, v4
	v_sub_u32_e32 v8, v31, v8
	v_add_u32_e32 v8, 12, v8
	v_cndmask_b32_e64 v4, v8, v4, s[58:59]
	v_cndmask_b32_e64 v1, v4, v1, s[46:47]
	v_lshlrev_b32_e32 v1, 2, v1
	ds_write_b32 v1, v30
	v_add_co_u32_e32 v1, vcc, v3, v73
	v_addc_co_u32_e64 v4, s[2:3], 0, 0, vcc
	v_add_co_u32_e32 v1, vcc, v1, v22
	v_addc_co_u32_e32 v4, vcc, v4, v23, vcc
	s_add_u32 s4, s56, s33
	v_add_co_u32_e32 v1, vcc, v1, v6
	s_addc_u32 s5, s57, 0
	v_addc_co_u32_e32 v4, vcc, v4, v7, vcc
	v_mov_b32_e32 v8, s5
	v_sub_co_u32_e32 v1, vcc, s4, v1
	v_subb_co_u32_e32 v4, vcc, v8, v4, vcc
	v_lshlrev_b64 v[8:9], 2, v[22:23]
	v_mov_b32_e32 v10, s55
	v_add_co_u32_e32 v8, vcc, s54, v8
	v_addc_co_u32_e32 v9, vcc, v10, v9, vcc
	v_lshlrev_b64 v[10:11], 2, v[6:7]
	v_mov_b32_e32 v13, s53
	v_add_co_u32_e32 v10, vcc, s52, v10
	s_add_u32 s6, s34, -4
	v_addc_co_u32_e32 v11, vcc, v13, v11, vcc
	s_addc_u32 s7, s35, -1
	v_add_u32_e32 v12, v2, v3
	s_and_b64 vcc, exec, s[0:1]
	s_mov_b64 s[0:1], -1
	s_waitcnt lgkmcnt(0)
	s_barrier
	s_cbranch_vccz .LBB1675_129
; %bb.126:
	s_and_b64 vcc, exec, s[0:1]
	s_cbranch_vccnz .LBB1675_234
.LBB1675_127:
	v_cmp_eq_u32_e32 vcc, 0, v0
	s_and_b64 s[0:1], vcc, s[30:31]
	s_and_saveexec_b64 s[2:3], s[0:1]
	s_cbranch_execnz .LBB1675_352
.LBB1675_128:
	s_endpgm
.LBB1675_129:
	v_cmp_le_u32_e32 vcc, v2, v0
	s_and_saveexec_b64 s[0:1], vcc
	s_xor_b64 s[0:1], exec, s[0:1]
	s_cbranch_execz .LBB1675_135
; %bb.130:
	v_cmp_le_u32_e32 vcc, v12, v0
	s_and_saveexec_b64 s[2:3], vcc
	s_xor_b64 s[2:3], exec, s[2:3]
	s_cbranch_execz .LBB1675_132
; %bb.131:
	v_lshlrev_b32_e32 v13, 2, v0
	v_add_co_u32_e32 v14, vcc, v1, v0
	ds_read_b32 v13, v13
	v_addc_co_u32_e32 v15, vcc, 0, v4, vcc
	v_lshlrev_b64 v[14:15], 2, v[14:15]
	v_mov_b32_e32 v16, s35
	v_sub_co_u32_e32 v14, vcc, s34, v14
	v_subb_co_u32_e32 v15, vcc, v16, v15, vcc
	s_waitcnt lgkmcnt(0)
	global_store_dword v[14:15], v13, off offset:-4
.LBB1675_132:
	s_andn2_saveexec_b64 s[2:3], s[2:3]
	s_cbranch_execz .LBB1675_134
; %bb.133:
	v_lshlrev_b32_e32 v13, 2, v0
	ds_read_b32 v14, v13
	v_readfirstlane_b32 s4, v8
	v_readfirstlane_b32 s5, v9
	s_waitcnt lgkmcnt(0)
	s_nop 3
	global_store_dword v13, v14, s[4:5]
.LBB1675_134:
	s_or_b64 exec, exec, s[2:3]
.LBB1675_135:
	s_andn2_saveexec_b64 s[0:1], s[0:1]
	s_cbranch_execz .LBB1675_137
; %bb.136:
	v_lshlrev_b32_e32 v13, 2, v0
	ds_read_b32 v14, v13
	v_readfirstlane_b32 s2, v10
	v_readfirstlane_b32 s3, v11
	s_waitcnt lgkmcnt(0)
	s_nop 3
	global_store_dword v13, v14, s[2:3]
.LBB1675_137:
	s_or_b64 exec, exec, s[0:1]
	v_or_b32_e32 v13, 0x100, v0
	v_cmp_le_u32_e32 vcc, v2, v13
	s_and_saveexec_b64 s[0:1], vcc
	s_xor_b64 s[0:1], exec, s[0:1]
	s_cbranch_execz .LBB1675_143
; %bb.138:
	v_cmp_le_u32_e32 vcc, v12, v13
	s_and_saveexec_b64 s[2:3], vcc
	s_xor_b64 s[2:3], exec, s[2:3]
	s_cbranch_execz .LBB1675_140
; %bb.139:
	v_lshlrev_b32_e32 v13, 2, v0
	ds_read_b32 v13, v13 offset:1024
	v_add_co_u32_e32 v14, vcc, v1, v0
	v_addc_co_u32_e32 v15, vcc, 0, v4, vcc
	v_lshlrev_b64 v[14:15], 2, v[14:15]
	v_mov_b32_e32 v16, s7
	v_sub_co_u32_e32 v14, vcc, s6, v14
	v_subb_co_u32_e32 v15, vcc, v16, v15, vcc
	s_waitcnt lgkmcnt(0)
	global_store_dword v[14:15], v13, off offset:-1024
.LBB1675_140:
	s_andn2_saveexec_b64 s[2:3], s[2:3]
	s_cbranch_execz .LBB1675_142
; %bb.141:
	v_lshlrev_b32_e32 v13, 2, v0
	ds_read_b32 v14, v13 offset:1024
	v_readfirstlane_b32 s4, v8
	v_readfirstlane_b32 s5, v9
	s_waitcnt lgkmcnt(0)
	s_nop 3
	global_store_dword v13, v14, s[4:5] offset:1024
.LBB1675_142:
	s_or_b64 exec, exec, s[2:3]
.LBB1675_143:
	s_andn2_saveexec_b64 s[0:1], s[0:1]
	s_cbranch_execz .LBB1675_145
; %bb.144:
	v_lshlrev_b32_e32 v13, 2, v0
	ds_read_b32 v14, v13 offset:1024
	v_readfirstlane_b32 s2, v10
	v_readfirstlane_b32 s3, v11
	s_waitcnt lgkmcnt(0)
	s_nop 3
	global_store_dword v13, v14, s[2:3] offset:1024
.LBB1675_145:
	s_or_b64 exec, exec, s[0:1]
	v_or_b32_e32 v13, 0x200, v0
	v_cmp_le_u32_e32 vcc, v2, v13
	s_and_saveexec_b64 s[0:1], vcc
	s_xor_b64 s[0:1], exec, s[0:1]
	s_cbranch_execz .LBB1675_151
; %bb.146:
	v_cmp_le_u32_e32 vcc, v12, v13
	s_and_saveexec_b64 s[2:3], vcc
	s_xor_b64 s[2:3], exec, s[2:3]
	s_cbranch_execz .LBB1675_148
; %bb.147:
	v_lshlrev_b32_e32 v13, 2, v0
	ds_read_b32 v13, v13 offset:2048
	v_add_co_u32_e32 v14, vcc, v1, v0
	v_addc_co_u32_e32 v15, vcc, 0, v4, vcc
	v_lshlrev_b64 v[14:15], 2, v[14:15]
	v_mov_b32_e32 v16, s7
	v_sub_co_u32_e32 v14, vcc, s6, v14
	v_subb_co_u32_e32 v15, vcc, v16, v15, vcc
	s_waitcnt lgkmcnt(0)
	global_store_dword v[14:15], v13, off offset:-2048
.LBB1675_148:
	s_andn2_saveexec_b64 s[2:3], s[2:3]
	s_cbranch_execz .LBB1675_150
; %bb.149:
	v_lshlrev_b32_e32 v13, 2, v0
	ds_read_b32 v14, v13 offset:2048
	v_readfirstlane_b32 s4, v8
	v_readfirstlane_b32 s5, v9
	s_waitcnt lgkmcnt(0)
	s_nop 3
	global_store_dword v13, v14, s[4:5] offset:2048
.LBB1675_150:
	s_or_b64 exec, exec, s[2:3]
.LBB1675_151:
	s_andn2_saveexec_b64 s[0:1], s[0:1]
	s_cbranch_execz .LBB1675_153
; %bb.152:
	v_lshlrev_b32_e32 v13, 2, v0
	ds_read_b32 v14, v13 offset:2048
	v_readfirstlane_b32 s2, v10
	v_readfirstlane_b32 s3, v11
	s_waitcnt lgkmcnt(0)
	s_nop 3
	global_store_dword v13, v14, s[2:3] offset:2048
.LBB1675_153:
	;; [unrolled: 47-line block ×3, first 2 shown]
	s_or_b64 exec, exec, s[0:1]
	v_or_b32_e32 v13, 0x400, v0
	v_cmp_le_u32_e32 vcc, v2, v13
	s_and_saveexec_b64 s[0:1], vcc
	s_xor_b64 s[0:1], exec, s[0:1]
	s_cbranch_execz .LBB1675_167
; %bb.162:
	v_cmp_le_u32_e32 vcc, v12, v13
	s_and_saveexec_b64 s[2:3], vcc
	s_xor_b64 s[2:3], exec, s[2:3]
	s_cbranch_execz .LBB1675_164
; %bb.163:
	v_lshlrev_b32_e32 v13, 2, v0
	ds_read_b32 v13, v13 offset:4096
	v_add_co_u32_e32 v14, vcc, v1, v0
	v_addc_co_u32_e32 v15, vcc, 0, v4, vcc
	v_lshlrev_b64 v[14:15], 2, v[14:15]
	v_mov_b32_e32 v16, s7
	v_sub_co_u32_e32 v14, vcc, s6, v14
	v_subb_co_u32_e32 v15, vcc, v16, v15, vcc
	s_waitcnt lgkmcnt(0)
	global_store_dword v[14:15], v13, off offset:-4096
                                        ; implicit-def: $vgpr13
.LBB1675_164:
	s_andn2_saveexec_b64 s[2:3], s[2:3]
	s_cbranch_execz .LBB1675_166
; %bb.165:
	v_lshlrev_b32_e32 v14, 2, v0
	ds_read_b32 v14, v14 offset:4096
	v_lshlrev_b32_e32 v13, 2, v13
	v_readfirstlane_b32 s4, v8
	v_readfirstlane_b32 s5, v9
	s_waitcnt lgkmcnt(0)
	s_nop 3
	global_store_dword v13, v14, s[4:5]
.LBB1675_166:
	s_or_b64 exec, exec, s[2:3]
                                        ; implicit-def: $vgpr13
.LBB1675_167:
	s_andn2_saveexec_b64 s[0:1], s[0:1]
	s_cbranch_execz .LBB1675_169
; %bb.168:
	v_lshlrev_b32_e32 v14, 2, v0
	ds_read_b32 v14, v14 offset:4096
	v_lshlrev_b32_e32 v13, 2, v13
	v_readfirstlane_b32 s2, v10
	v_readfirstlane_b32 s3, v11
	s_waitcnt lgkmcnt(0)
	s_nop 3
	global_store_dword v13, v14, s[2:3]
.LBB1675_169:
	s_or_b64 exec, exec, s[0:1]
	v_or_b32_e32 v13, 0x500, v0
	v_cmp_le_u32_e32 vcc, v2, v13
	s_and_saveexec_b64 s[0:1], vcc
	s_xor_b64 s[0:1], exec, s[0:1]
	s_cbranch_execz .LBB1675_175
; %bb.170:
	v_cmp_le_u32_e32 vcc, v12, v13
	s_and_saveexec_b64 s[2:3], vcc
	s_xor_b64 s[2:3], exec, s[2:3]
	s_cbranch_execz .LBB1675_172
; %bb.171:
	v_add_co_u32_e32 v14, vcc, v1, v13
	v_lshlrev_b32_e32 v13, 2, v0
	ds_read_b32 v13, v13 offset:5120
	v_addc_co_u32_e32 v15, vcc, 0, v4, vcc
	v_lshlrev_b64 v[14:15], 2, v[14:15]
	v_mov_b32_e32 v16, s7
	v_sub_co_u32_e32 v14, vcc, s6, v14
	v_subb_co_u32_e32 v15, vcc, v16, v15, vcc
	s_waitcnt lgkmcnt(0)
	global_store_dword v[14:15], v13, off
                                        ; implicit-def: $vgpr13
.LBB1675_172:
	s_andn2_saveexec_b64 s[2:3], s[2:3]
	s_cbranch_execz .LBB1675_174
; %bb.173:
	v_lshlrev_b32_e32 v14, 2, v0
	ds_read_b32 v14, v14 offset:5120
	v_lshlrev_b32_e32 v13, 2, v13
	v_readfirstlane_b32 s4, v8
	v_readfirstlane_b32 s5, v9
	s_waitcnt lgkmcnt(0)
	s_nop 3
	global_store_dword v13, v14, s[4:5]
.LBB1675_174:
	s_or_b64 exec, exec, s[2:3]
                                        ; implicit-def: $vgpr13
.LBB1675_175:
	s_andn2_saveexec_b64 s[0:1], s[0:1]
	s_cbranch_execz .LBB1675_177
; %bb.176:
	v_lshlrev_b32_e32 v14, 2, v0
	ds_read_b32 v14, v14 offset:5120
	v_lshlrev_b32_e32 v13, 2, v13
	v_readfirstlane_b32 s2, v10
	v_readfirstlane_b32 s3, v11
	s_waitcnt lgkmcnt(0)
	s_nop 3
	global_store_dword v13, v14, s[2:3]
.LBB1675_177:
	s_or_b64 exec, exec, s[0:1]
	v_or_b32_e32 v13, 0x600, v0
	v_cmp_le_u32_e32 vcc, v2, v13
	s_and_saveexec_b64 s[0:1], vcc
	s_xor_b64 s[0:1], exec, s[0:1]
	s_cbranch_execz .LBB1675_183
; %bb.178:
	v_cmp_le_u32_e32 vcc, v12, v13
	s_and_saveexec_b64 s[2:3], vcc
	s_xor_b64 s[2:3], exec, s[2:3]
	s_cbranch_execz .LBB1675_180
; %bb.179:
	v_add_co_u32_e32 v14, vcc, v1, v13
	v_lshlrev_b32_e32 v13, 2, v0
	ds_read_b32 v13, v13 offset:6144
	v_addc_co_u32_e32 v15, vcc, 0, v4, vcc
	v_lshlrev_b64 v[14:15], 2, v[14:15]
	v_mov_b32_e32 v16, s7
	v_sub_co_u32_e32 v14, vcc, s6, v14
	v_subb_co_u32_e32 v15, vcc, v16, v15, vcc
	s_waitcnt lgkmcnt(0)
	global_store_dword v[14:15], v13, off
                                        ; implicit-def: $vgpr13
.LBB1675_180:
	s_andn2_saveexec_b64 s[2:3], s[2:3]
	s_cbranch_execz .LBB1675_182
; %bb.181:
	v_lshlrev_b32_e32 v14, 2, v0
	ds_read_b32 v14, v14 offset:6144
	v_lshlrev_b32_e32 v13, 2, v13
	v_readfirstlane_b32 s4, v8
	v_readfirstlane_b32 s5, v9
	s_waitcnt lgkmcnt(0)
	s_nop 3
	global_store_dword v13, v14, s[4:5]
.LBB1675_182:
	s_or_b64 exec, exec, s[2:3]
                                        ; implicit-def: $vgpr13
.LBB1675_183:
	;; [unrolled: 51-line block ×8, first 2 shown]
	s_andn2_saveexec_b64 s[0:1], s[0:1]
	s_cbranch_execz .LBB1675_233
; %bb.232:
	v_lshlrev_b32_e32 v14, 2, v0
	ds_read_b32 v14, v14 offset:12288
	v_lshlrev_b32_e32 v13, 2, v13
	v_readfirstlane_b32 s2, v10
	v_readfirstlane_b32 s3, v11
	s_waitcnt lgkmcnt(0)
	s_nop 3
	global_store_dword v13, v14, s[2:3]
.LBB1675_233:
	s_or_b64 exec, exec, s[0:1]
	s_branch .LBB1675_127
.LBB1675_234:
	v_cmp_gt_u32_e32 vcc, s18, v0
	s_and_saveexec_b64 s[0:1], vcc
	s_cbranch_execz .LBB1675_243
; %bb.235:
	v_cmp_le_u32_e32 vcc, v2, v0
	s_and_saveexec_b64 s[2:3], vcc
	s_xor_b64 s[2:3], exec, s[2:3]
	s_cbranch_execz .LBB1675_241
; %bb.236:
	v_cmp_le_u32_e32 vcc, v12, v0
	s_and_saveexec_b64 s[4:5], vcc
	s_xor_b64 s[4:5], exec, s[4:5]
	s_cbranch_execz .LBB1675_238
; %bb.237:
	v_lshlrev_b32_e32 v13, 2, v0
	v_add_co_u32_e32 v14, vcc, v1, v0
	ds_read_b32 v13, v13
	v_addc_co_u32_e32 v15, vcc, 0, v4, vcc
	v_lshlrev_b64 v[14:15], 2, v[14:15]
	v_mov_b32_e32 v16, s35
	v_sub_co_u32_e32 v14, vcc, s34, v14
	v_subb_co_u32_e32 v15, vcc, v16, v15, vcc
	s_waitcnt lgkmcnt(0)
	global_store_dword v[14:15], v13, off offset:-4
.LBB1675_238:
	s_andn2_saveexec_b64 s[4:5], s[4:5]
	s_cbranch_execz .LBB1675_240
; %bb.239:
	v_lshlrev_b32_e32 v13, 2, v0
	ds_read_b32 v14, v13
	v_readfirstlane_b32 s8, v8
	v_readfirstlane_b32 s9, v9
	s_waitcnt lgkmcnt(0)
	s_nop 3
	global_store_dword v13, v14, s[8:9]
.LBB1675_240:
	s_or_b64 exec, exec, s[4:5]
.LBB1675_241:
	s_andn2_saveexec_b64 s[2:3], s[2:3]
	s_cbranch_execz .LBB1675_243
; %bb.242:
	v_lshlrev_b32_e32 v13, 2, v0
	ds_read_b32 v14, v13
	v_readfirstlane_b32 s2, v10
	v_readfirstlane_b32 s3, v11
	s_waitcnt lgkmcnt(0)
	s_nop 3
	global_store_dword v13, v14, s[2:3]
.LBB1675_243:
	s_or_b64 exec, exec, s[0:1]
	v_or_b32_e32 v13, 0x100, v0
	v_cmp_gt_u32_e32 vcc, s18, v13
	s_and_saveexec_b64 s[0:1], vcc
	s_cbranch_execz .LBB1675_252
; %bb.244:
	v_cmp_le_u32_e32 vcc, v2, v13
	s_and_saveexec_b64 s[2:3], vcc
	s_xor_b64 s[2:3], exec, s[2:3]
	s_cbranch_execz .LBB1675_250
; %bb.245:
	v_cmp_le_u32_e32 vcc, v12, v13
	s_and_saveexec_b64 s[4:5], vcc
	s_xor_b64 s[4:5], exec, s[4:5]
	s_cbranch_execz .LBB1675_247
; %bb.246:
	v_lshlrev_b32_e32 v13, 2, v0
	ds_read_b32 v13, v13 offset:1024
	v_add_co_u32_e32 v14, vcc, v1, v0
	v_addc_co_u32_e32 v15, vcc, 0, v4, vcc
	v_lshlrev_b64 v[14:15], 2, v[14:15]
	v_mov_b32_e32 v16, s7
	v_sub_co_u32_e32 v14, vcc, s6, v14
	v_subb_co_u32_e32 v15, vcc, v16, v15, vcc
	s_waitcnt lgkmcnt(0)
	global_store_dword v[14:15], v13, off offset:-1024
.LBB1675_247:
	s_andn2_saveexec_b64 s[4:5], s[4:5]
	s_cbranch_execz .LBB1675_249
; %bb.248:
	v_lshlrev_b32_e32 v13, 2, v0
	ds_read_b32 v14, v13 offset:1024
	v_readfirstlane_b32 s8, v8
	v_readfirstlane_b32 s9, v9
	s_waitcnt lgkmcnt(0)
	s_nop 3
	global_store_dword v13, v14, s[8:9] offset:1024
.LBB1675_249:
	s_or_b64 exec, exec, s[4:5]
.LBB1675_250:
	s_andn2_saveexec_b64 s[2:3], s[2:3]
	s_cbranch_execz .LBB1675_252
; %bb.251:
	v_lshlrev_b32_e32 v13, 2, v0
	ds_read_b32 v14, v13 offset:1024
	v_readfirstlane_b32 s2, v10
	v_readfirstlane_b32 s3, v11
	s_waitcnt lgkmcnt(0)
	s_nop 3
	global_store_dword v13, v14, s[2:3] offset:1024
.LBB1675_252:
	s_or_b64 exec, exec, s[0:1]
	v_or_b32_e32 v13, 0x200, v0
	v_cmp_gt_u32_e32 vcc, s18, v13
	s_and_saveexec_b64 s[0:1], vcc
	s_cbranch_execz .LBB1675_261
; %bb.253:
	v_cmp_le_u32_e32 vcc, v2, v13
	s_and_saveexec_b64 s[2:3], vcc
	s_xor_b64 s[2:3], exec, s[2:3]
	s_cbranch_execz .LBB1675_259
; %bb.254:
	v_cmp_le_u32_e32 vcc, v12, v13
	s_and_saveexec_b64 s[4:5], vcc
	s_xor_b64 s[4:5], exec, s[4:5]
	s_cbranch_execz .LBB1675_256
; %bb.255:
	v_lshlrev_b32_e32 v13, 2, v0
	ds_read_b32 v13, v13 offset:2048
	v_add_co_u32_e32 v14, vcc, v1, v0
	v_addc_co_u32_e32 v15, vcc, 0, v4, vcc
	v_lshlrev_b64 v[14:15], 2, v[14:15]
	v_mov_b32_e32 v16, s7
	v_sub_co_u32_e32 v14, vcc, s6, v14
	v_subb_co_u32_e32 v15, vcc, v16, v15, vcc
	s_waitcnt lgkmcnt(0)
	global_store_dword v[14:15], v13, off offset:-2048
.LBB1675_256:
	s_andn2_saveexec_b64 s[4:5], s[4:5]
	s_cbranch_execz .LBB1675_258
; %bb.257:
	v_lshlrev_b32_e32 v13, 2, v0
	ds_read_b32 v14, v13 offset:2048
	v_readfirstlane_b32 s8, v8
	v_readfirstlane_b32 s9, v9
	s_waitcnt lgkmcnt(0)
	s_nop 3
	global_store_dword v13, v14, s[8:9] offset:2048
.LBB1675_258:
	s_or_b64 exec, exec, s[4:5]
.LBB1675_259:
	s_andn2_saveexec_b64 s[2:3], s[2:3]
	s_cbranch_execz .LBB1675_261
; %bb.260:
	v_lshlrev_b32_e32 v13, 2, v0
	ds_read_b32 v14, v13 offset:2048
	v_readfirstlane_b32 s2, v10
	v_readfirstlane_b32 s3, v11
	s_waitcnt lgkmcnt(0)
	s_nop 3
	global_store_dword v13, v14, s[2:3] offset:2048
.LBB1675_261:
	;; [unrolled: 51-line block ×3, first 2 shown]
	s_or_b64 exec, exec, s[0:1]
	v_or_b32_e32 v13, 0x400, v0
	v_cmp_gt_u32_e32 vcc, s18, v13
	s_and_saveexec_b64 s[0:1], vcc
	s_cbranch_execz .LBB1675_279
; %bb.271:
	v_cmp_le_u32_e32 vcc, v2, v13
	s_and_saveexec_b64 s[2:3], vcc
	s_xor_b64 s[2:3], exec, s[2:3]
	s_cbranch_execz .LBB1675_277
; %bb.272:
	v_cmp_le_u32_e32 vcc, v12, v13
	s_and_saveexec_b64 s[4:5], vcc
	s_xor_b64 s[4:5], exec, s[4:5]
	s_cbranch_execz .LBB1675_274
; %bb.273:
	v_lshlrev_b32_e32 v13, 2, v0
	ds_read_b32 v13, v13 offset:4096
	v_add_co_u32_e32 v14, vcc, v1, v0
	v_addc_co_u32_e32 v15, vcc, 0, v4, vcc
	v_lshlrev_b64 v[14:15], 2, v[14:15]
	v_mov_b32_e32 v16, s7
	v_sub_co_u32_e32 v14, vcc, s6, v14
	v_subb_co_u32_e32 v15, vcc, v16, v15, vcc
	s_waitcnt lgkmcnt(0)
	global_store_dword v[14:15], v13, off offset:-4096
                                        ; implicit-def: $vgpr13
.LBB1675_274:
	s_andn2_saveexec_b64 s[4:5], s[4:5]
	s_cbranch_execz .LBB1675_276
; %bb.275:
	v_lshlrev_b32_e32 v14, 2, v0
	ds_read_b32 v14, v14 offset:4096
	v_lshlrev_b32_e32 v13, 2, v13
	v_readfirstlane_b32 s8, v8
	v_readfirstlane_b32 s9, v9
	s_waitcnt lgkmcnt(0)
	s_nop 3
	global_store_dword v13, v14, s[8:9]
.LBB1675_276:
	s_or_b64 exec, exec, s[4:5]
                                        ; implicit-def: $vgpr13
.LBB1675_277:
	s_andn2_saveexec_b64 s[2:3], s[2:3]
	s_cbranch_execz .LBB1675_279
; %bb.278:
	v_lshlrev_b32_e32 v14, 2, v0
	ds_read_b32 v14, v14 offset:4096
	v_lshlrev_b32_e32 v13, 2, v13
	v_readfirstlane_b32 s2, v10
	v_readfirstlane_b32 s3, v11
	s_waitcnt lgkmcnt(0)
	s_nop 3
	global_store_dword v13, v14, s[2:3]
.LBB1675_279:
	s_or_b64 exec, exec, s[0:1]
	v_or_b32_e32 v13, 0x500, v0
	v_cmp_gt_u32_e32 vcc, s18, v13
	s_and_saveexec_b64 s[0:1], vcc
	s_cbranch_execz .LBB1675_288
; %bb.280:
	v_cmp_le_u32_e32 vcc, v2, v13
	s_and_saveexec_b64 s[2:3], vcc
	s_xor_b64 s[2:3], exec, s[2:3]
	s_cbranch_execz .LBB1675_286
; %bb.281:
	v_cmp_le_u32_e32 vcc, v12, v13
	s_and_saveexec_b64 s[4:5], vcc
	s_xor_b64 s[4:5], exec, s[4:5]
	s_cbranch_execz .LBB1675_283
; %bb.282:
	v_add_co_u32_e32 v14, vcc, v1, v13
	v_lshlrev_b32_e32 v13, 2, v0
	ds_read_b32 v13, v13 offset:5120
	v_addc_co_u32_e32 v15, vcc, 0, v4, vcc
	v_lshlrev_b64 v[14:15], 2, v[14:15]
	v_mov_b32_e32 v16, s7
	v_sub_co_u32_e32 v14, vcc, s6, v14
	v_subb_co_u32_e32 v15, vcc, v16, v15, vcc
	s_waitcnt lgkmcnt(0)
	global_store_dword v[14:15], v13, off
                                        ; implicit-def: $vgpr13
.LBB1675_283:
	s_andn2_saveexec_b64 s[4:5], s[4:5]
	s_cbranch_execz .LBB1675_285
; %bb.284:
	v_lshlrev_b32_e32 v14, 2, v0
	ds_read_b32 v14, v14 offset:5120
	v_lshlrev_b32_e32 v13, 2, v13
	v_readfirstlane_b32 s8, v8
	v_readfirstlane_b32 s9, v9
	s_waitcnt lgkmcnt(0)
	s_nop 3
	global_store_dword v13, v14, s[8:9]
.LBB1675_285:
	s_or_b64 exec, exec, s[4:5]
                                        ; implicit-def: $vgpr13
.LBB1675_286:
	s_andn2_saveexec_b64 s[2:3], s[2:3]
	s_cbranch_execz .LBB1675_288
; %bb.287:
	v_lshlrev_b32_e32 v14, 2, v0
	ds_read_b32 v14, v14 offset:5120
	v_lshlrev_b32_e32 v13, 2, v13
	v_readfirstlane_b32 s2, v10
	v_readfirstlane_b32 s3, v11
	s_waitcnt lgkmcnt(0)
	s_nop 3
	global_store_dword v13, v14, s[2:3]
.LBB1675_288:
	s_or_b64 exec, exec, s[0:1]
	v_or_b32_e32 v13, 0x600, v0
	v_cmp_gt_u32_e32 vcc, s18, v13
	s_and_saveexec_b64 s[0:1], vcc
	s_cbranch_execz .LBB1675_297
; %bb.289:
	v_cmp_le_u32_e32 vcc, v2, v13
	s_and_saveexec_b64 s[2:3], vcc
	s_xor_b64 s[2:3], exec, s[2:3]
	s_cbranch_execz .LBB1675_295
; %bb.290:
	v_cmp_le_u32_e32 vcc, v12, v13
	s_and_saveexec_b64 s[4:5], vcc
	s_xor_b64 s[4:5], exec, s[4:5]
	s_cbranch_execz .LBB1675_292
; %bb.291:
	v_add_co_u32_e32 v14, vcc, v1, v13
	v_lshlrev_b32_e32 v13, 2, v0
	ds_read_b32 v13, v13 offset:6144
	v_addc_co_u32_e32 v15, vcc, 0, v4, vcc
	v_lshlrev_b64 v[14:15], 2, v[14:15]
	v_mov_b32_e32 v16, s7
	v_sub_co_u32_e32 v14, vcc, s6, v14
	v_subb_co_u32_e32 v15, vcc, v16, v15, vcc
	s_waitcnt lgkmcnt(0)
	global_store_dword v[14:15], v13, off
                                        ; implicit-def: $vgpr13
.LBB1675_292:
	s_andn2_saveexec_b64 s[4:5], s[4:5]
	s_cbranch_execz .LBB1675_294
; %bb.293:
	v_lshlrev_b32_e32 v14, 2, v0
	ds_read_b32 v14, v14 offset:6144
	v_lshlrev_b32_e32 v13, 2, v13
	v_readfirstlane_b32 s8, v8
	v_readfirstlane_b32 s9, v9
	s_waitcnt lgkmcnt(0)
	s_nop 3
	global_store_dword v13, v14, s[8:9]
.LBB1675_294:
	s_or_b64 exec, exec, s[4:5]
                                        ; implicit-def: $vgpr13
.LBB1675_295:
	s_andn2_saveexec_b64 s[2:3], s[2:3]
	s_cbranch_execz .LBB1675_297
; %bb.296:
	v_lshlrev_b32_e32 v14, 2, v0
	ds_read_b32 v14, v14 offset:6144
	v_lshlrev_b32_e32 v13, 2, v13
	v_readfirstlane_b32 s2, v10
	v_readfirstlane_b32 s3, v11
	s_waitcnt lgkmcnt(0)
	s_nop 3
	global_store_dword v13, v14, s[2:3]
.LBB1675_297:
	;; [unrolled: 55-line block ×7, first 2 shown]
	s_or_b64 exec, exec, s[0:1]
	v_or_b32_e32 v13, 0xc00, v0
	v_cmp_gt_u32_e32 vcc, s18, v13
	s_and_saveexec_b64 s[0:1], vcc
	s_cbranch_execz .LBB1675_351
; %bb.343:
	v_cmp_le_u32_e32 vcc, v2, v13
	s_and_saveexec_b64 s[2:3], vcc
	s_xor_b64 s[2:3], exec, s[2:3]
	s_cbranch_execz .LBB1675_349
; %bb.344:
	v_cmp_le_u32_e32 vcc, v12, v13
	s_and_saveexec_b64 s[4:5], vcc
	s_xor_b64 s[4:5], exec, s[4:5]
	s_cbranch_execz .LBB1675_346
; %bb.345:
	v_add_co_u32_e32 v8, vcc, v1, v13
	v_lshlrev_b32_e32 v1, 2, v0
	ds_read_b32 v1, v1 offset:12288
	v_addc_co_u32_e32 v9, vcc, 0, v4, vcc
	v_lshlrev_b64 v[8:9], 2, v[8:9]
	v_mov_b32_e32 v4, s7
	v_sub_co_u32_e32 v8, vcc, s6, v8
	v_subb_co_u32_e32 v9, vcc, v4, v9, vcc
	s_waitcnt lgkmcnt(0)
	global_store_dword v[8:9], v1, off
                                        ; implicit-def: $vgpr13
                                        ; implicit-def: $vgpr8_vgpr9
.LBB1675_346:
	s_andn2_saveexec_b64 s[4:5], s[4:5]
	s_cbranch_execz .LBB1675_348
; %bb.347:
	v_lshlrev_b32_e32 v1, 2, v0
	ds_read_b32 v1, v1 offset:12288
	v_lshlrev_b32_e32 v4, 2, v13
	v_readfirstlane_b32 s6, v8
	v_readfirstlane_b32 s7, v9
	s_waitcnt lgkmcnt(0)
	s_nop 3
	global_store_dword v4, v1, s[6:7]
.LBB1675_348:
	s_or_b64 exec, exec, s[4:5]
                                        ; implicit-def: $vgpr13
                                        ; implicit-def: $vgpr10_vgpr11
.LBB1675_349:
	s_andn2_saveexec_b64 s[2:3], s[2:3]
	s_cbranch_execz .LBB1675_351
; %bb.350:
	v_lshlrev_b32_e32 v1, 2, v0
	ds_read_b32 v1, v1 offset:12288
	v_lshlrev_b32_e32 v4, 2, v13
	v_readfirstlane_b32 s2, v10
	v_readfirstlane_b32 s3, v11
	s_waitcnt lgkmcnt(0)
	s_nop 3
	global_store_dword v4, v1, s[2:3]
.LBB1675_351:
	s_or_b64 exec, exec, s[0:1]
	v_cmp_eq_u32_e32 vcc, 0, v0
	s_and_b64 s[0:1], vcc, s[30:31]
	s_and_saveexec_b64 s[2:3], s[0:1]
	s_cbranch_execz .LBB1675_128
.LBB1675_352:
	v_add_co_u32_e32 v0, vcc, v6, v2
	v_addc_co_u32_e32 v1, vcc, 0, v7, vcc
	v_mov_b32_e32 v2, s51
	v_add_co_u32_e32 v3, vcc, s50, v3
	v_addc_co_u32_e32 v6, vcc, 0, v2, vcc
	v_add_co_u32_e32 v2, vcc, v3, v5
	v_mov_b32_e32 v4, 0
	v_addc_co_u32_e32 v3, vcc, 0, v6, vcc
	global_store_dwordx4 v4, v[0:3], s[44:45]
	s_endpgm
	.section	.rodata,"a",@progbits
	.p2align	6, 0x0
	.amdhsa_kernel _ZN7rocprim17ROCPRIM_400000_NS6detail17trampoline_kernelINS0_13select_configILj256ELj13ELNS0_17block_load_methodE3ELS4_3ELS4_3ELNS0_20block_scan_algorithmE0ELj4294967295EEENS1_25partition_config_selectorILNS1_17partition_subalgoE4EjNS0_10empty_typeEbEEZZNS1_14partition_implILS8_4ELb0ES6_15HIP_vector_typeIjLj2EENS0_17counting_iteratorIjlEEPS9_SG_NS0_5tupleIJPjSI_NS0_16reverse_iteratorISI_EEEEENSH_IJSG_SG_SG_EEES9_SI_JZNS1_25segmented_radix_sort_implINS0_14default_configELb1EPK6__halfPSP_PKlPlN2at6native12_GLOBAL__N_18offset_tEEE10hipError_tPvRmT1_PNSt15iterator_traitsIS13_E10value_typeET2_T3_PNS14_IS19_E10value_typeET4_jRbjT5_S1F_jjP12ihipStream_tbEUljE_ZNSN_ISO_Lb1ESR_SS_SU_SV_SZ_EES10_S11_S12_S13_S17_S18_S19_S1C_S1D_jS1E_jS1F_S1F_jjS1H_bEUljE0_EEES10_S11_S12_S19_S1D_S1F_T6_T7_T9_mT8_S1H_bDpT10_ENKUlT_T0_E_clISt17integral_constantIbLb0EES1V_EEDaS1Q_S1R_EUlS1Q_E_NS1_11comp_targetILNS1_3genE4ELNS1_11target_archE910ELNS1_3gpuE8ELNS1_3repE0EEENS1_30default_config_static_selectorELNS0_4arch9wavefront6targetE1EEEvS13_
		.amdhsa_group_segment_fixed_size 13340
		.amdhsa_private_segment_fixed_size 0
		.amdhsa_kernarg_size 176
		.amdhsa_user_sgpr_count 6
		.amdhsa_user_sgpr_private_segment_buffer 1
		.amdhsa_user_sgpr_dispatch_ptr 0
		.amdhsa_user_sgpr_queue_ptr 0
		.amdhsa_user_sgpr_kernarg_segment_ptr 1
		.amdhsa_user_sgpr_dispatch_id 0
		.amdhsa_user_sgpr_flat_scratch_init 0
		.amdhsa_user_sgpr_kernarg_preload_length 0
		.amdhsa_user_sgpr_kernarg_preload_offset 0
		.amdhsa_user_sgpr_private_segment_size 0
		.amdhsa_uses_dynamic_stack 0
		.amdhsa_system_sgpr_private_segment_wavefront_offset 0
		.amdhsa_system_sgpr_workgroup_id_x 1
		.amdhsa_system_sgpr_workgroup_id_y 0
		.amdhsa_system_sgpr_workgroup_id_z 0
		.amdhsa_system_sgpr_workgroup_info 0
		.amdhsa_system_vgpr_workitem_id 0
		.amdhsa_next_free_vgpr 102
		.amdhsa_next_free_sgpr 90
		.amdhsa_accum_offset 104
		.amdhsa_reserve_vcc 1
		.amdhsa_reserve_flat_scratch 0
		.amdhsa_float_round_mode_32 0
		.amdhsa_float_round_mode_16_64 0
		.amdhsa_float_denorm_mode_32 3
		.amdhsa_float_denorm_mode_16_64 3
		.amdhsa_dx10_clamp 1
		.amdhsa_ieee_mode 1
		.amdhsa_fp16_overflow 0
		.amdhsa_tg_split 0
		.amdhsa_exception_fp_ieee_invalid_op 0
		.amdhsa_exception_fp_denorm_src 0
		.amdhsa_exception_fp_ieee_div_zero 0
		.amdhsa_exception_fp_ieee_overflow 0
		.amdhsa_exception_fp_ieee_underflow 0
		.amdhsa_exception_fp_ieee_inexact 0
		.amdhsa_exception_int_div_zero 0
	.end_amdhsa_kernel
	.section	.text._ZN7rocprim17ROCPRIM_400000_NS6detail17trampoline_kernelINS0_13select_configILj256ELj13ELNS0_17block_load_methodE3ELS4_3ELS4_3ELNS0_20block_scan_algorithmE0ELj4294967295EEENS1_25partition_config_selectorILNS1_17partition_subalgoE4EjNS0_10empty_typeEbEEZZNS1_14partition_implILS8_4ELb0ES6_15HIP_vector_typeIjLj2EENS0_17counting_iteratorIjlEEPS9_SG_NS0_5tupleIJPjSI_NS0_16reverse_iteratorISI_EEEEENSH_IJSG_SG_SG_EEES9_SI_JZNS1_25segmented_radix_sort_implINS0_14default_configELb1EPK6__halfPSP_PKlPlN2at6native12_GLOBAL__N_18offset_tEEE10hipError_tPvRmT1_PNSt15iterator_traitsIS13_E10value_typeET2_T3_PNS14_IS19_E10value_typeET4_jRbjT5_S1F_jjP12ihipStream_tbEUljE_ZNSN_ISO_Lb1ESR_SS_SU_SV_SZ_EES10_S11_S12_S13_S17_S18_S19_S1C_S1D_jS1E_jS1F_S1F_jjS1H_bEUljE0_EEES10_S11_S12_S19_S1D_S1F_T6_T7_T9_mT8_S1H_bDpT10_ENKUlT_T0_E_clISt17integral_constantIbLb0EES1V_EEDaS1Q_S1R_EUlS1Q_E_NS1_11comp_targetILNS1_3genE4ELNS1_11target_archE910ELNS1_3gpuE8ELNS1_3repE0EEENS1_30default_config_static_selectorELNS0_4arch9wavefront6targetE1EEEvS13_,"axG",@progbits,_ZN7rocprim17ROCPRIM_400000_NS6detail17trampoline_kernelINS0_13select_configILj256ELj13ELNS0_17block_load_methodE3ELS4_3ELS4_3ELNS0_20block_scan_algorithmE0ELj4294967295EEENS1_25partition_config_selectorILNS1_17partition_subalgoE4EjNS0_10empty_typeEbEEZZNS1_14partition_implILS8_4ELb0ES6_15HIP_vector_typeIjLj2EENS0_17counting_iteratorIjlEEPS9_SG_NS0_5tupleIJPjSI_NS0_16reverse_iteratorISI_EEEEENSH_IJSG_SG_SG_EEES9_SI_JZNS1_25segmented_radix_sort_implINS0_14default_configELb1EPK6__halfPSP_PKlPlN2at6native12_GLOBAL__N_18offset_tEEE10hipError_tPvRmT1_PNSt15iterator_traitsIS13_E10value_typeET2_T3_PNS14_IS19_E10value_typeET4_jRbjT5_S1F_jjP12ihipStream_tbEUljE_ZNSN_ISO_Lb1ESR_SS_SU_SV_SZ_EES10_S11_S12_S13_S17_S18_S19_S1C_S1D_jS1E_jS1F_S1F_jjS1H_bEUljE0_EEES10_S11_S12_S19_S1D_S1F_T6_T7_T9_mT8_S1H_bDpT10_ENKUlT_T0_E_clISt17integral_constantIbLb0EES1V_EEDaS1Q_S1R_EUlS1Q_E_NS1_11comp_targetILNS1_3genE4ELNS1_11target_archE910ELNS1_3gpuE8ELNS1_3repE0EEENS1_30default_config_static_selectorELNS0_4arch9wavefront6targetE1EEEvS13_,comdat
.Lfunc_end1675:
	.size	_ZN7rocprim17ROCPRIM_400000_NS6detail17trampoline_kernelINS0_13select_configILj256ELj13ELNS0_17block_load_methodE3ELS4_3ELS4_3ELNS0_20block_scan_algorithmE0ELj4294967295EEENS1_25partition_config_selectorILNS1_17partition_subalgoE4EjNS0_10empty_typeEbEEZZNS1_14partition_implILS8_4ELb0ES6_15HIP_vector_typeIjLj2EENS0_17counting_iteratorIjlEEPS9_SG_NS0_5tupleIJPjSI_NS0_16reverse_iteratorISI_EEEEENSH_IJSG_SG_SG_EEES9_SI_JZNS1_25segmented_radix_sort_implINS0_14default_configELb1EPK6__halfPSP_PKlPlN2at6native12_GLOBAL__N_18offset_tEEE10hipError_tPvRmT1_PNSt15iterator_traitsIS13_E10value_typeET2_T3_PNS14_IS19_E10value_typeET4_jRbjT5_S1F_jjP12ihipStream_tbEUljE_ZNSN_ISO_Lb1ESR_SS_SU_SV_SZ_EES10_S11_S12_S13_S17_S18_S19_S1C_S1D_jS1E_jS1F_S1F_jjS1H_bEUljE0_EEES10_S11_S12_S19_S1D_S1F_T6_T7_T9_mT8_S1H_bDpT10_ENKUlT_T0_E_clISt17integral_constantIbLb0EES1V_EEDaS1Q_S1R_EUlS1Q_E_NS1_11comp_targetILNS1_3genE4ELNS1_11target_archE910ELNS1_3gpuE8ELNS1_3repE0EEENS1_30default_config_static_selectorELNS0_4arch9wavefront6targetE1EEEvS13_, .Lfunc_end1675-_ZN7rocprim17ROCPRIM_400000_NS6detail17trampoline_kernelINS0_13select_configILj256ELj13ELNS0_17block_load_methodE3ELS4_3ELS4_3ELNS0_20block_scan_algorithmE0ELj4294967295EEENS1_25partition_config_selectorILNS1_17partition_subalgoE4EjNS0_10empty_typeEbEEZZNS1_14partition_implILS8_4ELb0ES6_15HIP_vector_typeIjLj2EENS0_17counting_iteratorIjlEEPS9_SG_NS0_5tupleIJPjSI_NS0_16reverse_iteratorISI_EEEEENSH_IJSG_SG_SG_EEES9_SI_JZNS1_25segmented_radix_sort_implINS0_14default_configELb1EPK6__halfPSP_PKlPlN2at6native12_GLOBAL__N_18offset_tEEE10hipError_tPvRmT1_PNSt15iterator_traitsIS13_E10value_typeET2_T3_PNS14_IS19_E10value_typeET4_jRbjT5_S1F_jjP12ihipStream_tbEUljE_ZNSN_ISO_Lb1ESR_SS_SU_SV_SZ_EES10_S11_S12_S13_S17_S18_S19_S1C_S1D_jS1E_jS1F_S1F_jjS1H_bEUljE0_EEES10_S11_S12_S19_S1D_S1F_T6_T7_T9_mT8_S1H_bDpT10_ENKUlT_T0_E_clISt17integral_constantIbLb0EES1V_EEDaS1Q_S1R_EUlS1Q_E_NS1_11comp_targetILNS1_3genE4ELNS1_11target_archE910ELNS1_3gpuE8ELNS1_3repE0EEENS1_30default_config_static_selectorELNS0_4arch9wavefront6targetE1EEEvS13_
                                        ; -- End function
	.section	.AMDGPU.csdata,"",@progbits
; Kernel info:
; codeLenInByte = 13332
; NumSgprs: 94
; NumVgprs: 102
; NumAgprs: 0
; TotalNumVgprs: 102
; ScratchSize: 0
; MemoryBound: 0
; FloatMode: 240
; IeeeMode: 1
; LDSByteSize: 13340 bytes/workgroup (compile time only)
; SGPRBlocks: 11
; VGPRBlocks: 12
; NumSGPRsForWavesPerEU: 94
; NumVGPRsForWavesPerEU: 102
; AccumOffset: 104
; Occupancy: 4
; WaveLimiterHint : 1
; COMPUTE_PGM_RSRC2:SCRATCH_EN: 0
; COMPUTE_PGM_RSRC2:USER_SGPR: 6
; COMPUTE_PGM_RSRC2:TRAP_HANDLER: 0
; COMPUTE_PGM_RSRC2:TGID_X_EN: 1
; COMPUTE_PGM_RSRC2:TGID_Y_EN: 0
; COMPUTE_PGM_RSRC2:TGID_Z_EN: 0
; COMPUTE_PGM_RSRC2:TIDIG_COMP_CNT: 0
; COMPUTE_PGM_RSRC3_GFX90A:ACCUM_OFFSET: 25
; COMPUTE_PGM_RSRC3_GFX90A:TG_SPLIT: 0
	.section	.text._ZN7rocprim17ROCPRIM_400000_NS6detail17trampoline_kernelINS0_13select_configILj256ELj13ELNS0_17block_load_methodE3ELS4_3ELS4_3ELNS0_20block_scan_algorithmE0ELj4294967295EEENS1_25partition_config_selectorILNS1_17partition_subalgoE4EjNS0_10empty_typeEbEEZZNS1_14partition_implILS8_4ELb0ES6_15HIP_vector_typeIjLj2EENS0_17counting_iteratorIjlEEPS9_SG_NS0_5tupleIJPjSI_NS0_16reverse_iteratorISI_EEEEENSH_IJSG_SG_SG_EEES9_SI_JZNS1_25segmented_radix_sort_implINS0_14default_configELb1EPK6__halfPSP_PKlPlN2at6native12_GLOBAL__N_18offset_tEEE10hipError_tPvRmT1_PNSt15iterator_traitsIS13_E10value_typeET2_T3_PNS14_IS19_E10value_typeET4_jRbjT5_S1F_jjP12ihipStream_tbEUljE_ZNSN_ISO_Lb1ESR_SS_SU_SV_SZ_EES10_S11_S12_S13_S17_S18_S19_S1C_S1D_jS1E_jS1F_S1F_jjS1H_bEUljE0_EEES10_S11_S12_S19_S1D_S1F_T6_T7_T9_mT8_S1H_bDpT10_ENKUlT_T0_E_clISt17integral_constantIbLb0EES1V_EEDaS1Q_S1R_EUlS1Q_E_NS1_11comp_targetILNS1_3genE3ELNS1_11target_archE908ELNS1_3gpuE7ELNS1_3repE0EEENS1_30default_config_static_selectorELNS0_4arch9wavefront6targetE1EEEvS13_,"axG",@progbits,_ZN7rocprim17ROCPRIM_400000_NS6detail17trampoline_kernelINS0_13select_configILj256ELj13ELNS0_17block_load_methodE3ELS4_3ELS4_3ELNS0_20block_scan_algorithmE0ELj4294967295EEENS1_25partition_config_selectorILNS1_17partition_subalgoE4EjNS0_10empty_typeEbEEZZNS1_14partition_implILS8_4ELb0ES6_15HIP_vector_typeIjLj2EENS0_17counting_iteratorIjlEEPS9_SG_NS0_5tupleIJPjSI_NS0_16reverse_iteratorISI_EEEEENSH_IJSG_SG_SG_EEES9_SI_JZNS1_25segmented_radix_sort_implINS0_14default_configELb1EPK6__halfPSP_PKlPlN2at6native12_GLOBAL__N_18offset_tEEE10hipError_tPvRmT1_PNSt15iterator_traitsIS13_E10value_typeET2_T3_PNS14_IS19_E10value_typeET4_jRbjT5_S1F_jjP12ihipStream_tbEUljE_ZNSN_ISO_Lb1ESR_SS_SU_SV_SZ_EES10_S11_S12_S13_S17_S18_S19_S1C_S1D_jS1E_jS1F_S1F_jjS1H_bEUljE0_EEES10_S11_S12_S19_S1D_S1F_T6_T7_T9_mT8_S1H_bDpT10_ENKUlT_T0_E_clISt17integral_constantIbLb0EES1V_EEDaS1Q_S1R_EUlS1Q_E_NS1_11comp_targetILNS1_3genE3ELNS1_11target_archE908ELNS1_3gpuE7ELNS1_3repE0EEENS1_30default_config_static_selectorELNS0_4arch9wavefront6targetE1EEEvS13_,comdat
	.globl	_ZN7rocprim17ROCPRIM_400000_NS6detail17trampoline_kernelINS0_13select_configILj256ELj13ELNS0_17block_load_methodE3ELS4_3ELS4_3ELNS0_20block_scan_algorithmE0ELj4294967295EEENS1_25partition_config_selectorILNS1_17partition_subalgoE4EjNS0_10empty_typeEbEEZZNS1_14partition_implILS8_4ELb0ES6_15HIP_vector_typeIjLj2EENS0_17counting_iteratorIjlEEPS9_SG_NS0_5tupleIJPjSI_NS0_16reverse_iteratorISI_EEEEENSH_IJSG_SG_SG_EEES9_SI_JZNS1_25segmented_radix_sort_implINS0_14default_configELb1EPK6__halfPSP_PKlPlN2at6native12_GLOBAL__N_18offset_tEEE10hipError_tPvRmT1_PNSt15iterator_traitsIS13_E10value_typeET2_T3_PNS14_IS19_E10value_typeET4_jRbjT5_S1F_jjP12ihipStream_tbEUljE_ZNSN_ISO_Lb1ESR_SS_SU_SV_SZ_EES10_S11_S12_S13_S17_S18_S19_S1C_S1D_jS1E_jS1F_S1F_jjS1H_bEUljE0_EEES10_S11_S12_S19_S1D_S1F_T6_T7_T9_mT8_S1H_bDpT10_ENKUlT_T0_E_clISt17integral_constantIbLb0EES1V_EEDaS1Q_S1R_EUlS1Q_E_NS1_11comp_targetILNS1_3genE3ELNS1_11target_archE908ELNS1_3gpuE7ELNS1_3repE0EEENS1_30default_config_static_selectorELNS0_4arch9wavefront6targetE1EEEvS13_ ; -- Begin function _ZN7rocprim17ROCPRIM_400000_NS6detail17trampoline_kernelINS0_13select_configILj256ELj13ELNS0_17block_load_methodE3ELS4_3ELS4_3ELNS0_20block_scan_algorithmE0ELj4294967295EEENS1_25partition_config_selectorILNS1_17partition_subalgoE4EjNS0_10empty_typeEbEEZZNS1_14partition_implILS8_4ELb0ES6_15HIP_vector_typeIjLj2EENS0_17counting_iteratorIjlEEPS9_SG_NS0_5tupleIJPjSI_NS0_16reverse_iteratorISI_EEEEENSH_IJSG_SG_SG_EEES9_SI_JZNS1_25segmented_radix_sort_implINS0_14default_configELb1EPK6__halfPSP_PKlPlN2at6native12_GLOBAL__N_18offset_tEEE10hipError_tPvRmT1_PNSt15iterator_traitsIS13_E10value_typeET2_T3_PNS14_IS19_E10value_typeET4_jRbjT5_S1F_jjP12ihipStream_tbEUljE_ZNSN_ISO_Lb1ESR_SS_SU_SV_SZ_EES10_S11_S12_S13_S17_S18_S19_S1C_S1D_jS1E_jS1F_S1F_jjS1H_bEUljE0_EEES10_S11_S12_S19_S1D_S1F_T6_T7_T9_mT8_S1H_bDpT10_ENKUlT_T0_E_clISt17integral_constantIbLb0EES1V_EEDaS1Q_S1R_EUlS1Q_E_NS1_11comp_targetILNS1_3genE3ELNS1_11target_archE908ELNS1_3gpuE7ELNS1_3repE0EEENS1_30default_config_static_selectorELNS0_4arch9wavefront6targetE1EEEvS13_
	.p2align	8
	.type	_ZN7rocprim17ROCPRIM_400000_NS6detail17trampoline_kernelINS0_13select_configILj256ELj13ELNS0_17block_load_methodE3ELS4_3ELS4_3ELNS0_20block_scan_algorithmE0ELj4294967295EEENS1_25partition_config_selectorILNS1_17partition_subalgoE4EjNS0_10empty_typeEbEEZZNS1_14partition_implILS8_4ELb0ES6_15HIP_vector_typeIjLj2EENS0_17counting_iteratorIjlEEPS9_SG_NS0_5tupleIJPjSI_NS0_16reverse_iteratorISI_EEEEENSH_IJSG_SG_SG_EEES9_SI_JZNS1_25segmented_radix_sort_implINS0_14default_configELb1EPK6__halfPSP_PKlPlN2at6native12_GLOBAL__N_18offset_tEEE10hipError_tPvRmT1_PNSt15iterator_traitsIS13_E10value_typeET2_T3_PNS14_IS19_E10value_typeET4_jRbjT5_S1F_jjP12ihipStream_tbEUljE_ZNSN_ISO_Lb1ESR_SS_SU_SV_SZ_EES10_S11_S12_S13_S17_S18_S19_S1C_S1D_jS1E_jS1F_S1F_jjS1H_bEUljE0_EEES10_S11_S12_S19_S1D_S1F_T6_T7_T9_mT8_S1H_bDpT10_ENKUlT_T0_E_clISt17integral_constantIbLb0EES1V_EEDaS1Q_S1R_EUlS1Q_E_NS1_11comp_targetILNS1_3genE3ELNS1_11target_archE908ELNS1_3gpuE7ELNS1_3repE0EEENS1_30default_config_static_selectorELNS0_4arch9wavefront6targetE1EEEvS13_,@function
_ZN7rocprim17ROCPRIM_400000_NS6detail17trampoline_kernelINS0_13select_configILj256ELj13ELNS0_17block_load_methodE3ELS4_3ELS4_3ELNS0_20block_scan_algorithmE0ELj4294967295EEENS1_25partition_config_selectorILNS1_17partition_subalgoE4EjNS0_10empty_typeEbEEZZNS1_14partition_implILS8_4ELb0ES6_15HIP_vector_typeIjLj2EENS0_17counting_iteratorIjlEEPS9_SG_NS0_5tupleIJPjSI_NS0_16reverse_iteratorISI_EEEEENSH_IJSG_SG_SG_EEES9_SI_JZNS1_25segmented_radix_sort_implINS0_14default_configELb1EPK6__halfPSP_PKlPlN2at6native12_GLOBAL__N_18offset_tEEE10hipError_tPvRmT1_PNSt15iterator_traitsIS13_E10value_typeET2_T3_PNS14_IS19_E10value_typeET4_jRbjT5_S1F_jjP12ihipStream_tbEUljE_ZNSN_ISO_Lb1ESR_SS_SU_SV_SZ_EES10_S11_S12_S13_S17_S18_S19_S1C_S1D_jS1E_jS1F_S1F_jjS1H_bEUljE0_EEES10_S11_S12_S19_S1D_S1F_T6_T7_T9_mT8_S1H_bDpT10_ENKUlT_T0_E_clISt17integral_constantIbLb0EES1V_EEDaS1Q_S1R_EUlS1Q_E_NS1_11comp_targetILNS1_3genE3ELNS1_11target_archE908ELNS1_3gpuE7ELNS1_3repE0EEENS1_30default_config_static_selectorELNS0_4arch9wavefront6targetE1EEEvS13_: ; @_ZN7rocprim17ROCPRIM_400000_NS6detail17trampoline_kernelINS0_13select_configILj256ELj13ELNS0_17block_load_methodE3ELS4_3ELS4_3ELNS0_20block_scan_algorithmE0ELj4294967295EEENS1_25partition_config_selectorILNS1_17partition_subalgoE4EjNS0_10empty_typeEbEEZZNS1_14partition_implILS8_4ELb0ES6_15HIP_vector_typeIjLj2EENS0_17counting_iteratorIjlEEPS9_SG_NS0_5tupleIJPjSI_NS0_16reverse_iteratorISI_EEEEENSH_IJSG_SG_SG_EEES9_SI_JZNS1_25segmented_radix_sort_implINS0_14default_configELb1EPK6__halfPSP_PKlPlN2at6native12_GLOBAL__N_18offset_tEEE10hipError_tPvRmT1_PNSt15iterator_traitsIS13_E10value_typeET2_T3_PNS14_IS19_E10value_typeET4_jRbjT5_S1F_jjP12ihipStream_tbEUljE_ZNSN_ISO_Lb1ESR_SS_SU_SV_SZ_EES10_S11_S12_S13_S17_S18_S19_S1C_S1D_jS1E_jS1F_S1F_jjS1H_bEUljE0_EEES10_S11_S12_S19_S1D_S1F_T6_T7_T9_mT8_S1H_bDpT10_ENKUlT_T0_E_clISt17integral_constantIbLb0EES1V_EEDaS1Q_S1R_EUlS1Q_E_NS1_11comp_targetILNS1_3genE3ELNS1_11target_archE908ELNS1_3gpuE7ELNS1_3repE0EEENS1_30default_config_static_selectorELNS0_4arch9wavefront6targetE1EEEvS13_
; %bb.0:
	.section	.rodata,"a",@progbits
	.p2align	6, 0x0
	.amdhsa_kernel _ZN7rocprim17ROCPRIM_400000_NS6detail17trampoline_kernelINS0_13select_configILj256ELj13ELNS0_17block_load_methodE3ELS4_3ELS4_3ELNS0_20block_scan_algorithmE0ELj4294967295EEENS1_25partition_config_selectorILNS1_17partition_subalgoE4EjNS0_10empty_typeEbEEZZNS1_14partition_implILS8_4ELb0ES6_15HIP_vector_typeIjLj2EENS0_17counting_iteratorIjlEEPS9_SG_NS0_5tupleIJPjSI_NS0_16reverse_iteratorISI_EEEEENSH_IJSG_SG_SG_EEES9_SI_JZNS1_25segmented_radix_sort_implINS0_14default_configELb1EPK6__halfPSP_PKlPlN2at6native12_GLOBAL__N_18offset_tEEE10hipError_tPvRmT1_PNSt15iterator_traitsIS13_E10value_typeET2_T3_PNS14_IS19_E10value_typeET4_jRbjT5_S1F_jjP12ihipStream_tbEUljE_ZNSN_ISO_Lb1ESR_SS_SU_SV_SZ_EES10_S11_S12_S13_S17_S18_S19_S1C_S1D_jS1E_jS1F_S1F_jjS1H_bEUljE0_EEES10_S11_S12_S19_S1D_S1F_T6_T7_T9_mT8_S1H_bDpT10_ENKUlT_T0_E_clISt17integral_constantIbLb0EES1V_EEDaS1Q_S1R_EUlS1Q_E_NS1_11comp_targetILNS1_3genE3ELNS1_11target_archE908ELNS1_3gpuE7ELNS1_3repE0EEENS1_30default_config_static_selectorELNS0_4arch9wavefront6targetE1EEEvS13_
		.amdhsa_group_segment_fixed_size 0
		.amdhsa_private_segment_fixed_size 0
		.amdhsa_kernarg_size 176
		.amdhsa_user_sgpr_count 6
		.amdhsa_user_sgpr_private_segment_buffer 1
		.amdhsa_user_sgpr_dispatch_ptr 0
		.amdhsa_user_sgpr_queue_ptr 0
		.amdhsa_user_sgpr_kernarg_segment_ptr 1
		.amdhsa_user_sgpr_dispatch_id 0
		.amdhsa_user_sgpr_flat_scratch_init 0
		.amdhsa_user_sgpr_kernarg_preload_length 0
		.amdhsa_user_sgpr_kernarg_preload_offset 0
		.amdhsa_user_sgpr_private_segment_size 0
		.amdhsa_uses_dynamic_stack 0
		.amdhsa_system_sgpr_private_segment_wavefront_offset 0
		.amdhsa_system_sgpr_workgroup_id_x 1
		.amdhsa_system_sgpr_workgroup_id_y 0
		.amdhsa_system_sgpr_workgroup_id_z 0
		.amdhsa_system_sgpr_workgroup_info 0
		.amdhsa_system_vgpr_workitem_id 0
		.amdhsa_next_free_vgpr 1
		.amdhsa_next_free_sgpr 0
		.amdhsa_accum_offset 4
		.amdhsa_reserve_vcc 0
		.amdhsa_reserve_flat_scratch 0
		.amdhsa_float_round_mode_32 0
		.amdhsa_float_round_mode_16_64 0
		.amdhsa_float_denorm_mode_32 3
		.amdhsa_float_denorm_mode_16_64 3
		.amdhsa_dx10_clamp 1
		.amdhsa_ieee_mode 1
		.amdhsa_fp16_overflow 0
		.amdhsa_tg_split 0
		.amdhsa_exception_fp_ieee_invalid_op 0
		.amdhsa_exception_fp_denorm_src 0
		.amdhsa_exception_fp_ieee_div_zero 0
		.amdhsa_exception_fp_ieee_overflow 0
		.amdhsa_exception_fp_ieee_underflow 0
		.amdhsa_exception_fp_ieee_inexact 0
		.amdhsa_exception_int_div_zero 0
	.end_amdhsa_kernel
	.section	.text._ZN7rocprim17ROCPRIM_400000_NS6detail17trampoline_kernelINS0_13select_configILj256ELj13ELNS0_17block_load_methodE3ELS4_3ELS4_3ELNS0_20block_scan_algorithmE0ELj4294967295EEENS1_25partition_config_selectorILNS1_17partition_subalgoE4EjNS0_10empty_typeEbEEZZNS1_14partition_implILS8_4ELb0ES6_15HIP_vector_typeIjLj2EENS0_17counting_iteratorIjlEEPS9_SG_NS0_5tupleIJPjSI_NS0_16reverse_iteratorISI_EEEEENSH_IJSG_SG_SG_EEES9_SI_JZNS1_25segmented_radix_sort_implINS0_14default_configELb1EPK6__halfPSP_PKlPlN2at6native12_GLOBAL__N_18offset_tEEE10hipError_tPvRmT1_PNSt15iterator_traitsIS13_E10value_typeET2_T3_PNS14_IS19_E10value_typeET4_jRbjT5_S1F_jjP12ihipStream_tbEUljE_ZNSN_ISO_Lb1ESR_SS_SU_SV_SZ_EES10_S11_S12_S13_S17_S18_S19_S1C_S1D_jS1E_jS1F_S1F_jjS1H_bEUljE0_EEES10_S11_S12_S19_S1D_S1F_T6_T7_T9_mT8_S1H_bDpT10_ENKUlT_T0_E_clISt17integral_constantIbLb0EES1V_EEDaS1Q_S1R_EUlS1Q_E_NS1_11comp_targetILNS1_3genE3ELNS1_11target_archE908ELNS1_3gpuE7ELNS1_3repE0EEENS1_30default_config_static_selectorELNS0_4arch9wavefront6targetE1EEEvS13_,"axG",@progbits,_ZN7rocprim17ROCPRIM_400000_NS6detail17trampoline_kernelINS0_13select_configILj256ELj13ELNS0_17block_load_methodE3ELS4_3ELS4_3ELNS0_20block_scan_algorithmE0ELj4294967295EEENS1_25partition_config_selectorILNS1_17partition_subalgoE4EjNS0_10empty_typeEbEEZZNS1_14partition_implILS8_4ELb0ES6_15HIP_vector_typeIjLj2EENS0_17counting_iteratorIjlEEPS9_SG_NS0_5tupleIJPjSI_NS0_16reverse_iteratorISI_EEEEENSH_IJSG_SG_SG_EEES9_SI_JZNS1_25segmented_radix_sort_implINS0_14default_configELb1EPK6__halfPSP_PKlPlN2at6native12_GLOBAL__N_18offset_tEEE10hipError_tPvRmT1_PNSt15iterator_traitsIS13_E10value_typeET2_T3_PNS14_IS19_E10value_typeET4_jRbjT5_S1F_jjP12ihipStream_tbEUljE_ZNSN_ISO_Lb1ESR_SS_SU_SV_SZ_EES10_S11_S12_S13_S17_S18_S19_S1C_S1D_jS1E_jS1F_S1F_jjS1H_bEUljE0_EEES10_S11_S12_S19_S1D_S1F_T6_T7_T9_mT8_S1H_bDpT10_ENKUlT_T0_E_clISt17integral_constantIbLb0EES1V_EEDaS1Q_S1R_EUlS1Q_E_NS1_11comp_targetILNS1_3genE3ELNS1_11target_archE908ELNS1_3gpuE7ELNS1_3repE0EEENS1_30default_config_static_selectorELNS0_4arch9wavefront6targetE1EEEvS13_,comdat
.Lfunc_end1676:
	.size	_ZN7rocprim17ROCPRIM_400000_NS6detail17trampoline_kernelINS0_13select_configILj256ELj13ELNS0_17block_load_methodE3ELS4_3ELS4_3ELNS0_20block_scan_algorithmE0ELj4294967295EEENS1_25partition_config_selectorILNS1_17partition_subalgoE4EjNS0_10empty_typeEbEEZZNS1_14partition_implILS8_4ELb0ES6_15HIP_vector_typeIjLj2EENS0_17counting_iteratorIjlEEPS9_SG_NS0_5tupleIJPjSI_NS0_16reverse_iteratorISI_EEEEENSH_IJSG_SG_SG_EEES9_SI_JZNS1_25segmented_radix_sort_implINS0_14default_configELb1EPK6__halfPSP_PKlPlN2at6native12_GLOBAL__N_18offset_tEEE10hipError_tPvRmT1_PNSt15iterator_traitsIS13_E10value_typeET2_T3_PNS14_IS19_E10value_typeET4_jRbjT5_S1F_jjP12ihipStream_tbEUljE_ZNSN_ISO_Lb1ESR_SS_SU_SV_SZ_EES10_S11_S12_S13_S17_S18_S19_S1C_S1D_jS1E_jS1F_S1F_jjS1H_bEUljE0_EEES10_S11_S12_S19_S1D_S1F_T6_T7_T9_mT8_S1H_bDpT10_ENKUlT_T0_E_clISt17integral_constantIbLb0EES1V_EEDaS1Q_S1R_EUlS1Q_E_NS1_11comp_targetILNS1_3genE3ELNS1_11target_archE908ELNS1_3gpuE7ELNS1_3repE0EEENS1_30default_config_static_selectorELNS0_4arch9wavefront6targetE1EEEvS13_, .Lfunc_end1676-_ZN7rocprim17ROCPRIM_400000_NS6detail17trampoline_kernelINS0_13select_configILj256ELj13ELNS0_17block_load_methodE3ELS4_3ELS4_3ELNS0_20block_scan_algorithmE0ELj4294967295EEENS1_25partition_config_selectorILNS1_17partition_subalgoE4EjNS0_10empty_typeEbEEZZNS1_14partition_implILS8_4ELb0ES6_15HIP_vector_typeIjLj2EENS0_17counting_iteratorIjlEEPS9_SG_NS0_5tupleIJPjSI_NS0_16reverse_iteratorISI_EEEEENSH_IJSG_SG_SG_EEES9_SI_JZNS1_25segmented_radix_sort_implINS0_14default_configELb1EPK6__halfPSP_PKlPlN2at6native12_GLOBAL__N_18offset_tEEE10hipError_tPvRmT1_PNSt15iterator_traitsIS13_E10value_typeET2_T3_PNS14_IS19_E10value_typeET4_jRbjT5_S1F_jjP12ihipStream_tbEUljE_ZNSN_ISO_Lb1ESR_SS_SU_SV_SZ_EES10_S11_S12_S13_S17_S18_S19_S1C_S1D_jS1E_jS1F_S1F_jjS1H_bEUljE0_EEES10_S11_S12_S19_S1D_S1F_T6_T7_T9_mT8_S1H_bDpT10_ENKUlT_T0_E_clISt17integral_constantIbLb0EES1V_EEDaS1Q_S1R_EUlS1Q_E_NS1_11comp_targetILNS1_3genE3ELNS1_11target_archE908ELNS1_3gpuE7ELNS1_3repE0EEENS1_30default_config_static_selectorELNS0_4arch9wavefront6targetE1EEEvS13_
                                        ; -- End function
	.section	.AMDGPU.csdata,"",@progbits
; Kernel info:
; codeLenInByte = 0
; NumSgprs: 4
; NumVgprs: 0
; NumAgprs: 0
; TotalNumVgprs: 0
; ScratchSize: 0
; MemoryBound: 0
; FloatMode: 240
; IeeeMode: 1
; LDSByteSize: 0 bytes/workgroup (compile time only)
; SGPRBlocks: 0
; VGPRBlocks: 0
; NumSGPRsForWavesPerEU: 4
; NumVGPRsForWavesPerEU: 1
; AccumOffset: 4
; Occupancy: 8
; WaveLimiterHint : 0
; COMPUTE_PGM_RSRC2:SCRATCH_EN: 0
; COMPUTE_PGM_RSRC2:USER_SGPR: 6
; COMPUTE_PGM_RSRC2:TRAP_HANDLER: 0
; COMPUTE_PGM_RSRC2:TGID_X_EN: 1
; COMPUTE_PGM_RSRC2:TGID_Y_EN: 0
; COMPUTE_PGM_RSRC2:TGID_Z_EN: 0
; COMPUTE_PGM_RSRC2:TIDIG_COMP_CNT: 0
; COMPUTE_PGM_RSRC3_GFX90A:ACCUM_OFFSET: 0
; COMPUTE_PGM_RSRC3_GFX90A:TG_SPLIT: 0
	.section	.text._ZN7rocprim17ROCPRIM_400000_NS6detail17trampoline_kernelINS0_13select_configILj256ELj13ELNS0_17block_load_methodE3ELS4_3ELS4_3ELNS0_20block_scan_algorithmE0ELj4294967295EEENS1_25partition_config_selectorILNS1_17partition_subalgoE4EjNS0_10empty_typeEbEEZZNS1_14partition_implILS8_4ELb0ES6_15HIP_vector_typeIjLj2EENS0_17counting_iteratorIjlEEPS9_SG_NS0_5tupleIJPjSI_NS0_16reverse_iteratorISI_EEEEENSH_IJSG_SG_SG_EEES9_SI_JZNS1_25segmented_radix_sort_implINS0_14default_configELb1EPK6__halfPSP_PKlPlN2at6native12_GLOBAL__N_18offset_tEEE10hipError_tPvRmT1_PNSt15iterator_traitsIS13_E10value_typeET2_T3_PNS14_IS19_E10value_typeET4_jRbjT5_S1F_jjP12ihipStream_tbEUljE_ZNSN_ISO_Lb1ESR_SS_SU_SV_SZ_EES10_S11_S12_S13_S17_S18_S19_S1C_S1D_jS1E_jS1F_S1F_jjS1H_bEUljE0_EEES10_S11_S12_S19_S1D_S1F_T6_T7_T9_mT8_S1H_bDpT10_ENKUlT_T0_E_clISt17integral_constantIbLb0EES1V_EEDaS1Q_S1R_EUlS1Q_E_NS1_11comp_targetILNS1_3genE2ELNS1_11target_archE906ELNS1_3gpuE6ELNS1_3repE0EEENS1_30default_config_static_selectorELNS0_4arch9wavefront6targetE1EEEvS13_,"axG",@progbits,_ZN7rocprim17ROCPRIM_400000_NS6detail17trampoline_kernelINS0_13select_configILj256ELj13ELNS0_17block_load_methodE3ELS4_3ELS4_3ELNS0_20block_scan_algorithmE0ELj4294967295EEENS1_25partition_config_selectorILNS1_17partition_subalgoE4EjNS0_10empty_typeEbEEZZNS1_14partition_implILS8_4ELb0ES6_15HIP_vector_typeIjLj2EENS0_17counting_iteratorIjlEEPS9_SG_NS0_5tupleIJPjSI_NS0_16reverse_iteratorISI_EEEEENSH_IJSG_SG_SG_EEES9_SI_JZNS1_25segmented_radix_sort_implINS0_14default_configELb1EPK6__halfPSP_PKlPlN2at6native12_GLOBAL__N_18offset_tEEE10hipError_tPvRmT1_PNSt15iterator_traitsIS13_E10value_typeET2_T3_PNS14_IS19_E10value_typeET4_jRbjT5_S1F_jjP12ihipStream_tbEUljE_ZNSN_ISO_Lb1ESR_SS_SU_SV_SZ_EES10_S11_S12_S13_S17_S18_S19_S1C_S1D_jS1E_jS1F_S1F_jjS1H_bEUljE0_EEES10_S11_S12_S19_S1D_S1F_T6_T7_T9_mT8_S1H_bDpT10_ENKUlT_T0_E_clISt17integral_constantIbLb0EES1V_EEDaS1Q_S1R_EUlS1Q_E_NS1_11comp_targetILNS1_3genE2ELNS1_11target_archE906ELNS1_3gpuE6ELNS1_3repE0EEENS1_30default_config_static_selectorELNS0_4arch9wavefront6targetE1EEEvS13_,comdat
	.globl	_ZN7rocprim17ROCPRIM_400000_NS6detail17trampoline_kernelINS0_13select_configILj256ELj13ELNS0_17block_load_methodE3ELS4_3ELS4_3ELNS0_20block_scan_algorithmE0ELj4294967295EEENS1_25partition_config_selectorILNS1_17partition_subalgoE4EjNS0_10empty_typeEbEEZZNS1_14partition_implILS8_4ELb0ES6_15HIP_vector_typeIjLj2EENS0_17counting_iteratorIjlEEPS9_SG_NS0_5tupleIJPjSI_NS0_16reverse_iteratorISI_EEEEENSH_IJSG_SG_SG_EEES9_SI_JZNS1_25segmented_radix_sort_implINS0_14default_configELb1EPK6__halfPSP_PKlPlN2at6native12_GLOBAL__N_18offset_tEEE10hipError_tPvRmT1_PNSt15iterator_traitsIS13_E10value_typeET2_T3_PNS14_IS19_E10value_typeET4_jRbjT5_S1F_jjP12ihipStream_tbEUljE_ZNSN_ISO_Lb1ESR_SS_SU_SV_SZ_EES10_S11_S12_S13_S17_S18_S19_S1C_S1D_jS1E_jS1F_S1F_jjS1H_bEUljE0_EEES10_S11_S12_S19_S1D_S1F_T6_T7_T9_mT8_S1H_bDpT10_ENKUlT_T0_E_clISt17integral_constantIbLb0EES1V_EEDaS1Q_S1R_EUlS1Q_E_NS1_11comp_targetILNS1_3genE2ELNS1_11target_archE906ELNS1_3gpuE6ELNS1_3repE0EEENS1_30default_config_static_selectorELNS0_4arch9wavefront6targetE1EEEvS13_ ; -- Begin function _ZN7rocprim17ROCPRIM_400000_NS6detail17trampoline_kernelINS0_13select_configILj256ELj13ELNS0_17block_load_methodE3ELS4_3ELS4_3ELNS0_20block_scan_algorithmE0ELj4294967295EEENS1_25partition_config_selectorILNS1_17partition_subalgoE4EjNS0_10empty_typeEbEEZZNS1_14partition_implILS8_4ELb0ES6_15HIP_vector_typeIjLj2EENS0_17counting_iteratorIjlEEPS9_SG_NS0_5tupleIJPjSI_NS0_16reverse_iteratorISI_EEEEENSH_IJSG_SG_SG_EEES9_SI_JZNS1_25segmented_radix_sort_implINS0_14default_configELb1EPK6__halfPSP_PKlPlN2at6native12_GLOBAL__N_18offset_tEEE10hipError_tPvRmT1_PNSt15iterator_traitsIS13_E10value_typeET2_T3_PNS14_IS19_E10value_typeET4_jRbjT5_S1F_jjP12ihipStream_tbEUljE_ZNSN_ISO_Lb1ESR_SS_SU_SV_SZ_EES10_S11_S12_S13_S17_S18_S19_S1C_S1D_jS1E_jS1F_S1F_jjS1H_bEUljE0_EEES10_S11_S12_S19_S1D_S1F_T6_T7_T9_mT8_S1H_bDpT10_ENKUlT_T0_E_clISt17integral_constantIbLb0EES1V_EEDaS1Q_S1R_EUlS1Q_E_NS1_11comp_targetILNS1_3genE2ELNS1_11target_archE906ELNS1_3gpuE6ELNS1_3repE0EEENS1_30default_config_static_selectorELNS0_4arch9wavefront6targetE1EEEvS13_
	.p2align	8
	.type	_ZN7rocprim17ROCPRIM_400000_NS6detail17trampoline_kernelINS0_13select_configILj256ELj13ELNS0_17block_load_methodE3ELS4_3ELS4_3ELNS0_20block_scan_algorithmE0ELj4294967295EEENS1_25partition_config_selectorILNS1_17partition_subalgoE4EjNS0_10empty_typeEbEEZZNS1_14partition_implILS8_4ELb0ES6_15HIP_vector_typeIjLj2EENS0_17counting_iteratorIjlEEPS9_SG_NS0_5tupleIJPjSI_NS0_16reverse_iteratorISI_EEEEENSH_IJSG_SG_SG_EEES9_SI_JZNS1_25segmented_radix_sort_implINS0_14default_configELb1EPK6__halfPSP_PKlPlN2at6native12_GLOBAL__N_18offset_tEEE10hipError_tPvRmT1_PNSt15iterator_traitsIS13_E10value_typeET2_T3_PNS14_IS19_E10value_typeET4_jRbjT5_S1F_jjP12ihipStream_tbEUljE_ZNSN_ISO_Lb1ESR_SS_SU_SV_SZ_EES10_S11_S12_S13_S17_S18_S19_S1C_S1D_jS1E_jS1F_S1F_jjS1H_bEUljE0_EEES10_S11_S12_S19_S1D_S1F_T6_T7_T9_mT8_S1H_bDpT10_ENKUlT_T0_E_clISt17integral_constantIbLb0EES1V_EEDaS1Q_S1R_EUlS1Q_E_NS1_11comp_targetILNS1_3genE2ELNS1_11target_archE906ELNS1_3gpuE6ELNS1_3repE0EEENS1_30default_config_static_selectorELNS0_4arch9wavefront6targetE1EEEvS13_,@function
_ZN7rocprim17ROCPRIM_400000_NS6detail17trampoline_kernelINS0_13select_configILj256ELj13ELNS0_17block_load_methodE3ELS4_3ELS4_3ELNS0_20block_scan_algorithmE0ELj4294967295EEENS1_25partition_config_selectorILNS1_17partition_subalgoE4EjNS0_10empty_typeEbEEZZNS1_14partition_implILS8_4ELb0ES6_15HIP_vector_typeIjLj2EENS0_17counting_iteratorIjlEEPS9_SG_NS0_5tupleIJPjSI_NS0_16reverse_iteratorISI_EEEEENSH_IJSG_SG_SG_EEES9_SI_JZNS1_25segmented_radix_sort_implINS0_14default_configELb1EPK6__halfPSP_PKlPlN2at6native12_GLOBAL__N_18offset_tEEE10hipError_tPvRmT1_PNSt15iterator_traitsIS13_E10value_typeET2_T3_PNS14_IS19_E10value_typeET4_jRbjT5_S1F_jjP12ihipStream_tbEUljE_ZNSN_ISO_Lb1ESR_SS_SU_SV_SZ_EES10_S11_S12_S13_S17_S18_S19_S1C_S1D_jS1E_jS1F_S1F_jjS1H_bEUljE0_EEES10_S11_S12_S19_S1D_S1F_T6_T7_T9_mT8_S1H_bDpT10_ENKUlT_T0_E_clISt17integral_constantIbLb0EES1V_EEDaS1Q_S1R_EUlS1Q_E_NS1_11comp_targetILNS1_3genE2ELNS1_11target_archE906ELNS1_3gpuE6ELNS1_3repE0EEENS1_30default_config_static_selectorELNS0_4arch9wavefront6targetE1EEEvS13_: ; @_ZN7rocprim17ROCPRIM_400000_NS6detail17trampoline_kernelINS0_13select_configILj256ELj13ELNS0_17block_load_methodE3ELS4_3ELS4_3ELNS0_20block_scan_algorithmE0ELj4294967295EEENS1_25partition_config_selectorILNS1_17partition_subalgoE4EjNS0_10empty_typeEbEEZZNS1_14partition_implILS8_4ELb0ES6_15HIP_vector_typeIjLj2EENS0_17counting_iteratorIjlEEPS9_SG_NS0_5tupleIJPjSI_NS0_16reverse_iteratorISI_EEEEENSH_IJSG_SG_SG_EEES9_SI_JZNS1_25segmented_radix_sort_implINS0_14default_configELb1EPK6__halfPSP_PKlPlN2at6native12_GLOBAL__N_18offset_tEEE10hipError_tPvRmT1_PNSt15iterator_traitsIS13_E10value_typeET2_T3_PNS14_IS19_E10value_typeET4_jRbjT5_S1F_jjP12ihipStream_tbEUljE_ZNSN_ISO_Lb1ESR_SS_SU_SV_SZ_EES10_S11_S12_S13_S17_S18_S19_S1C_S1D_jS1E_jS1F_S1F_jjS1H_bEUljE0_EEES10_S11_S12_S19_S1D_S1F_T6_T7_T9_mT8_S1H_bDpT10_ENKUlT_T0_E_clISt17integral_constantIbLb0EES1V_EEDaS1Q_S1R_EUlS1Q_E_NS1_11comp_targetILNS1_3genE2ELNS1_11target_archE906ELNS1_3gpuE6ELNS1_3repE0EEENS1_30default_config_static_selectorELNS0_4arch9wavefront6targetE1EEEvS13_
; %bb.0:
	.section	.rodata,"a",@progbits
	.p2align	6, 0x0
	.amdhsa_kernel _ZN7rocprim17ROCPRIM_400000_NS6detail17trampoline_kernelINS0_13select_configILj256ELj13ELNS0_17block_load_methodE3ELS4_3ELS4_3ELNS0_20block_scan_algorithmE0ELj4294967295EEENS1_25partition_config_selectorILNS1_17partition_subalgoE4EjNS0_10empty_typeEbEEZZNS1_14partition_implILS8_4ELb0ES6_15HIP_vector_typeIjLj2EENS0_17counting_iteratorIjlEEPS9_SG_NS0_5tupleIJPjSI_NS0_16reverse_iteratorISI_EEEEENSH_IJSG_SG_SG_EEES9_SI_JZNS1_25segmented_radix_sort_implINS0_14default_configELb1EPK6__halfPSP_PKlPlN2at6native12_GLOBAL__N_18offset_tEEE10hipError_tPvRmT1_PNSt15iterator_traitsIS13_E10value_typeET2_T3_PNS14_IS19_E10value_typeET4_jRbjT5_S1F_jjP12ihipStream_tbEUljE_ZNSN_ISO_Lb1ESR_SS_SU_SV_SZ_EES10_S11_S12_S13_S17_S18_S19_S1C_S1D_jS1E_jS1F_S1F_jjS1H_bEUljE0_EEES10_S11_S12_S19_S1D_S1F_T6_T7_T9_mT8_S1H_bDpT10_ENKUlT_T0_E_clISt17integral_constantIbLb0EES1V_EEDaS1Q_S1R_EUlS1Q_E_NS1_11comp_targetILNS1_3genE2ELNS1_11target_archE906ELNS1_3gpuE6ELNS1_3repE0EEENS1_30default_config_static_selectorELNS0_4arch9wavefront6targetE1EEEvS13_
		.amdhsa_group_segment_fixed_size 0
		.amdhsa_private_segment_fixed_size 0
		.amdhsa_kernarg_size 176
		.amdhsa_user_sgpr_count 6
		.amdhsa_user_sgpr_private_segment_buffer 1
		.amdhsa_user_sgpr_dispatch_ptr 0
		.amdhsa_user_sgpr_queue_ptr 0
		.amdhsa_user_sgpr_kernarg_segment_ptr 1
		.amdhsa_user_sgpr_dispatch_id 0
		.amdhsa_user_sgpr_flat_scratch_init 0
		.amdhsa_user_sgpr_kernarg_preload_length 0
		.amdhsa_user_sgpr_kernarg_preload_offset 0
		.amdhsa_user_sgpr_private_segment_size 0
		.amdhsa_uses_dynamic_stack 0
		.amdhsa_system_sgpr_private_segment_wavefront_offset 0
		.amdhsa_system_sgpr_workgroup_id_x 1
		.amdhsa_system_sgpr_workgroup_id_y 0
		.amdhsa_system_sgpr_workgroup_id_z 0
		.amdhsa_system_sgpr_workgroup_info 0
		.amdhsa_system_vgpr_workitem_id 0
		.amdhsa_next_free_vgpr 1
		.amdhsa_next_free_sgpr 0
		.amdhsa_accum_offset 4
		.amdhsa_reserve_vcc 0
		.amdhsa_reserve_flat_scratch 0
		.amdhsa_float_round_mode_32 0
		.amdhsa_float_round_mode_16_64 0
		.amdhsa_float_denorm_mode_32 3
		.amdhsa_float_denorm_mode_16_64 3
		.amdhsa_dx10_clamp 1
		.amdhsa_ieee_mode 1
		.amdhsa_fp16_overflow 0
		.amdhsa_tg_split 0
		.amdhsa_exception_fp_ieee_invalid_op 0
		.amdhsa_exception_fp_denorm_src 0
		.amdhsa_exception_fp_ieee_div_zero 0
		.amdhsa_exception_fp_ieee_overflow 0
		.amdhsa_exception_fp_ieee_underflow 0
		.amdhsa_exception_fp_ieee_inexact 0
		.amdhsa_exception_int_div_zero 0
	.end_amdhsa_kernel
	.section	.text._ZN7rocprim17ROCPRIM_400000_NS6detail17trampoline_kernelINS0_13select_configILj256ELj13ELNS0_17block_load_methodE3ELS4_3ELS4_3ELNS0_20block_scan_algorithmE0ELj4294967295EEENS1_25partition_config_selectorILNS1_17partition_subalgoE4EjNS0_10empty_typeEbEEZZNS1_14partition_implILS8_4ELb0ES6_15HIP_vector_typeIjLj2EENS0_17counting_iteratorIjlEEPS9_SG_NS0_5tupleIJPjSI_NS0_16reverse_iteratorISI_EEEEENSH_IJSG_SG_SG_EEES9_SI_JZNS1_25segmented_radix_sort_implINS0_14default_configELb1EPK6__halfPSP_PKlPlN2at6native12_GLOBAL__N_18offset_tEEE10hipError_tPvRmT1_PNSt15iterator_traitsIS13_E10value_typeET2_T3_PNS14_IS19_E10value_typeET4_jRbjT5_S1F_jjP12ihipStream_tbEUljE_ZNSN_ISO_Lb1ESR_SS_SU_SV_SZ_EES10_S11_S12_S13_S17_S18_S19_S1C_S1D_jS1E_jS1F_S1F_jjS1H_bEUljE0_EEES10_S11_S12_S19_S1D_S1F_T6_T7_T9_mT8_S1H_bDpT10_ENKUlT_T0_E_clISt17integral_constantIbLb0EES1V_EEDaS1Q_S1R_EUlS1Q_E_NS1_11comp_targetILNS1_3genE2ELNS1_11target_archE906ELNS1_3gpuE6ELNS1_3repE0EEENS1_30default_config_static_selectorELNS0_4arch9wavefront6targetE1EEEvS13_,"axG",@progbits,_ZN7rocprim17ROCPRIM_400000_NS6detail17trampoline_kernelINS0_13select_configILj256ELj13ELNS0_17block_load_methodE3ELS4_3ELS4_3ELNS0_20block_scan_algorithmE0ELj4294967295EEENS1_25partition_config_selectorILNS1_17partition_subalgoE4EjNS0_10empty_typeEbEEZZNS1_14partition_implILS8_4ELb0ES6_15HIP_vector_typeIjLj2EENS0_17counting_iteratorIjlEEPS9_SG_NS0_5tupleIJPjSI_NS0_16reverse_iteratorISI_EEEEENSH_IJSG_SG_SG_EEES9_SI_JZNS1_25segmented_radix_sort_implINS0_14default_configELb1EPK6__halfPSP_PKlPlN2at6native12_GLOBAL__N_18offset_tEEE10hipError_tPvRmT1_PNSt15iterator_traitsIS13_E10value_typeET2_T3_PNS14_IS19_E10value_typeET4_jRbjT5_S1F_jjP12ihipStream_tbEUljE_ZNSN_ISO_Lb1ESR_SS_SU_SV_SZ_EES10_S11_S12_S13_S17_S18_S19_S1C_S1D_jS1E_jS1F_S1F_jjS1H_bEUljE0_EEES10_S11_S12_S19_S1D_S1F_T6_T7_T9_mT8_S1H_bDpT10_ENKUlT_T0_E_clISt17integral_constantIbLb0EES1V_EEDaS1Q_S1R_EUlS1Q_E_NS1_11comp_targetILNS1_3genE2ELNS1_11target_archE906ELNS1_3gpuE6ELNS1_3repE0EEENS1_30default_config_static_selectorELNS0_4arch9wavefront6targetE1EEEvS13_,comdat
.Lfunc_end1677:
	.size	_ZN7rocprim17ROCPRIM_400000_NS6detail17trampoline_kernelINS0_13select_configILj256ELj13ELNS0_17block_load_methodE3ELS4_3ELS4_3ELNS0_20block_scan_algorithmE0ELj4294967295EEENS1_25partition_config_selectorILNS1_17partition_subalgoE4EjNS0_10empty_typeEbEEZZNS1_14partition_implILS8_4ELb0ES6_15HIP_vector_typeIjLj2EENS0_17counting_iteratorIjlEEPS9_SG_NS0_5tupleIJPjSI_NS0_16reverse_iteratorISI_EEEEENSH_IJSG_SG_SG_EEES9_SI_JZNS1_25segmented_radix_sort_implINS0_14default_configELb1EPK6__halfPSP_PKlPlN2at6native12_GLOBAL__N_18offset_tEEE10hipError_tPvRmT1_PNSt15iterator_traitsIS13_E10value_typeET2_T3_PNS14_IS19_E10value_typeET4_jRbjT5_S1F_jjP12ihipStream_tbEUljE_ZNSN_ISO_Lb1ESR_SS_SU_SV_SZ_EES10_S11_S12_S13_S17_S18_S19_S1C_S1D_jS1E_jS1F_S1F_jjS1H_bEUljE0_EEES10_S11_S12_S19_S1D_S1F_T6_T7_T9_mT8_S1H_bDpT10_ENKUlT_T0_E_clISt17integral_constantIbLb0EES1V_EEDaS1Q_S1R_EUlS1Q_E_NS1_11comp_targetILNS1_3genE2ELNS1_11target_archE906ELNS1_3gpuE6ELNS1_3repE0EEENS1_30default_config_static_selectorELNS0_4arch9wavefront6targetE1EEEvS13_, .Lfunc_end1677-_ZN7rocprim17ROCPRIM_400000_NS6detail17trampoline_kernelINS0_13select_configILj256ELj13ELNS0_17block_load_methodE3ELS4_3ELS4_3ELNS0_20block_scan_algorithmE0ELj4294967295EEENS1_25partition_config_selectorILNS1_17partition_subalgoE4EjNS0_10empty_typeEbEEZZNS1_14partition_implILS8_4ELb0ES6_15HIP_vector_typeIjLj2EENS0_17counting_iteratorIjlEEPS9_SG_NS0_5tupleIJPjSI_NS0_16reverse_iteratorISI_EEEEENSH_IJSG_SG_SG_EEES9_SI_JZNS1_25segmented_radix_sort_implINS0_14default_configELb1EPK6__halfPSP_PKlPlN2at6native12_GLOBAL__N_18offset_tEEE10hipError_tPvRmT1_PNSt15iterator_traitsIS13_E10value_typeET2_T3_PNS14_IS19_E10value_typeET4_jRbjT5_S1F_jjP12ihipStream_tbEUljE_ZNSN_ISO_Lb1ESR_SS_SU_SV_SZ_EES10_S11_S12_S13_S17_S18_S19_S1C_S1D_jS1E_jS1F_S1F_jjS1H_bEUljE0_EEES10_S11_S12_S19_S1D_S1F_T6_T7_T9_mT8_S1H_bDpT10_ENKUlT_T0_E_clISt17integral_constantIbLb0EES1V_EEDaS1Q_S1R_EUlS1Q_E_NS1_11comp_targetILNS1_3genE2ELNS1_11target_archE906ELNS1_3gpuE6ELNS1_3repE0EEENS1_30default_config_static_selectorELNS0_4arch9wavefront6targetE1EEEvS13_
                                        ; -- End function
	.section	.AMDGPU.csdata,"",@progbits
; Kernel info:
; codeLenInByte = 0
; NumSgprs: 4
; NumVgprs: 0
; NumAgprs: 0
; TotalNumVgprs: 0
; ScratchSize: 0
; MemoryBound: 0
; FloatMode: 240
; IeeeMode: 1
; LDSByteSize: 0 bytes/workgroup (compile time only)
; SGPRBlocks: 0
; VGPRBlocks: 0
; NumSGPRsForWavesPerEU: 4
; NumVGPRsForWavesPerEU: 1
; AccumOffset: 4
; Occupancy: 8
; WaveLimiterHint : 0
; COMPUTE_PGM_RSRC2:SCRATCH_EN: 0
; COMPUTE_PGM_RSRC2:USER_SGPR: 6
; COMPUTE_PGM_RSRC2:TRAP_HANDLER: 0
; COMPUTE_PGM_RSRC2:TGID_X_EN: 1
; COMPUTE_PGM_RSRC2:TGID_Y_EN: 0
; COMPUTE_PGM_RSRC2:TGID_Z_EN: 0
; COMPUTE_PGM_RSRC2:TIDIG_COMP_CNT: 0
; COMPUTE_PGM_RSRC3_GFX90A:ACCUM_OFFSET: 0
; COMPUTE_PGM_RSRC3_GFX90A:TG_SPLIT: 0
	.section	.text._ZN7rocprim17ROCPRIM_400000_NS6detail17trampoline_kernelINS0_13select_configILj256ELj13ELNS0_17block_load_methodE3ELS4_3ELS4_3ELNS0_20block_scan_algorithmE0ELj4294967295EEENS1_25partition_config_selectorILNS1_17partition_subalgoE4EjNS0_10empty_typeEbEEZZNS1_14partition_implILS8_4ELb0ES6_15HIP_vector_typeIjLj2EENS0_17counting_iteratorIjlEEPS9_SG_NS0_5tupleIJPjSI_NS0_16reverse_iteratorISI_EEEEENSH_IJSG_SG_SG_EEES9_SI_JZNS1_25segmented_radix_sort_implINS0_14default_configELb1EPK6__halfPSP_PKlPlN2at6native12_GLOBAL__N_18offset_tEEE10hipError_tPvRmT1_PNSt15iterator_traitsIS13_E10value_typeET2_T3_PNS14_IS19_E10value_typeET4_jRbjT5_S1F_jjP12ihipStream_tbEUljE_ZNSN_ISO_Lb1ESR_SS_SU_SV_SZ_EES10_S11_S12_S13_S17_S18_S19_S1C_S1D_jS1E_jS1F_S1F_jjS1H_bEUljE0_EEES10_S11_S12_S19_S1D_S1F_T6_T7_T9_mT8_S1H_bDpT10_ENKUlT_T0_E_clISt17integral_constantIbLb0EES1V_EEDaS1Q_S1R_EUlS1Q_E_NS1_11comp_targetILNS1_3genE10ELNS1_11target_archE1200ELNS1_3gpuE4ELNS1_3repE0EEENS1_30default_config_static_selectorELNS0_4arch9wavefront6targetE1EEEvS13_,"axG",@progbits,_ZN7rocprim17ROCPRIM_400000_NS6detail17trampoline_kernelINS0_13select_configILj256ELj13ELNS0_17block_load_methodE3ELS4_3ELS4_3ELNS0_20block_scan_algorithmE0ELj4294967295EEENS1_25partition_config_selectorILNS1_17partition_subalgoE4EjNS0_10empty_typeEbEEZZNS1_14partition_implILS8_4ELb0ES6_15HIP_vector_typeIjLj2EENS0_17counting_iteratorIjlEEPS9_SG_NS0_5tupleIJPjSI_NS0_16reverse_iteratorISI_EEEEENSH_IJSG_SG_SG_EEES9_SI_JZNS1_25segmented_radix_sort_implINS0_14default_configELb1EPK6__halfPSP_PKlPlN2at6native12_GLOBAL__N_18offset_tEEE10hipError_tPvRmT1_PNSt15iterator_traitsIS13_E10value_typeET2_T3_PNS14_IS19_E10value_typeET4_jRbjT5_S1F_jjP12ihipStream_tbEUljE_ZNSN_ISO_Lb1ESR_SS_SU_SV_SZ_EES10_S11_S12_S13_S17_S18_S19_S1C_S1D_jS1E_jS1F_S1F_jjS1H_bEUljE0_EEES10_S11_S12_S19_S1D_S1F_T6_T7_T9_mT8_S1H_bDpT10_ENKUlT_T0_E_clISt17integral_constantIbLb0EES1V_EEDaS1Q_S1R_EUlS1Q_E_NS1_11comp_targetILNS1_3genE10ELNS1_11target_archE1200ELNS1_3gpuE4ELNS1_3repE0EEENS1_30default_config_static_selectorELNS0_4arch9wavefront6targetE1EEEvS13_,comdat
	.globl	_ZN7rocprim17ROCPRIM_400000_NS6detail17trampoline_kernelINS0_13select_configILj256ELj13ELNS0_17block_load_methodE3ELS4_3ELS4_3ELNS0_20block_scan_algorithmE0ELj4294967295EEENS1_25partition_config_selectorILNS1_17partition_subalgoE4EjNS0_10empty_typeEbEEZZNS1_14partition_implILS8_4ELb0ES6_15HIP_vector_typeIjLj2EENS0_17counting_iteratorIjlEEPS9_SG_NS0_5tupleIJPjSI_NS0_16reverse_iteratorISI_EEEEENSH_IJSG_SG_SG_EEES9_SI_JZNS1_25segmented_radix_sort_implINS0_14default_configELb1EPK6__halfPSP_PKlPlN2at6native12_GLOBAL__N_18offset_tEEE10hipError_tPvRmT1_PNSt15iterator_traitsIS13_E10value_typeET2_T3_PNS14_IS19_E10value_typeET4_jRbjT5_S1F_jjP12ihipStream_tbEUljE_ZNSN_ISO_Lb1ESR_SS_SU_SV_SZ_EES10_S11_S12_S13_S17_S18_S19_S1C_S1D_jS1E_jS1F_S1F_jjS1H_bEUljE0_EEES10_S11_S12_S19_S1D_S1F_T6_T7_T9_mT8_S1H_bDpT10_ENKUlT_T0_E_clISt17integral_constantIbLb0EES1V_EEDaS1Q_S1R_EUlS1Q_E_NS1_11comp_targetILNS1_3genE10ELNS1_11target_archE1200ELNS1_3gpuE4ELNS1_3repE0EEENS1_30default_config_static_selectorELNS0_4arch9wavefront6targetE1EEEvS13_ ; -- Begin function _ZN7rocprim17ROCPRIM_400000_NS6detail17trampoline_kernelINS0_13select_configILj256ELj13ELNS0_17block_load_methodE3ELS4_3ELS4_3ELNS0_20block_scan_algorithmE0ELj4294967295EEENS1_25partition_config_selectorILNS1_17partition_subalgoE4EjNS0_10empty_typeEbEEZZNS1_14partition_implILS8_4ELb0ES6_15HIP_vector_typeIjLj2EENS0_17counting_iteratorIjlEEPS9_SG_NS0_5tupleIJPjSI_NS0_16reverse_iteratorISI_EEEEENSH_IJSG_SG_SG_EEES9_SI_JZNS1_25segmented_radix_sort_implINS0_14default_configELb1EPK6__halfPSP_PKlPlN2at6native12_GLOBAL__N_18offset_tEEE10hipError_tPvRmT1_PNSt15iterator_traitsIS13_E10value_typeET2_T3_PNS14_IS19_E10value_typeET4_jRbjT5_S1F_jjP12ihipStream_tbEUljE_ZNSN_ISO_Lb1ESR_SS_SU_SV_SZ_EES10_S11_S12_S13_S17_S18_S19_S1C_S1D_jS1E_jS1F_S1F_jjS1H_bEUljE0_EEES10_S11_S12_S19_S1D_S1F_T6_T7_T9_mT8_S1H_bDpT10_ENKUlT_T0_E_clISt17integral_constantIbLb0EES1V_EEDaS1Q_S1R_EUlS1Q_E_NS1_11comp_targetILNS1_3genE10ELNS1_11target_archE1200ELNS1_3gpuE4ELNS1_3repE0EEENS1_30default_config_static_selectorELNS0_4arch9wavefront6targetE1EEEvS13_
	.p2align	8
	.type	_ZN7rocprim17ROCPRIM_400000_NS6detail17trampoline_kernelINS0_13select_configILj256ELj13ELNS0_17block_load_methodE3ELS4_3ELS4_3ELNS0_20block_scan_algorithmE0ELj4294967295EEENS1_25partition_config_selectorILNS1_17partition_subalgoE4EjNS0_10empty_typeEbEEZZNS1_14partition_implILS8_4ELb0ES6_15HIP_vector_typeIjLj2EENS0_17counting_iteratorIjlEEPS9_SG_NS0_5tupleIJPjSI_NS0_16reverse_iteratorISI_EEEEENSH_IJSG_SG_SG_EEES9_SI_JZNS1_25segmented_radix_sort_implINS0_14default_configELb1EPK6__halfPSP_PKlPlN2at6native12_GLOBAL__N_18offset_tEEE10hipError_tPvRmT1_PNSt15iterator_traitsIS13_E10value_typeET2_T3_PNS14_IS19_E10value_typeET4_jRbjT5_S1F_jjP12ihipStream_tbEUljE_ZNSN_ISO_Lb1ESR_SS_SU_SV_SZ_EES10_S11_S12_S13_S17_S18_S19_S1C_S1D_jS1E_jS1F_S1F_jjS1H_bEUljE0_EEES10_S11_S12_S19_S1D_S1F_T6_T7_T9_mT8_S1H_bDpT10_ENKUlT_T0_E_clISt17integral_constantIbLb0EES1V_EEDaS1Q_S1R_EUlS1Q_E_NS1_11comp_targetILNS1_3genE10ELNS1_11target_archE1200ELNS1_3gpuE4ELNS1_3repE0EEENS1_30default_config_static_selectorELNS0_4arch9wavefront6targetE1EEEvS13_,@function
_ZN7rocprim17ROCPRIM_400000_NS6detail17trampoline_kernelINS0_13select_configILj256ELj13ELNS0_17block_load_methodE3ELS4_3ELS4_3ELNS0_20block_scan_algorithmE0ELj4294967295EEENS1_25partition_config_selectorILNS1_17partition_subalgoE4EjNS0_10empty_typeEbEEZZNS1_14partition_implILS8_4ELb0ES6_15HIP_vector_typeIjLj2EENS0_17counting_iteratorIjlEEPS9_SG_NS0_5tupleIJPjSI_NS0_16reverse_iteratorISI_EEEEENSH_IJSG_SG_SG_EEES9_SI_JZNS1_25segmented_radix_sort_implINS0_14default_configELb1EPK6__halfPSP_PKlPlN2at6native12_GLOBAL__N_18offset_tEEE10hipError_tPvRmT1_PNSt15iterator_traitsIS13_E10value_typeET2_T3_PNS14_IS19_E10value_typeET4_jRbjT5_S1F_jjP12ihipStream_tbEUljE_ZNSN_ISO_Lb1ESR_SS_SU_SV_SZ_EES10_S11_S12_S13_S17_S18_S19_S1C_S1D_jS1E_jS1F_S1F_jjS1H_bEUljE0_EEES10_S11_S12_S19_S1D_S1F_T6_T7_T9_mT8_S1H_bDpT10_ENKUlT_T0_E_clISt17integral_constantIbLb0EES1V_EEDaS1Q_S1R_EUlS1Q_E_NS1_11comp_targetILNS1_3genE10ELNS1_11target_archE1200ELNS1_3gpuE4ELNS1_3repE0EEENS1_30default_config_static_selectorELNS0_4arch9wavefront6targetE1EEEvS13_: ; @_ZN7rocprim17ROCPRIM_400000_NS6detail17trampoline_kernelINS0_13select_configILj256ELj13ELNS0_17block_load_methodE3ELS4_3ELS4_3ELNS0_20block_scan_algorithmE0ELj4294967295EEENS1_25partition_config_selectorILNS1_17partition_subalgoE4EjNS0_10empty_typeEbEEZZNS1_14partition_implILS8_4ELb0ES6_15HIP_vector_typeIjLj2EENS0_17counting_iteratorIjlEEPS9_SG_NS0_5tupleIJPjSI_NS0_16reverse_iteratorISI_EEEEENSH_IJSG_SG_SG_EEES9_SI_JZNS1_25segmented_radix_sort_implINS0_14default_configELb1EPK6__halfPSP_PKlPlN2at6native12_GLOBAL__N_18offset_tEEE10hipError_tPvRmT1_PNSt15iterator_traitsIS13_E10value_typeET2_T3_PNS14_IS19_E10value_typeET4_jRbjT5_S1F_jjP12ihipStream_tbEUljE_ZNSN_ISO_Lb1ESR_SS_SU_SV_SZ_EES10_S11_S12_S13_S17_S18_S19_S1C_S1D_jS1E_jS1F_S1F_jjS1H_bEUljE0_EEES10_S11_S12_S19_S1D_S1F_T6_T7_T9_mT8_S1H_bDpT10_ENKUlT_T0_E_clISt17integral_constantIbLb0EES1V_EEDaS1Q_S1R_EUlS1Q_E_NS1_11comp_targetILNS1_3genE10ELNS1_11target_archE1200ELNS1_3gpuE4ELNS1_3repE0EEENS1_30default_config_static_selectorELNS0_4arch9wavefront6targetE1EEEvS13_
; %bb.0:
	.section	.rodata,"a",@progbits
	.p2align	6, 0x0
	.amdhsa_kernel _ZN7rocprim17ROCPRIM_400000_NS6detail17trampoline_kernelINS0_13select_configILj256ELj13ELNS0_17block_load_methodE3ELS4_3ELS4_3ELNS0_20block_scan_algorithmE0ELj4294967295EEENS1_25partition_config_selectorILNS1_17partition_subalgoE4EjNS0_10empty_typeEbEEZZNS1_14partition_implILS8_4ELb0ES6_15HIP_vector_typeIjLj2EENS0_17counting_iteratorIjlEEPS9_SG_NS0_5tupleIJPjSI_NS0_16reverse_iteratorISI_EEEEENSH_IJSG_SG_SG_EEES9_SI_JZNS1_25segmented_radix_sort_implINS0_14default_configELb1EPK6__halfPSP_PKlPlN2at6native12_GLOBAL__N_18offset_tEEE10hipError_tPvRmT1_PNSt15iterator_traitsIS13_E10value_typeET2_T3_PNS14_IS19_E10value_typeET4_jRbjT5_S1F_jjP12ihipStream_tbEUljE_ZNSN_ISO_Lb1ESR_SS_SU_SV_SZ_EES10_S11_S12_S13_S17_S18_S19_S1C_S1D_jS1E_jS1F_S1F_jjS1H_bEUljE0_EEES10_S11_S12_S19_S1D_S1F_T6_T7_T9_mT8_S1H_bDpT10_ENKUlT_T0_E_clISt17integral_constantIbLb0EES1V_EEDaS1Q_S1R_EUlS1Q_E_NS1_11comp_targetILNS1_3genE10ELNS1_11target_archE1200ELNS1_3gpuE4ELNS1_3repE0EEENS1_30default_config_static_selectorELNS0_4arch9wavefront6targetE1EEEvS13_
		.amdhsa_group_segment_fixed_size 0
		.amdhsa_private_segment_fixed_size 0
		.amdhsa_kernarg_size 176
		.amdhsa_user_sgpr_count 6
		.amdhsa_user_sgpr_private_segment_buffer 1
		.amdhsa_user_sgpr_dispatch_ptr 0
		.amdhsa_user_sgpr_queue_ptr 0
		.amdhsa_user_sgpr_kernarg_segment_ptr 1
		.amdhsa_user_sgpr_dispatch_id 0
		.amdhsa_user_sgpr_flat_scratch_init 0
		.amdhsa_user_sgpr_kernarg_preload_length 0
		.amdhsa_user_sgpr_kernarg_preload_offset 0
		.amdhsa_user_sgpr_private_segment_size 0
		.amdhsa_uses_dynamic_stack 0
		.amdhsa_system_sgpr_private_segment_wavefront_offset 0
		.amdhsa_system_sgpr_workgroup_id_x 1
		.amdhsa_system_sgpr_workgroup_id_y 0
		.amdhsa_system_sgpr_workgroup_id_z 0
		.amdhsa_system_sgpr_workgroup_info 0
		.amdhsa_system_vgpr_workitem_id 0
		.amdhsa_next_free_vgpr 1
		.amdhsa_next_free_sgpr 0
		.amdhsa_accum_offset 4
		.amdhsa_reserve_vcc 0
		.amdhsa_reserve_flat_scratch 0
		.amdhsa_float_round_mode_32 0
		.amdhsa_float_round_mode_16_64 0
		.amdhsa_float_denorm_mode_32 3
		.amdhsa_float_denorm_mode_16_64 3
		.amdhsa_dx10_clamp 1
		.amdhsa_ieee_mode 1
		.amdhsa_fp16_overflow 0
		.amdhsa_tg_split 0
		.amdhsa_exception_fp_ieee_invalid_op 0
		.amdhsa_exception_fp_denorm_src 0
		.amdhsa_exception_fp_ieee_div_zero 0
		.amdhsa_exception_fp_ieee_overflow 0
		.amdhsa_exception_fp_ieee_underflow 0
		.amdhsa_exception_fp_ieee_inexact 0
		.amdhsa_exception_int_div_zero 0
	.end_amdhsa_kernel
	.section	.text._ZN7rocprim17ROCPRIM_400000_NS6detail17trampoline_kernelINS0_13select_configILj256ELj13ELNS0_17block_load_methodE3ELS4_3ELS4_3ELNS0_20block_scan_algorithmE0ELj4294967295EEENS1_25partition_config_selectorILNS1_17partition_subalgoE4EjNS0_10empty_typeEbEEZZNS1_14partition_implILS8_4ELb0ES6_15HIP_vector_typeIjLj2EENS0_17counting_iteratorIjlEEPS9_SG_NS0_5tupleIJPjSI_NS0_16reverse_iteratorISI_EEEEENSH_IJSG_SG_SG_EEES9_SI_JZNS1_25segmented_radix_sort_implINS0_14default_configELb1EPK6__halfPSP_PKlPlN2at6native12_GLOBAL__N_18offset_tEEE10hipError_tPvRmT1_PNSt15iterator_traitsIS13_E10value_typeET2_T3_PNS14_IS19_E10value_typeET4_jRbjT5_S1F_jjP12ihipStream_tbEUljE_ZNSN_ISO_Lb1ESR_SS_SU_SV_SZ_EES10_S11_S12_S13_S17_S18_S19_S1C_S1D_jS1E_jS1F_S1F_jjS1H_bEUljE0_EEES10_S11_S12_S19_S1D_S1F_T6_T7_T9_mT8_S1H_bDpT10_ENKUlT_T0_E_clISt17integral_constantIbLb0EES1V_EEDaS1Q_S1R_EUlS1Q_E_NS1_11comp_targetILNS1_3genE10ELNS1_11target_archE1200ELNS1_3gpuE4ELNS1_3repE0EEENS1_30default_config_static_selectorELNS0_4arch9wavefront6targetE1EEEvS13_,"axG",@progbits,_ZN7rocprim17ROCPRIM_400000_NS6detail17trampoline_kernelINS0_13select_configILj256ELj13ELNS0_17block_load_methodE3ELS4_3ELS4_3ELNS0_20block_scan_algorithmE0ELj4294967295EEENS1_25partition_config_selectorILNS1_17partition_subalgoE4EjNS0_10empty_typeEbEEZZNS1_14partition_implILS8_4ELb0ES6_15HIP_vector_typeIjLj2EENS0_17counting_iteratorIjlEEPS9_SG_NS0_5tupleIJPjSI_NS0_16reverse_iteratorISI_EEEEENSH_IJSG_SG_SG_EEES9_SI_JZNS1_25segmented_radix_sort_implINS0_14default_configELb1EPK6__halfPSP_PKlPlN2at6native12_GLOBAL__N_18offset_tEEE10hipError_tPvRmT1_PNSt15iterator_traitsIS13_E10value_typeET2_T3_PNS14_IS19_E10value_typeET4_jRbjT5_S1F_jjP12ihipStream_tbEUljE_ZNSN_ISO_Lb1ESR_SS_SU_SV_SZ_EES10_S11_S12_S13_S17_S18_S19_S1C_S1D_jS1E_jS1F_S1F_jjS1H_bEUljE0_EEES10_S11_S12_S19_S1D_S1F_T6_T7_T9_mT8_S1H_bDpT10_ENKUlT_T0_E_clISt17integral_constantIbLb0EES1V_EEDaS1Q_S1R_EUlS1Q_E_NS1_11comp_targetILNS1_3genE10ELNS1_11target_archE1200ELNS1_3gpuE4ELNS1_3repE0EEENS1_30default_config_static_selectorELNS0_4arch9wavefront6targetE1EEEvS13_,comdat
.Lfunc_end1678:
	.size	_ZN7rocprim17ROCPRIM_400000_NS6detail17trampoline_kernelINS0_13select_configILj256ELj13ELNS0_17block_load_methodE3ELS4_3ELS4_3ELNS0_20block_scan_algorithmE0ELj4294967295EEENS1_25partition_config_selectorILNS1_17partition_subalgoE4EjNS0_10empty_typeEbEEZZNS1_14partition_implILS8_4ELb0ES6_15HIP_vector_typeIjLj2EENS0_17counting_iteratorIjlEEPS9_SG_NS0_5tupleIJPjSI_NS0_16reverse_iteratorISI_EEEEENSH_IJSG_SG_SG_EEES9_SI_JZNS1_25segmented_radix_sort_implINS0_14default_configELb1EPK6__halfPSP_PKlPlN2at6native12_GLOBAL__N_18offset_tEEE10hipError_tPvRmT1_PNSt15iterator_traitsIS13_E10value_typeET2_T3_PNS14_IS19_E10value_typeET4_jRbjT5_S1F_jjP12ihipStream_tbEUljE_ZNSN_ISO_Lb1ESR_SS_SU_SV_SZ_EES10_S11_S12_S13_S17_S18_S19_S1C_S1D_jS1E_jS1F_S1F_jjS1H_bEUljE0_EEES10_S11_S12_S19_S1D_S1F_T6_T7_T9_mT8_S1H_bDpT10_ENKUlT_T0_E_clISt17integral_constantIbLb0EES1V_EEDaS1Q_S1R_EUlS1Q_E_NS1_11comp_targetILNS1_3genE10ELNS1_11target_archE1200ELNS1_3gpuE4ELNS1_3repE0EEENS1_30default_config_static_selectorELNS0_4arch9wavefront6targetE1EEEvS13_, .Lfunc_end1678-_ZN7rocprim17ROCPRIM_400000_NS6detail17trampoline_kernelINS0_13select_configILj256ELj13ELNS0_17block_load_methodE3ELS4_3ELS4_3ELNS0_20block_scan_algorithmE0ELj4294967295EEENS1_25partition_config_selectorILNS1_17partition_subalgoE4EjNS0_10empty_typeEbEEZZNS1_14partition_implILS8_4ELb0ES6_15HIP_vector_typeIjLj2EENS0_17counting_iteratorIjlEEPS9_SG_NS0_5tupleIJPjSI_NS0_16reverse_iteratorISI_EEEEENSH_IJSG_SG_SG_EEES9_SI_JZNS1_25segmented_radix_sort_implINS0_14default_configELb1EPK6__halfPSP_PKlPlN2at6native12_GLOBAL__N_18offset_tEEE10hipError_tPvRmT1_PNSt15iterator_traitsIS13_E10value_typeET2_T3_PNS14_IS19_E10value_typeET4_jRbjT5_S1F_jjP12ihipStream_tbEUljE_ZNSN_ISO_Lb1ESR_SS_SU_SV_SZ_EES10_S11_S12_S13_S17_S18_S19_S1C_S1D_jS1E_jS1F_S1F_jjS1H_bEUljE0_EEES10_S11_S12_S19_S1D_S1F_T6_T7_T9_mT8_S1H_bDpT10_ENKUlT_T0_E_clISt17integral_constantIbLb0EES1V_EEDaS1Q_S1R_EUlS1Q_E_NS1_11comp_targetILNS1_3genE10ELNS1_11target_archE1200ELNS1_3gpuE4ELNS1_3repE0EEENS1_30default_config_static_selectorELNS0_4arch9wavefront6targetE1EEEvS13_
                                        ; -- End function
	.section	.AMDGPU.csdata,"",@progbits
; Kernel info:
; codeLenInByte = 0
; NumSgprs: 4
; NumVgprs: 0
; NumAgprs: 0
; TotalNumVgprs: 0
; ScratchSize: 0
; MemoryBound: 0
; FloatMode: 240
; IeeeMode: 1
; LDSByteSize: 0 bytes/workgroup (compile time only)
; SGPRBlocks: 0
; VGPRBlocks: 0
; NumSGPRsForWavesPerEU: 4
; NumVGPRsForWavesPerEU: 1
; AccumOffset: 4
; Occupancy: 8
; WaveLimiterHint : 0
; COMPUTE_PGM_RSRC2:SCRATCH_EN: 0
; COMPUTE_PGM_RSRC2:USER_SGPR: 6
; COMPUTE_PGM_RSRC2:TRAP_HANDLER: 0
; COMPUTE_PGM_RSRC2:TGID_X_EN: 1
; COMPUTE_PGM_RSRC2:TGID_Y_EN: 0
; COMPUTE_PGM_RSRC2:TGID_Z_EN: 0
; COMPUTE_PGM_RSRC2:TIDIG_COMP_CNT: 0
; COMPUTE_PGM_RSRC3_GFX90A:ACCUM_OFFSET: 0
; COMPUTE_PGM_RSRC3_GFX90A:TG_SPLIT: 0
	.section	.text._ZN7rocprim17ROCPRIM_400000_NS6detail17trampoline_kernelINS0_13select_configILj256ELj13ELNS0_17block_load_methodE3ELS4_3ELS4_3ELNS0_20block_scan_algorithmE0ELj4294967295EEENS1_25partition_config_selectorILNS1_17partition_subalgoE4EjNS0_10empty_typeEbEEZZNS1_14partition_implILS8_4ELb0ES6_15HIP_vector_typeIjLj2EENS0_17counting_iteratorIjlEEPS9_SG_NS0_5tupleIJPjSI_NS0_16reverse_iteratorISI_EEEEENSH_IJSG_SG_SG_EEES9_SI_JZNS1_25segmented_radix_sort_implINS0_14default_configELb1EPK6__halfPSP_PKlPlN2at6native12_GLOBAL__N_18offset_tEEE10hipError_tPvRmT1_PNSt15iterator_traitsIS13_E10value_typeET2_T3_PNS14_IS19_E10value_typeET4_jRbjT5_S1F_jjP12ihipStream_tbEUljE_ZNSN_ISO_Lb1ESR_SS_SU_SV_SZ_EES10_S11_S12_S13_S17_S18_S19_S1C_S1D_jS1E_jS1F_S1F_jjS1H_bEUljE0_EEES10_S11_S12_S19_S1D_S1F_T6_T7_T9_mT8_S1H_bDpT10_ENKUlT_T0_E_clISt17integral_constantIbLb0EES1V_EEDaS1Q_S1R_EUlS1Q_E_NS1_11comp_targetILNS1_3genE9ELNS1_11target_archE1100ELNS1_3gpuE3ELNS1_3repE0EEENS1_30default_config_static_selectorELNS0_4arch9wavefront6targetE1EEEvS13_,"axG",@progbits,_ZN7rocprim17ROCPRIM_400000_NS6detail17trampoline_kernelINS0_13select_configILj256ELj13ELNS0_17block_load_methodE3ELS4_3ELS4_3ELNS0_20block_scan_algorithmE0ELj4294967295EEENS1_25partition_config_selectorILNS1_17partition_subalgoE4EjNS0_10empty_typeEbEEZZNS1_14partition_implILS8_4ELb0ES6_15HIP_vector_typeIjLj2EENS0_17counting_iteratorIjlEEPS9_SG_NS0_5tupleIJPjSI_NS0_16reverse_iteratorISI_EEEEENSH_IJSG_SG_SG_EEES9_SI_JZNS1_25segmented_radix_sort_implINS0_14default_configELb1EPK6__halfPSP_PKlPlN2at6native12_GLOBAL__N_18offset_tEEE10hipError_tPvRmT1_PNSt15iterator_traitsIS13_E10value_typeET2_T3_PNS14_IS19_E10value_typeET4_jRbjT5_S1F_jjP12ihipStream_tbEUljE_ZNSN_ISO_Lb1ESR_SS_SU_SV_SZ_EES10_S11_S12_S13_S17_S18_S19_S1C_S1D_jS1E_jS1F_S1F_jjS1H_bEUljE0_EEES10_S11_S12_S19_S1D_S1F_T6_T7_T9_mT8_S1H_bDpT10_ENKUlT_T0_E_clISt17integral_constantIbLb0EES1V_EEDaS1Q_S1R_EUlS1Q_E_NS1_11comp_targetILNS1_3genE9ELNS1_11target_archE1100ELNS1_3gpuE3ELNS1_3repE0EEENS1_30default_config_static_selectorELNS0_4arch9wavefront6targetE1EEEvS13_,comdat
	.globl	_ZN7rocprim17ROCPRIM_400000_NS6detail17trampoline_kernelINS0_13select_configILj256ELj13ELNS0_17block_load_methodE3ELS4_3ELS4_3ELNS0_20block_scan_algorithmE0ELj4294967295EEENS1_25partition_config_selectorILNS1_17partition_subalgoE4EjNS0_10empty_typeEbEEZZNS1_14partition_implILS8_4ELb0ES6_15HIP_vector_typeIjLj2EENS0_17counting_iteratorIjlEEPS9_SG_NS0_5tupleIJPjSI_NS0_16reverse_iteratorISI_EEEEENSH_IJSG_SG_SG_EEES9_SI_JZNS1_25segmented_radix_sort_implINS0_14default_configELb1EPK6__halfPSP_PKlPlN2at6native12_GLOBAL__N_18offset_tEEE10hipError_tPvRmT1_PNSt15iterator_traitsIS13_E10value_typeET2_T3_PNS14_IS19_E10value_typeET4_jRbjT5_S1F_jjP12ihipStream_tbEUljE_ZNSN_ISO_Lb1ESR_SS_SU_SV_SZ_EES10_S11_S12_S13_S17_S18_S19_S1C_S1D_jS1E_jS1F_S1F_jjS1H_bEUljE0_EEES10_S11_S12_S19_S1D_S1F_T6_T7_T9_mT8_S1H_bDpT10_ENKUlT_T0_E_clISt17integral_constantIbLb0EES1V_EEDaS1Q_S1R_EUlS1Q_E_NS1_11comp_targetILNS1_3genE9ELNS1_11target_archE1100ELNS1_3gpuE3ELNS1_3repE0EEENS1_30default_config_static_selectorELNS0_4arch9wavefront6targetE1EEEvS13_ ; -- Begin function _ZN7rocprim17ROCPRIM_400000_NS6detail17trampoline_kernelINS0_13select_configILj256ELj13ELNS0_17block_load_methodE3ELS4_3ELS4_3ELNS0_20block_scan_algorithmE0ELj4294967295EEENS1_25partition_config_selectorILNS1_17partition_subalgoE4EjNS0_10empty_typeEbEEZZNS1_14partition_implILS8_4ELb0ES6_15HIP_vector_typeIjLj2EENS0_17counting_iteratorIjlEEPS9_SG_NS0_5tupleIJPjSI_NS0_16reverse_iteratorISI_EEEEENSH_IJSG_SG_SG_EEES9_SI_JZNS1_25segmented_radix_sort_implINS0_14default_configELb1EPK6__halfPSP_PKlPlN2at6native12_GLOBAL__N_18offset_tEEE10hipError_tPvRmT1_PNSt15iterator_traitsIS13_E10value_typeET2_T3_PNS14_IS19_E10value_typeET4_jRbjT5_S1F_jjP12ihipStream_tbEUljE_ZNSN_ISO_Lb1ESR_SS_SU_SV_SZ_EES10_S11_S12_S13_S17_S18_S19_S1C_S1D_jS1E_jS1F_S1F_jjS1H_bEUljE0_EEES10_S11_S12_S19_S1D_S1F_T6_T7_T9_mT8_S1H_bDpT10_ENKUlT_T0_E_clISt17integral_constantIbLb0EES1V_EEDaS1Q_S1R_EUlS1Q_E_NS1_11comp_targetILNS1_3genE9ELNS1_11target_archE1100ELNS1_3gpuE3ELNS1_3repE0EEENS1_30default_config_static_selectorELNS0_4arch9wavefront6targetE1EEEvS13_
	.p2align	8
	.type	_ZN7rocprim17ROCPRIM_400000_NS6detail17trampoline_kernelINS0_13select_configILj256ELj13ELNS0_17block_load_methodE3ELS4_3ELS4_3ELNS0_20block_scan_algorithmE0ELj4294967295EEENS1_25partition_config_selectorILNS1_17partition_subalgoE4EjNS0_10empty_typeEbEEZZNS1_14partition_implILS8_4ELb0ES6_15HIP_vector_typeIjLj2EENS0_17counting_iteratorIjlEEPS9_SG_NS0_5tupleIJPjSI_NS0_16reverse_iteratorISI_EEEEENSH_IJSG_SG_SG_EEES9_SI_JZNS1_25segmented_radix_sort_implINS0_14default_configELb1EPK6__halfPSP_PKlPlN2at6native12_GLOBAL__N_18offset_tEEE10hipError_tPvRmT1_PNSt15iterator_traitsIS13_E10value_typeET2_T3_PNS14_IS19_E10value_typeET4_jRbjT5_S1F_jjP12ihipStream_tbEUljE_ZNSN_ISO_Lb1ESR_SS_SU_SV_SZ_EES10_S11_S12_S13_S17_S18_S19_S1C_S1D_jS1E_jS1F_S1F_jjS1H_bEUljE0_EEES10_S11_S12_S19_S1D_S1F_T6_T7_T9_mT8_S1H_bDpT10_ENKUlT_T0_E_clISt17integral_constantIbLb0EES1V_EEDaS1Q_S1R_EUlS1Q_E_NS1_11comp_targetILNS1_3genE9ELNS1_11target_archE1100ELNS1_3gpuE3ELNS1_3repE0EEENS1_30default_config_static_selectorELNS0_4arch9wavefront6targetE1EEEvS13_,@function
_ZN7rocprim17ROCPRIM_400000_NS6detail17trampoline_kernelINS0_13select_configILj256ELj13ELNS0_17block_load_methodE3ELS4_3ELS4_3ELNS0_20block_scan_algorithmE0ELj4294967295EEENS1_25partition_config_selectorILNS1_17partition_subalgoE4EjNS0_10empty_typeEbEEZZNS1_14partition_implILS8_4ELb0ES6_15HIP_vector_typeIjLj2EENS0_17counting_iteratorIjlEEPS9_SG_NS0_5tupleIJPjSI_NS0_16reverse_iteratorISI_EEEEENSH_IJSG_SG_SG_EEES9_SI_JZNS1_25segmented_radix_sort_implINS0_14default_configELb1EPK6__halfPSP_PKlPlN2at6native12_GLOBAL__N_18offset_tEEE10hipError_tPvRmT1_PNSt15iterator_traitsIS13_E10value_typeET2_T3_PNS14_IS19_E10value_typeET4_jRbjT5_S1F_jjP12ihipStream_tbEUljE_ZNSN_ISO_Lb1ESR_SS_SU_SV_SZ_EES10_S11_S12_S13_S17_S18_S19_S1C_S1D_jS1E_jS1F_S1F_jjS1H_bEUljE0_EEES10_S11_S12_S19_S1D_S1F_T6_T7_T9_mT8_S1H_bDpT10_ENKUlT_T0_E_clISt17integral_constantIbLb0EES1V_EEDaS1Q_S1R_EUlS1Q_E_NS1_11comp_targetILNS1_3genE9ELNS1_11target_archE1100ELNS1_3gpuE3ELNS1_3repE0EEENS1_30default_config_static_selectorELNS0_4arch9wavefront6targetE1EEEvS13_: ; @_ZN7rocprim17ROCPRIM_400000_NS6detail17trampoline_kernelINS0_13select_configILj256ELj13ELNS0_17block_load_methodE3ELS4_3ELS4_3ELNS0_20block_scan_algorithmE0ELj4294967295EEENS1_25partition_config_selectorILNS1_17partition_subalgoE4EjNS0_10empty_typeEbEEZZNS1_14partition_implILS8_4ELb0ES6_15HIP_vector_typeIjLj2EENS0_17counting_iteratorIjlEEPS9_SG_NS0_5tupleIJPjSI_NS0_16reverse_iteratorISI_EEEEENSH_IJSG_SG_SG_EEES9_SI_JZNS1_25segmented_radix_sort_implINS0_14default_configELb1EPK6__halfPSP_PKlPlN2at6native12_GLOBAL__N_18offset_tEEE10hipError_tPvRmT1_PNSt15iterator_traitsIS13_E10value_typeET2_T3_PNS14_IS19_E10value_typeET4_jRbjT5_S1F_jjP12ihipStream_tbEUljE_ZNSN_ISO_Lb1ESR_SS_SU_SV_SZ_EES10_S11_S12_S13_S17_S18_S19_S1C_S1D_jS1E_jS1F_S1F_jjS1H_bEUljE0_EEES10_S11_S12_S19_S1D_S1F_T6_T7_T9_mT8_S1H_bDpT10_ENKUlT_T0_E_clISt17integral_constantIbLb0EES1V_EEDaS1Q_S1R_EUlS1Q_E_NS1_11comp_targetILNS1_3genE9ELNS1_11target_archE1100ELNS1_3gpuE3ELNS1_3repE0EEENS1_30default_config_static_selectorELNS0_4arch9wavefront6targetE1EEEvS13_
; %bb.0:
	.section	.rodata,"a",@progbits
	.p2align	6, 0x0
	.amdhsa_kernel _ZN7rocprim17ROCPRIM_400000_NS6detail17trampoline_kernelINS0_13select_configILj256ELj13ELNS0_17block_load_methodE3ELS4_3ELS4_3ELNS0_20block_scan_algorithmE0ELj4294967295EEENS1_25partition_config_selectorILNS1_17partition_subalgoE4EjNS0_10empty_typeEbEEZZNS1_14partition_implILS8_4ELb0ES6_15HIP_vector_typeIjLj2EENS0_17counting_iteratorIjlEEPS9_SG_NS0_5tupleIJPjSI_NS0_16reverse_iteratorISI_EEEEENSH_IJSG_SG_SG_EEES9_SI_JZNS1_25segmented_radix_sort_implINS0_14default_configELb1EPK6__halfPSP_PKlPlN2at6native12_GLOBAL__N_18offset_tEEE10hipError_tPvRmT1_PNSt15iterator_traitsIS13_E10value_typeET2_T3_PNS14_IS19_E10value_typeET4_jRbjT5_S1F_jjP12ihipStream_tbEUljE_ZNSN_ISO_Lb1ESR_SS_SU_SV_SZ_EES10_S11_S12_S13_S17_S18_S19_S1C_S1D_jS1E_jS1F_S1F_jjS1H_bEUljE0_EEES10_S11_S12_S19_S1D_S1F_T6_T7_T9_mT8_S1H_bDpT10_ENKUlT_T0_E_clISt17integral_constantIbLb0EES1V_EEDaS1Q_S1R_EUlS1Q_E_NS1_11comp_targetILNS1_3genE9ELNS1_11target_archE1100ELNS1_3gpuE3ELNS1_3repE0EEENS1_30default_config_static_selectorELNS0_4arch9wavefront6targetE1EEEvS13_
		.amdhsa_group_segment_fixed_size 0
		.amdhsa_private_segment_fixed_size 0
		.amdhsa_kernarg_size 176
		.amdhsa_user_sgpr_count 6
		.amdhsa_user_sgpr_private_segment_buffer 1
		.amdhsa_user_sgpr_dispatch_ptr 0
		.amdhsa_user_sgpr_queue_ptr 0
		.amdhsa_user_sgpr_kernarg_segment_ptr 1
		.amdhsa_user_sgpr_dispatch_id 0
		.amdhsa_user_sgpr_flat_scratch_init 0
		.amdhsa_user_sgpr_kernarg_preload_length 0
		.amdhsa_user_sgpr_kernarg_preload_offset 0
		.amdhsa_user_sgpr_private_segment_size 0
		.amdhsa_uses_dynamic_stack 0
		.amdhsa_system_sgpr_private_segment_wavefront_offset 0
		.amdhsa_system_sgpr_workgroup_id_x 1
		.amdhsa_system_sgpr_workgroup_id_y 0
		.amdhsa_system_sgpr_workgroup_id_z 0
		.amdhsa_system_sgpr_workgroup_info 0
		.amdhsa_system_vgpr_workitem_id 0
		.amdhsa_next_free_vgpr 1
		.amdhsa_next_free_sgpr 0
		.amdhsa_accum_offset 4
		.amdhsa_reserve_vcc 0
		.amdhsa_reserve_flat_scratch 0
		.amdhsa_float_round_mode_32 0
		.amdhsa_float_round_mode_16_64 0
		.amdhsa_float_denorm_mode_32 3
		.amdhsa_float_denorm_mode_16_64 3
		.amdhsa_dx10_clamp 1
		.amdhsa_ieee_mode 1
		.amdhsa_fp16_overflow 0
		.amdhsa_tg_split 0
		.amdhsa_exception_fp_ieee_invalid_op 0
		.amdhsa_exception_fp_denorm_src 0
		.amdhsa_exception_fp_ieee_div_zero 0
		.amdhsa_exception_fp_ieee_overflow 0
		.amdhsa_exception_fp_ieee_underflow 0
		.amdhsa_exception_fp_ieee_inexact 0
		.amdhsa_exception_int_div_zero 0
	.end_amdhsa_kernel
	.section	.text._ZN7rocprim17ROCPRIM_400000_NS6detail17trampoline_kernelINS0_13select_configILj256ELj13ELNS0_17block_load_methodE3ELS4_3ELS4_3ELNS0_20block_scan_algorithmE0ELj4294967295EEENS1_25partition_config_selectorILNS1_17partition_subalgoE4EjNS0_10empty_typeEbEEZZNS1_14partition_implILS8_4ELb0ES6_15HIP_vector_typeIjLj2EENS0_17counting_iteratorIjlEEPS9_SG_NS0_5tupleIJPjSI_NS0_16reverse_iteratorISI_EEEEENSH_IJSG_SG_SG_EEES9_SI_JZNS1_25segmented_radix_sort_implINS0_14default_configELb1EPK6__halfPSP_PKlPlN2at6native12_GLOBAL__N_18offset_tEEE10hipError_tPvRmT1_PNSt15iterator_traitsIS13_E10value_typeET2_T3_PNS14_IS19_E10value_typeET4_jRbjT5_S1F_jjP12ihipStream_tbEUljE_ZNSN_ISO_Lb1ESR_SS_SU_SV_SZ_EES10_S11_S12_S13_S17_S18_S19_S1C_S1D_jS1E_jS1F_S1F_jjS1H_bEUljE0_EEES10_S11_S12_S19_S1D_S1F_T6_T7_T9_mT8_S1H_bDpT10_ENKUlT_T0_E_clISt17integral_constantIbLb0EES1V_EEDaS1Q_S1R_EUlS1Q_E_NS1_11comp_targetILNS1_3genE9ELNS1_11target_archE1100ELNS1_3gpuE3ELNS1_3repE0EEENS1_30default_config_static_selectorELNS0_4arch9wavefront6targetE1EEEvS13_,"axG",@progbits,_ZN7rocprim17ROCPRIM_400000_NS6detail17trampoline_kernelINS0_13select_configILj256ELj13ELNS0_17block_load_methodE3ELS4_3ELS4_3ELNS0_20block_scan_algorithmE0ELj4294967295EEENS1_25partition_config_selectorILNS1_17partition_subalgoE4EjNS0_10empty_typeEbEEZZNS1_14partition_implILS8_4ELb0ES6_15HIP_vector_typeIjLj2EENS0_17counting_iteratorIjlEEPS9_SG_NS0_5tupleIJPjSI_NS0_16reverse_iteratorISI_EEEEENSH_IJSG_SG_SG_EEES9_SI_JZNS1_25segmented_radix_sort_implINS0_14default_configELb1EPK6__halfPSP_PKlPlN2at6native12_GLOBAL__N_18offset_tEEE10hipError_tPvRmT1_PNSt15iterator_traitsIS13_E10value_typeET2_T3_PNS14_IS19_E10value_typeET4_jRbjT5_S1F_jjP12ihipStream_tbEUljE_ZNSN_ISO_Lb1ESR_SS_SU_SV_SZ_EES10_S11_S12_S13_S17_S18_S19_S1C_S1D_jS1E_jS1F_S1F_jjS1H_bEUljE0_EEES10_S11_S12_S19_S1D_S1F_T6_T7_T9_mT8_S1H_bDpT10_ENKUlT_T0_E_clISt17integral_constantIbLb0EES1V_EEDaS1Q_S1R_EUlS1Q_E_NS1_11comp_targetILNS1_3genE9ELNS1_11target_archE1100ELNS1_3gpuE3ELNS1_3repE0EEENS1_30default_config_static_selectorELNS0_4arch9wavefront6targetE1EEEvS13_,comdat
.Lfunc_end1679:
	.size	_ZN7rocprim17ROCPRIM_400000_NS6detail17trampoline_kernelINS0_13select_configILj256ELj13ELNS0_17block_load_methodE3ELS4_3ELS4_3ELNS0_20block_scan_algorithmE0ELj4294967295EEENS1_25partition_config_selectorILNS1_17partition_subalgoE4EjNS0_10empty_typeEbEEZZNS1_14partition_implILS8_4ELb0ES6_15HIP_vector_typeIjLj2EENS0_17counting_iteratorIjlEEPS9_SG_NS0_5tupleIJPjSI_NS0_16reverse_iteratorISI_EEEEENSH_IJSG_SG_SG_EEES9_SI_JZNS1_25segmented_radix_sort_implINS0_14default_configELb1EPK6__halfPSP_PKlPlN2at6native12_GLOBAL__N_18offset_tEEE10hipError_tPvRmT1_PNSt15iterator_traitsIS13_E10value_typeET2_T3_PNS14_IS19_E10value_typeET4_jRbjT5_S1F_jjP12ihipStream_tbEUljE_ZNSN_ISO_Lb1ESR_SS_SU_SV_SZ_EES10_S11_S12_S13_S17_S18_S19_S1C_S1D_jS1E_jS1F_S1F_jjS1H_bEUljE0_EEES10_S11_S12_S19_S1D_S1F_T6_T7_T9_mT8_S1H_bDpT10_ENKUlT_T0_E_clISt17integral_constantIbLb0EES1V_EEDaS1Q_S1R_EUlS1Q_E_NS1_11comp_targetILNS1_3genE9ELNS1_11target_archE1100ELNS1_3gpuE3ELNS1_3repE0EEENS1_30default_config_static_selectorELNS0_4arch9wavefront6targetE1EEEvS13_, .Lfunc_end1679-_ZN7rocprim17ROCPRIM_400000_NS6detail17trampoline_kernelINS0_13select_configILj256ELj13ELNS0_17block_load_methodE3ELS4_3ELS4_3ELNS0_20block_scan_algorithmE0ELj4294967295EEENS1_25partition_config_selectorILNS1_17partition_subalgoE4EjNS0_10empty_typeEbEEZZNS1_14partition_implILS8_4ELb0ES6_15HIP_vector_typeIjLj2EENS0_17counting_iteratorIjlEEPS9_SG_NS0_5tupleIJPjSI_NS0_16reverse_iteratorISI_EEEEENSH_IJSG_SG_SG_EEES9_SI_JZNS1_25segmented_radix_sort_implINS0_14default_configELb1EPK6__halfPSP_PKlPlN2at6native12_GLOBAL__N_18offset_tEEE10hipError_tPvRmT1_PNSt15iterator_traitsIS13_E10value_typeET2_T3_PNS14_IS19_E10value_typeET4_jRbjT5_S1F_jjP12ihipStream_tbEUljE_ZNSN_ISO_Lb1ESR_SS_SU_SV_SZ_EES10_S11_S12_S13_S17_S18_S19_S1C_S1D_jS1E_jS1F_S1F_jjS1H_bEUljE0_EEES10_S11_S12_S19_S1D_S1F_T6_T7_T9_mT8_S1H_bDpT10_ENKUlT_T0_E_clISt17integral_constantIbLb0EES1V_EEDaS1Q_S1R_EUlS1Q_E_NS1_11comp_targetILNS1_3genE9ELNS1_11target_archE1100ELNS1_3gpuE3ELNS1_3repE0EEENS1_30default_config_static_selectorELNS0_4arch9wavefront6targetE1EEEvS13_
                                        ; -- End function
	.section	.AMDGPU.csdata,"",@progbits
; Kernel info:
; codeLenInByte = 0
; NumSgprs: 4
; NumVgprs: 0
; NumAgprs: 0
; TotalNumVgprs: 0
; ScratchSize: 0
; MemoryBound: 0
; FloatMode: 240
; IeeeMode: 1
; LDSByteSize: 0 bytes/workgroup (compile time only)
; SGPRBlocks: 0
; VGPRBlocks: 0
; NumSGPRsForWavesPerEU: 4
; NumVGPRsForWavesPerEU: 1
; AccumOffset: 4
; Occupancy: 8
; WaveLimiterHint : 0
; COMPUTE_PGM_RSRC2:SCRATCH_EN: 0
; COMPUTE_PGM_RSRC2:USER_SGPR: 6
; COMPUTE_PGM_RSRC2:TRAP_HANDLER: 0
; COMPUTE_PGM_RSRC2:TGID_X_EN: 1
; COMPUTE_PGM_RSRC2:TGID_Y_EN: 0
; COMPUTE_PGM_RSRC2:TGID_Z_EN: 0
; COMPUTE_PGM_RSRC2:TIDIG_COMP_CNT: 0
; COMPUTE_PGM_RSRC3_GFX90A:ACCUM_OFFSET: 0
; COMPUTE_PGM_RSRC3_GFX90A:TG_SPLIT: 0
	.section	.text._ZN7rocprim17ROCPRIM_400000_NS6detail17trampoline_kernelINS0_13select_configILj256ELj13ELNS0_17block_load_methodE3ELS4_3ELS4_3ELNS0_20block_scan_algorithmE0ELj4294967295EEENS1_25partition_config_selectorILNS1_17partition_subalgoE4EjNS0_10empty_typeEbEEZZNS1_14partition_implILS8_4ELb0ES6_15HIP_vector_typeIjLj2EENS0_17counting_iteratorIjlEEPS9_SG_NS0_5tupleIJPjSI_NS0_16reverse_iteratorISI_EEEEENSH_IJSG_SG_SG_EEES9_SI_JZNS1_25segmented_radix_sort_implINS0_14default_configELb1EPK6__halfPSP_PKlPlN2at6native12_GLOBAL__N_18offset_tEEE10hipError_tPvRmT1_PNSt15iterator_traitsIS13_E10value_typeET2_T3_PNS14_IS19_E10value_typeET4_jRbjT5_S1F_jjP12ihipStream_tbEUljE_ZNSN_ISO_Lb1ESR_SS_SU_SV_SZ_EES10_S11_S12_S13_S17_S18_S19_S1C_S1D_jS1E_jS1F_S1F_jjS1H_bEUljE0_EEES10_S11_S12_S19_S1D_S1F_T6_T7_T9_mT8_S1H_bDpT10_ENKUlT_T0_E_clISt17integral_constantIbLb0EES1V_EEDaS1Q_S1R_EUlS1Q_E_NS1_11comp_targetILNS1_3genE8ELNS1_11target_archE1030ELNS1_3gpuE2ELNS1_3repE0EEENS1_30default_config_static_selectorELNS0_4arch9wavefront6targetE1EEEvS13_,"axG",@progbits,_ZN7rocprim17ROCPRIM_400000_NS6detail17trampoline_kernelINS0_13select_configILj256ELj13ELNS0_17block_load_methodE3ELS4_3ELS4_3ELNS0_20block_scan_algorithmE0ELj4294967295EEENS1_25partition_config_selectorILNS1_17partition_subalgoE4EjNS0_10empty_typeEbEEZZNS1_14partition_implILS8_4ELb0ES6_15HIP_vector_typeIjLj2EENS0_17counting_iteratorIjlEEPS9_SG_NS0_5tupleIJPjSI_NS0_16reverse_iteratorISI_EEEEENSH_IJSG_SG_SG_EEES9_SI_JZNS1_25segmented_radix_sort_implINS0_14default_configELb1EPK6__halfPSP_PKlPlN2at6native12_GLOBAL__N_18offset_tEEE10hipError_tPvRmT1_PNSt15iterator_traitsIS13_E10value_typeET2_T3_PNS14_IS19_E10value_typeET4_jRbjT5_S1F_jjP12ihipStream_tbEUljE_ZNSN_ISO_Lb1ESR_SS_SU_SV_SZ_EES10_S11_S12_S13_S17_S18_S19_S1C_S1D_jS1E_jS1F_S1F_jjS1H_bEUljE0_EEES10_S11_S12_S19_S1D_S1F_T6_T7_T9_mT8_S1H_bDpT10_ENKUlT_T0_E_clISt17integral_constantIbLb0EES1V_EEDaS1Q_S1R_EUlS1Q_E_NS1_11comp_targetILNS1_3genE8ELNS1_11target_archE1030ELNS1_3gpuE2ELNS1_3repE0EEENS1_30default_config_static_selectorELNS0_4arch9wavefront6targetE1EEEvS13_,comdat
	.globl	_ZN7rocprim17ROCPRIM_400000_NS6detail17trampoline_kernelINS0_13select_configILj256ELj13ELNS0_17block_load_methodE3ELS4_3ELS4_3ELNS0_20block_scan_algorithmE0ELj4294967295EEENS1_25partition_config_selectorILNS1_17partition_subalgoE4EjNS0_10empty_typeEbEEZZNS1_14partition_implILS8_4ELb0ES6_15HIP_vector_typeIjLj2EENS0_17counting_iteratorIjlEEPS9_SG_NS0_5tupleIJPjSI_NS0_16reverse_iteratorISI_EEEEENSH_IJSG_SG_SG_EEES9_SI_JZNS1_25segmented_radix_sort_implINS0_14default_configELb1EPK6__halfPSP_PKlPlN2at6native12_GLOBAL__N_18offset_tEEE10hipError_tPvRmT1_PNSt15iterator_traitsIS13_E10value_typeET2_T3_PNS14_IS19_E10value_typeET4_jRbjT5_S1F_jjP12ihipStream_tbEUljE_ZNSN_ISO_Lb1ESR_SS_SU_SV_SZ_EES10_S11_S12_S13_S17_S18_S19_S1C_S1D_jS1E_jS1F_S1F_jjS1H_bEUljE0_EEES10_S11_S12_S19_S1D_S1F_T6_T7_T9_mT8_S1H_bDpT10_ENKUlT_T0_E_clISt17integral_constantIbLb0EES1V_EEDaS1Q_S1R_EUlS1Q_E_NS1_11comp_targetILNS1_3genE8ELNS1_11target_archE1030ELNS1_3gpuE2ELNS1_3repE0EEENS1_30default_config_static_selectorELNS0_4arch9wavefront6targetE1EEEvS13_ ; -- Begin function _ZN7rocprim17ROCPRIM_400000_NS6detail17trampoline_kernelINS0_13select_configILj256ELj13ELNS0_17block_load_methodE3ELS4_3ELS4_3ELNS0_20block_scan_algorithmE0ELj4294967295EEENS1_25partition_config_selectorILNS1_17partition_subalgoE4EjNS0_10empty_typeEbEEZZNS1_14partition_implILS8_4ELb0ES6_15HIP_vector_typeIjLj2EENS0_17counting_iteratorIjlEEPS9_SG_NS0_5tupleIJPjSI_NS0_16reverse_iteratorISI_EEEEENSH_IJSG_SG_SG_EEES9_SI_JZNS1_25segmented_radix_sort_implINS0_14default_configELb1EPK6__halfPSP_PKlPlN2at6native12_GLOBAL__N_18offset_tEEE10hipError_tPvRmT1_PNSt15iterator_traitsIS13_E10value_typeET2_T3_PNS14_IS19_E10value_typeET4_jRbjT5_S1F_jjP12ihipStream_tbEUljE_ZNSN_ISO_Lb1ESR_SS_SU_SV_SZ_EES10_S11_S12_S13_S17_S18_S19_S1C_S1D_jS1E_jS1F_S1F_jjS1H_bEUljE0_EEES10_S11_S12_S19_S1D_S1F_T6_T7_T9_mT8_S1H_bDpT10_ENKUlT_T0_E_clISt17integral_constantIbLb0EES1V_EEDaS1Q_S1R_EUlS1Q_E_NS1_11comp_targetILNS1_3genE8ELNS1_11target_archE1030ELNS1_3gpuE2ELNS1_3repE0EEENS1_30default_config_static_selectorELNS0_4arch9wavefront6targetE1EEEvS13_
	.p2align	8
	.type	_ZN7rocprim17ROCPRIM_400000_NS6detail17trampoline_kernelINS0_13select_configILj256ELj13ELNS0_17block_load_methodE3ELS4_3ELS4_3ELNS0_20block_scan_algorithmE0ELj4294967295EEENS1_25partition_config_selectorILNS1_17partition_subalgoE4EjNS0_10empty_typeEbEEZZNS1_14partition_implILS8_4ELb0ES6_15HIP_vector_typeIjLj2EENS0_17counting_iteratorIjlEEPS9_SG_NS0_5tupleIJPjSI_NS0_16reverse_iteratorISI_EEEEENSH_IJSG_SG_SG_EEES9_SI_JZNS1_25segmented_radix_sort_implINS0_14default_configELb1EPK6__halfPSP_PKlPlN2at6native12_GLOBAL__N_18offset_tEEE10hipError_tPvRmT1_PNSt15iterator_traitsIS13_E10value_typeET2_T3_PNS14_IS19_E10value_typeET4_jRbjT5_S1F_jjP12ihipStream_tbEUljE_ZNSN_ISO_Lb1ESR_SS_SU_SV_SZ_EES10_S11_S12_S13_S17_S18_S19_S1C_S1D_jS1E_jS1F_S1F_jjS1H_bEUljE0_EEES10_S11_S12_S19_S1D_S1F_T6_T7_T9_mT8_S1H_bDpT10_ENKUlT_T0_E_clISt17integral_constantIbLb0EES1V_EEDaS1Q_S1R_EUlS1Q_E_NS1_11comp_targetILNS1_3genE8ELNS1_11target_archE1030ELNS1_3gpuE2ELNS1_3repE0EEENS1_30default_config_static_selectorELNS0_4arch9wavefront6targetE1EEEvS13_,@function
_ZN7rocprim17ROCPRIM_400000_NS6detail17trampoline_kernelINS0_13select_configILj256ELj13ELNS0_17block_load_methodE3ELS4_3ELS4_3ELNS0_20block_scan_algorithmE0ELj4294967295EEENS1_25partition_config_selectorILNS1_17partition_subalgoE4EjNS0_10empty_typeEbEEZZNS1_14partition_implILS8_4ELb0ES6_15HIP_vector_typeIjLj2EENS0_17counting_iteratorIjlEEPS9_SG_NS0_5tupleIJPjSI_NS0_16reverse_iteratorISI_EEEEENSH_IJSG_SG_SG_EEES9_SI_JZNS1_25segmented_radix_sort_implINS0_14default_configELb1EPK6__halfPSP_PKlPlN2at6native12_GLOBAL__N_18offset_tEEE10hipError_tPvRmT1_PNSt15iterator_traitsIS13_E10value_typeET2_T3_PNS14_IS19_E10value_typeET4_jRbjT5_S1F_jjP12ihipStream_tbEUljE_ZNSN_ISO_Lb1ESR_SS_SU_SV_SZ_EES10_S11_S12_S13_S17_S18_S19_S1C_S1D_jS1E_jS1F_S1F_jjS1H_bEUljE0_EEES10_S11_S12_S19_S1D_S1F_T6_T7_T9_mT8_S1H_bDpT10_ENKUlT_T0_E_clISt17integral_constantIbLb0EES1V_EEDaS1Q_S1R_EUlS1Q_E_NS1_11comp_targetILNS1_3genE8ELNS1_11target_archE1030ELNS1_3gpuE2ELNS1_3repE0EEENS1_30default_config_static_selectorELNS0_4arch9wavefront6targetE1EEEvS13_: ; @_ZN7rocprim17ROCPRIM_400000_NS6detail17trampoline_kernelINS0_13select_configILj256ELj13ELNS0_17block_load_methodE3ELS4_3ELS4_3ELNS0_20block_scan_algorithmE0ELj4294967295EEENS1_25partition_config_selectorILNS1_17partition_subalgoE4EjNS0_10empty_typeEbEEZZNS1_14partition_implILS8_4ELb0ES6_15HIP_vector_typeIjLj2EENS0_17counting_iteratorIjlEEPS9_SG_NS0_5tupleIJPjSI_NS0_16reverse_iteratorISI_EEEEENSH_IJSG_SG_SG_EEES9_SI_JZNS1_25segmented_radix_sort_implINS0_14default_configELb1EPK6__halfPSP_PKlPlN2at6native12_GLOBAL__N_18offset_tEEE10hipError_tPvRmT1_PNSt15iterator_traitsIS13_E10value_typeET2_T3_PNS14_IS19_E10value_typeET4_jRbjT5_S1F_jjP12ihipStream_tbEUljE_ZNSN_ISO_Lb1ESR_SS_SU_SV_SZ_EES10_S11_S12_S13_S17_S18_S19_S1C_S1D_jS1E_jS1F_S1F_jjS1H_bEUljE0_EEES10_S11_S12_S19_S1D_S1F_T6_T7_T9_mT8_S1H_bDpT10_ENKUlT_T0_E_clISt17integral_constantIbLb0EES1V_EEDaS1Q_S1R_EUlS1Q_E_NS1_11comp_targetILNS1_3genE8ELNS1_11target_archE1030ELNS1_3gpuE2ELNS1_3repE0EEENS1_30default_config_static_selectorELNS0_4arch9wavefront6targetE1EEEvS13_
; %bb.0:
	.section	.rodata,"a",@progbits
	.p2align	6, 0x0
	.amdhsa_kernel _ZN7rocprim17ROCPRIM_400000_NS6detail17trampoline_kernelINS0_13select_configILj256ELj13ELNS0_17block_load_methodE3ELS4_3ELS4_3ELNS0_20block_scan_algorithmE0ELj4294967295EEENS1_25partition_config_selectorILNS1_17partition_subalgoE4EjNS0_10empty_typeEbEEZZNS1_14partition_implILS8_4ELb0ES6_15HIP_vector_typeIjLj2EENS0_17counting_iteratorIjlEEPS9_SG_NS0_5tupleIJPjSI_NS0_16reverse_iteratorISI_EEEEENSH_IJSG_SG_SG_EEES9_SI_JZNS1_25segmented_radix_sort_implINS0_14default_configELb1EPK6__halfPSP_PKlPlN2at6native12_GLOBAL__N_18offset_tEEE10hipError_tPvRmT1_PNSt15iterator_traitsIS13_E10value_typeET2_T3_PNS14_IS19_E10value_typeET4_jRbjT5_S1F_jjP12ihipStream_tbEUljE_ZNSN_ISO_Lb1ESR_SS_SU_SV_SZ_EES10_S11_S12_S13_S17_S18_S19_S1C_S1D_jS1E_jS1F_S1F_jjS1H_bEUljE0_EEES10_S11_S12_S19_S1D_S1F_T6_T7_T9_mT8_S1H_bDpT10_ENKUlT_T0_E_clISt17integral_constantIbLb0EES1V_EEDaS1Q_S1R_EUlS1Q_E_NS1_11comp_targetILNS1_3genE8ELNS1_11target_archE1030ELNS1_3gpuE2ELNS1_3repE0EEENS1_30default_config_static_selectorELNS0_4arch9wavefront6targetE1EEEvS13_
		.amdhsa_group_segment_fixed_size 0
		.amdhsa_private_segment_fixed_size 0
		.amdhsa_kernarg_size 176
		.amdhsa_user_sgpr_count 6
		.amdhsa_user_sgpr_private_segment_buffer 1
		.amdhsa_user_sgpr_dispatch_ptr 0
		.amdhsa_user_sgpr_queue_ptr 0
		.amdhsa_user_sgpr_kernarg_segment_ptr 1
		.amdhsa_user_sgpr_dispatch_id 0
		.amdhsa_user_sgpr_flat_scratch_init 0
		.amdhsa_user_sgpr_kernarg_preload_length 0
		.amdhsa_user_sgpr_kernarg_preload_offset 0
		.amdhsa_user_sgpr_private_segment_size 0
		.amdhsa_uses_dynamic_stack 0
		.amdhsa_system_sgpr_private_segment_wavefront_offset 0
		.amdhsa_system_sgpr_workgroup_id_x 1
		.amdhsa_system_sgpr_workgroup_id_y 0
		.amdhsa_system_sgpr_workgroup_id_z 0
		.amdhsa_system_sgpr_workgroup_info 0
		.amdhsa_system_vgpr_workitem_id 0
		.amdhsa_next_free_vgpr 1
		.amdhsa_next_free_sgpr 0
		.amdhsa_accum_offset 4
		.amdhsa_reserve_vcc 0
		.amdhsa_reserve_flat_scratch 0
		.amdhsa_float_round_mode_32 0
		.amdhsa_float_round_mode_16_64 0
		.amdhsa_float_denorm_mode_32 3
		.amdhsa_float_denorm_mode_16_64 3
		.amdhsa_dx10_clamp 1
		.amdhsa_ieee_mode 1
		.amdhsa_fp16_overflow 0
		.amdhsa_tg_split 0
		.amdhsa_exception_fp_ieee_invalid_op 0
		.amdhsa_exception_fp_denorm_src 0
		.amdhsa_exception_fp_ieee_div_zero 0
		.amdhsa_exception_fp_ieee_overflow 0
		.amdhsa_exception_fp_ieee_underflow 0
		.amdhsa_exception_fp_ieee_inexact 0
		.amdhsa_exception_int_div_zero 0
	.end_amdhsa_kernel
	.section	.text._ZN7rocprim17ROCPRIM_400000_NS6detail17trampoline_kernelINS0_13select_configILj256ELj13ELNS0_17block_load_methodE3ELS4_3ELS4_3ELNS0_20block_scan_algorithmE0ELj4294967295EEENS1_25partition_config_selectorILNS1_17partition_subalgoE4EjNS0_10empty_typeEbEEZZNS1_14partition_implILS8_4ELb0ES6_15HIP_vector_typeIjLj2EENS0_17counting_iteratorIjlEEPS9_SG_NS0_5tupleIJPjSI_NS0_16reverse_iteratorISI_EEEEENSH_IJSG_SG_SG_EEES9_SI_JZNS1_25segmented_radix_sort_implINS0_14default_configELb1EPK6__halfPSP_PKlPlN2at6native12_GLOBAL__N_18offset_tEEE10hipError_tPvRmT1_PNSt15iterator_traitsIS13_E10value_typeET2_T3_PNS14_IS19_E10value_typeET4_jRbjT5_S1F_jjP12ihipStream_tbEUljE_ZNSN_ISO_Lb1ESR_SS_SU_SV_SZ_EES10_S11_S12_S13_S17_S18_S19_S1C_S1D_jS1E_jS1F_S1F_jjS1H_bEUljE0_EEES10_S11_S12_S19_S1D_S1F_T6_T7_T9_mT8_S1H_bDpT10_ENKUlT_T0_E_clISt17integral_constantIbLb0EES1V_EEDaS1Q_S1R_EUlS1Q_E_NS1_11comp_targetILNS1_3genE8ELNS1_11target_archE1030ELNS1_3gpuE2ELNS1_3repE0EEENS1_30default_config_static_selectorELNS0_4arch9wavefront6targetE1EEEvS13_,"axG",@progbits,_ZN7rocprim17ROCPRIM_400000_NS6detail17trampoline_kernelINS0_13select_configILj256ELj13ELNS0_17block_load_methodE3ELS4_3ELS4_3ELNS0_20block_scan_algorithmE0ELj4294967295EEENS1_25partition_config_selectorILNS1_17partition_subalgoE4EjNS0_10empty_typeEbEEZZNS1_14partition_implILS8_4ELb0ES6_15HIP_vector_typeIjLj2EENS0_17counting_iteratorIjlEEPS9_SG_NS0_5tupleIJPjSI_NS0_16reverse_iteratorISI_EEEEENSH_IJSG_SG_SG_EEES9_SI_JZNS1_25segmented_radix_sort_implINS0_14default_configELb1EPK6__halfPSP_PKlPlN2at6native12_GLOBAL__N_18offset_tEEE10hipError_tPvRmT1_PNSt15iterator_traitsIS13_E10value_typeET2_T3_PNS14_IS19_E10value_typeET4_jRbjT5_S1F_jjP12ihipStream_tbEUljE_ZNSN_ISO_Lb1ESR_SS_SU_SV_SZ_EES10_S11_S12_S13_S17_S18_S19_S1C_S1D_jS1E_jS1F_S1F_jjS1H_bEUljE0_EEES10_S11_S12_S19_S1D_S1F_T6_T7_T9_mT8_S1H_bDpT10_ENKUlT_T0_E_clISt17integral_constantIbLb0EES1V_EEDaS1Q_S1R_EUlS1Q_E_NS1_11comp_targetILNS1_3genE8ELNS1_11target_archE1030ELNS1_3gpuE2ELNS1_3repE0EEENS1_30default_config_static_selectorELNS0_4arch9wavefront6targetE1EEEvS13_,comdat
.Lfunc_end1680:
	.size	_ZN7rocprim17ROCPRIM_400000_NS6detail17trampoline_kernelINS0_13select_configILj256ELj13ELNS0_17block_load_methodE3ELS4_3ELS4_3ELNS0_20block_scan_algorithmE0ELj4294967295EEENS1_25partition_config_selectorILNS1_17partition_subalgoE4EjNS0_10empty_typeEbEEZZNS1_14partition_implILS8_4ELb0ES6_15HIP_vector_typeIjLj2EENS0_17counting_iteratorIjlEEPS9_SG_NS0_5tupleIJPjSI_NS0_16reverse_iteratorISI_EEEEENSH_IJSG_SG_SG_EEES9_SI_JZNS1_25segmented_radix_sort_implINS0_14default_configELb1EPK6__halfPSP_PKlPlN2at6native12_GLOBAL__N_18offset_tEEE10hipError_tPvRmT1_PNSt15iterator_traitsIS13_E10value_typeET2_T3_PNS14_IS19_E10value_typeET4_jRbjT5_S1F_jjP12ihipStream_tbEUljE_ZNSN_ISO_Lb1ESR_SS_SU_SV_SZ_EES10_S11_S12_S13_S17_S18_S19_S1C_S1D_jS1E_jS1F_S1F_jjS1H_bEUljE0_EEES10_S11_S12_S19_S1D_S1F_T6_T7_T9_mT8_S1H_bDpT10_ENKUlT_T0_E_clISt17integral_constantIbLb0EES1V_EEDaS1Q_S1R_EUlS1Q_E_NS1_11comp_targetILNS1_3genE8ELNS1_11target_archE1030ELNS1_3gpuE2ELNS1_3repE0EEENS1_30default_config_static_selectorELNS0_4arch9wavefront6targetE1EEEvS13_, .Lfunc_end1680-_ZN7rocprim17ROCPRIM_400000_NS6detail17trampoline_kernelINS0_13select_configILj256ELj13ELNS0_17block_load_methodE3ELS4_3ELS4_3ELNS0_20block_scan_algorithmE0ELj4294967295EEENS1_25partition_config_selectorILNS1_17partition_subalgoE4EjNS0_10empty_typeEbEEZZNS1_14partition_implILS8_4ELb0ES6_15HIP_vector_typeIjLj2EENS0_17counting_iteratorIjlEEPS9_SG_NS0_5tupleIJPjSI_NS0_16reverse_iteratorISI_EEEEENSH_IJSG_SG_SG_EEES9_SI_JZNS1_25segmented_radix_sort_implINS0_14default_configELb1EPK6__halfPSP_PKlPlN2at6native12_GLOBAL__N_18offset_tEEE10hipError_tPvRmT1_PNSt15iterator_traitsIS13_E10value_typeET2_T3_PNS14_IS19_E10value_typeET4_jRbjT5_S1F_jjP12ihipStream_tbEUljE_ZNSN_ISO_Lb1ESR_SS_SU_SV_SZ_EES10_S11_S12_S13_S17_S18_S19_S1C_S1D_jS1E_jS1F_S1F_jjS1H_bEUljE0_EEES10_S11_S12_S19_S1D_S1F_T6_T7_T9_mT8_S1H_bDpT10_ENKUlT_T0_E_clISt17integral_constantIbLb0EES1V_EEDaS1Q_S1R_EUlS1Q_E_NS1_11comp_targetILNS1_3genE8ELNS1_11target_archE1030ELNS1_3gpuE2ELNS1_3repE0EEENS1_30default_config_static_selectorELNS0_4arch9wavefront6targetE1EEEvS13_
                                        ; -- End function
	.section	.AMDGPU.csdata,"",@progbits
; Kernel info:
; codeLenInByte = 0
; NumSgprs: 4
; NumVgprs: 0
; NumAgprs: 0
; TotalNumVgprs: 0
; ScratchSize: 0
; MemoryBound: 0
; FloatMode: 240
; IeeeMode: 1
; LDSByteSize: 0 bytes/workgroup (compile time only)
; SGPRBlocks: 0
; VGPRBlocks: 0
; NumSGPRsForWavesPerEU: 4
; NumVGPRsForWavesPerEU: 1
; AccumOffset: 4
; Occupancy: 8
; WaveLimiterHint : 0
; COMPUTE_PGM_RSRC2:SCRATCH_EN: 0
; COMPUTE_PGM_RSRC2:USER_SGPR: 6
; COMPUTE_PGM_RSRC2:TRAP_HANDLER: 0
; COMPUTE_PGM_RSRC2:TGID_X_EN: 1
; COMPUTE_PGM_RSRC2:TGID_Y_EN: 0
; COMPUTE_PGM_RSRC2:TGID_Z_EN: 0
; COMPUTE_PGM_RSRC2:TIDIG_COMP_CNT: 0
; COMPUTE_PGM_RSRC3_GFX90A:ACCUM_OFFSET: 0
; COMPUTE_PGM_RSRC3_GFX90A:TG_SPLIT: 0
	.section	.text._ZN7rocprim17ROCPRIM_400000_NS6detail17trampoline_kernelINS0_13select_configILj256ELj13ELNS0_17block_load_methodE3ELS4_3ELS4_3ELNS0_20block_scan_algorithmE0ELj4294967295EEENS1_25partition_config_selectorILNS1_17partition_subalgoE4EjNS0_10empty_typeEbEEZZNS1_14partition_implILS8_4ELb0ES6_15HIP_vector_typeIjLj2EENS0_17counting_iteratorIjlEEPS9_SG_NS0_5tupleIJPjSI_NS0_16reverse_iteratorISI_EEEEENSH_IJSG_SG_SG_EEES9_SI_JZNS1_25segmented_radix_sort_implINS0_14default_configELb1EPK6__halfPSP_PKlPlN2at6native12_GLOBAL__N_18offset_tEEE10hipError_tPvRmT1_PNSt15iterator_traitsIS13_E10value_typeET2_T3_PNS14_IS19_E10value_typeET4_jRbjT5_S1F_jjP12ihipStream_tbEUljE_ZNSN_ISO_Lb1ESR_SS_SU_SV_SZ_EES10_S11_S12_S13_S17_S18_S19_S1C_S1D_jS1E_jS1F_S1F_jjS1H_bEUljE0_EEES10_S11_S12_S19_S1D_S1F_T6_T7_T9_mT8_S1H_bDpT10_ENKUlT_T0_E_clISt17integral_constantIbLb1EES1V_EEDaS1Q_S1R_EUlS1Q_E_NS1_11comp_targetILNS1_3genE0ELNS1_11target_archE4294967295ELNS1_3gpuE0ELNS1_3repE0EEENS1_30default_config_static_selectorELNS0_4arch9wavefront6targetE1EEEvS13_,"axG",@progbits,_ZN7rocprim17ROCPRIM_400000_NS6detail17trampoline_kernelINS0_13select_configILj256ELj13ELNS0_17block_load_methodE3ELS4_3ELS4_3ELNS0_20block_scan_algorithmE0ELj4294967295EEENS1_25partition_config_selectorILNS1_17partition_subalgoE4EjNS0_10empty_typeEbEEZZNS1_14partition_implILS8_4ELb0ES6_15HIP_vector_typeIjLj2EENS0_17counting_iteratorIjlEEPS9_SG_NS0_5tupleIJPjSI_NS0_16reverse_iteratorISI_EEEEENSH_IJSG_SG_SG_EEES9_SI_JZNS1_25segmented_radix_sort_implINS0_14default_configELb1EPK6__halfPSP_PKlPlN2at6native12_GLOBAL__N_18offset_tEEE10hipError_tPvRmT1_PNSt15iterator_traitsIS13_E10value_typeET2_T3_PNS14_IS19_E10value_typeET4_jRbjT5_S1F_jjP12ihipStream_tbEUljE_ZNSN_ISO_Lb1ESR_SS_SU_SV_SZ_EES10_S11_S12_S13_S17_S18_S19_S1C_S1D_jS1E_jS1F_S1F_jjS1H_bEUljE0_EEES10_S11_S12_S19_S1D_S1F_T6_T7_T9_mT8_S1H_bDpT10_ENKUlT_T0_E_clISt17integral_constantIbLb1EES1V_EEDaS1Q_S1R_EUlS1Q_E_NS1_11comp_targetILNS1_3genE0ELNS1_11target_archE4294967295ELNS1_3gpuE0ELNS1_3repE0EEENS1_30default_config_static_selectorELNS0_4arch9wavefront6targetE1EEEvS13_,comdat
	.globl	_ZN7rocprim17ROCPRIM_400000_NS6detail17trampoline_kernelINS0_13select_configILj256ELj13ELNS0_17block_load_methodE3ELS4_3ELS4_3ELNS0_20block_scan_algorithmE0ELj4294967295EEENS1_25partition_config_selectorILNS1_17partition_subalgoE4EjNS0_10empty_typeEbEEZZNS1_14partition_implILS8_4ELb0ES6_15HIP_vector_typeIjLj2EENS0_17counting_iteratorIjlEEPS9_SG_NS0_5tupleIJPjSI_NS0_16reverse_iteratorISI_EEEEENSH_IJSG_SG_SG_EEES9_SI_JZNS1_25segmented_radix_sort_implINS0_14default_configELb1EPK6__halfPSP_PKlPlN2at6native12_GLOBAL__N_18offset_tEEE10hipError_tPvRmT1_PNSt15iterator_traitsIS13_E10value_typeET2_T3_PNS14_IS19_E10value_typeET4_jRbjT5_S1F_jjP12ihipStream_tbEUljE_ZNSN_ISO_Lb1ESR_SS_SU_SV_SZ_EES10_S11_S12_S13_S17_S18_S19_S1C_S1D_jS1E_jS1F_S1F_jjS1H_bEUljE0_EEES10_S11_S12_S19_S1D_S1F_T6_T7_T9_mT8_S1H_bDpT10_ENKUlT_T0_E_clISt17integral_constantIbLb1EES1V_EEDaS1Q_S1R_EUlS1Q_E_NS1_11comp_targetILNS1_3genE0ELNS1_11target_archE4294967295ELNS1_3gpuE0ELNS1_3repE0EEENS1_30default_config_static_selectorELNS0_4arch9wavefront6targetE1EEEvS13_ ; -- Begin function _ZN7rocprim17ROCPRIM_400000_NS6detail17trampoline_kernelINS0_13select_configILj256ELj13ELNS0_17block_load_methodE3ELS4_3ELS4_3ELNS0_20block_scan_algorithmE0ELj4294967295EEENS1_25partition_config_selectorILNS1_17partition_subalgoE4EjNS0_10empty_typeEbEEZZNS1_14partition_implILS8_4ELb0ES6_15HIP_vector_typeIjLj2EENS0_17counting_iteratorIjlEEPS9_SG_NS0_5tupleIJPjSI_NS0_16reverse_iteratorISI_EEEEENSH_IJSG_SG_SG_EEES9_SI_JZNS1_25segmented_radix_sort_implINS0_14default_configELb1EPK6__halfPSP_PKlPlN2at6native12_GLOBAL__N_18offset_tEEE10hipError_tPvRmT1_PNSt15iterator_traitsIS13_E10value_typeET2_T3_PNS14_IS19_E10value_typeET4_jRbjT5_S1F_jjP12ihipStream_tbEUljE_ZNSN_ISO_Lb1ESR_SS_SU_SV_SZ_EES10_S11_S12_S13_S17_S18_S19_S1C_S1D_jS1E_jS1F_S1F_jjS1H_bEUljE0_EEES10_S11_S12_S19_S1D_S1F_T6_T7_T9_mT8_S1H_bDpT10_ENKUlT_T0_E_clISt17integral_constantIbLb1EES1V_EEDaS1Q_S1R_EUlS1Q_E_NS1_11comp_targetILNS1_3genE0ELNS1_11target_archE4294967295ELNS1_3gpuE0ELNS1_3repE0EEENS1_30default_config_static_selectorELNS0_4arch9wavefront6targetE1EEEvS13_
	.p2align	8
	.type	_ZN7rocprim17ROCPRIM_400000_NS6detail17trampoline_kernelINS0_13select_configILj256ELj13ELNS0_17block_load_methodE3ELS4_3ELS4_3ELNS0_20block_scan_algorithmE0ELj4294967295EEENS1_25partition_config_selectorILNS1_17partition_subalgoE4EjNS0_10empty_typeEbEEZZNS1_14partition_implILS8_4ELb0ES6_15HIP_vector_typeIjLj2EENS0_17counting_iteratorIjlEEPS9_SG_NS0_5tupleIJPjSI_NS0_16reverse_iteratorISI_EEEEENSH_IJSG_SG_SG_EEES9_SI_JZNS1_25segmented_radix_sort_implINS0_14default_configELb1EPK6__halfPSP_PKlPlN2at6native12_GLOBAL__N_18offset_tEEE10hipError_tPvRmT1_PNSt15iterator_traitsIS13_E10value_typeET2_T3_PNS14_IS19_E10value_typeET4_jRbjT5_S1F_jjP12ihipStream_tbEUljE_ZNSN_ISO_Lb1ESR_SS_SU_SV_SZ_EES10_S11_S12_S13_S17_S18_S19_S1C_S1D_jS1E_jS1F_S1F_jjS1H_bEUljE0_EEES10_S11_S12_S19_S1D_S1F_T6_T7_T9_mT8_S1H_bDpT10_ENKUlT_T0_E_clISt17integral_constantIbLb1EES1V_EEDaS1Q_S1R_EUlS1Q_E_NS1_11comp_targetILNS1_3genE0ELNS1_11target_archE4294967295ELNS1_3gpuE0ELNS1_3repE0EEENS1_30default_config_static_selectorELNS0_4arch9wavefront6targetE1EEEvS13_,@function
_ZN7rocprim17ROCPRIM_400000_NS6detail17trampoline_kernelINS0_13select_configILj256ELj13ELNS0_17block_load_methodE3ELS4_3ELS4_3ELNS0_20block_scan_algorithmE0ELj4294967295EEENS1_25partition_config_selectorILNS1_17partition_subalgoE4EjNS0_10empty_typeEbEEZZNS1_14partition_implILS8_4ELb0ES6_15HIP_vector_typeIjLj2EENS0_17counting_iteratorIjlEEPS9_SG_NS0_5tupleIJPjSI_NS0_16reverse_iteratorISI_EEEEENSH_IJSG_SG_SG_EEES9_SI_JZNS1_25segmented_radix_sort_implINS0_14default_configELb1EPK6__halfPSP_PKlPlN2at6native12_GLOBAL__N_18offset_tEEE10hipError_tPvRmT1_PNSt15iterator_traitsIS13_E10value_typeET2_T3_PNS14_IS19_E10value_typeET4_jRbjT5_S1F_jjP12ihipStream_tbEUljE_ZNSN_ISO_Lb1ESR_SS_SU_SV_SZ_EES10_S11_S12_S13_S17_S18_S19_S1C_S1D_jS1E_jS1F_S1F_jjS1H_bEUljE0_EEES10_S11_S12_S19_S1D_S1F_T6_T7_T9_mT8_S1H_bDpT10_ENKUlT_T0_E_clISt17integral_constantIbLb1EES1V_EEDaS1Q_S1R_EUlS1Q_E_NS1_11comp_targetILNS1_3genE0ELNS1_11target_archE4294967295ELNS1_3gpuE0ELNS1_3repE0EEENS1_30default_config_static_selectorELNS0_4arch9wavefront6targetE1EEEvS13_: ; @_ZN7rocprim17ROCPRIM_400000_NS6detail17trampoline_kernelINS0_13select_configILj256ELj13ELNS0_17block_load_methodE3ELS4_3ELS4_3ELNS0_20block_scan_algorithmE0ELj4294967295EEENS1_25partition_config_selectorILNS1_17partition_subalgoE4EjNS0_10empty_typeEbEEZZNS1_14partition_implILS8_4ELb0ES6_15HIP_vector_typeIjLj2EENS0_17counting_iteratorIjlEEPS9_SG_NS0_5tupleIJPjSI_NS0_16reverse_iteratorISI_EEEEENSH_IJSG_SG_SG_EEES9_SI_JZNS1_25segmented_radix_sort_implINS0_14default_configELb1EPK6__halfPSP_PKlPlN2at6native12_GLOBAL__N_18offset_tEEE10hipError_tPvRmT1_PNSt15iterator_traitsIS13_E10value_typeET2_T3_PNS14_IS19_E10value_typeET4_jRbjT5_S1F_jjP12ihipStream_tbEUljE_ZNSN_ISO_Lb1ESR_SS_SU_SV_SZ_EES10_S11_S12_S13_S17_S18_S19_S1C_S1D_jS1E_jS1F_S1F_jjS1H_bEUljE0_EEES10_S11_S12_S19_S1D_S1F_T6_T7_T9_mT8_S1H_bDpT10_ENKUlT_T0_E_clISt17integral_constantIbLb1EES1V_EEDaS1Q_S1R_EUlS1Q_E_NS1_11comp_targetILNS1_3genE0ELNS1_11target_archE4294967295ELNS1_3gpuE0ELNS1_3repE0EEENS1_30default_config_static_selectorELNS0_4arch9wavefront6targetE1EEEvS13_
; %bb.0:
	.section	.rodata,"a",@progbits
	.p2align	6, 0x0
	.amdhsa_kernel _ZN7rocprim17ROCPRIM_400000_NS6detail17trampoline_kernelINS0_13select_configILj256ELj13ELNS0_17block_load_methodE3ELS4_3ELS4_3ELNS0_20block_scan_algorithmE0ELj4294967295EEENS1_25partition_config_selectorILNS1_17partition_subalgoE4EjNS0_10empty_typeEbEEZZNS1_14partition_implILS8_4ELb0ES6_15HIP_vector_typeIjLj2EENS0_17counting_iteratorIjlEEPS9_SG_NS0_5tupleIJPjSI_NS0_16reverse_iteratorISI_EEEEENSH_IJSG_SG_SG_EEES9_SI_JZNS1_25segmented_radix_sort_implINS0_14default_configELb1EPK6__halfPSP_PKlPlN2at6native12_GLOBAL__N_18offset_tEEE10hipError_tPvRmT1_PNSt15iterator_traitsIS13_E10value_typeET2_T3_PNS14_IS19_E10value_typeET4_jRbjT5_S1F_jjP12ihipStream_tbEUljE_ZNSN_ISO_Lb1ESR_SS_SU_SV_SZ_EES10_S11_S12_S13_S17_S18_S19_S1C_S1D_jS1E_jS1F_S1F_jjS1H_bEUljE0_EEES10_S11_S12_S19_S1D_S1F_T6_T7_T9_mT8_S1H_bDpT10_ENKUlT_T0_E_clISt17integral_constantIbLb1EES1V_EEDaS1Q_S1R_EUlS1Q_E_NS1_11comp_targetILNS1_3genE0ELNS1_11target_archE4294967295ELNS1_3gpuE0ELNS1_3repE0EEENS1_30default_config_static_selectorELNS0_4arch9wavefront6targetE1EEEvS13_
		.amdhsa_group_segment_fixed_size 0
		.amdhsa_private_segment_fixed_size 0
		.amdhsa_kernarg_size 184
		.amdhsa_user_sgpr_count 6
		.amdhsa_user_sgpr_private_segment_buffer 1
		.amdhsa_user_sgpr_dispatch_ptr 0
		.amdhsa_user_sgpr_queue_ptr 0
		.amdhsa_user_sgpr_kernarg_segment_ptr 1
		.amdhsa_user_sgpr_dispatch_id 0
		.amdhsa_user_sgpr_flat_scratch_init 0
		.amdhsa_user_sgpr_kernarg_preload_length 0
		.amdhsa_user_sgpr_kernarg_preload_offset 0
		.amdhsa_user_sgpr_private_segment_size 0
		.amdhsa_uses_dynamic_stack 0
		.amdhsa_system_sgpr_private_segment_wavefront_offset 0
		.amdhsa_system_sgpr_workgroup_id_x 1
		.amdhsa_system_sgpr_workgroup_id_y 0
		.amdhsa_system_sgpr_workgroup_id_z 0
		.amdhsa_system_sgpr_workgroup_info 0
		.amdhsa_system_vgpr_workitem_id 0
		.amdhsa_next_free_vgpr 1
		.amdhsa_next_free_sgpr 0
		.amdhsa_accum_offset 4
		.amdhsa_reserve_vcc 0
		.amdhsa_reserve_flat_scratch 0
		.amdhsa_float_round_mode_32 0
		.amdhsa_float_round_mode_16_64 0
		.amdhsa_float_denorm_mode_32 3
		.amdhsa_float_denorm_mode_16_64 3
		.amdhsa_dx10_clamp 1
		.amdhsa_ieee_mode 1
		.amdhsa_fp16_overflow 0
		.amdhsa_tg_split 0
		.amdhsa_exception_fp_ieee_invalid_op 0
		.amdhsa_exception_fp_denorm_src 0
		.amdhsa_exception_fp_ieee_div_zero 0
		.amdhsa_exception_fp_ieee_overflow 0
		.amdhsa_exception_fp_ieee_underflow 0
		.amdhsa_exception_fp_ieee_inexact 0
		.amdhsa_exception_int_div_zero 0
	.end_amdhsa_kernel
	.section	.text._ZN7rocprim17ROCPRIM_400000_NS6detail17trampoline_kernelINS0_13select_configILj256ELj13ELNS0_17block_load_methodE3ELS4_3ELS4_3ELNS0_20block_scan_algorithmE0ELj4294967295EEENS1_25partition_config_selectorILNS1_17partition_subalgoE4EjNS0_10empty_typeEbEEZZNS1_14partition_implILS8_4ELb0ES6_15HIP_vector_typeIjLj2EENS0_17counting_iteratorIjlEEPS9_SG_NS0_5tupleIJPjSI_NS0_16reverse_iteratorISI_EEEEENSH_IJSG_SG_SG_EEES9_SI_JZNS1_25segmented_radix_sort_implINS0_14default_configELb1EPK6__halfPSP_PKlPlN2at6native12_GLOBAL__N_18offset_tEEE10hipError_tPvRmT1_PNSt15iterator_traitsIS13_E10value_typeET2_T3_PNS14_IS19_E10value_typeET4_jRbjT5_S1F_jjP12ihipStream_tbEUljE_ZNSN_ISO_Lb1ESR_SS_SU_SV_SZ_EES10_S11_S12_S13_S17_S18_S19_S1C_S1D_jS1E_jS1F_S1F_jjS1H_bEUljE0_EEES10_S11_S12_S19_S1D_S1F_T6_T7_T9_mT8_S1H_bDpT10_ENKUlT_T0_E_clISt17integral_constantIbLb1EES1V_EEDaS1Q_S1R_EUlS1Q_E_NS1_11comp_targetILNS1_3genE0ELNS1_11target_archE4294967295ELNS1_3gpuE0ELNS1_3repE0EEENS1_30default_config_static_selectorELNS0_4arch9wavefront6targetE1EEEvS13_,"axG",@progbits,_ZN7rocprim17ROCPRIM_400000_NS6detail17trampoline_kernelINS0_13select_configILj256ELj13ELNS0_17block_load_methodE3ELS4_3ELS4_3ELNS0_20block_scan_algorithmE0ELj4294967295EEENS1_25partition_config_selectorILNS1_17partition_subalgoE4EjNS0_10empty_typeEbEEZZNS1_14partition_implILS8_4ELb0ES6_15HIP_vector_typeIjLj2EENS0_17counting_iteratorIjlEEPS9_SG_NS0_5tupleIJPjSI_NS0_16reverse_iteratorISI_EEEEENSH_IJSG_SG_SG_EEES9_SI_JZNS1_25segmented_radix_sort_implINS0_14default_configELb1EPK6__halfPSP_PKlPlN2at6native12_GLOBAL__N_18offset_tEEE10hipError_tPvRmT1_PNSt15iterator_traitsIS13_E10value_typeET2_T3_PNS14_IS19_E10value_typeET4_jRbjT5_S1F_jjP12ihipStream_tbEUljE_ZNSN_ISO_Lb1ESR_SS_SU_SV_SZ_EES10_S11_S12_S13_S17_S18_S19_S1C_S1D_jS1E_jS1F_S1F_jjS1H_bEUljE0_EEES10_S11_S12_S19_S1D_S1F_T6_T7_T9_mT8_S1H_bDpT10_ENKUlT_T0_E_clISt17integral_constantIbLb1EES1V_EEDaS1Q_S1R_EUlS1Q_E_NS1_11comp_targetILNS1_3genE0ELNS1_11target_archE4294967295ELNS1_3gpuE0ELNS1_3repE0EEENS1_30default_config_static_selectorELNS0_4arch9wavefront6targetE1EEEvS13_,comdat
.Lfunc_end1681:
	.size	_ZN7rocprim17ROCPRIM_400000_NS6detail17trampoline_kernelINS0_13select_configILj256ELj13ELNS0_17block_load_methodE3ELS4_3ELS4_3ELNS0_20block_scan_algorithmE0ELj4294967295EEENS1_25partition_config_selectorILNS1_17partition_subalgoE4EjNS0_10empty_typeEbEEZZNS1_14partition_implILS8_4ELb0ES6_15HIP_vector_typeIjLj2EENS0_17counting_iteratorIjlEEPS9_SG_NS0_5tupleIJPjSI_NS0_16reverse_iteratorISI_EEEEENSH_IJSG_SG_SG_EEES9_SI_JZNS1_25segmented_radix_sort_implINS0_14default_configELb1EPK6__halfPSP_PKlPlN2at6native12_GLOBAL__N_18offset_tEEE10hipError_tPvRmT1_PNSt15iterator_traitsIS13_E10value_typeET2_T3_PNS14_IS19_E10value_typeET4_jRbjT5_S1F_jjP12ihipStream_tbEUljE_ZNSN_ISO_Lb1ESR_SS_SU_SV_SZ_EES10_S11_S12_S13_S17_S18_S19_S1C_S1D_jS1E_jS1F_S1F_jjS1H_bEUljE0_EEES10_S11_S12_S19_S1D_S1F_T6_T7_T9_mT8_S1H_bDpT10_ENKUlT_T0_E_clISt17integral_constantIbLb1EES1V_EEDaS1Q_S1R_EUlS1Q_E_NS1_11comp_targetILNS1_3genE0ELNS1_11target_archE4294967295ELNS1_3gpuE0ELNS1_3repE0EEENS1_30default_config_static_selectorELNS0_4arch9wavefront6targetE1EEEvS13_, .Lfunc_end1681-_ZN7rocprim17ROCPRIM_400000_NS6detail17trampoline_kernelINS0_13select_configILj256ELj13ELNS0_17block_load_methodE3ELS4_3ELS4_3ELNS0_20block_scan_algorithmE0ELj4294967295EEENS1_25partition_config_selectorILNS1_17partition_subalgoE4EjNS0_10empty_typeEbEEZZNS1_14partition_implILS8_4ELb0ES6_15HIP_vector_typeIjLj2EENS0_17counting_iteratorIjlEEPS9_SG_NS0_5tupleIJPjSI_NS0_16reverse_iteratorISI_EEEEENSH_IJSG_SG_SG_EEES9_SI_JZNS1_25segmented_radix_sort_implINS0_14default_configELb1EPK6__halfPSP_PKlPlN2at6native12_GLOBAL__N_18offset_tEEE10hipError_tPvRmT1_PNSt15iterator_traitsIS13_E10value_typeET2_T3_PNS14_IS19_E10value_typeET4_jRbjT5_S1F_jjP12ihipStream_tbEUljE_ZNSN_ISO_Lb1ESR_SS_SU_SV_SZ_EES10_S11_S12_S13_S17_S18_S19_S1C_S1D_jS1E_jS1F_S1F_jjS1H_bEUljE0_EEES10_S11_S12_S19_S1D_S1F_T6_T7_T9_mT8_S1H_bDpT10_ENKUlT_T0_E_clISt17integral_constantIbLb1EES1V_EEDaS1Q_S1R_EUlS1Q_E_NS1_11comp_targetILNS1_3genE0ELNS1_11target_archE4294967295ELNS1_3gpuE0ELNS1_3repE0EEENS1_30default_config_static_selectorELNS0_4arch9wavefront6targetE1EEEvS13_
                                        ; -- End function
	.section	.AMDGPU.csdata,"",@progbits
; Kernel info:
; codeLenInByte = 0
; NumSgprs: 4
; NumVgprs: 0
; NumAgprs: 0
; TotalNumVgprs: 0
; ScratchSize: 0
; MemoryBound: 0
; FloatMode: 240
; IeeeMode: 1
; LDSByteSize: 0 bytes/workgroup (compile time only)
; SGPRBlocks: 0
; VGPRBlocks: 0
; NumSGPRsForWavesPerEU: 4
; NumVGPRsForWavesPerEU: 1
; AccumOffset: 4
; Occupancy: 8
; WaveLimiterHint : 0
; COMPUTE_PGM_RSRC2:SCRATCH_EN: 0
; COMPUTE_PGM_RSRC2:USER_SGPR: 6
; COMPUTE_PGM_RSRC2:TRAP_HANDLER: 0
; COMPUTE_PGM_RSRC2:TGID_X_EN: 1
; COMPUTE_PGM_RSRC2:TGID_Y_EN: 0
; COMPUTE_PGM_RSRC2:TGID_Z_EN: 0
; COMPUTE_PGM_RSRC2:TIDIG_COMP_CNT: 0
; COMPUTE_PGM_RSRC3_GFX90A:ACCUM_OFFSET: 0
; COMPUTE_PGM_RSRC3_GFX90A:TG_SPLIT: 0
	.section	.text._ZN7rocprim17ROCPRIM_400000_NS6detail17trampoline_kernelINS0_13select_configILj256ELj13ELNS0_17block_load_methodE3ELS4_3ELS4_3ELNS0_20block_scan_algorithmE0ELj4294967295EEENS1_25partition_config_selectorILNS1_17partition_subalgoE4EjNS0_10empty_typeEbEEZZNS1_14partition_implILS8_4ELb0ES6_15HIP_vector_typeIjLj2EENS0_17counting_iteratorIjlEEPS9_SG_NS0_5tupleIJPjSI_NS0_16reverse_iteratorISI_EEEEENSH_IJSG_SG_SG_EEES9_SI_JZNS1_25segmented_radix_sort_implINS0_14default_configELb1EPK6__halfPSP_PKlPlN2at6native12_GLOBAL__N_18offset_tEEE10hipError_tPvRmT1_PNSt15iterator_traitsIS13_E10value_typeET2_T3_PNS14_IS19_E10value_typeET4_jRbjT5_S1F_jjP12ihipStream_tbEUljE_ZNSN_ISO_Lb1ESR_SS_SU_SV_SZ_EES10_S11_S12_S13_S17_S18_S19_S1C_S1D_jS1E_jS1F_S1F_jjS1H_bEUljE0_EEES10_S11_S12_S19_S1D_S1F_T6_T7_T9_mT8_S1H_bDpT10_ENKUlT_T0_E_clISt17integral_constantIbLb1EES1V_EEDaS1Q_S1R_EUlS1Q_E_NS1_11comp_targetILNS1_3genE5ELNS1_11target_archE942ELNS1_3gpuE9ELNS1_3repE0EEENS1_30default_config_static_selectorELNS0_4arch9wavefront6targetE1EEEvS13_,"axG",@progbits,_ZN7rocprim17ROCPRIM_400000_NS6detail17trampoline_kernelINS0_13select_configILj256ELj13ELNS0_17block_load_methodE3ELS4_3ELS4_3ELNS0_20block_scan_algorithmE0ELj4294967295EEENS1_25partition_config_selectorILNS1_17partition_subalgoE4EjNS0_10empty_typeEbEEZZNS1_14partition_implILS8_4ELb0ES6_15HIP_vector_typeIjLj2EENS0_17counting_iteratorIjlEEPS9_SG_NS0_5tupleIJPjSI_NS0_16reverse_iteratorISI_EEEEENSH_IJSG_SG_SG_EEES9_SI_JZNS1_25segmented_radix_sort_implINS0_14default_configELb1EPK6__halfPSP_PKlPlN2at6native12_GLOBAL__N_18offset_tEEE10hipError_tPvRmT1_PNSt15iterator_traitsIS13_E10value_typeET2_T3_PNS14_IS19_E10value_typeET4_jRbjT5_S1F_jjP12ihipStream_tbEUljE_ZNSN_ISO_Lb1ESR_SS_SU_SV_SZ_EES10_S11_S12_S13_S17_S18_S19_S1C_S1D_jS1E_jS1F_S1F_jjS1H_bEUljE0_EEES10_S11_S12_S19_S1D_S1F_T6_T7_T9_mT8_S1H_bDpT10_ENKUlT_T0_E_clISt17integral_constantIbLb1EES1V_EEDaS1Q_S1R_EUlS1Q_E_NS1_11comp_targetILNS1_3genE5ELNS1_11target_archE942ELNS1_3gpuE9ELNS1_3repE0EEENS1_30default_config_static_selectorELNS0_4arch9wavefront6targetE1EEEvS13_,comdat
	.globl	_ZN7rocprim17ROCPRIM_400000_NS6detail17trampoline_kernelINS0_13select_configILj256ELj13ELNS0_17block_load_methodE3ELS4_3ELS4_3ELNS0_20block_scan_algorithmE0ELj4294967295EEENS1_25partition_config_selectorILNS1_17partition_subalgoE4EjNS0_10empty_typeEbEEZZNS1_14partition_implILS8_4ELb0ES6_15HIP_vector_typeIjLj2EENS0_17counting_iteratorIjlEEPS9_SG_NS0_5tupleIJPjSI_NS0_16reverse_iteratorISI_EEEEENSH_IJSG_SG_SG_EEES9_SI_JZNS1_25segmented_radix_sort_implINS0_14default_configELb1EPK6__halfPSP_PKlPlN2at6native12_GLOBAL__N_18offset_tEEE10hipError_tPvRmT1_PNSt15iterator_traitsIS13_E10value_typeET2_T3_PNS14_IS19_E10value_typeET4_jRbjT5_S1F_jjP12ihipStream_tbEUljE_ZNSN_ISO_Lb1ESR_SS_SU_SV_SZ_EES10_S11_S12_S13_S17_S18_S19_S1C_S1D_jS1E_jS1F_S1F_jjS1H_bEUljE0_EEES10_S11_S12_S19_S1D_S1F_T6_T7_T9_mT8_S1H_bDpT10_ENKUlT_T0_E_clISt17integral_constantIbLb1EES1V_EEDaS1Q_S1R_EUlS1Q_E_NS1_11comp_targetILNS1_3genE5ELNS1_11target_archE942ELNS1_3gpuE9ELNS1_3repE0EEENS1_30default_config_static_selectorELNS0_4arch9wavefront6targetE1EEEvS13_ ; -- Begin function _ZN7rocprim17ROCPRIM_400000_NS6detail17trampoline_kernelINS0_13select_configILj256ELj13ELNS0_17block_load_methodE3ELS4_3ELS4_3ELNS0_20block_scan_algorithmE0ELj4294967295EEENS1_25partition_config_selectorILNS1_17partition_subalgoE4EjNS0_10empty_typeEbEEZZNS1_14partition_implILS8_4ELb0ES6_15HIP_vector_typeIjLj2EENS0_17counting_iteratorIjlEEPS9_SG_NS0_5tupleIJPjSI_NS0_16reverse_iteratorISI_EEEEENSH_IJSG_SG_SG_EEES9_SI_JZNS1_25segmented_radix_sort_implINS0_14default_configELb1EPK6__halfPSP_PKlPlN2at6native12_GLOBAL__N_18offset_tEEE10hipError_tPvRmT1_PNSt15iterator_traitsIS13_E10value_typeET2_T3_PNS14_IS19_E10value_typeET4_jRbjT5_S1F_jjP12ihipStream_tbEUljE_ZNSN_ISO_Lb1ESR_SS_SU_SV_SZ_EES10_S11_S12_S13_S17_S18_S19_S1C_S1D_jS1E_jS1F_S1F_jjS1H_bEUljE0_EEES10_S11_S12_S19_S1D_S1F_T6_T7_T9_mT8_S1H_bDpT10_ENKUlT_T0_E_clISt17integral_constantIbLb1EES1V_EEDaS1Q_S1R_EUlS1Q_E_NS1_11comp_targetILNS1_3genE5ELNS1_11target_archE942ELNS1_3gpuE9ELNS1_3repE0EEENS1_30default_config_static_selectorELNS0_4arch9wavefront6targetE1EEEvS13_
	.p2align	8
	.type	_ZN7rocprim17ROCPRIM_400000_NS6detail17trampoline_kernelINS0_13select_configILj256ELj13ELNS0_17block_load_methodE3ELS4_3ELS4_3ELNS0_20block_scan_algorithmE0ELj4294967295EEENS1_25partition_config_selectorILNS1_17partition_subalgoE4EjNS0_10empty_typeEbEEZZNS1_14partition_implILS8_4ELb0ES6_15HIP_vector_typeIjLj2EENS0_17counting_iteratorIjlEEPS9_SG_NS0_5tupleIJPjSI_NS0_16reverse_iteratorISI_EEEEENSH_IJSG_SG_SG_EEES9_SI_JZNS1_25segmented_radix_sort_implINS0_14default_configELb1EPK6__halfPSP_PKlPlN2at6native12_GLOBAL__N_18offset_tEEE10hipError_tPvRmT1_PNSt15iterator_traitsIS13_E10value_typeET2_T3_PNS14_IS19_E10value_typeET4_jRbjT5_S1F_jjP12ihipStream_tbEUljE_ZNSN_ISO_Lb1ESR_SS_SU_SV_SZ_EES10_S11_S12_S13_S17_S18_S19_S1C_S1D_jS1E_jS1F_S1F_jjS1H_bEUljE0_EEES10_S11_S12_S19_S1D_S1F_T6_T7_T9_mT8_S1H_bDpT10_ENKUlT_T0_E_clISt17integral_constantIbLb1EES1V_EEDaS1Q_S1R_EUlS1Q_E_NS1_11comp_targetILNS1_3genE5ELNS1_11target_archE942ELNS1_3gpuE9ELNS1_3repE0EEENS1_30default_config_static_selectorELNS0_4arch9wavefront6targetE1EEEvS13_,@function
_ZN7rocprim17ROCPRIM_400000_NS6detail17trampoline_kernelINS0_13select_configILj256ELj13ELNS0_17block_load_methodE3ELS4_3ELS4_3ELNS0_20block_scan_algorithmE0ELj4294967295EEENS1_25partition_config_selectorILNS1_17partition_subalgoE4EjNS0_10empty_typeEbEEZZNS1_14partition_implILS8_4ELb0ES6_15HIP_vector_typeIjLj2EENS0_17counting_iteratorIjlEEPS9_SG_NS0_5tupleIJPjSI_NS0_16reverse_iteratorISI_EEEEENSH_IJSG_SG_SG_EEES9_SI_JZNS1_25segmented_radix_sort_implINS0_14default_configELb1EPK6__halfPSP_PKlPlN2at6native12_GLOBAL__N_18offset_tEEE10hipError_tPvRmT1_PNSt15iterator_traitsIS13_E10value_typeET2_T3_PNS14_IS19_E10value_typeET4_jRbjT5_S1F_jjP12ihipStream_tbEUljE_ZNSN_ISO_Lb1ESR_SS_SU_SV_SZ_EES10_S11_S12_S13_S17_S18_S19_S1C_S1D_jS1E_jS1F_S1F_jjS1H_bEUljE0_EEES10_S11_S12_S19_S1D_S1F_T6_T7_T9_mT8_S1H_bDpT10_ENKUlT_T0_E_clISt17integral_constantIbLb1EES1V_EEDaS1Q_S1R_EUlS1Q_E_NS1_11comp_targetILNS1_3genE5ELNS1_11target_archE942ELNS1_3gpuE9ELNS1_3repE0EEENS1_30default_config_static_selectorELNS0_4arch9wavefront6targetE1EEEvS13_: ; @_ZN7rocprim17ROCPRIM_400000_NS6detail17trampoline_kernelINS0_13select_configILj256ELj13ELNS0_17block_load_methodE3ELS4_3ELS4_3ELNS0_20block_scan_algorithmE0ELj4294967295EEENS1_25partition_config_selectorILNS1_17partition_subalgoE4EjNS0_10empty_typeEbEEZZNS1_14partition_implILS8_4ELb0ES6_15HIP_vector_typeIjLj2EENS0_17counting_iteratorIjlEEPS9_SG_NS0_5tupleIJPjSI_NS0_16reverse_iteratorISI_EEEEENSH_IJSG_SG_SG_EEES9_SI_JZNS1_25segmented_radix_sort_implINS0_14default_configELb1EPK6__halfPSP_PKlPlN2at6native12_GLOBAL__N_18offset_tEEE10hipError_tPvRmT1_PNSt15iterator_traitsIS13_E10value_typeET2_T3_PNS14_IS19_E10value_typeET4_jRbjT5_S1F_jjP12ihipStream_tbEUljE_ZNSN_ISO_Lb1ESR_SS_SU_SV_SZ_EES10_S11_S12_S13_S17_S18_S19_S1C_S1D_jS1E_jS1F_S1F_jjS1H_bEUljE0_EEES10_S11_S12_S19_S1D_S1F_T6_T7_T9_mT8_S1H_bDpT10_ENKUlT_T0_E_clISt17integral_constantIbLb1EES1V_EEDaS1Q_S1R_EUlS1Q_E_NS1_11comp_targetILNS1_3genE5ELNS1_11target_archE942ELNS1_3gpuE9ELNS1_3repE0EEENS1_30default_config_static_selectorELNS0_4arch9wavefront6targetE1EEEvS13_
; %bb.0:
	.section	.rodata,"a",@progbits
	.p2align	6, 0x0
	.amdhsa_kernel _ZN7rocprim17ROCPRIM_400000_NS6detail17trampoline_kernelINS0_13select_configILj256ELj13ELNS0_17block_load_methodE3ELS4_3ELS4_3ELNS0_20block_scan_algorithmE0ELj4294967295EEENS1_25partition_config_selectorILNS1_17partition_subalgoE4EjNS0_10empty_typeEbEEZZNS1_14partition_implILS8_4ELb0ES6_15HIP_vector_typeIjLj2EENS0_17counting_iteratorIjlEEPS9_SG_NS0_5tupleIJPjSI_NS0_16reverse_iteratorISI_EEEEENSH_IJSG_SG_SG_EEES9_SI_JZNS1_25segmented_radix_sort_implINS0_14default_configELb1EPK6__halfPSP_PKlPlN2at6native12_GLOBAL__N_18offset_tEEE10hipError_tPvRmT1_PNSt15iterator_traitsIS13_E10value_typeET2_T3_PNS14_IS19_E10value_typeET4_jRbjT5_S1F_jjP12ihipStream_tbEUljE_ZNSN_ISO_Lb1ESR_SS_SU_SV_SZ_EES10_S11_S12_S13_S17_S18_S19_S1C_S1D_jS1E_jS1F_S1F_jjS1H_bEUljE0_EEES10_S11_S12_S19_S1D_S1F_T6_T7_T9_mT8_S1H_bDpT10_ENKUlT_T0_E_clISt17integral_constantIbLb1EES1V_EEDaS1Q_S1R_EUlS1Q_E_NS1_11comp_targetILNS1_3genE5ELNS1_11target_archE942ELNS1_3gpuE9ELNS1_3repE0EEENS1_30default_config_static_selectorELNS0_4arch9wavefront6targetE1EEEvS13_
		.amdhsa_group_segment_fixed_size 0
		.amdhsa_private_segment_fixed_size 0
		.amdhsa_kernarg_size 184
		.amdhsa_user_sgpr_count 6
		.amdhsa_user_sgpr_private_segment_buffer 1
		.amdhsa_user_sgpr_dispatch_ptr 0
		.amdhsa_user_sgpr_queue_ptr 0
		.amdhsa_user_sgpr_kernarg_segment_ptr 1
		.amdhsa_user_sgpr_dispatch_id 0
		.amdhsa_user_sgpr_flat_scratch_init 0
		.amdhsa_user_sgpr_kernarg_preload_length 0
		.amdhsa_user_sgpr_kernarg_preload_offset 0
		.amdhsa_user_sgpr_private_segment_size 0
		.amdhsa_uses_dynamic_stack 0
		.amdhsa_system_sgpr_private_segment_wavefront_offset 0
		.amdhsa_system_sgpr_workgroup_id_x 1
		.amdhsa_system_sgpr_workgroup_id_y 0
		.amdhsa_system_sgpr_workgroup_id_z 0
		.amdhsa_system_sgpr_workgroup_info 0
		.amdhsa_system_vgpr_workitem_id 0
		.amdhsa_next_free_vgpr 1
		.amdhsa_next_free_sgpr 0
		.amdhsa_accum_offset 4
		.amdhsa_reserve_vcc 0
		.amdhsa_reserve_flat_scratch 0
		.amdhsa_float_round_mode_32 0
		.amdhsa_float_round_mode_16_64 0
		.amdhsa_float_denorm_mode_32 3
		.amdhsa_float_denorm_mode_16_64 3
		.amdhsa_dx10_clamp 1
		.amdhsa_ieee_mode 1
		.amdhsa_fp16_overflow 0
		.amdhsa_tg_split 0
		.amdhsa_exception_fp_ieee_invalid_op 0
		.amdhsa_exception_fp_denorm_src 0
		.amdhsa_exception_fp_ieee_div_zero 0
		.amdhsa_exception_fp_ieee_overflow 0
		.amdhsa_exception_fp_ieee_underflow 0
		.amdhsa_exception_fp_ieee_inexact 0
		.amdhsa_exception_int_div_zero 0
	.end_amdhsa_kernel
	.section	.text._ZN7rocprim17ROCPRIM_400000_NS6detail17trampoline_kernelINS0_13select_configILj256ELj13ELNS0_17block_load_methodE3ELS4_3ELS4_3ELNS0_20block_scan_algorithmE0ELj4294967295EEENS1_25partition_config_selectorILNS1_17partition_subalgoE4EjNS0_10empty_typeEbEEZZNS1_14partition_implILS8_4ELb0ES6_15HIP_vector_typeIjLj2EENS0_17counting_iteratorIjlEEPS9_SG_NS0_5tupleIJPjSI_NS0_16reverse_iteratorISI_EEEEENSH_IJSG_SG_SG_EEES9_SI_JZNS1_25segmented_radix_sort_implINS0_14default_configELb1EPK6__halfPSP_PKlPlN2at6native12_GLOBAL__N_18offset_tEEE10hipError_tPvRmT1_PNSt15iterator_traitsIS13_E10value_typeET2_T3_PNS14_IS19_E10value_typeET4_jRbjT5_S1F_jjP12ihipStream_tbEUljE_ZNSN_ISO_Lb1ESR_SS_SU_SV_SZ_EES10_S11_S12_S13_S17_S18_S19_S1C_S1D_jS1E_jS1F_S1F_jjS1H_bEUljE0_EEES10_S11_S12_S19_S1D_S1F_T6_T7_T9_mT8_S1H_bDpT10_ENKUlT_T0_E_clISt17integral_constantIbLb1EES1V_EEDaS1Q_S1R_EUlS1Q_E_NS1_11comp_targetILNS1_3genE5ELNS1_11target_archE942ELNS1_3gpuE9ELNS1_3repE0EEENS1_30default_config_static_selectorELNS0_4arch9wavefront6targetE1EEEvS13_,"axG",@progbits,_ZN7rocprim17ROCPRIM_400000_NS6detail17trampoline_kernelINS0_13select_configILj256ELj13ELNS0_17block_load_methodE3ELS4_3ELS4_3ELNS0_20block_scan_algorithmE0ELj4294967295EEENS1_25partition_config_selectorILNS1_17partition_subalgoE4EjNS0_10empty_typeEbEEZZNS1_14partition_implILS8_4ELb0ES6_15HIP_vector_typeIjLj2EENS0_17counting_iteratorIjlEEPS9_SG_NS0_5tupleIJPjSI_NS0_16reverse_iteratorISI_EEEEENSH_IJSG_SG_SG_EEES9_SI_JZNS1_25segmented_radix_sort_implINS0_14default_configELb1EPK6__halfPSP_PKlPlN2at6native12_GLOBAL__N_18offset_tEEE10hipError_tPvRmT1_PNSt15iterator_traitsIS13_E10value_typeET2_T3_PNS14_IS19_E10value_typeET4_jRbjT5_S1F_jjP12ihipStream_tbEUljE_ZNSN_ISO_Lb1ESR_SS_SU_SV_SZ_EES10_S11_S12_S13_S17_S18_S19_S1C_S1D_jS1E_jS1F_S1F_jjS1H_bEUljE0_EEES10_S11_S12_S19_S1D_S1F_T6_T7_T9_mT8_S1H_bDpT10_ENKUlT_T0_E_clISt17integral_constantIbLb1EES1V_EEDaS1Q_S1R_EUlS1Q_E_NS1_11comp_targetILNS1_3genE5ELNS1_11target_archE942ELNS1_3gpuE9ELNS1_3repE0EEENS1_30default_config_static_selectorELNS0_4arch9wavefront6targetE1EEEvS13_,comdat
.Lfunc_end1682:
	.size	_ZN7rocprim17ROCPRIM_400000_NS6detail17trampoline_kernelINS0_13select_configILj256ELj13ELNS0_17block_load_methodE3ELS4_3ELS4_3ELNS0_20block_scan_algorithmE0ELj4294967295EEENS1_25partition_config_selectorILNS1_17partition_subalgoE4EjNS0_10empty_typeEbEEZZNS1_14partition_implILS8_4ELb0ES6_15HIP_vector_typeIjLj2EENS0_17counting_iteratorIjlEEPS9_SG_NS0_5tupleIJPjSI_NS0_16reverse_iteratorISI_EEEEENSH_IJSG_SG_SG_EEES9_SI_JZNS1_25segmented_radix_sort_implINS0_14default_configELb1EPK6__halfPSP_PKlPlN2at6native12_GLOBAL__N_18offset_tEEE10hipError_tPvRmT1_PNSt15iterator_traitsIS13_E10value_typeET2_T3_PNS14_IS19_E10value_typeET4_jRbjT5_S1F_jjP12ihipStream_tbEUljE_ZNSN_ISO_Lb1ESR_SS_SU_SV_SZ_EES10_S11_S12_S13_S17_S18_S19_S1C_S1D_jS1E_jS1F_S1F_jjS1H_bEUljE0_EEES10_S11_S12_S19_S1D_S1F_T6_T7_T9_mT8_S1H_bDpT10_ENKUlT_T0_E_clISt17integral_constantIbLb1EES1V_EEDaS1Q_S1R_EUlS1Q_E_NS1_11comp_targetILNS1_3genE5ELNS1_11target_archE942ELNS1_3gpuE9ELNS1_3repE0EEENS1_30default_config_static_selectorELNS0_4arch9wavefront6targetE1EEEvS13_, .Lfunc_end1682-_ZN7rocprim17ROCPRIM_400000_NS6detail17trampoline_kernelINS0_13select_configILj256ELj13ELNS0_17block_load_methodE3ELS4_3ELS4_3ELNS0_20block_scan_algorithmE0ELj4294967295EEENS1_25partition_config_selectorILNS1_17partition_subalgoE4EjNS0_10empty_typeEbEEZZNS1_14partition_implILS8_4ELb0ES6_15HIP_vector_typeIjLj2EENS0_17counting_iteratorIjlEEPS9_SG_NS0_5tupleIJPjSI_NS0_16reverse_iteratorISI_EEEEENSH_IJSG_SG_SG_EEES9_SI_JZNS1_25segmented_radix_sort_implINS0_14default_configELb1EPK6__halfPSP_PKlPlN2at6native12_GLOBAL__N_18offset_tEEE10hipError_tPvRmT1_PNSt15iterator_traitsIS13_E10value_typeET2_T3_PNS14_IS19_E10value_typeET4_jRbjT5_S1F_jjP12ihipStream_tbEUljE_ZNSN_ISO_Lb1ESR_SS_SU_SV_SZ_EES10_S11_S12_S13_S17_S18_S19_S1C_S1D_jS1E_jS1F_S1F_jjS1H_bEUljE0_EEES10_S11_S12_S19_S1D_S1F_T6_T7_T9_mT8_S1H_bDpT10_ENKUlT_T0_E_clISt17integral_constantIbLb1EES1V_EEDaS1Q_S1R_EUlS1Q_E_NS1_11comp_targetILNS1_3genE5ELNS1_11target_archE942ELNS1_3gpuE9ELNS1_3repE0EEENS1_30default_config_static_selectorELNS0_4arch9wavefront6targetE1EEEvS13_
                                        ; -- End function
	.section	.AMDGPU.csdata,"",@progbits
; Kernel info:
; codeLenInByte = 0
; NumSgprs: 4
; NumVgprs: 0
; NumAgprs: 0
; TotalNumVgprs: 0
; ScratchSize: 0
; MemoryBound: 0
; FloatMode: 240
; IeeeMode: 1
; LDSByteSize: 0 bytes/workgroup (compile time only)
; SGPRBlocks: 0
; VGPRBlocks: 0
; NumSGPRsForWavesPerEU: 4
; NumVGPRsForWavesPerEU: 1
; AccumOffset: 4
; Occupancy: 8
; WaveLimiterHint : 0
; COMPUTE_PGM_RSRC2:SCRATCH_EN: 0
; COMPUTE_PGM_RSRC2:USER_SGPR: 6
; COMPUTE_PGM_RSRC2:TRAP_HANDLER: 0
; COMPUTE_PGM_RSRC2:TGID_X_EN: 1
; COMPUTE_PGM_RSRC2:TGID_Y_EN: 0
; COMPUTE_PGM_RSRC2:TGID_Z_EN: 0
; COMPUTE_PGM_RSRC2:TIDIG_COMP_CNT: 0
; COMPUTE_PGM_RSRC3_GFX90A:ACCUM_OFFSET: 0
; COMPUTE_PGM_RSRC3_GFX90A:TG_SPLIT: 0
	.section	.text._ZN7rocprim17ROCPRIM_400000_NS6detail17trampoline_kernelINS0_13select_configILj256ELj13ELNS0_17block_load_methodE3ELS4_3ELS4_3ELNS0_20block_scan_algorithmE0ELj4294967295EEENS1_25partition_config_selectorILNS1_17partition_subalgoE4EjNS0_10empty_typeEbEEZZNS1_14partition_implILS8_4ELb0ES6_15HIP_vector_typeIjLj2EENS0_17counting_iteratorIjlEEPS9_SG_NS0_5tupleIJPjSI_NS0_16reverse_iteratorISI_EEEEENSH_IJSG_SG_SG_EEES9_SI_JZNS1_25segmented_radix_sort_implINS0_14default_configELb1EPK6__halfPSP_PKlPlN2at6native12_GLOBAL__N_18offset_tEEE10hipError_tPvRmT1_PNSt15iterator_traitsIS13_E10value_typeET2_T3_PNS14_IS19_E10value_typeET4_jRbjT5_S1F_jjP12ihipStream_tbEUljE_ZNSN_ISO_Lb1ESR_SS_SU_SV_SZ_EES10_S11_S12_S13_S17_S18_S19_S1C_S1D_jS1E_jS1F_S1F_jjS1H_bEUljE0_EEES10_S11_S12_S19_S1D_S1F_T6_T7_T9_mT8_S1H_bDpT10_ENKUlT_T0_E_clISt17integral_constantIbLb1EES1V_EEDaS1Q_S1R_EUlS1Q_E_NS1_11comp_targetILNS1_3genE4ELNS1_11target_archE910ELNS1_3gpuE8ELNS1_3repE0EEENS1_30default_config_static_selectorELNS0_4arch9wavefront6targetE1EEEvS13_,"axG",@progbits,_ZN7rocprim17ROCPRIM_400000_NS6detail17trampoline_kernelINS0_13select_configILj256ELj13ELNS0_17block_load_methodE3ELS4_3ELS4_3ELNS0_20block_scan_algorithmE0ELj4294967295EEENS1_25partition_config_selectorILNS1_17partition_subalgoE4EjNS0_10empty_typeEbEEZZNS1_14partition_implILS8_4ELb0ES6_15HIP_vector_typeIjLj2EENS0_17counting_iteratorIjlEEPS9_SG_NS0_5tupleIJPjSI_NS0_16reverse_iteratorISI_EEEEENSH_IJSG_SG_SG_EEES9_SI_JZNS1_25segmented_radix_sort_implINS0_14default_configELb1EPK6__halfPSP_PKlPlN2at6native12_GLOBAL__N_18offset_tEEE10hipError_tPvRmT1_PNSt15iterator_traitsIS13_E10value_typeET2_T3_PNS14_IS19_E10value_typeET4_jRbjT5_S1F_jjP12ihipStream_tbEUljE_ZNSN_ISO_Lb1ESR_SS_SU_SV_SZ_EES10_S11_S12_S13_S17_S18_S19_S1C_S1D_jS1E_jS1F_S1F_jjS1H_bEUljE0_EEES10_S11_S12_S19_S1D_S1F_T6_T7_T9_mT8_S1H_bDpT10_ENKUlT_T0_E_clISt17integral_constantIbLb1EES1V_EEDaS1Q_S1R_EUlS1Q_E_NS1_11comp_targetILNS1_3genE4ELNS1_11target_archE910ELNS1_3gpuE8ELNS1_3repE0EEENS1_30default_config_static_selectorELNS0_4arch9wavefront6targetE1EEEvS13_,comdat
	.globl	_ZN7rocprim17ROCPRIM_400000_NS6detail17trampoline_kernelINS0_13select_configILj256ELj13ELNS0_17block_load_methodE3ELS4_3ELS4_3ELNS0_20block_scan_algorithmE0ELj4294967295EEENS1_25partition_config_selectorILNS1_17partition_subalgoE4EjNS0_10empty_typeEbEEZZNS1_14partition_implILS8_4ELb0ES6_15HIP_vector_typeIjLj2EENS0_17counting_iteratorIjlEEPS9_SG_NS0_5tupleIJPjSI_NS0_16reverse_iteratorISI_EEEEENSH_IJSG_SG_SG_EEES9_SI_JZNS1_25segmented_radix_sort_implINS0_14default_configELb1EPK6__halfPSP_PKlPlN2at6native12_GLOBAL__N_18offset_tEEE10hipError_tPvRmT1_PNSt15iterator_traitsIS13_E10value_typeET2_T3_PNS14_IS19_E10value_typeET4_jRbjT5_S1F_jjP12ihipStream_tbEUljE_ZNSN_ISO_Lb1ESR_SS_SU_SV_SZ_EES10_S11_S12_S13_S17_S18_S19_S1C_S1D_jS1E_jS1F_S1F_jjS1H_bEUljE0_EEES10_S11_S12_S19_S1D_S1F_T6_T7_T9_mT8_S1H_bDpT10_ENKUlT_T0_E_clISt17integral_constantIbLb1EES1V_EEDaS1Q_S1R_EUlS1Q_E_NS1_11comp_targetILNS1_3genE4ELNS1_11target_archE910ELNS1_3gpuE8ELNS1_3repE0EEENS1_30default_config_static_selectorELNS0_4arch9wavefront6targetE1EEEvS13_ ; -- Begin function _ZN7rocprim17ROCPRIM_400000_NS6detail17trampoline_kernelINS0_13select_configILj256ELj13ELNS0_17block_load_methodE3ELS4_3ELS4_3ELNS0_20block_scan_algorithmE0ELj4294967295EEENS1_25partition_config_selectorILNS1_17partition_subalgoE4EjNS0_10empty_typeEbEEZZNS1_14partition_implILS8_4ELb0ES6_15HIP_vector_typeIjLj2EENS0_17counting_iteratorIjlEEPS9_SG_NS0_5tupleIJPjSI_NS0_16reverse_iteratorISI_EEEEENSH_IJSG_SG_SG_EEES9_SI_JZNS1_25segmented_radix_sort_implINS0_14default_configELb1EPK6__halfPSP_PKlPlN2at6native12_GLOBAL__N_18offset_tEEE10hipError_tPvRmT1_PNSt15iterator_traitsIS13_E10value_typeET2_T3_PNS14_IS19_E10value_typeET4_jRbjT5_S1F_jjP12ihipStream_tbEUljE_ZNSN_ISO_Lb1ESR_SS_SU_SV_SZ_EES10_S11_S12_S13_S17_S18_S19_S1C_S1D_jS1E_jS1F_S1F_jjS1H_bEUljE0_EEES10_S11_S12_S19_S1D_S1F_T6_T7_T9_mT8_S1H_bDpT10_ENKUlT_T0_E_clISt17integral_constantIbLb1EES1V_EEDaS1Q_S1R_EUlS1Q_E_NS1_11comp_targetILNS1_3genE4ELNS1_11target_archE910ELNS1_3gpuE8ELNS1_3repE0EEENS1_30default_config_static_selectorELNS0_4arch9wavefront6targetE1EEEvS13_
	.p2align	8
	.type	_ZN7rocprim17ROCPRIM_400000_NS6detail17trampoline_kernelINS0_13select_configILj256ELj13ELNS0_17block_load_methodE3ELS4_3ELS4_3ELNS0_20block_scan_algorithmE0ELj4294967295EEENS1_25partition_config_selectorILNS1_17partition_subalgoE4EjNS0_10empty_typeEbEEZZNS1_14partition_implILS8_4ELb0ES6_15HIP_vector_typeIjLj2EENS0_17counting_iteratorIjlEEPS9_SG_NS0_5tupleIJPjSI_NS0_16reverse_iteratorISI_EEEEENSH_IJSG_SG_SG_EEES9_SI_JZNS1_25segmented_radix_sort_implINS0_14default_configELb1EPK6__halfPSP_PKlPlN2at6native12_GLOBAL__N_18offset_tEEE10hipError_tPvRmT1_PNSt15iterator_traitsIS13_E10value_typeET2_T3_PNS14_IS19_E10value_typeET4_jRbjT5_S1F_jjP12ihipStream_tbEUljE_ZNSN_ISO_Lb1ESR_SS_SU_SV_SZ_EES10_S11_S12_S13_S17_S18_S19_S1C_S1D_jS1E_jS1F_S1F_jjS1H_bEUljE0_EEES10_S11_S12_S19_S1D_S1F_T6_T7_T9_mT8_S1H_bDpT10_ENKUlT_T0_E_clISt17integral_constantIbLb1EES1V_EEDaS1Q_S1R_EUlS1Q_E_NS1_11comp_targetILNS1_3genE4ELNS1_11target_archE910ELNS1_3gpuE8ELNS1_3repE0EEENS1_30default_config_static_selectorELNS0_4arch9wavefront6targetE1EEEvS13_,@function
_ZN7rocprim17ROCPRIM_400000_NS6detail17trampoline_kernelINS0_13select_configILj256ELj13ELNS0_17block_load_methodE3ELS4_3ELS4_3ELNS0_20block_scan_algorithmE0ELj4294967295EEENS1_25partition_config_selectorILNS1_17partition_subalgoE4EjNS0_10empty_typeEbEEZZNS1_14partition_implILS8_4ELb0ES6_15HIP_vector_typeIjLj2EENS0_17counting_iteratorIjlEEPS9_SG_NS0_5tupleIJPjSI_NS0_16reverse_iteratorISI_EEEEENSH_IJSG_SG_SG_EEES9_SI_JZNS1_25segmented_radix_sort_implINS0_14default_configELb1EPK6__halfPSP_PKlPlN2at6native12_GLOBAL__N_18offset_tEEE10hipError_tPvRmT1_PNSt15iterator_traitsIS13_E10value_typeET2_T3_PNS14_IS19_E10value_typeET4_jRbjT5_S1F_jjP12ihipStream_tbEUljE_ZNSN_ISO_Lb1ESR_SS_SU_SV_SZ_EES10_S11_S12_S13_S17_S18_S19_S1C_S1D_jS1E_jS1F_S1F_jjS1H_bEUljE0_EEES10_S11_S12_S19_S1D_S1F_T6_T7_T9_mT8_S1H_bDpT10_ENKUlT_T0_E_clISt17integral_constantIbLb1EES1V_EEDaS1Q_S1R_EUlS1Q_E_NS1_11comp_targetILNS1_3genE4ELNS1_11target_archE910ELNS1_3gpuE8ELNS1_3repE0EEENS1_30default_config_static_selectorELNS0_4arch9wavefront6targetE1EEEvS13_: ; @_ZN7rocprim17ROCPRIM_400000_NS6detail17trampoline_kernelINS0_13select_configILj256ELj13ELNS0_17block_load_methodE3ELS4_3ELS4_3ELNS0_20block_scan_algorithmE0ELj4294967295EEENS1_25partition_config_selectorILNS1_17partition_subalgoE4EjNS0_10empty_typeEbEEZZNS1_14partition_implILS8_4ELb0ES6_15HIP_vector_typeIjLj2EENS0_17counting_iteratorIjlEEPS9_SG_NS0_5tupleIJPjSI_NS0_16reverse_iteratorISI_EEEEENSH_IJSG_SG_SG_EEES9_SI_JZNS1_25segmented_radix_sort_implINS0_14default_configELb1EPK6__halfPSP_PKlPlN2at6native12_GLOBAL__N_18offset_tEEE10hipError_tPvRmT1_PNSt15iterator_traitsIS13_E10value_typeET2_T3_PNS14_IS19_E10value_typeET4_jRbjT5_S1F_jjP12ihipStream_tbEUljE_ZNSN_ISO_Lb1ESR_SS_SU_SV_SZ_EES10_S11_S12_S13_S17_S18_S19_S1C_S1D_jS1E_jS1F_S1F_jjS1H_bEUljE0_EEES10_S11_S12_S19_S1D_S1F_T6_T7_T9_mT8_S1H_bDpT10_ENKUlT_T0_E_clISt17integral_constantIbLb1EES1V_EEDaS1Q_S1R_EUlS1Q_E_NS1_11comp_targetILNS1_3genE4ELNS1_11target_archE910ELNS1_3gpuE8ELNS1_3repE0EEENS1_30default_config_static_selectorELNS0_4arch9wavefront6targetE1EEEvS13_
; %bb.0:
	s_load_dwordx2 s[48:49], s[4:5], 0x10
	s_load_dwordx4 s[44:47], s[4:5], 0x28
	s_load_dwordx2 s[34:35], s[4:5], 0x38
	s_load_dwordx4 s[28:31], s[4:5], 0x58
	s_load_dwordx2 s[2:3], s[4:5], 0x68
	s_load_dwordx2 s[50:51], s[4:5], 0x78
	;; [unrolled: 1-line block ×3, first 2 shown]
	s_load_dwordx8 s[36:43], s[4:5], 0x90
	v_cmp_eq_u32_e64 s[0:1], 0, v0
	s_and_saveexec_b64 s[6:7], s[0:1]
	s_cbranch_execz .LBB1683_4
; %bb.1:
	s_mov_b64 s[10:11], exec
	v_mbcnt_lo_u32_b32 v1, s10, 0
	v_mbcnt_hi_u32_b32 v1, s11, v1
	v_cmp_eq_u32_e32 vcc, 0, v1
                                        ; implicit-def: $vgpr2
	s_and_saveexec_b64 s[8:9], vcc
	s_cbranch_execz .LBB1683_3
; %bb.2:
	s_load_dwordx2 s[12:13], s[4:5], 0x88
	s_bcnt1_i32_b64 s10, s[10:11]
	v_mov_b32_e32 v2, 0
	v_mov_b32_e32 v3, s10
	s_waitcnt lgkmcnt(0)
	global_atomic_add v2, v2, v3, s[12:13] glc
.LBB1683_3:
	s_or_b64 exec, exec, s[8:9]
	s_waitcnt vmcnt(0)
	v_readfirstlane_b32 s8, v2
	v_add_u32_e32 v1, s8, v1
	v_mov_b32_e32 v2, 0
	ds_write_b32 v2, v1
.LBB1683_4:
	s_or_b64 exec, exec, s[6:7]
	v_mov_b32_e32 v1, 0
	s_load_dword s7, s[4:5], 0x8
	s_load_dword s6, s[4:5], 0x80
	s_waitcnt lgkmcnt(0)
	s_barrier
	ds_read_b32 v8, v1
	s_waitcnt lgkmcnt(0)
	s_barrier
	global_load_dwordx4 v[2:5], v1, s[30:31]
	v_mov_b32_e32 v7, s3
	s_movk_i32 s3, 0xd00
	s_add_i32 s8, s7, s48
	v_mul_lo_u32 v34, v8, s3
	s_add_i32 s7, s6, -1
	s_mul_i32 s3, s6, 0xd00
	s_add_u32 s4, s48, s3
	v_readfirstlane_b32 s33, v8
	s_addc_u32 s5, s49, 0
	s_cmp_eq_u32 s33, s7
	v_mov_b32_e32 v6, s2
	s_cselect_b64 s[30:31], -1, 0
	s_cmp_lg_u32 s33, s7
	v_cmp_lt_u64_e32 vcc, s[4:5], v[6:7]
	s_cselect_b64 s[4:5], -1, 0
	s_or_b64 s[4:5], vcc, s[4:5]
	v_add_u32_e32 v1, s8, v34
	s_mov_b64 s[6:7], -1
	s_and_b64 vcc, exec, s[4:5]
	v_add_u32_e32 v1, v1, v0
	s_cbranch_vccz .LBB1683_6
; %bb.5:
	v_add_u32_e32 v6, 0x100, v1
	v_lshlrev_b32_e32 v18, 2, v0
	v_add_u32_e32 v7, 0x200, v1
	v_add_u32_e32 v8, 0x300, v1
	;; [unrolled: 1-line block ×11, first 2 shown]
	ds_write2st64_b32 v18, v1, v6 offset1:4
	ds_write2st64_b32 v18, v7, v8 offset0:8 offset1:12
	ds_write2st64_b32 v18, v9, v10 offset0:16 offset1:20
	;; [unrolled: 1-line block ×5, first 2 shown]
	ds_write_b32 v18, v17 offset:12288
	s_waitcnt lgkmcnt(0)
	s_barrier
	s_mov_b64 s[6:7], 0
.LBB1683_6:
	s_andn2_b64 vcc, exec, s[6:7]
	s_add_i32 s3, s3, s48
	s_cbranch_vccnz .LBB1683_8
; %bb.7:
	v_add_u32_e32 v6, 0x100, v1
	v_lshlrev_b32_e32 v18, 2, v0
	v_add_u32_e32 v7, 0x200, v1
	v_add_u32_e32 v8, 0x300, v1
	;; [unrolled: 1-line block ×11, first 2 shown]
	ds_write2st64_b32 v18, v1, v6 offset1:4
	ds_write2st64_b32 v18, v7, v8 offset0:8 offset1:12
	ds_write2st64_b32 v18, v9, v10 offset0:16 offset1:20
	;; [unrolled: 1-line block ×5, first 2 shown]
	ds_write_b32 v18, v17 offset:12288
	s_waitcnt lgkmcnt(0)
	s_barrier
.LBB1683_8:
	v_mul_u32_u24_e32 v36, 13, v0
	v_lshlrev_b32_e32 v1, 2, v36
	ds_read2_b32 v[22:23], v1 offset1:1
	ds_read2_b32 v[20:21], v1 offset0:2 offset1:3
	ds_read2_b32 v[18:19], v1 offset0:4 offset1:5
	;; [unrolled: 1-line block ×5, first 2 shown]
	ds_read_b32 v35, v1 offset:48
	v_cndmask_b32_e64 v1, 0, 1, s[4:5]
	s_sub_i32 s86, s2, s3
	v_cmp_ne_u32_e64 s[2:3], 1, v1
	s_andn2_b64 vcc, exec, s[4:5]
	s_waitcnt lgkmcnt(0)
	s_barrier
	s_cbranch_vccnz .LBB1683_36
; %bb.9:
	v_add_u32_e32 v1, s37, v22
	v_add_u32_e32 v6, s39, v22
	v_mul_lo_u32 v1, v1, s36
	v_mul_lo_u32 v6, v6, s38
	v_sub_u32_e32 v1, v1, v6
	v_cmp_lt_u32_e32 vcc, s40, v1
	v_cmp_ge_u32_e64 s[4:5], s40, v1
	s_mov_b64 s[60:61], 0
	s_mov_b64 s[58:59], 0
	s_and_saveexec_b64 s[6:7], s[4:5]
; %bb.10:
	v_add_u32_e32 v1, s42, v22
	v_add_u32_e32 v6, s56, v22
	v_mul_lo_u32 v1, v1, s41
	v_mul_lo_u32 v6, v6, s43
	v_sub_u32_e32 v1, v1, v6
	v_cmp_lt_u32_e64 s[4:5], s57, v1
	s_and_b64 s[58:59], s[4:5], exec
; %bb.11:
	s_or_b64 exec, exec, s[6:7]
	v_add_u32_e32 v1, s37, v23
	v_add_u32_e32 v6, s39, v23
	v_mul_lo_u32 v1, v1, s36
	v_mul_lo_u32 v6, v6, s38
	v_sub_u32_e32 v1, v1, v6
	v_cmp_lt_u32_e64 s[4:5], s40, v1
	v_cmp_ge_u32_e64 s[6:7], s40, v1
	s_and_saveexec_b64 s[8:9], s[6:7]
; %bb.12:
	v_add_u32_e32 v1, s42, v23
	v_add_u32_e32 v6, s56, v23
	v_mul_lo_u32 v1, v1, s41
	v_mul_lo_u32 v6, v6, s43
	v_sub_u32_e32 v1, v1, v6
	v_cmp_lt_u32_e64 s[6:7], s57, v1
	s_and_b64 s[60:61], s[6:7], exec
; %bb.13:
	s_or_b64 exec, exec, s[8:9]
	v_add_u32_e32 v1, s37, v20
	v_add_u32_e32 v6, s39, v20
	v_mul_lo_u32 v1, v1, s36
	v_mul_lo_u32 v6, v6, s38
	v_sub_u32_e32 v1, v1, v6
	v_cmp_lt_u32_e64 s[6:7], s40, v1
	v_cmp_ge_u32_e64 s[8:9], s40, v1
	s_mov_b64 s[64:65], 0
	s_mov_b64 s[62:63], 0
	s_and_saveexec_b64 s[10:11], s[8:9]
; %bb.14:
	v_add_u32_e32 v1, s42, v20
	v_add_u32_e32 v6, s56, v20
	v_mul_lo_u32 v1, v1, s41
	v_mul_lo_u32 v6, v6, s43
	v_sub_u32_e32 v1, v1, v6
	v_cmp_lt_u32_e64 s[8:9], s57, v1
	s_and_b64 s[62:63], s[8:9], exec
; %bb.15:
	s_or_b64 exec, exec, s[10:11]
	v_add_u32_e32 v1, s37, v21
	v_add_u32_e32 v6, s39, v21
	v_mul_lo_u32 v1, v1, s36
	v_mul_lo_u32 v6, v6, s38
	v_sub_u32_e32 v1, v1, v6
	v_cmp_lt_u32_e64 s[8:9], s40, v1
	v_cmp_ge_u32_e64 s[10:11], s40, v1
	s_and_saveexec_b64 s[12:13], s[10:11]
; %bb.16:
	v_add_u32_e32 v1, s42, v21
	v_add_u32_e32 v6, s56, v21
	v_mul_lo_u32 v1, v1, s41
	v_mul_lo_u32 v6, v6, s43
	v_sub_u32_e32 v1, v1, v6
	v_cmp_lt_u32_e64 s[10:11], s57, v1
	s_and_b64 s[64:65], s[10:11], exec
; %bb.17:
	s_or_b64 exec, exec, s[12:13]
	v_add_u32_e32 v1, s37, v18
	v_add_u32_e32 v6, s39, v18
	v_mul_lo_u32 v1, v1, s36
	v_mul_lo_u32 v6, v6, s38
	v_sub_u32_e32 v1, v1, v6
	v_cmp_lt_u32_e64 s[10:11], s40, v1
	;; [unrolled: 38-line block ×5, first 2 shown]
	v_cmp_ge_u32_e64 s[24:25], s40, v1
	s_mov_b64 s[80:81], 0
	s_mov_b64 s[82:83], 0
	s_and_saveexec_b64 s[26:27], s[24:25]
; %bb.30:
	v_add_u32_e32 v1, s42, v12
	v_add_u32_e32 v6, s56, v12
	v_mul_lo_u32 v1, v1, s41
	v_mul_lo_u32 v6, v6, s43
	v_sub_u32_e32 v1, v1, v6
	v_cmp_lt_u32_e64 s[24:25], s57, v1
	s_and_b64 s[82:83], s[24:25], exec
; %bb.31:
	s_or_b64 exec, exec, s[26:27]
	v_add_u32_e32 v1, s37, v13
	v_add_u32_e32 v6, s39, v13
	v_mul_lo_u32 v1, v1, s36
	v_mul_lo_u32 v6, v6, s38
	v_sub_u32_e32 v1, v1, v6
	v_cmp_lt_u32_e64 s[24:25], s40, v1
	v_cmp_ge_u32_e64 s[26:27], s40, v1
	s_and_saveexec_b64 s[52:53], s[26:27]
; %bb.32:
	v_add_u32_e32 v1, s42, v13
	v_add_u32_e32 v6, s56, v13
	v_mul_lo_u32 v1, v1, s41
	v_mul_lo_u32 v6, v6, s43
	v_sub_u32_e32 v1, v1, v6
	v_cmp_lt_u32_e64 s[26:27], s57, v1
	s_and_b64 s[80:81], s[26:27], exec
; %bb.33:
	s_or_b64 exec, exec, s[52:53]
	v_add_u32_e32 v1, s37, v35
	v_add_u32_e32 v6, s39, v35
	v_mul_lo_u32 v1, v1, s36
	v_mul_lo_u32 v6, v6, s38
	v_sub_u32_e32 v1, v1, v6
	v_cmp_ge_u32_e64 s[26:27], s40, v1
	s_mov_b64 s[52:53], -1
	s_mov_b64 s[74:75], 0
	s_mov_b64 s[54:55], 0
	s_and_saveexec_b64 s[84:85], s[26:27]
; %bb.34:
	v_add_u32_e32 v1, s42, v35
	v_add_u32_e32 v6, s56, v35
	v_mul_lo_u32 v1, v1, s41
	v_mul_lo_u32 v6, v6, s43
	v_sub_u32_e32 v1, v1, v6
	v_cmp_lt_u32_e64 s[26:27], s57, v1
	s_and_b64 s[54:55], s[26:27], exec
	s_xor_b64 s[52:53], exec, -1
; %bb.35:
	s_or_b64 exec, exec, s[84:85]
	v_cndmask_b32_e64 v57, 0, 1, s[82:83]
	v_cndmask_b32_e64 v60, 0, 1, s[24:25]
	;; [unrolled: 1-line block ×22, first 2 shown]
	v_cndmask_b32_e64 v37, 0, 1, vcc
	v_cndmask_b32_e64 v59, 0, 1, s[80:81]
	s_add_i32 s16, s86, 0xd00
	s_and_b64 vcc, exec, s[74:75]
	s_cbranch_vccnz .LBB1683_37
	s_branch .LBB1683_90
.LBB1683_36:
                                        ; implicit-def: $sgpr52_sgpr53
                                        ; implicit-def: $sgpr54_sgpr55
                                        ; implicit-def: $vgpr59
                                        ; implicit-def: $vgpr57
                                        ; implicit-def: $vgpr55
                                        ; implicit-def: $vgpr53
                                        ; implicit-def: $vgpr51
                                        ; implicit-def: $vgpr49
                                        ; implicit-def: $vgpr47
                                        ; implicit-def: $vgpr45
                                        ; implicit-def: $vgpr43
                                        ; implicit-def: $vgpr37
                                        ; implicit-def: $vgpr39
                                        ; implicit-def: $vgpr41
                                        ; implicit-def: $vgpr44
                                        ; implicit-def: $vgpr46
                                        ; implicit-def: $vgpr48
                                        ; implicit-def: $vgpr50
                                        ; implicit-def: $vgpr52
                                        ; implicit-def: $vgpr54
                                        ; implicit-def: $vgpr56
                                        ; implicit-def: $vgpr58
                                        ; implicit-def: $vgpr60
                                        ; implicit-def: $vgpr38
                                        ; implicit-def: $vgpr40
                                        ; implicit-def: $vgpr42
	s_add_i32 s16, s86, 0xd00
	s_cbranch_execz .LBB1683_90
.LBB1683_37:
	v_cmp_gt_u32_e32 vcc, s16, v36
	v_mov_b32_e32 v38, 0
	v_mov_b32_e32 v37, 0
	s_and_saveexec_b64 s[6:7], vcc
	s_cbranch_execz .LBB1683_41
; %bb.38:
	v_add_u32_e32 v1, s37, v22
	v_add_u32_e32 v6, s39, v22
	v_mul_lo_u32 v1, v1, s36
	v_mul_lo_u32 v6, v6, s38
	v_sub_u32_e32 v1, v1, v6
	v_cmp_lt_u32_e32 vcc, s40, v1
	v_cmp_ge_u32_e64 s[4:5], s40, v1
	s_mov_b64 s[10:11], 0
	s_and_saveexec_b64 s[8:9], s[4:5]
; %bb.39:
	v_add_u32_e32 v1, s42, v22
	v_add_u32_e32 v6, s56, v22
	v_mul_lo_u32 v1, v1, s41
	v_mul_lo_u32 v6, v6, s43
	v_sub_u32_e32 v1, v1, v6
	v_cmp_lt_u32_e64 s[4:5], s57, v1
	s_and_b64 s[10:11], s[4:5], exec
; %bb.40:
	s_or_b64 exec, exec, s[8:9]
	v_cndmask_b32_e64 v37, 0, 1, vcc
	v_cndmask_b32_e64 v38, 0, 1, s[10:11]
.LBB1683_41:
	s_or_b64 exec, exec, s[6:7]
	v_add_u32_e32 v1, 1, v36
	v_cmp_gt_u32_e32 vcc, s16, v1
	v_mov_b32_e32 v39, 0
	v_mov_b32_e32 v40, 0
	s_and_saveexec_b64 s[6:7], vcc
	s_cbranch_execz .LBB1683_45
; %bb.42:
	v_add_u32_e32 v1, s37, v23
	v_add_u32_e32 v6, s39, v23
	v_mul_lo_u32 v1, v1, s36
	v_mul_lo_u32 v6, v6, s38
	v_sub_u32_e32 v1, v1, v6
	v_cmp_lt_u32_e32 vcc, s40, v1
	v_cmp_ge_u32_e64 s[4:5], s40, v1
	s_mov_b64 s[10:11], 0
	s_and_saveexec_b64 s[8:9], s[4:5]
; %bb.43:
	v_add_u32_e32 v1, s42, v23
	v_add_u32_e32 v6, s56, v23
	v_mul_lo_u32 v1, v1, s41
	v_mul_lo_u32 v6, v6, s43
	v_sub_u32_e32 v1, v1, v6
	v_cmp_lt_u32_e64 s[4:5], s57, v1
	s_and_b64 s[10:11], s[4:5], exec
; %bb.44:
	s_or_b64 exec, exec, s[8:9]
	v_cndmask_b32_e64 v39, 0, 1, vcc
	v_cndmask_b32_e64 v40, 0, 1, s[10:11]
.LBB1683_45:
	s_or_b64 exec, exec, s[6:7]
	v_add_u32_e32 v1, 2, v36
	;; [unrolled: 30-line block ×12, first 2 shown]
	v_cmp_gt_u32_e32 vcc, s16, v1
	s_mov_b64 s[52:53], 0
	s_mov_b64 s[54:55], 0
	s_and_saveexec_b64 s[4:5], vcc
	s_cbranch_execz .LBB1683_89
; %bb.86:
	v_add_u32_e32 v1, s37, v35
	v_add_u32_e32 v6, s39, v35
	v_mul_lo_u32 v1, v1, s36
	v_mul_lo_u32 v6, v6, s38
	v_sub_u32_e32 v1, v1, v6
	v_cmp_ge_u32_e32 vcc, s40, v1
	s_mov_b64 s[8:9], -1
	s_mov_b64 s[10:11], 0
	s_and_saveexec_b64 s[6:7], vcc
; %bb.87:
	v_add_u32_e32 v1, s42, v35
	v_add_u32_e32 v6, s56, v35
	v_mul_lo_u32 v1, v1, s41
	v_mul_lo_u32 v6, v6, s43
	v_sub_u32_e32 v1, v1, v6
	v_cmp_lt_u32_e32 vcc, s57, v1
	s_and_b64 s[10:11], vcc, exec
	s_xor_b64 s[8:9], exec, -1
; %bb.88:
	s_or_b64 exec, exec, s[6:7]
	s_and_b64 s[54:55], s[10:11], exec
	s_and_b64 s[52:53], s[8:9], exec
.LBB1683_89:
	s_or_b64 exec, exec, s[4:5]
.LBB1683_90:
	v_and_b32_e32 v68, 0xff, v38
	v_and_b32_e32 v79, 0xff, v40
	;; [unrolled: 1-line block ×5, first 2 shown]
	v_add3_u32 v6, v79, v70, v68
	v_and_b32_e32 v81, 0xff, v47
	v_and_b32_e32 v74, 0xff, v49
	v_add3_u32 v6, v6, v80, v72
	v_and_b32_e32 v67, 0xff, v37
	v_and_b32_e32 v61, 0xff, v39
	;; [unrolled: 1-line block ×5, first 2 shown]
	v_add3_u32 v6, v6, v81, v74
	v_and_b32_e32 v62, 0xff, v44
	v_and_b32_e32 v71, 0xff, v46
	;; [unrolled: 1-line block ×4, first 2 shown]
	v_add3_u32 v7, v61, v69, v67
	v_add3_u32 v6, v6, v82, v76
	v_and_b32_e32 v63, 0xff, v48
	v_and_b32_e32 v73, 0xff, v50
	;; [unrolled: 1-line block ×3, first 2 shown]
	v_cndmask_b32_e64 v1, 0, 1, s[54:55]
	v_add3_u32 v7, v7, v62, v71
	v_add3_u32 v6, v6, v83, v78
	v_and_b32_e32 v64, 0xff, v52
	v_and_b32_e32 v75, 0xff, v54
	v_add3_u32 v7, v7, v63, v73
	v_add3_u32 v91, v6, v84, v1
	v_mbcnt_lo_u32_b32 v1, -1, 0
	v_and_b32_e32 v65, 0xff, v56
	v_and_b32_e32 v77, 0xff, v58
	v_add3_u32 v7, v7, v64, v75
	v_mbcnt_hi_u32_b32 v85, -1, v1
	v_and_b32_e32 v66, 0xff, v60
	v_add3_u32 v7, v7, v65, v77
	v_cndmask_b32_e64 v8, 0, 1, s[52:53]
	v_and_b32_e32 v89, 15, v85
	s_cmp_lg_u32 s33, 0
	v_add3_u32 v90, v7, v66, v8
	v_cmp_eq_u32_e64 s[6:7], 0, v89
	v_cmp_lt_u32_e64 s[4:5], 1, v89
	v_cmp_lt_u32_e64 s[10:11], 3, v89
	;; [unrolled: 1-line block ×3, first 2 shown]
	v_and_b32_e32 v88, 16, v85
	v_cmp_lt_u32_e32 vcc, 31, v85
	v_lshrrev_b32_e32 v86, 6, v0
	v_or_b32_e32 v87, 63, v0
	s_cbranch_scc0 .LBB1683_123
; %bb.91:
	v_mov_b32_dpp v1, v90 row_shr:1 row_mask:0xf bank_mask:0xf
	v_mov_b32_dpp v6, v91 row_shr:1 row_mask:0xf bank_mask:0xf
	v_add_u32_e32 v1, v1, v90
	v_add_u32_e32 v6, v6, v91
	v_cndmask_b32_e64 v6, v6, v91, s[6:7]
	v_cndmask_b32_e64 v1, v1, v90, s[6:7]
	s_nop 0
	v_mov_b32_dpp v8, v6 row_shr:2 row_mask:0xf bank_mask:0xf
	v_mov_b32_dpp v7, v1 row_shr:2 row_mask:0xf bank_mask:0xf
	v_add_u32_e32 v7, v1, v7
	v_add_u32_e32 v8, v6, v8
	v_cndmask_b32_e64 v6, v6, v8, s[4:5]
	v_cndmask_b32_e64 v1, v1, v7, s[4:5]
	s_nop 0
	;; [unrolled: 7-line block ×3, first 2 shown]
	v_mov_b32_dpp v8, v6 row_shr:8 row_mask:0xf bank_mask:0xf
	v_mov_b32_dpp v7, v1 row_shr:8 row_mask:0xf bank_mask:0xf
	v_add_u32_e32 v7, v1, v7
	v_add_u32_e32 v8, v6, v8
	v_cndmask_b32_e64 v6, v6, v8, s[8:9]
	v_cndmask_b32_e64 v1, v1, v7, s[8:9]
	v_cmp_eq_u32_e64 s[8:9], 0, v88
	v_mov_b32_dpp v8, v6 row_bcast:15 row_mask:0xf bank_mask:0xf
	v_mov_b32_dpp v7, v1 row_bcast:15 row_mask:0xf bank_mask:0xf
	v_add_u32_e32 v7, v1, v7
	v_add_u32_e32 v8, v6, v8
	v_cndmask_b32_e64 v6, v8, v6, s[8:9]
	v_cndmask_b32_e64 v1, v7, v1, s[8:9]
	s_nop 0
	v_mov_b32_dpp v8, v6 row_bcast:31 row_mask:0xf bank_mask:0xf
	v_mov_b32_dpp v7, v1 row_bcast:31 row_mask:0xf bank_mask:0xf
	v_add_u32_e32 v8, v6, v8
	v_add_u32_e32 v9, v1, v7
	v_cndmask_b32_e32 v7, v6, v8, vcc
	v_cndmask_b32_e32 v6, v1, v9, vcc
	v_cmp_eq_u32_e32 vcc, v87, v0
	s_and_saveexec_b64 s[8:9], vcc
	s_cbranch_execz .LBB1683_93
; %bb.92:
	v_lshlrev_b32_e32 v1, 3, v86
	ds_write_b64 v1, v[6:7]
.LBB1683_93:
	s_or_b64 exec, exec, s[8:9]
	v_cmp_gt_u32_e32 vcc, 4, v0
	s_waitcnt lgkmcnt(0)
	s_barrier
	s_and_saveexec_b64 s[8:9], vcc
	s_cbranch_execz .LBB1683_95
; %bb.94:
	v_lshlrev_b32_e32 v1, 3, v0
	ds_read_b64 v[8:9], v1
	v_and_b32_e32 v10, 3, v85
	v_cmp_eq_u32_e32 vcc, 0, v10
	s_waitcnt lgkmcnt(0)
	v_mov_b32_dpp v11, v8 row_shr:1 row_mask:0xf bank_mask:0xf
	v_mov_b32_dpp v24, v9 row_shr:1 row_mask:0xf bank_mask:0xf
	v_add_u32_e32 v11, v11, v8
	v_add_u32_e32 v24, v24, v9
	v_cndmask_b32_e32 v9, v24, v9, vcc
	v_cndmask_b32_e32 v8, v11, v8, vcc
	v_cmp_lt_u32_e32 vcc, 1, v10
	v_mov_b32_dpp v24, v9 row_shr:2 row_mask:0xf bank_mask:0xf
	v_mov_b32_dpp v11, v8 row_shr:2 row_mask:0xf bank_mask:0xf
	v_cndmask_b32_e32 v10, 0, v11, vcc
	v_cndmask_b32_e32 v11, 0, v24, vcc
	v_add_u32_e32 v9, v11, v9
	v_add_u32_e32 v8, v10, v8
	ds_write_b64 v1, v[8:9]
.LBB1683_95:
	s_or_b64 exec, exec, s[8:9]
	v_cmp_gt_u32_e32 vcc, 64, v0
	v_cmp_lt_u32_e64 s[8:9], 63, v0
	s_waitcnt lgkmcnt(0)
	s_barrier
	s_waitcnt lgkmcnt(0)
                                        ; implicit-def: $vgpr25
	s_and_saveexec_b64 s[10:11], s[8:9]
	s_xor_b64 s[8:9], exec, s[10:11]
	s_cbranch_execz .LBB1683_97
; %bb.96:
	v_lshl_add_u32 v1, v86, 3, -8
	ds_read_b64 v[24:25], v1
	s_waitcnt lgkmcnt(0)
	v_add_u32_e32 v7, v25, v7
	v_add_u32_e32 v6, v24, v6
.LBB1683_97:
	s_andn2_saveexec_b64 s[8:9], s[8:9]
; %bb.98:
                                        ; implicit-def: $vgpr24
; %bb.99:
	s_or_b64 exec, exec, s[8:9]
	v_add_u32_e32 v1, -1, v85
	v_and_b32_e32 v8, 64, v85
	v_cmp_lt_i32_e64 s[8:9], v1, v8
	v_cndmask_b32_e64 v1, v1, v85, s[8:9]
	v_lshlrev_b32_e32 v8, 2, v1
	ds_bpermute_b32 v1, v8, v6
	ds_bpermute_b32 v92, v8, v7
	v_cmp_eq_u32_e64 s[8:9], 0, v85
	s_and_saveexec_b64 s[10:11], vcc
	s_cbranch_execz .LBB1683_122
; %bb.100:
	v_mov_b32_e32 v11, 0
	ds_read_b64 v[26:27], v11 offset:24
	s_and_saveexec_b64 s[12:13], s[8:9]
	s_cbranch_execz .LBB1683_102
; %bb.101:
	s_add_i32 s14, s33, 64
	s_mov_b32 s15, 0
	s_lshl_b64 s[14:15], s[14:15], 4
	s_waitcnt lgkmcnt(0)
	v_and_b32_e32 v6, 0xff000000, v27
	v_and_b32_e32 v7, 0xff0000, v27
	s_add_u32 s14, s50, s14
	v_or_b32_e32 v6, v7, v6
	v_and_b32_e32 v7, 0xff00, v27
	s_addc_u32 s15, s51, s15
	v_or_b32_e32 v6, v6, v7
	v_or_b32_sdwa v9, v6, v27 dst_sel:DWORD dst_unused:UNUSED_PAD src0_sel:DWORD src1_sel:BYTE_0
	v_mov_b32_e32 v10, 1
	v_mov_b32_e32 v8, v26
	v_pk_mov_b32 v[6:7], s[14:15], s[14:15] op_sel:[0,1]
	;;#ASMSTART
	global_store_dwordx4 v[6:7], v[8:11] off	
s_waitcnt vmcnt(0)
	;;#ASMEND
.LBB1683_102:
	s_or_b64 exec, exec, s[12:13]
	v_xad_u32 v28, v85, -1, s33
	v_add_u32_e32 v10, 64, v28
	v_lshlrev_b64 v[6:7], 4, v[10:11]
	v_mov_b32_e32 v8, s51
	v_add_co_u32_e32 v30, vcc, s50, v6
	v_addc_co_u32_e32 v31, vcc, v8, v7, vcc
	;;#ASMSTART
	global_load_dwordx4 v[6:9], v[30:31] off glc	
s_waitcnt vmcnt(0)
	;;#ASMEND
	v_and_b32_e32 v9, 0xff, v7
	v_and_b32_e32 v10, 0xff00, v7
	v_or3_b32 v9, 0, v9, v10
	v_or3_b32 v6, v6, 0, 0
	v_and_b32_e32 v10, 0xff000000, v7
	v_and_b32_e32 v7, 0xff0000, v7
	v_or3_b32 v7, v9, v7, v10
	v_or3_b32 v6, v6, 0, 0
	v_cmp_eq_u16_sdwa s[14:15], v8, v11 src0_sel:BYTE_0 src1_sel:DWORD
	s_and_saveexec_b64 s[12:13], s[14:15]
	s_cbranch_execz .LBB1683_108
; %bb.103:
	s_mov_b32 s17, 1
	s_mov_b64 s[14:15], 0
	v_mov_b32_e32 v10, 0
.LBB1683_104:                           ; =>This Loop Header: Depth=1
                                        ;     Child Loop BB1683_105 Depth 2
	s_max_u32 s18, s17, 1
.LBB1683_105:                           ;   Parent Loop BB1683_104 Depth=1
                                        ; =>  This Inner Loop Header: Depth=2
	s_add_i32 s18, s18, -1
	s_cmp_eq_u32 s18, 0
	s_sleep 1
	s_cbranch_scc0 .LBB1683_105
; %bb.106:                              ;   in Loop: Header=BB1683_104 Depth=1
	s_cmp_lt_u32 s17, 32
	s_cselect_b64 s[18:19], -1, 0
	s_cmp_lg_u64 s[18:19], 0
	s_addc_u32 s17, s17, 0
	;;#ASMSTART
	global_load_dwordx4 v[6:9], v[30:31] off glc	
s_waitcnt vmcnt(0)
	;;#ASMEND
	v_cmp_ne_u16_sdwa s[18:19], v8, v10 src0_sel:BYTE_0 src1_sel:DWORD
	s_or_b64 s[14:15], s[18:19], s[14:15]
	s_andn2_b64 exec, exec, s[14:15]
	s_cbranch_execnz .LBB1683_104
; %bb.107:
	s_or_b64 exec, exec, s[14:15]
.LBB1683_108:
	s_or_b64 exec, exec, s[12:13]
	v_and_b32_e32 v94, 63, v85
	v_cmp_ne_u32_e32 vcc, 63, v94
	v_mov_b32_e32 v93, 2
	v_addc_co_u32_e32 v30, vcc, 0, v85, vcc
	v_cmp_eq_u16_sdwa s[12:13], v8, v93 src0_sel:BYTE_0 src1_sel:DWORD
	v_lshlrev_b64 v[10:11], v85, -1
	v_lshlrev_b32_e32 v95, 2, v30
	v_and_b32_e32 v9, s13, v11
	ds_bpermute_b32 v30, v95, v6
	ds_bpermute_b32 v31, v95, v7
	v_or_b32_e32 v9, 0x80000000, v9
	v_and_b32_e32 v29, s12, v10
	v_ffbl_b32_e32 v9, v9
	v_add_u32_e32 v9, 32, v9
	v_ffbl_b32_e32 v29, v29
	v_min_u32_e32 v9, v29, v9
	s_waitcnt lgkmcnt(1)
	v_add_u32_e32 v29, v30, v6
	s_waitcnt lgkmcnt(0)
	v_add_u32_e32 v30, v31, v7
	v_cmp_lt_u32_e32 vcc, v94, v9
	v_cndmask_b32_e32 v7, v7, v30, vcc
	v_cndmask_b32_e32 v6, v6, v29, vcc
	v_cmp_gt_u32_e32 vcc, 62, v94
	v_cndmask_b32_e64 v29, 0, 1, vcc
	v_lshlrev_b32_e32 v29, 1, v29
	v_add_lshl_u32 v96, v29, v85, 2
	ds_bpermute_b32 v29, v96, v6
	ds_bpermute_b32 v30, v96, v7
	v_add_u32_e32 v97, 2, v94
	v_cmp_gt_u32_e32 vcc, v97, v9
	v_add_u32_e32 v99, 4, v94
	s_waitcnt lgkmcnt(1)
	v_add_u32_e32 v29, v6, v29
	s_waitcnt lgkmcnt(0)
	v_add_u32_e32 v30, v7, v30
	v_cndmask_b32_e32 v7, v30, v7, vcc
	v_cndmask_b32_e32 v6, v29, v6, vcc
	v_cmp_gt_u32_e32 vcc, 60, v94
	v_cndmask_b32_e64 v29, 0, 1, vcc
	v_lshlrev_b32_e32 v29, 2, v29
	v_add_lshl_u32 v98, v29, v85, 2
	ds_bpermute_b32 v29, v98, v6
	ds_bpermute_b32 v30, v98, v7
	v_cmp_gt_u32_e32 vcc, v99, v9
	v_add_u32_e32 v101, 8, v94
	v_add_u32_e32 v103, 16, v94
	s_waitcnt lgkmcnt(1)
	v_add_u32_e32 v29, v6, v29
	s_waitcnt lgkmcnt(0)
	v_add_u32_e32 v30, v7, v30
	v_cndmask_b32_e32 v7, v30, v7, vcc
	v_cndmask_b32_e32 v6, v29, v6, vcc
	v_cmp_gt_u32_e32 vcc, 56, v94
	v_cndmask_b32_e64 v29, 0, 1, vcc
	v_lshlrev_b32_e32 v29, 3, v29
	v_add_lshl_u32 v100, v29, v85, 2
	ds_bpermute_b32 v29, v100, v6
	ds_bpermute_b32 v30, v100, v7
	v_cmp_gt_u32_e32 vcc, v101, v9
	v_add_u32_e32 v105, 32, v94
	s_waitcnt lgkmcnt(1)
	v_add_u32_e32 v29, v6, v29
	s_waitcnt lgkmcnt(0)
	v_add_u32_e32 v30, v7, v30
	v_cndmask_b32_e32 v7, v30, v7, vcc
	v_cndmask_b32_e32 v6, v29, v6, vcc
	v_cmp_gt_u32_e32 vcc, 48, v94
	v_cndmask_b32_e64 v29, 0, 1, vcc
	v_lshlrev_b32_e32 v29, 4, v29
	v_add_lshl_u32 v102, v29, v85, 2
	ds_bpermute_b32 v29, v102, v6
	ds_bpermute_b32 v30, v102, v7
	v_cmp_gt_u32_e32 vcc, v103, v9
	s_waitcnt lgkmcnt(1)
	v_add_u32_e32 v29, v6, v29
	s_waitcnt lgkmcnt(0)
	v_add_u32_e32 v30, v7, v30
	v_cndmask_b32_e32 v7, v30, v7, vcc
	v_cndmask_b32_e32 v6, v29, v6, vcc
	v_cmp_gt_u32_e32 vcc, 32, v94
	v_cndmask_b32_e64 v29, 0, 1, vcc
	v_lshlrev_b32_e32 v29, 5, v29
	v_add_lshl_u32 v104, v29, v85, 2
	ds_bpermute_b32 v29, v104, v6
	ds_bpermute_b32 v30, v104, v7
	v_cmp_le_u32_e32 vcc, v105, v9
	s_waitcnt lgkmcnt(1)
	v_cndmask_b32_e32 v9, 0, v29, vcc
	s_waitcnt lgkmcnt(0)
	v_cndmask_b32_e32 v29, 0, v30, vcc
	v_add_u32_e32 v7, v7, v29
	v_add_u32_e32 v6, v6, v9
	v_mov_b32_e32 v29, 0
	s_branch .LBB1683_110
.LBB1683_109:                           ;   in Loop: Header=BB1683_110 Depth=1
	s_or_b64 exec, exec, s[12:13]
	v_cmp_eq_u16_sdwa s[12:13], v8, v93 src0_sel:BYTE_0 src1_sel:DWORD
	v_and_b32_e32 v9, s13, v11
	ds_bpermute_b32 v33, v95, v6
	ds_bpermute_b32 v106, v95, v7
	v_or_b32_e32 v9, 0x80000000, v9
	v_and_b32_e32 v32, s12, v10
	v_ffbl_b32_e32 v9, v9
	v_add_u32_e32 v9, 32, v9
	v_ffbl_b32_e32 v32, v32
	v_min_u32_e32 v9, v32, v9
	s_waitcnt lgkmcnt(1)
	v_add_u32_e32 v32, v33, v6
	s_waitcnt lgkmcnt(0)
	v_add_u32_e32 v33, v106, v7
	v_cmp_lt_u32_e32 vcc, v94, v9
	v_cndmask_b32_e32 v7, v7, v33, vcc
	v_cndmask_b32_e32 v6, v6, v32, vcc
	ds_bpermute_b32 v32, v96, v6
	ds_bpermute_b32 v33, v96, v7
	v_cmp_gt_u32_e32 vcc, v97, v9
	v_subrev_u32_e32 v28, 64, v28
	s_waitcnt lgkmcnt(1)
	v_add_u32_e32 v32, v6, v32
	s_waitcnt lgkmcnt(0)
	v_add_u32_e32 v33, v7, v33
	v_cndmask_b32_e32 v7, v33, v7, vcc
	v_cndmask_b32_e32 v6, v32, v6, vcc
	ds_bpermute_b32 v32, v98, v6
	ds_bpermute_b32 v33, v98, v7
	v_cmp_gt_u32_e32 vcc, v99, v9
	s_waitcnt lgkmcnt(1)
	v_add_u32_e32 v32, v6, v32
	s_waitcnt lgkmcnt(0)
	v_add_u32_e32 v33, v7, v33
	v_cndmask_b32_e32 v7, v33, v7, vcc
	v_cndmask_b32_e32 v6, v32, v6, vcc
	ds_bpermute_b32 v32, v100, v6
	ds_bpermute_b32 v33, v100, v7
	v_cmp_gt_u32_e32 vcc, v101, v9
	;; [unrolled: 9-line block ×3, first 2 shown]
	s_waitcnt lgkmcnt(1)
	v_add_u32_e32 v32, v6, v32
	s_waitcnt lgkmcnt(0)
	v_add_u32_e32 v33, v7, v33
	v_cndmask_b32_e32 v7, v33, v7, vcc
	v_cndmask_b32_e32 v6, v32, v6, vcc
	ds_bpermute_b32 v32, v104, v6
	ds_bpermute_b32 v33, v104, v7
	v_cmp_le_u32_e32 vcc, v105, v9
	s_waitcnt lgkmcnt(1)
	v_cndmask_b32_e32 v9, 0, v32, vcc
	s_waitcnt lgkmcnt(0)
	v_cndmask_b32_e32 v32, 0, v33, vcc
	v_add3_u32 v7, v32, v31, v7
	v_add3_u32 v6, v9, v30, v6
.LBB1683_110:                           ; =>This Loop Header: Depth=1
                                        ;     Child Loop BB1683_113 Depth 2
                                        ;       Child Loop BB1683_114 Depth 3
	v_cmp_ne_u16_sdwa s[12:13], v8, v93 src0_sel:BYTE_0 src1_sel:DWORD
	v_cndmask_b32_e64 v8, 0, 1, s[12:13]
	;;#ASMSTART
	;;#ASMEND
	v_cmp_ne_u32_e32 vcc, 0, v8
	s_cmp_lg_u64 vcc, exec
	v_pk_mov_b32 v[30:31], v[6:7], v[6:7] op_sel:[0,1]
	s_cbranch_scc1 .LBB1683_117
; %bb.111:                              ;   in Loop: Header=BB1683_110 Depth=1
	v_lshlrev_b64 v[6:7], 4, v[28:29]
	v_mov_b32_e32 v8, s51
	v_add_co_u32_e32 v32, vcc, s50, v6
	v_addc_co_u32_e32 v33, vcc, v8, v7, vcc
	;;#ASMSTART
	global_load_dwordx4 v[6:9], v[32:33] off glc	
s_waitcnt vmcnt(0)
	;;#ASMEND
	v_and_b32_e32 v9, 0xff, v7
	v_and_b32_e32 v106, 0xff00, v7
	v_or3_b32 v9, 0, v9, v106
	v_or3_b32 v6, v6, 0, 0
	v_and_b32_e32 v106, 0xff000000, v7
	v_and_b32_e32 v7, 0xff0000, v7
	v_or3_b32 v7, v9, v7, v106
	v_or3_b32 v6, v6, 0, 0
	v_cmp_eq_u16_sdwa s[14:15], v8, v29 src0_sel:BYTE_0 src1_sel:DWORD
	s_and_saveexec_b64 s[12:13], s[14:15]
	s_cbranch_execz .LBB1683_109
; %bb.112:                              ;   in Loop: Header=BB1683_110 Depth=1
	s_mov_b32 s17, 1
	s_mov_b64 s[14:15], 0
.LBB1683_113:                           ;   Parent Loop BB1683_110 Depth=1
                                        ; =>  This Loop Header: Depth=2
                                        ;       Child Loop BB1683_114 Depth 3
	s_max_u32 s18, s17, 1
.LBB1683_114:                           ;   Parent Loop BB1683_110 Depth=1
                                        ;     Parent Loop BB1683_113 Depth=2
                                        ; =>    This Inner Loop Header: Depth=3
	s_add_i32 s18, s18, -1
	s_cmp_eq_u32 s18, 0
	s_sleep 1
	s_cbranch_scc0 .LBB1683_114
; %bb.115:                              ;   in Loop: Header=BB1683_113 Depth=2
	s_cmp_lt_u32 s17, 32
	s_cselect_b64 s[18:19], -1, 0
	s_cmp_lg_u64 s[18:19], 0
	s_addc_u32 s17, s17, 0
	;;#ASMSTART
	global_load_dwordx4 v[6:9], v[32:33] off glc	
s_waitcnt vmcnt(0)
	;;#ASMEND
	v_cmp_ne_u16_sdwa s[18:19], v8, v29 src0_sel:BYTE_0 src1_sel:DWORD
	s_or_b64 s[14:15], s[18:19], s[14:15]
	s_andn2_b64 exec, exec, s[14:15]
	s_cbranch_execnz .LBB1683_113
; %bb.116:                              ;   in Loop: Header=BB1683_110 Depth=1
	s_or_b64 exec, exec, s[14:15]
	s_branch .LBB1683_109
.LBB1683_117:                           ;   in Loop: Header=BB1683_110 Depth=1
                                        ; implicit-def: $vgpr8
                                        ; implicit-def: $vgpr6_vgpr7
	s_cbranch_execz .LBB1683_110
; %bb.118:
	s_and_saveexec_b64 s[12:13], s[8:9]
	s_cbranch_execz .LBB1683_120
; %bb.119:
	s_add_i32 s14, s33, 64
	s_mov_b32 s15, 0
	v_add_u32_e32 v7, v31, v27
	s_lshl_b64 s[14:15], s[14:15], 4
	s_add_u32 s14, s50, s14
	v_and_b32_e32 v8, 0xff000000, v7
	v_and_b32_e32 v10, 0xff0000, v7
	s_addc_u32 s15, s51, s15
	v_or_b32_e32 v8, v10, v8
	v_and_b32_e32 v10, 0xff00, v7
	v_and_b32_e32 v7, 0xff, v7
	v_add_u32_e32 v6, v30, v26
	v_mov_b32_e32 v9, 0
	v_or3_b32 v7, v8, v10, v7
	v_mov_b32_e32 v8, 2
	v_pk_mov_b32 v[10:11], s[14:15], s[14:15] op_sel:[0,1]
	;;#ASMSTART
	global_store_dwordx4 v[10:11], v[6:9] off	
s_waitcnt vmcnt(0)
	;;#ASMEND
	s_movk_i32 s14, 0x3400
	v_add_u32_e64 v6, s14, 0
	ds_write2_b32 v6, v26, v27 offset1:2
	ds_write2_b32 v6, v30, v31 offset0:4 offset1:6
.LBB1683_120:
	s_or_b64 exec, exec, s[12:13]
	s_and_b64 exec, exec, s[0:1]
	s_cbranch_execz .LBB1683_122
; %bb.121:
	v_mov_b32_e32 v6, 0
	ds_write_b64 v6, v[30:31] offset:24
.LBB1683_122:
	s_or_b64 exec, exec, s[10:11]
	v_mov_b32_e32 v6, 0
	s_waitcnt lgkmcnt(0)
	s_barrier
	ds_read_b64 v[10:11], v6 offset:24
	v_cndmask_b32_e64 v25, v92, v25, s[8:9]
	v_cndmask_b32_e64 v1, v1, v24, s[8:9]
	s_movk_i32 s8, 0x3400
	s_waitcnt lgkmcnt(0)
	v_add_u32_e32 v24, v10, v1
	v_add_u32_e64 v1, s8, 0
	s_barrier
	ds_read2_b32 v[6:7], v1 offset1:2
	ds_read2_b32 v[8:9], v1 offset0:4 offset1:6
	v_add_u32_e32 v1, v11, v25
	v_cndmask_b32_e64 v1, v1, v11, s[0:1]
	v_cndmask_b32_e64 v10, v24, v10, s[0:1]
	s_branch .LBB1683_133
.LBB1683_123:
                                        ; implicit-def: $vgpr1
                                        ; implicit-def: $vgpr8
                                        ; implicit-def: $vgpr6
                                        ; implicit-def: $vgpr10_vgpr11
	s_cbranch_execz .LBB1683_133
; %bb.124:
	s_nop 0
	v_mov_b32_dpp v1, v90 row_shr:1 row_mask:0xf bank_mask:0xf
	s_waitcnt lgkmcnt(1)
	v_mov_b32_dpp v6, v91 row_shr:1 row_mask:0xf bank_mask:0xf
	v_add_u32_e32 v1, v1, v90
	v_add_u32_e32 v6, v6, v91
	v_cndmask_b32_e64 v6, v6, v91, s[6:7]
	v_cndmask_b32_e64 v1, v1, v90, s[6:7]
	v_cmp_lt_u32_e32 vcc, 3, v89
	s_waitcnt lgkmcnt(0)
	v_mov_b32_dpp v8, v6 row_shr:2 row_mask:0xf bank_mask:0xf
	v_mov_b32_dpp v7, v1 row_shr:2 row_mask:0xf bank_mask:0xf
	v_add_u32_e32 v7, v1, v7
	v_add_u32_e32 v8, v6, v8
	v_cndmask_b32_e64 v6, v6, v8, s[4:5]
	v_cndmask_b32_e64 v1, v1, v7, s[4:5]
	s_nop 0
	v_mov_b32_dpp v8, v6 row_shr:4 row_mask:0xf bank_mask:0xf
	v_mov_b32_dpp v7, v1 row_shr:4 row_mask:0xf bank_mask:0xf
	v_add_u32_e32 v7, v1, v7
	v_add_u32_e32 v8, v6, v8
	v_cndmask_b32_e32 v6, v6, v8, vcc
	v_cndmask_b32_e32 v1, v1, v7, vcc
	v_cmp_lt_u32_e32 vcc, 7, v89
	v_mov_b32_dpp v8, v6 row_shr:8 row_mask:0xf bank_mask:0xf
	v_mov_b32_dpp v7, v1 row_shr:8 row_mask:0xf bank_mask:0xf
	v_add_u32_e32 v7, v1, v7
	v_add_u32_e32 v8, v6, v8
	v_cndmask_b32_e32 v6, v6, v8, vcc
	v_cndmask_b32_e32 v1, v1, v7, vcc
	v_cmp_eq_u32_e32 vcc, 0, v88
	v_mov_b32_dpp v8, v6 row_bcast:15 row_mask:0xf bank_mask:0xf
	v_mov_b32_dpp v7, v1 row_bcast:15 row_mask:0xf bank_mask:0xf
	v_add_u32_e32 v7, v1, v7
	v_add_u32_e32 v8, v6, v8
	v_cndmask_b32_e32 v6, v8, v6, vcc
	v_cndmask_b32_e32 v1, v7, v1, vcc
	v_cmp_lt_u32_e32 vcc, 31, v85
	v_mov_b32_dpp v8, v6 row_bcast:31 row_mask:0xf bank_mask:0xf
	v_mov_b32_dpp v7, v1 row_bcast:31 row_mask:0xf bank_mask:0xf
	v_add_u32_e32 v8, v6, v8
	v_add_u32_e32 v9, v1, v7
	v_cndmask_b32_e32 v7, v6, v8, vcc
	v_cndmask_b32_e32 v6, v1, v9, vcc
	v_cmp_eq_u32_e32 vcc, v87, v0
	s_and_saveexec_b64 s[4:5], vcc
	s_cbranch_execz .LBB1683_126
; %bb.125:
	v_lshlrev_b32_e32 v1, 3, v86
	ds_write_b64 v1, v[6:7]
.LBB1683_126:
	s_or_b64 exec, exec, s[4:5]
	v_cmp_gt_u32_e32 vcc, 4, v0
	s_waitcnt lgkmcnt(0)
	s_barrier
	s_and_saveexec_b64 s[4:5], vcc
	s_cbranch_execz .LBB1683_128
; %bb.127:
	v_lshlrev_b32_e32 v1, 3, v0
	ds_read_b64 v[8:9], v1
	v_and_b32_e32 v10, 3, v85
	v_cmp_eq_u32_e32 vcc, 0, v10
	s_waitcnt lgkmcnt(0)
	v_mov_b32_dpp v11, v8 row_shr:1 row_mask:0xf bank_mask:0xf
	v_mov_b32_dpp v24, v9 row_shr:1 row_mask:0xf bank_mask:0xf
	v_add_u32_e32 v11, v11, v8
	v_add_u32_e32 v24, v24, v9
	v_cndmask_b32_e32 v9, v24, v9, vcc
	v_cndmask_b32_e32 v8, v11, v8, vcc
	v_cmp_lt_u32_e32 vcc, 1, v10
	v_mov_b32_dpp v24, v9 row_shr:2 row_mask:0xf bank_mask:0xf
	v_mov_b32_dpp v11, v8 row_shr:2 row_mask:0xf bank_mask:0xf
	v_cndmask_b32_e32 v10, 0, v11, vcc
	v_cndmask_b32_e32 v11, 0, v24, vcc
	v_add_u32_e32 v9, v11, v9
	v_add_u32_e32 v8, v10, v8
	ds_write_b64 v1, v[8:9]
.LBB1683_128:
	s_or_b64 exec, exec, s[4:5]
	v_cmp_lt_u32_e32 vcc, 63, v0
	v_mov_b32_e32 v8, 0
	v_mov_b32_e32 v10, 0
	;; [unrolled: 1-line block ×3, first 2 shown]
	s_waitcnt lgkmcnt(0)
	s_barrier
	s_and_saveexec_b64 s[4:5], vcc
	s_cbranch_execz .LBB1683_130
; %bb.129:
	v_lshl_add_u32 v1, v86, 3, -8
	ds_read_b64 v[10:11], v1
.LBB1683_130:
	s_or_b64 exec, exec, s[4:5]
	s_waitcnt lgkmcnt(0)
	v_add_u32_e32 v9, v11, v7
	v_add_u32_e32 v1, v10, v6
	v_add_u32_e32 v6, -1, v85
	v_and_b32_e32 v7, 64, v85
	v_cmp_lt_i32_e32 vcc, v6, v7
	v_cndmask_b32_e32 v6, v6, v85, vcc
	v_lshlrev_b32_e32 v24, 2, v6
	ds_read_b64 v[6:7], v8 offset:24
	ds_bpermute_b32 v1, v24, v1
	ds_bpermute_b32 v24, v24, v9
	s_waitcnt lgkmcnt(2)
	v_readfirstlane_b32 s6, v7
	s_and_saveexec_b64 s[4:5], s[0:1]
	s_cbranch_execz .LBB1683_132
; %bb.131:
	s_add_u32 s8, s50, 0x400
	s_mov_b32 s10, 0
	s_addc_u32 s9, s51, 0
	s_and_b32 s11, s6, 0xff000000
	s_and_b32 s13, s6, 0xff0000
	s_mov_b32 s12, s10
	s_or_b64 s[12:13], s[12:13], s[10:11]
	s_and_b32 s11, s6, 0xff00
	s_or_b64 s[12:13], s[12:13], s[10:11]
	s_and_b32 s11, s6, 0xff
	s_or_b64 s[10:11], s[12:13], s[10:11]
	v_mov_b32_e32 v7, s11
	v_mov_b32_e32 v8, 2
	;; [unrolled: 1-line block ×3, first 2 shown]
	v_pk_mov_b32 v[26:27], s[8:9], s[8:9] op_sel:[0,1]
	;;#ASMSTART
	global_store_dwordx4 v[26:27], v[6:9] off	
s_waitcnt vmcnt(0)
	;;#ASMEND
.LBB1683_132:
	s_or_b64 exec, exec, s[4:5]
	v_cmp_eq_u32_e32 vcc, 0, v85
	s_waitcnt lgkmcnt(1)
	v_cndmask_b32_e32 v7, v1, v10, vcc
	s_waitcnt lgkmcnt(0)
	v_cndmask_b32_e32 v1, v24, v11, vcc
	v_mov_b32_e32 v8, 0
	v_cndmask_b32_e64 v1, v1, 0, s[0:1]
	v_cndmask_b32_e64 v10, v7, 0, s[0:1]
	s_barrier
	v_mov_b32_e32 v7, s6
	v_mov_b32_e32 v9, 0
.LBB1683_133:
	v_add_u32_e32 v11, v10, v67
	v_add_u32_e32 v26, v1, v68
	v_add_u32_e32 v28, v11, v61
	v_add_u32_e32 v27, v26, v79
	v_add_u32_e32 v29, v28, v69
	v_add_u32_e32 v30, v27, v70
	v_add_u32_e32 v32, v29, v62
	v_add_u32_e32 v31, v30, v80
	v_add_u32_e32 v33, v32, v71
	v_add_u32_e32 v61, v31, v72
	v_add_u32_e32 v63, v33, v63
	v_add_u32_e32 v62, v61, v81
	v_add_u32_e32 v67, v63, v73
	s_waitcnt vmcnt(0) lgkmcnt(0)
	v_add_co_u32_e32 v2, vcc, v2, v8
	v_add_u32_e32 v68, v62, v74
	v_add_u32_e32 v64, v67, v64
	v_addc_co_u32_e32 v3, vcc, 0, v3, vcc
	v_add_u32_e32 v69, v68, v82
	v_add_u32_e32 v70, v64, v75
	v_sub_co_u32_e32 v24, vcc, v4, v6
	v_add_u32_e32 v71, v69, v76
	v_add_u32_e32 v65, v70, v65
	v_subbrev_co_u32_e32 v25, vcc, 0, v5, vcc
	v_lshlrev_b32_e32 v76, 1, v6
	v_sub_u32_e32 v1, v1, v9
	v_add_u32_e32 v73, v65, v77
	v_add_co_u32_e32 v24, vcc, v24, v9
	v_add_u32_e32 v77, v76, v7
	v_sub_u32_e32 v10, v10, v8
	v_add_u32_e32 v1, v1, v6
	v_addc_co_u32_e32 v25, vcc, 0, v25, vcc
	v_add_u32_e32 v36, v77, v36
	v_and_b32_e32 v38, 1, v38
	v_add_u32_e32 v77, v10, v1
	v_and_b32_e32 v37, 1, v37
	v_sub_u32_e32 v77, v36, v77
	v_cmp_eq_u32_e32 vcc, 1, v38
	v_cndmask_b32_e32 v1, v77, v1, vcc
	v_cmp_eq_u32_e32 vcc, 1, v37
	v_cndmask_b32_e32 v1, v1, v10, vcc
	v_lshlrev_b32_e32 v1, 2, v1
	ds_write_b32 v1, v22
	v_sub_u32_e32 v1, v11, v8
	v_sub_u32_e32 v11, v26, v9
	v_add_u32_e32 v11, v11, v6
	v_add_u32_e32 v26, v11, v1
	v_and_b32_e32 v22, 1, v40
	v_sub_u32_e32 v26, v36, v26
	v_and_b32_e32 v10, 1, v39
	v_add_u32_e32 v26, 1, v26
	v_cmp_eq_u32_e32 vcc, 1, v22
	v_cndmask_b32_e32 v11, v26, v11, vcc
	v_cmp_eq_u32_e32 vcc, 1, v10
	v_cndmask_b32_e32 v1, v11, v1, vcc
	v_lshlrev_b32_e32 v1, 2, v1
	v_sub_u32_e32 v11, v27, v9
	ds_write_b32 v1, v23
	v_sub_u32_e32 v1, v28, v8
	v_add_u32_e32 v11, v11, v6
	v_add_u32_e32 v23, v11, v1
	v_and_b32_e32 v22, 1, v42
	v_sub_u32_e32 v23, v36, v23
	v_and_b32_e32 v10, 1, v41
	v_add_u32_e32 v23, 2, v23
	v_cmp_eq_u32_e32 vcc, 1, v22
	v_cndmask_b32_e32 v11, v23, v11, vcc
	v_cmp_eq_u32_e32 vcc, 1, v10
	v_cndmask_b32_e32 v1, v11, v1, vcc
	v_lshlrev_b32_e32 v1, 2, v1
	v_sub_u32_e32 v11, v30, v9
	ds_write_b32 v1, v20
	v_sub_u32_e32 v1, v29, v8
	v_add_u32_e32 v11, v11, v6
	v_add_u32_e32 v22, v1, v11
	v_and_b32_e32 v20, 1, v43
	v_sub_u32_e32 v22, v36, v22
	v_and_b32_e32 v10, 1, v44
	v_add_u32_e32 v22, 3, v22
	v_cmp_eq_u32_e32 vcc, 1, v20
	v_cndmask_b32_e32 v11, v22, v11, vcc
	v_cmp_eq_u32_e32 vcc, 1, v10
	v_cndmask_b32_e32 v1, v11, v1, vcc
	v_lshlrev_b32_e32 v1, 2, v1
	v_sub_u32_e32 v11, v31, v9
	ds_write_b32 v1, v21
	v_sub_u32_e32 v1, v32, v8
	v_add_u32_e32 v11, v11, v6
	v_add_u32_e32 v21, v1, v11
	v_and_b32_e32 v20, 1, v45
	v_sub_u32_e32 v21, v36, v21
	v_and_b32_e32 v10, 1, v46
	v_add_u32_e32 v21, 4, v21
	v_cmp_eq_u32_e32 vcc, 1, v20
	v_cndmask_b32_e32 v11, v21, v11, vcc
	v_cmp_eq_u32_e32 vcc, 1, v10
	v_cndmask_b32_e32 v1, v11, v1, vcc
	v_lshlrev_b32_e32 v1, 2, v1
	v_sub_u32_e32 v11, v61, v9
	ds_write_b32 v1, v18
	v_sub_u32_e32 v1, v33, v8
	v_add_u32_e32 v11, v11, v6
	v_add_u32_e32 v20, v1, v11
	v_and_b32_e32 v18, 1, v47
	v_sub_u32_e32 v20, v36, v20
	v_and_b32_e32 v10, 1, v48
	v_add_u32_e32 v20, 5, v20
	v_cmp_eq_u32_e32 vcc, 1, v18
	v_cndmask_b32_e32 v11, v20, v11, vcc
	v_cmp_eq_u32_e32 vcc, 1, v10
	v_cndmask_b32_e32 v1, v11, v1, vcc
	v_lshlrev_b32_e32 v1, 2, v1
	v_sub_u32_e32 v11, v62, v9
	ds_write_b32 v1, v19
	v_sub_u32_e32 v1, v63, v8
	v_add_u32_e32 v11, v11, v6
	v_add_u32_e32 v19, v1, v11
	v_and_b32_e32 v18, 1, v49
	v_sub_u32_e32 v19, v36, v19
	v_and_b32_e32 v10, 1, v50
	v_add_u32_e32 v19, 6, v19
	v_cmp_eq_u32_e32 vcc, 1, v18
	v_cndmask_b32_e32 v11, v19, v11, vcc
	v_cmp_eq_u32_e32 vcc, 1, v10
	v_cndmask_b32_e32 v1, v11, v1, vcc
	v_lshlrev_b32_e32 v1, 2, v1
	v_sub_u32_e32 v11, v68, v9
	ds_write_b32 v1, v16
	v_sub_u32_e32 v1, v67, v8
	v_add_u32_e32 v11, v11, v6
	v_add_u32_e32 v18, v1, v11
	v_and_b32_e32 v16, 1, v51
	v_sub_u32_e32 v18, v36, v18
	v_and_b32_e32 v10, 1, v52
	v_add_u32_e32 v18, 7, v18
	v_cmp_eq_u32_e32 vcc, 1, v16
	v_cndmask_b32_e32 v11, v18, v11, vcc
	v_cmp_eq_u32_e32 vcc, 1, v10
	v_cndmask_b32_e32 v1, v11, v1, vcc
	v_lshlrev_b32_e32 v1, 2, v1
	v_sub_u32_e32 v11, v69, v9
	ds_write_b32 v1, v17
	v_sub_u32_e32 v1, v64, v8
	v_add_u32_e32 v11, v11, v6
	v_add_u32_e32 v17, v1, v11
	v_and_b32_e32 v16, 1, v53
	v_sub_u32_e32 v17, v36, v17
	v_and_b32_e32 v10, 1, v54
	v_add_u32_e32 v17, 8, v17
	v_cmp_eq_u32_e32 vcc, 1, v16
	v_cndmask_b32_e32 v11, v17, v11, vcc
	v_cmp_eq_u32_e32 vcc, 1, v10
	v_cndmask_b32_e32 v1, v11, v1, vcc
	v_lshlrev_b32_e32 v1, 2, v1
	v_sub_u32_e32 v11, v71, v9
	ds_write_b32 v1, v14
	v_sub_u32_e32 v1, v70, v8
	v_add_u32_e32 v11, v11, v6
	v_add_u32_e32 v16, v1, v11
	v_and_b32_e32 v14, 1, v55
	v_sub_u32_e32 v16, v36, v16
	v_and_b32_e32 v10, 1, v56
	v_add_u32_e32 v16, 9, v16
	v_cmp_eq_u32_e32 vcc, 1, v14
	v_cndmask_b32_e32 v11, v16, v11, vcc
	v_cmp_eq_u32_e32 vcc, 1, v10
	v_add_u32_e32 v72, v71, v83
	v_cndmask_b32_e32 v1, v11, v1, vcc
	v_lshlrev_b32_e32 v1, 2, v1
	v_sub_u32_e32 v11, v72, v9
	ds_write_b32 v1, v15
	v_sub_u32_e32 v1, v65, v8
	v_add_u32_e32 v11, v11, v6
	v_add_u32_e32 v15, v1, v11
	v_and_b32_e32 v14, 1, v57
	v_sub_u32_e32 v15, v36, v15
	v_and_b32_e32 v10, 1, v58
	v_add_u32_e32 v15, 10, v15
	v_cmp_eq_u32_e32 vcc, 1, v14
	v_cndmask_b32_e32 v11, v15, v11, vcc
	v_cmp_eq_u32_e32 vcc, 1, v10
	v_add_u32_e32 v74, v72, v78
	v_cndmask_b32_e32 v1, v11, v1, vcc
	v_lshlrev_b32_e32 v1, 2, v1
	v_sub_u32_e32 v11, v74, v9
	ds_write_b32 v1, v12
	v_sub_u32_e32 v1, v73, v8
	v_add_u32_e32 v11, v11, v6
	v_add_u32_e32 v14, v1, v11
	v_and_b32_e32 v12, 1, v59
	v_sub_u32_e32 v14, v36, v14
	v_and_b32_e32 v10, 1, v60
	v_add_u32_e32 v14, 11, v14
	v_cmp_eq_u32_e32 vcc, 1, v12
	v_cndmask_b32_e32 v11, v14, v11, vcc
	v_cmp_eq_u32_e32 vcc, 1, v10
	v_cndmask_b32_e32 v1, v11, v1, vcc
	v_add_u32_e32 v75, v74, v84
	v_add_u32_e32 v66, v73, v66
	v_lshlrev_b32_e32 v1, 2, v1
	ds_write_b32 v1, v13
	v_sub_u32_e32 v1, v66, v8
	v_sub_u32_e32 v8, v75, v9
	v_add_u32_e32 v8, v8, v6
	v_add_u32_e32 v10, v1, v8
	v_sub_u32_e32 v10, v36, v10
	v_add_u32_e32 v10, 12, v10
	v_cndmask_b32_e64 v8, v10, v8, s[54:55]
	v_cndmask_b32_e64 v1, v8, v1, s[52:53]
	v_lshlrev_b32_e32 v1, 2, v1
	ds_write_b32 v1, v35
	v_mov_b32_e32 v1, s49
	v_add_co_u32_e32 v8, vcc, s48, v34
	v_addc_co_u32_e32 v10, vcc, 0, v1, vcc
	v_add_co_u32_e32 v1, vcc, v7, v76
	v_addc_co_u32_e64 v11, s[4:5], 0, 0, vcc
	v_add_co_u32_e32 v1, vcc, v1, v24
	v_addc_co_u32_e32 v11, vcc, v11, v25, vcc
	v_add_co_u32_e32 v1, vcc, v1, v2
	v_addc_co_u32_e32 v11, vcc, v11, v3, vcc
	v_sub_co_u32_e32 v1, vcc, v8, v1
	v_subb_co_u32_e32 v8, vcc, v10, v11, vcc
	v_lshlrev_b64 v[10:11], 2, v[24:25]
	v_mov_b32_e32 v12, s47
	v_add_co_u32_e32 v10, vcc, s46, v10
	v_addc_co_u32_e32 v11, vcc, v12, v11, vcc
	v_lshlrev_b64 v[12:13], 2, v[2:3]
	v_mov_b32_e32 v15, s45
	v_add_co_u32_e32 v12, vcc, s44, v12
	s_add_u32 s8, s34, -4
	v_addc_co_u32_e32 v13, vcc, v15, v13, vcc
	s_addc_u32 s9, s35, -1
	v_add_u32_e32 v14, v6, v7
	s_and_b64 vcc, exec, s[2:3]
	s_mov_b64 s[2:3], -1
	s_waitcnt lgkmcnt(0)
	s_barrier
	s_cbranch_vccz .LBB1683_137
; %bb.134:
	s_and_b64 vcc, exec, s[2:3]
	s_cbranch_vccnz .LBB1683_242
.LBB1683_135:
	s_and_b64 s[0:1], s[0:1], s[30:31]
	s_and_saveexec_b64 s[2:3], s[0:1]
	s_cbranch_execnz .LBB1683_360
.LBB1683_136:
	s_endpgm
.LBB1683_137:
	v_cmp_le_u32_e32 vcc, v6, v0
	s_and_saveexec_b64 s[2:3], vcc
	s_xor_b64 s[2:3], exec, s[2:3]
	s_cbranch_execz .LBB1683_143
; %bb.138:
	v_cmp_le_u32_e32 vcc, v14, v0
	s_and_saveexec_b64 s[4:5], vcc
	s_xor_b64 s[4:5], exec, s[4:5]
	s_cbranch_execz .LBB1683_140
; %bb.139:
	v_lshlrev_b32_e32 v15, 2, v0
	v_add_co_u32_e32 v16, vcc, v1, v0
	ds_read_b32 v15, v15
	v_addc_co_u32_e32 v17, vcc, 0, v8, vcc
	v_lshlrev_b64 v[16:17], 2, v[16:17]
	v_mov_b32_e32 v18, s35
	v_sub_co_u32_e32 v16, vcc, s34, v16
	v_subb_co_u32_e32 v17, vcc, v18, v17, vcc
	s_waitcnt lgkmcnt(0)
	global_store_dword v[16:17], v15, off offset:-4
.LBB1683_140:
	s_andn2_saveexec_b64 s[4:5], s[4:5]
	s_cbranch_execz .LBB1683_142
; %bb.141:
	v_lshlrev_b32_e32 v15, 2, v0
	ds_read_b32 v16, v15
	v_readfirstlane_b32 s6, v10
	v_readfirstlane_b32 s7, v11
	s_waitcnt lgkmcnt(0)
	s_nop 3
	global_store_dword v15, v16, s[6:7]
.LBB1683_142:
	s_or_b64 exec, exec, s[4:5]
.LBB1683_143:
	s_andn2_saveexec_b64 s[2:3], s[2:3]
	s_cbranch_execz .LBB1683_145
; %bb.144:
	v_lshlrev_b32_e32 v15, 2, v0
	ds_read_b32 v16, v15
	v_readfirstlane_b32 s4, v12
	v_readfirstlane_b32 s5, v13
	s_waitcnt lgkmcnt(0)
	s_nop 3
	global_store_dword v15, v16, s[4:5]
.LBB1683_145:
	s_or_b64 exec, exec, s[2:3]
	v_or_b32_e32 v15, 0x100, v0
	v_cmp_le_u32_e32 vcc, v6, v15
	s_and_saveexec_b64 s[2:3], vcc
	s_xor_b64 s[2:3], exec, s[2:3]
	s_cbranch_execz .LBB1683_151
; %bb.146:
	v_cmp_le_u32_e32 vcc, v14, v15
	s_and_saveexec_b64 s[4:5], vcc
	s_xor_b64 s[4:5], exec, s[4:5]
	s_cbranch_execz .LBB1683_148
; %bb.147:
	v_lshlrev_b32_e32 v15, 2, v0
	ds_read_b32 v15, v15 offset:1024
	v_add_co_u32_e32 v16, vcc, v1, v0
	v_addc_co_u32_e32 v17, vcc, 0, v8, vcc
	v_lshlrev_b64 v[16:17], 2, v[16:17]
	v_mov_b32_e32 v18, s9
	v_sub_co_u32_e32 v16, vcc, s8, v16
	v_subb_co_u32_e32 v17, vcc, v18, v17, vcc
	s_waitcnt lgkmcnt(0)
	global_store_dword v[16:17], v15, off offset:-1024
.LBB1683_148:
	s_andn2_saveexec_b64 s[4:5], s[4:5]
	s_cbranch_execz .LBB1683_150
; %bb.149:
	v_lshlrev_b32_e32 v15, 2, v0
	ds_read_b32 v16, v15 offset:1024
	v_readfirstlane_b32 s6, v10
	v_readfirstlane_b32 s7, v11
	s_waitcnt lgkmcnt(0)
	s_nop 3
	global_store_dword v15, v16, s[6:7] offset:1024
.LBB1683_150:
	s_or_b64 exec, exec, s[4:5]
.LBB1683_151:
	s_andn2_saveexec_b64 s[2:3], s[2:3]
	s_cbranch_execz .LBB1683_153
; %bb.152:
	v_lshlrev_b32_e32 v15, 2, v0
	ds_read_b32 v16, v15 offset:1024
	v_readfirstlane_b32 s4, v12
	v_readfirstlane_b32 s5, v13
	s_waitcnt lgkmcnt(0)
	s_nop 3
	global_store_dword v15, v16, s[4:5] offset:1024
.LBB1683_153:
	s_or_b64 exec, exec, s[2:3]
	v_or_b32_e32 v15, 0x200, v0
	v_cmp_le_u32_e32 vcc, v6, v15
	s_and_saveexec_b64 s[2:3], vcc
	s_xor_b64 s[2:3], exec, s[2:3]
	s_cbranch_execz .LBB1683_159
; %bb.154:
	v_cmp_le_u32_e32 vcc, v14, v15
	s_and_saveexec_b64 s[4:5], vcc
	s_xor_b64 s[4:5], exec, s[4:5]
	s_cbranch_execz .LBB1683_156
; %bb.155:
	v_lshlrev_b32_e32 v15, 2, v0
	ds_read_b32 v15, v15 offset:2048
	v_add_co_u32_e32 v16, vcc, v1, v0
	v_addc_co_u32_e32 v17, vcc, 0, v8, vcc
	v_lshlrev_b64 v[16:17], 2, v[16:17]
	v_mov_b32_e32 v18, s9
	v_sub_co_u32_e32 v16, vcc, s8, v16
	v_subb_co_u32_e32 v17, vcc, v18, v17, vcc
	s_waitcnt lgkmcnt(0)
	global_store_dword v[16:17], v15, off offset:-2048
.LBB1683_156:
	s_andn2_saveexec_b64 s[4:5], s[4:5]
	s_cbranch_execz .LBB1683_158
; %bb.157:
	v_lshlrev_b32_e32 v15, 2, v0
	ds_read_b32 v16, v15 offset:2048
	v_readfirstlane_b32 s6, v10
	v_readfirstlane_b32 s7, v11
	s_waitcnt lgkmcnt(0)
	s_nop 3
	global_store_dword v15, v16, s[6:7] offset:2048
.LBB1683_158:
	s_or_b64 exec, exec, s[4:5]
.LBB1683_159:
	s_andn2_saveexec_b64 s[2:3], s[2:3]
	s_cbranch_execz .LBB1683_161
; %bb.160:
	v_lshlrev_b32_e32 v15, 2, v0
	ds_read_b32 v16, v15 offset:2048
	v_readfirstlane_b32 s4, v12
	v_readfirstlane_b32 s5, v13
	s_waitcnt lgkmcnt(0)
	s_nop 3
	global_store_dword v15, v16, s[4:5] offset:2048
.LBB1683_161:
	;; [unrolled: 47-line block ×3, first 2 shown]
	s_or_b64 exec, exec, s[2:3]
	v_or_b32_e32 v15, 0x400, v0
	v_cmp_le_u32_e32 vcc, v6, v15
	s_and_saveexec_b64 s[2:3], vcc
	s_xor_b64 s[2:3], exec, s[2:3]
	s_cbranch_execz .LBB1683_175
; %bb.170:
	v_cmp_le_u32_e32 vcc, v14, v15
	s_and_saveexec_b64 s[4:5], vcc
	s_xor_b64 s[4:5], exec, s[4:5]
	s_cbranch_execz .LBB1683_172
; %bb.171:
	v_lshlrev_b32_e32 v15, 2, v0
	ds_read_b32 v15, v15 offset:4096
	v_add_co_u32_e32 v16, vcc, v1, v0
	v_addc_co_u32_e32 v17, vcc, 0, v8, vcc
	v_lshlrev_b64 v[16:17], 2, v[16:17]
	v_mov_b32_e32 v18, s9
	v_sub_co_u32_e32 v16, vcc, s8, v16
	v_subb_co_u32_e32 v17, vcc, v18, v17, vcc
	s_waitcnt lgkmcnt(0)
	global_store_dword v[16:17], v15, off offset:-4096
                                        ; implicit-def: $vgpr15
.LBB1683_172:
	s_andn2_saveexec_b64 s[4:5], s[4:5]
	s_cbranch_execz .LBB1683_174
; %bb.173:
	v_lshlrev_b32_e32 v16, 2, v0
	ds_read_b32 v16, v16 offset:4096
	v_lshlrev_b32_e32 v15, 2, v15
	v_readfirstlane_b32 s6, v10
	v_readfirstlane_b32 s7, v11
	s_waitcnt lgkmcnt(0)
	s_nop 3
	global_store_dword v15, v16, s[6:7]
.LBB1683_174:
	s_or_b64 exec, exec, s[4:5]
                                        ; implicit-def: $vgpr15
.LBB1683_175:
	s_andn2_saveexec_b64 s[2:3], s[2:3]
	s_cbranch_execz .LBB1683_177
; %bb.176:
	v_lshlrev_b32_e32 v16, 2, v0
	ds_read_b32 v16, v16 offset:4096
	v_lshlrev_b32_e32 v15, 2, v15
	v_readfirstlane_b32 s4, v12
	v_readfirstlane_b32 s5, v13
	s_waitcnt lgkmcnt(0)
	s_nop 3
	global_store_dword v15, v16, s[4:5]
.LBB1683_177:
	s_or_b64 exec, exec, s[2:3]
	v_or_b32_e32 v15, 0x500, v0
	v_cmp_le_u32_e32 vcc, v6, v15
	s_and_saveexec_b64 s[2:3], vcc
	s_xor_b64 s[2:3], exec, s[2:3]
	s_cbranch_execz .LBB1683_183
; %bb.178:
	v_cmp_le_u32_e32 vcc, v14, v15
	s_and_saveexec_b64 s[4:5], vcc
	s_xor_b64 s[4:5], exec, s[4:5]
	s_cbranch_execz .LBB1683_180
; %bb.179:
	v_add_co_u32_e32 v16, vcc, v1, v15
	v_lshlrev_b32_e32 v15, 2, v0
	ds_read_b32 v15, v15 offset:5120
	v_addc_co_u32_e32 v17, vcc, 0, v8, vcc
	v_lshlrev_b64 v[16:17], 2, v[16:17]
	v_mov_b32_e32 v18, s9
	v_sub_co_u32_e32 v16, vcc, s8, v16
	v_subb_co_u32_e32 v17, vcc, v18, v17, vcc
	s_waitcnt lgkmcnt(0)
	global_store_dword v[16:17], v15, off
                                        ; implicit-def: $vgpr15
.LBB1683_180:
	s_andn2_saveexec_b64 s[4:5], s[4:5]
	s_cbranch_execz .LBB1683_182
; %bb.181:
	v_lshlrev_b32_e32 v16, 2, v0
	ds_read_b32 v16, v16 offset:5120
	v_lshlrev_b32_e32 v15, 2, v15
	v_readfirstlane_b32 s6, v10
	v_readfirstlane_b32 s7, v11
	s_waitcnt lgkmcnt(0)
	s_nop 3
	global_store_dword v15, v16, s[6:7]
.LBB1683_182:
	s_or_b64 exec, exec, s[4:5]
                                        ; implicit-def: $vgpr15
.LBB1683_183:
	s_andn2_saveexec_b64 s[2:3], s[2:3]
	s_cbranch_execz .LBB1683_185
; %bb.184:
	v_lshlrev_b32_e32 v16, 2, v0
	ds_read_b32 v16, v16 offset:5120
	v_lshlrev_b32_e32 v15, 2, v15
	v_readfirstlane_b32 s4, v12
	v_readfirstlane_b32 s5, v13
	s_waitcnt lgkmcnt(0)
	s_nop 3
	global_store_dword v15, v16, s[4:5]
.LBB1683_185:
	s_or_b64 exec, exec, s[2:3]
	v_or_b32_e32 v15, 0x600, v0
	v_cmp_le_u32_e32 vcc, v6, v15
	s_and_saveexec_b64 s[2:3], vcc
	s_xor_b64 s[2:3], exec, s[2:3]
	s_cbranch_execz .LBB1683_191
; %bb.186:
	v_cmp_le_u32_e32 vcc, v14, v15
	s_and_saveexec_b64 s[4:5], vcc
	s_xor_b64 s[4:5], exec, s[4:5]
	s_cbranch_execz .LBB1683_188
; %bb.187:
	v_add_co_u32_e32 v16, vcc, v1, v15
	v_lshlrev_b32_e32 v15, 2, v0
	ds_read_b32 v15, v15 offset:6144
	v_addc_co_u32_e32 v17, vcc, 0, v8, vcc
	v_lshlrev_b64 v[16:17], 2, v[16:17]
	v_mov_b32_e32 v18, s9
	v_sub_co_u32_e32 v16, vcc, s8, v16
	v_subb_co_u32_e32 v17, vcc, v18, v17, vcc
	s_waitcnt lgkmcnt(0)
	global_store_dword v[16:17], v15, off
                                        ; implicit-def: $vgpr15
.LBB1683_188:
	s_andn2_saveexec_b64 s[4:5], s[4:5]
	s_cbranch_execz .LBB1683_190
; %bb.189:
	v_lshlrev_b32_e32 v16, 2, v0
	ds_read_b32 v16, v16 offset:6144
	v_lshlrev_b32_e32 v15, 2, v15
	v_readfirstlane_b32 s6, v10
	v_readfirstlane_b32 s7, v11
	s_waitcnt lgkmcnt(0)
	s_nop 3
	global_store_dword v15, v16, s[6:7]
.LBB1683_190:
	s_or_b64 exec, exec, s[4:5]
                                        ; implicit-def: $vgpr15
.LBB1683_191:
	;; [unrolled: 51-line block ×8, first 2 shown]
	s_andn2_saveexec_b64 s[2:3], s[2:3]
	s_cbranch_execz .LBB1683_241
; %bb.240:
	v_lshlrev_b32_e32 v16, 2, v0
	ds_read_b32 v16, v16 offset:12288
	v_lshlrev_b32_e32 v15, 2, v15
	v_readfirstlane_b32 s4, v12
	v_readfirstlane_b32 s5, v13
	s_waitcnt lgkmcnt(0)
	s_nop 3
	global_store_dword v15, v16, s[4:5]
.LBB1683_241:
	s_or_b64 exec, exec, s[2:3]
	s_branch .LBB1683_135
.LBB1683_242:
	v_cmp_gt_u32_e32 vcc, s16, v0
	s_and_saveexec_b64 s[2:3], vcc
	s_cbranch_execz .LBB1683_251
; %bb.243:
	v_cmp_le_u32_e32 vcc, v6, v0
	s_and_saveexec_b64 s[4:5], vcc
	s_xor_b64 s[4:5], exec, s[4:5]
	s_cbranch_execz .LBB1683_249
; %bb.244:
	v_cmp_le_u32_e32 vcc, v14, v0
	s_and_saveexec_b64 s[6:7], vcc
	s_xor_b64 s[6:7], exec, s[6:7]
	s_cbranch_execz .LBB1683_246
; %bb.245:
	v_lshlrev_b32_e32 v15, 2, v0
	v_add_co_u32_e32 v16, vcc, v1, v0
	ds_read_b32 v15, v15
	v_addc_co_u32_e32 v17, vcc, 0, v8, vcc
	v_lshlrev_b64 v[16:17], 2, v[16:17]
	v_mov_b32_e32 v18, s35
	v_sub_co_u32_e32 v16, vcc, s34, v16
	v_subb_co_u32_e32 v17, vcc, v18, v17, vcc
	s_waitcnt lgkmcnt(0)
	global_store_dword v[16:17], v15, off offset:-4
.LBB1683_246:
	s_andn2_saveexec_b64 s[6:7], s[6:7]
	s_cbranch_execz .LBB1683_248
; %bb.247:
	v_lshlrev_b32_e32 v15, 2, v0
	ds_read_b32 v16, v15
	v_readfirstlane_b32 s10, v10
	v_readfirstlane_b32 s11, v11
	s_waitcnt lgkmcnt(0)
	s_nop 3
	global_store_dword v15, v16, s[10:11]
.LBB1683_248:
	s_or_b64 exec, exec, s[6:7]
.LBB1683_249:
	s_andn2_saveexec_b64 s[4:5], s[4:5]
	s_cbranch_execz .LBB1683_251
; %bb.250:
	v_lshlrev_b32_e32 v15, 2, v0
	ds_read_b32 v16, v15
	v_readfirstlane_b32 s4, v12
	v_readfirstlane_b32 s5, v13
	s_waitcnt lgkmcnt(0)
	s_nop 3
	global_store_dword v15, v16, s[4:5]
.LBB1683_251:
	s_or_b64 exec, exec, s[2:3]
	v_or_b32_e32 v15, 0x100, v0
	v_cmp_gt_u32_e32 vcc, s16, v15
	s_and_saveexec_b64 s[2:3], vcc
	s_cbranch_execz .LBB1683_260
; %bb.252:
	v_cmp_le_u32_e32 vcc, v6, v15
	s_and_saveexec_b64 s[4:5], vcc
	s_xor_b64 s[4:5], exec, s[4:5]
	s_cbranch_execz .LBB1683_258
; %bb.253:
	v_cmp_le_u32_e32 vcc, v14, v15
	s_and_saveexec_b64 s[6:7], vcc
	s_xor_b64 s[6:7], exec, s[6:7]
	s_cbranch_execz .LBB1683_255
; %bb.254:
	v_lshlrev_b32_e32 v15, 2, v0
	ds_read_b32 v15, v15 offset:1024
	v_add_co_u32_e32 v16, vcc, v1, v0
	v_addc_co_u32_e32 v17, vcc, 0, v8, vcc
	v_lshlrev_b64 v[16:17], 2, v[16:17]
	v_mov_b32_e32 v18, s9
	v_sub_co_u32_e32 v16, vcc, s8, v16
	v_subb_co_u32_e32 v17, vcc, v18, v17, vcc
	s_waitcnt lgkmcnt(0)
	global_store_dword v[16:17], v15, off offset:-1024
.LBB1683_255:
	s_andn2_saveexec_b64 s[6:7], s[6:7]
	s_cbranch_execz .LBB1683_257
; %bb.256:
	v_lshlrev_b32_e32 v15, 2, v0
	ds_read_b32 v16, v15 offset:1024
	v_readfirstlane_b32 s10, v10
	v_readfirstlane_b32 s11, v11
	s_waitcnt lgkmcnt(0)
	s_nop 3
	global_store_dword v15, v16, s[10:11] offset:1024
.LBB1683_257:
	s_or_b64 exec, exec, s[6:7]
.LBB1683_258:
	s_andn2_saveexec_b64 s[4:5], s[4:5]
	s_cbranch_execz .LBB1683_260
; %bb.259:
	v_lshlrev_b32_e32 v15, 2, v0
	ds_read_b32 v16, v15 offset:1024
	v_readfirstlane_b32 s4, v12
	v_readfirstlane_b32 s5, v13
	s_waitcnt lgkmcnt(0)
	s_nop 3
	global_store_dword v15, v16, s[4:5] offset:1024
.LBB1683_260:
	s_or_b64 exec, exec, s[2:3]
	v_or_b32_e32 v15, 0x200, v0
	v_cmp_gt_u32_e32 vcc, s16, v15
	s_and_saveexec_b64 s[2:3], vcc
	s_cbranch_execz .LBB1683_269
; %bb.261:
	v_cmp_le_u32_e32 vcc, v6, v15
	s_and_saveexec_b64 s[4:5], vcc
	s_xor_b64 s[4:5], exec, s[4:5]
	s_cbranch_execz .LBB1683_267
; %bb.262:
	v_cmp_le_u32_e32 vcc, v14, v15
	s_and_saveexec_b64 s[6:7], vcc
	s_xor_b64 s[6:7], exec, s[6:7]
	s_cbranch_execz .LBB1683_264
; %bb.263:
	v_lshlrev_b32_e32 v15, 2, v0
	ds_read_b32 v15, v15 offset:2048
	v_add_co_u32_e32 v16, vcc, v1, v0
	v_addc_co_u32_e32 v17, vcc, 0, v8, vcc
	v_lshlrev_b64 v[16:17], 2, v[16:17]
	v_mov_b32_e32 v18, s9
	v_sub_co_u32_e32 v16, vcc, s8, v16
	v_subb_co_u32_e32 v17, vcc, v18, v17, vcc
	s_waitcnt lgkmcnt(0)
	global_store_dword v[16:17], v15, off offset:-2048
.LBB1683_264:
	s_andn2_saveexec_b64 s[6:7], s[6:7]
	s_cbranch_execz .LBB1683_266
; %bb.265:
	v_lshlrev_b32_e32 v15, 2, v0
	ds_read_b32 v16, v15 offset:2048
	v_readfirstlane_b32 s10, v10
	v_readfirstlane_b32 s11, v11
	s_waitcnt lgkmcnt(0)
	s_nop 3
	global_store_dword v15, v16, s[10:11] offset:2048
.LBB1683_266:
	s_or_b64 exec, exec, s[6:7]
.LBB1683_267:
	s_andn2_saveexec_b64 s[4:5], s[4:5]
	s_cbranch_execz .LBB1683_269
; %bb.268:
	v_lshlrev_b32_e32 v15, 2, v0
	ds_read_b32 v16, v15 offset:2048
	v_readfirstlane_b32 s4, v12
	v_readfirstlane_b32 s5, v13
	s_waitcnt lgkmcnt(0)
	s_nop 3
	global_store_dword v15, v16, s[4:5] offset:2048
.LBB1683_269:
	;; [unrolled: 51-line block ×3, first 2 shown]
	s_or_b64 exec, exec, s[2:3]
	v_or_b32_e32 v15, 0x400, v0
	v_cmp_gt_u32_e32 vcc, s16, v15
	s_and_saveexec_b64 s[2:3], vcc
	s_cbranch_execz .LBB1683_287
; %bb.279:
	v_cmp_le_u32_e32 vcc, v6, v15
	s_and_saveexec_b64 s[4:5], vcc
	s_xor_b64 s[4:5], exec, s[4:5]
	s_cbranch_execz .LBB1683_285
; %bb.280:
	v_cmp_le_u32_e32 vcc, v14, v15
	s_and_saveexec_b64 s[6:7], vcc
	s_xor_b64 s[6:7], exec, s[6:7]
	s_cbranch_execz .LBB1683_282
; %bb.281:
	v_lshlrev_b32_e32 v15, 2, v0
	ds_read_b32 v15, v15 offset:4096
	v_add_co_u32_e32 v16, vcc, v1, v0
	v_addc_co_u32_e32 v17, vcc, 0, v8, vcc
	v_lshlrev_b64 v[16:17], 2, v[16:17]
	v_mov_b32_e32 v18, s9
	v_sub_co_u32_e32 v16, vcc, s8, v16
	v_subb_co_u32_e32 v17, vcc, v18, v17, vcc
	s_waitcnt lgkmcnt(0)
	global_store_dword v[16:17], v15, off offset:-4096
                                        ; implicit-def: $vgpr15
.LBB1683_282:
	s_andn2_saveexec_b64 s[6:7], s[6:7]
	s_cbranch_execz .LBB1683_284
; %bb.283:
	v_lshlrev_b32_e32 v16, 2, v0
	ds_read_b32 v16, v16 offset:4096
	v_lshlrev_b32_e32 v15, 2, v15
	v_readfirstlane_b32 s10, v10
	v_readfirstlane_b32 s11, v11
	s_waitcnt lgkmcnt(0)
	s_nop 3
	global_store_dword v15, v16, s[10:11]
.LBB1683_284:
	s_or_b64 exec, exec, s[6:7]
                                        ; implicit-def: $vgpr15
.LBB1683_285:
	s_andn2_saveexec_b64 s[4:5], s[4:5]
	s_cbranch_execz .LBB1683_287
; %bb.286:
	v_lshlrev_b32_e32 v16, 2, v0
	ds_read_b32 v16, v16 offset:4096
	v_lshlrev_b32_e32 v15, 2, v15
	v_readfirstlane_b32 s4, v12
	v_readfirstlane_b32 s5, v13
	s_waitcnt lgkmcnt(0)
	s_nop 3
	global_store_dword v15, v16, s[4:5]
.LBB1683_287:
	s_or_b64 exec, exec, s[2:3]
	v_or_b32_e32 v15, 0x500, v0
	v_cmp_gt_u32_e32 vcc, s16, v15
	s_and_saveexec_b64 s[2:3], vcc
	s_cbranch_execz .LBB1683_296
; %bb.288:
	v_cmp_le_u32_e32 vcc, v6, v15
	s_and_saveexec_b64 s[4:5], vcc
	s_xor_b64 s[4:5], exec, s[4:5]
	s_cbranch_execz .LBB1683_294
; %bb.289:
	v_cmp_le_u32_e32 vcc, v14, v15
	s_and_saveexec_b64 s[6:7], vcc
	s_xor_b64 s[6:7], exec, s[6:7]
	s_cbranch_execz .LBB1683_291
; %bb.290:
	v_add_co_u32_e32 v16, vcc, v1, v15
	v_lshlrev_b32_e32 v15, 2, v0
	ds_read_b32 v15, v15 offset:5120
	v_addc_co_u32_e32 v17, vcc, 0, v8, vcc
	v_lshlrev_b64 v[16:17], 2, v[16:17]
	v_mov_b32_e32 v18, s9
	v_sub_co_u32_e32 v16, vcc, s8, v16
	v_subb_co_u32_e32 v17, vcc, v18, v17, vcc
	s_waitcnt lgkmcnt(0)
	global_store_dword v[16:17], v15, off
                                        ; implicit-def: $vgpr15
.LBB1683_291:
	s_andn2_saveexec_b64 s[6:7], s[6:7]
	s_cbranch_execz .LBB1683_293
; %bb.292:
	v_lshlrev_b32_e32 v16, 2, v0
	ds_read_b32 v16, v16 offset:5120
	v_lshlrev_b32_e32 v15, 2, v15
	v_readfirstlane_b32 s10, v10
	v_readfirstlane_b32 s11, v11
	s_waitcnt lgkmcnt(0)
	s_nop 3
	global_store_dword v15, v16, s[10:11]
.LBB1683_293:
	s_or_b64 exec, exec, s[6:7]
                                        ; implicit-def: $vgpr15
.LBB1683_294:
	s_andn2_saveexec_b64 s[4:5], s[4:5]
	s_cbranch_execz .LBB1683_296
; %bb.295:
	v_lshlrev_b32_e32 v16, 2, v0
	ds_read_b32 v16, v16 offset:5120
	v_lshlrev_b32_e32 v15, 2, v15
	v_readfirstlane_b32 s4, v12
	v_readfirstlane_b32 s5, v13
	s_waitcnt lgkmcnt(0)
	s_nop 3
	global_store_dword v15, v16, s[4:5]
.LBB1683_296:
	s_or_b64 exec, exec, s[2:3]
	v_or_b32_e32 v15, 0x600, v0
	v_cmp_gt_u32_e32 vcc, s16, v15
	s_and_saveexec_b64 s[2:3], vcc
	s_cbranch_execz .LBB1683_305
; %bb.297:
	v_cmp_le_u32_e32 vcc, v6, v15
	s_and_saveexec_b64 s[4:5], vcc
	s_xor_b64 s[4:5], exec, s[4:5]
	s_cbranch_execz .LBB1683_303
; %bb.298:
	v_cmp_le_u32_e32 vcc, v14, v15
	s_and_saveexec_b64 s[6:7], vcc
	s_xor_b64 s[6:7], exec, s[6:7]
	s_cbranch_execz .LBB1683_300
; %bb.299:
	v_add_co_u32_e32 v16, vcc, v1, v15
	v_lshlrev_b32_e32 v15, 2, v0
	ds_read_b32 v15, v15 offset:6144
	v_addc_co_u32_e32 v17, vcc, 0, v8, vcc
	v_lshlrev_b64 v[16:17], 2, v[16:17]
	v_mov_b32_e32 v18, s9
	v_sub_co_u32_e32 v16, vcc, s8, v16
	v_subb_co_u32_e32 v17, vcc, v18, v17, vcc
	s_waitcnt lgkmcnt(0)
	global_store_dword v[16:17], v15, off
                                        ; implicit-def: $vgpr15
.LBB1683_300:
	s_andn2_saveexec_b64 s[6:7], s[6:7]
	s_cbranch_execz .LBB1683_302
; %bb.301:
	v_lshlrev_b32_e32 v16, 2, v0
	ds_read_b32 v16, v16 offset:6144
	v_lshlrev_b32_e32 v15, 2, v15
	v_readfirstlane_b32 s10, v10
	v_readfirstlane_b32 s11, v11
	s_waitcnt lgkmcnt(0)
	s_nop 3
	global_store_dword v15, v16, s[10:11]
.LBB1683_302:
	s_or_b64 exec, exec, s[6:7]
                                        ; implicit-def: $vgpr15
.LBB1683_303:
	s_andn2_saveexec_b64 s[4:5], s[4:5]
	s_cbranch_execz .LBB1683_305
; %bb.304:
	v_lshlrev_b32_e32 v16, 2, v0
	ds_read_b32 v16, v16 offset:6144
	v_lshlrev_b32_e32 v15, 2, v15
	v_readfirstlane_b32 s4, v12
	v_readfirstlane_b32 s5, v13
	s_waitcnt lgkmcnt(0)
	s_nop 3
	global_store_dword v15, v16, s[4:5]
.LBB1683_305:
	;; [unrolled: 55-line block ×7, first 2 shown]
	s_or_b64 exec, exec, s[2:3]
	v_or_b32_e32 v15, 0xc00, v0
	v_cmp_gt_u32_e32 vcc, s16, v15
	s_and_saveexec_b64 s[2:3], vcc
	s_cbranch_execz .LBB1683_359
; %bb.351:
	v_cmp_le_u32_e32 vcc, v6, v15
	s_and_saveexec_b64 s[4:5], vcc
	s_xor_b64 s[4:5], exec, s[4:5]
	s_cbranch_execz .LBB1683_357
; %bb.352:
	v_cmp_le_u32_e32 vcc, v14, v15
	s_and_saveexec_b64 s[6:7], vcc
	s_xor_b64 s[6:7], exec, s[6:7]
	s_cbranch_execz .LBB1683_354
; %bb.353:
	v_add_co_u32_e32 v10, vcc, v1, v15
	v_lshlrev_b32_e32 v0, 2, v0
	v_addc_co_u32_e32 v11, vcc, 0, v8, vcc
	ds_read_b32 v8, v0 offset:12288
	v_lshlrev_b64 v[0:1], 2, v[10:11]
	v_mov_b32_e32 v10, s9
	v_sub_co_u32_e32 v0, vcc, s8, v0
	v_subb_co_u32_e32 v1, vcc, v10, v1, vcc
	s_waitcnt lgkmcnt(0)
	global_store_dword v[0:1], v8, off
                                        ; implicit-def: $vgpr0
                                        ; implicit-def: $vgpr15
                                        ; implicit-def: $vgpr10_vgpr11
.LBB1683_354:
	s_andn2_saveexec_b64 s[6:7], s[6:7]
	s_cbranch_execz .LBB1683_356
; %bb.355:
	v_lshlrev_b32_e32 v0, 2, v0
	ds_read_b32 v0, v0 offset:12288
	v_lshlrev_b32_e32 v1, 2, v15
	v_readfirstlane_b32 s8, v10
	v_readfirstlane_b32 s9, v11
	s_waitcnt lgkmcnt(0)
	s_nop 3
	global_store_dword v1, v0, s[8:9]
.LBB1683_356:
	s_or_b64 exec, exec, s[6:7]
                                        ; implicit-def: $vgpr0
                                        ; implicit-def: $vgpr15
                                        ; implicit-def: $vgpr12_vgpr13
.LBB1683_357:
	s_andn2_saveexec_b64 s[4:5], s[4:5]
	s_cbranch_execz .LBB1683_359
; %bb.358:
	v_lshlrev_b32_e32 v0, 2, v0
	ds_read_b32 v0, v0 offset:12288
	v_lshlrev_b32_e32 v1, 2, v15
	v_readfirstlane_b32 s4, v12
	v_readfirstlane_b32 s5, v13
	s_waitcnt lgkmcnt(0)
	s_nop 3
	global_store_dword v1, v0, s[4:5]
.LBB1683_359:
	s_or_b64 exec, exec, s[2:3]
	s_and_b64 s[0:1], s[0:1], s[30:31]
	s_and_saveexec_b64 s[2:3], s[0:1]
	s_cbranch_execz .LBB1683_136
.LBB1683_360:
	v_add_co_u32_e32 v0, vcc, v2, v6
	v_addc_co_u32_e32 v1, vcc, 0, v3, vcc
	v_add_co_u32_e32 v2, vcc, v4, v7
	v_addc_co_u32_e32 v3, vcc, 0, v5, vcc
	v_add_co_u32_e32 v2, vcc, v2, v9
	v_mov_b32_e32 v8, 0
	v_addc_co_u32_e32 v3, vcc, 0, v3, vcc
	global_store_dwordx4 v8, v[0:3], s[28:29]
	s_endpgm
	.section	.rodata,"a",@progbits
	.p2align	6, 0x0
	.amdhsa_kernel _ZN7rocprim17ROCPRIM_400000_NS6detail17trampoline_kernelINS0_13select_configILj256ELj13ELNS0_17block_load_methodE3ELS4_3ELS4_3ELNS0_20block_scan_algorithmE0ELj4294967295EEENS1_25partition_config_selectorILNS1_17partition_subalgoE4EjNS0_10empty_typeEbEEZZNS1_14partition_implILS8_4ELb0ES6_15HIP_vector_typeIjLj2EENS0_17counting_iteratorIjlEEPS9_SG_NS0_5tupleIJPjSI_NS0_16reverse_iteratorISI_EEEEENSH_IJSG_SG_SG_EEES9_SI_JZNS1_25segmented_radix_sort_implINS0_14default_configELb1EPK6__halfPSP_PKlPlN2at6native12_GLOBAL__N_18offset_tEEE10hipError_tPvRmT1_PNSt15iterator_traitsIS13_E10value_typeET2_T3_PNS14_IS19_E10value_typeET4_jRbjT5_S1F_jjP12ihipStream_tbEUljE_ZNSN_ISO_Lb1ESR_SS_SU_SV_SZ_EES10_S11_S12_S13_S17_S18_S19_S1C_S1D_jS1E_jS1F_S1F_jjS1H_bEUljE0_EEES10_S11_S12_S19_S1D_S1F_T6_T7_T9_mT8_S1H_bDpT10_ENKUlT_T0_E_clISt17integral_constantIbLb1EES1V_EEDaS1Q_S1R_EUlS1Q_E_NS1_11comp_targetILNS1_3genE4ELNS1_11target_archE910ELNS1_3gpuE8ELNS1_3repE0EEENS1_30default_config_static_selectorELNS0_4arch9wavefront6targetE1EEEvS13_
		.amdhsa_group_segment_fixed_size 13340
		.amdhsa_private_segment_fixed_size 0
		.amdhsa_kernarg_size 184
		.amdhsa_user_sgpr_count 6
		.amdhsa_user_sgpr_private_segment_buffer 1
		.amdhsa_user_sgpr_dispatch_ptr 0
		.amdhsa_user_sgpr_queue_ptr 0
		.amdhsa_user_sgpr_kernarg_segment_ptr 1
		.amdhsa_user_sgpr_dispatch_id 0
		.amdhsa_user_sgpr_flat_scratch_init 0
		.amdhsa_user_sgpr_kernarg_preload_length 0
		.amdhsa_user_sgpr_kernarg_preload_offset 0
		.amdhsa_user_sgpr_private_segment_size 0
		.amdhsa_uses_dynamic_stack 0
		.amdhsa_system_sgpr_private_segment_wavefront_offset 0
		.amdhsa_system_sgpr_workgroup_id_x 1
		.amdhsa_system_sgpr_workgroup_id_y 0
		.amdhsa_system_sgpr_workgroup_id_z 0
		.amdhsa_system_sgpr_workgroup_info 0
		.amdhsa_system_vgpr_workitem_id 0
		.amdhsa_next_free_vgpr 107
		.amdhsa_next_free_sgpr 87
		.amdhsa_accum_offset 108
		.amdhsa_reserve_vcc 1
		.amdhsa_reserve_flat_scratch 0
		.amdhsa_float_round_mode_32 0
		.amdhsa_float_round_mode_16_64 0
		.amdhsa_float_denorm_mode_32 3
		.amdhsa_float_denorm_mode_16_64 3
		.amdhsa_dx10_clamp 1
		.amdhsa_ieee_mode 1
		.amdhsa_fp16_overflow 0
		.amdhsa_tg_split 0
		.amdhsa_exception_fp_ieee_invalid_op 0
		.amdhsa_exception_fp_denorm_src 0
		.amdhsa_exception_fp_ieee_div_zero 0
		.amdhsa_exception_fp_ieee_overflow 0
		.amdhsa_exception_fp_ieee_underflow 0
		.amdhsa_exception_fp_ieee_inexact 0
		.amdhsa_exception_int_div_zero 0
	.end_amdhsa_kernel
	.section	.text._ZN7rocprim17ROCPRIM_400000_NS6detail17trampoline_kernelINS0_13select_configILj256ELj13ELNS0_17block_load_methodE3ELS4_3ELS4_3ELNS0_20block_scan_algorithmE0ELj4294967295EEENS1_25partition_config_selectorILNS1_17partition_subalgoE4EjNS0_10empty_typeEbEEZZNS1_14partition_implILS8_4ELb0ES6_15HIP_vector_typeIjLj2EENS0_17counting_iteratorIjlEEPS9_SG_NS0_5tupleIJPjSI_NS0_16reverse_iteratorISI_EEEEENSH_IJSG_SG_SG_EEES9_SI_JZNS1_25segmented_radix_sort_implINS0_14default_configELb1EPK6__halfPSP_PKlPlN2at6native12_GLOBAL__N_18offset_tEEE10hipError_tPvRmT1_PNSt15iterator_traitsIS13_E10value_typeET2_T3_PNS14_IS19_E10value_typeET4_jRbjT5_S1F_jjP12ihipStream_tbEUljE_ZNSN_ISO_Lb1ESR_SS_SU_SV_SZ_EES10_S11_S12_S13_S17_S18_S19_S1C_S1D_jS1E_jS1F_S1F_jjS1H_bEUljE0_EEES10_S11_S12_S19_S1D_S1F_T6_T7_T9_mT8_S1H_bDpT10_ENKUlT_T0_E_clISt17integral_constantIbLb1EES1V_EEDaS1Q_S1R_EUlS1Q_E_NS1_11comp_targetILNS1_3genE4ELNS1_11target_archE910ELNS1_3gpuE8ELNS1_3repE0EEENS1_30default_config_static_selectorELNS0_4arch9wavefront6targetE1EEEvS13_,"axG",@progbits,_ZN7rocprim17ROCPRIM_400000_NS6detail17trampoline_kernelINS0_13select_configILj256ELj13ELNS0_17block_load_methodE3ELS4_3ELS4_3ELNS0_20block_scan_algorithmE0ELj4294967295EEENS1_25partition_config_selectorILNS1_17partition_subalgoE4EjNS0_10empty_typeEbEEZZNS1_14partition_implILS8_4ELb0ES6_15HIP_vector_typeIjLj2EENS0_17counting_iteratorIjlEEPS9_SG_NS0_5tupleIJPjSI_NS0_16reverse_iteratorISI_EEEEENSH_IJSG_SG_SG_EEES9_SI_JZNS1_25segmented_radix_sort_implINS0_14default_configELb1EPK6__halfPSP_PKlPlN2at6native12_GLOBAL__N_18offset_tEEE10hipError_tPvRmT1_PNSt15iterator_traitsIS13_E10value_typeET2_T3_PNS14_IS19_E10value_typeET4_jRbjT5_S1F_jjP12ihipStream_tbEUljE_ZNSN_ISO_Lb1ESR_SS_SU_SV_SZ_EES10_S11_S12_S13_S17_S18_S19_S1C_S1D_jS1E_jS1F_S1F_jjS1H_bEUljE0_EEES10_S11_S12_S19_S1D_S1F_T6_T7_T9_mT8_S1H_bDpT10_ENKUlT_T0_E_clISt17integral_constantIbLb1EES1V_EEDaS1Q_S1R_EUlS1Q_E_NS1_11comp_targetILNS1_3genE4ELNS1_11target_archE910ELNS1_3gpuE8ELNS1_3repE0EEENS1_30default_config_static_selectorELNS0_4arch9wavefront6targetE1EEEvS13_,comdat
.Lfunc_end1683:
	.size	_ZN7rocprim17ROCPRIM_400000_NS6detail17trampoline_kernelINS0_13select_configILj256ELj13ELNS0_17block_load_methodE3ELS4_3ELS4_3ELNS0_20block_scan_algorithmE0ELj4294967295EEENS1_25partition_config_selectorILNS1_17partition_subalgoE4EjNS0_10empty_typeEbEEZZNS1_14partition_implILS8_4ELb0ES6_15HIP_vector_typeIjLj2EENS0_17counting_iteratorIjlEEPS9_SG_NS0_5tupleIJPjSI_NS0_16reverse_iteratorISI_EEEEENSH_IJSG_SG_SG_EEES9_SI_JZNS1_25segmented_radix_sort_implINS0_14default_configELb1EPK6__halfPSP_PKlPlN2at6native12_GLOBAL__N_18offset_tEEE10hipError_tPvRmT1_PNSt15iterator_traitsIS13_E10value_typeET2_T3_PNS14_IS19_E10value_typeET4_jRbjT5_S1F_jjP12ihipStream_tbEUljE_ZNSN_ISO_Lb1ESR_SS_SU_SV_SZ_EES10_S11_S12_S13_S17_S18_S19_S1C_S1D_jS1E_jS1F_S1F_jjS1H_bEUljE0_EEES10_S11_S12_S19_S1D_S1F_T6_T7_T9_mT8_S1H_bDpT10_ENKUlT_T0_E_clISt17integral_constantIbLb1EES1V_EEDaS1Q_S1R_EUlS1Q_E_NS1_11comp_targetILNS1_3genE4ELNS1_11target_archE910ELNS1_3gpuE8ELNS1_3repE0EEENS1_30default_config_static_selectorELNS0_4arch9wavefront6targetE1EEEvS13_, .Lfunc_end1683-_ZN7rocprim17ROCPRIM_400000_NS6detail17trampoline_kernelINS0_13select_configILj256ELj13ELNS0_17block_load_methodE3ELS4_3ELS4_3ELNS0_20block_scan_algorithmE0ELj4294967295EEENS1_25partition_config_selectorILNS1_17partition_subalgoE4EjNS0_10empty_typeEbEEZZNS1_14partition_implILS8_4ELb0ES6_15HIP_vector_typeIjLj2EENS0_17counting_iteratorIjlEEPS9_SG_NS0_5tupleIJPjSI_NS0_16reverse_iteratorISI_EEEEENSH_IJSG_SG_SG_EEES9_SI_JZNS1_25segmented_radix_sort_implINS0_14default_configELb1EPK6__halfPSP_PKlPlN2at6native12_GLOBAL__N_18offset_tEEE10hipError_tPvRmT1_PNSt15iterator_traitsIS13_E10value_typeET2_T3_PNS14_IS19_E10value_typeET4_jRbjT5_S1F_jjP12ihipStream_tbEUljE_ZNSN_ISO_Lb1ESR_SS_SU_SV_SZ_EES10_S11_S12_S13_S17_S18_S19_S1C_S1D_jS1E_jS1F_S1F_jjS1H_bEUljE0_EEES10_S11_S12_S19_S1D_S1F_T6_T7_T9_mT8_S1H_bDpT10_ENKUlT_T0_E_clISt17integral_constantIbLb1EES1V_EEDaS1Q_S1R_EUlS1Q_E_NS1_11comp_targetILNS1_3genE4ELNS1_11target_archE910ELNS1_3gpuE8ELNS1_3repE0EEENS1_30default_config_static_selectorELNS0_4arch9wavefront6targetE1EEEvS13_
                                        ; -- End function
	.section	.AMDGPU.csdata,"",@progbits
; Kernel info:
; codeLenInByte = 13512
; NumSgprs: 91
; NumVgprs: 107
; NumAgprs: 0
; TotalNumVgprs: 107
; ScratchSize: 0
; MemoryBound: 0
; FloatMode: 240
; IeeeMode: 1
; LDSByteSize: 13340 bytes/workgroup (compile time only)
; SGPRBlocks: 11
; VGPRBlocks: 13
; NumSGPRsForWavesPerEU: 91
; NumVGPRsForWavesPerEU: 107
; AccumOffset: 108
; Occupancy: 4
; WaveLimiterHint : 1
; COMPUTE_PGM_RSRC2:SCRATCH_EN: 0
; COMPUTE_PGM_RSRC2:USER_SGPR: 6
; COMPUTE_PGM_RSRC2:TRAP_HANDLER: 0
; COMPUTE_PGM_RSRC2:TGID_X_EN: 1
; COMPUTE_PGM_RSRC2:TGID_Y_EN: 0
; COMPUTE_PGM_RSRC2:TGID_Z_EN: 0
; COMPUTE_PGM_RSRC2:TIDIG_COMP_CNT: 0
; COMPUTE_PGM_RSRC3_GFX90A:ACCUM_OFFSET: 26
; COMPUTE_PGM_RSRC3_GFX90A:TG_SPLIT: 0
	.section	.text._ZN7rocprim17ROCPRIM_400000_NS6detail17trampoline_kernelINS0_13select_configILj256ELj13ELNS0_17block_load_methodE3ELS4_3ELS4_3ELNS0_20block_scan_algorithmE0ELj4294967295EEENS1_25partition_config_selectorILNS1_17partition_subalgoE4EjNS0_10empty_typeEbEEZZNS1_14partition_implILS8_4ELb0ES6_15HIP_vector_typeIjLj2EENS0_17counting_iteratorIjlEEPS9_SG_NS0_5tupleIJPjSI_NS0_16reverse_iteratorISI_EEEEENSH_IJSG_SG_SG_EEES9_SI_JZNS1_25segmented_radix_sort_implINS0_14default_configELb1EPK6__halfPSP_PKlPlN2at6native12_GLOBAL__N_18offset_tEEE10hipError_tPvRmT1_PNSt15iterator_traitsIS13_E10value_typeET2_T3_PNS14_IS19_E10value_typeET4_jRbjT5_S1F_jjP12ihipStream_tbEUljE_ZNSN_ISO_Lb1ESR_SS_SU_SV_SZ_EES10_S11_S12_S13_S17_S18_S19_S1C_S1D_jS1E_jS1F_S1F_jjS1H_bEUljE0_EEES10_S11_S12_S19_S1D_S1F_T6_T7_T9_mT8_S1H_bDpT10_ENKUlT_T0_E_clISt17integral_constantIbLb1EES1V_EEDaS1Q_S1R_EUlS1Q_E_NS1_11comp_targetILNS1_3genE3ELNS1_11target_archE908ELNS1_3gpuE7ELNS1_3repE0EEENS1_30default_config_static_selectorELNS0_4arch9wavefront6targetE1EEEvS13_,"axG",@progbits,_ZN7rocprim17ROCPRIM_400000_NS6detail17trampoline_kernelINS0_13select_configILj256ELj13ELNS0_17block_load_methodE3ELS4_3ELS4_3ELNS0_20block_scan_algorithmE0ELj4294967295EEENS1_25partition_config_selectorILNS1_17partition_subalgoE4EjNS0_10empty_typeEbEEZZNS1_14partition_implILS8_4ELb0ES6_15HIP_vector_typeIjLj2EENS0_17counting_iteratorIjlEEPS9_SG_NS0_5tupleIJPjSI_NS0_16reverse_iteratorISI_EEEEENSH_IJSG_SG_SG_EEES9_SI_JZNS1_25segmented_radix_sort_implINS0_14default_configELb1EPK6__halfPSP_PKlPlN2at6native12_GLOBAL__N_18offset_tEEE10hipError_tPvRmT1_PNSt15iterator_traitsIS13_E10value_typeET2_T3_PNS14_IS19_E10value_typeET4_jRbjT5_S1F_jjP12ihipStream_tbEUljE_ZNSN_ISO_Lb1ESR_SS_SU_SV_SZ_EES10_S11_S12_S13_S17_S18_S19_S1C_S1D_jS1E_jS1F_S1F_jjS1H_bEUljE0_EEES10_S11_S12_S19_S1D_S1F_T6_T7_T9_mT8_S1H_bDpT10_ENKUlT_T0_E_clISt17integral_constantIbLb1EES1V_EEDaS1Q_S1R_EUlS1Q_E_NS1_11comp_targetILNS1_3genE3ELNS1_11target_archE908ELNS1_3gpuE7ELNS1_3repE0EEENS1_30default_config_static_selectorELNS0_4arch9wavefront6targetE1EEEvS13_,comdat
	.globl	_ZN7rocprim17ROCPRIM_400000_NS6detail17trampoline_kernelINS0_13select_configILj256ELj13ELNS0_17block_load_methodE3ELS4_3ELS4_3ELNS0_20block_scan_algorithmE0ELj4294967295EEENS1_25partition_config_selectorILNS1_17partition_subalgoE4EjNS0_10empty_typeEbEEZZNS1_14partition_implILS8_4ELb0ES6_15HIP_vector_typeIjLj2EENS0_17counting_iteratorIjlEEPS9_SG_NS0_5tupleIJPjSI_NS0_16reverse_iteratorISI_EEEEENSH_IJSG_SG_SG_EEES9_SI_JZNS1_25segmented_radix_sort_implINS0_14default_configELb1EPK6__halfPSP_PKlPlN2at6native12_GLOBAL__N_18offset_tEEE10hipError_tPvRmT1_PNSt15iterator_traitsIS13_E10value_typeET2_T3_PNS14_IS19_E10value_typeET4_jRbjT5_S1F_jjP12ihipStream_tbEUljE_ZNSN_ISO_Lb1ESR_SS_SU_SV_SZ_EES10_S11_S12_S13_S17_S18_S19_S1C_S1D_jS1E_jS1F_S1F_jjS1H_bEUljE0_EEES10_S11_S12_S19_S1D_S1F_T6_T7_T9_mT8_S1H_bDpT10_ENKUlT_T0_E_clISt17integral_constantIbLb1EES1V_EEDaS1Q_S1R_EUlS1Q_E_NS1_11comp_targetILNS1_3genE3ELNS1_11target_archE908ELNS1_3gpuE7ELNS1_3repE0EEENS1_30default_config_static_selectorELNS0_4arch9wavefront6targetE1EEEvS13_ ; -- Begin function _ZN7rocprim17ROCPRIM_400000_NS6detail17trampoline_kernelINS0_13select_configILj256ELj13ELNS0_17block_load_methodE3ELS4_3ELS4_3ELNS0_20block_scan_algorithmE0ELj4294967295EEENS1_25partition_config_selectorILNS1_17partition_subalgoE4EjNS0_10empty_typeEbEEZZNS1_14partition_implILS8_4ELb0ES6_15HIP_vector_typeIjLj2EENS0_17counting_iteratorIjlEEPS9_SG_NS0_5tupleIJPjSI_NS0_16reverse_iteratorISI_EEEEENSH_IJSG_SG_SG_EEES9_SI_JZNS1_25segmented_radix_sort_implINS0_14default_configELb1EPK6__halfPSP_PKlPlN2at6native12_GLOBAL__N_18offset_tEEE10hipError_tPvRmT1_PNSt15iterator_traitsIS13_E10value_typeET2_T3_PNS14_IS19_E10value_typeET4_jRbjT5_S1F_jjP12ihipStream_tbEUljE_ZNSN_ISO_Lb1ESR_SS_SU_SV_SZ_EES10_S11_S12_S13_S17_S18_S19_S1C_S1D_jS1E_jS1F_S1F_jjS1H_bEUljE0_EEES10_S11_S12_S19_S1D_S1F_T6_T7_T9_mT8_S1H_bDpT10_ENKUlT_T0_E_clISt17integral_constantIbLb1EES1V_EEDaS1Q_S1R_EUlS1Q_E_NS1_11comp_targetILNS1_3genE3ELNS1_11target_archE908ELNS1_3gpuE7ELNS1_3repE0EEENS1_30default_config_static_selectorELNS0_4arch9wavefront6targetE1EEEvS13_
	.p2align	8
	.type	_ZN7rocprim17ROCPRIM_400000_NS6detail17trampoline_kernelINS0_13select_configILj256ELj13ELNS0_17block_load_methodE3ELS4_3ELS4_3ELNS0_20block_scan_algorithmE0ELj4294967295EEENS1_25partition_config_selectorILNS1_17partition_subalgoE4EjNS0_10empty_typeEbEEZZNS1_14partition_implILS8_4ELb0ES6_15HIP_vector_typeIjLj2EENS0_17counting_iteratorIjlEEPS9_SG_NS0_5tupleIJPjSI_NS0_16reverse_iteratorISI_EEEEENSH_IJSG_SG_SG_EEES9_SI_JZNS1_25segmented_radix_sort_implINS0_14default_configELb1EPK6__halfPSP_PKlPlN2at6native12_GLOBAL__N_18offset_tEEE10hipError_tPvRmT1_PNSt15iterator_traitsIS13_E10value_typeET2_T3_PNS14_IS19_E10value_typeET4_jRbjT5_S1F_jjP12ihipStream_tbEUljE_ZNSN_ISO_Lb1ESR_SS_SU_SV_SZ_EES10_S11_S12_S13_S17_S18_S19_S1C_S1D_jS1E_jS1F_S1F_jjS1H_bEUljE0_EEES10_S11_S12_S19_S1D_S1F_T6_T7_T9_mT8_S1H_bDpT10_ENKUlT_T0_E_clISt17integral_constantIbLb1EES1V_EEDaS1Q_S1R_EUlS1Q_E_NS1_11comp_targetILNS1_3genE3ELNS1_11target_archE908ELNS1_3gpuE7ELNS1_3repE0EEENS1_30default_config_static_selectorELNS0_4arch9wavefront6targetE1EEEvS13_,@function
_ZN7rocprim17ROCPRIM_400000_NS6detail17trampoline_kernelINS0_13select_configILj256ELj13ELNS0_17block_load_methodE3ELS4_3ELS4_3ELNS0_20block_scan_algorithmE0ELj4294967295EEENS1_25partition_config_selectorILNS1_17partition_subalgoE4EjNS0_10empty_typeEbEEZZNS1_14partition_implILS8_4ELb0ES6_15HIP_vector_typeIjLj2EENS0_17counting_iteratorIjlEEPS9_SG_NS0_5tupleIJPjSI_NS0_16reverse_iteratorISI_EEEEENSH_IJSG_SG_SG_EEES9_SI_JZNS1_25segmented_radix_sort_implINS0_14default_configELb1EPK6__halfPSP_PKlPlN2at6native12_GLOBAL__N_18offset_tEEE10hipError_tPvRmT1_PNSt15iterator_traitsIS13_E10value_typeET2_T3_PNS14_IS19_E10value_typeET4_jRbjT5_S1F_jjP12ihipStream_tbEUljE_ZNSN_ISO_Lb1ESR_SS_SU_SV_SZ_EES10_S11_S12_S13_S17_S18_S19_S1C_S1D_jS1E_jS1F_S1F_jjS1H_bEUljE0_EEES10_S11_S12_S19_S1D_S1F_T6_T7_T9_mT8_S1H_bDpT10_ENKUlT_T0_E_clISt17integral_constantIbLb1EES1V_EEDaS1Q_S1R_EUlS1Q_E_NS1_11comp_targetILNS1_3genE3ELNS1_11target_archE908ELNS1_3gpuE7ELNS1_3repE0EEENS1_30default_config_static_selectorELNS0_4arch9wavefront6targetE1EEEvS13_: ; @_ZN7rocprim17ROCPRIM_400000_NS6detail17trampoline_kernelINS0_13select_configILj256ELj13ELNS0_17block_load_methodE3ELS4_3ELS4_3ELNS0_20block_scan_algorithmE0ELj4294967295EEENS1_25partition_config_selectorILNS1_17partition_subalgoE4EjNS0_10empty_typeEbEEZZNS1_14partition_implILS8_4ELb0ES6_15HIP_vector_typeIjLj2EENS0_17counting_iteratorIjlEEPS9_SG_NS0_5tupleIJPjSI_NS0_16reverse_iteratorISI_EEEEENSH_IJSG_SG_SG_EEES9_SI_JZNS1_25segmented_radix_sort_implINS0_14default_configELb1EPK6__halfPSP_PKlPlN2at6native12_GLOBAL__N_18offset_tEEE10hipError_tPvRmT1_PNSt15iterator_traitsIS13_E10value_typeET2_T3_PNS14_IS19_E10value_typeET4_jRbjT5_S1F_jjP12ihipStream_tbEUljE_ZNSN_ISO_Lb1ESR_SS_SU_SV_SZ_EES10_S11_S12_S13_S17_S18_S19_S1C_S1D_jS1E_jS1F_S1F_jjS1H_bEUljE0_EEES10_S11_S12_S19_S1D_S1F_T6_T7_T9_mT8_S1H_bDpT10_ENKUlT_T0_E_clISt17integral_constantIbLb1EES1V_EEDaS1Q_S1R_EUlS1Q_E_NS1_11comp_targetILNS1_3genE3ELNS1_11target_archE908ELNS1_3gpuE7ELNS1_3repE0EEENS1_30default_config_static_selectorELNS0_4arch9wavefront6targetE1EEEvS13_
; %bb.0:
	.section	.rodata,"a",@progbits
	.p2align	6, 0x0
	.amdhsa_kernel _ZN7rocprim17ROCPRIM_400000_NS6detail17trampoline_kernelINS0_13select_configILj256ELj13ELNS0_17block_load_methodE3ELS4_3ELS4_3ELNS0_20block_scan_algorithmE0ELj4294967295EEENS1_25partition_config_selectorILNS1_17partition_subalgoE4EjNS0_10empty_typeEbEEZZNS1_14partition_implILS8_4ELb0ES6_15HIP_vector_typeIjLj2EENS0_17counting_iteratorIjlEEPS9_SG_NS0_5tupleIJPjSI_NS0_16reverse_iteratorISI_EEEEENSH_IJSG_SG_SG_EEES9_SI_JZNS1_25segmented_radix_sort_implINS0_14default_configELb1EPK6__halfPSP_PKlPlN2at6native12_GLOBAL__N_18offset_tEEE10hipError_tPvRmT1_PNSt15iterator_traitsIS13_E10value_typeET2_T3_PNS14_IS19_E10value_typeET4_jRbjT5_S1F_jjP12ihipStream_tbEUljE_ZNSN_ISO_Lb1ESR_SS_SU_SV_SZ_EES10_S11_S12_S13_S17_S18_S19_S1C_S1D_jS1E_jS1F_S1F_jjS1H_bEUljE0_EEES10_S11_S12_S19_S1D_S1F_T6_T7_T9_mT8_S1H_bDpT10_ENKUlT_T0_E_clISt17integral_constantIbLb1EES1V_EEDaS1Q_S1R_EUlS1Q_E_NS1_11comp_targetILNS1_3genE3ELNS1_11target_archE908ELNS1_3gpuE7ELNS1_3repE0EEENS1_30default_config_static_selectorELNS0_4arch9wavefront6targetE1EEEvS13_
		.amdhsa_group_segment_fixed_size 0
		.amdhsa_private_segment_fixed_size 0
		.amdhsa_kernarg_size 184
		.amdhsa_user_sgpr_count 6
		.amdhsa_user_sgpr_private_segment_buffer 1
		.amdhsa_user_sgpr_dispatch_ptr 0
		.amdhsa_user_sgpr_queue_ptr 0
		.amdhsa_user_sgpr_kernarg_segment_ptr 1
		.amdhsa_user_sgpr_dispatch_id 0
		.amdhsa_user_sgpr_flat_scratch_init 0
		.amdhsa_user_sgpr_kernarg_preload_length 0
		.amdhsa_user_sgpr_kernarg_preload_offset 0
		.amdhsa_user_sgpr_private_segment_size 0
		.amdhsa_uses_dynamic_stack 0
		.amdhsa_system_sgpr_private_segment_wavefront_offset 0
		.amdhsa_system_sgpr_workgroup_id_x 1
		.amdhsa_system_sgpr_workgroup_id_y 0
		.amdhsa_system_sgpr_workgroup_id_z 0
		.amdhsa_system_sgpr_workgroup_info 0
		.amdhsa_system_vgpr_workitem_id 0
		.amdhsa_next_free_vgpr 1
		.amdhsa_next_free_sgpr 0
		.amdhsa_accum_offset 4
		.amdhsa_reserve_vcc 0
		.amdhsa_reserve_flat_scratch 0
		.amdhsa_float_round_mode_32 0
		.amdhsa_float_round_mode_16_64 0
		.amdhsa_float_denorm_mode_32 3
		.amdhsa_float_denorm_mode_16_64 3
		.amdhsa_dx10_clamp 1
		.amdhsa_ieee_mode 1
		.amdhsa_fp16_overflow 0
		.amdhsa_tg_split 0
		.amdhsa_exception_fp_ieee_invalid_op 0
		.amdhsa_exception_fp_denorm_src 0
		.amdhsa_exception_fp_ieee_div_zero 0
		.amdhsa_exception_fp_ieee_overflow 0
		.amdhsa_exception_fp_ieee_underflow 0
		.amdhsa_exception_fp_ieee_inexact 0
		.amdhsa_exception_int_div_zero 0
	.end_amdhsa_kernel
	.section	.text._ZN7rocprim17ROCPRIM_400000_NS6detail17trampoline_kernelINS0_13select_configILj256ELj13ELNS0_17block_load_methodE3ELS4_3ELS4_3ELNS0_20block_scan_algorithmE0ELj4294967295EEENS1_25partition_config_selectorILNS1_17partition_subalgoE4EjNS0_10empty_typeEbEEZZNS1_14partition_implILS8_4ELb0ES6_15HIP_vector_typeIjLj2EENS0_17counting_iteratorIjlEEPS9_SG_NS0_5tupleIJPjSI_NS0_16reverse_iteratorISI_EEEEENSH_IJSG_SG_SG_EEES9_SI_JZNS1_25segmented_radix_sort_implINS0_14default_configELb1EPK6__halfPSP_PKlPlN2at6native12_GLOBAL__N_18offset_tEEE10hipError_tPvRmT1_PNSt15iterator_traitsIS13_E10value_typeET2_T3_PNS14_IS19_E10value_typeET4_jRbjT5_S1F_jjP12ihipStream_tbEUljE_ZNSN_ISO_Lb1ESR_SS_SU_SV_SZ_EES10_S11_S12_S13_S17_S18_S19_S1C_S1D_jS1E_jS1F_S1F_jjS1H_bEUljE0_EEES10_S11_S12_S19_S1D_S1F_T6_T7_T9_mT8_S1H_bDpT10_ENKUlT_T0_E_clISt17integral_constantIbLb1EES1V_EEDaS1Q_S1R_EUlS1Q_E_NS1_11comp_targetILNS1_3genE3ELNS1_11target_archE908ELNS1_3gpuE7ELNS1_3repE0EEENS1_30default_config_static_selectorELNS0_4arch9wavefront6targetE1EEEvS13_,"axG",@progbits,_ZN7rocprim17ROCPRIM_400000_NS6detail17trampoline_kernelINS0_13select_configILj256ELj13ELNS0_17block_load_methodE3ELS4_3ELS4_3ELNS0_20block_scan_algorithmE0ELj4294967295EEENS1_25partition_config_selectorILNS1_17partition_subalgoE4EjNS0_10empty_typeEbEEZZNS1_14partition_implILS8_4ELb0ES6_15HIP_vector_typeIjLj2EENS0_17counting_iteratorIjlEEPS9_SG_NS0_5tupleIJPjSI_NS0_16reverse_iteratorISI_EEEEENSH_IJSG_SG_SG_EEES9_SI_JZNS1_25segmented_radix_sort_implINS0_14default_configELb1EPK6__halfPSP_PKlPlN2at6native12_GLOBAL__N_18offset_tEEE10hipError_tPvRmT1_PNSt15iterator_traitsIS13_E10value_typeET2_T3_PNS14_IS19_E10value_typeET4_jRbjT5_S1F_jjP12ihipStream_tbEUljE_ZNSN_ISO_Lb1ESR_SS_SU_SV_SZ_EES10_S11_S12_S13_S17_S18_S19_S1C_S1D_jS1E_jS1F_S1F_jjS1H_bEUljE0_EEES10_S11_S12_S19_S1D_S1F_T6_T7_T9_mT8_S1H_bDpT10_ENKUlT_T0_E_clISt17integral_constantIbLb1EES1V_EEDaS1Q_S1R_EUlS1Q_E_NS1_11comp_targetILNS1_3genE3ELNS1_11target_archE908ELNS1_3gpuE7ELNS1_3repE0EEENS1_30default_config_static_selectorELNS0_4arch9wavefront6targetE1EEEvS13_,comdat
.Lfunc_end1684:
	.size	_ZN7rocprim17ROCPRIM_400000_NS6detail17trampoline_kernelINS0_13select_configILj256ELj13ELNS0_17block_load_methodE3ELS4_3ELS4_3ELNS0_20block_scan_algorithmE0ELj4294967295EEENS1_25partition_config_selectorILNS1_17partition_subalgoE4EjNS0_10empty_typeEbEEZZNS1_14partition_implILS8_4ELb0ES6_15HIP_vector_typeIjLj2EENS0_17counting_iteratorIjlEEPS9_SG_NS0_5tupleIJPjSI_NS0_16reverse_iteratorISI_EEEEENSH_IJSG_SG_SG_EEES9_SI_JZNS1_25segmented_radix_sort_implINS0_14default_configELb1EPK6__halfPSP_PKlPlN2at6native12_GLOBAL__N_18offset_tEEE10hipError_tPvRmT1_PNSt15iterator_traitsIS13_E10value_typeET2_T3_PNS14_IS19_E10value_typeET4_jRbjT5_S1F_jjP12ihipStream_tbEUljE_ZNSN_ISO_Lb1ESR_SS_SU_SV_SZ_EES10_S11_S12_S13_S17_S18_S19_S1C_S1D_jS1E_jS1F_S1F_jjS1H_bEUljE0_EEES10_S11_S12_S19_S1D_S1F_T6_T7_T9_mT8_S1H_bDpT10_ENKUlT_T0_E_clISt17integral_constantIbLb1EES1V_EEDaS1Q_S1R_EUlS1Q_E_NS1_11comp_targetILNS1_3genE3ELNS1_11target_archE908ELNS1_3gpuE7ELNS1_3repE0EEENS1_30default_config_static_selectorELNS0_4arch9wavefront6targetE1EEEvS13_, .Lfunc_end1684-_ZN7rocprim17ROCPRIM_400000_NS6detail17trampoline_kernelINS0_13select_configILj256ELj13ELNS0_17block_load_methodE3ELS4_3ELS4_3ELNS0_20block_scan_algorithmE0ELj4294967295EEENS1_25partition_config_selectorILNS1_17partition_subalgoE4EjNS0_10empty_typeEbEEZZNS1_14partition_implILS8_4ELb0ES6_15HIP_vector_typeIjLj2EENS0_17counting_iteratorIjlEEPS9_SG_NS0_5tupleIJPjSI_NS0_16reverse_iteratorISI_EEEEENSH_IJSG_SG_SG_EEES9_SI_JZNS1_25segmented_radix_sort_implINS0_14default_configELb1EPK6__halfPSP_PKlPlN2at6native12_GLOBAL__N_18offset_tEEE10hipError_tPvRmT1_PNSt15iterator_traitsIS13_E10value_typeET2_T3_PNS14_IS19_E10value_typeET4_jRbjT5_S1F_jjP12ihipStream_tbEUljE_ZNSN_ISO_Lb1ESR_SS_SU_SV_SZ_EES10_S11_S12_S13_S17_S18_S19_S1C_S1D_jS1E_jS1F_S1F_jjS1H_bEUljE0_EEES10_S11_S12_S19_S1D_S1F_T6_T7_T9_mT8_S1H_bDpT10_ENKUlT_T0_E_clISt17integral_constantIbLb1EES1V_EEDaS1Q_S1R_EUlS1Q_E_NS1_11comp_targetILNS1_3genE3ELNS1_11target_archE908ELNS1_3gpuE7ELNS1_3repE0EEENS1_30default_config_static_selectorELNS0_4arch9wavefront6targetE1EEEvS13_
                                        ; -- End function
	.section	.AMDGPU.csdata,"",@progbits
; Kernel info:
; codeLenInByte = 0
; NumSgprs: 4
; NumVgprs: 0
; NumAgprs: 0
; TotalNumVgprs: 0
; ScratchSize: 0
; MemoryBound: 0
; FloatMode: 240
; IeeeMode: 1
; LDSByteSize: 0 bytes/workgroup (compile time only)
; SGPRBlocks: 0
; VGPRBlocks: 0
; NumSGPRsForWavesPerEU: 4
; NumVGPRsForWavesPerEU: 1
; AccumOffset: 4
; Occupancy: 8
; WaveLimiterHint : 0
; COMPUTE_PGM_RSRC2:SCRATCH_EN: 0
; COMPUTE_PGM_RSRC2:USER_SGPR: 6
; COMPUTE_PGM_RSRC2:TRAP_HANDLER: 0
; COMPUTE_PGM_RSRC2:TGID_X_EN: 1
; COMPUTE_PGM_RSRC2:TGID_Y_EN: 0
; COMPUTE_PGM_RSRC2:TGID_Z_EN: 0
; COMPUTE_PGM_RSRC2:TIDIG_COMP_CNT: 0
; COMPUTE_PGM_RSRC3_GFX90A:ACCUM_OFFSET: 0
; COMPUTE_PGM_RSRC3_GFX90A:TG_SPLIT: 0
	.section	.text._ZN7rocprim17ROCPRIM_400000_NS6detail17trampoline_kernelINS0_13select_configILj256ELj13ELNS0_17block_load_methodE3ELS4_3ELS4_3ELNS0_20block_scan_algorithmE0ELj4294967295EEENS1_25partition_config_selectorILNS1_17partition_subalgoE4EjNS0_10empty_typeEbEEZZNS1_14partition_implILS8_4ELb0ES6_15HIP_vector_typeIjLj2EENS0_17counting_iteratorIjlEEPS9_SG_NS0_5tupleIJPjSI_NS0_16reverse_iteratorISI_EEEEENSH_IJSG_SG_SG_EEES9_SI_JZNS1_25segmented_radix_sort_implINS0_14default_configELb1EPK6__halfPSP_PKlPlN2at6native12_GLOBAL__N_18offset_tEEE10hipError_tPvRmT1_PNSt15iterator_traitsIS13_E10value_typeET2_T3_PNS14_IS19_E10value_typeET4_jRbjT5_S1F_jjP12ihipStream_tbEUljE_ZNSN_ISO_Lb1ESR_SS_SU_SV_SZ_EES10_S11_S12_S13_S17_S18_S19_S1C_S1D_jS1E_jS1F_S1F_jjS1H_bEUljE0_EEES10_S11_S12_S19_S1D_S1F_T6_T7_T9_mT8_S1H_bDpT10_ENKUlT_T0_E_clISt17integral_constantIbLb1EES1V_EEDaS1Q_S1R_EUlS1Q_E_NS1_11comp_targetILNS1_3genE2ELNS1_11target_archE906ELNS1_3gpuE6ELNS1_3repE0EEENS1_30default_config_static_selectorELNS0_4arch9wavefront6targetE1EEEvS13_,"axG",@progbits,_ZN7rocprim17ROCPRIM_400000_NS6detail17trampoline_kernelINS0_13select_configILj256ELj13ELNS0_17block_load_methodE3ELS4_3ELS4_3ELNS0_20block_scan_algorithmE0ELj4294967295EEENS1_25partition_config_selectorILNS1_17partition_subalgoE4EjNS0_10empty_typeEbEEZZNS1_14partition_implILS8_4ELb0ES6_15HIP_vector_typeIjLj2EENS0_17counting_iteratorIjlEEPS9_SG_NS0_5tupleIJPjSI_NS0_16reverse_iteratorISI_EEEEENSH_IJSG_SG_SG_EEES9_SI_JZNS1_25segmented_radix_sort_implINS0_14default_configELb1EPK6__halfPSP_PKlPlN2at6native12_GLOBAL__N_18offset_tEEE10hipError_tPvRmT1_PNSt15iterator_traitsIS13_E10value_typeET2_T3_PNS14_IS19_E10value_typeET4_jRbjT5_S1F_jjP12ihipStream_tbEUljE_ZNSN_ISO_Lb1ESR_SS_SU_SV_SZ_EES10_S11_S12_S13_S17_S18_S19_S1C_S1D_jS1E_jS1F_S1F_jjS1H_bEUljE0_EEES10_S11_S12_S19_S1D_S1F_T6_T7_T9_mT8_S1H_bDpT10_ENKUlT_T0_E_clISt17integral_constantIbLb1EES1V_EEDaS1Q_S1R_EUlS1Q_E_NS1_11comp_targetILNS1_3genE2ELNS1_11target_archE906ELNS1_3gpuE6ELNS1_3repE0EEENS1_30default_config_static_selectorELNS0_4arch9wavefront6targetE1EEEvS13_,comdat
	.globl	_ZN7rocprim17ROCPRIM_400000_NS6detail17trampoline_kernelINS0_13select_configILj256ELj13ELNS0_17block_load_methodE3ELS4_3ELS4_3ELNS0_20block_scan_algorithmE0ELj4294967295EEENS1_25partition_config_selectorILNS1_17partition_subalgoE4EjNS0_10empty_typeEbEEZZNS1_14partition_implILS8_4ELb0ES6_15HIP_vector_typeIjLj2EENS0_17counting_iteratorIjlEEPS9_SG_NS0_5tupleIJPjSI_NS0_16reverse_iteratorISI_EEEEENSH_IJSG_SG_SG_EEES9_SI_JZNS1_25segmented_radix_sort_implINS0_14default_configELb1EPK6__halfPSP_PKlPlN2at6native12_GLOBAL__N_18offset_tEEE10hipError_tPvRmT1_PNSt15iterator_traitsIS13_E10value_typeET2_T3_PNS14_IS19_E10value_typeET4_jRbjT5_S1F_jjP12ihipStream_tbEUljE_ZNSN_ISO_Lb1ESR_SS_SU_SV_SZ_EES10_S11_S12_S13_S17_S18_S19_S1C_S1D_jS1E_jS1F_S1F_jjS1H_bEUljE0_EEES10_S11_S12_S19_S1D_S1F_T6_T7_T9_mT8_S1H_bDpT10_ENKUlT_T0_E_clISt17integral_constantIbLb1EES1V_EEDaS1Q_S1R_EUlS1Q_E_NS1_11comp_targetILNS1_3genE2ELNS1_11target_archE906ELNS1_3gpuE6ELNS1_3repE0EEENS1_30default_config_static_selectorELNS0_4arch9wavefront6targetE1EEEvS13_ ; -- Begin function _ZN7rocprim17ROCPRIM_400000_NS6detail17trampoline_kernelINS0_13select_configILj256ELj13ELNS0_17block_load_methodE3ELS4_3ELS4_3ELNS0_20block_scan_algorithmE0ELj4294967295EEENS1_25partition_config_selectorILNS1_17partition_subalgoE4EjNS0_10empty_typeEbEEZZNS1_14partition_implILS8_4ELb0ES6_15HIP_vector_typeIjLj2EENS0_17counting_iteratorIjlEEPS9_SG_NS0_5tupleIJPjSI_NS0_16reverse_iteratorISI_EEEEENSH_IJSG_SG_SG_EEES9_SI_JZNS1_25segmented_radix_sort_implINS0_14default_configELb1EPK6__halfPSP_PKlPlN2at6native12_GLOBAL__N_18offset_tEEE10hipError_tPvRmT1_PNSt15iterator_traitsIS13_E10value_typeET2_T3_PNS14_IS19_E10value_typeET4_jRbjT5_S1F_jjP12ihipStream_tbEUljE_ZNSN_ISO_Lb1ESR_SS_SU_SV_SZ_EES10_S11_S12_S13_S17_S18_S19_S1C_S1D_jS1E_jS1F_S1F_jjS1H_bEUljE0_EEES10_S11_S12_S19_S1D_S1F_T6_T7_T9_mT8_S1H_bDpT10_ENKUlT_T0_E_clISt17integral_constantIbLb1EES1V_EEDaS1Q_S1R_EUlS1Q_E_NS1_11comp_targetILNS1_3genE2ELNS1_11target_archE906ELNS1_3gpuE6ELNS1_3repE0EEENS1_30default_config_static_selectorELNS0_4arch9wavefront6targetE1EEEvS13_
	.p2align	8
	.type	_ZN7rocprim17ROCPRIM_400000_NS6detail17trampoline_kernelINS0_13select_configILj256ELj13ELNS0_17block_load_methodE3ELS4_3ELS4_3ELNS0_20block_scan_algorithmE0ELj4294967295EEENS1_25partition_config_selectorILNS1_17partition_subalgoE4EjNS0_10empty_typeEbEEZZNS1_14partition_implILS8_4ELb0ES6_15HIP_vector_typeIjLj2EENS0_17counting_iteratorIjlEEPS9_SG_NS0_5tupleIJPjSI_NS0_16reverse_iteratorISI_EEEEENSH_IJSG_SG_SG_EEES9_SI_JZNS1_25segmented_radix_sort_implINS0_14default_configELb1EPK6__halfPSP_PKlPlN2at6native12_GLOBAL__N_18offset_tEEE10hipError_tPvRmT1_PNSt15iterator_traitsIS13_E10value_typeET2_T3_PNS14_IS19_E10value_typeET4_jRbjT5_S1F_jjP12ihipStream_tbEUljE_ZNSN_ISO_Lb1ESR_SS_SU_SV_SZ_EES10_S11_S12_S13_S17_S18_S19_S1C_S1D_jS1E_jS1F_S1F_jjS1H_bEUljE0_EEES10_S11_S12_S19_S1D_S1F_T6_T7_T9_mT8_S1H_bDpT10_ENKUlT_T0_E_clISt17integral_constantIbLb1EES1V_EEDaS1Q_S1R_EUlS1Q_E_NS1_11comp_targetILNS1_3genE2ELNS1_11target_archE906ELNS1_3gpuE6ELNS1_3repE0EEENS1_30default_config_static_selectorELNS0_4arch9wavefront6targetE1EEEvS13_,@function
_ZN7rocprim17ROCPRIM_400000_NS6detail17trampoline_kernelINS0_13select_configILj256ELj13ELNS0_17block_load_methodE3ELS4_3ELS4_3ELNS0_20block_scan_algorithmE0ELj4294967295EEENS1_25partition_config_selectorILNS1_17partition_subalgoE4EjNS0_10empty_typeEbEEZZNS1_14partition_implILS8_4ELb0ES6_15HIP_vector_typeIjLj2EENS0_17counting_iteratorIjlEEPS9_SG_NS0_5tupleIJPjSI_NS0_16reverse_iteratorISI_EEEEENSH_IJSG_SG_SG_EEES9_SI_JZNS1_25segmented_radix_sort_implINS0_14default_configELb1EPK6__halfPSP_PKlPlN2at6native12_GLOBAL__N_18offset_tEEE10hipError_tPvRmT1_PNSt15iterator_traitsIS13_E10value_typeET2_T3_PNS14_IS19_E10value_typeET4_jRbjT5_S1F_jjP12ihipStream_tbEUljE_ZNSN_ISO_Lb1ESR_SS_SU_SV_SZ_EES10_S11_S12_S13_S17_S18_S19_S1C_S1D_jS1E_jS1F_S1F_jjS1H_bEUljE0_EEES10_S11_S12_S19_S1D_S1F_T6_T7_T9_mT8_S1H_bDpT10_ENKUlT_T0_E_clISt17integral_constantIbLb1EES1V_EEDaS1Q_S1R_EUlS1Q_E_NS1_11comp_targetILNS1_3genE2ELNS1_11target_archE906ELNS1_3gpuE6ELNS1_3repE0EEENS1_30default_config_static_selectorELNS0_4arch9wavefront6targetE1EEEvS13_: ; @_ZN7rocprim17ROCPRIM_400000_NS6detail17trampoline_kernelINS0_13select_configILj256ELj13ELNS0_17block_load_methodE3ELS4_3ELS4_3ELNS0_20block_scan_algorithmE0ELj4294967295EEENS1_25partition_config_selectorILNS1_17partition_subalgoE4EjNS0_10empty_typeEbEEZZNS1_14partition_implILS8_4ELb0ES6_15HIP_vector_typeIjLj2EENS0_17counting_iteratorIjlEEPS9_SG_NS0_5tupleIJPjSI_NS0_16reverse_iteratorISI_EEEEENSH_IJSG_SG_SG_EEES9_SI_JZNS1_25segmented_radix_sort_implINS0_14default_configELb1EPK6__halfPSP_PKlPlN2at6native12_GLOBAL__N_18offset_tEEE10hipError_tPvRmT1_PNSt15iterator_traitsIS13_E10value_typeET2_T3_PNS14_IS19_E10value_typeET4_jRbjT5_S1F_jjP12ihipStream_tbEUljE_ZNSN_ISO_Lb1ESR_SS_SU_SV_SZ_EES10_S11_S12_S13_S17_S18_S19_S1C_S1D_jS1E_jS1F_S1F_jjS1H_bEUljE0_EEES10_S11_S12_S19_S1D_S1F_T6_T7_T9_mT8_S1H_bDpT10_ENKUlT_T0_E_clISt17integral_constantIbLb1EES1V_EEDaS1Q_S1R_EUlS1Q_E_NS1_11comp_targetILNS1_3genE2ELNS1_11target_archE906ELNS1_3gpuE6ELNS1_3repE0EEENS1_30default_config_static_selectorELNS0_4arch9wavefront6targetE1EEEvS13_
; %bb.0:
	.section	.rodata,"a",@progbits
	.p2align	6, 0x0
	.amdhsa_kernel _ZN7rocprim17ROCPRIM_400000_NS6detail17trampoline_kernelINS0_13select_configILj256ELj13ELNS0_17block_load_methodE3ELS4_3ELS4_3ELNS0_20block_scan_algorithmE0ELj4294967295EEENS1_25partition_config_selectorILNS1_17partition_subalgoE4EjNS0_10empty_typeEbEEZZNS1_14partition_implILS8_4ELb0ES6_15HIP_vector_typeIjLj2EENS0_17counting_iteratorIjlEEPS9_SG_NS0_5tupleIJPjSI_NS0_16reverse_iteratorISI_EEEEENSH_IJSG_SG_SG_EEES9_SI_JZNS1_25segmented_radix_sort_implINS0_14default_configELb1EPK6__halfPSP_PKlPlN2at6native12_GLOBAL__N_18offset_tEEE10hipError_tPvRmT1_PNSt15iterator_traitsIS13_E10value_typeET2_T3_PNS14_IS19_E10value_typeET4_jRbjT5_S1F_jjP12ihipStream_tbEUljE_ZNSN_ISO_Lb1ESR_SS_SU_SV_SZ_EES10_S11_S12_S13_S17_S18_S19_S1C_S1D_jS1E_jS1F_S1F_jjS1H_bEUljE0_EEES10_S11_S12_S19_S1D_S1F_T6_T7_T9_mT8_S1H_bDpT10_ENKUlT_T0_E_clISt17integral_constantIbLb1EES1V_EEDaS1Q_S1R_EUlS1Q_E_NS1_11comp_targetILNS1_3genE2ELNS1_11target_archE906ELNS1_3gpuE6ELNS1_3repE0EEENS1_30default_config_static_selectorELNS0_4arch9wavefront6targetE1EEEvS13_
		.amdhsa_group_segment_fixed_size 0
		.amdhsa_private_segment_fixed_size 0
		.amdhsa_kernarg_size 184
		.amdhsa_user_sgpr_count 6
		.amdhsa_user_sgpr_private_segment_buffer 1
		.amdhsa_user_sgpr_dispatch_ptr 0
		.amdhsa_user_sgpr_queue_ptr 0
		.amdhsa_user_sgpr_kernarg_segment_ptr 1
		.amdhsa_user_sgpr_dispatch_id 0
		.amdhsa_user_sgpr_flat_scratch_init 0
		.amdhsa_user_sgpr_kernarg_preload_length 0
		.amdhsa_user_sgpr_kernarg_preload_offset 0
		.amdhsa_user_sgpr_private_segment_size 0
		.amdhsa_uses_dynamic_stack 0
		.amdhsa_system_sgpr_private_segment_wavefront_offset 0
		.amdhsa_system_sgpr_workgroup_id_x 1
		.amdhsa_system_sgpr_workgroup_id_y 0
		.amdhsa_system_sgpr_workgroup_id_z 0
		.amdhsa_system_sgpr_workgroup_info 0
		.amdhsa_system_vgpr_workitem_id 0
		.amdhsa_next_free_vgpr 1
		.amdhsa_next_free_sgpr 0
		.amdhsa_accum_offset 4
		.amdhsa_reserve_vcc 0
		.amdhsa_reserve_flat_scratch 0
		.amdhsa_float_round_mode_32 0
		.amdhsa_float_round_mode_16_64 0
		.amdhsa_float_denorm_mode_32 3
		.amdhsa_float_denorm_mode_16_64 3
		.amdhsa_dx10_clamp 1
		.amdhsa_ieee_mode 1
		.amdhsa_fp16_overflow 0
		.amdhsa_tg_split 0
		.amdhsa_exception_fp_ieee_invalid_op 0
		.amdhsa_exception_fp_denorm_src 0
		.amdhsa_exception_fp_ieee_div_zero 0
		.amdhsa_exception_fp_ieee_overflow 0
		.amdhsa_exception_fp_ieee_underflow 0
		.amdhsa_exception_fp_ieee_inexact 0
		.amdhsa_exception_int_div_zero 0
	.end_amdhsa_kernel
	.section	.text._ZN7rocprim17ROCPRIM_400000_NS6detail17trampoline_kernelINS0_13select_configILj256ELj13ELNS0_17block_load_methodE3ELS4_3ELS4_3ELNS0_20block_scan_algorithmE0ELj4294967295EEENS1_25partition_config_selectorILNS1_17partition_subalgoE4EjNS0_10empty_typeEbEEZZNS1_14partition_implILS8_4ELb0ES6_15HIP_vector_typeIjLj2EENS0_17counting_iteratorIjlEEPS9_SG_NS0_5tupleIJPjSI_NS0_16reverse_iteratorISI_EEEEENSH_IJSG_SG_SG_EEES9_SI_JZNS1_25segmented_radix_sort_implINS0_14default_configELb1EPK6__halfPSP_PKlPlN2at6native12_GLOBAL__N_18offset_tEEE10hipError_tPvRmT1_PNSt15iterator_traitsIS13_E10value_typeET2_T3_PNS14_IS19_E10value_typeET4_jRbjT5_S1F_jjP12ihipStream_tbEUljE_ZNSN_ISO_Lb1ESR_SS_SU_SV_SZ_EES10_S11_S12_S13_S17_S18_S19_S1C_S1D_jS1E_jS1F_S1F_jjS1H_bEUljE0_EEES10_S11_S12_S19_S1D_S1F_T6_T7_T9_mT8_S1H_bDpT10_ENKUlT_T0_E_clISt17integral_constantIbLb1EES1V_EEDaS1Q_S1R_EUlS1Q_E_NS1_11comp_targetILNS1_3genE2ELNS1_11target_archE906ELNS1_3gpuE6ELNS1_3repE0EEENS1_30default_config_static_selectorELNS0_4arch9wavefront6targetE1EEEvS13_,"axG",@progbits,_ZN7rocprim17ROCPRIM_400000_NS6detail17trampoline_kernelINS0_13select_configILj256ELj13ELNS0_17block_load_methodE3ELS4_3ELS4_3ELNS0_20block_scan_algorithmE0ELj4294967295EEENS1_25partition_config_selectorILNS1_17partition_subalgoE4EjNS0_10empty_typeEbEEZZNS1_14partition_implILS8_4ELb0ES6_15HIP_vector_typeIjLj2EENS0_17counting_iteratorIjlEEPS9_SG_NS0_5tupleIJPjSI_NS0_16reverse_iteratorISI_EEEEENSH_IJSG_SG_SG_EEES9_SI_JZNS1_25segmented_radix_sort_implINS0_14default_configELb1EPK6__halfPSP_PKlPlN2at6native12_GLOBAL__N_18offset_tEEE10hipError_tPvRmT1_PNSt15iterator_traitsIS13_E10value_typeET2_T3_PNS14_IS19_E10value_typeET4_jRbjT5_S1F_jjP12ihipStream_tbEUljE_ZNSN_ISO_Lb1ESR_SS_SU_SV_SZ_EES10_S11_S12_S13_S17_S18_S19_S1C_S1D_jS1E_jS1F_S1F_jjS1H_bEUljE0_EEES10_S11_S12_S19_S1D_S1F_T6_T7_T9_mT8_S1H_bDpT10_ENKUlT_T0_E_clISt17integral_constantIbLb1EES1V_EEDaS1Q_S1R_EUlS1Q_E_NS1_11comp_targetILNS1_3genE2ELNS1_11target_archE906ELNS1_3gpuE6ELNS1_3repE0EEENS1_30default_config_static_selectorELNS0_4arch9wavefront6targetE1EEEvS13_,comdat
.Lfunc_end1685:
	.size	_ZN7rocprim17ROCPRIM_400000_NS6detail17trampoline_kernelINS0_13select_configILj256ELj13ELNS0_17block_load_methodE3ELS4_3ELS4_3ELNS0_20block_scan_algorithmE0ELj4294967295EEENS1_25partition_config_selectorILNS1_17partition_subalgoE4EjNS0_10empty_typeEbEEZZNS1_14partition_implILS8_4ELb0ES6_15HIP_vector_typeIjLj2EENS0_17counting_iteratorIjlEEPS9_SG_NS0_5tupleIJPjSI_NS0_16reverse_iteratorISI_EEEEENSH_IJSG_SG_SG_EEES9_SI_JZNS1_25segmented_radix_sort_implINS0_14default_configELb1EPK6__halfPSP_PKlPlN2at6native12_GLOBAL__N_18offset_tEEE10hipError_tPvRmT1_PNSt15iterator_traitsIS13_E10value_typeET2_T3_PNS14_IS19_E10value_typeET4_jRbjT5_S1F_jjP12ihipStream_tbEUljE_ZNSN_ISO_Lb1ESR_SS_SU_SV_SZ_EES10_S11_S12_S13_S17_S18_S19_S1C_S1D_jS1E_jS1F_S1F_jjS1H_bEUljE0_EEES10_S11_S12_S19_S1D_S1F_T6_T7_T9_mT8_S1H_bDpT10_ENKUlT_T0_E_clISt17integral_constantIbLb1EES1V_EEDaS1Q_S1R_EUlS1Q_E_NS1_11comp_targetILNS1_3genE2ELNS1_11target_archE906ELNS1_3gpuE6ELNS1_3repE0EEENS1_30default_config_static_selectorELNS0_4arch9wavefront6targetE1EEEvS13_, .Lfunc_end1685-_ZN7rocprim17ROCPRIM_400000_NS6detail17trampoline_kernelINS0_13select_configILj256ELj13ELNS0_17block_load_methodE3ELS4_3ELS4_3ELNS0_20block_scan_algorithmE0ELj4294967295EEENS1_25partition_config_selectorILNS1_17partition_subalgoE4EjNS0_10empty_typeEbEEZZNS1_14partition_implILS8_4ELb0ES6_15HIP_vector_typeIjLj2EENS0_17counting_iteratorIjlEEPS9_SG_NS0_5tupleIJPjSI_NS0_16reverse_iteratorISI_EEEEENSH_IJSG_SG_SG_EEES9_SI_JZNS1_25segmented_radix_sort_implINS0_14default_configELb1EPK6__halfPSP_PKlPlN2at6native12_GLOBAL__N_18offset_tEEE10hipError_tPvRmT1_PNSt15iterator_traitsIS13_E10value_typeET2_T3_PNS14_IS19_E10value_typeET4_jRbjT5_S1F_jjP12ihipStream_tbEUljE_ZNSN_ISO_Lb1ESR_SS_SU_SV_SZ_EES10_S11_S12_S13_S17_S18_S19_S1C_S1D_jS1E_jS1F_S1F_jjS1H_bEUljE0_EEES10_S11_S12_S19_S1D_S1F_T6_T7_T9_mT8_S1H_bDpT10_ENKUlT_T0_E_clISt17integral_constantIbLb1EES1V_EEDaS1Q_S1R_EUlS1Q_E_NS1_11comp_targetILNS1_3genE2ELNS1_11target_archE906ELNS1_3gpuE6ELNS1_3repE0EEENS1_30default_config_static_selectorELNS0_4arch9wavefront6targetE1EEEvS13_
                                        ; -- End function
	.section	.AMDGPU.csdata,"",@progbits
; Kernel info:
; codeLenInByte = 0
; NumSgprs: 4
; NumVgprs: 0
; NumAgprs: 0
; TotalNumVgprs: 0
; ScratchSize: 0
; MemoryBound: 0
; FloatMode: 240
; IeeeMode: 1
; LDSByteSize: 0 bytes/workgroup (compile time only)
; SGPRBlocks: 0
; VGPRBlocks: 0
; NumSGPRsForWavesPerEU: 4
; NumVGPRsForWavesPerEU: 1
; AccumOffset: 4
; Occupancy: 8
; WaveLimiterHint : 0
; COMPUTE_PGM_RSRC2:SCRATCH_EN: 0
; COMPUTE_PGM_RSRC2:USER_SGPR: 6
; COMPUTE_PGM_RSRC2:TRAP_HANDLER: 0
; COMPUTE_PGM_RSRC2:TGID_X_EN: 1
; COMPUTE_PGM_RSRC2:TGID_Y_EN: 0
; COMPUTE_PGM_RSRC2:TGID_Z_EN: 0
; COMPUTE_PGM_RSRC2:TIDIG_COMP_CNT: 0
; COMPUTE_PGM_RSRC3_GFX90A:ACCUM_OFFSET: 0
; COMPUTE_PGM_RSRC3_GFX90A:TG_SPLIT: 0
	.section	.text._ZN7rocprim17ROCPRIM_400000_NS6detail17trampoline_kernelINS0_13select_configILj256ELj13ELNS0_17block_load_methodE3ELS4_3ELS4_3ELNS0_20block_scan_algorithmE0ELj4294967295EEENS1_25partition_config_selectorILNS1_17partition_subalgoE4EjNS0_10empty_typeEbEEZZNS1_14partition_implILS8_4ELb0ES6_15HIP_vector_typeIjLj2EENS0_17counting_iteratorIjlEEPS9_SG_NS0_5tupleIJPjSI_NS0_16reverse_iteratorISI_EEEEENSH_IJSG_SG_SG_EEES9_SI_JZNS1_25segmented_radix_sort_implINS0_14default_configELb1EPK6__halfPSP_PKlPlN2at6native12_GLOBAL__N_18offset_tEEE10hipError_tPvRmT1_PNSt15iterator_traitsIS13_E10value_typeET2_T3_PNS14_IS19_E10value_typeET4_jRbjT5_S1F_jjP12ihipStream_tbEUljE_ZNSN_ISO_Lb1ESR_SS_SU_SV_SZ_EES10_S11_S12_S13_S17_S18_S19_S1C_S1D_jS1E_jS1F_S1F_jjS1H_bEUljE0_EEES10_S11_S12_S19_S1D_S1F_T6_T7_T9_mT8_S1H_bDpT10_ENKUlT_T0_E_clISt17integral_constantIbLb1EES1V_EEDaS1Q_S1R_EUlS1Q_E_NS1_11comp_targetILNS1_3genE10ELNS1_11target_archE1200ELNS1_3gpuE4ELNS1_3repE0EEENS1_30default_config_static_selectorELNS0_4arch9wavefront6targetE1EEEvS13_,"axG",@progbits,_ZN7rocprim17ROCPRIM_400000_NS6detail17trampoline_kernelINS0_13select_configILj256ELj13ELNS0_17block_load_methodE3ELS4_3ELS4_3ELNS0_20block_scan_algorithmE0ELj4294967295EEENS1_25partition_config_selectorILNS1_17partition_subalgoE4EjNS0_10empty_typeEbEEZZNS1_14partition_implILS8_4ELb0ES6_15HIP_vector_typeIjLj2EENS0_17counting_iteratorIjlEEPS9_SG_NS0_5tupleIJPjSI_NS0_16reverse_iteratorISI_EEEEENSH_IJSG_SG_SG_EEES9_SI_JZNS1_25segmented_radix_sort_implINS0_14default_configELb1EPK6__halfPSP_PKlPlN2at6native12_GLOBAL__N_18offset_tEEE10hipError_tPvRmT1_PNSt15iterator_traitsIS13_E10value_typeET2_T3_PNS14_IS19_E10value_typeET4_jRbjT5_S1F_jjP12ihipStream_tbEUljE_ZNSN_ISO_Lb1ESR_SS_SU_SV_SZ_EES10_S11_S12_S13_S17_S18_S19_S1C_S1D_jS1E_jS1F_S1F_jjS1H_bEUljE0_EEES10_S11_S12_S19_S1D_S1F_T6_T7_T9_mT8_S1H_bDpT10_ENKUlT_T0_E_clISt17integral_constantIbLb1EES1V_EEDaS1Q_S1R_EUlS1Q_E_NS1_11comp_targetILNS1_3genE10ELNS1_11target_archE1200ELNS1_3gpuE4ELNS1_3repE0EEENS1_30default_config_static_selectorELNS0_4arch9wavefront6targetE1EEEvS13_,comdat
	.globl	_ZN7rocprim17ROCPRIM_400000_NS6detail17trampoline_kernelINS0_13select_configILj256ELj13ELNS0_17block_load_methodE3ELS4_3ELS4_3ELNS0_20block_scan_algorithmE0ELj4294967295EEENS1_25partition_config_selectorILNS1_17partition_subalgoE4EjNS0_10empty_typeEbEEZZNS1_14partition_implILS8_4ELb0ES6_15HIP_vector_typeIjLj2EENS0_17counting_iteratorIjlEEPS9_SG_NS0_5tupleIJPjSI_NS0_16reverse_iteratorISI_EEEEENSH_IJSG_SG_SG_EEES9_SI_JZNS1_25segmented_radix_sort_implINS0_14default_configELb1EPK6__halfPSP_PKlPlN2at6native12_GLOBAL__N_18offset_tEEE10hipError_tPvRmT1_PNSt15iterator_traitsIS13_E10value_typeET2_T3_PNS14_IS19_E10value_typeET4_jRbjT5_S1F_jjP12ihipStream_tbEUljE_ZNSN_ISO_Lb1ESR_SS_SU_SV_SZ_EES10_S11_S12_S13_S17_S18_S19_S1C_S1D_jS1E_jS1F_S1F_jjS1H_bEUljE0_EEES10_S11_S12_S19_S1D_S1F_T6_T7_T9_mT8_S1H_bDpT10_ENKUlT_T0_E_clISt17integral_constantIbLb1EES1V_EEDaS1Q_S1R_EUlS1Q_E_NS1_11comp_targetILNS1_3genE10ELNS1_11target_archE1200ELNS1_3gpuE4ELNS1_3repE0EEENS1_30default_config_static_selectorELNS0_4arch9wavefront6targetE1EEEvS13_ ; -- Begin function _ZN7rocprim17ROCPRIM_400000_NS6detail17trampoline_kernelINS0_13select_configILj256ELj13ELNS0_17block_load_methodE3ELS4_3ELS4_3ELNS0_20block_scan_algorithmE0ELj4294967295EEENS1_25partition_config_selectorILNS1_17partition_subalgoE4EjNS0_10empty_typeEbEEZZNS1_14partition_implILS8_4ELb0ES6_15HIP_vector_typeIjLj2EENS0_17counting_iteratorIjlEEPS9_SG_NS0_5tupleIJPjSI_NS0_16reverse_iteratorISI_EEEEENSH_IJSG_SG_SG_EEES9_SI_JZNS1_25segmented_radix_sort_implINS0_14default_configELb1EPK6__halfPSP_PKlPlN2at6native12_GLOBAL__N_18offset_tEEE10hipError_tPvRmT1_PNSt15iterator_traitsIS13_E10value_typeET2_T3_PNS14_IS19_E10value_typeET4_jRbjT5_S1F_jjP12ihipStream_tbEUljE_ZNSN_ISO_Lb1ESR_SS_SU_SV_SZ_EES10_S11_S12_S13_S17_S18_S19_S1C_S1D_jS1E_jS1F_S1F_jjS1H_bEUljE0_EEES10_S11_S12_S19_S1D_S1F_T6_T7_T9_mT8_S1H_bDpT10_ENKUlT_T0_E_clISt17integral_constantIbLb1EES1V_EEDaS1Q_S1R_EUlS1Q_E_NS1_11comp_targetILNS1_3genE10ELNS1_11target_archE1200ELNS1_3gpuE4ELNS1_3repE0EEENS1_30default_config_static_selectorELNS0_4arch9wavefront6targetE1EEEvS13_
	.p2align	8
	.type	_ZN7rocprim17ROCPRIM_400000_NS6detail17trampoline_kernelINS0_13select_configILj256ELj13ELNS0_17block_load_methodE3ELS4_3ELS4_3ELNS0_20block_scan_algorithmE0ELj4294967295EEENS1_25partition_config_selectorILNS1_17partition_subalgoE4EjNS0_10empty_typeEbEEZZNS1_14partition_implILS8_4ELb0ES6_15HIP_vector_typeIjLj2EENS0_17counting_iteratorIjlEEPS9_SG_NS0_5tupleIJPjSI_NS0_16reverse_iteratorISI_EEEEENSH_IJSG_SG_SG_EEES9_SI_JZNS1_25segmented_radix_sort_implINS0_14default_configELb1EPK6__halfPSP_PKlPlN2at6native12_GLOBAL__N_18offset_tEEE10hipError_tPvRmT1_PNSt15iterator_traitsIS13_E10value_typeET2_T3_PNS14_IS19_E10value_typeET4_jRbjT5_S1F_jjP12ihipStream_tbEUljE_ZNSN_ISO_Lb1ESR_SS_SU_SV_SZ_EES10_S11_S12_S13_S17_S18_S19_S1C_S1D_jS1E_jS1F_S1F_jjS1H_bEUljE0_EEES10_S11_S12_S19_S1D_S1F_T6_T7_T9_mT8_S1H_bDpT10_ENKUlT_T0_E_clISt17integral_constantIbLb1EES1V_EEDaS1Q_S1R_EUlS1Q_E_NS1_11comp_targetILNS1_3genE10ELNS1_11target_archE1200ELNS1_3gpuE4ELNS1_3repE0EEENS1_30default_config_static_selectorELNS0_4arch9wavefront6targetE1EEEvS13_,@function
_ZN7rocprim17ROCPRIM_400000_NS6detail17trampoline_kernelINS0_13select_configILj256ELj13ELNS0_17block_load_methodE3ELS4_3ELS4_3ELNS0_20block_scan_algorithmE0ELj4294967295EEENS1_25partition_config_selectorILNS1_17partition_subalgoE4EjNS0_10empty_typeEbEEZZNS1_14partition_implILS8_4ELb0ES6_15HIP_vector_typeIjLj2EENS0_17counting_iteratorIjlEEPS9_SG_NS0_5tupleIJPjSI_NS0_16reverse_iteratorISI_EEEEENSH_IJSG_SG_SG_EEES9_SI_JZNS1_25segmented_radix_sort_implINS0_14default_configELb1EPK6__halfPSP_PKlPlN2at6native12_GLOBAL__N_18offset_tEEE10hipError_tPvRmT1_PNSt15iterator_traitsIS13_E10value_typeET2_T3_PNS14_IS19_E10value_typeET4_jRbjT5_S1F_jjP12ihipStream_tbEUljE_ZNSN_ISO_Lb1ESR_SS_SU_SV_SZ_EES10_S11_S12_S13_S17_S18_S19_S1C_S1D_jS1E_jS1F_S1F_jjS1H_bEUljE0_EEES10_S11_S12_S19_S1D_S1F_T6_T7_T9_mT8_S1H_bDpT10_ENKUlT_T0_E_clISt17integral_constantIbLb1EES1V_EEDaS1Q_S1R_EUlS1Q_E_NS1_11comp_targetILNS1_3genE10ELNS1_11target_archE1200ELNS1_3gpuE4ELNS1_3repE0EEENS1_30default_config_static_selectorELNS0_4arch9wavefront6targetE1EEEvS13_: ; @_ZN7rocprim17ROCPRIM_400000_NS6detail17trampoline_kernelINS0_13select_configILj256ELj13ELNS0_17block_load_methodE3ELS4_3ELS4_3ELNS0_20block_scan_algorithmE0ELj4294967295EEENS1_25partition_config_selectorILNS1_17partition_subalgoE4EjNS0_10empty_typeEbEEZZNS1_14partition_implILS8_4ELb0ES6_15HIP_vector_typeIjLj2EENS0_17counting_iteratorIjlEEPS9_SG_NS0_5tupleIJPjSI_NS0_16reverse_iteratorISI_EEEEENSH_IJSG_SG_SG_EEES9_SI_JZNS1_25segmented_radix_sort_implINS0_14default_configELb1EPK6__halfPSP_PKlPlN2at6native12_GLOBAL__N_18offset_tEEE10hipError_tPvRmT1_PNSt15iterator_traitsIS13_E10value_typeET2_T3_PNS14_IS19_E10value_typeET4_jRbjT5_S1F_jjP12ihipStream_tbEUljE_ZNSN_ISO_Lb1ESR_SS_SU_SV_SZ_EES10_S11_S12_S13_S17_S18_S19_S1C_S1D_jS1E_jS1F_S1F_jjS1H_bEUljE0_EEES10_S11_S12_S19_S1D_S1F_T6_T7_T9_mT8_S1H_bDpT10_ENKUlT_T0_E_clISt17integral_constantIbLb1EES1V_EEDaS1Q_S1R_EUlS1Q_E_NS1_11comp_targetILNS1_3genE10ELNS1_11target_archE1200ELNS1_3gpuE4ELNS1_3repE0EEENS1_30default_config_static_selectorELNS0_4arch9wavefront6targetE1EEEvS13_
; %bb.0:
	.section	.rodata,"a",@progbits
	.p2align	6, 0x0
	.amdhsa_kernel _ZN7rocprim17ROCPRIM_400000_NS6detail17trampoline_kernelINS0_13select_configILj256ELj13ELNS0_17block_load_methodE3ELS4_3ELS4_3ELNS0_20block_scan_algorithmE0ELj4294967295EEENS1_25partition_config_selectorILNS1_17partition_subalgoE4EjNS0_10empty_typeEbEEZZNS1_14partition_implILS8_4ELb0ES6_15HIP_vector_typeIjLj2EENS0_17counting_iteratorIjlEEPS9_SG_NS0_5tupleIJPjSI_NS0_16reverse_iteratorISI_EEEEENSH_IJSG_SG_SG_EEES9_SI_JZNS1_25segmented_radix_sort_implINS0_14default_configELb1EPK6__halfPSP_PKlPlN2at6native12_GLOBAL__N_18offset_tEEE10hipError_tPvRmT1_PNSt15iterator_traitsIS13_E10value_typeET2_T3_PNS14_IS19_E10value_typeET4_jRbjT5_S1F_jjP12ihipStream_tbEUljE_ZNSN_ISO_Lb1ESR_SS_SU_SV_SZ_EES10_S11_S12_S13_S17_S18_S19_S1C_S1D_jS1E_jS1F_S1F_jjS1H_bEUljE0_EEES10_S11_S12_S19_S1D_S1F_T6_T7_T9_mT8_S1H_bDpT10_ENKUlT_T0_E_clISt17integral_constantIbLb1EES1V_EEDaS1Q_S1R_EUlS1Q_E_NS1_11comp_targetILNS1_3genE10ELNS1_11target_archE1200ELNS1_3gpuE4ELNS1_3repE0EEENS1_30default_config_static_selectorELNS0_4arch9wavefront6targetE1EEEvS13_
		.amdhsa_group_segment_fixed_size 0
		.amdhsa_private_segment_fixed_size 0
		.amdhsa_kernarg_size 184
		.amdhsa_user_sgpr_count 6
		.amdhsa_user_sgpr_private_segment_buffer 1
		.amdhsa_user_sgpr_dispatch_ptr 0
		.amdhsa_user_sgpr_queue_ptr 0
		.amdhsa_user_sgpr_kernarg_segment_ptr 1
		.amdhsa_user_sgpr_dispatch_id 0
		.amdhsa_user_sgpr_flat_scratch_init 0
		.amdhsa_user_sgpr_kernarg_preload_length 0
		.amdhsa_user_sgpr_kernarg_preload_offset 0
		.amdhsa_user_sgpr_private_segment_size 0
		.amdhsa_uses_dynamic_stack 0
		.amdhsa_system_sgpr_private_segment_wavefront_offset 0
		.amdhsa_system_sgpr_workgroup_id_x 1
		.amdhsa_system_sgpr_workgroup_id_y 0
		.amdhsa_system_sgpr_workgroup_id_z 0
		.amdhsa_system_sgpr_workgroup_info 0
		.amdhsa_system_vgpr_workitem_id 0
		.amdhsa_next_free_vgpr 1
		.amdhsa_next_free_sgpr 0
		.amdhsa_accum_offset 4
		.amdhsa_reserve_vcc 0
		.amdhsa_reserve_flat_scratch 0
		.amdhsa_float_round_mode_32 0
		.amdhsa_float_round_mode_16_64 0
		.amdhsa_float_denorm_mode_32 3
		.amdhsa_float_denorm_mode_16_64 3
		.amdhsa_dx10_clamp 1
		.amdhsa_ieee_mode 1
		.amdhsa_fp16_overflow 0
		.amdhsa_tg_split 0
		.amdhsa_exception_fp_ieee_invalid_op 0
		.amdhsa_exception_fp_denorm_src 0
		.amdhsa_exception_fp_ieee_div_zero 0
		.amdhsa_exception_fp_ieee_overflow 0
		.amdhsa_exception_fp_ieee_underflow 0
		.amdhsa_exception_fp_ieee_inexact 0
		.amdhsa_exception_int_div_zero 0
	.end_amdhsa_kernel
	.section	.text._ZN7rocprim17ROCPRIM_400000_NS6detail17trampoline_kernelINS0_13select_configILj256ELj13ELNS0_17block_load_methodE3ELS4_3ELS4_3ELNS0_20block_scan_algorithmE0ELj4294967295EEENS1_25partition_config_selectorILNS1_17partition_subalgoE4EjNS0_10empty_typeEbEEZZNS1_14partition_implILS8_4ELb0ES6_15HIP_vector_typeIjLj2EENS0_17counting_iteratorIjlEEPS9_SG_NS0_5tupleIJPjSI_NS0_16reverse_iteratorISI_EEEEENSH_IJSG_SG_SG_EEES9_SI_JZNS1_25segmented_radix_sort_implINS0_14default_configELb1EPK6__halfPSP_PKlPlN2at6native12_GLOBAL__N_18offset_tEEE10hipError_tPvRmT1_PNSt15iterator_traitsIS13_E10value_typeET2_T3_PNS14_IS19_E10value_typeET4_jRbjT5_S1F_jjP12ihipStream_tbEUljE_ZNSN_ISO_Lb1ESR_SS_SU_SV_SZ_EES10_S11_S12_S13_S17_S18_S19_S1C_S1D_jS1E_jS1F_S1F_jjS1H_bEUljE0_EEES10_S11_S12_S19_S1D_S1F_T6_T7_T9_mT8_S1H_bDpT10_ENKUlT_T0_E_clISt17integral_constantIbLb1EES1V_EEDaS1Q_S1R_EUlS1Q_E_NS1_11comp_targetILNS1_3genE10ELNS1_11target_archE1200ELNS1_3gpuE4ELNS1_3repE0EEENS1_30default_config_static_selectorELNS0_4arch9wavefront6targetE1EEEvS13_,"axG",@progbits,_ZN7rocprim17ROCPRIM_400000_NS6detail17trampoline_kernelINS0_13select_configILj256ELj13ELNS0_17block_load_methodE3ELS4_3ELS4_3ELNS0_20block_scan_algorithmE0ELj4294967295EEENS1_25partition_config_selectorILNS1_17partition_subalgoE4EjNS0_10empty_typeEbEEZZNS1_14partition_implILS8_4ELb0ES6_15HIP_vector_typeIjLj2EENS0_17counting_iteratorIjlEEPS9_SG_NS0_5tupleIJPjSI_NS0_16reverse_iteratorISI_EEEEENSH_IJSG_SG_SG_EEES9_SI_JZNS1_25segmented_radix_sort_implINS0_14default_configELb1EPK6__halfPSP_PKlPlN2at6native12_GLOBAL__N_18offset_tEEE10hipError_tPvRmT1_PNSt15iterator_traitsIS13_E10value_typeET2_T3_PNS14_IS19_E10value_typeET4_jRbjT5_S1F_jjP12ihipStream_tbEUljE_ZNSN_ISO_Lb1ESR_SS_SU_SV_SZ_EES10_S11_S12_S13_S17_S18_S19_S1C_S1D_jS1E_jS1F_S1F_jjS1H_bEUljE0_EEES10_S11_S12_S19_S1D_S1F_T6_T7_T9_mT8_S1H_bDpT10_ENKUlT_T0_E_clISt17integral_constantIbLb1EES1V_EEDaS1Q_S1R_EUlS1Q_E_NS1_11comp_targetILNS1_3genE10ELNS1_11target_archE1200ELNS1_3gpuE4ELNS1_3repE0EEENS1_30default_config_static_selectorELNS0_4arch9wavefront6targetE1EEEvS13_,comdat
.Lfunc_end1686:
	.size	_ZN7rocprim17ROCPRIM_400000_NS6detail17trampoline_kernelINS0_13select_configILj256ELj13ELNS0_17block_load_methodE3ELS4_3ELS4_3ELNS0_20block_scan_algorithmE0ELj4294967295EEENS1_25partition_config_selectorILNS1_17partition_subalgoE4EjNS0_10empty_typeEbEEZZNS1_14partition_implILS8_4ELb0ES6_15HIP_vector_typeIjLj2EENS0_17counting_iteratorIjlEEPS9_SG_NS0_5tupleIJPjSI_NS0_16reverse_iteratorISI_EEEEENSH_IJSG_SG_SG_EEES9_SI_JZNS1_25segmented_radix_sort_implINS0_14default_configELb1EPK6__halfPSP_PKlPlN2at6native12_GLOBAL__N_18offset_tEEE10hipError_tPvRmT1_PNSt15iterator_traitsIS13_E10value_typeET2_T3_PNS14_IS19_E10value_typeET4_jRbjT5_S1F_jjP12ihipStream_tbEUljE_ZNSN_ISO_Lb1ESR_SS_SU_SV_SZ_EES10_S11_S12_S13_S17_S18_S19_S1C_S1D_jS1E_jS1F_S1F_jjS1H_bEUljE0_EEES10_S11_S12_S19_S1D_S1F_T6_T7_T9_mT8_S1H_bDpT10_ENKUlT_T0_E_clISt17integral_constantIbLb1EES1V_EEDaS1Q_S1R_EUlS1Q_E_NS1_11comp_targetILNS1_3genE10ELNS1_11target_archE1200ELNS1_3gpuE4ELNS1_3repE0EEENS1_30default_config_static_selectorELNS0_4arch9wavefront6targetE1EEEvS13_, .Lfunc_end1686-_ZN7rocprim17ROCPRIM_400000_NS6detail17trampoline_kernelINS0_13select_configILj256ELj13ELNS0_17block_load_methodE3ELS4_3ELS4_3ELNS0_20block_scan_algorithmE0ELj4294967295EEENS1_25partition_config_selectorILNS1_17partition_subalgoE4EjNS0_10empty_typeEbEEZZNS1_14partition_implILS8_4ELb0ES6_15HIP_vector_typeIjLj2EENS0_17counting_iteratorIjlEEPS9_SG_NS0_5tupleIJPjSI_NS0_16reverse_iteratorISI_EEEEENSH_IJSG_SG_SG_EEES9_SI_JZNS1_25segmented_radix_sort_implINS0_14default_configELb1EPK6__halfPSP_PKlPlN2at6native12_GLOBAL__N_18offset_tEEE10hipError_tPvRmT1_PNSt15iterator_traitsIS13_E10value_typeET2_T3_PNS14_IS19_E10value_typeET4_jRbjT5_S1F_jjP12ihipStream_tbEUljE_ZNSN_ISO_Lb1ESR_SS_SU_SV_SZ_EES10_S11_S12_S13_S17_S18_S19_S1C_S1D_jS1E_jS1F_S1F_jjS1H_bEUljE0_EEES10_S11_S12_S19_S1D_S1F_T6_T7_T9_mT8_S1H_bDpT10_ENKUlT_T0_E_clISt17integral_constantIbLb1EES1V_EEDaS1Q_S1R_EUlS1Q_E_NS1_11comp_targetILNS1_3genE10ELNS1_11target_archE1200ELNS1_3gpuE4ELNS1_3repE0EEENS1_30default_config_static_selectorELNS0_4arch9wavefront6targetE1EEEvS13_
                                        ; -- End function
	.section	.AMDGPU.csdata,"",@progbits
; Kernel info:
; codeLenInByte = 0
; NumSgprs: 4
; NumVgprs: 0
; NumAgprs: 0
; TotalNumVgprs: 0
; ScratchSize: 0
; MemoryBound: 0
; FloatMode: 240
; IeeeMode: 1
; LDSByteSize: 0 bytes/workgroup (compile time only)
; SGPRBlocks: 0
; VGPRBlocks: 0
; NumSGPRsForWavesPerEU: 4
; NumVGPRsForWavesPerEU: 1
; AccumOffset: 4
; Occupancy: 8
; WaveLimiterHint : 0
; COMPUTE_PGM_RSRC2:SCRATCH_EN: 0
; COMPUTE_PGM_RSRC2:USER_SGPR: 6
; COMPUTE_PGM_RSRC2:TRAP_HANDLER: 0
; COMPUTE_PGM_RSRC2:TGID_X_EN: 1
; COMPUTE_PGM_RSRC2:TGID_Y_EN: 0
; COMPUTE_PGM_RSRC2:TGID_Z_EN: 0
; COMPUTE_PGM_RSRC2:TIDIG_COMP_CNT: 0
; COMPUTE_PGM_RSRC3_GFX90A:ACCUM_OFFSET: 0
; COMPUTE_PGM_RSRC3_GFX90A:TG_SPLIT: 0
	.section	.text._ZN7rocprim17ROCPRIM_400000_NS6detail17trampoline_kernelINS0_13select_configILj256ELj13ELNS0_17block_load_methodE3ELS4_3ELS4_3ELNS0_20block_scan_algorithmE0ELj4294967295EEENS1_25partition_config_selectorILNS1_17partition_subalgoE4EjNS0_10empty_typeEbEEZZNS1_14partition_implILS8_4ELb0ES6_15HIP_vector_typeIjLj2EENS0_17counting_iteratorIjlEEPS9_SG_NS0_5tupleIJPjSI_NS0_16reverse_iteratorISI_EEEEENSH_IJSG_SG_SG_EEES9_SI_JZNS1_25segmented_radix_sort_implINS0_14default_configELb1EPK6__halfPSP_PKlPlN2at6native12_GLOBAL__N_18offset_tEEE10hipError_tPvRmT1_PNSt15iterator_traitsIS13_E10value_typeET2_T3_PNS14_IS19_E10value_typeET4_jRbjT5_S1F_jjP12ihipStream_tbEUljE_ZNSN_ISO_Lb1ESR_SS_SU_SV_SZ_EES10_S11_S12_S13_S17_S18_S19_S1C_S1D_jS1E_jS1F_S1F_jjS1H_bEUljE0_EEES10_S11_S12_S19_S1D_S1F_T6_T7_T9_mT8_S1H_bDpT10_ENKUlT_T0_E_clISt17integral_constantIbLb1EES1V_EEDaS1Q_S1R_EUlS1Q_E_NS1_11comp_targetILNS1_3genE9ELNS1_11target_archE1100ELNS1_3gpuE3ELNS1_3repE0EEENS1_30default_config_static_selectorELNS0_4arch9wavefront6targetE1EEEvS13_,"axG",@progbits,_ZN7rocprim17ROCPRIM_400000_NS6detail17trampoline_kernelINS0_13select_configILj256ELj13ELNS0_17block_load_methodE3ELS4_3ELS4_3ELNS0_20block_scan_algorithmE0ELj4294967295EEENS1_25partition_config_selectorILNS1_17partition_subalgoE4EjNS0_10empty_typeEbEEZZNS1_14partition_implILS8_4ELb0ES6_15HIP_vector_typeIjLj2EENS0_17counting_iteratorIjlEEPS9_SG_NS0_5tupleIJPjSI_NS0_16reverse_iteratorISI_EEEEENSH_IJSG_SG_SG_EEES9_SI_JZNS1_25segmented_radix_sort_implINS0_14default_configELb1EPK6__halfPSP_PKlPlN2at6native12_GLOBAL__N_18offset_tEEE10hipError_tPvRmT1_PNSt15iterator_traitsIS13_E10value_typeET2_T3_PNS14_IS19_E10value_typeET4_jRbjT5_S1F_jjP12ihipStream_tbEUljE_ZNSN_ISO_Lb1ESR_SS_SU_SV_SZ_EES10_S11_S12_S13_S17_S18_S19_S1C_S1D_jS1E_jS1F_S1F_jjS1H_bEUljE0_EEES10_S11_S12_S19_S1D_S1F_T6_T7_T9_mT8_S1H_bDpT10_ENKUlT_T0_E_clISt17integral_constantIbLb1EES1V_EEDaS1Q_S1R_EUlS1Q_E_NS1_11comp_targetILNS1_3genE9ELNS1_11target_archE1100ELNS1_3gpuE3ELNS1_3repE0EEENS1_30default_config_static_selectorELNS0_4arch9wavefront6targetE1EEEvS13_,comdat
	.globl	_ZN7rocprim17ROCPRIM_400000_NS6detail17trampoline_kernelINS0_13select_configILj256ELj13ELNS0_17block_load_methodE3ELS4_3ELS4_3ELNS0_20block_scan_algorithmE0ELj4294967295EEENS1_25partition_config_selectorILNS1_17partition_subalgoE4EjNS0_10empty_typeEbEEZZNS1_14partition_implILS8_4ELb0ES6_15HIP_vector_typeIjLj2EENS0_17counting_iteratorIjlEEPS9_SG_NS0_5tupleIJPjSI_NS0_16reverse_iteratorISI_EEEEENSH_IJSG_SG_SG_EEES9_SI_JZNS1_25segmented_radix_sort_implINS0_14default_configELb1EPK6__halfPSP_PKlPlN2at6native12_GLOBAL__N_18offset_tEEE10hipError_tPvRmT1_PNSt15iterator_traitsIS13_E10value_typeET2_T3_PNS14_IS19_E10value_typeET4_jRbjT5_S1F_jjP12ihipStream_tbEUljE_ZNSN_ISO_Lb1ESR_SS_SU_SV_SZ_EES10_S11_S12_S13_S17_S18_S19_S1C_S1D_jS1E_jS1F_S1F_jjS1H_bEUljE0_EEES10_S11_S12_S19_S1D_S1F_T6_T7_T9_mT8_S1H_bDpT10_ENKUlT_T0_E_clISt17integral_constantIbLb1EES1V_EEDaS1Q_S1R_EUlS1Q_E_NS1_11comp_targetILNS1_3genE9ELNS1_11target_archE1100ELNS1_3gpuE3ELNS1_3repE0EEENS1_30default_config_static_selectorELNS0_4arch9wavefront6targetE1EEEvS13_ ; -- Begin function _ZN7rocprim17ROCPRIM_400000_NS6detail17trampoline_kernelINS0_13select_configILj256ELj13ELNS0_17block_load_methodE3ELS4_3ELS4_3ELNS0_20block_scan_algorithmE0ELj4294967295EEENS1_25partition_config_selectorILNS1_17partition_subalgoE4EjNS0_10empty_typeEbEEZZNS1_14partition_implILS8_4ELb0ES6_15HIP_vector_typeIjLj2EENS0_17counting_iteratorIjlEEPS9_SG_NS0_5tupleIJPjSI_NS0_16reverse_iteratorISI_EEEEENSH_IJSG_SG_SG_EEES9_SI_JZNS1_25segmented_radix_sort_implINS0_14default_configELb1EPK6__halfPSP_PKlPlN2at6native12_GLOBAL__N_18offset_tEEE10hipError_tPvRmT1_PNSt15iterator_traitsIS13_E10value_typeET2_T3_PNS14_IS19_E10value_typeET4_jRbjT5_S1F_jjP12ihipStream_tbEUljE_ZNSN_ISO_Lb1ESR_SS_SU_SV_SZ_EES10_S11_S12_S13_S17_S18_S19_S1C_S1D_jS1E_jS1F_S1F_jjS1H_bEUljE0_EEES10_S11_S12_S19_S1D_S1F_T6_T7_T9_mT8_S1H_bDpT10_ENKUlT_T0_E_clISt17integral_constantIbLb1EES1V_EEDaS1Q_S1R_EUlS1Q_E_NS1_11comp_targetILNS1_3genE9ELNS1_11target_archE1100ELNS1_3gpuE3ELNS1_3repE0EEENS1_30default_config_static_selectorELNS0_4arch9wavefront6targetE1EEEvS13_
	.p2align	8
	.type	_ZN7rocprim17ROCPRIM_400000_NS6detail17trampoline_kernelINS0_13select_configILj256ELj13ELNS0_17block_load_methodE3ELS4_3ELS4_3ELNS0_20block_scan_algorithmE0ELj4294967295EEENS1_25partition_config_selectorILNS1_17partition_subalgoE4EjNS0_10empty_typeEbEEZZNS1_14partition_implILS8_4ELb0ES6_15HIP_vector_typeIjLj2EENS0_17counting_iteratorIjlEEPS9_SG_NS0_5tupleIJPjSI_NS0_16reverse_iteratorISI_EEEEENSH_IJSG_SG_SG_EEES9_SI_JZNS1_25segmented_radix_sort_implINS0_14default_configELb1EPK6__halfPSP_PKlPlN2at6native12_GLOBAL__N_18offset_tEEE10hipError_tPvRmT1_PNSt15iterator_traitsIS13_E10value_typeET2_T3_PNS14_IS19_E10value_typeET4_jRbjT5_S1F_jjP12ihipStream_tbEUljE_ZNSN_ISO_Lb1ESR_SS_SU_SV_SZ_EES10_S11_S12_S13_S17_S18_S19_S1C_S1D_jS1E_jS1F_S1F_jjS1H_bEUljE0_EEES10_S11_S12_S19_S1D_S1F_T6_T7_T9_mT8_S1H_bDpT10_ENKUlT_T0_E_clISt17integral_constantIbLb1EES1V_EEDaS1Q_S1R_EUlS1Q_E_NS1_11comp_targetILNS1_3genE9ELNS1_11target_archE1100ELNS1_3gpuE3ELNS1_3repE0EEENS1_30default_config_static_selectorELNS0_4arch9wavefront6targetE1EEEvS13_,@function
_ZN7rocprim17ROCPRIM_400000_NS6detail17trampoline_kernelINS0_13select_configILj256ELj13ELNS0_17block_load_methodE3ELS4_3ELS4_3ELNS0_20block_scan_algorithmE0ELj4294967295EEENS1_25partition_config_selectorILNS1_17partition_subalgoE4EjNS0_10empty_typeEbEEZZNS1_14partition_implILS8_4ELb0ES6_15HIP_vector_typeIjLj2EENS0_17counting_iteratorIjlEEPS9_SG_NS0_5tupleIJPjSI_NS0_16reverse_iteratorISI_EEEEENSH_IJSG_SG_SG_EEES9_SI_JZNS1_25segmented_radix_sort_implINS0_14default_configELb1EPK6__halfPSP_PKlPlN2at6native12_GLOBAL__N_18offset_tEEE10hipError_tPvRmT1_PNSt15iterator_traitsIS13_E10value_typeET2_T3_PNS14_IS19_E10value_typeET4_jRbjT5_S1F_jjP12ihipStream_tbEUljE_ZNSN_ISO_Lb1ESR_SS_SU_SV_SZ_EES10_S11_S12_S13_S17_S18_S19_S1C_S1D_jS1E_jS1F_S1F_jjS1H_bEUljE0_EEES10_S11_S12_S19_S1D_S1F_T6_T7_T9_mT8_S1H_bDpT10_ENKUlT_T0_E_clISt17integral_constantIbLb1EES1V_EEDaS1Q_S1R_EUlS1Q_E_NS1_11comp_targetILNS1_3genE9ELNS1_11target_archE1100ELNS1_3gpuE3ELNS1_3repE0EEENS1_30default_config_static_selectorELNS0_4arch9wavefront6targetE1EEEvS13_: ; @_ZN7rocprim17ROCPRIM_400000_NS6detail17trampoline_kernelINS0_13select_configILj256ELj13ELNS0_17block_load_methodE3ELS4_3ELS4_3ELNS0_20block_scan_algorithmE0ELj4294967295EEENS1_25partition_config_selectorILNS1_17partition_subalgoE4EjNS0_10empty_typeEbEEZZNS1_14partition_implILS8_4ELb0ES6_15HIP_vector_typeIjLj2EENS0_17counting_iteratorIjlEEPS9_SG_NS0_5tupleIJPjSI_NS0_16reverse_iteratorISI_EEEEENSH_IJSG_SG_SG_EEES9_SI_JZNS1_25segmented_radix_sort_implINS0_14default_configELb1EPK6__halfPSP_PKlPlN2at6native12_GLOBAL__N_18offset_tEEE10hipError_tPvRmT1_PNSt15iterator_traitsIS13_E10value_typeET2_T3_PNS14_IS19_E10value_typeET4_jRbjT5_S1F_jjP12ihipStream_tbEUljE_ZNSN_ISO_Lb1ESR_SS_SU_SV_SZ_EES10_S11_S12_S13_S17_S18_S19_S1C_S1D_jS1E_jS1F_S1F_jjS1H_bEUljE0_EEES10_S11_S12_S19_S1D_S1F_T6_T7_T9_mT8_S1H_bDpT10_ENKUlT_T0_E_clISt17integral_constantIbLb1EES1V_EEDaS1Q_S1R_EUlS1Q_E_NS1_11comp_targetILNS1_3genE9ELNS1_11target_archE1100ELNS1_3gpuE3ELNS1_3repE0EEENS1_30default_config_static_selectorELNS0_4arch9wavefront6targetE1EEEvS13_
; %bb.0:
	.section	.rodata,"a",@progbits
	.p2align	6, 0x0
	.amdhsa_kernel _ZN7rocprim17ROCPRIM_400000_NS6detail17trampoline_kernelINS0_13select_configILj256ELj13ELNS0_17block_load_methodE3ELS4_3ELS4_3ELNS0_20block_scan_algorithmE0ELj4294967295EEENS1_25partition_config_selectorILNS1_17partition_subalgoE4EjNS0_10empty_typeEbEEZZNS1_14partition_implILS8_4ELb0ES6_15HIP_vector_typeIjLj2EENS0_17counting_iteratorIjlEEPS9_SG_NS0_5tupleIJPjSI_NS0_16reverse_iteratorISI_EEEEENSH_IJSG_SG_SG_EEES9_SI_JZNS1_25segmented_radix_sort_implINS0_14default_configELb1EPK6__halfPSP_PKlPlN2at6native12_GLOBAL__N_18offset_tEEE10hipError_tPvRmT1_PNSt15iterator_traitsIS13_E10value_typeET2_T3_PNS14_IS19_E10value_typeET4_jRbjT5_S1F_jjP12ihipStream_tbEUljE_ZNSN_ISO_Lb1ESR_SS_SU_SV_SZ_EES10_S11_S12_S13_S17_S18_S19_S1C_S1D_jS1E_jS1F_S1F_jjS1H_bEUljE0_EEES10_S11_S12_S19_S1D_S1F_T6_T7_T9_mT8_S1H_bDpT10_ENKUlT_T0_E_clISt17integral_constantIbLb1EES1V_EEDaS1Q_S1R_EUlS1Q_E_NS1_11comp_targetILNS1_3genE9ELNS1_11target_archE1100ELNS1_3gpuE3ELNS1_3repE0EEENS1_30default_config_static_selectorELNS0_4arch9wavefront6targetE1EEEvS13_
		.amdhsa_group_segment_fixed_size 0
		.amdhsa_private_segment_fixed_size 0
		.amdhsa_kernarg_size 184
		.amdhsa_user_sgpr_count 6
		.amdhsa_user_sgpr_private_segment_buffer 1
		.amdhsa_user_sgpr_dispatch_ptr 0
		.amdhsa_user_sgpr_queue_ptr 0
		.amdhsa_user_sgpr_kernarg_segment_ptr 1
		.amdhsa_user_sgpr_dispatch_id 0
		.amdhsa_user_sgpr_flat_scratch_init 0
		.amdhsa_user_sgpr_kernarg_preload_length 0
		.amdhsa_user_sgpr_kernarg_preload_offset 0
		.amdhsa_user_sgpr_private_segment_size 0
		.amdhsa_uses_dynamic_stack 0
		.amdhsa_system_sgpr_private_segment_wavefront_offset 0
		.amdhsa_system_sgpr_workgroup_id_x 1
		.amdhsa_system_sgpr_workgroup_id_y 0
		.amdhsa_system_sgpr_workgroup_id_z 0
		.amdhsa_system_sgpr_workgroup_info 0
		.amdhsa_system_vgpr_workitem_id 0
		.amdhsa_next_free_vgpr 1
		.amdhsa_next_free_sgpr 0
		.amdhsa_accum_offset 4
		.amdhsa_reserve_vcc 0
		.amdhsa_reserve_flat_scratch 0
		.amdhsa_float_round_mode_32 0
		.amdhsa_float_round_mode_16_64 0
		.amdhsa_float_denorm_mode_32 3
		.amdhsa_float_denorm_mode_16_64 3
		.amdhsa_dx10_clamp 1
		.amdhsa_ieee_mode 1
		.amdhsa_fp16_overflow 0
		.amdhsa_tg_split 0
		.amdhsa_exception_fp_ieee_invalid_op 0
		.amdhsa_exception_fp_denorm_src 0
		.amdhsa_exception_fp_ieee_div_zero 0
		.amdhsa_exception_fp_ieee_overflow 0
		.amdhsa_exception_fp_ieee_underflow 0
		.amdhsa_exception_fp_ieee_inexact 0
		.amdhsa_exception_int_div_zero 0
	.end_amdhsa_kernel
	.section	.text._ZN7rocprim17ROCPRIM_400000_NS6detail17trampoline_kernelINS0_13select_configILj256ELj13ELNS0_17block_load_methodE3ELS4_3ELS4_3ELNS0_20block_scan_algorithmE0ELj4294967295EEENS1_25partition_config_selectorILNS1_17partition_subalgoE4EjNS0_10empty_typeEbEEZZNS1_14partition_implILS8_4ELb0ES6_15HIP_vector_typeIjLj2EENS0_17counting_iteratorIjlEEPS9_SG_NS0_5tupleIJPjSI_NS0_16reverse_iteratorISI_EEEEENSH_IJSG_SG_SG_EEES9_SI_JZNS1_25segmented_radix_sort_implINS0_14default_configELb1EPK6__halfPSP_PKlPlN2at6native12_GLOBAL__N_18offset_tEEE10hipError_tPvRmT1_PNSt15iterator_traitsIS13_E10value_typeET2_T3_PNS14_IS19_E10value_typeET4_jRbjT5_S1F_jjP12ihipStream_tbEUljE_ZNSN_ISO_Lb1ESR_SS_SU_SV_SZ_EES10_S11_S12_S13_S17_S18_S19_S1C_S1D_jS1E_jS1F_S1F_jjS1H_bEUljE0_EEES10_S11_S12_S19_S1D_S1F_T6_T7_T9_mT8_S1H_bDpT10_ENKUlT_T0_E_clISt17integral_constantIbLb1EES1V_EEDaS1Q_S1R_EUlS1Q_E_NS1_11comp_targetILNS1_3genE9ELNS1_11target_archE1100ELNS1_3gpuE3ELNS1_3repE0EEENS1_30default_config_static_selectorELNS0_4arch9wavefront6targetE1EEEvS13_,"axG",@progbits,_ZN7rocprim17ROCPRIM_400000_NS6detail17trampoline_kernelINS0_13select_configILj256ELj13ELNS0_17block_load_methodE3ELS4_3ELS4_3ELNS0_20block_scan_algorithmE0ELj4294967295EEENS1_25partition_config_selectorILNS1_17partition_subalgoE4EjNS0_10empty_typeEbEEZZNS1_14partition_implILS8_4ELb0ES6_15HIP_vector_typeIjLj2EENS0_17counting_iteratorIjlEEPS9_SG_NS0_5tupleIJPjSI_NS0_16reverse_iteratorISI_EEEEENSH_IJSG_SG_SG_EEES9_SI_JZNS1_25segmented_radix_sort_implINS0_14default_configELb1EPK6__halfPSP_PKlPlN2at6native12_GLOBAL__N_18offset_tEEE10hipError_tPvRmT1_PNSt15iterator_traitsIS13_E10value_typeET2_T3_PNS14_IS19_E10value_typeET4_jRbjT5_S1F_jjP12ihipStream_tbEUljE_ZNSN_ISO_Lb1ESR_SS_SU_SV_SZ_EES10_S11_S12_S13_S17_S18_S19_S1C_S1D_jS1E_jS1F_S1F_jjS1H_bEUljE0_EEES10_S11_S12_S19_S1D_S1F_T6_T7_T9_mT8_S1H_bDpT10_ENKUlT_T0_E_clISt17integral_constantIbLb1EES1V_EEDaS1Q_S1R_EUlS1Q_E_NS1_11comp_targetILNS1_3genE9ELNS1_11target_archE1100ELNS1_3gpuE3ELNS1_3repE0EEENS1_30default_config_static_selectorELNS0_4arch9wavefront6targetE1EEEvS13_,comdat
.Lfunc_end1687:
	.size	_ZN7rocprim17ROCPRIM_400000_NS6detail17trampoline_kernelINS0_13select_configILj256ELj13ELNS0_17block_load_methodE3ELS4_3ELS4_3ELNS0_20block_scan_algorithmE0ELj4294967295EEENS1_25partition_config_selectorILNS1_17partition_subalgoE4EjNS0_10empty_typeEbEEZZNS1_14partition_implILS8_4ELb0ES6_15HIP_vector_typeIjLj2EENS0_17counting_iteratorIjlEEPS9_SG_NS0_5tupleIJPjSI_NS0_16reverse_iteratorISI_EEEEENSH_IJSG_SG_SG_EEES9_SI_JZNS1_25segmented_radix_sort_implINS0_14default_configELb1EPK6__halfPSP_PKlPlN2at6native12_GLOBAL__N_18offset_tEEE10hipError_tPvRmT1_PNSt15iterator_traitsIS13_E10value_typeET2_T3_PNS14_IS19_E10value_typeET4_jRbjT5_S1F_jjP12ihipStream_tbEUljE_ZNSN_ISO_Lb1ESR_SS_SU_SV_SZ_EES10_S11_S12_S13_S17_S18_S19_S1C_S1D_jS1E_jS1F_S1F_jjS1H_bEUljE0_EEES10_S11_S12_S19_S1D_S1F_T6_T7_T9_mT8_S1H_bDpT10_ENKUlT_T0_E_clISt17integral_constantIbLb1EES1V_EEDaS1Q_S1R_EUlS1Q_E_NS1_11comp_targetILNS1_3genE9ELNS1_11target_archE1100ELNS1_3gpuE3ELNS1_3repE0EEENS1_30default_config_static_selectorELNS0_4arch9wavefront6targetE1EEEvS13_, .Lfunc_end1687-_ZN7rocprim17ROCPRIM_400000_NS6detail17trampoline_kernelINS0_13select_configILj256ELj13ELNS0_17block_load_methodE3ELS4_3ELS4_3ELNS0_20block_scan_algorithmE0ELj4294967295EEENS1_25partition_config_selectorILNS1_17partition_subalgoE4EjNS0_10empty_typeEbEEZZNS1_14partition_implILS8_4ELb0ES6_15HIP_vector_typeIjLj2EENS0_17counting_iteratorIjlEEPS9_SG_NS0_5tupleIJPjSI_NS0_16reverse_iteratorISI_EEEEENSH_IJSG_SG_SG_EEES9_SI_JZNS1_25segmented_radix_sort_implINS0_14default_configELb1EPK6__halfPSP_PKlPlN2at6native12_GLOBAL__N_18offset_tEEE10hipError_tPvRmT1_PNSt15iterator_traitsIS13_E10value_typeET2_T3_PNS14_IS19_E10value_typeET4_jRbjT5_S1F_jjP12ihipStream_tbEUljE_ZNSN_ISO_Lb1ESR_SS_SU_SV_SZ_EES10_S11_S12_S13_S17_S18_S19_S1C_S1D_jS1E_jS1F_S1F_jjS1H_bEUljE0_EEES10_S11_S12_S19_S1D_S1F_T6_T7_T9_mT8_S1H_bDpT10_ENKUlT_T0_E_clISt17integral_constantIbLb1EES1V_EEDaS1Q_S1R_EUlS1Q_E_NS1_11comp_targetILNS1_3genE9ELNS1_11target_archE1100ELNS1_3gpuE3ELNS1_3repE0EEENS1_30default_config_static_selectorELNS0_4arch9wavefront6targetE1EEEvS13_
                                        ; -- End function
	.section	.AMDGPU.csdata,"",@progbits
; Kernel info:
; codeLenInByte = 0
; NumSgprs: 4
; NumVgprs: 0
; NumAgprs: 0
; TotalNumVgprs: 0
; ScratchSize: 0
; MemoryBound: 0
; FloatMode: 240
; IeeeMode: 1
; LDSByteSize: 0 bytes/workgroup (compile time only)
; SGPRBlocks: 0
; VGPRBlocks: 0
; NumSGPRsForWavesPerEU: 4
; NumVGPRsForWavesPerEU: 1
; AccumOffset: 4
; Occupancy: 8
; WaveLimiterHint : 0
; COMPUTE_PGM_RSRC2:SCRATCH_EN: 0
; COMPUTE_PGM_RSRC2:USER_SGPR: 6
; COMPUTE_PGM_RSRC2:TRAP_HANDLER: 0
; COMPUTE_PGM_RSRC2:TGID_X_EN: 1
; COMPUTE_PGM_RSRC2:TGID_Y_EN: 0
; COMPUTE_PGM_RSRC2:TGID_Z_EN: 0
; COMPUTE_PGM_RSRC2:TIDIG_COMP_CNT: 0
; COMPUTE_PGM_RSRC3_GFX90A:ACCUM_OFFSET: 0
; COMPUTE_PGM_RSRC3_GFX90A:TG_SPLIT: 0
	.section	.text._ZN7rocprim17ROCPRIM_400000_NS6detail17trampoline_kernelINS0_13select_configILj256ELj13ELNS0_17block_load_methodE3ELS4_3ELS4_3ELNS0_20block_scan_algorithmE0ELj4294967295EEENS1_25partition_config_selectorILNS1_17partition_subalgoE4EjNS0_10empty_typeEbEEZZNS1_14partition_implILS8_4ELb0ES6_15HIP_vector_typeIjLj2EENS0_17counting_iteratorIjlEEPS9_SG_NS0_5tupleIJPjSI_NS0_16reverse_iteratorISI_EEEEENSH_IJSG_SG_SG_EEES9_SI_JZNS1_25segmented_radix_sort_implINS0_14default_configELb1EPK6__halfPSP_PKlPlN2at6native12_GLOBAL__N_18offset_tEEE10hipError_tPvRmT1_PNSt15iterator_traitsIS13_E10value_typeET2_T3_PNS14_IS19_E10value_typeET4_jRbjT5_S1F_jjP12ihipStream_tbEUljE_ZNSN_ISO_Lb1ESR_SS_SU_SV_SZ_EES10_S11_S12_S13_S17_S18_S19_S1C_S1D_jS1E_jS1F_S1F_jjS1H_bEUljE0_EEES10_S11_S12_S19_S1D_S1F_T6_T7_T9_mT8_S1H_bDpT10_ENKUlT_T0_E_clISt17integral_constantIbLb1EES1V_EEDaS1Q_S1R_EUlS1Q_E_NS1_11comp_targetILNS1_3genE8ELNS1_11target_archE1030ELNS1_3gpuE2ELNS1_3repE0EEENS1_30default_config_static_selectorELNS0_4arch9wavefront6targetE1EEEvS13_,"axG",@progbits,_ZN7rocprim17ROCPRIM_400000_NS6detail17trampoline_kernelINS0_13select_configILj256ELj13ELNS0_17block_load_methodE3ELS4_3ELS4_3ELNS0_20block_scan_algorithmE0ELj4294967295EEENS1_25partition_config_selectorILNS1_17partition_subalgoE4EjNS0_10empty_typeEbEEZZNS1_14partition_implILS8_4ELb0ES6_15HIP_vector_typeIjLj2EENS0_17counting_iteratorIjlEEPS9_SG_NS0_5tupleIJPjSI_NS0_16reverse_iteratorISI_EEEEENSH_IJSG_SG_SG_EEES9_SI_JZNS1_25segmented_radix_sort_implINS0_14default_configELb1EPK6__halfPSP_PKlPlN2at6native12_GLOBAL__N_18offset_tEEE10hipError_tPvRmT1_PNSt15iterator_traitsIS13_E10value_typeET2_T3_PNS14_IS19_E10value_typeET4_jRbjT5_S1F_jjP12ihipStream_tbEUljE_ZNSN_ISO_Lb1ESR_SS_SU_SV_SZ_EES10_S11_S12_S13_S17_S18_S19_S1C_S1D_jS1E_jS1F_S1F_jjS1H_bEUljE0_EEES10_S11_S12_S19_S1D_S1F_T6_T7_T9_mT8_S1H_bDpT10_ENKUlT_T0_E_clISt17integral_constantIbLb1EES1V_EEDaS1Q_S1R_EUlS1Q_E_NS1_11comp_targetILNS1_3genE8ELNS1_11target_archE1030ELNS1_3gpuE2ELNS1_3repE0EEENS1_30default_config_static_selectorELNS0_4arch9wavefront6targetE1EEEvS13_,comdat
	.globl	_ZN7rocprim17ROCPRIM_400000_NS6detail17trampoline_kernelINS0_13select_configILj256ELj13ELNS0_17block_load_methodE3ELS4_3ELS4_3ELNS0_20block_scan_algorithmE0ELj4294967295EEENS1_25partition_config_selectorILNS1_17partition_subalgoE4EjNS0_10empty_typeEbEEZZNS1_14partition_implILS8_4ELb0ES6_15HIP_vector_typeIjLj2EENS0_17counting_iteratorIjlEEPS9_SG_NS0_5tupleIJPjSI_NS0_16reverse_iteratorISI_EEEEENSH_IJSG_SG_SG_EEES9_SI_JZNS1_25segmented_radix_sort_implINS0_14default_configELb1EPK6__halfPSP_PKlPlN2at6native12_GLOBAL__N_18offset_tEEE10hipError_tPvRmT1_PNSt15iterator_traitsIS13_E10value_typeET2_T3_PNS14_IS19_E10value_typeET4_jRbjT5_S1F_jjP12ihipStream_tbEUljE_ZNSN_ISO_Lb1ESR_SS_SU_SV_SZ_EES10_S11_S12_S13_S17_S18_S19_S1C_S1D_jS1E_jS1F_S1F_jjS1H_bEUljE0_EEES10_S11_S12_S19_S1D_S1F_T6_T7_T9_mT8_S1H_bDpT10_ENKUlT_T0_E_clISt17integral_constantIbLb1EES1V_EEDaS1Q_S1R_EUlS1Q_E_NS1_11comp_targetILNS1_3genE8ELNS1_11target_archE1030ELNS1_3gpuE2ELNS1_3repE0EEENS1_30default_config_static_selectorELNS0_4arch9wavefront6targetE1EEEvS13_ ; -- Begin function _ZN7rocprim17ROCPRIM_400000_NS6detail17trampoline_kernelINS0_13select_configILj256ELj13ELNS0_17block_load_methodE3ELS4_3ELS4_3ELNS0_20block_scan_algorithmE0ELj4294967295EEENS1_25partition_config_selectorILNS1_17partition_subalgoE4EjNS0_10empty_typeEbEEZZNS1_14partition_implILS8_4ELb0ES6_15HIP_vector_typeIjLj2EENS0_17counting_iteratorIjlEEPS9_SG_NS0_5tupleIJPjSI_NS0_16reverse_iteratorISI_EEEEENSH_IJSG_SG_SG_EEES9_SI_JZNS1_25segmented_radix_sort_implINS0_14default_configELb1EPK6__halfPSP_PKlPlN2at6native12_GLOBAL__N_18offset_tEEE10hipError_tPvRmT1_PNSt15iterator_traitsIS13_E10value_typeET2_T3_PNS14_IS19_E10value_typeET4_jRbjT5_S1F_jjP12ihipStream_tbEUljE_ZNSN_ISO_Lb1ESR_SS_SU_SV_SZ_EES10_S11_S12_S13_S17_S18_S19_S1C_S1D_jS1E_jS1F_S1F_jjS1H_bEUljE0_EEES10_S11_S12_S19_S1D_S1F_T6_T7_T9_mT8_S1H_bDpT10_ENKUlT_T0_E_clISt17integral_constantIbLb1EES1V_EEDaS1Q_S1R_EUlS1Q_E_NS1_11comp_targetILNS1_3genE8ELNS1_11target_archE1030ELNS1_3gpuE2ELNS1_3repE0EEENS1_30default_config_static_selectorELNS0_4arch9wavefront6targetE1EEEvS13_
	.p2align	8
	.type	_ZN7rocprim17ROCPRIM_400000_NS6detail17trampoline_kernelINS0_13select_configILj256ELj13ELNS0_17block_load_methodE3ELS4_3ELS4_3ELNS0_20block_scan_algorithmE0ELj4294967295EEENS1_25partition_config_selectorILNS1_17partition_subalgoE4EjNS0_10empty_typeEbEEZZNS1_14partition_implILS8_4ELb0ES6_15HIP_vector_typeIjLj2EENS0_17counting_iteratorIjlEEPS9_SG_NS0_5tupleIJPjSI_NS0_16reverse_iteratorISI_EEEEENSH_IJSG_SG_SG_EEES9_SI_JZNS1_25segmented_radix_sort_implINS0_14default_configELb1EPK6__halfPSP_PKlPlN2at6native12_GLOBAL__N_18offset_tEEE10hipError_tPvRmT1_PNSt15iterator_traitsIS13_E10value_typeET2_T3_PNS14_IS19_E10value_typeET4_jRbjT5_S1F_jjP12ihipStream_tbEUljE_ZNSN_ISO_Lb1ESR_SS_SU_SV_SZ_EES10_S11_S12_S13_S17_S18_S19_S1C_S1D_jS1E_jS1F_S1F_jjS1H_bEUljE0_EEES10_S11_S12_S19_S1D_S1F_T6_T7_T9_mT8_S1H_bDpT10_ENKUlT_T0_E_clISt17integral_constantIbLb1EES1V_EEDaS1Q_S1R_EUlS1Q_E_NS1_11comp_targetILNS1_3genE8ELNS1_11target_archE1030ELNS1_3gpuE2ELNS1_3repE0EEENS1_30default_config_static_selectorELNS0_4arch9wavefront6targetE1EEEvS13_,@function
_ZN7rocprim17ROCPRIM_400000_NS6detail17trampoline_kernelINS0_13select_configILj256ELj13ELNS0_17block_load_methodE3ELS4_3ELS4_3ELNS0_20block_scan_algorithmE0ELj4294967295EEENS1_25partition_config_selectorILNS1_17partition_subalgoE4EjNS0_10empty_typeEbEEZZNS1_14partition_implILS8_4ELb0ES6_15HIP_vector_typeIjLj2EENS0_17counting_iteratorIjlEEPS9_SG_NS0_5tupleIJPjSI_NS0_16reverse_iteratorISI_EEEEENSH_IJSG_SG_SG_EEES9_SI_JZNS1_25segmented_radix_sort_implINS0_14default_configELb1EPK6__halfPSP_PKlPlN2at6native12_GLOBAL__N_18offset_tEEE10hipError_tPvRmT1_PNSt15iterator_traitsIS13_E10value_typeET2_T3_PNS14_IS19_E10value_typeET4_jRbjT5_S1F_jjP12ihipStream_tbEUljE_ZNSN_ISO_Lb1ESR_SS_SU_SV_SZ_EES10_S11_S12_S13_S17_S18_S19_S1C_S1D_jS1E_jS1F_S1F_jjS1H_bEUljE0_EEES10_S11_S12_S19_S1D_S1F_T6_T7_T9_mT8_S1H_bDpT10_ENKUlT_T0_E_clISt17integral_constantIbLb1EES1V_EEDaS1Q_S1R_EUlS1Q_E_NS1_11comp_targetILNS1_3genE8ELNS1_11target_archE1030ELNS1_3gpuE2ELNS1_3repE0EEENS1_30default_config_static_selectorELNS0_4arch9wavefront6targetE1EEEvS13_: ; @_ZN7rocprim17ROCPRIM_400000_NS6detail17trampoline_kernelINS0_13select_configILj256ELj13ELNS0_17block_load_methodE3ELS4_3ELS4_3ELNS0_20block_scan_algorithmE0ELj4294967295EEENS1_25partition_config_selectorILNS1_17partition_subalgoE4EjNS0_10empty_typeEbEEZZNS1_14partition_implILS8_4ELb0ES6_15HIP_vector_typeIjLj2EENS0_17counting_iteratorIjlEEPS9_SG_NS0_5tupleIJPjSI_NS0_16reverse_iteratorISI_EEEEENSH_IJSG_SG_SG_EEES9_SI_JZNS1_25segmented_radix_sort_implINS0_14default_configELb1EPK6__halfPSP_PKlPlN2at6native12_GLOBAL__N_18offset_tEEE10hipError_tPvRmT1_PNSt15iterator_traitsIS13_E10value_typeET2_T3_PNS14_IS19_E10value_typeET4_jRbjT5_S1F_jjP12ihipStream_tbEUljE_ZNSN_ISO_Lb1ESR_SS_SU_SV_SZ_EES10_S11_S12_S13_S17_S18_S19_S1C_S1D_jS1E_jS1F_S1F_jjS1H_bEUljE0_EEES10_S11_S12_S19_S1D_S1F_T6_T7_T9_mT8_S1H_bDpT10_ENKUlT_T0_E_clISt17integral_constantIbLb1EES1V_EEDaS1Q_S1R_EUlS1Q_E_NS1_11comp_targetILNS1_3genE8ELNS1_11target_archE1030ELNS1_3gpuE2ELNS1_3repE0EEENS1_30default_config_static_selectorELNS0_4arch9wavefront6targetE1EEEvS13_
; %bb.0:
	.section	.rodata,"a",@progbits
	.p2align	6, 0x0
	.amdhsa_kernel _ZN7rocprim17ROCPRIM_400000_NS6detail17trampoline_kernelINS0_13select_configILj256ELj13ELNS0_17block_load_methodE3ELS4_3ELS4_3ELNS0_20block_scan_algorithmE0ELj4294967295EEENS1_25partition_config_selectorILNS1_17partition_subalgoE4EjNS0_10empty_typeEbEEZZNS1_14partition_implILS8_4ELb0ES6_15HIP_vector_typeIjLj2EENS0_17counting_iteratorIjlEEPS9_SG_NS0_5tupleIJPjSI_NS0_16reverse_iteratorISI_EEEEENSH_IJSG_SG_SG_EEES9_SI_JZNS1_25segmented_radix_sort_implINS0_14default_configELb1EPK6__halfPSP_PKlPlN2at6native12_GLOBAL__N_18offset_tEEE10hipError_tPvRmT1_PNSt15iterator_traitsIS13_E10value_typeET2_T3_PNS14_IS19_E10value_typeET4_jRbjT5_S1F_jjP12ihipStream_tbEUljE_ZNSN_ISO_Lb1ESR_SS_SU_SV_SZ_EES10_S11_S12_S13_S17_S18_S19_S1C_S1D_jS1E_jS1F_S1F_jjS1H_bEUljE0_EEES10_S11_S12_S19_S1D_S1F_T6_T7_T9_mT8_S1H_bDpT10_ENKUlT_T0_E_clISt17integral_constantIbLb1EES1V_EEDaS1Q_S1R_EUlS1Q_E_NS1_11comp_targetILNS1_3genE8ELNS1_11target_archE1030ELNS1_3gpuE2ELNS1_3repE0EEENS1_30default_config_static_selectorELNS0_4arch9wavefront6targetE1EEEvS13_
		.amdhsa_group_segment_fixed_size 0
		.amdhsa_private_segment_fixed_size 0
		.amdhsa_kernarg_size 184
		.amdhsa_user_sgpr_count 6
		.amdhsa_user_sgpr_private_segment_buffer 1
		.amdhsa_user_sgpr_dispatch_ptr 0
		.amdhsa_user_sgpr_queue_ptr 0
		.amdhsa_user_sgpr_kernarg_segment_ptr 1
		.amdhsa_user_sgpr_dispatch_id 0
		.amdhsa_user_sgpr_flat_scratch_init 0
		.amdhsa_user_sgpr_kernarg_preload_length 0
		.amdhsa_user_sgpr_kernarg_preload_offset 0
		.amdhsa_user_sgpr_private_segment_size 0
		.amdhsa_uses_dynamic_stack 0
		.amdhsa_system_sgpr_private_segment_wavefront_offset 0
		.amdhsa_system_sgpr_workgroup_id_x 1
		.amdhsa_system_sgpr_workgroup_id_y 0
		.amdhsa_system_sgpr_workgroup_id_z 0
		.amdhsa_system_sgpr_workgroup_info 0
		.amdhsa_system_vgpr_workitem_id 0
		.amdhsa_next_free_vgpr 1
		.amdhsa_next_free_sgpr 0
		.amdhsa_accum_offset 4
		.amdhsa_reserve_vcc 0
		.amdhsa_reserve_flat_scratch 0
		.amdhsa_float_round_mode_32 0
		.amdhsa_float_round_mode_16_64 0
		.amdhsa_float_denorm_mode_32 3
		.amdhsa_float_denorm_mode_16_64 3
		.amdhsa_dx10_clamp 1
		.amdhsa_ieee_mode 1
		.amdhsa_fp16_overflow 0
		.amdhsa_tg_split 0
		.amdhsa_exception_fp_ieee_invalid_op 0
		.amdhsa_exception_fp_denorm_src 0
		.amdhsa_exception_fp_ieee_div_zero 0
		.amdhsa_exception_fp_ieee_overflow 0
		.amdhsa_exception_fp_ieee_underflow 0
		.amdhsa_exception_fp_ieee_inexact 0
		.amdhsa_exception_int_div_zero 0
	.end_amdhsa_kernel
	.section	.text._ZN7rocprim17ROCPRIM_400000_NS6detail17trampoline_kernelINS0_13select_configILj256ELj13ELNS0_17block_load_methodE3ELS4_3ELS4_3ELNS0_20block_scan_algorithmE0ELj4294967295EEENS1_25partition_config_selectorILNS1_17partition_subalgoE4EjNS0_10empty_typeEbEEZZNS1_14partition_implILS8_4ELb0ES6_15HIP_vector_typeIjLj2EENS0_17counting_iteratorIjlEEPS9_SG_NS0_5tupleIJPjSI_NS0_16reverse_iteratorISI_EEEEENSH_IJSG_SG_SG_EEES9_SI_JZNS1_25segmented_radix_sort_implINS0_14default_configELb1EPK6__halfPSP_PKlPlN2at6native12_GLOBAL__N_18offset_tEEE10hipError_tPvRmT1_PNSt15iterator_traitsIS13_E10value_typeET2_T3_PNS14_IS19_E10value_typeET4_jRbjT5_S1F_jjP12ihipStream_tbEUljE_ZNSN_ISO_Lb1ESR_SS_SU_SV_SZ_EES10_S11_S12_S13_S17_S18_S19_S1C_S1D_jS1E_jS1F_S1F_jjS1H_bEUljE0_EEES10_S11_S12_S19_S1D_S1F_T6_T7_T9_mT8_S1H_bDpT10_ENKUlT_T0_E_clISt17integral_constantIbLb1EES1V_EEDaS1Q_S1R_EUlS1Q_E_NS1_11comp_targetILNS1_3genE8ELNS1_11target_archE1030ELNS1_3gpuE2ELNS1_3repE0EEENS1_30default_config_static_selectorELNS0_4arch9wavefront6targetE1EEEvS13_,"axG",@progbits,_ZN7rocprim17ROCPRIM_400000_NS6detail17trampoline_kernelINS0_13select_configILj256ELj13ELNS0_17block_load_methodE3ELS4_3ELS4_3ELNS0_20block_scan_algorithmE0ELj4294967295EEENS1_25partition_config_selectorILNS1_17partition_subalgoE4EjNS0_10empty_typeEbEEZZNS1_14partition_implILS8_4ELb0ES6_15HIP_vector_typeIjLj2EENS0_17counting_iteratorIjlEEPS9_SG_NS0_5tupleIJPjSI_NS0_16reverse_iteratorISI_EEEEENSH_IJSG_SG_SG_EEES9_SI_JZNS1_25segmented_radix_sort_implINS0_14default_configELb1EPK6__halfPSP_PKlPlN2at6native12_GLOBAL__N_18offset_tEEE10hipError_tPvRmT1_PNSt15iterator_traitsIS13_E10value_typeET2_T3_PNS14_IS19_E10value_typeET4_jRbjT5_S1F_jjP12ihipStream_tbEUljE_ZNSN_ISO_Lb1ESR_SS_SU_SV_SZ_EES10_S11_S12_S13_S17_S18_S19_S1C_S1D_jS1E_jS1F_S1F_jjS1H_bEUljE0_EEES10_S11_S12_S19_S1D_S1F_T6_T7_T9_mT8_S1H_bDpT10_ENKUlT_T0_E_clISt17integral_constantIbLb1EES1V_EEDaS1Q_S1R_EUlS1Q_E_NS1_11comp_targetILNS1_3genE8ELNS1_11target_archE1030ELNS1_3gpuE2ELNS1_3repE0EEENS1_30default_config_static_selectorELNS0_4arch9wavefront6targetE1EEEvS13_,comdat
.Lfunc_end1688:
	.size	_ZN7rocprim17ROCPRIM_400000_NS6detail17trampoline_kernelINS0_13select_configILj256ELj13ELNS0_17block_load_methodE3ELS4_3ELS4_3ELNS0_20block_scan_algorithmE0ELj4294967295EEENS1_25partition_config_selectorILNS1_17partition_subalgoE4EjNS0_10empty_typeEbEEZZNS1_14partition_implILS8_4ELb0ES6_15HIP_vector_typeIjLj2EENS0_17counting_iteratorIjlEEPS9_SG_NS0_5tupleIJPjSI_NS0_16reverse_iteratorISI_EEEEENSH_IJSG_SG_SG_EEES9_SI_JZNS1_25segmented_radix_sort_implINS0_14default_configELb1EPK6__halfPSP_PKlPlN2at6native12_GLOBAL__N_18offset_tEEE10hipError_tPvRmT1_PNSt15iterator_traitsIS13_E10value_typeET2_T3_PNS14_IS19_E10value_typeET4_jRbjT5_S1F_jjP12ihipStream_tbEUljE_ZNSN_ISO_Lb1ESR_SS_SU_SV_SZ_EES10_S11_S12_S13_S17_S18_S19_S1C_S1D_jS1E_jS1F_S1F_jjS1H_bEUljE0_EEES10_S11_S12_S19_S1D_S1F_T6_T7_T9_mT8_S1H_bDpT10_ENKUlT_T0_E_clISt17integral_constantIbLb1EES1V_EEDaS1Q_S1R_EUlS1Q_E_NS1_11comp_targetILNS1_3genE8ELNS1_11target_archE1030ELNS1_3gpuE2ELNS1_3repE0EEENS1_30default_config_static_selectorELNS0_4arch9wavefront6targetE1EEEvS13_, .Lfunc_end1688-_ZN7rocprim17ROCPRIM_400000_NS6detail17trampoline_kernelINS0_13select_configILj256ELj13ELNS0_17block_load_methodE3ELS4_3ELS4_3ELNS0_20block_scan_algorithmE0ELj4294967295EEENS1_25partition_config_selectorILNS1_17partition_subalgoE4EjNS0_10empty_typeEbEEZZNS1_14partition_implILS8_4ELb0ES6_15HIP_vector_typeIjLj2EENS0_17counting_iteratorIjlEEPS9_SG_NS0_5tupleIJPjSI_NS0_16reverse_iteratorISI_EEEEENSH_IJSG_SG_SG_EEES9_SI_JZNS1_25segmented_radix_sort_implINS0_14default_configELb1EPK6__halfPSP_PKlPlN2at6native12_GLOBAL__N_18offset_tEEE10hipError_tPvRmT1_PNSt15iterator_traitsIS13_E10value_typeET2_T3_PNS14_IS19_E10value_typeET4_jRbjT5_S1F_jjP12ihipStream_tbEUljE_ZNSN_ISO_Lb1ESR_SS_SU_SV_SZ_EES10_S11_S12_S13_S17_S18_S19_S1C_S1D_jS1E_jS1F_S1F_jjS1H_bEUljE0_EEES10_S11_S12_S19_S1D_S1F_T6_T7_T9_mT8_S1H_bDpT10_ENKUlT_T0_E_clISt17integral_constantIbLb1EES1V_EEDaS1Q_S1R_EUlS1Q_E_NS1_11comp_targetILNS1_3genE8ELNS1_11target_archE1030ELNS1_3gpuE2ELNS1_3repE0EEENS1_30default_config_static_selectorELNS0_4arch9wavefront6targetE1EEEvS13_
                                        ; -- End function
	.section	.AMDGPU.csdata,"",@progbits
; Kernel info:
; codeLenInByte = 0
; NumSgprs: 4
; NumVgprs: 0
; NumAgprs: 0
; TotalNumVgprs: 0
; ScratchSize: 0
; MemoryBound: 0
; FloatMode: 240
; IeeeMode: 1
; LDSByteSize: 0 bytes/workgroup (compile time only)
; SGPRBlocks: 0
; VGPRBlocks: 0
; NumSGPRsForWavesPerEU: 4
; NumVGPRsForWavesPerEU: 1
; AccumOffset: 4
; Occupancy: 8
; WaveLimiterHint : 0
; COMPUTE_PGM_RSRC2:SCRATCH_EN: 0
; COMPUTE_PGM_RSRC2:USER_SGPR: 6
; COMPUTE_PGM_RSRC2:TRAP_HANDLER: 0
; COMPUTE_PGM_RSRC2:TGID_X_EN: 1
; COMPUTE_PGM_RSRC2:TGID_Y_EN: 0
; COMPUTE_PGM_RSRC2:TGID_Z_EN: 0
; COMPUTE_PGM_RSRC2:TIDIG_COMP_CNT: 0
; COMPUTE_PGM_RSRC3_GFX90A:ACCUM_OFFSET: 0
; COMPUTE_PGM_RSRC3_GFX90A:TG_SPLIT: 0
	.section	.text._ZN7rocprim17ROCPRIM_400000_NS6detail17trampoline_kernelINS0_13select_configILj256ELj13ELNS0_17block_load_methodE3ELS4_3ELS4_3ELNS0_20block_scan_algorithmE0ELj4294967295EEENS1_25partition_config_selectorILNS1_17partition_subalgoE4EjNS0_10empty_typeEbEEZZNS1_14partition_implILS8_4ELb0ES6_15HIP_vector_typeIjLj2EENS0_17counting_iteratorIjlEEPS9_SG_NS0_5tupleIJPjSI_NS0_16reverse_iteratorISI_EEEEENSH_IJSG_SG_SG_EEES9_SI_JZNS1_25segmented_radix_sort_implINS0_14default_configELb1EPK6__halfPSP_PKlPlN2at6native12_GLOBAL__N_18offset_tEEE10hipError_tPvRmT1_PNSt15iterator_traitsIS13_E10value_typeET2_T3_PNS14_IS19_E10value_typeET4_jRbjT5_S1F_jjP12ihipStream_tbEUljE_ZNSN_ISO_Lb1ESR_SS_SU_SV_SZ_EES10_S11_S12_S13_S17_S18_S19_S1C_S1D_jS1E_jS1F_S1F_jjS1H_bEUljE0_EEES10_S11_S12_S19_S1D_S1F_T6_T7_T9_mT8_S1H_bDpT10_ENKUlT_T0_E_clISt17integral_constantIbLb1EES1U_IbLb0EEEEDaS1Q_S1R_EUlS1Q_E_NS1_11comp_targetILNS1_3genE0ELNS1_11target_archE4294967295ELNS1_3gpuE0ELNS1_3repE0EEENS1_30default_config_static_selectorELNS0_4arch9wavefront6targetE1EEEvS13_,"axG",@progbits,_ZN7rocprim17ROCPRIM_400000_NS6detail17trampoline_kernelINS0_13select_configILj256ELj13ELNS0_17block_load_methodE3ELS4_3ELS4_3ELNS0_20block_scan_algorithmE0ELj4294967295EEENS1_25partition_config_selectorILNS1_17partition_subalgoE4EjNS0_10empty_typeEbEEZZNS1_14partition_implILS8_4ELb0ES6_15HIP_vector_typeIjLj2EENS0_17counting_iteratorIjlEEPS9_SG_NS0_5tupleIJPjSI_NS0_16reverse_iteratorISI_EEEEENSH_IJSG_SG_SG_EEES9_SI_JZNS1_25segmented_radix_sort_implINS0_14default_configELb1EPK6__halfPSP_PKlPlN2at6native12_GLOBAL__N_18offset_tEEE10hipError_tPvRmT1_PNSt15iterator_traitsIS13_E10value_typeET2_T3_PNS14_IS19_E10value_typeET4_jRbjT5_S1F_jjP12ihipStream_tbEUljE_ZNSN_ISO_Lb1ESR_SS_SU_SV_SZ_EES10_S11_S12_S13_S17_S18_S19_S1C_S1D_jS1E_jS1F_S1F_jjS1H_bEUljE0_EEES10_S11_S12_S19_S1D_S1F_T6_T7_T9_mT8_S1H_bDpT10_ENKUlT_T0_E_clISt17integral_constantIbLb1EES1U_IbLb0EEEEDaS1Q_S1R_EUlS1Q_E_NS1_11comp_targetILNS1_3genE0ELNS1_11target_archE4294967295ELNS1_3gpuE0ELNS1_3repE0EEENS1_30default_config_static_selectorELNS0_4arch9wavefront6targetE1EEEvS13_,comdat
	.globl	_ZN7rocprim17ROCPRIM_400000_NS6detail17trampoline_kernelINS0_13select_configILj256ELj13ELNS0_17block_load_methodE3ELS4_3ELS4_3ELNS0_20block_scan_algorithmE0ELj4294967295EEENS1_25partition_config_selectorILNS1_17partition_subalgoE4EjNS0_10empty_typeEbEEZZNS1_14partition_implILS8_4ELb0ES6_15HIP_vector_typeIjLj2EENS0_17counting_iteratorIjlEEPS9_SG_NS0_5tupleIJPjSI_NS0_16reverse_iteratorISI_EEEEENSH_IJSG_SG_SG_EEES9_SI_JZNS1_25segmented_radix_sort_implINS0_14default_configELb1EPK6__halfPSP_PKlPlN2at6native12_GLOBAL__N_18offset_tEEE10hipError_tPvRmT1_PNSt15iterator_traitsIS13_E10value_typeET2_T3_PNS14_IS19_E10value_typeET4_jRbjT5_S1F_jjP12ihipStream_tbEUljE_ZNSN_ISO_Lb1ESR_SS_SU_SV_SZ_EES10_S11_S12_S13_S17_S18_S19_S1C_S1D_jS1E_jS1F_S1F_jjS1H_bEUljE0_EEES10_S11_S12_S19_S1D_S1F_T6_T7_T9_mT8_S1H_bDpT10_ENKUlT_T0_E_clISt17integral_constantIbLb1EES1U_IbLb0EEEEDaS1Q_S1R_EUlS1Q_E_NS1_11comp_targetILNS1_3genE0ELNS1_11target_archE4294967295ELNS1_3gpuE0ELNS1_3repE0EEENS1_30default_config_static_selectorELNS0_4arch9wavefront6targetE1EEEvS13_ ; -- Begin function _ZN7rocprim17ROCPRIM_400000_NS6detail17trampoline_kernelINS0_13select_configILj256ELj13ELNS0_17block_load_methodE3ELS4_3ELS4_3ELNS0_20block_scan_algorithmE0ELj4294967295EEENS1_25partition_config_selectorILNS1_17partition_subalgoE4EjNS0_10empty_typeEbEEZZNS1_14partition_implILS8_4ELb0ES6_15HIP_vector_typeIjLj2EENS0_17counting_iteratorIjlEEPS9_SG_NS0_5tupleIJPjSI_NS0_16reverse_iteratorISI_EEEEENSH_IJSG_SG_SG_EEES9_SI_JZNS1_25segmented_radix_sort_implINS0_14default_configELb1EPK6__halfPSP_PKlPlN2at6native12_GLOBAL__N_18offset_tEEE10hipError_tPvRmT1_PNSt15iterator_traitsIS13_E10value_typeET2_T3_PNS14_IS19_E10value_typeET4_jRbjT5_S1F_jjP12ihipStream_tbEUljE_ZNSN_ISO_Lb1ESR_SS_SU_SV_SZ_EES10_S11_S12_S13_S17_S18_S19_S1C_S1D_jS1E_jS1F_S1F_jjS1H_bEUljE0_EEES10_S11_S12_S19_S1D_S1F_T6_T7_T9_mT8_S1H_bDpT10_ENKUlT_T0_E_clISt17integral_constantIbLb1EES1U_IbLb0EEEEDaS1Q_S1R_EUlS1Q_E_NS1_11comp_targetILNS1_3genE0ELNS1_11target_archE4294967295ELNS1_3gpuE0ELNS1_3repE0EEENS1_30default_config_static_selectorELNS0_4arch9wavefront6targetE1EEEvS13_
	.p2align	8
	.type	_ZN7rocprim17ROCPRIM_400000_NS6detail17trampoline_kernelINS0_13select_configILj256ELj13ELNS0_17block_load_methodE3ELS4_3ELS4_3ELNS0_20block_scan_algorithmE0ELj4294967295EEENS1_25partition_config_selectorILNS1_17partition_subalgoE4EjNS0_10empty_typeEbEEZZNS1_14partition_implILS8_4ELb0ES6_15HIP_vector_typeIjLj2EENS0_17counting_iteratorIjlEEPS9_SG_NS0_5tupleIJPjSI_NS0_16reverse_iteratorISI_EEEEENSH_IJSG_SG_SG_EEES9_SI_JZNS1_25segmented_radix_sort_implINS0_14default_configELb1EPK6__halfPSP_PKlPlN2at6native12_GLOBAL__N_18offset_tEEE10hipError_tPvRmT1_PNSt15iterator_traitsIS13_E10value_typeET2_T3_PNS14_IS19_E10value_typeET4_jRbjT5_S1F_jjP12ihipStream_tbEUljE_ZNSN_ISO_Lb1ESR_SS_SU_SV_SZ_EES10_S11_S12_S13_S17_S18_S19_S1C_S1D_jS1E_jS1F_S1F_jjS1H_bEUljE0_EEES10_S11_S12_S19_S1D_S1F_T6_T7_T9_mT8_S1H_bDpT10_ENKUlT_T0_E_clISt17integral_constantIbLb1EES1U_IbLb0EEEEDaS1Q_S1R_EUlS1Q_E_NS1_11comp_targetILNS1_3genE0ELNS1_11target_archE4294967295ELNS1_3gpuE0ELNS1_3repE0EEENS1_30default_config_static_selectorELNS0_4arch9wavefront6targetE1EEEvS13_,@function
_ZN7rocprim17ROCPRIM_400000_NS6detail17trampoline_kernelINS0_13select_configILj256ELj13ELNS0_17block_load_methodE3ELS4_3ELS4_3ELNS0_20block_scan_algorithmE0ELj4294967295EEENS1_25partition_config_selectorILNS1_17partition_subalgoE4EjNS0_10empty_typeEbEEZZNS1_14partition_implILS8_4ELb0ES6_15HIP_vector_typeIjLj2EENS0_17counting_iteratorIjlEEPS9_SG_NS0_5tupleIJPjSI_NS0_16reverse_iteratorISI_EEEEENSH_IJSG_SG_SG_EEES9_SI_JZNS1_25segmented_radix_sort_implINS0_14default_configELb1EPK6__halfPSP_PKlPlN2at6native12_GLOBAL__N_18offset_tEEE10hipError_tPvRmT1_PNSt15iterator_traitsIS13_E10value_typeET2_T3_PNS14_IS19_E10value_typeET4_jRbjT5_S1F_jjP12ihipStream_tbEUljE_ZNSN_ISO_Lb1ESR_SS_SU_SV_SZ_EES10_S11_S12_S13_S17_S18_S19_S1C_S1D_jS1E_jS1F_S1F_jjS1H_bEUljE0_EEES10_S11_S12_S19_S1D_S1F_T6_T7_T9_mT8_S1H_bDpT10_ENKUlT_T0_E_clISt17integral_constantIbLb1EES1U_IbLb0EEEEDaS1Q_S1R_EUlS1Q_E_NS1_11comp_targetILNS1_3genE0ELNS1_11target_archE4294967295ELNS1_3gpuE0ELNS1_3repE0EEENS1_30default_config_static_selectorELNS0_4arch9wavefront6targetE1EEEvS13_: ; @_ZN7rocprim17ROCPRIM_400000_NS6detail17trampoline_kernelINS0_13select_configILj256ELj13ELNS0_17block_load_methodE3ELS4_3ELS4_3ELNS0_20block_scan_algorithmE0ELj4294967295EEENS1_25partition_config_selectorILNS1_17partition_subalgoE4EjNS0_10empty_typeEbEEZZNS1_14partition_implILS8_4ELb0ES6_15HIP_vector_typeIjLj2EENS0_17counting_iteratorIjlEEPS9_SG_NS0_5tupleIJPjSI_NS0_16reverse_iteratorISI_EEEEENSH_IJSG_SG_SG_EEES9_SI_JZNS1_25segmented_radix_sort_implINS0_14default_configELb1EPK6__halfPSP_PKlPlN2at6native12_GLOBAL__N_18offset_tEEE10hipError_tPvRmT1_PNSt15iterator_traitsIS13_E10value_typeET2_T3_PNS14_IS19_E10value_typeET4_jRbjT5_S1F_jjP12ihipStream_tbEUljE_ZNSN_ISO_Lb1ESR_SS_SU_SV_SZ_EES10_S11_S12_S13_S17_S18_S19_S1C_S1D_jS1E_jS1F_S1F_jjS1H_bEUljE0_EEES10_S11_S12_S19_S1D_S1F_T6_T7_T9_mT8_S1H_bDpT10_ENKUlT_T0_E_clISt17integral_constantIbLb1EES1U_IbLb0EEEEDaS1Q_S1R_EUlS1Q_E_NS1_11comp_targetILNS1_3genE0ELNS1_11target_archE4294967295ELNS1_3gpuE0ELNS1_3repE0EEENS1_30default_config_static_selectorELNS0_4arch9wavefront6targetE1EEEvS13_
; %bb.0:
	.section	.rodata,"a",@progbits
	.p2align	6, 0x0
	.amdhsa_kernel _ZN7rocprim17ROCPRIM_400000_NS6detail17trampoline_kernelINS0_13select_configILj256ELj13ELNS0_17block_load_methodE3ELS4_3ELS4_3ELNS0_20block_scan_algorithmE0ELj4294967295EEENS1_25partition_config_selectorILNS1_17partition_subalgoE4EjNS0_10empty_typeEbEEZZNS1_14partition_implILS8_4ELb0ES6_15HIP_vector_typeIjLj2EENS0_17counting_iteratorIjlEEPS9_SG_NS0_5tupleIJPjSI_NS0_16reverse_iteratorISI_EEEEENSH_IJSG_SG_SG_EEES9_SI_JZNS1_25segmented_radix_sort_implINS0_14default_configELb1EPK6__halfPSP_PKlPlN2at6native12_GLOBAL__N_18offset_tEEE10hipError_tPvRmT1_PNSt15iterator_traitsIS13_E10value_typeET2_T3_PNS14_IS19_E10value_typeET4_jRbjT5_S1F_jjP12ihipStream_tbEUljE_ZNSN_ISO_Lb1ESR_SS_SU_SV_SZ_EES10_S11_S12_S13_S17_S18_S19_S1C_S1D_jS1E_jS1F_S1F_jjS1H_bEUljE0_EEES10_S11_S12_S19_S1D_S1F_T6_T7_T9_mT8_S1H_bDpT10_ENKUlT_T0_E_clISt17integral_constantIbLb1EES1U_IbLb0EEEEDaS1Q_S1R_EUlS1Q_E_NS1_11comp_targetILNS1_3genE0ELNS1_11target_archE4294967295ELNS1_3gpuE0ELNS1_3repE0EEENS1_30default_config_static_selectorELNS0_4arch9wavefront6targetE1EEEvS13_
		.amdhsa_group_segment_fixed_size 0
		.amdhsa_private_segment_fixed_size 0
		.amdhsa_kernarg_size 176
		.amdhsa_user_sgpr_count 6
		.amdhsa_user_sgpr_private_segment_buffer 1
		.amdhsa_user_sgpr_dispatch_ptr 0
		.amdhsa_user_sgpr_queue_ptr 0
		.amdhsa_user_sgpr_kernarg_segment_ptr 1
		.amdhsa_user_sgpr_dispatch_id 0
		.amdhsa_user_sgpr_flat_scratch_init 0
		.amdhsa_user_sgpr_kernarg_preload_length 0
		.amdhsa_user_sgpr_kernarg_preload_offset 0
		.amdhsa_user_sgpr_private_segment_size 0
		.amdhsa_uses_dynamic_stack 0
		.amdhsa_system_sgpr_private_segment_wavefront_offset 0
		.amdhsa_system_sgpr_workgroup_id_x 1
		.amdhsa_system_sgpr_workgroup_id_y 0
		.amdhsa_system_sgpr_workgroup_id_z 0
		.amdhsa_system_sgpr_workgroup_info 0
		.amdhsa_system_vgpr_workitem_id 0
		.amdhsa_next_free_vgpr 1
		.amdhsa_next_free_sgpr 0
		.amdhsa_accum_offset 4
		.amdhsa_reserve_vcc 0
		.amdhsa_reserve_flat_scratch 0
		.amdhsa_float_round_mode_32 0
		.amdhsa_float_round_mode_16_64 0
		.amdhsa_float_denorm_mode_32 3
		.amdhsa_float_denorm_mode_16_64 3
		.amdhsa_dx10_clamp 1
		.amdhsa_ieee_mode 1
		.amdhsa_fp16_overflow 0
		.amdhsa_tg_split 0
		.amdhsa_exception_fp_ieee_invalid_op 0
		.amdhsa_exception_fp_denorm_src 0
		.amdhsa_exception_fp_ieee_div_zero 0
		.amdhsa_exception_fp_ieee_overflow 0
		.amdhsa_exception_fp_ieee_underflow 0
		.amdhsa_exception_fp_ieee_inexact 0
		.amdhsa_exception_int_div_zero 0
	.end_amdhsa_kernel
	.section	.text._ZN7rocprim17ROCPRIM_400000_NS6detail17trampoline_kernelINS0_13select_configILj256ELj13ELNS0_17block_load_methodE3ELS4_3ELS4_3ELNS0_20block_scan_algorithmE0ELj4294967295EEENS1_25partition_config_selectorILNS1_17partition_subalgoE4EjNS0_10empty_typeEbEEZZNS1_14partition_implILS8_4ELb0ES6_15HIP_vector_typeIjLj2EENS0_17counting_iteratorIjlEEPS9_SG_NS0_5tupleIJPjSI_NS0_16reverse_iteratorISI_EEEEENSH_IJSG_SG_SG_EEES9_SI_JZNS1_25segmented_radix_sort_implINS0_14default_configELb1EPK6__halfPSP_PKlPlN2at6native12_GLOBAL__N_18offset_tEEE10hipError_tPvRmT1_PNSt15iterator_traitsIS13_E10value_typeET2_T3_PNS14_IS19_E10value_typeET4_jRbjT5_S1F_jjP12ihipStream_tbEUljE_ZNSN_ISO_Lb1ESR_SS_SU_SV_SZ_EES10_S11_S12_S13_S17_S18_S19_S1C_S1D_jS1E_jS1F_S1F_jjS1H_bEUljE0_EEES10_S11_S12_S19_S1D_S1F_T6_T7_T9_mT8_S1H_bDpT10_ENKUlT_T0_E_clISt17integral_constantIbLb1EES1U_IbLb0EEEEDaS1Q_S1R_EUlS1Q_E_NS1_11comp_targetILNS1_3genE0ELNS1_11target_archE4294967295ELNS1_3gpuE0ELNS1_3repE0EEENS1_30default_config_static_selectorELNS0_4arch9wavefront6targetE1EEEvS13_,"axG",@progbits,_ZN7rocprim17ROCPRIM_400000_NS6detail17trampoline_kernelINS0_13select_configILj256ELj13ELNS0_17block_load_methodE3ELS4_3ELS4_3ELNS0_20block_scan_algorithmE0ELj4294967295EEENS1_25partition_config_selectorILNS1_17partition_subalgoE4EjNS0_10empty_typeEbEEZZNS1_14partition_implILS8_4ELb0ES6_15HIP_vector_typeIjLj2EENS0_17counting_iteratorIjlEEPS9_SG_NS0_5tupleIJPjSI_NS0_16reverse_iteratorISI_EEEEENSH_IJSG_SG_SG_EEES9_SI_JZNS1_25segmented_radix_sort_implINS0_14default_configELb1EPK6__halfPSP_PKlPlN2at6native12_GLOBAL__N_18offset_tEEE10hipError_tPvRmT1_PNSt15iterator_traitsIS13_E10value_typeET2_T3_PNS14_IS19_E10value_typeET4_jRbjT5_S1F_jjP12ihipStream_tbEUljE_ZNSN_ISO_Lb1ESR_SS_SU_SV_SZ_EES10_S11_S12_S13_S17_S18_S19_S1C_S1D_jS1E_jS1F_S1F_jjS1H_bEUljE0_EEES10_S11_S12_S19_S1D_S1F_T6_T7_T9_mT8_S1H_bDpT10_ENKUlT_T0_E_clISt17integral_constantIbLb1EES1U_IbLb0EEEEDaS1Q_S1R_EUlS1Q_E_NS1_11comp_targetILNS1_3genE0ELNS1_11target_archE4294967295ELNS1_3gpuE0ELNS1_3repE0EEENS1_30default_config_static_selectorELNS0_4arch9wavefront6targetE1EEEvS13_,comdat
.Lfunc_end1689:
	.size	_ZN7rocprim17ROCPRIM_400000_NS6detail17trampoline_kernelINS0_13select_configILj256ELj13ELNS0_17block_load_methodE3ELS4_3ELS4_3ELNS0_20block_scan_algorithmE0ELj4294967295EEENS1_25partition_config_selectorILNS1_17partition_subalgoE4EjNS0_10empty_typeEbEEZZNS1_14partition_implILS8_4ELb0ES6_15HIP_vector_typeIjLj2EENS0_17counting_iteratorIjlEEPS9_SG_NS0_5tupleIJPjSI_NS0_16reverse_iteratorISI_EEEEENSH_IJSG_SG_SG_EEES9_SI_JZNS1_25segmented_radix_sort_implINS0_14default_configELb1EPK6__halfPSP_PKlPlN2at6native12_GLOBAL__N_18offset_tEEE10hipError_tPvRmT1_PNSt15iterator_traitsIS13_E10value_typeET2_T3_PNS14_IS19_E10value_typeET4_jRbjT5_S1F_jjP12ihipStream_tbEUljE_ZNSN_ISO_Lb1ESR_SS_SU_SV_SZ_EES10_S11_S12_S13_S17_S18_S19_S1C_S1D_jS1E_jS1F_S1F_jjS1H_bEUljE0_EEES10_S11_S12_S19_S1D_S1F_T6_T7_T9_mT8_S1H_bDpT10_ENKUlT_T0_E_clISt17integral_constantIbLb1EES1U_IbLb0EEEEDaS1Q_S1R_EUlS1Q_E_NS1_11comp_targetILNS1_3genE0ELNS1_11target_archE4294967295ELNS1_3gpuE0ELNS1_3repE0EEENS1_30default_config_static_selectorELNS0_4arch9wavefront6targetE1EEEvS13_, .Lfunc_end1689-_ZN7rocprim17ROCPRIM_400000_NS6detail17trampoline_kernelINS0_13select_configILj256ELj13ELNS0_17block_load_methodE3ELS4_3ELS4_3ELNS0_20block_scan_algorithmE0ELj4294967295EEENS1_25partition_config_selectorILNS1_17partition_subalgoE4EjNS0_10empty_typeEbEEZZNS1_14partition_implILS8_4ELb0ES6_15HIP_vector_typeIjLj2EENS0_17counting_iteratorIjlEEPS9_SG_NS0_5tupleIJPjSI_NS0_16reverse_iteratorISI_EEEEENSH_IJSG_SG_SG_EEES9_SI_JZNS1_25segmented_radix_sort_implINS0_14default_configELb1EPK6__halfPSP_PKlPlN2at6native12_GLOBAL__N_18offset_tEEE10hipError_tPvRmT1_PNSt15iterator_traitsIS13_E10value_typeET2_T3_PNS14_IS19_E10value_typeET4_jRbjT5_S1F_jjP12ihipStream_tbEUljE_ZNSN_ISO_Lb1ESR_SS_SU_SV_SZ_EES10_S11_S12_S13_S17_S18_S19_S1C_S1D_jS1E_jS1F_S1F_jjS1H_bEUljE0_EEES10_S11_S12_S19_S1D_S1F_T6_T7_T9_mT8_S1H_bDpT10_ENKUlT_T0_E_clISt17integral_constantIbLb1EES1U_IbLb0EEEEDaS1Q_S1R_EUlS1Q_E_NS1_11comp_targetILNS1_3genE0ELNS1_11target_archE4294967295ELNS1_3gpuE0ELNS1_3repE0EEENS1_30default_config_static_selectorELNS0_4arch9wavefront6targetE1EEEvS13_
                                        ; -- End function
	.section	.AMDGPU.csdata,"",@progbits
; Kernel info:
; codeLenInByte = 0
; NumSgprs: 4
; NumVgprs: 0
; NumAgprs: 0
; TotalNumVgprs: 0
; ScratchSize: 0
; MemoryBound: 0
; FloatMode: 240
; IeeeMode: 1
; LDSByteSize: 0 bytes/workgroup (compile time only)
; SGPRBlocks: 0
; VGPRBlocks: 0
; NumSGPRsForWavesPerEU: 4
; NumVGPRsForWavesPerEU: 1
; AccumOffset: 4
; Occupancy: 8
; WaveLimiterHint : 0
; COMPUTE_PGM_RSRC2:SCRATCH_EN: 0
; COMPUTE_PGM_RSRC2:USER_SGPR: 6
; COMPUTE_PGM_RSRC2:TRAP_HANDLER: 0
; COMPUTE_PGM_RSRC2:TGID_X_EN: 1
; COMPUTE_PGM_RSRC2:TGID_Y_EN: 0
; COMPUTE_PGM_RSRC2:TGID_Z_EN: 0
; COMPUTE_PGM_RSRC2:TIDIG_COMP_CNT: 0
; COMPUTE_PGM_RSRC3_GFX90A:ACCUM_OFFSET: 0
; COMPUTE_PGM_RSRC3_GFX90A:TG_SPLIT: 0
	.section	.text._ZN7rocprim17ROCPRIM_400000_NS6detail17trampoline_kernelINS0_13select_configILj256ELj13ELNS0_17block_load_methodE3ELS4_3ELS4_3ELNS0_20block_scan_algorithmE0ELj4294967295EEENS1_25partition_config_selectorILNS1_17partition_subalgoE4EjNS0_10empty_typeEbEEZZNS1_14partition_implILS8_4ELb0ES6_15HIP_vector_typeIjLj2EENS0_17counting_iteratorIjlEEPS9_SG_NS0_5tupleIJPjSI_NS0_16reverse_iteratorISI_EEEEENSH_IJSG_SG_SG_EEES9_SI_JZNS1_25segmented_radix_sort_implINS0_14default_configELb1EPK6__halfPSP_PKlPlN2at6native12_GLOBAL__N_18offset_tEEE10hipError_tPvRmT1_PNSt15iterator_traitsIS13_E10value_typeET2_T3_PNS14_IS19_E10value_typeET4_jRbjT5_S1F_jjP12ihipStream_tbEUljE_ZNSN_ISO_Lb1ESR_SS_SU_SV_SZ_EES10_S11_S12_S13_S17_S18_S19_S1C_S1D_jS1E_jS1F_S1F_jjS1H_bEUljE0_EEES10_S11_S12_S19_S1D_S1F_T6_T7_T9_mT8_S1H_bDpT10_ENKUlT_T0_E_clISt17integral_constantIbLb1EES1U_IbLb0EEEEDaS1Q_S1R_EUlS1Q_E_NS1_11comp_targetILNS1_3genE5ELNS1_11target_archE942ELNS1_3gpuE9ELNS1_3repE0EEENS1_30default_config_static_selectorELNS0_4arch9wavefront6targetE1EEEvS13_,"axG",@progbits,_ZN7rocprim17ROCPRIM_400000_NS6detail17trampoline_kernelINS0_13select_configILj256ELj13ELNS0_17block_load_methodE3ELS4_3ELS4_3ELNS0_20block_scan_algorithmE0ELj4294967295EEENS1_25partition_config_selectorILNS1_17partition_subalgoE4EjNS0_10empty_typeEbEEZZNS1_14partition_implILS8_4ELb0ES6_15HIP_vector_typeIjLj2EENS0_17counting_iteratorIjlEEPS9_SG_NS0_5tupleIJPjSI_NS0_16reverse_iteratorISI_EEEEENSH_IJSG_SG_SG_EEES9_SI_JZNS1_25segmented_radix_sort_implINS0_14default_configELb1EPK6__halfPSP_PKlPlN2at6native12_GLOBAL__N_18offset_tEEE10hipError_tPvRmT1_PNSt15iterator_traitsIS13_E10value_typeET2_T3_PNS14_IS19_E10value_typeET4_jRbjT5_S1F_jjP12ihipStream_tbEUljE_ZNSN_ISO_Lb1ESR_SS_SU_SV_SZ_EES10_S11_S12_S13_S17_S18_S19_S1C_S1D_jS1E_jS1F_S1F_jjS1H_bEUljE0_EEES10_S11_S12_S19_S1D_S1F_T6_T7_T9_mT8_S1H_bDpT10_ENKUlT_T0_E_clISt17integral_constantIbLb1EES1U_IbLb0EEEEDaS1Q_S1R_EUlS1Q_E_NS1_11comp_targetILNS1_3genE5ELNS1_11target_archE942ELNS1_3gpuE9ELNS1_3repE0EEENS1_30default_config_static_selectorELNS0_4arch9wavefront6targetE1EEEvS13_,comdat
	.globl	_ZN7rocprim17ROCPRIM_400000_NS6detail17trampoline_kernelINS0_13select_configILj256ELj13ELNS0_17block_load_methodE3ELS4_3ELS4_3ELNS0_20block_scan_algorithmE0ELj4294967295EEENS1_25partition_config_selectorILNS1_17partition_subalgoE4EjNS0_10empty_typeEbEEZZNS1_14partition_implILS8_4ELb0ES6_15HIP_vector_typeIjLj2EENS0_17counting_iteratorIjlEEPS9_SG_NS0_5tupleIJPjSI_NS0_16reverse_iteratorISI_EEEEENSH_IJSG_SG_SG_EEES9_SI_JZNS1_25segmented_radix_sort_implINS0_14default_configELb1EPK6__halfPSP_PKlPlN2at6native12_GLOBAL__N_18offset_tEEE10hipError_tPvRmT1_PNSt15iterator_traitsIS13_E10value_typeET2_T3_PNS14_IS19_E10value_typeET4_jRbjT5_S1F_jjP12ihipStream_tbEUljE_ZNSN_ISO_Lb1ESR_SS_SU_SV_SZ_EES10_S11_S12_S13_S17_S18_S19_S1C_S1D_jS1E_jS1F_S1F_jjS1H_bEUljE0_EEES10_S11_S12_S19_S1D_S1F_T6_T7_T9_mT8_S1H_bDpT10_ENKUlT_T0_E_clISt17integral_constantIbLb1EES1U_IbLb0EEEEDaS1Q_S1R_EUlS1Q_E_NS1_11comp_targetILNS1_3genE5ELNS1_11target_archE942ELNS1_3gpuE9ELNS1_3repE0EEENS1_30default_config_static_selectorELNS0_4arch9wavefront6targetE1EEEvS13_ ; -- Begin function _ZN7rocprim17ROCPRIM_400000_NS6detail17trampoline_kernelINS0_13select_configILj256ELj13ELNS0_17block_load_methodE3ELS4_3ELS4_3ELNS0_20block_scan_algorithmE0ELj4294967295EEENS1_25partition_config_selectorILNS1_17partition_subalgoE4EjNS0_10empty_typeEbEEZZNS1_14partition_implILS8_4ELb0ES6_15HIP_vector_typeIjLj2EENS0_17counting_iteratorIjlEEPS9_SG_NS0_5tupleIJPjSI_NS0_16reverse_iteratorISI_EEEEENSH_IJSG_SG_SG_EEES9_SI_JZNS1_25segmented_radix_sort_implINS0_14default_configELb1EPK6__halfPSP_PKlPlN2at6native12_GLOBAL__N_18offset_tEEE10hipError_tPvRmT1_PNSt15iterator_traitsIS13_E10value_typeET2_T3_PNS14_IS19_E10value_typeET4_jRbjT5_S1F_jjP12ihipStream_tbEUljE_ZNSN_ISO_Lb1ESR_SS_SU_SV_SZ_EES10_S11_S12_S13_S17_S18_S19_S1C_S1D_jS1E_jS1F_S1F_jjS1H_bEUljE0_EEES10_S11_S12_S19_S1D_S1F_T6_T7_T9_mT8_S1H_bDpT10_ENKUlT_T0_E_clISt17integral_constantIbLb1EES1U_IbLb0EEEEDaS1Q_S1R_EUlS1Q_E_NS1_11comp_targetILNS1_3genE5ELNS1_11target_archE942ELNS1_3gpuE9ELNS1_3repE0EEENS1_30default_config_static_selectorELNS0_4arch9wavefront6targetE1EEEvS13_
	.p2align	8
	.type	_ZN7rocprim17ROCPRIM_400000_NS6detail17trampoline_kernelINS0_13select_configILj256ELj13ELNS0_17block_load_methodE3ELS4_3ELS4_3ELNS0_20block_scan_algorithmE0ELj4294967295EEENS1_25partition_config_selectorILNS1_17partition_subalgoE4EjNS0_10empty_typeEbEEZZNS1_14partition_implILS8_4ELb0ES6_15HIP_vector_typeIjLj2EENS0_17counting_iteratorIjlEEPS9_SG_NS0_5tupleIJPjSI_NS0_16reverse_iteratorISI_EEEEENSH_IJSG_SG_SG_EEES9_SI_JZNS1_25segmented_radix_sort_implINS0_14default_configELb1EPK6__halfPSP_PKlPlN2at6native12_GLOBAL__N_18offset_tEEE10hipError_tPvRmT1_PNSt15iterator_traitsIS13_E10value_typeET2_T3_PNS14_IS19_E10value_typeET4_jRbjT5_S1F_jjP12ihipStream_tbEUljE_ZNSN_ISO_Lb1ESR_SS_SU_SV_SZ_EES10_S11_S12_S13_S17_S18_S19_S1C_S1D_jS1E_jS1F_S1F_jjS1H_bEUljE0_EEES10_S11_S12_S19_S1D_S1F_T6_T7_T9_mT8_S1H_bDpT10_ENKUlT_T0_E_clISt17integral_constantIbLb1EES1U_IbLb0EEEEDaS1Q_S1R_EUlS1Q_E_NS1_11comp_targetILNS1_3genE5ELNS1_11target_archE942ELNS1_3gpuE9ELNS1_3repE0EEENS1_30default_config_static_selectorELNS0_4arch9wavefront6targetE1EEEvS13_,@function
_ZN7rocprim17ROCPRIM_400000_NS6detail17trampoline_kernelINS0_13select_configILj256ELj13ELNS0_17block_load_methodE3ELS4_3ELS4_3ELNS0_20block_scan_algorithmE0ELj4294967295EEENS1_25partition_config_selectorILNS1_17partition_subalgoE4EjNS0_10empty_typeEbEEZZNS1_14partition_implILS8_4ELb0ES6_15HIP_vector_typeIjLj2EENS0_17counting_iteratorIjlEEPS9_SG_NS0_5tupleIJPjSI_NS0_16reverse_iteratorISI_EEEEENSH_IJSG_SG_SG_EEES9_SI_JZNS1_25segmented_radix_sort_implINS0_14default_configELb1EPK6__halfPSP_PKlPlN2at6native12_GLOBAL__N_18offset_tEEE10hipError_tPvRmT1_PNSt15iterator_traitsIS13_E10value_typeET2_T3_PNS14_IS19_E10value_typeET4_jRbjT5_S1F_jjP12ihipStream_tbEUljE_ZNSN_ISO_Lb1ESR_SS_SU_SV_SZ_EES10_S11_S12_S13_S17_S18_S19_S1C_S1D_jS1E_jS1F_S1F_jjS1H_bEUljE0_EEES10_S11_S12_S19_S1D_S1F_T6_T7_T9_mT8_S1H_bDpT10_ENKUlT_T0_E_clISt17integral_constantIbLb1EES1U_IbLb0EEEEDaS1Q_S1R_EUlS1Q_E_NS1_11comp_targetILNS1_3genE5ELNS1_11target_archE942ELNS1_3gpuE9ELNS1_3repE0EEENS1_30default_config_static_selectorELNS0_4arch9wavefront6targetE1EEEvS13_: ; @_ZN7rocprim17ROCPRIM_400000_NS6detail17trampoline_kernelINS0_13select_configILj256ELj13ELNS0_17block_load_methodE3ELS4_3ELS4_3ELNS0_20block_scan_algorithmE0ELj4294967295EEENS1_25partition_config_selectorILNS1_17partition_subalgoE4EjNS0_10empty_typeEbEEZZNS1_14partition_implILS8_4ELb0ES6_15HIP_vector_typeIjLj2EENS0_17counting_iteratorIjlEEPS9_SG_NS0_5tupleIJPjSI_NS0_16reverse_iteratorISI_EEEEENSH_IJSG_SG_SG_EEES9_SI_JZNS1_25segmented_radix_sort_implINS0_14default_configELb1EPK6__halfPSP_PKlPlN2at6native12_GLOBAL__N_18offset_tEEE10hipError_tPvRmT1_PNSt15iterator_traitsIS13_E10value_typeET2_T3_PNS14_IS19_E10value_typeET4_jRbjT5_S1F_jjP12ihipStream_tbEUljE_ZNSN_ISO_Lb1ESR_SS_SU_SV_SZ_EES10_S11_S12_S13_S17_S18_S19_S1C_S1D_jS1E_jS1F_S1F_jjS1H_bEUljE0_EEES10_S11_S12_S19_S1D_S1F_T6_T7_T9_mT8_S1H_bDpT10_ENKUlT_T0_E_clISt17integral_constantIbLb1EES1U_IbLb0EEEEDaS1Q_S1R_EUlS1Q_E_NS1_11comp_targetILNS1_3genE5ELNS1_11target_archE942ELNS1_3gpuE9ELNS1_3repE0EEENS1_30default_config_static_selectorELNS0_4arch9wavefront6targetE1EEEvS13_
; %bb.0:
	.section	.rodata,"a",@progbits
	.p2align	6, 0x0
	.amdhsa_kernel _ZN7rocprim17ROCPRIM_400000_NS6detail17trampoline_kernelINS0_13select_configILj256ELj13ELNS0_17block_load_methodE3ELS4_3ELS4_3ELNS0_20block_scan_algorithmE0ELj4294967295EEENS1_25partition_config_selectorILNS1_17partition_subalgoE4EjNS0_10empty_typeEbEEZZNS1_14partition_implILS8_4ELb0ES6_15HIP_vector_typeIjLj2EENS0_17counting_iteratorIjlEEPS9_SG_NS0_5tupleIJPjSI_NS0_16reverse_iteratorISI_EEEEENSH_IJSG_SG_SG_EEES9_SI_JZNS1_25segmented_radix_sort_implINS0_14default_configELb1EPK6__halfPSP_PKlPlN2at6native12_GLOBAL__N_18offset_tEEE10hipError_tPvRmT1_PNSt15iterator_traitsIS13_E10value_typeET2_T3_PNS14_IS19_E10value_typeET4_jRbjT5_S1F_jjP12ihipStream_tbEUljE_ZNSN_ISO_Lb1ESR_SS_SU_SV_SZ_EES10_S11_S12_S13_S17_S18_S19_S1C_S1D_jS1E_jS1F_S1F_jjS1H_bEUljE0_EEES10_S11_S12_S19_S1D_S1F_T6_T7_T9_mT8_S1H_bDpT10_ENKUlT_T0_E_clISt17integral_constantIbLb1EES1U_IbLb0EEEEDaS1Q_S1R_EUlS1Q_E_NS1_11comp_targetILNS1_3genE5ELNS1_11target_archE942ELNS1_3gpuE9ELNS1_3repE0EEENS1_30default_config_static_selectorELNS0_4arch9wavefront6targetE1EEEvS13_
		.amdhsa_group_segment_fixed_size 0
		.amdhsa_private_segment_fixed_size 0
		.amdhsa_kernarg_size 176
		.amdhsa_user_sgpr_count 6
		.amdhsa_user_sgpr_private_segment_buffer 1
		.amdhsa_user_sgpr_dispatch_ptr 0
		.amdhsa_user_sgpr_queue_ptr 0
		.amdhsa_user_sgpr_kernarg_segment_ptr 1
		.amdhsa_user_sgpr_dispatch_id 0
		.amdhsa_user_sgpr_flat_scratch_init 0
		.amdhsa_user_sgpr_kernarg_preload_length 0
		.amdhsa_user_sgpr_kernarg_preload_offset 0
		.amdhsa_user_sgpr_private_segment_size 0
		.amdhsa_uses_dynamic_stack 0
		.amdhsa_system_sgpr_private_segment_wavefront_offset 0
		.amdhsa_system_sgpr_workgroup_id_x 1
		.amdhsa_system_sgpr_workgroup_id_y 0
		.amdhsa_system_sgpr_workgroup_id_z 0
		.amdhsa_system_sgpr_workgroup_info 0
		.amdhsa_system_vgpr_workitem_id 0
		.amdhsa_next_free_vgpr 1
		.amdhsa_next_free_sgpr 0
		.amdhsa_accum_offset 4
		.amdhsa_reserve_vcc 0
		.amdhsa_reserve_flat_scratch 0
		.amdhsa_float_round_mode_32 0
		.amdhsa_float_round_mode_16_64 0
		.amdhsa_float_denorm_mode_32 3
		.amdhsa_float_denorm_mode_16_64 3
		.amdhsa_dx10_clamp 1
		.amdhsa_ieee_mode 1
		.amdhsa_fp16_overflow 0
		.amdhsa_tg_split 0
		.amdhsa_exception_fp_ieee_invalid_op 0
		.amdhsa_exception_fp_denorm_src 0
		.amdhsa_exception_fp_ieee_div_zero 0
		.amdhsa_exception_fp_ieee_overflow 0
		.amdhsa_exception_fp_ieee_underflow 0
		.amdhsa_exception_fp_ieee_inexact 0
		.amdhsa_exception_int_div_zero 0
	.end_amdhsa_kernel
	.section	.text._ZN7rocprim17ROCPRIM_400000_NS6detail17trampoline_kernelINS0_13select_configILj256ELj13ELNS0_17block_load_methodE3ELS4_3ELS4_3ELNS0_20block_scan_algorithmE0ELj4294967295EEENS1_25partition_config_selectorILNS1_17partition_subalgoE4EjNS0_10empty_typeEbEEZZNS1_14partition_implILS8_4ELb0ES6_15HIP_vector_typeIjLj2EENS0_17counting_iteratorIjlEEPS9_SG_NS0_5tupleIJPjSI_NS0_16reverse_iteratorISI_EEEEENSH_IJSG_SG_SG_EEES9_SI_JZNS1_25segmented_radix_sort_implINS0_14default_configELb1EPK6__halfPSP_PKlPlN2at6native12_GLOBAL__N_18offset_tEEE10hipError_tPvRmT1_PNSt15iterator_traitsIS13_E10value_typeET2_T3_PNS14_IS19_E10value_typeET4_jRbjT5_S1F_jjP12ihipStream_tbEUljE_ZNSN_ISO_Lb1ESR_SS_SU_SV_SZ_EES10_S11_S12_S13_S17_S18_S19_S1C_S1D_jS1E_jS1F_S1F_jjS1H_bEUljE0_EEES10_S11_S12_S19_S1D_S1F_T6_T7_T9_mT8_S1H_bDpT10_ENKUlT_T0_E_clISt17integral_constantIbLb1EES1U_IbLb0EEEEDaS1Q_S1R_EUlS1Q_E_NS1_11comp_targetILNS1_3genE5ELNS1_11target_archE942ELNS1_3gpuE9ELNS1_3repE0EEENS1_30default_config_static_selectorELNS0_4arch9wavefront6targetE1EEEvS13_,"axG",@progbits,_ZN7rocprim17ROCPRIM_400000_NS6detail17trampoline_kernelINS0_13select_configILj256ELj13ELNS0_17block_load_methodE3ELS4_3ELS4_3ELNS0_20block_scan_algorithmE0ELj4294967295EEENS1_25partition_config_selectorILNS1_17partition_subalgoE4EjNS0_10empty_typeEbEEZZNS1_14partition_implILS8_4ELb0ES6_15HIP_vector_typeIjLj2EENS0_17counting_iteratorIjlEEPS9_SG_NS0_5tupleIJPjSI_NS0_16reverse_iteratorISI_EEEEENSH_IJSG_SG_SG_EEES9_SI_JZNS1_25segmented_radix_sort_implINS0_14default_configELb1EPK6__halfPSP_PKlPlN2at6native12_GLOBAL__N_18offset_tEEE10hipError_tPvRmT1_PNSt15iterator_traitsIS13_E10value_typeET2_T3_PNS14_IS19_E10value_typeET4_jRbjT5_S1F_jjP12ihipStream_tbEUljE_ZNSN_ISO_Lb1ESR_SS_SU_SV_SZ_EES10_S11_S12_S13_S17_S18_S19_S1C_S1D_jS1E_jS1F_S1F_jjS1H_bEUljE0_EEES10_S11_S12_S19_S1D_S1F_T6_T7_T9_mT8_S1H_bDpT10_ENKUlT_T0_E_clISt17integral_constantIbLb1EES1U_IbLb0EEEEDaS1Q_S1R_EUlS1Q_E_NS1_11comp_targetILNS1_3genE5ELNS1_11target_archE942ELNS1_3gpuE9ELNS1_3repE0EEENS1_30default_config_static_selectorELNS0_4arch9wavefront6targetE1EEEvS13_,comdat
.Lfunc_end1690:
	.size	_ZN7rocprim17ROCPRIM_400000_NS6detail17trampoline_kernelINS0_13select_configILj256ELj13ELNS0_17block_load_methodE3ELS4_3ELS4_3ELNS0_20block_scan_algorithmE0ELj4294967295EEENS1_25partition_config_selectorILNS1_17partition_subalgoE4EjNS0_10empty_typeEbEEZZNS1_14partition_implILS8_4ELb0ES6_15HIP_vector_typeIjLj2EENS0_17counting_iteratorIjlEEPS9_SG_NS0_5tupleIJPjSI_NS0_16reverse_iteratorISI_EEEEENSH_IJSG_SG_SG_EEES9_SI_JZNS1_25segmented_radix_sort_implINS0_14default_configELb1EPK6__halfPSP_PKlPlN2at6native12_GLOBAL__N_18offset_tEEE10hipError_tPvRmT1_PNSt15iterator_traitsIS13_E10value_typeET2_T3_PNS14_IS19_E10value_typeET4_jRbjT5_S1F_jjP12ihipStream_tbEUljE_ZNSN_ISO_Lb1ESR_SS_SU_SV_SZ_EES10_S11_S12_S13_S17_S18_S19_S1C_S1D_jS1E_jS1F_S1F_jjS1H_bEUljE0_EEES10_S11_S12_S19_S1D_S1F_T6_T7_T9_mT8_S1H_bDpT10_ENKUlT_T0_E_clISt17integral_constantIbLb1EES1U_IbLb0EEEEDaS1Q_S1R_EUlS1Q_E_NS1_11comp_targetILNS1_3genE5ELNS1_11target_archE942ELNS1_3gpuE9ELNS1_3repE0EEENS1_30default_config_static_selectorELNS0_4arch9wavefront6targetE1EEEvS13_, .Lfunc_end1690-_ZN7rocprim17ROCPRIM_400000_NS6detail17trampoline_kernelINS0_13select_configILj256ELj13ELNS0_17block_load_methodE3ELS4_3ELS4_3ELNS0_20block_scan_algorithmE0ELj4294967295EEENS1_25partition_config_selectorILNS1_17partition_subalgoE4EjNS0_10empty_typeEbEEZZNS1_14partition_implILS8_4ELb0ES6_15HIP_vector_typeIjLj2EENS0_17counting_iteratorIjlEEPS9_SG_NS0_5tupleIJPjSI_NS0_16reverse_iteratorISI_EEEEENSH_IJSG_SG_SG_EEES9_SI_JZNS1_25segmented_radix_sort_implINS0_14default_configELb1EPK6__halfPSP_PKlPlN2at6native12_GLOBAL__N_18offset_tEEE10hipError_tPvRmT1_PNSt15iterator_traitsIS13_E10value_typeET2_T3_PNS14_IS19_E10value_typeET4_jRbjT5_S1F_jjP12ihipStream_tbEUljE_ZNSN_ISO_Lb1ESR_SS_SU_SV_SZ_EES10_S11_S12_S13_S17_S18_S19_S1C_S1D_jS1E_jS1F_S1F_jjS1H_bEUljE0_EEES10_S11_S12_S19_S1D_S1F_T6_T7_T9_mT8_S1H_bDpT10_ENKUlT_T0_E_clISt17integral_constantIbLb1EES1U_IbLb0EEEEDaS1Q_S1R_EUlS1Q_E_NS1_11comp_targetILNS1_3genE5ELNS1_11target_archE942ELNS1_3gpuE9ELNS1_3repE0EEENS1_30default_config_static_selectorELNS0_4arch9wavefront6targetE1EEEvS13_
                                        ; -- End function
	.section	.AMDGPU.csdata,"",@progbits
; Kernel info:
; codeLenInByte = 0
; NumSgprs: 4
; NumVgprs: 0
; NumAgprs: 0
; TotalNumVgprs: 0
; ScratchSize: 0
; MemoryBound: 0
; FloatMode: 240
; IeeeMode: 1
; LDSByteSize: 0 bytes/workgroup (compile time only)
; SGPRBlocks: 0
; VGPRBlocks: 0
; NumSGPRsForWavesPerEU: 4
; NumVGPRsForWavesPerEU: 1
; AccumOffset: 4
; Occupancy: 8
; WaveLimiterHint : 0
; COMPUTE_PGM_RSRC2:SCRATCH_EN: 0
; COMPUTE_PGM_RSRC2:USER_SGPR: 6
; COMPUTE_PGM_RSRC2:TRAP_HANDLER: 0
; COMPUTE_PGM_RSRC2:TGID_X_EN: 1
; COMPUTE_PGM_RSRC2:TGID_Y_EN: 0
; COMPUTE_PGM_RSRC2:TGID_Z_EN: 0
; COMPUTE_PGM_RSRC2:TIDIG_COMP_CNT: 0
; COMPUTE_PGM_RSRC3_GFX90A:ACCUM_OFFSET: 0
; COMPUTE_PGM_RSRC3_GFX90A:TG_SPLIT: 0
	.section	.text._ZN7rocprim17ROCPRIM_400000_NS6detail17trampoline_kernelINS0_13select_configILj256ELj13ELNS0_17block_load_methodE3ELS4_3ELS4_3ELNS0_20block_scan_algorithmE0ELj4294967295EEENS1_25partition_config_selectorILNS1_17partition_subalgoE4EjNS0_10empty_typeEbEEZZNS1_14partition_implILS8_4ELb0ES6_15HIP_vector_typeIjLj2EENS0_17counting_iteratorIjlEEPS9_SG_NS0_5tupleIJPjSI_NS0_16reverse_iteratorISI_EEEEENSH_IJSG_SG_SG_EEES9_SI_JZNS1_25segmented_radix_sort_implINS0_14default_configELb1EPK6__halfPSP_PKlPlN2at6native12_GLOBAL__N_18offset_tEEE10hipError_tPvRmT1_PNSt15iterator_traitsIS13_E10value_typeET2_T3_PNS14_IS19_E10value_typeET4_jRbjT5_S1F_jjP12ihipStream_tbEUljE_ZNSN_ISO_Lb1ESR_SS_SU_SV_SZ_EES10_S11_S12_S13_S17_S18_S19_S1C_S1D_jS1E_jS1F_S1F_jjS1H_bEUljE0_EEES10_S11_S12_S19_S1D_S1F_T6_T7_T9_mT8_S1H_bDpT10_ENKUlT_T0_E_clISt17integral_constantIbLb1EES1U_IbLb0EEEEDaS1Q_S1R_EUlS1Q_E_NS1_11comp_targetILNS1_3genE4ELNS1_11target_archE910ELNS1_3gpuE8ELNS1_3repE0EEENS1_30default_config_static_selectorELNS0_4arch9wavefront6targetE1EEEvS13_,"axG",@progbits,_ZN7rocprim17ROCPRIM_400000_NS6detail17trampoline_kernelINS0_13select_configILj256ELj13ELNS0_17block_load_methodE3ELS4_3ELS4_3ELNS0_20block_scan_algorithmE0ELj4294967295EEENS1_25partition_config_selectorILNS1_17partition_subalgoE4EjNS0_10empty_typeEbEEZZNS1_14partition_implILS8_4ELb0ES6_15HIP_vector_typeIjLj2EENS0_17counting_iteratorIjlEEPS9_SG_NS0_5tupleIJPjSI_NS0_16reverse_iteratorISI_EEEEENSH_IJSG_SG_SG_EEES9_SI_JZNS1_25segmented_radix_sort_implINS0_14default_configELb1EPK6__halfPSP_PKlPlN2at6native12_GLOBAL__N_18offset_tEEE10hipError_tPvRmT1_PNSt15iterator_traitsIS13_E10value_typeET2_T3_PNS14_IS19_E10value_typeET4_jRbjT5_S1F_jjP12ihipStream_tbEUljE_ZNSN_ISO_Lb1ESR_SS_SU_SV_SZ_EES10_S11_S12_S13_S17_S18_S19_S1C_S1D_jS1E_jS1F_S1F_jjS1H_bEUljE0_EEES10_S11_S12_S19_S1D_S1F_T6_T7_T9_mT8_S1H_bDpT10_ENKUlT_T0_E_clISt17integral_constantIbLb1EES1U_IbLb0EEEEDaS1Q_S1R_EUlS1Q_E_NS1_11comp_targetILNS1_3genE4ELNS1_11target_archE910ELNS1_3gpuE8ELNS1_3repE0EEENS1_30default_config_static_selectorELNS0_4arch9wavefront6targetE1EEEvS13_,comdat
	.globl	_ZN7rocprim17ROCPRIM_400000_NS6detail17trampoline_kernelINS0_13select_configILj256ELj13ELNS0_17block_load_methodE3ELS4_3ELS4_3ELNS0_20block_scan_algorithmE0ELj4294967295EEENS1_25partition_config_selectorILNS1_17partition_subalgoE4EjNS0_10empty_typeEbEEZZNS1_14partition_implILS8_4ELb0ES6_15HIP_vector_typeIjLj2EENS0_17counting_iteratorIjlEEPS9_SG_NS0_5tupleIJPjSI_NS0_16reverse_iteratorISI_EEEEENSH_IJSG_SG_SG_EEES9_SI_JZNS1_25segmented_radix_sort_implINS0_14default_configELb1EPK6__halfPSP_PKlPlN2at6native12_GLOBAL__N_18offset_tEEE10hipError_tPvRmT1_PNSt15iterator_traitsIS13_E10value_typeET2_T3_PNS14_IS19_E10value_typeET4_jRbjT5_S1F_jjP12ihipStream_tbEUljE_ZNSN_ISO_Lb1ESR_SS_SU_SV_SZ_EES10_S11_S12_S13_S17_S18_S19_S1C_S1D_jS1E_jS1F_S1F_jjS1H_bEUljE0_EEES10_S11_S12_S19_S1D_S1F_T6_T7_T9_mT8_S1H_bDpT10_ENKUlT_T0_E_clISt17integral_constantIbLb1EES1U_IbLb0EEEEDaS1Q_S1R_EUlS1Q_E_NS1_11comp_targetILNS1_3genE4ELNS1_11target_archE910ELNS1_3gpuE8ELNS1_3repE0EEENS1_30default_config_static_selectorELNS0_4arch9wavefront6targetE1EEEvS13_ ; -- Begin function _ZN7rocprim17ROCPRIM_400000_NS6detail17trampoline_kernelINS0_13select_configILj256ELj13ELNS0_17block_load_methodE3ELS4_3ELS4_3ELNS0_20block_scan_algorithmE0ELj4294967295EEENS1_25partition_config_selectorILNS1_17partition_subalgoE4EjNS0_10empty_typeEbEEZZNS1_14partition_implILS8_4ELb0ES6_15HIP_vector_typeIjLj2EENS0_17counting_iteratorIjlEEPS9_SG_NS0_5tupleIJPjSI_NS0_16reverse_iteratorISI_EEEEENSH_IJSG_SG_SG_EEES9_SI_JZNS1_25segmented_radix_sort_implINS0_14default_configELb1EPK6__halfPSP_PKlPlN2at6native12_GLOBAL__N_18offset_tEEE10hipError_tPvRmT1_PNSt15iterator_traitsIS13_E10value_typeET2_T3_PNS14_IS19_E10value_typeET4_jRbjT5_S1F_jjP12ihipStream_tbEUljE_ZNSN_ISO_Lb1ESR_SS_SU_SV_SZ_EES10_S11_S12_S13_S17_S18_S19_S1C_S1D_jS1E_jS1F_S1F_jjS1H_bEUljE0_EEES10_S11_S12_S19_S1D_S1F_T6_T7_T9_mT8_S1H_bDpT10_ENKUlT_T0_E_clISt17integral_constantIbLb1EES1U_IbLb0EEEEDaS1Q_S1R_EUlS1Q_E_NS1_11comp_targetILNS1_3genE4ELNS1_11target_archE910ELNS1_3gpuE8ELNS1_3repE0EEENS1_30default_config_static_selectorELNS0_4arch9wavefront6targetE1EEEvS13_
	.p2align	8
	.type	_ZN7rocprim17ROCPRIM_400000_NS6detail17trampoline_kernelINS0_13select_configILj256ELj13ELNS0_17block_load_methodE3ELS4_3ELS4_3ELNS0_20block_scan_algorithmE0ELj4294967295EEENS1_25partition_config_selectorILNS1_17partition_subalgoE4EjNS0_10empty_typeEbEEZZNS1_14partition_implILS8_4ELb0ES6_15HIP_vector_typeIjLj2EENS0_17counting_iteratorIjlEEPS9_SG_NS0_5tupleIJPjSI_NS0_16reverse_iteratorISI_EEEEENSH_IJSG_SG_SG_EEES9_SI_JZNS1_25segmented_radix_sort_implINS0_14default_configELb1EPK6__halfPSP_PKlPlN2at6native12_GLOBAL__N_18offset_tEEE10hipError_tPvRmT1_PNSt15iterator_traitsIS13_E10value_typeET2_T3_PNS14_IS19_E10value_typeET4_jRbjT5_S1F_jjP12ihipStream_tbEUljE_ZNSN_ISO_Lb1ESR_SS_SU_SV_SZ_EES10_S11_S12_S13_S17_S18_S19_S1C_S1D_jS1E_jS1F_S1F_jjS1H_bEUljE0_EEES10_S11_S12_S19_S1D_S1F_T6_T7_T9_mT8_S1H_bDpT10_ENKUlT_T0_E_clISt17integral_constantIbLb1EES1U_IbLb0EEEEDaS1Q_S1R_EUlS1Q_E_NS1_11comp_targetILNS1_3genE4ELNS1_11target_archE910ELNS1_3gpuE8ELNS1_3repE0EEENS1_30default_config_static_selectorELNS0_4arch9wavefront6targetE1EEEvS13_,@function
_ZN7rocprim17ROCPRIM_400000_NS6detail17trampoline_kernelINS0_13select_configILj256ELj13ELNS0_17block_load_methodE3ELS4_3ELS4_3ELNS0_20block_scan_algorithmE0ELj4294967295EEENS1_25partition_config_selectorILNS1_17partition_subalgoE4EjNS0_10empty_typeEbEEZZNS1_14partition_implILS8_4ELb0ES6_15HIP_vector_typeIjLj2EENS0_17counting_iteratorIjlEEPS9_SG_NS0_5tupleIJPjSI_NS0_16reverse_iteratorISI_EEEEENSH_IJSG_SG_SG_EEES9_SI_JZNS1_25segmented_radix_sort_implINS0_14default_configELb1EPK6__halfPSP_PKlPlN2at6native12_GLOBAL__N_18offset_tEEE10hipError_tPvRmT1_PNSt15iterator_traitsIS13_E10value_typeET2_T3_PNS14_IS19_E10value_typeET4_jRbjT5_S1F_jjP12ihipStream_tbEUljE_ZNSN_ISO_Lb1ESR_SS_SU_SV_SZ_EES10_S11_S12_S13_S17_S18_S19_S1C_S1D_jS1E_jS1F_S1F_jjS1H_bEUljE0_EEES10_S11_S12_S19_S1D_S1F_T6_T7_T9_mT8_S1H_bDpT10_ENKUlT_T0_E_clISt17integral_constantIbLb1EES1U_IbLb0EEEEDaS1Q_S1R_EUlS1Q_E_NS1_11comp_targetILNS1_3genE4ELNS1_11target_archE910ELNS1_3gpuE8ELNS1_3repE0EEENS1_30default_config_static_selectorELNS0_4arch9wavefront6targetE1EEEvS13_: ; @_ZN7rocprim17ROCPRIM_400000_NS6detail17trampoline_kernelINS0_13select_configILj256ELj13ELNS0_17block_load_methodE3ELS4_3ELS4_3ELNS0_20block_scan_algorithmE0ELj4294967295EEENS1_25partition_config_selectorILNS1_17partition_subalgoE4EjNS0_10empty_typeEbEEZZNS1_14partition_implILS8_4ELb0ES6_15HIP_vector_typeIjLj2EENS0_17counting_iteratorIjlEEPS9_SG_NS0_5tupleIJPjSI_NS0_16reverse_iteratorISI_EEEEENSH_IJSG_SG_SG_EEES9_SI_JZNS1_25segmented_radix_sort_implINS0_14default_configELb1EPK6__halfPSP_PKlPlN2at6native12_GLOBAL__N_18offset_tEEE10hipError_tPvRmT1_PNSt15iterator_traitsIS13_E10value_typeET2_T3_PNS14_IS19_E10value_typeET4_jRbjT5_S1F_jjP12ihipStream_tbEUljE_ZNSN_ISO_Lb1ESR_SS_SU_SV_SZ_EES10_S11_S12_S13_S17_S18_S19_S1C_S1D_jS1E_jS1F_S1F_jjS1H_bEUljE0_EEES10_S11_S12_S19_S1D_S1F_T6_T7_T9_mT8_S1H_bDpT10_ENKUlT_T0_E_clISt17integral_constantIbLb1EES1U_IbLb0EEEEDaS1Q_S1R_EUlS1Q_E_NS1_11comp_targetILNS1_3genE4ELNS1_11target_archE910ELNS1_3gpuE8ELNS1_3repE0EEENS1_30default_config_static_selectorELNS0_4arch9wavefront6targetE1EEEvS13_
; %bb.0:
	s_load_dwordx2 s[0:1], s[4:5], 0x68
	s_load_dword s7, s[4:5], 0x8
	s_load_dwordx2 s[56:57], s[4:5], 0x10
	s_load_dwordx4 s[44:47], s[4:5], 0x58
	s_mul_i32 s33, s6, 0xd00
	s_waitcnt lgkmcnt(0)
	v_mov_b32_e32 v3, s1
	v_mov_b32_e32 v2, s0
	s_load_dword s1, s[4:5], 0x80
	s_load_dwordx2 s[60:61], s[4:5], 0xa8
	s_load_dwordx8 s[36:43], s[4:5], 0x88
	s_load_dwordx4 s[48:51], s[46:47], 0x0
	s_waitcnt lgkmcnt(0)
	s_add_i32 s8, s1, -1
	s_mulk_i32 s1, 0xd00
	s_add_u32 s2, s56, s1
	s_addc_u32 s3, s57, 0
	s_cmp_eq_u32 s6, s8
	s_cselect_b64 s[30:31], -1, 0
	s_cmp_lg_u32 s6, s8
	v_cmp_lt_u64_e32 vcc, s[2:3], v[2:3]
	s_cselect_b64 s[2:3], -1, 0
	s_add_i32 s7, s7, s33
	s_or_b64 s[2:3], s[2:3], vcc
	s_add_i32 s7, s7, s56
	v_add_u32_e32 v1, s7, v0
	s_mov_b64 s[8:9], -1
	s_and_b64 vcc, exec, s[2:3]
	s_cbranch_vccz .LBB1691_2
; %bb.1:
	v_add_u32_e32 v2, 0x100, v1
	v_lshlrev_b32_e32 v14, 2, v0
	v_add_u32_e32 v3, 0x200, v1
	v_add_u32_e32 v4, 0x300, v1
	;; [unrolled: 1-line block ×11, first 2 shown]
	ds_write2st64_b32 v14, v1, v2 offset1:4
	ds_write2st64_b32 v14, v3, v4 offset0:8 offset1:12
	ds_write2st64_b32 v14, v5, v6 offset0:16 offset1:20
	;; [unrolled: 1-line block ×5, first 2 shown]
	ds_write_b32 v14, v13 offset:12288
	s_waitcnt lgkmcnt(0)
	s_barrier
	s_mov_b64 s[8:9], 0
.LBB1691_2:
	s_andn2_b64 vcc, exec, s[8:9]
	s_add_i32 s1, s1, s56
	s_cbranch_vccnz .LBB1691_4
; %bb.3:
	v_add_u32_e32 v2, 0x100, v1
	v_lshlrev_b32_e32 v14, 2, v0
	v_add_u32_e32 v3, 0x200, v1
	v_add_u32_e32 v4, 0x300, v1
	;; [unrolled: 1-line block ×11, first 2 shown]
	ds_write2st64_b32 v14, v1, v2 offset1:4
	ds_write2st64_b32 v14, v3, v4 offset0:8 offset1:12
	ds_write2st64_b32 v14, v5, v6 offset0:16 offset1:20
	;; [unrolled: 1-line block ×5, first 2 shown]
	ds_write_b32 v14, v13 offset:12288
	s_waitcnt lgkmcnt(0)
	s_barrier
.LBB1691_4:
	v_mul_u32_u24_e32 v31, 13, v0
	v_lshlrev_b32_e32 v1, 2, v31
	s_load_dwordx4 s[52:55], s[4:5], 0x28
	s_load_dwordx2 s[34:35], s[4:5], 0x38
	s_waitcnt lgkmcnt(0)
	ds_read2_b32 v[18:19], v1 offset1:1
	ds_read2_b32 v[16:17], v1 offset0:2 offset1:3
	ds_read2_b32 v[14:15], v1 offset0:4 offset1:5
	;; [unrolled: 1-line block ×5, first 2 shown]
	ds_read_b32 v30, v1 offset:48
	v_cndmask_b32_e64 v1, 0, 1, s[2:3]
	s_sub_i32 s7, s0, s1
	v_cmp_ne_u32_e64 s[0:1], 1, v1
	s_andn2_b64 vcc, exec, s[2:3]
	s_waitcnt lgkmcnt(0)
	s_barrier
	s_cbranch_vccnz .LBB1691_32
; %bb.5:
	v_add_u32_e32 v1, s37, v18
	v_add_u32_e32 v2, s39, v18
	v_mul_lo_u32 v1, v1, s36
	v_mul_lo_u32 v2, v2, s38
	v_sub_u32_e32 v1, v1, v2
	v_cmp_lt_u32_e32 vcc, s40, v1
	v_cmp_ge_u32_e64 s[2:3], s40, v1
	s_mov_b64 s[64:65], 0
	s_mov_b64 s[62:63], 0
	s_and_saveexec_b64 s[8:9], s[2:3]
; %bb.6:
	v_add_u32_e32 v1, s42, v18
	v_add_u32_e32 v2, s60, v18
	v_mul_lo_u32 v1, v1, s41
	v_mul_lo_u32 v2, v2, s43
	v_sub_u32_e32 v1, v1, v2
	v_cmp_lt_u32_e64 s[2:3], s61, v1
	s_and_b64 s[62:63], s[2:3], exec
; %bb.7:
	s_or_b64 exec, exec, s[8:9]
	v_add_u32_e32 v1, s37, v19
	v_add_u32_e32 v2, s39, v19
	v_mul_lo_u32 v1, v1, s36
	v_mul_lo_u32 v2, v2, s38
	v_sub_u32_e32 v1, v1, v2
	v_cmp_lt_u32_e64 s[2:3], s40, v1
	v_cmp_ge_u32_e64 s[8:9], s40, v1
	s_and_saveexec_b64 s[10:11], s[8:9]
; %bb.8:
	v_add_u32_e32 v1, s42, v19
	v_add_u32_e32 v2, s60, v19
	v_mul_lo_u32 v1, v1, s41
	v_mul_lo_u32 v2, v2, s43
	v_sub_u32_e32 v1, v1, v2
	v_cmp_lt_u32_e64 s[8:9], s61, v1
	s_and_b64 s[64:65], s[8:9], exec
; %bb.9:
	s_or_b64 exec, exec, s[10:11]
	v_add_u32_e32 v1, s37, v16
	v_add_u32_e32 v2, s39, v16
	v_mul_lo_u32 v1, v1, s36
	v_mul_lo_u32 v2, v2, s38
	v_sub_u32_e32 v1, v1, v2
	v_cmp_lt_u32_e64 s[26:27], s40, v1
	v_cmp_ge_u32_e64 s[8:9], s40, v1
	s_mov_b64 s[68:69], 0
	s_mov_b64 s[66:67], 0
	s_and_saveexec_b64 s[10:11], s[8:9]
; %bb.10:
	v_add_u32_e32 v1, s42, v16
	v_add_u32_e32 v2, s60, v16
	v_mul_lo_u32 v1, v1, s41
	v_mul_lo_u32 v2, v2, s43
	v_sub_u32_e32 v1, v1, v2
	v_cmp_lt_u32_e64 s[8:9], s61, v1
	s_and_b64 s[66:67], s[8:9], exec
; %bb.11:
	s_or_b64 exec, exec, s[10:11]
	v_add_u32_e32 v1, s37, v17
	v_add_u32_e32 v2, s39, v17
	v_mul_lo_u32 v1, v1, s36
	v_mul_lo_u32 v2, v2, s38
	v_sub_u32_e32 v1, v1, v2
	v_cmp_lt_u32_e64 s[8:9], s40, v1
	v_cmp_ge_u32_e64 s[10:11], s40, v1
	s_and_saveexec_b64 s[12:13], s[10:11]
; %bb.12:
	v_add_u32_e32 v1, s42, v17
	v_add_u32_e32 v2, s60, v17
	v_mul_lo_u32 v1, v1, s41
	v_mul_lo_u32 v2, v2, s43
	v_sub_u32_e32 v1, v1, v2
	v_cmp_lt_u32_e64 s[10:11], s61, v1
	s_and_b64 s[68:69], s[10:11], exec
; %bb.13:
	s_or_b64 exec, exec, s[12:13]
	v_add_u32_e32 v1, s37, v14
	v_add_u32_e32 v2, s39, v14
	v_mul_lo_u32 v1, v1, s36
	v_mul_lo_u32 v2, v2, s38
	v_sub_u32_e32 v1, v1, v2
	v_cmp_lt_u32_e64 s[10:11], s40, v1
	;; [unrolled: 38-line block ×5, first 2 shown]
	v_cmp_ge_u32_e64 s[24:25], s40, v1
	s_mov_b64 s[84:85], 0
	s_mov_b64 s[86:87], 0
	s_and_saveexec_b64 s[28:29], s[24:25]
; %bb.26:
	v_add_u32_e32 v1, s42, v8
	v_add_u32_e32 v2, s60, v8
	v_mul_lo_u32 v1, v1, s41
	v_mul_lo_u32 v2, v2, s43
	v_sub_u32_e32 v1, v1, v2
	v_cmp_lt_u32_e64 s[24:25], s61, v1
	s_and_b64 s[86:87], s[24:25], exec
; %bb.27:
	s_or_b64 exec, exec, s[28:29]
	v_add_u32_e32 v1, s37, v9
	v_add_u32_e32 v2, s39, v9
	v_mul_lo_u32 v1, v1, s36
	v_mul_lo_u32 v2, v2, s38
	v_sub_u32_e32 v1, v1, v2
	v_cmp_lt_u32_e64 s[24:25], s40, v1
	v_cmp_ge_u32_e64 s[28:29], s40, v1
	s_and_saveexec_b64 s[46:47], s[28:29]
; %bb.28:
	v_add_u32_e32 v1, s42, v9
	v_add_u32_e32 v2, s60, v9
	v_mul_lo_u32 v1, v1, s41
	v_mul_lo_u32 v2, v2, s43
	v_sub_u32_e32 v1, v1, v2
	v_cmp_lt_u32_e64 s[28:29], s61, v1
	s_and_b64 s[84:85], s[28:29], exec
; %bb.29:
	s_or_b64 exec, exec, s[46:47]
	v_add_u32_e32 v1, s37, v30
	v_add_u32_e32 v2, s39, v30
	v_mul_lo_u32 v1, v1, s36
	v_mul_lo_u32 v2, v2, s38
	v_sub_u32_e32 v1, v1, v2
	v_cmp_ge_u32_e64 s[28:29], s40, v1
	s_mov_b64 s[46:47], -1
	s_mov_b64 s[78:79], 0
	s_mov_b64 s[58:59], 0
	s_and_saveexec_b64 s[88:89], s[28:29]
; %bb.30:
	v_add_u32_e32 v1, s42, v30
	v_add_u32_e32 v2, s60, v30
	v_mul_lo_u32 v1, v1, s41
	v_mul_lo_u32 v2, v2, s43
	v_sub_u32_e32 v1, v1, v2
	v_cmp_lt_u32_e64 s[28:29], s61, v1
	s_and_b64 s[58:59], s[28:29], exec
	s_xor_b64 s[46:47], exec, -1
; %bb.31:
	s_or_b64 exec, exec, s[88:89]
	v_cndmask_b32_e64 v52, 0, 1, s[86:87]
	v_cndmask_b32_e64 v55, 0, 1, s[24:25]
	;; [unrolled: 1-line block ×22, first 2 shown]
	v_cndmask_b32_e64 v32, 0, 1, vcc
	v_cndmask_b32_e64 v54, 0, 1, s[84:85]
	s_load_dwordx2 s[12:13], s[4:5], 0x78
	s_add_i32 s18, s7, 0xd00
	s_and_b64 vcc, exec, s[78:79]
	s_cbranch_vccnz .LBB1691_33
	s_branch .LBB1691_86
.LBB1691_32:
                                        ; implicit-def: $sgpr46_sgpr47
                                        ; implicit-def: $sgpr58_sgpr59
                                        ; implicit-def: $vgpr54
                                        ; implicit-def: $vgpr52
                                        ; implicit-def: $vgpr50
                                        ; implicit-def: $vgpr48
                                        ; implicit-def: $vgpr46
                                        ; implicit-def: $vgpr44
                                        ; implicit-def: $vgpr42
                                        ; implicit-def: $vgpr40
                                        ; implicit-def: $vgpr38
                                        ; implicit-def: $vgpr32
                                        ; implicit-def: $vgpr34
                                        ; implicit-def: $vgpr36
                                        ; implicit-def: $vgpr39
                                        ; implicit-def: $vgpr41
                                        ; implicit-def: $vgpr43
                                        ; implicit-def: $vgpr45
                                        ; implicit-def: $vgpr47
                                        ; implicit-def: $vgpr49
                                        ; implicit-def: $vgpr51
                                        ; implicit-def: $vgpr53
                                        ; implicit-def: $vgpr55
                                        ; implicit-def: $vgpr33
                                        ; implicit-def: $vgpr35
                                        ; implicit-def: $vgpr37
	s_load_dwordx2 s[12:13], s[4:5], 0x78
	s_add_i32 s18, s7, 0xd00
	s_cbranch_execz .LBB1691_86
.LBB1691_33:
	v_cmp_gt_u32_e32 vcc, s18, v31
	v_mov_b32_e32 v33, 0
	v_mov_b32_e32 v32, 0
	s_and_saveexec_b64 s[4:5], vcc
	s_cbranch_execz .LBB1691_37
; %bb.34:
	v_add_u32_e32 v1, s37, v18
	v_add_u32_e32 v2, s39, v18
	v_mul_lo_u32 v1, v1, s36
	v_mul_lo_u32 v2, v2, s38
	v_sub_u32_e32 v1, v1, v2
	v_cmp_lt_u32_e32 vcc, s40, v1
	v_cmp_ge_u32_e64 s[2:3], s40, v1
	s_mov_b64 s[10:11], 0
	s_and_saveexec_b64 s[8:9], s[2:3]
; %bb.35:
	v_add_u32_e32 v1, s42, v18
	v_add_u32_e32 v2, s60, v18
	v_mul_lo_u32 v1, v1, s41
	v_mul_lo_u32 v2, v2, s43
	v_sub_u32_e32 v1, v1, v2
	v_cmp_lt_u32_e64 s[2:3], s61, v1
	s_and_b64 s[10:11], s[2:3], exec
; %bb.36:
	s_or_b64 exec, exec, s[8:9]
	v_cndmask_b32_e64 v32, 0, 1, vcc
	v_cndmask_b32_e64 v33, 0, 1, s[10:11]
.LBB1691_37:
	s_or_b64 exec, exec, s[4:5]
	v_add_u32_e32 v1, 1, v31
	v_cmp_gt_u32_e32 vcc, s18, v1
	v_mov_b32_e32 v34, 0
	v_mov_b32_e32 v35, 0
	s_and_saveexec_b64 s[4:5], vcc
	s_cbranch_execz .LBB1691_41
; %bb.38:
	v_add_u32_e32 v1, s37, v19
	v_add_u32_e32 v2, s39, v19
	v_mul_lo_u32 v1, v1, s36
	v_mul_lo_u32 v2, v2, s38
	v_sub_u32_e32 v1, v1, v2
	v_cmp_lt_u32_e32 vcc, s40, v1
	v_cmp_ge_u32_e64 s[2:3], s40, v1
	s_mov_b64 s[10:11], 0
	s_and_saveexec_b64 s[8:9], s[2:3]
; %bb.39:
	v_add_u32_e32 v1, s42, v19
	v_add_u32_e32 v2, s60, v19
	v_mul_lo_u32 v1, v1, s41
	v_mul_lo_u32 v2, v2, s43
	v_sub_u32_e32 v1, v1, v2
	v_cmp_lt_u32_e64 s[2:3], s61, v1
	s_and_b64 s[10:11], s[2:3], exec
; %bb.40:
	s_or_b64 exec, exec, s[8:9]
	v_cndmask_b32_e64 v34, 0, 1, vcc
	v_cndmask_b32_e64 v35, 0, 1, s[10:11]
.LBB1691_41:
	s_or_b64 exec, exec, s[4:5]
	v_add_u32_e32 v1, 2, v31
	;; [unrolled: 30-line block ×12, first 2 shown]
	v_cmp_gt_u32_e32 vcc, s18, v1
	s_mov_b64 s[46:47], 0
	s_mov_b64 s[58:59], 0
	s_and_saveexec_b64 s[2:3], vcc
	s_cbranch_execz .LBB1691_85
; %bb.82:
	v_add_u32_e32 v1, s37, v30
	v_add_u32_e32 v2, s39, v30
	v_mul_lo_u32 v1, v1, s36
	v_mul_lo_u32 v2, v2, s38
	v_sub_u32_e32 v1, v1, v2
	v_cmp_ge_u32_e32 vcc, s40, v1
	s_mov_b64 s[8:9], -1
	s_mov_b64 s[10:11], 0
	s_and_saveexec_b64 s[4:5], vcc
; %bb.83:
	v_add_u32_e32 v1, s42, v30
	v_add_u32_e32 v2, s60, v30
	v_mul_lo_u32 v1, v1, s41
	v_mul_lo_u32 v2, v2, s43
	v_sub_u32_e32 v1, v1, v2
	v_cmp_lt_u32_e32 vcc, s61, v1
	s_and_b64 s[10:11], vcc, exec
	s_xor_b64 s[8:9], exec, -1
; %bb.84:
	s_or_b64 exec, exec, s[4:5]
	s_and_b64 s[58:59], s[10:11], exec
	s_and_b64 s[46:47], s[8:9], exec
.LBB1691_85:
	s_or_b64 exec, exec, s[2:3]
.LBB1691_86:
	v_and_b32_e32 v63, 0xff, v33
	v_and_b32_e32 v74, 0xff, v35
	;; [unrolled: 1-line block ×5, first 2 shown]
	v_add3_u32 v2, v74, v65, v63
	v_and_b32_e32 v76, 0xff, v42
	v_and_b32_e32 v69, 0xff, v44
	v_add3_u32 v2, v2, v75, v67
	v_and_b32_e32 v62, 0xff, v32
	v_and_b32_e32 v56, 0xff, v34
	;; [unrolled: 1-line block ×5, first 2 shown]
	v_add3_u32 v2, v2, v76, v69
	v_and_b32_e32 v57, 0xff, v39
	v_and_b32_e32 v66, 0xff, v41
	;; [unrolled: 1-line block ×4, first 2 shown]
	v_add3_u32 v3, v56, v64, v62
	v_add3_u32 v2, v2, v77, v71
	v_and_b32_e32 v58, 0xff, v43
	v_and_b32_e32 v68, 0xff, v45
	;; [unrolled: 1-line block ×3, first 2 shown]
	v_cndmask_b32_e64 v1, 0, 1, s[58:59]
	v_add3_u32 v3, v3, v57, v66
	v_add3_u32 v2, v2, v78, v73
	v_and_b32_e32 v59, 0xff, v47
	v_and_b32_e32 v70, 0xff, v49
	v_add3_u32 v3, v3, v58, v68
	v_add3_u32 v86, v2, v79, v1
	v_mbcnt_lo_u32_b32 v1, -1, 0
	v_and_b32_e32 v60, 0xff, v51
	v_and_b32_e32 v72, 0xff, v53
	v_add3_u32 v3, v3, v59, v70
	v_mbcnt_hi_u32_b32 v80, -1, v1
	v_and_b32_e32 v61, 0xff, v55
	v_add3_u32 v3, v3, v60, v72
	v_cndmask_b32_e64 v4, 0, 1, s[46:47]
	v_and_b32_e32 v84, 15, v80
	s_cmp_lg_u32 s6, 0
	v_add3_u32 v85, v3, v61, v4
	v_cmp_eq_u32_e64 s[4:5], 0, v84
	v_cmp_lt_u32_e64 s[2:3], 1, v84
	v_cmp_lt_u32_e64 s[8:9], 3, v84
	;; [unrolled: 1-line block ×3, first 2 shown]
	v_and_b32_e32 v83, 16, v80
	v_cmp_lt_u32_e32 vcc, 31, v80
	v_lshrrev_b32_e32 v81, 6, v0
	v_or_b32_e32 v82, 63, v0
	s_cbranch_scc0 .LBB1691_119
; %bb.87:
	v_mov_b32_dpp v1, v85 row_shr:1 row_mask:0xf bank_mask:0xf
	v_mov_b32_dpp v2, v86 row_shr:1 row_mask:0xf bank_mask:0xf
	v_add_u32_e32 v1, v1, v85
	v_add_u32_e32 v2, v2, v86
	v_cndmask_b32_e64 v2, v2, v86, s[4:5]
	v_cndmask_b32_e64 v1, v1, v85, s[4:5]
	s_nop 0
	v_mov_b32_dpp v4, v2 row_shr:2 row_mask:0xf bank_mask:0xf
	v_mov_b32_dpp v3, v1 row_shr:2 row_mask:0xf bank_mask:0xf
	v_add_u32_e32 v3, v1, v3
	v_add_u32_e32 v4, v2, v4
	v_cndmask_b32_e64 v2, v2, v4, s[2:3]
	v_cndmask_b32_e64 v1, v1, v3, s[2:3]
	s_nop 0
	v_mov_b32_dpp v4, v2 row_shr:4 row_mask:0xf bank_mask:0xf
	v_mov_b32_dpp v3, v1 row_shr:4 row_mask:0xf bank_mask:0xf
	v_add_u32_e32 v3, v1, v3
	v_add_u32_e32 v4, v2, v4
	v_cndmask_b32_e64 v2, v2, v4, s[8:9]
	v_cndmask_b32_e64 v1, v1, v3, s[8:9]
	v_cmp_eq_u32_e64 s[8:9], 0, v83
	v_mov_b32_dpp v4, v2 row_shr:8 row_mask:0xf bank_mask:0xf
	v_mov_b32_dpp v3, v1 row_shr:8 row_mask:0xf bank_mask:0xf
	v_add_u32_e32 v3, v1, v3
	v_add_u32_e32 v4, v2, v4
	v_cndmask_b32_e64 v2, v2, v4, s[10:11]
	v_cndmask_b32_e64 v1, v1, v3, s[10:11]
	s_nop 0
	v_mov_b32_dpp v4, v2 row_bcast:15 row_mask:0xf bank_mask:0xf
	v_mov_b32_dpp v3, v1 row_bcast:15 row_mask:0xf bank_mask:0xf
	v_add_u32_e32 v3, v1, v3
	v_add_u32_e32 v4, v2, v4
	v_cndmask_b32_e64 v2, v4, v2, s[8:9]
	v_cndmask_b32_e64 v1, v3, v1, s[8:9]
	s_nop 0
	v_mov_b32_dpp v4, v2 row_bcast:31 row_mask:0xf bank_mask:0xf
	v_mov_b32_dpp v3, v1 row_bcast:31 row_mask:0xf bank_mask:0xf
	v_add_u32_e32 v4, v2, v4
	v_add_u32_e32 v5, v1, v3
	v_cndmask_b32_e32 v3, v2, v4, vcc
	v_cndmask_b32_e32 v2, v1, v5, vcc
	v_cmp_eq_u32_e32 vcc, v82, v0
	s_and_saveexec_b64 s[8:9], vcc
	s_cbranch_execz .LBB1691_89
; %bb.88:
	v_lshlrev_b32_e32 v1, 3, v81
	ds_write_b64 v1, v[2:3]
.LBB1691_89:
	s_or_b64 exec, exec, s[8:9]
	v_cmp_gt_u32_e32 vcc, 4, v0
	s_waitcnt lgkmcnt(0)
	s_barrier
	s_and_saveexec_b64 s[8:9], vcc
	s_cbranch_execz .LBB1691_91
; %bb.90:
	v_lshlrev_b32_e32 v1, 3, v0
	ds_read_b64 v[4:5], v1
	v_and_b32_e32 v6, 3, v80
	v_cmp_eq_u32_e32 vcc, 0, v6
	s_waitcnt lgkmcnt(0)
	v_mov_b32_dpp v7, v4 row_shr:1 row_mask:0xf bank_mask:0xf
	v_mov_b32_dpp v20, v5 row_shr:1 row_mask:0xf bank_mask:0xf
	v_add_u32_e32 v7, v7, v4
	v_add_u32_e32 v20, v20, v5
	v_cndmask_b32_e32 v5, v20, v5, vcc
	v_cndmask_b32_e32 v4, v7, v4, vcc
	v_cmp_lt_u32_e32 vcc, 1, v6
	v_mov_b32_dpp v20, v5 row_shr:2 row_mask:0xf bank_mask:0xf
	v_mov_b32_dpp v7, v4 row_shr:2 row_mask:0xf bank_mask:0xf
	v_cndmask_b32_e32 v6, 0, v7, vcc
	v_cndmask_b32_e32 v7, 0, v20, vcc
	v_add_u32_e32 v5, v7, v5
	v_add_u32_e32 v4, v6, v4
	ds_write_b64 v1, v[4:5]
.LBB1691_91:
	s_or_b64 exec, exec, s[8:9]
	v_cmp_gt_u32_e32 vcc, 64, v0
	v_cmp_lt_u32_e64 s[8:9], 63, v0
	s_waitcnt lgkmcnt(0)
	s_barrier
	s_waitcnt lgkmcnt(0)
                                        ; implicit-def: $vgpr21
	s_and_saveexec_b64 s[10:11], s[8:9]
	s_xor_b64 s[8:9], exec, s[10:11]
	s_cbranch_execz .LBB1691_93
; %bb.92:
	v_lshl_add_u32 v1, v81, 3, -8
	ds_read_b64 v[20:21], v1
	s_waitcnt lgkmcnt(0)
	v_add_u32_e32 v3, v21, v3
	v_add_u32_e32 v2, v20, v2
.LBB1691_93:
	s_andn2_saveexec_b64 s[8:9], s[8:9]
; %bb.94:
                                        ; implicit-def: $vgpr20
; %bb.95:
	s_or_b64 exec, exec, s[8:9]
	v_add_u32_e32 v1, -1, v80
	v_and_b32_e32 v4, 64, v80
	v_cmp_lt_i32_e64 s[8:9], v1, v4
	v_cndmask_b32_e64 v1, v1, v80, s[8:9]
	v_lshlrev_b32_e32 v4, 2, v1
	ds_bpermute_b32 v1, v4, v2
	ds_bpermute_b32 v87, v4, v3
	v_cmp_eq_u32_e64 s[8:9], 0, v80
	s_and_saveexec_b64 s[10:11], vcc
	s_cbranch_execz .LBB1691_118
; %bb.96:
	v_mov_b32_e32 v7, 0
	ds_read_b64 v[22:23], v7 offset:24
	s_and_saveexec_b64 s[14:15], s[8:9]
	s_cbranch_execz .LBB1691_98
; %bb.97:
	s_add_i32 s16, s6, 64
	s_mov_b32 s17, 0
	s_lshl_b64 s[16:17], s[16:17], 4
	s_waitcnt lgkmcnt(0)
	v_and_b32_e32 v2, 0xff000000, v23
	v_and_b32_e32 v3, 0xff0000, v23
	s_add_u32 s16, s12, s16
	v_or_b32_e32 v2, v3, v2
	v_and_b32_e32 v3, 0xff00, v23
	s_addc_u32 s17, s13, s17
	v_or_b32_e32 v2, v2, v3
	v_or_b32_sdwa v5, v2, v23 dst_sel:DWORD dst_unused:UNUSED_PAD src0_sel:DWORD src1_sel:BYTE_0
	v_mov_b32_e32 v6, 1
	v_mov_b32_e32 v4, v22
	v_pk_mov_b32 v[2:3], s[16:17], s[16:17] op_sel:[0,1]
	;;#ASMSTART
	global_store_dwordx4 v[2:3], v[4:7] off	
s_waitcnt vmcnt(0)
	;;#ASMEND
.LBB1691_98:
	s_or_b64 exec, exec, s[14:15]
	v_xad_u32 v24, v80, -1, s6
	v_add_u32_e32 v6, 64, v24
	v_lshlrev_b64 v[2:3], 4, v[6:7]
	v_mov_b32_e32 v4, s13
	v_add_co_u32_e32 v26, vcc, s12, v2
	v_addc_co_u32_e32 v27, vcc, v4, v3, vcc
	;;#ASMSTART
	global_load_dwordx4 v[2:5], v[26:27] off glc	
s_waitcnt vmcnt(0)
	;;#ASMEND
	v_and_b32_e32 v5, 0xff, v3
	v_and_b32_e32 v6, 0xff00, v3
	v_or3_b32 v5, 0, v5, v6
	v_or3_b32 v2, v2, 0, 0
	v_and_b32_e32 v6, 0xff000000, v3
	v_and_b32_e32 v3, 0xff0000, v3
	v_or3_b32 v3, v5, v3, v6
	v_or3_b32 v2, v2, 0, 0
	v_cmp_eq_u16_sdwa s[16:17], v4, v7 src0_sel:BYTE_0 src1_sel:DWORD
	s_and_saveexec_b64 s[14:15], s[16:17]
	s_cbranch_execz .LBB1691_104
; %bb.99:
	s_mov_b32 s7, 1
	s_mov_b64 s[16:17], 0
	v_mov_b32_e32 v6, 0
.LBB1691_100:                           ; =>This Loop Header: Depth=1
                                        ;     Child Loop BB1691_101 Depth 2
	s_max_u32 s19, s7, 1
.LBB1691_101:                           ;   Parent Loop BB1691_100 Depth=1
                                        ; =>  This Inner Loop Header: Depth=2
	s_add_i32 s19, s19, -1
	s_cmp_eq_u32 s19, 0
	s_sleep 1
	s_cbranch_scc0 .LBB1691_101
; %bb.102:                              ;   in Loop: Header=BB1691_100 Depth=1
	s_cmp_lt_u32 s7, 32
	s_cselect_b64 s[20:21], -1, 0
	s_cmp_lg_u64 s[20:21], 0
	s_addc_u32 s7, s7, 0
	;;#ASMSTART
	global_load_dwordx4 v[2:5], v[26:27] off glc	
s_waitcnt vmcnt(0)
	;;#ASMEND
	v_cmp_ne_u16_sdwa s[20:21], v4, v6 src0_sel:BYTE_0 src1_sel:DWORD
	s_or_b64 s[16:17], s[20:21], s[16:17]
	s_andn2_b64 exec, exec, s[16:17]
	s_cbranch_execnz .LBB1691_100
; %bb.103:
	s_or_b64 exec, exec, s[16:17]
.LBB1691_104:
	s_or_b64 exec, exec, s[14:15]
	v_and_b32_e32 v89, 63, v80
	v_cmp_ne_u32_e32 vcc, 63, v89
	v_mov_b32_e32 v88, 2
	v_addc_co_u32_e32 v26, vcc, 0, v80, vcc
	v_cmp_eq_u16_sdwa s[14:15], v4, v88 src0_sel:BYTE_0 src1_sel:DWORD
	v_lshlrev_b64 v[6:7], v80, -1
	v_lshlrev_b32_e32 v90, 2, v26
	v_and_b32_e32 v5, s15, v7
	ds_bpermute_b32 v26, v90, v2
	ds_bpermute_b32 v27, v90, v3
	v_or_b32_e32 v5, 0x80000000, v5
	v_and_b32_e32 v25, s14, v6
	v_ffbl_b32_e32 v5, v5
	v_add_u32_e32 v5, 32, v5
	v_ffbl_b32_e32 v25, v25
	v_min_u32_e32 v5, v25, v5
	s_waitcnt lgkmcnt(1)
	v_add_u32_e32 v25, v26, v2
	s_waitcnt lgkmcnt(0)
	v_add_u32_e32 v26, v27, v3
	v_cmp_lt_u32_e32 vcc, v89, v5
	v_cndmask_b32_e32 v3, v3, v26, vcc
	v_cndmask_b32_e32 v2, v2, v25, vcc
	v_cmp_gt_u32_e32 vcc, 62, v89
	v_cndmask_b32_e64 v25, 0, 1, vcc
	v_lshlrev_b32_e32 v25, 1, v25
	v_add_lshl_u32 v91, v25, v80, 2
	ds_bpermute_b32 v25, v91, v2
	ds_bpermute_b32 v26, v91, v3
	v_add_u32_e32 v92, 2, v89
	v_cmp_gt_u32_e32 vcc, v92, v5
	v_add_u32_e32 v94, 4, v89
	s_waitcnt lgkmcnt(1)
	v_add_u32_e32 v25, v2, v25
	s_waitcnt lgkmcnt(0)
	v_add_u32_e32 v26, v3, v26
	v_cndmask_b32_e32 v3, v26, v3, vcc
	v_cndmask_b32_e32 v2, v25, v2, vcc
	v_cmp_gt_u32_e32 vcc, 60, v89
	v_cndmask_b32_e64 v25, 0, 1, vcc
	v_lshlrev_b32_e32 v25, 2, v25
	v_add_lshl_u32 v93, v25, v80, 2
	ds_bpermute_b32 v25, v93, v2
	ds_bpermute_b32 v26, v93, v3
	v_cmp_gt_u32_e32 vcc, v94, v5
	v_add_u32_e32 v96, 8, v89
	v_add_u32_e32 v98, 16, v89
	s_waitcnt lgkmcnt(1)
	v_add_u32_e32 v25, v2, v25
	s_waitcnt lgkmcnt(0)
	v_add_u32_e32 v26, v3, v26
	v_cndmask_b32_e32 v3, v26, v3, vcc
	v_cndmask_b32_e32 v2, v25, v2, vcc
	v_cmp_gt_u32_e32 vcc, 56, v89
	v_cndmask_b32_e64 v25, 0, 1, vcc
	v_lshlrev_b32_e32 v25, 3, v25
	v_add_lshl_u32 v95, v25, v80, 2
	ds_bpermute_b32 v25, v95, v2
	ds_bpermute_b32 v26, v95, v3
	v_cmp_gt_u32_e32 vcc, v96, v5
	v_add_u32_e32 v100, 32, v89
	s_waitcnt lgkmcnt(1)
	v_add_u32_e32 v25, v2, v25
	s_waitcnt lgkmcnt(0)
	v_add_u32_e32 v26, v3, v26
	v_cndmask_b32_e32 v3, v26, v3, vcc
	v_cndmask_b32_e32 v2, v25, v2, vcc
	v_cmp_gt_u32_e32 vcc, 48, v89
	v_cndmask_b32_e64 v25, 0, 1, vcc
	v_lshlrev_b32_e32 v25, 4, v25
	v_add_lshl_u32 v97, v25, v80, 2
	ds_bpermute_b32 v25, v97, v2
	ds_bpermute_b32 v26, v97, v3
	v_cmp_gt_u32_e32 vcc, v98, v5
	s_waitcnt lgkmcnt(1)
	v_add_u32_e32 v25, v2, v25
	s_waitcnt lgkmcnt(0)
	v_add_u32_e32 v26, v3, v26
	v_cndmask_b32_e32 v3, v26, v3, vcc
	v_cndmask_b32_e32 v2, v25, v2, vcc
	v_cmp_gt_u32_e32 vcc, 32, v89
	v_cndmask_b32_e64 v25, 0, 1, vcc
	v_lshlrev_b32_e32 v25, 5, v25
	v_add_lshl_u32 v99, v25, v80, 2
	ds_bpermute_b32 v25, v99, v2
	ds_bpermute_b32 v26, v99, v3
	v_cmp_le_u32_e32 vcc, v100, v5
	s_waitcnt lgkmcnt(1)
	v_cndmask_b32_e32 v5, 0, v25, vcc
	s_waitcnt lgkmcnt(0)
	v_cndmask_b32_e32 v25, 0, v26, vcc
	v_add_u32_e32 v3, v3, v25
	v_add_u32_e32 v2, v2, v5
	v_mov_b32_e32 v25, 0
	s_branch .LBB1691_106
.LBB1691_105:                           ;   in Loop: Header=BB1691_106 Depth=1
	s_or_b64 exec, exec, s[14:15]
	v_cmp_eq_u16_sdwa s[14:15], v4, v88 src0_sel:BYTE_0 src1_sel:DWORD
	v_and_b32_e32 v5, s15, v7
	ds_bpermute_b32 v29, v90, v2
	ds_bpermute_b32 v101, v90, v3
	v_or_b32_e32 v5, 0x80000000, v5
	v_and_b32_e32 v28, s14, v6
	v_ffbl_b32_e32 v5, v5
	v_add_u32_e32 v5, 32, v5
	v_ffbl_b32_e32 v28, v28
	v_min_u32_e32 v5, v28, v5
	s_waitcnt lgkmcnt(1)
	v_add_u32_e32 v28, v29, v2
	s_waitcnt lgkmcnt(0)
	v_add_u32_e32 v29, v101, v3
	v_cmp_lt_u32_e32 vcc, v89, v5
	v_cndmask_b32_e32 v3, v3, v29, vcc
	v_cndmask_b32_e32 v2, v2, v28, vcc
	ds_bpermute_b32 v28, v91, v2
	ds_bpermute_b32 v29, v91, v3
	v_cmp_gt_u32_e32 vcc, v92, v5
	v_subrev_u32_e32 v24, 64, v24
	s_waitcnt lgkmcnt(1)
	v_add_u32_e32 v28, v2, v28
	s_waitcnt lgkmcnt(0)
	v_add_u32_e32 v29, v3, v29
	v_cndmask_b32_e32 v3, v29, v3, vcc
	v_cndmask_b32_e32 v2, v28, v2, vcc
	ds_bpermute_b32 v28, v93, v2
	ds_bpermute_b32 v29, v93, v3
	v_cmp_gt_u32_e32 vcc, v94, v5
	s_waitcnt lgkmcnt(1)
	v_add_u32_e32 v28, v2, v28
	s_waitcnt lgkmcnt(0)
	v_add_u32_e32 v29, v3, v29
	v_cndmask_b32_e32 v3, v29, v3, vcc
	v_cndmask_b32_e32 v2, v28, v2, vcc
	ds_bpermute_b32 v28, v95, v2
	ds_bpermute_b32 v29, v95, v3
	v_cmp_gt_u32_e32 vcc, v96, v5
	;; [unrolled: 9-line block ×3, first 2 shown]
	s_waitcnt lgkmcnt(1)
	v_add_u32_e32 v28, v2, v28
	s_waitcnt lgkmcnt(0)
	v_add_u32_e32 v29, v3, v29
	v_cndmask_b32_e32 v3, v29, v3, vcc
	v_cndmask_b32_e32 v2, v28, v2, vcc
	ds_bpermute_b32 v28, v99, v2
	ds_bpermute_b32 v29, v99, v3
	v_cmp_le_u32_e32 vcc, v100, v5
	s_waitcnt lgkmcnt(1)
	v_cndmask_b32_e32 v5, 0, v28, vcc
	s_waitcnt lgkmcnt(0)
	v_cndmask_b32_e32 v28, 0, v29, vcc
	v_add3_u32 v3, v28, v27, v3
	v_add3_u32 v2, v5, v26, v2
.LBB1691_106:                           ; =>This Loop Header: Depth=1
                                        ;     Child Loop BB1691_109 Depth 2
                                        ;       Child Loop BB1691_110 Depth 3
	v_cmp_ne_u16_sdwa s[14:15], v4, v88 src0_sel:BYTE_0 src1_sel:DWORD
	v_cndmask_b32_e64 v4, 0, 1, s[14:15]
	;;#ASMSTART
	;;#ASMEND
	v_cmp_ne_u32_e32 vcc, 0, v4
	s_cmp_lg_u64 vcc, exec
	v_pk_mov_b32 v[26:27], v[2:3], v[2:3] op_sel:[0,1]
	s_cbranch_scc1 .LBB1691_113
; %bb.107:                              ;   in Loop: Header=BB1691_106 Depth=1
	v_lshlrev_b64 v[2:3], 4, v[24:25]
	v_mov_b32_e32 v4, s13
	v_add_co_u32_e32 v28, vcc, s12, v2
	v_addc_co_u32_e32 v29, vcc, v4, v3, vcc
	;;#ASMSTART
	global_load_dwordx4 v[2:5], v[28:29] off glc	
s_waitcnt vmcnt(0)
	;;#ASMEND
	v_and_b32_e32 v5, 0xff, v3
	v_and_b32_e32 v101, 0xff00, v3
	v_or3_b32 v5, 0, v5, v101
	v_or3_b32 v2, v2, 0, 0
	v_and_b32_e32 v101, 0xff000000, v3
	v_and_b32_e32 v3, 0xff0000, v3
	v_or3_b32 v3, v5, v3, v101
	v_or3_b32 v2, v2, 0, 0
	v_cmp_eq_u16_sdwa s[16:17], v4, v25 src0_sel:BYTE_0 src1_sel:DWORD
	s_and_saveexec_b64 s[14:15], s[16:17]
	s_cbranch_execz .LBB1691_105
; %bb.108:                              ;   in Loop: Header=BB1691_106 Depth=1
	s_mov_b32 s7, 1
	s_mov_b64 s[16:17], 0
.LBB1691_109:                           ;   Parent Loop BB1691_106 Depth=1
                                        ; =>  This Loop Header: Depth=2
                                        ;       Child Loop BB1691_110 Depth 3
	s_max_u32 s19, s7, 1
.LBB1691_110:                           ;   Parent Loop BB1691_106 Depth=1
                                        ;     Parent Loop BB1691_109 Depth=2
                                        ; =>    This Inner Loop Header: Depth=3
	s_add_i32 s19, s19, -1
	s_cmp_eq_u32 s19, 0
	s_sleep 1
	s_cbranch_scc0 .LBB1691_110
; %bb.111:                              ;   in Loop: Header=BB1691_109 Depth=2
	s_cmp_lt_u32 s7, 32
	s_cselect_b64 s[20:21], -1, 0
	s_cmp_lg_u64 s[20:21], 0
	s_addc_u32 s7, s7, 0
	;;#ASMSTART
	global_load_dwordx4 v[2:5], v[28:29] off glc	
s_waitcnt vmcnt(0)
	;;#ASMEND
	v_cmp_ne_u16_sdwa s[20:21], v4, v25 src0_sel:BYTE_0 src1_sel:DWORD
	s_or_b64 s[16:17], s[20:21], s[16:17]
	s_andn2_b64 exec, exec, s[16:17]
	s_cbranch_execnz .LBB1691_109
; %bb.112:                              ;   in Loop: Header=BB1691_106 Depth=1
	s_or_b64 exec, exec, s[16:17]
	s_branch .LBB1691_105
.LBB1691_113:                           ;   in Loop: Header=BB1691_106 Depth=1
                                        ; implicit-def: $vgpr4
                                        ; implicit-def: $vgpr2_vgpr3
	s_cbranch_execz .LBB1691_106
; %bb.114:
	s_and_saveexec_b64 s[14:15], s[8:9]
	s_cbranch_execz .LBB1691_116
; %bb.115:
	s_add_i32 s6, s6, 64
	s_mov_b32 s7, 0
	v_add_u32_e32 v3, v27, v23
	s_lshl_b64 s[6:7], s[6:7], 4
	s_add_u32 s6, s12, s6
	v_and_b32_e32 v4, 0xff000000, v3
	v_and_b32_e32 v6, 0xff0000, v3
	s_addc_u32 s7, s13, s7
	v_or_b32_e32 v4, v6, v4
	v_and_b32_e32 v6, 0xff00, v3
	v_and_b32_e32 v3, 0xff, v3
	v_add_u32_e32 v2, v26, v22
	v_mov_b32_e32 v5, 0
	v_or3_b32 v3, v4, v6, v3
	v_mov_b32_e32 v4, 2
	v_pk_mov_b32 v[6:7], s[6:7], s[6:7] op_sel:[0,1]
	;;#ASMSTART
	global_store_dwordx4 v[6:7], v[2:5] off	
s_waitcnt vmcnt(0)
	;;#ASMEND
	s_movk_i32 s6, 0x3400
	v_add_u32_e64 v2, s6, 0
	ds_write2_b32 v2, v22, v23 offset1:2
	ds_write2_b32 v2, v26, v27 offset0:4 offset1:6
.LBB1691_116:
	s_or_b64 exec, exec, s[14:15]
	v_cmp_eq_u32_e32 vcc, 0, v0
	s_and_b64 exec, exec, vcc
	s_cbranch_execz .LBB1691_118
; %bb.117:
	v_mov_b32_e32 v2, 0
	ds_write_b64 v2, v[26:27] offset:24
.LBB1691_118:
	s_or_b64 exec, exec, s[10:11]
	v_mov_b32_e32 v2, 0
	s_waitcnt lgkmcnt(0)
	s_barrier
	ds_read_b64 v[6:7], v2 offset:24
	s_movk_i32 s6, 0x3400
	v_cndmask_b32_e64 v2, v87, v21, s[8:9]
	v_cndmask_b32_e64 v1, v1, v20, s[8:9]
	v_add_u32_e64 v4, s6, 0
	s_waitcnt lgkmcnt(0)
	v_add_u32_e32 v20, v6, v1
	v_add_u32_e32 v1, v7, v2
	s_barrier
	ds_read2_b32 v[2:3], v4 offset1:2
	ds_read2_b32 v[4:5], v4 offset0:4 offset1:6
	v_cmp_eq_u32_e32 vcc, 0, v0
	v_cndmask_b32_e32 v1, v1, v7, vcc
	v_cndmask_b32_e32 v20, v20, v6, vcc
	s_branch .LBB1691_129
.LBB1691_119:
                                        ; implicit-def: $vgpr1
                                        ; implicit-def: $vgpr4
                                        ; implicit-def: $vgpr2
                                        ; implicit-def: $vgpr20_vgpr21
	s_cbranch_execz .LBB1691_129
; %bb.120:
	s_nop 0
	v_mov_b32_dpp v1, v85 row_shr:1 row_mask:0xf bank_mask:0xf
	s_waitcnt lgkmcnt(0)
	v_mov_b32_dpp v2, v86 row_shr:1 row_mask:0xf bank_mask:0xf
	v_add_u32_e32 v1, v1, v85
	v_add_u32_e32 v2, v2, v86
	v_cndmask_b32_e64 v2, v2, v86, s[4:5]
	v_cndmask_b32_e64 v1, v1, v85, s[4:5]
	v_cmp_lt_u32_e32 vcc, 3, v84
	v_mov_b32_dpp v4, v2 row_shr:2 row_mask:0xf bank_mask:0xf
	v_mov_b32_dpp v3, v1 row_shr:2 row_mask:0xf bank_mask:0xf
	v_add_u32_e32 v3, v1, v3
	v_add_u32_e32 v4, v2, v4
	v_cndmask_b32_e64 v2, v2, v4, s[2:3]
	v_cndmask_b32_e64 v1, v1, v3, s[2:3]
	s_nop 0
	v_mov_b32_dpp v4, v2 row_shr:4 row_mask:0xf bank_mask:0xf
	v_mov_b32_dpp v3, v1 row_shr:4 row_mask:0xf bank_mask:0xf
	v_add_u32_e32 v3, v1, v3
	v_add_u32_e32 v4, v2, v4
	v_cndmask_b32_e32 v2, v2, v4, vcc
	v_cndmask_b32_e32 v1, v1, v3, vcc
	v_cmp_lt_u32_e32 vcc, 7, v84
	v_mov_b32_dpp v4, v2 row_shr:8 row_mask:0xf bank_mask:0xf
	v_mov_b32_dpp v3, v1 row_shr:8 row_mask:0xf bank_mask:0xf
	v_add_u32_e32 v3, v1, v3
	v_add_u32_e32 v4, v2, v4
	v_cndmask_b32_e32 v2, v2, v4, vcc
	v_cndmask_b32_e32 v1, v1, v3, vcc
	v_cmp_eq_u32_e32 vcc, 0, v83
	v_mov_b32_dpp v4, v2 row_bcast:15 row_mask:0xf bank_mask:0xf
	v_mov_b32_dpp v3, v1 row_bcast:15 row_mask:0xf bank_mask:0xf
	v_add_u32_e32 v3, v1, v3
	v_add_u32_e32 v4, v2, v4
	v_cndmask_b32_e32 v2, v4, v2, vcc
	v_cndmask_b32_e32 v1, v3, v1, vcc
	v_cmp_lt_u32_e32 vcc, 31, v80
	v_mov_b32_dpp v4, v2 row_bcast:31 row_mask:0xf bank_mask:0xf
	v_mov_b32_dpp v3, v1 row_bcast:31 row_mask:0xf bank_mask:0xf
	v_add_u32_e32 v4, v2, v4
	v_add_u32_e32 v5, v1, v3
	v_cndmask_b32_e32 v3, v2, v4, vcc
	v_cndmask_b32_e32 v2, v1, v5, vcc
	v_cmp_eq_u32_e32 vcc, v82, v0
	s_and_saveexec_b64 s[2:3], vcc
	s_cbranch_execz .LBB1691_122
; %bb.121:
	v_lshlrev_b32_e32 v1, 3, v81
	ds_write_b64 v1, v[2:3]
.LBB1691_122:
	s_or_b64 exec, exec, s[2:3]
	v_cmp_gt_u32_e32 vcc, 4, v0
	s_waitcnt lgkmcnt(0)
	s_barrier
	s_and_saveexec_b64 s[2:3], vcc
	s_cbranch_execz .LBB1691_124
; %bb.123:
	v_lshlrev_b32_e32 v1, 3, v0
	ds_read_b64 v[4:5], v1
	v_and_b32_e32 v6, 3, v80
	v_cmp_eq_u32_e32 vcc, 0, v6
	s_waitcnt lgkmcnt(0)
	v_mov_b32_dpp v7, v4 row_shr:1 row_mask:0xf bank_mask:0xf
	v_mov_b32_dpp v20, v5 row_shr:1 row_mask:0xf bank_mask:0xf
	v_add_u32_e32 v7, v7, v4
	v_add_u32_e32 v20, v20, v5
	v_cndmask_b32_e32 v5, v20, v5, vcc
	v_cndmask_b32_e32 v4, v7, v4, vcc
	v_cmp_lt_u32_e32 vcc, 1, v6
	v_mov_b32_dpp v20, v5 row_shr:2 row_mask:0xf bank_mask:0xf
	v_mov_b32_dpp v7, v4 row_shr:2 row_mask:0xf bank_mask:0xf
	v_cndmask_b32_e32 v6, 0, v7, vcc
	v_cndmask_b32_e32 v7, 0, v20, vcc
	v_add_u32_e32 v5, v7, v5
	v_add_u32_e32 v4, v6, v4
	ds_write_b64 v1, v[4:5]
.LBB1691_124:
	s_or_b64 exec, exec, s[2:3]
	v_cmp_lt_u32_e32 vcc, 63, v0
	v_mov_b32_e32 v4, 0
	v_mov_b32_e32 v6, 0
	;; [unrolled: 1-line block ×3, first 2 shown]
	s_waitcnt lgkmcnt(0)
	s_barrier
	s_and_saveexec_b64 s[2:3], vcc
	s_cbranch_execz .LBB1691_126
; %bb.125:
	v_lshl_add_u32 v1, v81, 3, -8
	ds_read_b64 v[6:7], v1
.LBB1691_126:
	s_or_b64 exec, exec, s[2:3]
	s_waitcnt lgkmcnt(0)
	v_add_u32_e32 v5, v7, v3
	v_add_u32_e32 v1, v6, v2
	v_add_u32_e32 v2, -1, v80
	v_and_b32_e32 v3, 64, v80
	v_cmp_lt_i32_e32 vcc, v2, v3
	v_cndmask_b32_e32 v2, v2, v80, vcc
	v_lshlrev_b32_e32 v20, 2, v2
	ds_read_b64 v[2:3], v4 offset:24
	ds_bpermute_b32 v1, v20, v1
	ds_bpermute_b32 v20, v20, v5
	v_cmp_eq_u32_e32 vcc, 0, v0
	s_waitcnt lgkmcnt(2)
	v_readfirstlane_b32 s4, v3
	s_and_saveexec_b64 s[2:3], vcc
	s_cbranch_execz .LBB1691_128
; %bb.127:
	s_add_u32 s6, s12, 0x400
	s_mov_b32 s8, 0
	s_addc_u32 s7, s13, 0
	s_and_b32 s9, s4, 0xff000000
	s_and_b32 s11, s4, 0xff0000
	s_mov_b32 s10, s8
	s_or_b64 s[10:11], s[10:11], s[8:9]
	s_and_b32 s9, s4, 0xff00
	s_or_b64 s[10:11], s[10:11], s[8:9]
	s_and_b32 s9, s4, 0xff
	s_or_b64 s[8:9], s[10:11], s[8:9]
	v_mov_b32_e32 v3, s9
	v_mov_b32_e32 v4, 2
	;; [unrolled: 1-line block ×3, first 2 shown]
	v_pk_mov_b32 v[22:23], s[6:7], s[6:7] op_sel:[0,1]
	;;#ASMSTART
	global_store_dwordx4 v[22:23], v[2:5] off	
s_waitcnt vmcnt(0)
	;;#ASMEND
.LBB1691_128:
	s_or_b64 exec, exec, s[2:3]
	v_cmp_eq_u32_e64 s[2:3], 0, v80
	s_waitcnt lgkmcnt(1)
	v_cndmask_b32_e64 v3, v1, v6, s[2:3]
	s_waitcnt lgkmcnt(0)
	v_cndmask_b32_e64 v1, v20, v7, s[2:3]
	v_mov_b32_e32 v4, 0
	v_cndmask_b32_e64 v1, v1, 0, vcc
	v_cndmask_b32_e64 v20, v3, 0, vcc
	s_barrier
	v_mov_b32_e32 v3, s4
	v_mov_b32_e32 v5, 0
.LBB1691_129:
	v_add_u32_e32 v24, v1, v63
	v_add_u32_e32 v25, v24, v74
	;; [unrolled: 1-line block ×14, first 2 shown]
	v_mov_b32_e32 v7, s49
	s_waitcnt lgkmcnt(0)
	v_add_co_u32_e32 v6, vcc, s48, v4
	v_add_u32_e32 v64, v58, v68
	v_add_u32_e32 v68, v66, v71
	v_addc_co_u32_e32 v7, vcc, 0, v7, vcc
	v_add_u32_e32 v69, v68, v78
	v_mov_b32_e32 v22, s51
	v_sub_co_u32_e32 v23, vcc, s50, v2
	v_add_u32_e32 v71, v69, v73
	v_subbrev_co_u32_e32 v73, vcc, 0, v22, vcc
	v_add_co_u32_e32 v22, vcc, v23, v5
	v_addc_co_u32_e32 v23, vcc, 0, v73, vcc
	v_lshlrev_b32_e32 v73, 1, v2
	v_sub_u32_e32 v1, v1, v5
	v_add_u32_e32 v74, v73, v3
	v_sub_u32_e32 v20, v20, v4
	v_add_u32_e32 v1, v1, v2
	v_add_u32_e32 v31, v74, v31
	v_and_b32_e32 v33, 1, v33
	v_add_u32_e32 v74, v20, v1
	v_and_b32_e32 v32, 1, v32
	v_sub_u32_e32 v74, v31, v74
	v_cmp_eq_u32_e32 vcc, 1, v33
	v_cndmask_b32_e32 v1, v74, v1, vcc
	v_cmp_eq_u32_e32 vcc, 1, v32
	v_cndmask_b32_e32 v1, v1, v20, vcc
	v_lshlrev_b32_e32 v1, 2, v1
	v_sub_u32_e32 v20, v24, v5
	ds_write_b32 v1, v18
	v_sub_u32_e32 v1, v21, v4
	v_add_u32_e32 v20, v20, v2
	v_add_u32_e32 v24, v20, v1
	v_and_b32_e32 v21, 1, v35
	v_sub_u32_e32 v24, v31, v24
	v_and_b32_e32 v18, 1, v34
	v_add_u32_e32 v24, 1, v24
	v_cmp_eq_u32_e32 vcc, 1, v21
	v_cndmask_b32_e32 v20, v24, v20, vcc
	v_cmp_eq_u32_e32 vcc, 1, v18
	v_cndmask_b32_e32 v1, v20, v1, vcc
	v_lshlrev_b32_e32 v1, 2, v1
	ds_write_b32 v1, v19
	v_sub_u32_e32 v19, v25, v5
	v_sub_u32_e32 v1, v26, v4
	v_add_u32_e32 v19, v19, v2
	v_add_u32_e32 v21, v19, v1
	v_and_b32_e32 v20, 1, v37
	v_sub_u32_e32 v21, v31, v21
	v_and_b32_e32 v18, 1, v36
	v_add_u32_e32 v21, 2, v21
	v_cmp_eq_u32_e32 vcc, 1, v20
	v_cndmask_b32_e32 v19, v21, v19, vcc
	v_cmp_eq_u32_e32 vcc, 1, v18
	v_cndmask_b32_e32 v1, v19, v1, vcc
	v_lshlrev_b32_e32 v1, 2, v1
	v_sub_u32_e32 v18, v28, v5
	ds_write_b32 v1, v16
	v_sub_u32_e32 v1, v27, v4
	v_add_u32_e32 v18, v18, v2
	v_add_u32_e32 v20, v1, v18
	v_and_b32_e32 v19, 1, v38
	v_sub_u32_e32 v20, v31, v20
	v_and_b32_e32 v16, 1, v39
	v_add_u32_e32 v20, 3, v20
	v_cmp_eq_u32_e32 vcc, 1, v19
	v_cndmask_b32_e32 v18, v20, v18, vcc
	v_cmp_eq_u32_e32 vcc, 1, v16
	v_cndmask_b32_e32 v1, v18, v1, vcc
	v_lshlrev_b32_e32 v1, 2, v1
	ds_write_b32 v1, v17
	v_sub_u32_e32 v17, v29, v5
	v_sub_u32_e32 v1, v56, v4
	v_add_u32_e32 v17, v17, v2
	v_add_u32_e32 v19, v1, v17
	v_and_b32_e32 v18, 1, v40
	v_sub_u32_e32 v19, v31, v19
	v_and_b32_e32 v16, 1, v41
	v_add_u32_e32 v19, 4, v19
	;; [unrolled: 28-line block ×3, first 2 shown]
	v_cmp_eq_u32_e32 vcc, 1, v16
	v_cndmask_b32_e32 v15, v17, v15, vcc
	v_cmp_eq_u32_e32 vcc, 1, v14
	v_cndmask_b32_e32 v1, v15, v1, vcc
	v_lshlrev_b32_e32 v1, 2, v1
	v_sub_u32_e32 v14, v65, v5
	ds_write_b32 v1, v12
	v_sub_u32_e32 v1, v64, v4
	v_add_u32_e32 v14, v14, v2
	v_add_u32_e32 v16, v1, v14
	v_and_b32_e32 v15, 1, v46
	v_sub_u32_e32 v16, v31, v16
	v_and_b32_e32 v12, 1, v47
	v_add_u32_e32 v16, 7, v16
	v_cmp_eq_u32_e32 vcc, 1, v15
	v_cndmask_b32_e32 v14, v16, v14, vcc
	v_cmp_eq_u32_e32 vcc, 1, v12
	v_cndmask_b32_e32 v1, v14, v1, vcc
	v_lshlrev_b32_e32 v1, 2, v1
	v_add_u32_e32 v59, v64, v59
	ds_write_b32 v1, v13
	v_sub_u32_e32 v13, v66, v5
	v_sub_u32_e32 v1, v59, v4
	v_add_u32_e32 v13, v13, v2
	v_add_u32_e32 v15, v1, v13
	v_and_b32_e32 v14, 1, v48
	v_sub_u32_e32 v15, v31, v15
	v_and_b32_e32 v12, 1, v49
	v_add_u32_e32 v15, 8, v15
	v_cmp_eq_u32_e32 vcc, 1, v14
	v_cndmask_b32_e32 v13, v15, v13, vcc
	v_cmp_eq_u32_e32 vcc, 1, v12
	v_cndmask_b32_e32 v1, v13, v1, vcc
	v_add_u32_e32 v67, v59, v70
	v_lshlrev_b32_e32 v1, 2, v1
	v_sub_u32_e32 v12, v68, v5
	ds_write_b32 v1, v10
	v_sub_u32_e32 v1, v67, v4
	v_add_u32_e32 v12, v12, v2
	v_add_u32_e32 v14, v1, v12
	v_and_b32_e32 v13, 1, v50
	v_sub_u32_e32 v14, v31, v14
	v_and_b32_e32 v10, 1, v51
	v_add_u32_e32 v14, 9, v14
	v_cmp_eq_u32_e32 vcc, 1, v13
	v_cndmask_b32_e32 v12, v14, v12, vcc
	v_cmp_eq_u32_e32 vcc, 1, v10
	v_cndmask_b32_e32 v1, v12, v1, vcc
	v_lshlrev_b32_e32 v1, 2, v1
	v_add_u32_e32 v60, v67, v60
	ds_write_b32 v1, v11
	v_sub_u32_e32 v11, v69, v5
	v_sub_u32_e32 v1, v60, v4
	v_add_u32_e32 v11, v11, v2
	v_add_u32_e32 v13, v1, v11
	v_and_b32_e32 v12, 1, v52
	v_sub_u32_e32 v13, v31, v13
	v_and_b32_e32 v10, 1, v53
	v_add_u32_e32 v13, 10, v13
	v_cmp_eq_u32_e32 vcc, 1, v12
	v_cndmask_b32_e32 v11, v13, v11, vcc
	v_cmp_eq_u32_e32 vcc, 1, v10
	v_cndmask_b32_e32 v1, v11, v1, vcc
	v_add_u32_e32 v70, v60, v72
	v_lshlrev_b32_e32 v1, 2, v1
	v_sub_u32_e32 v10, v71, v5
	ds_write_b32 v1, v8
	v_sub_u32_e32 v1, v70, v4
	v_add_u32_e32 v10, v10, v2
	v_add_u32_e32 v12, v1, v10
	v_and_b32_e32 v11, 1, v54
	v_sub_u32_e32 v12, v31, v12
	v_and_b32_e32 v8, 1, v55
	v_add_u32_e32 v12, 11, v12
	v_cmp_eq_u32_e32 vcc, 1, v11
	v_cndmask_b32_e32 v10, v12, v10, vcc
	v_cmp_eq_u32_e32 vcc, 1, v8
	v_cndmask_b32_e32 v1, v10, v1, vcc
	v_add_u32_e32 v72, v71, v79
	v_add_u32_e32 v61, v70, v61
	v_lshlrev_b32_e32 v1, 2, v1
	ds_write_b32 v1, v9
	v_sub_u32_e32 v1, v61, v4
	v_sub_u32_e32 v4, v72, v5
	v_add_u32_e32 v4, v4, v2
	v_add_u32_e32 v8, v1, v4
	v_sub_u32_e32 v8, v31, v8
	v_add_u32_e32 v8, 12, v8
	v_cndmask_b32_e64 v4, v8, v4, s[58:59]
	v_cndmask_b32_e64 v1, v4, v1, s[46:47]
	v_lshlrev_b32_e32 v1, 2, v1
	ds_write_b32 v1, v30
	v_add_co_u32_e32 v1, vcc, v3, v73
	v_addc_co_u32_e64 v4, s[2:3], 0, 0, vcc
	v_add_co_u32_e32 v1, vcc, v1, v22
	v_addc_co_u32_e32 v4, vcc, v4, v23, vcc
	s_add_u32 s4, s56, s33
	v_add_co_u32_e32 v1, vcc, v1, v6
	s_addc_u32 s5, s57, 0
	v_addc_co_u32_e32 v4, vcc, v4, v7, vcc
	v_mov_b32_e32 v8, s5
	v_sub_co_u32_e32 v1, vcc, s4, v1
	v_subb_co_u32_e32 v4, vcc, v8, v4, vcc
	v_lshlrev_b64 v[8:9], 2, v[22:23]
	v_mov_b32_e32 v10, s55
	v_add_co_u32_e32 v8, vcc, s54, v8
	v_addc_co_u32_e32 v9, vcc, v10, v9, vcc
	v_lshlrev_b64 v[10:11], 2, v[6:7]
	v_mov_b32_e32 v13, s53
	v_add_co_u32_e32 v10, vcc, s52, v10
	s_add_u32 s6, s34, -4
	v_addc_co_u32_e32 v11, vcc, v13, v11, vcc
	s_addc_u32 s7, s35, -1
	v_add_u32_e32 v12, v2, v3
	s_and_b64 vcc, exec, s[0:1]
	s_mov_b64 s[0:1], -1
	s_waitcnt lgkmcnt(0)
	s_barrier
	s_cbranch_vccz .LBB1691_133
; %bb.130:
	s_and_b64 vcc, exec, s[0:1]
	s_cbranch_vccnz .LBB1691_238
.LBB1691_131:
	v_cmp_eq_u32_e32 vcc, 0, v0
	s_and_b64 s[0:1], vcc, s[30:31]
	s_and_saveexec_b64 s[2:3], s[0:1]
	s_cbranch_execnz .LBB1691_356
.LBB1691_132:
	s_endpgm
.LBB1691_133:
	v_cmp_le_u32_e32 vcc, v2, v0
	s_and_saveexec_b64 s[0:1], vcc
	s_xor_b64 s[0:1], exec, s[0:1]
	s_cbranch_execz .LBB1691_139
; %bb.134:
	v_cmp_le_u32_e32 vcc, v12, v0
	s_and_saveexec_b64 s[2:3], vcc
	s_xor_b64 s[2:3], exec, s[2:3]
	s_cbranch_execz .LBB1691_136
; %bb.135:
	v_lshlrev_b32_e32 v13, 2, v0
	v_add_co_u32_e32 v14, vcc, v1, v0
	ds_read_b32 v13, v13
	v_addc_co_u32_e32 v15, vcc, 0, v4, vcc
	v_lshlrev_b64 v[14:15], 2, v[14:15]
	v_mov_b32_e32 v16, s35
	v_sub_co_u32_e32 v14, vcc, s34, v14
	v_subb_co_u32_e32 v15, vcc, v16, v15, vcc
	s_waitcnt lgkmcnt(0)
	global_store_dword v[14:15], v13, off offset:-4
.LBB1691_136:
	s_andn2_saveexec_b64 s[2:3], s[2:3]
	s_cbranch_execz .LBB1691_138
; %bb.137:
	v_lshlrev_b32_e32 v13, 2, v0
	ds_read_b32 v14, v13
	v_readfirstlane_b32 s4, v8
	v_readfirstlane_b32 s5, v9
	s_waitcnt lgkmcnt(0)
	s_nop 3
	global_store_dword v13, v14, s[4:5]
.LBB1691_138:
	s_or_b64 exec, exec, s[2:3]
.LBB1691_139:
	s_andn2_saveexec_b64 s[0:1], s[0:1]
	s_cbranch_execz .LBB1691_141
; %bb.140:
	v_lshlrev_b32_e32 v13, 2, v0
	ds_read_b32 v14, v13
	v_readfirstlane_b32 s2, v10
	v_readfirstlane_b32 s3, v11
	s_waitcnt lgkmcnt(0)
	s_nop 3
	global_store_dword v13, v14, s[2:3]
.LBB1691_141:
	s_or_b64 exec, exec, s[0:1]
	v_or_b32_e32 v13, 0x100, v0
	v_cmp_le_u32_e32 vcc, v2, v13
	s_and_saveexec_b64 s[0:1], vcc
	s_xor_b64 s[0:1], exec, s[0:1]
	s_cbranch_execz .LBB1691_147
; %bb.142:
	v_cmp_le_u32_e32 vcc, v12, v13
	s_and_saveexec_b64 s[2:3], vcc
	s_xor_b64 s[2:3], exec, s[2:3]
	s_cbranch_execz .LBB1691_144
; %bb.143:
	v_lshlrev_b32_e32 v13, 2, v0
	ds_read_b32 v13, v13 offset:1024
	v_add_co_u32_e32 v14, vcc, v1, v0
	v_addc_co_u32_e32 v15, vcc, 0, v4, vcc
	v_lshlrev_b64 v[14:15], 2, v[14:15]
	v_mov_b32_e32 v16, s7
	v_sub_co_u32_e32 v14, vcc, s6, v14
	v_subb_co_u32_e32 v15, vcc, v16, v15, vcc
	s_waitcnt lgkmcnt(0)
	global_store_dword v[14:15], v13, off offset:-1024
.LBB1691_144:
	s_andn2_saveexec_b64 s[2:3], s[2:3]
	s_cbranch_execz .LBB1691_146
; %bb.145:
	v_lshlrev_b32_e32 v13, 2, v0
	ds_read_b32 v14, v13 offset:1024
	v_readfirstlane_b32 s4, v8
	v_readfirstlane_b32 s5, v9
	s_waitcnt lgkmcnt(0)
	s_nop 3
	global_store_dword v13, v14, s[4:5] offset:1024
.LBB1691_146:
	s_or_b64 exec, exec, s[2:3]
.LBB1691_147:
	s_andn2_saveexec_b64 s[0:1], s[0:1]
	s_cbranch_execz .LBB1691_149
; %bb.148:
	v_lshlrev_b32_e32 v13, 2, v0
	ds_read_b32 v14, v13 offset:1024
	v_readfirstlane_b32 s2, v10
	v_readfirstlane_b32 s3, v11
	s_waitcnt lgkmcnt(0)
	s_nop 3
	global_store_dword v13, v14, s[2:3] offset:1024
.LBB1691_149:
	s_or_b64 exec, exec, s[0:1]
	v_or_b32_e32 v13, 0x200, v0
	v_cmp_le_u32_e32 vcc, v2, v13
	s_and_saveexec_b64 s[0:1], vcc
	s_xor_b64 s[0:1], exec, s[0:1]
	s_cbranch_execz .LBB1691_155
; %bb.150:
	v_cmp_le_u32_e32 vcc, v12, v13
	s_and_saveexec_b64 s[2:3], vcc
	s_xor_b64 s[2:3], exec, s[2:3]
	s_cbranch_execz .LBB1691_152
; %bb.151:
	v_lshlrev_b32_e32 v13, 2, v0
	ds_read_b32 v13, v13 offset:2048
	v_add_co_u32_e32 v14, vcc, v1, v0
	v_addc_co_u32_e32 v15, vcc, 0, v4, vcc
	v_lshlrev_b64 v[14:15], 2, v[14:15]
	v_mov_b32_e32 v16, s7
	v_sub_co_u32_e32 v14, vcc, s6, v14
	v_subb_co_u32_e32 v15, vcc, v16, v15, vcc
	s_waitcnt lgkmcnt(0)
	global_store_dword v[14:15], v13, off offset:-2048
.LBB1691_152:
	s_andn2_saveexec_b64 s[2:3], s[2:3]
	s_cbranch_execz .LBB1691_154
; %bb.153:
	v_lshlrev_b32_e32 v13, 2, v0
	ds_read_b32 v14, v13 offset:2048
	v_readfirstlane_b32 s4, v8
	v_readfirstlane_b32 s5, v9
	s_waitcnt lgkmcnt(0)
	s_nop 3
	global_store_dword v13, v14, s[4:5] offset:2048
.LBB1691_154:
	s_or_b64 exec, exec, s[2:3]
.LBB1691_155:
	s_andn2_saveexec_b64 s[0:1], s[0:1]
	s_cbranch_execz .LBB1691_157
; %bb.156:
	v_lshlrev_b32_e32 v13, 2, v0
	ds_read_b32 v14, v13 offset:2048
	v_readfirstlane_b32 s2, v10
	v_readfirstlane_b32 s3, v11
	s_waitcnt lgkmcnt(0)
	s_nop 3
	global_store_dword v13, v14, s[2:3] offset:2048
.LBB1691_157:
	;; [unrolled: 47-line block ×3, first 2 shown]
	s_or_b64 exec, exec, s[0:1]
	v_or_b32_e32 v13, 0x400, v0
	v_cmp_le_u32_e32 vcc, v2, v13
	s_and_saveexec_b64 s[0:1], vcc
	s_xor_b64 s[0:1], exec, s[0:1]
	s_cbranch_execz .LBB1691_171
; %bb.166:
	v_cmp_le_u32_e32 vcc, v12, v13
	s_and_saveexec_b64 s[2:3], vcc
	s_xor_b64 s[2:3], exec, s[2:3]
	s_cbranch_execz .LBB1691_168
; %bb.167:
	v_lshlrev_b32_e32 v13, 2, v0
	ds_read_b32 v13, v13 offset:4096
	v_add_co_u32_e32 v14, vcc, v1, v0
	v_addc_co_u32_e32 v15, vcc, 0, v4, vcc
	v_lshlrev_b64 v[14:15], 2, v[14:15]
	v_mov_b32_e32 v16, s7
	v_sub_co_u32_e32 v14, vcc, s6, v14
	v_subb_co_u32_e32 v15, vcc, v16, v15, vcc
	s_waitcnt lgkmcnt(0)
	global_store_dword v[14:15], v13, off offset:-4096
                                        ; implicit-def: $vgpr13
.LBB1691_168:
	s_andn2_saveexec_b64 s[2:3], s[2:3]
	s_cbranch_execz .LBB1691_170
; %bb.169:
	v_lshlrev_b32_e32 v14, 2, v0
	ds_read_b32 v14, v14 offset:4096
	v_lshlrev_b32_e32 v13, 2, v13
	v_readfirstlane_b32 s4, v8
	v_readfirstlane_b32 s5, v9
	s_waitcnt lgkmcnt(0)
	s_nop 3
	global_store_dword v13, v14, s[4:5]
.LBB1691_170:
	s_or_b64 exec, exec, s[2:3]
                                        ; implicit-def: $vgpr13
.LBB1691_171:
	s_andn2_saveexec_b64 s[0:1], s[0:1]
	s_cbranch_execz .LBB1691_173
; %bb.172:
	v_lshlrev_b32_e32 v14, 2, v0
	ds_read_b32 v14, v14 offset:4096
	v_lshlrev_b32_e32 v13, 2, v13
	v_readfirstlane_b32 s2, v10
	v_readfirstlane_b32 s3, v11
	s_waitcnt lgkmcnt(0)
	s_nop 3
	global_store_dword v13, v14, s[2:3]
.LBB1691_173:
	s_or_b64 exec, exec, s[0:1]
	v_or_b32_e32 v13, 0x500, v0
	v_cmp_le_u32_e32 vcc, v2, v13
	s_and_saveexec_b64 s[0:1], vcc
	s_xor_b64 s[0:1], exec, s[0:1]
	s_cbranch_execz .LBB1691_179
; %bb.174:
	v_cmp_le_u32_e32 vcc, v12, v13
	s_and_saveexec_b64 s[2:3], vcc
	s_xor_b64 s[2:3], exec, s[2:3]
	s_cbranch_execz .LBB1691_176
; %bb.175:
	v_add_co_u32_e32 v14, vcc, v1, v13
	v_lshlrev_b32_e32 v13, 2, v0
	ds_read_b32 v13, v13 offset:5120
	v_addc_co_u32_e32 v15, vcc, 0, v4, vcc
	v_lshlrev_b64 v[14:15], 2, v[14:15]
	v_mov_b32_e32 v16, s7
	v_sub_co_u32_e32 v14, vcc, s6, v14
	v_subb_co_u32_e32 v15, vcc, v16, v15, vcc
	s_waitcnt lgkmcnt(0)
	global_store_dword v[14:15], v13, off
                                        ; implicit-def: $vgpr13
.LBB1691_176:
	s_andn2_saveexec_b64 s[2:3], s[2:3]
	s_cbranch_execz .LBB1691_178
; %bb.177:
	v_lshlrev_b32_e32 v14, 2, v0
	ds_read_b32 v14, v14 offset:5120
	v_lshlrev_b32_e32 v13, 2, v13
	v_readfirstlane_b32 s4, v8
	v_readfirstlane_b32 s5, v9
	s_waitcnt lgkmcnt(0)
	s_nop 3
	global_store_dword v13, v14, s[4:5]
.LBB1691_178:
	s_or_b64 exec, exec, s[2:3]
                                        ; implicit-def: $vgpr13
.LBB1691_179:
	s_andn2_saveexec_b64 s[0:1], s[0:1]
	s_cbranch_execz .LBB1691_181
; %bb.180:
	v_lshlrev_b32_e32 v14, 2, v0
	ds_read_b32 v14, v14 offset:5120
	v_lshlrev_b32_e32 v13, 2, v13
	v_readfirstlane_b32 s2, v10
	v_readfirstlane_b32 s3, v11
	s_waitcnt lgkmcnt(0)
	s_nop 3
	global_store_dword v13, v14, s[2:3]
.LBB1691_181:
	s_or_b64 exec, exec, s[0:1]
	v_or_b32_e32 v13, 0x600, v0
	v_cmp_le_u32_e32 vcc, v2, v13
	s_and_saveexec_b64 s[0:1], vcc
	s_xor_b64 s[0:1], exec, s[0:1]
	s_cbranch_execz .LBB1691_187
; %bb.182:
	v_cmp_le_u32_e32 vcc, v12, v13
	s_and_saveexec_b64 s[2:3], vcc
	s_xor_b64 s[2:3], exec, s[2:3]
	s_cbranch_execz .LBB1691_184
; %bb.183:
	v_add_co_u32_e32 v14, vcc, v1, v13
	v_lshlrev_b32_e32 v13, 2, v0
	ds_read_b32 v13, v13 offset:6144
	v_addc_co_u32_e32 v15, vcc, 0, v4, vcc
	v_lshlrev_b64 v[14:15], 2, v[14:15]
	v_mov_b32_e32 v16, s7
	v_sub_co_u32_e32 v14, vcc, s6, v14
	v_subb_co_u32_e32 v15, vcc, v16, v15, vcc
	s_waitcnt lgkmcnt(0)
	global_store_dword v[14:15], v13, off
                                        ; implicit-def: $vgpr13
.LBB1691_184:
	s_andn2_saveexec_b64 s[2:3], s[2:3]
	s_cbranch_execz .LBB1691_186
; %bb.185:
	v_lshlrev_b32_e32 v14, 2, v0
	ds_read_b32 v14, v14 offset:6144
	v_lshlrev_b32_e32 v13, 2, v13
	v_readfirstlane_b32 s4, v8
	v_readfirstlane_b32 s5, v9
	s_waitcnt lgkmcnt(0)
	s_nop 3
	global_store_dword v13, v14, s[4:5]
.LBB1691_186:
	s_or_b64 exec, exec, s[2:3]
                                        ; implicit-def: $vgpr13
.LBB1691_187:
	;; [unrolled: 51-line block ×8, first 2 shown]
	s_andn2_saveexec_b64 s[0:1], s[0:1]
	s_cbranch_execz .LBB1691_237
; %bb.236:
	v_lshlrev_b32_e32 v14, 2, v0
	ds_read_b32 v14, v14 offset:12288
	v_lshlrev_b32_e32 v13, 2, v13
	v_readfirstlane_b32 s2, v10
	v_readfirstlane_b32 s3, v11
	s_waitcnt lgkmcnt(0)
	s_nop 3
	global_store_dword v13, v14, s[2:3]
.LBB1691_237:
	s_or_b64 exec, exec, s[0:1]
	s_branch .LBB1691_131
.LBB1691_238:
	v_cmp_gt_u32_e32 vcc, s18, v0
	s_and_saveexec_b64 s[0:1], vcc
	s_cbranch_execz .LBB1691_247
; %bb.239:
	v_cmp_le_u32_e32 vcc, v2, v0
	s_and_saveexec_b64 s[2:3], vcc
	s_xor_b64 s[2:3], exec, s[2:3]
	s_cbranch_execz .LBB1691_245
; %bb.240:
	v_cmp_le_u32_e32 vcc, v12, v0
	s_and_saveexec_b64 s[4:5], vcc
	s_xor_b64 s[4:5], exec, s[4:5]
	s_cbranch_execz .LBB1691_242
; %bb.241:
	v_lshlrev_b32_e32 v13, 2, v0
	v_add_co_u32_e32 v14, vcc, v1, v0
	ds_read_b32 v13, v13
	v_addc_co_u32_e32 v15, vcc, 0, v4, vcc
	v_lshlrev_b64 v[14:15], 2, v[14:15]
	v_mov_b32_e32 v16, s35
	v_sub_co_u32_e32 v14, vcc, s34, v14
	v_subb_co_u32_e32 v15, vcc, v16, v15, vcc
	s_waitcnt lgkmcnt(0)
	global_store_dword v[14:15], v13, off offset:-4
.LBB1691_242:
	s_andn2_saveexec_b64 s[4:5], s[4:5]
	s_cbranch_execz .LBB1691_244
; %bb.243:
	v_lshlrev_b32_e32 v13, 2, v0
	ds_read_b32 v14, v13
	v_readfirstlane_b32 s8, v8
	v_readfirstlane_b32 s9, v9
	s_waitcnt lgkmcnt(0)
	s_nop 3
	global_store_dword v13, v14, s[8:9]
.LBB1691_244:
	s_or_b64 exec, exec, s[4:5]
.LBB1691_245:
	s_andn2_saveexec_b64 s[2:3], s[2:3]
	s_cbranch_execz .LBB1691_247
; %bb.246:
	v_lshlrev_b32_e32 v13, 2, v0
	ds_read_b32 v14, v13
	v_readfirstlane_b32 s2, v10
	v_readfirstlane_b32 s3, v11
	s_waitcnt lgkmcnt(0)
	s_nop 3
	global_store_dword v13, v14, s[2:3]
.LBB1691_247:
	s_or_b64 exec, exec, s[0:1]
	v_or_b32_e32 v13, 0x100, v0
	v_cmp_gt_u32_e32 vcc, s18, v13
	s_and_saveexec_b64 s[0:1], vcc
	s_cbranch_execz .LBB1691_256
; %bb.248:
	v_cmp_le_u32_e32 vcc, v2, v13
	s_and_saveexec_b64 s[2:3], vcc
	s_xor_b64 s[2:3], exec, s[2:3]
	s_cbranch_execz .LBB1691_254
; %bb.249:
	v_cmp_le_u32_e32 vcc, v12, v13
	s_and_saveexec_b64 s[4:5], vcc
	s_xor_b64 s[4:5], exec, s[4:5]
	s_cbranch_execz .LBB1691_251
; %bb.250:
	v_lshlrev_b32_e32 v13, 2, v0
	ds_read_b32 v13, v13 offset:1024
	v_add_co_u32_e32 v14, vcc, v1, v0
	v_addc_co_u32_e32 v15, vcc, 0, v4, vcc
	v_lshlrev_b64 v[14:15], 2, v[14:15]
	v_mov_b32_e32 v16, s7
	v_sub_co_u32_e32 v14, vcc, s6, v14
	v_subb_co_u32_e32 v15, vcc, v16, v15, vcc
	s_waitcnt lgkmcnt(0)
	global_store_dword v[14:15], v13, off offset:-1024
.LBB1691_251:
	s_andn2_saveexec_b64 s[4:5], s[4:5]
	s_cbranch_execz .LBB1691_253
; %bb.252:
	v_lshlrev_b32_e32 v13, 2, v0
	ds_read_b32 v14, v13 offset:1024
	v_readfirstlane_b32 s8, v8
	v_readfirstlane_b32 s9, v9
	s_waitcnt lgkmcnt(0)
	s_nop 3
	global_store_dword v13, v14, s[8:9] offset:1024
.LBB1691_253:
	s_or_b64 exec, exec, s[4:5]
.LBB1691_254:
	s_andn2_saveexec_b64 s[2:3], s[2:3]
	s_cbranch_execz .LBB1691_256
; %bb.255:
	v_lshlrev_b32_e32 v13, 2, v0
	ds_read_b32 v14, v13 offset:1024
	v_readfirstlane_b32 s2, v10
	v_readfirstlane_b32 s3, v11
	s_waitcnt lgkmcnt(0)
	s_nop 3
	global_store_dword v13, v14, s[2:3] offset:1024
.LBB1691_256:
	s_or_b64 exec, exec, s[0:1]
	v_or_b32_e32 v13, 0x200, v0
	v_cmp_gt_u32_e32 vcc, s18, v13
	s_and_saveexec_b64 s[0:1], vcc
	s_cbranch_execz .LBB1691_265
; %bb.257:
	v_cmp_le_u32_e32 vcc, v2, v13
	s_and_saveexec_b64 s[2:3], vcc
	s_xor_b64 s[2:3], exec, s[2:3]
	s_cbranch_execz .LBB1691_263
; %bb.258:
	v_cmp_le_u32_e32 vcc, v12, v13
	s_and_saveexec_b64 s[4:5], vcc
	s_xor_b64 s[4:5], exec, s[4:5]
	s_cbranch_execz .LBB1691_260
; %bb.259:
	v_lshlrev_b32_e32 v13, 2, v0
	ds_read_b32 v13, v13 offset:2048
	v_add_co_u32_e32 v14, vcc, v1, v0
	v_addc_co_u32_e32 v15, vcc, 0, v4, vcc
	v_lshlrev_b64 v[14:15], 2, v[14:15]
	v_mov_b32_e32 v16, s7
	v_sub_co_u32_e32 v14, vcc, s6, v14
	v_subb_co_u32_e32 v15, vcc, v16, v15, vcc
	s_waitcnt lgkmcnt(0)
	global_store_dword v[14:15], v13, off offset:-2048
.LBB1691_260:
	s_andn2_saveexec_b64 s[4:5], s[4:5]
	s_cbranch_execz .LBB1691_262
; %bb.261:
	v_lshlrev_b32_e32 v13, 2, v0
	ds_read_b32 v14, v13 offset:2048
	v_readfirstlane_b32 s8, v8
	v_readfirstlane_b32 s9, v9
	s_waitcnt lgkmcnt(0)
	s_nop 3
	global_store_dword v13, v14, s[8:9] offset:2048
.LBB1691_262:
	s_or_b64 exec, exec, s[4:5]
.LBB1691_263:
	s_andn2_saveexec_b64 s[2:3], s[2:3]
	s_cbranch_execz .LBB1691_265
; %bb.264:
	v_lshlrev_b32_e32 v13, 2, v0
	ds_read_b32 v14, v13 offset:2048
	v_readfirstlane_b32 s2, v10
	v_readfirstlane_b32 s3, v11
	s_waitcnt lgkmcnt(0)
	s_nop 3
	global_store_dword v13, v14, s[2:3] offset:2048
.LBB1691_265:
	;; [unrolled: 51-line block ×3, first 2 shown]
	s_or_b64 exec, exec, s[0:1]
	v_or_b32_e32 v13, 0x400, v0
	v_cmp_gt_u32_e32 vcc, s18, v13
	s_and_saveexec_b64 s[0:1], vcc
	s_cbranch_execz .LBB1691_283
; %bb.275:
	v_cmp_le_u32_e32 vcc, v2, v13
	s_and_saveexec_b64 s[2:3], vcc
	s_xor_b64 s[2:3], exec, s[2:3]
	s_cbranch_execz .LBB1691_281
; %bb.276:
	v_cmp_le_u32_e32 vcc, v12, v13
	s_and_saveexec_b64 s[4:5], vcc
	s_xor_b64 s[4:5], exec, s[4:5]
	s_cbranch_execz .LBB1691_278
; %bb.277:
	v_lshlrev_b32_e32 v13, 2, v0
	ds_read_b32 v13, v13 offset:4096
	v_add_co_u32_e32 v14, vcc, v1, v0
	v_addc_co_u32_e32 v15, vcc, 0, v4, vcc
	v_lshlrev_b64 v[14:15], 2, v[14:15]
	v_mov_b32_e32 v16, s7
	v_sub_co_u32_e32 v14, vcc, s6, v14
	v_subb_co_u32_e32 v15, vcc, v16, v15, vcc
	s_waitcnt lgkmcnt(0)
	global_store_dword v[14:15], v13, off offset:-4096
                                        ; implicit-def: $vgpr13
.LBB1691_278:
	s_andn2_saveexec_b64 s[4:5], s[4:5]
	s_cbranch_execz .LBB1691_280
; %bb.279:
	v_lshlrev_b32_e32 v14, 2, v0
	ds_read_b32 v14, v14 offset:4096
	v_lshlrev_b32_e32 v13, 2, v13
	v_readfirstlane_b32 s8, v8
	v_readfirstlane_b32 s9, v9
	s_waitcnt lgkmcnt(0)
	s_nop 3
	global_store_dword v13, v14, s[8:9]
.LBB1691_280:
	s_or_b64 exec, exec, s[4:5]
                                        ; implicit-def: $vgpr13
.LBB1691_281:
	s_andn2_saveexec_b64 s[2:3], s[2:3]
	s_cbranch_execz .LBB1691_283
; %bb.282:
	v_lshlrev_b32_e32 v14, 2, v0
	ds_read_b32 v14, v14 offset:4096
	v_lshlrev_b32_e32 v13, 2, v13
	v_readfirstlane_b32 s2, v10
	v_readfirstlane_b32 s3, v11
	s_waitcnt lgkmcnt(0)
	s_nop 3
	global_store_dword v13, v14, s[2:3]
.LBB1691_283:
	s_or_b64 exec, exec, s[0:1]
	v_or_b32_e32 v13, 0x500, v0
	v_cmp_gt_u32_e32 vcc, s18, v13
	s_and_saveexec_b64 s[0:1], vcc
	s_cbranch_execz .LBB1691_292
; %bb.284:
	v_cmp_le_u32_e32 vcc, v2, v13
	s_and_saveexec_b64 s[2:3], vcc
	s_xor_b64 s[2:3], exec, s[2:3]
	s_cbranch_execz .LBB1691_290
; %bb.285:
	v_cmp_le_u32_e32 vcc, v12, v13
	s_and_saveexec_b64 s[4:5], vcc
	s_xor_b64 s[4:5], exec, s[4:5]
	s_cbranch_execz .LBB1691_287
; %bb.286:
	v_add_co_u32_e32 v14, vcc, v1, v13
	v_lshlrev_b32_e32 v13, 2, v0
	ds_read_b32 v13, v13 offset:5120
	v_addc_co_u32_e32 v15, vcc, 0, v4, vcc
	v_lshlrev_b64 v[14:15], 2, v[14:15]
	v_mov_b32_e32 v16, s7
	v_sub_co_u32_e32 v14, vcc, s6, v14
	v_subb_co_u32_e32 v15, vcc, v16, v15, vcc
	s_waitcnt lgkmcnt(0)
	global_store_dword v[14:15], v13, off
                                        ; implicit-def: $vgpr13
.LBB1691_287:
	s_andn2_saveexec_b64 s[4:5], s[4:5]
	s_cbranch_execz .LBB1691_289
; %bb.288:
	v_lshlrev_b32_e32 v14, 2, v0
	ds_read_b32 v14, v14 offset:5120
	v_lshlrev_b32_e32 v13, 2, v13
	v_readfirstlane_b32 s8, v8
	v_readfirstlane_b32 s9, v9
	s_waitcnt lgkmcnt(0)
	s_nop 3
	global_store_dword v13, v14, s[8:9]
.LBB1691_289:
	s_or_b64 exec, exec, s[4:5]
                                        ; implicit-def: $vgpr13
.LBB1691_290:
	s_andn2_saveexec_b64 s[2:3], s[2:3]
	s_cbranch_execz .LBB1691_292
; %bb.291:
	v_lshlrev_b32_e32 v14, 2, v0
	ds_read_b32 v14, v14 offset:5120
	v_lshlrev_b32_e32 v13, 2, v13
	v_readfirstlane_b32 s2, v10
	v_readfirstlane_b32 s3, v11
	s_waitcnt lgkmcnt(0)
	s_nop 3
	global_store_dword v13, v14, s[2:3]
.LBB1691_292:
	s_or_b64 exec, exec, s[0:1]
	v_or_b32_e32 v13, 0x600, v0
	v_cmp_gt_u32_e32 vcc, s18, v13
	s_and_saveexec_b64 s[0:1], vcc
	s_cbranch_execz .LBB1691_301
; %bb.293:
	v_cmp_le_u32_e32 vcc, v2, v13
	s_and_saveexec_b64 s[2:3], vcc
	s_xor_b64 s[2:3], exec, s[2:3]
	s_cbranch_execz .LBB1691_299
; %bb.294:
	v_cmp_le_u32_e32 vcc, v12, v13
	s_and_saveexec_b64 s[4:5], vcc
	s_xor_b64 s[4:5], exec, s[4:5]
	s_cbranch_execz .LBB1691_296
; %bb.295:
	v_add_co_u32_e32 v14, vcc, v1, v13
	v_lshlrev_b32_e32 v13, 2, v0
	ds_read_b32 v13, v13 offset:6144
	v_addc_co_u32_e32 v15, vcc, 0, v4, vcc
	v_lshlrev_b64 v[14:15], 2, v[14:15]
	v_mov_b32_e32 v16, s7
	v_sub_co_u32_e32 v14, vcc, s6, v14
	v_subb_co_u32_e32 v15, vcc, v16, v15, vcc
	s_waitcnt lgkmcnt(0)
	global_store_dword v[14:15], v13, off
                                        ; implicit-def: $vgpr13
.LBB1691_296:
	s_andn2_saveexec_b64 s[4:5], s[4:5]
	s_cbranch_execz .LBB1691_298
; %bb.297:
	v_lshlrev_b32_e32 v14, 2, v0
	ds_read_b32 v14, v14 offset:6144
	v_lshlrev_b32_e32 v13, 2, v13
	v_readfirstlane_b32 s8, v8
	v_readfirstlane_b32 s9, v9
	s_waitcnt lgkmcnt(0)
	s_nop 3
	global_store_dword v13, v14, s[8:9]
.LBB1691_298:
	s_or_b64 exec, exec, s[4:5]
                                        ; implicit-def: $vgpr13
.LBB1691_299:
	s_andn2_saveexec_b64 s[2:3], s[2:3]
	s_cbranch_execz .LBB1691_301
; %bb.300:
	v_lshlrev_b32_e32 v14, 2, v0
	ds_read_b32 v14, v14 offset:6144
	v_lshlrev_b32_e32 v13, 2, v13
	v_readfirstlane_b32 s2, v10
	v_readfirstlane_b32 s3, v11
	s_waitcnt lgkmcnt(0)
	s_nop 3
	global_store_dword v13, v14, s[2:3]
.LBB1691_301:
	;; [unrolled: 55-line block ×7, first 2 shown]
	s_or_b64 exec, exec, s[0:1]
	v_or_b32_e32 v13, 0xc00, v0
	v_cmp_gt_u32_e32 vcc, s18, v13
	s_and_saveexec_b64 s[0:1], vcc
	s_cbranch_execz .LBB1691_355
; %bb.347:
	v_cmp_le_u32_e32 vcc, v2, v13
	s_and_saveexec_b64 s[2:3], vcc
	s_xor_b64 s[2:3], exec, s[2:3]
	s_cbranch_execz .LBB1691_353
; %bb.348:
	v_cmp_le_u32_e32 vcc, v12, v13
	s_and_saveexec_b64 s[4:5], vcc
	s_xor_b64 s[4:5], exec, s[4:5]
	s_cbranch_execz .LBB1691_350
; %bb.349:
	v_add_co_u32_e32 v8, vcc, v1, v13
	v_lshlrev_b32_e32 v1, 2, v0
	ds_read_b32 v1, v1 offset:12288
	v_addc_co_u32_e32 v9, vcc, 0, v4, vcc
	v_lshlrev_b64 v[8:9], 2, v[8:9]
	v_mov_b32_e32 v4, s7
	v_sub_co_u32_e32 v8, vcc, s6, v8
	v_subb_co_u32_e32 v9, vcc, v4, v9, vcc
	s_waitcnt lgkmcnt(0)
	global_store_dword v[8:9], v1, off
                                        ; implicit-def: $vgpr13
                                        ; implicit-def: $vgpr8_vgpr9
.LBB1691_350:
	s_andn2_saveexec_b64 s[4:5], s[4:5]
	s_cbranch_execz .LBB1691_352
; %bb.351:
	v_lshlrev_b32_e32 v1, 2, v0
	ds_read_b32 v1, v1 offset:12288
	v_lshlrev_b32_e32 v4, 2, v13
	v_readfirstlane_b32 s6, v8
	v_readfirstlane_b32 s7, v9
	s_waitcnt lgkmcnt(0)
	s_nop 3
	global_store_dword v4, v1, s[6:7]
.LBB1691_352:
	s_or_b64 exec, exec, s[4:5]
                                        ; implicit-def: $vgpr13
                                        ; implicit-def: $vgpr10_vgpr11
.LBB1691_353:
	s_andn2_saveexec_b64 s[2:3], s[2:3]
	s_cbranch_execz .LBB1691_355
; %bb.354:
	v_lshlrev_b32_e32 v1, 2, v0
	ds_read_b32 v1, v1 offset:12288
	v_lshlrev_b32_e32 v4, 2, v13
	v_readfirstlane_b32 s2, v10
	v_readfirstlane_b32 s3, v11
	s_waitcnt lgkmcnt(0)
	s_nop 3
	global_store_dword v4, v1, s[2:3]
.LBB1691_355:
	s_or_b64 exec, exec, s[0:1]
	v_cmp_eq_u32_e32 vcc, 0, v0
	s_and_b64 s[0:1], vcc, s[30:31]
	s_and_saveexec_b64 s[2:3], s[0:1]
	s_cbranch_execz .LBB1691_132
.LBB1691_356:
	v_add_co_u32_e32 v0, vcc, v6, v2
	v_addc_co_u32_e32 v1, vcc, 0, v7, vcc
	v_mov_b32_e32 v2, s51
	v_add_co_u32_e32 v3, vcc, s50, v3
	v_addc_co_u32_e32 v6, vcc, 0, v2, vcc
	v_add_co_u32_e32 v2, vcc, v3, v5
	v_mov_b32_e32 v4, 0
	v_addc_co_u32_e32 v3, vcc, 0, v6, vcc
	global_store_dwordx4 v4, v[0:3], s[44:45]
	s_endpgm
	.section	.rodata,"a",@progbits
	.p2align	6, 0x0
	.amdhsa_kernel _ZN7rocprim17ROCPRIM_400000_NS6detail17trampoline_kernelINS0_13select_configILj256ELj13ELNS0_17block_load_methodE3ELS4_3ELS4_3ELNS0_20block_scan_algorithmE0ELj4294967295EEENS1_25partition_config_selectorILNS1_17partition_subalgoE4EjNS0_10empty_typeEbEEZZNS1_14partition_implILS8_4ELb0ES6_15HIP_vector_typeIjLj2EENS0_17counting_iteratorIjlEEPS9_SG_NS0_5tupleIJPjSI_NS0_16reverse_iteratorISI_EEEEENSH_IJSG_SG_SG_EEES9_SI_JZNS1_25segmented_radix_sort_implINS0_14default_configELb1EPK6__halfPSP_PKlPlN2at6native12_GLOBAL__N_18offset_tEEE10hipError_tPvRmT1_PNSt15iterator_traitsIS13_E10value_typeET2_T3_PNS14_IS19_E10value_typeET4_jRbjT5_S1F_jjP12ihipStream_tbEUljE_ZNSN_ISO_Lb1ESR_SS_SU_SV_SZ_EES10_S11_S12_S13_S17_S18_S19_S1C_S1D_jS1E_jS1F_S1F_jjS1H_bEUljE0_EEES10_S11_S12_S19_S1D_S1F_T6_T7_T9_mT8_S1H_bDpT10_ENKUlT_T0_E_clISt17integral_constantIbLb1EES1U_IbLb0EEEEDaS1Q_S1R_EUlS1Q_E_NS1_11comp_targetILNS1_3genE4ELNS1_11target_archE910ELNS1_3gpuE8ELNS1_3repE0EEENS1_30default_config_static_selectorELNS0_4arch9wavefront6targetE1EEEvS13_
		.amdhsa_group_segment_fixed_size 13340
		.amdhsa_private_segment_fixed_size 0
		.amdhsa_kernarg_size 176
		.amdhsa_user_sgpr_count 6
		.amdhsa_user_sgpr_private_segment_buffer 1
		.amdhsa_user_sgpr_dispatch_ptr 0
		.amdhsa_user_sgpr_queue_ptr 0
		.amdhsa_user_sgpr_kernarg_segment_ptr 1
		.amdhsa_user_sgpr_dispatch_id 0
		.amdhsa_user_sgpr_flat_scratch_init 0
		.amdhsa_user_sgpr_kernarg_preload_length 0
		.amdhsa_user_sgpr_kernarg_preload_offset 0
		.amdhsa_user_sgpr_private_segment_size 0
		.amdhsa_uses_dynamic_stack 0
		.amdhsa_system_sgpr_private_segment_wavefront_offset 0
		.amdhsa_system_sgpr_workgroup_id_x 1
		.amdhsa_system_sgpr_workgroup_id_y 0
		.amdhsa_system_sgpr_workgroup_id_z 0
		.amdhsa_system_sgpr_workgroup_info 0
		.amdhsa_system_vgpr_workitem_id 0
		.amdhsa_next_free_vgpr 102
		.amdhsa_next_free_sgpr 90
		.amdhsa_accum_offset 104
		.amdhsa_reserve_vcc 1
		.amdhsa_reserve_flat_scratch 0
		.amdhsa_float_round_mode_32 0
		.amdhsa_float_round_mode_16_64 0
		.amdhsa_float_denorm_mode_32 3
		.amdhsa_float_denorm_mode_16_64 3
		.amdhsa_dx10_clamp 1
		.amdhsa_ieee_mode 1
		.amdhsa_fp16_overflow 0
		.amdhsa_tg_split 0
		.amdhsa_exception_fp_ieee_invalid_op 0
		.amdhsa_exception_fp_denorm_src 0
		.amdhsa_exception_fp_ieee_div_zero 0
		.amdhsa_exception_fp_ieee_overflow 0
		.amdhsa_exception_fp_ieee_underflow 0
		.amdhsa_exception_fp_ieee_inexact 0
		.amdhsa_exception_int_div_zero 0
	.end_amdhsa_kernel
	.section	.text._ZN7rocprim17ROCPRIM_400000_NS6detail17trampoline_kernelINS0_13select_configILj256ELj13ELNS0_17block_load_methodE3ELS4_3ELS4_3ELNS0_20block_scan_algorithmE0ELj4294967295EEENS1_25partition_config_selectorILNS1_17partition_subalgoE4EjNS0_10empty_typeEbEEZZNS1_14partition_implILS8_4ELb0ES6_15HIP_vector_typeIjLj2EENS0_17counting_iteratorIjlEEPS9_SG_NS0_5tupleIJPjSI_NS0_16reverse_iteratorISI_EEEEENSH_IJSG_SG_SG_EEES9_SI_JZNS1_25segmented_radix_sort_implINS0_14default_configELb1EPK6__halfPSP_PKlPlN2at6native12_GLOBAL__N_18offset_tEEE10hipError_tPvRmT1_PNSt15iterator_traitsIS13_E10value_typeET2_T3_PNS14_IS19_E10value_typeET4_jRbjT5_S1F_jjP12ihipStream_tbEUljE_ZNSN_ISO_Lb1ESR_SS_SU_SV_SZ_EES10_S11_S12_S13_S17_S18_S19_S1C_S1D_jS1E_jS1F_S1F_jjS1H_bEUljE0_EEES10_S11_S12_S19_S1D_S1F_T6_T7_T9_mT8_S1H_bDpT10_ENKUlT_T0_E_clISt17integral_constantIbLb1EES1U_IbLb0EEEEDaS1Q_S1R_EUlS1Q_E_NS1_11comp_targetILNS1_3genE4ELNS1_11target_archE910ELNS1_3gpuE8ELNS1_3repE0EEENS1_30default_config_static_selectorELNS0_4arch9wavefront6targetE1EEEvS13_,"axG",@progbits,_ZN7rocprim17ROCPRIM_400000_NS6detail17trampoline_kernelINS0_13select_configILj256ELj13ELNS0_17block_load_methodE3ELS4_3ELS4_3ELNS0_20block_scan_algorithmE0ELj4294967295EEENS1_25partition_config_selectorILNS1_17partition_subalgoE4EjNS0_10empty_typeEbEEZZNS1_14partition_implILS8_4ELb0ES6_15HIP_vector_typeIjLj2EENS0_17counting_iteratorIjlEEPS9_SG_NS0_5tupleIJPjSI_NS0_16reverse_iteratorISI_EEEEENSH_IJSG_SG_SG_EEES9_SI_JZNS1_25segmented_radix_sort_implINS0_14default_configELb1EPK6__halfPSP_PKlPlN2at6native12_GLOBAL__N_18offset_tEEE10hipError_tPvRmT1_PNSt15iterator_traitsIS13_E10value_typeET2_T3_PNS14_IS19_E10value_typeET4_jRbjT5_S1F_jjP12ihipStream_tbEUljE_ZNSN_ISO_Lb1ESR_SS_SU_SV_SZ_EES10_S11_S12_S13_S17_S18_S19_S1C_S1D_jS1E_jS1F_S1F_jjS1H_bEUljE0_EEES10_S11_S12_S19_S1D_S1F_T6_T7_T9_mT8_S1H_bDpT10_ENKUlT_T0_E_clISt17integral_constantIbLb1EES1U_IbLb0EEEEDaS1Q_S1R_EUlS1Q_E_NS1_11comp_targetILNS1_3genE4ELNS1_11target_archE910ELNS1_3gpuE8ELNS1_3repE0EEENS1_30default_config_static_selectorELNS0_4arch9wavefront6targetE1EEEvS13_,comdat
.Lfunc_end1691:
	.size	_ZN7rocprim17ROCPRIM_400000_NS6detail17trampoline_kernelINS0_13select_configILj256ELj13ELNS0_17block_load_methodE3ELS4_3ELS4_3ELNS0_20block_scan_algorithmE0ELj4294967295EEENS1_25partition_config_selectorILNS1_17partition_subalgoE4EjNS0_10empty_typeEbEEZZNS1_14partition_implILS8_4ELb0ES6_15HIP_vector_typeIjLj2EENS0_17counting_iteratorIjlEEPS9_SG_NS0_5tupleIJPjSI_NS0_16reverse_iteratorISI_EEEEENSH_IJSG_SG_SG_EEES9_SI_JZNS1_25segmented_radix_sort_implINS0_14default_configELb1EPK6__halfPSP_PKlPlN2at6native12_GLOBAL__N_18offset_tEEE10hipError_tPvRmT1_PNSt15iterator_traitsIS13_E10value_typeET2_T3_PNS14_IS19_E10value_typeET4_jRbjT5_S1F_jjP12ihipStream_tbEUljE_ZNSN_ISO_Lb1ESR_SS_SU_SV_SZ_EES10_S11_S12_S13_S17_S18_S19_S1C_S1D_jS1E_jS1F_S1F_jjS1H_bEUljE0_EEES10_S11_S12_S19_S1D_S1F_T6_T7_T9_mT8_S1H_bDpT10_ENKUlT_T0_E_clISt17integral_constantIbLb1EES1U_IbLb0EEEEDaS1Q_S1R_EUlS1Q_E_NS1_11comp_targetILNS1_3genE4ELNS1_11target_archE910ELNS1_3gpuE8ELNS1_3repE0EEENS1_30default_config_static_selectorELNS0_4arch9wavefront6targetE1EEEvS13_, .Lfunc_end1691-_ZN7rocprim17ROCPRIM_400000_NS6detail17trampoline_kernelINS0_13select_configILj256ELj13ELNS0_17block_load_methodE3ELS4_3ELS4_3ELNS0_20block_scan_algorithmE0ELj4294967295EEENS1_25partition_config_selectorILNS1_17partition_subalgoE4EjNS0_10empty_typeEbEEZZNS1_14partition_implILS8_4ELb0ES6_15HIP_vector_typeIjLj2EENS0_17counting_iteratorIjlEEPS9_SG_NS0_5tupleIJPjSI_NS0_16reverse_iteratorISI_EEEEENSH_IJSG_SG_SG_EEES9_SI_JZNS1_25segmented_radix_sort_implINS0_14default_configELb1EPK6__halfPSP_PKlPlN2at6native12_GLOBAL__N_18offset_tEEE10hipError_tPvRmT1_PNSt15iterator_traitsIS13_E10value_typeET2_T3_PNS14_IS19_E10value_typeET4_jRbjT5_S1F_jjP12ihipStream_tbEUljE_ZNSN_ISO_Lb1ESR_SS_SU_SV_SZ_EES10_S11_S12_S13_S17_S18_S19_S1C_S1D_jS1E_jS1F_S1F_jjS1H_bEUljE0_EEES10_S11_S12_S19_S1D_S1F_T6_T7_T9_mT8_S1H_bDpT10_ENKUlT_T0_E_clISt17integral_constantIbLb1EES1U_IbLb0EEEEDaS1Q_S1R_EUlS1Q_E_NS1_11comp_targetILNS1_3genE4ELNS1_11target_archE910ELNS1_3gpuE8ELNS1_3repE0EEENS1_30default_config_static_selectorELNS0_4arch9wavefront6targetE1EEEvS13_
                                        ; -- End function
	.section	.AMDGPU.csdata,"",@progbits
; Kernel info:
; codeLenInByte = 13412
; NumSgprs: 94
; NumVgprs: 102
; NumAgprs: 0
; TotalNumVgprs: 102
; ScratchSize: 0
; MemoryBound: 0
; FloatMode: 240
; IeeeMode: 1
; LDSByteSize: 13340 bytes/workgroup (compile time only)
; SGPRBlocks: 11
; VGPRBlocks: 12
; NumSGPRsForWavesPerEU: 94
; NumVGPRsForWavesPerEU: 102
; AccumOffset: 104
; Occupancy: 4
; WaveLimiterHint : 1
; COMPUTE_PGM_RSRC2:SCRATCH_EN: 0
; COMPUTE_PGM_RSRC2:USER_SGPR: 6
; COMPUTE_PGM_RSRC2:TRAP_HANDLER: 0
; COMPUTE_PGM_RSRC2:TGID_X_EN: 1
; COMPUTE_PGM_RSRC2:TGID_Y_EN: 0
; COMPUTE_PGM_RSRC2:TGID_Z_EN: 0
; COMPUTE_PGM_RSRC2:TIDIG_COMP_CNT: 0
; COMPUTE_PGM_RSRC3_GFX90A:ACCUM_OFFSET: 25
; COMPUTE_PGM_RSRC3_GFX90A:TG_SPLIT: 0
	.section	.text._ZN7rocprim17ROCPRIM_400000_NS6detail17trampoline_kernelINS0_13select_configILj256ELj13ELNS0_17block_load_methodE3ELS4_3ELS4_3ELNS0_20block_scan_algorithmE0ELj4294967295EEENS1_25partition_config_selectorILNS1_17partition_subalgoE4EjNS0_10empty_typeEbEEZZNS1_14partition_implILS8_4ELb0ES6_15HIP_vector_typeIjLj2EENS0_17counting_iteratorIjlEEPS9_SG_NS0_5tupleIJPjSI_NS0_16reverse_iteratorISI_EEEEENSH_IJSG_SG_SG_EEES9_SI_JZNS1_25segmented_radix_sort_implINS0_14default_configELb1EPK6__halfPSP_PKlPlN2at6native12_GLOBAL__N_18offset_tEEE10hipError_tPvRmT1_PNSt15iterator_traitsIS13_E10value_typeET2_T3_PNS14_IS19_E10value_typeET4_jRbjT5_S1F_jjP12ihipStream_tbEUljE_ZNSN_ISO_Lb1ESR_SS_SU_SV_SZ_EES10_S11_S12_S13_S17_S18_S19_S1C_S1D_jS1E_jS1F_S1F_jjS1H_bEUljE0_EEES10_S11_S12_S19_S1D_S1F_T6_T7_T9_mT8_S1H_bDpT10_ENKUlT_T0_E_clISt17integral_constantIbLb1EES1U_IbLb0EEEEDaS1Q_S1R_EUlS1Q_E_NS1_11comp_targetILNS1_3genE3ELNS1_11target_archE908ELNS1_3gpuE7ELNS1_3repE0EEENS1_30default_config_static_selectorELNS0_4arch9wavefront6targetE1EEEvS13_,"axG",@progbits,_ZN7rocprim17ROCPRIM_400000_NS6detail17trampoline_kernelINS0_13select_configILj256ELj13ELNS0_17block_load_methodE3ELS4_3ELS4_3ELNS0_20block_scan_algorithmE0ELj4294967295EEENS1_25partition_config_selectorILNS1_17partition_subalgoE4EjNS0_10empty_typeEbEEZZNS1_14partition_implILS8_4ELb0ES6_15HIP_vector_typeIjLj2EENS0_17counting_iteratorIjlEEPS9_SG_NS0_5tupleIJPjSI_NS0_16reverse_iteratorISI_EEEEENSH_IJSG_SG_SG_EEES9_SI_JZNS1_25segmented_radix_sort_implINS0_14default_configELb1EPK6__halfPSP_PKlPlN2at6native12_GLOBAL__N_18offset_tEEE10hipError_tPvRmT1_PNSt15iterator_traitsIS13_E10value_typeET2_T3_PNS14_IS19_E10value_typeET4_jRbjT5_S1F_jjP12ihipStream_tbEUljE_ZNSN_ISO_Lb1ESR_SS_SU_SV_SZ_EES10_S11_S12_S13_S17_S18_S19_S1C_S1D_jS1E_jS1F_S1F_jjS1H_bEUljE0_EEES10_S11_S12_S19_S1D_S1F_T6_T7_T9_mT8_S1H_bDpT10_ENKUlT_T0_E_clISt17integral_constantIbLb1EES1U_IbLb0EEEEDaS1Q_S1R_EUlS1Q_E_NS1_11comp_targetILNS1_3genE3ELNS1_11target_archE908ELNS1_3gpuE7ELNS1_3repE0EEENS1_30default_config_static_selectorELNS0_4arch9wavefront6targetE1EEEvS13_,comdat
	.globl	_ZN7rocprim17ROCPRIM_400000_NS6detail17trampoline_kernelINS0_13select_configILj256ELj13ELNS0_17block_load_methodE3ELS4_3ELS4_3ELNS0_20block_scan_algorithmE0ELj4294967295EEENS1_25partition_config_selectorILNS1_17partition_subalgoE4EjNS0_10empty_typeEbEEZZNS1_14partition_implILS8_4ELb0ES6_15HIP_vector_typeIjLj2EENS0_17counting_iteratorIjlEEPS9_SG_NS0_5tupleIJPjSI_NS0_16reverse_iteratorISI_EEEEENSH_IJSG_SG_SG_EEES9_SI_JZNS1_25segmented_radix_sort_implINS0_14default_configELb1EPK6__halfPSP_PKlPlN2at6native12_GLOBAL__N_18offset_tEEE10hipError_tPvRmT1_PNSt15iterator_traitsIS13_E10value_typeET2_T3_PNS14_IS19_E10value_typeET4_jRbjT5_S1F_jjP12ihipStream_tbEUljE_ZNSN_ISO_Lb1ESR_SS_SU_SV_SZ_EES10_S11_S12_S13_S17_S18_S19_S1C_S1D_jS1E_jS1F_S1F_jjS1H_bEUljE0_EEES10_S11_S12_S19_S1D_S1F_T6_T7_T9_mT8_S1H_bDpT10_ENKUlT_T0_E_clISt17integral_constantIbLb1EES1U_IbLb0EEEEDaS1Q_S1R_EUlS1Q_E_NS1_11comp_targetILNS1_3genE3ELNS1_11target_archE908ELNS1_3gpuE7ELNS1_3repE0EEENS1_30default_config_static_selectorELNS0_4arch9wavefront6targetE1EEEvS13_ ; -- Begin function _ZN7rocprim17ROCPRIM_400000_NS6detail17trampoline_kernelINS0_13select_configILj256ELj13ELNS0_17block_load_methodE3ELS4_3ELS4_3ELNS0_20block_scan_algorithmE0ELj4294967295EEENS1_25partition_config_selectorILNS1_17partition_subalgoE4EjNS0_10empty_typeEbEEZZNS1_14partition_implILS8_4ELb0ES6_15HIP_vector_typeIjLj2EENS0_17counting_iteratorIjlEEPS9_SG_NS0_5tupleIJPjSI_NS0_16reverse_iteratorISI_EEEEENSH_IJSG_SG_SG_EEES9_SI_JZNS1_25segmented_radix_sort_implINS0_14default_configELb1EPK6__halfPSP_PKlPlN2at6native12_GLOBAL__N_18offset_tEEE10hipError_tPvRmT1_PNSt15iterator_traitsIS13_E10value_typeET2_T3_PNS14_IS19_E10value_typeET4_jRbjT5_S1F_jjP12ihipStream_tbEUljE_ZNSN_ISO_Lb1ESR_SS_SU_SV_SZ_EES10_S11_S12_S13_S17_S18_S19_S1C_S1D_jS1E_jS1F_S1F_jjS1H_bEUljE0_EEES10_S11_S12_S19_S1D_S1F_T6_T7_T9_mT8_S1H_bDpT10_ENKUlT_T0_E_clISt17integral_constantIbLb1EES1U_IbLb0EEEEDaS1Q_S1R_EUlS1Q_E_NS1_11comp_targetILNS1_3genE3ELNS1_11target_archE908ELNS1_3gpuE7ELNS1_3repE0EEENS1_30default_config_static_selectorELNS0_4arch9wavefront6targetE1EEEvS13_
	.p2align	8
	.type	_ZN7rocprim17ROCPRIM_400000_NS6detail17trampoline_kernelINS0_13select_configILj256ELj13ELNS0_17block_load_methodE3ELS4_3ELS4_3ELNS0_20block_scan_algorithmE0ELj4294967295EEENS1_25partition_config_selectorILNS1_17partition_subalgoE4EjNS0_10empty_typeEbEEZZNS1_14partition_implILS8_4ELb0ES6_15HIP_vector_typeIjLj2EENS0_17counting_iteratorIjlEEPS9_SG_NS0_5tupleIJPjSI_NS0_16reverse_iteratorISI_EEEEENSH_IJSG_SG_SG_EEES9_SI_JZNS1_25segmented_radix_sort_implINS0_14default_configELb1EPK6__halfPSP_PKlPlN2at6native12_GLOBAL__N_18offset_tEEE10hipError_tPvRmT1_PNSt15iterator_traitsIS13_E10value_typeET2_T3_PNS14_IS19_E10value_typeET4_jRbjT5_S1F_jjP12ihipStream_tbEUljE_ZNSN_ISO_Lb1ESR_SS_SU_SV_SZ_EES10_S11_S12_S13_S17_S18_S19_S1C_S1D_jS1E_jS1F_S1F_jjS1H_bEUljE0_EEES10_S11_S12_S19_S1D_S1F_T6_T7_T9_mT8_S1H_bDpT10_ENKUlT_T0_E_clISt17integral_constantIbLb1EES1U_IbLb0EEEEDaS1Q_S1R_EUlS1Q_E_NS1_11comp_targetILNS1_3genE3ELNS1_11target_archE908ELNS1_3gpuE7ELNS1_3repE0EEENS1_30default_config_static_selectorELNS0_4arch9wavefront6targetE1EEEvS13_,@function
_ZN7rocprim17ROCPRIM_400000_NS6detail17trampoline_kernelINS0_13select_configILj256ELj13ELNS0_17block_load_methodE3ELS4_3ELS4_3ELNS0_20block_scan_algorithmE0ELj4294967295EEENS1_25partition_config_selectorILNS1_17partition_subalgoE4EjNS0_10empty_typeEbEEZZNS1_14partition_implILS8_4ELb0ES6_15HIP_vector_typeIjLj2EENS0_17counting_iteratorIjlEEPS9_SG_NS0_5tupleIJPjSI_NS0_16reverse_iteratorISI_EEEEENSH_IJSG_SG_SG_EEES9_SI_JZNS1_25segmented_radix_sort_implINS0_14default_configELb1EPK6__halfPSP_PKlPlN2at6native12_GLOBAL__N_18offset_tEEE10hipError_tPvRmT1_PNSt15iterator_traitsIS13_E10value_typeET2_T3_PNS14_IS19_E10value_typeET4_jRbjT5_S1F_jjP12ihipStream_tbEUljE_ZNSN_ISO_Lb1ESR_SS_SU_SV_SZ_EES10_S11_S12_S13_S17_S18_S19_S1C_S1D_jS1E_jS1F_S1F_jjS1H_bEUljE0_EEES10_S11_S12_S19_S1D_S1F_T6_T7_T9_mT8_S1H_bDpT10_ENKUlT_T0_E_clISt17integral_constantIbLb1EES1U_IbLb0EEEEDaS1Q_S1R_EUlS1Q_E_NS1_11comp_targetILNS1_3genE3ELNS1_11target_archE908ELNS1_3gpuE7ELNS1_3repE0EEENS1_30default_config_static_selectorELNS0_4arch9wavefront6targetE1EEEvS13_: ; @_ZN7rocprim17ROCPRIM_400000_NS6detail17trampoline_kernelINS0_13select_configILj256ELj13ELNS0_17block_load_methodE3ELS4_3ELS4_3ELNS0_20block_scan_algorithmE0ELj4294967295EEENS1_25partition_config_selectorILNS1_17partition_subalgoE4EjNS0_10empty_typeEbEEZZNS1_14partition_implILS8_4ELb0ES6_15HIP_vector_typeIjLj2EENS0_17counting_iteratorIjlEEPS9_SG_NS0_5tupleIJPjSI_NS0_16reverse_iteratorISI_EEEEENSH_IJSG_SG_SG_EEES9_SI_JZNS1_25segmented_radix_sort_implINS0_14default_configELb1EPK6__halfPSP_PKlPlN2at6native12_GLOBAL__N_18offset_tEEE10hipError_tPvRmT1_PNSt15iterator_traitsIS13_E10value_typeET2_T3_PNS14_IS19_E10value_typeET4_jRbjT5_S1F_jjP12ihipStream_tbEUljE_ZNSN_ISO_Lb1ESR_SS_SU_SV_SZ_EES10_S11_S12_S13_S17_S18_S19_S1C_S1D_jS1E_jS1F_S1F_jjS1H_bEUljE0_EEES10_S11_S12_S19_S1D_S1F_T6_T7_T9_mT8_S1H_bDpT10_ENKUlT_T0_E_clISt17integral_constantIbLb1EES1U_IbLb0EEEEDaS1Q_S1R_EUlS1Q_E_NS1_11comp_targetILNS1_3genE3ELNS1_11target_archE908ELNS1_3gpuE7ELNS1_3repE0EEENS1_30default_config_static_selectorELNS0_4arch9wavefront6targetE1EEEvS13_
; %bb.0:
	.section	.rodata,"a",@progbits
	.p2align	6, 0x0
	.amdhsa_kernel _ZN7rocprim17ROCPRIM_400000_NS6detail17trampoline_kernelINS0_13select_configILj256ELj13ELNS0_17block_load_methodE3ELS4_3ELS4_3ELNS0_20block_scan_algorithmE0ELj4294967295EEENS1_25partition_config_selectorILNS1_17partition_subalgoE4EjNS0_10empty_typeEbEEZZNS1_14partition_implILS8_4ELb0ES6_15HIP_vector_typeIjLj2EENS0_17counting_iteratorIjlEEPS9_SG_NS0_5tupleIJPjSI_NS0_16reverse_iteratorISI_EEEEENSH_IJSG_SG_SG_EEES9_SI_JZNS1_25segmented_radix_sort_implINS0_14default_configELb1EPK6__halfPSP_PKlPlN2at6native12_GLOBAL__N_18offset_tEEE10hipError_tPvRmT1_PNSt15iterator_traitsIS13_E10value_typeET2_T3_PNS14_IS19_E10value_typeET4_jRbjT5_S1F_jjP12ihipStream_tbEUljE_ZNSN_ISO_Lb1ESR_SS_SU_SV_SZ_EES10_S11_S12_S13_S17_S18_S19_S1C_S1D_jS1E_jS1F_S1F_jjS1H_bEUljE0_EEES10_S11_S12_S19_S1D_S1F_T6_T7_T9_mT8_S1H_bDpT10_ENKUlT_T0_E_clISt17integral_constantIbLb1EES1U_IbLb0EEEEDaS1Q_S1R_EUlS1Q_E_NS1_11comp_targetILNS1_3genE3ELNS1_11target_archE908ELNS1_3gpuE7ELNS1_3repE0EEENS1_30default_config_static_selectorELNS0_4arch9wavefront6targetE1EEEvS13_
		.amdhsa_group_segment_fixed_size 0
		.amdhsa_private_segment_fixed_size 0
		.amdhsa_kernarg_size 176
		.amdhsa_user_sgpr_count 6
		.amdhsa_user_sgpr_private_segment_buffer 1
		.amdhsa_user_sgpr_dispatch_ptr 0
		.amdhsa_user_sgpr_queue_ptr 0
		.amdhsa_user_sgpr_kernarg_segment_ptr 1
		.amdhsa_user_sgpr_dispatch_id 0
		.amdhsa_user_sgpr_flat_scratch_init 0
		.amdhsa_user_sgpr_kernarg_preload_length 0
		.amdhsa_user_sgpr_kernarg_preload_offset 0
		.amdhsa_user_sgpr_private_segment_size 0
		.amdhsa_uses_dynamic_stack 0
		.amdhsa_system_sgpr_private_segment_wavefront_offset 0
		.amdhsa_system_sgpr_workgroup_id_x 1
		.amdhsa_system_sgpr_workgroup_id_y 0
		.amdhsa_system_sgpr_workgroup_id_z 0
		.amdhsa_system_sgpr_workgroup_info 0
		.amdhsa_system_vgpr_workitem_id 0
		.amdhsa_next_free_vgpr 1
		.amdhsa_next_free_sgpr 0
		.amdhsa_accum_offset 4
		.amdhsa_reserve_vcc 0
		.amdhsa_reserve_flat_scratch 0
		.amdhsa_float_round_mode_32 0
		.amdhsa_float_round_mode_16_64 0
		.amdhsa_float_denorm_mode_32 3
		.amdhsa_float_denorm_mode_16_64 3
		.amdhsa_dx10_clamp 1
		.amdhsa_ieee_mode 1
		.amdhsa_fp16_overflow 0
		.amdhsa_tg_split 0
		.amdhsa_exception_fp_ieee_invalid_op 0
		.amdhsa_exception_fp_denorm_src 0
		.amdhsa_exception_fp_ieee_div_zero 0
		.amdhsa_exception_fp_ieee_overflow 0
		.amdhsa_exception_fp_ieee_underflow 0
		.amdhsa_exception_fp_ieee_inexact 0
		.amdhsa_exception_int_div_zero 0
	.end_amdhsa_kernel
	.section	.text._ZN7rocprim17ROCPRIM_400000_NS6detail17trampoline_kernelINS0_13select_configILj256ELj13ELNS0_17block_load_methodE3ELS4_3ELS4_3ELNS0_20block_scan_algorithmE0ELj4294967295EEENS1_25partition_config_selectorILNS1_17partition_subalgoE4EjNS0_10empty_typeEbEEZZNS1_14partition_implILS8_4ELb0ES6_15HIP_vector_typeIjLj2EENS0_17counting_iteratorIjlEEPS9_SG_NS0_5tupleIJPjSI_NS0_16reverse_iteratorISI_EEEEENSH_IJSG_SG_SG_EEES9_SI_JZNS1_25segmented_radix_sort_implINS0_14default_configELb1EPK6__halfPSP_PKlPlN2at6native12_GLOBAL__N_18offset_tEEE10hipError_tPvRmT1_PNSt15iterator_traitsIS13_E10value_typeET2_T3_PNS14_IS19_E10value_typeET4_jRbjT5_S1F_jjP12ihipStream_tbEUljE_ZNSN_ISO_Lb1ESR_SS_SU_SV_SZ_EES10_S11_S12_S13_S17_S18_S19_S1C_S1D_jS1E_jS1F_S1F_jjS1H_bEUljE0_EEES10_S11_S12_S19_S1D_S1F_T6_T7_T9_mT8_S1H_bDpT10_ENKUlT_T0_E_clISt17integral_constantIbLb1EES1U_IbLb0EEEEDaS1Q_S1R_EUlS1Q_E_NS1_11comp_targetILNS1_3genE3ELNS1_11target_archE908ELNS1_3gpuE7ELNS1_3repE0EEENS1_30default_config_static_selectorELNS0_4arch9wavefront6targetE1EEEvS13_,"axG",@progbits,_ZN7rocprim17ROCPRIM_400000_NS6detail17trampoline_kernelINS0_13select_configILj256ELj13ELNS0_17block_load_methodE3ELS4_3ELS4_3ELNS0_20block_scan_algorithmE0ELj4294967295EEENS1_25partition_config_selectorILNS1_17partition_subalgoE4EjNS0_10empty_typeEbEEZZNS1_14partition_implILS8_4ELb0ES6_15HIP_vector_typeIjLj2EENS0_17counting_iteratorIjlEEPS9_SG_NS0_5tupleIJPjSI_NS0_16reverse_iteratorISI_EEEEENSH_IJSG_SG_SG_EEES9_SI_JZNS1_25segmented_radix_sort_implINS0_14default_configELb1EPK6__halfPSP_PKlPlN2at6native12_GLOBAL__N_18offset_tEEE10hipError_tPvRmT1_PNSt15iterator_traitsIS13_E10value_typeET2_T3_PNS14_IS19_E10value_typeET4_jRbjT5_S1F_jjP12ihipStream_tbEUljE_ZNSN_ISO_Lb1ESR_SS_SU_SV_SZ_EES10_S11_S12_S13_S17_S18_S19_S1C_S1D_jS1E_jS1F_S1F_jjS1H_bEUljE0_EEES10_S11_S12_S19_S1D_S1F_T6_T7_T9_mT8_S1H_bDpT10_ENKUlT_T0_E_clISt17integral_constantIbLb1EES1U_IbLb0EEEEDaS1Q_S1R_EUlS1Q_E_NS1_11comp_targetILNS1_3genE3ELNS1_11target_archE908ELNS1_3gpuE7ELNS1_3repE0EEENS1_30default_config_static_selectorELNS0_4arch9wavefront6targetE1EEEvS13_,comdat
.Lfunc_end1692:
	.size	_ZN7rocprim17ROCPRIM_400000_NS6detail17trampoline_kernelINS0_13select_configILj256ELj13ELNS0_17block_load_methodE3ELS4_3ELS4_3ELNS0_20block_scan_algorithmE0ELj4294967295EEENS1_25partition_config_selectorILNS1_17partition_subalgoE4EjNS0_10empty_typeEbEEZZNS1_14partition_implILS8_4ELb0ES6_15HIP_vector_typeIjLj2EENS0_17counting_iteratorIjlEEPS9_SG_NS0_5tupleIJPjSI_NS0_16reverse_iteratorISI_EEEEENSH_IJSG_SG_SG_EEES9_SI_JZNS1_25segmented_radix_sort_implINS0_14default_configELb1EPK6__halfPSP_PKlPlN2at6native12_GLOBAL__N_18offset_tEEE10hipError_tPvRmT1_PNSt15iterator_traitsIS13_E10value_typeET2_T3_PNS14_IS19_E10value_typeET4_jRbjT5_S1F_jjP12ihipStream_tbEUljE_ZNSN_ISO_Lb1ESR_SS_SU_SV_SZ_EES10_S11_S12_S13_S17_S18_S19_S1C_S1D_jS1E_jS1F_S1F_jjS1H_bEUljE0_EEES10_S11_S12_S19_S1D_S1F_T6_T7_T9_mT8_S1H_bDpT10_ENKUlT_T0_E_clISt17integral_constantIbLb1EES1U_IbLb0EEEEDaS1Q_S1R_EUlS1Q_E_NS1_11comp_targetILNS1_3genE3ELNS1_11target_archE908ELNS1_3gpuE7ELNS1_3repE0EEENS1_30default_config_static_selectorELNS0_4arch9wavefront6targetE1EEEvS13_, .Lfunc_end1692-_ZN7rocprim17ROCPRIM_400000_NS6detail17trampoline_kernelINS0_13select_configILj256ELj13ELNS0_17block_load_methodE3ELS4_3ELS4_3ELNS0_20block_scan_algorithmE0ELj4294967295EEENS1_25partition_config_selectorILNS1_17partition_subalgoE4EjNS0_10empty_typeEbEEZZNS1_14partition_implILS8_4ELb0ES6_15HIP_vector_typeIjLj2EENS0_17counting_iteratorIjlEEPS9_SG_NS0_5tupleIJPjSI_NS0_16reverse_iteratorISI_EEEEENSH_IJSG_SG_SG_EEES9_SI_JZNS1_25segmented_radix_sort_implINS0_14default_configELb1EPK6__halfPSP_PKlPlN2at6native12_GLOBAL__N_18offset_tEEE10hipError_tPvRmT1_PNSt15iterator_traitsIS13_E10value_typeET2_T3_PNS14_IS19_E10value_typeET4_jRbjT5_S1F_jjP12ihipStream_tbEUljE_ZNSN_ISO_Lb1ESR_SS_SU_SV_SZ_EES10_S11_S12_S13_S17_S18_S19_S1C_S1D_jS1E_jS1F_S1F_jjS1H_bEUljE0_EEES10_S11_S12_S19_S1D_S1F_T6_T7_T9_mT8_S1H_bDpT10_ENKUlT_T0_E_clISt17integral_constantIbLb1EES1U_IbLb0EEEEDaS1Q_S1R_EUlS1Q_E_NS1_11comp_targetILNS1_3genE3ELNS1_11target_archE908ELNS1_3gpuE7ELNS1_3repE0EEENS1_30default_config_static_selectorELNS0_4arch9wavefront6targetE1EEEvS13_
                                        ; -- End function
	.section	.AMDGPU.csdata,"",@progbits
; Kernel info:
; codeLenInByte = 0
; NumSgprs: 4
; NumVgprs: 0
; NumAgprs: 0
; TotalNumVgprs: 0
; ScratchSize: 0
; MemoryBound: 0
; FloatMode: 240
; IeeeMode: 1
; LDSByteSize: 0 bytes/workgroup (compile time only)
; SGPRBlocks: 0
; VGPRBlocks: 0
; NumSGPRsForWavesPerEU: 4
; NumVGPRsForWavesPerEU: 1
; AccumOffset: 4
; Occupancy: 8
; WaveLimiterHint : 0
; COMPUTE_PGM_RSRC2:SCRATCH_EN: 0
; COMPUTE_PGM_RSRC2:USER_SGPR: 6
; COMPUTE_PGM_RSRC2:TRAP_HANDLER: 0
; COMPUTE_PGM_RSRC2:TGID_X_EN: 1
; COMPUTE_PGM_RSRC2:TGID_Y_EN: 0
; COMPUTE_PGM_RSRC2:TGID_Z_EN: 0
; COMPUTE_PGM_RSRC2:TIDIG_COMP_CNT: 0
; COMPUTE_PGM_RSRC3_GFX90A:ACCUM_OFFSET: 0
; COMPUTE_PGM_RSRC3_GFX90A:TG_SPLIT: 0
	.section	.text._ZN7rocprim17ROCPRIM_400000_NS6detail17trampoline_kernelINS0_13select_configILj256ELj13ELNS0_17block_load_methodE3ELS4_3ELS4_3ELNS0_20block_scan_algorithmE0ELj4294967295EEENS1_25partition_config_selectorILNS1_17partition_subalgoE4EjNS0_10empty_typeEbEEZZNS1_14partition_implILS8_4ELb0ES6_15HIP_vector_typeIjLj2EENS0_17counting_iteratorIjlEEPS9_SG_NS0_5tupleIJPjSI_NS0_16reverse_iteratorISI_EEEEENSH_IJSG_SG_SG_EEES9_SI_JZNS1_25segmented_radix_sort_implINS0_14default_configELb1EPK6__halfPSP_PKlPlN2at6native12_GLOBAL__N_18offset_tEEE10hipError_tPvRmT1_PNSt15iterator_traitsIS13_E10value_typeET2_T3_PNS14_IS19_E10value_typeET4_jRbjT5_S1F_jjP12ihipStream_tbEUljE_ZNSN_ISO_Lb1ESR_SS_SU_SV_SZ_EES10_S11_S12_S13_S17_S18_S19_S1C_S1D_jS1E_jS1F_S1F_jjS1H_bEUljE0_EEES10_S11_S12_S19_S1D_S1F_T6_T7_T9_mT8_S1H_bDpT10_ENKUlT_T0_E_clISt17integral_constantIbLb1EES1U_IbLb0EEEEDaS1Q_S1R_EUlS1Q_E_NS1_11comp_targetILNS1_3genE2ELNS1_11target_archE906ELNS1_3gpuE6ELNS1_3repE0EEENS1_30default_config_static_selectorELNS0_4arch9wavefront6targetE1EEEvS13_,"axG",@progbits,_ZN7rocprim17ROCPRIM_400000_NS6detail17trampoline_kernelINS0_13select_configILj256ELj13ELNS0_17block_load_methodE3ELS4_3ELS4_3ELNS0_20block_scan_algorithmE0ELj4294967295EEENS1_25partition_config_selectorILNS1_17partition_subalgoE4EjNS0_10empty_typeEbEEZZNS1_14partition_implILS8_4ELb0ES6_15HIP_vector_typeIjLj2EENS0_17counting_iteratorIjlEEPS9_SG_NS0_5tupleIJPjSI_NS0_16reverse_iteratorISI_EEEEENSH_IJSG_SG_SG_EEES9_SI_JZNS1_25segmented_radix_sort_implINS0_14default_configELb1EPK6__halfPSP_PKlPlN2at6native12_GLOBAL__N_18offset_tEEE10hipError_tPvRmT1_PNSt15iterator_traitsIS13_E10value_typeET2_T3_PNS14_IS19_E10value_typeET4_jRbjT5_S1F_jjP12ihipStream_tbEUljE_ZNSN_ISO_Lb1ESR_SS_SU_SV_SZ_EES10_S11_S12_S13_S17_S18_S19_S1C_S1D_jS1E_jS1F_S1F_jjS1H_bEUljE0_EEES10_S11_S12_S19_S1D_S1F_T6_T7_T9_mT8_S1H_bDpT10_ENKUlT_T0_E_clISt17integral_constantIbLb1EES1U_IbLb0EEEEDaS1Q_S1R_EUlS1Q_E_NS1_11comp_targetILNS1_3genE2ELNS1_11target_archE906ELNS1_3gpuE6ELNS1_3repE0EEENS1_30default_config_static_selectorELNS0_4arch9wavefront6targetE1EEEvS13_,comdat
	.globl	_ZN7rocprim17ROCPRIM_400000_NS6detail17trampoline_kernelINS0_13select_configILj256ELj13ELNS0_17block_load_methodE3ELS4_3ELS4_3ELNS0_20block_scan_algorithmE0ELj4294967295EEENS1_25partition_config_selectorILNS1_17partition_subalgoE4EjNS0_10empty_typeEbEEZZNS1_14partition_implILS8_4ELb0ES6_15HIP_vector_typeIjLj2EENS0_17counting_iteratorIjlEEPS9_SG_NS0_5tupleIJPjSI_NS0_16reverse_iteratorISI_EEEEENSH_IJSG_SG_SG_EEES9_SI_JZNS1_25segmented_radix_sort_implINS0_14default_configELb1EPK6__halfPSP_PKlPlN2at6native12_GLOBAL__N_18offset_tEEE10hipError_tPvRmT1_PNSt15iterator_traitsIS13_E10value_typeET2_T3_PNS14_IS19_E10value_typeET4_jRbjT5_S1F_jjP12ihipStream_tbEUljE_ZNSN_ISO_Lb1ESR_SS_SU_SV_SZ_EES10_S11_S12_S13_S17_S18_S19_S1C_S1D_jS1E_jS1F_S1F_jjS1H_bEUljE0_EEES10_S11_S12_S19_S1D_S1F_T6_T7_T9_mT8_S1H_bDpT10_ENKUlT_T0_E_clISt17integral_constantIbLb1EES1U_IbLb0EEEEDaS1Q_S1R_EUlS1Q_E_NS1_11comp_targetILNS1_3genE2ELNS1_11target_archE906ELNS1_3gpuE6ELNS1_3repE0EEENS1_30default_config_static_selectorELNS0_4arch9wavefront6targetE1EEEvS13_ ; -- Begin function _ZN7rocprim17ROCPRIM_400000_NS6detail17trampoline_kernelINS0_13select_configILj256ELj13ELNS0_17block_load_methodE3ELS4_3ELS4_3ELNS0_20block_scan_algorithmE0ELj4294967295EEENS1_25partition_config_selectorILNS1_17partition_subalgoE4EjNS0_10empty_typeEbEEZZNS1_14partition_implILS8_4ELb0ES6_15HIP_vector_typeIjLj2EENS0_17counting_iteratorIjlEEPS9_SG_NS0_5tupleIJPjSI_NS0_16reverse_iteratorISI_EEEEENSH_IJSG_SG_SG_EEES9_SI_JZNS1_25segmented_radix_sort_implINS0_14default_configELb1EPK6__halfPSP_PKlPlN2at6native12_GLOBAL__N_18offset_tEEE10hipError_tPvRmT1_PNSt15iterator_traitsIS13_E10value_typeET2_T3_PNS14_IS19_E10value_typeET4_jRbjT5_S1F_jjP12ihipStream_tbEUljE_ZNSN_ISO_Lb1ESR_SS_SU_SV_SZ_EES10_S11_S12_S13_S17_S18_S19_S1C_S1D_jS1E_jS1F_S1F_jjS1H_bEUljE0_EEES10_S11_S12_S19_S1D_S1F_T6_T7_T9_mT8_S1H_bDpT10_ENKUlT_T0_E_clISt17integral_constantIbLb1EES1U_IbLb0EEEEDaS1Q_S1R_EUlS1Q_E_NS1_11comp_targetILNS1_3genE2ELNS1_11target_archE906ELNS1_3gpuE6ELNS1_3repE0EEENS1_30default_config_static_selectorELNS0_4arch9wavefront6targetE1EEEvS13_
	.p2align	8
	.type	_ZN7rocprim17ROCPRIM_400000_NS6detail17trampoline_kernelINS0_13select_configILj256ELj13ELNS0_17block_load_methodE3ELS4_3ELS4_3ELNS0_20block_scan_algorithmE0ELj4294967295EEENS1_25partition_config_selectorILNS1_17partition_subalgoE4EjNS0_10empty_typeEbEEZZNS1_14partition_implILS8_4ELb0ES6_15HIP_vector_typeIjLj2EENS0_17counting_iteratorIjlEEPS9_SG_NS0_5tupleIJPjSI_NS0_16reverse_iteratorISI_EEEEENSH_IJSG_SG_SG_EEES9_SI_JZNS1_25segmented_radix_sort_implINS0_14default_configELb1EPK6__halfPSP_PKlPlN2at6native12_GLOBAL__N_18offset_tEEE10hipError_tPvRmT1_PNSt15iterator_traitsIS13_E10value_typeET2_T3_PNS14_IS19_E10value_typeET4_jRbjT5_S1F_jjP12ihipStream_tbEUljE_ZNSN_ISO_Lb1ESR_SS_SU_SV_SZ_EES10_S11_S12_S13_S17_S18_S19_S1C_S1D_jS1E_jS1F_S1F_jjS1H_bEUljE0_EEES10_S11_S12_S19_S1D_S1F_T6_T7_T9_mT8_S1H_bDpT10_ENKUlT_T0_E_clISt17integral_constantIbLb1EES1U_IbLb0EEEEDaS1Q_S1R_EUlS1Q_E_NS1_11comp_targetILNS1_3genE2ELNS1_11target_archE906ELNS1_3gpuE6ELNS1_3repE0EEENS1_30default_config_static_selectorELNS0_4arch9wavefront6targetE1EEEvS13_,@function
_ZN7rocprim17ROCPRIM_400000_NS6detail17trampoline_kernelINS0_13select_configILj256ELj13ELNS0_17block_load_methodE3ELS4_3ELS4_3ELNS0_20block_scan_algorithmE0ELj4294967295EEENS1_25partition_config_selectorILNS1_17partition_subalgoE4EjNS0_10empty_typeEbEEZZNS1_14partition_implILS8_4ELb0ES6_15HIP_vector_typeIjLj2EENS0_17counting_iteratorIjlEEPS9_SG_NS0_5tupleIJPjSI_NS0_16reverse_iteratorISI_EEEEENSH_IJSG_SG_SG_EEES9_SI_JZNS1_25segmented_radix_sort_implINS0_14default_configELb1EPK6__halfPSP_PKlPlN2at6native12_GLOBAL__N_18offset_tEEE10hipError_tPvRmT1_PNSt15iterator_traitsIS13_E10value_typeET2_T3_PNS14_IS19_E10value_typeET4_jRbjT5_S1F_jjP12ihipStream_tbEUljE_ZNSN_ISO_Lb1ESR_SS_SU_SV_SZ_EES10_S11_S12_S13_S17_S18_S19_S1C_S1D_jS1E_jS1F_S1F_jjS1H_bEUljE0_EEES10_S11_S12_S19_S1D_S1F_T6_T7_T9_mT8_S1H_bDpT10_ENKUlT_T0_E_clISt17integral_constantIbLb1EES1U_IbLb0EEEEDaS1Q_S1R_EUlS1Q_E_NS1_11comp_targetILNS1_3genE2ELNS1_11target_archE906ELNS1_3gpuE6ELNS1_3repE0EEENS1_30default_config_static_selectorELNS0_4arch9wavefront6targetE1EEEvS13_: ; @_ZN7rocprim17ROCPRIM_400000_NS6detail17trampoline_kernelINS0_13select_configILj256ELj13ELNS0_17block_load_methodE3ELS4_3ELS4_3ELNS0_20block_scan_algorithmE0ELj4294967295EEENS1_25partition_config_selectorILNS1_17partition_subalgoE4EjNS0_10empty_typeEbEEZZNS1_14partition_implILS8_4ELb0ES6_15HIP_vector_typeIjLj2EENS0_17counting_iteratorIjlEEPS9_SG_NS0_5tupleIJPjSI_NS0_16reverse_iteratorISI_EEEEENSH_IJSG_SG_SG_EEES9_SI_JZNS1_25segmented_radix_sort_implINS0_14default_configELb1EPK6__halfPSP_PKlPlN2at6native12_GLOBAL__N_18offset_tEEE10hipError_tPvRmT1_PNSt15iterator_traitsIS13_E10value_typeET2_T3_PNS14_IS19_E10value_typeET4_jRbjT5_S1F_jjP12ihipStream_tbEUljE_ZNSN_ISO_Lb1ESR_SS_SU_SV_SZ_EES10_S11_S12_S13_S17_S18_S19_S1C_S1D_jS1E_jS1F_S1F_jjS1H_bEUljE0_EEES10_S11_S12_S19_S1D_S1F_T6_T7_T9_mT8_S1H_bDpT10_ENKUlT_T0_E_clISt17integral_constantIbLb1EES1U_IbLb0EEEEDaS1Q_S1R_EUlS1Q_E_NS1_11comp_targetILNS1_3genE2ELNS1_11target_archE906ELNS1_3gpuE6ELNS1_3repE0EEENS1_30default_config_static_selectorELNS0_4arch9wavefront6targetE1EEEvS13_
; %bb.0:
	.section	.rodata,"a",@progbits
	.p2align	6, 0x0
	.amdhsa_kernel _ZN7rocprim17ROCPRIM_400000_NS6detail17trampoline_kernelINS0_13select_configILj256ELj13ELNS0_17block_load_methodE3ELS4_3ELS4_3ELNS0_20block_scan_algorithmE0ELj4294967295EEENS1_25partition_config_selectorILNS1_17partition_subalgoE4EjNS0_10empty_typeEbEEZZNS1_14partition_implILS8_4ELb0ES6_15HIP_vector_typeIjLj2EENS0_17counting_iteratorIjlEEPS9_SG_NS0_5tupleIJPjSI_NS0_16reverse_iteratorISI_EEEEENSH_IJSG_SG_SG_EEES9_SI_JZNS1_25segmented_radix_sort_implINS0_14default_configELb1EPK6__halfPSP_PKlPlN2at6native12_GLOBAL__N_18offset_tEEE10hipError_tPvRmT1_PNSt15iterator_traitsIS13_E10value_typeET2_T3_PNS14_IS19_E10value_typeET4_jRbjT5_S1F_jjP12ihipStream_tbEUljE_ZNSN_ISO_Lb1ESR_SS_SU_SV_SZ_EES10_S11_S12_S13_S17_S18_S19_S1C_S1D_jS1E_jS1F_S1F_jjS1H_bEUljE0_EEES10_S11_S12_S19_S1D_S1F_T6_T7_T9_mT8_S1H_bDpT10_ENKUlT_T0_E_clISt17integral_constantIbLb1EES1U_IbLb0EEEEDaS1Q_S1R_EUlS1Q_E_NS1_11comp_targetILNS1_3genE2ELNS1_11target_archE906ELNS1_3gpuE6ELNS1_3repE0EEENS1_30default_config_static_selectorELNS0_4arch9wavefront6targetE1EEEvS13_
		.amdhsa_group_segment_fixed_size 0
		.amdhsa_private_segment_fixed_size 0
		.amdhsa_kernarg_size 176
		.amdhsa_user_sgpr_count 6
		.amdhsa_user_sgpr_private_segment_buffer 1
		.amdhsa_user_sgpr_dispatch_ptr 0
		.amdhsa_user_sgpr_queue_ptr 0
		.amdhsa_user_sgpr_kernarg_segment_ptr 1
		.amdhsa_user_sgpr_dispatch_id 0
		.amdhsa_user_sgpr_flat_scratch_init 0
		.amdhsa_user_sgpr_kernarg_preload_length 0
		.amdhsa_user_sgpr_kernarg_preload_offset 0
		.amdhsa_user_sgpr_private_segment_size 0
		.amdhsa_uses_dynamic_stack 0
		.amdhsa_system_sgpr_private_segment_wavefront_offset 0
		.amdhsa_system_sgpr_workgroup_id_x 1
		.amdhsa_system_sgpr_workgroup_id_y 0
		.amdhsa_system_sgpr_workgroup_id_z 0
		.amdhsa_system_sgpr_workgroup_info 0
		.amdhsa_system_vgpr_workitem_id 0
		.amdhsa_next_free_vgpr 1
		.amdhsa_next_free_sgpr 0
		.amdhsa_accum_offset 4
		.amdhsa_reserve_vcc 0
		.amdhsa_reserve_flat_scratch 0
		.amdhsa_float_round_mode_32 0
		.amdhsa_float_round_mode_16_64 0
		.amdhsa_float_denorm_mode_32 3
		.amdhsa_float_denorm_mode_16_64 3
		.amdhsa_dx10_clamp 1
		.amdhsa_ieee_mode 1
		.amdhsa_fp16_overflow 0
		.amdhsa_tg_split 0
		.amdhsa_exception_fp_ieee_invalid_op 0
		.amdhsa_exception_fp_denorm_src 0
		.amdhsa_exception_fp_ieee_div_zero 0
		.amdhsa_exception_fp_ieee_overflow 0
		.amdhsa_exception_fp_ieee_underflow 0
		.amdhsa_exception_fp_ieee_inexact 0
		.amdhsa_exception_int_div_zero 0
	.end_amdhsa_kernel
	.section	.text._ZN7rocprim17ROCPRIM_400000_NS6detail17trampoline_kernelINS0_13select_configILj256ELj13ELNS0_17block_load_methodE3ELS4_3ELS4_3ELNS0_20block_scan_algorithmE0ELj4294967295EEENS1_25partition_config_selectorILNS1_17partition_subalgoE4EjNS0_10empty_typeEbEEZZNS1_14partition_implILS8_4ELb0ES6_15HIP_vector_typeIjLj2EENS0_17counting_iteratorIjlEEPS9_SG_NS0_5tupleIJPjSI_NS0_16reverse_iteratorISI_EEEEENSH_IJSG_SG_SG_EEES9_SI_JZNS1_25segmented_radix_sort_implINS0_14default_configELb1EPK6__halfPSP_PKlPlN2at6native12_GLOBAL__N_18offset_tEEE10hipError_tPvRmT1_PNSt15iterator_traitsIS13_E10value_typeET2_T3_PNS14_IS19_E10value_typeET4_jRbjT5_S1F_jjP12ihipStream_tbEUljE_ZNSN_ISO_Lb1ESR_SS_SU_SV_SZ_EES10_S11_S12_S13_S17_S18_S19_S1C_S1D_jS1E_jS1F_S1F_jjS1H_bEUljE0_EEES10_S11_S12_S19_S1D_S1F_T6_T7_T9_mT8_S1H_bDpT10_ENKUlT_T0_E_clISt17integral_constantIbLb1EES1U_IbLb0EEEEDaS1Q_S1R_EUlS1Q_E_NS1_11comp_targetILNS1_3genE2ELNS1_11target_archE906ELNS1_3gpuE6ELNS1_3repE0EEENS1_30default_config_static_selectorELNS0_4arch9wavefront6targetE1EEEvS13_,"axG",@progbits,_ZN7rocprim17ROCPRIM_400000_NS6detail17trampoline_kernelINS0_13select_configILj256ELj13ELNS0_17block_load_methodE3ELS4_3ELS4_3ELNS0_20block_scan_algorithmE0ELj4294967295EEENS1_25partition_config_selectorILNS1_17partition_subalgoE4EjNS0_10empty_typeEbEEZZNS1_14partition_implILS8_4ELb0ES6_15HIP_vector_typeIjLj2EENS0_17counting_iteratorIjlEEPS9_SG_NS0_5tupleIJPjSI_NS0_16reverse_iteratorISI_EEEEENSH_IJSG_SG_SG_EEES9_SI_JZNS1_25segmented_radix_sort_implINS0_14default_configELb1EPK6__halfPSP_PKlPlN2at6native12_GLOBAL__N_18offset_tEEE10hipError_tPvRmT1_PNSt15iterator_traitsIS13_E10value_typeET2_T3_PNS14_IS19_E10value_typeET4_jRbjT5_S1F_jjP12ihipStream_tbEUljE_ZNSN_ISO_Lb1ESR_SS_SU_SV_SZ_EES10_S11_S12_S13_S17_S18_S19_S1C_S1D_jS1E_jS1F_S1F_jjS1H_bEUljE0_EEES10_S11_S12_S19_S1D_S1F_T6_T7_T9_mT8_S1H_bDpT10_ENKUlT_T0_E_clISt17integral_constantIbLb1EES1U_IbLb0EEEEDaS1Q_S1R_EUlS1Q_E_NS1_11comp_targetILNS1_3genE2ELNS1_11target_archE906ELNS1_3gpuE6ELNS1_3repE0EEENS1_30default_config_static_selectorELNS0_4arch9wavefront6targetE1EEEvS13_,comdat
.Lfunc_end1693:
	.size	_ZN7rocprim17ROCPRIM_400000_NS6detail17trampoline_kernelINS0_13select_configILj256ELj13ELNS0_17block_load_methodE3ELS4_3ELS4_3ELNS0_20block_scan_algorithmE0ELj4294967295EEENS1_25partition_config_selectorILNS1_17partition_subalgoE4EjNS0_10empty_typeEbEEZZNS1_14partition_implILS8_4ELb0ES6_15HIP_vector_typeIjLj2EENS0_17counting_iteratorIjlEEPS9_SG_NS0_5tupleIJPjSI_NS0_16reverse_iteratorISI_EEEEENSH_IJSG_SG_SG_EEES9_SI_JZNS1_25segmented_radix_sort_implINS0_14default_configELb1EPK6__halfPSP_PKlPlN2at6native12_GLOBAL__N_18offset_tEEE10hipError_tPvRmT1_PNSt15iterator_traitsIS13_E10value_typeET2_T3_PNS14_IS19_E10value_typeET4_jRbjT5_S1F_jjP12ihipStream_tbEUljE_ZNSN_ISO_Lb1ESR_SS_SU_SV_SZ_EES10_S11_S12_S13_S17_S18_S19_S1C_S1D_jS1E_jS1F_S1F_jjS1H_bEUljE0_EEES10_S11_S12_S19_S1D_S1F_T6_T7_T9_mT8_S1H_bDpT10_ENKUlT_T0_E_clISt17integral_constantIbLb1EES1U_IbLb0EEEEDaS1Q_S1R_EUlS1Q_E_NS1_11comp_targetILNS1_3genE2ELNS1_11target_archE906ELNS1_3gpuE6ELNS1_3repE0EEENS1_30default_config_static_selectorELNS0_4arch9wavefront6targetE1EEEvS13_, .Lfunc_end1693-_ZN7rocprim17ROCPRIM_400000_NS6detail17trampoline_kernelINS0_13select_configILj256ELj13ELNS0_17block_load_methodE3ELS4_3ELS4_3ELNS0_20block_scan_algorithmE0ELj4294967295EEENS1_25partition_config_selectorILNS1_17partition_subalgoE4EjNS0_10empty_typeEbEEZZNS1_14partition_implILS8_4ELb0ES6_15HIP_vector_typeIjLj2EENS0_17counting_iteratorIjlEEPS9_SG_NS0_5tupleIJPjSI_NS0_16reverse_iteratorISI_EEEEENSH_IJSG_SG_SG_EEES9_SI_JZNS1_25segmented_radix_sort_implINS0_14default_configELb1EPK6__halfPSP_PKlPlN2at6native12_GLOBAL__N_18offset_tEEE10hipError_tPvRmT1_PNSt15iterator_traitsIS13_E10value_typeET2_T3_PNS14_IS19_E10value_typeET4_jRbjT5_S1F_jjP12ihipStream_tbEUljE_ZNSN_ISO_Lb1ESR_SS_SU_SV_SZ_EES10_S11_S12_S13_S17_S18_S19_S1C_S1D_jS1E_jS1F_S1F_jjS1H_bEUljE0_EEES10_S11_S12_S19_S1D_S1F_T6_T7_T9_mT8_S1H_bDpT10_ENKUlT_T0_E_clISt17integral_constantIbLb1EES1U_IbLb0EEEEDaS1Q_S1R_EUlS1Q_E_NS1_11comp_targetILNS1_3genE2ELNS1_11target_archE906ELNS1_3gpuE6ELNS1_3repE0EEENS1_30default_config_static_selectorELNS0_4arch9wavefront6targetE1EEEvS13_
                                        ; -- End function
	.section	.AMDGPU.csdata,"",@progbits
; Kernel info:
; codeLenInByte = 0
; NumSgprs: 4
; NumVgprs: 0
; NumAgprs: 0
; TotalNumVgprs: 0
; ScratchSize: 0
; MemoryBound: 0
; FloatMode: 240
; IeeeMode: 1
; LDSByteSize: 0 bytes/workgroup (compile time only)
; SGPRBlocks: 0
; VGPRBlocks: 0
; NumSGPRsForWavesPerEU: 4
; NumVGPRsForWavesPerEU: 1
; AccumOffset: 4
; Occupancy: 8
; WaveLimiterHint : 0
; COMPUTE_PGM_RSRC2:SCRATCH_EN: 0
; COMPUTE_PGM_RSRC2:USER_SGPR: 6
; COMPUTE_PGM_RSRC2:TRAP_HANDLER: 0
; COMPUTE_PGM_RSRC2:TGID_X_EN: 1
; COMPUTE_PGM_RSRC2:TGID_Y_EN: 0
; COMPUTE_PGM_RSRC2:TGID_Z_EN: 0
; COMPUTE_PGM_RSRC2:TIDIG_COMP_CNT: 0
; COMPUTE_PGM_RSRC3_GFX90A:ACCUM_OFFSET: 0
; COMPUTE_PGM_RSRC3_GFX90A:TG_SPLIT: 0
	.section	.text._ZN7rocprim17ROCPRIM_400000_NS6detail17trampoline_kernelINS0_13select_configILj256ELj13ELNS0_17block_load_methodE3ELS4_3ELS4_3ELNS0_20block_scan_algorithmE0ELj4294967295EEENS1_25partition_config_selectorILNS1_17partition_subalgoE4EjNS0_10empty_typeEbEEZZNS1_14partition_implILS8_4ELb0ES6_15HIP_vector_typeIjLj2EENS0_17counting_iteratorIjlEEPS9_SG_NS0_5tupleIJPjSI_NS0_16reverse_iteratorISI_EEEEENSH_IJSG_SG_SG_EEES9_SI_JZNS1_25segmented_radix_sort_implINS0_14default_configELb1EPK6__halfPSP_PKlPlN2at6native12_GLOBAL__N_18offset_tEEE10hipError_tPvRmT1_PNSt15iterator_traitsIS13_E10value_typeET2_T3_PNS14_IS19_E10value_typeET4_jRbjT5_S1F_jjP12ihipStream_tbEUljE_ZNSN_ISO_Lb1ESR_SS_SU_SV_SZ_EES10_S11_S12_S13_S17_S18_S19_S1C_S1D_jS1E_jS1F_S1F_jjS1H_bEUljE0_EEES10_S11_S12_S19_S1D_S1F_T6_T7_T9_mT8_S1H_bDpT10_ENKUlT_T0_E_clISt17integral_constantIbLb1EES1U_IbLb0EEEEDaS1Q_S1R_EUlS1Q_E_NS1_11comp_targetILNS1_3genE10ELNS1_11target_archE1200ELNS1_3gpuE4ELNS1_3repE0EEENS1_30default_config_static_selectorELNS0_4arch9wavefront6targetE1EEEvS13_,"axG",@progbits,_ZN7rocprim17ROCPRIM_400000_NS6detail17trampoline_kernelINS0_13select_configILj256ELj13ELNS0_17block_load_methodE3ELS4_3ELS4_3ELNS0_20block_scan_algorithmE0ELj4294967295EEENS1_25partition_config_selectorILNS1_17partition_subalgoE4EjNS0_10empty_typeEbEEZZNS1_14partition_implILS8_4ELb0ES6_15HIP_vector_typeIjLj2EENS0_17counting_iteratorIjlEEPS9_SG_NS0_5tupleIJPjSI_NS0_16reverse_iteratorISI_EEEEENSH_IJSG_SG_SG_EEES9_SI_JZNS1_25segmented_radix_sort_implINS0_14default_configELb1EPK6__halfPSP_PKlPlN2at6native12_GLOBAL__N_18offset_tEEE10hipError_tPvRmT1_PNSt15iterator_traitsIS13_E10value_typeET2_T3_PNS14_IS19_E10value_typeET4_jRbjT5_S1F_jjP12ihipStream_tbEUljE_ZNSN_ISO_Lb1ESR_SS_SU_SV_SZ_EES10_S11_S12_S13_S17_S18_S19_S1C_S1D_jS1E_jS1F_S1F_jjS1H_bEUljE0_EEES10_S11_S12_S19_S1D_S1F_T6_T7_T9_mT8_S1H_bDpT10_ENKUlT_T0_E_clISt17integral_constantIbLb1EES1U_IbLb0EEEEDaS1Q_S1R_EUlS1Q_E_NS1_11comp_targetILNS1_3genE10ELNS1_11target_archE1200ELNS1_3gpuE4ELNS1_3repE0EEENS1_30default_config_static_selectorELNS0_4arch9wavefront6targetE1EEEvS13_,comdat
	.globl	_ZN7rocprim17ROCPRIM_400000_NS6detail17trampoline_kernelINS0_13select_configILj256ELj13ELNS0_17block_load_methodE3ELS4_3ELS4_3ELNS0_20block_scan_algorithmE0ELj4294967295EEENS1_25partition_config_selectorILNS1_17partition_subalgoE4EjNS0_10empty_typeEbEEZZNS1_14partition_implILS8_4ELb0ES6_15HIP_vector_typeIjLj2EENS0_17counting_iteratorIjlEEPS9_SG_NS0_5tupleIJPjSI_NS0_16reverse_iteratorISI_EEEEENSH_IJSG_SG_SG_EEES9_SI_JZNS1_25segmented_radix_sort_implINS0_14default_configELb1EPK6__halfPSP_PKlPlN2at6native12_GLOBAL__N_18offset_tEEE10hipError_tPvRmT1_PNSt15iterator_traitsIS13_E10value_typeET2_T3_PNS14_IS19_E10value_typeET4_jRbjT5_S1F_jjP12ihipStream_tbEUljE_ZNSN_ISO_Lb1ESR_SS_SU_SV_SZ_EES10_S11_S12_S13_S17_S18_S19_S1C_S1D_jS1E_jS1F_S1F_jjS1H_bEUljE0_EEES10_S11_S12_S19_S1D_S1F_T6_T7_T9_mT8_S1H_bDpT10_ENKUlT_T0_E_clISt17integral_constantIbLb1EES1U_IbLb0EEEEDaS1Q_S1R_EUlS1Q_E_NS1_11comp_targetILNS1_3genE10ELNS1_11target_archE1200ELNS1_3gpuE4ELNS1_3repE0EEENS1_30default_config_static_selectorELNS0_4arch9wavefront6targetE1EEEvS13_ ; -- Begin function _ZN7rocprim17ROCPRIM_400000_NS6detail17trampoline_kernelINS0_13select_configILj256ELj13ELNS0_17block_load_methodE3ELS4_3ELS4_3ELNS0_20block_scan_algorithmE0ELj4294967295EEENS1_25partition_config_selectorILNS1_17partition_subalgoE4EjNS0_10empty_typeEbEEZZNS1_14partition_implILS8_4ELb0ES6_15HIP_vector_typeIjLj2EENS0_17counting_iteratorIjlEEPS9_SG_NS0_5tupleIJPjSI_NS0_16reverse_iteratorISI_EEEEENSH_IJSG_SG_SG_EEES9_SI_JZNS1_25segmented_radix_sort_implINS0_14default_configELb1EPK6__halfPSP_PKlPlN2at6native12_GLOBAL__N_18offset_tEEE10hipError_tPvRmT1_PNSt15iterator_traitsIS13_E10value_typeET2_T3_PNS14_IS19_E10value_typeET4_jRbjT5_S1F_jjP12ihipStream_tbEUljE_ZNSN_ISO_Lb1ESR_SS_SU_SV_SZ_EES10_S11_S12_S13_S17_S18_S19_S1C_S1D_jS1E_jS1F_S1F_jjS1H_bEUljE0_EEES10_S11_S12_S19_S1D_S1F_T6_T7_T9_mT8_S1H_bDpT10_ENKUlT_T0_E_clISt17integral_constantIbLb1EES1U_IbLb0EEEEDaS1Q_S1R_EUlS1Q_E_NS1_11comp_targetILNS1_3genE10ELNS1_11target_archE1200ELNS1_3gpuE4ELNS1_3repE0EEENS1_30default_config_static_selectorELNS0_4arch9wavefront6targetE1EEEvS13_
	.p2align	8
	.type	_ZN7rocprim17ROCPRIM_400000_NS6detail17trampoline_kernelINS0_13select_configILj256ELj13ELNS0_17block_load_methodE3ELS4_3ELS4_3ELNS0_20block_scan_algorithmE0ELj4294967295EEENS1_25partition_config_selectorILNS1_17partition_subalgoE4EjNS0_10empty_typeEbEEZZNS1_14partition_implILS8_4ELb0ES6_15HIP_vector_typeIjLj2EENS0_17counting_iteratorIjlEEPS9_SG_NS0_5tupleIJPjSI_NS0_16reverse_iteratorISI_EEEEENSH_IJSG_SG_SG_EEES9_SI_JZNS1_25segmented_radix_sort_implINS0_14default_configELb1EPK6__halfPSP_PKlPlN2at6native12_GLOBAL__N_18offset_tEEE10hipError_tPvRmT1_PNSt15iterator_traitsIS13_E10value_typeET2_T3_PNS14_IS19_E10value_typeET4_jRbjT5_S1F_jjP12ihipStream_tbEUljE_ZNSN_ISO_Lb1ESR_SS_SU_SV_SZ_EES10_S11_S12_S13_S17_S18_S19_S1C_S1D_jS1E_jS1F_S1F_jjS1H_bEUljE0_EEES10_S11_S12_S19_S1D_S1F_T6_T7_T9_mT8_S1H_bDpT10_ENKUlT_T0_E_clISt17integral_constantIbLb1EES1U_IbLb0EEEEDaS1Q_S1R_EUlS1Q_E_NS1_11comp_targetILNS1_3genE10ELNS1_11target_archE1200ELNS1_3gpuE4ELNS1_3repE0EEENS1_30default_config_static_selectorELNS0_4arch9wavefront6targetE1EEEvS13_,@function
_ZN7rocprim17ROCPRIM_400000_NS6detail17trampoline_kernelINS0_13select_configILj256ELj13ELNS0_17block_load_methodE3ELS4_3ELS4_3ELNS0_20block_scan_algorithmE0ELj4294967295EEENS1_25partition_config_selectorILNS1_17partition_subalgoE4EjNS0_10empty_typeEbEEZZNS1_14partition_implILS8_4ELb0ES6_15HIP_vector_typeIjLj2EENS0_17counting_iteratorIjlEEPS9_SG_NS0_5tupleIJPjSI_NS0_16reverse_iteratorISI_EEEEENSH_IJSG_SG_SG_EEES9_SI_JZNS1_25segmented_radix_sort_implINS0_14default_configELb1EPK6__halfPSP_PKlPlN2at6native12_GLOBAL__N_18offset_tEEE10hipError_tPvRmT1_PNSt15iterator_traitsIS13_E10value_typeET2_T3_PNS14_IS19_E10value_typeET4_jRbjT5_S1F_jjP12ihipStream_tbEUljE_ZNSN_ISO_Lb1ESR_SS_SU_SV_SZ_EES10_S11_S12_S13_S17_S18_S19_S1C_S1D_jS1E_jS1F_S1F_jjS1H_bEUljE0_EEES10_S11_S12_S19_S1D_S1F_T6_T7_T9_mT8_S1H_bDpT10_ENKUlT_T0_E_clISt17integral_constantIbLb1EES1U_IbLb0EEEEDaS1Q_S1R_EUlS1Q_E_NS1_11comp_targetILNS1_3genE10ELNS1_11target_archE1200ELNS1_3gpuE4ELNS1_3repE0EEENS1_30default_config_static_selectorELNS0_4arch9wavefront6targetE1EEEvS13_: ; @_ZN7rocprim17ROCPRIM_400000_NS6detail17trampoline_kernelINS0_13select_configILj256ELj13ELNS0_17block_load_methodE3ELS4_3ELS4_3ELNS0_20block_scan_algorithmE0ELj4294967295EEENS1_25partition_config_selectorILNS1_17partition_subalgoE4EjNS0_10empty_typeEbEEZZNS1_14partition_implILS8_4ELb0ES6_15HIP_vector_typeIjLj2EENS0_17counting_iteratorIjlEEPS9_SG_NS0_5tupleIJPjSI_NS0_16reverse_iteratorISI_EEEEENSH_IJSG_SG_SG_EEES9_SI_JZNS1_25segmented_radix_sort_implINS0_14default_configELb1EPK6__halfPSP_PKlPlN2at6native12_GLOBAL__N_18offset_tEEE10hipError_tPvRmT1_PNSt15iterator_traitsIS13_E10value_typeET2_T3_PNS14_IS19_E10value_typeET4_jRbjT5_S1F_jjP12ihipStream_tbEUljE_ZNSN_ISO_Lb1ESR_SS_SU_SV_SZ_EES10_S11_S12_S13_S17_S18_S19_S1C_S1D_jS1E_jS1F_S1F_jjS1H_bEUljE0_EEES10_S11_S12_S19_S1D_S1F_T6_T7_T9_mT8_S1H_bDpT10_ENKUlT_T0_E_clISt17integral_constantIbLb1EES1U_IbLb0EEEEDaS1Q_S1R_EUlS1Q_E_NS1_11comp_targetILNS1_3genE10ELNS1_11target_archE1200ELNS1_3gpuE4ELNS1_3repE0EEENS1_30default_config_static_selectorELNS0_4arch9wavefront6targetE1EEEvS13_
; %bb.0:
	.section	.rodata,"a",@progbits
	.p2align	6, 0x0
	.amdhsa_kernel _ZN7rocprim17ROCPRIM_400000_NS6detail17trampoline_kernelINS0_13select_configILj256ELj13ELNS0_17block_load_methodE3ELS4_3ELS4_3ELNS0_20block_scan_algorithmE0ELj4294967295EEENS1_25partition_config_selectorILNS1_17partition_subalgoE4EjNS0_10empty_typeEbEEZZNS1_14partition_implILS8_4ELb0ES6_15HIP_vector_typeIjLj2EENS0_17counting_iteratorIjlEEPS9_SG_NS0_5tupleIJPjSI_NS0_16reverse_iteratorISI_EEEEENSH_IJSG_SG_SG_EEES9_SI_JZNS1_25segmented_radix_sort_implINS0_14default_configELb1EPK6__halfPSP_PKlPlN2at6native12_GLOBAL__N_18offset_tEEE10hipError_tPvRmT1_PNSt15iterator_traitsIS13_E10value_typeET2_T3_PNS14_IS19_E10value_typeET4_jRbjT5_S1F_jjP12ihipStream_tbEUljE_ZNSN_ISO_Lb1ESR_SS_SU_SV_SZ_EES10_S11_S12_S13_S17_S18_S19_S1C_S1D_jS1E_jS1F_S1F_jjS1H_bEUljE0_EEES10_S11_S12_S19_S1D_S1F_T6_T7_T9_mT8_S1H_bDpT10_ENKUlT_T0_E_clISt17integral_constantIbLb1EES1U_IbLb0EEEEDaS1Q_S1R_EUlS1Q_E_NS1_11comp_targetILNS1_3genE10ELNS1_11target_archE1200ELNS1_3gpuE4ELNS1_3repE0EEENS1_30default_config_static_selectorELNS0_4arch9wavefront6targetE1EEEvS13_
		.amdhsa_group_segment_fixed_size 0
		.amdhsa_private_segment_fixed_size 0
		.amdhsa_kernarg_size 176
		.amdhsa_user_sgpr_count 6
		.amdhsa_user_sgpr_private_segment_buffer 1
		.amdhsa_user_sgpr_dispatch_ptr 0
		.amdhsa_user_sgpr_queue_ptr 0
		.amdhsa_user_sgpr_kernarg_segment_ptr 1
		.amdhsa_user_sgpr_dispatch_id 0
		.amdhsa_user_sgpr_flat_scratch_init 0
		.amdhsa_user_sgpr_kernarg_preload_length 0
		.amdhsa_user_sgpr_kernarg_preload_offset 0
		.amdhsa_user_sgpr_private_segment_size 0
		.amdhsa_uses_dynamic_stack 0
		.amdhsa_system_sgpr_private_segment_wavefront_offset 0
		.amdhsa_system_sgpr_workgroup_id_x 1
		.amdhsa_system_sgpr_workgroup_id_y 0
		.amdhsa_system_sgpr_workgroup_id_z 0
		.amdhsa_system_sgpr_workgroup_info 0
		.amdhsa_system_vgpr_workitem_id 0
		.amdhsa_next_free_vgpr 1
		.amdhsa_next_free_sgpr 0
		.amdhsa_accum_offset 4
		.amdhsa_reserve_vcc 0
		.amdhsa_reserve_flat_scratch 0
		.amdhsa_float_round_mode_32 0
		.amdhsa_float_round_mode_16_64 0
		.amdhsa_float_denorm_mode_32 3
		.amdhsa_float_denorm_mode_16_64 3
		.amdhsa_dx10_clamp 1
		.amdhsa_ieee_mode 1
		.amdhsa_fp16_overflow 0
		.amdhsa_tg_split 0
		.amdhsa_exception_fp_ieee_invalid_op 0
		.amdhsa_exception_fp_denorm_src 0
		.amdhsa_exception_fp_ieee_div_zero 0
		.amdhsa_exception_fp_ieee_overflow 0
		.amdhsa_exception_fp_ieee_underflow 0
		.amdhsa_exception_fp_ieee_inexact 0
		.amdhsa_exception_int_div_zero 0
	.end_amdhsa_kernel
	.section	.text._ZN7rocprim17ROCPRIM_400000_NS6detail17trampoline_kernelINS0_13select_configILj256ELj13ELNS0_17block_load_methodE3ELS4_3ELS4_3ELNS0_20block_scan_algorithmE0ELj4294967295EEENS1_25partition_config_selectorILNS1_17partition_subalgoE4EjNS0_10empty_typeEbEEZZNS1_14partition_implILS8_4ELb0ES6_15HIP_vector_typeIjLj2EENS0_17counting_iteratorIjlEEPS9_SG_NS0_5tupleIJPjSI_NS0_16reverse_iteratorISI_EEEEENSH_IJSG_SG_SG_EEES9_SI_JZNS1_25segmented_radix_sort_implINS0_14default_configELb1EPK6__halfPSP_PKlPlN2at6native12_GLOBAL__N_18offset_tEEE10hipError_tPvRmT1_PNSt15iterator_traitsIS13_E10value_typeET2_T3_PNS14_IS19_E10value_typeET4_jRbjT5_S1F_jjP12ihipStream_tbEUljE_ZNSN_ISO_Lb1ESR_SS_SU_SV_SZ_EES10_S11_S12_S13_S17_S18_S19_S1C_S1D_jS1E_jS1F_S1F_jjS1H_bEUljE0_EEES10_S11_S12_S19_S1D_S1F_T6_T7_T9_mT8_S1H_bDpT10_ENKUlT_T0_E_clISt17integral_constantIbLb1EES1U_IbLb0EEEEDaS1Q_S1R_EUlS1Q_E_NS1_11comp_targetILNS1_3genE10ELNS1_11target_archE1200ELNS1_3gpuE4ELNS1_3repE0EEENS1_30default_config_static_selectorELNS0_4arch9wavefront6targetE1EEEvS13_,"axG",@progbits,_ZN7rocprim17ROCPRIM_400000_NS6detail17trampoline_kernelINS0_13select_configILj256ELj13ELNS0_17block_load_methodE3ELS4_3ELS4_3ELNS0_20block_scan_algorithmE0ELj4294967295EEENS1_25partition_config_selectorILNS1_17partition_subalgoE4EjNS0_10empty_typeEbEEZZNS1_14partition_implILS8_4ELb0ES6_15HIP_vector_typeIjLj2EENS0_17counting_iteratorIjlEEPS9_SG_NS0_5tupleIJPjSI_NS0_16reverse_iteratorISI_EEEEENSH_IJSG_SG_SG_EEES9_SI_JZNS1_25segmented_radix_sort_implINS0_14default_configELb1EPK6__halfPSP_PKlPlN2at6native12_GLOBAL__N_18offset_tEEE10hipError_tPvRmT1_PNSt15iterator_traitsIS13_E10value_typeET2_T3_PNS14_IS19_E10value_typeET4_jRbjT5_S1F_jjP12ihipStream_tbEUljE_ZNSN_ISO_Lb1ESR_SS_SU_SV_SZ_EES10_S11_S12_S13_S17_S18_S19_S1C_S1D_jS1E_jS1F_S1F_jjS1H_bEUljE0_EEES10_S11_S12_S19_S1D_S1F_T6_T7_T9_mT8_S1H_bDpT10_ENKUlT_T0_E_clISt17integral_constantIbLb1EES1U_IbLb0EEEEDaS1Q_S1R_EUlS1Q_E_NS1_11comp_targetILNS1_3genE10ELNS1_11target_archE1200ELNS1_3gpuE4ELNS1_3repE0EEENS1_30default_config_static_selectorELNS0_4arch9wavefront6targetE1EEEvS13_,comdat
.Lfunc_end1694:
	.size	_ZN7rocprim17ROCPRIM_400000_NS6detail17trampoline_kernelINS0_13select_configILj256ELj13ELNS0_17block_load_methodE3ELS4_3ELS4_3ELNS0_20block_scan_algorithmE0ELj4294967295EEENS1_25partition_config_selectorILNS1_17partition_subalgoE4EjNS0_10empty_typeEbEEZZNS1_14partition_implILS8_4ELb0ES6_15HIP_vector_typeIjLj2EENS0_17counting_iteratorIjlEEPS9_SG_NS0_5tupleIJPjSI_NS0_16reverse_iteratorISI_EEEEENSH_IJSG_SG_SG_EEES9_SI_JZNS1_25segmented_radix_sort_implINS0_14default_configELb1EPK6__halfPSP_PKlPlN2at6native12_GLOBAL__N_18offset_tEEE10hipError_tPvRmT1_PNSt15iterator_traitsIS13_E10value_typeET2_T3_PNS14_IS19_E10value_typeET4_jRbjT5_S1F_jjP12ihipStream_tbEUljE_ZNSN_ISO_Lb1ESR_SS_SU_SV_SZ_EES10_S11_S12_S13_S17_S18_S19_S1C_S1D_jS1E_jS1F_S1F_jjS1H_bEUljE0_EEES10_S11_S12_S19_S1D_S1F_T6_T7_T9_mT8_S1H_bDpT10_ENKUlT_T0_E_clISt17integral_constantIbLb1EES1U_IbLb0EEEEDaS1Q_S1R_EUlS1Q_E_NS1_11comp_targetILNS1_3genE10ELNS1_11target_archE1200ELNS1_3gpuE4ELNS1_3repE0EEENS1_30default_config_static_selectorELNS0_4arch9wavefront6targetE1EEEvS13_, .Lfunc_end1694-_ZN7rocprim17ROCPRIM_400000_NS6detail17trampoline_kernelINS0_13select_configILj256ELj13ELNS0_17block_load_methodE3ELS4_3ELS4_3ELNS0_20block_scan_algorithmE0ELj4294967295EEENS1_25partition_config_selectorILNS1_17partition_subalgoE4EjNS0_10empty_typeEbEEZZNS1_14partition_implILS8_4ELb0ES6_15HIP_vector_typeIjLj2EENS0_17counting_iteratorIjlEEPS9_SG_NS0_5tupleIJPjSI_NS0_16reverse_iteratorISI_EEEEENSH_IJSG_SG_SG_EEES9_SI_JZNS1_25segmented_radix_sort_implINS0_14default_configELb1EPK6__halfPSP_PKlPlN2at6native12_GLOBAL__N_18offset_tEEE10hipError_tPvRmT1_PNSt15iterator_traitsIS13_E10value_typeET2_T3_PNS14_IS19_E10value_typeET4_jRbjT5_S1F_jjP12ihipStream_tbEUljE_ZNSN_ISO_Lb1ESR_SS_SU_SV_SZ_EES10_S11_S12_S13_S17_S18_S19_S1C_S1D_jS1E_jS1F_S1F_jjS1H_bEUljE0_EEES10_S11_S12_S19_S1D_S1F_T6_T7_T9_mT8_S1H_bDpT10_ENKUlT_T0_E_clISt17integral_constantIbLb1EES1U_IbLb0EEEEDaS1Q_S1R_EUlS1Q_E_NS1_11comp_targetILNS1_3genE10ELNS1_11target_archE1200ELNS1_3gpuE4ELNS1_3repE0EEENS1_30default_config_static_selectorELNS0_4arch9wavefront6targetE1EEEvS13_
                                        ; -- End function
	.section	.AMDGPU.csdata,"",@progbits
; Kernel info:
; codeLenInByte = 0
; NumSgprs: 4
; NumVgprs: 0
; NumAgprs: 0
; TotalNumVgprs: 0
; ScratchSize: 0
; MemoryBound: 0
; FloatMode: 240
; IeeeMode: 1
; LDSByteSize: 0 bytes/workgroup (compile time only)
; SGPRBlocks: 0
; VGPRBlocks: 0
; NumSGPRsForWavesPerEU: 4
; NumVGPRsForWavesPerEU: 1
; AccumOffset: 4
; Occupancy: 8
; WaveLimiterHint : 0
; COMPUTE_PGM_RSRC2:SCRATCH_EN: 0
; COMPUTE_PGM_RSRC2:USER_SGPR: 6
; COMPUTE_PGM_RSRC2:TRAP_HANDLER: 0
; COMPUTE_PGM_RSRC2:TGID_X_EN: 1
; COMPUTE_PGM_RSRC2:TGID_Y_EN: 0
; COMPUTE_PGM_RSRC2:TGID_Z_EN: 0
; COMPUTE_PGM_RSRC2:TIDIG_COMP_CNT: 0
; COMPUTE_PGM_RSRC3_GFX90A:ACCUM_OFFSET: 0
; COMPUTE_PGM_RSRC3_GFX90A:TG_SPLIT: 0
	.section	.text._ZN7rocprim17ROCPRIM_400000_NS6detail17trampoline_kernelINS0_13select_configILj256ELj13ELNS0_17block_load_methodE3ELS4_3ELS4_3ELNS0_20block_scan_algorithmE0ELj4294967295EEENS1_25partition_config_selectorILNS1_17partition_subalgoE4EjNS0_10empty_typeEbEEZZNS1_14partition_implILS8_4ELb0ES6_15HIP_vector_typeIjLj2EENS0_17counting_iteratorIjlEEPS9_SG_NS0_5tupleIJPjSI_NS0_16reverse_iteratorISI_EEEEENSH_IJSG_SG_SG_EEES9_SI_JZNS1_25segmented_radix_sort_implINS0_14default_configELb1EPK6__halfPSP_PKlPlN2at6native12_GLOBAL__N_18offset_tEEE10hipError_tPvRmT1_PNSt15iterator_traitsIS13_E10value_typeET2_T3_PNS14_IS19_E10value_typeET4_jRbjT5_S1F_jjP12ihipStream_tbEUljE_ZNSN_ISO_Lb1ESR_SS_SU_SV_SZ_EES10_S11_S12_S13_S17_S18_S19_S1C_S1D_jS1E_jS1F_S1F_jjS1H_bEUljE0_EEES10_S11_S12_S19_S1D_S1F_T6_T7_T9_mT8_S1H_bDpT10_ENKUlT_T0_E_clISt17integral_constantIbLb1EES1U_IbLb0EEEEDaS1Q_S1R_EUlS1Q_E_NS1_11comp_targetILNS1_3genE9ELNS1_11target_archE1100ELNS1_3gpuE3ELNS1_3repE0EEENS1_30default_config_static_selectorELNS0_4arch9wavefront6targetE1EEEvS13_,"axG",@progbits,_ZN7rocprim17ROCPRIM_400000_NS6detail17trampoline_kernelINS0_13select_configILj256ELj13ELNS0_17block_load_methodE3ELS4_3ELS4_3ELNS0_20block_scan_algorithmE0ELj4294967295EEENS1_25partition_config_selectorILNS1_17partition_subalgoE4EjNS0_10empty_typeEbEEZZNS1_14partition_implILS8_4ELb0ES6_15HIP_vector_typeIjLj2EENS0_17counting_iteratorIjlEEPS9_SG_NS0_5tupleIJPjSI_NS0_16reverse_iteratorISI_EEEEENSH_IJSG_SG_SG_EEES9_SI_JZNS1_25segmented_radix_sort_implINS0_14default_configELb1EPK6__halfPSP_PKlPlN2at6native12_GLOBAL__N_18offset_tEEE10hipError_tPvRmT1_PNSt15iterator_traitsIS13_E10value_typeET2_T3_PNS14_IS19_E10value_typeET4_jRbjT5_S1F_jjP12ihipStream_tbEUljE_ZNSN_ISO_Lb1ESR_SS_SU_SV_SZ_EES10_S11_S12_S13_S17_S18_S19_S1C_S1D_jS1E_jS1F_S1F_jjS1H_bEUljE0_EEES10_S11_S12_S19_S1D_S1F_T6_T7_T9_mT8_S1H_bDpT10_ENKUlT_T0_E_clISt17integral_constantIbLb1EES1U_IbLb0EEEEDaS1Q_S1R_EUlS1Q_E_NS1_11comp_targetILNS1_3genE9ELNS1_11target_archE1100ELNS1_3gpuE3ELNS1_3repE0EEENS1_30default_config_static_selectorELNS0_4arch9wavefront6targetE1EEEvS13_,comdat
	.globl	_ZN7rocprim17ROCPRIM_400000_NS6detail17trampoline_kernelINS0_13select_configILj256ELj13ELNS0_17block_load_methodE3ELS4_3ELS4_3ELNS0_20block_scan_algorithmE0ELj4294967295EEENS1_25partition_config_selectorILNS1_17partition_subalgoE4EjNS0_10empty_typeEbEEZZNS1_14partition_implILS8_4ELb0ES6_15HIP_vector_typeIjLj2EENS0_17counting_iteratorIjlEEPS9_SG_NS0_5tupleIJPjSI_NS0_16reverse_iteratorISI_EEEEENSH_IJSG_SG_SG_EEES9_SI_JZNS1_25segmented_radix_sort_implINS0_14default_configELb1EPK6__halfPSP_PKlPlN2at6native12_GLOBAL__N_18offset_tEEE10hipError_tPvRmT1_PNSt15iterator_traitsIS13_E10value_typeET2_T3_PNS14_IS19_E10value_typeET4_jRbjT5_S1F_jjP12ihipStream_tbEUljE_ZNSN_ISO_Lb1ESR_SS_SU_SV_SZ_EES10_S11_S12_S13_S17_S18_S19_S1C_S1D_jS1E_jS1F_S1F_jjS1H_bEUljE0_EEES10_S11_S12_S19_S1D_S1F_T6_T7_T9_mT8_S1H_bDpT10_ENKUlT_T0_E_clISt17integral_constantIbLb1EES1U_IbLb0EEEEDaS1Q_S1R_EUlS1Q_E_NS1_11comp_targetILNS1_3genE9ELNS1_11target_archE1100ELNS1_3gpuE3ELNS1_3repE0EEENS1_30default_config_static_selectorELNS0_4arch9wavefront6targetE1EEEvS13_ ; -- Begin function _ZN7rocprim17ROCPRIM_400000_NS6detail17trampoline_kernelINS0_13select_configILj256ELj13ELNS0_17block_load_methodE3ELS4_3ELS4_3ELNS0_20block_scan_algorithmE0ELj4294967295EEENS1_25partition_config_selectorILNS1_17partition_subalgoE4EjNS0_10empty_typeEbEEZZNS1_14partition_implILS8_4ELb0ES6_15HIP_vector_typeIjLj2EENS0_17counting_iteratorIjlEEPS9_SG_NS0_5tupleIJPjSI_NS0_16reverse_iteratorISI_EEEEENSH_IJSG_SG_SG_EEES9_SI_JZNS1_25segmented_radix_sort_implINS0_14default_configELb1EPK6__halfPSP_PKlPlN2at6native12_GLOBAL__N_18offset_tEEE10hipError_tPvRmT1_PNSt15iterator_traitsIS13_E10value_typeET2_T3_PNS14_IS19_E10value_typeET4_jRbjT5_S1F_jjP12ihipStream_tbEUljE_ZNSN_ISO_Lb1ESR_SS_SU_SV_SZ_EES10_S11_S12_S13_S17_S18_S19_S1C_S1D_jS1E_jS1F_S1F_jjS1H_bEUljE0_EEES10_S11_S12_S19_S1D_S1F_T6_T7_T9_mT8_S1H_bDpT10_ENKUlT_T0_E_clISt17integral_constantIbLb1EES1U_IbLb0EEEEDaS1Q_S1R_EUlS1Q_E_NS1_11comp_targetILNS1_3genE9ELNS1_11target_archE1100ELNS1_3gpuE3ELNS1_3repE0EEENS1_30default_config_static_selectorELNS0_4arch9wavefront6targetE1EEEvS13_
	.p2align	8
	.type	_ZN7rocprim17ROCPRIM_400000_NS6detail17trampoline_kernelINS0_13select_configILj256ELj13ELNS0_17block_load_methodE3ELS4_3ELS4_3ELNS0_20block_scan_algorithmE0ELj4294967295EEENS1_25partition_config_selectorILNS1_17partition_subalgoE4EjNS0_10empty_typeEbEEZZNS1_14partition_implILS8_4ELb0ES6_15HIP_vector_typeIjLj2EENS0_17counting_iteratorIjlEEPS9_SG_NS0_5tupleIJPjSI_NS0_16reverse_iteratorISI_EEEEENSH_IJSG_SG_SG_EEES9_SI_JZNS1_25segmented_radix_sort_implINS0_14default_configELb1EPK6__halfPSP_PKlPlN2at6native12_GLOBAL__N_18offset_tEEE10hipError_tPvRmT1_PNSt15iterator_traitsIS13_E10value_typeET2_T3_PNS14_IS19_E10value_typeET4_jRbjT5_S1F_jjP12ihipStream_tbEUljE_ZNSN_ISO_Lb1ESR_SS_SU_SV_SZ_EES10_S11_S12_S13_S17_S18_S19_S1C_S1D_jS1E_jS1F_S1F_jjS1H_bEUljE0_EEES10_S11_S12_S19_S1D_S1F_T6_T7_T9_mT8_S1H_bDpT10_ENKUlT_T0_E_clISt17integral_constantIbLb1EES1U_IbLb0EEEEDaS1Q_S1R_EUlS1Q_E_NS1_11comp_targetILNS1_3genE9ELNS1_11target_archE1100ELNS1_3gpuE3ELNS1_3repE0EEENS1_30default_config_static_selectorELNS0_4arch9wavefront6targetE1EEEvS13_,@function
_ZN7rocprim17ROCPRIM_400000_NS6detail17trampoline_kernelINS0_13select_configILj256ELj13ELNS0_17block_load_methodE3ELS4_3ELS4_3ELNS0_20block_scan_algorithmE0ELj4294967295EEENS1_25partition_config_selectorILNS1_17partition_subalgoE4EjNS0_10empty_typeEbEEZZNS1_14partition_implILS8_4ELb0ES6_15HIP_vector_typeIjLj2EENS0_17counting_iteratorIjlEEPS9_SG_NS0_5tupleIJPjSI_NS0_16reverse_iteratorISI_EEEEENSH_IJSG_SG_SG_EEES9_SI_JZNS1_25segmented_radix_sort_implINS0_14default_configELb1EPK6__halfPSP_PKlPlN2at6native12_GLOBAL__N_18offset_tEEE10hipError_tPvRmT1_PNSt15iterator_traitsIS13_E10value_typeET2_T3_PNS14_IS19_E10value_typeET4_jRbjT5_S1F_jjP12ihipStream_tbEUljE_ZNSN_ISO_Lb1ESR_SS_SU_SV_SZ_EES10_S11_S12_S13_S17_S18_S19_S1C_S1D_jS1E_jS1F_S1F_jjS1H_bEUljE0_EEES10_S11_S12_S19_S1D_S1F_T6_T7_T9_mT8_S1H_bDpT10_ENKUlT_T0_E_clISt17integral_constantIbLb1EES1U_IbLb0EEEEDaS1Q_S1R_EUlS1Q_E_NS1_11comp_targetILNS1_3genE9ELNS1_11target_archE1100ELNS1_3gpuE3ELNS1_3repE0EEENS1_30default_config_static_selectorELNS0_4arch9wavefront6targetE1EEEvS13_: ; @_ZN7rocprim17ROCPRIM_400000_NS6detail17trampoline_kernelINS0_13select_configILj256ELj13ELNS0_17block_load_methodE3ELS4_3ELS4_3ELNS0_20block_scan_algorithmE0ELj4294967295EEENS1_25partition_config_selectorILNS1_17partition_subalgoE4EjNS0_10empty_typeEbEEZZNS1_14partition_implILS8_4ELb0ES6_15HIP_vector_typeIjLj2EENS0_17counting_iteratorIjlEEPS9_SG_NS0_5tupleIJPjSI_NS0_16reverse_iteratorISI_EEEEENSH_IJSG_SG_SG_EEES9_SI_JZNS1_25segmented_radix_sort_implINS0_14default_configELb1EPK6__halfPSP_PKlPlN2at6native12_GLOBAL__N_18offset_tEEE10hipError_tPvRmT1_PNSt15iterator_traitsIS13_E10value_typeET2_T3_PNS14_IS19_E10value_typeET4_jRbjT5_S1F_jjP12ihipStream_tbEUljE_ZNSN_ISO_Lb1ESR_SS_SU_SV_SZ_EES10_S11_S12_S13_S17_S18_S19_S1C_S1D_jS1E_jS1F_S1F_jjS1H_bEUljE0_EEES10_S11_S12_S19_S1D_S1F_T6_T7_T9_mT8_S1H_bDpT10_ENKUlT_T0_E_clISt17integral_constantIbLb1EES1U_IbLb0EEEEDaS1Q_S1R_EUlS1Q_E_NS1_11comp_targetILNS1_3genE9ELNS1_11target_archE1100ELNS1_3gpuE3ELNS1_3repE0EEENS1_30default_config_static_selectorELNS0_4arch9wavefront6targetE1EEEvS13_
; %bb.0:
	.section	.rodata,"a",@progbits
	.p2align	6, 0x0
	.amdhsa_kernel _ZN7rocprim17ROCPRIM_400000_NS6detail17trampoline_kernelINS0_13select_configILj256ELj13ELNS0_17block_load_methodE3ELS4_3ELS4_3ELNS0_20block_scan_algorithmE0ELj4294967295EEENS1_25partition_config_selectorILNS1_17partition_subalgoE4EjNS0_10empty_typeEbEEZZNS1_14partition_implILS8_4ELb0ES6_15HIP_vector_typeIjLj2EENS0_17counting_iteratorIjlEEPS9_SG_NS0_5tupleIJPjSI_NS0_16reverse_iteratorISI_EEEEENSH_IJSG_SG_SG_EEES9_SI_JZNS1_25segmented_radix_sort_implINS0_14default_configELb1EPK6__halfPSP_PKlPlN2at6native12_GLOBAL__N_18offset_tEEE10hipError_tPvRmT1_PNSt15iterator_traitsIS13_E10value_typeET2_T3_PNS14_IS19_E10value_typeET4_jRbjT5_S1F_jjP12ihipStream_tbEUljE_ZNSN_ISO_Lb1ESR_SS_SU_SV_SZ_EES10_S11_S12_S13_S17_S18_S19_S1C_S1D_jS1E_jS1F_S1F_jjS1H_bEUljE0_EEES10_S11_S12_S19_S1D_S1F_T6_T7_T9_mT8_S1H_bDpT10_ENKUlT_T0_E_clISt17integral_constantIbLb1EES1U_IbLb0EEEEDaS1Q_S1R_EUlS1Q_E_NS1_11comp_targetILNS1_3genE9ELNS1_11target_archE1100ELNS1_3gpuE3ELNS1_3repE0EEENS1_30default_config_static_selectorELNS0_4arch9wavefront6targetE1EEEvS13_
		.amdhsa_group_segment_fixed_size 0
		.amdhsa_private_segment_fixed_size 0
		.amdhsa_kernarg_size 176
		.amdhsa_user_sgpr_count 6
		.amdhsa_user_sgpr_private_segment_buffer 1
		.amdhsa_user_sgpr_dispatch_ptr 0
		.amdhsa_user_sgpr_queue_ptr 0
		.amdhsa_user_sgpr_kernarg_segment_ptr 1
		.amdhsa_user_sgpr_dispatch_id 0
		.amdhsa_user_sgpr_flat_scratch_init 0
		.amdhsa_user_sgpr_kernarg_preload_length 0
		.amdhsa_user_sgpr_kernarg_preload_offset 0
		.amdhsa_user_sgpr_private_segment_size 0
		.amdhsa_uses_dynamic_stack 0
		.amdhsa_system_sgpr_private_segment_wavefront_offset 0
		.amdhsa_system_sgpr_workgroup_id_x 1
		.amdhsa_system_sgpr_workgroup_id_y 0
		.amdhsa_system_sgpr_workgroup_id_z 0
		.amdhsa_system_sgpr_workgroup_info 0
		.amdhsa_system_vgpr_workitem_id 0
		.amdhsa_next_free_vgpr 1
		.amdhsa_next_free_sgpr 0
		.amdhsa_accum_offset 4
		.amdhsa_reserve_vcc 0
		.amdhsa_reserve_flat_scratch 0
		.amdhsa_float_round_mode_32 0
		.amdhsa_float_round_mode_16_64 0
		.amdhsa_float_denorm_mode_32 3
		.amdhsa_float_denorm_mode_16_64 3
		.amdhsa_dx10_clamp 1
		.amdhsa_ieee_mode 1
		.amdhsa_fp16_overflow 0
		.amdhsa_tg_split 0
		.amdhsa_exception_fp_ieee_invalid_op 0
		.amdhsa_exception_fp_denorm_src 0
		.amdhsa_exception_fp_ieee_div_zero 0
		.amdhsa_exception_fp_ieee_overflow 0
		.amdhsa_exception_fp_ieee_underflow 0
		.amdhsa_exception_fp_ieee_inexact 0
		.amdhsa_exception_int_div_zero 0
	.end_amdhsa_kernel
	.section	.text._ZN7rocprim17ROCPRIM_400000_NS6detail17trampoline_kernelINS0_13select_configILj256ELj13ELNS0_17block_load_methodE3ELS4_3ELS4_3ELNS0_20block_scan_algorithmE0ELj4294967295EEENS1_25partition_config_selectorILNS1_17partition_subalgoE4EjNS0_10empty_typeEbEEZZNS1_14partition_implILS8_4ELb0ES6_15HIP_vector_typeIjLj2EENS0_17counting_iteratorIjlEEPS9_SG_NS0_5tupleIJPjSI_NS0_16reverse_iteratorISI_EEEEENSH_IJSG_SG_SG_EEES9_SI_JZNS1_25segmented_radix_sort_implINS0_14default_configELb1EPK6__halfPSP_PKlPlN2at6native12_GLOBAL__N_18offset_tEEE10hipError_tPvRmT1_PNSt15iterator_traitsIS13_E10value_typeET2_T3_PNS14_IS19_E10value_typeET4_jRbjT5_S1F_jjP12ihipStream_tbEUljE_ZNSN_ISO_Lb1ESR_SS_SU_SV_SZ_EES10_S11_S12_S13_S17_S18_S19_S1C_S1D_jS1E_jS1F_S1F_jjS1H_bEUljE0_EEES10_S11_S12_S19_S1D_S1F_T6_T7_T9_mT8_S1H_bDpT10_ENKUlT_T0_E_clISt17integral_constantIbLb1EES1U_IbLb0EEEEDaS1Q_S1R_EUlS1Q_E_NS1_11comp_targetILNS1_3genE9ELNS1_11target_archE1100ELNS1_3gpuE3ELNS1_3repE0EEENS1_30default_config_static_selectorELNS0_4arch9wavefront6targetE1EEEvS13_,"axG",@progbits,_ZN7rocprim17ROCPRIM_400000_NS6detail17trampoline_kernelINS0_13select_configILj256ELj13ELNS0_17block_load_methodE3ELS4_3ELS4_3ELNS0_20block_scan_algorithmE0ELj4294967295EEENS1_25partition_config_selectorILNS1_17partition_subalgoE4EjNS0_10empty_typeEbEEZZNS1_14partition_implILS8_4ELb0ES6_15HIP_vector_typeIjLj2EENS0_17counting_iteratorIjlEEPS9_SG_NS0_5tupleIJPjSI_NS0_16reverse_iteratorISI_EEEEENSH_IJSG_SG_SG_EEES9_SI_JZNS1_25segmented_radix_sort_implINS0_14default_configELb1EPK6__halfPSP_PKlPlN2at6native12_GLOBAL__N_18offset_tEEE10hipError_tPvRmT1_PNSt15iterator_traitsIS13_E10value_typeET2_T3_PNS14_IS19_E10value_typeET4_jRbjT5_S1F_jjP12ihipStream_tbEUljE_ZNSN_ISO_Lb1ESR_SS_SU_SV_SZ_EES10_S11_S12_S13_S17_S18_S19_S1C_S1D_jS1E_jS1F_S1F_jjS1H_bEUljE0_EEES10_S11_S12_S19_S1D_S1F_T6_T7_T9_mT8_S1H_bDpT10_ENKUlT_T0_E_clISt17integral_constantIbLb1EES1U_IbLb0EEEEDaS1Q_S1R_EUlS1Q_E_NS1_11comp_targetILNS1_3genE9ELNS1_11target_archE1100ELNS1_3gpuE3ELNS1_3repE0EEENS1_30default_config_static_selectorELNS0_4arch9wavefront6targetE1EEEvS13_,comdat
.Lfunc_end1695:
	.size	_ZN7rocprim17ROCPRIM_400000_NS6detail17trampoline_kernelINS0_13select_configILj256ELj13ELNS0_17block_load_methodE3ELS4_3ELS4_3ELNS0_20block_scan_algorithmE0ELj4294967295EEENS1_25partition_config_selectorILNS1_17partition_subalgoE4EjNS0_10empty_typeEbEEZZNS1_14partition_implILS8_4ELb0ES6_15HIP_vector_typeIjLj2EENS0_17counting_iteratorIjlEEPS9_SG_NS0_5tupleIJPjSI_NS0_16reverse_iteratorISI_EEEEENSH_IJSG_SG_SG_EEES9_SI_JZNS1_25segmented_radix_sort_implINS0_14default_configELb1EPK6__halfPSP_PKlPlN2at6native12_GLOBAL__N_18offset_tEEE10hipError_tPvRmT1_PNSt15iterator_traitsIS13_E10value_typeET2_T3_PNS14_IS19_E10value_typeET4_jRbjT5_S1F_jjP12ihipStream_tbEUljE_ZNSN_ISO_Lb1ESR_SS_SU_SV_SZ_EES10_S11_S12_S13_S17_S18_S19_S1C_S1D_jS1E_jS1F_S1F_jjS1H_bEUljE0_EEES10_S11_S12_S19_S1D_S1F_T6_T7_T9_mT8_S1H_bDpT10_ENKUlT_T0_E_clISt17integral_constantIbLb1EES1U_IbLb0EEEEDaS1Q_S1R_EUlS1Q_E_NS1_11comp_targetILNS1_3genE9ELNS1_11target_archE1100ELNS1_3gpuE3ELNS1_3repE0EEENS1_30default_config_static_selectorELNS0_4arch9wavefront6targetE1EEEvS13_, .Lfunc_end1695-_ZN7rocprim17ROCPRIM_400000_NS6detail17trampoline_kernelINS0_13select_configILj256ELj13ELNS0_17block_load_methodE3ELS4_3ELS4_3ELNS0_20block_scan_algorithmE0ELj4294967295EEENS1_25partition_config_selectorILNS1_17partition_subalgoE4EjNS0_10empty_typeEbEEZZNS1_14partition_implILS8_4ELb0ES6_15HIP_vector_typeIjLj2EENS0_17counting_iteratorIjlEEPS9_SG_NS0_5tupleIJPjSI_NS0_16reverse_iteratorISI_EEEEENSH_IJSG_SG_SG_EEES9_SI_JZNS1_25segmented_radix_sort_implINS0_14default_configELb1EPK6__halfPSP_PKlPlN2at6native12_GLOBAL__N_18offset_tEEE10hipError_tPvRmT1_PNSt15iterator_traitsIS13_E10value_typeET2_T3_PNS14_IS19_E10value_typeET4_jRbjT5_S1F_jjP12ihipStream_tbEUljE_ZNSN_ISO_Lb1ESR_SS_SU_SV_SZ_EES10_S11_S12_S13_S17_S18_S19_S1C_S1D_jS1E_jS1F_S1F_jjS1H_bEUljE0_EEES10_S11_S12_S19_S1D_S1F_T6_T7_T9_mT8_S1H_bDpT10_ENKUlT_T0_E_clISt17integral_constantIbLb1EES1U_IbLb0EEEEDaS1Q_S1R_EUlS1Q_E_NS1_11comp_targetILNS1_3genE9ELNS1_11target_archE1100ELNS1_3gpuE3ELNS1_3repE0EEENS1_30default_config_static_selectorELNS0_4arch9wavefront6targetE1EEEvS13_
                                        ; -- End function
	.section	.AMDGPU.csdata,"",@progbits
; Kernel info:
; codeLenInByte = 0
; NumSgprs: 4
; NumVgprs: 0
; NumAgprs: 0
; TotalNumVgprs: 0
; ScratchSize: 0
; MemoryBound: 0
; FloatMode: 240
; IeeeMode: 1
; LDSByteSize: 0 bytes/workgroup (compile time only)
; SGPRBlocks: 0
; VGPRBlocks: 0
; NumSGPRsForWavesPerEU: 4
; NumVGPRsForWavesPerEU: 1
; AccumOffset: 4
; Occupancy: 8
; WaveLimiterHint : 0
; COMPUTE_PGM_RSRC2:SCRATCH_EN: 0
; COMPUTE_PGM_RSRC2:USER_SGPR: 6
; COMPUTE_PGM_RSRC2:TRAP_HANDLER: 0
; COMPUTE_PGM_RSRC2:TGID_X_EN: 1
; COMPUTE_PGM_RSRC2:TGID_Y_EN: 0
; COMPUTE_PGM_RSRC2:TGID_Z_EN: 0
; COMPUTE_PGM_RSRC2:TIDIG_COMP_CNT: 0
; COMPUTE_PGM_RSRC3_GFX90A:ACCUM_OFFSET: 0
; COMPUTE_PGM_RSRC3_GFX90A:TG_SPLIT: 0
	.section	.text._ZN7rocprim17ROCPRIM_400000_NS6detail17trampoline_kernelINS0_13select_configILj256ELj13ELNS0_17block_load_methodE3ELS4_3ELS4_3ELNS0_20block_scan_algorithmE0ELj4294967295EEENS1_25partition_config_selectorILNS1_17partition_subalgoE4EjNS0_10empty_typeEbEEZZNS1_14partition_implILS8_4ELb0ES6_15HIP_vector_typeIjLj2EENS0_17counting_iteratorIjlEEPS9_SG_NS0_5tupleIJPjSI_NS0_16reverse_iteratorISI_EEEEENSH_IJSG_SG_SG_EEES9_SI_JZNS1_25segmented_radix_sort_implINS0_14default_configELb1EPK6__halfPSP_PKlPlN2at6native12_GLOBAL__N_18offset_tEEE10hipError_tPvRmT1_PNSt15iterator_traitsIS13_E10value_typeET2_T3_PNS14_IS19_E10value_typeET4_jRbjT5_S1F_jjP12ihipStream_tbEUljE_ZNSN_ISO_Lb1ESR_SS_SU_SV_SZ_EES10_S11_S12_S13_S17_S18_S19_S1C_S1D_jS1E_jS1F_S1F_jjS1H_bEUljE0_EEES10_S11_S12_S19_S1D_S1F_T6_T7_T9_mT8_S1H_bDpT10_ENKUlT_T0_E_clISt17integral_constantIbLb1EES1U_IbLb0EEEEDaS1Q_S1R_EUlS1Q_E_NS1_11comp_targetILNS1_3genE8ELNS1_11target_archE1030ELNS1_3gpuE2ELNS1_3repE0EEENS1_30default_config_static_selectorELNS0_4arch9wavefront6targetE1EEEvS13_,"axG",@progbits,_ZN7rocprim17ROCPRIM_400000_NS6detail17trampoline_kernelINS0_13select_configILj256ELj13ELNS0_17block_load_methodE3ELS4_3ELS4_3ELNS0_20block_scan_algorithmE0ELj4294967295EEENS1_25partition_config_selectorILNS1_17partition_subalgoE4EjNS0_10empty_typeEbEEZZNS1_14partition_implILS8_4ELb0ES6_15HIP_vector_typeIjLj2EENS0_17counting_iteratorIjlEEPS9_SG_NS0_5tupleIJPjSI_NS0_16reverse_iteratorISI_EEEEENSH_IJSG_SG_SG_EEES9_SI_JZNS1_25segmented_radix_sort_implINS0_14default_configELb1EPK6__halfPSP_PKlPlN2at6native12_GLOBAL__N_18offset_tEEE10hipError_tPvRmT1_PNSt15iterator_traitsIS13_E10value_typeET2_T3_PNS14_IS19_E10value_typeET4_jRbjT5_S1F_jjP12ihipStream_tbEUljE_ZNSN_ISO_Lb1ESR_SS_SU_SV_SZ_EES10_S11_S12_S13_S17_S18_S19_S1C_S1D_jS1E_jS1F_S1F_jjS1H_bEUljE0_EEES10_S11_S12_S19_S1D_S1F_T6_T7_T9_mT8_S1H_bDpT10_ENKUlT_T0_E_clISt17integral_constantIbLb1EES1U_IbLb0EEEEDaS1Q_S1R_EUlS1Q_E_NS1_11comp_targetILNS1_3genE8ELNS1_11target_archE1030ELNS1_3gpuE2ELNS1_3repE0EEENS1_30default_config_static_selectorELNS0_4arch9wavefront6targetE1EEEvS13_,comdat
	.globl	_ZN7rocprim17ROCPRIM_400000_NS6detail17trampoline_kernelINS0_13select_configILj256ELj13ELNS0_17block_load_methodE3ELS4_3ELS4_3ELNS0_20block_scan_algorithmE0ELj4294967295EEENS1_25partition_config_selectorILNS1_17partition_subalgoE4EjNS0_10empty_typeEbEEZZNS1_14partition_implILS8_4ELb0ES6_15HIP_vector_typeIjLj2EENS0_17counting_iteratorIjlEEPS9_SG_NS0_5tupleIJPjSI_NS0_16reverse_iteratorISI_EEEEENSH_IJSG_SG_SG_EEES9_SI_JZNS1_25segmented_radix_sort_implINS0_14default_configELb1EPK6__halfPSP_PKlPlN2at6native12_GLOBAL__N_18offset_tEEE10hipError_tPvRmT1_PNSt15iterator_traitsIS13_E10value_typeET2_T3_PNS14_IS19_E10value_typeET4_jRbjT5_S1F_jjP12ihipStream_tbEUljE_ZNSN_ISO_Lb1ESR_SS_SU_SV_SZ_EES10_S11_S12_S13_S17_S18_S19_S1C_S1D_jS1E_jS1F_S1F_jjS1H_bEUljE0_EEES10_S11_S12_S19_S1D_S1F_T6_T7_T9_mT8_S1H_bDpT10_ENKUlT_T0_E_clISt17integral_constantIbLb1EES1U_IbLb0EEEEDaS1Q_S1R_EUlS1Q_E_NS1_11comp_targetILNS1_3genE8ELNS1_11target_archE1030ELNS1_3gpuE2ELNS1_3repE0EEENS1_30default_config_static_selectorELNS0_4arch9wavefront6targetE1EEEvS13_ ; -- Begin function _ZN7rocprim17ROCPRIM_400000_NS6detail17trampoline_kernelINS0_13select_configILj256ELj13ELNS0_17block_load_methodE3ELS4_3ELS4_3ELNS0_20block_scan_algorithmE0ELj4294967295EEENS1_25partition_config_selectorILNS1_17partition_subalgoE4EjNS0_10empty_typeEbEEZZNS1_14partition_implILS8_4ELb0ES6_15HIP_vector_typeIjLj2EENS0_17counting_iteratorIjlEEPS9_SG_NS0_5tupleIJPjSI_NS0_16reverse_iteratorISI_EEEEENSH_IJSG_SG_SG_EEES9_SI_JZNS1_25segmented_radix_sort_implINS0_14default_configELb1EPK6__halfPSP_PKlPlN2at6native12_GLOBAL__N_18offset_tEEE10hipError_tPvRmT1_PNSt15iterator_traitsIS13_E10value_typeET2_T3_PNS14_IS19_E10value_typeET4_jRbjT5_S1F_jjP12ihipStream_tbEUljE_ZNSN_ISO_Lb1ESR_SS_SU_SV_SZ_EES10_S11_S12_S13_S17_S18_S19_S1C_S1D_jS1E_jS1F_S1F_jjS1H_bEUljE0_EEES10_S11_S12_S19_S1D_S1F_T6_T7_T9_mT8_S1H_bDpT10_ENKUlT_T0_E_clISt17integral_constantIbLb1EES1U_IbLb0EEEEDaS1Q_S1R_EUlS1Q_E_NS1_11comp_targetILNS1_3genE8ELNS1_11target_archE1030ELNS1_3gpuE2ELNS1_3repE0EEENS1_30default_config_static_selectorELNS0_4arch9wavefront6targetE1EEEvS13_
	.p2align	8
	.type	_ZN7rocprim17ROCPRIM_400000_NS6detail17trampoline_kernelINS0_13select_configILj256ELj13ELNS0_17block_load_methodE3ELS4_3ELS4_3ELNS0_20block_scan_algorithmE0ELj4294967295EEENS1_25partition_config_selectorILNS1_17partition_subalgoE4EjNS0_10empty_typeEbEEZZNS1_14partition_implILS8_4ELb0ES6_15HIP_vector_typeIjLj2EENS0_17counting_iteratorIjlEEPS9_SG_NS0_5tupleIJPjSI_NS0_16reverse_iteratorISI_EEEEENSH_IJSG_SG_SG_EEES9_SI_JZNS1_25segmented_radix_sort_implINS0_14default_configELb1EPK6__halfPSP_PKlPlN2at6native12_GLOBAL__N_18offset_tEEE10hipError_tPvRmT1_PNSt15iterator_traitsIS13_E10value_typeET2_T3_PNS14_IS19_E10value_typeET4_jRbjT5_S1F_jjP12ihipStream_tbEUljE_ZNSN_ISO_Lb1ESR_SS_SU_SV_SZ_EES10_S11_S12_S13_S17_S18_S19_S1C_S1D_jS1E_jS1F_S1F_jjS1H_bEUljE0_EEES10_S11_S12_S19_S1D_S1F_T6_T7_T9_mT8_S1H_bDpT10_ENKUlT_T0_E_clISt17integral_constantIbLb1EES1U_IbLb0EEEEDaS1Q_S1R_EUlS1Q_E_NS1_11comp_targetILNS1_3genE8ELNS1_11target_archE1030ELNS1_3gpuE2ELNS1_3repE0EEENS1_30default_config_static_selectorELNS0_4arch9wavefront6targetE1EEEvS13_,@function
_ZN7rocprim17ROCPRIM_400000_NS6detail17trampoline_kernelINS0_13select_configILj256ELj13ELNS0_17block_load_methodE3ELS4_3ELS4_3ELNS0_20block_scan_algorithmE0ELj4294967295EEENS1_25partition_config_selectorILNS1_17partition_subalgoE4EjNS0_10empty_typeEbEEZZNS1_14partition_implILS8_4ELb0ES6_15HIP_vector_typeIjLj2EENS0_17counting_iteratorIjlEEPS9_SG_NS0_5tupleIJPjSI_NS0_16reverse_iteratorISI_EEEEENSH_IJSG_SG_SG_EEES9_SI_JZNS1_25segmented_radix_sort_implINS0_14default_configELb1EPK6__halfPSP_PKlPlN2at6native12_GLOBAL__N_18offset_tEEE10hipError_tPvRmT1_PNSt15iterator_traitsIS13_E10value_typeET2_T3_PNS14_IS19_E10value_typeET4_jRbjT5_S1F_jjP12ihipStream_tbEUljE_ZNSN_ISO_Lb1ESR_SS_SU_SV_SZ_EES10_S11_S12_S13_S17_S18_S19_S1C_S1D_jS1E_jS1F_S1F_jjS1H_bEUljE0_EEES10_S11_S12_S19_S1D_S1F_T6_T7_T9_mT8_S1H_bDpT10_ENKUlT_T0_E_clISt17integral_constantIbLb1EES1U_IbLb0EEEEDaS1Q_S1R_EUlS1Q_E_NS1_11comp_targetILNS1_3genE8ELNS1_11target_archE1030ELNS1_3gpuE2ELNS1_3repE0EEENS1_30default_config_static_selectorELNS0_4arch9wavefront6targetE1EEEvS13_: ; @_ZN7rocprim17ROCPRIM_400000_NS6detail17trampoline_kernelINS0_13select_configILj256ELj13ELNS0_17block_load_methodE3ELS4_3ELS4_3ELNS0_20block_scan_algorithmE0ELj4294967295EEENS1_25partition_config_selectorILNS1_17partition_subalgoE4EjNS0_10empty_typeEbEEZZNS1_14partition_implILS8_4ELb0ES6_15HIP_vector_typeIjLj2EENS0_17counting_iteratorIjlEEPS9_SG_NS0_5tupleIJPjSI_NS0_16reverse_iteratorISI_EEEEENSH_IJSG_SG_SG_EEES9_SI_JZNS1_25segmented_radix_sort_implINS0_14default_configELb1EPK6__halfPSP_PKlPlN2at6native12_GLOBAL__N_18offset_tEEE10hipError_tPvRmT1_PNSt15iterator_traitsIS13_E10value_typeET2_T3_PNS14_IS19_E10value_typeET4_jRbjT5_S1F_jjP12ihipStream_tbEUljE_ZNSN_ISO_Lb1ESR_SS_SU_SV_SZ_EES10_S11_S12_S13_S17_S18_S19_S1C_S1D_jS1E_jS1F_S1F_jjS1H_bEUljE0_EEES10_S11_S12_S19_S1D_S1F_T6_T7_T9_mT8_S1H_bDpT10_ENKUlT_T0_E_clISt17integral_constantIbLb1EES1U_IbLb0EEEEDaS1Q_S1R_EUlS1Q_E_NS1_11comp_targetILNS1_3genE8ELNS1_11target_archE1030ELNS1_3gpuE2ELNS1_3repE0EEENS1_30default_config_static_selectorELNS0_4arch9wavefront6targetE1EEEvS13_
; %bb.0:
	.section	.rodata,"a",@progbits
	.p2align	6, 0x0
	.amdhsa_kernel _ZN7rocprim17ROCPRIM_400000_NS6detail17trampoline_kernelINS0_13select_configILj256ELj13ELNS0_17block_load_methodE3ELS4_3ELS4_3ELNS0_20block_scan_algorithmE0ELj4294967295EEENS1_25partition_config_selectorILNS1_17partition_subalgoE4EjNS0_10empty_typeEbEEZZNS1_14partition_implILS8_4ELb0ES6_15HIP_vector_typeIjLj2EENS0_17counting_iteratorIjlEEPS9_SG_NS0_5tupleIJPjSI_NS0_16reverse_iteratorISI_EEEEENSH_IJSG_SG_SG_EEES9_SI_JZNS1_25segmented_radix_sort_implINS0_14default_configELb1EPK6__halfPSP_PKlPlN2at6native12_GLOBAL__N_18offset_tEEE10hipError_tPvRmT1_PNSt15iterator_traitsIS13_E10value_typeET2_T3_PNS14_IS19_E10value_typeET4_jRbjT5_S1F_jjP12ihipStream_tbEUljE_ZNSN_ISO_Lb1ESR_SS_SU_SV_SZ_EES10_S11_S12_S13_S17_S18_S19_S1C_S1D_jS1E_jS1F_S1F_jjS1H_bEUljE0_EEES10_S11_S12_S19_S1D_S1F_T6_T7_T9_mT8_S1H_bDpT10_ENKUlT_T0_E_clISt17integral_constantIbLb1EES1U_IbLb0EEEEDaS1Q_S1R_EUlS1Q_E_NS1_11comp_targetILNS1_3genE8ELNS1_11target_archE1030ELNS1_3gpuE2ELNS1_3repE0EEENS1_30default_config_static_selectorELNS0_4arch9wavefront6targetE1EEEvS13_
		.amdhsa_group_segment_fixed_size 0
		.amdhsa_private_segment_fixed_size 0
		.amdhsa_kernarg_size 176
		.amdhsa_user_sgpr_count 6
		.amdhsa_user_sgpr_private_segment_buffer 1
		.amdhsa_user_sgpr_dispatch_ptr 0
		.amdhsa_user_sgpr_queue_ptr 0
		.amdhsa_user_sgpr_kernarg_segment_ptr 1
		.amdhsa_user_sgpr_dispatch_id 0
		.amdhsa_user_sgpr_flat_scratch_init 0
		.amdhsa_user_sgpr_kernarg_preload_length 0
		.amdhsa_user_sgpr_kernarg_preload_offset 0
		.amdhsa_user_sgpr_private_segment_size 0
		.amdhsa_uses_dynamic_stack 0
		.amdhsa_system_sgpr_private_segment_wavefront_offset 0
		.amdhsa_system_sgpr_workgroup_id_x 1
		.amdhsa_system_sgpr_workgroup_id_y 0
		.amdhsa_system_sgpr_workgroup_id_z 0
		.amdhsa_system_sgpr_workgroup_info 0
		.amdhsa_system_vgpr_workitem_id 0
		.amdhsa_next_free_vgpr 1
		.amdhsa_next_free_sgpr 0
		.amdhsa_accum_offset 4
		.amdhsa_reserve_vcc 0
		.amdhsa_reserve_flat_scratch 0
		.amdhsa_float_round_mode_32 0
		.amdhsa_float_round_mode_16_64 0
		.amdhsa_float_denorm_mode_32 3
		.amdhsa_float_denorm_mode_16_64 3
		.amdhsa_dx10_clamp 1
		.amdhsa_ieee_mode 1
		.amdhsa_fp16_overflow 0
		.amdhsa_tg_split 0
		.amdhsa_exception_fp_ieee_invalid_op 0
		.amdhsa_exception_fp_denorm_src 0
		.amdhsa_exception_fp_ieee_div_zero 0
		.amdhsa_exception_fp_ieee_overflow 0
		.amdhsa_exception_fp_ieee_underflow 0
		.amdhsa_exception_fp_ieee_inexact 0
		.amdhsa_exception_int_div_zero 0
	.end_amdhsa_kernel
	.section	.text._ZN7rocprim17ROCPRIM_400000_NS6detail17trampoline_kernelINS0_13select_configILj256ELj13ELNS0_17block_load_methodE3ELS4_3ELS4_3ELNS0_20block_scan_algorithmE0ELj4294967295EEENS1_25partition_config_selectorILNS1_17partition_subalgoE4EjNS0_10empty_typeEbEEZZNS1_14partition_implILS8_4ELb0ES6_15HIP_vector_typeIjLj2EENS0_17counting_iteratorIjlEEPS9_SG_NS0_5tupleIJPjSI_NS0_16reverse_iteratorISI_EEEEENSH_IJSG_SG_SG_EEES9_SI_JZNS1_25segmented_radix_sort_implINS0_14default_configELb1EPK6__halfPSP_PKlPlN2at6native12_GLOBAL__N_18offset_tEEE10hipError_tPvRmT1_PNSt15iterator_traitsIS13_E10value_typeET2_T3_PNS14_IS19_E10value_typeET4_jRbjT5_S1F_jjP12ihipStream_tbEUljE_ZNSN_ISO_Lb1ESR_SS_SU_SV_SZ_EES10_S11_S12_S13_S17_S18_S19_S1C_S1D_jS1E_jS1F_S1F_jjS1H_bEUljE0_EEES10_S11_S12_S19_S1D_S1F_T6_T7_T9_mT8_S1H_bDpT10_ENKUlT_T0_E_clISt17integral_constantIbLb1EES1U_IbLb0EEEEDaS1Q_S1R_EUlS1Q_E_NS1_11comp_targetILNS1_3genE8ELNS1_11target_archE1030ELNS1_3gpuE2ELNS1_3repE0EEENS1_30default_config_static_selectorELNS0_4arch9wavefront6targetE1EEEvS13_,"axG",@progbits,_ZN7rocprim17ROCPRIM_400000_NS6detail17trampoline_kernelINS0_13select_configILj256ELj13ELNS0_17block_load_methodE3ELS4_3ELS4_3ELNS0_20block_scan_algorithmE0ELj4294967295EEENS1_25partition_config_selectorILNS1_17partition_subalgoE4EjNS0_10empty_typeEbEEZZNS1_14partition_implILS8_4ELb0ES6_15HIP_vector_typeIjLj2EENS0_17counting_iteratorIjlEEPS9_SG_NS0_5tupleIJPjSI_NS0_16reverse_iteratorISI_EEEEENSH_IJSG_SG_SG_EEES9_SI_JZNS1_25segmented_radix_sort_implINS0_14default_configELb1EPK6__halfPSP_PKlPlN2at6native12_GLOBAL__N_18offset_tEEE10hipError_tPvRmT1_PNSt15iterator_traitsIS13_E10value_typeET2_T3_PNS14_IS19_E10value_typeET4_jRbjT5_S1F_jjP12ihipStream_tbEUljE_ZNSN_ISO_Lb1ESR_SS_SU_SV_SZ_EES10_S11_S12_S13_S17_S18_S19_S1C_S1D_jS1E_jS1F_S1F_jjS1H_bEUljE0_EEES10_S11_S12_S19_S1D_S1F_T6_T7_T9_mT8_S1H_bDpT10_ENKUlT_T0_E_clISt17integral_constantIbLb1EES1U_IbLb0EEEEDaS1Q_S1R_EUlS1Q_E_NS1_11comp_targetILNS1_3genE8ELNS1_11target_archE1030ELNS1_3gpuE2ELNS1_3repE0EEENS1_30default_config_static_selectorELNS0_4arch9wavefront6targetE1EEEvS13_,comdat
.Lfunc_end1696:
	.size	_ZN7rocprim17ROCPRIM_400000_NS6detail17trampoline_kernelINS0_13select_configILj256ELj13ELNS0_17block_load_methodE3ELS4_3ELS4_3ELNS0_20block_scan_algorithmE0ELj4294967295EEENS1_25partition_config_selectorILNS1_17partition_subalgoE4EjNS0_10empty_typeEbEEZZNS1_14partition_implILS8_4ELb0ES6_15HIP_vector_typeIjLj2EENS0_17counting_iteratorIjlEEPS9_SG_NS0_5tupleIJPjSI_NS0_16reverse_iteratorISI_EEEEENSH_IJSG_SG_SG_EEES9_SI_JZNS1_25segmented_radix_sort_implINS0_14default_configELb1EPK6__halfPSP_PKlPlN2at6native12_GLOBAL__N_18offset_tEEE10hipError_tPvRmT1_PNSt15iterator_traitsIS13_E10value_typeET2_T3_PNS14_IS19_E10value_typeET4_jRbjT5_S1F_jjP12ihipStream_tbEUljE_ZNSN_ISO_Lb1ESR_SS_SU_SV_SZ_EES10_S11_S12_S13_S17_S18_S19_S1C_S1D_jS1E_jS1F_S1F_jjS1H_bEUljE0_EEES10_S11_S12_S19_S1D_S1F_T6_T7_T9_mT8_S1H_bDpT10_ENKUlT_T0_E_clISt17integral_constantIbLb1EES1U_IbLb0EEEEDaS1Q_S1R_EUlS1Q_E_NS1_11comp_targetILNS1_3genE8ELNS1_11target_archE1030ELNS1_3gpuE2ELNS1_3repE0EEENS1_30default_config_static_selectorELNS0_4arch9wavefront6targetE1EEEvS13_, .Lfunc_end1696-_ZN7rocprim17ROCPRIM_400000_NS6detail17trampoline_kernelINS0_13select_configILj256ELj13ELNS0_17block_load_methodE3ELS4_3ELS4_3ELNS0_20block_scan_algorithmE0ELj4294967295EEENS1_25partition_config_selectorILNS1_17partition_subalgoE4EjNS0_10empty_typeEbEEZZNS1_14partition_implILS8_4ELb0ES6_15HIP_vector_typeIjLj2EENS0_17counting_iteratorIjlEEPS9_SG_NS0_5tupleIJPjSI_NS0_16reverse_iteratorISI_EEEEENSH_IJSG_SG_SG_EEES9_SI_JZNS1_25segmented_radix_sort_implINS0_14default_configELb1EPK6__halfPSP_PKlPlN2at6native12_GLOBAL__N_18offset_tEEE10hipError_tPvRmT1_PNSt15iterator_traitsIS13_E10value_typeET2_T3_PNS14_IS19_E10value_typeET4_jRbjT5_S1F_jjP12ihipStream_tbEUljE_ZNSN_ISO_Lb1ESR_SS_SU_SV_SZ_EES10_S11_S12_S13_S17_S18_S19_S1C_S1D_jS1E_jS1F_S1F_jjS1H_bEUljE0_EEES10_S11_S12_S19_S1D_S1F_T6_T7_T9_mT8_S1H_bDpT10_ENKUlT_T0_E_clISt17integral_constantIbLb1EES1U_IbLb0EEEEDaS1Q_S1R_EUlS1Q_E_NS1_11comp_targetILNS1_3genE8ELNS1_11target_archE1030ELNS1_3gpuE2ELNS1_3repE0EEENS1_30default_config_static_selectorELNS0_4arch9wavefront6targetE1EEEvS13_
                                        ; -- End function
	.section	.AMDGPU.csdata,"",@progbits
; Kernel info:
; codeLenInByte = 0
; NumSgprs: 4
; NumVgprs: 0
; NumAgprs: 0
; TotalNumVgprs: 0
; ScratchSize: 0
; MemoryBound: 0
; FloatMode: 240
; IeeeMode: 1
; LDSByteSize: 0 bytes/workgroup (compile time only)
; SGPRBlocks: 0
; VGPRBlocks: 0
; NumSGPRsForWavesPerEU: 4
; NumVGPRsForWavesPerEU: 1
; AccumOffset: 4
; Occupancy: 8
; WaveLimiterHint : 0
; COMPUTE_PGM_RSRC2:SCRATCH_EN: 0
; COMPUTE_PGM_RSRC2:USER_SGPR: 6
; COMPUTE_PGM_RSRC2:TRAP_HANDLER: 0
; COMPUTE_PGM_RSRC2:TGID_X_EN: 1
; COMPUTE_PGM_RSRC2:TGID_Y_EN: 0
; COMPUTE_PGM_RSRC2:TGID_Z_EN: 0
; COMPUTE_PGM_RSRC2:TIDIG_COMP_CNT: 0
; COMPUTE_PGM_RSRC3_GFX90A:ACCUM_OFFSET: 0
; COMPUTE_PGM_RSRC3_GFX90A:TG_SPLIT: 0
	.section	.text._ZN7rocprim17ROCPRIM_400000_NS6detail17trampoline_kernelINS0_13select_configILj256ELj13ELNS0_17block_load_methodE3ELS4_3ELS4_3ELNS0_20block_scan_algorithmE0ELj4294967295EEENS1_25partition_config_selectorILNS1_17partition_subalgoE4EjNS0_10empty_typeEbEEZZNS1_14partition_implILS8_4ELb0ES6_15HIP_vector_typeIjLj2EENS0_17counting_iteratorIjlEEPS9_SG_NS0_5tupleIJPjSI_NS0_16reverse_iteratorISI_EEEEENSH_IJSG_SG_SG_EEES9_SI_JZNS1_25segmented_radix_sort_implINS0_14default_configELb1EPK6__halfPSP_PKlPlN2at6native12_GLOBAL__N_18offset_tEEE10hipError_tPvRmT1_PNSt15iterator_traitsIS13_E10value_typeET2_T3_PNS14_IS19_E10value_typeET4_jRbjT5_S1F_jjP12ihipStream_tbEUljE_ZNSN_ISO_Lb1ESR_SS_SU_SV_SZ_EES10_S11_S12_S13_S17_S18_S19_S1C_S1D_jS1E_jS1F_S1F_jjS1H_bEUljE0_EEES10_S11_S12_S19_S1D_S1F_T6_T7_T9_mT8_S1H_bDpT10_ENKUlT_T0_E_clISt17integral_constantIbLb0EES1U_IbLb1EEEEDaS1Q_S1R_EUlS1Q_E_NS1_11comp_targetILNS1_3genE0ELNS1_11target_archE4294967295ELNS1_3gpuE0ELNS1_3repE0EEENS1_30default_config_static_selectorELNS0_4arch9wavefront6targetE1EEEvS13_,"axG",@progbits,_ZN7rocprim17ROCPRIM_400000_NS6detail17trampoline_kernelINS0_13select_configILj256ELj13ELNS0_17block_load_methodE3ELS4_3ELS4_3ELNS0_20block_scan_algorithmE0ELj4294967295EEENS1_25partition_config_selectorILNS1_17partition_subalgoE4EjNS0_10empty_typeEbEEZZNS1_14partition_implILS8_4ELb0ES6_15HIP_vector_typeIjLj2EENS0_17counting_iteratorIjlEEPS9_SG_NS0_5tupleIJPjSI_NS0_16reverse_iteratorISI_EEEEENSH_IJSG_SG_SG_EEES9_SI_JZNS1_25segmented_radix_sort_implINS0_14default_configELb1EPK6__halfPSP_PKlPlN2at6native12_GLOBAL__N_18offset_tEEE10hipError_tPvRmT1_PNSt15iterator_traitsIS13_E10value_typeET2_T3_PNS14_IS19_E10value_typeET4_jRbjT5_S1F_jjP12ihipStream_tbEUljE_ZNSN_ISO_Lb1ESR_SS_SU_SV_SZ_EES10_S11_S12_S13_S17_S18_S19_S1C_S1D_jS1E_jS1F_S1F_jjS1H_bEUljE0_EEES10_S11_S12_S19_S1D_S1F_T6_T7_T9_mT8_S1H_bDpT10_ENKUlT_T0_E_clISt17integral_constantIbLb0EES1U_IbLb1EEEEDaS1Q_S1R_EUlS1Q_E_NS1_11comp_targetILNS1_3genE0ELNS1_11target_archE4294967295ELNS1_3gpuE0ELNS1_3repE0EEENS1_30default_config_static_selectorELNS0_4arch9wavefront6targetE1EEEvS13_,comdat
	.globl	_ZN7rocprim17ROCPRIM_400000_NS6detail17trampoline_kernelINS0_13select_configILj256ELj13ELNS0_17block_load_methodE3ELS4_3ELS4_3ELNS0_20block_scan_algorithmE0ELj4294967295EEENS1_25partition_config_selectorILNS1_17partition_subalgoE4EjNS0_10empty_typeEbEEZZNS1_14partition_implILS8_4ELb0ES6_15HIP_vector_typeIjLj2EENS0_17counting_iteratorIjlEEPS9_SG_NS0_5tupleIJPjSI_NS0_16reverse_iteratorISI_EEEEENSH_IJSG_SG_SG_EEES9_SI_JZNS1_25segmented_radix_sort_implINS0_14default_configELb1EPK6__halfPSP_PKlPlN2at6native12_GLOBAL__N_18offset_tEEE10hipError_tPvRmT1_PNSt15iterator_traitsIS13_E10value_typeET2_T3_PNS14_IS19_E10value_typeET4_jRbjT5_S1F_jjP12ihipStream_tbEUljE_ZNSN_ISO_Lb1ESR_SS_SU_SV_SZ_EES10_S11_S12_S13_S17_S18_S19_S1C_S1D_jS1E_jS1F_S1F_jjS1H_bEUljE0_EEES10_S11_S12_S19_S1D_S1F_T6_T7_T9_mT8_S1H_bDpT10_ENKUlT_T0_E_clISt17integral_constantIbLb0EES1U_IbLb1EEEEDaS1Q_S1R_EUlS1Q_E_NS1_11comp_targetILNS1_3genE0ELNS1_11target_archE4294967295ELNS1_3gpuE0ELNS1_3repE0EEENS1_30default_config_static_selectorELNS0_4arch9wavefront6targetE1EEEvS13_ ; -- Begin function _ZN7rocprim17ROCPRIM_400000_NS6detail17trampoline_kernelINS0_13select_configILj256ELj13ELNS0_17block_load_methodE3ELS4_3ELS4_3ELNS0_20block_scan_algorithmE0ELj4294967295EEENS1_25partition_config_selectorILNS1_17partition_subalgoE4EjNS0_10empty_typeEbEEZZNS1_14partition_implILS8_4ELb0ES6_15HIP_vector_typeIjLj2EENS0_17counting_iteratorIjlEEPS9_SG_NS0_5tupleIJPjSI_NS0_16reverse_iteratorISI_EEEEENSH_IJSG_SG_SG_EEES9_SI_JZNS1_25segmented_radix_sort_implINS0_14default_configELb1EPK6__halfPSP_PKlPlN2at6native12_GLOBAL__N_18offset_tEEE10hipError_tPvRmT1_PNSt15iterator_traitsIS13_E10value_typeET2_T3_PNS14_IS19_E10value_typeET4_jRbjT5_S1F_jjP12ihipStream_tbEUljE_ZNSN_ISO_Lb1ESR_SS_SU_SV_SZ_EES10_S11_S12_S13_S17_S18_S19_S1C_S1D_jS1E_jS1F_S1F_jjS1H_bEUljE0_EEES10_S11_S12_S19_S1D_S1F_T6_T7_T9_mT8_S1H_bDpT10_ENKUlT_T0_E_clISt17integral_constantIbLb0EES1U_IbLb1EEEEDaS1Q_S1R_EUlS1Q_E_NS1_11comp_targetILNS1_3genE0ELNS1_11target_archE4294967295ELNS1_3gpuE0ELNS1_3repE0EEENS1_30default_config_static_selectorELNS0_4arch9wavefront6targetE1EEEvS13_
	.p2align	8
	.type	_ZN7rocprim17ROCPRIM_400000_NS6detail17trampoline_kernelINS0_13select_configILj256ELj13ELNS0_17block_load_methodE3ELS4_3ELS4_3ELNS0_20block_scan_algorithmE0ELj4294967295EEENS1_25partition_config_selectorILNS1_17partition_subalgoE4EjNS0_10empty_typeEbEEZZNS1_14partition_implILS8_4ELb0ES6_15HIP_vector_typeIjLj2EENS0_17counting_iteratorIjlEEPS9_SG_NS0_5tupleIJPjSI_NS0_16reverse_iteratorISI_EEEEENSH_IJSG_SG_SG_EEES9_SI_JZNS1_25segmented_radix_sort_implINS0_14default_configELb1EPK6__halfPSP_PKlPlN2at6native12_GLOBAL__N_18offset_tEEE10hipError_tPvRmT1_PNSt15iterator_traitsIS13_E10value_typeET2_T3_PNS14_IS19_E10value_typeET4_jRbjT5_S1F_jjP12ihipStream_tbEUljE_ZNSN_ISO_Lb1ESR_SS_SU_SV_SZ_EES10_S11_S12_S13_S17_S18_S19_S1C_S1D_jS1E_jS1F_S1F_jjS1H_bEUljE0_EEES10_S11_S12_S19_S1D_S1F_T6_T7_T9_mT8_S1H_bDpT10_ENKUlT_T0_E_clISt17integral_constantIbLb0EES1U_IbLb1EEEEDaS1Q_S1R_EUlS1Q_E_NS1_11comp_targetILNS1_3genE0ELNS1_11target_archE4294967295ELNS1_3gpuE0ELNS1_3repE0EEENS1_30default_config_static_selectorELNS0_4arch9wavefront6targetE1EEEvS13_,@function
_ZN7rocprim17ROCPRIM_400000_NS6detail17trampoline_kernelINS0_13select_configILj256ELj13ELNS0_17block_load_methodE3ELS4_3ELS4_3ELNS0_20block_scan_algorithmE0ELj4294967295EEENS1_25partition_config_selectorILNS1_17partition_subalgoE4EjNS0_10empty_typeEbEEZZNS1_14partition_implILS8_4ELb0ES6_15HIP_vector_typeIjLj2EENS0_17counting_iteratorIjlEEPS9_SG_NS0_5tupleIJPjSI_NS0_16reverse_iteratorISI_EEEEENSH_IJSG_SG_SG_EEES9_SI_JZNS1_25segmented_radix_sort_implINS0_14default_configELb1EPK6__halfPSP_PKlPlN2at6native12_GLOBAL__N_18offset_tEEE10hipError_tPvRmT1_PNSt15iterator_traitsIS13_E10value_typeET2_T3_PNS14_IS19_E10value_typeET4_jRbjT5_S1F_jjP12ihipStream_tbEUljE_ZNSN_ISO_Lb1ESR_SS_SU_SV_SZ_EES10_S11_S12_S13_S17_S18_S19_S1C_S1D_jS1E_jS1F_S1F_jjS1H_bEUljE0_EEES10_S11_S12_S19_S1D_S1F_T6_T7_T9_mT8_S1H_bDpT10_ENKUlT_T0_E_clISt17integral_constantIbLb0EES1U_IbLb1EEEEDaS1Q_S1R_EUlS1Q_E_NS1_11comp_targetILNS1_3genE0ELNS1_11target_archE4294967295ELNS1_3gpuE0ELNS1_3repE0EEENS1_30default_config_static_selectorELNS0_4arch9wavefront6targetE1EEEvS13_: ; @_ZN7rocprim17ROCPRIM_400000_NS6detail17trampoline_kernelINS0_13select_configILj256ELj13ELNS0_17block_load_methodE3ELS4_3ELS4_3ELNS0_20block_scan_algorithmE0ELj4294967295EEENS1_25partition_config_selectorILNS1_17partition_subalgoE4EjNS0_10empty_typeEbEEZZNS1_14partition_implILS8_4ELb0ES6_15HIP_vector_typeIjLj2EENS0_17counting_iteratorIjlEEPS9_SG_NS0_5tupleIJPjSI_NS0_16reverse_iteratorISI_EEEEENSH_IJSG_SG_SG_EEES9_SI_JZNS1_25segmented_radix_sort_implINS0_14default_configELb1EPK6__halfPSP_PKlPlN2at6native12_GLOBAL__N_18offset_tEEE10hipError_tPvRmT1_PNSt15iterator_traitsIS13_E10value_typeET2_T3_PNS14_IS19_E10value_typeET4_jRbjT5_S1F_jjP12ihipStream_tbEUljE_ZNSN_ISO_Lb1ESR_SS_SU_SV_SZ_EES10_S11_S12_S13_S17_S18_S19_S1C_S1D_jS1E_jS1F_S1F_jjS1H_bEUljE0_EEES10_S11_S12_S19_S1D_S1F_T6_T7_T9_mT8_S1H_bDpT10_ENKUlT_T0_E_clISt17integral_constantIbLb0EES1U_IbLb1EEEEDaS1Q_S1R_EUlS1Q_E_NS1_11comp_targetILNS1_3genE0ELNS1_11target_archE4294967295ELNS1_3gpuE0ELNS1_3repE0EEENS1_30default_config_static_selectorELNS0_4arch9wavefront6targetE1EEEvS13_
; %bb.0:
	.section	.rodata,"a",@progbits
	.p2align	6, 0x0
	.amdhsa_kernel _ZN7rocprim17ROCPRIM_400000_NS6detail17trampoline_kernelINS0_13select_configILj256ELj13ELNS0_17block_load_methodE3ELS4_3ELS4_3ELNS0_20block_scan_algorithmE0ELj4294967295EEENS1_25partition_config_selectorILNS1_17partition_subalgoE4EjNS0_10empty_typeEbEEZZNS1_14partition_implILS8_4ELb0ES6_15HIP_vector_typeIjLj2EENS0_17counting_iteratorIjlEEPS9_SG_NS0_5tupleIJPjSI_NS0_16reverse_iteratorISI_EEEEENSH_IJSG_SG_SG_EEES9_SI_JZNS1_25segmented_radix_sort_implINS0_14default_configELb1EPK6__halfPSP_PKlPlN2at6native12_GLOBAL__N_18offset_tEEE10hipError_tPvRmT1_PNSt15iterator_traitsIS13_E10value_typeET2_T3_PNS14_IS19_E10value_typeET4_jRbjT5_S1F_jjP12ihipStream_tbEUljE_ZNSN_ISO_Lb1ESR_SS_SU_SV_SZ_EES10_S11_S12_S13_S17_S18_S19_S1C_S1D_jS1E_jS1F_S1F_jjS1H_bEUljE0_EEES10_S11_S12_S19_S1D_S1F_T6_T7_T9_mT8_S1H_bDpT10_ENKUlT_T0_E_clISt17integral_constantIbLb0EES1U_IbLb1EEEEDaS1Q_S1R_EUlS1Q_E_NS1_11comp_targetILNS1_3genE0ELNS1_11target_archE4294967295ELNS1_3gpuE0ELNS1_3repE0EEENS1_30default_config_static_selectorELNS0_4arch9wavefront6targetE1EEEvS13_
		.amdhsa_group_segment_fixed_size 0
		.amdhsa_private_segment_fixed_size 0
		.amdhsa_kernarg_size 184
		.amdhsa_user_sgpr_count 6
		.amdhsa_user_sgpr_private_segment_buffer 1
		.amdhsa_user_sgpr_dispatch_ptr 0
		.amdhsa_user_sgpr_queue_ptr 0
		.amdhsa_user_sgpr_kernarg_segment_ptr 1
		.amdhsa_user_sgpr_dispatch_id 0
		.amdhsa_user_sgpr_flat_scratch_init 0
		.amdhsa_user_sgpr_kernarg_preload_length 0
		.amdhsa_user_sgpr_kernarg_preload_offset 0
		.amdhsa_user_sgpr_private_segment_size 0
		.amdhsa_uses_dynamic_stack 0
		.amdhsa_system_sgpr_private_segment_wavefront_offset 0
		.amdhsa_system_sgpr_workgroup_id_x 1
		.amdhsa_system_sgpr_workgroup_id_y 0
		.amdhsa_system_sgpr_workgroup_id_z 0
		.amdhsa_system_sgpr_workgroup_info 0
		.amdhsa_system_vgpr_workitem_id 0
		.amdhsa_next_free_vgpr 1
		.amdhsa_next_free_sgpr 0
		.amdhsa_accum_offset 4
		.amdhsa_reserve_vcc 0
		.amdhsa_reserve_flat_scratch 0
		.amdhsa_float_round_mode_32 0
		.amdhsa_float_round_mode_16_64 0
		.amdhsa_float_denorm_mode_32 3
		.amdhsa_float_denorm_mode_16_64 3
		.amdhsa_dx10_clamp 1
		.amdhsa_ieee_mode 1
		.amdhsa_fp16_overflow 0
		.amdhsa_tg_split 0
		.amdhsa_exception_fp_ieee_invalid_op 0
		.amdhsa_exception_fp_denorm_src 0
		.amdhsa_exception_fp_ieee_div_zero 0
		.amdhsa_exception_fp_ieee_overflow 0
		.amdhsa_exception_fp_ieee_underflow 0
		.amdhsa_exception_fp_ieee_inexact 0
		.amdhsa_exception_int_div_zero 0
	.end_amdhsa_kernel
	.section	.text._ZN7rocprim17ROCPRIM_400000_NS6detail17trampoline_kernelINS0_13select_configILj256ELj13ELNS0_17block_load_methodE3ELS4_3ELS4_3ELNS0_20block_scan_algorithmE0ELj4294967295EEENS1_25partition_config_selectorILNS1_17partition_subalgoE4EjNS0_10empty_typeEbEEZZNS1_14partition_implILS8_4ELb0ES6_15HIP_vector_typeIjLj2EENS0_17counting_iteratorIjlEEPS9_SG_NS0_5tupleIJPjSI_NS0_16reverse_iteratorISI_EEEEENSH_IJSG_SG_SG_EEES9_SI_JZNS1_25segmented_radix_sort_implINS0_14default_configELb1EPK6__halfPSP_PKlPlN2at6native12_GLOBAL__N_18offset_tEEE10hipError_tPvRmT1_PNSt15iterator_traitsIS13_E10value_typeET2_T3_PNS14_IS19_E10value_typeET4_jRbjT5_S1F_jjP12ihipStream_tbEUljE_ZNSN_ISO_Lb1ESR_SS_SU_SV_SZ_EES10_S11_S12_S13_S17_S18_S19_S1C_S1D_jS1E_jS1F_S1F_jjS1H_bEUljE0_EEES10_S11_S12_S19_S1D_S1F_T6_T7_T9_mT8_S1H_bDpT10_ENKUlT_T0_E_clISt17integral_constantIbLb0EES1U_IbLb1EEEEDaS1Q_S1R_EUlS1Q_E_NS1_11comp_targetILNS1_3genE0ELNS1_11target_archE4294967295ELNS1_3gpuE0ELNS1_3repE0EEENS1_30default_config_static_selectorELNS0_4arch9wavefront6targetE1EEEvS13_,"axG",@progbits,_ZN7rocprim17ROCPRIM_400000_NS6detail17trampoline_kernelINS0_13select_configILj256ELj13ELNS0_17block_load_methodE3ELS4_3ELS4_3ELNS0_20block_scan_algorithmE0ELj4294967295EEENS1_25partition_config_selectorILNS1_17partition_subalgoE4EjNS0_10empty_typeEbEEZZNS1_14partition_implILS8_4ELb0ES6_15HIP_vector_typeIjLj2EENS0_17counting_iteratorIjlEEPS9_SG_NS0_5tupleIJPjSI_NS0_16reverse_iteratorISI_EEEEENSH_IJSG_SG_SG_EEES9_SI_JZNS1_25segmented_radix_sort_implINS0_14default_configELb1EPK6__halfPSP_PKlPlN2at6native12_GLOBAL__N_18offset_tEEE10hipError_tPvRmT1_PNSt15iterator_traitsIS13_E10value_typeET2_T3_PNS14_IS19_E10value_typeET4_jRbjT5_S1F_jjP12ihipStream_tbEUljE_ZNSN_ISO_Lb1ESR_SS_SU_SV_SZ_EES10_S11_S12_S13_S17_S18_S19_S1C_S1D_jS1E_jS1F_S1F_jjS1H_bEUljE0_EEES10_S11_S12_S19_S1D_S1F_T6_T7_T9_mT8_S1H_bDpT10_ENKUlT_T0_E_clISt17integral_constantIbLb0EES1U_IbLb1EEEEDaS1Q_S1R_EUlS1Q_E_NS1_11comp_targetILNS1_3genE0ELNS1_11target_archE4294967295ELNS1_3gpuE0ELNS1_3repE0EEENS1_30default_config_static_selectorELNS0_4arch9wavefront6targetE1EEEvS13_,comdat
.Lfunc_end1697:
	.size	_ZN7rocprim17ROCPRIM_400000_NS6detail17trampoline_kernelINS0_13select_configILj256ELj13ELNS0_17block_load_methodE3ELS4_3ELS4_3ELNS0_20block_scan_algorithmE0ELj4294967295EEENS1_25partition_config_selectorILNS1_17partition_subalgoE4EjNS0_10empty_typeEbEEZZNS1_14partition_implILS8_4ELb0ES6_15HIP_vector_typeIjLj2EENS0_17counting_iteratorIjlEEPS9_SG_NS0_5tupleIJPjSI_NS0_16reverse_iteratorISI_EEEEENSH_IJSG_SG_SG_EEES9_SI_JZNS1_25segmented_radix_sort_implINS0_14default_configELb1EPK6__halfPSP_PKlPlN2at6native12_GLOBAL__N_18offset_tEEE10hipError_tPvRmT1_PNSt15iterator_traitsIS13_E10value_typeET2_T3_PNS14_IS19_E10value_typeET4_jRbjT5_S1F_jjP12ihipStream_tbEUljE_ZNSN_ISO_Lb1ESR_SS_SU_SV_SZ_EES10_S11_S12_S13_S17_S18_S19_S1C_S1D_jS1E_jS1F_S1F_jjS1H_bEUljE0_EEES10_S11_S12_S19_S1D_S1F_T6_T7_T9_mT8_S1H_bDpT10_ENKUlT_T0_E_clISt17integral_constantIbLb0EES1U_IbLb1EEEEDaS1Q_S1R_EUlS1Q_E_NS1_11comp_targetILNS1_3genE0ELNS1_11target_archE4294967295ELNS1_3gpuE0ELNS1_3repE0EEENS1_30default_config_static_selectorELNS0_4arch9wavefront6targetE1EEEvS13_, .Lfunc_end1697-_ZN7rocprim17ROCPRIM_400000_NS6detail17trampoline_kernelINS0_13select_configILj256ELj13ELNS0_17block_load_methodE3ELS4_3ELS4_3ELNS0_20block_scan_algorithmE0ELj4294967295EEENS1_25partition_config_selectorILNS1_17partition_subalgoE4EjNS0_10empty_typeEbEEZZNS1_14partition_implILS8_4ELb0ES6_15HIP_vector_typeIjLj2EENS0_17counting_iteratorIjlEEPS9_SG_NS0_5tupleIJPjSI_NS0_16reverse_iteratorISI_EEEEENSH_IJSG_SG_SG_EEES9_SI_JZNS1_25segmented_radix_sort_implINS0_14default_configELb1EPK6__halfPSP_PKlPlN2at6native12_GLOBAL__N_18offset_tEEE10hipError_tPvRmT1_PNSt15iterator_traitsIS13_E10value_typeET2_T3_PNS14_IS19_E10value_typeET4_jRbjT5_S1F_jjP12ihipStream_tbEUljE_ZNSN_ISO_Lb1ESR_SS_SU_SV_SZ_EES10_S11_S12_S13_S17_S18_S19_S1C_S1D_jS1E_jS1F_S1F_jjS1H_bEUljE0_EEES10_S11_S12_S19_S1D_S1F_T6_T7_T9_mT8_S1H_bDpT10_ENKUlT_T0_E_clISt17integral_constantIbLb0EES1U_IbLb1EEEEDaS1Q_S1R_EUlS1Q_E_NS1_11comp_targetILNS1_3genE0ELNS1_11target_archE4294967295ELNS1_3gpuE0ELNS1_3repE0EEENS1_30default_config_static_selectorELNS0_4arch9wavefront6targetE1EEEvS13_
                                        ; -- End function
	.section	.AMDGPU.csdata,"",@progbits
; Kernel info:
; codeLenInByte = 0
; NumSgprs: 4
; NumVgprs: 0
; NumAgprs: 0
; TotalNumVgprs: 0
; ScratchSize: 0
; MemoryBound: 0
; FloatMode: 240
; IeeeMode: 1
; LDSByteSize: 0 bytes/workgroup (compile time only)
; SGPRBlocks: 0
; VGPRBlocks: 0
; NumSGPRsForWavesPerEU: 4
; NumVGPRsForWavesPerEU: 1
; AccumOffset: 4
; Occupancy: 8
; WaveLimiterHint : 0
; COMPUTE_PGM_RSRC2:SCRATCH_EN: 0
; COMPUTE_PGM_RSRC2:USER_SGPR: 6
; COMPUTE_PGM_RSRC2:TRAP_HANDLER: 0
; COMPUTE_PGM_RSRC2:TGID_X_EN: 1
; COMPUTE_PGM_RSRC2:TGID_Y_EN: 0
; COMPUTE_PGM_RSRC2:TGID_Z_EN: 0
; COMPUTE_PGM_RSRC2:TIDIG_COMP_CNT: 0
; COMPUTE_PGM_RSRC3_GFX90A:ACCUM_OFFSET: 0
; COMPUTE_PGM_RSRC3_GFX90A:TG_SPLIT: 0
	.section	.text._ZN7rocprim17ROCPRIM_400000_NS6detail17trampoline_kernelINS0_13select_configILj256ELj13ELNS0_17block_load_methodE3ELS4_3ELS4_3ELNS0_20block_scan_algorithmE0ELj4294967295EEENS1_25partition_config_selectorILNS1_17partition_subalgoE4EjNS0_10empty_typeEbEEZZNS1_14partition_implILS8_4ELb0ES6_15HIP_vector_typeIjLj2EENS0_17counting_iteratorIjlEEPS9_SG_NS0_5tupleIJPjSI_NS0_16reverse_iteratorISI_EEEEENSH_IJSG_SG_SG_EEES9_SI_JZNS1_25segmented_radix_sort_implINS0_14default_configELb1EPK6__halfPSP_PKlPlN2at6native12_GLOBAL__N_18offset_tEEE10hipError_tPvRmT1_PNSt15iterator_traitsIS13_E10value_typeET2_T3_PNS14_IS19_E10value_typeET4_jRbjT5_S1F_jjP12ihipStream_tbEUljE_ZNSN_ISO_Lb1ESR_SS_SU_SV_SZ_EES10_S11_S12_S13_S17_S18_S19_S1C_S1D_jS1E_jS1F_S1F_jjS1H_bEUljE0_EEES10_S11_S12_S19_S1D_S1F_T6_T7_T9_mT8_S1H_bDpT10_ENKUlT_T0_E_clISt17integral_constantIbLb0EES1U_IbLb1EEEEDaS1Q_S1R_EUlS1Q_E_NS1_11comp_targetILNS1_3genE5ELNS1_11target_archE942ELNS1_3gpuE9ELNS1_3repE0EEENS1_30default_config_static_selectorELNS0_4arch9wavefront6targetE1EEEvS13_,"axG",@progbits,_ZN7rocprim17ROCPRIM_400000_NS6detail17trampoline_kernelINS0_13select_configILj256ELj13ELNS0_17block_load_methodE3ELS4_3ELS4_3ELNS0_20block_scan_algorithmE0ELj4294967295EEENS1_25partition_config_selectorILNS1_17partition_subalgoE4EjNS0_10empty_typeEbEEZZNS1_14partition_implILS8_4ELb0ES6_15HIP_vector_typeIjLj2EENS0_17counting_iteratorIjlEEPS9_SG_NS0_5tupleIJPjSI_NS0_16reverse_iteratorISI_EEEEENSH_IJSG_SG_SG_EEES9_SI_JZNS1_25segmented_radix_sort_implINS0_14default_configELb1EPK6__halfPSP_PKlPlN2at6native12_GLOBAL__N_18offset_tEEE10hipError_tPvRmT1_PNSt15iterator_traitsIS13_E10value_typeET2_T3_PNS14_IS19_E10value_typeET4_jRbjT5_S1F_jjP12ihipStream_tbEUljE_ZNSN_ISO_Lb1ESR_SS_SU_SV_SZ_EES10_S11_S12_S13_S17_S18_S19_S1C_S1D_jS1E_jS1F_S1F_jjS1H_bEUljE0_EEES10_S11_S12_S19_S1D_S1F_T6_T7_T9_mT8_S1H_bDpT10_ENKUlT_T0_E_clISt17integral_constantIbLb0EES1U_IbLb1EEEEDaS1Q_S1R_EUlS1Q_E_NS1_11comp_targetILNS1_3genE5ELNS1_11target_archE942ELNS1_3gpuE9ELNS1_3repE0EEENS1_30default_config_static_selectorELNS0_4arch9wavefront6targetE1EEEvS13_,comdat
	.globl	_ZN7rocprim17ROCPRIM_400000_NS6detail17trampoline_kernelINS0_13select_configILj256ELj13ELNS0_17block_load_methodE3ELS4_3ELS4_3ELNS0_20block_scan_algorithmE0ELj4294967295EEENS1_25partition_config_selectorILNS1_17partition_subalgoE4EjNS0_10empty_typeEbEEZZNS1_14partition_implILS8_4ELb0ES6_15HIP_vector_typeIjLj2EENS0_17counting_iteratorIjlEEPS9_SG_NS0_5tupleIJPjSI_NS0_16reverse_iteratorISI_EEEEENSH_IJSG_SG_SG_EEES9_SI_JZNS1_25segmented_radix_sort_implINS0_14default_configELb1EPK6__halfPSP_PKlPlN2at6native12_GLOBAL__N_18offset_tEEE10hipError_tPvRmT1_PNSt15iterator_traitsIS13_E10value_typeET2_T3_PNS14_IS19_E10value_typeET4_jRbjT5_S1F_jjP12ihipStream_tbEUljE_ZNSN_ISO_Lb1ESR_SS_SU_SV_SZ_EES10_S11_S12_S13_S17_S18_S19_S1C_S1D_jS1E_jS1F_S1F_jjS1H_bEUljE0_EEES10_S11_S12_S19_S1D_S1F_T6_T7_T9_mT8_S1H_bDpT10_ENKUlT_T0_E_clISt17integral_constantIbLb0EES1U_IbLb1EEEEDaS1Q_S1R_EUlS1Q_E_NS1_11comp_targetILNS1_3genE5ELNS1_11target_archE942ELNS1_3gpuE9ELNS1_3repE0EEENS1_30default_config_static_selectorELNS0_4arch9wavefront6targetE1EEEvS13_ ; -- Begin function _ZN7rocprim17ROCPRIM_400000_NS6detail17trampoline_kernelINS0_13select_configILj256ELj13ELNS0_17block_load_methodE3ELS4_3ELS4_3ELNS0_20block_scan_algorithmE0ELj4294967295EEENS1_25partition_config_selectorILNS1_17partition_subalgoE4EjNS0_10empty_typeEbEEZZNS1_14partition_implILS8_4ELb0ES6_15HIP_vector_typeIjLj2EENS0_17counting_iteratorIjlEEPS9_SG_NS0_5tupleIJPjSI_NS0_16reverse_iteratorISI_EEEEENSH_IJSG_SG_SG_EEES9_SI_JZNS1_25segmented_radix_sort_implINS0_14default_configELb1EPK6__halfPSP_PKlPlN2at6native12_GLOBAL__N_18offset_tEEE10hipError_tPvRmT1_PNSt15iterator_traitsIS13_E10value_typeET2_T3_PNS14_IS19_E10value_typeET4_jRbjT5_S1F_jjP12ihipStream_tbEUljE_ZNSN_ISO_Lb1ESR_SS_SU_SV_SZ_EES10_S11_S12_S13_S17_S18_S19_S1C_S1D_jS1E_jS1F_S1F_jjS1H_bEUljE0_EEES10_S11_S12_S19_S1D_S1F_T6_T7_T9_mT8_S1H_bDpT10_ENKUlT_T0_E_clISt17integral_constantIbLb0EES1U_IbLb1EEEEDaS1Q_S1R_EUlS1Q_E_NS1_11comp_targetILNS1_3genE5ELNS1_11target_archE942ELNS1_3gpuE9ELNS1_3repE0EEENS1_30default_config_static_selectorELNS0_4arch9wavefront6targetE1EEEvS13_
	.p2align	8
	.type	_ZN7rocprim17ROCPRIM_400000_NS6detail17trampoline_kernelINS0_13select_configILj256ELj13ELNS0_17block_load_methodE3ELS4_3ELS4_3ELNS0_20block_scan_algorithmE0ELj4294967295EEENS1_25partition_config_selectorILNS1_17partition_subalgoE4EjNS0_10empty_typeEbEEZZNS1_14partition_implILS8_4ELb0ES6_15HIP_vector_typeIjLj2EENS0_17counting_iteratorIjlEEPS9_SG_NS0_5tupleIJPjSI_NS0_16reverse_iteratorISI_EEEEENSH_IJSG_SG_SG_EEES9_SI_JZNS1_25segmented_radix_sort_implINS0_14default_configELb1EPK6__halfPSP_PKlPlN2at6native12_GLOBAL__N_18offset_tEEE10hipError_tPvRmT1_PNSt15iterator_traitsIS13_E10value_typeET2_T3_PNS14_IS19_E10value_typeET4_jRbjT5_S1F_jjP12ihipStream_tbEUljE_ZNSN_ISO_Lb1ESR_SS_SU_SV_SZ_EES10_S11_S12_S13_S17_S18_S19_S1C_S1D_jS1E_jS1F_S1F_jjS1H_bEUljE0_EEES10_S11_S12_S19_S1D_S1F_T6_T7_T9_mT8_S1H_bDpT10_ENKUlT_T0_E_clISt17integral_constantIbLb0EES1U_IbLb1EEEEDaS1Q_S1R_EUlS1Q_E_NS1_11comp_targetILNS1_3genE5ELNS1_11target_archE942ELNS1_3gpuE9ELNS1_3repE0EEENS1_30default_config_static_selectorELNS0_4arch9wavefront6targetE1EEEvS13_,@function
_ZN7rocprim17ROCPRIM_400000_NS6detail17trampoline_kernelINS0_13select_configILj256ELj13ELNS0_17block_load_methodE3ELS4_3ELS4_3ELNS0_20block_scan_algorithmE0ELj4294967295EEENS1_25partition_config_selectorILNS1_17partition_subalgoE4EjNS0_10empty_typeEbEEZZNS1_14partition_implILS8_4ELb0ES6_15HIP_vector_typeIjLj2EENS0_17counting_iteratorIjlEEPS9_SG_NS0_5tupleIJPjSI_NS0_16reverse_iteratorISI_EEEEENSH_IJSG_SG_SG_EEES9_SI_JZNS1_25segmented_radix_sort_implINS0_14default_configELb1EPK6__halfPSP_PKlPlN2at6native12_GLOBAL__N_18offset_tEEE10hipError_tPvRmT1_PNSt15iterator_traitsIS13_E10value_typeET2_T3_PNS14_IS19_E10value_typeET4_jRbjT5_S1F_jjP12ihipStream_tbEUljE_ZNSN_ISO_Lb1ESR_SS_SU_SV_SZ_EES10_S11_S12_S13_S17_S18_S19_S1C_S1D_jS1E_jS1F_S1F_jjS1H_bEUljE0_EEES10_S11_S12_S19_S1D_S1F_T6_T7_T9_mT8_S1H_bDpT10_ENKUlT_T0_E_clISt17integral_constantIbLb0EES1U_IbLb1EEEEDaS1Q_S1R_EUlS1Q_E_NS1_11comp_targetILNS1_3genE5ELNS1_11target_archE942ELNS1_3gpuE9ELNS1_3repE0EEENS1_30default_config_static_selectorELNS0_4arch9wavefront6targetE1EEEvS13_: ; @_ZN7rocprim17ROCPRIM_400000_NS6detail17trampoline_kernelINS0_13select_configILj256ELj13ELNS0_17block_load_methodE3ELS4_3ELS4_3ELNS0_20block_scan_algorithmE0ELj4294967295EEENS1_25partition_config_selectorILNS1_17partition_subalgoE4EjNS0_10empty_typeEbEEZZNS1_14partition_implILS8_4ELb0ES6_15HIP_vector_typeIjLj2EENS0_17counting_iteratorIjlEEPS9_SG_NS0_5tupleIJPjSI_NS0_16reverse_iteratorISI_EEEEENSH_IJSG_SG_SG_EEES9_SI_JZNS1_25segmented_radix_sort_implINS0_14default_configELb1EPK6__halfPSP_PKlPlN2at6native12_GLOBAL__N_18offset_tEEE10hipError_tPvRmT1_PNSt15iterator_traitsIS13_E10value_typeET2_T3_PNS14_IS19_E10value_typeET4_jRbjT5_S1F_jjP12ihipStream_tbEUljE_ZNSN_ISO_Lb1ESR_SS_SU_SV_SZ_EES10_S11_S12_S13_S17_S18_S19_S1C_S1D_jS1E_jS1F_S1F_jjS1H_bEUljE0_EEES10_S11_S12_S19_S1D_S1F_T6_T7_T9_mT8_S1H_bDpT10_ENKUlT_T0_E_clISt17integral_constantIbLb0EES1U_IbLb1EEEEDaS1Q_S1R_EUlS1Q_E_NS1_11comp_targetILNS1_3genE5ELNS1_11target_archE942ELNS1_3gpuE9ELNS1_3repE0EEENS1_30default_config_static_selectorELNS0_4arch9wavefront6targetE1EEEvS13_
; %bb.0:
	.section	.rodata,"a",@progbits
	.p2align	6, 0x0
	.amdhsa_kernel _ZN7rocprim17ROCPRIM_400000_NS6detail17trampoline_kernelINS0_13select_configILj256ELj13ELNS0_17block_load_methodE3ELS4_3ELS4_3ELNS0_20block_scan_algorithmE0ELj4294967295EEENS1_25partition_config_selectorILNS1_17partition_subalgoE4EjNS0_10empty_typeEbEEZZNS1_14partition_implILS8_4ELb0ES6_15HIP_vector_typeIjLj2EENS0_17counting_iteratorIjlEEPS9_SG_NS0_5tupleIJPjSI_NS0_16reverse_iteratorISI_EEEEENSH_IJSG_SG_SG_EEES9_SI_JZNS1_25segmented_radix_sort_implINS0_14default_configELb1EPK6__halfPSP_PKlPlN2at6native12_GLOBAL__N_18offset_tEEE10hipError_tPvRmT1_PNSt15iterator_traitsIS13_E10value_typeET2_T3_PNS14_IS19_E10value_typeET4_jRbjT5_S1F_jjP12ihipStream_tbEUljE_ZNSN_ISO_Lb1ESR_SS_SU_SV_SZ_EES10_S11_S12_S13_S17_S18_S19_S1C_S1D_jS1E_jS1F_S1F_jjS1H_bEUljE0_EEES10_S11_S12_S19_S1D_S1F_T6_T7_T9_mT8_S1H_bDpT10_ENKUlT_T0_E_clISt17integral_constantIbLb0EES1U_IbLb1EEEEDaS1Q_S1R_EUlS1Q_E_NS1_11comp_targetILNS1_3genE5ELNS1_11target_archE942ELNS1_3gpuE9ELNS1_3repE0EEENS1_30default_config_static_selectorELNS0_4arch9wavefront6targetE1EEEvS13_
		.amdhsa_group_segment_fixed_size 0
		.amdhsa_private_segment_fixed_size 0
		.amdhsa_kernarg_size 184
		.amdhsa_user_sgpr_count 6
		.amdhsa_user_sgpr_private_segment_buffer 1
		.amdhsa_user_sgpr_dispatch_ptr 0
		.amdhsa_user_sgpr_queue_ptr 0
		.amdhsa_user_sgpr_kernarg_segment_ptr 1
		.amdhsa_user_sgpr_dispatch_id 0
		.amdhsa_user_sgpr_flat_scratch_init 0
		.amdhsa_user_sgpr_kernarg_preload_length 0
		.amdhsa_user_sgpr_kernarg_preload_offset 0
		.amdhsa_user_sgpr_private_segment_size 0
		.amdhsa_uses_dynamic_stack 0
		.amdhsa_system_sgpr_private_segment_wavefront_offset 0
		.amdhsa_system_sgpr_workgroup_id_x 1
		.amdhsa_system_sgpr_workgroup_id_y 0
		.amdhsa_system_sgpr_workgroup_id_z 0
		.amdhsa_system_sgpr_workgroup_info 0
		.amdhsa_system_vgpr_workitem_id 0
		.amdhsa_next_free_vgpr 1
		.amdhsa_next_free_sgpr 0
		.amdhsa_accum_offset 4
		.amdhsa_reserve_vcc 0
		.amdhsa_reserve_flat_scratch 0
		.amdhsa_float_round_mode_32 0
		.amdhsa_float_round_mode_16_64 0
		.amdhsa_float_denorm_mode_32 3
		.amdhsa_float_denorm_mode_16_64 3
		.amdhsa_dx10_clamp 1
		.amdhsa_ieee_mode 1
		.amdhsa_fp16_overflow 0
		.amdhsa_tg_split 0
		.amdhsa_exception_fp_ieee_invalid_op 0
		.amdhsa_exception_fp_denorm_src 0
		.amdhsa_exception_fp_ieee_div_zero 0
		.amdhsa_exception_fp_ieee_overflow 0
		.amdhsa_exception_fp_ieee_underflow 0
		.amdhsa_exception_fp_ieee_inexact 0
		.amdhsa_exception_int_div_zero 0
	.end_amdhsa_kernel
	.section	.text._ZN7rocprim17ROCPRIM_400000_NS6detail17trampoline_kernelINS0_13select_configILj256ELj13ELNS0_17block_load_methodE3ELS4_3ELS4_3ELNS0_20block_scan_algorithmE0ELj4294967295EEENS1_25partition_config_selectorILNS1_17partition_subalgoE4EjNS0_10empty_typeEbEEZZNS1_14partition_implILS8_4ELb0ES6_15HIP_vector_typeIjLj2EENS0_17counting_iteratorIjlEEPS9_SG_NS0_5tupleIJPjSI_NS0_16reverse_iteratorISI_EEEEENSH_IJSG_SG_SG_EEES9_SI_JZNS1_25segmented_radix_sort_implINS0_14default_configELb1EPK6__halfPSP_PKlPlN2at6native12_GLOBAL__N_18offset_tEEE10hipError_tPvRmT1_PNSt15iterator_traitsIS13_E10value_typeET2_T3_PNS14_IS19_E10value_typeET4_jRbjT5_S1F_jjP12ihipStream_tbEUljE_ZNSN_ISO_Lb1ESR_SS_SU_SV_SZ_EES10_S11_S12_S13_S17_S18_S19_S1C_S1D_jS1E_jS1F_S1F_jjS1H_bEUljE0_EEES10_S11_S12_S19_S1D_S1F_T6_T7_T9_mT8_S1H_bDpT10_ENKUlT_T0_E_clISt17integral_constantIbLb0EES1U_IbLb1EEEEDaS1Q_S1R_EUlS1Q_E_NS1_11comp_targetILNS1_3genE5ELNS1_11target_archE942ELNS1_3gpuE9ELNS1_3repE0EEENS1_30default_config_static_selectorELNS0_4arch9wavefront6targetE1EEEvS13_,"axG",@progbits,_ZN7rocprim17ROCPRIM_400000_NS6detail17trampoline_kernelINS0_13select_configILj256ELj13ELNS0_17block_load_methodE3ELS4_3ELS4_3ELNS0_20block_scan_algorithmE0ELj4294967295EEENS1_25partition_config_selectorILNS1_17partition_subalgoE4EjNS0_10empty_typeEbEEZZNS1_14partition_implILS8_4ELb0ES6_15HIP_vector_typeIjLj2EENS0_17counting_iteratorIjlEEPS9_SG_NS0_5tupleIJPjSI_NS0_16reverse_iteratorISI_EEEEENSH_IJSG_SG_SG_EEES9_SI_JZNS1_25segmented_radix_sort_implINS0_14default_configELb1EPK6__halfPSP_PKlPlN2at6native12_GLOBAL__N_18offset_tEEE10hipError_tPvRmT1_PNSt15iterator_traitsIS13_E10value_typeET2_T3_PNS14_IS19_E10value_typeET4_jRbjT5_S1F_jjP12ihipStream_tbEUljE_ZNSN_ISO_Lb1ESR_SS_SU_SV_SZ_EES10_S11_S12_S13_S17_S18_S19_S1C_S1D_jS1E_jS1F_S1F_jjS1H_bEUljE0_EEES10_S11_S12_S19_S1D_S1F_T6_T7_T9_mT8_S1H_bDpT10_ENKUlT_T0_E_clISt17integral_constantIbLb0EES1U_IbLb1EEEEDaS1Q_S1R_EUlS1Q_E_NS1_11comp_targetILNS1_3genE5ELNS1_11target_archE942ELNS1_3gpuE9ELNS1_3repE0EEENS1_30default_config_static_selectorELNS0_4arch9wavefront6targetE1EEEvS13_,comdat
.Lfunc_end1698:
	.size	_ZN7rocprim17ROCPRIM_400000_NS6detail17trampoline_kernelINS0_13select_configILj256ELj13ELNS0_17block_load_methodE3ELS4_3ELS4_3ELNS0_20block_scan_algorithmE0ELj4294967295EEENS1_25partition_config_selectorILNS1_17partition_subalgoE4EjNS0_10empty_typeEbEEZZNS1_14partition_implILS8_4ELb0ES6_15HIP_vector_typeIjLj2EENS0_17counting_iteratorIjlEEPS9_SG_NS0_5tupleIJPjSI_NS0_16reverse_iteratorISI_EEEEENSH_IJSG_SG_SG_EEES9_SI_JZNS1_25segmented_radix_sort_implINS0_14default_configELb1EPK6__halfPSP_PKlPlN2at6native12_GLOBAL__N_18offset_tEEE10hipError_tPvRmT1_PNSt15iterator_traitsIS13_E10value_typeET2_T3_PNS14_IS19_E10value_typeET4_jRbjT5_S1F_jjP12ihipStream_tbEUljE_ZNSN_ISO_Lb1ESR_SS_SU_SV_SZ_EES10_S11_S12_S13_S17_S18_S19_S1C_S1D_jS1E_jS1F_S1F_jjS1H_bEUljE0_EEES10_S11_S12_S19_S1D_S1F_T6_T7_T9_mT8_S1H_bDpT10_ENKUlT_T0_E_clISt17integral_constantIbLb0EES1U_IbLb1EEEEDaS1Q_S1R_EUlS1Q_E_NS1_11comp_targetILNS1_3genE5ELNS1_11target_archE942ELNS1_3gpuE9ELNS1_3repE0EEENS1_30default_config_static_selectorELNS0_4arch9wavefront6targetE1EEEvS13_, .Lfunc_end1698-_ZN7rocprim17ROCPRIM_400000_NS6detail17trampoline_kernelINS0_13select_configILj256ELj13ELNS0_17block_load_methodE3ELS4_3ELS4_3ELNS0_20block_scan_algorithmE0ELj4294967295EEENS1_25partition_config_selectorILNS1_17partition_subalgoE4EjNS0_10empty_typeEbEEZZNS1_14partition_implILS8_4ELb0ES6_15HIP_vector_typeIjLj2EENS0_17counting_iteratorIjlEEPS9_SG_NS0_5tupleIJPjSI_NS0_16reverse_iteratorISI_EEEEENSH_IJSG_SG_SG_EEES9_SI_JZNS1_25segmented_radix_sort_implINS0_14default_configELb1EPK6__halfPSP_PKlPlN2at6native12_GLOBAL__N_18offset_tEEE10hipError_tPvRmT1_PNSt15iterator_traitsIS13_E10value_typeET2_T3_PNS14_IS19_E10value_typeET4_jRbjT5_S1F_jjP12ihipStream_tbEUljE_ZNSN_ISO_Lb1ESR_SS_SU_SV_SZ_EES10_S11_S12_S13_S17_S18_S19_S1C_S1D_jS1E_jS1F_S1F_jjS1H_bEUljE0_EEES10_S11_S12_S19_S1D_S1F_T6_T7_T9_mT8_S1H_bDpT10_ENKUlT_T0_E_clISt17integral_constantIbLb0EES1U_IbLb1EEEEDaS1Q_S1R_EUlS1Q_E_NS1_11comp_targetILNS1_3genE5ELNS1_11target_archE942ELNS1_3gpuE9ELNS1_3repE0EEENS1_30default_config_static_selectorELNS0_4arch9wavefront6targetE1EEEvS13_
                                        ; -- End function
	.section	.AMDGPU.csdata,"",@progbits
; Kernel info:
; codeLenInByte = 0
; NumSgprs: 4
; NumVgprs: 0
; NumAgprs: 0
; TotalNumVgprs: 0
; ScratchSize: 0
; MemoryBound: 0
; FloatMode: 240
; IeeeMode: 1
; LDSByteSize: 0 bytes/workgroup (compile time only)
; SGPRBlocks: 0
; VGPRBlocks: 0
; NumSGPRsForWavesPerEU: 4
; NumVGPRsForWavesPerEU: 1
; AccumOffset: 4
; Occupancy: 8
; WaveLimiterHint : 0
; COMPUTE_PGM_RSRC2:SCRATCH_EN: 0
; COMPUTE_PGM_RSRC2:USER_SGPR: 6
; COMPUTE_PGM_RSRC2:TRAP_HANDLER: 0
; COMPUTE_PGM_RSRC2:TGID_X_EN: 1
; COMPUTE_PGM_RSRC2:TGID_Y_EN: 0
; COMPUTE_PGM_RSRC2:TGID_Z_EN: 0
; COMPUTE_PGM_RSRC2:TIDIG_COMP_CNT: 0
; COMPUTE_PGM_RSRC3_GFX90A:ACCUM_OFFSET: 0
; COMPUTE_PGM_RSRC3_GFX90A:TG_SPLIT: 0
	.section	.text._ZN7rocprim17ROCPRIM_400000_NS6detail17trampoline_kernelINS0_13select_configILj256ELj13ELNS0_17block_load_methodE3ELS4_3ELS4_3ELNS0_20block_scan_algorithmE0ELj4294967295EEENS1_25partition_config_selectorILNS1_17partition_subalgoE4EjNS0_10empty_typeEbEEZZNS1_14partition_implILS8_4ELb0ES6_15HIP_vector_typeIjLj2EENS0_17counting_iteratorIjlEEPS9_SG_NS0_5tupleIJPjSI_NS0_16reverse_iteratorISI_EEEEENSH_IJSG_SG_SG_EEES9_SI_JZNS1_25segmented_radix_sort_implINS0_14default_configELb1EPK6__halfPSP_PKlPlN2at6native12_GLOBAL__N_18offset_tEEE10hipError_tPvRmT1_PNSt15iterator_traitsIS13_E10value_typeET2_T3_PNS14_IS19_E10value_typeET4_jRbjT5_S1F_jjP12ihipStream_tbEUljE_ZNSN_ISO_Lb1ESR_SS_SU_SV_SZ_EES10_S11_S12_S13_S17_S18_S19_S1C_S1D_jS1E_jS1F_S1F_jjS1H_bEUljE0_EEES10_S11_S12_S19_S1D_S1F_T6_T7_T9_mT8_S1H_bDpT10_ENKUlT_T0_E_clISt17integral_constantIbLb0EES1U_IbLb1EEEEDaS1Q_S1R_EUlS1Q_E_NS1_11comp_targetILNS1_3genE4ELNS1_11target_archE910ELNS1_3gpuE8ELNS1_3repE0EEENS1_30default_config_static_selectorELNS0_4arch9wavefront6targetE1EEEvS13_,"axG",@progbits,_ZN7rocprim17ROCPRIM_400000_NS6detail17trampoline_kernelINS0_13select_configILj256ELj13ELNS0_17block_load_methodE3ELS4_3ELS4_3ELNS0_20block_scan_algorithmE0ELj4294967295EEENS1_25partition_config_selectorILNS1_17partition_subalgoE4EjNS0_10empty_typeEbEEZZNS1_14partition_implILS8_4ELb0ES6_15HIP_vector_typeIjLj2EENS0_17counting_iteratorIjlEEPS9_SG_NS0_5tupleIJPjSI_NS0_16reverse_iteratorISI_EEEEENSH_IJSG_SG_SG_EEES9_SI_JZNS1_25segmented_radix_sort_implINS0_14default_configELb1EPK6__halfPSP_PKlPlN2at6native12_GLOBAL__N_18offset_tEEE10hipError_tPvRmT1_PNSt15iterator_traitsIS13_E10value_typeET2_T3_PNS14_IS19_E10value_typeET4_jRbjT5_S1F_jjP12ihipStream_tbEUljE_ZNSN_ISO_Lb1ESR_SS_SU_SV_SZ_EES10_S11_S12_S13_S17_S18_S19_S1C_S1D_jS1E_jS1F_S1F_jjS1H_bEUljE0_EEES10_S11_S12_S19_S1D_S1F_T6_T7_T9_mT8_S1H_bDpT10_ENKUlT_T0_E_clISt17integral_constantIbLb0EES1U_IbLb1EEEEDaS1Q_S1R_EUlS1Q_E_NS1_11comp_targetILNS1_3genE4ELNS1_11target_archE910ELNS1_3gpuE8ELNS1_3repE0EEENS1_30default_config_static_selectorELNS0_4arch9wavefront6targetE1EEEvS13_,comdat
	.globl	_ZN7rocprim17ROCPRIM_400000_NS6detail17trampoline_kernelINS0_13select_configILj256ELj13ELNS0_17block_load_methodE3ELS4_3ELS4_3ELNS0_20block_scan_algorithmE0ELj4294967295EEENS1_25partition_config_selectorILNS1_17partition_subalgoE4EjNS0_10empty_typeEbEEZZNS1_14partition_implILS8_4ELb0ES6_15HIP_vector_typeIjLj2EENS0_17counting_iteratorIjlEEPS9_SG_NS0_5tupleIJPjSI_NS0_16reverse_iteratorISI_EEEEENSH_IJSG_SG_SG_EEES9_SI_JZNS1_25segmented_radix_sort_implINS0_14default_configELb1EPK6__halfPSP_PKlPlN2at6native12_GLOBAL__N_18offset_tEEE10hipError_tPvRmT1_PNSt15iterator_traitsIS13_E10value_typeET2_T3_PNS14_IS19_E10value_typeET4_jRbjT5_S1F_jjP12ihipStream_tbEUljE_ZNSN_ISO_Lb1ESR_SS_SU_SV_SZ_EES10_S11_S12_S13_S17_S18_S19_S1C_S1D_jS1E_jS1F_S1F_jjS1H_bEUljE0_EEES10_S11_S12_S19_S1D_S1F_T6_T7_T9_mT8_S1H_bDpT10_ENKUlT_T0_E_clISt17integral_constantIbLb0EES1U_IbLb1EEEEDaS1Q_S1R_EUlS1Q_E_NS1_11comp_targetILNS1_3genE4ELNS1_11target_archE910ELNS1_3gpuE8ELNS1_3repE0EEENS1_30default_config_static_selectorELNS0_4arch9wavefront6targetE1EEEvS13_ ; -- Begin function _ZN7rocprim17ROCPRIM_400000_NS6detail17trampoline_kernelINS0_13select_configILj256ELj13ELNS0_17block_load_methodE3ELS4_3ELS4_3ELNS0_20block_scan_algorithmE0ELj4294967295EEENS1_25partition_config_selectorILNS1_17partition_subalgoE4EjNS0_10empty_typeEbEEZZNS1_14partition_implILS8_4ELb0ES6_15HIP_vector_typeIjLj2EENS0_17counting_iteratorIjlEEPS9_SG_NS0_5tupleIJPjSI_NS0_16reverse_iteratorISI_EEEEENSH_IJSG_SG_SG_EEES9_SI_JZNS1_25segmented_radix_sort_implINS0_14default_configELb1EPK6__halfPSP_PKlPlN2at6native12_GLOBAL__N_18offset_tEEE10hipError_tPvRmT1_PNSt15iterator_traitsIS13_E10value_typeET2_T3_PNS14_IS19_E10value_typeET4_jRbjT5_S1F_jjP12ihipStream_tbEUljE_ZNSN_ISO_Lb1ESR_SS_SU_SV_SZ_EES10_S11_S12_S13_S17_S18_S19_S1C_S1D_jS1E_jS1F_S1F_jjS1H_bEUljE0_EEES10_S11_S12_S19_S1D_S1F_T6_T7_T9_mT8_S1H_bDpT10_ENKUlT_T0_E_clISt17integral_constantIbLb0EES1U_IbLb1EEEEDaS1Q_S1R_EUlS1Q_E_NS1_11comp_targetILNS1_3genE4ELNS1_11target_archE910ELNS1_3gpuE8ELNS1_3repE0EEENS1_30default_config_static_selectorELNS0_4arch9wavefront6targetE1EEEvS13_
	.p2align	8
	.type	_ZN7rocprim17ROCPRIM_400000_NS6detail17trampoline_kernelINS0_13select_configILj256ELj13ELNS0_17block_load_methodE3ELS4_3ELS4_3ELNS0_20block_scan_algorithmE0ELj4294967295EEENS1_25partition_config_selectorILNS1_17partition_subalgoE4EjNS0_10empty_typeEbEEZZNS1_14partition_implILS8_4ELb0ES6_15HIP_vector_typeIjLj2EENS0_17counting_iteratorIjlEEPS9_SG_NS0_5tupleIJPjSI_NS0_16reverse_iteratorISI_EEEEENSH_IJSG_SG_SG_EEES9_SI_JZNS1_25segmented_radix_sort_implINS0_14default_configELb1EPK6__halfPSP_PKlPlN2at6native12_GLOBAL__N_18offset_tEEE10hipError_tPvRmT1_PNSt15iterator_traitsIS13_E10value_typeET2_T3_PNS14_IS19_E10value_typeET4_jRbjT5_S1F_jjP12ihipStream_tbEUljE_ZNSN_ISO_Lb1ESR_SS_SU_SV_SZ_EES10_S11_S12_S13_S17_S18_S19_S1C_S1D_jS1E_jS1F_S1F_jjS1H_bEUljE0_EEES10_S11_S12_S19_S1D_S1F_T6_T7_T9_mT8_S1H_bDpT10_ENKUlT_T0_E_clISt17integral_constantIbLb0EES1U_IbLb1EEEEDaS1Q_S1R_EUlS1Q_E_NS1_11comp_targetILNS1_3genE4ELNS1_11target_archE910ELNS1_3gpuE8ELNS1_3repE0EEENS1_30default_config_static_selectorELNS0_4arch9wavefront6targetE1EEEvS13_,@function
_ZN7rocprim17ROCPRIM_400000_NS6detail17trampoline_kernelINS0_13select_configILj256ELj13ELNS0_17block_load_methodE3ELS4_3ELS4_3ELNS0_20block_scan_algorithmE0ELj4294967295EEENS1_25partition_config_selectorILNS1_17partition_subalgoE4EjNS0_10empty_typeEbEEZZNS1_14partition_implILS8_4ELb0ES6_15HIP_vector_typeIjLj2EENS0_17counting_iteratorIjlEEPS9_SG_NS0_5tupleIJPjSI_NS0_16reverse_iteratorISI_EEEEENSH_IJSG_SG_SG_EEES9_SI_JZNS1_25segmented_radix_sort_implINS0_14default_configELb1EPK6__halfPSP_PKlPlN2at6native12_GLOBAL__N_18offset_tEEE10hipError_tPvRmT1_PNSt15iterator_traitsIS13_E10value_typeET2_T3_PNS14_IS19_E10value_typeET4_jRbjT5_S1F_jjP12ihipStream_tbEUljE_ZNSN_ISO_Lb1ESR_SS_SU_SV_SZ_EES10_S11_S12_S13_S17_S18_S19_S1C_S1D_jS1E_jS1F_S1F_jjS1H_bEUljE0_EEES10_S11_S12_S19_S1D_S1F_T6_T7_T9_mT8_S1H_bDpT10_ENKUlT_T0_E_clISt17integral_constantIbLb0EES1U_IbLb1EEEEDaS1Q_S1R_EUlS1Q_E_NS1_11comp_targetILNS1_3genE4ELNS1_11target_archE910ELNS1_3gpuE8ELNS1_3repE0EEENS1_30default_config_static_selectorELNS0_4arch9wavefront6targetE1EEEvS13_: ; @_ZN7rocprim17ROCPRIM_400000_NS6detail17trampoline_kernelINS0_13select_configILj256ELj13ELNS0_17block_load_methodE3ELS4_3ELS4_3ELNS0_20block_scan_algorithmE0ELj4294967295EEENS1_25partition_config_selectorILNS1_17partition_subalgoE4EjNS0_10empty_typeEbEEZZNS1_14partition_implILS8_4ELb0ES6_15HIP_vector_typeIjLj2EENS0_17counting_iteratorIjlEEPS9_SG_NS0_5tupleIJPjSI_NS0_16reverse_iteratorISI_EEEEENSH_IJSG_SG_SG_EEES9_SI_JZNS1_25segmented_radix_sort_implINS0_14default_configELb1EPK6__halfPSP_PKlPlN2at6native12_GLOBAL__N_18offset_tEEE10hipError_tPvRmT1_PNSt15iterator_traitsIS13_E10value_typeET2_T3_PNS14_IS19_E10value_typeET4_jRbjT5_S1F_jjP12ihipStream_tbEUljE_ZNSN_ISO_Lb1ESR_SS_SU_SV_SZ_EES10_S11_S12_S13_S17_S18_S19_S1C_S1D_jS1E_jS1F_S1F_jjS1H_bEUljE0_EEES10_S11_S12_S19_S1D_S1F_T6_T7_T9_mT8_S1H_bDpT10_ENKUlT_T0_E_clISt17integral_constantIbLb0EES1U_IbLb1EEEEDaS1Q_S1R_EUlS1Q_E_NS1_11comp_targetILNS1_3genE4ELNS1_11target_archE910ELNS1_3gpuE8ELNS1_3repE0EEENS1_30default_config_static_selectorELNS0_4arch9wavefront6targetE1EEEvS13_
; %bb.0:
	s_load_dwordx2 s[48:49], s[4:5], 0x10
	s_load_dwordx4 s[44:47], s[4:5], 0x28
	s_load_dwordx2 s[34:35], s[4:5], 0x38
	s_load_dwordx4 s[28:31], s[4:5], 0x58
	s_load_dwordx2 s[2:3], s[4:5], 0x68
	s_load_dwordx2 s[50:51], s[4:5], 0x78
	;; [unrolled: 1-line block ×3, first 2 shown]
	s_load_dwordx8 s[36:43], s[4:5], 0x90
	v_cmp_eq_u32_e64 s[0:1], 0, v0
	s_and_saveexec_b64 s[6:7], s[0:1]
	s_cbranch_execz .LBB1699_4
; %bb.1:
	s_mov_b64 s[10:11], exec
	v_mbcnt_lo_u32_b32 v1, s10, 0
	v_mbcnt_hi_u32_b32 v1, s11, v1
	v_cmp_eq_u32_e32 vcc, 0, v1
                                        ; implicit-def: $vgpr2
	s_and_saveexec_b64 s[8:9], vcc
	s_cbranch_execz .LBB1699_3
; %bb.2:
	s_load_dwordx2 s[12:13], s[4:5], 0x88
	s_bcnt1_i32_b64 s10, s[10:11]
	v_mov_b32_e32 v2, 0
	v_mov_b32_e32 v3, s10
	s_waitcnt lgkmcnt(0)
	global_atomic_add v2, v2, v3, s[12:13] glc
.LBB1699_3:
	s_or_b64 exec, exec, s[8:9]
	s_waitcnt vmcnt(0)
	v_readfirstlane_b32 s8, v2
	v_add_u32_e32 v1, s8, v1
	v_mov_b32_e32 v2, 0
	ds_write_b32 v2, v1
.LBB1699_4:
	s_or_b64 exec, exec, s[6:7]
	v_mov_b32_e32 v1, 0
	s_load_dword s7, s[4:5], 0x8
	s_load_dword s6, s[4:5], 0x80
	s_waitcnt lgkmcnt(0)
	s_barrier
	ds_read_b32 v8, v1
	s_waitcnt lgkmcnt(0)
	s_barrier
	global_load_dwordx4 v[2:5], v1, s[30:31]
	v_mov_b32_e32 v7, s3
	s_movk_i32 s3, 0xd00
	s_add_i32 s8, s7, s48
	v_mul_lo_u32 v34, v8, s3
	s_add_i32 s7, s6, -1
	s_mul_i32 s3, s6, 0xd00
	s_add_u32 s4, s48, s3
	v_readfirstlane_b32 s33, v8
	s_addc_u32 s5, s49, 0
	s_cmp_eq_u32 s33, s7
	v_mov_b32_e32 v6, s2
	s_cselect_b64 s[30:31], -1, 0
	s_cmp_lg_u32 s33, s7
	v_cmp_lt_u64_e32 vcc, s[4:5], v[6:7]
	s_cselect_b64 s[4:5], -1, 0
	s_or_b64 s[4:5], vcc, s[4:5]
	v_add_u32_e32 v1, s8, v34
	s_mov_b64 s[6:7], -1
	s_and_b64 vcc, exec, s[4:5]
	v_add_u32_e32 v1, v1, v0
	s_cbranch_vccz .LBB1699_6
; %bb.5:
	v_add_u32_e32 v6, 0x100, v1
	v_lshlrev_b32_e32 v18, 2, v0
	v_add_u32_e32 v7, 0x200, v1
	v_add_u32_e32 v8, 0x300, v1
	;; [unrolled: 1-line block ×11, first 2 shown]
	ds_write2st64_b32 v18, v1, v6 offset1:4
	ds_write2st64_b32 v18, v7, v8 offset0:8 offset1:12
	ds_write2st64_b32 v18, v9, v10 offset0:16 offset1:20
	;; [unrolled: 1-line block ×5, first 2 shown]
	ds_write_b32 v18, v17 offset:12288
	s_waitcnt lgkmcnt(0)
	s_barrier
	s_mov_b64 s[6:7], 0
.LBB1699_6:
	s_andn2_b64 vcc, exec, s[6:7]
	s_add_i32 s3, s3, s48
	s_cbranch_vccnz .LBB1699_8
; %bb.7:
	v_add_u32_e32 v6, 0x100, v1
	v_lshlrev_b32_e32 v18, 2, v0
	v_add_u32_e32 v7, 0x200, v1
	v_add_u32_e32 v8, 0x300, v1
	;; [unrolled: 1-line block ×11, first 2 shown]
	ds_write2st64_b32 v18, v1, v6 offset1:4
	ds_write2st64_b32 v18, v7, v8 offset0:8 offset1:12
	ds_write2st64_b32 v18, v9, v10 offset0:16 offset1:20
	ds_write2st64_b32 v18, v11, v12 offset0:24 offset1:28
	ds_write2st64_b32 v18, v13, v14 offset0:32 offset1:36
	ds_write2st64_b32 v18, v15, v16 offset0:40 offset1:44
	ds_write_b32 v18, v17 offset:12288
	s_waitcnt lgkmcnt(0)
	s_barrier
.LBB1699_8:
	v_mul_u32_u24_e32 v36, 13, v0
	v_lshlrev_b32_e32 v1, 2, v36
	ds_read2_b32 v[22:23], v1 offset1:1
	ds_read2_b32 v[20:21], v1 offset0:2 offset1:3
	ds_read2_b32 v[18:19], v1 offset0:4 offset1:5
	;; [unrolled: 1-line block ×5, first 2 shown]
	ds_read_b32 v35, v1 offset:48
	v_cndmask_b32_e64 v1, 0, 1, s[4:5]
	s_sub_i32 s86, s2, s3
	v_cmp_ne_u32_e64 s[2:3], 1, v1
	s_andn2_b64 vcc, exec, s[4:5]
	s_waitcnt lgkmcnt(0)
	s_barrier
	s_cbranch_vccnz .LBB1699_36
; %bb.9:
	v_add_u32_e32 v1, s37, v22
	v_add_u32_e32 v6, s39, v22
	v_mul_lo_u32 v1, v1, s36
	v_mul_lo_u32 v6, v6, s38
	v_sub_u32_e32 v1, v1, v6
	v_cmp_lt_u32_e32 vcc, s40, v1
	v_cmp_ge_u32_e64 s[4:5], s40, v1
	s_mov_b64 s[60:61], 0
	s_mov_b64 s[58:59], 0
	s_and_saveexec_b64 s[6:7], s[4:5]
; %bb.10:
	v_add_u32_e32 v1, s42, v22
	v_add_u32_e32 v6, s56, v22
	v_mul_lo_u32 v1, v1, s41
	v_mul_lo_u32 v6, v6, s43
	v_sub_u32_e32 v1, v1, v6
	v_cmp_lt_u32_e64 s[4:5], s57, v1
	s_and_b64 s[58:59], s[4:5], exec
; %bb.11:
	s_or_b64 exec, exec, s[6:7]
	v_add_u32_e32 v1, s37, v23
	v_add_u32_e32 v6, s39, v23
	v_mul_lo_u32 v1, v1, s36
	v_mul_lo_u32 v6, v6, s38
	v_sub_u32_e32 v1, v1, v6
	v_cmp_lt_u32_e64 s[4:5], s40, v1
	v_cmp_ge_u32_e64 s[6:7], s40, v1
	s_and_saveexec_b64 s[8:9], s[6:7]
; %bb.12:
	v_add_u32_e32 v1, s42, v23
	v_add_u32_e32 v6, s56, v23
	v_mul_lo_u32 v1, v1, s41
	v_mul_lo_u32 v6, v6, s43
	v_sub_u32_e32 v1, v1, v6
	v_cmp_lt_u32_e64 s[6:7], s57, v1
	s_and_b64 s[60:61], s[6:7], exec
; %bb.13:
	s_or_b64 exec, exec, s[8:9]
	v_add_u32_e32 v1, s37, v20
	v_add_u32_e32 v6, s39, v20
	v_mul_lo_u32 v1, v1, s36
	v_mul_lo_u32 v6, v6, s38
	v_sub_u32_e32 v1, v1, v6
	v_cmp_lt_u32_e64 s[6:7], s40, v1
	v_cmp_ge_u32_e64 s[8:9], s40, v1
	s_mov_b64 s[64:65], 0
	s_mov_b64 s[62:63], 0
	s_and_saveexec_b64 s[10:11], s[8:9]
; %bb.14:
	v_add_u32_e32 v1, s42, v20
	v_add_u32_e32 v6, s56, v20
	v_mul_lo_u32 v1, v1, s41
	v_mul_lo_u32 v6, v6, s43
	v_sub_u32_e32 v1, v1, v6
	v_cmp_lt_u32_e64 s[8:9], s57, v1
	s_and_b64 s[62:63], s[8:9], exec
; %bb.15:
	s_or_b64 exec, exec, s[10:11]
	v_add_u32_e32 v1, s37, v21
	v_add_u32_e32 v6, s39, v21
	v_mul_lo_u32 v1, v1, s36
	v_mul_lo_u32 v6, v6, s38
	v_sub_u32_e32 v1, v1, v6
	v_cmp_lt_u32_e64 s[8:9], s40, v1
	v_cmp_ge_u32_e64 s[10:11], s40, v1
	s_and_saveexec_b64 s[12:13], s[10:11]
; %bb.16:
	v_add_u32_e32 v1, s42, v21
	v_add_u32_e32 v6, s56, v21
	v_mul_lo_u32 v1, v1, s41
	v_mul_lo_u32 v6, v6, s43
	v_sub_u32_e32 v1, v1, v6
	v_cmp_lt_u32_e64 s[10:11], s57, v1
	s_and_b64 s[64:65], s[10:11], exec
; %bb.17:
	s_or_b64 exec, exec, s[12:13]
	v_add_u32_e32 v1, s37, v18
	v_add_u32_e32 v6, s39, v18
	v_mul_lo_u32 v1, v1, s36
	v_mul_lo_u32 v6, v6, s38
	v_sub_u32_e32 v1, v1, v6
	v_cmp_lt_u32_e64 s[10:11], s40, v1
	;; [unrolled: 38-line block ×5, first 2 shown]
	v_cmp_ge_u32_e64 s[24:25], s40, v1
	s_mov_b64 s[80:81], 0
	s_mov_b64 s[82:83], 0
	s_and_saveexec_b64 s[26:27], s[24:25]
; %bb.30:
	v_add_u32_e32 v1, s42, v12
	v_add_u32_e32 v6, s56, v12
	v_mul_lo_u32 v1, v1, s41
	v_mul_lo_u32 v6, v6, s43
	v_sub_u32_e32 v1, v1, v6
	v_cmp_lt_u32_e64 s[24:25], s57, v1
	s_and_b64 s[82:83], s[24:25], exec
; %bb.31:
	s_or_b64 exec, exec, s[26:27]
	v_add_u32_e32 v1, s37, v13
	v_add_u32_e32 v6, s39, v13
	v_mul_lo_u32 v1, v1, s36
	v_mul_lo_u32 v6, v6, s38
	v_sub_u32_e32 v1, v1, v6
	v_cmp_lt_u32_e64 s[24:25], s40, v1
	v_cmp_ge_u32_e64 s[26:27], s40, v1
	s_and_saveexec_b64 s[52:53], s[26:27]
; %bb.32:
	v_add_u32_e32 v1, s42, v13
	v_add_u32_e32 v6, s56, v13
	v_mul_lo_u32 v1, v1, s41
	v_mul_lo_u32 v6, v6, s43
	v_sub_u32_e32 v1, v1, v6
	v_cmp_lt_u32_e64 s[26:27], s57, v1
	s_and_b64 s[80:81], s[26:27], exec
; %bb.33:
	s_or_b64 exec, exec, s[52:53]
	v_add_u32_e32 v1, s37, v35
	v_add_u32_e32 v6, s39, v35
	v_mul_lo_u32 v1, v1, s36
	v_mul_lo_u32 v6, v6, s38
	v_sub_u32_e32 v1, v1, v6
	v_cmp_ge_u32_e64 s[26:27], s40, v1
	s_mov_b64 s[52:53], -1
	s_mov_b64 s[74:75], 0
	s_mov_b64 s[54:55], 0
	s_and_saveexec_b64 s[84:85], s[26:27]
; %bb.34:
	v_add_u32_e32 v1, s42, v35
	v_add_u32_e32 v6, s56, v35
	v_mul_lo_u32 v1, v1, s41
	v_mul_lo_u32 v6, v6, s43
	v_sub_u32_e32 v1, v1, v6
	v_cmp_lt_u32_e64 s[26:27], s57, v1
	s_and_b64 s[54:55], s[26:27], exec
	s_xor_b64 s[52:53], exec, -1
; %bb.35:
	s_or_b64 exec, exec, s[84:85]
	v_cndmask_b32_e64 v57, 0, 1, s[82:83]
	v_cndmask_b32_e64 v60, 0, 1, s[24:25]
	;; [unrolled: 1-line block ×22, first 2 shown]
	v_cndmask_b32_e64 v37, 0, 1, vcc
	v_cndmask_b32_e64 v59, 0, 1, s[80:81]
	s_add_i32 s16, s86, 0xd00
	s_and_b64 vcc, exec, s[74:75]
	s_cbranch_vccnz .LBB1699_37
	s_branch .LBB1699_90
.LBB1699_36:
                                        ; implicit-def: $sgpr52_sgpr53
                                        ; implicit-def: $sgpr54_sgpr55
                                        ; implicit-def: $vgpr59
                                        ; implicit-def: $vgpr57
                                        ; implicit-def: $vgpr55
                                        ; implicit-def: $vgpr53
                                        ; implicit-def: $vgpr51
                                        ; implicit-def: $vgpr49
                                        ; implicit-def: $vgpr47
                                        ; implicit-def: $vgpr45
                                        ; implicit-def: $vgpr43
                                        ; implicit-def: $vgpr37
                                        ; implicit-def: $vgpr39
                                        ; implicit-def: $vgpr41
                                        ; implicit-def: $vgpr44
                                        ; implicit-def: $vgpr46
                                        ; implicit-def: $vgpr48
                                        ; implicit-def: $vgpr50
                                        ; implicit-def: $vgpr52
                                        ; implicit-def: $vgpr54
                                        ; implicit-def: $vgpr56
                                        ; implicit-def: $vgpr58
                                        ; implicit-def: $vgpr60
                                        ; implicit-def: $vgpr38
                                        ; implicit-def: $vgpr40
                                        ; implicit-def: $vgpr42
	s_add_i32 s16, s86, 0xd00
	s_cbranch_execz .LBB1699_90
.LBB1699_37:
	v_cmp_gt_u32_e32 vcc, s16, v36
	v_mov_b32_e32 v38, 0
	v_mov_b32_e32 v37, 0
	s_and_saveexec_b64 s[6:7], vcc
	s_cbranch_execz .LBB1699_41
; %bb.38:
	v_add_u32_e32 v1, s37, v22
	v_add_u32_e32 v6, s39, v22
	v_mul_lo_u32 v1, v1, s36
	v_mul_lo_u32 v6, v6, s38
	v_sub_u32_e32 v1, v1, v6
	v_cmp_lt_u32_e32 vcc, s40, v1
	v_cmp_ge_u32_e64 s[4:5], s40, v1
	s_mov_b64 s[10:11], 0
	s_and_saveexec_b64 s[8:9], s[4:5]
; %bb.39:
	v_add_u32_e32 v1, s42, v22
	v_add_u32_e32 v6, s56, v22
	v_mul_lo_u32 v1, v1, s41
	v_mul_lo_u32 v6, v6, s43
	v_sub_u32_e32 v1, v1, v6
	v_cmp_lt_u32_e64 s[4:5], s57, v1
	s_and_b64 s[10:11], s[4:5], exec
; %bb.40:
	s_or_b64 exec, exec, s[8:9]
	v_cndmask_b32_e64 v37, 0, 1, vcc
	v_cndmask_b32_e64 v38, 0, 1, s[10:11]
.LBB1699_41:
	s_or_b64 exec, exec, s[6:7]
	v_add_u32_e32 v1, 1, v36
	v_cmp_gt_u32_e32 vcc, s16, v1
	v_mov_b32_e32 v39, 0
	v_mov_b32_e32 v40, 0
	s_and_saveexec_b64 s[6:7], vcc
	s_cbranch_execz .LBB1699_45
; %bb.42:
	v_add_u32_e32 v1, s37, v23
	v_add_u32_e32 v6, s39, v23
	v_mul_lo_u32 v1, v1, s36
	v_mul_lo_u32 v6, v6, s38
	v_sub_u32_e32 v1, v1, v6
	v_cmp_lt_u32_e32 vcc, s40, v1
	v_cmp_ge_u32_e64 s[4:5], s40, v1
	s_mov_b64 s[10:11], 0
	s_and_saveexec_b64 s[8:9], s[4:5]
; %bb.43:
	v_add_u32_e32 v1, s42, v23
	v_add_u32_e32 v6, s56, v23
	v_mul_lo_u32 v1, v1, s41
	v_mul_lo_u32 v6, v6, s43
	v_sub_u32_e32 v1, v1, v6
	v_cmp_lt_u32_e64 s[4:5], s57, v1
	s_and_b64 s[10:11], s[4:5], exec
; %bb.44:
	s_or_b64 exec, exec, s[8:9]
	v_cndmask_b32_e64 v39, 0, 1, vcc
	v_cndmask_b32_e64 v40, 0, 1, s[10:11]
.LBB1699_45:
	s_or_b64 exec, exec, s[6:7]
	v_add_u32_e32 v1, 2, v36
	;; [unrolled: 30-line block ×12, first 2 shown]
	v_cmp_gt_u32_e32 vcc, s16, v1
	s_mov_b64 s[52:53], 0
	s_mov_b64 s[54:55], 0
	s_and_saveexec_b64 s[4:5], vcc
	s_cbranch_execz .LBB1699_89
; %bb.86:
	v_add_u32_e32 v1, s37, v35
	v_add_u32_e32 v6, s39, v35
	v_mul_lo_u32 v1, v1, s36
	v_mul_lo_u32 v6, v6, s38
	v_sub_u32_e32 v1, v1, v6
	v_cmp_ge_u32_e32 vcc, s40, v1
	s_mov_b64 s[8:9], -1
	s_mov_b64 s[10:11], 0
	s_and_saveexec_b64 s[6:7], vcc
; %bb.87:
	v_add_u32_e32 v1, s42, v35
	v_add_u32_e32 v6, s56, v35
	v_mul_lo_u32 v1, v1, s41
	v_mul_lo_u32 v6, v6, s43
	v_sub_u32_e32 v1, v1, v6
	v_cmp_lt_u32_e32 vcc, s57, v1
	s_and_b64 s[10:11], vcc, exec
	s_xor_b64 s[8:9], exec, -1
; %bb.88:
	s_or_b64 exec, exec, s[6:7]
	s_and_b64 s[54:55], s[10:11], exec
	s_and_b64 s[52:53], s[8:9], exec
.LBB1699_89:
	s_or_b64 exec, exec, s[4:5]
.LBB1699_90:
	v_and_b32_e32 v68, 0xff, v38
	v_and_b32_e32 v79, 0xff, v40
	;; [unrolled: 1-line block ×5, first 2 shown]
	v_add3_u32 v6, v79, v70, v68
	v_and_b32_e32 v81, 0xff, v47
	v_and_b32_e32 v74, 0xff, v49
	v_add3_u32 v6, v6, v80, v72
	v_and_b32_e32 v67, 0xff, v37
	v_and_b32_e32 v61, 0xff, v39
	v_and_b32_e32 v69, 0xff, v41
	v_and_b32_e32 v82, 0xff, v51
	v_and_b32_e32 v76, 0xff, v53
	v_add3_u32 v6, v6, v81, v74
	v_and_b32_e32 v62, 0xff, v44
	v_and_b32_e32 v71, 0xff, v46
	;; [unrolled: 1-line block ×4, first 2 shown]
	v_add3_u32 v7, v61, v69, v67
	v_add3_u32 v6, v6, v82, v76
	v_and_b32_e32 v63, 0xff, v48
	v_and_b32_e32 v73, 0xff, v50
	;; [unrolled: 1-line block ×3, first 2 shown]
	v_cndmask_b32_e64 v1, 0, 1, s[54:55]
	v_add3_u32 v7, v7, v62, v71
	v_add3_u32 v6, v6, v83, v78
	v_and_b32_e32 v64, 0xff, v52
	v_and_b32_e32 v75, 0xff, v54
	v_add3_u32 v7, v7, v63, v73
	v_add3_u32 v91, v6, v84, v1
	v_mbcnt_lo_u32_b32 v1, -1, 0
	v_and_b32_e32 v65, 0xff, v56
	v_and_b32_e32 v77, 0xff, v58
	v_add3_u32 v7, v7, v64, v75
	v_mbcnt_hi_u32_b32 v85, -1, v1
	v_and_b32_e32 v66, 0xff, v60
	v_add3_u32 v7, v7, v65, v77
	v_cndmask_b32_e64 v8, 0, 1, s[52:53]
	v_and_b32_e32 v89, 15, v85
	s_cmp_lg_u32 s33, 0
	v_add3_u32 v90, v7, v66, v8
	v_cmp_eq_u32_e64 s[6:7], 0, v89
	v_cmp_lt_u32_e64 s[4:5], 1, v89
	v_cmp_lt_u32_e64 s[10:11], 3, v89
	;; [unrolled: 1-line block ×3, first 2 shown]
	v_and_b32_e32 v88, 16, v85
	v_cmp_lt_u32_e32 vcc, 31, v85
	v_lshrrev_b32_e32 v86, 6, v0
	v_or_b32_e32 v87, 63, v0
	s_cbranch_scc0 .LBB1699_119
; %bb.91:
	v_mov_b32_dpp v1, v90 row_shr:1 row_mask:0xf bank_mask:0xf
	v_mov_b32_dpp v6, v91 row_shr:1 row_mask:0xf bank_mask:0xf
	v_add_u32_e32 v1, v1, v90
	v_add_u32_e32 v6, v6, v91
	v_cndmask_b32_e64 v6, v6, v91, s[6:7]
	v_cndmask_b32_e64 v1, v1, v90, s[6:7]
	s_nop 0
	v_mov_b32_dpp v8, v6 row_shr:2 row_mask:0xf bank_mask:0xf
	v_mov_b32_dpp v7, v1 row_shr:2 row_mask:0xf bank_mask:0xf
	v_add_u32_e32 v7, v1, v7
	v_add_u32_e32 v8, v6, v8
	v_cndmask_b32_e64 v6, v6, v8, s[4:5]
	v_cndmask_b32_e64 v1, v1, v7, s[4:5]
	s_nop 0
	;; [unrolled: 7-line block ×3, first 2 shown]
	v_mov_b32_dpp v8, v6 row_shr:8 row_mask:0xf bank_mask:0xf
	v_mov_b32_dpp v7, v1 row_shr:8 row_mask:0xf bank_mask:0xf
	v_add_u32_e32 v7, v1, v7
	v_add_u32_e32 v8, v6, v8
	v_cndmask_b32_e64 v6, v6, v8, s[8:9]
	v_cndmask_b32_e64 v1, v1, v7, s[8:9]
	v_cmp_eq_u32_e64 s[8:9], 0, v88
	v_mov_b32_dpp v8, v6 row_bcast:15 row_mask:0xf bank_mask:0xf
	v_mov_b32_dpp v7, v1 row_bcast:15 row_mask:0xf bank_mask:0xf
	v_add_u32_e32 v7, v1, v7
	v_add_u32_e32 v8, v6, v8
	v_cndmask_b32_e64 v6, v8, v6, s[8:9]
	v_cndmask_b32_e64 v1, v7, v1, s[8:9]
	s_nop 0
	v_mov_b32_dpp v8, v6 row_bcast:31 row_mask:0xf bank_mask:0xf
	v_mov_b32_dpp v7, v1 row_bcast:31 row_mask:0xf bank_mask:0xf
	v_add_u32_e32 v8, v6, v8
	v_add_u32_e32 v9, v1, v7
	v_cndmask_b32_e32 v7, v6, v8, vcc
	v_cndmask_b32_e32 v6, v1, v9, vcc
	v_cmp_eq_u32_e32 vcc, v87, v0
	s_and_saveexec_b64 s[8:9], vcc
	s_cbranch_execz .LBB1699_93
; %bb.92:
	v_lshlrev_b32_e32 v1, 3, v86
	ds_write_b64 v1, v[6:7]
.LBB1699_93:
	s_or_b64 exec, exec, s[8:9]
	v_cmp_gt_u32_e32 vcc, 4, v0
	s_waitcnt lgkmcnt(0)
	s_barrier
	s_and_saveexec_b64 s[8:9], vcc
	s_cbranch_execz .LBB1699_95
; %bb.94:
	v_lshlrev_b32_e32 v1, 3, v0
	ds_read_b64 v[8:9], v1
	v_and_b32_e32 v10, 3, v85
	v_cmp_eq_u32_e32 vcc, 0, v10
	s_waitcnt lgkmcnt(0)
	v_mov_b32_dpp v11, v8 row_shr:1 row_mask:0xf bank_mask:0xf
	v_mov_b32_dpp v24, v9 row_shr:1 row_mask:0xf bank_mask:0xf
	v_add_u32_e32 v11, v11, v8
	v_add_u32_e32 v24, v24, v9
	v_cndmask_b32_e32 v9, v24, v9, vcc
	v_cndmask_b32_e32 v8, v11, v8, vcc
	v_cmp_lt_u32_e32 vcc, 1, v10
	v_mov_b32_dpp v24, v9 row_shr:2 row_mask:0xf bank_mask:0xf
	v_mov_b32_dpp v11, v8 row_shr:2 row_mask:0xf bank_mask:0xf
	v_cndmask_b32_e32 v10, 0, v11, vcc
	v_cndmask_b32_e32 v11, 0, v24, vcc
	v_add_u32_e32 v9, v11, v9
	v_add_u32_e32 v8, v10, v8
	ds_write_b64 v1, v[8:9]
.LBB1699_95:
	s_or_b64 exec, exec, s[8:9]
	v_cmp_gt_u32_e32 vcc, 64, v0
	v_cmp_lt_u32_e64 s[8:9], 63, v0
	s_waitcnt lgkmcnt(0)
	s_barrier
	s_waitcnt lgkmcnt(0)
                                        ; implicit-def: $vgpr25
	s_and_saveexec_b64 s[10:11], s[8:9]
	s_xor_b64 s[8:9], exec, s[10:11]
	s_cbranch_execz .LBB1699_97
; %bb.96:
	v_lshl_add_u32 v1, v86, 3, -8
	ds_read_b64 v[24:25], v1
	s_waitcnt lgkmcnt(0)
	v_add_u32_e32 v7, v25, v7
	v_add_u32_e32 v6, v24, v6
.LBB1699_97:
	s_andn2_saveexec_b64 s[8:9], s[8:9]
; %bb.98:
                                        ; implicit-def: $vgpr24
; %bb.99:
	s_or_b64 exec, exec, s[8:9]
	v_add_u32_e32 v1, -1, v85
	v_and_b32_e32 v8, 64, v85
	v_cmp_lt_i32_e64 s[8:9], v1, v8
	v_cndmask_b32_e64 v1, v1, v85, s[8:9]
	v_lshlrev_b32_e32 v8, 2, v1
	ds_bpermute_b32 v1, v8, v6
	ds_bpermute_b32 v92, v8, v7
	v_cmp_eq_u32_e64 s[8:9], 0, v85
	s_and_saveexec_b64 s[10:11], vcc
	s_cbranch_execz .LBB1699_118
; %bb.100:
	v_mov_b32_e32 v11, 0
	ds_read_b64 v[26:27], v11 offset:24
	s_and_saveexec_b64 s[12:13], s[8:9]
	s_cbranch_execz .LBB1699_102
; %bb.101:
	s_add_i32 s14, s33, 64
	s_mov_b32 s15, 0
	s_lshl_b64 s[14:15], s[14:15], 4
	s_waitcnt lgkmcnt(0)
	v_and_b32_e32 v6, 0xff000000, v27
	v_and_b32_e32 v7, 0xff0000, v27
	s_add_u32 s14, s50, s14
	v_or_b32_e32 v6, v7, v6
	v_and_b32_e32 v7, 0xff00, v27
	s_addc_u32 s15, s51, s15
	v_or_b32_e32 v6, v6, v7
	v_or_b32_sdwa v9, v6, v27 dst_sel:DWORD dst_unused:UNUSED_PAD src0_sel:DWORD src1_sel:BYTE_0
	v_mov_b32_e32 v10, 1
	v_mov_b32_e32 v8, v26
	v_pk_mov_b32 v[6:7], s[14:15], s[14:15] op_sel:[0,1]
	;;#ASMSTART
	global_store_dwordx4 v[6:7], v[8:11] off	
s_waitcnt vmcnt(0)
	;;#ASMEND
.LBB1699_102:
	s_or_b64 exec, exec, s[12:13]
	v_xad_u32 v28, v85, -1, s33
	v_add_u32_e32 v10, 64, v28
	v_lshlrev_b64 v[6:7], 4, v[10:11]
	v_mov_b32_e32 v8, s51
	v_add_co_u32_e32 v30, vcc, s50, v6
	v_addc_co_u32_e32 v31, vcc, v8, v7, vcc
	;;#ASMSTART
	global_load_dwordx4 v[6:9], v[30:31] off glc	
s_waitcnt vmcnt(0)
	;;#ASMEND
	v_and_b32_e32 v9, 0xff, v7
	v_and_b32_e32 v10, 0xff00, v7
	v_or3_b32 v9, 0, v9, v10
	v_or3_b32 v6, v6, 0, 0
	v_and_b32_e32 v10, 0xff000000, v7
	v_and_b32_e32 v7, 0xff0000, v7
	v_or3_b32 v7, v9, v7, v10
	v_or3_b32 v6, v6, 0, 0
	v_cmp_eq_u16_sdwa s[14:15], v8, v11 src0_sel:BYTE_0 src1_sel:DWORD
	s_and_saveexec_b64 s[12:13], s[14:15]
	s_cbranch_execz .LBB1699_106
; %bb.103:
	s_mov_b64 s[14:15], 0
	v_mov_b32_e32 v10, 0
.LBB1699_104:                           ; =>This Inner Loop Header: Depth=1
	;;#ASMSTART
	global_load_dwordx4 v[6:9], v[30:31] off glc	
s_waitcnt vmcnt(0)
	;;#ASMEND
	v_cmp_ne_u16_sdwa s[18:19], v8, v10 src0_sel:BYTE_0 src1_sel:DWORD
	s_or_b64 s[14:15], s[18:19], s[14:15]
	s_andn2_b64 exec, exec, s[14:15]
	s_cbranch_execnz .LBB1699_104
; %bb.105:
	s_or_b64 exec, exec, s[14:15]
.LBB1699_106:
	s_or_b64 exec, exec, s[12:13]
	v_and_b32_e32 v94, 63, v85
	v_cmp_ne_u32_e32 vcc, 63, v94
	v_mov_b32_e32 v93, 2
	v_addc_co_u32_e32 v30, vcc, 0, v85, vcc
	v_cmp_eq_u16_sdwa s[12:13], v8, v93 src0_sel:BYTE_0 src1_sel:DWORD
	v_lshlrev_b64 v[10:11], v85, -1
	v_lshlrev_b32_e32 v95, 2, v30
	v_and_b32_e32 v9, s13, v11
	ds_bpermute_b32 v30, v95, v6
	ds_bpermute_b32 v31, v95, v7
	v_or_b32_e32 v9, 0x80000000, v9
	v_and_b32_e32 v29, s12, v10
	v_ffbl_b32_e32 v9, v9
	v_add_u32_e32 v9, 32, v9
	v_ffbl_b32_e32 v29, v29
	v_min_u32_e32 v9, v29, v9
	s_waitcnt lgkmcnt(1)
	v_add_u32_e32 v29, v30, v6
	s_waitcnt lgkmcnt(0)
	v_add_u32_e32 v30, v31, v7
	v_cmp_lt_u32_e32 vcc, v94, v9
	v_cndmask_b32_e32 v7, v7, v30, vcc
	v_cndmask_b32_e32 v6, v6, v29, vcc
	v_cmp_gt_u32_e32 vcc, 62, v94
	v_cndmask_b32_e64 v29, 0, 1, vcc
	v_lshlrev_b32_e32 v29, 1, v29
	v_add_lshl_u32 v96, v29, v85, 2
	ds_bpermute_b32 v29, v96, v6
	ds_bpermute_b32 v30, v96, v7
	v_add_u32_e32 v97, 2, v94
	v_cmp_gt_u32_e32 vcc, v97, v9
	v_add_u32_e32 v99, 4, v94
	s_waitcnt lgkmcnt(1)
	v_add_u32_e32 v29, v6, v29
	s_waitcnt lgkmcnt(0)
	v_add_u32_e32 v30, v7, v30
	v_cndmask_b32_e32 v7, v30, v7, vcc
	v_cndmask_b32_e32 v6, v29, v6, vcc
	v_cmp_gt_u32_e32 vcc, 60, v94
	v_cndmask_b32_e64 v29, 0, 1, vcc
	v_lshlrev_b32_e32 v29, 2, v29
	v_add_lshl_u32 v98, v29, v85, 2
	ds_bpermute_b32 v29, v98, v6
	ds_bpermute_b32 v30, v98, v7
	v_cmp_gt_u32_e32 vcc, v99, v9
	v_add_u32_e32 v101, 8, v94
	v_add_u32_e32 v103, 16, v94
	s_waitcnt lgkmcnt(1)
	v_add_u32_e32 v29, v6, v29
	s_waitcnt lgkmcnt(0)
	v_add_u32_e32 v30, v7, v30
	v_cndmask_b32_e32 v7, v30, v7, vcc
	v_cndmask_b32_e32 v6, v29, v6, vcc
	v_cmp_gt_u32_e32 vcc, 56, v94
	v_cndmask_b32_e64 v29, 0, 1, vcc
	v_lshlrev_b32_e32 v29, 3, v29
	v_add_lshl_u32 v100, v29, v85, 2
	ds_bpermute_b32 v29, v100, v6
	ds_bpermute_b32 v30, v100, v7
	v_cmp_gt_u32_e32 vcc, v101, v9
	v_add_u32_e32 v105, 32, v94
	s_waitcnt lgkmcnt(1)
	v_add_u32_e32 v29, v6, v29
	s_waitcnt lgkmcnt(0)
	v_add_u32_e32 v30, v7, v30
	v_cndmask_b32_e32 v7, v30, v7, vcc
	v_cndmask_b32_e32 v6, v29, v6, vcc
	v_cmp_gt_u32_e32 vcc, 48, v94
	v_cndmask_b32_e64 v29, 0, 1, vcc
	v_lshlrev_b32_e32 v29, 4, v29
	v_add_lshl_u32 v102, v29, v85, 2
	ds_bpermute_b32 v29, v102, v6
	ds_bpermute_b32 v30, v102, v7
	v_cmp_gt_u32_e32 vcc, v103, v9
	s_waitcnt lgkmcnt(1)
	v_add_u32_e32 v29, v6, v29
	s_waitcnt lgkmcnt(0)
	v_add_u32_e32 v30, v7, v30
	v_cndmask_b32_e32 v7, v30, v7, vcc
	v_cndmask_b32_e32 v6, v29, v6, vcc
	v_cmp_gt_u32_e32 vcc, 32, v94
	v_cndmask_b32_e64 v29, 0, 1, vcc
	v_lshlrev_b32_e32 v29, 5, v29
	v_add_lshl_u32 v104, v29, v85, 2
	ds_bpermute_b32 v29, v104, v6
	ds_bpermute_b32 v30, v104, v7
	v_cmp_le_u32_e32 vcc, v105, v9
	s_waitcnt lgkmcnt(1)
	v_cndmask_b32_e32 v9, 0, v29, vcc
	s_waitcnt lgkmcnt(0)
	v_cndmask_b32_e32 v29, 0, v30, vcc
	v_add_u32_e32 v7, v7, v29
	v_add_u32_e32 v6, v6, v9
	v_mov_b32_e32 v29, 0
	s_branch .LBB1699_108
.LBB1699_107:                           ;   in Loop: Header=BB1699_108 Depth=1
	s_or_b64 exec, exec, s[12:13]
	v_cmp_eq_u16_sdwa s[12:13], v8, v93 src0_sel:BYTE_0 src1_sel:DWORD
	v_and_b32_e32 v9, s13, v11
	ds_bpermute_b32 v33, v95, v6
	ds_bpermute_b32 v106, v95, v7
	v_or_b32_e32 v9, 0x80000000, v9
	v_and_b32_e32 v32, s12, v10
	v_ffbl_b32_e32 v9, v9
	v_add_u32_e32 v9, 32, v9
	v_ffbl_b32_e32 v32, v32
	v_min_u32_e32 v9, v32, v9
	s_waitcnt lgkmcnt(1)
	v_add_u32_e32 v32, v33, v6
	s_waitcnt lgkmcnt(0)
	v_add_u32_e32 v33, v106, v7
	v_cmp_lt_u32_e32 vcc, v94, v9
	v_cndmask_b32_e32 v7, v7, v33, vcc
	v_cndmask_b32_e32 v6, v6, v32, vcc
	ds_bpermute_b32 v32, v96, v6
	ds_bpermute_b32 v33, v96, v7
	v_cmp_gt_u32_e32 vcc, v97, v9
	v_subrev_u32_e32 v28, 64, v28
	s_waitcnt lgkmcnt(1)
	v_add_u32_e32 v32, v6, v32
	s_waitcnt lgkmcnt(0)
	v_add_u32_e32 v33, v7, v33
	v_cndmask_b32_e32 v7, v33, v7, vcc
	v_cndmask_b32_e32 v6, v32, v6, vcc
	ds_bpermute_b32 v32, v98, v6
	ds_bpermute_b32 v33, v98, v7
	v_cmp_gt_u32_e32 vcc, v99, v9
	s_waitcnt lgkmcnt(1)
	v_add_u32_e32 v32, v6, v32
	s_waitcnt lgkmcnt(0)
	v_add_u32_e32 v33, v7, v33
	v_cndmask_b32_e32 v7, v33, v7, vcc
	v_cndmask_b32_e32 v6, v32, v6, vcc
	ds_bpermute_b32 v32, v100, v6
	ds_bpermute_b32 v33, v100, v7
	v_cmp_gt_u32_e32 vcc, v101, v9
	;; [unrolled: 9-line block ×3, first 2 shown]
	s_waitcnt lgkmcnt(1)
	v_add_u32_e32 v32, v6, v32
	s_waitcnt lgkmcnt(0)
	v_add_u32_e32 v33, v7, v33
	v_cndmask_b32_e32 v7, v33, v7, vcc
	v_cndmask_b32_e32 v6, v32, v6, vcc
	ds_bpermute_b32 v32, v104, v6
	ds_bpermute_b32 v33, v104, v7
	v_cmp_le_u32_e32 vcc, v105, v9
	s_waitcnt lgkmcnt(1)
	v_cndmask_b32_e32 v9, 0, v32, vcc
	s_waitcnt lgkmcnt(0)
	v_cndmask_b32_e32 v32, 0, v33, vcc
	v_add3_u32 v7, v32, v31, v7
	v_add3_u32 v6, v9, v30, v6
.LBB1699_108:                           ; =>This Loop Header: Depth=1
                                        ;     Child Loop BB1699_111 Depth 2
	v_cmp_ne_u16_sdwa s[12:13], v8, v93 src0_sel:BYTE_0 src1_sel:DWORD
	v_cndmask_b32_e64 v8, 0, 1, s[12:13]
	;;#ASMSTART
	;;#ASMEND
	v_cmp_ne_u32_e32 vcc, 0, v8
	s_cmp_lg_u64 vcc, exec
	v_pk_mov_b32 v[30:31], v[6:7], v[6:7] op_sel:[0,1]
	s_cbranch_scc1 .LBB1699_113
; %bb.109:                              ;   in Loop: Header=BB1699_108 Depth=1
	v_lshlrev_b64 v[6:7], 4, v[28:29]
	v_mov_b32_e32 v8, s51
	v_add_co_u32_e32 v32, vcc, s50, v6
	v_addc_co_u32_e32 v33, vcc, v8, v7, vcc
	;;#ASMSTART
	global_load_dwordx4 v[6:9], v[32:33] off glc	
s_waitcnt vmcnt(0)
	;;#ASMEND
	v_and_b32_e32 v9, 0xff, v7
	v_and_b32_e32 v106, 0xff00, v7
	v_or3_b32 v9, 0, v9, v106
	v_or3_b32 v6, v6, 0, 0
	v_and_b32_e32 v106, 0xff000000, v7
	v_and_b32_e32 v7, 0xff0000, v7
	v_or3_b32 v7, v9, v7, v106
	v_or3_b32 v6, v6, 0, 0
	v_cmp_eq_u16_sdwa s[14:15], v8, v29 src0_sel:BYTE_0 src1_sel:DWORD
	s_and_saveexec_b64 s[12:13], s[14:15]
	s_cbranch_execz .LBB1699_107
; %bb.110:                              ;   in Loop: Header=BB1699_108 Depth=1
	s_mov_b64 s[14:15], 0
.LBB1699_111:                           ;   Parent Loop BB1699_108 Depth=1
                                        ; =>  This Inner Loop Header: Depth=2
	;;#ASMSTART
	global_load_dwordx4 v[6:9], v[32:33] off glc	
s_waitcnt vmcnt(0)
	;;#ASMEND
	v_cmp_ne_u16_sdwa s[18:19], v8, v29 src0_sel:BYTE_0 src1_sel:DWORD
	s_or_b64 s[14:15], s[18:19], s[14:15]
	s_andn2_b64 exec, exec, s[14:15]
	s_cbranch_execnz .LBB1699_111
; %bb.112:                              ;   in Loop: Header=BB1699_108 Depth=1
	s_or_b64 exec, exec, s[14:15]
	s_branch .LBB1699_107
.LBB1699_113:                           ;   in Loop: Header=BB1699_108 Depth=1
                                        ; implicit-def: $vgpr8
                                        ; implicit-def: $vgpr6_vgpr7
	s_cbranch_execz .LBB1699_108
; %bb.114:
	s_and_saveexec_b64 s[12:13], s[8:9]
	s_cbranch_execz .LBB1699_116
; %bb.115:
	s_add_i32 s14, s33, 64
	s_mov_b32 s15, 0
	v_add_u32_e32 v7, v31, v27
	s_lshl_b64 s[14:15], s[14:15], 4
	s_add_u32 s14, s50, s14
	v_and_b32_e32 v8, 0xff000000, v7
	v_and_b32_e32 v10, 0xff0000, v7
	s_addc_u32 s15, s51, s15
	v_or_b32_e32 v8, v10, v8
	v_and_b32_e32 v10, 0xff00, v7
	v_and_b32_e32 v7, 0xff, v7
	v_add_u32_e32 v6, v30, v26
	v_mov_b32_e32 v9, 0
	v_or3_b32 v7, v8, v10, v7
	v_mov_b32_e32 v8, 2
	v_pk_mov_b32 v[10:11], s[14:15], s[14:15] op_sel:[0,1]
	;;#ASMSTART
	global_store_dwordx4 v[10:11], v[6:9] off	
s_waitcnt vmcnt(0)
	;;#ASMEND
	s_movk_i32 s14, 0x3400
	v_add_u32_e64 v6, s14, 0
	ds_write2_b32 v6, v26, v27 offset1:2
	ds_write2_b32 v6, v30, v31 offset0:4 offset1:6
.LBB1699_116:
	s_or_b64 exec, exec, s[12:13]
	s_and_b64 exec, exec, s[0:1]
	s_cbranch_execz .LBB1699_118
; %bb.117:
	v_mov_b32_e32 v6, 0
	ds_write_b64 v6, v[30:31] offset:24
.LBB1699_118:
	s_or_b64 exec, exec, s[10:11]
	v_mov_b32_e32 v6, 0
	s_waitcnt lgkmcnt(0)
	s_barrier
	ds_read_b64 v[10:11], v6 offset:24
	v_cndmask_b32_e64 v25, v92, v25, s[8:9]
	v_cndmask_b32_e64 v1, v1, v24, s[8:9]
	s_movk_i32 s8, 0x3400
	s_waitcnt lgkmcnt(0)
	v_add_u32_e32 v24, v10, v1
	v_add_u32_e64 v1, s8, 0
	s_barrier
	ds_read2_b32 v[6:7], v1 offset1:2
	ds_read2_b32 v[8:9], v1 offset0:4 offset1:6
	v_add_u32_e32 v1, v11, v25
	v_cndmask_b32_e64 v1, v1, v11, s[0:1]
	v_cndmask_b32_e64 v10, v24, v10, s[0:1]
	s_branch .LBB1699_129
.LBB1699_119:
                                        ; implicit-def: $vgpr1
                                        ; implicit-def: $vgpr8
                                        ; implicit-def: $vgpr6
                                        ; implicit-def: $vgpr10_vgpr11
	s_cbranch_execz .LBB1699_129
; %bb.120:
	s_nop 0
	v_mov_b32_dpp v1, v90 row_shr:1 row_mask:0xf bank_mask:0xf
	s_waitcnt lgkmcnt(1)
	v_mov_b32_dpp v6, v91 row_shr:1 row_mask:0xf bank_mask:0xf
	v_add_u32_e32 v1, v1, v90
	v_add_u32_e32 v6, v6, v91
	v_cndmask_b32_e64 v6, v6, v91, s[6:7]
	v_cndmask_b32_e64 v1, v1, v90, s[6:7]
	v_cmp_lt_u32_e32 vcc, 3, v89
	s_waitcnt lgkmcnt(0)
	v_mov_b32_dpp v8, v6 row_shr:2 row_mask:0xf bank_mask:0xf
	v_mov_b32_dpp v7, v1 row_shr:2 row_mask:0xf bank_mask:0xf
	v_add_u32_e32 v7, v1, v7
	v_add_u32_e32 v8, v6, v8
	v_cndmask_b32_e64 v6, v6, v8, s[4:5]
	v_cndmask_b32_e64 v1, v1, v7, s[4:5]
	s_nop 0
	v_mov_b32_dpp v8, v6 row_shr:4 row_mask:0xf bank_mask:0xf
	v_mov_b32_dpp v7, v1 row_shr:4 row_mask:0xf bank_mask:0xf
	v_add_u32_e32 v7, v1, v7
	v_add_u32_e32 v8, v6, v8
	v_cndmask_b32_e32 v6, v6, v8, vcc
	v_cndmask_b32_e32 v1, v1, v7, vcc
	v_cmp_lt_u32_e32 vcc, 7, v89
	v_mov_b32_dpp v8, v6 row_shr:8 row_mask:0xf bank_mask:0xf
	v_mov_b32_dpp v7, v1 row_shr:8 row_mask:0xf bank_mask:0xf
	v_add_u32_e32 v7, v1, v7
	v_add_u32_e32 v8, v6, v8
	v_cndmask_b32_e32 v6, v6, v8, vcc
	v_cndmask_b32_e32 v1, v1, v7, vcc
	v_cmp_eq_u32_e32 vcc, 0, v88
	v_mov_b32_dpp v8, v6 row_bcast:15 row_mask:0xf bank_mask:0xf
	v_mov_b32_dpp v7, v1 row_bcast:15 row_mask:0xf bank_mask:0xf
	v_add_u32_e32 v7, v1, v7
	v_add_u32_e32 v8, v6, v8
	v_cndmask_b32_e32 v6, v8, v6, vcc
	v_cndmask_b32_e32 v1, v7, v1, vcc
	v_cmp_lt_u32_e32 vcc, 31, v85
	v_mov_b32_dpp v8, v6 row_bcast:31 row_mask:0xf bank_mask:0xf
	v_mov_b32_dpp v7, v1 row_bcast:31 row_mask:0xf bank_mask:0xf
	v_add_u32_e32 v8, v6, v8
	v_add_u32_e32 v9, v1, v7
	v_cndmask_b32_e32 v7, v6, v8, vcc
	v_cndmask_b32_e32 v6, v1, v9, vcc
	v_cmp_eq_u32_e32 vcc, v87, v0
	s_and_saveexec_b64 s[4:5], vcc
	s_cbranch_execz .LBB1699_122
; %bb.121:
	v_lshlrev_b32_e32 v1, 3, v86
	ds_write_b64 v1, v[6:7]
.LBB1699_122:
	s_or_b64 exec, exec, s[4:5]
	v_cmp_gt_u32_e32 vcc, 4, v0
	s_waitcnt lgkmcnt(0)
	s_barrier
	s_and_saveexec_b64 s[4:5], vcc
	s_cbranch_execz .LBB1699_124
; %bb.123:
	v_lshlrev_b32_e32 v1, 3, v0
	ds_read_b64 v[8:9], v1
	v_and_b32_e32 v10, 3, v85
	v_cmp_eq_u32_e32 vcc, 0, v10
	s_waitcnt lgkmcnt(0)
	v_mov_b32_dpp v11, v8 row_shr:1 row_mask:0xf bank_mask:0xf
	v_mov_b32_dpp v24, v9 row_shr:1 row_mask:0xf bank_mask:0xf
	v_add_u32_e32 v11, v11, v8
	v_add_u32_e32 v24, v24, v9
	v_cndmask_b32_e32 v9, v24, v9, vcc
	v_cndmask_b32_e32 v8, v11, v8, vcc
	v_cmp_lt_u32_e32 vcc, 1, v10
	v_mov_b32_dpp v24, v9 row_shr:2 row_mask:0xf bank_mask:0xf
	v_mov_b32_dpp v11, v8 row_shr:2 row_mask:0xf bank_mask:0xf
	v_cndmask_b32_e32 v10, 0, v11, vcc
	v_cndmask_b32_e32 v11, 0, v24, vcc
	v_add_u32_e32 v9, v11, v9
	v_add_u32_e32 v8, v10, v8
	ds_write_b64 v1, v[8:9]
.LBB1699_124:
	s_or_b64 exec, exec, s[4:5]
	v_cmp_lt_u32_e32 vcc, 63, v0
	v_mov_b32_e32 v8, 0
	v_mov_b32_e32 v10, 0
	;; [unrolled: 1-line block ×3, first 2 shown]
	s_waitcnt lgkmcnt(0)
	s_barrier
	s_and_saveexec_b64 s[4:5], vcc
	s_cbranch_execz .LBB1699_126
; %bb.125:
	v_lshl_add_u32 v1, v86, 3, -8
	ds_read_b64 v[10:11], v1
.LBB1699_126:
	s_or_b64 exec, exec, s[4:5]
	s_waitcnt lgkmcnt(0)
	v_add_u32_e32 v9, v11, v7
	v_add_u32_e32 v1, v10, v6
	v_add_u32_e32 v6, -1, v85
	v_and_b32_e32 v7, 64, v85
	v_cmp_lt_i32_e32 vcc, v6, v7
	v_cndmask_b32_e32 v6, v6, v85, vcc
	v_lshlrev_b32_e32 v24, 2, v6
	ds_read_b64 v[6:7], v8 offset:24
	ds_bpermute_b32 v1, v24, v1
	ds_bpermute_b32 v24, v24, v9
	s_waitcnt lgkmcnt(2)
	v_readfirstlane_b32 s6, v7
	s_and_saveexec_b64 s[4:5], s[0:1]
	s_cbranch_execz .LBB1699_128
; %bb.127:
	s_add_u32 s8, s50, 0x400
	s_mov_b32 s10, 0
	s_addc_u32 s9, s51, 0
	s_and_b32 s11, s6, 0xff000000
	s_and_b32 s13, s6, 0xff0000
	s_mov_b32 s12, s10
	s_or_b64 s[12:13], s[12:13], s[10:11]
	s_and_b32 s11, s6, 0xff00
	s_or_b64 s[12:13], s[12:13], s[10:11]
	s_and_b32 s11, s6, 0xff
	s_or_b64 s[10:11], s[12:13], s[10:11]
	v_mov_b32_e32 v7, s11
	v_mov_b32_e32 v8, 2
	;; [unrolled: 1-line block ×3, first 2 shown]
	v_pk_mov_b32 v[26:27], s[8:9], s[8:9] op_sel:[0,1]
	;;#ASMSTART
	global_store_dwordx4 v[26:27], v[6:9] off	
s_waitcnt vmcnt(0)
	;;#ASMEND
.LBB1699_128:
	s_or_b64 exec, exec, s[4:5]
	v_cmp_eq_u32_e32 vcc, 0, v85
	s_waitcnt lgkmcnt(1)
	v_cndmask_b32_e32 v7, v1, v10, vcc
	s_waitcnt lgkmcnt(0)
	v_cndmask_b32_e32 v1, v24, v11, vcc
	v_mov_b32_e32 v8, 0
	v_cndmask_b32_e64 v1, v1, 0, s[0:1]
	v_cndmask_b32_e64 v10, v7, 0, s[0:1]
	s_barrier
	v_mov_b32_e32 v7, s6
	v_mov_b32_e32 v9, 0
.LBB1699_129:
	v_add_u32_e32 v11, v10, v67
	v_add_u32_e32 v26, v1, v68
	;; [unrolled: 1-line block ×13, first 2 shown]
	s_waitcnt vmcnt(0) lgkmcnt(0)
	v_add_co_u32_e32 v2, vcc, v2, v8
	v_add_u32_e32 v68, v62, v74
	v_add_u32_e32 v64, v67, v64
	v_addc_co_u32_e32 v3, vcc, 0, v3, vcc
	v_add_u32_e32 v69, v68, v82
	v_add_u32_e32 v70, v64, v75
	v_sub_co_u32_e32 v24, vcc, v4, v6
	v_add_u32_e32 v71, v69, v76
	v_add_u32_e32 v65, v70, v65
	v_subbrev_co_u32_e32 v25, vcc, 0, v5, vcc
	v_lshlrev_b32_e32 v76, 1, v6
	v_sub_u32_e32 v1, v1, v9
	v_add_u32_e32 v73, v65, v77
	v_add_co_u32_e32 v24, vcc, v24, v9
	v_add_u32_e32 v77, v76, v7
	v_sub_u32_e32 v10, v10, v8
	v_add_u32_e32 v1, v1, v6
	v_addc_co_u32_e32 v25, vcc, 0, v25, vcc
	v_add_u32_e32 v36, v77, v36
	v_and_b32_e32 v38, 1, v38
	v_add_u32_e32 v77, v10, v1
	v_and_b32_e32 v37, 1, v37
	v_sub_u32_e32 v77, v36, v77
	v_cmp_eq_u32_e32 vcc, 1, v38
	v_cndmask_b32_e32 v1, v77, v1, vcc
	v_cmp_eq_u32_e32 vcc, 1, v37
	v_cndmask_b32_e32 v1, v1, v10, vcc
	v_lshlrev_b32_e32 v1, 2, v1
	ds_write_b32 v1, v22
	v_sub_u32_e32 v1, v11, v8
	v_sub_u32_e32 v11, v26, v9
	v_add_u32_e32 v11, v11, v6
	v_add_u32_e32 v26, v11, v1
	v_and_b32_e32 v22, 1, v40
	v_sub_u32_e32 v26, v36, v26
	v_and_b32_e32 v10, 1, v39
	v_add_u32_e32 v26, 1, v26
	v_cmp_eq_u32_e32 vcc, 1, v22
	v_cndmask_b32_e32 v11, v26, v11, vcc
	v_cmp_eq_u32_e32 vcc, 1, v10
	v_cndmask_b32_e32 v1, v11, v1, vcc
	v_lshlrev_b32_e32 v1, 2, v1
	v_sub_u32_e32 v11, v27, v9
	ds_write_b32 v1, v23
	v_sub_u32_e32 v1, v28, v8
	v_add_u32_e32 v11, v11, v6
	v_add_u32_e32 v23, v11, v1
	v_and_b32_e32 v22, 1, v42
	v_sub_u32_e32 v23, v36, v23
	v_and_b32_e32 v10, 1, v41
	v_add_u32_e32 v23, 2, v23
	v_cmp_eq_u32_e32 vcc, 1, v22
	v_cndmask_b32_e32 v11, v23, v11, vcc
	v_cmp_eq_u32_e32 vcc, 1, v10
	v_cndmask_b32_e32 v1, v11, v1, vcc
	v_lshlrev_b32_e32 v1, 2, v1
	v_sub_u32_e32 v11, v30, v9
	ds_write_b32 v1, v20
	;; [unrolled: 14-line block ×8, first 2 shown]
	v_sub_u32_e32 v1, v70, v8
	v_add_u32_e32 v11, v11, v6
	v_add_u32_e32 v16, v1, v11
	v_and_b32_e32 v14, 1, v55
	v_sub_u32_e32 v16, v36, v16
	v_and_b32_e32 v10, 1, v56
	v_add_u32_e32 v16, 9, v16
	v_cmp_eq_u32_e32 vcc, 1, v14
	v_cndmask_b32_e32 v11, v16, v11, vcc
	v_cmp_eq_u32_e32 vcc, 1, v10
	v_add_u32_e32 v72, v71, v83
	v_cndmask_b32_e32 v1, v11, v1, vcc
	v_lshlrev_b32_e32 v1, 2, v1
	v_sub_u32_e32 v11, v72, v9
	ds_write_b32 v1, v15
	v_sub_u32_e32 v1, v65, v8
	v_add_u32_e32 v11, v11, v6
	v_add_u32_e32 v15, v1, v11
	v_and_b32_e32 v14, 1, v57
	v_sub_u32_e32 v15, v36, v15
	v_and_b32_e32 v10, 1, v58
	v_add_u32_e32 v15, 10, v15
	v_cmp_eq_u32_e32 vcc, 1, v14
	v_cndmask_b32_e32 v11, v15, v11, vcc
	v_cmp_eq_u32_e32 vcc, 1, v10
	v_add_u32_e32 v74, v72, v78
	v_cndmask_b32_e32 v1, v11, v1, vcc
	v_lshlrev_b32_e32 v1, 2, v1
	v_sub_u32_e32 v11, v74, v9
	ds_write_b32 v1, v12
	v_sub_u32_e32 v1, v73, v8
	v_add_u32_e32 v11, v11, v6
	v_add_u32_e32 v14, v1, v11
	v_and_b32_e32 v12, 1, v59
	v_sub_u32_e32 v14, v36, v14
	v_and_b32_e32 v10, 1, v60
	v_add_u32_e32 v14, 11, v14
	v_cmp_eq_u32_e32 vcc, 1, v12
	v_cndmask_b32_e32 v11, v14, v11, vcc
	v_cmp_eq_u32_e32 vcc, 1, v10
	v_cndmask_b32_e32 v1, v11, v1, vcc
	v_add_u32_e32 v75, v74, v84
	v_add_u32_e32 v66, v73, v66
	v_lshlrev_b32_e32 v1, 2, v1
	ds_write_b32 v1, v13
	v_sub_u32_e32 v1, v66, v8
	v_sub_u32_e32 v8, v75, v9
	v_add_u32_e32 v8, v8, v6
	v_add_u32_e32 v10, v1, v8
	v_sub_u32_e32 v10, v36, v10
	v_add_u32_e32 v10, 12, v10
	v_cndmask_b32_e64 v8, v10, v8, s[54:55]
	v_cndmask_b32_e64 v1, v8, v1, s[52:53]
	v_lshlrev_b32_e32 v1, 2, v1
	ds_write_b32 v1, v35
	v_mov_b32_e32 v1, s49
	v_add_co_u32_e32 v8, vcc, s48, v34
	v_addc_co_u32_e32 v10, vcc, 0, v1, vcc
	v_add_co_u32_e32 v1, vcc, v7, v76
	v_addc_co_u32_e64 v11, s[4:5], 0, 0, vcc
	v_add_co_u32_e32 v1, vcc, v1, v24
	v_addc_co_u32_e32 v11, vcc, v11, v25, vcc
	v_add_co_u32_e32 v1, vcc, v1, v2
	v_addc_co_u32_e32 v11, vcc, v11, v3, vcc
	v_sub_co_u32_e32 v1, vcc, v8, v1
	v_subb_co_u32_e32 v8, vcc, v10, v11, vcc
	v_lshlrev_b64 v[10:11], 2, v[24:25]
	v_mov_b32_e32 v12, s47
	v_add_co_u32_e32 v10, vcc, s46, v10
	v_addc_co_u32_e32 v11, vcc, v12, v11, vcc
	v_lshlrev_b64 v[12:13], 2, v[2:3]
	v_mov_b32_e32 v15, s45
	v_add_co_u32_e32 v12, vcc, s44, v12
	s_add_u32 s8, s34, -4
	v_addc_co_u32_e32 v13, vcc, v15, v13, vcc
	s_addc_u32 s9, s35, -1
	v_add_u32_e32 v14, v6, v7
	s_and_b64 vcc, exec, s[2:3]
	s_mov_b64 s[2:3], -1
	s_waitcnt lgkmcnt(0)
	s_barrier
	s_cbranch_vccz .LBB1699_133
; %bb.130:
	s_and_b64 vcc, exec, s[2:3]
	s_cbranch_vccnz .LBB1699_238
.LBB1699_131:
	s_and_b64 s[0:1], s[0:1], s[30:31]
	s_and_saveexec_b64 s[2:3], s[0:1]
	s_cbranch_execnz .LBB1699_356
.LBB1699_132:
	s_endpgm
.LBB1699_133:
	v_cmp_le_u32_e32 vcc, v6, v0
	s_and_saveexec_b64 s[2:3], vcc
	s_xor_b64 s[2:3], exec, s[2:3]
	s_cbranch_execz .LBB1699_139
; %bb.134:
	v_cmp_le_u32_e32 vcc, v14, v0
	s_and_saveexec_b64 s[4:5], vcc
	s_xor_b64 s[4:5], exec, s[4:5]
	s_cbranch_execz .LBB1699_136
; %bb.135:
	v_lshlrev_b32_e32 v15, 2, v0
	v_add_co_u32_e32 v16, vcc, v1, v0
	ds_read_b32 v15, v15
	v_addc_co_u32_e32 v17, vcc, 0, v8, vcc
	v_lshlrev_b64 v[16:17], 2, v[16:17]
	v_mov_b32_e32 v18, s35
	v_sub_co_u32_e32 v16, vcc, s34, v16
	v_subb_co_u32_e32 v17, vcc, v18, v17, vcc
	s_waitcnt lgkmcnt(0)
	global_store_dword v[16:17], v15, off offset:-4
.LBB1699_136:
	s_andn2_saveexec_b64 s[4:5], s[4:5]
	s_cbranch_execz .LBB1699_138
; %bb.137:
	v_lshlrev_b32_e32 v15, 2, v0
	ds_read_b32 v16, v15
	v_readfirstlane_b32 s6, v10
	v_readfirstlane_b32 s7, v11
	s_waitcnt lgkmcnt(0)
	s_nop 3
	global_store_dword v15, v16, s[6:7]
.LBB1699_138:
	s_or_b64 exec, exec, s[4:5]
.LBB1699_139:
	s_andn2_saveexec_b64 s[2:3], s[2:3]
	s_cbranch_execz .LBB1699_141
; %bb.140:
	v_lshlrev_b32_e32 v15, 2, v0
	ds_read_b32 v16, v15
	v_readfirstlane_b32 s4, v12
	v_readfirstlane_b32 s5, v13
	s_waitcnt lgkmcnt(0)
	s_nop 3
	global_store_dword v15, v16, s[4:5]
.LBB1699_141:
	s_or_b64 exec, exec, s[2:3]
	v_or_b32_e32 v15, 0x100, v0
	v_cmp_le_u32_e32 vcc, v6, v15
	s_and_saveexec_b64 s[2:3], vcc
	s_xor_b64 s[2:3], exec, s[2:3]
	s_cbranch_execz .LBB1699_147
; %bb.142:
	v_cmp_le_u32_e32 vcc, v14, v15
	s_and_saveexec_b64 s[4:5], vcc
	s_xor_b64 s[4:5], exec, s[4:5]
	s_cbranch_execz .LBB1699_144
; %bb.143:
	v_lshlrev_b32_e32 v15, 2, v0
	ds_read_b32 v15, v15 offset:1024
	v_add_co_u32_e32 v16, vcc, v1, v0
	v_addc_co_u32_e32 v17, vcc, 0, v8, vcc
	v_lshlrev_b64 v[16:17], 2, v[16:17]
	v_mov_b32_e32 v18, s9
	v_sub_co_u32_e32 v16, vcc, s8, v16
	v_subb_co_u32_e32 v17, vcc, v18, v17, vcc
	s_waitcnt lgkmcnt(0)
	global_store_dword v[16:17], v15, off offset:-1024
.LBB1699_144:
	s_andn2_saveexec_b64 s[4:5], s[4:5]
	s_cbranch_execz .LBB1699_146
; %bb.145:
	v_lshlrev_b32_e32 v15, 2, v0
	ds_read_b32 v16, v15 offset:1024
	v_readfirstlane_b32 s6, v10
	v_readfirstlane_b32 s7, v11
	s_waitcnt lgkmcnt(0)
	s_nop 3
	global_store_dword v15, v16, s[6:7] offset:1024
.LBB1699_146:
	s_or_b64 exec, exec, s[4:5]
.LBB1699_147:
	s_andn2_saveexec_b64 s[2:3], s[2:3]
	s_cbranch_execz .LBB1699_149
; %bb.148:
	v_lshlrev_b32_e32 v15, 2, v0
	ds_read_b32 v16, v15 offset:1024
	v_readfirstlane_b32 s4, v12
	v_readfirstlane_b32 s5, v13
	s_waitcnt lgkmcnt(0)
	s_nop 3
	global_store_dword v15, v16, s[4:5] offset:1024
.LBB1699_149:
	s_or_b64 exec, exec, s[2:3]
	v_or_b32_e32 v15, 0x200, v0
	v_cmp_le_u32_e32 vcc, v6, v15
	s_and_saveexec_b64 s[2:3], vcc
	s_xor_b64 s[2:3], exec, s[2:3]
	s_cbranch_execz .LBB1699_155
; %bb.150:
	v_cmp_le_u32_e32 vcc, v14, v15
	s_and_saveexec_b64 s[4:5], vcc
	s_xor_b64 s[4:5], exec, s[4:5]
	s_cbranch_execz .LBB1699_152
; %bb.151:
	v_lshlrev_b32_e32 v15, 2, v0
	ds_read_b32 v15, v15 offset:2048
	v_add_co_u32_e32 v16, vcc, v1, v0
	v_addc_co_u32_e32 v17, vcc, 0, v8, vcc
	v_lshlrev_b64 v[16:17], 2, v[16:17]
	v_mov_b32_e32 v18, s9
	v_sub_co_u32_e32 v16, vcc, s8, v16
	v_subb_co_u32_e32 v17, vcc, v18, v17, vcc
	s_waitcnt lgkmcnt(0)
	global_store_dword v[16:17], v15, off offset:-2048
.LBB1699_152:
	s_andn2_saveexec_b64 s[4:5], s[4:5]
	s_cbranch_execz .LBB1699_154
; %bb.153:
	v_lshlrev_b32_e32 v15, 2, v0
	ds_read_b32 v16, v15 offset:2048
	v_readfirstlane_b32 s6, v10
	v_readfirstlane_b32 s7, v11
	s_waitcnt lgkmcnt(0)
	s_nop 3
	global_store_dword v15, v16, s[6:7] offset:2048
.LBB1699_154:
	s_or_b64 exec, exec, s[4:5]
.LBB1699_155:
	s_andn2_saveexec_b64 s[2:3], s[2:3]
	s_cbranch_execz .LBB1699_157
; %bb.156:
	v_lshlrev_b32_e32 v15, 2, v0
	ds_read_b32 v16, v15 offset:2048
	v_readfirstlane_b32 s4, v12
	v_readfirstlane_b32 s5, v13
	s_waitcnt lgkmcnt(0)
	s_nop 3
	global_store_dword v15, v16, s[4:5] offset:2048
.LBB1699_157:
	;; [unrolled: 47-line block ×3, first 2 shown]
	s_or_b64 exec, exec, s[2:3]
	v_or_b32_e32 v15, 0x400, v0
	v_cmp_le_u32_e32 vcc, v6, v15
	s_and_saveexec_b64 s[2:3], vcc
	s_xor_b64 s[2:3], exec, s[2:3]
	s_cbranch_execz .LBB1699_171
; %bb.166:
	v_cmp_le_u32_e32 vcc, v14, v15
	s_and_saveexec_b64 s[4:5], vcc
	s_xor_b64 s[4:5], exec, s[4:5]
	s_cbranch_execz .LBB1699_168
; %bb.167:
	v_lshlrev_b32_e32 v15, 2, v0
	ds_read_b32 v15, v15 offset:4096
	v_add_co_u32_e32 v16, vcc, v1, v0
	v_addc_co_u32_e32 v17, vcc, 0, v8, vcc
	v_lshlrev_b64 v[16:17], 2, v[16:17]
	v_mov_b32_e32 v18, s9
	v_sub_co_u32_e32 v16, vcc, s8, v16
	v_subb_co_u32_e32 v17, vcc, v18, v17, vcc
	s_waitcnt lgkmcnt(0)
	global_store_dword v[16:17], v15, off offset:-4096
                                        ; implicit-def: $vgpr15
.LBB1699_168:
	s_andn2_saveexec_b64 s[4:5], s[4:5]
	s_cbranch_execz .LBB1699_170
; %bb.169:
	v_lshlrev_b32_e32 v16, 2, v0
	ds_read_b32 v16, v16 offset:4096
	v_lshlrev_b32_e32 v15, 2, v15
	v_readfirstlane_b32 s6, v10
	v_readfirstlane_b32 s7, v11
	s_waitcnt lgkmcnt(0)
	s_nop 3
	global_store_dword v15, v16, s[6:7]
.LBB1699_170:
	s_or_b64 exec, exec, s[4:5]
                                        ; implicit-def: $vgpr15
.LBB1699_171:
	s_andn2_saveexec_b64 s[2:3], s[2:3]
	s_cbranch_execz .LBB1699_173
; %bb.172:
	v_lshlrev_b32_e32 v16, 2, v0
	ds_read_b32 v16, v16 offset:4096
	v_lshlrev_b32_e32 v15, 2, v15
	v_readfirstlane_b32 s4, v12
	v_readfirstlane_b32 s5, v13
	s_waitcnt lgkmcnt(0)
	s_nop 3
	global_store_dword v15, v16, s[4:5]
.LBB1699_173:
	s_or_b64 exec, exec, s[2:3]
	v_or_b32_e32 v15, 0x500, v0
	v_cmp_le_u32_e32 vcc, v6, v15
	s_and_saveexec_b64 s[2:3], vcc
	s_xor_b64 s[2:3], exec, s[2:3]
	s_cbranch_execz .LBB1699_179
; %bb.174:
	v_cmp_le_u32_e32 vcc, v14, v15
	s_and_saveexec_b64 s[4:5], vcc
	s_xor_b64 s[4:5], exec, s[4:5]
	s_cbranch_execz .LBB1699_176
; %bb.175:
	v_add_co_u32_e32 v16, vcc, v1, v15
	v_lshlrev_b32_e32 v15, 2, v0
	ds_read_b32 v15, v15 offset:5120
	v_addc_co_u32_e32 v17, vcc, 0, v8, vcc
	v_lshlrev_b64 v[16:17], 2, v[16:17]
	v_mov_b32_e32 v18, s9
	v_sub_co_u32_e32 v16, vcc, s8, v16
	v_subb_co_u32_e32 v17, vcc, v18, v17, vcc
	s_waitcnt lgkmcnt(0)
	global_store_dword v[16:17], v15, off
                                        ; implicit-def: $vgpr15
.LBB1699_176:
	s_andn2_saveexec_b64 s[4:5], s[4:5]
	s_cbranch_execz .LBB1699_178
; %bb.177:
	v_lshlrev_b32_e32 v16, 2, v0
	ds_read_b32 v16, v16 offset:5120
	v_lshlrev_b32_e32 v15, 2, v15
	v_readfirstlane_b32 s6, v10
	v_readfirstlane_b32 s7, v11
	s_waitcnt lgkmcnt(0)
	s_nop 3
	global_store_dword v15, v16, s[6:7]
.LBB1699_178:
	s_or_b64 exec, exec, s[4:5]
                                        ; implicit-def: $vgpr15
.LBB1699_179:
	s_andn2_saveexec_b64 s[2:3], s[2:3]
	s_cbranch_execz .LBB1699_181
; %bb.180:
	v_lshlrev_b32_e32 v16, 2, v0
	ds_read_b32 v16, v16 offset:5120
	v_lshlrev_b32_e32 v15, 2, v15
	v_readfirstlane_b32 s4, v12
	v_readfirstlane_b32 s5, v13
	s_waitcnt lgkmcnt(0)
	s_nop 3
	global_store_dword v15, v16, s[4:5]
.LBB1699_181:
	s_or_b64 exec, exec, s[2:3]
	v_or_b32_e32 v15, 0x600, v0
	v_cmp_le_u32_e32 vcc, v6, v15
	s_and_saveexec_b64 s[2:3], vcc
	s_xor_b64 s[2:3], exec, s[2:3]
	s_cbranch_execz .LBB1699_187
; %bb.182:
	v_cmp_le_u32_e32 vcc, v14, v15
	s_and_saveexec_b64 s[4:5], vcc
	s_xor_b64 s[4:5], exec, s[4:5]
	s_cbranch_execz .LBB1699_184
; %bb.183:
	v_add_co_u32_e32 v16, vcc, v1, v15
	v_lshlrev_b32_e32 v15, 2, v0
	ds_read_b32 v15, v15 offset:6144
	v_addc_co_u32_e32 v17, vcc, 0, v8, vcc
	v_lshlrev_b64 v[16:17], 2, v[16:17]
	v_mov_b32_e32 v18, s9
	v_sub_co_u32_e32 v16, vcc, s8, v16
	v_subb_co_u32_e32 v17, vcc, v18, v17, vcc
	s_waitcnt lgkmcnt(0)
	global_store_dword v[16:17], v15, off
                                        ; implicit-def: $vgpr15
.LBB1699_184:
	s_andn2_saveexec_b64 s[4:5], s[4:5]
	s_cbranch_execz .LBB1699_186
; %bb.185:
	v_lshlrev_b32_e32 v16, 2, v0
	ds_read_b32 v16, v16 offset:6144
	v_lshlrev_b32_e32 v15, 2, v15
	v_readfirstlane_b32 s6, v10
	v_readfirstlane_b32 s7, v11
	s_waitcnt lgkmcnt(0)
	s_nop 3
	global_store_dword v15, v16, s[6:7]
.LBB1699_186:
	s_or_b64 exec, exec, s[4:5]
                                        ; implicit-def: $vgpr15
.LBB1699_187:
	;; [unrolled: 51-line block ×8, first 2 shown]
	s_andn2_saveexec_b64 s[2:3], s[2:3]
	s_cbranch_execz .LBB1699_237
; %bb.236:
	v_lshlrev_b32_e32 v16, 2, v0
	ds_read_b32 v16, v16 offset:12288
	v_lshlrev_b32_e32 v15, 2, v15
	v_readfirstlane_b32 s4, v12
	v_readfirstlane_b32 s5, v13
	s_waitcnt lgkmcnt(0)
	s_nop 3
	global_store_dword v15, v16, s[4:5]
.LBB1699_237:
	s_or_b64 exec, exec, s[2:3]
	s_branch .LBB1699_131
.LBB1699_238:
	v_cmp_gt_u32_e32 vcc, s16, v0
	s_and_saveexec_b64 s[2:3], vcc
	s_cbranch_execz .LBB1699_247
; %bb.239:
	v_cmp_le_u32_e32 vcc, v6, v0
	s_and_saveexec_b64 s[4:5], vcc
	s_xor_b64 s[4:5], exec, s[4:5]
	s_cbranch_execz .LBB1699_245
; %bb.240:
	v_cmp_le_u32_e32 vcc, v14, v0
	s_and_saveexec_b64 s[6:7], vcc
	s_xor_b64 s[6:7], exec, s[6:7]
	s_cbranch_execz .LBB1699_242
; %bb.241:
	v_lshlrev_b32_e32 v15, 2, v0
	v_add_co_u32_e32 v16, vcc, v1, v0
	ds_read_b32 v15, v15
	v_addc_co_u32_e32 v17, vcc, 0, v8, vcc
	v_lshlrev_b64 v[16:17], 2, v[16:17]
	v_mov_b32_e32 v18, s35
	v_sub_co_u32_e32 v16, vcc, s34, v16
	v_subb_co_u32_e32 v17, vcc, v18, v17, vcc
	s_waitcnt lgkmcnt(0)
	global_store_dword v[16:17], v15, off offset:-4
.LBB1699_242:
	s_andn2_saveexec_b64 s[6:7], s[6:7]
	s_cbranch_execz .LBB1699_244
; %bb.243:
	v_lshlrev_b32_e32 v15, 2, v0
	ds_read_b32 v16, v15
	v_readfirstlane_b32 s10, v10
	v_readfirstlane_b32 s11, v11
	s_waitcnt lgkmcnt(0)
	s_nop 3
	global_store_dword v15, v16, s[10:11]
.LBB1699_244:
	s_or_b64 exec, exec, s[6:7]
.LBB1699_245:
	s_andn2_saveexec_b64 s[4:5], s[4:5]
	s_cbranch_execz .LBB1699_247
; %bb.246:
	v_lshlrev_b32_e32 v15, 2, v0
	ds_read_b32 v16, v15
	v_readfirstlane_b32 s4, v12
	v_readfirstlane_b32 s5, v13
	s_waitcnt lgkmcnt(0)
	s_nop 3
	global_store_dword v15, v16, s[4:5]
.LBB1699_247:
	s_or_b64 exec, exec, s[2:3]
	v_or_b32_e32 v15, 0x100, v0
	v_cmp_gt_u32_e32 vcc, s16, v15
	s_and_saveexec_b64 s[2:3], vcc
	s_cbranch_execz .LBB1699_256
; %bb.248:
	v_cmp_le_u32_e32 vcc, v6, v15
	s_and_saveexec_b64 s[4:5], vcc
	s_xor_b64 s[4:5], exec, s[4:5]
	s_cbranch_execz .LBB1699_254
; %bb.249:
	v_cmp_le_u32_e32 vcc, v14, v15
	s_and_saveexec_b64 s[6:7], vcc
	s_xor_b64 s[6:7], exec, s[6:7]
	s_cbranch_execz .LBB1699_251
; %bb.250:
	v_lshlrev_b32_e32 v15, 2, v0
	ds_read_b32 v15, v15 offset:1024
	v_add_co_u32_e32 v16, vcc, v1, v0
	v_addc_co_u32_e32 v17, vcc, 0, v8, vcc
	v_lshlrev_b64 v[16:17], 2, v[16:17]
	v_mov_b32_e32 v18, s9
	v_sub_co_u32_e32 v16, vcc, s8, v16
	v_subb_co_u32_e32 v17, vcc, v18, v17, vcc
	s_waitcnt lgkmcnt(0)
	global_store_dword v[16:17], v15, off offset:-1024
.LBB1699_251:
	s_andn2_saveexec_b64 s[6:7], s[6:7]
	s_cbranch_execz .LBB1699_253
; %bb.252:
	v_lshlrev_b32_e32 v15, 2, v0
	ds_read_b32 v16, v15 offset:1024
	v_readfirstlane_b32 s10, v10
	v_readfirstlane_b32 s11, v11
	s_waitcnt lgkmcnt(0)
	s_nop 3
	global_store_dword v15, v16, s[10:11] offset:1024
.LBB1699_253:
	s_or_b64 exec, exec, s[6:7]
.LBB1699_254:
	s_andn2_saveexec_b64 s[4:5], s[4:5]
	s_cbranch_execz .LBB1699_256
; %bb.255:
	v_lshlrev_b32_e32 v15, 2, v0
	ds_read_b32 v16, v15 offset:1024
	v_readfirstlane_b32 s4, v12
	v_readfirstlane_b32 s5, v13
	s_waitcnt lgkmcnt(0)
	s_nop 3
	global_store_dword v15, v16, s[4:5] offset:1024
.LBB1699_256:
	s_or_b64 exec, exec, s[2:3]
	v_or_b32_e32 v15, 0x200, v0
	v_cmp_gt_u32_e32 vcc, s16, v15
	s_and_saveexec_b64 s[2:3], vcc
	s_cbranch_execz .LBB1699_265
; %bb.257:
	v_cmp_le_u32_e32 vcc, v6, v15
	s_and_saveexec_b64 s[4:5], vcc
	s_xor_b64 s[4:5], exec, s[4:5]
	s_cbranch_execz .LBB1699_263
; %bb.258:
	v_cmp_le_u32_e32 vcc, v14, v15
	s_and_saveexec_b64 s[6:7], vcc
	s_xor_b64 s[6:7], exec, s[6:7]
	s_cbranch_execz .LBB1699_260
; %bb.259:
	v_lshlrev_b32_e32 v15, 2, v0
	ds_read_b32 v15, v15 offset:2048
	v_add_co_u32_e32 v16, vcc, v1, v0
	v_addc_co_u32_e32 v17, vcc, 0, v8, vcc
	v_lshlrev_b64 v[16:17], 2, v[16:17]
	v_mov_b32_e32 v18, s9
	v_sub_co_u32_e32 v16, vcc, s8, v16
	v_subb_co_u32_e32 v17, vcc, v18, v17, vcc
	s_waitcnt lgkmcnt(0)
	global_store_dword v[16:17], v15, off offset:-2048
.LBB1699_260:
	s_andn2_saveexec_b64 s[6:7], s[6:7]
	s_cbranch_execz .LBB1699_262
; %bb.261:
	v_lshlrev_b32_e32 v15, 2, v0
	ds_read_b32 v16, v15 offset:2048
	v_readfirstlane_b32 s10, v10
	v_readfirstlane_b32 s11, v11
	s_waitcnt lgkmcnt(0)
	s_nop 3
	global_store_dword v15, v16, s[10:11] offset:2048
.LBB1699_262:
	s_or_b64 exec, exec, s[6:7]
.LBB1699_263:
	s_andn2_saveexec_b64 s[4:5], s[4:5]
	s_cbranch_execz .LBB1699_265
; %bb.264:
	v_lshlrev_b32_e32 v15, 2, v0
	ds_read_b32 v16, v15 offset:2048
	v_readfirstlane_b32 s4, v12
	v_readfirstlane_b32 s5, v13
	s_waitcnt lgkmcnt(0)
	s_nop 3
	global_store_dword v15, v16, s[4:5] offset:2048
.LBB1699_265:
	;; [unrolled: 51-line block ×3, first 2 shown]
	s_or_b64 exec, exec, s[2:3]
	v_or_b32_e32 v15, 0x400, v0
	v_cmp_gt_u32_e32 vcc, s16, v15
	s_and_saveexec_b64 s[2:3], vcc
	s_cbranch_execz .LBB1699_283
; %bb.275:
	v_cmp_le_u32_e32 vcc, v6, v15
	s_and_saveexec_b64 s[4:5], vcc
	s_xor_b64 s[4:5], exec, s[4:5]
	s_cbranch_execz .LBB1699_281
; %bb.276:
	v_cmp_le_u32_e32 vcc, v14, v15
	s_and_saveexec_b64 s[6:7], vcc
	s_xor_b64 s[6:7], exec, s[6:7]
	s_cbranch_execz .LBB1699_278
; %bb.277:
	v_lshlrev_b32_e32 v15, 2, v0
	ds_read_b32 v15, v15 offset:4096
	v_add_co_u32_e32 v16, vcc, v1, v0
	v_addc_co_u32_e32 v17, vcc, 0, v8, vcc
	v_lshlrev_b64 v[16:17], 2, v[16:17]
	v_mov_b32_e32 v18, s9
	v_sub_co_u32_e32 v16, vcc, s8, v16
	v_subb_co_u32_e32 v17, vcc, v18, v17, vcc
	s_waitcnt lgkmcnt(0)
	global_store_dword v[16:17], v15, off offset:-4096
                                        ; implicit-def: $vgpr15
.LBB1699_278:
	s_andn2_saveexec_b64 s[6:7], s[6:7]
	s_cbranch_execz .LBB1699_280
; %bb.279:
	v_lshlrev_b32_e32 v16, 2, v0
	ds_read_b32 v16, v16 offset:4096
	v_lshlrev_b32_e32 v15, 2, v15
	v_readfirstlane_b32 s10, v10
	v_readfirstlane_b32 s11, v11
	s_waitcnt lgkmcnt(0)
	s_nop 3
	global_store_dword v15, v16, s[10:11]
.LBB1699_280:
	s_or_b64 exec, exec, s[6:7]
                                        ; implicit-def: $vgpr15
.LBB1699_281:
	s_andn2_saveexec_b64 s[4:5], s[4:5]
	s_cbranch_execz .LBB1699_283
; %bb.282:
	v_lshlrev_b32_e32 v16, 2, v0
	ds_read_b32 v16, v16 offset:4096
	v_lshlrev_b32_e32 v15, 2, v15
	v_readfirstlane_b32 s4, v12
	v_readfirstlane_b32 s5, v13
	s_waitcnt lgkmcnt(0)
	s_nop 3
	global_store_dword v15, v16, s[4:5]
.LBB1699_283:
	s_or_b64 exec, exec, s[2:3]
	v_or_b32_e32 v15, 0x500, v0
	v_cmp_gt_u32_e32 vcc, s16, v15
	s_and_saveexec_b64 s[2:3], vcc
	s_cbranch_execz .LBB1699_292
; %bb.284:
	v_cmp_le_u32_e32 vcc, v6, v15
	s_and_saveexec_b64 s[4:5], vcc
	s_xor_b64 s[4:5], exec, s[4:5]
	s_cbranch_execz .LBB1699_290
; %bb.285:
	v_cmp_le_u32_e32 vcc, v14, v15
	s_and_saveexec_b64 s[6:7], vcc
	s_xor_b64 s[6:7], exec, s[6:7]
	s_cbranch_execz .LBB1699_287
; %bb.286:
	v_add_co_u32_e32 v16, vcc, v1, v15
	v_lshlrev_b32_e32 v15, 2, v0
	ds_read_b32 v15, v15 offset:5120
	v_addc_co_u32_e32 v17, vcc, 0, v8, vcc
	v_lshlrev_b64 v[16:17], 2, v[16:17]
	v_mov_b32_e32 v18, s9
	v_sub_co_u32_e32 v16, vcc, s8, v16
	v_subb_co_u32_e32 v17, vcc, v18, v17, vcc
	s_waitcnt lgkmcnt(0)
	global_store_dword v[16:17], v15, off
                                        ; implicit-def: $vgpr15
.LBB1699_287:
	s_andn2_saveexec_b64 s[6:7], s[6:7]
	s_cbranch_execz .LBB1699_289
; %bb.288:
	v_lshlrev_b32_e32 v16, 2, v0
	ds_read_b32 v16, v16 offset:5120
	v_lshlrev_b32_e32 v15, 2, v15
	v_readfirstlane_b32 s10, v10
	v_readfirstlane_b32 s11, v11
	s_waitcnt lgkmcnt(0)
	s_nop 3
	global_store_dword v15, v16, s[10:11]
.LBB1699_289:
	s_or_b64 exec, exec, s[6:7]
                                        ; implicit-def: $vgpr15
.LBB1699_290:
	s_andn2_saveexec_b64 s[4:5], s[4:5]
	s_cbranch_execz .LBB1699_292
; %bb.291:
	v_lshlrev_b32_e32 v16, 2, v0
	ds_read_b32 v16, v16 offset:5120
	v_lshlrev_b32_e32 v15, 2, v15
	v_readfirstlane_b32 s4, v12
	v_readfirstlane_b32 s5, v13
	s_waitcnt lgkmcnt(0)
	s_nop 3
	global_store_dword v15, v16, s[4:5]
.LBB1699_292:
	s_or_b64 exec, exec, s[2:3]
	v_or_b32_e32 v15, 0x600, v0
	v_cmp_gt_u32_e32 vcc, s16, v15
	s_and_saveexec_b64 s[2:3], vcc
	s_cbranch_execz .LBB1699_301
; %bb.293:
	v_cmp_le_u32_e32 vcc, v6, v15
	s_and_saveexec_b64 s[4:5], vcc
	s_xor_b64 s[4:5], exec, s[4:5]
	s_cbranch_execz .LBB1699_299
; %bb.294:
	v_cmp_le_u32_e32 vcc, v14, v15
	s_and_saveexec_b64 s[6:7], vcc
	s_xor_b64 s[6:7], exec, s[6:7]
	s_cbranch_execz .LBB1699_296
; %bb.295:
	v_add_co_u32_e32 v16, vcc, v1, v15
	v_lshlrev_b32_e32 v15, 2, v0
	ds_read_b32 v15, v15 offset:6144
	v_addc_co_u32_e32 v17, vcc, 0, v8, vcc
	v_lshlrev_b64 v[16:17], 2, v[16:17]
	v_mov_b32_e32 v18, s9
	v_sub_co_u32_e32 v16, vcc, s8, v16
	v_subb_co_u32_e32 v17, vcc, v18, v17, vcc
	s_waitcnt lgkmcnt(0)
	global_store_dword v[16:17], v15, off
                                        ; implicit-def: $vgpr15
.LBB1699_296:
	s_andn2_saveexec_b64 s[6:7], s[6:7]
	s_cbranch_execz .LBB1699_298
; %bb.297:
	v_lshlrev_b32_e32 v16, 2, v0
	ds_read_b32 v16, v16 offset:6144
	v_lshlrev_b32_e32 v15, 2, v15
	v_readfirstlane_b32 s10, v10
	v_readfirstlane_b32 s11, v11
	s_waitcnt lgkmcnt(0)
	s_nop 3
	global_store_dword v15, v16, s[10:11]
.LBB1699_298:
	s_or_b64 exec, exec, s[6:7]
                                        ; implicit-def: $vgpr15
.LBB1699_299:
	s_andn2_saveexec_b64 s[4:5], s[4:5]
	s_cbranch_execz .LBB1699_301
; %bb.300:
	v_lshlrev_b32_e32 v16, 2, v0
	ds_read_b32 v16, v16 offset:6144
	v_lshlrev_b32_e32 v15, 2, v15
	v_readfirstlane_b32 s4, v12
	v_readfirstlane_b32 s5, v13
	s_waitcnt lgkmcnt(0)
	s_nop 3
	global_store_dword v15, v16, s[4:5]
.LBB1699_301:
	;; [unrolled: 55-line block ×7, first 2 shown]
	s_or_b64 exec, exec, s[2:3]
	v_or_b32_e32 v15, 0xc00, v0
	v_cmp_gt_u32_e32 vcc, s16, v15
	s_and_saveexec_b64 s[2:3], vcc
	s_cbranch_execz .LBB1699_355
; %bb.347:
	v_cmp_le_u32_e32 vcc, v6, v15
	s_and_saveexec_b64 s[4:5], vcc
	s_xor_b64 s[4:5], exec, s[4:5]
	s_cbranch_execz .LBB1699_353
; %bb.348:
	v_cmp_le_u32_e32 vcc, v14, v15
	s_and_saveexec_b64 s[6:7], vcc
	s_xor_b64 s[6:7], exec, s[6:7]
	s_cbranch_execz .LBB1699_350
; %bb.349:
	v_add_co_u32_e32 v10, vcc, v1, v15
	v_lshlrev_b32_e32 v0, 2, v0
	v_addc_co_u32_e32 v11, vcc, 0, v8, vcc
	ds_read_b32 v8, v0 offset:12288
	v_lshlrev_b64 v[0:1], 2, v[10:11]
	v_mov_b32_e32 v10, s9
	v_sub_co_u32_e32 v0, vcc, s8, v0
	v_subb_co_u32_e32 v1, vcc, v10, v1, vcc
	s_waitcnt lgkmcnt(0)
	global_store_dword v[0:1], v8, off
                                        ; implicit-def: $vgpr0
                                        ; implicit-def: $vgpr15
                                        ; implicit-def: $vgpr10_vgpr11
.LBB1699_350:
	s_andn2_saveexec_b64 s[6:7], s[6:7]
	s_cbranch_execz .LBB1699_352
; %bb.351:
	v_lshlrev_b32_e32 v0, 2, v0
	ds_read_b32 v0, v0 offset:12288
	v_lshlrev_b32_e32 v1, 2, v15
	v_readfirstlane_b32 s8, v10
	v_readfirstlane_b32 s9, v11
	s_waitcnt lgkmcnt(0)
	s_nop 3
	global_store_dword v1, v0, s[8:9]
.LBB1699_352:
	s_or_b64 exec, exec, s[6:7]
                                        ; implicit-def: $vgpr0
                                        ; implicit-def: $vgpr15
                                        ; implicit-def: $vgpr12_vgpr13
.LBB1699_353:
	s_andn2_saveexec_b64 s[4:5], s[4:5]
	s_cbranch_execz .LBB1699_355
; %bb.354:
	v_lshlrev_b32_e32 v0, 2, v0
	ds_read_b32 v0, v0 offset:12288
	v_lshlrev_b32_e32 v1, 2, v15
	v_readfirstlane_b32 s4, v12
	v_readfirstlane_b32 s5, v13
	s_waitcnt lgkmcnt(0)
	s_nop 3
	global_store_dword v1, v0, s[4:5]
.LBB1699_355:
	s_or_b64 exec, exec, s[2:3]
	s_and_b64 s[0:1], s[0:1], s[30:31]
	s_and_saveexec_b64 s[2:3], s[0:1]
	s_cbranch_execz .LBB1699_132
.LBB1699_356:
	v_add_co_u32_e32 v0, vcc, v2, v6
	v_addc_co_u32_e32 v1, vcc, 0, v3, vcc
	v_add_co_u32_e32 v2, vcc, v4, v7
	v_addc_co_u32_e32 v3, vcc, 0, v5, vcc
	v_add_co_u32_e32 v2, vcc, v2, v9
	v_mov_b32_e32 v8, 0
	v_addc_co_u32_e32 v3, vcc, 0, v3, vcc
	global_store_dwordx4 v8, v[0:3], s[28:29]
	s_endpgm
	.section	.rodata,"a",@progbits
	.p2align	6, 0x0
	.amdhsa_kernel _ZN7rocprim17ROCPRIM_400000_NS6detail17trampoline_kernelINS0_13select_configILj256ELj13ELNS0_17block_load_methodE3ELS4_3ELS4_3ELNS0_20block_scan_algorithmE0ELj4294967295EEENS1_25partition_config_selectorILNS1_17partition_subalgoE4EjNS0_10empty_typeEbEEZZNS1_14partition_implILS8_4ELb0ES6_15HIP_vector_typeIjLj2EENS0_17counting_iteratorIjlEEPS9_SG_NS0_5tupleIJPjSI_NS0_16reverse_iteratorISI_EEEEENSH_IJSG_SG_SG_EEES9_SI_JZNS1_25segmented_radix_sort_implINS0_14default_configELb1EPK6__halfPSP_PKlPlN2at6native12_GLOBAL__N_18offset_tEEE10hipError_tPvRmT1_PNSt15iterator_traitsIS13_E10value_typeET2_T3_PNS14_IS19_E10value_typeET4_jRbjT5_S1F_jjP12ihipStream_tbEUljE_ZNSN_ISO_Lb1ESR_SS_SU_SV_SZ_EES10_S11_S12_S13_S17_S18_S19_S1C_S1D_jS1E_jS1F_S1F_jjS1H_bEUljE0_EEES10_S11_S12_S19_S1D_S1F_T6_T7_T9_mT8_S1H_bDpT10_ENKUlT_T0_E_clISt17integral_constantIbLb0EES1U_IbLb1EEEEDaS1Q_S1R_EUlS1Q_E_NS1_11comp_targetILNS1_3genE4ELNS1_11target_archE910ELNS1_3gpuE8ELNS1_3repE0EEENS1_30default_config_static_selectorELNS0_4arch9wavefront6targetE1EEEvS13_
		.amdhsa_group_segment_fixed_size 13340
		.amdhsa_private_segment_fixed_size 0
		.amdhsa_kernarg_size 184
		.amdhsa_user_sgpr_count 6
		.amdhsa_user_sgpr_private_segment_buffer 1
		.amdhsa_user_sgpr_dispatch_ptr 0
		.amdhsa_user_sgpr_queue_ptr 0
		.amdhsa_user_sgpr_kernarg_segment_ptr 1
		.amdhsa_user_sgpr_dispatch_id 0
		.amdhsa_user_sgpr_flat_scratch_init 0
		.amdhsa_user_sgpr_kernarg_preload_length 0
		.amdhsa_user_sgpr_kernarg_preload_offset 0
		.amdhsa_user_sgpr_private_segment_size 0
		.amdhsa_uses_dynamic_stack 0
		.amdhsa_system_sgpr_private_segment_wavefront_offset 0
		.amdhsa_system_sgpr_workgroup_id_x 1
		.amdhsa_system_sgpr_workgroup_id_y 0
		.amdhsa_system_sgpr_workgroup_id_z 0
		.amdhsa_system_sgpr_workgroup_info 0
		.amdhsa_system_vgpr_workitem_id 0
		.amdhsa_next_free_vgpr 107
		.amdhsa_next_free_sgpr 87
		.amdhsa_accum_offset 108
		.amdhsa_reserve_vcc 1
		.amdhsa_reserve_flat_scratch 0
		.amdhsa_float_round_mode_32 0
		.amdhsa_float_round_mode_16_64 0
		.amdhsa_float_denorm_mode_32 3
		.amdhsa_float_denorm_mode_16_64 3
		.amdhsa_dx10_clamp 1
		.amdhsa_ieee_mode 1
		.amdhsa_fp16_overflow 0
		.amdhsa_tg_split 0
		.amdhsa_exception_fp_ieee_invalid_op 0
		.amdhsa_exception_fp_denorm_src 0
		.amdhsa_exception_fp_ieee_div_zero 0
		.amdhsa_exception_fp_ieee_overflow 0
		.amdhsa_exception_fp_ieee_underflow 0
		.amdhsa_exception_fp_ieee_inexact 0
		.amdhsa_exception_int_div_zero 0
	.end_amdhsa_kernel
	.section	.text._ZN7rocprim17ROCPRIM_400000_NS6detail17trampoline_kernelINS0_13select_configILj256ELj13ELNS0_17block_load_methodE3ELS4_3ELS4_3ELNS0_20block_scan_algorithmE0ELj4294967295EEENS1_25partition_config_selectorILNS1_17partition_subalgoE4EjNS0_10empty_typeEbEEZZNS1_14partition_implILS8_4ELb0ES6_15HIP_vector_typeIjLj2EENS0_17counting_iteratorIjlEEPS9_SG_NS0_5tupleIJPjSI_NS0_16reverse_iteratorISI_EEEEENSH_IJSG_SG_SG_EEES9_SI_JZNS1_25segmented_radix_sort_implINS0_14default_configELb1EPK6__halfPSP_PKlPlN2at6native12_GLOBAL__N_18offset_tEEE10hipError_tPvRmT1_PNSt15iterator_traitsIS13_E10value_typeET2_T3_PNS14_IS19_E10value_typeET4_jRbjT5_S1F_jjP12ihipStream_tbEUljE_ZNSN_ISO_Lb1ESR_SS_SU_SV_SZ_EES10_S11_S12_S13_S17_S18_S19_S1C_S1D_jS1E_jS1F_S1F_jjS1H_bEUljE0_EEES10_S11_S12_S19_S1D_S1F_T6_T7_T9_mT8_S1H_bDpT10_ENKUlT_T0_E_clISt17integral_constantIbLb0EES1U_IbLb1EEEEDaS1Q_S1R_EUlS1Q_E_NS1_11comp_targetILNS1_3genE4ELNS1_11target_archE910ELNS1_3gpuE8ELNS1_3repE0EEENS1_30default_config_static_selectorELNS0_4arch9wavefront6targetE1EEEvS13_,"axG",@progbits,_ZN7rocprim17ROCPRIM_400000_NS6detail17trampoline_kernelINS0_13select_configILj256ELj13ELNS0_17block_load_methodE3ELS4_3ELS4_3ELNS0_20block_scan_algorithmE0ELj4294967295EEENS1_25partition_config_selectorILNS1_17partition_subalgoE4EjNS0_10empty_typeEbEEZZNS1_14partition_implILS8_4ELb0ES6_15HIP_vector_typeIjLj2EENS0_17counting_iteratorIjlEEPS9_SG_NS0_5tupleIJPjSI_NS0_16reverse_iteratorISI_EEEEENSH_IJSG_SG_SG_EEES9_SI_JZNS1_25segmented_radix_sort_implINS0_14default_configELb1EPK6__halfPSP_PKlPlN2at6native12_GLOBAL__N_18offset_tEEE10hipError_tPvRmT1_PNSt15iterator_traitsIS13_E10value_typeET2_T3_PNS14_IS19_E10value_typeET4_jRbjT5_S1F_jjP12ihipStream_tbEUljE_ZNSN_ISO_Lb1ESR_SS_SU_SV_SZ_EES10_S11_S12_S13_S17_S18_S19_S1C_S1D_jS1E_jS1F_S1F_jjS1H_bEUljE0_EEES10_S11_S12_S19_S1D_S1F_T6_T7_T9_mT8_S1H_bDpT10_ENKUlT_T0_E_clISt17integral_constantIbLb0EES1U_IbLb1EEEEDaS1Q_S1R_EUlS1Q_E_NS1_11comp_targetILNS1_3genE4ELNS1_11target_archE910ELNS1_3gpuE8ELNS1_3repE0EEENS1_30default_config_static_selectorELNS0_4arch9wavefront6targetE1EEEvS13_,comdat
.Lfunc_end1699:
	.size	_ZN7rocprim17ROCPRIM_400000_NS6detail17trampoline_kernelINS0_13select_configILj256ELj13ELNS0_17block_load_methodE3ELS4_3ELS4_3ELNS0_20block_scan_algorithmE0ELj4294967295EEENS1_25partition_config_selectorILNS1_17partition_subalgoE4EjNS0_10empty_typeEbEEZZNS1_14partition_implILS8_4ELb0ES6_15HIP_vector_typeIjLj2EENS0_17counting_iteratorIjlEEPS9_SG_NS0_5tupleIJPjSI_NS0_16reverse_iteratorISI_EEEEENSH_IJSG_SG_SG_EEES9_SI_JZNS1_25segmented_radix_sort_implINS0_14default_configELb1EPK6__halfPSP_PKlPlN2at6native12_GLOBAL__N_18offset_tEEE10hipError_tPvRmT1_PNSt15iterator_traitsIS13_E10value_typeET2_T3_PNS14_IS19_E10value_typeET4_jRbjT5_S1F_jjP12ihipStream_tbEUljE_ZNSN_ISO_Lb1ESR_SS_SU_SV_SZ_EES10_S11_S12_S13_S17_S18_S19_S1C_S1D_jS1E_jS1F_S1F_jjS1H_bEUljE0_EEES10_S11_S12_S19_S1D_S1F_T6_T7_T9_mT8_S1H_bDpT10_ENKUlT_T0_E_clISt17integral_constantIbLb0EES1U_IbLb1EEEEDaS1Q_S1R_EUlS1Q_E_NS1_11comp_targetILNS1_3genE4ELNS1_11target_archE910ELNS1_3gpuE8ELNS1_3repE0EEENS1_30default_config_static_selectorELNS0_4arch9wavefront6targetE1EEEvS13_, .Lfunc_end1699-_ZN7rocprim17ROCPRIM_400000_NS6detail17trampoline_kernelINS0_13select_configILj256ELj13ELNS0_17block_load_methodE3ELS4_3ELS4_3ELNS0_20block_scan_algorithmE0ELj4294967295EEENS1_25partition_config_selectorILNS1_17partition_subalgoE4EjNS0_10empty_typeEbEEZZNS1_14partition_implILS8_4ELb0ES6_15HIP_vector_typeIjLj2EENS0_17counting_iteratorIjlEEPS9_SG_NS0_5tupleIJPjSI_NS0_16reverse_iteratorISI_EEEEENSH_IJSG_SG_SG_EEES9_SI_JZNS1_25segmented_radix_sort_implINS0_14default_configELb1EPK6__halfPSP_PKlPlN2at6native12_GLOBAL__N_18offset_tEEE10hipError_tPvRmT1_PNSt15iterator_traitsIS13_E10value_typeET2_T3_PNS14_IS19_E10value_typeET4_jRbjT5_S1F_jjP12ihipStream_tbEUljE_ZNSN_ISO_Lb1ESR_SS_SU_SV_SZ_EES10_S11_S12_S13_S17_S18_S19_S1C_S1D_jS1E_jS1F_S1F_jjS1H_bEUljE0_EEES10_S11_S12_S19_S1D_S1F_T6_T7_T9_mT8_S1H_bDpT10_ENKUlT_T0_E_clISt17integral_constantIbLb0EES1U_IbLb1EEEEDaS1Q_S1R_EUlS1Q_E_NS1_11comp_targetILNS1_3genE4ELNS1_11target_archE910ELNS1_3gpuE8ELNS1_3repE0EEENS1_30default_config_static_selectorELNS0_4arch9wavefront6targetE1EEEvS13_
                                        ; -- End function
	.section	.AMDGPU.csdata,"",@progbits
; Kernel info:
; codeLenInByte = 13432
; NumSgprs: 91
; NumVgprs: 107
; NumAgprs: 0
; TotalNumVgprs: 107
; ScratchSize: 0
; MemoryBound: 0
; FloatMode: 240
; IeeeMode: 1
; LDSByteSize: 13340 bytes/workgroup (compile time only)
; SGPRBlocks: 11
; VGPRBlocks: 13
; NumSGPRsForWavesPerEU: 91
; NumVGPRsForWavesPerEU: 107
; AccumOffset: 108
; Occupancy: 4
; WaveLimiterHint : 1
; COMPUTE_PGM_RSRC2:SCRATCH_EN: 0
; COMPUTE_PGM_RSRC2:USER_SGPR: 6
; COMPUTE_PGM_RSRC2:TRAP_HANDLER: 0
; COMPUTE_PGM_RSRC2:TGID_X_EN: 1
; COMPUTE_PGM_RSRC2:TGID_Y_EN: 0
; COMPUTE_PGM_RSRC2:TGID_Z_EN: 0
; COMPUTE_PGM_RSRC2:TIDIG_COMP_CNT: 0
; COMPUTE_PGM_RSRC3_GFX90A:ACCUM_OFFSET: 26
; COMPUTE_PGM_RSRC3_GFX90A:TG_SPLIT: 0
	.section	.text._ZN7rocprim17ROCPRIM_400000_NS6detail17trampoline_kernelINS0_13select_configILj256ELj13ELNS0_17block_load_methodE3ELS4_3ELS4_3ELNS0_20block_scan_algorithmE0ELj4294967295EEENS1_25partition_config_selectorILNS1_17partition_subalgoE4EjNS0_10empty_typeEbEEZZNS1_14partition_implILS8_4ELb0ES6_15HIP_vector_typeIjLj2EENS0_17counting_iteratorIjlEEPS9_SG_NS0_5tupleIJPjSI_NS0_16reverse_iteratorISI_EEEEENSH_IJSG_SG_SG_EEES9_SI_JZNS1_25segmented_radix_sort_implINS0_14default_configELb1EPK6__halfPSP_PKlPlN2at6native12_GLOBAL__N_18offset_tEEE10hipError_tPvRmT1_PNSt15iterator_traitsIS13_E10value_typeET2_T3_PNS14_IS19_E10value_typeET4_jRbjT5_S1F_jjP12ihipStream_tbEUljE_ZNSN_ISO_Lb1ESR_SS_SU_SV_SZ_EES10_S11_S12_S13_S17_S18_S19_S1C_S1D_jS1E_jS1F_S1F_jjS1H_bEUljE0_EEES10_S11_S12_S19_S1D_S1F_T6_T7_T9_mT8_S1H_bDpT10_ENKUlT_T0_E_clISt17integral_constantIbLb0EES1U_IbLb1EEEEDaS1Q_S1R_EUlS1Q_E_NS1_11comp_targetILNS1_3genE3ELNS1_11target_archE908ELNS1_3gpuE7ELNS1_3repE0EEENS1_30default_config_static_selectorELNS0_4arch9wavefront6targetE1EEEvS13_,"axG",@progbits,_ZN7rocprim17ROCPRIM_400000_NS6detail17trampoline_kernelINS0_13select_configILj256ELj13ELNS0_17block_load_methodE3ELS4_3ELS4_3ELNS0_20block_scan_algorithmE0ELj4294967295EEENS1_25partition_config_selectorILNS1_17partition_subalgoE4EjNS0_10empty_typeEbEEZZNS1_14partition_implILS8_4ELb0ES6_15HIP_vector_typeIjLj2EENS0_17counting_iteratorIjlEEPS9_SG_NS0_5tupleIJPjSI_NS0_16reverse_iteratorISI_EEEEENSH_IJSG_SG_SG_EEES9_SI_JZNS1_25segmented_radix_sort_implINS0_14default_configELb1EPK6__halfPSP_PKlPlN2at6native12_GLOBAL__N_18offset_tEEE10hipError_tPvRmT1_PNSt15iterator_traitsIS13_E10value_typeET2_T3_PNS14_IS19_E10value_typeET4_jRbjT5_S1F_jjP12ihipStream_tbEUljE_ZNSN_ISO_Lb1ESR_SS_SU_SV_SZ_EES10_S11_S12_S13_S17_S18_S19_S1C_S1D_jS1E_jS1F_S1F_jjS1H_bEUljE0_EEES10_S11_S12_S19_S1D_S1F_T6_T7_T9_mT8_S1H_bDpT10_ENKUlT_T0_E_clISt17integral_constantIbLb0EES1U_IbLb1EEEEDaS1Q_S1R_EUlS1Q_E_NS1_11comp_targetILNS1_3genE3ELNS1_11target_archE908ELNS1_3gpuE7ELNS1_3repE0EEENS1_30default_config_static_selectorELNS0_4arch9wavefront6targetE1EEEvS13_,comdat
	.globl	_ZN7rocprim17ROCPRIM_400000_NS6detail17trampoline_kernelINS0_13select_configILj256ELj13ELNS0_17block_load_methodE3ELS4_3ELS4_3ELNS0_20block_scan_algorithmE0ELj4294967295EEENS1_25partition_config_selectorILNS1_17partition_subalgoE4EjNS0_10empty_typeEbEEZZNS1_14partition_implILS8_4ELb0ES6_15HIP_vector_typeIjLj2EENS0_17counting_iteratorIjlEEPS9_SG_NS0_5tupleIJPjSI_NS0_16reverse_iteratorISI_EEEEENSH_IJSG_SG_SG_EEES9_SI_JZNS1_25segmented_radix_sort_implINS0_14default_configELb1EPK6__halfPSP_PKlPlN2at6native12_GLOBAL__N_18offset_tEEE10hipError_tPvRmT1_PNSt15iterator_traitsIS13_E10value_typeET2_T3_PNS14_IS19_E10value_typeET4_jRbjT5_S1F_jjP12ihipStream_tbEUljE_ZNSN_ISO_Lb1ESR_SS_SU_SV_SZ_EES10_S11_S12_S13_S17_S18_S19_S1C_S1D_jS1E_jS1F_S1F_jjS1H_bEUljE0_EEES10_S11_S12_S19_S1D_S1F_T6_T7_T9_mT8_S1H_bDpT10_ENKUlT_T0_E_clISt17integral_constantIbLb0EES1U_IbLb1EEEEDaS1Q_S1R_EUlS1Q_E_NS1_11comp_targetILNS1_3genE3ELNS1_11target_archE908ELNS1_3gpuE7ELNS1_3repE0EEENS1_30default_config_static_selectorELNS0_4arch9wavefront6targetE1EEEvS13_ ; -- Begin function _ZN7rocprim17ROCPRIM_400000_NS6detail17trampoline_kernelINS0_13select_configILj256ELj13ELNS0_17block_load_methodE3ELS4_3ELS4_3ELNS0_20block_scan_algorithmE0ELj4294967295EEENS1_25partition_config_selectorILNS1_17partition_subalgoE4EjNS0_10empty_typeEbEEZZNS1_14partition_implILS8_4ELb0ES6_15HIP_vector_typeIjLj2EENS0_17counting_iteratorIjlEEPS9_SG_NS0_5tupleIJPjSI_NS0_16reverse_iteratorISI_EEEEENSH_IJSG_SG_SG_EEES9_SI_JZNS1_25segmented_radix_sort_implINS0_14default_configELb1EPK6__halfPSP_PKlPlN2at6native12_GLOBAL__N_18offset_tEEE10hipError_tPvRmT1_PNSt15iterator_traitsIS13_E10value_typeET2_T3_PNS14_IS19_E10value_typeET4_jRbjT5_S1F_jjP12ihipStream_tbEUljE_ZNSN_ISO_Lb1ESR_SS_SU_SV_SZ_EES10_S11_S12_S13_S17_S18_S19_S1C_S1D_jS1E_jS1F_S1F_jjS1H_bEUljE0_EEES10_S11_S12_S19_S1D_S1F_T6_T7_T9_mT8_S1H_bDpT10_ENKUlT_T0_E_clISt17integral_constantIbLb0EES1U_IbLb1EEEEDaS1Q_S1R_EUlS1Q_E_NS1_11comp_targetILNS1_3genE3ELNS1_11target_archE908ELNS1_3gpuE7ELNS1_3repE0EEENS1_30default_config_static_selectorELNS0_4arch9wavefront6targetE1EEEvS13_
	.p2align	8
	.type	_ZN7rocprim17ROCPRIM_400000_NS6detail17trampoline_kernelINS0_13select_configILj256ELj13ELNS0_17block_load_methodE3ELS4_3ELS4_3ELNS0_20block_scan_algorithmE0ELj4294967295EEENS1_25partition_config_selectorILNS1_17partition_subalgoE4EjNS0_10empty_typeEbEEZZNS1_14partition_implILS8_4ELb0ES6_15HIP_vector_typeIjLj2EENS0_17counting_iteratorIjlEEPS9_SG_NS0_5tupleIJPjSI_NS0_16reverse_iteratorISI_EEEEENSH_IJSG_SG_SG_EEES9_SI_JZNS1_25segmented_radix_sort_implINS0_14default_configELb1EPK6__halfPSP_PKlPlN2at6native12_GLOBAL__N_18offset_tEEE10hipError_tPvRmT1_PNSt15iterator_traitsIS13_E10value_typeET2_T3_PNS14_IS19_E10value_typeET4_jRbjT5_S1F_jjP12ihipStream_tbEUljE_ZNSN_ISO_Lb1ESR_SS_SU_SV_SZ_EES10_S11_S12_S13_S17_S18_S19_S1C_S1D_jS1E_jS1F_S1F_jjS1H_bEUljE0_EEES10_S11_S12_S19_S1D_S1F_T6_T7_T9_mT8_S1H_bDpT10_ENKUlT_T0_E_clISt17integral_constantIbLb0EES1U_IbLb1EEEEDaS1Q_S1R_EUlS1Q_E_NS1_11comp_targetILNS1_3genE3ELNS1_11target_archE908ELNS1_3gpuE7ELNS1_3repE0EEENS1_30default_config_static_selectorELNS0_4arch9wavefront6targetE1EEEvS13_,@function
_ZN7rocprim17ROCPRIM_400000_NS6detail17trampoline_kernelINS0_13select_configILj256ELj13ELNS0_17block_load_methodE3ELS4_3ELS4_3ELNS0_20block_scan_algorithmE0ELj4294967295EEENS1_25partition_config_selectorILNS1_17partition_subalgoE4EjNS0_10empty_typeEbEEZZNS1_14partition_implILS8_4ELb0ES6_15HIP_vector_typeIjLj2EENS0_17counting_iteratorIjlEEPS9_SG_NS0_5tupleIJPjSI_NS0_16reverse_iteratorISI_EEEEENSH_IJSG_SG_SG_EEES9_SI_JZNS1_25segmented_radix_sort_implINS0_14default_configELb1EPK6__halfPSP_PKlPlN2at6native12_GLOBAL__N_18offset_tEEE10hipError_tPvRmT1_PNSt15iterator_traitsIS13_E10value_typeET2_T3_PNS14_IS19_E10value_typeET4_jRbjT5_S1F_jjP12ihipStream_tbEUljE_ZNSN_ISO_Lb1ESR_SS_SU_SV_SZ_EES10_S11_S12_S13_S17_S18_S19_S1C_S1D_jS1E_jS1F_S1F_jjS1H_bEUljE0_EEES10_S11_S12_S19_S1D_S1F_T6_T7_T9_mT8_S1H_bDpT10_ENKUlT_T0_E_clISt17integral_constantIbLb0EES1U_IbLb1EEEEDaS1Q_S1R_EUlS1Q_E_NS1_11comp_targetILNS1_3genE3ELNS1_11target_archE908ELNS1_3gpuE7ELNS1_3repE0EEENS1_30default_config_static_selectorELNS0_4arch9wavefront6targetE1EEEvS13_: ; @_ZN7rocprim17ROCPRIM_400000_NS6detail17trampoline_kernelINS0_13select_configILj256ELj13ELNS0_17block_load_methodE3ELS4_3ELS4_3ELNS0_20block_scan_algorithmE0ELj4294967295EEENS1_25partition_config_selectorILNS1_17partition_subalgoE4EjNS0_10empty_typeEbEEZZNS1_14partition_implILS8_4ELb0ES6_15HIP_vector_typeIjLj2EENS0_17counting_iteratorIjlEEPS9_SG_NS0_5tupleIJPjSI_NS0_16reverse_iteratorISI_EEEEENSH_IJSG_SG_SG_EEES9_SI_JZNS1_25segmented_radix_sort_implINS0_14default_configELb1EPK6__halfPSP_PKlPlN2at6native12_GLOBAL__N_18offset_tEEE10hipError_tPvRmT1_PNSt15iterator_traitsIS13_E10value_typeET2_T3_PNS14_IS19_E10value_typeET4_jRbjT5_S1F_jjP12ihipStream_tbEUljE_ZNSN_ISO_Lb1ESR_SS_SU_SV_SZ_EES10_S11_S12_S13_S17_S18_S19_S1C_S1D_jS1E_jS1F_S1F_jjS1H_bEUljE0_EEES10_S11_S12_S19_S1D_S1F_T6_T7_T9_mT8_S1H_bDpT10_ENKUlT_T0_E_clISt17integral_constantIbLb0EES1U_IbLb1EEEEDaS1Q_S1R_EUlS1Q_E_NS1_11comp_targetILNS1_3genE3ELNS1_11target_archE908ELNS1_3gpuE7ELNS1_3repE0EEENS1_30default_config_static_selectorELNS0_4arch9wavefront6targetE1EEEvS13_
; %bb.0:
	.section	.rodata,"a",@progbits
	.p2align	6, 0x0
	.amdhsa_kernel _ZN7rocprim17ROCPRIM_400000_NS6detail17trampoline_kernelINS0_13select_configILj256ELj13ELNS0_17block_load_methodE3ELS4_3ELS4_3ELNS0_20block_scan_algorithmE0ELj4294967295EEENS1_25partition_config_selectorILNS1_17partition_subalgoE4EjNS0_10empty_typeEbEEZZNS1_14partition_implILS8_4ELb0ES6_15HIP_vector_typeIjLj2EENS0_17counting_iteratorIjlEEPS9_SG_NS0_5tupleIJPjSI_NS0_16reverse_iteratorISI_EEEEENSH_IJSG_SG_SG_EEES9_SI_JZNS1_25segmented_radix_sort_implINS0_14default_configELb1EPK6__halfPSP_PKlPlN2at6native12_GLOBAL__N_18offset_tEEE10hipError_tPvRmT1_PNSt15iterator_traitsIS13_E10value_typeET2_T3_PNS14_IS19_E10value_typeET4_jRbjT5_S1F_jjP12ihipStream_tbEUljE_ZNSN_ISO_Lb1ESR_SS_SU_SV_SZ_EES10_S11_S12_S13_S17_S18_S19_S1C_S1D_jS1E_jS1F_S1F_jjS1H_bEUljE0_EEES10_S11_S12_S19_S1D_S1F_T6_T7_T9_mT8_S1H_bDpT10_ENKUlT_T0_E_clISt17integral_constantIbLb0EES1U_IbLb1EEEEDaS1Q_S1R_EUlS1Q_E_NS1_11comp_targetILNS1_3genE3ELNS1_11target_archE908ELNS1_3gpuE7ELNS1_3repE0EEENS1_30default_config_static_selectorELNS0_4arch9wavefront6targetE1EEEvS13_
		.amdhsa_group_segment_fixed_size 0
		.amdhsa_private_segment_fixed_size 0
		.amdhsa_kernarg_size 184
		.amdhsa_user_sgpr_count 6
		.amdhsa_user_sgpr_private_segment_buffer 1
		.amdhsa_user_sgpr_dispatch_ptr 0
		.amdhsa_user_sgpr_queue_ptr 0
		.amdhsa_user_sgpr_kernarg_segment_ptr 1
		.amdhsa_user_sgpr_dispatch_id 0
		.amdhsa_user_sgpr_flat_scratch_init 0
		.amdhsa_user_sgpr_kernarg_preload_length 0
		.amdhsa_user_sgpr_kernarg_preload_offset 0
		.amdhsa_user_sgpr_private_segment_size 0
		.amdhsa_uses_dynamic_stack 0
		.amdhsa_system_sgpr_private_segment_wavefront_offset 0
		.amdhsa_system_sgpr_workgroup_id_x 1
		.amdhsa_system_sgpr_workgroup_id_y 0
		.amdhsa_system_sgpr_workgroup_id_z 0
		.amdhsa_system_sgpr_workgroup_info 0
		.amdhsa_system_vgpr_workitem_id 0
		.amdhsa_next_free_vgpr 1
		.amdhsa_next_free_sgpr 0
		.amdhsa_accum_offset 4
		.amdhsa_reserve_vcc 0
		.amdhsa_reserve_flat_scratch 0
		.amdhsa_float_round_mode_32 0
		.amdhsa_float_round_mode_16_64 0
		.amdhsa_float_denorm_mode_32 3
		.amdhsa_float_denorm_mode_16_64 3
		.amdhsa_dx10_clamp 1
		.amdhsa_ieee_mode 1
		.amdhsa_fp16_overflow 0
		.amdhsa_tg_split 0
		.amdhsa_exception_fp_ieee_invalid_op 0
		.amdhsa_exception_fp_denorm_src 0
		.amdhsa_exception_fp_ieee_div_zero 0
		.amdhsa_exception_fp_ieee_overflow 0
		.amdhsa_exception_fp_ieee_underflow 0
		.amdhsa_exception_fp_ieee_inexact 0
		.amdhsa_exception_int_div_zero 0
	.end_amdhsa_kernel
	.section	.text._ZN7rocprim17ROCPRIM_400000_NS6detail17trampoline_kernelINS0_13select_configILj256ELj13ELNS0_17block_load_methodE3ELS4_3ELS4_3ELNS0_20block_scan_algorithmE0ELj4294967295EEENS1_25partition_config_selectorILNS1_17partition_subalgoE4EjNS0_10empty_typeEbEEZZNS1_14partition_implILS8_4ELb0ES6_15HIP_vector_typeIjLj2EENS0_17counting_iteratorIjlEEPS9_SG_NS0_5tupleIJPjSI_NS0_16reverse_iteratorISI_EEEEENSH_IJSG_SG_SG_EEES9_SI_JZNS1_25segmented_radix_sort_implINS0_14default_configELb1EPK6__halfPSP_PKlPlN2at6native12_GLOBAL__N_18offset_tEEE10hipError_tPvRmT1_PNSt15iterator_traitsIS13_E10value_typeET2_T3_PNS14_IS19_E10value_typeET4_jRbjT5_S1F_jjP12ihipStream_tbEUljE_ZNSN_ISO_Lb1ESR_SS_SU_SV_SZ_EES10_S11_S12_S13_S17_S18_S19_S1C_S1D_jS1E_jS1F_S1F_jjS1H_bEUljE0_EEES10_S11_S12_S19_S1D_S1F_T6_T7_T9_mT8_S1H_bDpT10_ENKUlT_T0_E_clISt17integral_constantIbLb0EES1U_IbLb1EEEEDaS1Q_S1R_EUlS1Q_E_NS1_11comp_targetILNS1_3genE3ELNS1_11target_archE908ELNS1_3gpuE7ELNS1_3repE0EEENS1_30default_config_static_selectorELNS0_4arch9wavefront6targetE1EEEvS13_,"axG",@progbits,_ZN7rocprim17ROCPRIM_400000_NS6detail17trampoline_kernelINS0_13select_configILj256ELj13ELNS0_17block_load_methodE3ELS4_3ELS4_3ELNS0_20block_scan_algorithmE0ELj4294967295EEENS1_25partition_config_selectorILNS1_17partition_subalgoE4EjNS0_10empty_typeEbEEZZNS1_14partition_implILS8_4ELb0ES6_15HIP_vector_typeIjLj2EENS0_17counting_iteratorIjlEEPS9_SG_NS0_5tupleIJPjSI_NS0_16reverse_iteratorISI_EEEEENSH_IJSG_SG_SG_EEES9_SI_JZNS1_25segmented_radix_sort_implINS0_14default_configELb1EPK6__halfPSP_PKlPlN2at6native12_GLOBAL__N_18offset_tEEE10hipError_tPvRmT1_PNSt15iterator_traitsIS13_E10value_typeET2_T3_PNS14_IS19_E10value_typeET4_jRbjT5_S1F_jjP12ihipStream_tbEUljE_ZNSN_ISO_Lb1ESR_SS_SU_SV_SZ_EES10_S11_S12_S13_S17_S18_S19_S1C_S1D_jS1E_jS1F_S1F_jjS1H_bEUljE0_EEES10_S11_S12_S19_S1D_S1F_T6_T7_T9_mT8_S1H_bDpT10_ENKUlT_T0_E_clISt17integral_constantIbLb0EES1U_IbLb1EEEEDaS1Q_S1R_EUlS1Q_E_NS1_11comp_targetILNS1_3genE3ELNS1_11target_archE908ELNS1_3gpuE7ELNS1_3repE0EEENS1_30default_config_static_selectorELNS0_4arch9wavefront6targetE1EEEvS13_,comdat
.Lfunc_end1700:
	.size	_ZN7rocprim17ROCPRIM_400000_NS6detail17trampoline_kernelINS0_13select_configILj256ELj13ELNS0_17block_load_methodE3ELS4_3ELS4_3ELNS0_20block_scan_algorithmE0ELj4294967295EEENS1_25partition_config_selectorILNS1_17partition_subalgoE4EjNS0_10empty_typeEbEEZZNS1_14partition_implILS8_4ELb0ES6_15HIP_vector_typeIjLj2EENS0_17counting_iteratorIjlEEPS9_SG_NS0_5tupleIJPjSI_NS0_16reverse_iteratorISI_EEEEENSH_IJSG_SG_SG_EEES9_SI_JZNS1_25segmented_radix_sort_implINS0_14default_configELb1EPK6__halfPSP_PKlPlN2at6native12_GLOBAL__N_18offset_tEEE10hipError_tPvRmT1_PNSt15iterator_traitsIS13_E10value_typeET2_T3_PNS14_IS19_E10value_typeET4_jRbjT5_S1F_jjP12ihipStream_tbEUljE_ZNSN_ISO_Lb1ESR_SS_SU_SV_SZ_EES10_S11_S12_S13_S17_S18_S19_S1C_S1D_jS1E_jS1F_S1F_jjS1H_bEUljE0_EEES10_S11_S12_S19_S1D_S1F_T6_T7_T9_mT8_S1H_bDpT10_ENKUlT_T0_E_clISt17integral_constantIbLb0EES1U_IbLb1EEEEDaS1Q_S1R_EUlS1Q_E_NS1_11comp_targetILNS1_3genE3ELNS1_11target_archE908ELNS1_3gpuE7ELNS1_3repE0EEENS1_30default_config_static_selectorELNS0_4arch9wavefront6targetE1EEEvS13_, .Lfunc_end1700-_ZN7rocprim17ROCPRIM_400000_NS6detail17trampoline_kernelINS0_13select_configILj256ELj13ELNS0_17block_load_methodE3ELS4_3ELS4_3ELNS0_20block_scan_algorithmE0ELj4294967295EEENS1_25partition_config_selectorILNS1_17partition_subalgoE4EjNS0_10empty_typeEbEEZZNS1_14partition_implILS8_4ELb0ES6_15HIP_vector_typeIjLj2EENS0_17counting_iteratorIjlEEPS9_SG_NS0_5tupleIJPjSI_NS0_16reverse_iteratorISI_EEEEENSH_IJSG_SG_SG_EEES9_SI_JZNS1_25segmented_radix_sort_implINS0_14default_configELb1EPK6__halfPSP_PKlPlN2at6native12_GLOBAL__N_18offset_tEEE10hipError_tPvRmT1_PNSt15iterator_traitsIS13_E10value_typeET2_T3_PNS14_IS19_E10value_typeET4_jRbjT5_S1F_jjP12ihipStream_tbEUljE_ZNSN_ISO_Lb1ESR_SS_SU_SV_SZ_EES10_S11_S12_S13_S17_S18_S19_S1C_S1D_jS1E_jS1F_S1F_jjS1H_bEUljE0_EEES10_S11_S12_S19_S1D_S1F_T6_T7_T9_mT8_S1H_bDpT10_ENKUlT_T0_E_clISt17integral_constantIbLb0EES1U_IbLb1EEEEDaS1Q_S1R_EUlS1Q_E_NS1_11comp_targetILNS1_3genE3ELNS1_11target_archE908ELNS1_3gpuE7ELNS1_3repE0EEENS1_30default_config_static_selectorELNS0_4arch9wavefront6targetE1EEEvS13_
                                        ; -- End function
	.section	.AMDGPU.csdata,"",@progbits
; Kernel info:
; codeLenInByte = 0
; NumSgprs: 4
; NumVgprs: 0
; NumAgprs: 0
; TotalNumVgprs: 0
; ScratchSize: 0
; MemoryBound: 0
; FloatMode: 240
; IeeeMode: 1
; LDSByteSize: 0 bytes/workgroup (compile time only)
; SGPRBlocks: 0
; VGPRBlocks: 0
; NumSGPRsForWavesPerEU: 4
; NumVGPRsForWavesPerEU: 1
; AccumOffset: 4
; Occupancy: 8
; WaveLimiterHint : 0
; COMPUTE_PGM_RSRC2:SCRATCH_EN: 0
; COMPUTE_PGM_RSRC2:USER_SGPR: 6
; COMPUTE_PGM_RSRC2:TRAP_HANDLER: 0
; COMPUTE_PGM_RSRC2:TGID_X_EN: 1
; COMPUTE_PGM_RSRC2:TGID_Y_EN: 0
; COMPUTE_PGM_RSRC2:TGID_Z_EN: 0
; COMPUTE_PGM_RSRC2:TIDIG_COMP_CNT: 0
; COMPUTE_PGM_RSRC3_GFX90A:ACCUM_OFFSET: 0
; COMPUTE_PGM_RSRC3_GFX90A:TG_SPLIT: 0
	.section	.text._ZN7rocprim17ROCPRIM_400000_NS6detail17trampoline_kernelINS0_13select_configILj256ELj13ELNS0_17block_load_methodE3ELS4_3ELS4_3ELNS0_20block_scan_algorithmE0ELj4294967295EEENS1_25partition_config_selectorILNS1_17partition_subalgoE4EjNS0_10empty_typeEbEEZZNS1_14partition_implILS8_4ELb0ES6_15HIP_vector_typeIjLj2EENS0_17counting_iteratorIjlEEPS9_SG_NS0_5tupleIJPjSI_NS0_16reverse_iteratorISI_EEEEENSH_IJSG_SG_SG_EEES9_SI_JZNS1_25segmented_radix_sort_implINS0_14default_configELb1EPK6__halfPSP_PKlPlN2at6native12_GLOBAL__N_18offset_tEEE10hipError_tPvRmT1_PNSt15iterator_traitsIS13_E10value_typeET2_T3_PNS14_IS19_E10value_typeET4_jRbjT5_S1F_jjP12ihipStream_tbEUljE_ZNSN_ISO_Lb1ESR_SS_SU_SV_SZ_EES10_S11_S12_S13_S17_S18_S19_S1C_S1D_jS1E_jS1F_S1F_jjS1H_bEUljE0_EEES10_S11_S12_S19_S1D_S1F_T6_T7_T9_mT8_S1H_bDpT10_ENKUlT_T0_E_clISt17integral_constantIbLb0EES1U_IbLb1EEEEDaS1Q_S1R_EUlS1Q_E_NS1_11comp_targetILNS1_3genE2ELNS1_11target_archE906ELNS1_3gpuE6ELNS1_3repE0EEENS1_30default_config_static_selectorELNS0_4arch9wavefront6targetE1EEEvS13_,"axG",@progbits,_ZN7rocprim17ROCPRIM_400000_NS6detail17trampoline_kernelINS0_13select_configILj256ELj13ELNS0_17block_load_methodE3ELS4_3ELS4_3ELNS0_20block_scan_algorithmE0ELj4294967295EEENS1_25partition_config_selectorILNS1_17partition_subalgoE4EjNS0_10empty_typeEbEEZZNS1_14partition_implILS8_4ELb0ES6_15HIP_vector_typeIjLj2EENS0_17counting_iteratorIjlEEPS9_SG_NS0_5tupleIJPjSI_NS0_16reverse_iteratorISI_EEEEENSH_IJSG_SG_SG_EEES9_SI_JZNS1_25segmented_radix_sort_implINS0_14default_configELb1EPK6__halfPSP_PKlPlN2at6native12_GLOBAL__N_18offset_tEEE10hipError_tPvRmT1_PNSt15iterator_traitsIS13_E10value_typeET2_T3_PNS14_IS19_E10value_typeET4_jRbjT5_S1F_jjP12ihipStream_tbEUljE_ZNSN_ISO_Lb1ESR_SS_SU_SV_SZ_EES10_S11_S12_S13_S17_S18_S19_S1C_S1D_jS1E_jS1F_S1F_jjS1H_bEUljE0_EEES10_S11_S12_S19_S1D_S1F_T6_T7_T9_mT8_S1H_bDpT10_ENKUlT_T0_E_clISt17integral_constantIbLb0EES1U_IbLb1EEEEDaS1Q_S1R_EUlS1Q_E_NS1_11comp_targetILNS1_3genE2ELNS1_11target_archE906ELNS1_3gpuE6ELNS1_3repE0EEENS1_30default_config_static_selectorELNS0_4arch9wavefront6targetE1EEEvS13_,comdat
	.globl	_ZN7rocprim17ROCPRIM_400000_NS6detail17trampoline_kernelINS0_13select_configILj256ELj13ELNS0_17block_load_methodE3ELS4_3ELS4_3ELNS0_20block_scan_algorithmE0ELj4294967295EEENS1_25partition_config_selectorILNS1_17partition_subalgoE4EjNS0_10empty_typeEbEEZZNS1_14partition_implILS8_4ELb0ES6_15HIP_vector_typeIjLj2EENS0_17counting_iteratorIjlEEPS9_SG_NS0_5tupleIJPjSI_NS0_16reverse_iteratorISI_EEEEENSH_IJSG_SG_SG_EEES9_SI_JZNS1_25segmented_radix_sort_implINS0_14default_configELb1EPK6__halfPSP_PKlPlN2at6native12_GLOBAL__N_18offset_tEEE10hipError_tPvRmT1_PNSt15iterator_traitsIS13_E10value_typeET2_T3_PNS14_IS19_E10value_typeET4_jRbjT5_S1F_jjP12ihipStream_tbEUljE_ZNSN_ISO_Lb1ESR_SS_SU_SV_SZ_EES10_S11_S12_S13_S17_S18_S19_S1C_S1D_jS1E_jS1F_S1F_jjS1H_bEUljE0_EEES10_S11_S12_S19_S1D_S1F_T6_T7_T9_mT8_S1H_bDpT10_ENKUlT_T0_E_clISt17integral_constantIbLb0EES1U_IbLb1EEEEDaS1Q_S1R_EUlS1Q_E_NS1_11comp_targetILNS1_3genE2ELNS1_11target_archE906ELNS1_3gpuE6ELNS1_3repE0EEENS1_30default_config_static_selectorELNS0_4arch9wavefront6targetE1EEEvS13_ ; -- Begin function _ZN7rocprim17ROCPRIM_400000_NS6detail17trampoline_kernelINS0_13select_configILj256ELj13ELNS0_17block_load_methodE3ELS4_3ELS4_3ELNS0_20block_scan_algorithmE0ELj4294967295EEENS1_25partition_config_selectorILNS1_17partition_subalgoE4EjNS0_10empty_typeEbEEZZNS1_14partition_implILS8_4ELb0ES6_15HIP_vector_typeIjLj2EENS0_17counting_iteratorIjlEEPS9_SG_NS0_5tupleIJPjSI_NS0_16reverse_iteratorISI_EEEEENSH_IJSG_SG_SG_EEES9_SI_JZNS1_25segmented_radix_sort_implINS0_14default_configELb1EPK6__halfPSP_PKlPlN2at6native12_GLOBAL__N_18offset_tEEE10hipError_tPvRmT1_PNSt15iterator_traitsIS13_E10value_typeET2_T3_PNS14_IS19_E10value_typeET4_jRbjT5_S1F_jjP12ihipStream_tbEUljE_ZNSN_ISO_Lb1ESR_SS_SU_SV_SZ_EES10_S11_S12_S13_S17_S18_S19_S1C_S1D_jS1E_jS1F_S1F_jjS1H_bEUljE0_EEES10_S11_S12_S19_S1D_S1F_T6_T7_T9_mT8_S1H_bDpT10_ENKUlT_T0_E_clISt17integral_constantIbLb0EES1U_IbLb1EEEEDaS1Q_S1R_EUlS1Q_E_NS1_11comp_targetILNS1_3genE2ELNS1_11target_archE906ELNS1_3gpuE6ELNS1_3repE0EEENS1_30default_config_static_selectorELNS0_4arch9wavefront6targetE1EEEvS13_
	.p2align	8
	.type	_ZN7rocprim17ROCPRIM_400000_NS6detail17trampoline_kernelINS0_13select_configILj256ELj13ELNS0_17block_load_methodE3ELS4_3ELS4_3ELNS0_20block_scan_algorithmE0ELj4294967295EEENS1_25partition_config_selectorILNS1_17partition_subalgoE4EjNS0_10empty_typeEbEEZZNS1_14partition_implILS8_4ELb0ES6_15HIP_vector_typeIjLj2EENS0_17counting_iteratorIjlEEPS9_SG_NS0_5tupleIJPjSI_NS0_16reverse_iteratorISI_EEEEENSH_IJSG_SG_SG_EEES9_SI_JZNS1_25segmented_radix_sort_implINS0_14default_configELb1EPK6__halfPSP_PKlPlN2at6native12_GLOBAL__N_18offset_tEEE10hipError_tPvRmT1_PNSt15iterator_traitsIS13_E10value_typeET2_T3_PNS14_IS19_E10value_typeET4_jRbjT5_S1F_jjP12ihipStream_tbEUljE_ZNSN_ISO_Lb1ESR_SS_SU_SV_SZ_EES10_S11_S12_S13_S17_S18_S19_S1C_S1D_jS1E_jS1F_S1F_jjS1H_bEUljE0_EEES10_S11_S12_S19_S1D_S1F_T6_T7_T9_mT8_S1H_bDpT10_ENKUlT_T0_E_clISt17integral_constantIbLb0EES1U_IbLb1EEEEDaS1Q_S1R_EUlS1Q_E_NS1_11comp_targetILNS1_3genE2ELNS1_11target_archE906ELNS1_3gpuE6ELNS1_3repE0EEENS1_30default_config_static_selectorELNS0_4arch9wavefront6targetE1EEEvS13_,@function
_ZN7rocprim17ROCPRIM_400000_NS6detail17trampoline_kernelINS0_13select_configILj256ELj13ELNS0_17block_load_methodE3ELS4_3ELS4_3ELNS0_20block_scan_algorithmE0ELj4294967295EEENS1_25partition_config_selectorILNS1_17partition_subalgoE4EjNS0_10empty_typeEbEEZZNS1_14partition_implILS8_4ELb0ES6_15HIP_vector_typeIjLj2EENS0_17counting_iteratorIjlEEPS9_SG_NS0_5tupleIJPjSI_NS0_16reverse_iteratorISI_EEEEENSH_IJSG_SG_SG_EEES9_SI_JZNS1_25segmented_radix_sort_implINS0_14default_configELb1EPK6__halfPSP_PKlPlN2at6native12_GLOBAL__N_18offset_tEEE10hipError_tPvRmT1_PNSt15iterator_traitsIS13_E10value_typeET2_T3_PNS14_IS19_E10value_typeET4_jRbjT5_S1F_jjP12ihipStream_tbEUljE_ZNSN_ISO_Lb1ESR_SS_SU_SV_SZ_EES10_S11_S12_S13_S17_S18_S19_S1C_S1D_jS1E_jS1F_S1F_jjS1H_bEUljE0_EEES10_S11_S12_S19_S1D_S1F_T6_T7_T9_mT8_S1H_bDpT10_ENKUlT_T0_E_clISt17integral_constantIbLb0EES1U_IbLb1EEEEDaS1Q_S1R_EUlS1Q_E_NS1_11comp_targetILNS1_3genE2ELNS1_11target_archE906ELNS1_3gpuE6ELNS1_3repE0EEENS1_30default_config_static_selectorELNS0_4arch9wavefront6targetE1EEEvS13_: ; @_ZN7rocprim17ROCPRIM_400000_NS6detail17trampoline_kernelINS0_13select_configILj256ELj13ELNS0_17block_load_methodE3ELS4_3ELS4_3ELNS0_20block_scan_algorithmE0ELj4294967295EEENS1_25partition_config_selectorILNS1_17partition_subalgoE4EjNS0_10empty_typeEbEEZZNS1_14partition_implILS8_4ELb0ES6_15HIP_vector_typeIjLj2EENS0_17counting_iteratorIjlEEPS9_SG_NS0_5tupleIJPjSI_NS0_16reverse_iteratorISI_EEEEENSH_IJSG_SG_SG_EEES9_SI_JZNS1_25segmented_radix_sort_implINS0_14default_configELb1EPK6__halfPSP_PKlPlN2at6native12_GLOBAL__N_18offset_tEEE10hipError_tPvRmT1_PNSt15iterator_traitsIS13_E10value_typeET2_T3_PNS14_IS19_E10value_typeET4_jRbjT5_S1F_jjP12ihipStream_tbEUljE_ZNSN_ISO_Lb1ESR_SS_SU_SV_SZ_EES10_S11_S12_S13_S17_S18_S19_S1C_S1D_jS1E_jS1F_S1F_jjS1H_bEUljE0_EEES10_S11_S12_S19_S1D_S1F_T6_T7_T9_mT8_S1H_bDpT10_ENKUlT_T0_E_clISt17integral_constantIbLb0EES1U_IbLb1EEEEDaS1Q_S1R_EUlS1Q_E_NS1_11comp_targetILNS1_3genE2ELNS1_11target_archE906ELNS1_3gpuE6ELNS1_3repE0EEENS1_30default_config_static_selectorELNS0_4arch9wavefront6targetE1EEEvS13_
; %bb.0:
	.section	.rodata,"a",@progbits
	.p2align	6, 0x0
	.amdhsa_kernel _ZN7rocprim17ROCPRIM_400000_NS6detail17trampoline_kernelINS0_13select_configILj256ELj13ELNS0_17block_load_methodE3ELS4_3ELS4_3ELNS0_20block_scan_algorithmE0ELj4294967295EEENS1_25partition_config_selectorILNS1_17partition_subalgoE4EjNS0_10empty_typeEbEEZZNS1_14partition_implILS8_4ELb0ES6_15HIP_vector_typeIjLj2EENS0_17counting_iteratorIjlEEPS9_SG_NS0_5tupleIJPjSI_NS0_16reverse_iteratorISI_EEEEENSH_IJSG_SG_SG_EEES9_SI_JZNS1_25segmented_radix_sort_implINS0_14default_configELb1EPK6__halfPSP_PKlPlN2at6native12_GLOBAL__N_18offset_tEEE10hipError_tPvRmT1_PNSt15iterator_traitsIS13_E10value_typeET2_T3_PNS14_IS19_E10value_typeET4_jRbjT5_S1F_jjP12ihipStream_tbEUljE_ZNSN_ISO_Lb1ESR_SS_SU_SV_SZ_EES10_S11_S12_S13_S17_S18_S19_S1C_S1D_jS1E_jS1F_S1F_jjS1H_bEUljE0_EEES10_S11_S12_S19_S1D_S1F_T6_T7_T9_mT8_S1H_bDpT10_ENKUlT_T0_E_clISt17integral_constantIbLb0EES1U_IbLb1EEEEDaS1Q_S1R_EUlS1Q_E_NS1_11comp_targetILNS1_3genE2ELNS1_11target_archE906ELNS1_3gpuE6ELNS1_3repE0EEENS1_30default_config_static_selectorELNS0_4arch9wavefront6targetE1EEEvS13_
		.amdhsa_group_segment_fixed_size 0
		.amdhsa_private_segment_fixed_size 0
		.amdhsa_kernarg_size 184
		.amdhsa_user_sgpr_count 6
		.amdhsa_user_sgpr_private_segment_buffer 1
		.amdhsa_user_sgpr_dispatch_ptr 0
		.amdhsa_user_sgpr_queue_ptr 0
		.amdhsa_user_sgpr_kernarg_segment_ptr 1
		.amdhsa_user_sgpr_dispatch_id 0
		.amdhsa_user_sgpr_flat_scratch_init 0
		.amdhsa_user_sgpr_kernarg_preload_length 0
		.amdhsa_user_sgpr_kernarg_preload_offset 0
		.amdhsa_user_sgpr_private_segment_size 0
		.amdhsa_uses_dynamic_stack 0
		.amdhsa_system_sgpr_private_segment_wavefront_offset 0
		.amdhsa_system_sgpr_workgroup_id_x 1
		.amdhsa_system_sgpr_workgroup_id_y 0
		.amdhsa_system_sgpr_workgroup_id_z 0
		.amdhsa_system_sgpr_workgroup_info 0
		.amdhsa_system_vgpr_workitem_id 0
		.amdhsa_next_free_vgpr 1
		.amdhsa_next_free_sgpr 0
		.amdhsa_accum_offset 4
		.amdhsa_reserve_vcc 0
		.amdhsa_reserve_flat_scratch 0
		.amdhsa_float_round_mode_32 0
		.amdhsa_float_round_mode_16_64 0
		.amdhsa_float_denorm_mode_32 3
		.amdhsa_float_denorm_mode_16_64 3
		.amdhsa_dx10_clamp 1
		.amdhsa_ieee_mode 1
		.amdhsa_fp16_overflow 0
		.amdhsa_tg_split 0
		.amdhsa_exception_fp_ieee_invalid_op 0
		.amdhsa_exception_fp_denorm_src 0
		.amdhsa_exception_fp_ieee_div_zero 0
		.amdhsa_exception_fp_ieee_overflow 0
		.amdhsa_exception_fp_ieee_underflow 0
		.amdhsa_exception_fp_ieee_inexact 0
		.amdhsa_exception_int_div_zero 0
	.end_amdhsa_kernel
	.section	.text._ZN7rocprim17ROCPRIM_400000_NS6detail17trampoline_kernelINS0_13select_configILj256ELj13ELNS0_17block_load_methodE3ELS4_3ELS4_3ELNS0_20block_scan_algorithmE0ELj4294967295EEENS1_25partition_config_selectorILNS1_17partition_subalgoE4EjNS0_10empty_typeEbEEZZNS1_14partition_implILS8_4ELb0ES6_15HIP_vector_typeIjLj2EENS0_17counting_iteratorIjlEEPS9_SG_NS0_5tupleIJPjSI_NS0_16reverse_iteratorISI_EEEEENSH_IJSG_SG_SG_EEES9_SI_JZNS1_25segmented_radix_sort_implINS0_14default_configELb1EPK6__halfPSP_PKlPlN2at6native12_GLOBAL__N_18offset_tEEE10hipError_tPvRmT1_PNSt15iterator_traitsIS13_E10value_typeET2_T3_PNS14_IS19_E10value_typeET4_jRbjT5_S1F_jjP12ihipStream_tbEUljE_ZNSN_ISO_Lb1ESR_SS_SU_SV_SZ_EES10_S11_S12_S13_S17_S18_S19_S1C_S1D_jS1E_jS1F_S1F_jjS1H_bEUljE0_EEES10_S11_S12_S19_S1D_S1F_T6_T7_T9_mT8_S1H_bDpT10_ENKUlT_T0_E_clISt17integral_constantIbLb0EES1U_IbLb1EEEEDaS1Q_S1R_EUlS1Q_E_NS1_11comp_targetILNS1_3genE2ELNS1_11target_archE906ELNS1_3gpuE6ELNS1_3repE0EEENS1_30default_config_static_selectorELNS0_4arch9wavefront6targetE1EEEvS13_,"axG",@progbits,_ZN7rocprim17ROCPRIM_400000_NS6detail17trampoline_kernelINS0_13select_configILj256ELj13ELNS0_17block_load_methodE3ELS4_3ELS4_3ELNS0_20block_scan_algorithmE0ELj4294967295EEENS1_25partition_config_selectorILNS1_17partition_subalgoE4EjNS0_10empty_typeEbEEZZNS1_14partition_implILS8_4ELb0ES6_15HIP_vector_typeIjLj2EENS0_17counting_iteratorIjlEEPS9_SG_NS0_5tupleIJPjSI_NS0_16reverse_iteratorISI_EEEEENSH_IJSG_SG_SG_EEES9_SI_JZNS1_25segmented_radix_sort_implINS0_14default_configELb1EPK6__halfPSP_PKlPlN2at6native12_GLOBAL__N_18offset_tEEE10hipError_tPvRmT1_PNSt15iterator_traitsIS13_E10value_typeET2_T3_PNS14_IS19_E10value_typeET4_jRbjT5_S1F_jjP12ihipStream_tbEUljE_ZNSN_ISO_Lb1ESR_SS_SU_SV_SZ_EES10_S11_S12_S13_S17_S18_S19_S1C_S1D_jS1E_jS1F_S1F_jjS1H_bEUljE0_EEES10_S11_S12_S19_S1D_S1F_T6_T7_T9_mT8_S1H_bDpT10_ENKUlT_T0_E_clISt17integral_constantIbLb0EES1U_IbLb1EEEEDaS1Q_S1R_EUlS1Q_E_NS1_11comp_targetILNS1_3genE2ELNS1_11target_archE906ELNS1_3gpuE6ELNS1_3repE0EEENS1_30default_config_static_selectorELNS0_4arch9wavefront6targetE1EEEvS13_,comdat
.Lfunc_end1701:
	.size	_ZN7rocprim17ROCPRIM_400000_NS6detail17trampoline_kernelINS0_13select_configILj256ELj13ELNS0_17block_load_methodE3ELS4_3ELS4_3ELNS0_20block_scan_algorithmE0ELj4294967295EEENS1_25partition_config_selectorILNS1_17partition_subalgoE4EjNS0_10empty_typeEbEEZZNS1_14partition_implILS8_4ELb0ES6_15HIP_vector_typeIjLj2EENS0_17counting_iteratorIjlEEPS9_SG_NS0_5tupleIJPjSI_NS0_16reverse_iteratorISI_EEEEENSH_IJSG_SG_SG_EEES9_SI_JZNS1_25segmented_radix_sort_implINS0_14default_configELb1EPK6__halfPSP_PKlPlN2at6native12_GLOBAL__N_18offset_tEEE10hipError_tPvRmT1_PNSt15iterator_traitsIS13_E10value_typeET2_T3_PNS14_IS19_E10value_typeET4_jRbjT5_S1F_jjP12ihipStream_tbEUljE_ZNSN_ISO_Lb1ESR_SS_SU_SV_SZ_EES10_S11_S12_S13_S17_S18_S19_S1C_S1D_jS1E_jS1F_S1F_jjS1H_bEUljE0_EEES10_S11_S12_S19_S1D_S1F_T6_T7_T9_mT8_S1H_bDpT10_ENKUlT_T0_E_clISt17integral_constantIbLb0EES1U_IbLb1EEEEDaS1Q_S1R_EUlS1Q_E_NS1_11comp_targetILNS1_3genE2ELNS1_11target_archE906ELNS1_3gpuE6ELNS1_3repE0EEENS1_30default_config_static_selectorELNS0_4arch9wavefront6targetE1EEEvS13_, .Lfunc_end1701-_ZN7rocprim17ROCPRIM_400000_NS6detail17trampoline_kernelINS0_13select_configILj256ELj13ELNS0_17block_load_methodE3ELS4_3ELS4_3ELNS0_20block_scan_algorithmE0ELj4294967295EEENS1_25partition_config_selectorILNS1_17partition_subalgoE4EjNS0_10empty_typeEbEEZZNS1_14partition_implILS8_4ELb0ES6_15HIP_vector_typeIjLj2EENS0_17counting_iteratorIjlEEPS9_SG_NS0_5tupleIJPjSI_NS0_16reverse_iteratorISI_EEEEENSH_IJSG_SG_SG_EEES9_SI_JZNS1_25segmented_radix_sort_implINS0_14default_configELb1EPK6__halfPSP_PKlPlN2at6native12_GLOBAL__N_18offset_tEEE10hipError_tPvRmT1_PNSt15iterator_traitsIS13_E10value_typeET2_T3_PNS14_IS19_E10value_typeET4_jRbjT5_S1F_jjP12ihipStream_tbEUljE_ZNSN_ISO_Lb1ESR_SS_SU_SV_SZ_EES10_S11_S12_S13_S17_S18_S19_S1C_S1D_jS1E_jS1F_S1F_jjS1H_bEUljE0_EEES10_S11_S12_S19_S1D_S1F_T6_T7_T9_mT8_S1H_bDpT10_ENKUlT_T0_E_clISt17integral_constantIbLb0EES1U_IbLb1EEEEDaS1Q_S1R_EUlS1Q_E_NS1_11comp_targetILNS1_3genE2ELNS1_11target_archE906ELNS1_3gpuE6ELNS1_3repE0EEENS1_30default_config_static_selectorELNS0_4arch9wavefront6targetE1EEEvS13_
                                        ; -- End function
	.section	.AMDGPU.csdata,"",@progbits
; Kernel info:
; codeLenInByte = 0
; NumSgprs: 4
; NumVgprs: 0
; NumAgprs: 0
; TotalNumVgprs: 0
; ScratchSize: 0
; MemoryBound: 0
; FloatMode: 240
; IeeeMode: 1
; LDSByteSize: 0 bytes/workgroup (compile time only)
; SGPRBlocks: 0
; VGPRBlocks: 0
; NumSGPRsForWavesPerEU: 4
; NumVGPRsForWavesPerEU: 1
; AccumOffset: 4
; Occupancy: 8
; WaveLimiterHint : 0
; COMPUTE_PGM_RSRC2:SCRATCH_EN: 0
; COMPUTE_PGM_RSRC2:USER_SGPR: 6
; COMPUTE_PGM_RSRC2:TRAP_HANDLER: 0
; COMPUTE_PGM_RSRC2:TGID_X_EN: 1
; COMPUTE_PGM_RSRC2:TGID_Y_EN: 0
; COMPUTE_PGM_RSRC2:TGID_Z_EN: 0
; COMPUTE_PGM_RSRC2:TIDIG_COMP_CNT: 0
; COMPUTE_PGM_RSRC3_GFX90A:ACCUM_OFFSET: 0
; COMPUTE_PGM_RSRC3_GFX90A:TG_SPLIT: 0
	.section	.text._ZN7rocprim17ROCPRIM_400000_NS6detail17trampoline_kernelINS0_13select_configILj256ELj13ELNS0_17block_load_methodE3ELS4_3ELS4_3ELNS0_20block_scan_algorithmE0ELj4294967295EEENS1_25partition_config_selectorILNS1_17partition_subalgoE4EjNS0_10empty_typeEbEEZZNS1_14partition_implILS8_4ELb0ES6_15HIP_vector_typeIjLj2EENS0_17counting_iteratorIjlEEPS9_SG_NS0_5tupleIJPjSI_NS0_16reverse_iteratorISI_EEEEENSH_IJSG_SG_SG_EEES9_SI_JZNS1_25segmented_radix_sort_implINS0_14default_configELb1EPK6__halfPSP_PKlPlN2at6native12_GLOBAL__N_18offset_tEEE10hipError_tPvRmT1_PNSt15iterator_traitsIS13_E10value_typeET2_T3_PNS14_IS19_E10value_typeET4_jRbjT5_S1F_jjP12ihipStream_tbEUljE_ZNSN_ISO_Lb1ESR_SS_SU_SV_SZ_EES10_S11_S12_S13_S17_S18_S19_S1C_S1D_jS1E_jS1F_S1F_jjS1H_bEUljE0_EEES10_S11_S12_S19_S1D_S1F_T6_T7_T9_mT8_S1H_bDpT10_ENKUlT_T0_E_clISt17integral_constantIbLb0EES1U_IbLb1EEEEDaS1Q_S1R_EUlS1Q_E_NS1_11comp_targetILNS1_3genE10ELNS1_11target_archE1200ELNS1_3gpuE4ELNS1_3repE0EEENS1_30default_config_static_selectorELNS0_4arch9wavefront6targetE1EEEvS13_,"axG",@progbits,_ZN7rocprim17ROCPRIM_400000_NS6detail17trampoline_kernelINS0_13select_configILj256ELj13ELNS0_17block_load_methodE3ELS4_3ELS4_3ELNS0_20block_scan_algorithmE0ELj4294967295EEENS1_25partition_config_selectorILNS1_17partition_subalgoE4EjNS0_10empty_typeEbEEZZNS1_14partition_implILS8_4ELb0ES6_15HIP_vector_typeIjLj2EENS0_17counting_iteratorIjlEEPS9_SG_NS0_5tupleIJPjSI_NS0_16reverse_iteratorISI_EEEEENSH_IJSG_SG_SG_EEES9_SI_JZNS1_25segmented_radix_sort_implINS0_14default_configELb1EPK6__halfPSP_PKlPlN2at6native12_GLOBAL__N_18offset_tEEE10hipError_tPvRmT1_PNSt15iterator_traitsIS13_E10value_typeET2_T3_PNS14_IS19_E10value_typeET4_jRbjT5_S1F_jjP12ihipStream_tbEUljE_ZNSN_ISO_Lb1ESR_SS_SU_SV_SZ_EES10_S11_S12_S13_S17_S18_S19_S1C_S1D_jS1E_jS1F_S1F_jjS1H_bEUljE0_EEES10_S11_S12_S19_S1D_S1F_T6_T7_T9_mT8_S1H_bDpT10_ENKUlT_T0_E_clISt17integral_constantIbLb0EES1U_IbLb1EEEEDaS1Q_S1R_EUlS1Q_E_NS1_11comp_targetILNS1_3genE10ELNS1_11target_archE1200ELNS1_3gpuE4ELNS1_3repE0EEENS1_30default_config_static_selectorELNS0_4arch9wavefront6targetE1EEEvS13_,comdat
	.globl	_ZN7rocprim17ROCPRIM_400000_NS6detail17trampoline_kernelINS0_13select_configILj256ELj13ELNS0_17block_load_methodE3ELS4_3ELS4_3ELNS0_20block_scan_algorithmE0ELj4294967295EEENS1_25partition_config_selectorILNS1_17partition_subalgoE4EjNS0_10empty_typeEbEEZZNS1_14partition_implILS8_4ELb0ES6_15HIP_vector_typeIjLj2EENS0_17counting_iteratorIjlEEPS9_SG_NS0_5tupleIJPjSI_NS0_16reverse_iteratorISI_EEEEENSH_IJSG_SG_SG_EEES9_SI_JZNS1_25segmented_radix_sort_implINS0_14default_configELb1EPK6__halfPSP_PKlPlN2at6native12_GLOBAL__N_18offset_tEEE10hipError_tPvRmT1_PNSt15iterator_traitsIS13_E10value_typeET2_T3_PNS14_IS19_E10value_typeET4_jRbjT5_S1F_jjP12ihipStream_tbEUljE_ZNSN_ISO_Lb1ESR_SS_SU_SV_SZ_EES10_S11_S12_S13_S17_S18_S19_S1C_S1D_jS1E_jS1F_S1F_jjS1H_bEUljE0_EEES10_S11_S12_S19_S1D_S1F_T6_T7_T9_mT8_S1H_bDpT10_ENKUlT_T0_E_clISt17integral_constantIbLb0EES1U_IbLb1EEEEDaS1Q_S1R_EUlS1Q_E_NS1_11comp_targetILNS1_3genE10ELNS1_11target_archE1200ELNS1_3gpuE4ELNS1_3repE0EEENS1_30default_config_static_selectorELNS0_4arch9wavefront6targetE1EEEvS13_ ; -- Begin function _ZN7rocprim17ROCPRIM_400000_NS6detail17trampoline_kernelINS0_13select_configILj256ELj13ELNS0_17block_load_methodE3ELS4_3ELS4_3ELNS0_20block_scan_algorithmE0ELj4294967295EEENS1_25partition_config_selectorILNS1_17partition_subalgoE4EjNS0_10empty_typeEbEEZZNS1_14partition_implILS8_4ELb0ES6_15HIP_vector_typeIjLj2EENS0_17counting_iteratorIjlEEPS9_SG_NS0_5tupleIJPjSI_NS0_16reverse_iteratorISI_EEEEENSH_IJSG_SG_SG_EEES9_SI_JZNS1_25segmented_radix_sort_implINS0_14default_configELb1EPK6__halfPSP_PKlPlN2at6native12_GLOBAL__N_18offset_tEEE10hipError_tPvRmT1_PNSt15iterator_traitsIS13_E10value_typeET2_T3_PNS14_IS19_E10value_typeET4_jRbjT5_S1F_jjP12ihipStream_tbEUljE_ZNSN_ISO_Lb1ESR_SS_SU_SV_SZ_EES10_S11_S12_S13_S17_S18_S19_S1C_S1D_jS1E_jS1F_S1F_jjS1H_bEUljE0_EEES10_S11_S12_S19_S1D_S1F_T6_T7_T9_mT8_S1H_bDpT10_ENKUlT_T0_E_clISt17integral_constantIbLb0EES1U_IbLb1EEEEDaS1Q_S1R_EUlS1Q_E_NS1_11comp_targetILNS1_3genE10ELNS1_11target_archE1200ELNS1_3gpuE4ELNS1_3repE0EEENS1_30default_config_static_selectorELNS0_4arch9wavefront6targetE1EEEvS13_
	.p2align	8
	.type	_ZN7rocprim17ROCPRIM_400000_NS6detail17trampoline_kernelINS0_13select_configILj256ELj13ELNS0_17block_load_methodE3ELS4_3ELS4_3ELNS0_20block_scan_algorithmE0ELj4294967295EEENS1_25partition_config_selectorILNS1_17partition_subalgoE4EjNS0_10empty_typeEbEEZZNS1_14partition_implILS8_4ELb0ES6_15HIP_vector_typeIjLj2EENS0_17counting_iteratorIjlEEPS9_SG_NS0_5tupleIJPjSI_NS0_16reverse_iteratorISI_EEEEENSH_IJSG_SG_SG_EEES9_SI_JZNS1_25segmented_radix_sort_implINS0_14default_configELb1EPK6__halfPSP_PKlPlN2at6native12_GLOBAL__N_18offset_tEEE10hipError_tPvRmT1_PNSt15iterator_traitsIS13_E10value_typeET2_T3_PNS14_IS19_E10value_typeET4_jRbjT5_S1F_jjP12ihipStream_tbEUljE_ZNSN_ISO_Lb1ESR_SS_SU_SV_SZ_EES10_S11_S12_S13_S17_S18_S19_S1C_S1D_jS1E_jS1F_S1F_jjS1H_bEUljE0_EEES10_S11_S12_S19_S1D_S1F_T6_T7_T9_mT8_S1H_bDpT10_ENKUlT_T0_E_clISt17integral_constantIbLb0EES1U_IbLb1EEEEDaS1Q_S1R_EUlS1Q_E_NS1_11comp_targetILNS1_3genE10ELNS1_11target_archE1200ELNS1_3gpuE4ELNS1_3repE0EEENS1_30default_config_static_selectorELNS0_4arch9wavefront6targetE1EEEvS13_,@function
_ZN7rocprim17ROCPRIM_400000_NS6detail17trampoline_kernelINS0_13select_configILj256ELj13ELNS0_17block_load_methodE3ELS4_3ELS4_3ELNS0_20block_scan_algorithmE0ELj4294967295EEENS1_25partition_config_selectorILNS1_17partition_subalgoE4EjNS0_10empty_typeEbEEZZNS1_14partition_implILS8_4ELb0ES6_15HIP_vector_typeIjLj2EENS0_17counting_iteratorIjlEEPS9_SG_NS0_5tupleIJPjSI_NS0_16reverse_iteratorISI_EEEEENSH_IJSG_SG_SG_EEES9_SI_JZNS1_25segmented_radix_sort_implINS0_14default_configELb1EPK6__halfPSP_PKlPlN2at6native12_GLOBAL__N_18offset_tEEE10hipError_tPvRmT1_PNSt15iterator_traitsIS13_E10value_typeET2_T3_PNS14_IS19_E10value_typeET4_jRbjT5_S1F_jjP12ihipStream_tbEUljE_ZNSN_ISO_Lb1ESR_SS_SU_SV_SZ_EES10_S11_S12_S13_S17_S18_S19_S1C_S1D_jS1E_jS1F_S1F_jjS1H_bEUljE0_EEES10_S11_S12_S19_S1D_S1F_T6_T7_T9_mT8_S1H_bDpT10_ENKUlT_T0_E_clISt17integral_constantIbLb0EES1U_IbLb1EEEEDaS1Q_S1R_EUlS1Q_E_NS1_11comp_targetILNS1_3genE10ELNS1_11target_archE1200ELNS1_3gpuE4ELNS1_3repE0EEENS1_30default_config_static_selectorELNS0_4arch9wavefront6targetE1EEEvS13_: ; @_ZN7rocprim17ROCPRIM_400000_NS6detail17trampoline_kernelINS0_13select_configILj256ELj13ELNS0_17block_load_methodE3ELS4_3ELS4_3ELNS0_20block_scan_algorithmE0ELj4294967295EEENS1_25partition_config_selectorILNS1_17partition_subalgoE4EjNS0_10empty_typeEbEEZZNS1_14partition_implILS8_4ELb0ES6_15HIP_vector_typeIjLj2EENS0_17counting_iteratorIjlEEPS9_SG_NS0_5tupleIJPjSI_NS0_16reverse_iteratorISI_EEEEENSH_IJSG_SG_SG_EEES9_SI_JZNS1_25segmented_radix_sort_implINS0_14default_configELb1EPK6__halfPSP_PKlPlN2at6native12_GLOBAL__N_18offset_tEEE10hipError_tPvRmT1_PNSt15iterator_traitsIS13_E10value_typeET2_T3_PNS14_IS19_E10value_typeET4_jRbjT5_S1F_jjP12ihipStream_tbEUljE_ZNSN_ISO_Lb1ESR_SS_SU_SV_SZ_EES10_S11_S12_S13_S17_S18_S19_S1C_S1D_jS1E_jS1F_S1F_jjS1H_bEUljE0_EEES10_S11_S12_S19_S1D_S1F_T6_T7_T9_mT8_S1H_bDpT10_ENKUlT_T0_E_clISt17integral_constantIbLb0EES1U_IbLb1EEEEDaS1Q_S1R_EUlS1Q_E_NS1_11comp_targetILNS1_3genE10ELNS1_11target_archE1200ELNS1_3gpuE4ELNS1_3repE0EEENS1_30default_config_static_selectorELNS0_4arch9wavefront6targetE1EEEvS13_
; %bb.0:
	.section	.rodata,"a",@progbits
	.p2align	6, 0x0
	.amdhsa_kernel _ZN7rocprim17ROCPRIM_400000_NS6detail17trampoline_kernelINS0_13select_configILj256ELj13ELNS0_17block_load_methodE3ELS4_3ELS4_3ELNS0_20block_scan_algorithmE0ELj4294967295EEENS1_25partition_config_selectorILNS1_17partition_subalgoE4EjNS0_10empty_typeEbEEZZNS1_14partition_implILS8_4ELb0ES6_15HIP_vector_typeIjLj2EENS0_17counting_iteratorIjlEEPS9_SG_NS0_5tupleIJPjSI_NS0_16reverse_iteratorISI_EEEEENSH_IJSG_SG_SG_EEES9_SI_JZNS1_25segmented_radix_sort_implINS0_14default_configELb1EPK6__halfPSP_PKlPlN2at6native12_GLOBAL__N_18offset_tEEE10hipError_tPvRmT1_PNSt15iterator_traitsIS13_E10value_typeET2_T3_PNS14_IS19_E10value_typeET4_jRbjT5_S1F_jjP12ihipStream_tbEUljE_ZNSN_ISO_Lb1ESR_SS_SU_SV_SZ_EES10_S11_S12_S13_S17_S18_S19_S1C_S1D_jS1E_jS1F_S1F_jjS1H_bEUljE0_EEES10_S11_S12_S19_S1D_S1F_T6_T7_T9_mT8_S1H_bDpT10_ENKUlT_T0_E_clISt17integral_constantIbLb0EES1U_IbLb1EEEEDaS1Q_S1R_EUlS1Q_E_NS1_11comp_targetILNS1_3genE10ELNS1_11target_archE1200ELNS1_3gpuE4ELNS1_3repE0EEENS1_30default_config_static_selectorELNS0_4arch9wavefront6targetE1EEEvS13_
		.amdhsa_group_segment_fixed_size 0
		.amdhsa_private_segment_fixed_size 0
		.amdhsa_kernarg_size 184
		.amdhsa_user_sgpr_count 6
		.amdhsa_user_sgpr_private_segment_buffer 1
		.amdhsa_user_sgpr_dispatch_ptr 0
		.amdhsa_user_sgpr_queue_ptr 0
		.amdhsa_user_sgpr_kernarg_segment_ptr 1
		.amdhsa_user_sgpr_dispatch_id 0
		.amdhsa_user_sgpr_flat_scratch_init 0
		.amdhsa_user_sgpr_kernarg_preload_length 0
		.amdhsa_user_sgpr_kernarg_preload_offset 0
		.amdhsa_user_sgpr_private_segment_size 0
		.amdhsa_uses_dynamic_stack 0
		.amdhsa_system_sgpr_private_segment_wavefront_offset 0
		.amdhsa_system_sgpr_workgroup_id_x 1
		.amdhsa_system_sgpr_workgroup_id_y 0
		.amdhsa_system_sgpr_workgroup_id_z 0
		.amdhsa_system_sgpr_workgroup_info 0
		.amdhsa_system_vgpr_workitem_id 0
		.amdhsa_next_free_vgpr 1
		.amdhsa_next_free_sgpr 0
		.amdhsa_accum_offset 4
		.amdhsa_reserve_vcc 0
		.amdhsa_reserve_flat_scratch 0
		.amdhsa_float_round_mode_32 0
		.amdhsa_float_round_mode_16_64 0
		.amdhsa_float_denorm_mode_32 3
		.amdhsa_float_denorm_mode_16_64 3
		.amdhsa_dx10_clamp 1
		.amdhsa_ieee_mode 1
		.amdhsa_fp16_overflow 0
		.amdhsa_tg_split 0
		.amdhsa_exception_fp_ieee_invalid_op 0
		.amdhsa_exception_fp_denorm_src 0
		.amdhsa_exception_fp_ieee_div_zero 0
		.amdhsa_exception_fp_ieee_overflow 0
		.amdhsa_exception_fp_ieee_underflow 0
		.amdhsa_exception_fp_ieee_inexact 0
		.amdhsa_exception_int_div_zero 0
	.end_amdhsa_kernel
	.section	.text._ZN7rocprim17ROCPRIM_400000_NS6detail17trampoline_kernelINS0_13select_configILj256ELj13ELNS0_17block_load_methodE3ELS4_3ELS4_3ELNS0_20block_scan_algorithmE0ELj4294967295EEENS1_25partition_config_selectorILNS1_17partition_subalgoE4EjNS0_10empty_typeEbEEZZNS1_14partition_implILS8_4ELb0ES6_15HIP_vector_typeIjLj2EENS0_17counting_iteratorIjlEEPS9_SG_NS0_5tupleIJPjSI_NS0_16reverse_iteratorISI_EEEEENSH_IJSG_SG_SG_EEES9_SI_JZNS1_25segmented_radix_sort_implINS0_14default_configELb1EPK6__halfPSP_PKlPlN2at6native12_GLOBAL__N_18offset_tEEE10hipError_tPvRmT1_PNSt15iterator_traitsIS13_E10value_typeET2_T3_PNS14_IS19_E10value_typeET4_jRbjT5_S1F_jjP12ihipStream_tbEUljE_ZNSN_ISO_Lb1ESR_SS_SU_SV_SZ_EES10_S11_S12_S13_S17_S18_S19_S1C_S1D_jS1E_jS1F_S1F_jjS1H_bEUljE0_EEES10_S11_S12_S19_S1D_S1F_T6_T7_T9_mT8_S1H_bDpT10_ENKUlT_T0_E_clISt17integral_constantIbLb0EES1U_IbLb1EEEEDaS1Q_S1R_EUlS1Q_E_NS1_11comp_targetILNS1_3genE10ELNS1_11target_archE1200ELNS1_3gpuE4ELNS1_3repE0EEENS1_30default_config_static_selectorELNS0_4arch9wavefront6targetE1EEEvS13_,"axG",@progbits,_ZN7rocprim17ROCPRIM_400000_NS6detail17trampoline_kernelINS0_13select_configILj256ELj13ELNS0_17block_load_methodE3ELS4_3ELS4_3ELNS0_20block_scan_algorithmE0ELj4294967295EEENS1_25partition_config_selectorILNS1_17partition_subalgoE4EjNS0_10empty_typeEbEEZZNS1_14partition_implILS8_4ELb0ES6_15HIP_vector_typeIjLj2EENS0_17counting_iteratorIjlEEPS9_SG_NS0_5tupleIJPjSI_NS0_16reverse_iteratorISI_EEEEENSH_IJSG_SG_SG_EEES9_SI_JZNS1_25segmented_radix_sort_implINS0_14default_configELb1EPK6__halfPSP_PKlPlN2at6native12_GLOBAL__N_18offset_tEEE10hipError_tPvRmT1_PNSt15iterator_traitsIS13_E10value_typeET2_T3_PNS14_IS19_E10value_typeET4_jRbjT5_S1F_jjP12ihipStream_tbEUljE_ZNSN_ISO_Lb1ESR_SS_SU_SV_SZ_EES10_S11_S12_S13_S17_S18_S19_S1C_S1D_jS1E_jS1F_S1F_jjS1H_bEUljE0_EEES10_S11_S12_S19_S1D_S1F_T6_T7_T9_mT8_S1H_bDpT10_ENKUlT_T0_E_clISt17integral_constantIbLb0EES1U_IbLb1EEEEDaS1Q_S1R_EUlS1Q_E_NS1_11comp_targetILNS1_3genE10ELNS1_11target_archE1200ELNS1_3gpuE4ELNS1_3repE0EEENS1_30default_config_static_selectorELNS0_4arch9wavefront6targetE1EEEvS13_,comdat
.Lfunc_end1702:
	.size	_ZN7rocprim17ROCPRIM_400000_NS6detail17trampoline_kernelINS0_13select_configILj256ELj13ELNS0_17block_load_methodE3ELS4_3ELS4_3ELNS0_20block_scan_algorithmE0ELj4294967295EEENS1_25partition_config_selectorILNS1_17partition_subalgoE4EjNS0_10empty_typeEbEEZZNS1_14partition_implILS8_4ELb0ES6_15HIP_vector_typeIjLj2EENS0_17counting_iteratorIjlEEPS9_SG_NS0_5tupleIJPjSI_NS0_16reverse_iteratorISI_EEEEENSH_IJSG_SG_SG_EEES9_SI_JZNS1_25segmented_radix_sort_implINS0_14default_configELb1EPK6__halfPSP_PKlPlN2at6native12_GLOBAL__N_18offset_tEEE10hipError_tPvRmT1_PNSt15iterator_traitsIS13_E10value_typeET2_T3_PNS14_IS19_E10value_typeET4_jRbjT5_S1F_jjP12ihipStream_tbEUljE_ZNSN_ISO_Lb1ESR_SS_SU_SV_SZ_EES10_S11_S12_S13_S17_S18_S19_S1C_S1D_jS1E_jS1F_S1F_jjS1H_bEUljE0_EEES10_S11_S12_S19_S1D_S1F_T6_T7_T9_mT8_S1H_bDpT10_ENKUlT_T0_E_clISt17integral_constantIbLb0EES1U_IbLb1EEEEDaS1Q_S1R_EUlS1Q_E_NS1_11comp_targetILNS1_3genE10ELNS1_11target_archE1200ELNS1_3gpuE4ELNS1_3repE0EEENS1_30default_config_static_selectorELNS0_4arch9wavefront6targetE1EEEvS13_, .Lfunc_end1702-_ZN7rocprim17ROCPRIM_400000_NS6detail17trampoline_kernelINS0_13select_configILj256ELj13ELNS0_17block_load_methodE3ELS4_3ELS4_3ELNS0_20block_scan_algorithmE0ELj4294967295EEENS1_25partition_config_selectorILNS1_17partition_subalgoE4EjNS0_10empty_typeEbEEZZNS1_14partition_implILS8_4ELb0ES6_15HIP_vector_typeIjLj2EENS0_17counting_iteratorIjlEEPS9_SG_NS0_5tupleIJPjSI_NS0_16reverse_iteratorISI_EEEEENSH_IJSG_SG_SG_EEES9_SI_JZNS1_25segmented_radix_sort_implINS0_14default_configELb1EPK6__halfPSP_PKlPlN2at6native12_GLOBAL__N_18offset_tEEE10hipError_tPvRmT1_PNSt15iterator_traitsIS13_E10value_typeET2_T3_PNS14_IS19_E10value_typeET4_jRbjT5_S1F_jjP12ihipStream_tbEUljE_ZNSN_ISO_Lb1ESR_SS_SU_SV_SZ_EES10_S11_S12_S13_S17_S18_S19_S1C_S1D_jS1E_jS1F_S1F_jjS1H_bEUljE0_EEES10_S11_S12_S19_S1D_S1F_T6_T7_T9_mT8_S1H_bDpT10_ENKUlT_T0_E_clISt17integral_constantIbLb0EES1U_IbLb1EEEEDaS1Q_S1R_EUlS1Q_E_NS1_11comp_targetILNS1_3genE10ELNS1_11target_archE1200ELNS1_3gpuE4ELNS1_3repE0EEENS1_30default_config_static_selectorELNS0_4arch9wavefront6targetE1EEEvS13_
                                        ; -- End function
	.section	.AMDGPU.csdata,"",@progbits
; Kernel info:
; codeLenInByte = 0
; NumSgprs: 4
; NumVgprs: 0
; NumAgprs: 0
; TotalNumVgprs: 0
; ScratchSize: 0
; MemoryBound: 0
; FloatMode: 240
; IeeeMode: 1
; LDSByteSize: 0 bytes/workgroup (compile time only)
; SGPRBlocks: 0
; VGPRBlocks: 0
; NumSGPRsForWavesPerEU: 4
; NumVGPRsForWavesPerEU: 1
; AccumOffset: 4
; Occupancy: 8
; WaveLimiterHint : 0
; COMPUTE_PGM_RSRC2:SCRATCH_EN: 0
; COMPUTE_PGM_RSRC2:USER_SGPR: 6
; COMPUTE_PGM_RSRC2:TRAP_HANDLER: 0
; COMPUTE_PGM_RSRC2:TGID_X_EN: 1
; COMPUTE_PGM_RSRC2:TGID_Y_EN: 0
; COMPUTE_PGM_RSRC2:TGID_Z_EN: 0
; COMPUTE_PGM_RSRC2:TIDIG_COMP_CNT: 0
; COMPUTE_PGM_RSRC3_GFX90A:ACCUM_OFFSET: 0
; COMPUTE_PGM_RSRC3_GFX90A:TG_SPLIT: 0
	.section	.text._ZN7rocprim17ROCPRIM_400000_NS6detail17trampoline_kernelINS0_13select_configILj256ELj13ELNS0_17block_load_methodE3ELS4_3ELS4_3ELNS0_20block_scan_algorithmE0ELj4294967295EEENS1_25partition_config_selectorILNS1_17partition_subalgoE4EjNS0_10empty_typeEbEEZZNS1_14partition_implILS8_4ELb0ES6_15HIP_vector_typeIjLj2EENS0_17counting_iteratorIjlEEPS9_SG_NS0_5tupleIJPjSI_NS0_16reverse_iteratorISI_EEEEENSH_IJSG_SG_SG_EEES9_SI_JZNS1_25segmented_radix_sort_implINS0_14default_configELb1EPK6__halfPSP_PKlPlN2at6native12_GLOBAL__N_18offset_tEEE10hipError_tPvRmT1_PNSt15iterator_traitsIS13_E10value_typeET2_T3_PNS14_IS19_E10value_typeET4_jRbjT5_S1F_jjP12ihipStream_tbEUljE_ZNSN_ISO_Lb1ESR_SS_SU_SV_SZ_EES10_S11_S12_S13_S17_S18_S19_S1C_S1D_jS1E_jS1F_S1F_jjS1H_bEUljE0_EEES10_S11_S12_S19_S1D_S1F_T6_T7_T9_mT8_S1H_bDpT10_ENKUlT_T0_E_clISt17integral_constantIbLb0EES1U_IbLb1EEEEDaS1Q_S1R_EUlS1Q_E_NS1_11comp_targetILNS1_3genE9ELNS1_11target_archE1100ELNS1_3gpuE3ELNS1_3repE0EEENS1_30default_config_static_selectorELNS0_4arch9wavefront6targetE1EEEvS13_,"axG",@progbits,_ZN7rocprim17ROCPRIM_400000_NS6detail17trampoline_kernelINS0_13select_configILj256ELj13ELNS0_17block_load_methodE3ELS4_3ELS4_3ELNS0_20block_scan_algorithmE0ELj4294967295EEENS1_25partition_config_selectorILNS1_17partition_subalgoE4EjNS0_10empty_typeEbEEZZNS1_14partition_implILS8_4ELb0ES6_15HIP_vector_typeIjLj2EENS0_17counting_iteratorIjlEEPS9_SG_NS0_5tupleIJPjSI_NS0_16reverse_iteratorISI_EEEEENSH_IJSG_SG_SG_EEES9_SI_JZNS1_25segmented_radix_sort_implINS0_14default_configELb1EPK6__halfPSP_PKlPlN2at6native12_GLOBAL__N_18offset_tEEE10hipError_tPvRmT1_PNSt15iterator_traitsIS13_E10value_typeET2_T3_PNS14_IS19_E10value_typeET4_jRbjT5_S1F_jjP12ihipStream_tbEUljE_ZNSN_ISO_Lb1ESR_SS_SU_SV_SZ_EES10_S11_S12_S13_S17_S18_S19_S1C_S1D_jS1E_jS1F_S1F_jjS1H_bEUljE0_EEES10_S11_S12_S19_S1D_S1F_T6_T7_T9_mT8_S1H_bDpT10_ENKUlT_T0_E_clISt17integral_constantIbLb0EES1U_IbLb1EEEEDaS1Q_S1R_EUlS1Q_E_NS1_11comp_targetILNS1_3genE9ELNS1_11target_archE1100ELNS1_3gpuE3ELNS1_3repE0EEENS1_30default_config_static_selectorELNS0_4arch9wavefront6targetE1EEEvS13_,comdat
	.globl	_ZN7rocprim17ROCPRIM_400000_NS6detail17trampoline_kernelINS0_13select_configILj256ELj13ELNS0_17block_load_methodE3ELS4_3ELS4_3ELNS0_20block_scan_algorithmE0ELj4294967295EEENS1_25partition_config_selectorILNS1_17partition_subalgoE4EjNS0_10empty_typeEbEEZZNS1_14partition_implILS8_4ELb0ES6_15HIP_vector_typeIjLj2EENS0_17counting_iteratorIjlEEPS9_SG_NS0_5tupleIJPjSI_NS0_16reverse_iteratorISI_EEEEENSH_IJSG_SG_SG_EEES9_SI_JZNS1_25segmented_radix_sort_implINS0_14default_configELb1EPK6__halfPSP_PKlPlN2at6native12_GLOBAL__N_18offset_tEEE10hipError_tPvRmT1_PNSt15iterator_traitsIS13_E10value_typeET2_T3_PNS14_IS19_E10value_typeET4_jRbjT5_S1F_jjP12ihipStream_tbEUljE_ZNSN_ISO_Lb1ESR_SS_SU_SV_SZ_EES10_S11_S12_S13_S17_S18_S19_S1C_S1D_jS1E_jS1F_S1F_jjS1H_bEUljE0_EEES10_S11_S12_S19_S1D_S1F_T6_T7_T9_mT8_S1H_bDpT10_ENKUlT_T0_E_clISt17integral_constantIbLb0EES1U_IbLb1EEEEDaS1Q_S1R_EUlS1Q_E_NS1_11comp_targetILNS1_3genE9ELNS1_11target_archE1100ELNS1_3gpuE3ELNS1_3repE0EEENS1_30default_config_static_selectorELNS0_4arch9wavefront6targetE1EEEvS13_ ; -- Begin function _ZN7rocprim17ROCPRIM_400000_NS6detail17trampoline_kernelINS0_13select_configILj256ELj13ELNS0_17block_load_methodE3ELS4_3ELS4_3ELNS0_20block_scan_algorithmE0ELj4294967295EEENS1_25partition_config_selectorILNS1_17partition_subalgoE4EjNS0_10empty_typeEbEEZZNS1_14partition_implILS8_4ELb0ES6_15HIP_vector_typeIjLj2EENS0_17counting_iteratorIjlEEPS9_SG_NS0_5tupleIJPjSI_NS0_16reverse_iteratorISI_EEEEENSH_IJSG_SG_SG_EEES9_SI_JZNS1_25segmented_radix_sort_implINS0_14default_configELb1EPK6__halfPSP_PKlPlN2at6native12_GLOBAL__N_18offset_tEEE10hipError_tPvRmT1_PNSt15iterator_traitsIS13_E10value_typeET2_T3_PNS14_IS19_E10value_typeET4_jRbjT5_S1F_jjP12ihipStream_tbEUljE_ZNSN_ISO_Lb1ESR_SS_SU_SV_SZ_EES10_S11_S12_S13_S17_S18_S19_S1C_S1D_jS1E_jS1F_S1F_jjS1H_bEUljE0_EEES10_S11_S12_S19_S1D_S1F_T6_T7_T9_mT8_S1H_bDpT10_ENKUlT_T0_E_clISt17integral_constantIbLb0EES1U_IbLb1EEEEDaS1Q_S1R_EUlS1Q_E_NS1_11comp_targetILNS1_3genE9ELNS1_11target_archE1100ELNS1_3gpuE3ELNS1_3repE0EEENS1_30default_config_static_selectorELNS0_4arch9wavefront6targetE1EEEvS13_
	.p2align	8
	.type	_ZN7rocprim17ROCPRIM_400000_NS6detail17trampoline_kernelINS0_13select_configILj256ELj13ELNS0_17block_load_methodE3ELS4_3ELS4_3ELNS0_20block_scan_algorithmE0ELj4294967295EEENS1_25partition_config_selectorILNS1_17partition_subalgoE4EjNS0_10empty_typeEbEEZZNS1_14partition_implILS8_4ELb0ES6_15HIP_vector_typeIjLj2EENS0_17counting_iteratorIjlEEPS9_SG_NS0_5tupleIJPjSI_NS0_16reverse_iteratorISI_EEEEENSH_IJSG_SG_SG_EEES9_SI_JZNS1_25segmented_radix_sort_implINS0_14default_configELb1EPK6__halfPSP_PKlPlN2at6native12_GLOBAL__N_18offset_tEEE10hipError_tPvRmT1_PNSt15iterator_traitsIS13_E10value_typeET2_T3_PNS14_IS19_E10value_typeET4_jRbjT5_S1F_jjP12ihipStream_tbEUljE_ZNSN_ISO_Lb1ESR_SS_SU_SV_SZ_EES10_S11_S12_S13_S17_S18_S19_S1C_S1D_jS1E_jS1F_S1F_jjS1H_bEUljE0_EEES10_S11_S12_S19_S1D_S1F_T6_T7_T9_mT8_S1H_bDpT10_ENKUlT_T0_E_clISt17integral_constantIbLb0EES1U_IbLb1EEEEDaS1Q_S1R_EUlS1Q_E_NS1_11comp_targetILNS1_3genE9ELNS1_11target_archE1100ELNS1_3gpuE3ELNS1_3repE0EEENS1_30default_config_static_selectorELNS0_4arch9wavefront6targetE1EEEvS13_,@function
_ZN7rocprim17ROCPRIM_400000_NS6detail17trampoline_kernelINS0_13select_configILj256ELj13ELNS0_17block_load_methodE3ELS4_3ELS4_3ELNS0_20block_scan_algorithmE0ELj4294967295EEENS1_25partition_config_selectorILNS1_17partition_subalgoE4EjNS0_10empty_typeEbEEZZNS1_14partition_implILS8_4ELb0ES6_15HIP_vector_typeIjLj2EENS0_17counting_iteratorIjlEEPS9_SG_NS0_5tupleIJPjSI_NS0_16reverse_iteratorISI_EEEEENSH_IJSG_SG_SG_EEES9_SI_JZNS1_25segmented_radix_sort_implINS0_14default_configELb1EPK6__halfPSP_PKlPlN2at6native12_GLOBAL__N_18offset_tEEE10hipError_tPvRmT1_PNSt15iterator_traitsIS13_E10value_typeET2_T3_PNS14_IS19_E10value_typeET4_jRbjT5_S1F_jjP12ihipStream_tbEUljE_ZNSN_ISO_Lb1ESR_SS_SU_SV_SZ_EES10_S11_S12_S13_S17_S18_S19_S1C_S1D_jS1E_jS1F_S1F_jjS1H_bEUljE0_EEES10_S11_S12_S19_S1D_S1F_T6_T7_T9_mT8_S1H_bDpT10_ENKUlT_T0_E_clISt17integral_constantIbLb0EES1U_IbLb1EEEEDaS1Q_S1R_EUlS1Q_E_NS1_11comp_targetILNS1_3genE9ELNS1_11target_archE1100ELNS1_3gpuE3ELNS1_3repE0EEENS1_30default_config_static_selectorELNS0_4arch9wavefront6targetE1EEEvS13_: ; @_ZN7rocprim17ROCPRIM_400000_NS6detail17trampoline_kernelINS0_13select_configILj256ELj13ELNS0_17block_load_methodE3ELS4_3ELS4_3ELNS0_20block_scan_algorithmE0ELj4294967295EEENS1_25partition_config_selectorILNS1_17partition_subalgoE4EjNS0_10empty_typeEbEEZZNS1_14partition_implILS8_4ELb0ES6_15HIP_vector_typeIjLj2EENS0_17counting_iteratorIjlEEPS9_SG_NS0_5tupleIJPjSI_NS0_16reverse_iteratorISI_EEEEENSH_IJSG_SG_SG_EEES9_SI_JZNS1_25segmented_radix_sort_implINS0_14default_configELb1EPK6__halfPSP_PKlPlN2at6native12_GLOBAL__N_18offset_tEEE10hipError_tPvRmT1_PNSt15iterator_traitsIS13_E10value_typeET2_T3_PNS14_IS19_E10value_typeET4_jRbjT5_S1F_jjP12ihipStream_tbEUljE_ZNSN_ISO_Lb1ESR_SS_SU_SV_SZ_EES10_S11_S12_S13_S17_S18_S19_S1C_S1D_jS1E_jS1F_S1F_jjS1H_bEUljE0_EEES10_S11_S12_S19_S1D_S1F_T6_T7_T9_mT8_S1H_bDpT10_ENKUlT_T0_E_clISt17integral_constantIbLb0EES1U_IbLb1EEEEDaS1Q_S1R_EUlS1Q_E_NS1_11comp_targetILNS1_3genE9ELNS1_11target_archE1100ELNS1_3gpuE3ELNS1_3repE0EEENS1_30default_config_static_selectorELNS0_4arch9wavefront6targetE1EEEvS13_
; %bb.0:
	.section	.rodata,"a",@progbits
	.p2align	6, 0x0
	.amdhsa_kernel _ZN7rocprim17ROCPRIM_400000_NS6detail17trampoline_kernelINS0_13select_configILj256ELj13ELNS0_17block_load_methodE3ELS4_3ELS4_3ELNS0_20block_scan_algorithmE0ELj4294967295EEENS1_25partition_config_selectorILNS1_17partition_subalgoE4EjNS0_10empty_typeEbEEZZNS1_14partition_implILS8_4ELb0ES6_15HIP_vector_typeIjLj2EENS0_17counting_iteratorIjlEEPS9_SG_NS0_5tupleIJPjSI_NS0_16reverse_iteratorISI_EEEEENSH_IJSG_SG_SG_EEES9_SI_JZNS1_25segmented_radix_sort_implINS0_14default_configELb1EPK6__halfPSP_PKlPlN2at6native12_GLOBAL__N_18offset_tEEE10hipError_tPvRmT1_PNSt15iterator_traitsIS13_E10value_typeET2_T3_PNS14_IS19_E10value_typeET4_jRbjT5_S1F_jjP12ihipStream_tbEUljE_ZNSN_ISO_Lb1ESR_SS_SU_SV_SZ_EES10_S11_S12_S13_S17_S18_S19_S1C_S1D_jS1E_jS1F_S1F_jjS1H_bEUljE0_EEES10_S11_S12_S19_S1D_S1F_T6_T7_T9_mT8_S1H_bDpT10_ENKUlT_T0_E_clISt17integral_constantIbLb0EES1U_IbLb1EEEEDaS1Q_S1R_EUlS1Q_E_NS1_11comp_targetILNS1_3genE9ELNS1_11target_archE1100ELNS1_3gpuE3ELNS1_3repE0EEENS1_30default_config_static_selectorELNS0_4arch9wavefront6targetE1EEEvS13_
		.amdhsa_group_segment_fixed_size 0
		.amdhsa_private_segment_fixed_size 0
		.amdhsa_kernarg_size 184
		.amdhsa_user_sgpr_count 6
		.amdhsa_user_sgpr_private_segment_buffer 1
		.amdhsa_user_sgpr_dispatch_ptr 0
		.amdhsa_user_sgpr_queue_ptr 0
		.amdhsa_user_sgpr_kernarg_segment_ptr 1
		.amdhsa_user_sgpr_dispatch_id 0
		.amdhsa_user_sgpr_flat_scratch_init 0
		.amdhsa_user_sgpr_kernarg_preload_length 0
		.amdhsa_user_sgpr_kernarg_preload_offset 0
		.amdhsa_user_sgpr_private_segment_size 0
		.amdhsa_uses_dynamic_stack 0
		.amdhsa_system_sgpr_private_segment_wavefront_offset 0
		.amdhsa_system_sgpr_workgroup_id_x 1
		.amdhsa_system_sgpr_workgroup_id_y 0
		.amdhsa_system_sgpr_workgroup_id_z 0
		.amdhsa_system_sgpr_workgroup_info 0
		.amdhsa_system_vgpr_workitem_id 0
		.amdhsa_next_free_vgpr 1
		.amdhsa_next_free_sgpr 0
		.amdhsa_accum_offset 4
		.amdhsa_reserve_vcc 0
		.amdhsa_reserve_flat_scratch 0
		.amdhsa_float_round_mode_32 0
		.amdhsa_float_round_mode_16_64 0
		.amdhsa_float_denorm_mode_32 3
		.amdhsa_float_denorm_mode_16_64 3
		.amdhsa_dx10_clamp 1
		.amdhsa_ieee_mode 1
		.amdhsa_fp16_overflow 0
		.amdhsa_tg_split 0
		.amdhsa_exception_fp_ieee_invalid_op 0
		.amdhsa_exception_fp_denorm_src 0
		.amdhsa_exception_fp_ieee_div_zero 0
		.amdhsa_exception_fp_ieee_overflow 0
		.amdhsa_exception_fp_ieee_underflow 0
		.amdhsa_exception_fp_ieee_inexact 0
		.amdhsa_exception_int_div_zero 0
	.end_amdhsa_kernel
	.section	.text._ZN7rocprim17ROCPRIM_400000_NS6detail17trampoline_kernelINS0_13select_configILj256ELj13ELNS0_17block_load_methodE3ELS4_3ELS4_3ELNS0_20block_scan_algorithmE0ELj4294967295EEENS1_25partition_config_selectorILNS1_17partition_subalgoE4EjNS0_10empty_typeEbEEZZNS1_14partition_implILS8_4ELb0ES6_15HIP_vector_typeIjLj2EENS0_17counting_iteratorIjlEEPS9_SG_NS0_5tupleIJPjSI_NS0_16reverse_iteratorISI_EEEEENSH_IJSG_SG_SG_EEES9_SI_JZNS1_25segmented_radix_sort_implINS0_14default_configELb1EPK6__halfPSP_PKlPlN2at6native12_GLOBAL__N_18offset_tEEE10hipError_tPvRmT1_PNSt15iterator_traitsIS13_E10value_typeET2_T3_PNS14_IS19_E10value_typeET4_jRbjT5_S1F_jjP12ihipStream_tbEUljE_ZNSN_ISO_Lb1ESR_SS_SU_SV_SZ_EES10_S11_S12_S13_S17_S18_S19_S1C_S1D_jS1E_jS1F_S1F_jjS1H_bEUljE0_EEES10_S11_S12_S19_S1D_S1F_T6_T7_T9_mT8_S1H_bDpT10_ENKUlT_T0_E_clISt17integral_constantIbLb0EES1U_IbLb1EEEEDaS1Q_S1R_EUlS1Q_E_NS1_11comp_targetILNS1_3genE9ELNS1_11target_archE1100ELNS1_3gpuE3ELNS1_3repE0EEENS1_30default_config_static_selectorELNS0_4arch9wavefront6targetE1EEEvS13_,"axG",@progbits,_ZN7rocprim17ROCPRIM_400000_NS6detail17trampoline_kernelINS0_13select_configILj256ELj13ELNS0_17block_load_methodE3ELS4_3ELS4_3ELNS0_20block_scan_algorithmE0ELj4294967295EEENS1_25partition_config_selectorILNS1_17partition_subalgoE4EjNS0_10empty_typeEbEEZZNS1_14partition_implILS8_4ELb0ES6_15HIP_vector_typeIjLj2EENS0_17counting_iteratorIjlEEPS9_SG_NS0_5tupleIJPjSI_NS0_16reverse_iteratorISI_EEEEENSH_IJSG_SG_SG_EEES9_SI_JZNS1_25segmented_radix_sort_implINS0_14default_configELb1EPK6__halfPSP_PKlPlN2at6native12_GLOBAL__N_18offset_tEEE10hipError_tPvRmT1_PNSt15iterator_traitsIS13_E10value_typeET2_T3_PNS14_IS19_E10value_typeET4_jRbjT5_S1F_jjP12ihipStream_tbEUljE_ZNSN_ISO_Lb1ESR_SS_SU_SV_SZ_EES10_S11_S12_S13_S17_S18_S19_S1C_S1D_jS1E_jS1F_S1F_jjS1H_bEUljE0_EEES10_S11_S12_S19_S1D_S1F_T6_T7_T9_mT8_S1H_bDpT10_ENKUlT_T0_E_clISt17integral_constantIbLb0EES1U_IbLb1EEEEDaS1Q_S1R_EUlS1Q_E_NS1_11comp_targetILNS1_3genE9ELNS1_11target_archE1100ELNS1_3gpuE3ELNS1_3repE0EEENS1_30default_config_static_selectorELNS0_4arch9wavefront6targetE1EEEvS13_,comdat
.Lfunc_end1703:
	.size	_ZN7rocprim17ROCPRIM_400000_NS6detail17trampoline_kernelINS0_13select_configILj256ELj13ELNS0_17block_load_methodE3ELS4_3ELS4_3ELNS0_20block_scan_algorithmE0ELj4294967295EEENS1_25partition_config_selectorILNS1_17partition_subalgoE4EjNS0_10empty_typeEbEEZZNS1_14partition_implILS8_4ELb0ES6_15HIP_vector_typeIjLj2EENS0_17counting_iteratorIjlEEPS9_SG_NS0_5tupleIJPjSI_NS0_16reverse_iteratorISI_EEEEENSH_IJSG_SG_SG_EEES9_SI_JZNS1_25segmented_radix_sort_implINS0_14default_configELb1EPK6__halfPSP_PKlPlN2at6native12_GLOBAL__N_18offset_tEEE10hipError_tPvRmT1_PNSt15iterator_traitsIS13_E10value_typeET2_T3_PNS14_IS19_E10value_typeET4_jRbjT5_S1F_jjP12ihipStream_tbEUljE_ZNSN_ISO_Lb1ESR_SS_SU_SV_SZ_EES10_S11_S12_S13_S17_S18_S19_S1C_S1D_jS1E_jS1F_S1F_jjS1H_bEUljE0_EEES10_S11_S12_S19_S1D_S1F_T6_T7_T9_mT8_S1H_bDpT10_ENKUlT_T0_E_clISt17integral_constantIbLb0EES1U_IbLb1EEEEDaS1Q_S1R_EUlS1Q_E_NS1_11comp_targetILNS1_3genE9ELNS1_11target_archE1100ELNS1_3gpuE3ELNS1_3repE0EEENS1_30default_config_static_selectorELNS0_4arch9wavefront6targetE1EEEvS13_, .Lfunc_end1703-_ZN7rocprim17ROCPRIM_400000_NS6detail17trampoline_kernelINS0_13select_configILj256ELj13ELNS0_17block_load_methodE3ELS4_3ELS4_3ELNS0_20block_scan_algorithmE0ELj4294967295EEENS1_25partition_config_selectorILNS1_17partition_subalgoE4EjNS0_10empty_typeEbEEZZNS1_14partition_implILS8_4ELb0ES6_15HIP_vector_typeIjLj2EENS0_17counting_iteratorIjlEEPS9_SG_NS0_5tupleIJPjSI_NS0_16reverse_iteratorISI_EEEEENSH_IJSG_SG_SG_EEES9_SI_JZNS1_25segmented_radix_sort_implINS0_14default_configELb1EPK6__halfPSP_PKlPlN2at6native12_GLOBAL__N_18offset_tEEE10hipError_tPvRmT1_PNSt15iterator_traitsIS13_E10value_typeET2_T3_PNS14_IS19_E10value_typeET4_jRbjT5_S1F_jjP12ihipStream_tbEUljE_ZNSN_ISO_Lb1ESR_SS_SU_SV_SZ_EES10_S11_S12_S13_S17_S18_S19_S1C_S1D_jS1E_jS1F_S1F_jjS1H_bEUljE0_EEES10_S11_S12_S19_S1D_S1F_T6_T7_T9_mT8_S1H_bDpT10_ENKUlT_T0_E_clISt17integral_constantIbLb0EES1U_IbLb1EEEEDaS1Q_S1R_EUlS1Q_E_NS1_11comp_targetILNS1_3genE9ELNS1_11target_archE1100ELNS1_3gpuE3ELNS1_3repE0EEENS1_30default_config_static_selectorELNS0_4arch9wavefront6targetE1EEEvS13_
                                        ; -- End function
	.section	.AMDGPU.csdata,"",@progbits
; Kernel info:
; codeLenInByte = 0
; NumSgprs: 4
; NumVgprs: 0
; NumAgprs: 0
; TotalNumVgprs: 0
; ScratchSize: 0
; MemoryBound: 0
; FloatMode: 240
; IeeeMode: 1
; LDSByteSize: 0 bytes/workgroup (compile time only)
; SGPRBlocks: 0
; VGPRBlocks: 0
; NumSGPRsForWavesPerEU: 4
; NumVGPRsForWavesPerEU: 1
; AccumOffset: 4
; Occupancy: 8
; WaveLimiterHint : 0
; COMPUTE_PGM_RSRC2:SCRATCH_EN: 0
; COMPUTE_PGM_RSRC2:USER_SGPR: 6
; COMPUTE_PGM_RSRC2:TRAP_HANDLER: 0
; COMPUTE_PGM_RSRC2:TGID_X_EN: 1
; COMPUTE_PGM_RSRC2:TGID_Y_EN: 0
; COMPUTE_PGM_RSRC2:TGID_Z_EN: 0
; COMPUTE_PGM_RSRC2:TIDIG_COMP_CNT: 0
; COMPUTE_PGM_RSRC3_GFX90A:ACCUM_OFFSET: 0
; COMPUTE_PGM_RSRC3_GFX90A:TG_SPLIT: 0
	.section	.text._ZN7rocprim17ROCPRIM_400000_NS6detail17trampoline_kernelINS0_13select_configILj256ELj13ELNS0_17block_load_methodE3ELS4_3ELS4_3ELNS0_20block_scan_algorithmE0ELj4294967295EEENS1_25partition_config_selectorILNS1_17partition_subalgoE4EjNS0_10empty_typeEbEEZZNS1_14partition_implILS8_4ELb0ES6_15HIP_vector_typeIjLj2EENS0_17counting_iteratorIjlEEPS9_SG_NS0_5tupleIJPjSI_NS0_16reverse_iteratorISI_EEEEENSH_IJSG_SG_SG_EEES9_SI_JZNS1_25segmented_radix_sort_implINS0_14default_configELb1EPK6__halfPSP_PKlPlN2at6native12_GLOBAL__N_18offset_tEEE10hipError_tPvRmT1_PNSt15iterator_traitsIS13_E10value_typeET2_T3_PNS14_IS19_E10value_typeET4_jRbjT5_S1F_jjP12ihipStream_tbEUljE_ZNSN_ISO_Lb1ESR_SS_SU_SV_SZ_EES10_S11_S12_S13_S17_S18_S19_S1C_S1D_jS1E_jS1F_S1F_jjS1H_bEUljE0_EEES10_S11_S12_S19_S1D_S1F_T6_T7_T9_mT8_S1H_bDpT10_ENKUlT_T0_E_clISt17integral_constantIbLb0EES1U_IbLb1EEEEDaS1Q_S1R_EUlS1Q_E_NS1_11comp_targetILNS1_3genE8ELNS1_11target_archE1030ELNS1_3gpuE2ELNS1_3repE0EEENS1_30default_config_static_selectorELNS0_4arch9wavefront6targetE1EEEvS13_,"axG",@progbits,_ZN7rocprim17ROCPRIM_400000_NS6detail17trampoline_kernelINS0_13select_configILj256ELj13ELNS0_17block_load_methodE3ELS4_3ELS4_3ELNS0_20block_scan_algorithmE0ELj4294967295EEENS1_25partition_config_selectorILNS1_17partition_subalgoE4EjNS0_10empty_typeEbEEZZNS1_14partition_implILS8_4ELb0ES6_15HIP_vector_typeIjLj2EENS0_17counting_iteratorIjlEEPS9_SG_NS0_5tupleIJPjSI_NS0_16reverse_iteratorISI_EEEEENSH_IJSG_SG_SG_EEES9_SI_JZNS1_25segmented_radix_sort_implINS0_14default_configELb1EPK6__halfPSP_PKlPlN2at6native12_GLOBAL__N_18offset_tEEE10hipError_tPvRmT1_PNSt15iterator_traitsIS13_E10value_typeET2_T3_PNS14_IS19_E10value_typeET4_jRbjT5_S1F_jjP12ihipStream_tbEUljE_ZNSN_ISO_Lb1ESR_SS_SU_SV_SZ_EES10_S11_S12_S13_S17_S18_S19_S1C_S1D_jS1E_jS1F_S1F_jjS1H_bEUljE0_EEES10_S11_S12_S19_S1D_S1F_T6_T7_T9_mT8_S1H_bDpT10_ENKUlT_T0_E_clISt17integral_constantIbLb0EES1U_IbLb1EEEEDaS1Q_S1R_EUlS1Q_E_NS1_11comp_targetILNS1_3genE8ELNS1_11target_archE1030ELNS1_3gpuE2ELNS1_3repE0EEENS1_30default_config_static_selectorELNS0_4arch9wavefront6targetE1EEEvS13_,comdat
	.globl	_ZN7rocprim17ROCPRIM_400000_NS6detail17trampoline_kernelINS0_13select_configILj256ELj13ELNS0_17block_load_methodE3ELS4_3ELS4_3ELNS0_20block_scan_algorithmE0ELj4294967295EEENS1_25partition_config_selectorILNS1_17partition_subalgoE4EjNS0_10empty_typeEbEEZZNS1_14partition_implILS8_4ELb0ES6_15HIP_vector_typeIjLj2EENS0_17counting_iteratorIjlEEPS9_SG_NS0_5tupleIJPjSI_NS0_16reverse_iteratorISI_EEEEENSH_IJSG_SG_SG_EEES9_SI_JZNS1_25segmented_radix_sort_implINS0_14default_configELb1EPK6__halfPSP_PKlPlN2at6native12_GLOBAL__N_18offset_tEEE10hipError_tPvRmT1_PNSt15iterator_traitsIS13_E10value_typeET2_T3_PNS14_IS19_E10value_typeET4_jRbjT5_S1F_jjP12ihipStream_tbEUljE_ZNSN_ISO_Lb1ESR_SS_SU_SV_SZ_EES10_S11_S12_S13_S17_S18_S19_S1C_S1D_jS1E_jS1F_S1F_jjS1H_bEUljE0_EEES10_S11_S12_S19_S1D_S1F_T6_T7_T9_mT8_S1H_bDpT10_ENKUlT_T0_E_clISt17integral_constantIbLb0EES1U_IbLb1EEEEDaS1Q_S1R_EUlS1Q_E_NS1_11comp_targetILNS1_3genE8ELNS1_11target_archE1030ELNS1_3gpuE2ELNS1_3repE0EEENS1_30default_config_static_selectorELNS0_4arch9wavefront6targetE1EEEvS13_ ; -- Begin function _ZN7rocprim17ROCPRIM_400000_NS6detail17trampoline_kernelINS0_13select_configILj256ELj13ELNS0_17block_load_methodE3ELS4_3ELS4_3ELNS0_20block_scan_algorithmE0ELj4294967295EEENS1_25partition_config_selectorILNS1_17partition_subalgoE4EjNS0_10empty_typeEbEEZZNS1_14partition_implILS8_4ELb0ES6_15HIP_vector_typeIjLj2EENS0_17counting_iteratorIjlEEPS9_SG_NS0_5tupleIJPjSI_NS0_16reverse_iteratorISI_EEEEENSH_IJSG_SG_SG_EEES9_SI_JZNS1_25segmented_radix_sort_implINS0_14default_configELb1EPK6__halfPSP_PKlPlN2at6native12_GLOBAL__N_18offset_tEEE10hipError_tPvRmT1_PNSt15iterator_traitsIS13_E10value_typeET2_T3_PNS14_IS19_E10value_typeET4_jRbjT5_S1F_jjP12ihipStream_tbEUljE_ZNSN_ISO_Lb1ESR_SS_SU_SV_SZ_EES10_S11_S12_S13_S17_S18_S19_S1C_S1D_jS1E_jS1F_S1F_jjS1H_bEUljE0_EEES10_S11_S12_S19_S1D_S1F_T6_T7_T9_mT8_S1H_bDpT10_ENKUlT_T0_E_clISt17integral_constantIbLb0EES1U_IbLb1EEEEDaS1Q_S1R_EUlS1Q_E_NS1_11comp_targetILNS1_3genE8ELNS1_11target_archE1030ELNS1_3gpuE2ELNS1_3repE0EEENS1_30default_config_static_selectorELNS0_4arch9wavefront6targetE1EEEvS13_
	.p2align	8
	.type	_ZN7rocprim17ROCPRIM_400000_NS6detail17trampoline_kernelINS0_13select_configILj256ELj13ELNS0_17block_load_methodE3ELS4_3ELS4_3ELNS0_20block_scan_algorithmE0ELj4294967295EEENS1_25partition_config_selectorILNS1_17partition_subalgoE4EjNS0_10empty_typeEbEEZZNS1_14partition_implILS8_4ELb0ES6_15HIP_vector_typeIjLj2EENS0_17counting_iteratorIjlEEPS9_SG_NS0_5tupleIJPjSI_NS0_16reverse_iteratorISI_EEEEENSH_IJSG_SG_SG_EEES9_SI_JZNS1_25segmented_radix_sort_implINS0_14default_configELb1EPK6__halfPSP_PKlPlN2at6native12_GLOBAL__N_18offset_tEEE10hipError_tPvRmT1_PNSt15iterator_traitsIS13_E10value_typeET2_T3_PNS14_IS19_E10value_typeET4_jRbjT5_S1F_jjP12ihipStream_tbEUljE_ZNSN_ISO_Lb1ESR_SS_SU_SV_SZ_EES10_S11_S12_S13_S17_S18_S19_S1C_S1D_jS1E_jS1F_S1F_jjS1H_bEUljE0_EEES10_S11_S12_S19_S1D_S1F_T6_T7_T9_mT8_S1H_bDpT10_ENKUlT_T0_E_clISt17integral_constantIbLb0EES1U_IbLb1EEEEDaS1Q_S1R_EUlS1Q_E_NS1_11comp_targetILNS1_3genE8ELNS1_11target_archE1030ELNS1_3gpuE2ELNS1_3repE0EEENS1_30default_config_static_selectorELNS0_4arch9wavefront6targetE1EEEvS13_,@function
_ZN7rocprim17ROCPRIM_400000_NS6detail17trampoline_kernelINS0_13select_configILj256ELj13ELNS0_17block_load_methodE3ELS4_3ELS4_3ELNS0_20block_scan_algorithmE0ELj4294967295EEENS1_25partition_config_selectorILNS1_17partition_subalgoE4EjNS0_10empty_typeEbEEZZNS1_14partition_implILS8_4ELb0ES6_15HIP_vector_typeIjLj2EENS0_17counting_iteratorIjlEEPS9_SG_NS0_5tupleIJPjSI_NS0_16reverse_iteratorISI_EEEEENSH_IJSG_SG_SG_EEES9_SI_JZNS1_25segmented_radix_sort_implINS0_14default_configELb1EPK6__halfPSP_PKlPlN2at6native12_GLOBAL__N_18offset_tEEE10hipError_tPvRmT1_PNSt15iterator_traitsIS13_E10value_typeET2_T3_PNS14_IS19_E10value_typeET4_jRbjT5_S1F_jjP12ihipStream_tbEUljE_ZNSN_ISO_Lb1ESR_SS_SU_SV_SZ_EES10_S11_S12_S13_S17_S18_S19_S1C_S1D_jS1E_jS1F_S1F_jjS1H_bEUljE0_EEES10_S11_S12_S19_S1D_S1F_T6_T7_T9_mT8_S1H_bDpT10_ENKUlT_T0_E_clISt17integral_constantIbLb0EES1U_IbLb1EEEEDaS1Q_S1R_EUlS1Q_E_NS1_11comp_targetILNS1_3genE8ELNS1_11target_archE1030ELNS1_3gpuE2ELNS1_3repE0EEENS1_30default_config_static_selectorELNS0_4arch9wavefront6targetE1EEEvS13_: ; @_ZN7rocprim17ROCPRIM_400000_NS6detail17trampoline_kernelINS0_13select_configILj256ELj13ELNS0_17block_load_methodE3ELS4_3ELS4_3ELNS0_20block_scan_algorithmE0ELj4294967295EEENS1_25partition_config_selectorILNS1_17partition_subalgoE4EjNS0_10empty_typeEbEEZZNS1_14partition_implILS8_4ELb0ES6_15HIP_vector_typeIjLj2EENS0_17counting_iteratorIjlEEPS9_SG_NS0_5tupleIJPjSI_NS0_16reverse_iteratorISI_EEEEENSH_IJSG_SG_SG_EEES9_SI_JZNS1_25segmented_radix_sort_implINS0_14default_configELb1EPK6__halfPSP_PKlPlN2at6native12_GLOBAL__N_18offset_tEEE10hipError_tPvRmT1_PNSt15iterator_traitsIS13_E10value_typeET2_T3_PNS14_IS19_E10value_typeET4_jRbjT5_S1F_jjP12ihipStream_tbEUljE_ZNSN_ISO_Lb1ESR_SS_SU_SV_SZ_EES10_S11_S12_S13_S17_S18_S19_S1C_S1D_jS1E_jS1F_S1F_jjS1H_bEUljE0_EEES10_S11_S12_S19_S1D_S1F_T6_T7_T9_mT8_S1H_bDpT10_ENKUlT_T0_E_clISt17integral_constantIbLb0EES1U_IbLb1EEEEDaS1Q_S1R_EUlS1Q_E_NS1_11comp_targetILNS1_3genE8ELNS1_11target_archE1030ELNS1_3gpuE2ELNS1_3repE0EEENS1_30default_config_static_selectorELNS0_4arch9wavefront6targetE1EEEvS13_
; %bb.0:
	.section	.rodata,"a",@progbits
	.p2align	6, 0x0
	.amdhsa_kernel _ZN7rocprim17ROCPRIM_400000_NS6detail17trampoline_kernelINS0_13select_configILj256ELj13ELNS0_17block_load_methodE3ELS4_3ELS4_3ELNS0_20block_scan_algorithmE0ELj4294967295EEENS1_25partition_config_selectorILNS1_17partition_subalgoE4EjNS0_10empty_typeEbEEZZNS1_14partition_implILS8_4ELb0ES6_15HIP_vector_typeIjLj2EENS0_17counting_iteratorIjlEEPS9_SG_NS0_5tupleIJPjSI_NS0_16reverse_iteratorISI_EEEEENSH_IJSG_SG_SG_EEES9_SI_JZNS1_25segmented_radix_sort_implINS0_14default_configELb1EPK6__halfPSP_PKlPlN2at6native12_GLOBAL__N_18offset_tEEE10hipError_tPvRmT1_PNSt15iterator_traitsIS13_E10value_typeET2_T3_PNS14_IS19_E10value_typeET4_jRbjT5_S1F_jjP12ihipStream_tbEUljE_ZNSN_ISO_Lb1ESR_SS_SU_SV_SZ_EES10_S11_S12_S13_S17_S18_S19_S1C_S1D_jS1E_jS1F_S1F_jjS1H_bEUljE0_EEES10_S11_S12_S19_S1D_S1F_T6_T7_T9_mT8_S1H_bDpT10_ENKUlT_T0_E_clISt17integral_constantIbLb0EES1U_IbLb1EEEEDaS1Q_S1R_EUlS1Q_E_NS1_11comp_targetILNS1_3genE8ELNS1_11target_archE1030ELNS1_3gpuE2ELNS1_3repE0EEENS1_30default_config_static_selectorELNS0_4arch9wavefront6targetE1EEEvS13_
		.amdhsa_group_segment_fixed_size 0
		.amdhsa_private_segment_fixed_size 0
		.amdhsa_kernarg_size 184
		.amdhsa_user_sgpr_count 6
		.amdhsa_user_sgpr_private_segment_buffer 1
		.amdhsa_user_sgpr_dispatch_ptr 0
		.amdhsa_user_sgpr_queue_ptr 0
		.amdhsa_user_sgpr_kernarg_segment_ptr 1
		.amdhsa_user_sgpr_dispatch_id 0
		.amdhsa_user_sgpr_flat_scratch_init 0
		.amdhsa_user_sgpr_kernarg_preload_length 0
		.amdhsa_user_sgpr_kernarg_preload_offset 0
		.amdhsa_user_sgpr_private_segment_size 0
		.amdhsa_uses_dynamic_stack 0
		.amdhsa_system_sgpr_private_segment_wavefront_offset 0
		.amdhsa_system_sgpr_workgroup_id_x 1
		.amdhsa_system_sgpr_workgroup_id_y 0
		.amdhsa_system_sgpr_workgroup_id_z 0
		.amdhsa_system_sgpr_workgroup_info 0
		.amdhsa_system_vgpr_workitem_id 0
		.amdhsa_next_free_vgpr 1
		.amdhsa_next_free_sgpr 0
		.amdhsa_accum_offset 4
		.amdhsa_reserve_vcc 0
		.amdhsa_reserve_flat_scratch 0
		.amdhsa_float_round_mode_32 0
		.amdhsa_float_round_mode_16_64 0
		.amdhsa_float_denorm_mode_32 3
		.amdhsa_float_denorm_mode_16_64 3
		.amdhsa_dx10_clamp 1
		.amdhsa_ieee_mode 1
		.amdhsa_fp16_overflow 0
		.amdhsa_tg_split 0
		.amdhsa_exception_fp_ieee_invalid_op 0
		.amdhsa_exception_fp_denorm_src 0
		.amdhsa_exception_fp_ieee_div_zero 0
		.amdhsa_exception_fp_ieee_overflow 0
		.amdhsa_exception_fp_ieee_underflow 0
		.amdhsa_exception_fp_ieee_inexact 0
		.amdhsa_exception_int_div_zero 0
	.end_amdhsa_kernel
	.section	.text._ZN7rocprim17ROCPRIM_400000_NS6detail17trampoline_kernelINS0_13select_configILj256ELj13ELNS0_17block_load_methodE3ELS4_3ELS4_3ELNS0_20block_scan_algorithmE0ELj4294967295EEENS1_25partition_config_selectorILNS1_17partition_subalgoE4EjNS0_10empty_typeEbEEZZNS1_14partition_implILS8_4ELb0ES6_15HIP_vector_typeIjLj2EENS0_17counting_iteratorIjlEEPS9_SG_NS0_5tupleIJPjSI_NS0_16reverse_iteratorISI_EEEEENSH_IJSG_SG_SG_EEES9_SI_JZNS1_25segmented_radix_sort_implINS0_14default_configELb1EPK6__halfPSP_PKlPlN2at6native12_GLOBAL__N_18offset_tEEE10hipError_tPvRmT1_PNSt15iterator_traitsIS13_E10value_typeET2_T3_PNS14_IS19_E10value_typeET4_jRbjT5_S1F_jjP12ihipStream_tbEUljE_ZNSN_ISO_Lb1ESR_SS_SU_SV_SZ_EES10_S11_S12_S13_S17_S18_S19_S1C_S1D_jS1E_jS1F_S1F_jjS1H_bEUljE0_EEES10_S11_S12_S19_S1D_S1F_T6_T7_T9_mT8_S1H_bDpT10_ENKUlT_T0_E_clISt17integral_constantIbLb0EES1U_IbLb1EEEEDaS1Q_S1R_EUlS1Q_E_NS1_11comp_targetILNS1_3genE8ELNS1_11target_archE1030ELNS1_3gpuE2ELNS1_3repE0EEENS1_30default_config_static_selectorELNS0_4arch9wavefront6targetE1EEEvS13_,"axG",@progbits,_ZN7rocprim17ROCPRIM_400000_NS6detail17trampoline_kernelINS0_13select_configILj256ELj13ELNS0_17block_load_methodE3ELS4_3ELS4_3ELNS0_20block_scan_algorithmE0ELj4294967295EEENS1_25partition_config_selectorILNS1_17partition_subalgoE4EjNS0_10empty_typeEbEEZZNS1_14partition_implILS8_4ELb0ES6_15HIP_vector_typeIjLj2EENS0_17counting_iteratorIjlEEPS9_SG_NS0_5tupleIJPjSI_NS0_16reverse_iteratorISI_EEEEENSH_IJSG_SG_SG_EEES9_SI_JZNS1_25segmented_radix_sort_implINS0_14default_configELb1EPK6__halfPSP_PKlPlN2at6native12_GLOBAL__N_18offset_tEEE10hipError_tPvRmT1_PNSt15iterator_traitsIS13_E10value_typeET2_T3_PNS14_IS19_E10value_typeET4_jRbjT5_S1F_jjP12ihipStream_tbEUljE_ZNSN_ISO_Lb1ESR_SS_SU_SV_SZ_EES10_S11_S12_S13_S17_S18_S19_S1C_S1D_jS1E_jS1F_S1F_jjS1H_bEUljE0_EEES10_S11_S12_S19_S1D_S1F_T6_T7_T9_mT8_S1H_bDpT10_ENKUlT_T0_E_clISt17integral_constantIbLb0EES1U_IbLb1EEEEDaS1Q_S1R_EUlS1Q_E_NS1_11comp_targetILNS1_3genE8ELNS1_11target_archE1030ELNS1_3gpuE2ELNS1_3repE0EEENS1_30default_config_static_selectorELNS0_4arch9wavefront6targetE1EEEvS13_,comdat
.Lfunc_end1704:
	.size	_ZN7rocprim17ROCPRIM_400000_NS6detail17trampoline_kernelINS0_13select_configILj256ELj13ELNS0_17block_load_methodE3ELS4_3ELS4_3ELNS0_20block_scan_algorithmE0ELj4294967295EEENS1_25partition_config_selectorILNS1_17partition_subalgoE4EjNS0_10empty_typeEbEEZZNS1_14partition_implILS8_4ELb0ES6_15HIP_vector_typeIjLj2EENS0_17counting_iteratorIjlEEPS9_SG_NS0_5tupleIJPjSI_NS0_16reverse_iteratorISI_EEEEENSH_IJSG_SG_SG_EEES9_SI_JZNS1_25segmented_radix_sort_implINS0_14default_configELb1EPK6__halfPSP_PKlPlN2at6native12_GLOBAL__N_18offset_tEEE10hipError_tPvRmT1_PNSt15iterator_traitsIS13_E10value_typeET2_T3_PNS14_IS19_E10value_typeET4_jRbjT5_S1F_jjP12ihipStream_tbEUljE_ZNSN_ISO_Lb1ESR_SS_SU_SV_SZ_EES10_S11_S12_S13_S17_S18_S19_S1C_S1D_jS1E_jS1F_S1F_jjS1H_bEUljE0_EEES10_S11_S12_S19_S1D_S1F_T6_T7_T9_mT8_S1H_bDpT10_ENKUlT_T0_E_clISt17integral_constantIbLb0EES1U_IbLb1EEEEDaS1Q_S1R_EUlS1Q_E_NS1_11comp_targetILNS1_3genE8ELNS1_11target_archE1030ELNS1_3gpuE2ELNS1_3repE0EEENS1_30default_config_static_selectorELNS0_4arch9wavefront6targetE1EEEvS13_, .Lfunc_end1704-_ZN7rocprim17ROCPRIM_400000_NS6detail17trampoline_kernelINS0_13select_configILj256ELj13ELNS0_17block_load_methodE3ELS4_3ELS4_3ELNS0_20block_scan_algorithmE0ELj4294967295EEENS1_25partition_config_selectorILNS1_17partition_subalgoE4EjNS0_10empty_typeEbEEZZNS1_14partition_implILS8_4ELb0ES6_15HIP_vector_typeIjLj2EENS0_17counting_iteratorIjlEEPS9_SG_NS0_5tupleIJPjSI_NS0_16reverse_iteratorISI_EEEEENSH_IJSG_SG_SG_EEES9_SI_JZNS1_25segmented_radix_sort_implINS0_14default_configELb1EPK6__halfPSP_PKlPlN2at6native12_GLOBAL__N_18offset_tEEE10hipError_tPvRmT1_PNSt15iterator_traitsIS13_E10value_typeET2_T3_PNS14_IS19_E10value_typeET4_jRbjT5_S1F_jjP12ihipStream_tbEUljE_ZNSN_ISO_Lb1ESR_SS_SU_SV_SZ_EES10_S11_S12_S13_S17_S18_S19_S1C_S1D_jS1E_jS1F_S1F_jjS1H_bEUljE0_EEES10_S11_S12_S19_S1D_S1F_T6_T7_T9_mT8_S1H_bDpT10_ENKUlT_T0_E_clISt17integral_constantIbLb0EES1U_IbLb1EEEEDaS1Q_S1R_EUlS1Q_E_NS1_11comp_targetILNS1_3genE8ELNS1_11target_archE1030ELNS1_3gpuE2ELNS1_3repE0EEENS1_30default_config_static_selectorELNS0_4arch9wavefront6targetE1EEEvS13_
                                        ; -- End function
	.section	.AMDGPU.csdata,"",@progbits
; Kernel info:
; codeLenInByte = 0
; NumSgprs: 4
; NumVgprs: 0
; NumAgprs: 0
; TotalNumVgprs: 0
; ScratchSize: 0
; MemoryBound: 0
; FloatMode: 240
; IeeeMode: 1
; LDSByteSize: 0 bytes/workgroup (compile time only)
; SGPRBlocks: 0
; VGPRBlocks: 0
; NumSGPRsForWavesPerEU: 4
; NumVGPRsForWavesPerEU: 1
; AccumOffset: 4
; Occupancy: 8
; WaveLimiterHint : 0
; COMPUTE_PGM_RSRC2:SCRATCH_EN: 0
; COMPUTE_PGM_RSRC2:USER_SGPR: 6
; COMPUTE_PGM_RSRC2:TRAP_HANDLER: 0
; COMPUTE_PGM_RSRC2:TGID_X_EN: 1
; COMPUTE_PGM_RSRC2:TGID_Y_EN: 0
; COMPUTE_PGM_RSRC2:TGID_Z_EN: 0
; COMPUTE_PGM_RSRC2:TIDIG_COMP_CNT: 0
; COMPUTE_PGM_RSRC3_GFX90A:ACCUM_OFFSET: 0
; COMPUTE_PGM_RSRC3_GFX90A:TG_SPLIT: 0
	.section	.text._ZN7rocprim17ROCPRIM_400000_NS6detail17trampoline_kernelINS0_13select_configILj256ELj13ELNS0_17block_load_methodE3ELS4_3ELS4_3ELNS0_20block_scan_algorithmE0ELj4294967295EEENS1_25partition_config_selectorILNS1_17partition_subalgoE3EjNS0_10empty_typeEbEEZZNS1_14partition_implILS8_3ELb0ES6_jNS0_17counting_iteratorIjlEEPS9_SE_NS0_5tupleIJPjSE_EEENSF_IJSE_SE_EEES9_SG_JZNS1_25segmented_radix_sort_implINS0_14default_configELb1EPK6__halfPSL_PKlPlN2at6native12_GLOBAL__N_18offset_tEEE10hipError_tPvRmT1_PNSt15iterator_traitsISZ_E10value_typeET2_T3_PNS10_IS15_E10value_typeET4_jRbjT5_S1B_jjP12ihipStream_tbEUljE_EEESW_SX_SY_S15_S19_S1B_T6_T7_T9_mT8_S1D_bDpT10_ENKUlT_T0_E_clISt17integral_constantIbLb0EES1Q_EEDaS1L_S1M_EUlS1L_E_NS1_11comp_targetILNS1_3genE0ELNS1_11target_archE4294967295ELNS1_3gpuE0ELNS1_3repE0EEENS1_30default_config_static_selectorELNS0_4arch9wavefront6targetE1EEEvSZ_,"axG",@progbits,_ZN7rocprim17ROCPRIM_400000_NS6detail17trampoline_kernelINS0_13select_configILj256ELj13ELNS0_17block_load_methodE3ELS4_3ELS4_3ELNS0_20block_scan_algorithmE0ELj4294967295EEENS1_25partition_config_selectorILNS1_17partition_subalgoE3EjNS0_10empty_typeEbEEZZNS1_14partition_implILS8_3ELb0ES6_jNS0_17counting_iteratorIjlEEPS9_SE_NS0_5tupleIJPjSE_EEENSF_IJSE_SE_EEES9_SG_JZNS1_25segmented_radix_sort_implINS0_14default_configELb1EPK6__halfPSL_PKlPlN2at6native12_GLOBAL__N_18offset_tEEE10hipError_tPvRmT1_PNSt15iterator_traitsISZ_E10value_typeET2_T3_PNS10_IS15_E10value_typeET4_jRbjT5_S1B_jjP12ihipStream_tbEUljE_EEESW_SX_SY_S15_S19_S1B_T6_T7_T9_mT8_S1D_bDpT10_ENKUlT_T0_E_clISt17integral_constantIbLb0EES1Q_EEDaS1L_S1M_EUlS1L_E_NS1_11comp_targetILNS1_3genE0ELNS1_11target_archE4294967295ELNS1_3gpuE0ELNS1_3repE0EEENS1_30default_config_static_selectorELNS0_4arch9wavefront6targetE1EEEvSZ_,comdat
	.globl	_ZN7rocprim17ROCPRIM_400000_NS6detail17trampoline_kernelINS0_13select_configILj256ELj13ELNS0_17block_load_methodE3ELS4_3ELS4_3ELNS0_20block_scan_algorithmE0ELj4294967295EEENS1_25partition_config_selectorILNS1_17partition_subalgoE3EjNS0_10empty_typeEbEEZZNS1_14partition_implILS8_3ELb0ES6_jNS0_17counting_iteratorIjlEEPS9_SE_NS0_5tupleIJPjSE_EEENSF_IJSE_SE_EEES9_SG_JZNS1_25segmented_radix_sort_implINS0_14default_configELb1EPK6__halfPSL_PKlPlN2at6native12_GLOBAL__N_18offset_tEEE10hipError_tPvRmT1_PNSt15iterator_traitsISZ_E10value_typeET2_T3_PNS10_IS15_E10value_typeET4_jRbjT5_S1B_jjP12ihipStream_tbEUljE_EEESW_SX_SY_S15_S19_S1B_T6_T7_T9_mT8_S1D_bDpT10_ENKUlT_T0_E_clISt17integral_constantIbLb0EES1Q_EEDaS1L_S1M_EUlS1L_E_NS1_11comp_targetILNS1_3genE0ELNS1_11target_archE4294967295ELNS1_3gpuE0ELNS1_3repE0EEENS1_30default_config_static_selectorELNS0_4arch9wavefront6targetE1EEEvSZ_ ; -- Begin function _ZN7rocprim17ROCPRIM_400000_NS6detail17trampoline_kernelINS0_13select_configILj256ELj13ELNS0_17block_load_methodE3ELS4_3ELS4_3ELNS0_20block_scan_algorithmE0ELj4294967295EEENS1_25partition_config_selectorILNS1_17partition_subalgoE3EjNS0_10empty_typeEbEEZZNS1_14partition_implILS8_3ELb0ES6_jNS0_17counting_iteratorIjlEEPS9_SE_NS0_5tupleIJPjSE_EEENSF_IJSE_SE_EEES9_SG_JZNS1_25segmented_radix_sort_implINS0_14default_configELb1EPK6__halfPSL_PKlPlN2at6native12_GLOBAL__N_18offset_tEEE10hipError_tPvRmT1_PNSt15iterator_traitsISZ_E10value_typeET2_T3_PNS10_IS15_E10value_typeET4_jRbjT5_S1B_jjP12ihipStream_tbEUljE_EEESW_SX_SY_S15_S19_S1B_T6_T7_T9_mT8_S1D_bDpT10_ENKUlT_T0_E_clISt17integral_constantIbLb0EES1Q_EEDaS1L_S1M_EUlS1L_E_NS1_11comp_targetILNS1_3genE0ELNS1_11target_archE4294967295ELNS1_3gpuE0ELNS1_3repE0EEENS1_30default_config_static_selectorELNS0_4arch9wavefront6targetE1EEEvSZ_
	.p2align	8
	.type	_ZN7rocprim17ROCPRIM_400000_NS6detail17trampoline_kernelINS0_13select_configILj256ELj13ELNS0_17block_load_methodE3ELS4_3ELS4_3ELNS0_20block_scan_algorithmE0ELj4294967295EEENS1_25partition_config_selectorILNS1_17partition_subalgoE3EjNS0_10empty_typeEbEEZZNS1_14partition_implILS8_3ELb0ES6_jNS0_17counting_iteratorIjlEEPS9_SE_NS0_5tupleIJPjSE_EEENSF_IJSE_SE_EEES9_SG_JZNS1_25segmented_radix_sort_implINS0_14default_configELb1EPK6__halfPSL_PKlPlN2at6native12_GLOBAL__N_18offset_tEEE10hipError_tPvRmT1_PNSt15iterator_traitsISZ_E10value_typeET2_T3_PNS10_IS15_E10value_typeET4_jRbjT5_S1B_jjP12ihipStream_tbEUljE_EEESW_SX_SY_S15_S19_S1B_T6_T7_T9_mT8_S1D_bDpT10_ENKUlT_T0_E_clISt17integral_constantIbLb0EES1Q_EEDaS1L_S1M_EUlS1L_E_NS1_11comp_targetILNS1_3genE0ELNS1_11target_archE4294967295ELNS1_3gpuE0ELNS1_3repE0EEENS1_30default_config_static_selectorELNS0_4arch9wavefront6targetE1EEEvSZ_,@function
_ZN7rocprim17ROCPRIM_400000_NS6detail17trampoline_kernelINS0_13select_configILj256ELj13ELNS0_17block_load_methodE3ELS4_3ELS4_3ELNS0_20block_scan_algorithmE0ELj4294967295EEENS1_25partition_config_selectorILNS1_17partition_subalgoE3EjNS0_10empty_typeEbEEZZNS1_14partition_implILS8_3ELb0ES6_jNS0_17counting_iteratorIjlEEPS9_SE_NS0_5tupleIJPjSE_EEENSF_IJSE_SE_EEES9_SG_JZNS1_25segmented_radix_sort_implINS0_14default_configELb1EPK6__halfPSL_PKlPlN2at6native12_GLOBAL__N_18offset_tEEE10hipError_tPvRmT1_PNSt15iterator_traitsISZ_E10value_typeET2_T3_PNS10_IS15_E10value_typeET4_jRbjT5_S1B_jjP12ihipStream_tbEUljE_EEESW_SX_SY_S15_S19_S1B_T6_T7_T9_mT8_S1D_bDpT10_ENKUlT_T0_E_clISt17integral_constantIbLb0EES1Q_EEDaS1L_S1M_EUlS1L_E_NS1_11comp_targetILNS1_3genE0ELNS1_11target_archE4294967295ELNS1_3gpuE0ELNS1_3repE0EEENS1_30default_config_static_selectorELNS0_4arch9wavefront6targetE1EEEvSZ_: ; @_ZN7rocprim17ROCPRIM_400000_NS6detail17trampoline_kernelINS0_13select_configILj256ELj13ELNS0_17block_load_methodE3ELS4_3ELS4_3ELNS0_20block_scan_algorithmE0ELj4294967295EEENS1_25partition_config_selectorILNS1_17partition_subalgoE3EjNS0_10empty_typeEbEEZZNS1_14partition_implILS8_3ELb0ES6_jNS0_17counting_iteratorIjlEEPS9_SE_NS0_5tupleIJPjSE_EEENSF_IJSE_SE_EEES9_SG_JZNS1_25segmented_radix_sort_implINS0_14default_configELb1EPK6__halfPSL_PKlPlN2at6native12_GLOBAL__N_18offset_tEEE10hipError_tPvRmT1_PNSt15iterator_traitsISZ_E10value_typeET2_T3_PNS10_IS15_E10value_typeET4_jRbjT5_S1B_jjP12ihipStream_tbEUljE_EEESW_SX_SY_S15_S19_S1B_T6_T7_T9_mT8_S1D_bDpT10_ENKUlT_T0_E_clISt17integral_constantIbLb0EES1Q_EEDaS1L_S1M_EUlS1L_E_NS1_11comp_targetILNS1_3genE0ELNS1_11target_archE4294967295ELNS1_3gpuE0ELNS1_3repE0EEENS1_30default_config_static_selectorELNS0_4arch9wavefront6targetE1EEEvSZ_
; %bb.0:
	.section	.rodata,"a",@progbits
	.p2align	6, 0x0
	.amdhsa_kernel _ZN7rocprim17ROCPRIM_400000_NS6detail17trampoline_kernelINS0_13select_configILj256ELj13ELNS0_17block_load_methodE3ELS4_3ELS4_3ELNS0_20block_scan_algorithmE0ELj4294967295EEENS1_25partition_config_selectorILNS1_17partition_subalgoE3EjNS0_10empty_typeEbEEZZNS1_14partition_implILS8_3ELb0ES6_jNS0_17counting_iteratorIjlEEPS9_SE_NS0_5tupleIJPjSE_EEENSF_IJSE_SE_EEES9_SG_JZNS1_25segmented_radix_sort_implINS0_14default_configELb1EPK6__halfPSL_PKlPlN2at6native12_GLOBAL__N_18offset_tEEE10hipError_tPvRmT1_PNSt15iterator_traitsISZ_E10value_typeET2_T3_PNS10_IS15_E10value_typeET4_jRbjT5_S1B_jjP12ihipStream_tbEUljE_EEESW_SX_SY_S15_S19_S1B_T6_T7_T9_mT8_S1D_bDpT10_ENKUlT_T0_E_clISt17integral_constantIbLb0EES1Q_EEDaS1L_S1M_EUlS1L_E_NS1_11comp_targetILNS1_3genE0ELNS1_11target_archE4294967295ELNS1_3gpuE0ELNS1_3repE0EEENS1_30default_config_static_selectorELNS0_4arch9wavefront6targetE1EEEvSZ_
		.amdhsa_group_segment_fixed_size 0
		.amdhsa_private_segment_fixed_size 0
		.amdhsa_kernarg_size 144
		.amdhsa_user_sgpr_count 6
		.amdhsa_user_sgpr_private_segment_buffer 1
		.amdhsa_user_sgpr_dispatch_ptr 0
		.amdhsa_user_sgpr_queue_ptr 0
		.amdhsa_user_sgpr_kernarg_segment_ptr 1
		.amdhsa_user_sgpr_dispatch_id 0
		.amdhsa_user_sgpr_flat_scratch_init 0
		.amdhsa_user_sgpr_kernarg_preload_length 0
		.amdhsa_user_sgpr_kernarg_preload_offset 0
		.amdhsa_user_sgpr_private_segment_size 0
		.amdhsa_uses_dynamic_stack 0
		.amdhsa_system_sgpr_private_segment_wavefront_offset 0
		.amdhsa_system_sgpr_workgroup_id_x 1
		.amdhsa_system_sgpr_workgroup_id_y 0
		.amdhsa_system_sgpr_workgroup_id_z 0
		.amdhsa_system_sgpr_workgroup_info 0
		.amdhsa_system_vgpr_workitem_id 0
		.amdhsa_next_free_vgpr 1
		.amdhsa_next_free_sgpr 0
		.amdhsa_accum_offset 4
		.amdhsa_reserve_vcc 0
		.amdhsa_reserve_flat_scratch 0
		.amdhsa_float_round_mode_32 0
		.amdhsa_float_round_mode_16_64 0
		.amdhsa_float_denorm_mode_32 3
		.amdhsa_float_denorm_mode_16_64 3
		.amdhsa_dx10_clamp 1
		.amdhsa_ieee_mode 1
		.amdhsa_fp16_overflow 0
		.amdhsa_tg_split 0
		.amdhsa_exception_fp_ieee_invalid_op 0
		.amdhsa_exception_fp_denorm_src 0
		.amdhsa_exception_fp_ieee_div_zero 0
		.amdhsa_exception_fp_ieee_overflow 0
		.amdhsa_exception_fp_ieee_underflow 0
		.amdhsa_exception_fp_ieee_inexact 0
		.amdhsa_exception_int_div_zero 0
	.end_amdhsa_kernel
	.section	.text._ZN7rocprim17ROCPRIM_400000_NS6detail17trampoline_kernelINS0_13select_configILj256ELj13ELNS0_17block_load_methodE3ELS4_3ELS4_3ELNS0_20block_scan_algorithmE0ELj4294967295EEENS1_25partition_config_selectorILNS1_17partition_subalgoE3EjNS0_10empty_typeEbEEZZNS1_14partition_implILS8_3ELb0ES6_jNS0_17counting_iteratorIjlEEPS9_SE_NS0_5tupleIJPjSE_EEENSF_IJSE_SE_EEES9_SG_JZNS1_25segmented_radix_sort_implINS0_14default_configELb1EPK6__halfPSL_PKlPlN2at6native12_GLOBAL__N_18offset_tEEE10hipError_tPvRmT1_PNSt15iterator_traitsISZ_E10value_typeET2_T3_PNS10_IS15_E10value_typeET4_jRbjT5_S1B_jjP12ihipStream_tbEUljE_EEESW_SX_SY_S15_S19_S1B_T6_T7_T9_mT8_S1D_bDpT10_ENKUlT_T0_E_clISt17integral_constantIbLb0EES1Q_EEDaS1L_S1M_EUlS1L_E_NS1_11comp_targetILNS1_3genE0ELNS1_11target_archE4294967295ELNS1_3gpuE0ELNS1_3repE0EEENS1_30default_config_static_selectorELNS0_4arch9wavefront6targetE1EEEvSZ_,"axG",@progbits,_ZN7rocprim17ROCPRIM_400000_NS6detail17trampoline_kernelINS0_13select_configILj256ELj13ELNS0_17block_load_methodE3ELS4_3ELS4_3ELNS0_20block_scan_algorithmE0ELj4294967295EEENS1_25partition_config_selectorILNS1_17partition_subalgoE3EjNS0_10empty_typeEbEEZZNS1_14partition_implILS8_3ELb0ES6_jNS0_17counting_iteratorIjlEEPS9_SE_NS0_5tupleIJPjSE_EEENSF_IJSE_SE_EEES9_SG_JZNS1_25segmented_radix_sort_implINS0_14default_configELb1EPK6__halfPSL_PKlPlN2at6native12_GLOBAL__N_18offset_tEEE10hipError_tPvRmT1_PNSt15iterator_traitsISZ_E10value_typeET2_T3_PNS10_IS15_E10value_typeET4_jRbjT5_S1B_jjP12ihipStream_tbEUljE_EEESW_SX_SY_S15_S19_S1B_T6_T7_T9_mT8_S1D_bDpT10_ENKUlT_T0_E_clISt17integral_constantIbLb0EES1Q_EEDaS1L_S1M_EUlS1L_E_NS1_11comp_targetILNS1_3genE0ELNS1_11target_archE4294967295ELNS1_3gpuE0ELNS1_3repE0EEENS1_30default_config_static_selectorELNS0_4arch9wavefront6targetE1EEEvSZ_,comdat
.Lfunc_end1705:
	.size	_ZN7rocprim17ROCPRIM_400000_NS6detail17trampoline_kernelINS0_13select_configILj256ELj13ELNS0_17block_load_methodE3ELS4_3ELS4_3ELNS0_20block_scan_algorithmE0ELj4294967295EEENS1_25partition_config_selectorILNS1_17partition_subalgoE3EjNS0_10empty_typeEbEEZZNS1_14partition_implILS8_3ELb0ES6_jNS0_17counting_iteratorIjlEEPS9_SE_NS0_5tupleIJPjSE_EEENSF_IJSE_SE_EEES9_SG_JZNS1_25segmented_radix_sort_implINS0_14default_configELb1EPK6__halfPSL_PKlPlN2at6native12_GLOBAL__N_18offset_tEEE10hipError_tPvRmT1_PNSt15iterator_traitsISZ_E10value_typeET2_T3_PNS10_IS15_E10value_typeET4_jRbjT5_S1B_jjP12ihipStream_tbEUljE_EEESW_SX_SY_S15_S19_S1B_T6_T7_T9_mT8_S1D_bDpT10_ENKUlT_T0_E_clISt17integral_constantIbLb0EES1Q_EEDaS1L_S1M_EUlS1L_E_NS1_11comp_targetILNS1_3genE0ELNS1_11target_archE4294967295ELNS1_3gpuE0ELNS1_3repE0EEENS1_30default_config_static_selectorELNS0_4arch9wavefront6targetE1EEEvSZ_, .Lfunc_end1705-_ZN7rocprim17ROCPRIM_400000_NS6detail17trampoline_kernelINS0_13select_configILj256ELj13ELNS0_17block_load_methodE3ELS4_3ELS4_3ELNS0_20block_scan_algorithmE0ELj4294967295EEENS1_25partition_config_selectorILNS1_17partition_subalgoE3EjNS0_10empty_typeEbEEZZNS1_14partition_implILS8_3ELb0ES6_jNS0_17counting_iteratorIjlEEPS9_SE_NS0_5tupleIJPjSE_EEENSF_IJSE_SE_EEES9_SG_JZNS1_25segmented_radix_sort_implINS0_14default_configELb1EPK6__halfPSL_PKlPlN2at6native12_GLOBAL__N_18offset_tEEE10hipError_tPvRmT1_PNSt15iterator_traitsISZ_E10value_typeET2_T3_PNS10_IS15_E10value_typeET4_jRbjT5_S1B_jjP12ihipStream_tbEUljE_EEESW_SX_SY_S15_S19_S1B_T6_T7_T9_mT8_S1D_bDpT10_ENKUlT_T0_E_clISt17integral_constantIbLb0EES1Q_EEDaS1L_S1M_EUlS1L_E_NS1_11comp_targetILNS1_3genE0ELNS1_11target_archE4294967295ELNS1_3gpuE0ELNS1_3repE0EEENS1_30default_config_static_selectorELNS0_4arch9wavefront6targetE1EEEvSZ_
                                        ; -- End function
	.section	.AMDGPU.csdata,"",@progbits
; Kernel info:
; codeLenInByte = 0
; NumSgprs: 4
; NumVgprs: 0
; NumAgprs: 0
; TotalNumVgprs: 0
; ScratchSize: 0
; MemoryBound: 0
; FloatMode: 240
; IeeeMode: 1
; LDSByteSize: 0 bytes/workgroup (compile time only)
; SGPRBlocks: 0
; VGPRBlocks: 0
; NumSGPRsForWavesPerEU: 4
; NumVGPRsForWavesPerEU: 1
; AccumOffset: 4
; Occupancy: 8
; WaveLimiterHint : 0
; COMPUTE_PGM_RSRC2:SCRATCH_EN: 0
; COMPUTE_PGM_RSRC2:USER_SGPR: 6
; COMPUTE_PGM_RSRC2:TRAP_HANDLER: 0
; COMPUTE_PGM_RSRC2:TGID_X_EN: 1
; COMPUTE_PGM_RSRC2:TGID_Y_EN: 0
; COMPUTE_PGM_RSRC2:TGID_Z_EN: 0
; COMPUTE_PGM_RSRC2:TIDIG_COMP_CNT: 0
; COMPUTE_PGM_RSRC3_GFX90A:ACCUM_OFFSET: 0
; COMPUTE_PGM_RSRC3_GFX90A:TG_SPLIT: 0
	.section	.text._ZN7rocprim17ROCPRIM_400000_NS6detail17trampoline_kernelINS0_13select_configILj256ELj13ELNS0_17block_load_methodE3ELS4_3ELS4_3ELNS0_20block_scan_algorithmE0ELj4294967295EEENS1_25partition_config_selectorILNS1_17partition_subalgoE3EjNS0_10empty_typeEbEEZZNS1_14partition_implILS8_3ELb0ES6_jNS0_17counting_iteratorIjlEEPS9_SE_NS0_5tupleIJPjSE_EEENSF_IJSE_SE_EEES9_SG_JZNS1_25segmented_radix_sort_implINS0_14default_configELb1EPK6__halfPSL_PKlPlN2at6native12_GLOBAL__N_18offset_tEEE10hipError_tPvRmT1_PNSt15iterator_traitsISZ_E10value_typeET2_T3_PNS10_IS15_E10value_typeET4_jRbjT5_S1B_jjP12ihipStream_tbEUljE_EEESW_SX_SY_S15_S19_S1B_T6_T7_T9_mT8_S1D_bDpT10_ENKUlT_T0_E_clISt17integral_constantIbLb0EES1Q_EEDaS1L_S1M_EUlS1L_E_NS1_11comp_targetILNS1_3genE5ELNS1_11target_archE942ELNS1_3gpuE9ELNS1_3repE0EEENS1_30default_config_static_selectorELNS0_4arch9wavefront6targetE1EEEvSZ_,"axG",@progbits,_ZN7rocprim17ROCPRIM_400000_NS6detail17trampoline_kernelINS0_13select_configILj256ELj13ELNS0_17block_load_methodE3ELS4_3ELS4_3ELNS0_20block_scan_algorithmE0ELj4294967295EEENS1_25partition_config_selectorILNS1_17partition_subalgoE3EjNS0_10empty_typeEbEEZZNS1_14partition_implILS8_3ELb0ES6_jNS0_17counting_iteratorIjlEEPS9_SE_NS0_5tupleIJPjSE_EEENSF_IJSE_SE_EEES9_SG_JZNS1_25segmented_radix_sort_implINS0_14default_configELb1EPK6__halfPSL_PKlPlN2at6native12_GLOBAL__N_18offset_tEEE10hipError_tPvRmT1_PNSt15iterator_traitsISZ_E10value_typeET2_T3_PNS10_IS15_E10value_typeET4_jRbjT5_S1B_jjP12ihipStream_tbEUljE_EEESW_SX_SY_S15_S19_S1B_T6_T7_T9_mT8_S1D_bDpT10_ENKUlT_T0_E_clISt17integral_constantIbLb0EES1Q_EEDaS1L_S1M_EUlS1L_E_NS1_11comp_targetILNS1_3genE5ELNS1_11target_archE942ELNS1_3gpuE9ELNS1_3repE0EEENS1_30default_config_static_selectorELNS0_4arch9wavefront6targetE1EEEvSZ_,comdat
	.globl	_ZN7rocprim17ROCPRIM_400000_NS6detail17trampoline_kernelINS0_13select_configILj256ELj13ELNS0_17block_load_methodE3ELS4_3ELS4_3ELNS0_20block_scan_algorithmE0ELj4294967295EEENS1_25partition_config_selectorILNS1_17partition_subalgoE3EjNS0_10empty_typeEbEEZZNS1_14partition_implILS8_3ELb0ES6_jNS0_17counting_iteratorIjlEEPS9_SE_NS0_5tupleIJPjSE_EEENSF_IJSE_SE_EEES9_SG_JZNS1_25segmented_radix_sort_implINS0_14default_configELb1EPK6__halfPSL_PKlPlN2at6native12_GLOBAL__N_18offset_tEEE10hipError_tPvRmT1_PNSt15iterator_traitsISZ_E10value_typeET2_T3_PNS10_IS15_E10value_typeET4_jRbjT5_S1B_jjP12ihipStream_tbEUljE_EEESW_SX_SY_S15_S19_S1B_T6_T7_T9_mT8_S1D_bDpT10_ENKUlT_T0_E_clISt17integral_constantIbLb0EES1Q_EEDaS1L_S1M_EUlS1L_E_NS1_11comp_targetILNS1_3genE5ELNS1_11target_archE942ELNS1_3gpuE9ELNS1_3repE0EEENS1_30default_config_static_selectorELNS0_4arch9wavefront6targetE1EEEvSZ_ ; -- Begin function _ZN7rocprim17ROCPRIM_400000_NS6detail17trampoline_kernelINS0_13select_configILj256ELj13ELNS0_17block_load_methodE3ELS4_3ELS4_3ELNS0_20block_scan_algorithmE0ELj4294967295EEENS1_25partition_config_selectorILNS1_17partition_subalgoE3EjNS0_10empty_typeEbEEZZNS1_14partition_implILS8_3ELb0ES6_jNS0_17counting_iteratorIjlEEPS9_SE_NS0_5tupleIJPjSE_EEENSF_IJSE_SE_EEES9_SG_JZNS1_25segmented_radix_sort_implINS0_14default_configELb1EPK6__halfPSL_PKlPlN2at6native12_GLOBAL__N_18offset_tEEE10hipError_tPvRmT1_PNSt15iterator_traitsISZ_E10value_typeET2_T3_PNS10_IS15_E10value_typeET4_jRbjT5_S1B_jjP12ihipStream_tbEUljE_EEESW_SX_SY_S15_S19_S1B_T6_T7_T9_mT8_S1D_bDpT10_ENKUlT_T0_E_clISt17integral_constantIbLb0EES1Q_EEDaS1L_S1M_EUlS1L_E_NS1_11comp_targetILNS1_3genE5ELNS1_11target_archE942ELNS1_3gpuE9ELNS1_3repE0EEENS1_30default_config_static_selectorELNS0_4arch9wavefront6targetE1EEEvSZ_
	.p2align	8
	.type	_ZN7rocprim17ROCPRIM_400000_NS6detail17trampoline_kernelINS0_13select_configILj256ELj13ELNS0_17block_load_methodE3ELS4_3ELS4_3ELNS0_20block_scan_algorithmE0ELj4294967295EEENS1_25partition_config_selectorILNS1_17partition_subalgoE3EjNS0_10empty_typeEbEEZZNS1_14partition_implILS8_3ELb0ES6_jNS0_17counting_iteratorIjlEEPS9_SE_NS0_5tupleIJPjSE_EEENSF_IJSE_SE_EEES9_SG_JZNS1_25segmented_radix_sort_implINS0_14default_configELb1EPK6__halfPSL_PKlPlN2at6native12_GLOBAL__N_18offset_tEEE10hipError_tPvRmT1_PNSt15iterator_traitsISZ_E10value_typeET2_T3_PNS10_IS15_E10value_typeET4_jRbjT5_S1B_jjP12ihipStream_tbEUljE_EEESW_SX_SY_S15_S19_S1B_T6_T7_T9_mT8_S1D_bDpT10_ENKUlT_T0_E_clISt17integral_constantIbLb0EES1Q_EEDaS1L_S1M_EUlS1L_E_NS1_11comp_targetILNS1_3genE5ELNS1_11target_archE942ELNS1_3gpuE9ELNS1_3repE0EEENS1_30default_config_static_selectorELNS0_4arch9wavefront6targetE1EEEvSZ_,@function
_ZN7rocprim17ROCPRIM_400000_NS6detail17trampoline_kernelINS0_13select_configILj256ELj13ELNS0_17block_load_methodE3ELS4_3ELS4_3ELNS0_20block_scan_algorithmE0ELj4294967295EEENS1_25partition_config_selectorILNS1_17partition_subalgoE3EjNS0_10empty_typeEbEEZZNS1_14partition_implILS8_3ELb0ES6_jNS0_17counting_iteratorIjlEEPS9_SE_NS0_5tupleIJPjSE_EEENSF_IJSE_SE_EEES9_SG_JZNS1_25segmented_radix_sort_implINS0_14default_configELb1EPK6__halfPSL_PKlPlN2at6native12_GLOBAL__N_18offset_tEEE10hipError_tPvRmT1_PNSt15iterator_traitsISZ_E10value_typeET2_T3_PNS10_IS15_E10value_typeET4_jRbjT5_S1B_jjP12ihipStream_tbEUljE_EEESW_SX_SY_S15_S19_S1B_T6_T7_T9_mT8_S1D_bDpT10_ENKUlT_T0_E_clISt17integral_constantIbLb0EES1Q_EEDaS1L_S1M_EUlS1L_E_NS1_11comp_targetILNS1_3genE5ELNS1_11target_archE942ELNS1_3gpuE9ELNS1_3repE0EEENS1_30default_config_static_selectorELNS0_4arch9wavefront6targetE1EEEvSZ_: ; @_ZN7rocprim17ROCPRIM_400000_NS6detail17trampoline_kernelINS0_13select_configILj256ELj13ELNS0_17block_load_methodE3ELS4_3ELS4_3ELNS0_20block_scan_algorithmE0ELj4294967295EEENS1_25partition_config_selectorILNS1_17partition_subalgoE3EjNS0_10empty_typeEbEEZZNS1_14partition_implILS8_3ELb0ES6_jNS0_17counting_iteratorIjlEEPS9_SE_NS0_5tupleIJPjSE_EEENSF_IJSE_SE_EEES9_SG_JZNS1_25segmented_radix_sort_implINS0_14default_configELb1EPK6__halfPSL_PKlPlN2at6native12_GLOBAL__N_18offset_tEEE10hipError_tPvRmT1_PNSt15iterator_traitsISZ_E10value_typeET2_T3_PNS10_IS15_E10value_typeET4_jRbjT5_S1B_jjP12ihipStream_tbEUljE_EEESW_SX_SY_S15_S19_S1B_T6_T7_T9_mT8_S1D_bDpT10_ENKUlT_T0_E_clISt17integral_constantIbLb0EES1Q_EEDaS1L_S1M_EUlS1L_E_NS1_11comp_targetILNS1_3genE5ELNS1_11target_archE942ELNS1_3gpuE9ELNS1_3repE0EEENS1_30default_config_static_selectorELNS0_4arch9wavefront6targetE1EEEvSZ_
; %bb.0:
	.section	.rodata,"a",@progbits
	.p2align	6, 0x0
	.amdhsa_kernel _ZN7rocprim17ROCPRIM_400000_NS6detail17trampoline_kernelINS0_13select_configILj256ELj13ELNS0_17block_load_methodE3ELS4_3ELS4_3ELNS0_20block_scan_algorithmE0ELj4294967295EEENS1_25partition_config_selectorILNS1_17partition_subalgoE3EjNS0_10empty_typeEbEEZZNS1_14partition_implILS8_3ELb0ES6_jNS0_17counting_iteratorIjlEEPS9_SE_NS0_5tupleIJPjSE_EEENSF_IJSE_SE_EEES9_SG_JZNS1_25segmented_radix_sort_implINS0_14default_configELb1EPK6__halfPSL_PKlPlN2at6native12_GLOBAL__N_18offset_tEEE10hipError_tPvRmT1_PNSt15iterator_traitsISZ_E10value_typeET2_T3_PNS10_IS15_E10value_typeET4_jRbjT5_S1B_jjP12ihipStream_tbEUljE_EEESW_SX_SY_S15_S19_S1B_T6_T7_T9_mT8_S1D_bDpT10_ENKUlT_T0_E_clISt17integral_constantIbLb0EES1Q_EEDaS1L_S1M_EUlS1L_E_NS1_11comp_targetILNS1_3genE5ELNS1_11target_archE942ELNS1_3gpuE9ELNS1_3repE0EEENS1_30default_config_static_selectorELNS0_4arch9wavefront6targetE1EEEvSZ_
		.amdhsa_group_segment_fixed_size 0
		.amdhsa_private_segment_fixed_size 0
		.amdhsa_kernarg_size 144
		.amdhsa_user_sgpr_count 6
		.amdhsa_user_sgpr_private_segment_buffer 1
		.amdhsa_user_sgpr_dispatch_ptr 0
		.amdhsa_user_sgpr_queue_ptr 0
		.amdhsa_user_sgpr_kernarg_segment_ptr 1
		.amdhsa_user_sgpr_dispatch_id 0
		.amdhsa_user_sgpr_flat_scratch_init 0
		.amdhsa_user_sgpr_kernarg_preload_length 0
		.amdhsa_user_sgpr_kernarg_preload_offset 0
		.amdhsa_user_sgpr_private_segment_size 0
		.amdhsa_uses_dynamic_stack 0
		.amdhsa_system_sgpr_private_segment_wavefront_offset 0
		.amdhsa_system_sgpr_workgroup_id_x 1
		.amdhsa_system_sgpr_workgroup_id_y 0
		.amdhsa_system_sgpr_workgroup_id_z 0
		.amdhsa_system_sgpr_workgroup_info 0
		.amdhsa_system_vgpr_workitem_id 0
		.amdhsa_next_free_vgpr 1
		.amdhsa_next_free_sgpr 0
		.amdhsa_accum_offset 4
		.amdhsa_reserve_vcc 0
		.amdhsa_reserve_flat_scratch 0
		.amdhsa_float_round_mode_32 0
		.amdhsa_float_round_mode_16_64 0
		.amdhsa_float_denorm_mode_32 3
		.amdhsa_float_denorm_mode_16_64 3
		.amdhsa_dx10_clamp 1
		.amdhsa_ieee_mode 1
		.amdhsa_fp16_overflow 0
		.amdhsa_tg_split 0
		.amdhsa_exception_fp_ieee_invalid_op 0
		.amdhsa_exception_fp_denorm_src 0
		.amdhsa_exception_fp_ieee_div_zero 0
		.amdhsa_exception_fp_ieee_overflow 0
		.amdhsa_exception_fp_ieee_underflow 0
		.amdhsa_exception_fp_ieee_inexact 0
		.amdhsa_exception_int_div_zero 0
	.end_amdhsa_kernel
	.section	.text._ZN7rocprim17ROCPRIM_400000_NS6detail17trampoline_kernelINS0_13select_configILj256ELj13ELNS0_17block_load_methodE3ELS4_3ELS4_3ELNS0_20block_scan_algorithmE0ELj4294967295EEENS1_25partition_config_selectorILNS1_17partition_subalgoE3EjNS0_10empty_typeEbEEZZNS1_14partition_implILS8_3ELb0ES6_jNS0_17counting_iteratorIjlEEPS9_SE_NS0_5tupleIJPjSE_EEENSF_IJSE_SE_EEES9_SG_JZNS1_25segmented_radix_sort_implINS0_14default_configELb1EPK6__halfPSL_PKlPlN2at6native12_GLOBAL__N_18offset_tEEE10hipError_tPvRmT1_PNSt15iterator_traitsISZ_E10value_typeET2_T3_PNS10_IS15_E10value_typeET4_jRbjT5_S1B_jjP12ihipStream_tbEUljE_EEESW_SX_SY_S15_S19_S1B_T6_T7_T9_mT8_S1D_bDpT10_ENKUlT_T0_E_clISt17integral_constantIbLb0EES1Q_EEDaS1L_S1M_EUlS1L_E_NS1_11comp_targetILNS1_3genE5ELNS1_11target_archE942ELNS1_3gpuE9ELNS1_3repE0EEENS1_30default_config_static_selectorELNS0_4arch9wavefront6targetE1EEEvSZ_,"axG",@progbits,_ZN7rocprim17ROCPRIM_400000_NS6detail17trampoline_kernelINS0_13select_configILj256ELj13ELNS0_17block_load_methodE3ELS4_3ELS4_3ELNS0_20block_scan_algorithmE0ELj4294967295EEENS1_25partition_config_selectorILNS1_17partition_subalgoE3EjNS0_10empty_typeEbEEZZNS1_14partition_implILS8_3ELb0ES6_jNS0_17counting_iteratorIjlEEPS9_SE_NS0_5tupleIJPjSE_EEENSF_IJSE_SE_EEES9_SG_JZNS1_25segmented_radix_sort_implINS0_14default_configELb1EPK6__halfPSL_PKlPlN2at6native12_GLOBAL__N_18offset_tEEE10hipError_tPvRmT1_PNSt15iterator_traitsISZ_E10value_typeET2_T3_PNS10_IS15_E10value_typeET4_jRbjT5_S1B_jjP12ihipStream_tbEUljE_EEESW_SX_SY_S15_S19_S1B_T6_T7_T9_mT8_S1D_bDpT10_ENKUlT_T0_E_clISt17integral_constantIbLb0EES1Q_EEDaS1L_S1M_EUlS1L_E_NS1_11comp_targetILNS1_3genE5ELNS1_11target_archE942ELNS1_3gpuE9ELNS1_3repE0EEENS1_30default_config_static_selectorELNS0_4arch9wavefront6targetE1EEEvSZ_,comdat
.Lfunc_end1706:
	.size	_ZN7rocprim17ROCPRIM_400000_NS6detail17trampoline_kernelINS0_13select_configILj256ELj13ELNS0_17block_load_methodE3ELS4_3ELS4_3ELNS0_20block_scan_algorithmE0ELj4294967295EEENS1_25partition_config_selectorILNS1_17partition_subalgoE3EjNS0_10empty_typeEbEEZZNS1_14partition_implILS8_3ELb0ES6_jNS0_17counting_iteratorIjlEEPS9_SE_NS0_5tupleIJPjSE_EEENSF_IJSE_SE_EEES9_SG_JZNS1_25segmented_radix_sort_implINS0_14default_configELb1EPK6__halfPSL_PKlPlN2at6native12_GLOBAL__N_18offset_tEEE10hipError_tPvRmT1_PNSt15iterator_traitsISZ_E10value_typeET2_T3_PNS10_IS15_E10value_typeET4_jRbjT5_S1B_jjP12ihipStream_tbEUljE_EEESW_SX_SY_S15_S19_S1B_T6_T7_T9_mT8_S1D_bDpT10_ENKUlT_T0_E_clISt17integral_constantIbLb0EES1Q_EEDaS1L_S1M_EUlS1L_E_NS1_11comp_targetILNS1_3genE5ELNS1_11target_archE942ELNS1_3gpuE9ELNS1_3repE0EEENS1_30default_config_static_selectorELNS0_4arch9wavefront6targetE1EEEvSZ_, .Lfunc_end1706-_ZN7rocprim17ROCPRIM_400000_NS6detail17trampoline_kernelINS0_13select_configILj256ELj13ELNS0_17block_load_methodE3ELS4_3ELS4_3ELNS0_20block_scan_algorithmE0ELj4294967295EEENS1_25partition_config_selectorILNS1_17partition_subalgoE3EjNS0_10empty_typeEbEEZZNS1_14partition_implILS8_3ELb0ES6_jNS0_17counting_iteratorIjlEEPS9_SE_NS0_5tupleIJPjSE_EEENSF_IJSE_SE_EEES9_SG_JZNS1_25segmented_radix_sort_implINS0_14default_configELb1EPK6__halfPSL_PKlPlN2at6native12_GLOBAL__N_18offset_tEEE10hipError_tPvRmT1_PNSt15iterator_traitsISZ_E10value_typeET2_T3_PNS10_IS15_E10value_typeET4_jRbjT5_S1B_jjP12ihipStream_tbEUljE_EEESW_SX_SY_S15_S19_S1B_T6_T7_T9_mT8_S1D_bDpT10_ENKUlT_T0_E_clISt17integral_constantIbLb0EES1Q_EEDaS1L_S1M_EUlS1L_E_NS1_11comp_targetILNS1_3genE5ELNS1_11target_archE942ELNS1_3gpuE9ELNS1_3repE0EEENS1_30default_config_static_selectorELNS0_4arch9wavefront6targetE1EEEvSZ_
                                        ; -- End function
	.section	.AMDGPU.csdata,"",@progbits
; Kernel info:
; codeLenInByte = 0
; NumSgprs: 4
; NumVgprs: 0
; NumAgprs: 0
; TotalNumVgprs: 0
; ScratchSize: 0
; MemoryBound: 0
; FloatMode: 240
; IeeeMode: 1
; LDSByteSize: 0 bytes/workgroup (compile time only)
; SGPRBlocks: 0
; VGPRBlocks: 0
; NumSGPRsForWavesPerEU: 4
; NumVGPRsForWavesPerEU: 1
; AccumOffset: 4
; Occupancy: 8
; WaveLimiterHint : 0
; COMPUTE_PGM_RSRC2:SCRATCH_EN: 0
; COMPUTE_PGM_RSRC2:USER_SGPR: 6
; COMPUTE_PGM_RSRC2:TRAP_HANDLER: 0
; COMPUTE_PGM_RSRC2:TGID_X_EN: 1
; COMPUTE_PGM_RSRC2:TGID_Y_EN: 0
; COMPUTE_PGM_RSRC2:TGID_Z_EN: 0
; COMPUTE_PGM_RSRC2:TIDIG_COMP_CNT: 0
; COMPUTE_PGM_RSRC3_GFX90A:ACCUM_OFFSET: 0
; COMPUTE_PGM_RSRC3_GFX90A:TG_SPLIT: 0
	.section	.text._ZN7rocprim17ROCPRIM_400000_NS6detail17trampoline_kernelINS0_13select_configILj256ELj13ELNS0_17block_load_methodE3ELS4_3ELS4_3ELNS0_20block_scan_algorithmE0ELj4294967295EEENS1_25partition_config_selectorILNS1_17partition_subalgoE3EjNS0_10empty_typeEbEEZZNS1_14partition_implILS8_3ELb0ES6_jNS0_17counting_iteratorIjlEEPS9_SE_NS0_5tupleIJPjSE_EEENSF_IJSE_SE_EEES9_SG_JZNS1_25segmented_radix_sort_implINS0_14default_configELb1EPK6__halfPSL_PKlPlN2at6native12_GLOBAL__N_18offset_tEEE10hipError_tPvRmT1_PNSt15iterator_traitsISZ_E10value_typeET2_T3_PNS10_IS15_E10value_typeET4_jRbjT5_S1B_jjP12ihipStream_tbEUljE_EEESW_SX_SY_S15_S19_S1B_T6_T7_T9_mT8_S1D_bDpT10_ENKUlT_T0_E_clISt17integral_constantIbLb0EES1Q_EEDaS1L_S1M_EUlS1L_E_NS1_11comp_targetILNS1_3genE4ELNS1_11target_archE910ELNS1_3gpuE8ELNS1_3repE0EEENS1_30default_config_static_selectorELNS0_4arch9wavefront6targetE1EEEvSZ_,"axG",@progbits,_ZN7rocprim17ROCPRIM_400000_NS6detail17trampoline_kernelINS0_13select_configILj256ELj13ELNS0_17block_load_methodE3ELS4_3ELS4_3ELNS0_20block_scan_algorithmE0ELj4294967295EEENS1_25partition_config_selectorILNS1_17partition_subalgoE3EjNS0_10empty_typeEbEEZZNS1_14partition_implILS8_3ELb0ES6_jNS0_17counting_iteratorIjlEEPS9_SE_NS0_5tupleIJPjSE_EEENSF_IJSE_SE_EEES9_SG_JZNS1_25segmented_radix_sort_implINS0_14default_configELb1EPK6__halfPSL_PKlPlN2at6native12_GLOBAL__N_18offset_tEEE10hipError_tPvRmT1_PNSt15iterator_traitsISZ_E10value_typeET2_T3_PNS10_IS15_E10value_typeET4_jRbjT5_S1B_jjP12ihipStream_tbEUljE_EEESW_SX_SY_S15_S19_S1B_T6_T7_T9_mT8_S1D_bDpT10_ENKUlT_T0_E_clISt17integral_constantIbLb0EES1Q_EEDaS1L_S1M_EUlS1L_E_NS1_11comp_targetILNS1_3genE4ELNS1_11target_archE910ELNS1_3gpuE8ELNS1_3repE0EEENS1_30default_config_static_selectorELNS0_4arch9wavefront6targetE1EEEvSZ_,comdat
	.globl	_ZN7rocprim17ROCPRIM_400000_NS6detail17trampoline_kernelINS0_13select_configILj256ELj13ELNS0_17block_load_methodE3ELS4_3ELS4_3ELNS0_20block_scan_algorithmE0ELj4294967295EEENS1_25partition_config_selectorILNS1_17partition_subalgoE3EjNS0_10empty_typeEbEEZZNS1_14partition_implILS8_3ELb0ES6_jNS0_17counting_iteratorIjlEEPS9_SE_NS0_5tupleIJPjSE_EEENSF_IJSE_SE_EEES9_SG_JZNS1_25segmented_radix_sort_implINS0_14default_configELb1EPK6__halfPSL_PKlPlN2at6native12_GLOBAL__N_18offset_tEEE10hipError_tPvRmT1_PNSt15iterator_traitsISZ_E10value_typeET2_T3_PNS10_IS15_E10value_typeET4_jRbjT5_S1B_jjP12ihipStream_tbEUljE_EEESW_SX_SY_S15_S19_S1B_T6_T7_T9_mT8_S1D_bDpT10_ENKUlT_T0_E_clISt17integral_constantIbLb0EES1Q_EEDaS1L_S1M_EUlS1L_E_NS1_11comp_targetILNS1_3genE4ELNS1_11target_archE910ELNS1_3gpuE8ELNS1_3repE0EEENS1_30default_config_static_selectorELNS0_4arch9wavefront6targetE1EEEvSZ_ ; -- Begin function _ZN7rocprim17ROCPRIM_400000_NS6detail17trampoline_kernelINS0_13select_configILj256ELj13ELNS0_17block_load_methodE3ELS4_3ELS4_3ELNS0_20block_scan_algorithmE0ELj4294967295EEENS1_25partition_config_selectorILNS1_17partition_subalgoE3EjNS0_10empty_typeEbEEZZNS1_14partition_implILS8_3ELb0ES6_jNS0_17counting_iteratorIjlEEPS9_SE_NS0_5tupleIJPjSE_EEENSF_IJSE_SE_EEES9_SG_JZNS1_25segmented_radix_sort_implINS0_14default_configELb1EPK6__halfPSL_PKlPlN2at6native12_GLOBAL__N_18offset_tEEE10hipError_tPvRmT1_PNSt15iterator_traitsISZ_E10value_typeET2_T3_PNS10_IS15_E10value_typeET4_jRbjT5_S1B_jjP12ihipStream_tbEUljE_EEESW_SX_SY_S15_S19_S1B_T6_T7_T9_mT8_S1D_bDpT10_ENKUlT_T0_E_clISt17integral_constantIbLb0EES1Q_EEDaS1L_S1M_EUlS1L_E_NS1_11comp_targetILNS1_3genE4ELNS1_11target_archE910ELNS1_3gpuE8ELNS1_3repE0EEENS1_30default_config_static_selectorELNS0_4arch9wavefront6targetE1EEEvSZ_
	.p2align	8
	.type	_ZN7rocprim17ROCPRIM_400000_NS6detail17trampoline_kernelINS0_13select_configILj256ELj13ELNS0_17block_load_methodE3ELS4_3ELS4_3ELNS0_20block_scan_algorithmE0ELj4294967295EEENS1_25partition_config_selectorILNS1_17partition_subalgoE3EjNS0_10empty_typeEbEEZZNS1_14partition_implILS8_3ELb0ES6_jNS0_17counting_iteratorIjlEEPS9_SE_NS0_5tupleIJPjSE_EEENSF_IJSE_SE_EEES9_SG_JZNS1_25segmented_radix_sort_implINS0_14default_configELb1EPK6__halfPSL_PKlPlN2at6native12_GLOBAL__N_18offset_tEEE10hipError_tPvRmT1_PNSt15iterator_traitsISZ_E10value_typeET2_T3_PNS10_IS15_E10value_typeET4_jRbjT5_S1B_jjP12ihipStream_tbEUljE_EEESW_SX_SY_S15_S19_S1B_T6_T7_T9_mT8_S1D_bDpT10_ENKUlT_T0_E_clISt17integral_constantIbLb0EES1Q_EEDaS1L_S1M_EUlS1L_E_NS1_11comp_targetILNS1_3genE4ELNS1_11target_archE910ELNS1_3gpuE8ELNS1_3repE0EEENS1_30default_config_static_selectorELNS0_4arch9wavefront6targetE1EEEvSZ_,@function
_ZN7rocprim17ROCPRIM_400000_NS6detail17trampoline_kernelINS0_13select_configILj256ELj13ELNS0_17block_load_methodE3ELS4_3ELS4_3ELNS0_20block_scan_algorithmE0ELj4294967295EEENS1_25partition_config_selectorILNS1_17partition_subalgoE3EjNS0_10empty_typeEbEEZZNS1_14partition_implILS8_3ELb0ES6_jNS0_17counting_iteratorIjlEEPS9_SE_NS0_5tupleIJPjSE_EEENSF_IJSE_SE_EEES9_SG_JZNS1_25segmented_radix_sort_implINS0_14default_configELb1EPK6__halfPSL_PKlPlN2at6native12_GLOBAL__N_18offset_tEEE10hipError_tPvRmT1_PNSt15iterator_traitsISZ_E10value_typeET2_T3_PNS10_IS15_E10value_typeET4_jRbjT5_S1B_jjP12ihipStream_tbEUljE_EEESW_SX_SY_S15_S19_S1B_T6_T7_T9_mT8_S1D_bDpT10_ENKUlT_T0_E_clISt17integral_constantIbLb0EES1Q_EEDaS1L_S1M_EUlS1L_E_NS1_11comp_targetILNS1_3genE4ELNS1_11target_archE910ELNS1_3gpuE8ELNS1_3repE0EEENS1_30default_config_static_selectorELNS0_4arch9wavefront6targetE1EEEvSZ_: ; @_ZN7rocprim17ROCPRIM_400000_NS6detail17trampoline_kernelINS0_13select_configILj256ELj13ELNS0_17block_load_methodE3ELS4_3ELS4_3ELNS0_20block_scan_algorithmE0ELj4294967295EEENS1_25partition_config_selectorILNS1_17partition_subalgoE3EjNS0_10empty_typeEbEEZZNS1_14partition_implILS8_3ELb0ES6_jNS0_17counting_iteratorIjlEEPS9_SE_NS0_5tupleIJPjSE_EEENSF_IJSE_SE_EEES9_SG_JZNS1_25segmented_radix_sort_implINS0_14default_configELb1EPK6__halfPSL_PKlPlN2at6native12_GLOBAL__N_18offset_tEEE10hipError_tPvRmT1_PNSt15iterator_traitsISZ_E10value_typeET2_T3_PNS10_IS15_E10value_typeET4_jRbjT5_S1B_jjP12ihipStream_tbEUljE_EEESW_SX_SY_S15_S19_S1B_T6_T7_T9_mT8_S1D_bDpT10_ENKUlT_T0_E_clISt17integral_constantIbLb0EES1Q_EEDaS1L_S1M_EUlS1L_E_NS1_11comp_targetILNS1_3genE4ELNS1_11target_archE910ELNS1_3gpuE8ELNS1_3repE0EEENS1_30default_config_static_selectorELNS0_4arch9wavefront6targetE1EEEvSZ_
; %bb.0:
	s_load_dwordx2 s[26:27], s[4:5], 0x58
	s_load_dwordx4 s[20:23], s[4:5], 0x48
	s_load_dword s13, s[4:5], 0x8
	s_load_dwordx2 s[28:29], s[4:5], 0x10
	s_load_dword s12, s[4:5], 0x70
	s_load_dword s7, s[4:5], 0x88
	s_load_dwordx4 s[8:11], s[4:5], 0x78
	s_waitcnt lgkmcnt(0)
	s_load_dwordx2 s[30:31], s[22:23], 0x0
	v_pk_mov_b32 v[2:3], s[26:27], s[26:27] op_sel:[0,1]
	s_add_i32 s2, s12, -1
	s_mulk_i32 s12, 0xd00
	s_add_u32 s0, s28, s12
	s_addc_u32 s1, s29, 0
	s_cmp_eq_u32 s6, s2
	s_cselect_b64 s[22:23], -1, 0
	s_cmp_lg_u32 s6, s2
	s_mul_i32 s42, s6, 0xd00
	v_cmp_lt_u64_e32 vcc, s[0:1], v[2:3]
	s_cselect_b64 s[0:1], -1, 0
	s_or_b64 s[2:3], s[0:1], vcc
	s_add_i32 s0, s13, s42
	s_add_i32 s0, s0, s28
	v_add_u32_e32 v2, s0, v0
	s_mov_b64 s[0:1], -1
	s_and_b64 vcc, exec, s[2:3]
	v_lshlrev_b32_e32 v1, 2, v0
	s_cbranch_vccz .LBB1707_2
; %bb.1:
	v_add_u32_e32 v3, 0x100, v2
	v_add_u32_e32 v4, 0x200, v2
	;; [unrolled: 1-line block ×12, first 2 shown]
	ds_write2st64_b32 v1, v2, v3 offset1:4
	ds_write2st64_b32 v1, v4, v5 offset0:8 offset1:12
	ds_write2st64_b32 v1, v6, v7 offset0:16 offset1:20
	;; [unrolled: 1-line block ×5, first 2 shown]
	ds_write_b32 v1, v14 offset:12288
	s_waitcnt lgkmcnt(0)
	s_barrier
	s_mov_b64 s[0:1], 0
.LBB1707_2:
	s_andn2_b64 vcc, exec, s[0:1]
	s_add_i32 s12, s12, s28
	s_cbranch_vccnz .LBB1707_4
; %bb.3:
	v_add_u32_e32 v3, 0x100, v2
	v_add_u32_e32 v4, 0x200, v2
	;; [unrolled: 1-line block ×12, first 2 shown]
	ds_write2st64_b32 v1, v2, v3 offset1:4
	ds_write2st64_b32 v1, v4, v5 offset0:8 offset1:12
	ds_write2st64_b32 v1, v6, v7 offset0:16 offset1:20
	;; [unrolled: 1-line block ×5, first 2 shown]
	ds_write_b32 v1, v14 offset:12288
	s_waitcnt lgkmcnt(0)
	s_barrier
.LBB1707_4:
	v_mul_u32_u24_e32 v33, 13, v0
	v_lshlrev_b32_e32 v2, 2, v33
	s_waitcnt lgkmcnt(0)
	ds_read2_b32 v[30:31], v2 offset1:1
	ds_read2_b32 v[28:29], v2 offset0:2 offset1:3
	ds_read2_b32 v[26:27], v2 offset0:4 offset1:5
	;; [unrolled: 1-line block ×5, first 2 shown]
	ds_read_b32 v32, v2 offset:48
	v_cndmask_b32_e64 v2, 0, 1, s[2:3]
	s_sub_i32 s33, s26, s12
	v_cmp_ne_u32_e64 s[0:1], 1, v2
	s_andn2_b64 vcc, exec, s[2:3]
	s_waitcnt lgkmcnt(0)
	s_barrier
	s_cbranch_vccnz .LBB1707_6
; %bb.5:
	v_add_u32_e32 v2, s9, v30
	v_add_u32_e32 v3, s11, v30
	v_mul_lo_u32 v2, v2, s8
	v_mul_lo_u32 v3, v3, s10
	v_sub_u32_e32 v2, v2, v3
	v_add_u32_e32 v3, s9, v31
	v_add_u32_e32 v4, s11, v31
	v_mul_lo_u32 v3, v3, s8
	v_mul_lo_u32 v4, v4, s10
	v_sub_u32_e32 v3, v3, v4
	;; [unrolled: 5-line block ×6, first 2 shown]
	v_add_u32_e32 v8, s9, v24
	v_add_u32_e32 v9, s11, v24
	v_mul_lo_u32 v8, v8, s8
	v_mul_lo_u32 v9, v9, s10
	v_cmp_lt_u32_e32 vcc, s7, v2
	v_sub_u32_e32 v8, v8, v9
	v_add_u32_e32 v9, s9, v25
	v_add_u32_e32 v10, s11, v25
	v_cndmask_b32_e64 v2, 0, 1, vcc
	v_cmp_lt_u32_e32 vcc, s7, v3
	v_mul_lo_u32 v9, v9, s8
	v_mul_lo_u32 v10, v10, s10
	v_cndmask_b32_e64 v3, 0, 1, vcc
	v_cmp_lt_u32_e32 vcc, s7, v4
	v_sub_u32_e32 v9, v9, v10
	v_add_u32_e32 v10, s9, v22
	v_add_u32_e32 v11, s11, v22
	v_cndmask_b32_e64 v4, 0, 1, vcc
	v_cmp_lt_u32_e32 vcc, s7, v5
	v_mul_lo_u32 v10, v10, s8
	v_mul_lo_u32 v11, v11, s10
	v_cndmask_b32_e64 v5, 0, 1, vcc
	;; [unrolled: 9-line block ×4, first 2 shown]
	v_cmp_lt_u32_e32 vcc, s7, v10
	v_sub_u32_e32 v12, v12, v13
	v_add_u32_e32 v13, s9, v21
	v_add_u32_e32 v14, s11, v21
	v_lshlrev_b16_e32 v3, 8, v3
	v_cndmask_b32_e64 v10, 0, 1, vcc
	v_cmp_lt_u32_e32 vcc, s7, v11
	v_mul_lo_u32 v13, v13, s8
	v_mul_lo_u32 v14, v14, s10
	v_or_b32_e32 v2, v2, v3
	v_lshlrev_b16_e32 v3, 8, v5
	v_cndmask_b32_e64 v11, 0, 1, vcc
	v_cmp_lt_u32_e32 vcc, s7, v12
	v_sub_u32_e32 v13, v13, v14
	v_or_b32_sdwa v3, v4, v3 dst_sel:WORD_1 dst_unused:UNUSED_PAD src0_sel:DWORD src1_sel:DWORD
	v_cndmask_b32_e64 v12, 0, 1, vcc
	v_cmp_lt_u32_e32 vcc, s7, v13
	v_add_u32_e32 v14, s9, v32
	v_add_u32_e32 v15, s11, v32
	v_or_b32_sdwa v37, v2, v3 dst_sel:DWORD dst_unused:UNUSED_PAD src0_sel:WORD_0 src1_sel:DWORD
	v_lshlrev_b16_e32 v2, 8, v7
	v_lshlrev_b16_e32 v3, 8, v9
	v_cndmask_b32_e64 v13, 0, 1, vcc
	v_mul_lo_u32 v14, v14, s8
	v_mul_lo_u32 v15, v15, s10
	v_or_b32_e32 v2, v6, v2
	v_or_b32_sdwa v3, v8, v3 dst_sel:WORD_1 dst_unused:UNUSED_PAD src0_sel:DWORD src1_sel:DWORD
	v_sub_u32_e32 v14, v14, v15
	v_or_b32_sdwa v36, v2, v3 dst_sel:DWORD dst_unused:UNUSED_PAD src0_sel:WORD_0 src1_sel:DWORD
	v_lshlrev_b16_e32 v2, 8, v11
	v_lshlrev_b16_e32 v3, 8, v13
	v_cmp_lt_u32_e32 vcc, s7, v14
	v_or_b32_e32 v2, v10, v2
	v_or_b32_sdwa v3, v12, v3 dst_sel:WORD_1 dst_unused:UNUSED_PAD src0_sel:DWORD src1_sel:DWORD
	v_cndmask_b32_e64 v34, 0, 1, vcc
	v_or_b32_sdwa v35, v2, v3 dst_sel:DWORD dst_unused:UNUSED_PAD src0_sel:WORD_0 src1_sel:DWORD
	s_mov_b64 s[2:3], 0
	s_branch .LBB1707_7
.LBB1707_6:
	s_mov_b64 s[2:3], -1
                                        ; implicit-def: $vgpr34
                                        ; implicit-def: $vgpr35
                                        ; implicit-def: $vgpr36
                                        ; implicit-def: $vgpr37
.LBB1707_7:
	s_load_dwordx2 s[24:25], s[4:5], 0x28
	s_load_dwordx2 s[34:35], s[4:5], 0x68
	s_andn2_b64 vcc, exec, s[2:3]
	s_addk_i32 s33, 0xd00
	s_cbranch_vccnz .LBB1707_35
; %bb.8:
	v_cmp_gt_u32_e32 vcc, s33, v33
	v_mov_b32_e32 v3, 0
	v_mov_b32_e32 v2, 0
	s_and_saveexec_b64 s[2:3], vcc
; %bb.9:
	v_add_u32_e32 v2, s9, v30
	v_add_u32_e32 v4, s11, v30
	v_mul_lo_u32 v2, v2, s8
	v_mul_lo_u32 v4, v4, s10
	v_sub_u32_e32 v2, v2, v4
	v_cmp_lt_u32_e32 vcc, s7, v2
	v_cndmask_b32_e64 v2, 0, 1, vcc
; %bb.10:
	s_or_b64 exec, exec, s[2:3]
	v_add_u32_e32 v4, 1, v33
	v_cmp_gt_u32_e32 vcc, s33, v4
	s_and_saveexec_b64 s[2:3], vcc
; %bb.11:
	v_add_u32_e32 v3, s9, v31
	v_add_u32_e32 v4, s11, v31
	v_mul_lo_u32 v3, v3, s8
	v_mul_lo_u32 v4, v4, s10
	v_sub_u32_e32 v3, v3, v4
	v_cmp_lt_u32_e32 vcc, s7, v3
	v_cndmask_b32_e64 v3, 0, 1, vcc
; %bb.12:
	s_or_b64 exec, exec, s[2:3]
	v_add_u32_e32 v4, 2, v33
	v_cmp_gt_u32_e32 vcc, s33, v4
	v_mov_b32_e32 v5, 0
	v_mov_b32_e32 v4, 0
	s_and_saveexec_b64 s[2:3], vcc
; %bb.13:
	v_add_u32_e32 v4, s9, v28
	v_add_u32_e32 v6, s11, v28
	v_mul_lo_u32 v4, v4, s8
	v_mul_lo_u32 v6, v6, s10
	v_sub_u32_e32 v4, v4, v6
	v_cmp_lt_u32_e32 vcc, s7, v4
	v_cndmask_b32_e64 v4, 0, 1, vcc
; %bb.14:
	s_or_b64 exec, exec, s[2:3]
	v_add_u32_e32 v6, 3, v33
	v_cmp_gt_u32_e32 vcc, s33, v6
	s_and_saveexec_b64 s[2:3], vcc
; %bb.15:
	v_add_u32_e32 v5, s9, v29
	v_add_u32_e32 v6, s11, v29
	v_mul_lo_u32 v5, v5, s8
	v_mul_lo_u32 v6, v6, s10
	v_sub_u32_e32 v5, v5, v6
	v_cmp_lt_u32_e32 vcc, s7, v5
	v_cndmask_b32_e64 v5, 0, 1, vcc
; %bb.16:
	s_or_b64 exec, exec, s[2:3]
	v_add_u32_e32 v6, 4, v33
	;; [unrolled: 28-line block ×6, first 2 shown]
	v_cmp_gt_u32_e32 vcc, s33, v14
	v_mov_b32_e32 v34, 0
	s_and_saveexec_b64 s[2:3], vcc
; %bb.33:
	v_add_u32_e32 v14, s9, v32
	v_add_u32_e32 v15, s11, v32
	v_mul_lo_u32 v14, v14, s8
	v_mul_lo_u32 v15, v15, s10
	v_sub_u32_e32 v14, v14, v15
	v_cmp_lt_u32_e32 vcc, s7, v14
	v_cndmask_b32_e64 v34, 0, 1, vcc
; %bb.34:
	s_or_b64 exec, exec, s[2:3]
	v_lshlrev_b16_e32 v3, 8, v3
	v_or_b32_e32 v2, v2, v3
	v_lshlrev_b16_e32 v3, 8, v5
	v_or_b32_sdwa v3, v4, v3 dst_sel:WORD_1 dst_unused:UNUSED_PAD src0_sel:DWORD src1_sel:DWORD
	v_or_b32_sdwa v37, v2, v3 dst_sel:DWORD dst_unused:UNUSED_PAD src0_sel:WORD_0 src1_sel:DWORD
	v_lshlrev_b16_e32 v2, 8, v7
	v_lshlrev_b16_e32 v3, 8, v9
	v_or_b32_e32 v2, v6, v2
	v_or_b32_sdwa v3, v8, v3 dst_sel:WORD_1 dst_unused:UNUSED_PAD src0_sel:DWORD src1_sel:DWORD
	v_or_b32_sdwa v36, v2, v3 dst_sel:DWORD dst_unused:UNUSED_PAD src0_sel:WORD_0 src1_sel:DWORD
	v_lshlrev_b16_e32 v2, 8, v11
	v_lshlrev_b16_e32 v3, 8, v13
	v_or_b32_e32 v2, v10, v2
	v_or_b32_sdwa v3, v12, v3 dst_sel:WORD_1 dst_unused:UNUSED_PAD src0_sel:DWORD src1_sel:DWORD
	v_or_b32_sdwa v35, v2, v3 dst_sel:DWORD dst_unused:UNUSED_PAD src0_sel:WORD_0 src1_sel:DWORD
.LBB1707_35:
	v_and_b32_e32 v41, 0xff, v37
	v_bfe_u32 v42, v37, 8, 8
	v_bfe_u32 v43, v37, 16, 8
	v_lshrrev_b32_e32 v40, 24, v37
	v_and_b32_e32 v44, 0xff, v36
	v_add3_u32 v3, v42, v41, v43
	v_bfe_u32 v45, v36, 8, 8
	v_bfe_u32 v46, v36, 16, 8
	v_add3_u32 v3, v3, v40, v44
	v_lshrrev_b32_e32 v39, 24, v36
	v_and_b32_e32 v47, 0xff, v35
	v_add3_u32 v3, v3, v45, v46
	v_bfe_u32 v48, v35, 8, 8
	v_bfe_u32 v49, v35, 16, 8
	v_add3_u32 v3, v3, v39, v47
	v_lshrrev_b32_e32 v38, 24, v35
	v_and_b32_e32 v2, 0xff, v34
	v_add3_u32 v3, v3, v48, v49
	v_add3_u32 v52, v3, v38, v2
	v_mbcnt_lo_u32_b32 v2, -1, 0
	v_mbcnt_hi_u32_b32 v50, -1, v2
	v_and_b32_e32 v2, 15, v50
	v_cmp_eq_u32_e64 s[14:15], 0, v2
	v_cmp_lt_u32_e64 s[12:13], 1, v2
	v_cmp_lt_u32_e64 s[10:11], 3, v2
	;; [unrolled: 1-line block ×3, first 2 shown]
	v_and_b32_e32 v2, 16, v50
	v_cmp_eq_u32_e64 s[18:19], 0, v2
	v_or_b32_e32 v2, 63, v0
	s_cmp_lg_u32 s6, 0
	v_cmp_lt_u32_e64 s[2:3], 31, v50
	v_lshrrev_b32_e32 v51, 6, v0
	v_cmp_eq_u32_e64 s[4:5], v2, v0
	s_cbranch_scc0 .LBB1707_62
; %bb.36:
	v_mov_b32_dpp v2, v52 row_shr:1 row_mask:0xf bank_mask:0xf
	v_cndmask_b32_e64 v2, v2, 0, s[14:15]
	v_add_u32_e32 v2, v2, v52
	s_nop 1
	v_mov_b32_dpp v3, v2 row_shr:2 row_mask:0xf bank_mask:0xf
	v_cndmask_b32_e64 v3, 0, v3, s[12:13]
	v_add_u32_e32 v2, v2, v3
	s_nop 1
	v_mov_b32_dpp v3, v2 row_shr:4 row_mask:0xf bank_mask:0xf
	v_cndmask_b32_e64 v3, 0, v3, s[10:11]
	v_add_u32_e32 v2, v2, v3
	s_nop 1
	v_mov_b32_dpp v3, v2 row_shr:8 row_mask:0xf bank_mask:0xf
	v_cndmask_b32_e64 v3, 0, v3, s[8:9]
	v_add_u32_e32 v2, v2, v3
	s_nop 1
	v_mov_b32_dpp v3, v2 row_bcast:15 row_mask:0xf bank_mask:0xf
	v_cndmask_b32_e64 v3, v3, 0, s[18:19]
	v_add_u32_e32 v2, v2, v3
	s_nop 1
	v_mov_b32_dpp v3, v2 row_bcast:31 row_mask:0xf bank_mask:0xf
	v_cndmask_b32_e64 v3, 0, v3, s[2:3]
	v_add_u32_e32 v2, v2, v3
	s_and_saveexec_b64 s[16:17], s[4:5]
	s_cbranch_execz .LBB1707_38
; %bb.37:
	v_lshlrev_b32_e32 v3, 2, v51
	ds_write_b32 v3, v2
.LBB1707_38:
	s_or_b64 exec, exec, s[16:17]
	v_cmp_gt_u32_e32 vcc, 4, v0
	s_waitcnt lgkmcnt(0)
	s_barrier
	s_and_saveexec_b64 s[16:17], vcc
	s_cbranch_execz .LBB1707_40
; %bb.39:
	ds_read_b32 v3, v1
	v_and_b32_e32 v4, 3, v50
	v_cmp_ne_u32_e32 vcc, 0, v4
	s_waitcnt lgkmcnt(0)
	v_mov_b32_dpp v5, v3 row_shr:1 row_mask:0xf bank_mask:0xf
	v_cndmask_b32_e32 v5, 0, v5, vcc
	v_add_u32_e32 v3, v5, v3
	v_cmp_lt_u32_e32 vcc, 1, v4
	s_nop 0
	v_mov_b32_dpp v5, v3 row_shr:2 row_mask:0xf bank_mask:0xf
	v_cndmask_b32_e32 v4, 0, v5, vcc
	v_add_u32_e32 v3, v3, v4
	ds_write_b32 v1, v3
.LBB1707_40:
	s_or_b64 exec, exec, s[16:17]
	v_cmp_gt_u32_e32 vcc, 64, v0
	v_cmp_lt_u32_e64 s[16:17], 63, v0
	s_waitcnt lgkmcnt(0)
	s_barrier
	s_waitcnt lgkmcnt(0)
                                        ; implicit-def: $vgpr12
	s_and_saveexec_b64 s[36:37], s[16:17]
	s_cbranch_execz .LBB1707_42
; %bb.41:
	v_lshl_add_u32 v3, v51, 2, -4
	ds_read_b32 v12, v3
	s_waitcnt lgkmcnt(0)
	v_add_u32_e32 v2, v12, v2
.LBB1707_42:
	s_or_b64 exec, exec, s[36:37]
	v_add_u32_e32 v3, -1, v50
	v_and_b32_e32 v4, 64, v50
	v_cmp_lt_i32_e64 s[16:17], v3, v4
	v_cndmask_b32_e64 v3, v3, v50, s[16:17]
	v_lshlrev_b32_e32 v3, 2, v3
	ds_bpermute_b32 v13, v3, v2
	v_cmp_eq_u32_e64 s[16:17], 0, v50
	s_and_saveexec_b64 s[36:37], vcc
	s_cbranch_execz .LBB1707_61
; %bb.43:
	v_mov_b32_e32 v9, 0
	ds_read_b32 v2, v9 offset:12
	s_and_saveexec_b64 s[38:39], s[16:17]
	s_cbranch_execz .LBB1707_45
; %bb.44:
	s_add_i32 s40, s6, 64
	s_mov_b32 s41, 0
	s_lshl_b64 s[40:41], s[40:41], 3
	s_add_u32 s40, s34, s40
	v_mov_b32_e32 v3, 1
	s_addc_u32 s41, s35, s41
	s_waitcnt lgkmcnt(0)
	global_store_dwordx2 v9, v[2:3], s[40:41]
.LBB1707_45:
	s_or_b64 exec, exec, s[38:39]
	v_xad_u32 v4, v50, -1, s6
	v_add_u32_e32 v8, 64, v4
	v_lshlrev_b64 v[6:7], 3, v[8:9]
	v_mov_b32_e32 v3, s35
	v_add_co_u32_e32 v10, vcc, s34, v6
	v_addc_co_u32_e32 v11, vcc, v3, v7, vcc
	global_load_dwordx2 v[6:7], v[10:11], off glc
	s_waitcnt vmcnt(0)
	v_cmp_eq_u16_sdwa s[40:41], v7, v9 src0_sel:BYTE_0 src1_sel:DWORD
	s_and_saveexec_b64 s[38:39], s[40:41]
	s_cbranch_execz .LBB1707_49
; %bb.46:
	s_mov_b64 s[40:41], 0
	v_mov_b32_e32 v3, 0
.LBB1707_47:                            ; =>This Inner Loop Header: Depth=1
	global_load_dwordx2 v[6:7], v[10:11], off glc
	s_waitcnt vmcnt(0)
	v_cmp_ne_u16_sdwa s[44:45], v7, v3 src0_sel:BYTE_0 src1_sel:DWORD
	s_or_b64 s[40:41], s[44:45], s[40:41]
	s_andn2_b64 exec, exec, s[40:41]
	s_cbranch_execnz .LBB1707_47
; %bb.48:
	s_or_b64 exec, exec, s[40:41]
.LBB1707_49:
	s_or_b64 exec, exec, s[38:39]
	v_and_b32_e32 v14, 63, v50
	v_mov_b32_e32 v3, 2
	v_cmp_ne_u32_e32 vcc, 63, v14
	v_cmp_eq_u16_sdwa s[38:39], v7, v3 src0_sel:BYTE_0 src1_sel:DWORD
	v_lshlrev_b64 v[8:9], v50, -1
	v_addc_co_u32_e32 v11, vcc, 0, v50, vcc
	v_and_b32_e32 v5, s39, v9
	v_lshlrev_b32_e32 v15, 2, v11
	v_or_b32_e32 v5, 0x80000000, v5
	ds_bpermute_b32 v11, v15, v6
	v_and_b32_e32 v10, s38, v8
	v_ffbl_b32_e32 v5, v5
	v_add_u32_e32 v5, 32, v5
	v_ffbl_b32_e32 v10, v10
	v_min_u32_e32 v5, v10, v5
	v_cmp_lt_u32_e32 vcc, v14, v5
	s_waitcnt lgkmcnt(0)
	v_cndmask_b32_e32 v10, 0, v11, vcc
	v_cmp_gt_u32_e32 vcc, 62, v14
	v_add_u32_e32 v6, v10, v6
	v_cndmask_b32_e64 v10, 0, 1, vcc
	v_lshlrev_b32_e32 v10, 1, v10
	v_add_lshl_u32 v16, v10, v50, 2
	ds_bpermute_b32 v10, v16, v6
	v_add_u32_e32 v17, 2, v14
	v_cmp_le_u32_e32 vcc, v17, v5
	v_add_u32_e32 v19, 4, v14
	v_add_u32_e32 v54, 8, v14
	s_waitcnt lgkmcnt(0)
	v_cndmask_b32_e32 v10, 0, v10, vcc
	v_cmp_gt_u32_e32 vcc, 60, v14
	v_add_u32_e32 v6, v6, v10
	v_cndmask_b32_e64 v10, 0, 1, vcc
	v_lshlrev_b32_e32 v10, 2, v10
	v_add_lshl_u32 v18, v10, v50, 2
	ds_bpermute_b32 v10, v18, v6
	v_cmp_le_u32_e32 vcc, v19, v5
	v_add_u32_e32 v57, 16, v14
	v_add_u32_e32 v59, 32, v14
	s_waitcnt lgkmcnt(0)
	v_cndmask_b32_e32 v10, 0, v10, vcc
	v_cmp_gt_u32_e32 vcc, 56, v14
	v_add_u32_e32 v6, v6, v10
	v_cndmask_b32_e64 v10, 0, 1, vcc
	v_lshlrev_b32_e32 v10, 3, v10
	v_add_lshl_u32 v53, v10, v50, 2
	ds_bpermute_b32 v10, v53, v6
	v_cmp_le_u32_e32 vcc, v54, v5
	s_waitcnt lgkmcnt(0)
	v_cndmask_b32_e32 v10, 0, v10, vcc
	v_cmp_gt_u32_e32 vcc, 48, v14
	v_add_u32_e32 v6, v6, v10
	v_cndmask_b32_e64 v10, 0, 1, vcc
	v_lshlrev_b32_e32 v10, 4, v10
	v_add_lshl_u32 v56, v10, v50, 2
	ds_bpermute_b32 v10, v56, v6
	v_cmp_le_u32_e32 vcc, v57, v5
	;; [unrolled: 9-line block ×3, first 2 shown]
	s_waitcnt lgkmcnt(0)
	v_cndmask_b32_e32 v5, 0, v10, vcc
	v_add_u32_e32 v6, v6, v5
	v_mov_b32_e32 v5, 0
	s_branch .LBB1707_51
.LBB1707_50:                            ;   in Loop: Header=BB1707_51 Depth=1
	s_or_b64 exec, exec, s[38:39]
	v_cmp_eq_u16_sdwa s[38:39], v7, v3 src0_sel:BYTE_0 src1_sel:DWORD
	v_and_b32_e32 v10, s39, v9
	v_or_b32_e32 v10, 0x80000000, v10
	ds_bpermute_b32 v60, v15, v6
	v_and_b32_e32 v11, s38, v8
	v_ffbl_b32_e32 v10, v10
	v_add_u32_e32 v10, 32, v10
	v_ffbl_b32_e32 v11, v11
	v_min_u32_e32 v10, v11, v10
	v_cmp_lt_u32_e32 vcc, v14, v10
	s_waitcnt lgkmcnt(0)
	v_cndmask_b32_e32 v11, 0, v60, vcc
	v_add_u32_e32 v6, v11, v6
	ds_bpermute_b32 v11, v16, v6
	v_cmp_le_u32_e32 vcc, v17, v10
	v_subrev_u32_e32 v4, 64, v4
	s_waitcnt lgkmcnt(0)
	v_cndmask_b32_e32 v11, 0, v11, vcc
	v_add_u32_e32 v6, v6, v11
	ds_bpermute_b32 v11, v18, v6
	v_cmp_le_u32_e32 vcc, v19, v10
	s_waitcnt lgkmcnt(0)
	v_cndmask_b32_e32 v11, 0, v11, vcc
	v_add_u32_e32 v6, v6, v11
	ds_bpermute_b32 v11, v53, v6
	v_cmp_le_u32_e32 vcc, v54, v10
	;; [unrolled: 5-line block ×4, first 2 shown]
	s_waitcnt lgkmcnt(0)
	v_cndmask_b32_e32 v10, 0, v11, vcc
	v_add3_u32 v6, v10, v55, v6
.LBB1707_51:                            ; =>This Loop Header: Depth=1
                                        ;     Child Loop BB1707_54 Depth 2
	v_cmp_ne_u16_sdwa s[38:39], v7, v3 src0_sel:BYTE_0 src1_sel:DWORD
	v_cndmask_b32_e64 v7, 0, 1, s[38:39]
	;;#ASMSTART
	;;#ASMEND
	v_cmp_ne_u32_e32 vcc, 0, v7
	s_cmp_lg_u64 vcc, exec
	v_mov_b32_e32 v55, v6
	s_cbranch_scc1 .LBB1707_56
; %bb.52:                               ;   in Loop: Header=BB1707_51 Depth=1
	v_lshlrev_b64 v[6:7], 3, v[4:5]
	v_mov_b32_e32 v11, s35
	v_add_co_u32_e32 v10, vcc, s34, v6
	v_addc_co_u32_e32 v11, vcc, v11, v7, vcc
	global_load_dwordx2 v[6:7], v[10:11], off glc
	s_waitcnt vmcnt(0)
	v_cmp_eq_u16_sdwa s[40:41], v7, v5 src0_sel:BYTE_0 src1_sel:DWORD
	s_and_saveexec_b64 s[38:39], s[40:41]
	s_cbranch_execz .LBB1707_50
; %bb.53:                               ;   in Loop: Header=BB1707_51 Depth=1
	s_mov_b64 s[40:41], 0
.LBB1707_54:                            ;   Parent Loop BB1707_51 Depth=1
                                        ; =>  This Inner Loop Header: Depth=2
	global_load_dwordx2 v[6:7], v[10:11], off glc
	s_waitcnt vmcnt(0)
	v_cmp_ne_u16_sdwa s[44:45], v7, v5 src0_sel:BYTE_0 src1_sel:DWORD
	s_or_b64 s[40:41], s[44:45], s[40:41]
	s_andn2_b64 exec, exec, s[40:41]
	s_cbranch_execnz .LBB1707_54
; %bb.55:                               ;   in Loop: Header=BB1707_51 Depth=1
	s_or_b64 exec, exec, s[40:41]
	s_branch .LBB1707_50
.LBB1707_56:                            ;   in Loop: Header=BB1707_51 Depth=1
                                        ; implicit-def: $vgpr6
                                        ; implicit-def: $vgpr7
	s_cbranch_execz .LBB1707_51
; %bb.57:
	s_and_saveexec_b64 s[38:39], s[16:17]
	s_cbranch_execz .LBB1707_59
; %bb.58:
	s_add_i32 s6, s6, 64
	s_mov_b32 s7, 0
	s_lshl_b64 s[6:7], s[6:7], 3
	s_add_u32 s6, s34, s6
	v_add_u32_e32 v4, v55, v2
	v_mov_b32_e32 v5, 2
	s_addc_u32 s7, s35, s7
	v_mov_b32_e32 v3, 0
	global_store_dwordx2 v3, v[4:5], s[6:7]
	s_movk_i32 s6, 0x3400
	v_add_u32_e64 v3, s6, 0
	ds_write2_b32 v3, v2, v55 offset1:2
.LBB1707_59:
	s_or_b64 exec, exec, s[38:39]
	v_cmp_eq_u32_e32 vcc, 0, v0
	s_and_b64 exec, exec, vcc
	s_cbranch_execz .LBB1707_61
; %bb.60:
	v_mov_b32_e32 v2, 0
	ds_write_b32 v2, v55 offset:12
.LBB1707_61:
	s_or_b64 exec, exec, s[36:37]
	v_mov_b32_e32 v2, 0
	s_waitcnt lgkmcnt(0)
	s_barrier
	ds_read_b32 v2, v2 offset:12
	v_cndmask_b32_e64 v3, v13, v12, s[16:17]
	v_cmp_ne_u32_e32 vcc, 0, v0
	v_cndmask_b32_e32 v3, 0, v3, vcc
	s_movk_i32 s6, 0x3400
	s_waitcnt lgkmcnt(0)
	v_add_u32_e32 v2, v2, v3
	v_add_u32_e32 v3, v2, v41
	v_add_u32_e32 v4, v3, v42
	v_add_u32_e32 v5, v4, v43
	v_add_u32_e32 v6, v5, v40
	v_add_u32_e32 v7, v6, v44
	v_add_u32_e32 v8, v7, v45
	v_add_u32_e32 v9, v8, v46
	v_add_u32_e64 v12, s6, 0
	v_add_u32_e32 v10, v9, v39
	s_barrier
	ds_read2_b32 v[18:19], v12 offset1:2
	v_add_u32_e32 v11, v10, v47
	v_add_u32_e32 v12, v11, v48
	;; [unrolled: 1-line block ×4, first 2 shown]
	s_branch .LBB1707_72
.LBB1707_62:
                                        ; implicit-def: $vgpr19
                                        ; implicit-def: $vgpr2_vgpr3_vgpr4_vgpr5_vgpr6_vgpr7_vgpr8_vgpr9_vgpr10_vgpr11_vgpr12_vgpr13_vgpr14_vgpr15_vgpr16_vgpr17
	s_cbranch_execz .LBB1707_72
; %bb.63:
	s_nop 0
	v_mov_b32_dpp v2, v52 row_shr:1 row_mask:0xf bank_mask:0xf
	v_cndmask_b32_e64 v2, v2, 0, s[14:15]
	v_add_u32_e32 v2, v2, v52
	s_nop 1
	v_mov_b32_dpp v3, v2 row_shr:2 row_mask:0xf bank_mask:0xf
	v_cndmask_b32_e64 v3, 0, v3, s[12:13]
	v_add_u32_e32 v2, v2, v3
	s_nop 1
	v_mov_b32_dpp v3, v2 row_shr:4 row_mask:0xf bank_mask:0xf
	v_cndmask_b32_e64 v3, 0, v3, s[10:11]
	v_add_u32_e32 v2, v2, v3
	s_nop 1
	v_mov_b32_dpp v3, v2 row_shr:8 row_mask:0xf bank_mask:0xf
	v_cndmask_b32_e64 v3, 0, v3, s[8:9]
	v_add_u32_e32 v2, v2, v3
	s_nop 1
	v_mov_b32_dpp v3, v2 row_bcast:15 row_mask:0xf bank_mask:0xf
	v_cndmask_b32_e64 v3, v3, 0, s[18:19]
	v_add_u32_e32 v2, v2, v3
	s_nop 1
	v_mov_b32_dpp v3, v2 row_bcast:31 row_mask:0xf bank_mask:0xf
	v_cndmask_b32_e64 v3, 0, v3, s[2:3]
	v_add_u32_e32 v2, v2, v3
	s_and_saveexec_b64 s[2:3], s[4:5]
	s_cbranch_execz .LBB1707_65
; %bb.64:
	v_lshlrev_b32_e32 v3, 2, v51
	ds_write_b32 v3, v2
.LBB1707_65:
	s_or_b64 exec, exec, s[2:3]
	v_cmp_gt_u32_e32 vcc, 4, v0
	s_waitcnt lgkmcnt(0)
	s_barrier
	s_and_saveexec_b64 s[2:3], vcc
	s_cbranch_execz .LBB1707_67
; %bb.66:
	ds_read_b32 v3, v1
	v_and_b32_e32 v4, 3, v50
	v_cmp_ne_u32_e32 vcc, 0, v4
	s_waitcnt lgkmcnt(0)
	v_mov_b32_dpp v5, v3 row_shr:1 row_mask:0xf bank_mask:0xf
	v_cndmask_b32_e32 v5, 0, v5, vcc
	v_add_u32_e32 v3, v5, v3
	v_cmp_lt_u32_e32 vcc, 1, v4
	s_nop 0
	v_mov_b32_dpp v5, v3 row_shr:2 row_mask:0xf bank_mask:0xf
	v_cndmask_b32_e32 v4, 0, v5, vcc
	v_add_u32_e32 v3, v3, v4
	ds_write_b32 v1, v3
.LBB1707_67:
	s_or_b64 exec, exec, s[2:3]
	v_cmp_lt_u32_e32 vcc, 63, v0
	v_mov_b32_e32 v4, 0
	v_mov_b32_e32 v3, 0
	s_waitcnt lgkmcnt(0)
	s_barrier
	s_and_saveexec_b64 s[2:3], vcc
	s_cbranch_execz .LBB1707_69
; %bb.68:
	v_lshl_add_u32 v3, v51, 2, -4
	ds_read_b32 v3, v3
.LBB1707_69:
	s_or_b64 exec, exec, s[2:3]
	v_add_u32_e32 v5, -1, v50
	v_and_b32_e32 v6, 64, v50
	v_cmp_lt_i32_e32 vcc, v5, v6
	v_cndmask_b32_e32 v5, v5, v50, vcc
	s_waitcnt lgkmcnt(0)
	v_add_u32_e32 v2, v3, v2
	v_lshlrev_b32_e32 v5, 2, v5
	ds_bpermute_b32 v2, v5, v2
	ds_read_b32 v18, v4 offset:12
	v_cmp_eq_u32_e32 vcc, 0, v0
	s_and_saveexec_b64 s[2:3], vcc
	s_cbranch_execz .LBB1707_71
; %bb.70:
	v_mov_b32_e32 v4, 0
	v_mov_b32_e32 v19, 2
	s_waitcnt lgkmcnt(0)
	global_store_dwordx2 v4, v[18:19], s[34:35] offset:512
.LBB1707_71:
	s_or_b64 exec, exec, s[2:3]
	v_cmp_eq_u32_e64 s[2:3], 0, v50
	s_waitcnt lgkmcnt(1)
	v_cndmask_b32_e64 v2, v2, v3, s[2:3]
	v_cndmask_b32_e64 v2, v2, 0, vcc
	v_add_u32_e32 v3, v2, v41
	v_add_u32_e32 v4, v3, v42
	;; [unrolled: 1-line block ×11, first 2 shown]
	v_mov_b32_e32 v19, 0
	v_add_u32_e32 v14, v13, v38
	s_waitcnt lgkmcnt(0)
	s_barrier
.LBB1707_72:
	s_waitcnt lgkmcnt(0)
	v_add_u32_e32 v33, v18, v33
	v_sub_u32_e32 v2, v2, v19
	v_and_b32_e32 v42, 1, v37
	v_sub_u32_e32 v41, v33, v2
	v_cmp_eq_u32_e32 vcc, 1, v42
	v_cndmask_b32_e32 v2, v41, v2, vcc
	v_lshlrev_b32_e32 v2, 2, v2
	v_lshrrev_b32_e32 v17, 8, v37
	ds_write_b32 v2, v30
	v_sub_u32_e32 v2, v3, v19
	v_sub_u32_e32 v3, v33, v2
	v_and_b32_e32 v17, 1, v17
	v_add_u32_e32 v3, 1, v3
	v_cmp_eq_u32_e32 vcc, 1, v17
	v_cndmask_b32_e32 v2, v3, v2, vcc
	v_lshlrev_b32_e32 v2, 2, v2
	ds_write_b32 v2, v31
	v_sub_u32_e32 v2, v4, v19
	v_mov_b32_e32 v4, 1
	v_sub_u32_e32 v3, v33, v2
	v_and_b32_sdwa v17, v4, v37 dst_sel:DWORD dst_unused:UNUSED_PAD src0_sel:DWORD src1_sel:WORD_1
	v_add_u32_e32 v3, 2, v3
	v_cmp_eq_u32_e32 vcc, 1, v17
	v_cndmask_b32_e32 v2, v3, v2, vcc
	v_lshlrev_b32_e32 v2, 2, v2
	ds_write_b32 v2, v28
	v_sub_u32_e32 v2, v5, v19
	v_sub_u32_e32 v3, v33, v2
	v_and_b32_e32 v5, 1, v40
	v_add_u32_e32 v3, 3, v3
	v_cmp_eq_u32_e32 vcc, 1, v5
	v_cndmask_b32_e32 v2, v3, v2, vcc
	v_lshlrev_b32_e32 v2, 2, v2
	ds_write_b32 v2, v29
	v_sub_u32_e32 v2, v6, v19
	v_sub_u32_e32 v3, v33, v2
	v_and_b32_e32 v5, 1, v36
	v_add_u32_e32 v3, 4, v3
	v_cmp_eq_u32_e32 vcc, 1, v5
	v_cndmask_b32_e32 v2, v3, v2, vcc
	v_lshlrev_b32_e32 v2, 2, v2
	v_lshrrev_b32_e32 v16, 8, v36
	ds_write_b32 v2, v26
	v_sub_u32_e32 v2, v7, v19
	v_sub_u32_e32 v3, v33, v2
	v_and_b32_e32 v5, 1, v16
	v_add_u32_e32 v3, 5, v3
	v_cmp_eq_u32_e32 vcc, 1, v5
	v_cndmask_b32_e32 v2, v3, v2, vcc
	v_lshlrev_b32_e32 v2, 2, v2
	ds_write_b32 v2, v27
	v_sub_u32_e32 v2, v8, v19
	v_sub_u32_e32 v3, v33, v2
	v_and_b32_sdwa v5, v4, v36 dst_sel:DWORD dst_unused:UNUSED_PAD src0_sel:DWORD src1_sel:WORD_1
	v_add_u32_e32 v3, 6, v3
	v_cmp_eq_u32_e32 vcc, 1, v5
	v_cndmask_b32_e32 v2, v3, v2, vcc
	v_lshlrev_b32_e32 v2, 2, v2
	ds_write_b32 v2, v24
	v_sub_u32_e32 v2, v9, v19
	v_sub_u32_e32 v3, v33, v2
	v_and_b32_e32 v5, 1, v39
	v_add_u32_e32 v3, 7, v3
	v_cmp_eq_u32_e32 vcc, 1, v5
	v_cndmask_b32_e32 v2, v3, v2, vcc
	v_lshlrev_b32_e32 v2, 2, v2
	ds_write_b32 v2, v25
	v_sub_u32_e32 v2, v10, v19
	v_sub_u32_e32 v3, v33, v2
	v_and_b32_e32 v5, 1, v35
	v_add_u32_e32 v3, 8, v3
	v_cmp_eq_u32_e32 vcc, 1, v5
	v_cndmask_b32_e32 v2, v3, v2, vcc
	v_lshlrev_b32_e32 v2, 2, v2
	v_lshrrev_b32_e32 v15, 8, v35
	ds_write_b32 v2, v22
	v_sub_u32_e32 v2, v11, v19
	v_sub_u32_e32 v3, v33, v2
	v_and_b32_e32 v5, 1, v15
	v_add_u32_e32 v3, 9, v3
	v_cmp_eq_u32_e32 vcc, 1, v5
	v_cndmask_b32_e32 v2, v3, v2, vcc
	v_lshlrev_b32_e32 v2, 2, v2
	ds_write_b32 v2, v23
	v_sub_u32_e32 v2, v12, v19
	v_sub_u32_e32 v3, v33, v2
	v_and_b32_sdwa v4, v4, v35 dst_sel:DWORD dst_unused:UNUSED_PAD src0_sel:DWORD src1_sel:WORD_1
	v_add_u32_e32 v3, 10, v3
	v_cmp_eq_u32_e32 vcc, 1, v4
	v_cndmask_b32_e32 v2, v3, v2, vcc
	v_lshlrev_b32_e32 v2, 2, v2
	ds_write_b32 v2, v20
	v_sub_u32_e32 v2, v13, v19
	v_sub_u32_e32 v3, v33, v2
	v_and_b32_e32 v4, 1, v38
	v_add_u32_e32 v3, 11, v3
	v_cmp_eq_u32_e32 vcc, 1, v4
	v_cndmask_b32_e32 v2, v3, v2, vcc
	v_lshlrev_b32_e32 v2, 2, v2
	ds_write_b32 v2, v21
	v_sub_u32_e32 v2, v14, v19
	v_sub_u32_e32 v3, v33, v2
	v_and_b32_e32 v4, 1, v34
	v_add_u32_e32 v3, 12, v3
	v_cmp_eq_u32_e32 vcc, 1, v4
	v_cndmask_b32_e32 v2, v3, v2, vcc
	s_add_u32 s2, s28, s42
	v_lshlrev_b32_e32 v2, 2, v2
	s_addc_u32 s3, s29, 0
	ds_write_b32 v2, v32
	s_waitcnt lgkmcnt(0)
	s_barrier
	ds_read2st64_b32 v[12:13], v1 offset1:4
	ds_read2st64_b32 v[10:11], v1 offset0:8 offset1:12
	ds_read2st64_b32 v[8:9], v1 offset0:16 offset1:20
	;; [unrolled: 1-line block ×5, first 2 shown]
	ds_read_b32 v17, v1 offset:12288
	v_mov_b32_e32 v14, s31
	v_add_co_u32_e32 v1, vcc, s30, v19
	s_sub_u32 s2, s26, s2
	v_addc_co_u32_e32 v16, vcc, 0, v14, vcc
	s_subb_u32 s3, s27, s3
	v_mov_b32_e32 v14, s3
	v_add_co_u32_e32 v15, vcc, s2, v18
	v_addc_co_u32_e32 v14, vcc, 0, v14, vcc
	s_and_b64 vcc, exec, s[0:1]
	v_add_co_u32_e64 v19, s[0:1], v15, v1
	v_or_b32_e32 v32, 0x100, v0
	v_or_b32_e32 v31, 0x200, v0
	v_or_b32_e32 v30, 0x300, v0
	v_or_b32_e32 v29, 0x400, v0
	v_or_b32_e32 v28, 0x500, v0
	v_or_b32_e32 v27, 0x600, v0
	v_or_b32_e32 v26, 0x700, v0
	v_or_b32_e32 v25, 0x800, v0
	v_or_b32_e32 v24, 0x900, v0
	v_or_b32_e32 v23, 0xa00, v0
	v_or_b32_e32 v22, 0xb00, v0
	v_or_b32_e32 v20, 0xc00, v0
	v_addc_co_u32_e64 v21, s[0:1], v14, v16, s[0:1]
	s_cbranch_vccnz .LBB1707_126
; %bb.73:
	v_cmp_ge_u32_e32 vcc, v0, v18
                                        ; implicit-def: $vgpr14_vgpr15
	s_and_saveexec_b64 s[0:1], vcc
	s_xor_b64 s[0:1], exec, s[0:1]
; %bb.74:
	v_not_b32_e32 v14, v0
	v_ashrrev_i32_e32 v15, 31, v14
	v_add_co_u32_e32 v14, vcc, v19, v14
	v_addc_co_u32_e32 v15, vcc, v21, v15, vcc
; %bb.75:
	s_andn2_saveexec_b64 s[0:1], s[0:1]
; %bb.76:
	v_add_co_u32_e32 v14, vcc, v1, v0
	v_addc_co_u32_e32 v15, vcc, 0, v16, vcc
; %bb.77:
	s_or_b64 exec, exec, s[0:1]
	v_lshlrev_b64 v[14:15], 2, v[14:15]
	v_mov_b32_e32 v33, s25
	v_add_co_u32_e32 v14, vcc, s24, v14
	v_addc_co_u32_e32 v15, vcc, v33, v15, vcc
	v_cmp_ge_u32_e32 vcc, v32, v18
	s_waitcnt lgkmcnt(6)
	global_store_dword v[14:15], v12, off
                                        ; implicit-def: $vgpr14_vgpr15
	s_and_saveexec_b64 s[0:1], vcc
	s_xor_b64 s[0:1], exec, s[0:1]
; %bb.78:
	v_xor_b32_e32 v14, 0xfffffeff, v0
	v_ashrrev_i32_e32 v15, 31, v14
	v_add_co_u32_e32 v14, vcc, v19, v14
	v_addc_co_u32_e32 v15, vcc, v21, v15, vcc
; %bb.79:
	s_andn2_saveexec_b64 s[0:1], s[0:1]
; %bb.80:
	v_add_co_u32_e32 v14, vcc, v1, v32
	v_addc_co_u32_e32 v15, vcc, 0, v16, vcc
; %bb.81:
	s_or_b64 exec, exec, s[0:1]
	v_lshlrev_b64 v[14:15], 2, v[14:15]
	v_mov_b32_e32 v33, s25
	v_add_co_u32_e32 v14, vcc, s24, v14
	v_addc_co_u32_e32 v15, vcc, v33, v15, vcc
	v_cmp_ge_u32_e32 vcc, v31, v18
	global_store_dword v[14:15], v13, off
                                        ; implicit-def: $vgpr14_vgpr15
	s_and_saveexec_b64 s[0:1], vcc
	s_xor_b64 s[0:1], exec, s[0:1]
; %bb.82:
	v_xor_b32_e32 v14, 0xfffffdff, v0
	v_ashrrev_i32_e32 v15, 31, v14
	v_add_co_u32_e32 v14, vcc, v19, v14
	v_addc_co_u32_e32 v15, vcc, v21, v15, vcc
; %bb.83:
	s_andn2_saveexec_b64 s[0:1], s[0:1]
; %bb.84:
	v_add_co_u32_e32 v14, vcc, v1, v31
	v_addc_co_u32_e32 v15, vcc, 0, v16, vcc
; %bb.85:
	s_or_b64 exec, exec, s[0:1]
	v_lshlrev_b64 v[14:15], 2, v[14:15]
	v_mov_b32_e32 v33, s25
	v_add_co_u32_e32 v14, vcc, s24, v14
	v_addc_co_u32_e32 v15, vcc, v33, v15, vcc
	v_cmp_ge_u32_e32 vcc, v30, v18
	s_waitcnt lgkmcnt(5)
	global_store_dword v[14:15], v10, off
                                        ; implicit-def: $vgpr14_vgpr15
	s_and_saveexec_b64 s[0:1], vcc
	s_xor_b64 s[0:1], exec, s[0:1]
; %bb.86:
	v_xor_b32_e32 v14, 0xfffffcff, v0
	v_ashrrev_i32_e32 v15, 31, v14
	v_add_co_u32_e32 v14, vcc, v19, v14
	v_addc_co_u32_e32 v15, vcc, v21, v15, vcc
; %bb.87:
	s_andn2_saveexec_b64 s[0:1], s[0:1]
; %bb.88:
	v_add_co_u32_e32 v14, vcc, v1, v30
	v_addc_co_u32_e32 v15, vcc, 0, v16, vcc
; %bb.89:
	s_or_b64 exec, exec, s[0:1]
	v_lshlrev_b64 v[14:15], 2, v[14:15]
	v_mov_b32_e32 v33, s25
	v_add_co_u32_e32 v14, vcc, s24, v14
	v_addc_co_u32_e32 v15, vcc, v33, v15, vcc
	v_cmp_ge_u32_e32 vcc, v29, v18
	global_store_dword v[14:15], v11, off
                                        ; implicit-def: $vgpr14_vgpr15
	s_and_saveexec_b64 s[0:1], vcc
	s_xor_b64 s[0:1], exec, s[0:1]
; %bb.90:
	v_xor_b32_e32 v14, 0xfffffbff, v0
	;; [unrolled: 43-line block ×6, first 2 shown]
	v_ashrrev_i32_e32 v15, 31, v14
	v_add_co_u32_e32 v14, vcc, v19, v14
	v_addc_co_u32_e32 v15, vcc, v21, v15, vcc
; %bb.123:
	s_andn2_saveexec_b64 s[0:1], s[0:1]
; %bb.124:
	v_add_co_u32_e32 v14, vcc, v1, v20
	v_addc_co_u32_e32 v15, vcc, 0, v16, vcc
; %bb.125:
	s_or_b64 exec, exec, s[0:1]
	s_mov_b64 s[0:1], -1
	s_branch .LBB1707_206
.LBB1707_126:
	s_mov_b64 s[0:1], 0
                                        ; implicit-def: $vgpr14_vgpr15
	s_cbranch_execz .LBB1707_206
; %bb.127:
	v_cmp_gt_u32_e32 vcc, s33, v0
	s_and_saveexec_b64 s[2:3], vcc
	s_cbranch_execz .LBB1707_163
; %bb.128:
	v_cmp_ge_u32_e32 vcc, v0, v18
                                        ; implicit-def: $vgpr14_vgpr15
	s_and_saveexec_b64 s[4:5], vcc
	s_xor_b64 s[4:5], exec, s[4:5]
; %bb.129:
	v_not_b32_e32 v14, v0
	v_ashrrev_i32_e32 v15, 31, v14
	v_add_co_u32_e32 v14, vcc, v19, v14
	v_addc_co_u32_e32 v15, vcc, v21, v15, vcc
; %bb.130:
	s_andn2_saveexec_b64 s[4:5], s[4:5]
; %bb.131:
	v_add_co_u32_e32 v14, vcc, v1, v0
	v_addc_co_u32_e32 v15, vcc, 0, v16, vcc
; %bb.132:
	s_or_b64 exec, exec, s[4:5]
	v_lshlrev_b64 v[14:15], 2, v[14:15]
	v_mov_b32_e32 v33, s25
	v_add_co_u32_e32 v14, vcc, s24, v14
	v_addc_co_u32_e32 v15, vcc, v33, v15, vcc
	s_waitcnt lgkmcnt(6)
	global_store_dword v[14:15], v12, off
	s_or_b64 exec, exec, s[2:3]
	v_cmp_gt_u32_e32 vcc, s33, v32
	s_and_saveexec_b64 s[2:3], vcc
	s_cbranch_execnz .LBB1707_164
.LBB1707_133:
	s_or_b64 exec, exec, s[2:3]
	v_cmp_gt_u32_e32 vcc, s33, v31
	s_and_saveexec_b64 s[2:3], vcc
	s_cbranch_execz .LBB1707_169
.LBB1707_134:
	v_cmp_ge_u32_e32 vcc, v31, v18
                                        ; implicit-def: $vgpr12_vgpr13
	s_and_saveexec_b64 s[4:5], vcc
	s_xor_b64 s[4:5], exec, s[4:5]
	s_cbranch_execz .LBB1707_136
; %bb.135:
	s_waitcnt lgkmcnt(6)
	v_xor_b32_e32 v12, 0xfffffdff, v0
	v_ashrrev_i32_e32 v13, 31, v12
	v_add_co_u32_e32 v12, vcc, v19, v12
	v_addc_co_u32_e32 v13, vcc, v21, v13, vcc
                                        ; implicit-def: $vgpr31
.LBB1707_136:
	s_andn2_saveexec_b64 s[4:5], s[4:5]
	s_cbranch_execz .LBB1707_138
; %bb.137:
	s_waitcnt lgkmcnt(6)
	v_add_co_u32_e32 v12, vcc, v1, v31
	v_addc_co_u32_e32 v13, vcc, 0, v16, vcc
.LBB1707_138:
	s_or_b64 exec, exec, s[4:5]
	s_waitcnt lgkmcnt(6)
	v_lshlrev_b64 v[12:13], 2, v[12:13]
	v_mov_b32_e32 v14, s25
	v_add_co_u32_e32 v12, vcc, s24, v12
	v_addc_co_u32_e32 v13, vcc, v14, v13, vcc
	s_waitcnt lgkmcnt(5)
	global_store_dword v[12:13], v10, off
	s_or_b64 exec, exec, s[2:3]
	v_cmp_gt_u32_e32 vcc, s33, v30
	s_and_saveexec_b64 s[2:3], vcc
	s_cbranch_execnz .LBB1707_170
.LBB1707_139:
	s_or_b64 exec, exec, s[2:3]
	v_cmp_gt_u32_e32 vcc, s33, v29
	s_and_saveexec_b64 s[2:3], vcc
	s_cbranch_execz .LBB1707_175
.LBB1707_140:
	v_cmp_ge_u32_e32 vcc, v29, v18
                                        ; implicit-def: $vgpr10_vgpr11
	s_and_saveexec_b64 s[4:5], vcc
	s_xor_b64 s[4:5], exec, s[4:5]
	s_cbranch_execz .LBB1707_142
; %bb.141:
	s_waitcnt lgkmcnt(5)
	v_xor_b32_e32 v10, 0xfffffbff, v0
	v_ashrrev_i32_e32 v11, 31, v10
	v_add_co_u32_e32 v10, vcc, v19, v10
	v_addc_co_u32_e32 v11, vcc, v21, v11, vcc
                                        ; implicit-def: $vgpr29
.LBB1707_142:
	s_andn2_saveexec_b64 s[4:5], s[4:5]
	s_cbranch_execz .LBB1707_144
; %bb.143:
	s_waitcnt lgkmcnt(5)
	v_add_co_u32_e32 v10, vcc, v1, v29
	v_addc_co_u32_e32 v11, vcc, 0, v16, vcc
.LBB1707_144:
	s_or_b64 exec, exec, s[4:5]
	s_waitcnt lgkmcnt(5)
	v_lshlrev_b64 v[10:11], 2, v[10:11]
	v_mov_b32_e32 v12, s25
	v_add_co_u32_e32 v10, vcc, s24, v10
	v_addc_co_u32_e32 v11, vcc, v12, v11, vcc
	s_waitcnt lgkmcnt(4)
	global_store_dword v[10:11], v8, off
	s_or_b64 exec, exec, s[2:3]
	v_cmp_gt_u32_e32 vcc, s33, v28
	s_and_saveexec_b64 s[2:3], vcc
	s_cbranch_execnz .LBB1707_176
.LBB1707_145:
	s_or_b64 exec, exec, s[2:3]
	v_cmp_gt_u32_e32 vcc, s33, v27
	s_and_saveexec_b64 s[2:3], vcc
	s_cbranch_execz .LBB1707_181
.LBB1707_146:
	v_cmp_ge_u32_e32 vcc, v27, v18
                                        ; implicit-def: $vgpr8_vgpr9
	s_and_saveexec_b64 s[4:5], vcc
	s_xor_b64 s[4:5], exec, s[4:5]
	s_cbranch_execz .LBB1707_148
; %bb.147:
	s_waitcnt lgkmcnt(4)
	v_xor_b32_e32 v8, 0xfffff9ff, v0
	v_ashrrev_i32_e32 v9, 31, v8
	v_add_co_u32_e32 v8, vcc, v19, v8
	v_addc_co_u32_e32 v9, vcc, v21, v9, vcc
                                        ; implicit-def: $vgpr27
.LBB1707_148:
	s_andn2_saveexec_b64 s[4:5], s[4:5]
	s_cbranch_execz .LBB1707_150
; %bb.149:
	s_waitcnt lgkmcnt(4)
	v_add_co_u32_e32 v8, vcc, v1, v27
	v_addc_co_u32_e32 v9, vcc, 0, v16, vcc
.LBB1707_150:
	s_or_b64 exec, exec, s[4:5]
	s_waitcnt lgkmcnt(4)
	v_lshlrev_b64 v[8:9], 2, v[8:9]
	v_mov_b32_e32 v10, s25
	v_add_co_u32_e32 v8, vcc, s24, v8
	v_addc_co_u32_e32 v9, vcc, v10, v9, vcc
	s_waitcnt lgkmcnt(3)
	global_store_dword v[8:9], v6, off
	s_or_b64 exec, exec, s[2:3]
	v_cmp_gt_u32_e32 vcc, s33, v26
	s_and_saveexec_b64 s[2:3], vcc
	s_cbranch_execnz .LBB1707_182
.LBB1707_151:
	s_or_b64 exec, exec, s[2:3]
	v_cmp_gt_u32_e32 vcc, s33, v25
	s_and_saveexec_b64 s[2:3], vcc
	s_cbranch_execz .LBB1707_187
.LBB1707_152:
	v_cmp_ge_u32_e32 vcc, v25, v18
                                        ; implicit-def: $vgpr6_vgpr7
	s_and_saveexec_b64 s[4:5], vcc
	s_xor_b64 s[4:5], exec, s[4:5]
	s_cbranch_execz .LBB1707_154
; %bb.153:
	s_waitcnt lgkmcnt(3)
	v_xor_b32_e32 v6, 0xfffff7ff, v0
	v_ashrrev_i32_e32 v7, 31, v6
	v_add_co_u32_e32 v6, vcc, v19, v6
	v_addc_co_u32_e32 v7, vcc, v21, v7, vcc
                                        ; implicit-def: $vgpr25
.LBB1707_154:
	s_andn2_saveexec_b64 s[4:5], s[4:5]
	s_cbranch_execz .LBB1707_156
; %bb.155:
	s_waitcnt lgkmcnt(3)
	v_add_co_u32_e32 v6, vcc, v1, v25
	v_addc_co_u32_e32 v7, vcc, 0, v16, vcc
.LBB1707_156:
	s_or_b64 exec, exec, s[4:5]
	s_waitcnt lgkmcnt(3)
	v_lshlrev_b64 v[6:7], 2, v[6:7]
	v_mov_b32_e32 v8, s25
	v_add_co_u32_e32 v6, vcc, s24, v6
	v_addc_co_u32_e32 v7, vcc, v8, v7, vcc
	s_waitcnt lgkmcnt(2)
	global_store_dword v[6:7], v4, off
	s_or_b64 exec, exec, s[2:3]
	v_cmp_gt_u32_e32 vcc, s33, v24
	s_and_saveexec_b64 s[2:3], vcc
	s_cbranch_execnz .LBB1707_188
.LBB1707_157:
	s_or_b64 exec, exec, s[2:3]
	v_cmp_gt_u32_e32 vcc, s33, v23
	s_and_saveexec_b64 s[2:3], vcc
	s_cbranch_execz .LBB1707_193
.LBB1707_158:
	v_cmp_ge_u32_e32 vcc, v23, v18
                                        ; implicit-def: $vgpr4_vgpr5
	s_and_saveexec_b64 s[4:5], vcc
	s_xor_b64 s[4:5], exec, s[4:5]
	s_cbranch_execz .LBB1707_160
; %bb.159:
	s_waitcnt lgkmcnt(2)
	v_xor_b32_e32 v4, 0xfffff5ff, v0
	v_ashrrev_i32_e32 v5, 31, v4
	v_add_co_u32_e32 v4, vcc, v19, v4
	v_addc_co_u32_e32 v5, vcc, v21, v5, vcc
                                        ; implicit-def: $vgpr23
.LBB1707_160:
	s_andn2_saveexec_b64 s[4:5], s[4:5]
	s_cbranch_execz .LBB1707_162
; %bb.161:
	s_waitcnt lgkmcnt(2)
	v_add_co_u32_e32 v4, vcc, v1, v23
	v_addc_co_u32_e32 v5, vcc, 0, v16, vcc
.LBB1707_162:
	s_or_b64 exec, exec, s[4:5]
	s_waitcnt lgkmcnt(2)
	v_lshlrev_b64 v[4:5], 2, v[4:5]
	v_mov_b32_e32 v6, s25
	v_add_co_u32_e32 v4, vcc, s24, v4
	v_addc_co_u32_e32 v5, vcc, v6, v5, vcc
	s_waitcnt lgkmcnt(1)
	global_store_dword v[4:5], v2, off
	s_or_b64 exec, exec, s[2:3]
	v_cmp_gt_u32_e32 vcc, s33, v22
	s_and_saveexec_b64 s[2:3], vcc
	s_cbranch_execz .LBB1707_199
	s_branch .LBB1707_194
.LBB1707_163:
	s_or_b64 exec, exec, s[2:3]
	v_cmp_gt_u32_e32 vcc, s33, v32
	s_and_saveexec_b64 s[2:3], vcc
	s_cbranch_execz .LBB1707_133
.LBB1707_164:
	v_cmp_ge_u32_e32 vcc, v32, v18
                                        ; implicit-def: $vgpr14_vgpr15
	s_and_saveexec_b64 s[4:5], vcc
	s_xor_b64 s[4:5], exec, s[4:5]
	s_cbranch_execz .LBB1707_166
; %bb.165:
	s_waitcnt lgkmcnt(6)
	v_xor_b32_e32 v12, 0xfffffeff, v0
	v_ashrrev_i32_e32 v15, 31, v12
	v_add_co_u32_e32 v14, vcc, v19, v12
	v_addc_co_u32_e32 v15, vcc, v21, v15, vcc
                                        ; implicit-def: $vgpr32
.LBB1707_166:
	s_andn2_saveexec_b64 s[4:5], s[4:5]
; %bb.167:
	v_add_co_u32_e32 v14, vcc, v1, v32
	v_addc_co_u32_e32 v15, vcc, 0, v16, vcc
; %bb.168:
	s_or_b64 exec, exec, s[4:5]
	v_lshlrev_b64 v[14:15], 2, v[14:15]
	s_waitcnt lgkmcnt(6)
	v_mov_b32_e32 v12, s25
	v_add_co_u32_e32 v14, vcc, s24, v14
	v_addc_co_u32_e32 v15, vcc, v12, v15, vcc
	global_store_dword v[14:15], v13, off
	s_or_b64 exec, exec, s[2:3]
	v_cmp_gt_u32_e32 vcc, s33, v31
	s_and_saveexec_b64 s[2:3], vcc
	s_cbranch_execnz .LBB1707_134
.LBB1707_169:
	s_or_b64 exec, exec, s[2:3]
	v_cmp_gt_u32_e32 vcc, s33, v30
	s_and_saveexec_b64 s[2:3], vcc
	s_cbranch_execz .LBB1707_139
.LBB1707_170:
	v_cmp_ge_u32_e32 vcc, v30, v18
                                        ; implicit-def: $vgpr12_vgpr13
	s_and_saveexec_b64 s[4:5], vcc
	s_xor_b64 s[4:5], exec, s[4:5]
	s_cbranch_execz .LBB1707_172
; %bb.171:
	s_waitcnt lgkmcnt(5)
	v_xor_b32_e32 v10, 0xfffffcff, v0
	v_ashrrev_i32_e32 v13, 31, v10
	v_add_co_u32_e32 v12, vcc, v19, v10
	v_addc_co_u32_e32 v13, vcc, v21, v13, vcc
                                        ; implicit-def: $vgpr30
.LBB1707_172:
	s_andn2_saveexec_b64 s[4:5], s[4:5]
	s_cbranch_execz .LBB1707_174
; %bb.173:
	s_waitcnt lgkmcnt(6)
	v_add_co_u32_e32 v12, vcc, v1, v30
	v_addc_co_u32_e32 v13, vcc, 0, v16, vcc
.LBB1707_174:
	s_or_b64 exec, exec, s[4:5]
	s_waitcnt lgkmcnt(6)
	v_lshlrev_b64 v[12:13], 2, v[12:13]
	s_waitcnt lgkmcnt(5)
	v_mov_b32_e32 v10, s25
	v_add_co_u32_e32 v12, vcc, s24, v12
	v_addc_co_u32_e32 v13, vcc, v10, v13, vcc
	global_store_dword v[12:13], v11, off
	s_or_b64 exec, exec, s[2:3]
	v_cmp_gt_u32_e32 vcc, s33, v29
	s_and_saveexec_b64 s[2:3], vcc
	s_cbranch_execnz .LBB1707_140
.LBB1707_175:
	s_or_b64 exec, exec, s[2:3]
	v_cmp_gt_u32_e32 vcc, s33, v28
	s_and_saveexec_b64 s[2:3], vcc
	s_cbranch_execz .LBB1707_145
.LBB1707_176:
	v_cmp_ge_u32_e32 vcc, v28, v18
                                        ; implicit-def: $vgpr10_vgpr11
	s_and_saveexec_b64 s[4:5], vcc
	s_xor_b64 s[4:5], exec, s[4:5]
	s_cbranch_execz .LBB1707_178
; %bb.177:
	s_waitcnt lgkmcnt(4)
	v_xor_b32_e32 v8, 0xfffffaff, v0
	v_ashrrev_i32_e32 v11, 31, v8
	v_add_co_u32_e32 v10, vcc, v19, v8
	v_addc_co_u32_e32 v11, vcc, v21, v11, vcc
                                        ; implicit-def: $vgpr28
.LBB1707_178:
	s_andn2_saveexec_b64 s[4:5], s[4:5]
	s_cbranch_execz .LBB1707_180
; %bb.179:
	s_waitcnt lgkmcnt(5)
	v_add_co_u32_e32 v10, vcc, v1, v28
	v_addc_co_u32_e32 v11, vcc, 0, v16, vcc
.LBB1707_180:
	s_or_b64 exec, exec, s[4:5]
	s_waitcnt lgkmcnt(5)
	v_lshlrev_b64 v[10:11], 2, v[10:11]
	s_waitcnt lgkmcnt(4)
	v_mov_b32_e32 v8, s25
	v_add_co_u32_e32 v10, vcc, s24, v10
	v_addc_co_u32_e32 v11, vcc, v8, v11, vcc
	global_store_dword v[10:11], v9, off
	s_or_b64 exec, exec, s[2:3]
	v_cmp_gt_u32_e32 vcc, s33, v27
	s_and_saveexec_b64 s[2:3], vcc
	s_cbranch_execnz .LBB1707_146
.LBB1707_181:
	s_or_b64 exec, exec, s[2:3]
	v_cmp_gt_u32_e32 vcc, s33, v26
	s_and_saveexec_b64 s[2:3], vcc
	s_cbranch_execz .LBB1707_151
.LBB1707_182:
	v_cmp_ge_u32_e32 vcc, v26, v18
                                        ; implicit-def: $vgpr8_vgpr9
	s_and_saveexec_b64 s[4:5], vcc
	s_xor_b64 s[4:5], exec, s[4:5]
	s_cbranch_execz .LBB1707_184
; %bb.183:
	s_waitcnt lgkmcnt(3)
	v_xor_b32_e32 v6, 0xfffff8ff, v0
	v_ashrrev_i32_e32 v9, 31, v6
	v_add_co_u32_e32 v8, vcc, v19, v6
	v_addc_co_u32_e32 v9, vcc, v21, v9, vcc
                                        ; implicit-def: $vgpr26
.LBB1707_184:
	s_andn2_saveexec_b64 s[4:5], s[4:5]
	s_cbranch_execz .LBB1707_186
; %bb.185:
	s_waitcnt lgkmcnt(4)
	v_add_co_u32_e32 v8, vcc, v1, v26
	v_addc_co_u32_e32 v9, vcc, 0, v16, vcc
.LBB1707_186:
	s_or_b64 exec, exec, s[4:5]
	s_waitcnt lgkmcnt(4)
	v_lshlrev_b64 v[8:9], 2, v[8:9]
	s_waitcnt lgkmcnt(3)
	v_mov_b32_e32 v6, s25
	v_add_co_u32_e32 v8, vcc, s24, v8
	v_addc_co_u32_e32 v9, vcc, v6, v9, vcc
	global_store_dword v[8:9], v7, off
	s_or_b64 exec, exec, s[2:3]
	v_cmp_gt_u32_e32 vcc, s33, v25
	s_and_saveexec_b64 s[2:3], vcc
	s_cbranch_execnz .LBB1707_152
.LBB1707_187:
	s_or_b64 exec, exec, s[2:3]
	v_cmp_gt_u32_e32 vcc, s33, v24
	s_and_saveexec_b64 s[2:3], vcc
	s_cbranch_execz .LBB1707_157
.LBB1707_188:
	v_cmp_ge_u32_e32 vcc, v24, v18
                                        ; implicit-def: $vgpr6_vgpr7
	s_and_saveexec_b64 s[4:5], vcc
	s_xor_b64 s[4:5], exec, s[4:5]
	s_cbranch_execz .LBB1707_190
; %bb.189:
	s_waitcnt lgkmcnt(2)
	v_xor_b32_e32 v4, 0xfffff6ff, v0
	v_ashrrev_i32_e32 v7, 31, v4
	v_add_co_u32_e32 v6, vcc, v19, v4
	v_addc_co_u32_e32 v7, vcc, v21, v7, vcc
                                        ; implicit-def: $vgpr24
.LBB1707_190:
	s_andn2_saveexec_b64 s[4:5], s[4:5]
	s_cbranch_execz .LBB1707_192
; %bb.191:
	s_waitcnt lgkmcnt(3)
	v_add_co_u32_e32 v6, vcc, v1, v24
	v_addc_co_u32_e32 v7, vcc, 0, v16, vcc
.LBB1707_192:
	s_or_b64 exec, exec, s[4:5]
	s_waitcnt lgkmcnt(3)
	v_lshlrev_b64 v[6:7], 2, v[6:7]
	s_waitcnt lgkmcnt(2)
	v_mov_b32_e32 v4, s25
	v_add_co_u32_e32 v6, vcc, s24, v6
	v_addc_co_u32_e32 v7, vcc, v4, v7, vcc
	global_store_dword v[6:7], v5, off
	s_or_b64 exec, exec, s[2:3]
	v_cmp_gt_u32_e32 vcc, s33, v23
	s_and_saveexec_b64 s[2:3], vcc
	s_cbranch_execnz .LBB1707_158
.LBB1707_193:
	s_or_b64 exec, exec, s[2:3]
	v_cmp_gt_u32_e32 vcc, s33, v22
	s_and_saveexec_b64 s[2:3], vcc
	s_cbranch_execz .LBB1707_199
.LBB1707_194:
	v_cmp_ge_u32_e32 vcc, v22, v18
                                        ; implicit-def: $vgpr4_vgpr5
	s_and_saveexec_b64 s[4:5], vcc
	s_xor_b64 s[4:5], exec, s[4:5]
	s_cbranch_execz .LBB1707_196
; %bb.195:
	s_waitcnt lgkmcnt(1)
	v_xor_b32_e32 v2, 0xfffff4ff, v0
	v_ashrrev_i32_e32 v5, 31, v2
	v_add_co_u32_e32 v4, vcc, v19, v2
	v_addc_co_u32_e32 v5, vcc, v21, v5, vcc
                                        ; implicit-def: $vgpr22
.LBB1707_196:
	s_andn2_saveexec_b64 s[4:5], s[4:5]
	s_cbranch_execz .LBB1707_198
; %bb.197:
	s_waitcnt lgkmcnt(2)
	v_add_co_u32_e32 v4, vcc, v1, v22
	v_addc_co_u32_e32 v5, vcc, 0, v16, vcc
.LBB1707_198:
	s_or_b64 exec, exec, s[4:5]
	s_waitcnt lgkmcnt(2)
	v_lshlrev_b64 v[4:5], 2, v[4:5]
	s_waitcnt lgkmcnt(1)
	v_mov_b32_e32 v2, s25
	v_add_co_u32_e32 v4, vcc, s24, v4
	v_addc_co_u32_e32 v5, vcc, v2, v5, vcc
	global_store_dword v[4:5], v3, off
.LBB1707_199:
	s_or_b64 exec, exec, s[2:3]
	v_cmp_gt_u32_e32 vcc, s33, v20
                                        ; implicit-def: $vgpr14_vgpr15
	s_and_saveexec_b64 s[2:3], vcc
	s_cbranch_execz .LBB1707_205
; %bb.200:
	v_cmp_ge_u32_e32 vcc, v20, v18
                                        ; implicit-def: $vgpr14_vgpr15
	s_and_saveexec_b64 s[4:5], vcc
	s_xor_b64 s[4:5], exec, s[4:5]
	s_cbranch_execz .LBB1707_202
; %bb.201:
	s_waitcnt lgkmcnt(1)
	v_xor_b32_e32 v2, 0xfffff3ff, v0
	v_ashrrev_i32_e32 v3, 31, v2
	v_add_co_u32_e32 v14, vcc, v19, v2
	v_addc_co_u32_e32 v15, vcc, v21, v3, vcc
                                        ; implicit-def: $vgpr20
.LBB1707_202:
	s_andn2_saveexec_b64 s[4:5], s[4:5]
; %bb.203:
	v_add_co_u32_e32 v14, vcc, v1, v20
	v_addc_co_u32_e32 v15, vcc, 0, v16, vcc
; %bb.204:
	s_or_b64 exec, exec, s[4:5]
	s_or_b64 s[0:1], s[0:1], exec
.LBB1707_205:
	s_or_b64 exec, exec, s[2:3]
.LBB1707_206:
	s_and_saveexec_b64 s[2:3], s[0:1]
	s_cbranch_execz .LBB1707_208
; %bb.207:
	s_waitcnt lgkmcnt(1)
	v_lshlrev_b64 v[2:3], 2, v[14:15]
	v_mov_b32_e32 v4, s25
	v_add_co_u32_e32 v2, vcc, s24, v2
	v_addc_co_u32_e32 v3, vcc, v4, v3, vcc
	s_waitcnt lgkmcnt(0)
	global_store_dword v[2:3], v17, off
.LBB1707_208:
	s_or_b64 exec, exec, s[2:3]
	v_cmp_eq_u32_e32 vcc, 0, v0
	s_and_b64 s[0:1], vcc, s[22:23]
	s_and_saveexec_b64 s[2:3], s[0:1]
	s_cbranch_execz .LBB1707_210
; %bb.209:
	v_add_co_u32_e32 v0, vcc, v1, v18
	s_waitcnt lgkmcnt(1)
	v_mov_b32_e32 v2, 0
	v_addc_co_u32_e32 v1, vcc, 0, v16, vcc
	global_store_dwordx2 v2, v[0:1], s[20:21]
.LBB1707_210:
	s_endpgm
	.section	.rodata,"a",@progbits
	.p2align	6, 0x0
	.amdhsa_kernel _ZN7rocprim17ROCPRIM_400000_NS6detail17trampoline_kernelINS0_13select_configILj256ELj13ELNS0_17block_load_methodE3ELS4_3ELS4_3ELNS0_20block_scan_algorithmE0ELj4294967295EEENS1_25partition_config_selectorILNS1_17partition_subalgoE3EjNS0_10empty_typeEbEEZZNS1_14partition_implILS8_3ELb0ES6_jNS0_17counting_iteratorIjlEEPS9_SE_NS0_5tupleIJPjSE_EEENSF_IJSE_SE_EEES9_SG_JZNS1_25segmented_radix_sort_implINS0_14default_configELb1EPK6__halfPSL_PKlPlN2at6native12_GLOBAL__N_18offset_tEEE10hipError_tPvRmT1_PNSt15iterator_traitsISZ_E10value_typeET2_T3_PNS10_IS15_E10value_typeET4_jRbjT5_S1B_jjP12ihipStream_tbEUljE_EEESW_SX_SY_S15_S19_S1B_T6_T7_T9_mT8_S1D_bDpT10_ENKUlT_T0_E_clISt17integral_constantIbLb0EES1Q_EEDaS1L_S1M_EUlS1L_E_NS1_11comp_targetILNS1_3genE4ELNS1_11target_archE910ELNS1_3gpuE8ELNS1_3repE0EEENS1_30default_config_static_selectorELNS0_4arch9wavefront6targetE1EEEvSZ_
		.amdhsa_group_segment_fixed_size 13324
		.amdhsa_private_segment_fixed_size 0
		.amdhsa_kernarg_size 144
		.amdhsa_user_sgpr_count 6
		.amdhsa_user_sgpr_private_segment_buffer 1
		.amdhsa_user_sgpr_dispatch_ptr 0
		.amdhsa_user_sgpr_queue_ptr 0
		.amdhsa_user_sgpr_kernarg_segment_ptr 1
		.amdhsa_user_sgpr_dispatch_id 0
		.amdhsa_user_sgpr_flat_scratch_init 0
		.amdhsa_user_sgpr_kernarg_preload_length 0
		.amdhsa_user_sgpr_kernarg_preload_offset 0
		.amdhsa_user_sgpr_private_segment_size 0
		.amdhsa_uses_dynamic_stack 0
		.amdhsa_system_sgpr_private_segment_wavefront_offset 0
		.amdhsa_system_sgpr_workgroup_id_x 1
		.amdhsa_system_sgpr_workgroup_id_y 0
		.amdhsa_system_sgpr_workgroup_id_z 0
		.amdhsa_system_sgpr_workgroup_info 0
		.amdhsa_system_vgpr_workitem_id 0
		.amdhsa_next_free_vgpr 61
		.amdhsa_next_free_sgpr 46
		.amdhsa_accum_offset 64
		.amdhsa_reserve_vcc 1
		.amdhsa_reserve_flat_scratch 0
		.amdhsa_float_round_mode_32 0
		.amdhsa_float_round_mode_16_64 0
		.amdhsa_float_denorm_mode_32 3
		.amdhsa_float_denorm_mode_16_64 3
		.amdhsa_dx10_clamp 1
		.amdhsa_ieee_mode 1
		.amdhsa_fp16_overflow 0
		.amdhsa_tg_split 0
		.amdhsa_exception_fp_ieee_invalid_op 0
		.amdhsa_exception_fp_denorm_src 0
		.amdhsa_exception_fp_ieee_div_zero 0
		.amdhsa_exception_fp_ieee_overflow 0
		.amdhsa_exception_fp_ieee_underflow 0
		.amdhsa_exception_fp_ieee_inexact 0
		.amdhsa_exception_int_div_zero 0
	.end_amdhsa_kernel
	.section	.text._ZN7rocprim17ROCPRIM_400000_NS6detail17trampoline_kernelINS0_13select_configILj256ELj13ELNS0_17block_load_methodE3ELS4_3ELS4_3ELNS0_20block_scan_algorithmE0ELj4294967295EEENS1_25partition_config_selectorILNS1_17partition_subalgoE3EjNS0_10empty_typeEbEEZZNS1_14partition_implILS8_3ELb0ES6_jNS0_17counting_iteratorIjlEEPS9_SE_NS0_5tupleIJPjSE_EEENSF_IJSE_SE_EEES9_SG_JZNS1_25segmented_radix_sort_implINS0_14default_configELb1EPK6__halfPSL_PKlPlN2at6native12_GLOBAL__N_18offset_tEEE10hipError_tPvRmT1_PNSt15iterator_traitsISZ_E10value_typeET2_T3_PNS10_IS15_E10value_typeET4_jRbjT5_S1B_jjP12ihipStream_tbEUljE_EEESW_SX_SY_S15_S19_S1B_T6_T7_T9_mT8_S1D_bDpT10_ENKUlT_T0_E_clISt17integral_constantIbLb0EES1Q_EEDaS1L_S1M_EUlS1L_E_NS1_11comp_targetILNS1_3genE4ELNS1_11target_archE910ELNS1_3gpuE8ELNS1_3repE0EEENS1_30default_config_static_selectorELNS0_4arch9wavefront6targetE1EEEvSZ_,"axG",@progbits,_ZN7rocprim17ROCPRIM_400000_NS6detail17trampoline_kernelINS0_13select_configILj256ELj13ELNS0_17block_load_methodE3ELS4_3ELS4_3ELNS0_20block_scan_algorithmE0ELj4294967295EEENS1_25partition_config_selectorILNS1_17partition_subalgoE3EjNS0_10empty_typeEbEEZZNS1_14partition_implILS8_3ELb0ES6_jNS0_17counting_iteratorIjlEEPS9_SE_NS0_5tupleIJPjSE_EEENSF_IJSE_SE_EEES9_SG_JZNS1_25segmented_radix_sort_implINS0_14default_configELb1EPK6__halfPSL_PKlPlN2at6native12_GLOBAL__N_18offset_tEEE10hipError_tPvRmT1_PNSt15iterator_traitsISZ_E10value_typeET2_T3_PNS10_IS15_E10value_typeET4_jRbjT5_S1B_jjP12ihipStream_tbEUljE_EEESW_SX_SY_S15_S19_S1B_T6_T7_T9_mT8_S1D_bDpT10_ENKUlT_T0_E_clISt17integral_constantIbLb0EES1Q_EEDaS1L_S1M_EUlS1L_E_NS1_11comp_targetILNS1_3genE4ELNS1_11target_archE910ELNS1_3gpuE8ELNS1_3repE0EEENS1_30default_config_static_selectorELNS0_4arch9wavefront6targetE1EEEvSZ_,comdat
.Lfunc_end1707:
	.size	_ZN7rocprim17ROCPRIM_400000_NS6detail17trampoline_kernelINS0_13select_configILj256ELj13ELNS0_17block_load_methodE3ELS4_3ELS4_3ELNS0_20block_scan_algorithmE0ELj4294967295EEENS1_25partition_config_selectorILNS1_17partition_subalgoE3EjNS0_10empty_typeEbEEZZNS1_14partition_implILS8_3ELb0ES6_jNS0_17counting_iteratorIjlEEPS9_SE_NS0_5tupleIJPjSE_EEENSF_IJSE_SE_EEES9_SG_JZNS1_25segmented_radix_sort_implINS0_14default_configELb1EPK6__halfPSL_PKlPlN2at6native12_GLOBAL__N_18offset_tEEE10hipError_tPvRmT1_PNSt15iterator_traitsISZ_E10value_typeET2_T3_PNS10_IS15_E10value_typeET4_jRbjT5_S1B_jjP12ihipStream_tbEUljE_EEESW_SX_SY_S15_S19_S1B_T6_T7_T9_mT8_S1D_bDpT10_ENKUlT_T0_E_clISt17integral_constantIbLb0EES1Q_EEDaS1L_S1M_EUlS1L_E_NS1_11comp_targetILNS1_3genE4ELNS1_11target_archE910ELNS1_3gpuE8ELNS1_3repE0EEENS1_30default_config_static_selectorELNS0_4arch9wavefront6targetE1EEEvSZ_, .Lfunc_end1707-_ZN7rocprim17ROCPRIM_400000_NS6detail17trampoline_kernelINS0_13select_configILj256ELj13ELNS0_17block_load_methodE3ELS4_3ELS4_3ELNS0_20block_scan_algorithmE0ELj4294967295EEENS1_25partition_config_selectorILNS1_17partition_subalgoE3EjNS0_10empty_typeEbEEZZNS1_14partition_implILS8_3ELb0ES6_jNS0_17counting_iteratorIjlEEPS9_SE_NS0_5tupleIJPjSE_EEENSF_IJSE_SE_EEES9_SG_JZNS1_25segmented_radix_sort_implINS0_14default_configELb1EPK6__halfPSL_PKlPlN2at6native12_GLOBAL__N_18offset_tEEE10hipError_tPvRmT1_PNSt15iterator_traitsISZ_E10value_typeET2_T3_PNS10_IS15_E10value_typeET4_jRbjT5_S1B_jjP12ihipStream_tbEUljE_EEESW_SX_SY_S15_S19_S1B_T6_T7_T9_mT8_S1D_bDpT10_ENKUlT_T0_E_clISt17integral_constantIbLb0EES1Q_EEDaS1L_S1M_EUlS1L_E_NS1_11comp_targetILNS1_3genE4ELNS1_11target_archE910ELNS1_3gpuE8ELNS1_3repE0EEENS1_30default_config_static_selectorELNS0_4arch9wavefront6targetE1EEEvSZ_
                                        ; -- End function
	.section	.AMDGPU.csdata,"",@progbits
; Kernel info:
; codeLenInByte = 7676
; NumSgprs: 50
; NumVgprs: 61
; NumAgprs: 0
; TotalNumVgprs: 61
; ScratchSize: 0
; MemoryBound: 0
; FloatMode: 240
; IeeeMode: 1
; LDSByteSize: 13324 bytes/workgroup (compile time only)
; SGPRBlocks: 6
; VGPRBlocks: 7
; NumSGPRsForWavesPerEU: 50
; NumVGPRsForWavesPerEU: 61
; AccumOffset: 64
; Occupancy: 4
; WaveLimiterHint : 0
; COMPUTE_PGM_RSRC2:SCRATCH_EN: 0
; COMPUTE_PGM_RSRC2:USER_SGPR: 6
; COMPUTE_PGM_RSRC2:TRAP_HANDLER: 0
; COMPUTE_PGM_RSRC2:TGID_X_EN: 1
; COMPUTE_PGM_RSRC2:TGID_Y_EN: 0
; COMPUTE_PGM_RSRC2:TGID_Z_EN: 0
; COMPUTE_PGM_RSRC2:TIDIG_COMP_CNT: 0
; COMPUTE_PGM_RSRC3_GFX90A:ACCUM_OFFSET: 15
; COMPUTE_PGM_RSRC3_GFX90A:TG_SPLIT: 0
	.section	.text._ZN7rocprim17ROCPRIM_400000_NS6detail17trampoline_kernelINS0_13select_configILj256ELj13ELNS0_17block_load_methodE3ELS4_3ELS4_3ELNS0_20block_scan_algorithmE0ELj4294967295EEENS1_25partition_config_selectorILNS1_17partition_subalgoE3EjNS0_10empty_typeEbEEZZNS1_14partition_implILS8_3ELb0ES6_jNS0_17counting_iteratorIjlEEPS9_SE_NS0_5tupleIJPjSE_EEENSF_IJSE_SE_EEES9_SG_JZNS1_25segmented_radix_sort_implINS0_14default_configELb1EPK6__halfPSL_PKlPlN2at6native12_GLOBAL__N_18offset_tEEE10hipError_tPvRmT1_PNSt15iterator_traitsISZ_E10value_typeET2_T3_PNS10_IS15_E10value_typeET4_jRbjT5_S1B_jjP12ihipStream_tbEUljE_EEESW_SX_SY_S15_S19_S1B_T6_T7_T9_mT8_S1D_bDpT10_ENKUlT_T0_E_clISt17integral_constantIbLb0EES1Q_EEDaS1L_S1M_EUlS1L_E_NS1_11comp_targetILNS1_3genE3ELNS1_11target_archE908ELNS1_3gpuE7ELNS1_3repE0EEENS1_30default_config_static_selectorELNS0_4arch9wavefront6targetE1EEEvSZ_,"axG",@progbits,_ZN7rocprim17ROCPRIM_400000_NS6detail17trampoline_kernelINS0_13select_configILj256ELj13ELNS0_17block_load_methodE3ELS4_3ELS4_3ELNS0_20block_scan_algorithmE0ELj4294967295EEENS1_25partition_config_selectorILNS1_17partition_subalgoE3EjNS0_10empty_typeEbEEZZNS1_14partition_implILS8_3ELb0ES6_jNS0_17counting_iteratorIjlEEPS9_SE_NS0_5tupleIJPjSE_EEENSF_IJSE_SE_EEES9_SG_JZNS1_25segmented_radix_sort_implINS0_14default_configELb1EPK6__halfPSL_PKlPlN2at6native12_GLOBAL__N_18offset_tEEE10hipError_tPvRmT1_PNSt15iterator_traitsISZ_E10value_typeET2_T3_PNS10_IS15_E10value_typeET4_jRbjT5_S1B_jjP12ihipStream_tbEUljE_EEESW_SX_SY_S15_S19_S1B_T6_T7_T9_mT8_S1D_bDpT10_ENKUlT_T0_E_clISt17integral_constantIbLb0EES1Q_EEDaS1L_S1M_EUlS1L_E_NS1_11comp_targetILNS1_3genE3ELNS1_11target_archE908ELNS1_3gpuE7ELNS1_3repE0EEENS1_30default_config_static_selectorELNS0_4arch9wavefront6targetE1EEEvSZ_,comdat
	.globl	_ZN7rocprim17ROCPRIM_400000_NS6detail17trampoline_kernelINS0_13select_configILj256ELj13ELNS0_17block_load_methodE3ELS4_3ELS4_3ELNS0_20block_scan_algorithmE0ELj4294967295EEENS1_25partition_config_selectorILNS1_17partition_subalgoE3EjNS0_10empty_typeEbEEZZNS1_14partition_implILS8_3ELb0ES6_jNS0_17counting_iteratorIjlEEPS9_SE_NS0_5tupleIJPjSE_EEENSF_IJSE_SE_EEES9_SG_JZNS1_25segmented_radix_sort_implINS0_14default_configELb1EPK6__halfPSL_PKlPlN2at6native12_GLOBAL__N_18offset_tEEE10hipError_tPvRmT1_PNSt15iterator_traitsISZ_E10value_typeET2_T3_PNS10_IS15_E10value_typeET4_jRbjT5_S1B_jjP12ihipStream_tbEUljE_EEESW_SX_SY_S15_S19_S1B_T6_T7_T9_mT8_S1D_bDpT10_ENKUlT_T0_E_clISt17integral_constantIbLb0EES1Q_EEDaS1L_S1M_EUlS1L_E_NS1_11comp_targetILNS1_3genE3ELNS1_11target_archE908ELNS1_3gpuE7ELNS1_3repE0EEENS1_30default_config_static_selectorELNS0_4arch9wavefront6targetE1EEEvSZ_ ; -- Begin function _ZN7rocprim17ROCPRIM_400000_NS6detail17trampoline_kernelINS0_13select_configILj256ELj13ELNS0_17block_load_methodE3ELS4_3ELS4_3ELNS0_20block_scan_algorithmE0ELj4294967295EEENS1_25partition_config_selectorILNS1_17partition_subalgoE3EjNS0_10empty_typeEbEEZZNS1_14partition_implILS8_3ELb0ES6_jNS0_17counting_iteratorIjlEEPS9_SE_NS0_5tupleIJPjSE_EEENSF_IJSE_SE_EEES9_SG_JZNS1_25segmented_radix_sort_implINS0_14default_configELb1EPK6__halfPSL_PKlPlN2at6native12_GLOBAL__N_18offset_tEEE10hipError_tPvRmT1_PNSt15iterator_traitsISZ_E10value_typeET2_T3_PNS10_IS15_E10value_typeET4_jRbjT5_S1B_jjP12ihipStream_tbEUljE_EEESW_SX_SY_S15_S19_S1B_T6_T7_T9_mT8_S1D_bDpT10_ENKUlT_T0_E_clISt17integral_constantIbLb0EES1Q_EEDaS1L_S1M_EUlS1L_E_NS1_11comp_targetILNS1_3genE3ELNS1_11target_archE908ELNS1_3gpuE7ELNS1_3repE0EEENS1_30default_config_static_selectorELNS0_4arch9wavefront6targetE1EEEvSZ_
	.p2align	8
	.type	_ZN7rocprim17ROCPRIM_400000_NS6detail17trampoline_kernelINS0_13select_configILj256ELj13ELNS0_17block_load_methodE3ELS4_3ELS4_3ELNS0_20block_scan_algorithmE0ELj4294967295EEENS1_25partition_config_selectorILNS1_17partition_subalgoE3EjNS0_10empty_typeEbEEZZNS1_14partition_implILS8_3ELb0ES6_jNS0_17counting_iteratorIjlEEPS9_SE_NS0_5tupleIJPjSE_EEENSF_IJSE_SE_EEES9_SG_JZNS1_25segmented_radix_sort_implINS0_14default_configELb1EPK6__halfPSL_PKlPlN2at6native12_GLOBAL__N_18offset_tEEE10hipError_tPvRmT1_PNSt15iterator_traitsISZ_E10value_typeET2_T3_PNS10_IS15_E10value_typeET4_jRbjT5_S1B_jjP12ihipStream_tbEUljE_EEESW_SX_SY_S15_S19_S1B_T6_T7_T9_mT8_S1D_bDpT10_ENKUlT_T0_E_clISt17integral_constantIbLb0EES1Q_EEDaS1L_S1M_EUlS1L_E_NS1_11comp_targetILNS1_3genE3ELNS1_11target_archE908ELNS1_3gpuE7ELNS1_3repE0EEENS1_30default_config_static_selectorELNS0_4arch9wavefront6targetE1EEEvSZ_,@function
_ZN7rocprim17ROCPRIM_400000_NS6detail17trampoline_kernelINS0_13select_configILj256ELj13ELNS0_17block_load_methodE3ELS4_3ELS4_3ELNS0_20block_scan_algorithmE0ELj4294967295EEENS1_25partition_config_selectorILNS1_17partition_subalgoE3EjNS0_10empty_typeEbEEZZNS1_14partition_implILS8_3ELb0ES6_jNS0_17counting_iteratorIjlEEPS9_SE_NS0_5tupleIJPjSE_EEENSF_IJSE_SE_EEES9_SG_JZNS1_25segmented_radix_sort_implINS0_14default_configELb1EPK6__halfPSL_PKlPlN2at6native12_GLOBAL__N_18offset_tEEE10hipError_tPvRmT1_PNSt15iterator_traitsISZ_E10value_typeET2_T3_PNS10_IS15_E10value_typeET4_jRbjT5_S1B_jjP12ihipStream_tbEUljE_EEESW_SX_SY_S15_S19_S1B_T6_T7_T9_mT8_S1D_bDpT10_ENKUlT_T0_E_clISt17integral_constantIbLb0EES1Q_EEDaS1L_S1M_EUlS1L_E_NS1_11comp_targetILNS1_3genE3ELNS1_11target_archE908ELNS1_3gpuE7ELNS1_3repE0EEENS1_30default_config_static_selectorELNS0_4arch9wavefront6targetE1EEEvSZ_: ; @_ZN7rocprim17ROCPRIM_400000_NS6detail17trampoline_kernelINS0_13select_configILj256ELj13ELNS0_17block_load_methodE3ELS4_3ELS4_3ELNS0_20block_scan_algorithmE0ELj4294967295EEENS1_25partition_config_selectorILNS1_17partition_subalgoE3EjNS0_10empty_typeEbEEZZNS1_14partition_implILS8_3ELb0ES6_jNS0_17counting_iteratorIjlEEPS9_SE_NS0_5tupleIJPjSE_EEENSF_IJSE_SE_EEES9_SG_JZNS1_25segmented_radix_sort_implINS0_14default_configELb1EPK6__halfPSL_PKlPlN2at6native12_GLOBAL__N_18offset_tEEE10hipError_tPvRmT1_PNSt15iterator_traitsISZ_E10value_typeET2_T3_PNS10_IS15_E10value_typeET4_jRbjT5_S1B_jjP12ihipStream_tbEUljE_EEESW_SX_SY_S15_S19_S1B_T6_T7_T9_mT8_S1D_bDpT10_ENKUlT_T0_E_clISt17integral_constantIbLb0EES1Q_EEDaS1L_S1M_EUlS1L_E_NS1_11comp_targetILNS1_3genE3ELNS1_11target_archE908ELNS1_3gpuE7ELNS1_3repE0EEENS1_30default_config_static_selectorELNS0_4arch9wavefront6targetE1EEEvSZ_
; %bb.0:
	.section	.rodata,"a",@progbits
	.p2align	6, 0x0
	.amdhsa_kernel _ZN7rocprim17ROCPRIM_400000_NS6detail17trampoline_kernelINS0_13select_configILj256ELj13ELNS0_17block_load_methodE3ELS4_3ELS4_3ELNS0_20block_scan_algorithmE0ELj4294967295EEENS1_25partition_config_selectorILNS1_17partition_subalgoE3EjNS0_10empty_typeEbEEZZNS1_14partition_implILS8_3ELb0ES6_jNS0_17counting_iteratorIjlEEPS9_SE_NS0_5tupleIJPjSE_EEENSF_IJSE_SE_EEES9_SG_JZNS1_25segmented_radix_sort_implINS0_14default_configELb1EPK6__halfPSL_PKlPlN2at6native12_GLOBAL__N_18offset_tEEE10hipError_tPvRmT1_PNSt15iterator_traitsISZ_E10value_typeET2_T3_PNS10_IS15_E10value_typeET4_jRbjT5_S1B_jjP12ihipStream_tbEUljE_EEESW_SX_SY_S15_S19_S1B_T6_T7_T9_mT8_S1D_bDpT10_ENKUlT_T0_E_clISt17integral_constantIbLb0EES1Q_EEDaS1L_S1M_EUlS1L_E_NS1_11comp_targetILNS1_3genE3ELNS1_11target_archE908ELNS1_3gpuE7ELNS1_3repE0EEENS1_30default_config_static_selectorELNS0_4arch9wavefront6targetE1EEEvSZ_
		.amdhsa_group_segment_fixed_size 0
		.amdhsa_private_segment_fixed_size 0
		.amdhsa_kernarg_size 144
		.amdhsa_user_sgpr_count 6
		.amdhsa_user_sgpr_private_segment_buffer 1
		.amdhsa_user_sgpr_dispatch_ptr 0
		.amdhsa_user_sgpr_queue_ptr 0
		.amdhsa_user_sgpr_kernarg_segment_ptr 1
		.amdhsa_user_sgpr_dispatch_id 0
		.amdhsa_user_sgpr_flat_scratch_init 0
		.amdhsa_user_sgpr_kernarg_preload_length 0
		.amdhsa_user_sgpr_kernarg_preload_offset 0
		.amdhsa_user_sgpr_private_segment_size 0
		.amdhsa_uses_dynamic_stack 0
		.amdhsa_system_sgpr_private_segment_wavefront_offset 0
		.amdhsa_system_sgpr_workgroup_id_x 1
		.amdhsa_system_sgpr_workgroup_id_y 0
		.amdhsa_system_sgpr_workgroup_id_z 0
		.amdhsa_system_sgpr_workgroup_info 0
		.amdhsa_system_vgpr_workitem_id 0
		.amdhsa_next_free_vgpr 1
		.amdhsa_next_free_sgpr 0
		.amdhsa_accum_offset 4
		.amdhsa_reserve_vcc 0
		.amdhsa_reserve_flat_scratch 0
		.amdhsa_float_round_mode_32 0
		.amdhsa_float_round_mode_16_64 0
		.amdhsa_float_denorm_mode_32 3
		.amdhsa_float_denorm_mode_16_64 3
		.amdhsa_dx10_clamp 1
		.amdhsa_ieee_mode 1
		.amdhsa_fp16_overflow 0
		.amdhsa_tg_split 0
		.amdhsa_exception_fp_ieee_invalid_op 0
		.amdhsa_exception_fp_denorm_src 0
		.amdhsa_exception_fp_ieee_div_zero 0
		.amdhsa_exception_fp_ieee_overflow 0
		.amdhsa_exception_fp_ieee_underflow 0
		.amdhsa_exception_fp_ieee_inexact 0
		.amdhsa_exception_int_div_zero 0
	.end_amdhsa_kernel
	.section	.text._ZN7rocprim17ROCPRIM_400000_NS6detail17trampoline_kernelINS0_13select_configILj256ELj13ELNS0_17block_load_methodE3ELS4_3ELS4_3ELNS0_20block_scan_algorithmE0ELj4294967295EEENS1_25partition_config_selectorILNS1_17partition_subalgoE3EjNS0_10empty_typeEbEEZZNS1_14partition_implILS8_3ELb0ES6_jNS0_17counting_iteratorIjlEEPS9_SE_NS0_5tupleIJPjSE_EEENSF_IJSE_SE_EEES9_SG_JZNS1_25segmented_radix_sort_implINS0_14default_configELb1EPK6__halfPSL_PKlPlN2at6native12_GLOBAL__N_18offset_tEEE10hipError_tPvRmT1_PNSt15iterator_traitsISZ_E10value_typeET2_T3_PNS10_IS15_E10value_typeET4_jRbjT5_S1B_jjP12ihipStream_tbEUljE_EEESW_SX_SY_S15_S19_S1B_T6_T7_T9_mT8_S1D_bDpT10_ENKUlT_T0_E_clISt17integral_constantIbLb0EES1Q_EEDaS1L_S1M_EUlS1L_E_NS1_11comp_targetILNS1_3genE3ELNS1_11target_archE908ELNS1_3gpuE7ELNS1_3repE0EEENS1_30default_config_static_selectorELNS0_4arch9wavefront6targetE1EEEvSZ_,"axG",@progbits,_ZN7rocprim17ROCPRIM_400000_NS6detail17trampoline_kernelINS0_13select_configILj256ELj13ELNS0_17block_load_methodE3ELS4_3ELS4_3ELNS0_20block_scan_algorithmE0ELj4294967295EEENS1_25partition_config_selectorILNS1_17partition_subalgoE3EjNS0_10empty_typeEbEEZZNS1_14partition_implILS8_3ELb0ES6_jNS0_17counting_iteratorIjlEEPS9_SE_NS0_5tupleIJPjSE_EEENSF_IJSE_SE_EEES9_SG_JZNS1_25segmented_radix_sort_implINS0_14default_configELb1EPK6__halfPSL_PKlPlN2at6native12_GLOBAL__N_18offset_tEEE10hipError_tPvRmT1_PNSt15iterator_traitsISZ_E10value_typeET2_T3_PNS10_IS15_E10value_typeET4_jRbjT5_S1B_jjP12ihipStream_tbEUljE_EEESW_SX_SY_S15_S19_S1B_T6_T7_T9_mT8_S1D_bDpT10_ENKUlT_T0_E_clISt17integral_constantIbLb0EES1Q_EEDaS1L_S1M_EUlS1L_E_NS1_11comp_targetILNS1_3genE3ELNS1_11target_archE908ELNS1_3gpuE7ELNS1_3repE0EEENS1_30default_config_static_selectorELNS0_4arch9wavefront6targetE1EEEvSZ_,comdat
.Lfunc_end1708:
	.size	_ZN7rocprim17ROCPRIM_400000_NS6detail17trampoline_kernelINS0_13select_configILj256ELj13ELNS0_17block_load_methodE3ELS4_3ELS4_3ELNS0_20block_scan_algorithmE0ELj4294967295EEENS1_25partition_config_selectorILNS1_17partition_subalgoE3EjNS0_10empty_typeEbEEZZNS1_14partition_implILS8_3ELb0ES6_jNS0_17counting_iteratorIjlEEPS9_SE_NS0_5tupleIJPjSE_EEENSF_IJSE_SE_EEES9_SG_JZNS1_25segmented_radix_sort_implINS0_14default_configELb1EPK6__halfPSL_PKlPlN2at6native12_GLOBAL__N_18offset_tEEE10hipError_tPvRmT1_PNSt15iterator_traitsISZ_E10value_typeET2_T3_PNS10_IS15_E10value_typeET4_jRbjT5_S1B_jjP12ihipStream_tbEUljE_EEESW_SX_SY_S15_S19_S1B_T6_T7_T9_mT8_S1D_bDpT10_ENKUlT_T0_E_clISt17integral_constantIbLb0EES1Q_EEDaS1L_S1M_EUlS1L_E_NS1_11comp_targetILNS1_3genE3ELNS1_11target_archE908ELNS1_3gpuE7ELNS1_3repE0EEENS1_30default_config_static_selectorELNS0_4arch9wavefront6targetE1EEEvSZ_, .Lfunc_end1708-_ZN7rocprim17ROCPRIM_400000_NS6detail17trampoline_kernelINS0_13select_configILj256ELj13ELNS0_17block_load_methodE3ELS4_3ELS4_3ELNS0_20block_scan_algorithmE0ELj4294967295EEENS1_25partition_config_selectorILNS1_17partition_subalgoE3EjNS0_10empty_typeEbEEZZNS1_14partition_implILS8_3ELb0ES6_jNS0_17counting_iteratorIjlEEPS9_SE_NS0_5tupleIJPjSE_EEENSF_IJSE_SE_EEES9_SG_JZNS1_25segmented_radix_sort_implINS0_14default_configELb1EPK6__halfPSL_PKlPlN2at6native12_GLOBAL__N_18offset_tEEE10hipError_tPvRmT1_PNSt15iterator_traitsISZ_E10value_typeET2_T3_PNS10_IS15_E10value_typeET4_jRbjT5_S1B_jjP12ihipStream_tbEUljE_EEESW_SX_SY_S15_S19_S1B_T6_T7_T9_mT8_S1D_bDpT10_ENKUlT_T0_E_clISt17integral_constantIbLb0EES1Q_EEDaS1L_S1M_EUlS1L_E_NS1_11comp_targetILNS1_3genE3ELNS1_11target_archE908ELNS1_3gpuE7ELNS1_3repE0EEENS1_30default_config_static_selectorELNS0_4arch9wavefront6targetE1EEEvSZ_
                                        ; -- End function
	.section	.AMDGPU.csdata,"",@progbits
; Kernel info:
; codeLenInByte = 0
; NumSgprs: 4
; NumVgprs: 0
; NumAgprs: 0
; TotalNumVgprs: 0
; ScratchSize: 0
; MemoryBound: 0
; FloatMode: 240
; IeeeMode: 1
; LDSByteSize: 0 bytes/workgroup (compile time only)
; SGPRBlocks: 0
; VGPRBlocks: 0
; NumSGPRsForWavesPerEU: 4
; NumVGPRsForWavesPerEU: 1
; AccumOffset: 4
; Occupancy: 8
; WaveLimiterHint : 0
; COMPUTE_PGM_RSRC2:SCRATCH_EN: 0
; COMPUTE_PGM_RSRC2:USER_SGPR: 6
; COMPUTE_PGM_RSRC2:TRAP_HANDLER: 0
; COMPUTE_PGM_RSRC2:TGID_X_EN: 1
; COMPUTE_PGM_RSRC2:TGID_Y_EN: 0
; COMPUTE_PGM_RSRC2:TGID_Z_EN: 0
; COMPUTE_PGM_RSRC2:TIDIG_COMP_CNT: 0
; COMPUTE_PGM_RSRC3_GFX90A:ACCUM_OFFSET: 0
; COMPUTE_PGM_RSRC3_GFX90A:TG_SPLIT: 0
	.section	.text._ZN7rocprim17ROCPRIM_400000_NS6detail17trampoline_kernelINS0_13select_configILj256ELj13ELNS0_17block_load_methodE3ELS4_3ELS4_3ELNS0_20block_scan_algorithmE0ELj4294967295EEENS1_25partition_config_selectorILNS1_17partition_subalgoE3EjNS0_10empty_typeEbEEZZNS1_14partition_implILS8_3ELb0ES6_jNS0_17counting_iteratorIjlEEPS9_SE_NS0_5tupleIJPjSE_EEENSF_IJSE_SE_EEES9_SG_JZNS1_25segmented_radix_sort_implINS0_14default_configELb1EPK6__halfPSL_PKlPlN2at6native12_GLOBAL__N_18offset_tEEE10hipError_tPvRmT1_PNSt15iterator_traitsISZ_E10value_typeET2_T3_PNS10_IS15_E10value_typeET4_jRbjT5_S1B_jjP12ihipStream_tbEUljE_EEESW_SX_SY_S15_S19_S1B_T6_T7_T9_mT8_S1D_bDpT10_ENKUlT_T0_E_clISt17integral_constantIbLb0EES1Q_EEDaS1L_S1M_EUlS1L_E_NS1_11comp_targetILNS1_3genE2ELNS1_11target_archE906ELNS1_3gpuE6ELNS1_3repE0EEENS1_30default_config_static_selectorELNS0_4arch9wavefront6targetE1EEEvSZ_,"axG",@progbits,_ZN7rocprim17ROCPRIM_400000_NS6detail17trampoline_kernelINS0_13select_configILj256ELj13ELNS0_17block_load_methodE3ELS4_3ELS4_3ELNS0_20block_scan_algorithmE0ELj4294967295EEENS1_25partition_config_selectorILNS1_17partition_subalgoE3EjNS0_10empty_typeEbEEZZNS1_14partition_implILS8_3ELb0ES6_jNS0_17counting_iteratorIjlEEPS9_SE_NS0_5tupleIJPjSE_EEENSF_IJSE_SE_EEES9_SG_JZNS1_25segmented_radix_sort_implINS0_14default_configELb1EPK6__halfPSL_PKlPlN2at6native12_GLOBAL__N_18offset_tEEE10hipError_tPvRmT1_PNSt15iterator_traitsISZ_E10value_typeET2_T3_PNS10_IS15_E10value_typeET4_jRbjT5_S1B_jjP12ihipStream_tbEUljE_EEESW_SX_SY_S15_S19_S1B_T6_T7_T9_mT8_S1D_bDpT10_ENKUlT_T0_E_clISt17integral_constantIbLb0EES1Q_EEDaS1L_S1M_EUlS1L_E_NS1_11comp_targetILNS1_3genE2ELNS1_11target_archE906ELNS1_3gpuE6ELNS1_3repE0EEENS1_30default_config_static_selectorELNS0_4arch9wavefront6targetE1EEEvSZ_,comdat
	.globl	_ZN7rocprim17ROCPRIM_400000_NS6detail17trampoline_kernelINS0_13select_configILj256ELj13ELNS0_17block_load_methodE3ELS4_3ELS4_3ELNS0_20block_scan_algorithmE0ELj4294967295EEENS1_25partition_config_selectorILNS1_17partition_subalgoE3EjNS0_10empty_typeEbEEZZNS1_14partition_implILS8_3ELb0ES6_jNS0_17counting_iteratorIjlEEPS9_SE_NS0_5tupleIJPjSE_EEENSF_IJSE_SE_EEES9_SG_JZNS1_25segmented_radix_sort_implINS0_14default_configELb1EPK6__halfPSL_PKlPlN2at6native12_GLOBAL__N_18offset_tEEE10hipError_tPvRmT1_PNSt15iterator_traitsISZ_E10value_typeET2_T3_PNS10_IS15_E10value_typeET4_jRbjT5_S1B_jjP12ihipStream_tbEUljE_EEESW_SX_SY_S15_S19_S1B_T6_T7_T9_mT8_S1D_bDpT10_ENKUlT_T0_E_clISt17integral_constantIbLb0EES1Q_EEDaS1L_S1M_EUlS1L_E_NS1_11comp_targetILNS1_3genE2ELNS1_11target_archE906ELNS1_3gpuE6ELNS1_3repE0EEENS1_30default_config_static_selectorELNS0_4arch9wavefront6targetE1EEEvSZ_ ; -- Begin function _ZN7rocprim17ROCPRIM_400000_NS6detail17trampoline_kernelINS0_13select_configILj256ELj13ELNS0_17block_load_methodE3ELS4_3ELS4_3ELNS0_20block_scan_algorithmE0ELj4294967295EEENS1_25partition_config_selectorILNS1_17partition_subalgoE3EjNS0_10empty_typeEbEEZZNS1_14partition_implILS8_3ELb0ES6_jNS0_17counting_iteratorIjlEEPS9_SE_NS0_5tupleIJPjSE_EEENSF_IJSE_SE_EEES9_SG_JZNS1_25segmented_radix_sort_implINS0_14default_configELb1EPK6__halfPSL_PKlPlN2at6native12_GLOBAL__N_18offset_tEEE10hipError_tPvRmT1_PNSt15iterator_traitsISZ_E10value_typeET2_T3_PNS10_IS15_E10value_typeET4_jRbjT5_S1B_jjP12ihipStream_tbEUljE_EEESW_SX_SY_S15_S19_S1B_T6_T7_T9_mT8_S1D_bDpT10_ENKUlT_T0_E_clISt17integral_constantIbLb0EES1Q_EEDaS1L_S1M_EUlS1L_E_NS1_11comp_targetILNS1_3genE2ELNS1_11target_archE906ELNS1_3gpuE6ELNS1_3repE0EEENS1_30default_config_static_selectorELNS0_4arch9wavefront6targetE1EEEvSZ_
	.p2align	8
	.type	_ZN7rocprim17ROCPRIM_400000_NS6detail17trampoline_kernelINS0_13select_configILj256ELj13ELNS0_17block_load_methodE3ELS4_3ELS4_3ELNS0_20block_scan_algorithmE0ELj4294967295EEENS1_25partition_config_selectorILNS1_17partition_subalgoE3EjNS0_10empty_typeEbEEZZNS1_14partition_implILS8_3ELb0ES6_jNS0_17counting_iteratorIjlEEPS9_SE_NS0_5tupleIJPjSE_EEENSF_IJSE_SE_EEES9_SG_JZNS1_25segmented_radix_sort_implINS0_14default_configELb1EPK6__halfPSL_PKlPlN2at6native12_GLOBAL__N_18offset_tEEE10hipError_tPvRmT1_PNSt15iterator_traitsISZ_E10value_typeET2_T3_PNS10_IS15_E10value_typeET4_jRbjT5_S1B_jjP12ihipStream_tbEUljE_EEESW_SX_SY_S15_S19_S1B_T6_T7_T9_mT8_S1D_bDpT10_ENKUlT_T0_E_clISt17integral_constantIbLb0EES1Q_EEDaS1L_S1M_EUlS1L_E_NS1_11comp_targetILNS1_3genE2ELNS1_11target_archE906ELNS1_3gpuE6ELNS1_3repE0EEENS1_30default_config_static_selectorELNS0_4arch9wavefront6targetE1EEEvSZ_,@function
_ZN7rocprim17ROCPRIM_400000_NS6detail17trampoline_kernelINS0_13select_configILj256ELj13ELNS0_17block_load_methodE3ELS4_3ELS4_3ELNS0_20block_scan_algorithmE0ELj4294967295EEENS1_25partition_config_selectorILNS1_17partition_subalgoE3EjNS0_10empty_typeEbEEZZNS1_14partition_implILS8_3ELb0ES6_jNS0_17counting_iteratorIjlEEPS9_SE_NS0_5tupleIJPjSE_EEENSF_IJSE_SE_EEES9_SG_JZNS1_25segmented_radix_sort_implINS0_14default_configELb1EPK6__halfPSL_PKlPlN2at6native12_GLOBAL__N_18offset_tEEE10hipError_tPvRmT1_PNSt15iterator_traitsISZ_E10value_typeET2_T3_PNS10_IS15_E10value_typeET4_jRbjT5_S1B_jjP12ihipStream_tbEUljE_EEESW_SX_SY_S15_S19_S1B_T6_T7_T9_mT8_S1D_bDpT10_ENKUlT_T0_E_clISt17integral_constantIbLb0EES1Q_EEDaS1L_S1M_EUlS1L_E_NS1_11comp_targetILNS1_3genE2ELNS1_11target_archE906ELNS1_3gpuE6ELNS1_3repE0EEENS1_30default_config_static_selectorELNS0_4arch9wavefront6targetE1EEEvSZ_: ; @_ZN7rocprim17ROCPRIM_400000_NS6detail17trampoline_kernelINS0_13select_configILj256ELj13ELNS0_17block_load_methodE3ELS4_3ELS4_3ELNS0_20block_scan_algorithmE0ELj4294967295EEENS1_25partition_config_selectorILNS1_17partition_subalgoE3EjNS0_10empty_typeEbEEZZNS1_14partition_implILS8_3ELb0ES6_jNS0_17counting_iteratorIjlEEPS9_SE_NS0_5tupleIJPjSE_EEENSF_IJSE_SE_EEES9_SG_JZNS1_25segmented_radix_sort_implINS0_14default_configELb1EPK6__halfPSL_PKlPlN2at6native12_GLOBAL__N_18offset_tEEE10hipError_tPvRmT1_PNSt15iterator_traitsISZ_E10value_typeET2_T3_PNS10_IS15_E10value_typeET4_jRbjT5_S1B_jjP12ihipStream_tbEUljE_EEESW_SX_SY_S15_S19_S1B_T6_T7_T9_mT8_S1D_bDpT10_ENKUlT_T0_E_clISt17integral_constantIbLb0EES1Q_EEDaS1L_S1M_EUlS1L_E_NS1_11comp_targetILNS1_3genE2ELNS1_11target_archE906ELNS1_3gpuE6ELNS1_3repE0EEENS1_30default_config_static_selectorELNS0_4arch9wavefront6targetE1EEEvSZ_
; %bb.0:
	.section	.rodata,"a",@progbits
	.p2align	6, 0x0
	.amdhsa_kernel _ZN7rocprim17ROCPRIM_400000_NS6detail17trampoline_kernelINS0_13select_configILj256ELj13ELNS0_17block_load_methodE3ELS4_3ELS4_3ELNS0_20block_scan_algorithmE0ELj4294967295EEENS1_25partition_config_selectorILNS1_17partition_subalgoE3EjNS0_10empty_typeEbEEZZNS1_14partition_implILS8_3ELb0ES6_jNS0_17counting_iteratorIjlEEPS9_SE_NS0_5tupleIJPjSE_EEENSF_IJSE_SE_EEES9_SG_JZNS1_25segmented_radix_sort_implINS0_14default_configELb1EPK6__halfPSL_PKlPlN2at6native12_GLOBAL__N_18offset_tEEE10hipError_tPvRmT1_PNSt15iterator_traitsISZ_E10value_typeET2_T3_PNS10_IS15_E10value_typeET4_jRbjT5_S1B_jjP12ihipStream_tbEUljE_EEESW_SX_SY_S15_S19_S1B_T6_T7_T9_mT8_S1D_bDpT10_ENKUlT_T0_E_clISt17integral_constantIbLb0EES1Q_EEDaS1L_S1M_EUlS1L_E_NS1_11comp_targetILNS1_3genE2ELNS1_11target_archE906ELNS1_3gpuE6ELNS1_3repE0EEENS1_30default_config_static_selectorELNS0_4arch9wavefront6targetE1EEEvSZ_
		.amdhsa_group_segment_fixed_size 0
		.amdhsa_private_segment_fixed_size 0
		.amdhsa_kernarg_size 144
		.amdhsa_user_sgpr_count 6
		.amdhsa_user_sgpr_private_segment_buffer 1
		.amdhsa_user_sgpr_dispatch_ptr 0
		.amdhsa_user_sgpr_queue_ptr 0
		.amdhsa_user_sgpr_kernarg_segment_ptr 1
		.amdhsa_user_sgpr_dispatch_id 0
		.amdhsa_user_sgpr_flat_scratch_init 0
		.amdhsa_user_sgpr_kernarg_preload_length 0
		.amdhsa_user_sgpr_kernarg_preload_offset 0
		.amdhsa_user_sgpr_private_segment_size 0
		.amdhsa_uses_dynamic_stack 0
		.amdhsa_system_sgpr_private_segment_wavefront_offset 0
		.amdhsa_system_sgpr_workgroup_id_x 1
		.amdhsa_system_sgpr_workgroup_id_y 0
		.amdhsa_system_sgpr_workgroup_id_z 0
		.amdhsa_system_sgpr_workgroup_info 0
		.amdhsa_system_vgpr_workitem_id 0
		.amdhsa_next_free_vgpr 1
		.amdhsa_next_free_sgpr 0
		.amdhsa_accum_offset 4
		.amdhsa_reserve_vcc 0
		.amdhsa_reserve_flat_scratch 0
		.amdhsa_float_round_mode_32 0
		.amdhsa_float_round_mode_16_64 0
		.amdhsa_float_denorm_mode_32 3
		.amdhsa_float_denorm_mode_16_64 3
		.amdhsa_dx10_clamp 1
		.amdhsa_ieee_mode 1
		.amdhsa_fp16_overflow 0
		.amdhsa_tg_split 0
		.amdhsa_exception_fp_ieee_invalid_op 0
		.amdhsa_exception_fp_denorm_src 0
		.amdhsa_exception_fp_ieee_div_zero 0
		.amdhsa_exception_fp_ieee_overflow 0
		.amdhsa_exception_fp_ieee_underflow 0
		.amdhsa_exception_fp_ieee_inexact 0
		.amdhsa_exception_int_div_zero 0
	.end_amdhsa_kernel
	.section	.text._ZN7rocprim17ROCPRIM_400000_NS6detail17trampoline_kernelINS0_13select_configILj256ELj13ELNS0_17block_load_methodE3ELS4_3ELS4_3ELNS0_20block_scan_algorithmE0ELj4294967295EEENS1_25partition_config_selectorILNS1_17partition_subalgoE3EjNS0_10empty_typeEbEEZZNS1_14partition_implILS8_3ELb0ES6_jNS0_17counting_iteratorIjlEEPS9_SE_NS0_5tupleIJPjSE_EEENSF_IJSE_SE_EEES9_SG_JZNS1_25segmented_radix_sort_implINS0_14default_configELb1EPK6__halfPSL_PKlPlN2at6native12_GLOBAL__N_18offset_tEEE10hipError_tPvRmT1_PNSt15iterator_traitsISZ_E10value_typeET2_T3_PNS10_IS15_E10value_typeET4_jRbjT5_S1B_jjP12ihipStream_tbEUljE_EEESW_SX_SY_S15_S19_S1B_T6_T7_T9_mT8_S1D_bDpT10_ENKUlT_T0_E_clISt17integral_constantIbLb0EES1Q_EEDaS1L_S1M_EUlS1L_E_NS1_11comp_targetILNS1_3genE2ELNS1_11target_archE906ELNS1_3gpuE6ELNS1_3repE0EEENS1_30default_config_static_selectorELNS0_4arch9wavefront6targetE1EEEvSZ_,"axG",@progbits,_ZN7rocprim17ROCPRIM_400000_NS6detail17trampoline_kernelINS0_13select_configILj256ELj13ELNS0_17block_load_methodE3ELS4_3ELS4_3ELNS0_20block_scan_algorithmE0ELj4294967295EEENS1_25partition_config_selectorILNS1_17partition_subalgoE3EjNS0_10empty_typeEbEEZZNS1_14partition_implILS8_3ELb0ES6_jNS0_17counting_iteratorIjlEEPS9_SE_NS0_5tupleIJPjSE_EEENSF_IJSE_SE_EEES9_SG_JZNS1_25segmented_radix_sort_implINS0_14default_configELb1EPK6__halfPSL_PKlPlN2at6native12_GLOBAL__N_18offset_tEEE10hipError_tPvRmT1_PNSt15iterator_traitsISZ_E10value_typeET2_T3_PNS10_IS15_E10value_typeET4_jRbjT5_S1B_jjP12ihipStream_tbEUljE_EEESW_SX_SY_S15_S19_S1B_T6_T7_T9_mT8_S1D_bDpT10_ENKUlT_T0_E_clISt17integral_constantIbLb0EES1Q_EEDaS1L_S1M_EUlS1L_E_NS1_11comp_targetILNS1_3genE2ELNS1_11target_archE906ELNS1_3gpuE6ELNS1_3repE0EEENS1_30default_config_static_selectorELNS0_4arch9wavefront6targetE1EEEvSZ_,comdat
.Lfunc_end1709:
	.size	_ZN7rocprim17ROCPRIM_400000_NS6detail17trampoline_kernelINS0_13select_configILj256ELj13ELNS0_17block_load_methodE3ELS4_3ELS4_3ELNS0_20block_scan_algorithmE0ELj4294967295EEENS1_25partition_config_selectorILNS1_17partition_subalgoE3EjNS0_10empty_typeEbEEZZNS1_14partition_implILS8_3ELb0ES6_jNS0_17counting_iteratorIjlEEPS9_SE_NS0_5tupleIJPjSE_EEENSF_IJSE_SE_EEES9_SG_JZNS1_25segmented_radix_sort_implINS0_14default_configELb1EPK6__halfPSL_PKlPlN2at6native12_GLOBAL__N_18offset_tEEE10hipError_tPvRmT1_PNSt15iterator_traitsISZ_E10value_typeET2_T3_PNS10_IS15_E10value_typeET4_jRbjT5_S1B_jjP12ihipStream_tbEUljE_EEESW_SX_SY_S15_S19_S1B_T6_T7_T9_mT8_S1D_bDpT10_ENKUlT_T0_E_clISt17integral_constantIbLb0EES1Q_EEDaS1L_S1M_EUlS1L_E_NS1_11comp_targetILNS1_3genE2ELNS1_11target_archE906ELNS1_3gpuE6ELNS1_3repE0EEENS1_30default_config_static_selectorELNS0_4arch9wavefront6targetE1EEEvSZ_, .Lfunc_end1709-_ZN7rocprim17ROCPRIM_400000_NS6detail17trampoline_kernelINS0_13select_configILj256ELj13ELNS0_17block_load_methodE3ELS4_3ELS4_3ELNS0_20block_scan_algorithmE0ELj4294967295EEENS1_25partition_config_selectorILNS1_17partition_subalgoE3EjNS0_10empty_typeEbEEZZNS1_14partition_implILS8_3ELb0ES6_jNS0_17counting_iteratorIjlEEPS9_SE_NS0_5tupleIJPjSE_EEENSF_IJSE_SE_EEES9_SG_JZNS1_25segmented_radix_sort_implINS0_14default_configELb1EPK6__halfPSL_PKlPlN2at6native12_GLOBAL__N_18offset_tEEE10hipError_tPvRmT1_PNSt15iterator_traitsISZ_E10value_typeET2_T3_PNS10_IS15_E10value_typeET4_jRbjT5_S1B_jjP12ihipStream_tbEUljE_EEESW_SX_SY_S15_S19_S1B_T6_T7_T9_mT8_S1D_bDpT10_ENKUlT_T0_E_clISt17integral_constantIbLb0EES1Q_EEDaS1L_S1M_EUlS1L_E_NS1_11comp_targetILNS1_3genE2ELNS1_11target_archE906ELNS1_3gpuE6ELNS1_3repE0EEENS1_30default_config_static_selectorELNS0_4arch9wavefront6targetE1EEEvSZ_
                                        ; -- End function
	.section	.AMDGPU.csdata,"",@progbits
; Kernel info:
; codeLenInByte = 0
; NumSgprs: 4
; NumVgprs: 0
; NumAgprs: 0
; TotalNumVgprs: 0
; ScratchSize: 0
; MemoryBound: 0
; FloatMode: 240
; IeeeMode: 1
; LDSByteSize: 0 bytes/workgroup (compile time only)
; SGPRBlocks: 0
; VGPRBlocks: 0
; NumSGPRsForWavesPerEU: 4
; NumVGPRsForWavesPerEU: 1
; AccumOffset: 4
; Occupancy: 8
; WaveLimiterHint : 0
; COMPUTE_PGM_RSRC2:SCRATCH_EN: 0
; COMPUTE_PGM_RSRC2:USER_SGPR: 6
; COMPUTE_PGM_RSRC2:TRAP_HANDLER: 0
; COMPUTE_PGM_RSRC2:TGID_X_EN: 1
; COMPUTE_PGM_RSRC2:TGID_Y_EN: 0
; COMPUTE_PGM_RSRC2:TGID_Z_EN: 0
; COMPUTE_PGM_RSRC2:TIDIG_COMP_CNT: 0
; COMPUTE_PGM_RSRC3_GFX90A:ACCUM_OFFSET: 0
; COMPUTE_PGM_RSRC3_GFX90A:TG_SPLIT: 0
	.section	.text._ZN7rocprim17ROCPRIM_400000_NS6detail17trampoline_kernelINS0_13select_configILj256ELj13ELNS0_17block_load_methodE3ELS4_3ELS4_3ELNS0_20block_scan_algorithmE0ELj4294967295EEENS1_25partition_config_selectorILNS1_17partition_subalgoE3EjNS0_10empty_typeEbEEZZNS1_14partition_implILS8_3ELb0ES6_jNS0_17counting_iteratorIjlEEPS9_SE_NS0_5tupleIJPjSE_EEENSF_IJSE_SE_EEES9_SG_JZNS1_25segmented_radix_sort_implINS0_14default_configELb1EPK6__halfPSL_PKlPlN2at6native12_GLOBAL__N_18offset_tEEE10hipError_tPvRmT1_PNSt15iterator_traitsISZ_E10value_typeET2_T3_PNS10_IS15_E10value_typeET4_jRbjT5_S1B_jjP12ihipStream_tbEUljE_EEESW_SX_SY_S15_S19_S1B_T6_T7_T9_mT8_S1D_bDpT10_ENKUlT_T0_E_clISt17integral_constantIbLb0EES1Q_EEDaS1L_S1M_EUlS1L_E_NS1_11comp_targetILNS1_3genE10ELNS1_11target_archE1200ELNS1_3gpuE4ELNS1_3repE0EEENS1_30default_config_static_selectorELNS0_4arch9wavefront6targetE1EEEvSZ_,"axG",@progbits,_ZN7rocprim17ROCPRIM_400000_NS6detail17trampoline_kernelINS0_13select_configILj256ELj13ELNS0_17block_load_methodE3ELS4_3ELS4_3ELNS0_20block_scan_algorithmE0ELj4294967295EEENS1_25partition_config_selectorILNS1_17partition_subalgoE3EjNS0_10empty_typeEbEEZZNS1_14partition_implILS8_3ELb0ES6_jNS0_17counting_iteratorIjlEEPS9_SE_NS0_5tupleIJPjSE_EEENSF_IJSE_SE_EEES9_SG_JZNS1_25segmented_radix_sort_implINS0_14default_configELb1EPK6__halfPSL_PKlPlN2at6native12_GLOBAL__N_18offset_tEEE10hipError_tPvRmT1_PNSt15iterator_traitsISZ_E10value_typeET2_T3_PNS10_IS15_E10value_typeET4_jRbjT5_S1B_jjP12ihipStream_tbEUljE_EEESW_SX_SY_S15_S19_S1B_T6_T7_T9_mT8_S1D_bDpT10_ENKUlT_T0_E_clISt17integral_constantIbLb0EES1Q_EEDaS1L_S1M_EUlS1L_E_NS1_11comp_targetILNS1_3genE10ELNS1_11target_archE1200ELNS1_3gpuE4ELNS1_3repE0EEENS1_30default_config_static_selectorELNS0_4arch9wavefront6targetE1EEEvSZ_,comdat
	.globl	_ZN7rocprim17ROCPRIM_400000_NS6detail17trampoline_kernelINS0_13select_configILj256ELj13ELNS0_17block_load_methodE3ELS4_3ELS4_3ELNS0_20block_scan_algorithmE0ELj4294967295EEENS1_25partition_config_selectorILNS1_17partition_subalgoE3EjNS0_10empty_typeEbEEZZNS1_14partition_implILS8_3ELb0ES6_jNS0_17counting_iteratorIjlEEPS9_SE_NS0_5tupleIJPjSE_EEENSF_IJSE_SE_EEES9_SG_JZNS1_25segmented_radix_sort_implINS0_14default_configELb1EPK6__halfPSL_PKlPlN2at6native12_GLOBAL__N_18offset_tEEE10hipError_tPvRmT1_PNSt15iterator_traitsISZ_E10value_typeET2_T3_PNS10_IS15_E10value_typeET4_jRbjT5_S1B_jjP12ihipStream_tbEUljE_EEESW_SX_SY_S15_S19_S1B_T6_T7_T9_mT8_S1D_bDpT10_ENKUlT_T0_E_clISt17integral_constantIbLb0EES1Q_EEDaS1L_S1M_EUlS1L_E_NS1_11comp_targetILNS1_3genE10ELNS1_11target_archE1200ELNS1_3gpuE4ELNS1_3repE0EEENS1_30default_config_static_selectorELNS0_4arch9wavefront6targetE1EEEvSZ_ ; -- Begin function _ZN7rocprim17ROCPRIM_400000_NS6detail17trampoline_kernelINS0_13select_configILj256ELj13ELNS0_17block_load_methodE3ELS4_3ELS4_3ELNS0_20block_scan_algorithmE0ELj4294967295EEENS1_25partition_config_selectorILNS1_17partition_subalgoE3EjNS0_10empty_typeEbEEZZNS1_14partition_implILS8_3ELb0ES6_jNS0_17counting_iteratorIjlEEPS9_SE_NS0_5tupleIJPjSE_EEENSF_IJSE_SE_EEES9_SG_JZNS1_25segmented_radix_sort_implINS0_14default_configELb1EPK6__halfPSL_PKlPlN2at6native12_GLOBAL__N_18offset_tEEE10hipError_tPvRmT1_PNSt15iterator_traitsISZ_E10value_typeET2_T3_PNS10_IS15_E10value_typeET4_jRbjT5_S1B_jjP12ihipStream_tbEUljE_EEESW_SX_SY_S15_S19_S1B_T6_T7_T9_mT8_S1D_bDpT10_ENKUlT_T0_E_clISt17integral_constantIbLb0EES1Q_EEDaS1L_S1M_EUlS1L_E_NS1_11comp_targetILNS1_3genE10ELNS1_11target_archE1200ELNS1_3gpuE4ELNS1_3repE0EEENS1_30default_config_static_selectorELNS0_4arch9wavefront6targetE1EEEvSZ_
	.p2align	8
	.type	_ZN7rocprim17ROCPRIM_400000_NS6detail17trampoline_kernelINS0_13select_configILj256ELj13ELNS0_17block_load_methodE3ELS4_3ELS4_3ELNS0_20block_scan_algorithmE0ELj4294967295EEENS1_25partition_config_selectorILNS1_17partition_subalgoE3EjNS0_10empty_typeEbEEZZNS1_14partition_implILS8_3ELb0ES6_jNS0_17counting_iteratorIjlEEPS9_SE_NS0_5tupleIJPjSE_EEENSF_IJSE_SE_EEES9_SG_JZNS1_25segmented_radix_sort_implINS0_14default_configELb1EPK6__halfPSL_PKlPlN2at6native12_GLOBAL__N_18offset_tEEE10hipError_tPvRmT1_PNSt15iterator_traitsISZ_E10value_typeET2_T3_PNS10_IS15_E10value_typeET4_jRbjT5_S1B_jjP12ihipStream_tbEUljE_EEESW_SX_SY_S15_S19_S1B_T6_T7_T9_mT8_S1D_bDpT10_ENKUlT_T0_E_clISt17integral_constantIbLb0EES1Q_EEDaS1L_S1M_EUlS1L_E_NS1_11comp_targetILNS1_3genE10ELNS1_11target_archE1200ELNS1_3gpuE4ELNS1_3repE0EEENS1_30default_config_static_selectorELNS0_4arch9wavefront6targetE1EEEvSZ_,@function
_ZN7rocprim17ROCPRIM_400000_NS6detail17trampoline_kernelINS0_13select_configILj256ELj13ELNS0_17block_load_methodE3ELS4_3ELS4_3ELNS0_20block_scan_algorithmE0ELj4294967295EEENS1_25partition_config_selectorILNS1_17partition_subalgoE3EjNS0_10empty_typeEbEEZZNS1_14partition_implILS8_3ELb0ES6_jNS0_17counting_iteratorIjlEEPS9_SE_NS0_5tupleIJPjSE_EEENSF_IJSE_SE_EEES9_SG_JZNS1_25segmented_radix_sort_implINS0_14default_configELb1EPK6__halfPSL_PKlPlN2at6native12_GLOBAL__N_18offset_tEEE10hipError_tPvRmT1_PNSt15iterator_traitsISZ_E10value_typeET2_T3_PNS10_IS15_E10value_typeET4_jRbjT5_S1B_jjP12ihipStream_tbEUljE_EEESW_SX_SY_S15_S19_S1B_T6_T7_T9_mT8_S1D_bDpT10_ENKUlT_T0_E_clISt17integral_constantIbLb0EES1Q_EEDaS1L_S1M_EUlS1L_E_NS1_11comp_targetILNS1_3genE10ELNS1_11target_archE1200ELNS1_3gpuE4ELNS1_3repE0EEENS1_30default_config_static_selectorELNS0_4arch9wavefront6targetE1EEEvSZ_: ; @_ZN7rocprim17ROCPRIM_400000_NS6detail17trampoline_kernelINS0_13select_configILj256ELj13ELNS0_17block_load_methodE3ELS4_3ELS4_3ELNS0_20block_scan_algorithmE0ELj4294967295EEENS1_25partition_config_selectorILNS1_17partition_subalgoE3EjNS0_10empty_typeEbEEZZNS1_14partition_implILS8_3ELb0ES6_jNS0_17counting_iteratorIjlEEPS9_SE_NS0_5tupleIJPjSE_EEENSF_IJSE_SE_EEES9_SG_JZNS1_25segmented_radix_sort_implINS0_14default_configELb1EPK6__halfPSL_PKlPlN2at6native12_GLOBAL__N_18offset_tEEE10hipError_tPvRmT1_PNSt15iterator_traitsISZ_E10value_typeET2_T3_PNS10_IS15_E10value_typeET4_jRbjT5_S1B_jjP12ihipStream_tbEUljE_EEESW_SX_SY_S15_S19_S1B_T6_T7_T9_mT8_S1D_bDpT10_ENKUlT_T0_E_clISt17integral_constantIbLb0EES1Q_EEDaS1L_S1M_EUlS1L_E_NS1_11comp_targetILNS1_3genE10ELNS1_11target_archE1200ELNS1_3gpuE4ELNS1_3repE0EEENS1_30default_config_static_selectorELNS0_4arch9wavefront6targetE1EEEvSZ_
; %bb.0:
	.section	.rodata,"a",@progbits
	.p2align	6, 0x0
	.amdhsa_kernel _ZN7rocprim17ROCPRIM_400000_NS6detail17trampoline_kernelINS0_13select_configILj256ELj13ELNS0_17block_load_methodE3ELS4_3ELS4_3ELNS0_20block_scan_algorithmE0ELj4294967295EEENS1_25partition_config_selectorILNS1_17partition_subalgoE3EjNS0_10empty_typeEbEEZZNS1_14partition_implILS8_3ELb0ES6_jNS0_17counting_iteratorIjlEEPS9_SE_NS0_5tupleIJPjSE_EEENSF_IJSE_SE_EEES9_SG_JZNS1_25segmented_radix_sort_implINS0_14default_configELb1EPK6__halfPSL_PKlPlN2at6native12_GLOBAL__N_18offset_tEEE10hipError_tPvRmT1_PNSt15iterator_traitsISZ_E10value_typeET2_T3_PNS10_IS15_E10value_typeET4_jRbjT5_S1B_jjP12ihipStream_tbEUljE_EEESW_SX_SY_S15_S19_S1B_T6_T7_T9_mT8_S1D_bDpT10_ENKUlT_T0_E_clISt17integral_constantIbLb0EES1Q_EEDaS1L_S1M_EUlS1L_E_NS1_11comp_targetILNS1_3genE10ELNS1_11target_archE1200ELNS1_3gpuE4ELNS1_3repE0EEENS1_30default_config_static_selectorELNS0_4arch9wavefront6targetE1EEEvSZ_
		.amdhsa_group_segment_fixed_size 0
		.amdhsa_private_segment_fixed_size 0
		.amdhsa_kernarg_size 144
		.amdhsa_user_sgpr_count 6
		.amdhsa_user_sgpr_private_segment_buffer 1
		.amdhsa_user_sgpr_dispatch_ptr 0
		.amdhsa_user_sgpr_queue_ptr 0
		.amdhsa_user_sgpr_kernarg_segment_ptr 1
		.amdhsa_user_sgpr_dispatch_id 0
		.amdhsa_user_sgpr_flat_scratch_init 0
		.amdhsa_user_sgpr_kernarg_preload_length 0
		.amdhsa_user_sgpr_kernarg_preload_offset 0
		.amdhsa_user_sgpr_private_segment_size 0
		.amdhsa_uses_dynamic_stack 0
		.amdhsa_system_sgpr_private_segment_wavefront_offset 0
		.amdhsa_system_sgpr_workgroup_id_x 1
		.amdhsa_system_sgpr_workgroup_id_y 0
		.amdhsa_system_sgpr_workgroup_id_z 0
		.amdhsa_system_sgpr_workgroup_info 0
		.amdhsa_system_vgpr_workitem_id 0
		.amdhsa_next_free_vgpr 1
		.amdhsa_next_free_sgpr 0
		.amdhsa_accum_offset 4
		.amdhsa_reserve_vcc 0
		.amdhsa_reserve_flat_scratch 0
		.amdhsa_float_round_mode_32 0
		.amdhsa_float_round_mode_16_64 0
		.amdhsa_float_denorm_mode_32 3
		.amdhsa_float_denorm_mode_16_64 3
		.amdhsa_dx10_clamp 1
		.amdhsa_ieee_mode 1
		.amdhsa_fp16_overflow 0
		.amdhsa_tg_split 0
		.amdhsa_exception_fp_ieee_invalid_op 0
		.amdhsa_exception_fp_denorm_src 0
		.amdhsa_exception_fp_ieee_div_zero 0
		.amdhsa_exception_fp_ieee_overflow 0
		.amdhsa_exception_fp_ieee_underflow 0
		.amdhsa_exception_fp_ieee_inexact 0
		.amdhsa_exception_int_div_zero 0
	.end_amdhsa_kernel
	.section	.text._ZN7rocprim17ROCPRIM_400000_NS6detail17trampoline_kernelINS0_13select_configILj256ELj13ELNS0_17block_load_methodE3ELS4_3ELS4_3ELNS0_20block_scan_algorithmE0ELj4294967295EEENS1_25partition_config_selectorILNS1_17partition_subalgoE3EjNS0_10empty_typeEbEEZZNS1_14partition_implILS8_3ELb0ES6_jNS0_17counting_iteratorIjlEEPS9_SE_NS0_5tupleIJPjSE_EEENSF_IJSE_SE_EEES9_SG_JZNS1_25segmented_radix_sort_implINS0_14default_configELb1EPK6__halfPSL_PKlPlN2at6native12_GLOBAL__N_18offset_tEEE10hipError_tPvRmT1_PNSt15iterator_traitsISZ_E10value_typeET2_T3_PNS10_IS15_E10value_typeET4_jRbjT5_S1B_jjP12ihipStream_tbEUljE_EEESW_SX_SY_S15_S19_S1B_T6_T7_T9_mT8_S1D_bDpT10_ENKUlT_T0_E_clISt17integral_constantIbLb0EES1Q_EEDaS1L_S1M_EUlS1L_E_NS1_11comp_targetILNS1_3genE10ELNS1_11target_archE1200ELNS1_3gpuE4ELNS1_3repE0EEENS1_30default_config_static_selectorELNS0_4arch9wavefront6targetE1EEEvSZ_,"axG",@progbits,_ZN7rocprim17ROCPRIM_400000_NS6detail17trampoline_kernelINS0_13select_configILj256ELj13ELNS0_17block_load_methodE3ELS4_3ELS4_3ELNS0_20block_scan_algorithmE0ELj4294967295EEENS1_25partition_config_selectorILNS1_17partition_subalgoE3EjNS0_10empty_typeEbEEZZNS1_14partition_implILS8_3ELb0ES6_jNS0_17counting_iteratorIjlEEPS9_SE_NS0_5tupleIJPjSE_EEENSF_IJSE_SE_EEES9_SG_JZNS1_25segmented_radix_sort_implINS0_14default_configELb1EPK6__halfPSL_PKlPlN2at6native12_GLOBAL__N_18offset_tEEE10hipError_tPvRmT1_PNSt15iterator_traitsISZ_E10value_typeET2_T3_PNS10_IS15_E10value_typeET4_jRbjT5_S1B_jjP12ihipStream_tbEUljE_EEESW_SX_SY_S15_S19_S1B_T6_T7_T9_mT8_S1D_bDpT10_ENKUlT_T0_E_clISt17integral_constantIbLb0EES1Q_EEDaS1L_S1M_EUlS1L_E_NS1_11comp_targetILNS1_3genE10ELNS1_11target_archE1200ELNS1_3gpuE4ELNS1_3repE0EEENS1_30default_config_static_selectorELNS0_4arch9wavefront6targetE1EEEvSZ_,comdat
.Lfunc_end1710:
	.size	_ZN7rocprim17ROCPRIM_400000_NS6detail17trampoline_kernelINS0_13select_configILj256ELj13ELNS0_17block_load_methodE3ELS4_3ELS4_3ELNS0_20block_scan_algorithmE0ELj4294967295EEENS1_25partition_config_selectorILNS1_17partition_subalgoE3EjNS0_10empty_typeEbEEZZNS1_14partition_implILS8_3ELb0ES6_jNS0_17counting_iteratorIjlEEPS9_SE_NS0_5tupleIJPjSE_EEENSF_IJSE_SE_EEES9_SG_JZNS1_25segmented_radix_sort_implINS0_14default_configELb1EPK6__halfPSL_PKlPlN2at6native12_GLOBAL__N_18offset_tEEE10hipError_tPvRmT1_PNSt15iterator_traitsISZ_E10value_typeET2_T3_PNS10_IS15_E10value_typeET4_jRbjT5_S1B_jjP12ihipStream_tbEUljE_EEESW_SX_SY_S15_S19_S1B_T6_T7_T9_mT8_S1D_bDpT10_ENKUlT_T0_E_clISt17integral_constantIbLb0EES1Q_EEDaS1L_S1M_EUlS1L_E_NS1_11comp_targetILNS1_3genE10ELNS1_11target_archE1200ELNS1_3gpuE4ELNS1_3repE0EEENS1_30default_config_static_selectorELNS0_4arch9wavefront6targetE1EEEvSZ_, .Lfunc_end1710-_ZN7rocprim17ROCPRIM_400000_NS6detail17trampoline_kernelINS0_13select_configILj256ELj13ELNS0_17block_load_methodE3ELS4_3ELS4_3ELNS0_20block_scan_algorithmE0ELj4294967295EEENS1_25partition_config_selectorILNS1_17partition_subalgoE3EjNS0_10empty_typeEbEEZZNS1_14partition_implILS8_3ELb0ES6_jNS0_17counting_iteratorIjlEEPS9_SE_NS0_5tupleIJPjSE_EEENSF_IJSE_SE_EEES9_SG_JZNS1_25segmented_radix_sort_implINS0_14default_configELb1EPK6__halfPSL_PKlPlN2at6native12_GLOBAL__N_18offset_tEEE10hipError_tPvRmT1_PNSt15iterator_traitsISZ_E10value_typeET2_T3_PNS10_IS15_E10value_typeET4_jRbjT5_S1B_jjP12ihipStream_tbEUljE_EEESW_SX_SY_S15_S19_S1B_T6_T7_T9_mT8_S1D_bDpT10_ENKUlT_T0_E_clISt17integral_constantIbLb0EES1Q_EEDaS1L_S1M_EUlS1L_E_NS1_11comp_targetILNS1_3genE10ELNS1_11target_archE1200ELNS1_3gpuE4ELNS1_3repE0EEENS1_30default_config_static_selectorELNS0_4arch9wavefront6targetE1EEEvSZ_
                                        ; -- End function
	.section	.AMDGPU.csdata,"",@progbits
; Kernel info:
; codeLenInByte = 0
; NumSgprs: 4
; NumVgprs: 0
; NumAgprs: 0
; TotalNumVgprs: 0
; ScratchSize: 0
; MemoryBound: 0
; FloatMode: 240
; IeeeMode: 1
; LDSByteSize: 0 bytes/workgroup (compile time only)
; SGPRBlocks: 0
; VGPRBlocks: 0
; NumSGPRsForWavesPerEU: 4
; NumVGPRsForWavesPerEU: 1
; AccumOffset: 4
; Occupancy: 8
; WaveLimiterHint : 0
; COMPUTE_PGM_RSRC2:SCRATCH_EN: 0
; COMPUTE_PGM_RSRC2:USER_SGPR: 6
; COMPUTE_PGM_RSRC2:TRAP_HANDLER: 0
; COMPUTE_PGM_RSRC2:TGID_X_EN: 1
; COMPUTE_PGM_RSRC2:TGID_Y_EN: 0
; COMPUTE_PGM_RSRC2:TGID_Z_EN: 0
; COMPUTE_PGM_RSRC2:TIDIG_COMP_CNT: 0
; COMPUTE_PGM_RSRC3_GFX90A:ACCUM_OFFSET: 0
; COMPUTE_PGM_RSRC3_GFX90A:TG_SPLIT: 0
	.section	.text._ZN7rocprim17ROCPRIM_400000_NS6detail17trampoline_kernelINS0_13select_configILj256ELj13ELNS0_17block_load_methodE3ELS4_3ELS4_3ELNS0_20block_scan_algorithmE0ELj4294967295EEENS1_25partition_config_selectorILNS1_17partition_subalgoE3EjNS0_10empty_typeEbEEZZNS1_14partition_implILS8_3ELb0ES6_jNS0_17counting_iteratorIjlEEPS9_SE_NS0_5tupleIJPjSE_EEENSF_IJSE_SE_EEES9_SG_JZNS1_25segmented_radix_sort_implINS0_14default_configELb1EPK6__halfPSL_PKlPlN2at6native12_GLOBAL__N_18offset_tEEE10hipError_tPvRmT1_PNSt15iterator_traitsISZ_E10value_typeET2_T3_PNS10_IS15_E10value_typeET4_jRbjT5_S1B_jjP12ihipStream_tbEUljE_EEESW_SX_SY_S15_S19_S1B_T6_T7_T9_mT8_S1D_bDpT10_ENKUlT_T0_E_clISt17integral_constantIbLb0EES1Q_EEDaS1L_S1M_EUlS1L_E_NS1_11comp_targetILNS1_3genE9ELNS1_11target_archE1100ELNS1_3gpuE3ELNS1_3repE0EEENS1_30default_config_static_selectorELNS0_4arch9wavefront6targetE1EEEvSZ_,"axG",@progbits,_ZN7rocprim17ROCPRIM_400000_NS6detail17trampoline_kernelINS0_13select_configILj256ELj13ELNS0_17block_load_methodE3ELS4_3ELS4_3ELNS0_20block_scan_algorithmE0ELj4294967295EEENS1_25partition_config_selectorILNS1_17partition_subalgoE3EjNS0_10empty_typeEbEEZZNS1_14partition_implILS8_3ELb0ES6_jNS0_17counting_iteratorIjlEEPS9_SE_NS0_5tupleIJPjSE_EEENSF_IJSE_SE_EEES9_SG_JZNS1_25segmented_radix_sort_implINS0_14default_configELb1EPK6__halfPSL_PKlPlN2at6native12_GLOBAL__N_18offset_tEEE10hipError_tPvRmT1_PNSt15iterator_traitsISZ_E10value_typeET2_T3_PNS10_IS15_E10value_typeET4_jRbjT5_S1B_jjP12ihipStream_tbEUljE_EEESW_SX_SY_S15_S19_S1B_T6_T7_T9_mT8_S1D_bDpT10_ENKUlT_T0_E_clISt17integral_constantIbLb0EES1Q_EEDaS1L_S1M_EUlS1L_E_NS1_11comp_targetILNS1_3genE9ELNS1_11target_archE1100ELNS1_3gpuE3ELNS1_3repE0EEENS1_30default_config_static_selectorELNS0_4arch9wavefront6targetE1EEEvSZ_,comdat
	.globl	_ZN7rocprim17ROCPRIM_400000_NS6detail17trampoline_kernelINS0_13select_configILj256ELj13ELNS0_17block_load_methodE3ELS4_3ELS4_3ELNS0_20block_scan_algorithmE0ELj4294967295EEENS1_25partition_config_selectorILNS1_17partition_subalgoE3EjNS0_10empty_typeEbEEZZNS1_14partition_implILS8_3ELb0ES6_jNS0_17counting_iteratorIjlEEPS9_SE_NS0_5tupleIJPjSE_EEENSF_IJSE_SE_EEES9_SG_JZNS1_25segmented_radix_sort_implINS0_14default_configELb1EPK6__halfPSL_PKlPlN2at6native12_GLOBAL__N_18offset_tEEE10hipError_tPvRmT1_PNSt15iterator_traitsISZ_E10value_typeET2_T3_PNS10_IS15_E10value_typeET4_jRbjT5_S1B_jjP12ihipStream_tbEUljE_EEESW_SX_SY_S15_S19_S1B_T6_T7_T9_mT8_S1D_bDpT10_ENKUlT_T0_E_clISt17integral_constantIbLb0EES1Q_EEDaS1L_S1M_EUlS1L_E_NS1_11comp_targetILNS1_3genE9ELNS1_11target_archE1100ELNS1_3gpuE3ELNS1_3repE0EEENS1_30default_config_static_selectorELNS0_4arch9wavefront6targetE1EEEvSZ_ ; -- Begin function _ZN7rocprim17ROCPRIM_400000_NS6detail17trampoline_kernelINS0_13select_configILj256ELj13ELNS0_17block_load_methodE3ELS4_3ELS4_3ELNS0_20block_scan_algorithmE0ELj4294967295EEENS1_25partition_config_selectorILNS1_17partition_subalgoE3EjNS0_10empty_typeEbEEZZNS1_14partition_implILS8_3ELb0ES6_jNS0_17counting_iteratorIjlEEPS9_SE_NS0_5tupleIJPjSE_EEENSF_IJSE_SE_EEES9_SG_JZNS1_25segmented_radix_sort_implINS0_14default_configELb1EPK6__halfPSL_PKlPlN2at6native12_GLOBAL__N_18offset_tEEE10hipError_tPvRmT1_PNSt15iterator_traitsISZ_E10value_typeET2_T3_PNS10_IS15_E10value_typeET4_jRbjT5_S1B_jjP12ihipStream_tbEUljE_EEESW_SX_SY_S15_S19_S1B_T6_T7_T9_mT8_S1D_bDpT10_ENKUlT_T0_E_clISt17integral_constantIbLb0EES1Q_EEDaS1L_S1M_EUlS1L_E_NS1_11comp_targetILNS1_3genE9ELNS1_11target_archE1100ELNS1_3gpuE3ELNS1_3repE0EEENS1_30default_config_static_selectorELNS0_4arch9wavefront6targetE1EEEvSZ_
	.p2align	8
	.type	_ZN7rocprim17ROCPRIM_400000_NS6detail17trampoline_kernelINS0_13select_configILj256ELj13ELNS0_17block_load_methodE3ELS4_3ELS4_3ELNS0_20block_scan_algorithmE0ELj4294967295EEENS1_25partition_config_selectorILNS1_17partition_subalgoE3EjNS0_10empty_typeEbEEZZNS1_14partition_implILS8_3ELb0ES6_jNS0_17counting_iteratorIjlEEPS9_SE_NS0_5tupleIJPjSE_EEENSF_IJSE_SE_EEES9_SG_JZNS1_25segmented_radix_sort_implINS0_14default_configELb1EPK6__halfPSL_PKlPlN2at6native12_GLOBAL__N_18offset_tEEE10hipError_tPvRmT1_PNSt15iterator_traitsISZ_E10value_typeET2_T3_PNS10_IS15_E10value_typeET4_jRbjT5_S1B_jjP12ihipStream_tbEUljE_EEESW_SX_SY_S15_S19_S1B_T6_T7_T9_mT8_S1D_bDpT10_ENKUlT_T0_E_clISt17integral_constantIbLb0EES1Q_EEDaS1L_S1M_EUlS1L_E_NS1_11comp_targetILNS1_3genE9ELNS1_11target_archE1100ELNS1_3gpuE3ELNS1_3repE0EEENS1_30default_config_static_selectorELNS0_4arch9wavefront6targetE1EEEvSZ_,@function
_ZN7rocprim17ROCPRIM_400000_NS6detail17trampoline_kernelINS0_13select_configILj256ELj13ELNS0_17block_load_methodE3ELS4_3ELS4_3ELNS0_20block_scan_algorithmE0ELj4294967295EEENS1_25partition_config_selectorILNS1_17partition_subalgoE3EjNS0_10empty_typeEbEEZZNS1_14partition_implILS8_3ELb0ES6_jNS0_17counting_iteratorIjlEEPS9_SE_NS0_5tupleIJPjSE_EEENSF_IJSE_SE_EEES9_SG_JZNS1_25segmented_radix_sort_implINS0_14default_configELb1EPK6__halfPSL_PKlPlN2at6native12_GLOBAL__N_18offset_tEEE10hipError_tPvRmT1_PNSt15iterator_traitsISZ_E10value_typeET2_T3_PNS10_IS15_E10value_typeET4_jRbjT5_S1B_jjP12ihipStream_tbEUljE_EEESW_SX_SY_S15_S19_S1B_T6_T7_T9_mT8_S1D_bDpT10_ENKUlT_T0_E_clISt17integral_constantIbLb0EES1Q_EEDaS1L_S1M_EUlS1L_E_NS1_11comp_targetILNS1_3genE9ELNS1_11target_archE1100ELNS1_3gpuE3ELNS1_3repE0EEENS1_30default_config_static_selectorELNS0_4arch9wavefront6targetE1EEEvSZ_: ; @_ZN7rocprim17ROCPRIM_400000_NS6detail17trampoline_kernelINS0_13select_configILj256ELj13ELNS0_17block_load_methodE3ELS4_3ELS4_3ELNS0_20block_scan_algorithmE0ELj4294967295EEENS1_25partition_config_selectorILNS1_17partition_subalgoE3EjNS0_10empty_typeEbEEZZNS1_14partition_implILS8_3ELb0ES6_jNS0_17counting_iteratorIjlEEPS9_SE_NS0_5tupleIJPjSE_EEENSF_IJSE_SE_EEES9_SG_JZNS1_25segmented_radix_sort_implINS0_14default_configELb1EPK6__halfPSL_PKlPlN2at6native12_GLOBAL__N_18offset_tEEE10hipError_tPvRmT1_PNSt15iterator_traitsISZ_E10value_typeET2_T3_PNS10_IS15_E10value_typeET4_jRbjT5_S1B_jjP12ihipStream_tbEUljE_EEESW_SX_SY_S15_S19_S1B_T6_T7_T9_mT8_S1D_bDpT10_ENKUlT_T0_E_clISt17integral_constantIbLb0EES1Q_EEDaS1L_S1M_EUlS1L_E_NS1_11comp_targetILNS1_3genE9ELNS1_11target_archE1100ELNS1_3gpuE3ELNS1_3repE0EEENS1_30default_config_static_selectorELNS0_4arch9wavefront6targetE1EEEvSZ_
; %bb.0:
	.section	.rodata,"a",@progbits
	.p2align	6, 0x0
	.amdhsa_kernel _ZN7rocprim17ROCPRIM_400000_NS6detail17trampoline_kernelINS0_13select_configILj256ELj13ELNS0_17block_load_methodE3ELS4_3ELS4_3ELNS0_20block_scan_algorithmE0ELj4294967295EEENS1_25partition_config_selectorILNS1_17partition_subalgoE3EjNS0_10empty_typeEbEEZZNS1_14partition_implILS8_3ELb0ES6_jNS0_17counting_iteratorIjlEEPS9_SE_NS0_5tupleIJPjSE_EEENSF_IJSE_SE_EEES9_SG_JZNS1_25segmented_radix_sort_implINS0_14default_configELb1EPK6__halfPSL_PKlPlN2at6native12_GLOBAL__N_18offset_tEEE10hipError_tPvRmT1_PNSt15iterator_traitsISZ_E10value_typeET2_T3_PNS10_IS15_E10value_typeET4_jRbjT5_S1B_jjP12ihipStream_tbEUljE_EEESW_SX_SY_S15_S19_S1B_T6_T7_T9_mT8_S1D_bDpT10_ENKUlT_T0_E_clISt17integral_constantIbLb0EES1Q_EEDaS1L_S1M_EUlS1L_E_NS1_11comp_targetILNS1_3genE9ELNS1_11target_archE1100ELNS1_3gpuE3ELNS1_3repE0EEENS1_30default_config_static_selectorELNS0_4arch9wavefront6targetE1EEEvSZ_
		.amdhsa_group_segment_fixed_size 0
		.amdhsa_private_segment_fixed_size 0
		.amdhsa_kernarg_size 144
		.amdhsa_user_sgpr_count 6
		.amdhsa_user_sgpr_private_segment_buffer 1
		.amdhsa_user_sgpr_dispatch_ptr 0
		.amdhsa_user_sgpr_queue_ptr 0
		.amdhsa_user_sgpr_kernarg_segment_ptr 1
		.amdhsa_user_sgpr_dispatch_id 0
		.amdhsa_user_sgpr_flat_scratch_init 0
		.amdhsa_user_sgpr_kernarg_preload_length 0
		.amdhsa_user_sgpr_kernarg_preload_offset 0
		.amdhsa_user_sgpr_private_segment_size 0
		.amdhsa_uses_dynamic_stack 0
		.amdhsa_system_sgpr_private_segment_wavefront_offset 0
		.amdhsa_system_sgpr_workgroup_id_x 1
		.amdhsa_system_sgpr_workgroup_id_y 0
		.amdhsa_system_sgpr_workgroup_id_z 0
		.amdhsa_system_sgpr_workgroup_info 0
		.amdhsa_system_vgpr_workitem_id 0
		.amdhsa_next_free_vgpr 1
		.amdhsa_next_free_sgpr 0
		.amdhsa_accum_offset 4
		.amdhsa_reserve_vcc 0
		.amdhsa_reserve_flat_scratch 0
		.amdhsa_float_round_mode_32 0
		.amdhsa_float_round_mode_16_64 0
		.amdhsa_float_denorm_mode_32 3
		.amdhsa_float_denorm_mode_16_64 3
		.amdhsa_dx10_clamp 1
		.amdhsa_ieee_mode 1
		.amdhsa_fp16_overflow 0
		.amdhsa_tg_split 0
		.amdhsa_exception_fp_ieee_invalid_op 0
		.amdhsa_exception_fp_denorm_src 0
		.amdhsa_exception_fp_ieee_div_zero 0
		.amdhsa_exception_fp_ieee_overflow 0
		.amdhsa_exception_fp_ieee_underflow 0
		.amdhsa_exception_fp_ieee_inexact 0
		.amdhsa_exception_int_div_zero 0
	.end_amdhsa_kernel
	.section	.text._ZN7rocprim17ROCPRIM_400000_NS6detail17trampoline_kernelINS0_13select_configILj256ELj13ELNS0_17block_load_methodE3ELS4_3ELS4_3ELNS0_20block_scan_algorithmE0ELj4294967295EEENS1_25partition_config_selectorILNS1_17partition_subalgoE3EjNS0_10empty_typeEbEEZZNS1_14partition_implILS8_3ELb0ES6_jNS0_17counting_iteratorIjlEEPS9_SE_NS0_5tupleIJPjSE_EEENSF_IJSE_SE_EEES9_SG_JZNS1_25segmented_radix_sort_implINS0_14default_configELb1EPK6__halfPSL_PKlPlN2at6native12_GLOBAL__N_18offset_tEEE10hipError_tPvRmT1_PNSt15iterator_traitsISZ_E10value_typeET2_T3_PNS10_IS15_E10value_typeET4_jRbjT5_S1B_jjP12ihipStream_tbEUljE_EEESW_SX_SY_S15_S19_S1B_T6_T7_T9_mT8_S1D_bDpT10_ENKUlT_T0_E_clISt17integral_constantIbLb0EES1Q_EEDaS1L_S1M_EUlS1L_E_NS1_11comp_targetILNS1_3genE9ELNS1_11target_archE1100ELNS1_3gpuE3ELNS1_3repE0EEENS1_30default_config_static_selectorELNS0_4arch9wavefront6targetE1EEEvSZ_,"axG",@progbits,_ZN7rocprim17ROCPRIM_400000_NS6detail17trampoline_kernelINS0_13select_configILj256ELj13ELNS0_17block_load_methodE3ELS4_3ELS4_3ELNS0_20block_scan_algorithmE0ELj4294967295EEENS1_25partition_config_selectorILNS1_17partition_subalgoE3EjNS0_10empty_typeEbEEZZNS1_14partition_implILS8_3ELb0ES6_jNS0_17counting_iteratorIjlEEPS9_SE_NS0_5tupleIJPjSE_EEENSF_IJSE_SE_EEES9_SG_JZNS1_25segmented_radix_sort_implINS0_14default_configELb1EPK6__halfPSL_PKlPlN2at6native12_GLOBAL__N_18offset_tEEE10hipError_tPvRmT1_PNSt15iterator_traitsISZ_E10value_typeET2_T3_PNS10_IS15_E10value_typeET4_jRbjT5_S1B_jjP12ihipStream_tbEUljE_EEESW_SX_SY_S15_S19_S1B_T6_T7_T9_mT8_S1D_bDpT10_ENKUlT_T0_E_clISt17integral_constantIbLb0EES1Q_EEDaS1L_S1M_EUlS1L_E_NS1_11comp_targetILNS1_3genE9ELNS1_11target_archE1100ELNS1_3gpuE3ELNS1_3repE0EEENS1_30default_config_static_selectorELNS0_4arch9wavefront6targetE1EEEvSZ_,comdat
.Lfunc_end1711:
	.size	_ZN7rocprim17ROCPRIM_400000_NS6detail17trampoline_kernelINS0_13select_configILj256ELj13ELNS0_17block_load_methodE3ELS4_3ELS4_3ELNS0_20block_scan_algorithmE0ELj4294967295EEENS1_25partition_config_selectorILNS1_17partition_subalgoE3EjNS0_10empty_typeEbEEZZNS1_14partition_implILS8_3ELb0ES6_jNS0_17counting_iteratorIjlEEPS9_SE_NS0_5tupleIJPjSE_EEENSF_IJSE_SE_EEES9_SG_JZNS1_25segmented_radix_sort_implINS0_14default_configELb1EPK6__halfPSL_PKlPlN2at6native12_GLOBAL__N_18offset_tEEE10hipError_tPvRmT1_PNSt15iterator_traitsISZ_E10value_typeET2_T3_PNS10_IS15_E10value_typeET4_jRbjT5_S1B_jjP12ihipStream_tbEUljE_EEESW_SX_SY_S15_S19_S1B_T6_T7_T9_mT8_S1D_bDpT10_ENKUlT_T0_E_clISt17integral_constantIbLb0EES1Q_EEDaS1L_S1M_EUlS1L_E_NS1_11comp_targetILNS1_3genE9ELNS1_11target_archE1100ELNS1_3gpuE3ELNS1_3repE0EEENS1_30default_config_static_selectorELNS0_4arch9wavefront6targetE1EEEvSZ_, .Lfunc_end1711-_ZN7rocprim17ROCPRIM_400000_NS6detail17trampoline_kernelINS0_13select_configILj256ELj13ELNS0_17block_load_methodE3ELS4_3ELS4_3ELNS0_20block_scan_algorithmE0ELj4294967295EEENS1_25partition_config_selectorILNS1_17partition_subalgoE3EjNS0_10empty_typeEbEEZZNS1_14partition_implILS8_3ELb0ES6_jNS0_17counting_iteratorIjlEEPS9_SE_NS0_5tupleIJPjSE_EEENSF_IJSE_SE_EEES9_SG_JZNS1_25segmented_radix_sort_implINS0_14default_configELb1EPK6__halfPSL_PKlPlN2at6native12_GLOBAL__N_18offset_tEEE10hipError_tPvRmT1_PNSt15iterator_traitsISZ_E10value_typeET2_T3_PNS10_IS15_E10value_typeET4_jRbjT5_S1B_jjP12ihipStream_tbEUljE_EEESW_SX_SY_S15_S19_S1B_T6_T7_T9_mT8_S1D_bDpT10_ENKUlT_T0_E_clISt17integral_constantIbLb0EES1Q_EEDaS1L_S1M_EUlS1L_E_NS1_11comp_targetILNS1_3genE9ELNS1_11target_archE1100ELNS1_3gpuE3ELNS1_3repE0EEENS1_30default_config_static_selectorELNS0_4arch9wavefront6targetE1EEEvSZ_
                                        ; -- End function
	.section	.AMDGPU.csdata,"",@progbits
; Kernel info:
; codeLenInByte = 0
; NumSgprs: 4
; NumVgprs: 0
; NumAgprs: 0
; TotalNumVgprs: 0
; ScratchSize: 0
; MemoryBound: 0
; FloatMode: 240
; IeeeMode: 1
; LDSByteSize: 0 bytes/workgroup (compile time only)
; SGPRBlocks: 0
; VGPRBlocks: 0
; NumSGPRsForWavesPerEU: 4
; NumVGPRsForWavesPerEU: 1
; AccumOffset: 4
; Occupancy: 8
; WaveLimiterHint : 0
; COMPUTE_PGM_RSRC2:SCRATCH_EN: 0
; COMPUTE_PGM_RSRC2:USER_SGPR: 6
; COMPUTE_PGM_RSRC2:TRAP_HANDLER: 0
; COMPUTE_PGM_RSRC2:TGID_X_EN: 1
; COMPUTE_PGM_RSRC2:TGID_Y_EN: 0
; COMPUTE_PGM_RSRC2:TGID_Z_EN: 0
; COMPUTE_PGM_RSRC2:TIDIG_COMP_CNT: 0
; COMPUTE_PGM_RSRC3_GFX90A:ACCUM_OFFSET: 0
; COMPUTE_PGM_RSRC3_GFX90A:TG_SPLIT: 0
	.section	.text._ZN7rocprim17ROCPRIM_400000_NS6detail17trampoline_kernelINS0_13select_configILj256ELj13ELNS0_17block_load_methodE3ELS4_3ELS4_3ELNS0_20block_scan_algorithmE0ELj4294967295EEENS1_25partition_config_selectorILNS1_17partition_subalgoE3EjNS0_10empty_typeEbEEZZNS1_14partition_implILS8_3ELb0ES6_jNS0_17counting_iteratorIjlEEPS9_SE_NS0_5tupleIJPjSE_EEENSF_IJSE_SE_EEES9_SG_JZNS1_25segmented_radix_sort_implINS0_14default_configELb1EPK6__halfPSL_PKlPlN2at6native12_GLOBAL__N_18offset_tEEE10hipError_tPvRmT1_PNSt15iterator_traitsISZ_E10value_typeET2_T3_PNS10_IS15_E10value_typeET4_jRbjT5_S1B_jjP12ihipStream_tbEUljE_EEESW_SX_SY_S15_S19_S1B_T6_T7_T9_mT8_S1D_bDpT10_ENKUlT_T0_E_clISt17integral_constantIbLb0EES1Q_EEDaS1L_S1M_EUlS1L_E_NS1_11comp_targetILNS1_3genE8ELNS1_11target_archE1030ELNS1_3gpuE2ELNS1_3repE0EEENS1_30default_config_static_selectorELNS0_4arch9wavefront6targetE1EEEvSZ_,"axG",@progbits,_ZN7rocprim17ROCPRIM_400000_NS6detail17trampoline_kernelINS0_13select_configILj256ELj13ELNS0_17block_load_methodE3ELS4_3ELS4_3ELNS0_20block_scan_algorithmE0ELj4294967295EEENS1_25partition_config_selectorILNS1_17partition_subalgoE3EjNS0_10empty_typeEbEEZZNS1_14partition_implILS8_3ELb0ES6_jNS0_17counting_iteratorIjlEEPS9_SE_NS0_5tupleIJPjSE_EEENSF_IJSE_SE_EEES9_SG_JZNS1_25segmented_radix_sort_implINS0_14default_configELb1EPK6__halfPSL_PKlPlN2at6native12_GLOBAL__N_18offset_tEEE10hipError_tPvRmT1_PNSt15iterator_traitsISZ_E10value_typeET2_T3_PNS10_IS15_E10value_typeET4_jRbjT5_S1B_jjP12ihipStream_tbEUljE_EEESW_SX_SY_S15_S19_S1B_T6_T7_T9_mT8_S1D_bDpT10_ENKUlT_T0_E_clISt17integral_constantIbLb0EES1Q_EEDaS1L_S1M_EUlS1L_E_NS1_11comp_targetILNS1_3genE8ELNS1_11target_archE1030ELNS1_3gpuE2ELNS1_3repE0EEENS1_30default_config_static_selectorELNS0_4arch9wavefront6targetE1EEEvSZ_,comdat
	.globl	_ZN7rocprim17ROCPRIM_400000_NS6detail17trampoline_kernelINS0_13select_configILj256ELj13ELNS0_17block_load_methodE3ELS4_3ELS4_3ELNS0_20block_scan_algorithmE0ELj4294967295EEENS1_25partition_config_selectorILNS1_17partition_subalgoE3EjNS0_10empty_typeEbEEZZNS1_14partition_implILS8_3ELb0ES6_jNS0_17counting_iteratorIjlEEPS9_SE_NS0_5tupleIJPjSE_EEENSF_IJSE_SE_EEES9_SG_JZNS1_25segmented_radix_sort_implINS0_14default_configELb1EPK6__halfPSL_PKlPlN2at6native12_GLOBAL__N_18offset_tEEE10hipError_tPvRmT1_PNSt15iterator_traitsISZ_E10value_typeET2_T3_PNS10_IS15_E10value_typeET4_jRbjT5_S1B_jjP12ihipStream_tbEUljE_EEESW_SX_SY_S15_S19_S1B_T6_T7_T9_mT8_S1D_bDpT10_ENKUlT_T0_E_clISt17integral_constantIbLb0EES1Q_EEDaS1L_S1M_EUlS1L_E_NS1_11comp_targetILNS1_3genE8ELNS1_11target_archE1030ELNS1_3gpuE2ELNS1_3repE0EEENS1_30default_config_static_selectorELNS0_4arch9wavefront6targetE1EEEvSZ_ ; -- Begin function _ZN7rocprim17ROCPRIM_400000_NS6detail17trampoline_kernelINS0_13select_configILj256ELj13ELNS0_17block_load_methodE3ELS4_3ELS4_3ELNS0_20block_scan_algorithmE0ELj4294967295EEENS1_25partition_config_selectorILNS1_17partition_subalgoE3EjNS0_10empty_typeEbEEZZNS1_14partition_implILS8_3ELb0ES6_jNS0_17counting_iteratorIjlEEPS9_SE_NS0_5tupleIJPjSE_EEENSF_IJSE_SE_EEES9_SG_JZNS1_25segmented_radix_sort_implINS0_14default_configELb1EPK6__halfPSL_PKlPlN2at6native12_GLOBAL__N_18offset_tEEE10hipError_tPvRmT1_PNSt15iterator_traitsISZ_E10value_typeET2_T3_PNS10_IS15_E10value_typeET4_jRbjT5_S1B_jjP12ihipStream_tbEUljE_EEESW_SX_SY_S15_S19_S1B_T6_T7_T9_mT8_S1D_bDpT10_ENKUlT_T0_E_clISt17integral_constantIbLb0EES1Q_EEDaS1L_S1M_EUlS1L_E_NS1_11comp_targetILNS1_3genE8ELNS1_11target_archE1030ELNS1_3gpuE2ELNS1_3repE0EEENS1_30default_config_static_selectorELNS0_4arch9wavefront6targetE1EEEvSZ_
	.p2align	8
	.type	_ZN7rocprim17ROCPRIM_400000_NS6detail17trampoline_kernelINS0_13select_configILj256ELj13ELNS0_17block_load_methodE3ELS4_3ELS4_3ELNS0_20block_scan_algorithmE0ELj4294967295EEENS1_25partition_config_selectorILNS1_17partition_subalgoE3EjNS0_10empty_typeEbEEZZNS1_14partition_implILS8_3ELb0ES6_jNS0_17counting_iteratorIjlEEPS9_SE_NS0_5tupleIJPjSE_EEENSF_IJSE_SE_EEES9_SG_JZNS1_25segmented_radix_sort_implINS0_14default_configELb1EPK6__halfPSL_PKlPlN2at6native12_GLOBAL__N_18offset_tEEE10hipError_tPvRmT1_PNSt15iterator_traitsISZ_E10value_typeET2_T3_PNS10_IS15_E10value_typeET4_jRbjT5_S1B_jjP12ihipStream_tbEUljE_EEESW_SX_SY_S15_S19_S1B_T6_T7_T9_mT8_S1D_bDpT10_ENKUlT_T0_E_clISt17integral_constantIbLb0EES1Q_EEDaS1L_S1M_EUlS1L_E_NS1_11comp_targetILNS1_3genE8ELNS1_11target_archE1030ELNS1_3gpuE2ELNS1_3repE0EEENS1_30default_config_static_selectorELNS0_4arch9wavefront6targetE1EEEvSZ_,@function
_ZN7rocprim17ROCPRIM_400000_NS6detail17trampoline_kernelINS0_13select_configILj256ELj13ELNS0_17block_load_methodE3ELS4_3ELS4_3ELNS0_20block_scan_algorithmE0ELj4294967295EEENS1_25partition_config_selectorILNS1_17partition_subalgoE3EjNS0_10empty_typeEbEEZZNS1_14partition_implILS8_3ELb0ES6_jNS0_17counting_iteratorIjlEEPS9_SE_NS0_5tupleIJPjSE_EEENSF_IJSE_SE_EEES9_SG_JZNS1_25segmented_radix_sort_implINS0_14default_configELb1EPK6__halfPSL_PKlPlN2at6native12_GLOBAL__N_18offset_tEEE10hipError_tPvRmT1_PNSt15iterator_traitsISZ_E10value_typeET2_T3_PNS10_IS15_E10value_typeET4_jRbjT5_S1B_jjP12ihipStream_tbEUljE_EEESW_SX_SY_S15_S19_S1B_T6_T7_T9_mT8_S1D_bDpT10_ENKUlT_T0_E_clISt17integral_constantIbLb0EES1Q_EEDaS1L_S1M_EUlS1L_E_NS1_11comp_targetILNS1_3genE8ELNS1_11target_archE1030ELNS1_3gpuE2ELNS1_3repE0EEENS1_30default_config_static_selectorELNS0_4arch9wavefront6targetE1EEEvSZ_: ; @_ZN7rocprim17ROCPRIM_400000_NS6detail17trampoline_kernelINS0_13select_configILj256ELj13ELNS0_17block_load_methodE3ELS4_3ELS4_3ELNS0_20block_scan_algorithmE0ELj4294967295EEENS1_25partition_config_selectorILNS1_17partition_subalgoE3EjNS0_10empty_typeEbEEZZNS1_14partition_implILS8_3ELb0ES6_jNS0_17counting_iteratorIjlEEPS9_SE_NS0_5tupleIJPjSE_EEENSF_IJSE_SE_EEES9_SG_JZNS1_25segmented_radix_sort_implINS0_14default_configELb1EPK6__halfPSL_PKlPlN2at6native12_GLOBAL__N_18offset_tEEE10hipError_tPvRmT1_PNSt15iterator_traitsISZ_E10value_typeET2_T3_PNS10_IS15_E10value_typeET4_jRbjT5_S1B_jjP12ihipStream_tbEUljE_EEESW_SX_SY_S15_S19_S1B_T6_T7_T9_mT8_S1D_bDpT10_ENKUlT_T0_E_clISt17integral_constantIbLb0EES1Q_EEDaS1L_S1M_EUlS1L_E_NS1_11comp_targetILNS1_3genE8ELNS1_11target_archE1030ELNS1_3gpuE2ELNS1_3repE0EEENS1_30default_config_static_selectorELNS0_4arch9wavefront6targetE1EEEvSZ_
; %bb.0:
	.section	.rodata,"a",@progbits
	.p2align	6, 0x0
	.amdhsa_kernel _ZN7rocprim17ROCPRIM_400000_NS6detail17trampoline_kernelINS0_13select_configILj256ELj13ELNS0_17block_load_methodE3ELS4_3ELS4_3ELNS0_20block_scan_algorithmE0ELj4294967295EEENS1_25partition_config_selectorILNS1_17partition_subalgoE3EjNS0_10empty_typeEbEEZZNS1_14partition_implILS8_3ELb0ES6_jNS0_17counting_iteratorIjlEEPS9_SE_NS0_5tupleIJPjSE_EEENSF_IJSE_SE_EEES9_SG_JZNS1_25segmented_radix_sort_implINS0_14default_configELb1EPK6__halfPSL_PKlPlN2at6native12_GLOBAL__N_18offset_tEEE10hipError_tPvRmT1_PNSt15iterator_traitsISZ_E10value_typeET2_T3_PNS10_IS15_E10value_typeET4_jRbjT5_S1B_jjP12ihipStream_tbEUljE_EEESW_SX_SY_S15_S19_S1B_T6_T7_T9_mT8_S1D_bDpT10_ENKUlT_T0_E_clISt17integral_constantIbLb0EES1Q_EEDaS1L_S1M_EUlS1L_E_NS1_11comp_targetILNS1_3genE8ELNS1_11target_archE1030ELNS1_3gpuE2ELNS1_3repE0EEENS1_30default_config_static_selectorELNS0_4arch9wavefront6targetE1EEEvSZ_
		.amdhsa_group_segment_fixed_size 0
		.amdhsa_private_segment_fixed_size 0
		.amdhsa_kernarg_size 144
		.amdhsa_user_sgpr_count 6
		.amdhsa_user_sgpr_private_segment_buffer 1
		.amdhsa_user_sgpr_dispatch_ptr 0
		.amdhsa_user_sgpr_queue_ptr 0
		.amdhsa_user_sgpr_kernarg_segment_ptr 1
		.amdhsa_user_sgpr_dispatch_id 0
		.amdhsa_user_sgpr_flat_scratch_init 0
		.amdhsa_user_sgpr_kernarg_preload_length 0
		.amdhsa_user_sgpr_kernarg_preload_offset 0
		.amdhsa_user_sgpr_private_segment_size 0
		.amdhsa_uses_dynamic_stack 0
		.amdhsa_system_sgpr_private_segment_wavefront_offset 0
		.amdhsa_system_sgpr_workgroup_id_x 1
		.amdhsa_system_sgpr_workgroup_id_y 0
		.amdhsa_system_sgpr_workgroup_id_z 0
		.amdhsa_system_sgpr_workgroup_info 0
		.amdhsa_system_vgpr_workitem_id 0
		.amdhsa_next_free_vgpr 1
		.amdhsa_next_free_sgpr 0
		.amdhsa_accum_offset 4
		.amdhsa_reserve_vcc 0
		.amdhsa_reserve_flat_scratch 0
		.amdhsa_float_round_mode_32 0
		.amdhsa_float_round_mode_16_64 0
		.amdhsa_float_denorm_mode_32 3
		.amdhsa_float_denorm_mode_16_64 3
		.amdhsa_dx10_clamp 1
		.amdhsa_ieee_mode 1
		.amdhsa_fp16_overflow 0
		.amdhsa_tg_split 0
		.amdhsa_exception_fp_ieee_invalid_op 0
		.amdhsa_exception_fp_denorm_src 0
		.amdhsa_exception_fp_ieee_div_zero 0
		.amdhsa_exception_fp_ieee_overflow 0
		.amdhsa_exception_fp_ieee_underflow 0
		.amdhsa_exception_fp_ieee_inexact 0
		.amdhsa_exception_int_div_zero 0
	.end_amdhsa_kernel
	.section	.text._ZN7rocprim17ROCPRIM_400000_NS6detail17trampoline_kernelINS0_13select_configILj256ELj13ELNS0_17block_load_methodE3ELS4_3ELS4_3ELNS0_20block_scan_algorithmE0ELj4294967295EEENS1_25partition_config_selectorILNS1_17partition_subalgoE3EjNS0_10empty_typeEbEEZZNS1_14partition_implILS8_3ELb0ES6_jNS0_17counting_iteratorIjlEEPS9_SE_NS0_5tupleIJPjSE_EEENSF_IJSE_SE_EEES9_SG_JZNS1_25segmented_radix_sort_implINS0_14default_configELb1EPK6__halfPSL_PKlPlN2at6native12_GLOBAL__N_18offset_tEEE10hipError_tPvRmT1_PNSt15iterator_traitsISZ_E10value_typeET2_T3_PNS10_IS15_E10value_typeET4_jRbjT5_S1B_jjP12ihipStream_tbEUljE_EEESW_SX_SY_S15_S19_S1B_T6_T7_T9_mT8_S1D_bDpT10_ENKUlT_T0_E_clISt17integral_constantIbLb0EES1Q_EEDaS1L_S1M_EUlS1L_E_NS1_11comp_targetILNS1_3genE8ELNS1_11target_archE1030ELNS1_3gpuE2ELNS1_3repE0EEENS1_30default_config_static_selectorELNS0_4arch9wavefront6targetE1EEEvSZ_,"axG",@progbits,_ZN7rocprim17ROCPRIM_400000_NS6detail17trampoline_kernelINS0_13select_configILj256ELj13ELNS0_17block_load_methodE3ELS4_3ELS4_3ELNS0_20block_scan_algorithmE0ELj4294967295EEENS1_25partition_config_selectorILNS1_17partition_subalgoE3EjNS0_10empty_typeEbEEZZNS1_14partition_implILS8_3ELb0ES6_jNS0_17counting_iteratorIjlEEPS9_SE_NS0_5tupleIJPjSE_EEENSF_IJSE_SE_EEES9_SG_JZNS1_25segmented_radix_sort_implINS0_14default_configELb1EPK6__halfPSL_PKlPlN2at6native12_GLOBAL__N_18offset_tEEE10hipError_tPvRmT1_PNSt15iterator_traitsISZ_E10value_typeET2_T3_PNS10_IS15_E10value_typeET4_jRbjT5_S1B_jjP12ihipStream_tbEUljE_EEESW_SX_SY_S15_S19_S1B_T6_T7_T9_mT8_S1D_bDpT10_ENKUlT_T0_E_clISt17integral_constantIbLb0EES1Q_EEDaS1L_S1M_EUlS1L_E_NS1_11comp_targetILNS1_3genE8ELNS1_11target_archE1030ELNS1_3gpuE2ELNS1_3repE0EEENS1_30default_config_static_selectorELNS0_4arch9wavefront6targetE1EEEvSZ_,comdat
.Lfunc_end1712:
	.size	_ZN7rocprim17ROCPRIM_400000_NS6detail17trampoline_kernelINS0_13select_configILj256ELj13ELNS0_17block_load_methodE3ELS4_3ELS4_3ELNS0_20block_scan_algorithmE0ELj4294967295EEENS1_25partition_config_selectorILNS1_17partition_subalgoE3EjNS0_10empty_typeEbEEZZNS1_14partition_implILS8_3ELb0ES6_jNS0_17counting_iteratorIjlEEPS9_SE_NS0_5tupleIJPjSE_EEENSF_IJSE_SE_EEES9_SG_JZNS1_25segmented_radix_sort_implINS0_14default_configELb1EPK6__halfPSL_PKlPlN2at6native12_GLOBAL__N_18offset_tEEE10hipError_tPvRmT1_PNSt15iterator_traitsISZ_E10value_typeET2_T3_PNS10_IS15_E10value_typeET4_jRbjT5_S1B_jjP12ihipStream_tbEUljE_EEESW_SX_SY_S15_S19_S1B_T6_T7_T9_mT8_S1D_bDpT10_ENKUlT_T0_E_clISt17integral_constantIbLb0EES1Q_EEDaS1L_S1M_EUlS1L_E_NS1_11comp_targetILNS1_3genE8ELNS1_11target_archE1030ELNS1_3gpuE2ELNS1_3repE0EEENS1_30default_config_static_selectorELNS0_4arch9wavefront6targetE1EEEvSZ_, .Lfunc_end1712-_ZN7rocprim17ROCPRIM_400000_NS6detail17trampoline_kernelINS0_13select_configILj256ELj13ELNS0_17block_load_methodE3ELS4_3ELS4_3ELNS0_20block_scan_algorithmE0ELj4294967295EEENS1_25partition_config_selectorILNS1_17partition_subalgoE3EjNS0_10empty_typeEbEEZZNS1_14partition_implILS8_3ELb0ES6_jNS0_17counting_iteratorIjlEEPS9_SE_NS0_5tupleIJPjSE_EEENSF_IJSE_SE_EEES9_SG_JZNS1_25segmented_radix_sort_implINS0_14default_configELb1EPK6__halfPSL_PKlPlN2at6native12_GLOBAL__N_18offset_tEEE10hipError_tPvRmT1_PNSt15iterator_traitsISZ_E10value_typeET2_T3_PNS10_IS15_E10value_typeET4_jRbjT5_S1B_jjP12ihipStream_tbEUljE_EEESW_SX_SY_S15_S19_S1B_T6_T7_T9_mT8_S1D_bDpT10_ENKUlT_T0_E_clISt17integral_constantIbLb0EES1Q_EEDaS1L_S1M_EUlS1L_E_NS1_11comp_targetILNS1_3genE8ELNS1_11target_archE1030ELNS1_3gpuE2ELNS1_3repE0EEENS1_30default_config_static_selectorELNS0_4arch9wavefront6targetE1EEEvSZ_
                                        ; -- End function
	.section	.AMDGPU.csdata,"",@progbits
; Kernel info:
; codeLenInByte = 0
; NumSgprs: 4
; NumVgprs: 0
; NumAgprs: 0
; TotalNumVgprs: 0
; ScratchSize: 0
; MemoryBound: 0
; FloatMode: 240
; IeeeMode: 1
; LDSByteSize: 0 bytes/workgroup (compile time only)
; SGPRBlocks: 0
; VGPRBlocks: 0
; NumSGPRsForWavesPerEU: 4
; NumVGPRsForWavesPerEU: 1
; AccumOffset: 4
; Occupancy: 8
; WaveLimiterHint : 0
; COMPUTE_PGM_RSRC2:SCRATCH_EN: 0
; COMPUTE_PGM_RSRC2:USER_SGPR: 6
; COMPUTE_PGM_RSRC2:TRAP_HANDLER: 0
; COMPUTE_PGM_RSRC2:TGID_X_EN: 1
; COMPUTE_PGM_RSRC2:TGID_Y_EN: 0
; COMPUTE_PGM_RSRC2:TGID_Z_EN: 0
; COMPUTE_PGM_RSRC2:TIDIG_COMP_CNT: 0
; COMPUTE_PGM_RSRC3_GFX90A:ACCUM_OFFSET: 0
; COMPUTE_PGM_RSRC3_GFX90A:TG_SPLIT: 0
	.section	.text._ZN7rocprim17ROCPRIM_400000_NS6detail17trampoline_kernelINS0_13select_configILj256ELj13ELNS0_17block_load_methodE3ELS4_3ELS4_3ELNS0_20block_scan_algorithmE0ELj4294967295EEENS1_25partition_config_selectorILNS1_17partition_subalgoE3EjNS0_10empty_typeEbEEZZNS1_14partition_implILS8_3ELb0ES6_jNS0_17counting_iteratorIjlEEPS9_SE_NS0_5tupleIJPjSE_EEENSF_IJSE_SE_EEES9_SG_JZNS1_25segmented_radix_sort_implINS0_14default_configELb1EPK6__halfPSL_PKlPlN2at6native12_GLOBAL__N_18offset_tEEE10hipError_tPvRmT1_PNSt15iterator_traitsISZ_E10value_typeET2_T3_PNS10_IS15_E10value_typeET4_jRbjT5_S1B_jjP12ihipStream_tbEUljE_EEESW_SX_SY_S15_S19_S1B_T6_T7_T9_mT8_S1D_bDpT10_ENKUlT_T0_E_clISt17integral_constantIbLb1EES1Q_EEDaS1L_S1M_EUlS1L_E_NS1_11comp_targetILNS1_3genE0ELNS1_11target_archE4294967295ELNS1_3gpuE0ELNS1_3repE0EEENS1_30default_config_static_selectorELNS0_4arch9wavefront6targetE1EEEvSZ_,"axG",@progbits,_ZN7rocprim17ROCPRIM_400000_NS6detail17trampoline_kernelINS0_13select_configILj256ELj13ELNS0_17block_load_methodE3ELS4_3ELS4_3ELNS0_20block_scan_algorithmE0ELj4294967295EEENS1_25partition_config_selectorILNS1_17partition_subalgoE3EjNS0_10empty_typeEbEEZZNS1_14partition_implILS8_3ELb0ES6_jNS0_17counting_iteratorIjlEEPS9_SE_NS0_5tupleIJPjSE_EEENSF_IJSE_SE_EEES9_SG_JZNS1_25segmented_radix_sort_implINS0_14default_configELb1EPK6__halfPSL_PKlPlN2at6native12_GLOBAL__N_18offset_tEEE10hipError_tPvRmT1_PNSt15iterator_traitsISZ_E10value_typeET2_T3_PNS10_IS15_E10value_typeET4_jRbjT5_S1B_jjP12ihipStream_tbEUljE_EEESW_SX_SY_S15_S19_S1B_T6_T7_T9_mT8_S1D_bDpT10_ENKUlT_T0_E_clISt17integral_constantIbLb1EES1Q_EEDaS1L_S1M_EUlS1L_E_NS1_11comp_targetILNS1_3genE0ELNS1_11target_archE4294967295ELNS1_3gpuE0ELNS1_3repE0EEENS1_30default_config_static_selectorELNS0_4arch9wavefront6targetE1EEEvSZ_,comdat
	.globl	_ZN7rocprim17ROCPRIM_400000_NS6detail17trampoline_kernelINS0_13select_configILj256ELj13ELNS0_17block_load_methodE3ELS4_3ELS4_3ELNS0_20block_scan_algorithmE0ELj4294967295EEENS1_25partition_config_selectorILNS1_17partition_subalgoE3EjNS0_10empty_typeEbEEZZNS1_14partition_implILS8_3ELb0ES6_jNS0_17counting_iteratorIjlEEPS9_SE_NS0_5tupleIJPjSE_EEENSF_IJSE_SE_EEES9_SG_JZNS1_25segmented_radix_sort_implINS0_14default_configELb1EPK6__halfPSL_PKlPlN2at6native12_GLOBAL__N_18offset_tEEE10hipError_tPvRmT1_PNSt15iterator_traitsISZ_E10value_typeET2_T3_PNS10_IS15_E10value_typeET4_jRbjT5_S1B_jjP12ihipStream_tbEUljE_EEESW_SX_SY_S15_S19_S1B_T6_T7_T9_mT8_S1D_bDpT10_ENKUlT_T0_E_clISt17integral_constantIbLb1EES1Q_EEDaS1L_S1M_EUlS1L_E_NS1_11comp_targetILNS1_3genE0ELNS1_11target_archE4294967295ELNS1_3gpuE0ELNS1_3repE0EEENS1_30default_config_static_selectorELNS0_4arch9wavefront6targetE1EEEvSZ_ ; -- Begin function _ZN7rocprim17ROCPRIM_400000_NS6detail17trampoline_kernelINS0_13select_configILj256ELj13ELNS0_17block_load_methodE3ELS4_3ELS4_3ELNS0_20block_scan_algorithmE0ELj4294967295EEENS1_25partition_config_selectorILNS1_17partition_subalgoE3EjNS0_10empty_typeEbEEZZNS1_14partition_implILS8_3ELb0ES6_jNS0_17counting_iteratorIjlEEPS9_SE_NS0_5tupleIJPjSE_EEENSF_IJSE_SE_EEES9_SG_JZNS1_25segmented_radix_sort_implINS0_14default_configELb1EPK6__halfPSL_PKlPlN2at6native12_GLOBAL__N_18offset_tEEE10hipError_tPvRmT1_PNSt15iterator_traitsISZ_E10value_typeET2_T3_PNS10_IS15_E10value_typeET4_jRbjT5_S1B_jjP12ihipStream_tbEUljE_EEESW_SX_SY_S15_S19_S1B_T6_T7_T9_mT8_S1D_bDpT10_ENKUlT_T0_E_clISt17integral_constantIbLb1EES1Q_EEDaS1L_S1M_EUlS1L_E_NS1_11comp_targetILNS1_3genE0ELNS1_11target_archE4294967295ELNS1_3gpuE0ELNS1_3repE0EEENS1_30default_config_static_selectorELNS0_4arch9wavefront6targetE1EEEvSZ_
	.p2align	8
	.type	_ZN7rocprim17ROCPRIM_400000_NS6detail17trampoline_kernelINS0_13select_configILj256ELj13ELNS0_17block_load_methodE3ELS4_3ELS4_3ELNS0_20block_scan_algorithmE0ELj4294967295EEENS1_25partition_config_selectorILNS1_17partition_subalgoE3EjNS0_10empty_typeEbEEZZNS1_14partition_implILS8_3ELb0ES6_jNS0_17counting_iteratorIjlEEPS9_SE_NS0_5tupleIJPjSE_EEENSF_IJSE_SE_EEES9_SG_JZNS1_25segmented_radix_sort_implINS0_14default_configELb1EPK6__halfPSL_PKlPlN2at6native12_GLOBAL__N_18offset_tEEE10hipError_tPvRmT1_PNSt15iterator_traitsISZ_E10value_typeET2_T3_PNS10_IS15_E10value_typeET4_jRbjT5_S1B_jjP12ihipStream_tbEUljE_EEESW_SX_SY_S15_S19_S1B_T6_T7_T9_mT8_S1D_bDpT10_ENKUlT_T0_E_clISt17integral_constantIbLb1EES1Q_EEDaS1L_S1M_EUlS1L_E_NS1_11comp_targetILNS1_3genE0ELNS1_11target_archE4294967295ELNS1_3gpuE0ELNS1_3repE0EEENS1_30default_config_static_selectorELNS0_4arch9wavefront6targetE1EEEvSZ_,@function
_ZN7rocprim17ROCPRIM_400000_NS6detail17trampoline_kernelINS0_13select_configILj256ELj13ELNS0_17block_load_methodE3ELS4_3ELS4_3ELNS0_20block_scan_algorithmE0ELj4294967295EEENS1_25partition_config_selectorILNS1_17partition_subalgoE3EjNS0_10empty_typeEbEEZZNS1_14partition_implILS8_3ELb0ES6_jNS0_17counting_iteratorIjlEEPS9_SE_NS0_5tupleIJPjSE_EEENSF_IJSE_SE_EEES9_SG_JZNS1_25segmented_radix_sort_implINS0_14default_configELb1EPK6__halfPSL_PKlPlN2at6native12_GLOBAL__N_18offset_tEEE10hipError_tPvRmT1_PNSt15iterator_traitsISZ_E10value_typeET2_T3_PNS10_IS15_E10value_typeET4_jRbjT5_S1B_jjP12ihipStream_tbEUljE_EEESW_SX_SY_S15_S19_S1B_T6_T7_T9_mT8_S1D_bDpT10_ENKUlT_T0_E_clISt17integral_constantIbLb1EES1Q_EEDaS1L_S1M_EUlS1L_E_NS1_11comp_targetILNS1_3genE0ELNS1_11target_archE4294967295ELNS1_3gpuE0ELNS1_3repE0EEENS1_30default_config_static_selectorELNS0_4arch9wavefront6targetE1EEEvSZ_: ; @_ZN7rocprim17ROCPRIM_400000_NS6detail17trampoline_kernelINS0_13select_configILj256ELj13ELNS0_17block_load_methodE3ELS4_3ELS4_3ELNS0_20block_scan_algorithmE0ELj4294967295EEENS1_25partition_config_selectorILNS1_17partition_subalgoE3EjNS0_10empty_typeEbEEZZNS1_14partition_implILS8_3ELb0ES6_jNS0_17counting_iteratorIjlEEPS9_SE_NS0_5tupleIJPjSE_EEENSF_IJSE_SE_EEES9_SG_JZNS1_25segmented_radix_sort_implINS0_14default_configELb1EPK6__halfPSL_PKlPlN2at6native12_GLOBAL__N_18offset_tEEE10hipError_tPvRmT1_PNSt15iterator_traitsISZ_E10value_typeET2_T3_PNS10_IS15_E10value_typeET4_jRbjT5_S1B_jjP12ihipStream_tbEUljE_EEESW_SX_SY_S15_S19_S1B_T6_T7_T9_mT8_S1D_bDpT10_ENKUlT_T0_E_clISt17integral_constantIbLb1EES1Q_EEDaS1L_S1M_EUlS1L_E_NS1_11comp_targetILNS1_3genE0ELNS1_11target_archE4294967295ELNS1_3gpuE0ELNS1_3repE0EEENS1_30default_config_static_selectorELNS0_4arch9wavefront6targetE1EEEvSZ_
; %bb.0:
	.section	.rodata,"a",@progbits
	.p2align	6, 0x0
	.amdhsa_kernel _ZN7rocprim17ROCPRIM_400000_NS6detail17trampoline_kernelINS0_13select_configILj256ELj13ELNS0_17block_load_methodE3ELS4_3ELS4_3ELNS0_20block_scan_algorithmE0ELj4294967295EEENS1_25partition_config_selectorILNS1_17partition_subalgoE3EjNS0_10empty_typeEbEEZZNS1_14partition_implILS8_3ELb0ES6_jNS0_17counting_iteratorIjlEEPS9_SE_NS0_5tupleIJPjSE_EEENSF_IJSE_SE_EEES9_SG_JZNS1_25segmented_radix_sort_implINS0_14default_configELb1EPK6__halfPSL_PKlPlN2at6native12_GLOBAL__N_18offset_tEEE10hipError_tPvRmT1_PNSt15iterator_traitsISZ_E10value_typeET2_T3_PNS10_IS15_E10value_typeET4_jRbjT5_S1B_jjP12ihipStream_tbEUljE_EEESW_SX_SY_S15_S19_S1B_T6_T7_T9_mT8_S1D_bDpT10_ENKUlT_T0_E_clISt17integral_constantIbLb1EES1Q_EEDaS1L_S1M_EUlS1L_E_NS1_11comp_targetILNS1_3genE0ELNS1_11target_archE4294967295ELNS1_3gpuE0ELNS1_3repE0EEENS1_30default_config_static_selectorELNS0_4arch9wavefront6targetE1EEEvSZ_
		.amdhsa_group_segment_fixed_size 0
		.amdhsa_private_segment_fixed_size 0
		.amdhsa_kernarg_size 152
		.amdhsa_user_sgpr_count 6
		.amdhsa_user_sgpr_private_segment_buffer 1
		.amdhsa_user_sgpr_dispatch_ptr 0
		.amdhsa_user_sgpr_queue_ptr 0
		.amdhsa_user_sgpr_kernarg_segment_ptr 1
		.amdhsa_user_sgpr_dispatch_id 0
		.amdhsa_user_sgpr_flat_scratch_init 0
		.amdhsa_user_sgpr_kernarg_preload_length 0
		.amdhsa_user_sgpr_kernarg_preload_offset 0
		.amdhsa_user_sgpr_private_segment_size 0
		.amdhsa_uses_dynamic_stack 0
		.amdhsa_system_sgpr_private_segment_wavefront_offset 0
		.amdhsa_system_sgpr_workgroup_id_x 1
		.amdhsa_system_sgpr_workgroup_id_y 0
		.amdhsa_system_sgpr_workgroup_id_z 0
		.amdhsa_system_sgpr_workgroup_info 0
		.amdhsa_system_vgpr_workitem_id 0
		.amdhsa_next_free_vgpr 1
		.amdhsa_next_free_sgpr 0
		.amdhsa_accum_offset 4
		.amdhsa_reserve_vcc 0
		.amdhsa_reserve_flat_scratch 0
		.amdhsa_float_round_mode_32 0
		.amdhsa_float_round_mode_16_64 0
		.amdhsa_float_denorm_mode_32 3
		.amdhsa_float_denorm_mode_16_64 3
		.amdhsa_dx10_clamp 1
		.amdhsa_ieee_mode 1
		.amdhsa_fp16_overflow 0
		.amdhsa_tg_split 0
		.amdhsa_exception_fp_ieee_invalid_op 0
		.amdhsa_exception_fp_denorm_src 0
		.amdhsa_exception_fp_ieee_div_zero 0
		.amdhsa_exception_fp_ieee_overflow 0
		.amdhsa_exception_fp_ieee_underflow 0
		.amdhsa_exception_fp_ieee_inexact 0
		.amdhsa_exception_int_div_zero 0
	.end_amdhsa_kernel
	.section	.text._ZN7rocprim17ROCPRIM_400000_NS6detail17trampoline_kernelINS0_13select_configILj256ELj13ELNS0_17block_load_methodE3ELS4_3ELS4_3ELNS0_20block_scan_algorithmE0ELj4294967295EEENS1_25partition_config_selectorILNS1_17partition_subalgoE3EjNS0_10empty_typeEbEEZZNS1_14partition_implILS8_3ELb0ES6_jNS0_17counting_iteratorIjlEEPS9_SE_NS0_5tupleIJPjSE_EEENSF_IJSE_SE_EEES9_SG_JZNS1_25segmented_radix_sort_implINS0_14default_configELb1EPK6__halfPSL_PKlPlN2at6native12_GLOBAL__N_18offset_tEEE10hipError_tPvRmT1_PNSt15iterator_traitsISZ_E10value_typeET2_T3_PNS10_IS15_E10value_typeET4_jRbjT5_S1B_jjP12ihipStream_tbEUljE_EEESW_SX_SY_S15_S19_S1B_T6_T7_T9_mT8_S1D_bDpT10_ENKUlT_T0_E_clISt17integral_constantIbLb1EES1Q_EEDaS1L_S1M_EUlS1L_E_NS1_11comp_targetILNS1_3genE0ELNS1_11target_archE4294967295ELNS1_3gpuE0ELNS1_3repE0EEENS1_30default_config_static_selectorELNS0_4arch9wavefront6targetE1EEEvSZ_,"axG",@progbits,_ZN7rocprim17ROCPRIM_400000_NS6detail17trampoline_kernelINS0_13select_configILj256ELj13ELNS0_17block_load_methodE3ELS4_3ELS4_3ELNS0_20block_scan_algorithmE0ELj4294967295EEENS1_25partition_config_selectorILNS1_17partition_subalgoE3EjNS0_10empty_typeEbEEZZNS1_14partition_implILS8_3ELb0ES6_jNS0_17counting_iteratorIjlEEPS9_SE_NS0_5tupleIJPjSE_EEENSF_IJSE_SE_EEES9_SG_JZNS1_25segmented_radix_sort_implINS0_14default_configELb1EPK6__halfPSL_PKlPlN2at6native12_GLOBAL__N_18offset_tEEE10hipError_tPvRmT1_PNSt15iterator_traitsISZ_E10value_typeET2_T3_PNS10_IS15_E10value_typeET4_jRbjT5_S1B_jjP12ihipStream_tbEUljE_EEESW_SX_SY_S15_S19_S1B_T6_T7_T9_mT8_S1D_bDpT10_ENKUlT_T0_E_clISt17integral_constantIbLb1EES1Q_EEDaS1L_S1M_EUlS1L_E_NS1_11comp_targetILNS1_3genE0ELNS1_11target_archE4294967295ELNS1_3gpuE0ELNS1_3repE0EEENS1_30default_config_static_selectorELNS0_4arch9wavefront6targetE1EEEvSZ_,comdat
.Lfunc_end1713:
	.size	_ZN7rocprim17ROCPRIM_400000_NS6detail17trampoline_kernelINS0_13select_configILj256ELj13ELNS0_17block_load_methodE3ELS4_3ELS4_3ELNS0_20block_scan_algorithmE0ELj4294967295EEENS1_25partition_config_selectorILNS1_17partition_subalgoE3EjNS0_10empty_typeEbEEZZNS1_14partition_implILS8_3ELb0ES6_jNS0_17counting_iteratorIjlEEPS9_SE_NS0_5tupleIJPjSE_EEENSF_IJSE_SE_EEES9_SG_JZNS1_25segmented_radix_sort_implINS0_14default_configELb1EPK6__halfPSL_PKlPlN2at6native12_GLOBAL__N_18offset_tEEE10hipError_tPvRmT1_PNSt15iterator_traitsISZ_E10value_typeET2_T3_PNS10_IS15_E10value_typeET4_jRbjT5_S1B_jjP12ihipStream_tbEUljE_EEESW_SX_SY_S15_S19_S1B_T6_T7_T9_mT8_S1D_bDpT10_ENKUlT_T0_E_clISt17integral_constantIbLb1EES1Q_EEDaS1L_S1M_EUlS1L_E_NS1_11comp_targetILNS1_3genE0ELNS1_11target_archE4294967295ELNS1_3gpuE0ELNS1_3repE0EEENS1_30default_config_static_selectorELNS0_4arch9wavefront6targetE1EEEvSZ_, .Lfunc_end1713-_ZN7rocprim17ROCPRIM_400000_NS6detail17trampoline_kernelINS0_13select_configILj256ELj13ELNS0_17block_load_methodE3ELS4_3ELS4_3ELNS0_20block_scan_algorithmE0ELj4294967295EEENS1_25partition_config_selectorILNS1_17partition_subalgoE3EjNS0_10empty_typeEbEEZZNS1_14partition_implILS8_3ELb0ES6_jNS0_17counting_iteratorIjlEEPS9_SE_NS0_5tupleIJPjSE_EEENSF_IJSE_SE_EEES9_SG_JZNS1_25segmented_radix_sort_implINS0_14default_configELb1EPK6__halfPSL_PKlPlN2at6native12_GLOBAL__N_18offset_tEEE10hipError_tPvRmT1_PNSt15iterator_traitsISZ_E10value_typeET2_T3_PNS10_IS15_E10value_typeET4_jRbjT5_S1B_jjP12ihipStream_tbEUljE_EEESW_SX_SY_S15_S19_S1B_T6_T7_T9_mT8_S1D_bDpT10_ENKUlT_T0_E_clISt17integral_constantIbLb1EES1Q_EEDaS1L_S1M_EUlS1L_E_NS1_11comp_targetILNS1_3genE0ELNS1_11target_archE4294967295ELNS1_3gpuE0ELNS1_3repE0EEENS1_30default_config_static_selectorELNS0_4arch9wavefront6targetE1EEEvSZ_
                                        ; -- End function
	.section	.AMDGPU.csdata,"",@progbits
; Kernel info:
; codeLenInByte = 0
; NumSgprs: 4
; NumVgprs: 0
; NumAgprs: 0
; TotalNumVgprs: 0
; ScratchSize: 0
; MemoryBound: 0
; FloatMode: 240
; IeeeMode: 1
; LDSByteSize: 0 bytes/workgroup (compile time only)
; SGPRBlocks: 0
; VGPRBlocks: 0
; NumSGPRsForWavesPerEU: 4
; NumVGPRsForWavesPerEU: 1
; AccumOffset: 4
; Occupancy: 8
; WaveLimiterHint : 0
; COMPUTE_PGM_RSRC2:SCRATCH_EN: 0
; COMPUTE_PGM_RSRC2:USER_SGPR: 6
; COMPUTE_PGM_RSRC2:TRAP_HANDLER: 0
; COMPUTE_PGM_RSRC2:TGID_X_EN: 1
; COMPUTE_PGM_RSRC2:TGID_Y_EN: 0
; COMPUTE_PGM_RSRC2:TGID_Z_EN: 0
; COMPUTE_PGM_RSRC2:TIDIG_COMP_CNT: 0
; COMPUTE_PGM_RSRC3_GFX90A:ACCUM_OFFSET: 0
; COMPUTE_PGM_RSRC3_GFX90A:TG_SPLIT: 0
	.section	.text._ZN7rocprim17ROCPRIM_400000_NS6detail17trampoline_kernelINS0_13select_configILj256ELj13ELNS0_17block_load_methodE3ELS4_3ELS4_3ELNS0_20block_scan_algorithmE0ELj4294967295EEENS1_25partition_config_selectorILNS1_17partition_subalgoE3EjNS0_10empty_typeEbEEZZNS1_14partition_implILS8_3ELb0ES6_jNS0_17counting_iteratorIjlEEPS9_SE_NS0_5tupleIJPjSE_EEENSF_IJSE_SE_EEES9_SG_JZNS1_25segmented_radix_sort_implINS0_14default_configELb1EPK6__halfPSL_PKlPlN2at6native12_GLOBAL__N_18offset_tEEE10hipError_tPvRmT1_PNSt15iterator_traitsISZ_E10value_typeET2_T3_PNS10_IS15_E10value_typeET4_jRbjT5_S1B_jjP12ihipStream_tbEUljE_EEESW_SX_SY_S15_S19_S1B_T6_T7_T9_mT8_S1D_bDpT10_ENKUlT_T0_E_clISt17integral_constantIbLb1EES1Q_EEDaS1L_S1M_EUlS1L_E_NS1_11comp_targetILNS1_3genE5ELNS1_11target_archE942ELNS1_3gpuE9ELNS1_3repE0EEENS1_30default_config_static_selectorELNS0_4arch9wavefront6targetE1EEEvSZ_,"axG",@progbits,_ZN7rocprim17ROCPRIM_400000_NS6detail17trampoline_kernelINS0_13select_configILj256ELj13ELNS0_17block_load_methodE3ELS4_3ELS4_3ELNS0_20block_scan_algorithmE0ELj4294967295EEENS1_25partition_config_selectorILNS1_17partition_subalgoE3EjNS0_10empty_typeEbEEZZNS1_14partition_implILS8_3ELb0ES6_jNS0_17counting_iteratorIjlEEPS9_SE_NS0_5tupleIJPjSE_EEENSF_IJSE_SE_EEES9_SG_JZNS1_25segmented_radix_sort_implINS0_14default_configELb1EPK6__halfPSL_PKlPlN2at6native12_GLOBAL__N_18offset_tEEE10hipError_tPvRmT1_PNSt15iterator_traitsISZ_E10value_typeET2_T3_PNS10_IS15_E10value_typeET4_jRbjT5_S1B_jjP12ihipStream_tbEUljE_EEESW_SX_SY_S15_S19_S1B_T6_T7_T9_mT8_S1D_bDpT10_ENKUlT_T0_E_clISt17integral_constantIbLb1EES1Q_EEDaS1L_S1M_EUlS1L_E_NS1_11comp_targetILNS1_3genE5ELNS1_11target_archE942ELNS1_3gpuE9ELNS1_3repE0EEENS1_30default_config_static_selectorELNS0_4arch9wavefront6targetE1EEEvSZ_,comdat
	.globl	_ZN7rocprim17ROCPRIM_400000_NS6detail17trampoline_kernelINS0_13select_configILj256ELj13ELNS0_17block_load_methodE3ELS4_3ELS4_3ELNS0_20block_scan_algorithmE0ELj4294967295EEENS1_25partition_config_selectorILNS1_17partition_subalgoE3EjNS0_10empty_typeEbEEZZNS1_14partition_implILS8_3ELb0ES6_jNS0_17counting_iteratorIjlEEPS9_SE_NS0_5tupleIJPjSE_EEENSF_IJSE_SE_EEES9_SG_JZNS1_25segmented_radix_sort_implINS0_14default_configELb1EPK6__halfPSL_PKlPlN2at6native12_GLOBAL__N_18offset_tEEE10hipError_tPvRmT1_PNSt15iterator_traitsISZ_E10value_typeET2_T3_PNS10_IS15_E10value_typeET4_jRbjT5_S1B_jjP12ihipStream_tbEUljE_EEESW_SX_SY_S15_S19_S1B_T6_T7_T9_mT8_S1D_bDpT10_ENKUlT_T0_E_clISt17integral_constantIbLb1EES1Q_EEDaS1L_S1M_EUlS1L_E_NS1_11comp_targetILNS1_3genE5ELNS1_11target_archE942ELNS1_3gpuE9ELNS1_3repE0EEENS1_30default_config_static_selectorELNS0_4arch9wavefront6targetE1EEEvSZ_ ; -- Begin function _ZN7rocprim17ROCPRIM_400000_NS6detail17trampoline_kernelINS0_13select_configILj256ELj13ELNS0_17block_load_methodE3ELS4_3ELS4_3ELNS0_20block_scan_algorithmE0ELj4294967295EEENS1_25partition_config_selectorILNS1_17partition_subalgoE3EjNS0_10empty_typeEbEEZZNS1_14partition_implILS8_3ELb0ES6_jNS0_17counting_iteratorIjlEEPS9_SE_NS0_5tupleIJPjSE_EEENSF_IJSE_SE_EEES9_SG_JZNS1_25segmented_radix_sort_implINS0_14default_configELb1EPK6__halfPSL_PKlPlN2at6native12_GLOBAL__N_18offset_tEEE10hipError_tPvRmT1_PNSt15iterator_traitsISZ_E10value_typeET2_T3_PNS10_IS15_E10value_typeET4_jRbjT5_S1B_jjP12ihipStream_tbEUljE_EEESW_SX_SY_S15_S19_S1B_T6_T7_T9_mT8_S1D_bDpT10_ENKUlT_T0_E_clISt17integral_constantIbLb1EES1Q_EEDaS1L_S1M_EUlS1L_E_NS1_11comp_targetILNS1_3genE5ELNS1_11target_archE942ELNS1_3gpuE9ELNS1_3repE0EEENS1_30default_config_static_selectorELNS0_4arch9wavefront6targetE1EEEvSZ_
	.p2align	8
	.type	_ZN7rocprim17ROCPRIM_400000_NS6detail17trampoline_kernelINS0_13select_configILj256ELj13ELNS0_17block_load_methodE3ELS4_3ELS4_3ELNS0_20block_scan_algorithmE0ELj4294967295EEENS1_25partition_config_selectorILNS1_17partition_subalgoE3EjNS0_10empty_typeEbEEZZNS1_14partition_implILS8_3ELb0ES6_jNS0_17counting_iteratorIjlEEPS9_SE_NS0_5tupleIJPjSE_EEENSF_IJSE_SE_EEES9_SG_JZNS1_25segmented_radix_sort_implINS0_14default_configELb1EPK6__halfPSL_PKlPlN2at6native12_GLOBAL__N_18offset_tEEE10hipError_tPvRmT1_PNSt15iterator_traitsISZ_E10value_typeET2_T3_PNS10_IS15_E10value_typeET4_jRbjT5_S1B_jjP12ihipStream_tbEUljE_EEESW_SX_SY_S15_S19_S1B_T6_T7_T9_mT8_S1D_bDpT10_ENKUlT_T0_E_clISt17integral_constantIbLb1EES1Q_EEDaS1L_S1M_EUlS1L_E_NS1_11comp_targetILNS1_3genE5ELNS1_11target_archE942ELNS1_3gpuE9ELNS1_3repE0EEENS1_30default_config_static_selectorELNS0_4arch9wavefront6targetE1EEEvSZ_,@function
_ZN7rocprim17ROCPRIM_400000_NS6detail17trampoline_kernelINS0_13select_configILj256ELj13ELNS0_17block_load_methodE3ELS4_3ELS4_3ELNS0_20block_scan_algorithmE0ELj4294967295EEENS1_25partition_config_selectorILNS1_17partition_subalgoE3EjNS0_10empty_typeEbEEZZNS1_14partition_implILS8_3ELb0ES6_jNS0_17counting_iteratorIjlEEPS9_SE_NS0_5tupleIJPjSE_EEENSF_IJSE_SE_EEES9_SG_JZNS1_25segmented_radix_sort_implINS0_14default_configELb1EPK6__halfPSL_PKlPlN2at6native12_GLOBAL__N_18offset_tEEE10hipError_tPvRmT1_PNSt15iterator_traitsISZ_E10value_typeET2_T3_PNS10_IS15_E10value_typeET4_jRbjT5_S1B_jjP12ihipStream_tbEUljE_EEESW_SX_SY_S15_S19_S1B_T6_T7_T9_mT8_S1D_bDpT10_ENKUlT_T0_E_clISt17integral_constantIbLb1EES1Q_EEDaS1L_S1M_EUlS1L_E_NS1_11comp_targetILNS1_3genE5ELNS1_11target_archE942ELNS1_3gpuE9ELNS1_3repE0EEENS1_30default_config_static_selectorELNS0_4arch9wavefront6targetE1EEEvSZ_: ; @_ZN7rocprim17ROCPRIM_400000_NS6detail17trampoline_kernelINS0_13select_configILj256ELj13ELNS0_17block_load_methodE3ELS4_3ELS4_3ELNS0_20block_scan_algorithmE0ELj4294967295EEENS1_25partition_config_selectorILNS1_17partition_subalgoE3EjNS0_10empty_typeEbEEZZNS1_14partition_implILS8_3ELb0ES6_jNS0_17counting_iteratorIjlEEPS9_SE_NS0_5tupleIJPjSE_EEENSF_IJSE_SE_EEES9_SG_JZNS1_25segmented_radix_sort_implINS0_14default_configELb1EPK6__halfPSL_PKlPlN2at6native12_GLOBAL__N_18offset_tEEE10hipError_tPvRmT1_PNSt15iterator_traitsISZ_E10value_typeET2_T3_PNS10_IS15_E10value_typeET4_jRbjT5_S1B_jjP12ihipStream_tbEUljE_EEESW_SX_SY_S15_S19_S1B_T6_T7_T9_mT8_S1D_bDpT10_ENKUlT_T0_E_clISt17integral_constantIbLb1EES1Q_EEDaS1L_S1M_EUlS1L_E_NS1_11comp_targetILNS1_3genE5ELNS1_11target_archE942ELNS1_3gpuE9ELNS1_3repE0EEENS1_30default_config_static_selectorELNS0_4arch9wavefront6targetE1EEEvSZ_
; %bb.0:
	.section	.rodata,"a",@progbits
	.p2align	6, 0x0
	.amdhsa_kernel _ZN7rocprim17ROCPRIM_400000_NS6detail17trampoline_kernelINS0_13select_configILj256ELj13ELNS0_17block_load_methodE3ELS4_3ELS4_3ELNS0_20block_scan_algorithmE0ELj4294967295EEENS1_25partition_config_selectorILNS1_17partition_subalgoE3EjNS0_10empty_typeEbEEZZNS1_14partition_implILS8_3ELb0ES6_jNS0_17counting_iteratorIjlEEPS9_SE_NS0_5tupleIJPjSE_EEENSF_IJSE_SE_EEES9_SG_JZNS1_25segmented_radix_sort_implINS0_14default_configELb1EPK6__halfPSL_PKlPlN2at6native12_GLOBAL__N_18offset_tEEE10hipError_tPvRmT1_PNSt15iterator_traitsISZ_E10value_typeET2_T3_PNS10_IS15_E10value_typeET4_jRbjT5_S1B_jjP12ihipStream_tbEUljE_EEESW_SX_SY_S15_S19_S1B_T6_T7_T9_mT8_S1D_bDpT10_ENKUlT_T0_E_clISt17integral_constantIbLb1EES1Q_EEDaS1L_S1M_EUlS1L_E_NS1_11comp_targetILNS1_3genE5ELNS1_11target_archE942ELNS1_3gpuE9ELNS1_3repE0EEENS1_30default_config_static_selectorELNS0_4arch9wavefront6targetE1EEEvSZ_
		.amdhsa_group_segment_fixed_size 0
		.amdhsa_private_segment_fixed_size 0
		.amdhsa_kernarg_size 152
		.amdhsa_user_sgpr_count 6
		.amdhsa_user_sgpr_private_segment_buffer 1
		.amdhsa_user_sgpr_dispatch_ptr 0
		.amdhsa_user_sgpr_queue_ptr 0
		.amdhsa_user_sgpr_kernarg_segment_ptr 1
		.amdhsa_user_sgpr_dispatch_id 0
		.amdhsa_user_sgpr_flat_scratch_init 0
		.amdhsa_user_sgpr_kernarg_preload_length 0
		.amdhsa_user_sgpr_kernarg_preload_offset 0
		.amdhsa_user_sgpr_private_segment_size 0
		.amdhsa_uses_dynamic_stack 0
		.amdhsa_system_sgpr_private_segment_wavefront_offset 0
		.amdhsa_system_sgpr_workgroup_id_x 1
		.amdhsa_system_sgpr_workgroup_id_y 0
		.amdhsa_system_sgpr_workgroup_id_z 0
		.amdhsa_system_sgpr_workgroup_info 0
		.amdhsa_system_vgpr_workitem_id 0
		.amdhsa_next_free_vgpr 1
		.amdhsa_next_free_sgpr 0
		.amdhsa_accum_offset 4
		.amdhsa_reserve_vcc 0
		.amdhsa_reserve_flat_scratch 0
		.amdhsa_float_round_mode_32 0
		.amdhsa_float_round_mode_16_64 0
		.amdhsa_float_denorm_mode_32 3
		.amdhsa_float_denorm_mode_16_64 3
		.amdhsa_dx10_clamp 1
		.amdhsa_ieee_mode 1
		.amdhsa_fp16_overflow 0
		.amdhsa_tg_split 0
		.amdhsa_exception_fp_ieee_invalid_op 0
		.amdhsa_exception_fp_denorm_src 0
		.amdhsa_exception_fp_ieee_div_zero 0
		.amdhsa_exception_fp_ieee_overflow 0
		.amdhsa_exception_fp_ieee_underflow 0
		.amdhsa_exception_fp_ieee_inexact 0
		.amdhsa_exception_int_div_zero 0
	.end_amdhsa_kernel
	.section	.text._ZN7rocprim17ROCPRIM_400000_NS6detail17trampoline_kernelINS0_13select_configILj256ELj13ELNS0_17block_load_methodE3ELS4_3ELS4_3ELNS0_20block_scan_algorithmE0ELj4294967295EEENS1_25partition_config_selectorILNS1_17partition_subalgoE3EjNS0_10empty_typeEbEEZZNS1_14partition_implILS8_3ELb0ES6_jNS0_17counting_iteratorIjlEEPS9_SE_NS0_5tupleIJPjSE_EEENSF_IJSE_SE_EEES9_SG_JZNS1_25segmented_radix_sort_implINS0_14default_configELb1EPK6__halfPSL_PKlPlN2at6native12_GLOBAL__N_18offset_tEEE10hipError_tPvRmT1_PNSt15iterator_traitsISZ_E10value_typeET2_T3_PNS10_IS15_E10value_typeET4_jRbjT5_S1B_jjP12ihipStream_tbEUljE_EEESW_SX_SY_S15_S19_S1B_T6_T7_T9_mT8_S1D_bDpT10_ENKUlT_T0_E_clISt17integral_constantIbLb1EES1Q_EEDaS1L_S1M_EUlS1L_E_NS1_11comp_targetILNS1_3genE5ELNS1_11target_archE942ELNS1_3gpuE9ELNS1_3repE0EEENS1_30default_config_static_selectorELNS0_4arch9wavefront6targetE1EEEvSZ_,"axG",@progbits,_ZN7rocprim17ROCPRIM_400000_NS6detail17trampoline_kernelINS0_13select_configILj256ELj13ELNS0_17block_load_methodE3ELS4_3ELS4_3ELNS0_20block_scan_algorithmE0ELj4294967295EEENS1_25partition_config_selectorILNS1_17partition_subalgoE3EjNS0_10empty_typeEbEEZZNS1_14partition_implILS8_3ELb0ES6_jNS0_17counting_iteratorIjlEEPS9_SE_NS0_5tupleIJPjSE_EEENSF_IJSE_SE_EEES9_SG_JZNS1_25segmented_radix_sort_implINS0_14default_configELb1EPK6__halfPSL_PKlPlN2at6native12_GLOBAL__N_18offset_tEEE10hipError_tPvRmT1_PNSt15iterator_traitsISZ_E10value_typeET2_T3_PNS10_IS15_E10value_typeET4_jRbjT5_S1B_jjP12ihipStream_tbEUljE_EEESW_SX_SY_S15_S19_S1B_T6_T7_T9_mT8_S1D_bDpT10_ENKUlT_T0_E_clISt17integral_constantIbLb1EES1Q_EEDaS1L_S1M_EUlS1L_E_NS1_11comp_targetILNS1_3genE5ELNS1_11target_archE942ELNS1_3gpuE9ELNS1_3repE0EEENS1_30default_config_static_selectorELNS0_4arch9wavefront6targetE1EEEvSZ_,comdat
.Lfunc_end1714:
	.size	_ZN7rocprim17ROCPRIM_400000_NS6detail17trampoline_kernelINS0_13select_configILj256ELj13ELNS0_17block_load_methodE3ELS4_3ELS4_3ELNS0_20block_scan_algorithmE0ELj4294967295EEENS1_25partition_config_selectorILNS1_17partition_subalgoE3EjNS0_10empty_typeEbEEZZNS1_14partition_implILS8_3ELb0ES6_jNS0_17counting_iteratorIjlEEPS9_SE_NS0_5tupleIJPjSE_EEENSF_IJSE_SE_EEES9_SG_JZNS1_25segmented_radix_sort_implINS0_14default_configELb1EPK6__halfPSL_PKlPlN2at6native12_GLOBAL__N_18offset_tEEE10hipError_tPvRmT1_PNSt15iterator_traitsISZ_E10value_typeET2_T3_PNS10_IS15_E10value_typeET4_jRbjT5_S1B_jjP12ihipStream_tbEUljE_EEESW_SX_SY_S15_S19_S1B_T6_T7_T9_mT8_S1D_bDpT10_ENKUlT_T0_E_clISt17integral_constantIbLb1EES1Q_EEDaS1L_S1M_EUlS1L_E_NS1_11comp_targetILNS1_3genE5ELNS1_11target_archE942ELNS1_3gpuE9ELNS1_3repE0EEENS1_30default_config_static_selectorELNS0_4arch9wavefront6targetE1EEEvSZ_, .Lfunc_end1714-_ZN7rocprim17ROCPRIM_400000_NS6detail17trampoline_kernelINS0_13select_configILj256ELj13ELNS0_17block_load_methodE3ELS4_3ELS4_3ELNS0_20block_scan_algorithmE0ELj4294967295EEENS1_25partition_config_selectorILNS1_17partition_subalgoE3EjNS0_10empty_typeEbEEZZNS1_14partition_implILS8_3ELb0ES6_jNS0_17counting_iteratorIjlEEPS9_SE_NS0_5tupleIJPjSE_EEENSF_IJSE_SE_EEES9_SG_JZNS1_25segmented_radix_sort_implINS0_14default_configELb1EPK6__halfPSL_PKlPlN2at6native12_GLOBAL__N_18offset_tEEE10hipError_tPvRmT1_PNSt15iterator_traitsISZ_E10value_typeET2_T3_PNS10_IS15_E10value_typeET4_jRbjT5_S1B_jjP12ihipStream_tbEUljE_EEESW_SX_SY_S15_S19_S1B_T6_T7_T9_mT8_S1D_bDpT10_ENKUlT_T0_E_clISt17integral_constantIbLb1EES1Q_EEDaS1L_S1M_EUlS1L_E_NS1_11comp_targetILNS1_3genE5ELNS1_11target_archE942ELNS1_3gpuE9ELNS1_3repE0EEENS1_30default_config_static_selectorELNS0_4arch9wavefront6targetE1EEEvSZ_
                                        ; -- End function
	.section	.AMDGPU.csdata,"",@progbits
; Kernel info:
; codeLenInByte = 0
; NumSgprs: 4
; NumVgprs: 0
; NumAgprs: 0
; TotalNumVgprs: 0
; ScratchSize: 0
; MemoryBound: 0
; FloatMode: 240
; IeeeMode: 1
; LDSByteSize: 0 bytes/workgroup (compile time only)
; SGPRBlocks: 0
; VGPRBlocks: 0
; NumSGPRsForWavesPerEU: 4
; NumVGPRsForWavesPerEU: 1
; AccumOffset: 4
; Occupancy: 8
; WaveLimiterHint : 0
; COMPUTE_PGM_RSRC2:SCRATCH_EN: 0
; COMPUTE_PGM_RSRC2:USER_SGPR: 6
; COMPUTE_PGM_RSRC2:TRAP_HANDLER: 0
; COMPUTE_PGM_RSRC2:TGID_X_EN: 1
; COMPUTE_PGM_RSRC2:TGID_Y_EN: 0
; COMPUTE_PGM_RSRC2:TGID_Z_EN: 0
; COMPUTE_PGM_RSRC2:TIDIG_COMP_CNT: 0
; COMPUTE_PGM_RSRC3_GFX90A:ACCUM_OFFSET: 0
; COMPUTE_PGM_RSRC3_GFX90A:TG_SPLIT: 0
	.section	.text._ZN7rocprim17ROCPRIM_400000_NS6detail17trampoline_kernelINS0_13select_configILj256ELj13ELNS0_17block_load_methodE3ELS4_3ELS4_3ELNS0_20block_scan_algorithmE0ELj4294967295EEENS1_25partition_config_selectorILNS1_17partition_subalgoE3EjNS0_10empty_typeEbEEZZNS1_14partition_implILS8_3ELb0ES6_jNS0_17counting_iteratorIjlEEPS9_SE_NS0_5tupleIJPjSE_EEENSF_IJSE_SE_EEES9_SG_JZNS1_25segmented_radix_sort_implINS0_14default_configELb1EPK6__halfPSL_PKlPlN2at6native12_GLOBAL__N_18offset_tEEE10hipError_tPvRmT1_PNSt15iterator_traitsISZ_E10value_typeET2_T3_PNS10_IS15_E10value_typeET4_jRbjT5_S1B_jjP12ihipStream_tbEUljE_EEESW_SX_SY_S15_S19_S1B_T6_T7_T9_mT8_S1D_bDpT10_ENKUlT_T0_E_clISt17integral_constantIbLb1EES1Q_EEDaS1L_S1M_EUlS1L_E_NS1_11comp_targetILNS1_3genE4ELNS1_11target_archE910ELNS1_3gpuE8ELNS1_3repE0EEENS1_30default_config_static_selectorELNS0_4arch9wavefront6targetE1EEEvSZ_,"axG",@progbits,_ZN7rocprim17ROCPRIM_400000_NS6detail17trampoline_kernelINS0_13select_configILj256ELj13ELNS0_17block_load_methodE3ELS4_3ELS4_3ELNS0_20block_scan_algorithmE0ELj4294967295EEENS1_25partition_config_selectorILNS1_17partition_subalgoE3EjNS0_10empty_typeEbEEZZNS1_14partition_implILS8_3ELb0ES6_jNS0_17counting_iteratorIjlEEPS9_SE_NS0_5tupleIJPjSE_EEENSF_IJSE_SE_EEES9_SG_JZNS1_25segmented_radix_sort_implINS0_14default_configELb1EPK6__halfPSL_PKlPlN2at6native12_GLOBAL__N_18offset_tEEE10hipError_tPvRmT1_PNSt15iterator_traitsISZ_E10value_typeET2_T3_PNS10_IS15_E10value_typeET4_jRbjT5_S1B_jjP12ihipStream_tbEUljE_EEESW_SX_SY_S15_S19_S1B_T6_T7_T9_mT8_S1D_bDpT10_ENKUlT_T0_E_clISt17integral_constantIbLb1EES1Q_EEDaS1L_S1M_EUlS1L_E_NS1_11comp_targetILNS1_3genE4ELNS1_11target_archE910ELNS1_3gpuE8ELNS1_3repE0EEENS1_30default_config_static_selectorELNS0_4arch9wavefront6targetE1EEEvSZ_,comdat
	.globl	_ZN7rocprim17ROCPRIM_400000_NS6detail17trampoline_kernelINS0_13select_configILj256ELj13ELNS0_17block_load_methodE3ELS4_3ELS4_3ELNS0_20block_scan_algorithmE0ELj4294967295EEENS1_25partition_config_selectorILNS1_17partition_subalgoE3EjNS0_10empty_typeEbEEZZNS1_14partition_implILS8_3ELb0ES6_jNS0_17counting_iteratorIjlEEPS9_SE_NS0_5tupleIJPjSE_EEENSF_IJSE_SE_EEES9_SG_JZNS1_25segmented_radix_sort_implINS0_14default_configELb1EPK6__halfPSL_PKlPlN2at6native12_GLOBAL__N_18offset_tEEE10hipError_tPvRmT1_PNSt15iterator_traitsISZ_E10value_typeET2_T3_PNS10_IS15_E10value_typeET4_jRbjT5_S1B_jjP12ihipStream_tbEUljE_EEESW_SX_SY_S15_S19_S1B_T6_T7_T9_mT8_S1D_bDpT10_ENKUlT_T0_E_clISt17integral_constantIbLb1EES1Q_EEDaS1L_S1M_EUlS1L_E_NS1_11comp_targetILNS1_3genE4ELNS1_11target_archE910ELNS1_3gpuE8ELNS1_3repE0EEENS1_30default_config_static_selectorELNS0_4arch9wavefront6targetE1EEEvSZ_ ; -- Begin function _ZN7rocprim17ROCPRIM_400000_NS6detail17trampoline_kernelINS0_13select_configILj256ELj13ELNS0_17block_load_methodE3ELS4_3ELS4_3ELNS0_20block_scan_algorithmE0ELj4294967295EEENS1_25partition_config_selectorILNS1_17partition_subalgoE3EjNS0_10empty_typeEbEEZZNS1_14partition_implILS8_3ELb0ES6_jNS0_17counting_iteratorIjlEEPS9_SE_NS0_5tupleIJPjSE_EEENSF_IJSE_SE_EEES9_SG_JZNS1_25segmented_radix_sort_implINS0_14default_configELb1EPK6__halfPSL_PKlPlN2at6native12_GLOBAL__N_18offset_tEEE10hipError_tPvRmT1_PNSt15iterator_traitsISZ_E10value_typeET2_T3_PNS10_IS15_E10value_typeET4_jRbjT5_S1B_jjP12ihipStream_tbEUljE_EEESW_SX_SY_S15_S19_S1B_T6_T7_T9_mT8_S1D_bDpT10_ENKUlT_T0_E_clISt17integral_constantIbLb1EES1Q_EEDaS1L_S1M_EUlS1L_E_NS1_11comp_targetILNS1_3genE4ELNS1_11target_archE910ELNS1_3gpuE8ELNS1_3repE0EEENS1_30default_config_static_selectorELNS0_4arch9wavefront6targetE1EEEvSZ_
	.p2align	8
	.type	_ZN7rocprim17ROCPRIM_400000_NS6detail17trampoline_kernelINS0_13select_configILj256ELj13ELNS0_17block_load_methodE3ELS4_3ELS4_3ELNS0_20block_scan_algorithmE0ELj4294967295EEENS1_25partition_config_selectorILNS1_17partition_subalgoE3EjNS0_10empty_typeEbEEZZNS1_14partition_implILS8_3ELb0ES6_jNS0_17counting_iteratorIjlEEPS9_SE_NS0_5tupleIJPjSE_EEENSF_IJSE_SE_EEES9_SG_JZNS1_25segmented_radix_sort_implINS0_14default_configELb1EPK6__halfPSL_PKlPlN2at6native12_GLOBAL__N_18offset_tEEE10hipError_tPvRmT1_PNSt15iterator_traitsISZ_E10value_typeET2_T3_PNS10_IS15_E10value_typeET4_jRbjT5_S1B_jjP12ihipStream_tbEUljE_EEESW_SX_SY_S15_S19_S1B_T6_T7_T9_mT8_S1D_bDpT10_ENKUlT_T0_E_clISt17integral_constantIbLb1EES1Q_EEDaS1L_S1M_EUlS1L_E_NS1_11comp_targetILNS1_3genE4ELNS1_11target_archE910ELNS1_3gpuE8ELNS1_3repE0EEENS1_30default_config_static_selectorELNS0_4arch9wavefront6targetE1EEEvSZ_,@function
_ZN7rocprim17ROCPRIM_400000_NS6detail17trampoline_kernelINS0_13select_configILj256ELj13ELNS0_17block_load_methodE3ELS4_3ELS4_3ELNS0_20block_scan_algorithmE0ELj4294967295EEENS1_25partition_config_selectorILNS1_17partition_subalgoE3EjNS0_10empty_typeEbEEZZNS1_14partition_implILS8_3ELb0ES6_jNS0_17counting_iteratorIjlEEPS9_SE_NS0_5tupleIJPjSE_EEENSF_IJSE_SE_EEES9_SG_JZNS1_25segmented_radix_sort_implINS0_14default_configELb1EPK6__halfPSL_PKlPlN2at6native12_GLOBAL__N_18offset_tEEE10hipError_tPvRmT1_PNSt15iterator_traitsISZ_E10value_typeET2_T3_PNS10_IS15_E10value_typeET4_jRbjT5_S1B_jjP12ihipStream_tbEUljE_EEESW_SX_SY_S15_S19_S1B_T6_T7_T9_mT8_S1D_bDpT10_ENKUlT_T0_E_clISt17integral_constantIbLb1EES1Q_EEDaS1L_S1M_EUlS1L_E_NS1_11comp_targetILNS1_3genE4ELNS1_11target_archE910ELNS1_3gpuE8ELNS1_3repE0EEENS1_30default_config_static_selectorELNS0_4arch9wavefront6targetE1EEEvSZ_: ; @_ZN7rocprim17ROCPRIM_400000_NS6detail17trampoline_kernelINS0_13select_configILj256ELj13ELNS0_17block_load_methodE3ELS4_3ELS4_3ELNS0_20block_scan_algorithmE0ELj4294967295EEENS1_25partition_config_selectorILNS1_17partition_subalgoE3EjNS0_10empty_typeEbEEZZNS1_14partition_implILS8_3ELb0ES6_jNS0_17counting_iteratorIjlEEPS9_SE_NS0_5tupleIJPjSE_EEENSF_IJSE_SE_EEES9_SG_JZNS1_25segmented_radix_sort_implINS0_14default_configELb1EPK6__halfPSL_PKlPlN2at6native12_GLOBAL__N_18offset_tEEE10hipError_tPvRmT1_PNSt15iterator_traitsISZ_E10value_typeET2_T3_PNS10_IS15_E10value_typeET4_jRbjT5_S1B_jjP12ihipStream_tbEUljE_EEESW_SX_SY_S15_S19_S1B_T6_T7_T9_mT8_S1D_bDpT10_ENKUlT_T0_E_clISt17integral_constantIbLb1EES1Q_EEDaS1L_S1M_EUlS1L_E_NS1_11comp_targetILNS1_3genE4ELNS1_11target_archE910ELNS1_3gpuE8ELNS1_3repE0EEENS1_30default_config_static_selectorELNS0_4arch9wavefront6targetE1EEEvSZ_
; %bb.0:
	s_load_dwordx2 s[28:29], s[4:5], 0x10
	s_load_dwordx2 s[24:25], s[4:5], 0x28
	s_load_dwordx2 s[26:27], s[4:5], 0x58
	s_load_dwordx4 s[20:23], s[4:5], 0x48
	s_load_dword s14, s[4:5], 0x90
	s_load_dwordx2 s[30:31], s[4:5], 0x68
	s_load_dwordx4 s[8:11], s[4:5], 0x80
	v_cmp_eq_u32_e64 s[0:1], 0, v0
	s_and_saveexec_b64 s[2:3], s[0:1]
	s_cbranch_execz .LBB1715_4
; %bb.1:
	s_mov_b64 s[12:13], exec
	v_mbcnt_lo_u32_b32 v1, s12, 0
	v_mbcnt_hi_u32_b32 v1, s13, v1
	v_cmp_eq_u32_e32 vcc, 0, v1
                                        ; implicit-def: $vgpr2
	s_and_saveexec_b64 s[6:7], vcc
	s_cbranch_execz .LBB1715_3
; %bb.2:
	s_load_dwordx2 s[16:17], s[4:5], 0x78
	s_bcnt1_i32_b64 s12, s[12:13]
	v_mov_b32_e32 v2, 0
	v_mov_b32_e32 v3, s12
	s_waitcnt lgkmcnt(0)
	global_atomic_add v2, v2, v3, s[16:17] glc
.LBB1715_3:
	s_or_b64 exec, exec, s[6:7]
	s_waitcnt vmcnt(0)
	v_readfirstlane_b32 s6, v2
	v_add_u32_e32 v1, s6, v1
	v_mov_b32_e32 v2, 0
	ds_write_b32 v2, v1
.LBB1715_4:
	s_or_b64 exec, exec, s[2:3]
	v_mov_b32_e32 v1, 0
	s_load_dword s2, s[4:5], 0x8
	s_load_dword s6, s[4:5], 0x70
	s_waitcnt lgkmcnt(0)
	s_barrier
	ds_read_b32 v2, v1
	s_waitcnt lgkmcnt(0)
	s_barrier
	global_load_dwordx2 v[20:21], v1, s[22:23]
	s_add_i32 s7, s2, s28
	s_movk_i32 s2, 0xd00
	s_add_i32 s4, s6, -1
	s_mulk_i32 s6, 0xd00
	v_mul_lo_u32 v1, v2, s2
	s_add_u32 s2, s28, s6
	v_readfirstlane_b32 s40, v2
	s_addc_u32 s3, s29, 0
	s_cmp_eq_u32 s40, s4
	v_pk_mov_b32 v[2:3], s[26:27], s[26:27] op_sel:[0,1]
	s_cselect_b64 s[22:23], -1, 0
	s_cmp_lg_u32 s40, s4
	v_cmp_lt_u64_e32 vcc, s[2:3], v[2:3]
	s_cselect_b64 s[2:3], -1, 0
	s_or_b64 s[4:5], vcc, s[2:3]
	v_add_u32_e32 v2, s7, v1
	s_mov_b64 s[2:3], -1
	s_and_b64 vcc, exec, s[4:5]
	v_add_u32_e32 v2, v2, v0
	v_lshlrev_b32_e32 v34, 2, v0
	s_cbranch_vccz .LBB1715_6
; %bb.5:
	v_add_u32_e32 v3, 0x100, v2
	v_add_u32_e32 v4, 0x200, v2
	;; [unrolled: 1-line block ×12, first 2 shown]
	ds_write2st64_b32 v34, v2, v3 offset1:4
	ds_write2st64_b32 v34, v4, v5 offset0:8 offset1:12
	ds_write2st64_b32 v34, v6, v7 offset0:16 offset1:20
	;; [unrolled: 1-line block ×5, first 2 shown]
	ds_write_b32 v34, v14 offset:12288
	s_waitcnt lgkmcnt(0)
	s_barrier
	s_mov_b64 s[2:3], 0
.LBB1715_6:
	s_andn2_b64 vcc, exec, s[2:3]
	s_add_i32 s6, s6, s28
	s_cbranch_vccnz .LBB1715_8
; %bb.7:
	v_add_u32_e32 v3, 0x100, v2
	v_add_u32_e32 v4, 0x200, v2
	;; [unrolled: 1-line block ×12, first 2 shown]
	ds_write2st64_b32 v34, v2, v3 offset1:4
	ds_write2st64_b32 v34, v4, v5 offset0:8 offset1:12
	ds_write2st64_b32 v34, v6, v7 offset0:16 offset1:20
	;; [unrolled: 1-line block ×5, first 2 shown]
	ds_write_b32 v34, v14 offset:12288
	s_waitcnt lgkmcnt(0)
	s_barrier
.LBB1715_8:
	v_mul_u32_u24_e32 v36, 13, v0
	v_lshlrev_b32_e32 v2, 2, v36
	ds_read2_b32 v[32:33], v2 offset1:1
	ds_read2_b32 v[30:31], v2 offset0:2 offset1:3
	ds_read2_b32 v[28:29], v2 offset0:4 offset1:5
	;; [unrolled: 1-line block ×5, first 2 shown]
	ds_read_b32 v35, v2 offset:48
	v_cndmask_b32_e64 v2, 0, 1, s[4:5]
	s_sub_i32 s33, s26, s6
	v_cmp_ne_u32_e64 s[2:3], 1, v2
	s_andn2_b64 vcc, exec, s[4:5]
	s_waitcnt lgkmcnt(0)
	s_barrier
	s_cbranch_vccnz .LBB1715_10
; %bb.9:
	v_add_u32_e32 v2, s9, v32
	v_add_u32_e32 v3, s11, v32
	v_mul_lo_u32 v2, v2, s8
	v_mul_lo_u32 v3, v3, s10
	v_sub_u32_e32 v2, v2, v3
	v_add_u32_e32 v3, s9, v33
	v_add_u32_e32 v4, s11, v33
	v_mul_lo_u32 v3, v3, s8
	v_mul_lo_u32 v4, v4, s10
	v_sub_u32_e32 v3, v3, v4
	;; [unrolled: 5-line block ×6, first 2 shown]
	v_add_u32_e32 v8, s9, v26
	v_add_u32_e32 v9, s11, v26
	v_mul_lo_u32 v8, v8, s8
	v_mul_lo_u32 v9, v9, s10
	v_cmp_lt_u32_e32 vcc, s14, v2
	v_sub_u32_e32 v8, v8, v9
	v_add_u32_e32 v9, s9, v27
	v_add_u32_e32 v10, s11, v27
	v_cndmask_b32_e64 v2, 0, 1, vcc
	v_cmp_lt_u32_e32 vcc, s14, v3
	v_mul_lo_u32 v9, v9, s8
	v_mul_lo_u32 v10, v10, s10
	v_cndmask_b32_e64 v3, 0, 1, vcc
	v_cmp_lt_u32_e32 vcc, s14, v4
	v_sub_u32_e32 v9, v9, v10
	v_add_u32_e32 v10, s9, v24
	v_add_u32_e32 v11, s11, v24
	v_cndmask_b32_e64 v4, 0, 1, vcc
	v_cmp_lt_u32_e32 vcc, s14, v5
	v_mul_lo_u32 v10, v10, s8
	v_mul_lo_u32 v11, v11, s10
	v_cndmask_b32_e64 v5, 0, 1, vcc
	;; [unrolled: 9-line block ×4, first 2 shown]
	v_cmp_lt_u32_e32 vcc, s14, v10
	v_sub_u32_e32 v12, v12, v13
	v_add_u32_e32 v13, s9, v23
	v_add_u32_e32 v14, s11, v23
	v_lshlrev_b16_e32 v3, 8, v3
	v_cndmask_b32_e64 v10, 0, 1, vcc
	v_cmp_lt_u32_e32 vcc, s14, v11
	v_mul_lo_u32 v13, v13, s8
	v_mul_lo_u32 v14, v14, s10
	v_or_b32_e32 v2, v2, v3
	v_lshlrev_b16_e32 v3, 8, v5
	v_cndmask_b32_e64 v11, 0, 1, vcc
	v_cmp_lt_u32_e32 vcc, s14, v12
	v_sub_u32_e32 v13, v13, v14
	v_or_b32_sdwa v3, v4, v3 dst_sel:WORD_1 dst_unused:UNUSED_PAD src0_sel:DWORD src1_sel:DWORD
	v_cndmask_b32_e64 v12, 0, 1, vcc
	v_cmp_lt_u32_e32 vcc, s14, v13
	v_add_u32_e32 v14, s9, v35
	v_add_u32_e32 v15, s11, v35
	v_or_b32_sdwa v40, v2, v3 dst_sel:DWORD dst_unused:UNUSED_PAD src0_sel:WORD_0 src1_sel:DWORD
	v_lshlrev_b16_e32 v2, 8, v7
	v_lshlrev_b16_e32 v3, 8, v9
	v_cndmask_b32_e64 v13, 0, 1, vcc
	v_mul_lo_u32 v14, v14, s8
	v_mul_lo_u32 v15, v15, s10
	v_or_b32_e32 v2, v6, v2
	v_or_b32_sdwa v3, v8, v3 dst_sel:WORD_1 dst_unused:UNUSED_PAD src0_sel:DWORD src1_sel:DWORD
	v_sub_u32_e32 v14, v14, v15
	v_or_b32_sdwa v39, v2, v3 dst_sel:DWORD dst_unused:UNUSED_PAD src0_sel:WORD_0 src1_sel:DWORD
	v_lshlrev_b16_e32 v2, 8, v11
	v_lshlrev_b16_e32 v3, 8, v13
	v_cmp_lt_u32_e32 vcc, s14, v14
	v_or_b32_e32 v2, v10, v2
	v_or_b32_sdwa v3, v12, v3 dst_sel:WORD_1 dst_unused:UNUSED_PAD src0_sel:DWORD src1_sel:DWORD
	v_cndmask_b32_e64 v37, 0, 1, vcc
	v_or_b32_sdwa v38, v2, v3 dst_sel:DWORD dst_unused:UNUSED_PAD src0_sel:WORD_0 src1_sel:DWORD
	s_addk_i32 s33, 0xd00
	s_cbranch_execz .LBB1715_11
	s_branch .LBB1715_38
.LBB1715_10:
                                        ; implicit-def: $vgpr37
                                        ; implicit-def: $vgpr38
                                        ; implicit-def: $vgpr39
                                        ; implicit-def: $vgpr40
	s_addk_i32 s33, 0xd00
.LBB1715_11:
	v_cmp_gt_u32_e32 vcc, s33, v36
	v_mov_b32_e32 v3, 0
	v_mov_b32_e32 v2, 0
	s_and_saveexec_b64 s[4:5], vcc
; %bb.12:
	v_add_u32_e32 v2, s9, v32
	v_add_u32_e32 v4, s11, v32
	v_mul_lo_u32 v2, v2, s8
	v_mul_lo_u32 v4, v4, s10
	v_sub_u32_e32 v2, v2, v4
	v_cmp_lt_u32_e32 vcc, s14, v2
	v_cndmask_b32_e64 v2, 0, 1, vcc
; %bb.13:
	s_or_b64 exec, exec, s[4:5]
	v_add_u32_e32 v4, 1, v36
	v_cmp_gt_u32_e32 vcc, s33, v4
	s_and_saveexec_b64 s[4:5], vcc
; %bb.14:
	v_add_u32_e32 v3, s9, v33
	v_add_u32_e32 v4, s11, v33
	v_mul_lo_u32 v3, v3, s8
	v_mul_lo_u32 v4, v4, s10
	v_sub_u32_e32 v3, v3, v4
	v_cmp_lt_u32_e32 vcc, s14, v3
	v_cndmask_b32_e64 v3, 0, 1, vcc
; %bb.15:
	s_or_b64 exec, exec, s[4:5]
	v_add_u32_e32 v4, 2, v36
	v_cmp_gt_u32_e32 vcc, s33, v4
	v_mov_b32_e32 v5, 0
	v_mov_b32_e32 v4, 0
	s_and_saveexec_b64 s[4:5], vcc
; %bb.16:
	v_add_u32_e32 v4, s9, v30
	v_add_u32_e32 v6, s11, v30
	v_mul_lo_u32 v4, v4, s8
	v_mul_lo_u32 v6, v6, s10
	v_sub_u32_e32 v4, v4, v6
	v_cmp_lt_u32_e32 vcc, s14, v4
	v_cndmask_b32_e64 v4, 0, 1, vcc
; %bb.17:
	s_or_b64 exec, exec, s[4:5]
	v_add_u32_e32 v6, 3, v36
	v_cmp_gt_u32_e32 vcc, s33, v6
	s_and_saveexec_b64 s[4:5], vcc
; %bb.18:
	v_add_u32_e32 v5, s9, v31
	v_add_u32_e32 v6, s11, v31
	v_mul_lo_u32 v5, v5, s8
	v_mul_lo_u32 v6, v6, s10
	v_sub_u32_e32 v5, v5, v6
	v_cmp_lt_u32_e32 vcc, s14, v5
	v_cndmask_b32_e64 v5, 0, 1, vcc
; %bb.19:
	s_or_b64 exec, exec, s[4:5]
	v_add_u32_e32 v6, 4, v36
	;; [unrolled: 28-line block ×6, first 2 shown]
	v_cmp_gt_u32_e32 vcc, s33, v14
	v_mov_b32_e32 v37, 0
	s_and_saveexec_b64 s[4:5], vcc
; %bb.36:
	v_add_u32_e32 v14, s9, v35
	v_add_u32_e32 v15, s11, v35
	v_mul_lo_u32 v14, v14, s8
	v_mul_lo_u32 v15, v15, s10
	v_sub_u32_e32 v14, v14, v15
	v_cmp_lt_u32_e32 vcc, s14, v14
	v_cndmask_b32_e64 v37, 0, 1, vcc
; %bb.37:
	s_or_b64 exec, exec, s[4:5]
	v_lshlrev_b16_e32 v3, 8, v3
	v_or_b32_e32 v2, v2, v3
	v_lshlrev_b16_e32 v3, 8, v5
	v_or_b32_sdwa v3, v4, v3 dst_sel:WORD_1 dst_unused:UNUSED_PAD src0_sel:DWORD src1_sel:DWORD
	v_or_b32_sdwa v40, v2, v3 dst_sel:DWORD dst_unused:UNUSED_PAD src0_sel:WORD_0 src1_sel:DWORD
	v_lshlrev_b16_e32 v2, 8, v7
	v_lshlrev_b16_e32 v3, 8, v9
	v_or_b32_e32 v2, v6, v2
	v_or_b32_sdwa v3, v8, v3 dst_sel:WORD_1 dst_unused:UNUSED_PAD src0_sel:DWORD src1_sel:DWORD
	v_or_b32_sdwa v39, v2, v3 dst_sel:DWORD dst_unused:UNUSED_PAD src0_sel:WORD_0 src1_sel:DWORD
	v_lshlrev_b16_e32 v2, 8, v11
	v_lshlrev_b16_e32 v3, 8, v13
	v_or_b32_e32 v2, v10, v2
	v_or_b32_sdwa v3, v12, v3 dst_sel:WORD_1 dst_unused:UNUSED_PAD src0_sel:DWORD src1_sel:DWORD
	v_or_b32_sdwa v38, v2, v3 dst_sel:DWORD dst_unused:UNUSED_PAD src0_sel:WORD_0 src1_sel:DWORD
.LBB1715_38:
	v_and_b32_e32 v44, 0xff, v40
	v_bfe_u32 v45, v40, 8, 8
	v_bfe_u32 v46, v40, 16, 8
	v_lshrrev_b32_e32 v43, 24, v40
	v_and_b32_e32 v47, 0xff, v39
	v_add3_u32 v3, v45, v44, v46
	v_bfe_u32 v48, v39, 8, 8
	v_bfe_u32 v49, v39, 16, 8
	v_add3_u32 v3, v3, v43, v47
	v_lshrrev_b32_e32 v42, 24, v39
	v_and_b32_e32 v50, 0xff, v38
	v_add3_u32 v3, v3, v48, v49
	v_bfe_u32 v51, v38, 8, 8
	v_bfe_u32 v52, v38, 16, 8
	v_add3_u32 v3, v3, v42, v50
	v_lshrrev_b32_e32 v41, 24, v38
	v_and_b32_e32 v2, 0xff, v37
	v_add3_u32 v3, v3, v51, v52
	v_add3_u32 v55, v3, v41, v2
	v_mbcnt_lo_u32_b32 v2, -1, 0
	v_mbcnt_hi_u32_b32 v53, -1, v2
	v_and_b32_e32 v2, 15, v53
	v_cmp_eq_u32_e64 s[16:17], 0, v2
	v_cmp_lt_u32_e64 s[14:15], 1, v2
	v_cmp_lt_u32_e64 s[12:13], 3, v2
	;; [unrolled: 1-line block ×3, first 2 shown]
	v_and_b32_e32 v2, 16, v53
	v_cmp_eq_u32_e64 s[8:9], 0, v2
	v_or_b32_e32 v2, 63, v0
	s_cmp_lg_u32 s40, 0
	v_cmp_lt_u32_e64 s[4:5], 31, v53
	v_lshrrev_b32_e32 v54, 6, v0
	v_cmp_eq_u32_e64 s[6:7], v2, v0
	s_cbranch_scc0 .LBB1715_69
; %bb.39:
	v_mov_b32_dpp v2, v55 row_shr:1 row_mask:0xf bank_mask:0xf
	v_cndmask_b32_e64 v2, v2, 0, s[16:17]
	v_add_u32_e32 v2, v2, v55
	s_nop 1
	v_mov_b32_dpp v3, v2 row_shr:2 row_mask:0xf bank_mask:0xf
	v_cndmask_b32_e64 v3, 0, v3, s[14:15]
	v_add_u32_e32 v2, v2, v3
	s_nop 1
	v_mov_b32_dpp v3, v2 row_shr:4 row_mask:0xf bank_mask:0xf
	v_cndmask_b32_e64 v3, 0, v3, s[12:13]
	v_add_u32_e32 v2, v2, v3
	s_nop 1
	v_mov_b32_dpp v3, v2 row_shr:8 row_mask:0xf bank_mask:0xf
	v_cndmask_b32_e64 v3, 0, v3, s[10:11]
	v_add_u32_e32 v2, v2, v3
	s_nop 1
	v_mov_b32_dpp v3, v2 row_bcast:15 row_mask:0xf bank_mask:0xf
	v_cndmask_b32_e64 v3, v3, 0, s[8:9]
	v_add_u32_e32 v2, v2, v3
	s_nop 1
	v_mov_b32_dpp v3, v2 row_bcast:31 row_mask:0xf bank_mask:0xf
	v_cndmask_b32_e64 v3, 0, v3, s[4:5]
	v_add_u32_e32 v2, v2, v3
	s_and_saveexec_b64 s[18:19], s[6:7]
	s_cbranch_execz .LBB1715_41
; %bb.40:
	v_lshlrev_b32_e32 v3, 2, v54
	ds_write_b32 v3, v2
.LBB1715_41:
	s_or_b64 exec, exec, s[18:19]
	v_cmp_gt_u32_e32 vcc, 4, v0
	s_waitcnt lgkmcnt(0)
	s_barrier
	s_and_saveexec_b64 s[18:19], vcc
	s_cbranch_execz .LBB1715_43
; %bb.42:
	ds_read_b32 v3, v34
	v_and_b32_e32 v4, 3, v53
	v_cmp_ne_u32_e32 vcc, 0, v4
	s_waitcnt lgkmcnt(0)
	v_mov_b32_dpp v5, v3 row_shr:1 row_mask:0xf bank_mask:0xf
	v_cndmask_b32_e32 v5, 0, v5, vcc
	v_add_u32_e32 v3, v5, v3
	v_cmp_lt_u32_e32 vcc, 1, v4
	s_nop 0
	v_mov_b32_dpp v5, v3 row_shr:2 row_mask:0xf bank_mask:0xf
	v_cndmask_b32_e32 v4, 0, v5, vcc
	v_add_u32_e32 v3, v3, v4
	ds_write_b32 v34, v3
.LBB1715_43:
	s_or_b64 exec, exec, s[18:19]
	v_cmp_gt_u32_e32 vcc, 64, v0
	v_cmp_lt_u32_e64 s[18:19], 63, v0
	s_waitcnt lgkmcnt(0)
	s_barrier
	s_waitcnt lgkmcnt(0)
                                        ; implicit-def: $vgpr12
	s_and_saveexec_b64 s[34:35], s[18:19]
	s_cbranch_execz .LBB1715_45
; %bb.44:
	v_lshl_add_u32 v3, v54, 2, -4
	ds_read_b32 v12, v3
	s_waitcnt lgkmcnt(0)
	v_add_u32_e32 v2, v12, v2
.LBB1715_45:
	s_or_b64 exec, exec, s[34:35]
	v_add_u32_e32 v3, -1, v53
	v_and_b32_e32 v4, 64, v53
	v_cmp_lt_i32_e64 s[18:19], v3, v4
	v_cndmask_b32_e64 v3, v3, v53, s[18:19]
	v_lshlrev_b32_e32 v3, 2, v3
	ds_bpermute_b32 v13, v3, v2
	v_cmp_eq_u32_e64 s[18:19], 0, v53
	s_and_saveexec_b64 s[34:35], vcc
	s_cbranch_execz .LBB1715_68
; %bb.46:
	v_mov_b32_e32 v11, 0
	ds_read_b32 v2, v11 offset:12
	s_and_saveexec_b64 s[36:37], s[18:19]
	s_cbranch_execz .LBB1715_48
; %bb.47:
	s_add_i32 s38, s40, 64
	s_mov_b32 s39, 0
	s_lshl_b64 s[38:39], s[38:39], 3
	s_add_u32 s38, s30, s38
	v_mov_b32_e32 v3, 1
	s_addc_u32 s39, s31, s39
	s_waitcnt lgkmcnt(0)
	global_store_dwordx2 v11, v[2:3], s[38:39]
.LBB1715_48:
	s_or_b64 exec, exec, s[36:37]
	v_xad_u32 v4, v53, -1, s40
	v_add_u32_e32 v10, 64, v4
	v_lshlrev_b64 v[6:7], 3, v[10:11]
	v_mov_b32_e32 v3, s31
	v_add_co_u32_e32 v6, vcc, s30, v6
	v_addc_co_u32_e32 v7, vcc, v3, v7, vcc
	global_load_dwordx2 v[8:9], v[6:7], off glc
	s_waitcnt vmcnt(0)
	v_cmp_eq_u16_sdwa s[38:39], v9, v11 src0_sel:BYTE_0 src1_sel:DWORD
	s_and_saveexec_b64 s[36:37], s[38:39]
	s_cbranch_execz .LBB1715_54
; %bb.49:
	s_mov_b32 s41, 1
	s_mov_b64 s[38:39], 0
	v_mov_b32_e32 v3, 0
.LBB1715_50:                            ; =>This Loop Header: Depth=1
                                        ;     Child Loop BB1715_51 Depth 2
	s_max_u32 s42, s41, 1
.LBB1715_51:                            ;   Parent Loop BB1715_50 Depth=1
                                        ; =>  This Inner Loop Header: Depth=2
	s_add_i32 s42, s42, -1
	s_cmp_eq_u32 s42, 0
	s_sleep 1
	s_cbranch_scc0 .LBB1715_51
; %bb.52:                               ;   in Loop: Header=BB1715_50 Depth=1
	global_load_dwordx2 v[8:9], v[6:7], off glc
	s_cmp_lt_u32 s41, 32
	s_cselect_b64 s[42:43], -1, 0
	s_cmp_lg_u64 s[42:43], 0
	s_addc_u32 s41, s41, 0
	s_waitcnt vmcnt(0)
	v_cmp_ne_u16_sdwa s[42:43], v9, v3 src0_sel:BYTE_0 src1_sel:DWORD
	s_or_b64 s[38:39], s[42:43], s[38:39]
	s_andn2_b64 exec, exec, s[38:39]
	s_cbranch_execnz .LBB1715_50
; %bb.53:
	s_or_b64 exec, exec, s[38:39]
.LBB1715_54:
	s_or_b64 exec, exec, s[36:37]
	v_and_b32_e32 v14, 63, v53
	v_mov_b32_e32 v3, 2
	v_cmp_ne_u32_e32 vcc, 63, v14
	v_cmp_eq_u16_sdwa s[36:37], v9, v3 src0_sel:BYTE_0 src1_sel:DWORD
	v_lshlrev_b64 v[6:7], v53, -1
	v_addc_co_u32_e32 v11, vcc, 0, v53, vcc
	v_and_b32_e32 v5, s37, v7
	v_lshlrev_b32_e32 v15, 2, v11
	v_or_b32_e32 v5, 0x80000000, v5
	ds_bpermute_b32 v11, v15, v8
	v_and_b32_e32 v10, s36, v6
	v_ffbl_b32_e32 v5, v5
	v_add_u32_e32 v5, 32, v5
	v_ffbl_b32_e32 v10, v10
	v_min_u32_e32 v5, v10, v5
	v_cmp_lt_u32_e32 vcc, v14, v5
	s_waitcnt lgkmcnt(0)
	v_cndmask_b32_e32 v10, 0, v11, vcc
	v_cmp_gt_u32_e32 vcc, 62, v14
	v_add_u32_e32 v8, v10, v8
	v_cndmask_b32_e64 v10, 0, 1, vcc
	v_lshlrev_b32_e32 v10, 1, v10
	v_add_lshl_u32 v16, v10, v53, 2
	ds_bpermute_b32 v10, v16, v8
	v_add_u32_e32 v17, 2, v14
	v_cmp_le_u32_e32 vcc, v17, v5
	v_add_u32_e32 v19, 4, v14
	v_add_u32_e32 v57, 8, v14
	s_waitcnt lgkmcnt(0)
	v_cndmask_b32_e32 v10, 0, v10, vcc
	v_cmp_gt_u32_e32 vcc, 60, v14
	v_add_u32_e32 v8, v8, v10
	v_cndmask_b32_e64 v10, 0, 1, vcc
	v_lshlrev_b32_e32 v10, 2, v10
	v_add_lshl_u32 v18, v10, v53, 2
	ds_bpermute_b32 v10, v18, v8
	v_cmp_le_u32_e32 vcc, v19, v5
	v_add_u32_e32 v60, 16, v14
	v_add_u32_e32 v62, 32, v14
	s_waitcnt lgkmcnt(0)
	v_cndmask_b32_e32 v10, 0, v10, vcc
	v_cmp_gt_u32_e32 vcc, 56, v14
	v_add_u32_e32 v8, v8, v10
	v_cndmask_b32_e64 v10, 0, 1, vcc
	v_lshlrev_b32_e32 v10, 3, v10
	v_add_lshl_u32 v56, v10, v53, 2
	ds_bpermute_b32 v10, v56, v8
	v_cmp_le_u32_e32 vcc, v57, v5
	s_waitcnt lgkmcnt(0)
	v_cndmask_b32_e32 v10, 0, v10, vcc
	v_cmp_gt_u32_e32 vcc, 48, v14
	v_add_u32_e32 v8, v8, v10
	v_cndmask_b32_e64 v10, 0, 1, vcc
	v_lshlrev_b32_e32 v10, 4, v10
	v_add_lshl_u32 v59, v10, v53, 2
	ds_bpermute_b32 v10, v59, v8
	v_cmp_le_u32_e32 vcc, v60, v5
	;; [unrolled: 9-line block ×3, first 2 shown]
	s_waitcnt lgkmcnt(0)
	v_cndmask_b32_e32 v5, 0, v10, vcc
	v_add_u32_e32 v8, v8, v5
	v_mov_b32_e32 v5, 0
	s_branch .LBB1715_56
.LBB1715_55:                            ;   in Loop: Header=BB1715_56 Depth=1
	s_or_b64 exec, exec, s[36:37]
	v_cmp_eq_u16_sdwa s[36:37], v9, v3 src0_sel:BYTE_0 src1_sel:DWORD
	v_and_b32_e32 v10, s37, v7
	v_or_b32_e32 v10, 0x80000000, v10
	ds_bpermute_b32 v63, v15, v8
	v_and_b32_e32 v11, s36, v6
	v_ffbl_b32_e32 v10, v10
	v_add_u32_e32 v10, 32, v10
	v_ffbl_b32_e32 v11, v11
	v_min_u32_e32 v10, v11, v10
	v_cmp_lt_u32_e32 vcc, v14, v10
	s_waitcnt lgkmcnt(0)
	v_cndmask_b32_e32 v11, 0, v63, vcc
	v_add_u32_e32 v8, v11, v8
	ds_bpermute_b32 v11, v16, v8
	v_cmp_le_u32_e32 vcc, v17, v10
	v_subrev_u32_e32 v4, 64, v4
	s_waitcnt lgkmcnt(0)
	v_cndmask_b32_e32 v11, 0, v11, vcc
	v_add_u32_e32 v8, v8, v11
	ds_bpermute_b32 v11, v18, v8
	v_cmp_le_u32_e32 vcc, v19, v10
	s_waitcnt lgkmcnt(0)
	v_cndmask_b32_e32 v11, 0, v11, vcc
	v_add_u32_e32 v8, v8, v11
	ds_bpermute_b32 v11, v56, v8
	v_cmp_le_u32_e32 vcc, v57, v10
	;; [unrolled: 5-line block ×4, first 2 shown]
	s_waitcnt lgkmcnt(0)
	v_cndmask_b32_e32 v10, 0, v11, vcc
	v_add3_u32 v8, v10, v58, v8
.LBB1715_56:                            ; =>This Loop Header: Depth=1
                                        ;     Child Loop BB1715_59 Depth 2
                                        ;       Child Loop BB1715_60 Depth 3
	v_cmp_ne_u16_sdwa s[36:37], v9, v3 src0_sel:BYTE_0 src1_sel:DWORD
	v_cndmask_b32_e64 v9, 0, 1, s[36:37]
	;;#ASMSTART
	;;#ASMEND
	v_cmp_ne_u32_e32 vcc, 0, v9
	s_cmp_lg_u64 vcc, exec
	v_mov_b32_e32 v58, v8
	s_cbranch_scc1 .LBB1715_63
; %bb.57:                               ;   in Loop: Header=BB1715_56 Depth=1
	v_lshlrev_b64 v[8:9], 3, v[4:5]
	v_mov_b32_e32 v11, s31
	v_add_co_u32_e32 v10, vcc, s30, v8
	v_addc_co_u32_e32 v11, vcc, v11, v9, vcc
	global_load_dwordx2 v[8:9], v[10:11], off glc
	s_waitcnt vmcnt(0)
	v_cmp_eq_u16_sdwa s[38:39], v9, v5 src0_sel:BYTE_0 src1_sel:DWORD
	s_and_saveexec_b64 s[36:37], s[38:39]
	s_cbranch_execz .LBB1715_55
; %bb.58:                               ;   in Loop: Header=BB1715_56 Depth=1
	s_mov_b32 s41, 1
	s_mov_b64 s[38:39], 0
.LBB1715_59:                            ;   Parent Loop BB1715_56 Depth=1
                                        ; =>  This Loop Header: Depth=2
                                        ;       Child Loop BB1715_60 Depth 3
	s_max_u32 s42, s41, 1
.LBB1715_60:                            ;   Parent Loop BB1715_56 Depth=1
                                        ;     Parent Loop BB1715_59 Depth=2
                                        ; =>    This Inner Loop Header: Depth=3
	s_add_i32 s42, s42, -1
	s_cmp_eq_u32 s42, 0
	s_sleep 1
	s_cbranch_scc0 .LBB1715_60
; %bb.61:                               ;   in Loop: Header=BB1715_59 Depth=2
	global_load_dwordx2 v[8:9], v[10:11], off glc
	s_cmp_lt_u32 s41, 32
	s_cselect_b64 s[42:43], -1, 0
	s_cmp_lg_u64 s[42:43], 0
	s_addc_u32 s41, s41, 0
	s_waitcnt vmcnt(0)
	v_cmp_ne_u16_sdwa s[42:43], v9, v5 src0_sel:BYTE_0 src1_sel:DWORD
	s_or_b64 s[38:39], s[42:43], s[38:39]
	s_andn2_b64 exec, exec, s[38:39]
	s_cbranch_execnz .LBB1715_59
; %bb.62:                               ;   in Loop: Header=BB1715_56 Depth=1
	s_or_b64 exec, exec, s[38:39]
	s_branch .LBB1715_55
.LBB1715_63:                            ;   in Loop: Header=BB1715_56 Depth=1
                                        ; implicit-def: $vgpr8
                                        ; implicit-def: $vgpr9
	s_cbranch_execz .LBB1715_56
; %bb.64:
	s_and_saveexec_b64 s[36:37], s[18:19]
	s_cbranch_execz .LBB1715_66
; %bb.65:
	s_add_i32 s38, s40, 64
	s_mov_b32 s39, 0
	s_lshl_b64 s[38:39], s[38:39], 3
	s_add_u32 s38, s30, s38
	v_add_u32_e32 v4, v58, v2
	v_mov_b32_e32 v5, 2
	s_addc_u32 s39, s31, s39
	v_mov_b32_e32 v3, 0
	global_store_dwordx2 v3, v[4:5], s[38:39]
	s_movk_i32 s38, 0x3400
	v_add_u32_e64 v3, s38, 0
	ds_write2_b32 v3, v2, v58 offset1:2
.LBB1715_66:
	s_or_b64 exec, exec, s[36:37]
	s_and_b64 exec, exec, s[0:1]
	s_cbranch_execz .LBB1715_68
; %bb.67:
	v_mov_b32_e32 v2, 0
	ds_write_b32 v2, v58 offset:12
.LBB1715_68:
	s_or_b64 exec, exec, s[34:35]
	v_mov_b32_e32 v2, 0
	s_waitcnt lgkmcnt(0)
	s_barrier
	ds_read_b32 v2, v2 offset:12
	v_cndmask_b32_e64 v3, v13, v12, s[18:19]
	v_cndmask_b32_e64 v3, v3, 0, s[0:1]
	s_movk_i32 s18, 0x3400
	v_add_u32_e64 v12, s18, 0
	s_waitcnt lgkmcnt(0)
	v_add_u32_e32 v2, v2, v3
	v_add_u32_e32 v3, v2, v44
	;; [unrolled: 1-line block ×9, first 2 shown]
	s_barrier
	ds_read2_b32 v[18:19], v12 offset1:2
	v_add_u32_e32 v11, v10, v50
	v_add_u32_e32 v12, v11, v51
	v_add_u32_e32 v13, v12, v52
	v_add_u32_e32 v14, v13, v41
	s_branch .LBB1715_79
.LBB1715_69:
                                        ; implicit-def: $vgpr19
                                        ; implicit-def: $vgpr2_vgpr3_vgpr4_vgpr5_vgpr6_vgpr7_vgpr8_vgpr9_vgpr10_vgpr11_vgpr12_vgpr13_vgpr14_vgpr15_vgpr16_vgpr17
	s_cbranch_execz .LBB1715_79
; %bb.70:
	s_nop 0
	v_mov_b32_dpp v2, v55 row_shr:1 row_mask:0xf bank_mask:0xf
	v_cndmask_b32_e64 v2, v2, 0, s[16:17]
	v_add_u32_e32 v2, v2, v55
	s_nop 1
	v_mov_b32_dpp v3, v2 row_shr:2 row_mask:0xf bank_mask:0xf
	v_cndmask_b32_e64 v3, 0, v3, s[14:15]
	v_add_u32_e32 v2, v2, v3
	;; [unrolled: 4-line block ×4, first 2 shown]
	s_nop 1
	v_mov_b32_dpp v3, v2 row_bcast:15 row_mask:0xf bank_mask:0xf
	v_cndmask_b32_e64 v3, v3, 0, s[8:9]
	v_add_u32_e32 v2, v2, v3
	s_nop 1
	v_mov_b32_dpp v3, v2 row_bcast:31 row_mask:0xf bank_mask:0xf
	v_cndmask_b32_e64 v3, 0, v3, s[4:5]
	v_add_u32_e32 v2, v2, v3
	s_and_saveexec_b64 s[4:5], s[6:7]
	s_cbranch_execz .LBB1715_72
; %bb.71:
	v_lshlrev_b32_e32 v3, 2, v54
	ds_write_b32 v3, v2
.LBB1715_72:
	s_or_b64 exec, exec, s[4:5]
	v_cmp_gt_u32_e32 vcc, 4, v0
	s_waitcnt lgkmcnt(0)
	s_barrier
	s_and_saveexec_b64 s[4:5], vcc
	s_cbranch_execz .LBB1715_74
; %bb.73:
	ds_read_b32 v3, v34
	v_and_b32_e32 v4, 3, v53
	v_cmp_ne_u32_e32 vcc, 0, v4
	s_waitcnt lgkmcnt(0)
	v_mov_b32_dpp v5, v3 row_shr:1 row_mask:0xf bank_mask:0xf
	v_cndmask_b32_e32 v5, 0, v5, vcc
	v_add_u32_e32 v3, v5, v3
	v_cmp_lt_u32_e32 vcc, 1, v4
	s_nop 0
	v_mov_b32_dpp v5, v3 row_shr:2 row_mask:0xf bank_mask:0xf
	v_cndmask_b32_e32 v4, 0, v5, vcc
	v_add_u32_e32 v3, v3, v4
	ds_write_b32 v34, v3
.LBB1715_74:
	s_or_b64 exec, exec, s[4:5]
	v_cmp_lt_u32_e32 vcc, 63, v0
	v_mov_b32_e32 v4, 0
	v_mov_b32_e32 v3, 0
	s_waitcnt lgkmcnt(0)
	s_barrier
	s_and_saveexec_b64 s[4:5], vcc
	s_cbranch_execz .LBB1715_76
; %bb.75:
	v_lshl_add_u32 v3, v54, 2, -4
	ds_read_b32 v3, v3
.LBB1715_76:
	s_or_b64 exec, exec, s[4:5]
	v_add_u32_e32 v5, -1, v53
	v_and_b32_e32 v6, 64, v53
	v_cmp_lt_i32_e32 vcc, v5, v6
	v_cndmask_b32_e32 v5, v5, v53, vcc
	s_waitcnt lgkmcnt(0)
	v_add_u32_e32 v2, v3, v2
	v_lshlrev_b32_e32 v5, 2, v5
	ds_bpermute_b32 v2, v5, v2
	ds_read_b32 v18, v4 offset:12
	s_and_saveexec_b64 s[4:5], s[0:1]
	s_cbranch_execz .LBB1715_78
; %bb.77:
	v_mov_b32_e32 v4, 0
	v_mov_b32_e32 v19, 2
	s_waitcnt lgkmcnt(0)
	global_store_dwordx2 v4, v[18:19], s[30:31] offset:512
.LBB1715_78:
	s_or_b64 exec, exec, s[4:5]
	v_cmp_eq_u32_e32 vcc, 0, v53
	s_waitcnt lgkmcnt(1)
	v_cndmask_b32_e32 v2, v2, v3, vcc
	v_cndmask_b32_e64 v2, v2, 0, s[0:1]
	v_add_u32_e32 v3, v2, v44
	v_add_u32_e32 v4, v3, v45
	;; [unrolled: 1-line block ×11, first 2 shown]
	v_mov_b32_e32 v19, 0
	v_add_u32_e32 v14, v13, v41
	s_waitcnt lgkmcnt(0)
	s_barrier
.LBB1715_79:
	s_waitcnt lgkmcnt(0)
	v_add_u32_e32 v36, v18, v36
	v_sub_u32_e32 v2, v2, v19
	v_and_b32_e32 v45, 1, v40
	v_sub_u32_e32 v44, v36, v2
	v_cmp_eq_u32_e32 vcc, 1, v45
	v_cndmask_b32_e32 v2, v44, v2, vcc
	v_lshlrev_b32_e32 v2, 2, v2
	v_lshrrev_b32_e32 v17, 8, v40
	ds_write_b32 v2, v32
	v_sub_u32_e32 v2, v3, v19
	v_sub_u32_e32 v3, v36, v2
	v_and_b32_e32 v17, 1, v17
	v_add_u32_e32 v3, 1, v3
	v_cmp_eq_u32_e32 vcc, 1, v17
	v_cndmask_b32_e32 v2, v3, v2, vcc
	v_lshlrev_b32_e32 v2, 2, v2
	ds_write_b32 v2, v33
	v_sub_u32_e32 v2, v4, v19
	v_mov_b32_e32 v4, 1
	v_sub_u32_e32 v3, v36, v2
	v_and_b32_sdwa v17, v4, v40 dst_sel:DWORD dst_unused:UNUSED_PAD src0_sel:DWORD src1_sel:WORD_1
	v_add_u32_e32 v3, 2, v3
	v_cmp_eq_u32_e32 vcc, 1, v17
	v_cndmask_b32_e32 v2, v3, v2, vcc
	v_lshlrev_b32_e32 v2, 2, v2
	ds_write_b32 v2, v30
	v_sub_u32_e32 v2, v5, v19
	v_sub_u32_e32 v3, v36, v2
	v_and_b32_e32 v5, 1, v43
	v_add_u32_e32 v3, 3, v3
	v_cmp_eq_u32_e32 vcc, 1, v5
	v_cndmask_b32_e32 v2, v3, v2, vcc
	v_lshlrev_b32_e32 v2, 2, v2
	ds_write_b32 v2, v31
	v_sub_u32_e32 v2, v6, v19
	v_sub_u32_e32 v3, v36, v2
	v_and_b32_e32 v5, 1, v39
	v_add_u32_e32 v3, 4, v3
	v_cmp_eq_u32_e32 vcc, 1, v5
	v_cndmask_b32_e32 v2, v3, v2, vcc
	v_lshlrev_b32_e32 v2, 2, v2
	v_lshrrev_b32_e32 v16, 8, v39
	ds_write_b32 v2, v28
	v_sub_u32_e32 v2, v7, v19
	v_sub_u32_e32 v3, v36, v2
	v_and_b32_e32 v5, 1, v16
	v_add_u32_e32 v3, 5, v3
	v_cmp_eq_u32_e32 vcc, 1, v5
	v_cndmask_b32_e32 v2, v3, v2, vcc
	v_lshlrev_b32_e32 v2, 2, v2
	ds_write_b32 v2, v29
	v_sub_u32_e32 v2, v8, v19
	v_sub_u32_e32 v3, v36, v2
	v_and_b32_sdwa v5, v4, v39 dst_sel:DWORD dst_unused:UNUSED_PAD src0_sel:DWORD src1_sel:WORD_1
	v_add_u32_e32 v3, 6, v3
	v_cmp_eq_u32_e32 vcc, 1, v5
	v_cndmask_b32_e32 v2, v3, v2, vcc
	v_lshlrev_b32_e32 v2, 2, v2
	ds_write_b32 v2, v26
	v_sub_u32_e32 v2, v9, v19
	v_sub_u32_e32 v3, v36, v2
	v_and_b32_e32 v5, 1, v42
	v_add_u32_e32 v3, 7, v3
	v_cmp_eq_u32_e32 vcc, 1, v5
	v_cndmask_b32_e32 v2, v3, v2, vcc
	v_lshlrev_b32_e32 v2, 2, v2
	ds_write_b32 v2, v27
	v_sub_u32_e32 v2, v10, v19
	v_sub_u32_e32 v3, v36, v2
	v_and_b32_e32 v5, 1, v38
	v_add_u32_e32 v3, 8, v3
	v_cmp_eq_u32_e32 vcc, 1, v5
	v_cndmask_b32_e32 v2, v3, v2, vcc
	v_lshlrev_b32_e32 v2, 2, v2
	v_lshrrev_b32_e32 v15, 8, v38
	ds_write_b32 v2, v24
	v_sub_u32_e32 v2, v11, v19
	v_sub_u32_e32 v3, v36, v2
	v_and_b32_e32 v5, 1, v15
	v_add_u32_e32 v3, 9, v3
	v_cmp_eq_u32_e32 vcc, 1, v5
	v_cndmask_b32_e32 v2, v3, v2, vcc
	v_lshlrev_b32_e32 v2, 2, v2
	ds_write_b32 v2, v25
	v_sub_u32_e32 v2, v12, v19
	v_sub_u32_e32 v3, v36, v2
	v_and_b32_sdwa v4, v4, v38 dst_sel:DWORD dst_unused:UNUSED_PAD src0_sel:DWORD src1_sel:WORD_1
	v_add_u32_e32 v3, 10, v3
	v_cmp_eq_u32_e32 vcc, 1, v4
	v_cndmask_b32_e32 v2, v3, v2, vcc
	v_lshlrev_b32_e32 v2, 2, v2
	ds_write_b32 v2, v22
	v_sub_u32_e32 v2, v13, v19
	v_sub_u32_e32 v3, v36, v2
	v_and_b32_e32 v4, 1, v41
	v_add_u32_e32 v3, 11, v3
	v_cmp_eq_u32_e32 vcc, 1, v4
	v_cndmask_b32_e32 v2, v3, v2, vcc
	v_lshlrev_b32_e32 v2, 2, v2
	ds_write_b32 v2, v23
	v_sub_u32_e32 v2, v14, v19
	v_sub_u32_e32 v3, v36, v2
	v_and_b32_e32 v4, 1, v37
	v_add_u32_e32 v3, 12, v3
	v_cmp_eq_u32_e32 vcc, 1, v4
	v_cndmask_b32_e32 v2, v3, v2, vcc
	s_waitcnt vmcnt(0)
	v_add_co_u32_e32 v16, vcc, v20, v19
	v_addc_co_u32_e32 v17, vcc, 0, v21, vcc
	v_mov_b32_e32 v14, s29
	v_add_co_u32_e32 v1, vcc, s28, v1
	v_addc_co_u32_e32 v14, vcc, 0, v14, vcc
	v_lshlrev_b32_e32 v2, 2, v2
	v_mov_b32_e32 v15, s27
	v_sub_co_u32_e32 v1, vcc, s26, v1
	ds_write_b32 v2, v35
	s_waitcnt lgkmcnt(0)
	s_barrier
	ds_read2st64_b32 v[12:13], v34 offset1:4
	ds_read2st64_b32 v[10:11], v34 offset0:8 offset1:12
	ds_read2st64_b32 v[8:9], v34 offset0:16 offset1:20
	;; [unrolled: 1-line block ×5, first 2 shown]
	ds_read_b32 v22, v34 offset:12288
	v_subb_co_u32_e32 v14, vcc, v15, v14, vcc
	v_add_co_u32_e32 v1, vcc, v1, v18
	v_addc_co_u32_e32 v14, vcc, 0, v14, vcc
	s_and_b64 vcc, exec, s[2:3]
	v_add_co_u32_e64 v1, s[2:3], v1, v16
	v_or_b32_e32 v35, 0x100, v0
	v_or_b32_e32 v33, 0x200, v0
	;; [unrolled: 1-line block ×12, first 2 shown]
	v_addc_co_u32_e64 v19, s[2:3], v14, v17, s[2:3]
	s_cbranch_vccnz .LBB1715_136
; %bb.80:
	v_cmp_ge_u32_e32 vcc, v0, v18
                                        ; implicit-def: $vgpr14_vgpr15
	s_and_saveexec_b64 s[2:3], vcc
	s_xor_b64 s[2:3], exec, s[2:3]
; %bb.81:
	v_not_b32_e32 v14, v0
	v_ashrrev_i32_e32 v15, 31, v14
	v_add_co_u32_e32 v14, vcc, v1, v14
	v_addc_co_u32_e32 v15, vcc, v19, v15, vcc
; %bb.82:
	s_andn2_saveexec_b64 s[2:3], s[2:3]
; %bb.83:
	v_add_co_u32_e32 v14, vcc, v16, v0
	v_addc_co_u32_e32 v15, vcc, 0, v17, vcc
; %bb.84:
	s_or_b64 exec, exec, s[2:3]
	v_lshlrev_b64 v[14:15], 2, v[14:15]
	v_mov_b32_e32 v20, s25
	v_add_co_u32_e32 v14, vcc, s24, v14
	v_addc_co_u32_e32 v15, vcc, v20, v15, vcc
	v_cmp_ge_u32_e32 vcc, v35, v18
	s_waitcnt lgkmcnt(6)
	global_store_dword v[14:15], v12, off
                                        ; implicit-def: $vgpr14_vgpr15
	s_and_saveexec_b64 s[2:3], vcc
	s_xor_b64 s[2:3], exec, s[2:3]
; %bb.85:
	v_xor_b32_e32 v14, 0xfffffeff, v0
	v_ashrrev_i32_e32 v15, 31, v14
	v_add_co_u32_e32 v14, vcc, v1, v14
	v_addc_co_u32_e32 v15, vcc, v19, v15, vcc
; %bb.86:
	s_andn2_saveexec_b64 s[2:3], s[2:3]
; %bb.87:
	v_add_co_u32_e32 v14, vcc, v16, v35
	v_addc_co_u32_e32 v15, vcc, 0, v17, vcc
; %bb.88:
	s_or_b64 exec, exec, s[2:3]
	v_lshlrev_b64 v[14:15], 2, v[14:15]
	v_mov_b32_e32 v20, s25
	v_add_co_u32_e32 v14, vcc, s24, v14
	v_addc_co_u32_e32 v15, vcc, v20, v15, vcc
	v_cmp_ge_u32_e32 vcc, v33, v18
	global_store_dword v[14:15], v13, off
                                        ; implicit-def: $vgpr14_vgpr15
	s_and_saveexec_b64 s[2:3], vcc
	s_xor_b64 s[2:3], exec, s[2:3]
; %bb.89:
	v_xor_b32_e32 v14, 0xfffffdff, v0
	v_ashrrev_i32_e32 v15, 31, v14
	v_add_co_u32_e32 v14, vcc, v1, v14
	v_addc_co_u32_e32 v15, vcc, v19, v15, vcc
; %bb.90:
	s_andn2_saveexec_b64 s[2:3], s[2:3]
; %bb.91:
	v_add_co_u32_e32 v14, vcc, v16, v33
	v_addc_co_u32_e32 v15, vcc, 0, v17, vcc
; %bb.92:
	s_or_b64 exec, exec, s[2:3]
	v_lshlrev_b64 v[14:15], 2, v[14:15]
	v_mov_b32_e32 v20, s25
	v_add_co_u32_e32 v14, vcc, s24, v14
	v_addc_co_u32_e32 v15, vcc, v20, v15, vcc
	v_cmp_ge_u32_e32 vcc, v32, v18
	s_waitcnt lgkmcnt(5)
	global_store_dword v[14:15], v10, off
                                        ; implicit-def: $vgpr14_vgpr15
	s_and_saveexec_b64 s[2:3], vcc
	s_xor_b64 s[2:3], exec, s[2:3]
; %bb.93:
	v_xor_b32_e32 v14, 0xfffffcff, v0
	v_ashrrev_i32_e32 v15, 31, v14
	v_add_co_u32_e32 v14, vcc, v1, v14
	v_addc_co_u32_e32 v15, vcc, v19, v15, vcc
; %bb.94:
	s_andn2_saveexec_b64 s[2:3], s[2:3]
; %bb.95:
	v_add_co_u32_e32 v14, vcc, v16, v32
	v_addc_co_u32_e32 v15, vcc, 0, v17, vcc
; %bb.96:
	s_or_b64 exec, exec, s[2:3]
	v_lshlrev_b64 v[14:15], 2, v[14:15]
	v_mov_b32_e32 v20, s25
	v_add_co_u32_e32 v14, vcc, s24, v14
	v_addc_co_u32_e32 v15, vcc, v20, v15, vcc
	v_cmp_ge_u32_e32 vcc, v31, v18
	global_store_dword v[14:15], v11, off
                                        ; implicit-def: $vgpr14_vgpr15
	s_and_saveexec_b64 s[2:3], vcc
	s_xor_b64 s[2:3], exec, s[2:3]
; %bb.97:
	v_xor_b32_e32 v14, 0xfffffbff, v0
	;; [unrolled: 43-line block ×6, first 2 shown]
	v_ashrrev_i32_e32 v15, 31, v14
	v_add_co_u32_e32 v14, vcc, v1, v14
	v_addc_co_u32_e32 v15, vcc, v19, v15, vcc
; %bb.130:
	s_andn2_saveexec_b64 s[2:3], s[2:3]
; %bb.131:
	v_add_co_u32_e32 v14, vcc, v16, v23
	v_addc_co_u32_e32 v15, vcc, 0, v17, vcc
; %bb.132:
	s_or_b64 exec, exec, s[2:3]
	s_mov_b64 s[2:3], -1
.LBB1715_133:
	s_and_saveexec_b64 s[4:5], s[2:3]
	s_cbranch_execz .LBB1715_216
.LBB1715_134:
	v_lshlrev_b64 v[0:1], 2, v[14:15]
	s_waitcnt lgkmcnt(1)
	v_mov_b32_e32 v2, s25
	v_add_co_u32_e32 v0, vcc, s24, v0
	v_addc_co_u32_e32 v1, vcc, v2, v1, vcc
	s_waitcnt lgkmcnt(0)
	global_store_dword v[0:1], v22, off
	s_or_b64 exec, exec, s[4:5]
	s_and_b64 s[0:1], s[0:1], s[22:23]
	s_and_saveexec_b64 s[2:3], s[0:1]
	s_cbranch_execnz .LBB1715_217
.LBB1715_135:
	s_endpgm
.LBB1715_136:
	s_mov_b64 s[2:3], 0
                                        ; implicit-def: $vgpr14_vgpr15
	s_cbranch_execz .LBB1715_133
; %bb.137:
	v_cmp_gt_u32_e32 vcc, s33, v0
	s_and_saveexec_b64 s[4:5], vcc
	s_cbranch_execz .LBB1715_173
; %bb.138:
	v_cmp_ge_u32_e32 vcc, v0, v18
                                        ; implicit-def: $vgpr14_vgpr15
	s_and_saveexec_b64 s[6:7], vcc
	s_xor_b64 s[6:7], exec, s[6:7]
; %bb.139:
	v_not_b32_e32 v14, v0
	v_ashrrev_i32_e32 v15, 31, v14
	v_add_co_u32_e32 v14, vcc, v1, v14
	v_addc_co_u32_e32 v15, vcc, v19, v15, vcc
; %bb.140:
	s_andn2_saveexec_b64 s[6:7], s[6:7]
; %bb.141:
	v_add_co_u32_e32 v14, vcc, v16, v0
	v_addc_co_u32_e32 v15, vcc, 0, v17, vcc
; %bb.142:
	s_or_b64 exec, exec, s[6:7]
	v_lshlrev_b64 v[14:15], 2, v[14:15]
	v_mov_b32_e32 v20, s25
	v_add_co_u32_e32 v14, vcc, s24, v14
	v_addc_co_u32_e32 v15, vcc, v20, v15, vcc
	s_waitcnt lgkmcnt(6)
	global_store_dword v[14:15], v12, off
	s_or_b64 exec, exec, s[4:5]
	v_cmp_gt_u32_e32 vcc, s33, v35
	s_and_saveexec_b64 s[4:5], vcc
	s_cbranch_execnz .LBB1715_174
.LBB1715_143:
	s_or_b64 exec, exec, s[4:5]
	v_cmp_gt_u32_e32 vcc, s33, v33
	s_and_saveexec_b64 s[4:5], vcc
	s_cbranch_execz .LBB1715_179
.LBB1715_144:
	v_cmp_ge_u32_e32 vcc, v33, v18
                                        ; implicit-def: $vgpr12_vgpr13
	s_and_saveexec_b64 s[6:7], vcc
	s_xor_b64 s[6:7], exec, s[6:7]
	s_cbranch_execz .LBB1715_146
; %bb.145:
	s_waitcnt lgkmcnt(6)
	v_xor_b32_e32 v12, 0xfffffdff, v0
	v_ashrrev_i32_e32 v13, 31, v12
	v_add_co_u32_e32 v12, vcc, v1, v12
	v_addc_co_u32_e32 v13, vcc, v19, v13, vcc
                                        ; implicit-def: $vgpr33
.LBB1715_146:
	s_andn2_saveexec_b64 s[6:7], s[6:7]
	s_cbranch_execz .LBB1715_148
; %bb.147:
	s_waitcnt lgkmcnt(6)
	v_add_co_u32_e32 v12, vcc, v16, v33
	v_addc_co_u32_e32 v13, vcc, 0, v17, vcc
.LBB1715_148:
	s_or_b64 exec, exec, s[6:7]
	s_waitcnt lgkmcnt(6)
	v_lshlrev_b64 v[12:13], 2, v[12:13]
	v_mov_b32_e32 v14, s25
	v_add_co_u32_e32 v12, vcc, s24, v12
	v_addc_co_u32_e32 v13, vcc, v14, v13, vcc
	s_waitcnt lgkmcnt(5)
	global_store_dword v[12:13], v10, off
	s_or_b64 exec, exec, s[4:5]
	v_cmp_gt_u32_e32 vcc, s33, v32
	s_and_saveexec_b64 s[4:5], vcc
	s_cbranch_execnz .LBB1715_180
.LBB1715_149:
	s_or_b64 exec, exec, s[4:5]
	v_cmp_gt_u32_e32 vcc, s33, v31
	s_and_saveexec_b64 s[4:5], vcc
	s_cbranch_execz .LBB1715_185
.LBB1715_150:
	v_cmp_ge_u32_e32 vcc, v31, v18
                                        ; implicit-def: $vgpr10_vgpr11
	s_and_saveexec_b64 s[6:7], vcc
	s_xor_b64 s[6:7], exec, s[6:7]
	s_cbranch_execz .LBB1715_152
; %bb.151:
	s_waitcnt lgkmcnt(5)
	v_xor_b32_e32 v10, 0xfffffbff, v0
	v_ashrrev_i32_e32 v11, 31, v10
	v_add_co_u32_e32 v10, vcc, v1, v10
	v_addc_co_u32_e32 v11, vcc, v19, v11, vcc
                                        ; implicit-def: $vgpr31
.LBB1715_152:
	s_andn2_saveexec_b64 s[6:7], s[6:7]
	s_cbranch_execz .LBB1715_154
; %bb.153:
	s_waitcnt lgkmcnt(5)
	v_add_co_u32_e32 v10, vcc, v16, v31
	v_addc_co_u32_e32 v11, vcc, 0, v17, vcc
.LBB1715_154:
	s_or_b64 exec, exec, s[6:7]
	s_waitcnt lgkmcnt(5)
	v_lshlrev_b64 v[10:11], 2, v[10:11]
	v_mov_b32_e32 v12, s25
	v_add_co_u32_e32 v10, vcc, s24, v10
	v_addc_co_u32_e32 v11, vcc, v12, v11, vcc
	s_waitcnt lgkmcnt(4)
	global_store_dword v[10:11], v8, off
	s_or_b64 exec, exec, s[4:5]
	v_cmp_gt_u32_e32 vcc, s33, v30
	s_and_saveexec_b64 s[4:5], vcc
	s_cbranch_execnz .LBB1715_186
.LBB1715_155:
	s_or_b64 exec, exec, s[4:5]
	v_cmp_gt_u32_e32 vcc, s33, v29
	s_and_saveexec_b64 s[4:5], vcc
	s_cbranch_execz .LBB1715_191
.LBB1715_156:
	v_cmp_ge_u32_e32 vcc, v29, v18
                                        ; implicit-def: $vgpr8_vgpr9
	s_and_saveexec_b64 s[6:7], vcc
	s_xor_b64 s[6:7], exec, s[6:7]
	s_cbranch_execz .LBB1715_158
; %bb.157:
	s_waitcnt lgkmcnt(4)
	v_xor_b32_e32 v8, 0xfffff9ff, v0
	v_ashrrev_i32_e32 v9, 31, v8
	v_add_co_u32_e32 v8, vcc, v1, v8
	v_addc_co_u32_e32 v9, vcc, v19, v9, vcc
                                        ; implicit-def: $vgpr29
.LBB1715_158:
	s_andn2_saveexec_b64 s[6:7], s[6:7]
	s_cbranch_execz .LBB1715_160
; %bb.159:
	s_waitcnt lgkmcnt(4)
	v_add_co_u32_e32 v8, vcc, v16, v29
	v_addc_co_u32_e32 v9, vcc, 0, v17, vcc
.LBB1715_160:
	s_or_b64 exec, exec, s[6:7]
	s_waitcnt lgkmcnt(4)
	v_lshlrev_b64 v[8:9], 2, v[8:9]
	v_mov_b32_e32 v10, s25
	v_add_co_u32_e32 v8, vcc, s24, v8
	v_addc_co_u32_e32 v9, vcc, v10, v9, vcc
	s_waitcnt lgkmcnt(3)
	global_store_dword v[8:9], v6, off
	s_or_b64 exec, exec, s[4:5]
	v_cmp_gt_u32_e32 vcc, s33, v28
	s_and_saveexec_b64 s[4:5], vcc
	s_cbranch_execnz .LBB1715_192
.LBB1715_161:
	s_or_b64 exec, exec, s[4:5]
	v_cmp_gt_u32_e32 vcc, s33, v27
	s_and_saveexec_b64 s[4:5], vcc
	s_cbranch_execz .LBB1715_197
.LBB1715_162:
	v_cmp_ge_u32_e32 vcc, v27, v18
                                        ; implicit-def: $vgpr6_vgpr7
	s_and_saveexec_b64 s[6:7], vcc
	s_xor_b64 s[6:7], exec, s[6:7]
	s_cbranch_execz .LBB1715_164
; %bb.163:
	s_waitcnt lgkmcnt(3)
	v_xor_b32_e32 v6, 0xfffff7ff, v0
	v_ashrrev_i32_e32 v7, 31, v6
	v_add_co_u32_e32 v6, vcc, v1, v6
	v_addc_co_u32_e32 v7, vcc, v19, v7, vcc
                                        ; implicit-def: $vgpr27
.LBB1715_164:
	s_andn2_saveexec_b64 s[6:7], s[6:7]
	s_cbranch_execz .LBB1715_166
; %bb.165:
	s_waitcnt lgkmcnt(3)
	v_add_co_u32_e32 v6, vcc, v16, v27
	v_addc_co_u32_e32 v7, vcc, 0, v17, vcc
.LBB1715_166:
	s_or_b64 exec, exec, s[6:7]
	s_waitcnt lgkmcnt(3)
	v_lshlrev_b64 v[6:7], 2, v[6:7]
	v_mov_b32_e32 v8, s25
	v_add_co_u32_e32 v6, vcc, s24, v6
	v_addc_co_u32_e32 v7, vcc, v8, v7, vcc
	s_waitcnt lgkmcnt(2)
	global_store_dword v[6:7], v4, off
	s_or_b64 exec, exec, s[4:5]
	v_cmp_gt_u32_e32 vcc, s33, v26
	s_and_saveexec_b64 s[4:5], vcc
	s_cbranch_execnz .LBB1715_198
.LBB1715_167:
	s_or_b64 exec, exec, s[4:5]
	v_cmp_gt_u32_e32 vcc, s33, v25
	s_and_saveexec_b64 s[4:5], vcc
	s_cbranch_execz .LBB1715_203
.LBB1715_168:
	v_cmp_ge_u32_e32 vcc, v25, v18
                                        ; implicit-def: $vgpr4_vgpr5
	s_and_saveexec_b64 s[6:7], vcc
	s_xor_b64 s[6:7], exec, s[6:7]
	s_cbranch_execz .LBB1715_170
; %bb.169:
	s_waitcnt lgkmcnt(2)
	v_xor_b32_e32 v4, 0xfffff5ff, v0
	v_ashrrev_i32_e32 v5, 31, v4
	v_add_co_u32_e32 v4, vcc, v1, v4
	v_addc_co_u32_e32 v5, vcc, v19, v5, vcc
                                        ; implicit-def: $vgpr25
.LBB1715_170:
	s_andn2_saveexec_b64 s[6:7], s[6:7]
	s_cbranch_execz .LBB1715_172
; %bb.171:
	s_waitcnt lgkmcnt(2)
	v_add_co_u32_e32 v4, vcc, v16, v25
	v_addc_co_u32_e32 v5, vcc, 0, v17, vcc
.LBB1715_172:
	s_or_b64 exec, exec, s[6:7]
	s_waitcnt lgkmcnt(2)
	v_lshlrev_b64 v[4:5], 2, v[4:5]
	v_mov_b32_e32 v6, s25
	v_add_co_u32_e32 v4, vcc, s24, v4
	v_addc_co_u32_e32 v5, vcc, v6, v5, vcc
	s_waitcnt lgkmcnt(1)
	global_store_dword v[4:5], v2, off
	s_or_b64 exec, exec, s[4:5]
	v_cmp_gt_u32_e32 vcc, s33, v24
	s_and_saveexec_b64 s[4:5], vcc
	s_cbranch_execz .LBB1715_209
	s_branch .LBB1715_204
.LBB1715_173:
	s_or_b64 exec, exec, s[4:5]
	v_cmp_gt_u32_e32 vcc, s33, v35
	s_and_saveexec_b64 s[4:5], vcc
	s_cbranch_execz .LBB1715_143
.LBB1715_174:
	v_cmp_ge_u32_e32 vcc, v35, v18
                                        ; implicit-def: $vgpr14_vgpr15
	s_and_saveexec_b64 s[6:7], vcc
	s_xor_b64 s[6:7], exec, s[6:7]
	s_cbranch_execz .LBB1715_176
; %bb.175:
	s_waitcnt lgkmcnt(6)
	v_xor_b32_e32 v12, 0xfffffeff, v0
	v_ashrrev_i32_e32 v15, 31, v12
	v_add_co_u32_e32 v14, vcc, v1, v12
	v_addc_co_u32_e32 v15, vcc, v19, v15, vcc
                                        ; implicit-def: $vgpr35
.LBB1715_176:
	s_andn2_saveexec_b64 s[6:7], s[6:7]
; %bb.177:
	v_add_co_u32_e32 v14, vcc, v16, v35
	v_addc_co_u32_e32 v15, vcc, 0, v17, vcc
; %bb.178:
	s_or_b64 exec, exec, s[6:7]
	v_lshlrev_b64 v[14:15], 2, v[14:15]
	s_waitcnt lgkmcnt(6)
	v_mov_b32_e32 v12, s25
	v_add_co_u32_e32 v14, vcc, s24, v14
	v_addc_co_u32_e32 v15, vcc, v12, v15, vcc
	global_store_dword v[14:15], v13, off
	s_or_b64 exec, exec, s[4:5]
	v_cmp_gt_u32_e32 vcc, s33, v33
	s_and_saveexec_b64 s[4:5], vcc
	s_cbranch_execnz .LBB1715_144
.LBB1715_179:
	s_or_b64 exec, exec, s[4:5]
	v_cmp_gt_u32_e32 vcc, s33, v32
	s_and_saveexec_b64 s[4:5], vcc
	s_cbranch_execz .LBB1715_149
.LBB1715_180:
	v_cmp_ge_u32_e32 vcc, v32, v18
                                        ; implicit-def: $vgpr12_vgpr13
	s_and_saveexec_b64 s[6:7], vcc
	s_xor_b64 s[6:7], exec, s[6:7]
	s_cbranch_execz .LBB1715_182
; %bb.181:
	s_waitcnt lgkmcnt(5)
	v_xor_b32_e32 v10, 0xfffffcff, v0
	v_ashrrev_i32_e32 v13, 31, v10
	v_add_co_u32_e32 v12, vcc, v1, v10
	v_addc_co_u32_e32 v13, vcc, v19, v13, vcc
                                        ; implicit-def: $vgpr32
.LBB1715_182:
	s_andn2_saveexec_b64 s[6:7], s[6:7]
	s_cbranch_execz .LBB1715_184
; %bb.183:
	s_waitcnt lgkmcnt(6)
	v_add_co_u32_e32 v12, vcc, v16, v32
	v_addc_co_u32_e32 v13, vcc, 0, v17, vcc
.LBB1715_184:
	s_or_b64 exec, exec, s[6:7]
	s_waitcnt lgkmcnt(6)
	v_lshlrev_b64 v[12:13], 2, v[12:13]
	s_waitcnt lgkmcnt(5)
	v_mov_b32_e32 v10, s25
	v_add_co_u32_e32 v12, vcc, s24, v12
	v_addc_co_u32_e32 v13, vcc, v10, v13, vcc
	global_store_dword v[12:13], v11, off
	s_or_b64 exec, exec, s[4:5]
	v_cmp_gt_u32_e32 vcc, s33, v31
	s_and_saveexec_b64 s[4:5], vcc
	s_cbranch_execnz .LBB1715_150
.LBB1715_185:
	s_or_b64 exec, exec, s[4:5]
	v_cmp_gt_u32_e32 vcc, s33, v30
	s_and_saveexec_b64 s[4:5], vcc
	s_cbranch_execz .LBB1715_155
.LBB1715_186:
	v_cmp_ge_u32_e32 vcc, v30, v18
                                        ; implicit-def: $vgpr10_vgpr11
	s_and_saveexec_b64 s[6:7], vcc
	s_xor_b64 s[6:7], exec, s[6:7]
	s_cbranch_execz .LBB1715_188
; %bb.187:
	s_waitcnt lgkmcnt(4)
	v_xor_b32_e32 v8, 0xfffffaff, v0
	v_ashrrev_i32_e32 v11, 31, v8
	v_add_co_u32_e32 v10, vcc, v1, v8
	v_addc_co_u32_e32 v11, vcc, v19, v11, vcc
                                        ; implicit-def: $vgpr30
.LBB1715_188:
	s_andn2_saveexec_b64 s[6:7], s[6:7]
	s_cbranch_execz .LBB1715_190
; %bb.189:
	s_waitcnt lgkmcnt(5)
	v_add_co_u32_e32 v10, vcc, v16, v30
	v_addc_co_u32_e32 v11, vcc, 0, v17, vcc
.LBB1715_190:
	s_or_b64 exec, exec, s[6:7]
	s_waitcnt lgkmcnt(5)
	v_lshlrev_b64 v[10:11], 2, v[10:11]
	s_waitcnt lgkmcnt(4)
	v_mov_b32_e32 v8, s25
	v_add_co_u32_e32 v10, vcc, s24, v10
	v_addc_co_u32_e32 v11, vcc, v8, v11, vcc
	global_store_dword v[10:11], v9, off
	s_or_b64 exec, exec, s[4:5]
	v_cmp_gt_u32_e32 vcc, s33, v29
	s_and_saveexec_b64 s[4:5], vcc
	s_cbranch_execnz .LBB1715_156
.LBB1715_191:
	s_or_b64 exec, exec, s[4:5]
	v_cmp_gt_u32_e32 vcc, s33, v28
	s_and_saveexec_b64 s[4:5], vcc
	s_cbranch_execz .LBB1715_161
.LBB1715_192:
	v_cmp_ge_u32_e32 vcc, v28, v18
                                        ; implicit-def: $vgpr8_vgpr9
	s_and_saveexec_b64 s[6:7], vcc
	s_xor_b64 s[6:7], exec, s[6:7]
	s_cbranch_execz .LBB1715_194
; %bb.193:
	s_waitcnt lgkmcnt(3)
	v_xor_b32_e32 v6, 0xfffff8ff, v0
	v_ashrrev_i32_e32 v9, 31, v6
	v_add_co_u32_e32 v8, vcc, v1, v6
	v_addc_co_u32_e32 v9, vcc, v19, v9, vcc
                                        ; implicit-def: $vgpr28
.LBB1715_194:
	s_andn2_saveexec_b64 s[6:7], s[6:7]
	s_cbranch_execz .LBB1715_196
; %bb.195:
	s_waitcnt lgkmcnt(4)
	v_add_co_u32_e32 v8, vcc, v16, v28
	v_addc_co_u32_e32 v9, vcc, 0, v17, vcc
.LBB1715_196:
	s_or_b64 exec, exec, s[6:7]
	s_waitcnt lgkmcnt(4)
	v_lshlrev_b64 v[8:9], 2, v[8:9]
	s_waitcnt lgkmcnt(3)
	v_mov_b32_e32 v6, s25
	v_add_co_u32_e32 v8, vcc, s24, v8
	v_addc_co_u32_e32 v9, vcc, v6, v9, vcc
	global_store_dword v[8:9], v7, off
	s_or_b64 exec, exec, s[4:5]
	v_cmp_gt_u32_e32 vcc, s33, v27
	s_and_saveexec_b64 s[4:5], vcc
	s_cbranch_execnz .LBB1715_162
.LBB1715_197:
	s_or_b64 exec, exec, s[4:5]
	v_cmp_gt_u32_e32 vcc, s33, v26
	s_and_saveexec_b64 s[4:5], vcc
	s_cbranch_execz .LBB1715_167
.LBB1715_198:
	v_cmp_ge_u32_e32 vcc, v26, v18
                                        ; implicit-def: $vgpr6_vgpr7
	s_and_saveexec_b64 s[6:7], vcc
	s_xor_b64 s[6:7], exec, s[6:7]
	s_cbranch_execz .LBB1715_200
; %bb.199:
	s_waitcnt lgkmcnt(2)
	v_xor_b32_e32 v4, 0xfffff6ff, v0
	v_ashrrev_i32_e32 v7, 31, v4
	v_add_co_u32_e32 v6, vcc, v1, v4
	v_addc_co_u32_e32 v7, vcc, v19, v7, vcc
                                        ; implicit-def: $vgpr26
.LBB1715_200:
	s_andn2_saveexec_b64 s[6:7], s[6:7]
	s_cbranch_execz .LBB1715_202
; %bb.201:
	s_waitcnt lgkmcnt(3)
	v_add_co_u32_e32 v6, vcc, v16, v26
	v_addc_co_u32_e32 v7, vcc, 0, v17, vcc
.LBB1715_202:
	s_or_b64 exec, exec, s[6:7]
	s_waitcnt lgkmcnt(3)
	v_lshlrev_b64 v[6:7], 2, v[6:7]
	s_waitcnt lgkmcnt(2)
	v_mov_b32_e32 v4, s25
	v_add_co_u32_e32 v6, vcc, s24, v6
	v_addc_co_u32_e32 v7, vcc, v4, v7, vcc
	global_store_dword v[6:7], v5, off
	s_or_b64 exec, exec, s[4:5]
	v_cmp_gt_u32_e32 vcc, s33, v25
	s_and_saveexec_b64 s[4:5], vcc
	s_cbranch_execnz .LBB1715_168
.LBB1715_203:
	s_or_b64 exec, exec, s[4:5]
	v_cmp_gt_u32_e32 vcc, s33, v24
	s_and_saveexec_b64 s[4:5], vcc
	s_cbranch_execz .LBB1715_209
.LBB1715_204:
	v_cmp_ge_u32_e32 vcc, v24, v18
                                        ; implicit-def: $vgpr4_vgpr5
	s_and_saveexec_b64 s[6:7], vcc
	s_xor_b64 s[6:7], exec, s[6:7]
	s_cbranch_execz .LBB1715_206
; %bb.205:
	s_waitcnt lgkmcnt(1)
	v_xor_b32_e32 v2, 0xfffff4ff, v0
	v_ashrrev_i32_e32 v5, 31, v2
	v_add_co_u32_e32 v4, vcc, v1, v2
	v_addc_co_u32_e32 v5, vcc, v19, v5, vcc
                                        ; implicit-def: $vgpr24
.LBB1715_206:
	s_andn2_saveexec_b64 s[6:7], s[6:7]
	s_cbranch_execz .LBB1715_208
; %bb.207:
	s_waitcnt lgkmcnt(2)
	v_add_co_u32_e32 v4, vcc, v16, v24
	v_addc_co_u32_e32 v5, vcc, 0, v17, vcc
.LBB1715_208:
	s_or_b64 exec, exec, s[6:7]
	s_waitcnt lgkmcnt(2)
	v_lshlrev_b64 v[4:5], 2, v[4:5]
	s_waitcnt lgkmcnt(1)
	v_mov_b32_e32 v2, s25
	v_add_co_u32_e32 v4, vcc, s24, v4
	v_addc_co_u32_e32 v5, vcc, v2, v5, vcc
	global_store_dword v[4:5], v3, off
.LBB1715_209:
	s_or_b64 exec, exec, s[4:5]
	v_cmp_gt_u32_e32 vcc, s33, v23
                                        ; implicit-def: $vgpr14_vgpr15
	s_and_saveexec_b64 s[4:5], vcc
	s_cbranch_execz .LBB1715_215
; %bb.210:
	v_cmp_ge_u32_e32 vcc, v23, v18
                                        ; implicit-def: $vgpr14_vgpr15
	s_and_saveexec_b64 s[6:7], vcc
	s_xor_b64 s[6:7], exec, s[6:7]
	s_cbranch_execz .LBB1715_212
; %bb.211:
	v_xor_b32_e32 v0, 0xfffff3ff, v0
	s_waitcnt lgkmcnt(1)
	v_ashrrev_i32_e32 v2, 31, v0
	v_add_co_u32_e32 v14, vcc, v1, v0
	v_addc_co_u32_e32 v15, vcc, v19, v2, vcc
                                        ; implicit-def: $vgpr23
.LBB1715_212:
	s_andn2_saveexec_b64 s[6:7], s[6:7]
; %bb.213:
	v_add_co_u32_e32 v14, vcc, v16, v23
	v_addc_co_u32_e32 v15, vcc, 0, v17, vcc
; %bb.214:
	s_or_b64 exec, exec, s[6:7]
	s_or_b64 s[2:3], s[2:3], exec
.LBB1715_215:
	s_or_b64 exec, exec, s[4:5]
	s_and_saveexec_b64 s[4:5], s[2:3]
	s_cbranch_execnz .LBB1715_134
.LBB1715_216:
	s_or_b64 exec, exec, s[4:5]
	s_and_b64 s[0:1], s[0:1], s[22:23]
	s_and_saveexec_b64 s[2:3], s[0:1]
	s_cbranch_execz .LBB1715_135
.LBB1715_217:
	v_add_co_u32_e32 v0, vcc, v16, v18
	s_waitcnt lgkmcnt(1)
	v_mov_b32_e32 v2, 0
	v_addc_co_u32_e32 v1, vcc, 0, v17, vcc
	global_store_dwordx2 v2, v[0:1], s[20:21]
	s_endpgm
	.section	.rodata,"a",@progbits
	.p2align	6, 0x0
	.amdhsa_kernel _ZN7rocprim17ROCPRIM_400000_NS6detail17trampoline_kernelINS0_13select_configILj256ELj13ELNS0_17block_load_methodE3ELS4_3ELS4_3ELNS0_20block_scan_algorithmE0ELj4294967295EEENS1_25partition_config_selectorILNS1_17partition_subalgoE3EjNS0_10empty_typeEbEEZZNS1_14partition_implILS8_3ELb0ES6_jNS0_17counting_iteratorIjlEEPS9_SE_NS0_5tupleIJPjSE_EEENSF_IJSE_SE_EEES9_SG_JZNS1_25segmented_radix_sort_implINS0_14default_configELb1EPK6__halfPSL_PKlPlN2at6native12_GLOBAL__N_18offset_tEEE10hipError_tPvRmT1_PNSt15iterator_traitsISZ_E10value_typeET2_T3_PNS10_IS15_E10value_typeET4_jRbjT5_S1B_jjP12ihipStream_tbEUljE_EEESW_SX_SY_S15_S19_S1B_T6_T7_T9_mT8_S1D_bDpT10_ENKUlT_T0_E_clISt17integral_constantIbLb1EES1Q_EEDaS1L_S1M_EUlS1L_E_NS1_11comp_targetILNS1_3genE4ELNS1_11target_archE910ELNS1_3gpuE8ELNS1_3repE0EEENS1_30default_config_static_selectorELNS0_4arch9wavefront6targetE1EEEvSZ_
		.amdhsa_group_segment_fixed_size 13324
		.amdhsa_private_segment_fixed_size 0
		.amdhsa_kernarg_size 152
		.amdhsa_user_sgpr_count 6
		.amdhsa_user_sgpr_private_segment_buffer 1
		.amdhsa_user_sgpr_dispatch_ptr 0
		.amdhsa_user_sgpr_queue_ptr 0
		.amdhsa_user_sgpr_kernarg_segment_ptr 1
		.amdhsa_user_sgpr_dispatch_id 0
		.amdhsa_user_sgpr_flat_scratch_init 0
		.amdhsa_user_sgpr_kernarg_preload_length 0
		.amdhsa_user_sgpr_kernarg_preload_offset 0
		.amdhsa_user_sgpr_private_segment_size 0
		.amdhsa_uses_dynamic_stack 0
		.amdhsa_system_sgpr_private_segment_wavefront_offset 0
		.amdhsa_system_sgpr_workgroup_id_x 1
		.amdhsa_system_sgpr_workgroup_id_y 0
		.amdhsa_system_sgpr_workgroup_id_z 0
		.amdhsa_system_sgpr_workgroup_info 0
		.amdhsa_system_vgpr_workitem_id 0
		.amdhsa_next_free_vgpr 64
		.amdhsa_next_free_sgpr 44
		.amdhsa_accum_offset 64
		.amdhsa_reserve_vcc 1
		.amdhsa_reserve_flat_scratch 0
		.amdhsa_float_round_mode_32 0
		.amdhsa_float_round_mode_16_64 0
		.amdhsa_float_denorm_mode_32 3
		.amdhsa_float_denorm_mode_16_64 3
		.amdhsa_dx10_clamp 1
		.amdhsa_ieee_mode 1
		.amdhsa_fp16_overflow 0
		.amdhsa_tg_split 0
		.amdhsa_exception_fp_ieee_invalid_op 0
		.amdhsa_exception_fp_denorm_src 0
		.amdhsa_exception_fp_ieee_div_zero 0
		.amdhsa_exception_fp_ieee_overflow 0
		.amdhsa_exception_fp_ieee_underflow 0
		.amdhsa_exception_fp_ieee_inexact 0
		.amdhsa_exception_int_div_zero 0
	.end_amdhsa_kernel
	.section	.text._ZN7rocprim17ROCPRIM_400000_NS6detail17trampoline_kernelINS0_13select_configILj256ELj13ELNS0_17block_load_methodE3ELS4_3ELS4_3ELNS0_20block_scan_algorithmE0ELj4294967295EEENS1_25partition_config_selectorILNS1_17partition_subalgoE3EjNS0_10empty_typeEbEEZZNS1_14partition_implILS8_3ELb0ES6_jNS0_17counting_iteratorIjlEEPS9_SE_NS0_5tupleIJPjSE_EEENSF_IJSE_SE_EEES9_SG_JZNS1_25segmented_radix_sort_implINS0_14default_configELb1EPK6__halfPSL_PKlPlN2at6native12_GLOBAL__N_18offset_tEEE10hipError_tPvRmT1_PNSt15iterator_traitsISZ_E10value_typeET2_T3_PNS10_IS15_E10value_typeET4_jRbjT5_S1B_jjP12ihipStream_tbEUljE_EEESW_SX_SY_S15_S19_S1B_T6_T7_T9_mT8_S1D_bDpT10_ENKUlT_T0_E_clISt17integral_constantIbLb1EES1Q_EEDaS1L_S1M_EUlS1L_E_NS1_11comp_targetILNS1_3genE4ELNS1_11target_archE910ELNS1_3gpuE8ELNS1_3repE0EEENS1_30default_config_static_selectorELNS0_4arch9wavefront6targetE1EEEvSZ_,"axG",@progbits,_ZN7rocprim17ROCPRIM_400000_NS6detail17trampoline_kernelINS0_13select_configILj256ELj13ELNS0_17block_load_methodE3ELS4_3ELS4_3ELNS0_20block_scan_algorithmE0ELj4294967295EEENS1_25partition_config_selectorILNS1_17partition_subalgoE3EjNS0_10empty_typeEbEEZZNS1_14partition_implILS8_3ELb0ES6_jNS0_17counting_iteratorIjlEEPS9_SE_NS0_5tupleIJPjSE_EEENSF_IJSE_SE_EEES9_SG_JZNS1_25segmented_radix_sort_implINS0_14default_configELb1EPK6__halfPSL_PKlPlN2at6native12_GLOBAL__N_18offset_tEEE10hipError_tPvRmT1_PNSt15iterator_traitsISZ_E10value_typeET2_T3_PNS10_IS15_E10value_typeET4_jRbjT5_S1B_jjP12ihipStream_tbEUljE_EEESW_SX_SY_S15_S19_S1B_T6_T7_T9_mT8_S1D_bDpT10_ENKUlT_T0_E_clISt17integral_constantIbLb1EES1Q_EEDaS1L_S1M_EUlS1L_E_NS1_11comp_targetILNS1_3genE4ELNS1_11target_archE910ELNS1_3gpuE8ELNS1_3repE0EEENS1_30default_config_static_selectorELNS0_4arch9wavefront6targetE1EEEvSZ_,comdat
.Lfunc_end1715:
	.size	_ZN7rocprim17ROCPRIM_400000_NS6detail17trampoline_kernelINS0_13select_configILj256ELj13ELNS0_17block_load_methodE3ELS4_3ELS4_3ELNS0_20block_scan_algorithmE0ELj4294967295EEENS1_25partition_config_selectorILNS1_17partition_subalgoE3EjNS0_10empty_typeEbEEZZNS1_14partition_implILS8_3ELb0ES6_jNS0_17counting_iteratorIjlEEPS9_SE_NS0_5tupleIJPjSE_EEENSF_IJSE_SE_EEES9_SG_JZNS1_25segmented_radix_sort_implINS0_14default_configELb1EPK6__halfPSL_PKlPlN2at6native12_GLOBAL__N_18offset_tEEE10hipError_tPvRmT1_PNSt15iterator_traitsISZ_E10value_typeET2_T3_PNS10_IS15_E10value_typeET4_jRbjT5_S1B_jjP12ihipStream_tbEUljE_EEESW_SX_SY_S15_S19_S1B_T6_T7_T9_mT8_S1D_bDpT10_ENKUlT_T0_E_clISt17integral_constantIbLb1EES1Q_EEDaS1L_S1M_EUlS1L_E_NS1_11comp_targetILNS1_3genE4ELNS1_11target_archE910ELNS1_3gpuE8ELNS1_3repE0EEENS1_30default_config_static_selectorELNS0_4arch9wavefront6targetE1EEEvSZ_, .Lfunc_end1715-_ZN7rocprim17ROCPRIM_400000_NS6detail17trampoline_kernelINS0_13select_configILj256ELj13ELNS0_17block_load_methodE3ELS4_3ELS4_3ELNS0_20block_scan_algorithmE0ELj4294967295EEENS1_25partition_config_selectorILNS1_17partition_subalgoE3EjNS0_10empty_typeEbEEZZNS1_14partition_implILS8_3ELb0ES6_jNS0_17counting_iteratorIjlEEPS9_SE_NS0_5tupleIJPjSE_EEENSF_IJSE_SE_EEES9_SG_JZNS1_25segmented_radix_sort_implINS0_14default_configELb1EPK6__halfPSL_PKlPlN2at6native12_GLOBAL__N_18offset_tEEE10hipError_tPvRmT1_PNSt15iterator_traitsISZ_E10value_typeET2_T3_PNS10_IS15_E10value_typeET4_jRbjT5_S1B_jjP12ihipStream_tbEUljE_EEESW_SX_SY_S15_S19_S1B_T6_T7_T9_mT8_S1D_bDpT10_ENKUlT_T0_E_clISt17integral_constantIbLb1EES1Q_EEDaS1L_S1M_EUlS1L_E_NS1_11comp_targetILNS1_3genE4ELNS1_11target_archE910ELNS1_3gpuE8ELNS1_3repE0EEENS1_30default_config_static_selectorELNS0_4arch9wavefront6targetE1EEEvSZ_
                                        ; -- End function
	.section	.AMDGPU.csdata,"",@progbits
; Kernel info:
; codeLenInByte = 7896
; NumSgprs: 48
; NumVgprs: 64
; NumAgprs: 0
; TotalNumVgprs: 64
; ScratchSize: 0
; MemoryBound: 0
; FloatMode: 240
; IeeeMode: 1
; LDSByteSize: 13324 bytes/workgroup (compile time only)
; SGPRBlocks: 5
; VGPRBlocks: 7
; NumSGPRsForWavesPerEU: 48
; NumVGPRsForWavesPerEU: 64
; AccumOffset: 64
; Occupancy: 4
; WaveLimiterHint : 0
; COMPUTE_PGM_RSRC2:SCRATCH_EN: 0
; COMPUTE_PGM_RSRC2:USER_SGPR: 6
; COMPUTE_PGM_RSRC2:TRAP_HANDLER: 0
; COMPUTE_PGM_RSRC2:TGID_X_EN: 1
; COMPUTE_PGM_RSRC2:TGID_Y_EN: 0
; COMPUTE_PGM_RSRC2:TGID_Z_EN: 0
; COMPUTE_PGM_RSRC2:TIDIG_COMP_CNT: 0
; COMPUTE_PGM_RSRC3_GFX90A:ACCUM_OFFSET: 15
; COMPUTE_PGM_RSRC3_GFX90A:TG_SPLIT: 0
	.section	.text._ZN7rocprim17ROCPRIM_400000_NS6detail17trampoline_kernelINS0_13select_configILj256ELj13ELNS0_17block_load_methodE3ELS4_3ELS4_3ELNS0_20block_scan_algorithmE0ELj4294967295EEENS1_25partition_config_selectorILNS1_17partition_subalgoE3EjNS0_10empty_typeEbEEZZNS1_14partition_implILS8_3ELb0ES6_jNS0_17counting_iteratorIjlEEPS9_SE_NS0_5tupleIJPjSE_EEENSF_IJSE_SE_EEES9_SG_JZNS1_25segmented_radix_sort_implINS0_14default_configELb1EPK6__halfPSL_PKlPlN2at6native12_GLOBAL__N_18offset_tEEE10hipError_tPvRmT1_PNSt15iterator_traitsISZ_E10value_typeET2_T3_PNS10_IS15_E10value_typeET4_jRbjT5_S1B_jjP12ihipStream_tbEUljE_EEESW_SX_SY_S15_S19_S1B_T6_T7_T9_mT8_S1D_bDpT10_ENKUlT_T0_E_clISt17integral_constantIbLb1EES1Q_EEDaS1L_S1M_EUlS1L_E_NS1_11comp_targetILNS1_3genE3ELNS1_11target_archE908ELNS1_3gpuE7ELNS1_3repE0EEENS1_30default_config_static_selectorELNS0_4arch9wavefront6targetE1EEEvSZ_,"axG",@progbits,_ZN7rocprim17ROCPRIM_400000_NS6detail17trampoline_kernelINS0_13select_configILj256ELj13ELNS0_17block_load_methodE3ELS4_3ELS4_3ELNS0_20block_scan_algorithmE0ELj4294967295EEENS1_25partition_config_selectorILNS1_17partition_subalgoE3EjNS0_10empty_typeEbEEZZNS1_14partition_implILS8_3ELb0ES6_jNS0_17counting_iteratorIjlEEPS9_SE_NS0_5tupleIJPjSE_EEENSF_IJSE_SE_EEES9_SG_JZNS1_25segmented_radix_sort_implINS0_14default_configELb1EPK6__halfPSL_PKlPlN2at6native12_GLOBAL__N_18offset_tEEE10hipError_tPvRmT1_PNSt15iterator_traitsISZ_E10value_typeET2_T3_PNS10_IS15_E10value_typeET4_jRbjT5_S1B_jjP12ihipStream_tbEUljE_EEESW_SX_SY_S15_S19_S1B_T6_T7_T9_mT8_S1D_bDpT10_ENKUlT_T0_E_clISt17integral_constantIbLb1EES1Q_EEDaS1L_S1M_EUlS1L_E_NS1_11comp_targetILNS1_3genE3ELNS1_11target_archE908ELNS1_3gpuE7ELNS1_3repE0EEENS1_30default_config_static_selectorELNS0_4arch9wavefront6targetE1EEEvSZ_,comdat
	.globl	_ZN7rocprim17ROCPRIM_400000_NS6detail17trampoline_kernelINS0_13select_configILj256ELj13ELNS0_17block_load_methodE3ELS4_3ELS4_3ELNS0_20block_scan_algorithmE0ELj4294967295EEENS1_25partition_config_selectorILNS1_17partition_subalgoE3EjNS0_10empty_typeEbEEZZNS1_14partition_implILS8_3ELb0ES6_jNS0_17counting_iteratorIjlEEPS9_SE_NS0_5tupleIJPjSE_EEENSF_IJSE_SE_EEES9_SG_JZNS1_25segmented_radix_sort_implINS0_14default_configELb1EPK6__halfPSL_PKlPlN2at6native12_GLOBAL__N_18offset_tEEE10hipError_tPvRmT1_PNSt15iterator_traitsISZ_E10value_typeET2_T3_PNS10_IS15_E10value_typeET4_jRbjT5_S1B_jjP12ihipStream_tbEUljE_EEESW_SX_SY_S15_S19_S1B_T6_T7_T9_mT8_S1D_bDpT10_ENKUlT_T0_E_clISt17integral_constantIbLb1EES1Q_EEDaS1L_S1M_EUlS1L_E_NS1_11comp_targetILNS1_3genE3ELNS1_11target_archE908ELNS1_3gpuE7ELNS1_3repE0EEENS1_30default_config_static_selectorELNS0_4arch9wavefront6targetE1EEEvSZ_ ; -- Begin function _ZN7rocprim17ROCPRIM_400000_NS6detail17trampoline_kernelINS0_13select_configILj256ELj13ELNS0_17block_load_methodE3ELS4_3ELS4_3ELNS0_20block_scan_algorithmE0ELj4294967295EEENS1_25partition_config_selectorILNS1_17partition_subalgoE3EjNS0_10empty_typeEbEEZZNS1_14partition_implILS8_3ELb0ES6_jNS0_17counting_iteratorIjlEEPS9_SE_NS0_5tupleIJPjSE_EEENSF_IJSE_SE_EEES9_SG_JZNS1_25segmented_radix_sort_implINS0_14default_configELb1EPK6__halfPSL_PKlPlN2at6native12_GLOBAL__N_18offset_tEEE10hipError_tPvRmT1_PNSt15iterator_traitsISZ_E10value_typeET2_T3_PNS10_IS15_E10value_typeET4_jRbjT5_S1B_jjP12ihipStream_tbEUljE_EEESW_SX_SY_S15_S19_S1B_T6_T7_T9_mT8_S1D_bDpT10_ENKUlT_T0_E_clISt17integral_constantIbLb1EES1Q_EEDaS1L_S1M_EUlS1L_E_NS1_11comp_targetILNS1_3genE3ELNS1_11target_archE908ELNS1_3gpuE7ELNS1_3repE0EEENS1_30default_config_static_selectorELNS0_4arch9wavefront6targetE1EEEvSZ_
	.p2align	8
	.type	_ZN7rocprim17ROCPRIM_400000_NS6detail17trampoline_kernelINS0_13select_configILj256ELj13ELNS0_17block_load_methodE3ELS4_3ELS4_3ELNS0_20block_scan_algorithmE0ELj4294967295EEENS1_25partition_config_selectorILNS1_17partition_subalgoE3EjNS0_10empty_typeEbEEZZNS1_14partition_implILS8_3ELb0ES6_jNS0_17counting_iteratorIjlEEPS9_SE_NS0_5tupleIJPjSE_EEENSF_IJSE_SE_EEES9_SG_JZNS1_25segmented_radix_sort_implINS0_14default_configELb1EPK6__halfPSL_PKlPlN2at6native12_GLOBAL__N_18offset_tEEE10hipError_tPvRmT1_PNSt15iterator_traitsISZ_E10value_typeET2_T3_PNS10_IS15_E10value_typeET4_jRbjT5_S1B_jjP12ihipStream_tbEUljE_EEESW_SX_SY_S15_S19_S1B_T6_T7_T9_mT8_S1D_bDpT10_ENKUlT_T0_E_clISt17integral_constantIbLb1EES1Q_EEDaS1L_S1M_EUlS1L_E_NS1_11comp_targetILNS1_3genE3ELNS1_11target_archE908ELNS1_3gpuE7ELNS1_3repE0EEENS1_30default_config_static_selectorELNS0_4arch9wavefront6targetE1EEEvSZ_,@function
_ZN7rocprim17ROCPRIM_400000_NS6detail17trampoline_kernelINS0_13select_configILj256ELj13ELNS0_17block_load_methodE3ELS4_3ELS4_3ELNS0_20block_scan_algorithmE0ELj4294967295EEENS1_25partition_config_selectorILNS1_17partition_subalgoE3EjNS0_10empty_typeEbEEZZNS1_14partition_implILS8_3ELb0ES6_jNS0_17counting_iteratorIjlEEPS9_SE_NS0_5tupleIJPjSE_EEENSF_IJSE_SE_EEES9_SG_JZNS1_25segmented_radix_sort_implINS0_14default_configELb1EPK6__halfPSL_PKlPlN2at6native12_GLOBAL__N_18offset_tEEE10hipError_tPvRmT1_PNSt15iterator_traitsISZ_E10value_typeET2_T3_PNS10_IS15_E10value_typeET4_jRbjT5_S1B_jjP12ihipStream_tbEUljE_EEESW_SX_SY_S15_S19_S1B_T6_T7_T9_mT8_S1D_bDpT10_ENKUlT_T0_E_clISt17integral_constantIbLb1EES1Q_EEDaS1L_S1M_EUlS1L_E_NS1_11comp_targetILNS1_3genE3ELNS1_11target_archE908ELNS1_3gpuE7ELNS1_3repE0EEENS1_30default_config_static_selectorELNS0_4arch9wavefront6targetE1EEEvSZ_: ; @_ZN7rocprim17ROCPRIM_400000_NS6detail17trampoline_kernelINS0_13select_configILj256ELj13ELNS0_17block_load_methodE3ELS4_3ELS4_3ELNS0_20block_scan_algorithmE0ELj4294967295EEENS1_25partition_config_selectorILNS1_17partition_subalgoE3EjNS0_10empty_typeEbEEZZNS1_14partition_implILS8_3ELb0ES6_jNS0_17counting_iteratorIjlEEPS9_SE_NS0_5tupleIJPjSE_EEENSF_IJSE_SE_EEES9_SG_JZNS1_25segmented_radix_sort_implINS0_14default_configELb1EPK6__halfPSL_PKlPlN2at6native12_GLOBAL__N_18offset_tEEE10hipError_tPvRmT1_PNSt15iterator_traitsISZ_E10value_typeET2_T3_PNS10_IS15_E10value_typeET4_jRbjT5_S1B_jjP12ihipStream_tbEUljE_EEESW_SX_SY_S15_S19_S1B_T6_T7_T9_mT8_S1D_bDpT10_ENKUlT_T0_E_clISt17integral_constantIbLb1EES1Q_EEDaS1L_S1M_EUlS1L_E_NS1_11comp_targetILNS1_3genE3ELNS1_11target_archE908ELNS1_3gpuE7ELNS1_3repE0EEENS1_30default_config_static_selectorELNS0_4arch9wavefront6targetE1EEEvSZ_
; %bb.0:
	.section	.rodata,"a",@progbits
	.p2align	6, 0x0
	.amdhsa_kernel _ZN7rocprim17ROCPRIM_400000_NS6detail17trampoline_kernelINS0_13select_configILj256ELj13ELNS0_17block_load_methodE3ELS4_3ELS4_3ELNS0_20block_scan_algorithmE0ELj4294967295EEENS1_25partition_config_selectorILNS1_17partition_subalgoE3EjNS0_10empty_typeEbEEZZNS1_14partition_implILS8_3ELb0ES6_jNS0_17counting_iteratorIjlEEPS9_SE_NS0_5tupleIJPjSE_EEENSF_IJSE_SE_EEES9_SG_JZNS1_25segmented_radix_sort_implINS0_14default_configELb1EPK6__halfPSL_PKlPlN2at6native12_GLOBAL__N_18offset_tEEE10hipError_tPvRmT1_PNSt15iterator_traitsISZ_E10value_typeET2_T3_PNS10_IS15_E10value_typeET4_jRbjT5_S1B_jjP12ihipStream_tbEUljE_EEESW_SX_SY_S15_S19_S1B_T6_T7_T9_mT8_S1D_bDpT10_ENKUlT_T0_E_clISt17integral_constantIbLb1EES1Q_EEDaS1L_S1M_EUlS1L_E_NS1_11comp_targetILNS1_3genE3ELNS1_11target_archE908ELNS1_3gpuE7ELNS1_3repE0EEENS1_30default_config_static_selectorELNS0_4arch9wavefront6targetE1EEEvSZ_
		.amdhsa_group_segment_fixed_size 0
		.amdhsa_private_segment_fixed_size 0
		.amdhsa_kernarg_size 152
		.amdhsa_user_sgpr_count 6
		.amdhsa_user_sgpr_private_segment_buffer 1
		.amdhsa_user_sgpr_dispatch_ptr 0
		.amdhsa_user_sgpr_queue_ptr 0
		.amdhsa_user_sgpr_kernarg_segment_ptr 1
		.amdhsa_user_sgpr_dispatch_id 0
		.amdhsa_user_sgpr_flat_scratch_init 0
		.amdhsa_user_sgpr_kernarg_preload_length 0
		.amdhsa_user_sgpr_kernarg_preload_offset 0
		.amdhsa_user_sgpr_private_segment_size 0
		.amdhsa_uses_dynamic_stack 0
		.amdhsa_system_sgpr_private_segment_wavefront_offset 0
		.amdhsa_system_sgpr_workgroup_id_x 1
		.amdhsa_system_sgpr_workgroup_id_y 0
		.amdhsa_system_sgpr_workgroup_id_z 0
		.amdhsa_system_sgpr_workgroup_info 0
		.amdhsa_system_vgpr_workitem_id 0
		.amdhsa_next_free_vgpr 1
		.amdhsa_next_free_sgpr 0
		.amdhsa_accum_offset 4
		.amdhsa_reserve_vcc 0
		.amdhsa_reserve_flat_scratch 0
		.amdhsa_float_round_mode_32 0
		.amdhsa_float_round_mode_16_64 0
		.amdhsa_float_denorm_mode_32 3
		.amdhsa_float_denorm_mode_16_64 3
		.amdhsa_dx10_clamp 1
		.amdhsa_ieee_mode 1
		.amdhsa_fp16_overflow 0
		.amdhsa_tg_split 0
		.amdhsa_exception_fp_ieee_invalid_op 0
		.amdhsa_exception_fp_denorm_src 0
		.amdhsa_exception_fp_ieee_div_zero 0
		.amdhsa_exception_fp_ieee_overflow 0
		.amdhsa_exception_fp_ieee_underflow 0
		.amdhsa_exception_fp_ieee_inexact 0
		.amdhsa_exception_int_div_zero 0
	.end_amdhsa_kernel
	.section	.text._ZN7rocprim17ROCPRIM_400000_NS6detail17trampoline_kernelINS0_13select_configILj256ELj13ELNS0_17block_load_methodE3ELS4_3ELS4_3ELNS0_20block_scan_algorithmE0ELj4294967295EEENS1_25partition_config_selectorILNS1_17partition_subalgoE3EjNS0_10empty_typeEbEEZZNS1_14partition_implILS8_3ELb0ES6_jNS0_17counting_iteratorIjlEEPS9_SE_NS0_5tupleIJPjSE_EEENSF_IJSE_SE_EEES9_SG_JZNS1_25segmented_radix_sort_implINS0_14default_configELb1EPK6__halfPSL_PKlPlN2at6native12_GLOBAL__N_18offset_tEEE10hipError_tPvRmT1_PNSt15iterator_traitsISZ_E10value_typeET2_T3_PNS10_IS15_E10value_typeET4_jRbjT5_S1B_jjP12ihipStream_tbEUljE_EEESW_SX_SY_S15_S19_S1B_T6_T7_T9_mT8_S1D_bDpT10_ENKUlT_T0_E_clISt17integral_constantIbLb1EES1Q_EEDaS1L_S1M_EUlS1L_E_NS1_11comp_targetILNS1_3genE3ELNS1_11target_archE908ELNS1_3gpuE7ELNS1_3repE0EEENS1_30default_config_static_selectorELNS0_4arch9wavefront6targetE1EEEvSZ_,"axG",@progbits,_ZN7rocprim17ROCPRIM_400000_NS6detail17trampoline_kernelINS0_13select_configILj256ELj13ELNS0_17block_load_methodE3ELS4_3ELS4_3ELNS0_20block_scan_algorithmE0ELj4294967295EEENS1_25partition_config_selectorILNS1_17partition_subalgoE3EjNS0_10empty_typeEbEEZZNS1_14partition_implILS8_3ELb0ES6_jNS0_17counting_iteratorIjlEEPS9_SE_NS0_5tupleIJPjSE_EEENSF_IJSE_SE_EEES9_SG_JZNS1_25segmented_radix_sort_implINS0_14default_configELb1EPK6__halfPSL_PKlPlN2at6native12_GLOBAL__N_18offset_tEEE10hipError_tPvRmT1_PNSt15iterator_traitsISZ_E10value_typeET2_T3_PNS10_IS15_E10value_typeET4_jRbjT5_S1B_jjP12ihipStream_tbEUljE_EEESW_SX_SY_S15_S19_S1B_T6_T7_T9_mT8_S1D_bDpT10_ENKUlT_T0_E_clISt17integral_constantIbLb1EES1Q_EEDaS1L_S1M_EUlS1L_E_NS1_11comp_targetILNS1_3genE3ELNS1_11target_archE908ELNS1_3gpuE7ELNS1_3repE0EEENS1_30default_config_static_selectorELNS0_4arch9wavefront6targetE1EEEvSZ_,comdat
.Lfunc_end1716:
	.size	_ZN7rocprim17ROCPRIM_400000_NS6detail17trampoline_kernelINS0_13select_configILj256ELj13ELNS0_17block_load_methodE3ELS4_3ELS4_3ELNS0_20block_scan_algorithmE0ELj4294967295EEENS1_25partition_config_selectorILNS1_17partition_subalgoE3EjNS0_10empty_typeEbEEZZNS1_14partition_implILS8_3ELb0ES6_jNS0_17counting_iteratorIjlEEPS9_SE_NS0_5tupleIJPjSE_EEENSF_IJSE_SE_EEES9_SG_JZNS1_25segmented_radix_sort_implINS0_14default_configELb1EPK6__halfPSL_PKlPlN2at6native12_GLOBAL__N_18offset_tEEE10hipError_tPvRmT1_PNSt15iterator_traitsISZ_E10value_typeET2_T3_PNS10_IS15_E10value_typeET4_jRbjT5_S1B_jjP12ihipStream_tbEUljE_EEESW_SX_SY_S15_S19_S1B_T6_T7_T9_mT8_S1D_bDpT10_ENKUlT_T0_E_clISt17integral_constantIbLb1EES1Q_EEDaS1L_S1M_EUlS1L_E_NS1_11comp_targetILNS1_3genE3ELNS1_11target_archE908ELNS1_3gpuE7ELNS1_3repE0EEENS1_30default_config_static_selectorELNS0_4arch9wavefront6targetE1EEEvSZ_, .Lfunc_end1716-_ZN7rocprim17ROCPRIM_400000_NS6detail17trampoline_kernelINS0_13select_configILj256ELj13ELNS0_17block_load_methodE3ELS4_3ELS4_3ELNS0_20block_scan_algorithmE0ELj4294967295EEENS1_25partition_config_selectorILNS1_17partition_subalgoE3EjNS0_10empty_typeEbEEZZNS1_14partition_implILS8_3ELb0ES6_jNS0_17counting_iteratorIjlEEPS9_SE_NS0_5tupleIJPjSE_EEENSF_IJSE_SE_EEES9_SG_JZNS1_25segmented_radix_sort_implINS0_14default_configELb1EPK6__halfPSL_PKlPlN2at6native12_GLOBAL__N_18offset_tEEE10hipError_tPvRmT1_PNSt15iterator_traitsISZ_E10value_typeET2_T3_PNS10_IS15_E10value_typeET4_jRbjT5_S1B_jjP12ihipStream_tbEUljE_EEESW_SX_SY_S15_S19_S1B_T6_T7_T9_mT8_S1D_bDpT10_ENKUlT_T0_E_clISt17integral_constantIbLb1EES1Q_EEDaS1L_S1M_EUlS1L_E_NS1_11comp_targetILNS1_3genE3ELNS1_11target_archE908ELNS1_3gpuE7ELNS1_3repE0EEENS1_30default_config_static_selectorELNS0_4arch9wavefront6targetE1EEEvSZ_
                                        ; -- End function
	.section	.AMDGPU.csdata,"",@progbits
; Kernel info:
; codeLenInByte = 0
; NumSgprs: 4
; NumVgprs: 0
; NumAgprs: 0
; TotalNumVgprs: 0
; ScratchSize: 0
; MemoryBound: 0
; FloatMode: 240
; IeeeMode: 1
; LDSByteSize: 0 bytes/workgroup (compile time only)
; SGPRBlocks: 0
; VGPRBlocks: 0
; NumSGPRsForWavesPerEU: 4
; NumVGPRsForWavesPerEU: 1
; AccumOffset: 4
; Occupancy: 8
; WaveLimiterHint : 0
; COMPUTE_PGM_RSRC2:SCRATCH_EN: 0
; COMPUTE_PGM_RSRC2:USER_SGPR: 6
; COMPUTE_PGM_RSRC2:TRAP_HANDLER: 0
; COMPUTE_PGM_RSRC2:TGID_X_EN: 1
; COMPUTE_PGM_RSRC2:TGID_Y_EN: 0
; COMPUTE_PGM_RSRC2:TGID_Z_EN: 0
; COMPUTE_PGM_RSRC2:TIDIG_COMP_CNT: 0
; COMPUTE_PGM_RSRC3_GFX90A:ACCUM_OFFSET: 0
; COMPUTE_PGM_RSRC3_GFX90A:TG_SPLIT: 0
	.section	.text._ZN7rocprim17ROCPRIM_400000_NS6detail17trampoline_kernelINS0_13select_configILj256ELj13ELNS0_17block_load_methodE3ELS4_3ELS4_3ELNS0_20block_scan_algorithmE0ELj4294967295EEENS1_25partition_config_selectorILNS1_17partition_subalgoE3EjNS0_10empty_typeEbEEZZNS1_14partition_implILS8_3ELb0ES6_jNS0_17counting_iteratorIjlEEPS9_SE_NS0_5tupleIJPjSE_EEENSF_IJSE_SE_EEES9_SG_JZNS1_25segmented_radix_sort_implINS0_14default_configELb1EPK6__halfPSL_PKlPlN2at6native12_GLOBAL__N_18offset_tEEE10hipError_tPvRmT1_PNSt15iterator_traitsISZ_E10value_typeET2_T3_PNS10_IS15_E10value_typeET4_jRbjT5_S1B_jjP12ihipStream_tbEUljE_EEESW_SX_SY_S15_S19_S1B_T6_T7_T9_mT8_S1D_bDpT10_ENKUlT_T0_E_clISt17integral_constantIbLb1EES1Q_EEDaS1L_S1M_EUlS1L_E_NS1_11comp_targetILNS1_3genE2ELNS1_11target_archE906ELNS1_3gpuE6ELNS1_3repE0EEENS1_30default_config_static_selectorELNS0_4arch9wavefront6targetE1EEEvSZ_,"axG",@progbits,_ZN7rocprim17ROCPRIM_400000_NS6detail17trampoline_kernelINS0_13select_configILj256ELj13ELNS0_17block_load_methodE3ELS4_3ELS4_3ELNS0_20block_scan_algorithmE0ELj4294967295EEENS1_25partition_config_selectorILNS1_17partition_subalgoE3EjNS0_10empty_typeEbEEZZNS1_14partition_implILS8_3ELb0ES6_jNS0_17counting_iteratorIjlEEPS9_SE_NS0_5tupleIJPjSE_EEENSF_IJSE_SE_EEES9_SG_JZNS1_25segmented_radix_sort_implINS0_14default_configELb1EPK6__halfPSL_PKlPlN2at6native12_GLOBAL__N_18offset_tEEE10hipError_tPvRmT1_PNSt15iterator_traitsISZ_E10value_typeET2_T3_PNS10_IS15_E10value_typeET4_jRbjT5_S1B_jjP12ihipStream_tbEUljE_EEESW_SX_SY_S15_S19_S1B_T6_T7_T9_mT8_S1D_bDpT10_ENKUlT_T0_E_clISt17integral_constantIbLb1EES1Q_EEDaS1L_S1M_EUlS1L_E_NS1_11comp_targetILNS1_3genE2ELNS1_11target_archE906ELNS1_3gpuE6ELNS1_3repE0EEENS1_30default_config_static_selectorELNS0_4arch9wavefront6targetE1EEEvSZ_,comdat
	.globl	_ZN7rocprim17ROCPRIM_400000_NS6detail17trampoline_kernelINS0_13select_configILj256ELj13ELNS0_17block_load_methodE3ELS4_3ELS4_3ELNS0_20block_scan_algorithmE0ELj4294967295EEENS1_25partition_config_selectorILNS1_17partition_subalgoE3EjNS0_10empty_typeEbEEZZNS1_14partition_implILS8_3ELb0ES6_jNS0_17counting_iteratorIjlEEPS9_SE_NS0_5tupleIJPjSE_EEENSF_IJSE_SE_EEES9_SG_JZNS1_25segmented_radix_sort_implINS0_14default_configELb1EPK6__halfPSL_PKlPlN2at6native12_GLOBAL__N_18offset_tEEE10hipError_tPvRmT1_PNSt15iterator_traitsISZ_E10value_typeET2_T3_PNS10_IS15_E10value_typeET4_jRbjT5_S1B_jjP12ihipStream_tbEUljE_EEESW_SX_SY_S15_S19_S1B_T6_T7_T9_mT8_S1D_bDpT10_ENKUlT_T0_E_clISt17integral_constantIbLb1EES1Q_EEDaS1L_S1M_EUlS1L_E_NS1_11comp_targetILNS1_3genE2ELNS1_11target_archE906ELNS1_3gpuE6ELNS1_3repE0EEENS1_30default_config_static_selectorELNS0_4arch9wavefront6targetE1EEEvSZ_ ; -- Begin function _ZN7rocprim17ROCPRIM_400000_NS6detail17trampoline_kernelINS0_13select_configILj256ELj13ELNS0_17block_load_methodE3ELS4_3ELS4_3ELNS0_20block_scan_algorithmE0ELj4294967295EEENS1_25partition_config_selectorILNS1_17partition_subalgoE3EjNS0_10empty_typeEbEEZZNS1_14partition_implILS8_3ELb0ES6_jNS0_17counting_iteratorIjlEEPS9_SE_NS0_5tupleIJPjSE_EEENSF_IJSE_SE_EEES9_SG_JZNS1_25segmented_radix_sort_implINS0_14default_configELb1EPK6__halfPSL_PKlPlN2at6native12_GLOBAL__N_18offset_tEEE10hipError_tPvRmT1_PNSt15iterator_traitsISZ_E10value_typeET2_T3_PNS10_IS15_E10value_typeET4_jRbjT5_S1B_jjP12ihipStream_tbEUljE_EEESW_SX_SY_S15_S19_S1B_T6_T7_T9_mT8_S1D_bDpT10_ENKUlT_T0_E_clISt17integral_constantIbLb1EES1Q_EEDaS1L_S1M_EUlS1L_E_NS1_11comp_targetILNS1_3genE2ELNS1_11target_archE906ELNS1_3gpuE6ELNS1_3repE0EEENS1_30default_config_static_selectorELNS0_4arch9wavefront6targetE1EEEvSZ_
	.p2align	8
	.type	_ZN7rocprim17ROCPRIM_400000_NS6detail17trampoline_kernelINS0_13select_configILj256ELj13ELNS0_17block_load_methodE3ELS4_3ELS4_3ELNS0_20block_scan_algorithmE0ELj4294967295EEENS1_25partition_config_selectorILNS1_17partition_subalgoE3EjNS0_10empty_typeEbEEZZNS1_14partition_implILS8_3ELb0ES6_jNS0_17counting_iteratorIjlEEPS9_SE_NS0_5tupleIJPjSE_EEENSF_IJSE_SE_EEES9_SG_JZNS1_25segmented_radix_sort_implINS0_14default_configELb1EPK6__halfPSL_PKlPlN2at6native12_GLOBAL__N_18offset_tEEE10hipError_tPvRmT1_PNSt15iterator_traitsISZ_E10value_typeET2_T3_PNS10_IS15_E10value_typeET4_jRbjT5_S1B_jjP12ihipStream_tbEUljE_EEESW_SX_SY_S15_S19_S1B_T6_T7_T9_mT8_S1D_bDpT10_ENKUlT_T0_E_clISt17integral_constantIbLb1EES1Q_EEDaS1L_S1M_EUlS1L_E_NS1_11comp_targetILNS1_3genE2ELNS1_11target_archE906ELNS1_3gpuE6ELNS1_3repE0EEENS1_30default_config_static_selectorELNS0_4arch9wavefront6targetE1EEEvSZ_,@function
_ZN7rocprim17ROCPRIM_400000_NS6detail17trampoline_kernelINS0_13select_configILj256ELj13ELNS0_17block_load_methodE3ELS4_3ELS4_3ELNS0_20block_scan_algorithmE0ELj4294967295EEENS1_25partition_config_selectorILNS1_17partition_subalgoE3EjNS0_10empty_typeEbEEZZNS1_14partition_implILS8_3ELb0ES6_jNS0_17counting_iteratorIjlEEPS9_SE_NS0_5tupleIJPjSE_EEENSF_IJSE_SE_EEES9_SG_JZNS1_25segmented_radix_sort_implINS0_14default_configELb1EPK6__halfPSL_PKlPlN2at6native12_GLOBAL__N_18offset_tEEE10hipError_tPvRmT1_PNSt15iterator_traitsISZ_E10value_typeET2_T3_PNS10_IS15_E10value_typeET4_jRbjT5_S1B_jjP12ihipStream_tbEUljE_EEESW_SX_SY_S15_S19_S1B_T6_T7_T9_mT8_S1D_bDpT10_ENKUlT_T0_E_clISt17integral_constantIbLb1EES1Q_EEDaS1L_S1M_EUlS1L_E_NS1_11comp_targetILNS1_3genE2ELNS1_11target_archE906ELNS1_3gpuE6ELNS1_3repE0EEENS1_30default_config_static_selectorELNS0_4arch9wavefront6targetE1EEEvSZ_: ; @_ZN7rocprim17ROCPRIM_400000_NS6detail17trampoline_kernelINS0_13select_configILj256ELj13ELNS0_17block_load_methodE3ELS4_3ELS4_3ELNS0_20block_scan_algorithmE0ELj4294967295EEENS1_25partition_config_selectorILNS1_17partition_subalgoE3EjNS0_10empty_typeEbEEZZNS1_14partition_implILS8_3ELb0ES6_jNS0_17counting_iteratorIjlEEPS9_SE_NS0_5tupleIJPjSE_EEENSF_IJSE_SE_EEES9_SG_JZNS1_25segmented_radix_sort_implINS0_14default_configELb1EPK6__halfPSL_PKlPlN2at6native12_GLOBAL__N_18offset_tEEE10hipError_tPvRmT1_PNSt15iterator_traitsISZ_E10value_typeET2_T3_PNS10_IS15_E10value_typeET4_jRbjT5_S1B_jjP12ihipStream_tbEUljE_EEESW_SX_SY_S15_S19_S1B_T6_T7_T9_mT8_S1D_bDpT10_ENKUlT_T0_E_clISt17integral_constantIbLb1EES1Q_EEDaS1L_S1M_EUlS1L_E_NS1_11comp_targetILNS1_3genE2ELNS1_11target_archE906ELNS1_3gpuE6ELNS1_3repE0EEENS1_30default_config_static_selectorELNS0_4arch9wavefront6targetE1EEEvSZ_
; %bb.0:
	.section	.rodata,"a",@progbits
	.p2align	6, 0x0
	.amdhsa_kernel _ZN7rocprim17ROCPRIM_400000_NS6detail17trampoline_kernelINS0_13select_configILj256ELj13ELNS0_17block_load_methodE3ELS4_3ELS4_3ELNS0_20block_scan_algorithmE0ELj4294967295EEENS1_25partition_config_selectorILNS1_17partition_subalgoE3EjNS0_10empty_typeEbEEZZNS1_14partition_implILS8_3ELb0ES6_jNS0_17counting_iteratorIjlEEPS9_SE_NS0_5tupleIJPjSE_EEENSF_IJSE_SE_EEES9_SG_JZNS1_25segmented_radix_sort_implINS0_14default_configELb1EPK6__halfPSL_PKlPlN2at6native12_GLOBAL__N_18offset_tEEE10hipError_tPvRmT1_PNSt15iterator_traitsISZ_E10value_typeET2_T3_PNS10_IS15_E10value_typeET4_jRbjT5_S1B_jjP12ihipStream_tbEUljE_EEESW_SX_SY_S15_S19_S1B_T6_T7_T9_mT8_S1D_bDpT10_ENKUlT_T0_E_clISt17integral_constantIbLb1EES1Q_EEDaS1L_S1M_EUlS1L_E_NS1_11comp_targetILNS1_3genE2ELNS1_11target_archE906ELNS1_3gpuE6ELNS1_3repE0EEENS1_30default_config_static_selectorELNS0_4arch9wavefront6targetE1EEEvSZ_
		.amdhsa_group_segment_fixed_size 0
		.amdhsa_private_segment_fixed_size 0
		.amdhsa_kernarg_size 152
		.amdhsa_user_sgpr_count 6
		.amdhsa_user_sgpr_private_segment_buffer 1
		.amdhsa_user_sgpr_dispatch_ptr 0
		.amdhsa_user_sgpr_queue_ptr 0
		.amdhsa_user_sgpr_kernarg_segment_ptr 1
		.amdhsa_user_sgpr_dispatch_id 0
		.amdhsa_user_sgpr_flat_scratch_init 0
		.amdhsa_user_sgpr_kernarg_preload_length 0
		.amdhsa_user_sgpr_kernarg_preload_offset 0
		.amdhsa_user_sgpr_private_segment_size 0
		.amdhsa_uses_dynamic_stack 0
		.amdhsa_system_sgpr_private_segment_wavefront_offset 0
		.amdhsa_system_sgpr_workgroup_id_x 1
		.amdhsa_system_sgpr_workgroup_id_y 0
		.amdhsa_system_sgpr_workgroup_id_z 0
		.amdhsa_system_sgpr_workgroup_info 0
		.amdhsa_system_vgpr_workitem_id 0
		.amdhsa_next_free_vgpr 1
		.amdhsa_next_free_sgpr 0
		.amdhsa_accum_offset 4
		.amdhsa_reserve_vcc 0
		.amdhsa_reserve_flat_scratch 0
		.amdhsa_float_round_mode_32 0
		.amdhsa_float_round_mode_16_64 0
		.amdhsa_float_denorm_mode_32 3
		.amdhsa_float_denorm_mode_16_64 3
		.amdhsa_dx10_clamp 1
		.amdhsa_ieee_mode 1
		.amdhsa_fp16_overflow 0
		.amdhsa_tg_split 0
		.amdhsa_exception_fp_ieee_invalid_op 0
		.amdhsa_exception_fp_denorm_src 0
		.amdhsa_exception_fp_ieee_div_zero 0
		.amdhsa_exception_fp_ieee_overflow 0
		.amdhsa_exception_fp_ieee_underflow 0
		.amdhsa_exception_fp_ieee_inexact 0
		.amdhsa_exception_int_div_zero 0
	.end_amdhsa_kernel
	.section	.text._ZN7rocprim17ROCPRIM_400000_NS6detail17trampoline_kernelINS0_13select_configILj256ELj13ELNS0_17block_load_methodE3ELS4_3ELS4_3ELNS0_20block_scan_algorithmE0ELj4294967295EEENS1_25partition_config_selectorILNS1_17partition_subalgoE3EjNS0_10empty_typeEbEEZZNS1_14partition_implILS8_3ELb0ES6_jNS0_17counting_iteratorIjlEEPS9_SE_NS0_5tupleIJPjSE_EEENSF_IJSE_SE_EEES9_SG_JZNS1_25segmented_radix_sort_implINS0_14default_configELb1EPK6__halfPSL_PKlPlN2at6native12_GLOBAL__N_18offset_tEEE10hipError_tPvRmT1_PNSt15iterator_traitsISZ_E10value_typeET2_T3_PNS10_IS15_E10value_typeET4_jRbjT5_S1B_jjP12ihipStream_tbEUljE_EEESW_SX_SY_S15_S19_S1B_T6_T7_T9_mT8_S1D_bDpT10_ENKUlT_T0_E_clISt17integral_constantIbLb1EES1Q_EEDaS1L_S1M_EUlS1L_E_NS1_11comp_targetILNS1_3genE2ELNS1_11target_archE906ELNS1_3gpuE6ELNS1_3repE0EEENS1_30default_config_static_selectorELNS0_4arch9wavefront6targetE1EEEvSZ_,"axG",@progbits,_ZN7rocprim17ROCPRIM_400000_NS6detail17trampoline_kernelINS0_13select_configILj256ELj13ELNS0_17block_load_methodE3ELS4_3ELS4_3ELNS0_20block_scan_algorithmE0ELj4294967295EEENS1_25partition_config_selectorILNS1_17partition_subalgoE3EjNS0_10empty_typeEbEEZZNS1_14partition_implILS8_3ELb0ES6_jNS0_17counting_iteratorIjlEEPS9_SE_NS0_5tupleIJPjSE_EEENSF_IJSE_SE_EEES9_SG_JZNS1_25segmented_radix_sort_implINS0_14default_configELb1EPK6__halfPSL_PKlPlN2at6native12_GLOBAL__N_18offset_tEEE10hipError_tPvRmT1_PNSt15iterator_traitsISZ_E10value_typeET2_T3_PNS10_IS15_E10value_typeET4_jRbjT5_S1B_jjP12ihipStream_tbEUljE_EEESW_SX_SY_S15_S19_S1B_T6_T7_T9_mT8_S1D_bDpT10_ENKUlT_T0_E_clISt17integral_constantIbLb1EES1Q_EEDaS1L_S1M_EUlS1L_E_NS1_11comp_targetILNS1_3genE2ELNS1_11target_archE906ELNS1_3gpuE6ELNS1_3repE0EEENS1_30default_config_static_selectorELNS0_4arch9wavefront6targetE1EEEvSZ_,comdat
.Lfunc_end1717:
	.size	_ZN7rocprim17ROCPRIM_400000_NS6detail17trampoline_kernelINS0_13select_configILj256ELj13ELNS0_17block_load_methodE3ELS4_3ELS4_3ELNS0_20block_scan_algorithmE0ELj4294967295EEENS1_25partition_config_selectorILNS1_17partition_subalgoE3EjNS0_10empty_typeEbEEZZNS1_14partition_implILS8_3ELb0ES6_jNS0_17counting_iteratorIjlEEPS9_SE_NS0_5tupleIJPjSE_EEENSF_IJSE_SE_EEES9_SG_JZNS1_25segmented_radix_sort_implINS0_14default_configELb1EPK6__halfPSL_PKlPlN2at6native12_GLOBAL__N_18offset_tEEE10hipError_tPvRmT1_PNSt15iterator_traitsISZ_E10value_typeET2_T3_PNS10_IS15_E10value_typeET4_jRbjT5_S1B_jjP12ihipStream_tbEUljE_EEESW_SX_SY_S15_S19_S1B_T6_T7_T9_mT8_S1D_bDpT10_ENKUlT_T0_E_clISt17integral_constantIbLb1EES1Q_EEDaS1L_S1M_EUlS1L_E_NS1_11comp_targetILNS1_3genE2ELNS1_11target_archE906ELNS1_3gpuE6ELNS1_3repE0EEENS1_30default_config_static_selectorELNS0_4arch9wavefront6targetE1EEEvSZ_, .Lfunc_end1717-_ZN7rocprim17ROCPRIM_400000_NS6detail17trampoline_kernelINS0_13select_configILj256ELj13ELNS0_17block_load_methodE3ELS4_3ELS4_3ELNS0_20block_scan_algorithmE0ELj4294967295EEENS1_25partition_config_selectorILNS1_17partition_subalgoE3EjNS0_10empty_typeEbEEZZNS1_14partition_implILS8_3ELb0ES6_jNS0_17counting_iteratorIjlEEPS9_SE_NS0_5tupleIJPjSE_EEENSF_IJSE_SE_EEES9_SG_JZNS1_25segmented_radix_sort_implINS0_14default_configELb1EPK6__halfPSL_PKlPlN2at6native12_GLOBAL__N_18offset_tEEE10hipError_tPvRmT1_PNSt15iterator_traitsISZ_E10value_typeET2_T3_PNS10_IS15_E10value_typeET4_jRbjT5_S1B_jjP12ihipStream_tbEUljE_EEESW_SX_SY_S15_S19_S1B_T6_T7_T9_mT8_S1D_bDpT10_ENKUlT_T0_E_clISt17integral_constantIbLb1EES1Q_EEDaS1L_S1M_EUlS1L_E_NS1_11comp_targetILNS1_3genE2ELNS1_11target_archE906ELNS1_3gpuE6ELNS1_3repE0EEENS1_30default_config_static_selectorELNS0_4arch9wavefront6targetE1EEEvSZ_
                                        ; -- End function
	.section	.AMDGPU.csdata,"",@progbits
; Kernel info:
; codeLenInByte = 0
; NumSgprs: 4
; NumVgprs: 0
; NumAgprs: 0
; TotalNumVgprs: 0
; ScratchSize: 0
; MemoryBound: 0
; FloatMode: 240
; IeeeMode: 1
; LDSByteSize: 0 bytes/workgroup (compile time only)
; SGPRBlocks: 0
; VGPRBlocks: 0
; NumSGPRsForWavesPerEU: 4
; NumVGPRsForWavesPerEU: 1
; AccumOffset: 4
; Occupancy: 8
; WaveLimiterHint : 0
; COMPUTE_PGM_RSRC2:SCRATCH_EN: 0
; COMPUTE_PGM_RSRC2:USER_SGPR: 6
; COMPUTE_PGM_RSRC2:TRAP_HANDLER: 0
; COMPUTE_PGM_RSRC2:TGID_X_EN: 1
; COMPUTE_PGM_RSRC2:TGID_Y_EN: 0
; COMPUTE_PGM_RSRC2:TGID_Z_EN: 0
; COMPUTE_PGM_RSRC2:TIDIG_COMP_CNT: 0
; COMPUTE_PGM_RSRC3_GFX90A:ACCUM_OFFSET: 0
; COMPUTE_PGM_RSRC3_GFX90A:TG_SPLIT: 0
	.section	.text._ZN7rocprim17ROCPRIM_400000_NS6detail17trampoline_kernelINS0_13select_configILj256ELj13ELNS0_17block_load_methodE3ELS4_3ELS4_3ELNS0_20block_scan_algorithmE0ELj4294967295EEENS1_25partition_config_selectorILNS1_17partition_subalgoE3EjNS0_10empty_typeEbEEZZNS1_14partition_implILS8_3ELb0ES6_jNS0_17counting_iteratorIjlEEPS9_SE_NS0_5tupleIJPjSE_EEENSF_IJSE_SE_EEES9_SG_JZNS1_25segmented_radix_sort_implINS0_14default_configELb1EPK6__halfPSL_PKlPlN2at6native12_GLOBAL__N_18offset_tEEE10hipError_tPvRmT1_PNSt15iterator_traitsISZ_E10value_typeET2_T3_PNS10_IS15_E10value_typeET4_jRbjT5_S1B_jjP12ihipStream_tbEUljE_EEESW_SX_SY_S15_S19_S1B_T6_T7_T9_mT8_S1D_bDpT10_ENKUlT_T0_E_clISt17integral_constantIbLb1EES1Q_EEDaS1L_S1M_EUlS1L_E_NS1_11comp_targetILNS1_3genE10ELNS1_11target_archE1200ELNS1_3gpuE4ELNS1_3repE0EEENS1_30default_config_static_selectorELNS0_4arch9wavefront6targetE1EEEvSZ_,"axG",@progbits,_ZN7rocprim17ROCPRIM_400000_NS6detail17trampoline_kernelINS0_13select_configILj256ELj13ELNS0_17block_load_methodE3ELS4_3ELS4_3ELNS0_20block_scan_algorithmE0ELj4294967295EEENS1_25partition_config_selectorILNS1_17partition_subalgoE3EjNS0_10empty_typeEbEEZZNS1_14partition_implILS8_3ELb0ES6_jNS0_17counting_iteratorIjlEEPS9_SE_NS0_5tupleIJPjSE_EEENSF_IJSE_SE_EEES9_SG_JZNS1_25segmented_radix_sort_implINS0_14default_configELb1EPK6__halfPSL_PKlPlN2at6native12_GLOBAL__N_18offset_tEEE10hipError_tPvRmT1_PNSt15iterator_traitsISZ_E10value_typeET2_T3_PNS10_IS15_E10value_typeET4_jRbjT5_S1B_jjP12ihipStream_tbEUljE_EEESW_SX_SY_S15_S19_S1B_T6_T7_T9_mT8_S1D_bDpT10_ENKUlT_T0_E_clISt17integral_constantIbLb1EES1Q_EEDaS1L_S1M_EUlS1L_E_NS1_11comp_targetILNS1_3genE10ELNS1_11target_archE1200ELNS1_3gpuE4ELNS1_3repE0EEENS1_30default_config_static_selectorELNS0_4arch9wavefront6targetE1EEEvSZ_,comdat
	.globl	_ZN7rocprim17ROCPRIM_400000_NS6detail17trampoline_kernelINS0_13select_configILj256ELj13ELNS0_17block_load_methodE3ELS4_3ELS4_3ELNS0_20block_scan_algorithmE0ELj4294967295EEENS1_25partition_config_selectorILNS1_17partition_subalgoE3EjNS0_10empty_typeEbEEZZNS1_14partition_implILS8_3ELb0ES6_jNS0_17counting_iteratorIjlEEPS9_SE_NS0_5tupleIJPjSE_EEENSF_IJSE_SE_EEES9_SG_JZNS1_25segmented_radix_sort_implINS0_14default_configELb1EPK6__halfPSL_PKlPlN2at6native12_GLOBAL__N_18offset_tEEE10hipError_tPvRmT1_PNSt15iterator_traitsISZ_E10value_typeET2_T3_PNS10_IS15_E10value_typeET4_jRbjT5_S1B_jjP12ihipStream_tbEUljE_EEESW_SX_SY_S15_S19_S1B_T6_T7_T9_mT8_S1D_bDpT10_ENKUlT_T0_E_clISt17integral_constantIbLb1EES1Q_EEDaS1L_S1M_EUlS1L_E_NS1_11comp_targetILNS1_3genE10ELNS1_11target_archE1200ELNS1_3gpuE4ELNS1_3repE0EEENS1_30default_config_static_selectorELNS0_4arch9wavefront6targetE1EEEvSZ_ ; -- Begin function _ZN7rocprim17ROCPRIM_400000_NS6detail17trampoline_kernelINS0_13select_configILj256ELj13ELNS0_17block_load_methodE3ELS4_3ELS4_3ELNS0_20block_scan_algorithmE0ELj4294967295EEENS1_25partition_config_selectorILNS1_17partition_subalgoE3EjNS0_10empty_typeEbEEZZNS1_14partition_implILS8_3ELb0ES6_jNS0_17counting_iteratorIjlEEPS9_SE_NS0_5tupleIJPjSE_EEENSF_IJSE_SE_EEES9_SG_JZNS1_25segmented_radix_sort_implINS0_14default_configELb1EPK6__halfPSL_PKlPlN2at6native12_GLOBAL__N_18offset_tEEE10hipError_tPvRmT1_PNSt15iterator_traitsISZ_E10value_typeET2_T3_PNS10_IS15_E10value_typeET4_jRbjT5_S1B_jjP12ihipStream_tbEUljE_EEESW_SX_SY_S15_S19_S1B_T6_T7_T9_mT8_S1D_bDpT10_ENKUlT_T0_E_clISt17integral_constantIbLb1EES1Q_EEDaS1L_S1M_EUlS1L_E_NS1_11comp_targetILNS1_3genE10ELNS1_11target_archE1200ELNS1_3gpuE4ELNS1_3repE0EEENS1_30default_config_static_selectorELNS0_4arch9wavefront6targetE1EEEvSZ_
	.p2align	8
	.type	_ZN7rocprim17ROCPRIM_400000_NS6detail17trampoline_kernelINS0_13select_configILj256ELj13ELNS0_17block_load_methodE3ELS4_3ELS4_3ELNS0_20block_scan_algorithmE0ELj4294967295EEENS1_25partition_config_selectorILNS1_17partition_subalgoE3EjNS0_10empty_typeEbEEZZNS1_14partition_implILS8_3ELb0ES6_jNS0_17counting_iteratorIjlEEPS9_SE_NS0_5tupleIJPjSE_EEENSF_IJSE_SE_EEES9_SG_JZNS1_25segmented_radix_sort_implINS0_14default_configELb1EPK6__halfPSL_PKlPlN2at6native12_GLOBAL__N_18offset_tEEE10hipError_tPvRmT1_PNSt15iterator_traitsISZ_E10value_typeET2_T3_PNS10_IS15_E10value_typeET4_jRbjT5_S1B_jjP12ihipStream_tbEUljE_EEESW_SX_SY_S15_S19_S1B_T6_T7_T9_mT8_S1D_bDpT10_ENKUlT_T0_E_clISt17integral_constantIbLb1EES1Q_EEDaS1L_S1M_EUlS1L_E_NS1_11comp_targetILNS1_3genE10ELNS1_11target_archE1200ELNS1_3gpuE4ELNS1_3repE0EEENS1_30default_config_static_selectorELNS0_4arch9wavefront6targetE1EEEvSZ_,@function
_ZN7rocprim17ROCPRIM_400000_NS6detail17trampoline_kernelINS0_13select_configILj256ELj13ELNS0_17block_load_methodE3ELS4_3ELS4_3ELNS0_20block_scan_algorithmE0ELj4294967295EEENS1_25partition_config_selectorILNS1_17partition_subalgoE3EjNS0_10empty_typeEbEEZZNS1_14partition_implILS8_3ELb0ES6_jNS0_17counting_iteratorIjlEEPS9_SE_NS0_5tupleIJPjSE_EEENSF_IJSE_SE_EEES9_SG_JZNS1_25segmented_radix_sort_implINS0_14default_configELb1EPK6__halfPSL_PKlPlN2at6native12_GLOBAL__N_18offset_tEEE10hipError_tPvRmT1_PNSt15iterator_traitsISZ_E10value_typeET2_T3_PNS10_IS15_E10value_typeET4_jRbjT5_S1B_jjP12ihipStream_tbEUljE_EEESW_SX_SY_S15_S19_S1B_T6_T7_T9_mT8_S1D_bDpT10_ENKUlT_T0_E_clISt17integral_constantIbLb1EES1Q_EEDaS1L_S1M_EUlS1L_E_NS1_11comp_targetILNS1_3genE10ELNS1_11target_archE1200ELNS1_3gpuE4ELNS1_3repE0EEENS1_30default_config_static_selectorELNS0_4arch9wavefront6targetE1EEEvSZ_: ; @_ZN7rocprim17ROCPRIM_400000_NS6detail17trampoline_kernelINS0_13select_configILj256ELj13ELNS0_17block_load_methodE3ELS4_3ELS4_3ELNS0_20block_scan_algorithmE0ELj4294967295EEENS1_25partition_config_selectorILNS1_17partition_subalgoE3EjNS0_10empty_typeEbEEZZNS1_14partition_implILS8_3ELb0ES6_jNS0_17counting_iteratorIjlEEPS9_SE_NS0_5tupleIJPjSE_EEENSF_IJSE_SE_EEES9_SG_JZNS1_25segmented_radix_sort_implINS0_14default_configELb1EPK6__halfPSL_PKlPlN2at6native12_GLOBAL__N_18offset_tEEE10hipError_tPvRmT1_PNSt15iterator_traitsISZ_E10value_typeET2_T3_PNS10_IS15_E10value_typeET4_jRbjT5_S1B_jjP12ihipStream_tbEUljE_EEESW_SX_SY_S15_S19_S1B_T6_T7_T9_mT8_S1D_bDpT10_ENKUlT_T0_E_clISt17integral_constantIbLb1EES1Q_EEDaS1L_S1M_EUlS1L_E_NS1_11comp_targetILNS1_3genE10ELNS1_11target_archE1200ELNS1_3gpuE4ELNS1_3repE0EEENS1_30default_config_static_selectorELNS0_4arch9wavefront6targetE1EEEvSZ_
; %bb.0:
	.section	.rodata,"a",@progbits
	.p2align	6, 0x0
	.amdhsa_kernel _ZN7rocprim17ROCPRIM_400000_NS6detail17trampoline_kernelINS0_13select_configILj256ELj13ELNS0_17block_load_methodE3ELS4_3ELS4_3ELNS0_20block_scan_algorithmE0ELj4294967295EEENS1_25partition_config_selectorILNS1_17partition_subalgoE3EjNS0_10empty_typeEbEEZZNS1_14partition_implILS8_3ELb0ES6_jNS0_17counting_iteratorIjlEEPS9_SE_NS0_5tupleIJPjSE_EEENSF_IJSE_SE_EEES9_SG_JZNS1_25segmented_radix_sort_implINS0_14default_configELb1EPK6__halfPSL_PKlPlN2at6native12_GLOBAL__N_18offset_tEEE10hipError_tPvRmT1_PNSt15iterator_traitsISZ_E10value_typeET2_T3_PNS10_IS15_E10value_typeET4_jRbjT5_S1B_jjP12ihipStream_tbEUljE_EEESW_SX_SY_S15_S19_S1B_T6_T7_T9_mT8_S1D_bDpT10_ENKUlT_T0_E_clISt17integral_constantIbLb1EES1Q_EEDaS1L_S1M_EUlS1L_E_NS1_11comp_targetILNS1_3genE10ELNS1_11target_archE1200ELNS1_3gpuE4ELNS1_3repE0EEENS1_30default_config_static_selectorELNS0_4arch9wavefront6targetE1EEEvSZ_
		.amdhsa_group_segment_fixed_size 0
		.amdhsa_private_segment_fixed_size 0
		.amdhsa_kernarg_size 152
		.amdhsa_user_sgpr_count 6
		.amdhsa_user_sgpr_private_segment_buffer 1
		.amdhsa_user_sgpr_dispatch_ptr 0
		.amdhsa_user_sgpr_queue_ptr 0
		.amdhsa_user_sgpr_kernarg_segment_ptr 1
		.amdhsa_user_sgpr_dispatch_id 0
		.amdhsa_user_sgpr_flat_scratch_init 0
		.amdhsa_user_sgpr_kernarg_preload_length 0
		.amdhsa_user_sgpr_kernarg_preload_offset 0
		.amdhsa_user_sgpr_private_segment_size 0
		.amdhsa_uses_dynamic_stack 0
		.amdhsa_system_sgpr_private_segment_wavefront_offset 0
		.amdhsa_system_sgpr_workgroup_id_x 1
		.amdhsa_system_sgpr_workgroup_id_y 0
		.amdhsa_system_sgpr_workgroup_id_z 0
		.amdhsa_system_sgpr_workgroup_info 0
		.amdhsa_system_vgpr_workitem_id 0
		.amdhsa_next_free_vgpr 1
		.amdhsa_next_free_sgpr 0
		.amdhsa_accum_offset 4
		.amdhsa_reserve_vcc 0
		.amdhsa_reserve_flat_scratch 0
		.amdhsa_float_round_mode_32 0
		.amdhsa_float_round_mode_16_64 0
		.amdhsa_float_denorm_mode_32 3
		.amdhsa_float_denorm_mode_16_64 3
		.amdhsa_dx10_clamp 1
		.amdhsa_ieee_mode 1
		.amdhsa_fp16_overflow 0
		.amdhsa_tg_split 0
		.amdhsa_exception_fp_ieee_invalid_op 0
		.amdhsa_exception_fp_denorm_src 0
		.amdhsa_exception_fp_ieee_div_zero 0
		.amdhsa_exception_fp_ieee_overflow 0
		.amdhsa_exception_fp_ieee_underflow 0
		.amdhsa_exception_fp_ieee_inexact 0
		.amdhsa_exception_int_div_zero 0
	.end_amdhsa_kernel
	.section	.text._ZN7rocprim17ROCPRIM_400000_NS6detail17trampoline_kernelINS0_13select_configILj256ELj13ELNS0_17block_load_methodE3ELS4_3ELS4_3ELNS0_20block_scan_algorithmE0ELj4294967295EEENS1_25partition_config_selectorILNS1_17partition_subalgoE3EjNS0_10empty_typeEbEEZZNS1_14partition_implILS8_3ELb0ES6_jNS0_17counting_iteratorIjlEEPS9_SE_NS0_5tupleIJPjSE_EEENSF_IJSE_SE_EEES9_SG_JZNS1_25segmented_radix_sort_implINS0_14default_configELb1EPK6__halfPSL_PKlPlN2at6native12_GLOBAL__N_18offset_tEEE10hipError_tPvRmT1_PNSt15iterator_traitsISZ_E10value_typeET2_T3_PNS10_IS15_E10value_typeET4_jRbjT5_S1B_jjP12ihipStream_tbEUljE_EEESW_SX_SY_S15_S19_S1B_T6_T7_T9_mT8_S1D_bDpT10_ENKUlT_T0_E_clISt17integral_constantIbLb1EES1Q_EEDaS1L_S1M_EUlS1L_E_NS1_11comp_targetILNS1_3genE10ELNS1_11target_archE1200ELNS1_3gpuE4ELNS1_3repE0EEENS1_30default_config_static_selectorELNS0_4arch9wavefront6targetE1EEEvSZ_,"axG",@progbits,_ZN7rocprim17ROCPRIM_400000_NS6detail17trampoline_kernelINS0_13select_configILj256ELj13ELNS0_17block_load_methodE3ELS4_3ELS4_3ELNS0_20block_scan_algorithmE0ELj4294967295EEENS1_25partition_config_selectorILNS1_17partition_subalgoE3EjNS0_10empty_typeEbEEZZNS1_14partition_implILS8_3ELb0ES6_jNS0_17counting_iteratorIjlEEPS9_SE_NS0_5tupleIJPjSE_EEENSF_IJSE_SE_EEES9_SG_JZNS1_25segmented_radix_sort_implINS0_14default_configELb1EPK6__halfPSL_PKlPlN2at6native12_GLOBAL__N_18offset_tEEE10hipError_tPvRmT1_PNSt15iterator_traitsISZ_E10value_typeET2_T3_PNS10_IS15_E10value_typeET4_jRbjT5_S1B_jjP12ihipStream_tbEUljE_EEESW_SX_SY_S15_S19_S1B_T6_T7_T9_mT8_S1D_bDpT10_ENKUlT_T0_E_clISt17integral_constantIbLb1EES1Q_EEDaS1L_S1M_EUlS1L_E_NS1_11comp_targetILNS1_3genE10ELNS1_11target_archE1200ELNS1_3gpuE4ELNS1_3repE0EEENS1_30default_config_static_selectorELNS0_4arch9wavefront6targetE1EEEvSZ_,comdat
.Lfunc_end1718:
	.size	_ZN7rocprim17ROCPRIM_400000_NS6detail17trampoline_kernelINS0_13select_configILj256ELj13ELNS0_17block_load_methodE3ELS4_3ELS4_3ELNS0_20block_scan_algorithmE0ELj4294967295EEENS1_25partition_config_selectorILNS1_17partition_subalgoE3EjNS0_10empty_typeEbEEZZNS1_14partition_implILS8_3ELb0ES6_jNS0_17counting_iteratorIjlEEPS9_SE_NS0_5tupleIJPjSE_EEENSF_IJSE_SE_EEES9_SG_JZNS1_25segmented_radix_sort_implINS0_14default_configELb1EPK6__halfPSL_PKlPlN2at6native12_GLOBAL__N_18offset_tEEE10hipError_tPvRmT1_PNSt15iterator_traitsISZ_E10value_typeET2_T3_PNS10_IS15_E10value_typeET4_jRbjT5_S1B_jjP12ihipStream_tbEUljE_EEESW_SX_SY_S15_S19_S1B_T6_T7_T9_mT8_S1D_bDpT10_ENKUlT_T0_E_clISt17integral_constantIbLb1EES1Q_EEDaS1L_S1M_EUlS1L_E_NS1_11comp_targetILNS1_3genE10ELNS1_11target_archE1200ELNS1_3gpuE4ELNS1_3repE0EEENS1_30default_config_static_selectorELNS0_4arch9wavefront6targetE1EEEvSZ_, .Lfunc_end1718-_ZN7rocprim17ROCPRIM_400000_NS6detail17trampoline_kernelINS0_13select_configILj256ELj13ELNS0_17block_load_methodE3ELS4_3ELS4_3ELNS0_20block_scan_algorithmE0ELj4294967295EEENS1_25partition_config_selectorILNS1_17partition_subalgoE3EjNS0_10empty_typeEbEEZZNS1_14partition_implILS8_3ELb0ES6_jNS0_17counting_iteratorIjlEEPS9_SE_NS0_5tupleIJPjSE_EEENSF_IJSE_SE_EEES9_SG_JZNS1_25segmented_radix_sort_implINS0_14default_configELb1EPK6__halfPSL_PKlPlN2at6native12_GLOBAL__N_18offset_tEEE10hipError_tPvRmT1_PNSt15iterator_traitsISZ_E10value_typeET2_T3_PNS10_IS15_E10value_typeET4_jRbjT5_S1B_jjP12ihipStream_tbEUljE_EEESW_SX_SY_S15_S19_S1B_T6_T7_T9_mT8_S1D_bDpT10_ENKUlT_T0_E_clISt17integral_constantIbLb1EES1Q_EEDaS1L_S1M_EUlS1L_E_NS1_11comp_targetILNS1_3genE10ELNS1_11target_archE1200ELNS1_3gpuE4ELNS1_3repE0EEENS1_30default_config_static_selectorELNS0_4arch9wavefront6targetE1EEEvSZ_
                                        ; -- End function
	.section	.AMDGPU.csdata,"",@progbits
; Kernel info:
; codeLenInByte = 0
; NumSgprs: 4
; NumVgprs: 0
; NumAgprs: 0
; TotalNumVgprs: 0
; ScratchSize: 0
; MemoryBound: 0
; FloatMode: 240
; IeeeMode: 1
; LDSByteSize: 0 bytes/workgroup (compile time only)
; SGPRBlocks: 0
; VGPRBlocks: 0
; NumSGPRsForWavesPerEU: 4
; NumVGPRsForWavesPerEU: 1
; AccumOffset: 4
; Occupancy: 8
; WaveLimiterHint : 0
; COMPUTE_PGM_RSRC2:SCRATCH_EN: 0
; COMPUTE_PGM_RSRC2:USER_SGPR: 6
; COMPUTE_PGM_RSRC2:TRAP_HANDLER: 0
; COMPUTE_PGM_RSRC2:TGID_X_EN: 1
; COMPUTE_PGM_RSRC2:TGID_Y_EN: 0
; COMPUTE_PGM_RSRC2:TGID_Z_EN: 0
; COMPUTE_PGM_RSRC2:TIDIG_COMP_CNT: 0
; COMPUTE_PGM_RSRC3_GFX90A:ACCUM_OFFSET: 0
; COMPUTE_PGM_RSRC3_GFX90A:TG_SPLIT: 0
	.section	.text._ZN7rocprim17ROCPRIM_400000_NS6detail17trampoline_kernelINS0_13select_configILj256ELj13ELNS0_17block_load_methodE3ELS4_3ELS4_3ELNS0_20block_scan_algorithmE0ELj4294967295EEENS1_25partition_config_selectorILNS1_17partition_subalgoE3EjNS0_10empty_typeEbEEZZNS1_14partition_implILS8_3ELb0ES6_jNS0_17counting_iteratorIjlEEPS9_SE_NS0_5tupleIJPjSE_EEENSF_IJSE_SE_EEES9_SG_JZNS1_25segmented_radix_sort_implINS0_14default_configELb1EPK6__halfPSL_PKlPlN2at6native12_GLOBAL__N_18offset_tEEE10hipError_tPvRmT1_PNSt15iterator_traitsISZ_E10value_typeET2_T3_PNS10_IS15_E10value_typeET4_jRbjT5_S1B_jjP12ihipStream_tbEUljE_EEESW_SX_SY_S15_S19_S1B_T6_T7_T9_mT8_S1D_bDpT10_ENKUlT_T0_E_clISt17integral_constantIbLb1EES1Q_EEDaS1L_S1M_EUlS1L_E_NS1_11comp_targetILNS1_3genE9ELNS1_11target_archE1100ELNS1_3gpuE3ELNS1_3repE0EEENS1_30default_config_static_selectorELNS0_4arch9wavefront6targetE1EEEvSZ_,"axG",@progbits,_ZN7rocprim17ROCPRIM_400000_NS6detail17trampoline_kernelINS0_13select_configILj256ELj13ELNS0_17block_load_methodE3ELS4_3ELS4_3ELNS0_20block_scan_algorithmE0ELj4294967295EEENS1_25partition_config_selectorILNS1_17partition_subalgoE3EjNS0_10empty_typeEbEEZZNS1_14partition_implILS8_3ELb0ES6_jNS0_17counting_iteratorIjlEEPS9_SE_NS0_5tupleIJPjSE_EEENSF_IJSE_SE_EEES9_SG_JZNS1_25segmented_radix_sort_implINS0_14default_configELb1EPK6__halfPSL_PKlPlN2at6native12_GLOBAL__N_18offset_tEEE10hipError_tPvRmT1_PNSt15iterator_traitsISZ_E10value_typeET2_T3_PNS10_IS15_E10value_typeET4_jRbjT5_S1B_jjP12ihipStream_tbEUljE_EEESW_SX_SY_S15_S19_S1B_T6_T7_T9_mT8_S1D_bDpT10_ENKUlT_T0_E_clISt17integral_constantIbLb1EES1Q_EEDaS1L_S1M_EUlS1L_E_NS1_11comp_targetILNS1_3genE9ELNS1_11target_archE1100ELNS1_3gpuE3ELNS1_3repE0EEENS1_30default_config_static_selectorELNS0_4arch9wavefront6targetE1EEEvSZ_,comdat
	.globl	_ZN7rocprim17ROCPRIM_400000_NS6detail17trampoline_kernelINS0_13select_configILj256ELj13ELNS0_17block_load_methodE3ELS4_3ELS4_3ELNS0_20block_scan_algorithmE0ELj4294967295EEENS1_25partition_config_selectorILNS1_17partition_subalgoE3EjNS0_10empty_typeEbEEZZNS1_14partition_implILS8_3ELb0ES6_jNS0_17counting_iteratorIjlEEPS9_SE_NS0_5tupleIJPjSE_EEENSF_IJSE_SE_EEES9_SG_JZNS1_25segmented_radix_sort_implINS0_14default_configELb1EPK6__halfPSL_PKlPlN2at6native12_GLOBAL__N_18offset_tEEE10hipError_tPvRmT1_PNSt15iterator_traitsISZ_E10value_typeET2_T3_PNS10_IS15_E10value_typeET4_jRbjT5_S1B_jjP12ihipStream_tbEUljE_EEESW_SX_SY_S15_S19_S1B_T6_T7_T9_mT8_S1D_bDpT10_ENKUlT_T0_E_clISt17integral_constantIbLb1EES1Q_EEDaS1L_S1M_EUlS1L_E_NS1_11comp_targetILNS1_3genE9ELNS1_11target_archE1100ELNS1_3gpuE3ELNS1_3repE0EEENS1_30default_config_static_selectorELNS0_4arch9wavefront6targetE1EEEvSZ_ ; -- Begin function _ZN7rocprim17ROCPRIM_400000_NS6detail17trampoline_kernelINS0_13select_configILj256ELj13ELNS0_17block_load_methodE3ELS4_3ELS4_3ELNS0_20block_scan_algorithmE0ELj4294967295EEENS1_25partition_config_selectorILNS1_17partition_subalgoE3EjNS0_10empty_typeEbEEZZNS1_14partition_implILS8_3ELb0ES6_jNS0_17counting_iteratorIjlEEPS9_SE_NS0_5tupleIJPjSE_EEENSF_IJSE_SE_EEES9_SG_JZNS1_25segmented_radix_sort_implINS0_14default_configELb1EPK6__halfPSL_PKlPlN2at6native12_GLOBAL__N_18offset_tEEE10hipError_tPvRmT1_PNSt15iterator_traitsISZ_E10value_typeET2_T3_PNS10_IS15_E10value_typeET4_jRbjT5_S1B_jjP12ihipStream_tbEUljE_EEESW_SX_SY_S15_S19_S1B_T6_T7_T9_mT8_S1D_bDpT10_ENKUlT_T0_E_clISt17integral_constantIbLb1EES1Q_EEDaS1L_S1M_EUlS1L_E_NS1_11comp_targetILNS1_3genE9ELNS1_11target_archE1100ELNS1_3gpuE3ELNS1_3repE0EEENS1_30default_config_static_selectorELNS0_4arch9wavefront6targetE1EEEvSZ_
	.p2align	8
	.type	_ZN7rocprim17ROCPRIM_400000_NS6detail17trampoline_kernelINS0_13select_configILj256ELj13ELNS0_17block_load_methodE3ELS4_3ELS4_3ELNS0_20block_scan_algorithmE0ELj4294967295EEENS1_25partition_config_selectorILNS1_17partition_subalgoE3EjNS0_10empty_typeEbEEZZNS1_14partition_implILS8_3ELb0ES6_jNS0_17counting_iteratorIjlEEPS9_SE_NS0_5tupleIJPjSE_EEENSF_IJSE_SE_EEES9_SG_JZNS1_25segmented_radix_sort_implINS0_14default_configELb1EPK6__halfPSL_PKlPlN2at6native12_GLOBAL__N_18offset_tEEE10hipError_tPvRmT1_PNSt15iterator_traitsISZ_E10value_typeET2_T3_PNS10_IS15_E10value_typeET4_jRbjT5_S1B_jjP12ihipStream_tbEUljE_EEESW_SX_SY_S15_S19_S1B_T6_T7_T9_mT8_S1D_bDpT10_ENKUlT_T0_E_clISt17integral_constantIbLb1EES1Q_EEDaS1L_S1M_EUlS1L_E_NS1_11comp_targetILNS1_3genE9ELNS1_11target_archE1100ELNS1_3gpuE3ELNS1_3repE0EEENS1_30default_config_static_selectorELNS0_4arch9wavefront6targetE1EEEvSZ_,@function
_ZN7rocprim17ROCPRIM_400000_NS6detail17trampoline_kernelINS0_13select_configILj256ELj13ELNS0_17block_load_methodE3ELS4_3ELS4_3ELNS0_20block_scan_algorithmE0ELj4294967295EEENS1_25partition_config_selectorILNS1_17partition_subalgoE3EjNS0_10empty_typeEbEEZZNS1_14partition_implILS8_3ELb0ES6_jNS0_17counting_iteratorIjlEEPS9_SE_NS0_5tupleIJPjSE_EEENSF_IJSE_SE_EEES9_SG_JZNS1_25segmented_radix_sort_implINS0_14default_configELb1EPK6__halfPSL_PKlPlN2at6native12_GLOBAL__N_18offset_tEEE10hipError_tPvRmT1_PNSt15iterator_traitsISZ_E10value_typeET2_T3_PNS10_IS15_E10value_typeET4_jRbjT5_S1B_jjP12ihipStream_tbEUljE_EEESW_SX_SY_S15_S19_S1B_T6_T7_T9_mT8_S1D_bDpT10_ENKUlT_T0_E_clISt17integral_constantIbLb1EES1Q_EEDaS1L_S1M_EUlS1L_E_NS1_11comp_targetILNS1_3genE9ELNS1_11target_archE1100ELNS1_3gpuE3ELNS1_3repE0EEENS1_30default_config_static_selectorELNS0_4arch9wavefront6targetE1EEEvSZ_: ; @_ZN7rocprim17ROCPRIM_400000_NS6detail17trampoline_kernelINS0_13select_configILj256ELj13ELNS0_17block_load_methodE3ELS4_3ELS4_3ELNS0_20block_scan_algorithmE0ELj4294967295EEENS1_25partition_config_selectorILNS1_17partition_subalgoE3EjNS0_10empty_typeEbEEZZNS1_14partition_implILS8_3ELb0ES6_jNS0_17counting_iteratorIjlEEPS9_SE_NS0_5tupleIJPjSE_EEENSF_IJSE_SE_EEES9_SG_JZNS1_25segmented_radix_sort_implINS0_14default_configELb1EPK6__halfPSL_PKlPlN2at6native12_GLOBAL__N_18offset_tEEE10hipError_tPvRmT1_PNSt15iterator_traitsISZ_E10value_typeET2_T3_PNS10_IS15_E10value_typeET4_jRbjT5_S1B_jjP12ihipStream_tbEUljE_EEESW_SX_SY_S15_S19_S1B_T6_T7_T9_mT8_S1D_bDpT10_ENKUlT_T0_E_clISt17integral_constantIbLb1EES1Q_EEDaS1L_S1M_EUlS1L_E_NS1_11comp_targetILNS1_3genE9ELNS1_11target_archE1100ELNS1_3gpuE3ELNS1_3repE0EEENS1_30default_config_static_selectorELNS0_4arch9wavefront6targetE1EEEvSZ_
; %bb.0:
	.section	.rodata,"a",@progbits
	.p2align	6, 0x0
	.amdhsa_kernel _ZN7rocprim17ROCPRIM_400000_NS6detail17trampoline_kernelINS0_13select_configILj256ELj13ELNS0_17block_load_methodE3ELS4_3ELS4_3ELNS0_20block_scan_algorithmE0ELj4294967295EEENS1_25partition_config_selectorILNS1_17partition_subalgoE3EjNS0_10empty_typeEbEEZZNS1_14partition_implILS8_3ELb0ES6_jNS0_17counting_iteratorIjlEEPS9_SE_NS0_5tupleIJPjSE_EEENSF_IJSE_SE_EEES9_SG_JZNS1_25segmented_radix_sort_implINS0_14default_configELb1EPK6__halfPSL_PKlPlN2at6native12_GLOBAL__N_18offset_tEEE10hipError_tPvRmT1_PNSt15iterator_traitsISZ_E10value_typeET2_T3_PNS10_IS15_E10value_typeET4_jRbjT5_S1B_jjP12ihipStream_tbEUljE_EEESW_SX_SY_S15_S19_S1B_T6_T7_T9_mT8_S1D_bDpT10_ENKUlT_T0_E_clISt17integral_constantIbLb1EES1Q_EEDaS1L_S1M_EUlS1L_E_NS1_11comp_targetILNS1_3genE9ELNS1_11target_archE1100ELNS1_3gpuE3ELNS1_3repE0EEENS1_30default_config_static_selectorELNS0_4arch9wavefront6targetE1EEEvSZ_
		.amdhsa_group_segment_fixed_size 0
		.amdhsa_private_segment_fixed_size 0
		.amdhsa_kernarg_size 152
		.amdhsa_user_sgpr_count 6
		.amdhsa_user_sgpr_private_segment_buffer 1
		.amdhsa_user_sgpr_dispatch_ptr 0
		.amdhsa_user_sgpr_queue_ptr 0
		.amdhsa_user_sgpr_kernarg_segment_ptr 1
		.amdhsa_user_sgpr_dispatch_id 0
		.amdhsa_user_sgpr_flat_scratch_init 0
		.amdhsa_user_sgpr_kernarg_preload_length 0
		.amdhsa_user_sgpr_kernarg_preload_offset 0
		.amdhsa_user_sgpr_private_segment_size 0
		.amdhsa_uses_dynamic_stack 0
		.amdhsa_system_sgpr_private_segment_wavefront_offset 0
		.amdhsa_system_sgpr_workgroup_id_x 1
		.amdhsa_system_sgpr_workgroup_id_y 0
		.amdhsa_system_sgpr_workgroup_id_z 0
		.amdhsa_system_sgpr_workgroup_info 0
		.amdhsa_system_vgpr_workitem_id 0
		.amdhsa_next_free_vgpr 1
		.amdhsa_next_free_sgpr 0
		.amdhsa_accum_offset 4
		.amdhsa_reserve_vcc 0
		.amdhsa_reserve_flat_scratch 0
		.amdhsa_float_round_mode_32 0
		.amdhsa_float_round_mode_16_64 0
		.amdhsa_float_denorm_mode_32 3
		.amdhsa_float_denorm_mode_16_64 3
		.amdhsa_dx10_clamp 1
		.amdhsa_ieee_mode 1
		.amdhsa_fp16_overflow 0
		.amdhsa_tg_split 0
		.amdhsa_exception_fp_ieee_invalid_op 0
		.amdhsa_exception_fp_denorm_src 0
		.amdhsa_exception_fp_ieee_div_zero 0
		.amdhsa_exception_fp_ieee_overflow 0
		.amdhsa_exception_fp_ieee_underflow 0
		.amdhsa_exception_fp_ieee_inexact 0
		.amdhsa_exception_int_div_zero 0
	.end_amdhsa_kernel
	.section	.text._ZN7rocprim17ROCPRIM_400000_NS6detail17trampoline_kernelINS0_13select_configILj256ELj13ELNS0_17block_load_methodE3ELS4_3ELS4_3ELNS0_20block_scan_algorithmE0ELj4294967295EEENS1_25partition_config_selectorILNS1_17partition_subalgoE3EjNS0_10empty_typeEbEEZZNS1_14partition_implILS8_3ELb0ES6_jNS0_17counting_iteratorIjlEEPS9_SE_NS0_5tupleIJPjSE_EEENSF_IJSE_SE_EEES9_SG_JZNS1_25segmented_radix_sort_implINS0_14default_configELb1EPK6__halfPSL_PKlPlN2at6native12_GLOBAL__N_18offset_tEEE10hipError_tPvRmT1_PNSt15iterator_traitsISZ_E10value_typeET2_T3_PNS10_IS15_E10value_typeET4_jRbjT5_S1B_jjP12ihipStream_tbEUljE_EEESW_SX_SY_S15_S19_S1B_T6_T7_T9_mT8_S1D_bDpT10_ENKUlT_T0_E_clISt17integral_constantIbLb1EES1Q_EEDaS1L_S1M_EUlS1L_E_NS1_11comp_targetILNS1_3genE9ELNS1_11target_archE1100ELNS1_3gpuE3ELNS1_3repE0EEENS1_30default_config_static_selectorELNS0_4arch9wavefront6targetE1EEEvSZ_,"axG",@progbits,_ZN7rocprim17ROCPRIM_400000_NS6detail17trampoline_kernelINS0_13select_configILj256ELj13ELNS0_17block_load_methodE3ELS4_3ELS4_3ELNS0_20block_scan_algorithmE0ELj4294967295EEENS1_25partition_config_selectorILNS1_17partition_subalgoE3EjNS0_10empty_typeEbEEZZNS1_14partition_implILS8_3ELb0ES6_jNS0_17counting_iteratorIjlEEPS9_SE_NS0_5tupleIJPjSE_EEENSF_IJSE_SE_EEES9_SG_JZNS1_25segmented_radix_sort_implINS0_14default_configELb1EPK6__halfPSL_PKlPlN2at6native12_GLOBAL__N_18offset_tEEE10hipError_tPvRmT1_PNSt15iterator_traitsISZ_E10value_typeET2_T3_PNS10_IS15_E10value_typeET4_jRbjT5_S1B_jjP12ihipStream_tbEUljE_EEESW_SX_SY_S15_S19_S1B_T6_T7_T9_mT8_S1D_bDpT10_ENKUlT_T0_E_clISt17integral_constantIbLb1EES1Q_EEDaS1L_S1M_EUlS1L_E_NS1_11comp_targetILNS1_3genE9ELNS1_11target_archE1100ELNS1_3gpuE3ELNS1_3repE0EEENS1_30default_config_static_selectorELNS0_4arch9wavefront6targetE1EEEvSZ_,comdat
.Lfunc_end1719:
	.size	_ZN7rocprim17ROCPRIM_400000_NS6detail17trampoline_kernelINS0_13select_configILj256ELj13ELNS0_17block_load_methodE3ELS4_3ELS4_3ELNS0_20block_scan_algorithmE0ELj4294967295EEENS1_25partition_config_selectorILNS1_17partition_subalgoE3EjNS0_10empty_typeEbEEZZNS1_14partition_implILS8_3ELb0ES6_jNS0_17counting_iteratorIjlEEPS9_SE_NS0_5tupleIJPjSE_EEENSF_IJSE_SE_EEES9_SG_JZNS1_25segmented_radix_sort_implINS0_14default_configELb1EPK6__halfPSL_PKlPlN2at6native12_GLOBAL__N_18offset_tEEE10hipError_tPvRmT1_PNSt15iterator_traitsISZ_E10value_typeET2_T3_PNS10_IS15_E10value_typeET4_jRbjT5_S1B_jjP12ihipStream_tbEUljE_EEESW_SX_SY_S15_S19_S1B_T6_T7_T9_mT8_S1D_bDpT10_ENKUlT_T0_E_clISt17integral_constantIbLb1EES1Q_EEDaS1L_S1M_EUlS1L_E_NS1_11comp_targetILNS1_3genE9ELNS1_11target_archE1100ELNS1_3gpuE3ELNS1_3repE0EEENS1_30default_config_static_selectorELNS0_4arch9wavefront6targetE1EEEvSZ_, .Lfunc_end1719-_ZN7rocprim17ROCPRIM_400000_NS6detail17trampoline_kernelINS0_13select_configILj256ELj13ELNS0_17block_load_methodE3ELS4_3ELS4_3ELNS0_20block_scan_algorithmE0ELj4294967295EEENS1_25partition_config_selectorILNS1_17partition_subalgoE3EjNS0_10empty_typeEbEEZZNS1_14partition_implILS8_3ELb0ES6_jNS0_17counting_iteratorIjlEEPS9_SE_NS0_5tupleIJPjSE_EEENSF_IJSE_SE_EEES9_SG_JZNS1_25segmented_radix_sort_implINS0_14default_configELb1EPK6__halfPSL_PKlPlN2at6native12_GLOBAL__N_18offset_tEEE10hipError_tPvRmT1_PNSt15iterator_traitsISZ_E10value_typeET2_T3_PNS10_IS15_E10value_typeET4_jRbjT5_S1B_jjP12ihipStream_tbEUljE_EEESW_SX_SY_S15_S19_S1B_T6_T7_T9_mT8_S1D_bDpT10_ENKUlT_T0_E_clISt17integral_constantIbLb1EES1Q_EEDaS1L_S1M_EUlS1L_E_NS1_11comp_targetILNS1_3genE9ELNS1_11target_archE1100ELNS1_3gpuE3ELNS1_3repE0EEENS1_30default_config_static_selectorELNS0_4arch9wavefront6targetE1EEEvSZ_
                                        ; -- End function
	.section	.AMDGPU.csdata,"",@progbits
; Kernel info:
; codeLenInByte = 0
; NumSgprs: 4
; NumVgprs: 0
; NumAgprs: 0
; TotalNumVgprs: 0
; ScratchSize: 0
; MemoryBound: 0
; FloatMode: 240
; IeeeMode: 1
; LDSByteSize: 0 bytes/workgroup (compile time only)
; SGPRBlocks: 0
; VGPRBlocks: 0
; NumSGPRsForWavesPerEU: 4
; NumVGPRsForWavesPerEU: 1
; AccumOffset: 4
; Occupancy: 8
; WaveLimiterHint : 0
; COMPUTE_PGM_RSRC2:SCRATCH_EN: 0
; COMPUTE_PGM_RSRC2:USER_SGPR: 6
; COMPUTE_PGM_RSRC2:TRAP_HANDLER: 0
; COMPUTE_PGM_RSRC2:TGID_X_EN: 1
; COMPUTE_PGM_RSRC2:TGID_Y_EN: 0
; COMPUTE_PGM_RSRC2:TGID_Z_EN: 0
; COMPUTE_PGM_RSRC2:TIDIG_COMP_CNT: 0
; COMPUTE_PGM_RSRC3_GFX90A:ACCUM_OFFSET: 0
; COMPUTE_PGM_RSRC3_GFX90A:TG_SPLIT: 0
	.section	.text._ZN7rocprim17ROCPRIM_400000_NS6detail17trampoline_kernelINS0_13select_configILj256ELj13ELNS0_17block_load_methodE3ELS4_3ELS4_3ELNS0_20block_scan_algorithmE0ELj4294967295EEENS1_25partition_config_selectorILNS1_17partition_subalgoE3EjNS0_10empty_typeEbEEZZNS1_14partition_implILS8_3ELb0ES6_jNS0_17counting_iteratorIjlEEPS9_SE_NS0_5tupleIJPjSE_EEENSF_IJSE_SE_EEES9_SG_JZNS1_25segmented_radix_sort_implINS0_14default_configELb1EPK6__halfPSL_PKlPlN2at6native12_GLOBAL__N_18offset_tEEE10hipError_tPvRmT1_PNSt15iterator_traitsISZ_E10value_typeET2_T3_PNS10_IS15_E10value_typeET4_jRbjT5_S1B_jjP12ihipStream_tbEUljE_EEESW_SX_SY_S15_S19_S1B_T6_T7_T9_mT8_S1D_bDpT10_ENKUlT_T0_E_clISt17integral_constantIbLb1EES1Q_EEDaS1L_S1M_EUlS1L_E_NS1_11comp_targetILNS1_3genE8ELNS1_11target_archE1030ELNS1_3gpuE2ELNS1_3repE0EEENS1_30default_config_static_selectorELNS0_4arch9wavefront6targetE1EEEvSZ_,"axG",@progbits,_ZN7rocprim17ROCPRIM_400000_NS6detail17trampoline_kernelINS0_13select_configILj256ELj13ELNS0_17block_load_methodE3ELS4_3ELS4_3ELNS0_20block_scan_algorithmE0ELj4294967295EEENS1_25partition_config_selectorILNS1_17partition_subalgoE3EjNS0_10empty_typeEbEEZZNS1_14partition_implILS8_3ELb0ES6_jNS0_17counting_iteratorIjlEEPS9_SE_NS0_5tupleIJPjSE_EEENSF_IJSE_SE_EEES9_SG_JZNS1_25segmented_radix_sort_implINS0_14default_configELb1EPK6__halfPSL_PKlPlN2at6native12_GLOBAL__N_18offset_tEEE10hipError_tPvRmT1_PNSt15iterator_traitsISZ_E10value_typeET2_T3_PNS10_IS15_E10value_typeET4_jRbjT5_S1B_jjP12ihipStream_tbEUljE_EEESW_SX_SY_S15_S19_S1B_T6_T7_T9_mT8_S1D_bDpT10_ENKUlT_T0_E_clISt17integral_constantIbLb1EES1Q_EEDaS1L_S1M_EUlS1L_E_NS1_11comp_targetILNS1_3genE8ELNS1_11target_archE1030ELNS1_3gpuE2ELNS1_3repE0EEENS1_30default_config_static_selectorELNS0_4arch9wavefront6targetE1EEEvSZ_,comdat
	.globl	_ZN7rocprim17ROCPRIM_400000_NS6detail17trampoline_kernelINS0_13select_configILj256ELj13ELNS0_17block_load_methodE3ELS4_3ELS4_3ELNS0_20block_scan_algorithmE0ELj4294967295EEENS1_25partition_config_selectorILNS1_17partition_subalgoE3EjNS0_10empty_typeEbEEZZNS1_14partition_implILS8_3ELb0ES6_jNS0_17counting_iteratorIjlEEPS9_SE_NS0_5tupleIJPjSE_EEENSF_IJSE_SE_EEES9_SG_JZNS1_25segmented_radix_sort_implINS0_14default_configELb1EPK6__halfPSL_PKlPlN2at6native12_GLOBAL__N_18offset_tEEE10hipError_tPvRmT1_PNSt15iterator_traitsISZ_E10value_typeET2_T3_PNS10_IS15_E10value_typeET4_jRbjT5_S1B_jjP12ihipStream_tbEUljE_EEESW_SX_SY_S15_S19_S1B_T6_T7_T9_mT8_S1D_bDpT10_ENKUlT_T0_E_clISt17integral_constantIbLb1EES1Q_EEDaS1L_S1M_EUlS1L_E_NS1_11comp_targetILNS1_3genE8ELNS1_11target_archE1030ELNS1_3gpuE2ELNS1_3repE0EEENS1_30default_config_static_selectorELNS0_4arch9wavefront6targetE1EEEvSZ_ ; -- Begin function _ZN7rocprim17ROCPRIM_400000_NS6detail17trampoline_kernelINS0_13select_configILj256ELj13ELNS0_17block_load_methodE3ELS4_3ELS4_3ELNS0_20block_scan_algorithmE0ELj4294967295EEENS1_25partition_config_selectorILNS1_17partition_subalgoE3EjNS0_10empty_typeEbEEZZNS1_14partition_implILS8_3ELb0ES6_jNS0_17counting_iteratorIjlEEPS9_SE_NS0_5tupleIJPjSE_EEENSF_IJSE_SE_EEES9_SG_JZNS1_25segmented_radix_sort_implINS0_14default_configELb1EPK6__halfPSL_PKlPlN2at6native12_GLOBAL__N_18offset_tEEE10hipError_tPvRmT1_PNSt15iterator_traitsISZ_E10value_typeET2_T3_PNS10_IS15_E10value_typeET4_jRbjT5_S1B_jjP12ihipStream_tbEUljE_EEESW_SX_SY_S15_S19_S1B_T6_T7_T9_mT8_S1D_bDpT10_ENKUlT_T0_E_clISt17integral_constantIbLb1EES1Q_EEDaS1L_S1M_EUlS1L_E_NS1_11comp_targetILNS1_3genE8ELNS1_11target_archE1030ELNS1_3gpuE2ELNS1_3repE0EEENS1_30default_config_static_selectorELNS0_4arch9wavefront6targetE1EEEvSZ_
	.p2align	8
	.type	_ZN7rocprim17ROCPRIM_400000_NS6detail17trampoline_kernelINS0_13select_configILj256ELj13ELNS0_17block_load_methodE3ELS4_3ELS4_3ELNS0_20block_scan_algorithmE0ELj4294967295EEENS1_25partition_config_selectorILNS1_17partition_subalgoE3EjNS0_10empty_typeEbEEZZNS1_14partition_implILS8_3ELb0ES6_jNS0_17counting_iteratorIjlEEPS9_SE_NS0_5tupleIJPjSE_EEENSF_IJSE_SE_EEES9_SG_JZNS1_25segmented_radix_sort_implINS0_14default_configELb1EPK6__halfPSL_PKlPlN2at6native12_GLOBAL__N_18offset_tEEE10hipError_tPvRmT1_PNSt15iterator_traitsISZ_E10value_typeET2_T3_PNS10_IS15_E10value_typeET4_jRbjT5_S1B_jjP12ihipStream_tbEUljE_EEESW_SX_SY_S15_S19_S1B_T6_T7_T9_mT8_S1D_bDpT10_ENKUlT_T0_E_clISt17integral_constantIbLb1EES1Q_EEDaS1L_S1M_EUlS1L_E_NS1_11comp_targetILNS1_3genE8ELNS1_11target_archE1030ELNS1_3gpuE2ELNS1_3repE0EEENS1_30default_config_static_selectorELNS0_4arch9wavefront6targetE1EEEvSZ_,@function
_ZN7rocprim17ROCPRIM_400000_NS6detail17trampoline_kernelINS0_13select_configILj256ELj13ELNS0_17block_load_methodE3ELS4_3ELS4_3ELNS0_20block_scan_algorithmE0ELj4294967295EEENS1_25partition_config_selectorILNS1_17partition_subalgoE3EjNS0_10empty_typeEbEEZZNS1_14partition_implILS8_3ELb0ES6_jNS0_17counting_iteratorIjlEEPS9_SE_NS0_5tupleIJPjSE_EEENSF_IJSE_SE_EEES9_SG_JZNS1_25segmented_radix_sort_implINS0_14default_configELb1EPK6__halfPSL_PKlPlN2at6native12_GLOBAL__N_18offset_tEEE10hipError_tPvRmT1_PNSt15iterator_traitsISZ_E10value_typeET2_T3_PNS10_IS15_E10value_typeET4_jRbjT5_S1B_jjP12ihipStream_tbEUljE_EEESW_SX_SY_S15_S19_S1B_T6_T7_T9_mT8_S1D_bDpT10_ENKUlT_T0_E_clISt17integral_constantIbLb1EES1Q_EEDaS1L_S1M_EUlS1L_E_NS1_11comp_targetILNS1_3genE8ELNS1_11target_archE1030ELNS1_3gpuE2ELNS1_3repE0EEENS1_30default_config_static_selectorELNS0_4arch9wavefront6targetE1EEEvSZ_: ; @_ZN7rocprim17ROCPRIM_400000_NS6detail17trampoline_kernelINS0_13select_configILj256ELj13ELNS0_17block_load_methodE3ELS4_3ELS4_3ELNS0_20block_scan_algorithmE0ELj4294967295EEENS1_25partition_config_selectorILNS1_17partition_subalgoE3EjNS0_10empty_typeEbEEZZNS1_14partition_implILS8_3ELb0ES6_jNS0_17counting_iteratorIjlEEPS9_SE_NS0_5tupleIJPjSE_EEENSF_IJSE_SE_EEES9_SG_JZNS1_25segmented_radix_sort_implINS0_14default_configELb1EPK6__halfPSL_PKlPlN2at6native12_GLOBAL__N_18offset_tEEE10hipError_tPvRmT1_PNSt15iterator_traitsISZ_E10value_typeET2_T3_PNS10_IS15_E10value_typeET4_jRbjT5_S1B_jjP12ihipStream_tbEUljE_EEESW_SX_SY_S15_S19_S1B_T6_T7_T9_mT8_S1D_bDpT10_ENKUlT_T0_E_clISt17integral_constantIbLb1EES1Q_EEDaS1L_S1M_EUlS1L_E_NS1_11comp_targetILNS1_3genE8ELNS1_11target_archE1030ELNS1_3gpuE2ELNS1_3repE0EEENS1_30default_config_static_selectorELNS0_4arch9wavefront6targetE1EEEvSZ_
; %bb.0:
	.section	.rodata,"a",@progbits
	.p2align	6, 0x0
	.amdhsa_kernel _ZN7rocprim17ROCPRIM_400000_NS6detail17trampoline_kernelINS0_13select_configILj256ELj13ELNS0_17block_load_methodE3ELS4_3ELS4_3ELNS0_20block_scan_algorithmE0ELj4294967295EEENS1_25partition_config_selectorILNS1_17partition_subalgoE3EjNS0_10empty_typeEbEEZZNS1_14partition_implILS8_3ELb0ES6_jNS0_17counting_iteratorIjlEEPS9_SE_NS0_5tupleIJPjSE_EEENSF_IJSE_SE_EEES9_SG_JZNS1_25segmented_radix_sort_implINS0_14default_configELb1EPK6__halfPSL_PKlPlN2at6native12_GLOBAL__N_18offset_tEEE10hipError_tPvRmT1_PNSt15iterator_traitsISZ_E10value_typeET2_T3_PNS10_IS15_E10value_typeET4_jRbjT5_S1B_jjP12ihipStream_tbEUljE_EEESW_SX_SY_S15_S19_S1B_T6_T7_T9_mT8_S1D_bDpT10_ENKUlT_T0_E_clISt17integral_constantIbLb1EES1Q_EEDaS1L_S1M_EUlS1L_E_NS1_11comp_targetILNS1_3genE8ELNS1_11target_archE1030ELNS1_3gpuE2ELNS1_3repE0EEENS1_30default_config_static_selectorELNS0_4arch9wavefront6targetE1EEEvSZ_
		.amdhsa_group_segment_fixed_size 0
		.amdhsa_private_segment_fixed_size 0
		.amdhsa_kernarg_size 152
		.amdhsa_user_sgpr_count 6
		.amdhsa_user_sgpr_private_segment_buffer 1
		.amdhsa_user_sgpr_dispatch_ptr 0
		.amdhsa_user_sgpr_queue_ptr 0
		.amdhsa_user_sgpr_kernarg_segment_ptr 1
		.amdhsa_user_sgpr_dispatch_id 0
		.amdhsa_user_sgpr_flat_scratch_init 0
		.amdhsa_user_sgpr_kernarg_preload_length 0
		.amdhsa_user_sgpr_kernarg_preload_offset 0
		.amdhsa_user_sgpr_private_segment_size 0
		.amdhsa_uses_dynamic_stack 0
		.amdhsa_system_sgpr_private_segment_wavefront_offset 0
		.amdhsa_system_sgpr_workgroup_id_x 1
		.amdhsa_system_sgpr_workgroup_id_y 0
		.amdhsa_system_sgpr_workgroup_id_z 0
		.amdhsa_system_sgpr_workgroup_info 0
		.amdhsa_system_vgpr_workitem_id 0
		.amdhsa_next_free_vgpr 1
		.amdhsa_next_free_sgpr 0
		.amdhsa_accum_offset 4
		.amdhsa_reserve_vcc 0
		.amdhsa_reserve_flat_scratch 0
		.amdhsa_float_round_mode_32 0
		.amdhsa_float_round_mode_16_64 0
		.amdhsa_float_denorm_mode_32 3
		.amdhsa_float_denorm_mode_16_64 3
		.amdhsa_dx10_clamp 1
		.amdhsa_ieee_mode 1
		.amdhsa_fp16_overflow 0
		.amdhsa_tg_split 0
		.amdhsa_exception_fp_ieee_invalid_op 0
		.amdhsa_exception_fp_denorm_src 0
		.amdhsa_exception_fp_ieee_div_zero 0
		.amdhsa_exception_fp_ieee_overflow 0
		.amdhsa_exception_fp_ieee_underflow 0
		.amdhsa_exception_fp_ieee_inexact 0
		.amdhsa_exception_int_div_zero 0
	.end_amdhsa_kernel
	.section	.text._ZN7rocprim17ROCPRIM_400000_NS6detail17trampoline_kernelINS0_13select_configILj256ELj13ELNS0_17block_load_methodE3ELS4_3ELS4_3ELNS0_20block_scan_algorithmE0ELj4294967295EEENS1_25partition_config_selectorILNS1_17partition_subalgoE3EjNS0_10empty_typeEbEEZZNS1_14partition_implILS8_3ELb0ES6_jNS0_17counting_iteratorIjlEEPS9_SE_NS0_5tupleIJPjSE_EEENSF_IJSE_SE_EEES9_SG_JZNS1_25segmented_radix_sort_implINS0_14default_configELb1EPK6__halfPSL_PKlPlN2at6native12_GLOBAL__N_18offset_tEEE10hipError_tPvRmT1_PNSt15iterator_traitsISZ_E10value_typeET2_T3_PNS10_IS15_E10value_typeET4_jRbjT5_S1B_jjP12ihipStream_tbEUljE_EEESW_SX_SY_S15_S19_S1B_T6_T7_T9_mT8_S1D_bDpT10_ENKUlT_T0_E_clISt17integral_constantIbLb1EES1Q_EEDaS1L_S1M_EUlS1L_E_NS1_11comp_targetILNS1_3genE8ELNS1_11target_archE1030ELNS1_3gpuE2ELNS1_3repE0EEENS1_30default_config_static_selectorELNS0_4arch9wavefront6targetE1EEEvSZ_,"axG",@progbits,_ZN7rocprim17ROCPRIM_400000_NS6detail17trampoline_kernelINS0_13select_configILj256ELj13ELNS0_17block_load_methodE3ELS4_3ELS4_3ELNS0_20block_scan_algorithmE0ELj4294967295EEENS1_25partition_config_selectorILNS1_17partition_subalgoE3EjNS0_10empty_typeEbEEZZNS1_14partition_implILS8_3ELb0ES6_jNS0_17counting_iteratorIjlEEPS9_SE_NS0_5tupleIJPjSE_EEENSF_IJSE_SE_EEES9_SG_JZNS1_25segmented_radix_sort_implINS0_14default_configELb1EPK6__halfPSL_PKlPlN2at6native12_GLOBAL__N_18offset_tEEE10hipError_tPvRmT1_PNSt15iterator_traitsISZ_E10value_typeET2_T3_PNS10_IS15_E10value_typeET4_jRbjT5_S1B_jjP12ihipStream_tbEUljE_EEESW_SX_SY_S15_S19_S1B_T6_T7_T9_mT8_S1D_bDpT10_ENKUlT_T0_E_clISt17integral_constantIbLb1EES1Q_EEDaS1L_S1M_EUlS1L_E_NS1_11comp_targetILNS1_3genE8ELNS1_11target_archE1030ELNS1_3gpuE2ELNS1_3repE0EEENS1_30default_config_static_selectorELNS0_4arch9wavefront6targetE1EEEvSZ_,comdat
.Lfunc_end1720:
	.size	_ZN7rocprim17ROCPRIM_400000_NS6detail17trampoline_kernelINS0_13select_configILj256ELj13ELNS0_17block_load_methodE3ELS4_3ELS4_3ELNS0_20block_scan_algorithmE0ELj4294967295EEENS1_25partition_config_selectorILNS1_17partition_subalgoE3EjNS0_10empty_typeEbEEZZNS1_14partition_implILS8_3ELb0ES6_jNS0_17counting_iteratorIjlEEPS9_SE_NS0_5tupleIJPjSE_EEENSF_IJSE_SE_EEES9_SG_JZNS1_25segmented_radix_sort_implINS0_14default_configELb1EPK6__halfPSL_PKlPlN2at6native12_GLOBAL__N_18offset_tEEE10hipError_tPvRmT1_PNSt15iterator_traitsISZ_E10value_typeET2_T3_PNS10_IS15_E10value_typeET4_jRbjT5_S1B_jjP12ihipStream_tbEUljE_EEESW_SX_SY_S15_S19_S1B_T6_T7_T9_mT8_S1D_bDpT10_ENKUlT_T0_E_clISt17integral_constantIbLb1EES1Q_EEDaS1L_S1M_EUlS1L_E_NS1_11comp_targetILNS1_3genE8ELNS1_11target_archE1030ELNS1_3gpuE2ELNS1_3repE0EEENS1_30default_config_static_selectorELNS0_4arch9wavefront6targetE1EEEvSZ_, .Lfunc_end1720-_ZN7rocprim17ROCPRIM_400000_NS6detail17trampoline_kernelINS0_13select_configILj256ELj13ELNS0_17block_load_methodE3ELS4_3ELS4_3ELNS0_20block_scan_algorithmE0ELj4294967295EEENS1_25partition_config_selectorILNS1_17partition_subalgoE3EjNS0_10empty_typeEbEEZZNS1_14partition_implILS8_3ELb0ES6_jNS0_17counting_iteratorIjlEEPS9_SE_NS0_5tupleIJPjSE_EEENSF_IJSE_SE_EEES9_SG_JZNS1_25segmented_radix_sort_implINS0_14default_configELb1EPK6__halfPSL_PKlPlN2at6native12_GLOBAL__N_18offset_tEEE10hipError_tPvRmT1_PNSt15iterator_traitsISZ_E10value_typeET2_T3_PNS10_IS15_E10value_typeET4_jRbjT5_S1B_jjP12ihipStream_tbEUljE_EEESW_SX_SY_S15_S19_S1B_T6_T7_T9_mT8_S1D_bDpT10_ENKUlT_T0_E_clISt17integral_constantIbLb1EES1Q_EEDaS1L_S1M_EUlS1L_E_NS1_11comp_targetILNS1_3genE8ELNS1_11target_archE1030ELNS1_3gpuE2ELNS1_3repE0EEENS1_30default_config_static_selectorELNS0_4arch9wavefront6targetE1EEEvSZ_
                                        ; -- End function
	.section	.AMDGPU.csdata,"",@progbits
; Kernel info:
; codeLenInByte = 0
; NumSgprs: 4
; NumVgprs: 0
; NumAgprs: 0
; TotalNumVgprs: 0
; ScratchSize: 0
; MemoryBound: 0
; FloatMode: 240
; IeeeMode: 1
; LDSByteSize: 0 bytes/workgroup (compile time only)
; SGPRBlocks: 0
; VGPRBlocks: 0
; NumSGPRsForWavesPerEU: 4
; NumVGPRsForWavesPerEU: 1
; AccumOffset: 4
; Occupancy: 8
; WaveLimiterHint : 0
; COMPUTE_PGM_RSRC2:SCRATCH_EN: 0
; COMPUTE_PGM_RSRC2:USER_SGPR: 6
; COMPUTE_PGM_RSRC2:TRAP_HANDLER: 0
; COMPUTE_PGM_RSRC2:TGID_X_EN: 1
; COMPUTE_PGM_RSRC2:TGID_Y_EN: 0
; COMPUTE_PGM_RSRC2:TGID_Z_EN: 0
; COMPUTE_PGM_RSRC2:TIDIG_COMP_CNT: 0
; COMPUTE_PGM_RSRC3_GFX90A:ACCUM_OFFSET: 0
; COMPUTE_PGM_RSRC3_GFX90A:TG_SPLIT: 0
	.section	.text._ZN7rocprim17ROCPRIM_400000_NS6detail17trampoline_kernelINS0_13select_configILj256ELj13ELNS0_17block_load_methodE3ELS4_3ELS4_3ELNS0_20block_scan_algorithmE0ELj4294967295EEENS1_25partition_config_selectorILNS1_17partition_subalgoE3EjNS0_10empty_typeEbEEZZNS1_14partition_implILS8_3ELb0ES6_jNS0_17counting_iteratorIjlEEPS9_SE_NS0_5tupleIJPjSE_EEENSF_IJSE_SE_EEES9_SG_JZNS1_25segmented_radix_sort_implINS0_14default_configELb1EPK6__halfPSL_PKlPlN2at6native12_GLOBAL__N_18offset_tEEE10hipError_tPvRmT1_PNSt15iterator_traitsISZ_E10value_typeET2_T3_PNS10_IS15_E10value_typeET4_jRbjT5_S1B_jjP12ihipStream_tbEUljE_EEESW_SX_SY_S15_S19_S1B_T6_T7_T9_mT8_S1D_bDpT10_ENKUlT_T0_E_clISt17integral_constantIbLb1EES1P_IbLb0EEEEDaS1L_S1M_EUlS1L_E_NS1_11comp_targetILNS1_3genE0ELNS1_11target_archE4294967295ELNS1_3gpuE0ELNS1_3repE0EEENS1_30default_config_static_selectorELNS0_4arch9wavefront6targetE1EEEvSZ_,"axG",@progbits,_ZN7rocprim17ROCPRIM_400000_NS6detail17trampoline_kernelINS0_13select_configILj256ELj13ELNS0_17block_load_methodE3ELS4_3ELS4_3ELNS0_20block_scan_algorithmE0ELj4294967295EEENS1_25partition_config_selectorILNS1_17partition_subalgoE3EjNS0_10empty_typeEbEEZZNS1_14partition_implILS8_3ELb0ES6_jNS0_17counting_iteratorIjlEEPS9_SE_NS0_5tupleIJPjSE_EEENSF_IJSE_SE_EEES9_SG_JZNS1_25segmented_radix_sort_implINS0_14default_configELb1EPK6__halfPSL_PKlPlN2at6native12_GLOBAL__N_18offset_tEEE10hipError_tPvRmT1_PNSt15iterator_traitsISZ_E10value_typeET2_T3_PNS10_IS15_E10value_typeET4_jRbjT5_S1B_jjP12ihipStream_tbEUljE_EEESW_SX_SY_S15_S19_S1B_T6_T7_T9_mT8_S1D_bDpT10_ENKUlT_T0_E_clISt17integral_constantIbLb1EES1P_IbLb0EEEEDaS1L_S1M_EUlS1L_E_NS1_11comp_targetILNS1_3genE0ELNS1_11target_archE4294967295ELNS1_3gpuE0ELNS1_3repE0EEENS1_30default_config_static_selectorELNS0_4arch9wavefront6targetE1EEEvSZ_,comdat
	.globl	_ZN7rocprim17ROCPRIM_400000_NS6detail17trampoline_kernelINS0_13select_configILj256ELj13ELNS0_17block_load_methodE3ELS4_3ELS4_3ELNS0_20block_scan_algorithmE0ELj4294967295EEENS1_25partition_config_selectorILNS1_17partition_subalgoE3EjNS0_10empty_typeEbEEZZNS1_14partition_implILS8_3ELb0ES6_jNS0_17counting_iteratorIjlEEPS9_SE_NS0_5tupleIJPjSE_EEENSF_IJSE_SE_EEES9_SG_JZNS1_25segmented_radix_sort_implINS0_14default_configELb1EPK6__halfPSL_PKlPlN2at6native12_GLOBAL__N_18offset_tEEE10hipError_tPvRmT1_PNSt15iterator_traitsISZ_E10value_typeET2_T3_PNS10_IS15_E10value_typeET4_jRbjT5_S1B_jjP12ihipStream_tbEUljE_EEESW_SX_SY_S15_S19_S1B_T6_T7_T9_mT8_S1D_bDpT10_ENKUlT_T0_E_clISt17integral_constantIbLb1EES1P_IbLb0EEEEDaS1L_S1M_EUlS1L_E_NS1_11comp_targetILNS1_3genE0ELNS1_11target_archE4294967295ELNS1_3gpuE0ELNS1_3repE0EEENS1_30default_config_static_selectorELNS0_4arch9wavefront6targetE1EEEvSZ_ ; -- Begin function _ZN7rocprim17ROCPRIM_400000_NS6detail17trampoline_kernelINS0_13select_configILj256ELj13ELNS0_17block_load_methodE3ELS4_3ELS4_3ELNS0_20block_scan_algorithmE0ELj4294967295EEENS1_25partition_config_selectorILNS1_17partition_subalgoE3EjNS0_10empty_typeEbEEZZNS1_14partition_implILS8_3ELb0ES6_jNS0_17counting_iteratorIjlEEPS9_SE_NS0_5tupleIJPjSE_EEENSF_IJSE_SE_EEES9_SG_JZNS1_25segmented_radix_sort_implINS0_14default_configELb1EPK6__halfPSL_PKlPlN2at6native12_GLOBAL__N_18offset_tEEE10hipError_tPvRmT1_PNSt15iterator_traitsISZ_E10value_typeET2_T3_PNS10_IS15_E10value_typeET4_jRbjT5_S1B_jjP12ihipStream_tbEUljE_EEESW_SX_SY_S15_S19_S1B_T6_T7_T9_mT8_S1D_bDpT10_ENKUlT_T0_E_clISt17integral_constantIbLb1EES1P_IbLb0EEEEDaS1L_S1M_EUlS1L_E_NS1_11comp_targetILNS1_3genE0ELNS1_11target_archE4294967295ELNS1_3gpuE0ELNS1_3repE0EEENS1_30default_config_static_selectorELNS0_4arch9wavefront6targetE1EEEvSZ_
	.p2align	8
	.type	_ZN7rocprim17ROCPRIM_400000_NS6detail17trampoline_kernelINS0_13select_configILj256ELj13ELNS0_17block_load_methodE3ELS4_3ELS4_3ELNS0_20block_scan_algorithmE0ELj4294967295EEENS1_25partition_config_selectorILNS1_17partition_subalgoE3EjNS0_10empty_typeEbEEZZNS1_14partition_implILS8_3ELb0ES6_jNS0_17counting_iteratorIjlEEPS9_SE_NS0_5tupleIJPjSE_EEENSF_IJSE_SE_EEES9_SG_JZNS1_25segmented_radix_sort_implINS0_14default_configELb1EPK6__halfPSL_PKlPlN2at6native12_GLOBAL__N_18offset_tEEE10hipError_tPvRmT1_PNSt15iterator_traitsISZ_E10value_typeET2_T3_PNS10_IS15_E10value_typeET4_jRbjT5_S1B_jjP12ihipStream_tbEUljE_EEESW_SX_SY_S15_S19_S1B_T6_T7_T9_mT8_S1D_bDpT10_ENKUlT_T0_E_clISt17integral_constantIbLb1EES1P_IbLb0EEEEDaS1L_S1M_EUlS1L_E_NS1_11comp_targetILNS1_3genE0ELNS1_11target_archE4294967295ELNS1_3gpuE0ELNS1_3repE0EEENS1_30default_config_static_selectorELNS0_4arch9wavefront6targetE1EEEvSZ_,@function
_ZN7rocprim17ROCPRIM_400000_NS6detail17trampoline_kernelINS0_13select_configILj256ELj13ELNS0_17block_load_methodE3ELS4_3ELS4_3ELNS0_20block_scan_algorithmE0ELj4294967295EEENS1_25partition_config_selectorILNS1_17partition_subalgoE3EjNS0_10empty_typeEbEEZZNS1_14partition_implILS8_3ELb0ES6_jNS0_17counting_iteratorIjlEEPS9_SE_NS0_5tupleIJPjSE_EEENSF_IJSE_SE_EEES9_SG_JZNS1_25segmented_radix_sort_implINS0_14default_configELb1EPK6__halfPSL_PKlPlN2at6native12_GLOBAL__N_18offset_tEEE10hipError_tPvRmT1_PNSt15iterator_traitsISZ_E10value_typeET2_T3_PNS10_IS15_E10value_typeET4_jRbjT5_S1B_jjP12ihipStream_tbEUljE_EEESW_SX_SY_S15_S19_S1B_T6_T7_T9_mT8_S1D_bDpT10_ENKUlT_T0_E_clISt17integral_constantIbLb1EES1P_IbLb0EEEEDaS1L_S1M_EUlS1L_E_NS1_11comp_targetILNS1_3genE0ELNS1_11target_archE4294967295ELNS1_3gpuE0ELNS1_3repE0EEENS1_30default_config_static_selectorELNS0_4arch9wavefront6targetE1EEEvSZ_: ; @_ZN7rocprim17ROCPRIM_400000_NS6detail17trampoline_kernelINS0_13select_configILj256ELj13ELNS0_17block_load_methodE3ELS4_3ELS4_3ELNS0_20block_scan_algorithmE0ELj4294967295EEENS1_25partition_config_selectorILNS1_17partition_subalgoE3EjNS0_10empty_typeEbEEZZNS1_14partition_implILS8_3ELb0ES6_jNS0_17counting_iteratorIjlEEPS9_SE_NS0_5tupleIJPjSE_EEENSF_IJSE_SE_EEES9_SG_JZNS1_25segmented_radix_sort_implINS0_14default_configELb1EPK6__halfPSL_PKlPlN2at6native12_GLOBAL__N_18offset_tEEE10hipError_tPvRmT1_PNSt15iterator_traitsISZ_E10value_typeET2_T3_PNS10_IS15_E10value_typeET4_jRbjT5_S1B_jjP12ihipStream_tbEUljE_EEESW_SX_SY_S15_S19_S1B_T6_T7_T9_mT8_S1D_bDpT10_ENKUlT_T0_E_clISt17integral_constantIbLb1EES1P_IbLb0EEEEDaS1L_S1M_EUlS1L_E_NS1_11comp_targetILNS1_3genE0ELNS1_11target_archE4294967295ELNS1_3gpuE0ELNS1_3repE0EEENS1_30default_config_static_selectorELNS0_4arch9wavefront6targetE1EEEvSZ_
; %bb.0:
	.section	.rodata,"a",@progbits
	.p2align	6, 0x0
	.amdhsa_kernel _ZN7rocprim17ROCPRIM_400000_NS6detail17trampoline_kernelINS0_13select_configILj256ELj13ELNS0_17block_load_methodE3ELS4_3ELS4_3ELNS0_20block_scan_algorithmE0ELj4294967295EEENS1_25partition_config_selectorILNS1_17partition_subalgoE3EjNS0_10empty_typeEbEEZZNS1_14partition_implILS8_3ELb0ES6_jNS0_17counting_iteratorIjlEEPS9_SE_NS0_5tupleIJPjSE_EEENSF_IJSE_SE_EEES9_SG_JZNS1_25segmented_radix_sort_implINS0_14default_configELb1EPK6__halfPSL_PKlPlN2at6native12_GLOBAL__N_18offset_tEEE10hipError_tPvRmT1_PNSt15iterator_traitsISZ_E10value_typeET2_T3_PNS10_IS15_E10value_typeET4_jRbjT5_S1B_jjP12ihipStream_tbEUljE_EEESW_SX_SY_S15_S19_S1B_T6_T7_T9_mT8_S1D_bDpT10_ENKUlT_T0_E_clISt17integral_constantIbLb1EES1P_IbLb0EEEEDaS1L_S1M_EUlS1L_E_NS1_11comp_targetILNS1_3genE0ELNS1_11target_archE4294967295ELNS1_3gpuE0ELNS1_3repE0EEENS1_30default_config_static_selectorELNS0_4arch9wavefront6targetE1EEEvSZ_
		.amdhsa_group_segment_fixed_size 0
		.amdhsa_private_segment_fixed_size 0
		.amdhsa_kernarg_size 144
		.amdhsa_user_sgpr_count 6
		.amdhsa_user_sgpr_private_segment_buffer 1
		.amdhsa_user_sgpr_dispatch_ptr 0
		.amdhsa_user_sgpr_queue_ptr 0
		.amdhsa_user_sgpr_kernarg_segment_ptr 1
		.amdhsa_user_sgpr_dispatch_id 0
		.amdhsa_user_sgpr_flat_scratch_init 0
		.amdhsa_user_sgpr_kernarg_preload_length 0
		.amdhsa_user_sgpr_kernarg_preload_offset 0
		.amdhsa_user_sgpr_private_segment_size 0
		.amdhsa_uses_dynamic_stack 0
		.amdhsa_system_sgpr_private_segment_wavefront_offset 0
		.amdhsa_system_sgpr_workgroup_id_x 1
		.amdhsa_system_sgpr_workgroup_id_y 0
		.amdhsa_system_sgpr_workgroup_id_z 0
		.amdhsa_system_sgpr_workgroup_info 0
		.amdhsa_system_vgpr_workitem_id 0
		.amdhsa_next_free_vgpr 1
		.amdhsa_next_free_sgpr 0
		.amdhsa_accum_offset 4
		.amdhsa_reserve_vcc 0
		.amdhsa_reserve_flat_scratch 0
		.amdhsa_float_round_mode_32 0
		.amdhsa_float_round_mode_16_64 0
		.amdhsa_float_denorm_mode_32 3
		.amdhsa_float_denorm_mode_16_64 3
		.amdhsa_dx10_clamp 1
		.amdhsa_ieee_mode 1
		.amdhsa_fp16_overflow 0
		.amdhsa_tg_split 0
		.amdhsa_exception_fp_ieee_invalid_op 0
		.amdhsa_exception_fp_denorm_src 0
		.amdhsa_exception_fp_ieee_div_zero 0
		.amdhsa_exception_fp_ieee_overflow 0
		.amdhsa_exception_fp_ieee_underflow 0
		.amdhsa_exception_fp_ieee_inexact 0
		.amdhsa_exception_int_div_zero 0
	.end_amdhsa_kernel
	.section	.text._ZN7rocprim17ROCPRIM_400000_NS6detail17trampoline_kernelINS0_13select_configILj256ELj13ELNS0_17block_load_methodE3ELS4_3ELS4_3ELNS0_20block_scan_algorithmE0ELj4294967295EEENS1_25partition_config_selectorILNS1_17partition_subalgoE3EjNS0_10empty_typeEbEEZZNS1_14partition_implILS8_3ELb0ES6_jNS0_17counting_iteratorIjlEEPS9_SE_NS0_5tupleIJPjSE_EEENSF_IJSE_SE_EEES9_SG_JZNS1_25segmented_radix_sort_implINS0_14default_configELb1EPK6__halfPSL_PKlPlN2at6native12_GLOBAL__N_18offset_tEEE10hipError_tPvRmT1_PNSt15iterator_traitsISZ_E10value_typeET2_T3_PNS10_IS15_E10value_typeET4_jRbjT5_S1B_jjP12ihipStream_tbEUljE_EEESW_SX_SY_S15_S19_S1B_T6_T7_T9_mT8_S1D_bDpT10_ENKUlT_T0_E_clISt17integral_constantIbLb1EES1P_IbLb0EEEEDaS1L_S1M_EUlS1L_E_NS1_11comp_targetILNS1_3genE0ELNS1_11target_archE4294967295ELNS1_3gpuE0ELNS1_3repE0EEENS1_30default_config_static_selectorELNS0_4arch9wavefront6targetE1EEEvSZ_,"axG",@progbits,_ZN7rocprim17ROCPRIM_400000_NS6detail17trampoline_kernelINS0_13select_configILj256ELj13ELNS0_17block_load_methodE3ELS4_3ELS4_3ELNS0_20block_scan_algorithmE0ELj4294967295EEENS1_25partition_config_selectorILNS1_17partition_subalgoE3EjNS0_10empty_typeEbEEZZNS1_14partition_implILS8_3ELb0ES6_jNS0_17counting_iteratorIjlEEPS9_SE_NS0_5tupleIJPjSE_EEENSF_IJSE_SE_EEES9_SG_JZNS1_25segmented_radix_sort_implINS0_14default_configELb1EPK6__halfPSL_PKlPlN2at6native12_GLOBAL__N_18offset_tEEE10hipError_tPvRmT1_PNSt15iterator_traitsISZ_E10value_typeET2_T3_PNS10_IS15_E10value_typeET4_jRbjT5_S1B_jjP12ihipStream_tbEUljE_EEESW_SX_SY_S15_S19_S1B_T6_T7_T9_mT8_S1D_bDpT10_ENKUlT_T0_E_clISt17integral_constantIbLb1EES1P_IbLb0EEEEDaS1L_S1M_EUlS1L_E_NS1_11comp_targetILNS1_3genE0ELNS1_11target_archE4294967295ELNS1_3gpuE0ELNS1_3repE0EEENS1_30default_config_static_selectorELNS0_4arch9wavefront6targetE1EEEvSZ_,comdat
.Lfunc_end1721:
	.size	_ZN7rocprim17ROCPRIM_400000_NS6detail17trampoline_kernelINS0_13select_configILj256ELj13ELNS0_17block_load_methodE3ELS4_3ELS4_3ELNS0_20block_scan_algorithmE0ELj4294967295EEENS1_25partition_config_selectorILNS1_17partition_subalgoE3EjNS0_10empty_typeEbEEZZNS1_14partition_implILS8_3ELb0ES6_jNS0_17counting_iteratorIjlEEPS9_SE_NS0_5tupleIJPjSE_EEENSF_IJSE_SE_EEES9_SG_JZNS1_25segmented_radix_sort_implINS0_14default_configELb1EPK6__halfPSL_PKlPlN2at6native12_GLOBAL__N_18offset_tEEE10hipError_tPvRmT1_PNSt15iterator_traitsISZ_E10value_typeET2_T3_PNS10_IS15_E10value_typeET4_jRbjT5_S1B_jjP12ihipStream_tbEUljE_EEESW_SX_SY_S15_S19_S1B_T6_T7_T9_mT8_S1D_bDpT10_ENKUlT_T0_E_clISt17integral_constantIbLb1EES1P_IbLb0EEEEDaS1L_S1M_EUlS1L_E_NS1_11comp_targetILNS1_3genE0ELNS1_11target_archE4294967295ELNS1_3gpuE0ELNS1_3repE0EEENS1_30default_config_static_selectorELNS0_4arch9wavefront6targetE1EEEvSZ_, .Lfunc_end1721-_ZN7rocprim17ROCPRIM_400000_NS6detail17trampoline_kernelINS0_13select_configILj256ELj13ELNS0_17block_load_methodE3ELS4_3ELS4_3ELNS0_20block_scan_algorithmE0ELj4294967295EEENS1_25partition_config_selectorILNS1_17partition_subalgoE3EjNS0_10empty_typeEbEEZZNS1_14partition_implILS8_3ELb0ES6_jNS0_17counting_iteratorIjlEEPS9_SE_NS0_5tupleIJPjSE_EEENSF_IJSE_SE_EEES9_SG_JZNS1_25segmented_radix_sort_implINS0_14default_configELb1EPK6__halfPSL_PKlPlN2at6native12_GLOBAL__N_18offset_tEEE10hipError_tPvRmT1_PNSt15iterator_traitsISZ_E10value_typeET2_T3_PNS10_IS15_E10value_typeET4_jRbjT5_S1B_jjP12ihipStream_tbEUljE_EEESW_SX_SY_S15_S19_S1B_T6_T7_T9_mT8_S1D_bDpT10_ENKUlT_T0_E_clISt17integral_constantIbLb1EES1P_IbLb0EEEEDaS1L_S1M_EUlS1L_E_NS1_11comp_targetILNS1_3genE0ELNS1_11target_archE4294967295ELNS1_3gpuE0ELNS1_3repE0EEENS1_30default_config_static_selectorELNS0_4arch9wavefront6targetE1EEEvSZ_
                                        ; -- End function
	.section	.AMDGPU.csdata,"",@progbits
; Kernel info:
; codeLenInByte = 0
; NumSgprs: 4
; NumVgprs: 0
; NumAgprs: 0
; TotalNumVgprs: 0
; ScratchSize: 0
; MemoryBound: 0
; FloatMode: 240
; IeeeMode: 1
; LDSByteSize: 0 bytes/workgroup (compile time only)
; SGPRBlocks: 0
; VGPRBlocks: 0
; NumSGPRsForWavesPerEU: 4
; NumVGPRsForWavesPerEU: 1
; AccumOffset: 4
; Occupancy: 8
; WaveLimiterHint : 0
; COMPUTE_PGM_RSRC2:SCRATCH_EN: 0
; COMPUTE_PGM_RSRC2:USER_SGPR: 6
; COMPUTE_PGM_RSRC2:TRAP_HANDLER: 0
; COMPUTE_PGM_RSRC2:TGID_X_EN: 1
; COMPUTE_PGM_RSRC2:TGID_Y_EN: 0
; COMPUTE_PGM_RSRC2:TGID_Z_EN: 0
; COMPUTE_PGM_RSRC2:TIDIG_COMP_CNT: 0
; COMPUTE_PGM_RSRC3_GFX90A:ACCUM_OFFSET: 0
; COMPUTE_PGM_RSRC3_GFX90A:TG_SPLIT: 0
	.section	.text._ZN7rocprim17ROCPRIM_400000_NS6detail17trampoline_kernelINS0_13select_configILj256ELj13ELNS0_17block_load_methodE3ELS4_3ELS4_3ELNS0_20block_scan_algorithmE0ELj4294967295EEENS1_25partition_config_selectorILNS1_17partition_subalgoE3EjNS0_10empty_typeEbEEZZNS1_14partition_implILS8_3ELb0ES6_jNS0_17counting_iteratorIjlEEPS9_SE_NS0_5tupleIJPjSE_EEENSF_IJSE_SE_EEES9_SG_JZNS1_25segmented_radix_sort_implINS0_14default_configELb1EPK6__halfPSL_PKlPlN2at6native12_GLOBAL__N_18offset_tEEE10hipError_tPvRmT1_PNSt15iterator_traitsISZ_E10value_typeET2_T3_PNS10_IS15_E10value_typeET4_jRbjT5_S1B_jjP12ihipStream_tbEUljE_EEESW_SX_SY_S15_S19_S1B_T6_T7_T9_mT8_S1D_bDpT10_ENKUlT_T0_E_clISt17integral_constantIbLb1EES1P_IbLb0EEEEDaS1L_S1M_EUlS1L_E_NS1_11comp_targetILNS1_3genE5ELNS1_11target_archE942ELNS1_3gpuE9ELNS1_3repE0EEENS1_30default_config_static_selectorELNS0_4arch9wavefront6targetE1EEEvSZ_,"axG",@progbits,_ZN7rocprim17ROCPRIM_400000_NS6detail17trampoline_kernelINS0_13select_configILj256ELj13ELNS0_17block_load_methodE3ELS4_3ELS4_3ELNS0_20block_scan_algorithmE0ELj4294967295EEENS1_25partition_config_selectorILNS1_17partition_subalgoE3EjNS0_10empty_typeEbEEZZNS1_14partition_implILS8_3ELb0ES6_jNS0_17counting_iteratorIjlEEPS9_SE_NS0_5tupleIJPjSE_EEENSF_IJSE_SE_EEES9_SG_JZNS1_25segmented_radix_sort_implINS0_14default_configELb1EPK6__halfPSL_PKlPlN2at6native12_GLOBAL__N_18offset_tEEE10hipError_tPvRmT1_PNSt15iterator_traitsISZ_E10value_typeET2_T3_PNS10_IS15_E10value_typeET4_jRbjT5_S1B_jjP12ihipStream_tbEUljE_EEESW_SX_SY_S15_S19_S1B_T6_T7_T9_mT8_S1D_bDpT10_ENKUlT_T0_E_clISt17integral_constantIbLb1EES1P_IbLb0EEEEDaS1L_S1M_EUlS1L_E_NS1_11comp_targetILNS1_3genE5ELNS1_11target_archE942ELNS1_3gpuE9ELNS1_3repE0EEENS1_30default_config_static_selectorELNS0_4arch9wavefront6targetE1EEEvSZ_,comdat
	.globl	_ZN7rocprim17ROCPRIM_400000_NS6detail17trampoline_kernelINS0_13select_configILj256ELj13ELNS0_17block_load_methodE3ELS4_3ELS4_3ELNS0_20block_scan_algorithmE0ELj4294967295EEENS1_25partition_config_selectorILNS1_17partition_subalgoE3EjNS0_10empty_typeEbEEZZNS1_14partition_implILS8_3ELb0ES6_jNS0_17counting_iteratorIjlEEPS9_SE_NS0_5tupleIJPjSE_EEENSF_IJSE_SE_EEES9_SG_JZNS1_25segmented_radix_sort_implINS0_14default_configELb1EPK6__halfPSL_PKlPlN2at6native12_GLOBAL__N_18offset_tEEE10hipError_tPvRmT1_PNSt15iterator_traitsISZ_E10value_typeET2_T3_PNS10_IS15_E10value_typeET4_jRbjT5_S1B_jjP12ihipStream_tbEUljE_EEESW_SX_SY_S15_S19_S1B_T6_T7_T9_mT8_S1D_bDpT10_ENKUlT_T0_E_clISt17integral_constantIbLb1EES1P_IbLb0EEEEDaS1L_S1M_EUlS1L_E_NS1_11comp_targetILNS1_3genE5ELNS1_11target_archE942ELNS1_3gpuE9ELNS1_3repE0EEENS1_30default_config_static_selectorELNS0_4arch9wavefront6targetE1EEEvSZ_ ; -- Begin function _ZN7rocprim17ROCPRIM_400000_NS6detail17trampoline_kernelINS0_13select_configILj256ELj13ELNS0_17block_load_methodE3ELS4_3ELS4_3ELNS0_20block_scan_algorithmE0ELj4294967295EEENS1_25partition_config_selectorILNS1_17partition_subalgoE3EjNS0_10empty_typeEbEEZZNS1_14partition_implILS8_3ELb0ES6_jNS0_17counting_iteratorIjlEEPS9_SE_NS0_5tupleIJPjSE_EEENSF_IJSE_SE_EEES9_SG_JZNS1_25segmented_radix_sort_implINS0_14default_configELb1EPK6__halfPSL_PKlPlN2at6native12_GLOBAL__N_18offset_tEEE10hipError_tPvRmT1_PNSt15iterator_traitsISZ_E10value_typeET2_T3_PNS10_IS15_E10value_typeET4_jRbjT5_S1B_jjP12ihipStream_tbEUljE_EEESW_SX_SY_S15_S19_S1B_T6_T7_T9_mT8_S1D_bDpT10_ENKUlT_T0_E_clISt17integral_constantIbLb1EES1P_IbLb0EEEEDaS1L_S1M_EUlS1L_E_NS1_11comp_targetILNS1_3genE5ELNS1_11target_archE942ELNS1_3gpuE9ELNS1_3repE0EEENS1_30default_config_static_selectorELNS0_4arch9wavefront6targetE1EEEvSZ_
	.p2align	8
	.type	_ZN7rocprim17ROCPRIM_400000_NS6detail17trampoline_kernelINS0_13select_configILj256ELj13ELNS0_17block_load_methodE3ELS4_3ELS4_3ELNS0_20block_scan_algorithmE0ELj4294967295EEENS1_25partition_config_selectorILNS1_17partition_subalgoE3EjNS0_10empty_typeEbEEZZNS1_14partition_implILS8_3ELb0ES6_jNS0_17counting_iteratorIjlEEPS9_SE_NS0_5tupleIJPjSE_EEENSF_IJSE_SE_EEES9_SG_JZNS1_25segmented_radix_sort_implINS0_14default_configELb1EPK6__halfPSL_PKlPlN2at6native12_GLOBAL__N_18offset_tEEE10hipError_tPvRmT1_PNSt15iterator_traitsISZ_E10value_typeET2_T3_PNS10_IS15_E10value_typeET4_jRbjT5_S1B_jjP12ihipStream_tbEUljE_EEESW_SX_SY_S15_S19_S1B_T6_T7_T9_mT8_S1D_bDpT10_ENKUlT_T0_E_clISt17integral_constantIbLb1EES1P_IbLb0EEEEDaS1L_S1M_EUlS1L_E_NS1_11comp_targetILNS1_3genE5ELNS1_11target_archE942ELNS1_3gpuE9ELNS1_3repE0EEENS1_30default_config_static_selectorELNS0_4arch9wavefront6targetE1EEEvSZ_,@function
_ZN7rocprim17ROCPRIM_400000_NS6detail17trampoline_kernelINS0_13select_configILj256ELj13ELNS0_17block_load_methodE3ELS4_3ELS4_3ELNS0_20block_scan_algorithmE0ELj4294967295EEENS1_25partition_config_selectorILNS1_17partition_subalgoE3EjNS0_10empty_typeEbEEZZNS1_14partition_implILS8_3ELb0ES6_jNS0_17counting_iteratorIjlEEPS9_SE_NS0_5tupleIJPjSE_EEENSF_IJSE_SE_EEES9_SG_JZNS1_25segmented_radix_sort_implINS0_14default_configELb1EPK6__halfPSL_PKlPlN2at6native12_GLOBAL__N_18offset_tEEE10hipError_tPvRmT1_PNSt15iterator_traitsISZ_E10value_typeET2_T3_PNS10_IS15_E10value_typeET4_jRbjT5_S1B_jjP12ihipStream_tbEUljE_EEESW_SX_SY_S15_S19_S1B_T6_T7_T9_mT8_S1D_bDpT10_ENKUlT_T0_E_clISt17integral_constantIbLb1EES1P_IbLb0EEEEDaS1L_S1M_EUlS1L_E_NS1_11comp_targetILNS1_3genE5ELNS1_11target_archE942ELNS1_3gpuE9ELNS1_3repE0EEENS1_30default_config_static_selectorELNS0_4arch9wavefront6targetE1EEEvSZ_: ; @_ZN7rocprim17ROCPRIM_400000_NS6detail17trampoline_kernelINS0_13select_configILj256ELj13ELNS0_17block_load_methodE3ELS4_3ELS4_3ELNS0_20block_scan_algorithmE0ELj4294967295EEENS1_25partition_config_selectorILNS1_17partition_subalgoE3EjNS0_10empty_typeEbEEZZNS1_14partition_implILS8_3ELb0ES6_jNS0_17counting_iteratorIjlEEPS9_SE_NS0_5tupleIJPjSE_EEENSF_IJSE_SE_EEES9_SG_JZNS1_25segmented_radix_sort_implINS0_14default_configELb1EPK6__halfPSL_PKlPlN2at6native12_GLOBAL__N_18offset_tEEE10hipError_tPvRmT1_PNSt15iterator_traitsISZ_E10value_typeET2_T3_PNS10_IS15_E10value_typeET4_jRbjT5_S1B_jjP12ihipStream_tbEUljE_EEESW_SX_SY_S15_S19_S1B_T6_T7_T9_mT8_S1D_bDpT10_ENKUlT_T0_E_clISt17integral_constantIbLb1EES1P_IbLb0EEEEDaS1L_S1M_EUlS1L_E_NS1_11comp_targetILNS1_3genE5ELNS1_11target_archE942ELNS1_3gpuE9ELNS1_3repE0EEENS1_30default_config_static_selectorELNS0_4arch9wavefront6targetE1EEEvSZ_
; %bb.0:
	.section	.rodata,"a",@progbits
	.p2align	6, 0x0
	.amdhsa_kernel _ZN7rocprim17ROCPRIM_400000_NS6detail17trampoline_kernelINS0_13select_configILj256ELj13ELNS0_17block_load_methodE3ELS4_3ELS4_3ELNS0_20block_scan_algorithmE0ELj4294967295EEENS1_25partition_config_selectorILNS1_17partition_subalgoE3EjNS0_10empty_typeEbEEZZNS1_14partition_implILS8_3ELb0ES6_jNS0_17counting_iteratorIjlEEPS9_SE_NS0_5tupleIJPjSE_EEENSF_IJSE_SE_EEES9_SG_JZNS1_25segmented_radix_sort_implINS0_14default_configELb1EPK6__halfPSL_PKlPlN2at6native12_GLOBAL__N_18offset_tEEE10hipError_tPvRmT1_PNSt15iterator_traitsISZ_E10value_typeET2_T3_PNS10_IS15_E10value_typeET4_jRbjT5_S1B_jjP12ihipStream_tbEUljE_EEESW_SX_SY_S15_S19_S1B_T6_T7_T9_mT8_S1D_bDpT10_ENKUlT_T0_E_clISt17integral_constantIbLb1EES1P_IbLb0EEEEDaS1L_S1M_EUlS1L_E_NS1_11comp_targetILNS1_3genE5ELNS1_11target_archE942ELNS1_3gpuE9ELNS1_3repE0EEENS1_30default_config_static_selectorELNS0_4arch9wavefront6targetE1EEEvSZ_
		.amdhsa_group_segment_fixed_size 0
		.amdhsa_private_segment_fixed_size 0
		.amdhsa_kernarg_size 144
		.amdhsa_user_sgpr_count 6
		.amdhsa_user_sgpr_private_segment_buffer 1
		.amdhsa_user_sgpr_dispatch_ptr 0
		.amdhsa_user_sgpr_queue_ptr 0
		.amdhsa_user_sgpr_kernarg_segment_ptr 1
		.amdhsa_user_sgpr_dispatch_id 0
		.amdhsa_user_sgpr_flat_scratch_init 0
		.amdhsa_user_sgpr_kernarg_preload_length 0
		.amdhsa_user_sgpr_kernarg_preload_offset 0
		.amdhsa_user_sgpr_private_segment_size 0
		.amdhsa_uses_dynamic_stack 0
		.amdhsa_system_sgpr_private_segment_wavefront_offset 0
		.amdhsa_system_sgpr_workgroup_id_x 1
		.amdhsa_system_sgpr_workgroup_id_y 0
		.amdhsa_system_sgpr_workgroup_id_z 0
		.amdhsa_system_sgpr_workgroup_info 0
		.amdhsa_system_vgpr_workitem_id 0
		.amdhsa_next_free_vgpr 1
		.amdhsa_next_free_sgpr 0
		.amdhsa_accum_offset 4
		.amdhsa_reserve_vcc 0
		.amdhsa_reserve_flat_scratch 0
		.amdhsa_float_round_mode_32 0
		.amdhsa_float_round_mode_16_64 0
		.amdhsa_float_denorm_mode_32 3
		.amdhsa_float_denorm_mode_16_64 3
		.amdhsa_dx10_clamp 1
		.amdhsa_ieee_mode 1
		.amdhsa_fp16_overflow 0
		.amdhsa_tg_split 0
		.amdhsa_exception_fp_ieee_invalid_op 0
		.amdhsa_exception_fp_denorm_src 0
		.amdhsa_exception_fp_ieee_div_zero 0
		.amdhsa_exception_fp_ieee_overflow 0
		.amdhsa_exception_fp_ieee_underflow 0
		.amdhsa_exception_fp_ieee_inexact 0
		.amdhsa_exception_int_div_zero 0
	.end_amdhsa_kernel
	.section	.text._ZN7rocprim17ROCPRIM_400000_NS6detail17trampoline_kernelINS0_13select_configILj256ELj13ELNS0_17block_load_methodE3ELS4_3ELS4_3ELNS0_20block_scan_algorithmE0ELj4294967295EEENS1_25partition_config_selectorILNS1_17partition_subalgoE3EjNS0_10empty_typeEbEEZZNS1_14partition_implILS8_3ELb0ES6_jNS0_17counting_iteratorIjlEEPS9_SE_NS0_5tupleIJPjSE_EEENSF_IJSE_SE_EEES9_SG_JZNS1_25segmented_radix_sort_implINS0_14default_configELb1EPK6__halfPSL_PKlPlN2at6native12_GLOBAL__N_18offset_tEEE10hipError_tPvRmT1_PNSt15iterator_traitsISZ_E10value_typeET2_T3_PNS10_IS15_E10value_typeET4_jRbjT5_S1B_jjP12ihipStream_tbEUljE_EEESW_SX_SY_S15_S19_S1B_T6_T7_T9_mT8_S1D_bDpT10_ENKUlT_T0_E_clISt17integral_constantIbLb1EES1P_IbLb0EEEEDaS1L_S1M_EUlS1L_E_NS1_11comp_targetILNS1_3genE5ELNS1_11target_archE942ELNS1_3gpuE9ELNS1_3repE0EEENS1_30default_config_static_selectorELNS0_4arch9wavefront6targetE1EEEvSZ_,"axG",@progbits,_ZN7rocprim17ROCPRIM_400000_NS6detail17trampoline_kernelINS0_13select_configILj256ELj13ELNS0_17block_load_methodE3ELS4_3ELS4_3ELNS0_20block_scan_algorithmE0ELj4294967295EEENS1_25partition_config_selectorILNS1_17partition_subalgoE3EjNS0_10empty_typeEbEEZZNS1_14partition_implILS8_3ELb0ES6_jNS0_17counting_iteratorIjlEEPS9_SE_NS0_5tupleIJPjSE_EEENSF_IJSE_SE_EEES9_SG_JZNS1_25segmented_radix_sort_implINS0_14default_configELb1EPK6__halfPSL_PKlPlN2at6native12_GLOBAL__N_18offset_tEEE10hipError_tPvRmT1_PNSt15iterator_traitsISZ_E10value_typeET2_T3_PNS10_IS15_E10value_typeET4_jRbjT5_S1B_jjP12ihipStream_tbEUljE_EEESW_SX_SY_S15_S19_S1B_T6_T7_T9_mT8_S1D_bDpT10_ENKUlT_T0_E_clISt17integral_constantIbLb1EES1P_IbLb0EEEEDaS1L_S1M_EUlS1L_E_NS1_11comp_targetILNS1_3genE5ELNS1_11target_archE942ELNS1_3gpuE9ELNS1_3repE0EEENS1_30default_config_static_selectorELNS0_4arch9wavefront6targetE1EEEvSZ_,comdat
.Lfunc_end1722:
	.size	_ZN7rocprim17ROCPRIM_400000_NS6detail17trampoline_kernelINS0_13select_configILj256ELj13ELNS0_17block_load_methodE3ELS4_3ELS4_3ELNS0_20block_scan_algorithmE0ELj4294967295EEENS1_25partition_config_selectorILNS1_17partition_subalgoE3EjNS0_10empty_typeEbEEZZNS1_14partition_implILS8_3ELb0ES6_jNS0_17counting_iteratorIjlEEPS9_SE_NS0_5tupleIJPjSE_EEENSF_IJSE_SE_EEES9_SG_JZNS1_25segmented_radix_sort_implINS0_14default_configELb1EPK6__halfPSL_PKlPlN2at6native12_GLOBAL__N_18offset_tEEE10hipError_tPvRmT1_PNSt15iterator_traitsISZ_E10value_typeET2_T3_PNS10_IS15_E10value_typeET4_jRbjT5_S1B_jjP12ihipStream_tbEUljE_EEESW_SX_SY_S15_S19_S1B_T6_T7_T9_mT8_S1D_bDpT10_ENKUlT_T0_E_clISt17integral_constantIbLb1EES1P_IbLb0EEEEDaS1L_S1M_EUlS1L_E_NS1_11comp_targetILNS1_3genE5ELNS1_11target_archE942ELNS1_3gpuE9ELNS1_3repE0EEENS1_30default_config_static_selectorELNS0_4arch9wavefront6targetE1EEEvSZ_, .Lfunc_end1722-_ZN7rocprim17ROCPRIM_400000_NS6detail17trampoline_kernelINS0_13select_configILj256ELj13ELNS0_17block_load_methodE3ELS4_3ELS4_3ELNS0_20block_scan_algorithmE0ELj4294967295EEENS1_25partition_config_selectorILNS1_17partition_subalgoE3EjNS0_10empty_typeEbEEZZNS1_14partition_implILS8_3ELb0ES6_jNS0_17counting_iteratorIjlEEPS9_SE_NS0_5tupleIJPjSE_EEENSF_IJSE_SE_EEES9_SG_JZNS1_25segmented_radix_sort_implINS0_14default_configELb1EPK6__halfPSL_PKlPlN2at6native12_GLOBAL__N_18offset_tEEE10hipError_tPvRmT1_PNSt15iterator_traitsISZ_E10value_typeET2_T3_PNS10_IS15_E10value_typeET4_jRbjT5_S1B_jjP12ihipStream_tbEUljE_EEESW_SX_SY_S15_S19_S1B_T6_T7_T9_mT8_S1D_bDpT10_ENKUlT_T0_E_clISt17integral_constantIbLb1EES1P_IbLb0EEEEDaS1L_S1M_EUlS1L_E_NS1_11comp_targetILNS1_3genE5ELNS1_11target_archE942ELNS1_3gpuE9ELNS1_3repE0EEENS1_30default_config_static_selectorELNS0_4arch9wavefront6targetE1EEEvSZ_
                                        ; -- End function
	.section	.AMDGPU.csdata,"",@progbits
; Kernel info:
; codeLenInByte = 0
; NumSgprs: 4
; NumVgprs: 0
; NumAgprs: 0
; TotalNumVgprs: 0
; ScratchSize: 0
; MemoryBound: 0
; FloatMode: 240
; IeeeMode: 1
; LDSByteSize: 0 bytes/workgroup (compile time only)
; SGPRBlocks: 0
; VGPRBlocks: 0
; NumSGPRsForWavesPerEU: 4
; NumVGPRsForWavesPerEU: 1
; AccumOffset: 4
; Occupancy: 8
; WaveLimiterHint : 0
; COMPUTE_PGM_RSRC2:SCRATCH_EN: 0
; COMPUTE_PGM_RSRC2:USER_SGPR: 6
; COMPUTE_PGM_RSRC2:TRAP_HANDLER: 0
; COMPUTE_PGM_RSRC2:TGID_X_EN: 1
; COMPUTE_PGM_RSRC2:TGID_Y_EN: 0
; COMPUTE_PGM_RSRC2:TGID_Z_EN: 0
; COMPUTE_PGM_RSRC2:TIDIG_COMP_CNT: 0
; COMPUTE_PGM_RSRC3_GFX90A:ACCUM_OFFSET: 0
; COMPUTE_PGM_RSRC3_GFX90A:TG_SPLIT: 0
	.section	.text._ZN7rocprim17ROCPRIM_400000_NS6detail17trampoline_kernelINS0_13select_configILj256ELj13ELNS0_17block_load_methodE3ELS4_3ELS4_3ELNS0_20block_scan_algorithmE0ELj4294967295EEENS1_25partition_config_selectorILNS1_17partition_subalgoE3EjNS0_10empty_typeEbEEZZNS1_14partition_implILS8_3ELb0ES6_jNS0_17counting_iteratorIjlEEPS9_SE_NS0_5tupleIJPjSE_EEENSF_IJSE_SE_EEES9_SG_JZNS1_25segmented_radix_sort_implINS0_14default_configELb1EPK6__halfPSL_PKlPlN2at6native12_GLOBAL__N_18offset_tEEE10hipError_tPvRmT1_PNSt15iterator_traitsISZ_E10value_typeET2_T3_PNS10_IS15_E10value_typeET4_jRbjT5_S1B_jjP12ihipStream_tbEUljE_EEESW_SX_SY_S15_S19_S1B_T6_T7_T9_mT8_S1D_bDpT10_ENKUlT_T0_E_clISt17integral_constantIbLb1EES1P_IbLb0EEEEDaS1L_S1M_EUlS1L_E_NS1_11comp_targetILNS1_3genE4ELNS1_11target_archE910ELNS1_3gpuE8ELNS1_3repE0EEENS1_30default_config_static_selectorELNS0_4arch9wavefront6targetE1EEEvSZ_,"axG",@progbits,_ZN7rocprim17ROCPRIM_400000_NS6detail17trampoline_kernelINS0_13select_configILj256ELj13ELNS0_17block_load_methodE3ELS4_3ELS4_3ELNS0_20block_scan_algorithmE0ELj4294967295EEENS1_25partition_config_selectorILNS1_17partition_subalgoE3EjNS0_10empty_typeEbEEZZNS1_14partition_implILS8_3ELb0ES6_jNS0_17counting_iteratorIjlEEPS9_SE_NS0_5tupleIJPjSE_EEENSF_IJSE_SE_EEES9_SG_JZNS1_25segmented_radix_sort_implINS0_14default_configELb1EPK6__halfPSL_PKlPlN2at6native12_GLOBAL__N_18offset_tEEE10hipError_tPvRmT1_PNSt15iterator_traitsISZ_E10value_typeET2_T3_PNS10_IS15_E10value_typeET4_jRbjT5_S1B_jjP12ihipStream_tbEUljE_EEESW_SX_SY_S15_S19_S1B_T6_T7_T9_mT8_S1D_bDpT10_ENKUlT_T0_E_clISt17integral_constantIbLb1EES1P_IbLb0EEEEDaS1L_S1M_EUlS1L_E_NS1_11comp_targetILNS1_3genE4ELNS1_11target_archE910ELNS1_3gpuE8ELNS1_3repE0EEENS1_30default_config_static_selectorELNS0_4arch9wavefront6targetE1EEEvSZ_,comdat
	.globl	_ZN7rocprim17ROCPRIM_400000_NS6detail17trampoline_kernelINS0_13select_configILj256ELj13ELNS0_17block_load_methodE3ELS4_3ELS4_3ELNS0_20block_scan_algorithmE0ELj4294967295EEENS1_25partition_config_selectorILNS1_17partition_subalgoE3EjNS0_10empty_typeEbEEZZNS1_14partition_implILS8_3ELb0ES6_jNS0_17counting_iteratorIjlEEPS9_SE_NS0_5tupleIJPjSE_EEENSF_IJSE_SE_EEES9_SG_JZNS1_25segmented_radix_sort_implINS0_14default_configELb1EPK6__halfPSL_PKlPlN2at6native12_GLOBAL__N_18offset_tEEE10hipError_tPvRmT1_PNSt15iterator_traitsISZ_E10value_typeET2_T3_PNS10_IS15_E10value_typeET4_jRbjT5_S1B_jjP12ihipStream_tbEUljE_EEESW_SX_SY_S15_S19_S1B_T6_T7_T9_mT8_S1D_bDpT10_ENKUlT_T0_E_clISt17integral_constantIbLb1EES1P_IbLb0EEEEDaS1L_S1M_EUlS1L_E_NS1_11comp_targetILNS1_3genE4ELNS1_11target_archE910ELNS1_3gpuE8ELNS1_3repE0EEENS1_30default_config_static_selectorELNS0_4arch9wavefront6targetE1EEEvSZ_ ; -- Begin function _ZN7rocprim17ROCPRIM_400000_NS6detail17trampoline_kernelINS0_13select_configILj256ELj13ELNS0_17block_load_methodE3ELS4_3ELS4_3ELNS0_20block_scan_algorithmE0ELj4294967295EEENS1_25partition_config_selectorILNS1_17partition_subalgoE3EjNS0_10empty_typeEbEEZZNS1_14partition_implILS8_3ELb0ES6_jNS0_17counting_iteratorIjlEEPS9_SE_NS0_5tupleIJPjSE_EEENSF_IJSE_SE_EEES9_SG_JZNS1_25segmented_radix_sort_implINS0_14default_configELb1EPK6__halfPSL_PKlPlN2at6native12_GLOBAL__N_18offset_tEEE10hipError_tPvRmT1_PNSt15iterator_traitsISZ_E10value_typeET2_T3_PNS10_IS15_E10value_typeET4_jRbjT5_S1B_jjP12ihipStream_tbEUljE_EEESW_SX_SY_S15_S19_S1B_T6_T7_T9_mT8_S1D_bDpT10_ENKUlT_T0_E_clISt17integral_constantIbLb1EES1P_IbLb0EEEEDaS1L_S1M_EUlS1L_E_NS1_11comp_targetILNS1_3genE4ELNS1_11target_archE910ELNS1_3gpuE8ELNS1_3repE0EEENS1_30default_config_static_selectorELNS0_4arch9wavefront6targetE1EEEvSZ_
	.p2align	8
	.type	_ZN7rocprim17ROCPRIM_400000_NS6detail17trampoline_kernelINS0_13select_configILj256ELj13ELNS0_17block_load_methodE3ELS4_3ELS4_3ELNS0_20block_scan_algorithmE0ELj4294967295EEENS1_25partition_config_selectorILNS1_17partition_subalgoE3EjNS0_10empty_typeEbEEZZNS1_14partition_implILS8_3ELb0ES6_jNS0_17counting_iteratorIjlEEPS9_SE_NS0_5tupleIJPjSE_EEENSF_IJSE_SE_EEES9_SG_JZNS1_25segmented_radix_sort_implINS0_14default_configELb1EPK6__halfPSL_PKlPlN2at6native12_GLOBAL__N_18offset_tEEE10hipError_tPvRmT1_PNSt15iterator_traitsISZ_E10value_typeET2_T3_PNS10_IS15_E10value_typeET4_jRbjT5_S1B_jjP12ihipStream_tbEUljE_EEESW_SX_SY_S15_S19_S1B_T6_T7_T9_mT8_S1D_bDpT10_ENKUlT_T0_E_clISt17integral_constantIbLb1EES1P_IbLb0EEEEDaS1L_S1M_EUlS1L_E_NS1_11comp_targetILNS1_3genE4ELNS1_11target_archE910ELNS1_3gpuE8ELNS1_3repE0EEENS1_30default_config_static_selectorELNS0_4arch9wavefront6targetE1EEEvSZ_,@function
_ZN7rocprim17ROCPRIM_400000_NS6detail17trampoline_kernelINS0_13select_configILj256ELj13ELNS0_17block_load_methodE3ELS4_3ELS4_3ELNS0_20block_scan_algorithmE0ELj4294967295EEENS1_25partition_config_selectorILNS1_17partition_subalgoE3EjNS0_10empty_typeEbEEZZNS1_14partition_implILS8_3ELb0ES6_jNS0_17counting_iteratorIjlEEPS9_SE_NS0_5tupleIJPjSE_EEENSF_IJSE_SE_EEES9_SG_JZNS1_25segmented_radix_sort_implINS0_14default_configELb1EPK6__halfPSL_PKlPlN2at6native12_GLOBAL__N_18offset_tEEE10hipError_tPvRmT1_PNSt15iterator_traitsISZ_E10value_typeET2_T3_PNS10_IS15_E10value_typeET4_jRbjT5_S1B_jjP12ihipStream_tbEUljE_EEESW_SX_SY_S15_S19_S1B_T6_T7_T9_mT8_S1D_bDpT10_ENKUlT_T0_E_clISt17integral_constantIbLb1EES1P_IbLb0EEEEDaS1L_S1M_EUlS1L_E_NS1_11comp_targetILNS1_3genE4ELNS1_11target_archE910ELNS1_3gpuE8ELNS1_3repE0EEENS1_30default_config_static_selectorELNS0_4arch9wavefront6targetE1EEEvSZ_: ; @_ZN7rocprim17ROCPRIM_400000_NS6detail17trampoline_kernelINS0_13select_configILj256ELj13ELNS0_17block_load_methodE3ELS4_3ELS4_3ELNS0_20block_scan_algorithmE0ELj4294967295EEENS1_25partition_config_selectorILNS1_17partition_subalgoE3EjNS0_10empty_typeEbEEZZNS1_14partition_implILS8_3ELb0ES6_jNS0_17counting_iteratorIjlEEPS9_SE_NS0_5tupleIJPjSE_EEENSF_IJSE_SE_EEES9_SG_JZNS1_25segmented_radix_sort_implINS0_14default_configELb1EPK6__halfPSL_PKlPlN2at6native12_GLOBAL__N_18offset_tEEE10hipError_tPvRmT1_PNSt15iterator_traitsISZ_E10value_typeET2_T3_PNS10_IS15_E10value_typeET4_jRbjT5_S1B_jjP12ihipStream_tbEUljE_EEESW_SX_SY_S15_S19_S1B_T6_T7_T9_mT8_S1D_bDpT10_ENKUlT_T0_E_clISt17integral_constantIbLb1EES1P_IbLb0EEEEDaS1L_S1M_EUlS1L_E_NS1_11comp_targetILNS1_3genE4ELNS1_11target_archE910ELNS1_3gpuE8ELNS1_3repE0EEENS1_30default_config_static_selectorELNS0_4arch9wavefront6targetE1EEEvSZ_
; %bb.0:
	s_load_dwordx2 s[26:27], s[4:5], 0x58
	s_load_dwordx4 s[20:23], s[4:5], 0x48
	s_load_dword s13, s[4:5], 0x8
	s_load_dwordx2 s[28:29], s[4:5], 0x10
	s_load_dword s12, s[4:5], 0x70
	s_load_dword s7, s[4:5], 0x88
	s_load_dwordx4 s[8:11], s[4:5], 0x78
	s_waitcnt lgkmcnt(0)
	s_load_dwordx2 s[30:31], s[22:23], 0x0
	v_pk_mov_b32 v[2:3], s[26:27], s[26:27] op_sel:[0,1]
	s_add_i32 s2, s12, -1
	s_mulk_i32 s12, 0xd00
	s_add_u32 s0, s28, s12
	s_addc_u32 s1, s29, 0
	s_cmp_eq_u32 s6, s2
	s_cselect_b64 s[22:23], -1, 0
	s_cmp_lg_u32 s6, s2
	s_mul_i32 s42, s6, 0xd00
	v_cmp_lt_u64_e32 vcc, s[0:1], v[2:3]
	s_cselect_b64 s[0:1], -1, 0
	s_or_b64 s[2:3], s[0:1], vcc
	s_add_i32 s0, s13, s42
	s_add_i32 s0, s0, s28
	v_add_u32_e32 v2, s0, v0
	s_mov_b64 s[0:1], -1
	s_and_b64 vcc, exec, s[2:3]
	v_lshlrev_b32_e32 v1, 2, v0
	s_cbranch_vccz .LBB1723_2
; %bb.1:
	v_add_u32_e32 v3, 0x100, v2
	v_add_u32_e32 v4, 0x200, v2
	;; [unrolled: 1-line block ×12, first 2 shown]
	ds_write2st64_b32 v1, v2, v3 offset1:4
	ds_write2st64_b32 v1, v4, v5 offset0:8 offset1:12
	ds_write2st64_b32 v1, v6, v7 offset0:16 offset1:20
	;; [unrolled: 1-line block ×5, first 2 shown]
	ds_write_b32 v1, v14 offset:12288
	s_waitcnt lgkmcnt(0)
	s_barrier
	s_mov_b64 s[0:1], 0
.LBB1723_2:
	s_andn2_b64 vcc, exec, s[0:1]
	s_add_i32 s12, s12, s28
	s_cbranch_vccnz .LBB1723_4
; %bb.3:
	v_add_u32_e32 v3, 0x100, v2
	v_add_u32_e32 v4, 0x200, v2
	;; [unrolled: 1-line block ×12, first 2 shown]
	ds_write2st64_b32 v1, v2, v3 offset1:4
	ds_write2st64_b32 v1, v4, v5 offset0:8 offset1:12
	ds_write2st64_b32 v1, v6, v7 offset0:16 offset1:20
	;; [unrolled: 1-line block ×5, first 2 shown]
	ds_write_b32 v1, v14 offset:12288
	s_waitcnt lgkmcnt(0)
	s_barrier
.LBB1723_4:
	v_mul_u32_u24_e32 v33, 13, v0
	v_lshlrev_b32_e32 v2, 2, v33
	s_waitcnt lgkmcnt(0)
	ds_read2_b32 v[30:31], v2 offset1:1
	ds_read2_b32 v[28:29], v2 offset0:2 offset1:3
	ds_read2_b32 v[26:27], v2 offset0:4 offset1:5
	;; [unrolled: 1-line block ×5, first 2 shown]
	ds_read_b32 v32, v2 offset:48
	v_cndmask_b32_e64 v2, 0, 1, s[2:3]
	s_sub_i32 s33, s26, s12
	v_cmp_ne_u32_e64 s[0:1], 1, v2
	s_andn2_b64 vcc, exec, s[2:3]
	s_waitcnt lgkmcnt(0)
	s_barrier
	s_cbranch_vccnz .LBB1723_6
; %bb.5:
	v_add_u32_e32 v2, s9, v30
	v_add_u32_e32 v3, s11, v30
	v_mul_lo_u32 v2, v2, s8
	v_mul_lo_u32 v3, v3, s10
	v_sub_u32_e32 v2, v2, v3
	v_add_u32_e32 v3, s9, v31
	v_add_u32_e32 v4, s11, v31
	v_mul_lo_u32 v3, v3, s8
	v_mul_lo_u32 v4, v4, s10
	v_sub_u32_e32 v3, v3, v4
	;; [unrolled: 5-line block ×6, first 2 shown]
	v_add_u32_e32 v8, s9, v24
	v_add_u32_e32 v9, s11, v24
	v_mul_lo_u32 v8, v8, s8
	v_mul_lo_u32 v9, v9, s10
	v_cmp_lt_u32_e32 vcc, s7, v2
	v_sub_u32_e32 v8, v8, v9
	v_add_u32_e32 v9, s9, v25
	v_add_u32_e32 v10, s11, v25
	v_cndmask_b32_e64 v2, 0, 1, vcc
	v_cmp_lt_u32_e32 vcc, s7, v3
	v_mul_lo_u32 v9, v9, s8
	v_mul_lo_u32 v10, v10, s10
	v_cndmask_b32_e64 v3, 0, 1, vcc
	v_cmp_lt_u32_e32 vcc, s7, v4
	v_sub_u32_e32 v9, v9, v10
	v_add_u32_e32 v10, s9, v22
	v_add_u32_e32 v11, s11, v22
	v_cndmask_b32_e64 v4, 0, 1, vcc
	v_cmp_lt_u32_e32 vcc, s7, v5
	v_mul_lo_u32 v10, v10, s8
	v_mul_lo_u32 v11, v11, s10
	v_cndmask_b32_e64 v5, 0, 1, vcc
	;; [unrolled: 9-line block ×4, first 2 shown]
	v_cmp_lt_u32_e32 vcc, s7, v10
	v_sub_u32_e32 v12, v12, v13
	v_add_u32_e32 v13, s9, v21
	v_add_u32_e32 v14, s11, v21
	v_lshlrev_b16_e32 v3, 8, v3
	v_cndmask_b32_e64 v10, 0, 1, vcc
	v_cmp_lt_u32_e32 vcc, s7, v11
	v_mul_lo_u32 v13, v13, s8
	v_mul_lo_u32 v14, v14, s10
	v_or_b32_e32 v2, v2, v3
	v_lshlrev_b16_e32 v3, 8, v5
	v_cndmask_b32_e64 v11, 0, 1, vcc
	v_cmp_lt_u32_e32 vcc, s7, v12
	v_sub_u32_e32 v13, v13, v14
	v_or_b32_sdwa v3, v4, v3 dst_sel:WORD_1 dst_unused:UNUSED_PAD src0_sel:DWORD src1_sel:DWORD
	v_cndmask_b32_e64 v12, 0, 1, vcc
	v_cmp_lt_u32_e32 vcc, s7, v13
	v_add_u32_e32 v14, s9, v32
	v_add_u32_e32 v15, s11, v32
	v_or_b32_sdwa v37, v2, v3 dst_sel:DWORD dst_unused:UNUSED_PAD src0_sel:WORD_0 src1_sel:DWORD
	v_lshlrev_b16_e32 v2, 8, v7
	v_lshlrev_b16_e32 v3, 8, v9
	v_cndmask_b32_e64 v13, 0, 1, vcc
	v_mul_lo_u32 v14, v14, s8
	v_mul_lo_u32 v15, v15, s10
	v_or_b32_e32 v2, v6, v2
	v_or_b32_sdwa v3, v8, v3 dst_sel:WORD_1 dst_unused:UNUSED_PAD src0_sel:DWORD src1_sel:DWORD
	v_sub_u32_e32 v14, v14, v15
	v_or_b32_sdwa v36, v2, v3 dst_sel:DWORD dst_unused:UNUSED_PAD src0_sel:WORD_0 src1_sel:DWORD
	v_lshlrev_b16_e32 v2, 8, v11
	v_lshlrev_b16_e32 v3, 8, v13
	v_cmp_lt_u32_e32 vcc, s7, v14
	v_or_b32_e32 v2, v10, v2
	v_or_b32_sdwa v3, v12, v3 dst_sel:WORD_1 dst_unused:UNUSED_PAD src0_sel:DWORD src1_sel:DWORD
	v_cndmask_b32_e64 v34, 0, 1, vcc
	v_or_b32_sdwa v35, v2, v3 dst_sel:DWORD dst_unused:UNUSED_PAD src0_sel:WORD_0 src1_sel:DWORD
	s_mov_b64 s[2:3], 0
	s_branch .LBB1723_7
.LBB1723_6:
	s_mov_b64 s[2:3], -1
                                        ; implicit-def: $vgpr34
                                        ; implicit-def: $vgpr35
                                        ; implicit-def: $vgpr36
                                        ; implicit-def: $vgpr37
.LBB1723_7:
	s_load_dwordx2 s[24:25], s[4:5], 0x28
	s_load_dwordx2 s[34:35], s[4:5], 0x68
	s_andn2_b64 vcc, exec, s[2:3]
	s_addk_i32 s33, 0xd00
	s_cbranch_vccnz .LBB1723_35
; %bb.8:
	v_cmp_gt_u32_e32 vcc, s33, v33
	v_mov_b32_e32 v3, 0
	v_mov_b32_e32 v2, 0
	s_and_saveexec_b64 s[2:3], vcc
; %bb.9:
	v_add_u32_e32 v2, s9, v30
	v_add_u32_e32 v4, s11, v30
	v_mul_lo_u32 v2, v2, s8
	v_mul_lo_u32 v4, v4, s10
	v_sub_u32_e32 v2, v2, v4
	v_cmp_lt_u32_e32 vcc, s7, v2
	v_cndmask_b32_e64 v2, 0, 1, vcc
; %bb.10:
	s_or_b64 exec, exec, s[2:3]
	v_add_u32_e32 v4, 1, v33
	v_cmp_gt_u32_e32 vcc, s33, v4
	s_and_saveexec_b64 s[2:3], vcc
; %bb.11:
	v_add_u32_e32 v3, s9, v31
	v_add_u32_e32 v4, s11, v31
	v_mul_lo_u32 v3, v3, s8
	v_mul_lo_u32 v4, v4, s10
	v_sub_u32_e32 v3, v3, v4
	v_cmp_lt_u32_e32 vcc, s7, v3
	v_cndmask_b32_e64 v3, 0, 1, vcc
; %bb.12:
	s_or_b64 exec, exec, s[2:3]
	v_add_u32_e32 v4, 2, v33
	v_cmp_gt_u32_e32 vcc, s33, v4
	v_mov_b32_e32 v5, 0
	v_mov_b32_e32 v4, 0
	s_and_saveexec_b64 s[2:3], vcc
; %bb.13:
	v_add_u32_e32 v4, s9, v28
	v_add_u32_e32 v6, s11, v28
	v_mul_lo_u32 v4, v4, s8
	v_mul_lo_u32 v6, v6, s10
	v_sub_u32_e32 v4, v4, v6
	v_cmp_lt_u32_e32 vcc, s7, v4
	v_cndmask_b32_e64 v4, 0, 1, vcc
; %bb.14:
	s_or_b64 exec, exec, s[2:3]
	v_add_u32_e32 v6, 3, v33
	v_cmp_gt_u32_e32 vcc, s33, v6
	s_and_saveexec_b64 s[2:3], vcc
; %bb.15:
	v_add_u32_e32 v5, s9, v29
	v_add_u32_e32 v6, s11, v29
	v_mul_lo_u32 v5, v5, s8
	v_mul_lo_u32 v6, v6, s10
	v_sub_u32_e32 v5, v5, v6
	v_cmp_lt_u32_e32 vcc, s7, v5
	v_cndmask_b32_e64 v5, 0, 1, vcc
; %bb.16:
	s_or_b64 exec, exec, s[2:3]
	v_add_u32_e32 v6, 4, v33
	;; [unrolled: 28-line block ×6, first 2 shown]
	v_cmp_gt_u32_e32 vcc, s33, v14
	v_mov_b32_e32 v34, 0
	s_and_saveexec_b64 s[2:3], vcc
; %bb.33:
	v_add_u32_e32 v14, s9, v32
	v_add_u32_e32 v15, s11, v32
	v_mul_lo_u32 v14, v14, s8
	v_mul_lo_u32 v15, v15, s10
	v_sub_u32_e32 v14, v14, v15
	v_cmp_lt_u32_e32 vcc, s7, v14
	v_cndmask_b32_e64 v34, 0, 1, vcc
; %bb.34:
	s_or_b64 exec, exec, s[2:3]
	v_lshlrev_b16_e32 v3, 8, v3
	v_or_b32_e32 v2, v2, v3
	v_lshlrev_b16_e32 v3, 8, v5
	v_or_b32_sdwa v3, v4, v3 dst_sel:WORD_1 dst_unused:UNUSED_PAD src0_sel:DWORD src1_sel:DWORD
	v_or_b32_sdwa v37, v2, v3 dst_sel:DWORD dst_unused:UNUSED_PAD src0_sel:WORD_0 src1_sel:DWORD
	v_lshlrev_b16_e32 v2, 8, v7
	v_lshlrev_b16_e32 v3, 8, v9
	v_or_b32_e32 v2, v6, v2
	v_or_b32_sdwa v3, v8, v3 dst_sel:WORD_1 dst_unused:UNUSED_PAD src0_sel:DWORD src1_sel:DWORD
	v_or_b32_sdwa v36, v2, v3 dst_sel:DWORD dst_unused:UNUSED_PAD src0_sel:WORD_0 src1_sel:DWORD
	v_lshlrev_b16_e32 v2, 8, v11
	v_lshlrev_b16_e32 v3, 8, v13
	v_or_b32_e32 v2, v10, v2
	v_or_b32_sdwa v3, v12, v3 dst_sel:WORD_1 dst_unused:UNUSED_PAD src0_sel:DWORD src1_sel:DWORD
	v_or_b32_sdwa v35, v2, v3 dst_sel:DWORD dst_unused:UNUSED_PAD src0_sel:WORD_0 src1_sel:DWORD
.LBB1723_35:
	v_and_b32_e32 v41, 0xff, v37
	v_bfe_u32 v42, v37, 8, 8
	v_bfe_u32 v43, v37, 16, 8
	v_lshrrev_b32_e32 v40, 24, v37
	v_and_b32_e32 v44, 0xff, v36
	v_add3_u32 v3, v42, v41, v43
	v_bfe_u32 v45, v36, 8, 8
	v_bfe_u32 v46, v36, 16, 8
	v_add3_u32 v3, v3, v40, v44
	v_lshrrev_b32_e32 v39, 24, v36
	v_and_b32_e32 v47, 0xff, v35
	v_add3_u32 v3, v3, v45, v46
	v_bfe_u32 v48, v35, 8, 8
	v_bfe_u32 v49, v35, 16, 8
	v_add3_u32 v3, v3, v39, v47
	v_lshrrev_b32_e32 v38, 24, v35
	v_and_b32_e32 v2, 0xff, v34
	v_add3_u32 v3, v3, v48, v49
	v_add3_u32 v52, v3, v38, v2
	v_mbcnt_lo_u32_b32 v2, -1, 0
	v_mbcnt_hi_u32_b32 v50, -1, v2
	v_and_b32_e32 v2, 15, v50
	v_cmp_eq_u32_e64 s[14:15], 0, v2
	v_cmp_lt_u32_e64 s[12:13], 1, v2
	v_cmp_lt_u32_e64 s[10:11], 3, v2
	;; [unrolled: 1-line block ×3, first 2 shown]
	v_and_b32_e32 v2, 16, v50
	v_cmp_eq_u32_e64 s[18:19], 0, v2
	v_or_b32_e32 v2, 63, v0
	s_cmp_lg_u32 s6, 0
	v_cmp_lt_u32_e64 s[2:3], 31, v50
	v_lshrrev_b32_e32 v51, 6, v0
	v_cmp_eq_u32_e64 s[4:5], v2, v0
	s_cbranch_scc0 .LBB1723_66
; %bb.36:
	v_mov_b32_dpp v2, v52 row_shr:1 row_mask:0xf bank_mask:0xf
	v_cndmask_b32_e64 v2, v2, 0, s[14:15]
	v_add_u32_e32 v2, v2, v52
	s_nop 1
	v_mov_b32_dpp v3, v2 row_shr:2 row_mask:0xf bank_mask:0xf
	v_cndmask_b32_e64 v3, 0, v3, s[12:13]
	v_add_u32_e32 v2, v2, v3
	s_nop 1
	;; [unrolled: 4-line block ×4, first 2 shown]
	v_mov_b32_dpp v3, v2 row_bcast:15 row_mask:0xf bank_mask:0xf
	v_cndmask_b32_e64 v3, v3, 0, s[18:19]
	v_add_u32_e32 v2, v2, v3
	s_nop 1
	v_mov_b32_dpp v3, v2 row_bcast:31 row_mask:0xf bank_mask:0xf
	v_cndmask_b32_e64 v3, 0, v3, s[2:3]
	v_add_u32_e32 v2, v2, v3
	s_and_saveexec_b64 s[16:17], s[4:5]
	s_cbranch_execz .LBB1723_38
; %bb.37:
	v_lshlrev_b32_e32 v3, 2, v51
	ds_write_b32 v3, v2
.LBB1723_38:
	s_or_b64 exec, exec, s[16:17]
	v_cmp_gt_u32_e32 vcc, 4, v0
	s_waitcnt lgkmcnt(0)
	s_barrier
	s_and_saveexec_b64 s[16:17], vcc
	s_cbranch_execz .LBB1723_40
; %bb.39:
	ds_read_b32 v3, v1
	v_and_b32_e32 v4, 3, v50
	v_cmp_ne_u32_e32 vcc, 0, v4
	s_waitcnt lgkmcnt(0)
	v_mov_b32_dpp v5, v3 row_shr:1 row_mask:0xf bank_mask:0xf
	v_cndmask_b32_e32 v5, 0, v5, vcc
	v_add_u32_e32 v3, v5, v3
	v_cmp_lt_u32_e32 vcc, 1, v4
	s_nop 0
	v_mov_b32_dpp v5, v3 row_shr:2 row_mask:0xf bank_mask:0xf
	v_cndmask_b32_e32 v4, 0, v5, vcc
	v_add_u32_e32 v3, v3, v4
	ds_write_b32 v1, v3
.LBB1723_40:
	s_or_b64 exec, exec, s[16:17]
	v_cmp_gt_u32_e32 vcc, 64, v0
	v_cmp_lt_u32_e64 s[16:17], 63, v0
	s_waitcnt lgkmcnt(0)
	s_barrier
	s_waitcnt lgkmcnt(0)
                                        ; implicit-def: $vgpr12
	s_and_saveexec_b64 s[36:37], s[16:17]
	s_cbranch_execz .LBB1723_42
; %bb.41:
	v_lshl_add_u32 v3, v51, 2, -4
	ds_read_b32 v12, v3
	s_waitcnt lgkmcnt(0)
	v_add_u32_e32 v2, v12, v2
.LBB1723_42:
	s_or_b64 exec, exec, s[36:37]
	v_add_u32_e32 v3, -1, v50
	v_and_b32_e32 v4, 64, v50
	v_cmp_lt_i32_e64 s[16:17], v3, v4
	v_cndmask_b32_e64 v3, v3, v50, s[16:17]
	v_lshlrev_b32_e32 v3, 2, v3
	ds_bpermute_b32 v13, v3, v2
	v_cmp_eq_u32_e64 s[16:17], 0, v50
	s_and_saveexec_b64 s[36:37], vcc
	s_cbranch_execz .LBB1723_65
; %bb.43:
	v_mov_b32_e32 v11, 0
	ds_read_b32 v2, v11 offset:12
	s_and_saveexec_b64 s[38:39], s[16:17]
	s_cbranch_execz .LBB1723_45
; %bb.44:
	s_add_i32 s40, s6, 64
	s_mov_b32 s41, 0
	s_lshl_b64 s[40:41], s[40:41], 3
	s_add_u32 s40, s34, s40
	v_mov_b32_e32 v3, 1
	s_addc_u32 s41, s35, s41
	s_waitcnt lgkmcnt(0)
	global_store_dwordx2 v11, v[2:3], s[40:41]
.LBB1723_45:
	s_or_b64 exec, exec, s[38:39]
	v_xad_u32 v4, v50, -1, s6
	v_add_u32_e32 v10, 64, v4
	v_lshlrev_b64 v[6:7], 3, v[10:11]
	v_mov_b32_e32 v3, s35
	v_add_co_u32_e32 v6, vcc, s34, v6
	v_addc_co_u32_e32 v7, vcc, v3, v7, vcc
	global_load_dwordx2 v[8:9], v[6:7], off glc
	s_waitcnt vmcnt(0)
	v_cmp_eq_u16_sdwa s[40:41], v9, v11 src0_sel:BYTE_0 src1_sel:DWORD
	s_and_saveexec_b64 s[38:39], s[40:41]
	s_cbranch_execz .LBB1723_51
; %bb.46:
	s_mov_b32 s7, 1
	s_mov_b64 s[40:41], 0
	v_mov_b32_e32 v3, 0
.LBB1723_47:                            ; =>This Loop Header: Depth=1
                                        ;     Child Loop BB1723_48 Depth 2
	s_max_u32 s43, s7, 1
.LBB1723_48:                            ;   Parent Loop BB1723_47 Depth=1
                                        ; =>  This Inner Loop Header: Depth=2
	s_add_i32 s43, s43, -1
	s_cmp_eq_u32 s43, 0
	s_sleep 1
	s_cbranch_scc0 .LBB1723_48
; %bb.49:                               ;   in Loop: Header=BB1723_47 Depth=1
	global_load_dwordx2 v[8:9], v[6:7], off glc
	s_cmp_lt_u32 s7, 32
	s_cselect_b64 s[44:45], -1, 0
	s_cmp_lg_u64 s[44:45], 0
	s_addc_u32 s7, s7, 0
	s_waitcnt vmcnt(0)
	v_cmp_ne_u16_sdwa s[44:45], v9, v3 src0_sel:BYTE_0 src1_sel:DWORD
	s_or_b64 s[40:41], s[44:45], s[40:41]
	s_andn2_b64 exec, exec, s[40:41]
	s_cbranch_execnz .LBB1723_47
; %bb.50:
	s_or_b64 exec, exec, s[40:41]
.LBB1723_51:
	s_or_b64 exec, exec, s[38:39]
	v_and_b32_e32 v14, 63, v50
	v_mov_b32_e32 v3, 2
	v_cmp_ne_u32_e32 vcc, 63, v14
	v_cmp_eq_u16_sdwa s[38:39], v9, v3 src0_sel:BYTE_0 src1_sel:DWORD
	v_lshlrev_b64 v[6:7], v50, -1
	v_addc_co_u32_e32 v11, vcc, 0, v50, vcc
	v_and_b32_e32 v5, s39, v7
	v_lshlrev_b32_e32 v15, 2, v11
	v_or_b32_e32 v5, 0x80000000, v5
	ds_bpermute_b32 v11, v15, v8
	v_and_b32_e32 v10, s38, v6
	v_ffbl_b32_e32 v5, v5
	v_add_u32_e32 v5, 32, v5
	v_ffbl_b32_e32 v10, v10
	v_min_u32_e32 v5, v10, v5
	v_cmp_lt_u32_e32 vcc, v14, v5
	s_waitcnt lgkmcnt(0)
	v_cndmask_b32_e32 v10, 0, v11, vcc
	v_cmp_gt_u32_e32 vcc, 62, v14
	v_add_u32_e32 v8, v10, v8
	v_cndmask_b32_e64 v10, 0, 1, vcc
	v_lshlrev_b32_e32 v10, 1, v10
	v_add_lshl_u32 v16, v10, v50, 2
	ds_bpermute_b32 v10, v16, v8
	v_add_u32_e32 v17, 2, v14
	v_cmp_le_u32_e32 vcc, v17, v5
	v_add_u32_e32 v19, 4, v14
	v_add_u32_e32 v54, 8, v14
	s_waitcnt lgkmcnt(0)
	v_cndmask_b32_e32 v10, 0, v10, vcc
	v_cmp_gt_u32_e32 vcc, 60, v14
	v_add_u32_e32 v8, v8, v10
	v_cndmask_b32_e64 v10, 0, 1, vcc
	v_lshlrev_b32_e32 v10, 2, v10
	v_add_lshl_u32 v18, v10, v50, 2
	ds_bpermute_b32 v10, v18, v8
	v_cmp_le_u32_e32 vcc, v19, v5
	v_add_u32_e32 v57, 16, v14
	v_add_u32_e32 v59, 32, v14
	s_waitcnt lgkmcnt(0)
	v_cndmask_b32_e32 v10, 0, v10, vcc
	v_cmp_gt_u32_e32 vcc, 56, v14
	v_add_u32_e32 v8, v8, v10
	v_cndmask_b32_e64 v10, 0, 1, vcc
	v_lshlrev_b32_e32 v10, 3, v10
	v_add_lshl_u32 v53, v10, v50, 2
	ds_bpermute_b32 v10, v53, v8
	v_cmp_le_u32_e32 vcc, v54, v5
	s_waitcnt lgkmcnt(0)
	v_cndmask_b32_e32 v10, 0, v10, vcc
	v_cmp_gt_u32_e32 vcc, 48, v14
	v_add_u32_e32 v8, v8, v10
	v_cndmask_b32_e64 v10, 0, 1, vcc
	v_lshlrev_b32_e32 v10, 4, v10
	v_add_lshl_u32 v56, v10, v50, 2
	ds_bpermute_b32 v10, v56, v8
	v_cmp_le_u32_e32 vcc, v57, v5
	;; [unrolled: 9-line block ×3, first 2 shown]
	s_waitcnt lgkmcnt(0)
	v_cndmask_b32_e32 v5, 0, v10, vcc
	v_add_u32_e32 v8, v8, v5
	v_mov_b32_e32 v5, 0
	s_branch .LBB1723_53
.LBB1723_52:                            ;   in Loop: Header=BB1723_53 Depth=1
	s_or_b64 exec, exec, s[38:39]
	v_cmp_eq_u16_sdwa s[38:39], v9, v3 src0_sel:BYTE_0 src1_sel:DWORD
	v_and_b32_e32 v10, s39, v7
	v_or_b32_e32 v10, 0x80000000, v10
	ds_bpermute_b32 v60, v15, v8
	v_and_b32_e32 v11, s38, v6
	v_ffbl_b32_e32 v10, v10
	v_add_u32_e32 v10, 32, v10
	v_ffbl_b32_e32 v11, v11
	v_min_u32_e32 v10, v11, v10
	v_cmp_lt_u32_e32 vcc, v14, v10
	s_waitcnt lgkmcnt(0)
	v_cndmask_b32_e32 v11, 0, v60, vcc
	v_add_u32_e32 v8, v11, v8
	ds_bpermute_b32 v11, v16, v8
	v_cmp_le_u32_e32 vcc, v17, v10
	v_subrev_u32_e32 v4, 64, v4
	s_waitcnt lgkmcnt(0)
	v_cndmask_b32_e32 v11, 0, v11, vcc
	v_add_u32_e32 v8, v8, v11
	ds_bpermute_b32 v11, v18, v8
	v_cmp_le_u32_e32 vcc, v19, v10
	s_waitcnt lgkmcnt(0)
	v_cndmask_b32_e32 v11, 0, v11, vcc
	v_add_u32_e32 v8, v8, v11
	ds_bpermute_b32 v11, v53, v8
	v_cmp_le_u32_e32 vcc, v54, v10
	;; [unrolled: 5-line block ×4, first 2 shown]
	s_waitcnt lgkmcnt(0)
	v_cndmask_b32_e32 v10, 0, v11, vcc
	v_add3_u32 v8, v10, v55, v8
.LBB1723_53:                            ; =>This Loop Header: Depth=1
                                        ;     Child Loop BB1723_56 Depth 2
                                        ;       Child Loop BB1723_57 Depth 3
	v_cmp_ne_u16_sdwa s[38:39], v9, v3 src0_sel:BYTE_0 src1_sel:DWORD
	v_cndmask_b32_e64 v9, 0, 1, s[38:39]
	;;#ASMSTART
	;;#ASMEND
	v_cmp_ne_u32_e32 vcc, 0, v9
	s_cmp_lg_u64 vcc, exec
	v_mov_b32_e32 v55, v8
	s_cbranch_scc1 .LBB1723_60
; %bb.54:                               ;   in Loop: Header=BB1723_53 Depth=1
	v_lshlrev_b64 v[8:9], 3, v[4:5]
	v_mov_b32_e32 v11, s35
	v_add_co_u32_e32 v10, vcc, s34, v8
	v_addc_co_u32_e32 v11, vcc, v11, v9, vcc
	global_load_dwordx2 v[8:9], v[10:11], off glc
	s_waitcnt vmcnt(0)
	v_cmp_eq_u16_sdwa s[40:41], v9, v5 src0_sel:BYTE_0 src1_sel:DWORD
	s_and_saveexec_b64 s[38:39], s[40:41]
	s_cbranch_execz .LBB1723_52
; %bb.55:                               ;   in Loop: Header=BB1723_53 Depth=1
	s_mov_b32 s7, 1
	s_mov_b64 s[40:41], 0
.LBB1723_56:                            ;   Parent Loop BB1723_53 Depth=1
                                        ; =>  This Loop Header: Depth=2
                                        ;       Child Loop BB1723_57 Depth 3
	s_max_u32 s43, s7, 1
.LBB1723_57:                            ;   Parent Loop BB1723_53 Depth=1
                                        ;     Parent Loop BB1723_56 Depth=2
                                        ; =>    This Inner Loop Header: Depth=3
	s_add_i32 s43, s43, -1
	s_cmp_eq_u32 s43, 0
	s_sleep 1
	s_cbranch_scc0 .LBB1723_57
; %bb.58:                               ;   in Loop: Header=BB1723_56 Depth=2
	global_load_dwordx2 v[8:9], v[10:11], off glc
	s_cmp_lt_u32 s7, 32
	s_cselect_b64 s[44:45], -1, 0
	s_cmp_lg_u64 s[44:45], 0
	s_addc_u32 s7, s7, 0
	s_waitcnt vmcnt(0)
	v_cmp_ne_u16_sdwa s[44:45], v9, v5 src0_sel:BYTE_0 src1_sel:DWORD
	s_or_b64 s[40:41], s[44:45], s[40:41]
	s_andn2_b64 exec, exec, s[40:41]
	s_cbranch_execnz .LBB1723_56
; %bb.59:                               ;   in Loop: Header=BB1723_53 Depth=1
	s_or_b64 exec, exec, s[40:41]
	s_branch .LBB1723_52
.LBB1723_60:                            ;   in Loop: Header=BB1723_53 Depth=1
                                        ; implicit-def: $vgpr8
                                        ; implicit-def: $vgpr9
	s_cbranch_execz .LBB1723_53
; %bb.61:
	s_and_saveexec_b64 s[38:39], s[16:17]
	s_cbranch_execz .LBB1723_63
; %bb.62:
	s_add_i32 s6, s6, 64
	s_mov_b32 s7, 0
	s_lshl_b64 s[6:7], s[6:7], 3
	s_add_u32 s6, s34, s6
	v_add_u32_e32 v4, v55, v2
	v_mov_b32_e32 v5, 2
	s_addc_u32 s7, s35, s7
	v_mov_b32_e32 v3, 0
	global_store_dwordx2 v3, v[4:5], s[6:7]
	s_movk_i32 s6, 0x3400
	v_add_u32_e64 v3, s6, 0
	ds_write2_b32 v3, v2, v55 offset1:2
.LBB1723_63:
	s_or_b64 exec, exec, s[38:39]
	v_cmp_eq_u32_e32 vcc, 0, v0
	s_and_b64 exec, exec, vcc
	s_cbranch_execz .LBB1723_65
; %bb.64:
	v_mov_b32_e32 v2, 0
	ds_write_b32 v2, v55 offset:12
.LBB1723_65:
	s_or_b64 exec, exec, s[36:37]
	v_mov_b32_e32 v2, 0
	s_waitcnt lgkmcnt(0)
	s_barrier
	ds_read_b32 v2, v2 offset:12
	v_cndmask_b32_e64 v3, v13, v12, s[16:17]
	v_cmp_ne_u32_e32 vcc, 0, v0
	v_cndmask_b32_e32 v3, 0, v3, vcc
	s_movk_i32 s6, 0x3400
	s_waitcnt lgkmcnt(0)
	v_add_u32_e32 v2, v2, v3
	v_add_u32_e32 v3, v2, v41
	;; [unrolled: 1-line block ×8, first 2 shown]
	v_add_u32_e64 v12, s6, 0
	v_add_u32_e32 v10, v9, v39
	s_barrier
	ds_read2_b32 v[18:19], v12 offset1:2
	v_add_u32_e32 v11, v10, v47
	v_add_u32_e32 v12, v11, v48
	;; [unrolled: 1-line block ×4, first 2 shown]
	s_branch .LBB1723_76
.LBB1723_66:
                                        ; implicit-def: $vgpr19
                                        ; implicit-def: $vgpr2_vgpr3_vgpr4_vgpr5_vgpr6_vgpr7_vgpr8_vgpr9_vgpr10_vgpr11_vgpr12_vgpr13_vgpr14_vgpr15_vgpr16_vgpr17
	s_cbranch_execz .LBB1723_76
; %bb.67:
	s_nop 0
	v_mov_b32_dpp v2, v52 row_shr:1 row_mask:0xf bank_mask:0xf
	v_cndmask_b32_e64 v2, v2, 0, s[14:15]
	v_add_u32_e32 v2, v2, v52
	s_nop 1
	v_mov_b32_dpp v3, v2 row_shr:2 row_mask:0xf bank_mask:0xf
	v_cndmask_b32_e64 v3, 0, v3, s[12:13]
	v_add_u32_e32 v2, v2, v3
	;; [unrolled: 4-line block ×4, first 2 shown]
	s_nop 1
	v_mov_b32_dpp v3, v2 row_bcast:15 row_mask:0xf bank_mask:0xf
	v_cndmask_b32_e64 v3, v3, 0, s[18:19]
	v_add_u32_e32 v2, v2, v3
	s_nop 1
	v_mov_b32_dpp v3, v2 row_bcast:31 row_mask:0xf bank_mask:0xf
	v_cndmask_b32_e64 v3, 0, v3, s[2:3]
	v_add_u32_e32 v2, v2, v3
	s_and_saveexec_b64 s[2:3], s[4:5]
	s_cbranch_execz .LBB1723_69
; %bb.68:
	v_lshlrev_b32_e32 v3, 2, v51
	ds_write_b32 v3, v2
.LBB1723_69:
	s_or_b64 exec, exec, s[2:3]
	v_cmp_gt_u32_e32 vcc, 4, v0
	s_waitcnt lgkmcnt(0)
	s_barrier
	s_and_saveexec_b64 s[2:3], vcc
	s_cbranch_execz .LBB1723_71
; %bb.70:
	ds_read_b32 v3, v1
	v_and_b32_e32 v4, 3, v50
	v_cmp_ne_u32_e32 vcc, 0, v4
	s_waitcnt lgkmcnt(0)
	v_mov_b32_dpp v5, v3 row_shr:1 row_mask:0xf bank_mask:0xf
	v_cndmask_b32_e32 v5, 0, v5, vcc
	v_add_u32_e32 v3, v5, v3
	v_cmp_lt_u32_e32 vcc, 1, v4
	s_nop 0
	v_mov_b32_dpp v5, v3 row_shr:2 row_mask:0xf bank_mask:0xf
	v_cndmask_b32_e32 v4, 0, v5, vcc
	v_add_u32_e32 v3, v3, v4
	ds_write_b32 v1, v3
.LBB1723_71:
	s_or_b64 exec, exec, s[2:3]
	v_cmp_lt_u32_e32 vcc, 63, v0
	v_mov_b32_e32 v4, 0
	v_mov_b32_e32 v3, 0
	s_waitcnt lgkmcnt(0)
	s_barrier
	s_and_saveexec_b64 s[2:3], vcc
	s_cbranch_execz .LBB1723_73
; %bb.72:
	v_lshl_add_u32 v3, v51, 2, -4
	ds_read_b32 v3, v3
.LBB1723_73:
	s_or_b64 exec, exec, s[2:3]
	v_add_u32_e32 v5, -1, v50
	v_and_b32_e32 v6, 64, v50
	v_cmp_lt_i32_e32 vcc, v5, v6
	v_cndmask_b32_e32 v5, v5, v50, vcc
	s_waitcnt lgkmcnt(0)
	v_add_u32_e32 v2, v3, v2
	v_lshlrev_b32_e32 v5, 2, v5
	ds_bpermute_b32 v2, v5, v2
	ds_read_b32 v18, v4 offset:12
	v_cmp_eq_u32_e32 vcc, 0, v0
	s_and_saveexec_b64 s[2:3], vcc
	s_cbranch_execz .LBB1723_75
; %bb.74:
	v_mov_b32_e32 v4, 0
	v_mov_b32_e32 v19, 2
	s_waitcnt lgkmcnt(0)
	global_store_dwordx2 v4, v[18:19], s[34:35] offset:512
.LBB1723_75:
	s_or_b64 exec, exec, s[2:3]
	v_cmp_eq_u32_e64 s[2:3], 0, v50
	s_waitcnt lgkmcnt(1)
	v_cndmask_b32_e64 v2, v2, v3, s[2:3]
	v_cndmask_b32_e64 v2, v2, 0, vcc
	v_add_u32_e32 v3, v2, v41
	v_add_u32_e32 v4, v3, v42
	;; [unrolled: 1-line block ×11, first 2 shown]
	v_mov_b32_e32 v19, 0
	v_add_u32_e32 v14, v13, v38
	s_waitcnt lgkmcnt(0)
	s_barrier
.LBB1723_76:
	s_waitcnt lgkmcnt(0)
	v_add_u32_e32 v33, v18, v33
	v_sub_u32_e32 v2, v2, v19
	v_and_b32_e32 v42, 1, v37
	v_sub_u32_e32 v41, v33, v2
	v_cmp_eq_u32_e32 vcc, 1, v42
	v_cndmask_b32_e32 v2, v41, v2, vcc
	v_lshlrev_b32_e32 v2, 2, v2
	v_lshrrev_b32_e32 v17, 8, v37
	ds_write_b32 v2, v30
	v_sub_u32_e32 v2, v3, v19
	v_sub_u32_e32 v3, v33, v2
	v_and_b32_e32 v17, 1, v17
	v_add_u32_e32 v3, 1, v3
	v_cmp_eq_u32_e32 vcc, 1, v17
	v_cndmask_b32_e32 v2, v3, v2, vcc
	v_lshlrev_b32_e32 v2, 2, v2
	ds_write_b32 v2, v31
	v_sub_u32_e32 v2, v4, v19
	v_mov_b32_e32 v4, 1
	v_sub_u32_e32 v3, v33, v2
	v_and_b32_sdwa v17, v4, v37 dst_sel:DWORD dst_unused:UNUSED_PAD src0_sel:DWORD src1_sel:WORD_1
	v_add_u32_e32 v3, 2, v3
	v_cmp_eq_u32_e32 vcc, 1, v17
	v_cndmask_b32_e32 v2, v3, v2, vcc
	v_lshlrev_b32_e32 v2, 2, v2
	ds_write_b32 v2, v28
	v_sub_u32_e32 v2, v5, v19
	v_sub_u32_e32 v3, v33, v2
	v_and_b32_e32 v5, 1, v40
	v_add_u32_e32 v3, 3, v3
	v_cmp_eq_u32_e32 vcc, 1, v5
	v_cndmask_b32_e32 v2, v3, v2, vcc
	v_lshlrev_b32_e32 v2, 2, v2
	ds_write_b32 v2, v29
	v_sub_u32_e32 v2, v6, v19
	v_sub_u32_e32 v3, v33, v2
	v_and_b32_e32 v5, 1, v36
	v_add_u32_e32 v3, 4, v3
	v_cmp_eq_u32_e32 vcc, 1, v5
	v_cndmask_b32_e32 v2, v3, v2, vcc
	v_lshlrev_b32_e32 v2, 2, v2
	v_lshrrev_b32_e32 v16, 8, v36
	ds_write_b32 v2, v26
	v_sub_u32_e32 v2, v7, v19
	v_sub_u32_e32 v3, v33, v2
	v_and_b32_e32 v5, 1, v16
	v_add_u32_e32 v3, 5, v3
	v_cmp_eq_u32_e32 vcc, 1, v5
	v_cndmask_b32_e32 v2, v3, v2, vcc
	v_lshlrev_b32_e32 v2, 2, v2
	ds_write_b32 v2, v27
	v_sub_u32_e32 v2, v8, v19
	v_sub_u32_e32 v3, v33, v2
	v_and_b32_sdwa v5, v4, v36 dst_sel:DWORD dst_unused:UNUSED_PAD src0_sel:DWORD src1_sel:WORD_1
	v_add_u32_e32 v3, 6, v3
	v_cmp_eq_u32_e32 vcc, 1, v5
	v_cndmask_b32_e32 v2, v3, v2, vcc
	v_lshlrev_b32_e32 v2, 2, v2
	ds_write_b32 v2, v24
	v_sub_u32_e32 v2, v9, v19
	v_sub_u32_e32 v3, v33, v2
	v_and_b32_e32 v5, 1, v39
	v_add_u32_e32 v3, 7, v3
	v_cmp_eq_u32_e32 vcc, 1, v5
	v_cndmask_b32_e32 v2, v3, v2, vcc
	v_lshlrev_b32_e32 v2, 2, v2
	ds_write_b32 v2, v25
	v_sub_u32_e32 v2, v10, v19
	v_sub_u32_e32 v3, v33, v2
	v_and_b32_e32 v5, 1, v35
	v_add_u32_e32 v3, 8, v3
	v_cmp_eq_u32_e32 vcc, 1, v5
	v_cndmask_b32_e32 v2, v3, v2, vcc
	v_lshlrev_b32_e32 v2, 2, v2
	v_lshrrev_b32_e32 v15, 8, v35
	ds_write_b32 v2, v22
	v_sub_u32_e32 v2, v11, v19
	v_sub_u32_e32 v3, v33, v2
	v_and_b32_e32 v5, 1, v15
	v_add_u32_e32 v3, 9, v3
	v_cmp_eq_u32_e32 vcc, 1, v5
	v_cndmask_b32_e32 v2, v3, v2, vcc
	v_lshlrev_b32_e32 v2, 2, v2
	ds_write_b32 v2, v23
	v_sub_u32_e32 v2, v12, v19
	v_sub_u32_e32 v3, v33, v2
	v_and_b32_sdwa v4, v4, v35 dst_sel:DWORD dst_unused:UNUSED_PAD src0_sel:DWORD src1_sel:WORD_1
	v_add_u32_e32 v3, 10, v3
	v_cmp_eq_u32_e32 vcc, 1, v4
	v_cndmask_b32_e32 v2, v3, v2, vcc
	v_lshlrev_b32_e32 v2, 2, v2
	ds_write_b32 v2, v20
	v_sub_u32_e32 v2, v13, v19
	v_sub_u32_e32 v3, v33, v2
	v_and_b32_e32 v4, 1, v38
	v_add_u32_e32 v3, 11, v3
	v_cmp_eq_u32_e32 vcc, 1, v4
	v_cndmask_b32_e32 v2, v3, v2, vcc
	v_lshlrev_b32_e32 v2, 2, v2
	ds_write_b32 v2, v21
	v_sub_u32_e32 v2, v14, v19
	v_sub_u32_e32 v3, v33, v2
	v_and_b32_e32 v4, 1, v34
	v_add_u32_e32 v3, 12, v3
	v_cmp_eq_u32_e32 vcc, 1, v4
	v_cndmask_b32_e32 v2, v3, v2, vcc
	s_add_u32 s2, s28, s42
	v_lshlrev_b32_e32 v2, 2, v2
	s_addc_u32 s3, s29, 0
	ds_write_b32 v2, v32
	s_waitcnt lgkmcnt(0)
	s_barrier
	ds_read2st64_b32 v[12:13], v1 offset1:4
	ds_read2st64_b32 v[10:11], v1 offset0:8 offset1:12
	ds_read2st64_b32 v[8:9], v1 offset0:16 offset1:20
	;; [unrolled: 1-line block ×5, first 2 shown]
	ds_read_b32 v17, v1 offset:12288
	v_mov_b32_e32 v14, s31
	v_add_co_u32_e32 v1, vcc, s30, v19
	s_sub_u32 s2, s26, s2
	v_addc_co_u32_e32 v16, vcc, 0, v14, vcc
	s_subb_u32 s3, s27, s3
	v_mov_b32_e32 v14, s3
	v_add_co_u32_e32 v15, vcc, s2, v18
	v_addc_co_u32_e32 v14, vcc, 0, v14, vcc
	s_and_b64 vcc, exec, s[0:1]
	v_add_co_u32_e64 v19, s[0:1], v15, v1
	v_or_b32_e32 v32, 0x100, v0
	v_or_b32_e32 v31, 0x200, v0
	;; [unrolled: 1-line block ×12, first 2 shown]
	v_addc_co_u32_e64 v21, s[0:1], v14, v16, s[0:1]
	s_cbranch_vccnz .LBB1723_130
; %bb.77:
	v_cmp_ge_u32_e32 vcc, v0, v18
                                        ; implicit-def: $vgpr14_vgpr15
	s_and_saveexec_b64 s[0:1], vcc
	s_xor_b64 s[0:1], exec, s[0:1]
; %bb.78:
	v_not_b32_e32 v14, v0
	v_ashrrev_i32_e32 v15, 31, v14
	v_add_co_u32_e32 v14, vcc, v19, v14
	v_addc_co_u32_e32 v15, vcc, v21, v15, vcc
; %bb.79:
	s_andn2_saveexec_b64 s[0:1], s[0:1]
; %bb.80:
	v_add_co_u32_e32 v14, vcc, v1, v0
	v_addc_co_u32_e32 v15, vcc, 0, v16, vcc
; %bb.81:
	s_or_b64 exec, exec, s[0:1]
	v_lshlrev_b64 v[14:15], 2, v[14:15]
	v_mov_b32_e32 v33, s25
	v_add_co_u32_e32 v14, vcc, s24, v14
	v_addc_co_u32_e32 v15, vcc, v33, v15, vcc
	v_cmp_ge_u32_e32 vcc, v32, v18
	s_waitcnt lgkmcnt(6)
	global_store_dword v[14:15], v12, off
                                        ; implicit-def: $vgpr14_vgpr15
	s_and_saveexec_b64 s[0:1], vcc
	s_xor_b64 s[0:1], exec, s[0:1]
; %bb.82:
	v_xor_b32_e32 v14, 0xfffffeff, v0
	v_ashrrev_i32_e32 v15, 31, v14
	v_add_co_u32_e32 v14, vcc, v19, v14
	v_addc_co_u32_e32 v15, vcc, v21, v15, vcc
; %bb.83:
	s_andn2_saveexec_b64 s[0:1], s[0:1]
; %bb.84:
	v_add_co_u32_e32 v14, vcc, v1, v32
	v_addc_co_u32_e32 v15, vcc, 0, v16, vcc
; %bb.85:
	s_or_b64 exec, exec, s[0:1]
	v_lshlrev_b64 v[14:15], 2, v[14:15]
	v_mov_b32_e32 v33, s25
	v_add_co_u32_e32 v14, vcc, s24, v14
	v_addc_co_u32_e32 v15, vcc, v33, v15, vcc
	v_cmp_ge_u32_e32 vcc, v31, v18
	global_store_dword v[14:15], v13, off
                                        ; implicit-def: $vgpr14_vgpr15
	s_and_saveexec_b64 s[0:1], vcc
	s_xor_b64 s[0:1], exec, s[0:1]
; %bb.86:
	v_xor_b32_e32 v14, 0xfffffdff, v0
	v_ashrrev_i32_e32 v15, 31, v14
	v_add_co_u32_e32 v14, vcc, v19, v14
	v_addc_co_u32_e32 v15, vcc, v21, v15, vcc
; %bb.87:
	s_andn2_saveexec_b64 s[0:1], s[0:1]
; %bb.88:
	v_add_co_u32_e32 v14, vcc, v1, v31
	v_addc_co_u32_e32 v15, vcc, 0, v16, vcc
; %bb.89:
	s_or_b64 exec, exec, s[0:1]
	v_lshlrev_b64 v[14:15], 2, v[14:15]
	v_mov_b32_e32 v33, s25
	v_add_co_u32_e32 v14, vcc, s24, v14
	v_addc_co_u32_e32 v15, vcc, v33, v15, vcc
	v_cmp_ge_u32_e32 vcc, v30, v18
	s_waitcnt lgkmcnt(5)
	global_store_dword v[14:15], v10, off
                                        ; implicit-def: $vgpr14_vgpr15
	s_and_saveexec_b64 s[0:1], vcc
	s_xor_b64 s[0:1], exec, s[0:1]
; %bb.90:
	v_xor_b32_e32 v14, 0xfffffcff, v0
	v_ashrrev_i32_e32 v15, 31, v14
	v_add_co_u32_e32 v14, vcc, v19, v14
	v_addc_co_u32_e32 v15, vcc, v21, v15, vcc
; %bb.91:
	s_andn2_saveexec_b64 s[0:1], s[0:1]
; %bb.92:
	v_add_co_u32_e32 v14, vcc, v1, v30
	v_addc_co_u32_e32 v15, vcc, 0, v16, vcc
; %bb.93:
	s_or_b64 exec, exec, s[0:1]
	v_lshlrev_b64 v[14:15], 2, v[14:15]
	v_mov_b32_e32 v33, s25
	v_add_co_u32_e32 v14, vcc, s24, v14
	v_addc_co_u32_e32 v15, vcc, v33, v15, vcc
	v_cmp_ge_u32_e32 vcc, v29, v18
	global_store_dword v[14:15], v11, off
                                        ; implicit-def: $vgpr14_vgpr15
	s_and_saveexec_b64 s[0:1], vcc
	s_xor_b64 s[0:1], exec, s[0:1]
; %bb.94:
	v_xor_b32_e32 v14, 0xfffffbff, v0
	;; [unrolled: 43-line block ×6, first 2 shown]
	v_ashrrev_i32_e32 v15, 31, v14
	v_add_co_u32_e32 v14, vcc, v19, v14
	v_addc_co_u32_e32 v15, vcc, v21, v15, vcc
; %bb.127:
	s_andn2_saveexec_b64 s[0:1], s[0:1]
; %bb.128:
	v_add_co_u32_e32 v14, vcc, v1, v20
	v_addc_co_u32_e32 v15, vcc, 0, v16, vcc
; %bb.129:
	s_or_b64 exec, exec, s[0:1]
	s_mov_b64 s[0:1], -1
	s_branch .LBB1723_210
.LBB1723_130:
	s_mov_b64 s[0:1], 0
                                        ; implicit-def: $vgpr14_vgpr15
	s_cbranch_execz .LBB1723_210
; %bb.131:
	v_cmp_gt_u32_e32 vcc, s33, v0
	s_and_saveexec_b64 s[2:3], vcc
	s_cbranch_execz .LBB1723_167
; %bb.132:
	v_cmp_ge_u32_e32 vcc, v0, v18
                                        ; implicit-def: $vgpr14_vgpr15
	s_and_saveexec_b64 s[4:5], vcc
	s_xor_b64 s[4:5], exec, s[4:5]
; %bb.133:
	v_not_b32_e32 v14, v0
	v_ashrrev_i32_e32 v15, 31, v14
	v_add_co_u32_e32 v14, vcc, v19, v14
	v_addc_co_u32_e32 v15, vcc, v21, v15, vcc
; %bb.134:
	s_andn2_saveexec_b64 s[4:5], s[4:5]
; %bb.135:
	v_add_co_u32_e32 v14, vcc, v1, v0
	v_addc_co_u32_e32 v15, vcc, 0, v16, vcc
; %bb.136:
	s_or_b64 exec, exec, s[4:5]
	v_lshlrev_b64 v[14:15], 2, v[14:15]
	v_mov_b32_e32 v33, s25
	v_add_co_u32_e32 v14, vcc, s24, v14
	v_addc_co_u32_e32 v15, vcc, v33, v15, vcc
	s_waitcnt lgkmcnt(6)
	global_store_dword v[14:15], v12, off
	s_or_b64 exec, exec, s[2:3]
	v_cmp_gt_u32_e32 vcc, s33, v32
	s_and_saveexec_b64 s[2:3], vcc
	s_cbranch_execnz .LBB1723_168
.LBB1723_137:
	s_or_b64 exec, exec, s[2:3]
	v_cmp_gt_u32_e32 vcc, s33, v31
	s_and_saveexec_b64 s[2:3], vcc
	s_cbranch_execz .LBB1723_173
.LBB1723_138:
	v_cmp_ge_u32_e32 vcc, v31, v18
                                        ; implicit-def: $vgpr12_vgpr13
	s_and_saveexec_b64 s[4:5], vcc
	s_xor_b64 s[4:5], exec, s[4:5]
	s_cbranch_execz .LBB1723_140
; %bb.139:
	s_waitcnt lgkmcnt(6)
	v_xor_b32_e32 v12, 0xfffffdff, v0
	v_ashrrev_i32_e32 v13, 31, v12
	v_add_co_u32_e32 v12, vcc, v19, v12
	v_addc_co_u32_e32 v13, vcc, v21, v13, vcc
                                        ; implicit-def: $vgpr31
.LBB1723_140:
	s_andn2_saveexec_b64 s[4:5], s[4:5]
	s_cbranch_execz .LBB1723_142
; %bb.141:
	s_waitcnt lgkmcnt(6)
	v_add_co_u32_e32 v12, vcc, v1, v31
	v_addc_co_u32_e32 v13, vcc, 0, v16, vcc
.LBB1723_142:
	s_or_b64 exec, exec, s[4:5]
	s_waitcnt lgkmcnt(6)
	v_lshlrev_b64 v[12:13], 2, v[12:13]
	v_mov_b32_e32 v14, s25
	v_add_co_u32_e32 v12, vcc, s24, v12
	v_addc_co_u32_e32 v13, vcc, v14, v13, vcc
	s_waitcnt lgkmcnt(5)
	global_store_dword v[12:13], v10, off
	s_or_b64 exec, exec, s[2:3]
	v_cmp_gt_u32_e32 vcc, s33, v30
	s_and_saveexec_b64 s[2:3], vcc
	s_cbranch_execnz .LBB1723_174
.LBB1723_143:
	s_or_b64 exec, exec, s[2:3]
	v_cmp_gt_u32_e32 vcc, s33, v29
	s_and_saveexec_b64 s[2:3], vcc
	s_cbranch_execz .LBB1723_179
.LBB1723_144:
	v_cmp_ge_u32_e32 vcc, v29, v18
                                        ; implicit-def: $vgpr10_vgpr11
	s_and_saveexec_b64 s[4:5], vcc
	s_xor_b64 s[4:5], exec, s[4:5]
	s_cbranch_execz .LBB1723_146
; %bb.145:
	s_waitcnt lgkmcnt(5)
	v_xor_b32_e32 v10, 0xfffffbff, v0
	v_ashrrev_i32_e32 v11, 31, v10
	v_add_co_u32_e32 v10, vcc, v19, v10
	v_addc_co_u32_e32 v11, vcc, v21, v11, vcc
                                        ; implicit-def: $vgpr29
.LBB1723_146:
	s_andn2_saveexec_b64 s[4:5], s[4:5]
	s_cbranch_execz .LBB1723_148
; %bb.147:
	s_waitcnt lgkmcnt(5)
	v_add_co_u32_e32 v10, vcc, v1, v29
	v_addc_co_u32_e32 v11, vcc, 0, v16, vcc
.LBB1723_148:
	s_or_b64 exec, exec, s[4:5]
	s_waitcnt lgkmcnt(5)
	v_lshlrev_b64 v[10:11], 2, v[10:11]
	v_mov_b32_e32 v12, s25
	v_add_co_u32_e32 v10, vcc, s24, v10
	v_addc_co_u32_e32 v11, vcc, v12, v11, vcc
	s_waitcnt lgkmcnt(4)
	global_store_dword v[10:11], v8, off
	s_or_b64 exec, exec, s[2:3]
	v_cmp_gt_u32_e32 vcc, s33, v28
	s_and_saveexec_b64 s[2:3], vcc
	s_cbranch_execnz .LBB1723_180
.LBB1723_149:
	s_or_b64 exec, exec, s[2:3]
	v_cmp_gt_u32_e32 vcc, s33, v27
	s_and_saveexec_b64 s[2:3], vcc
	s_cbranch_execz .LBB1723_185
.LBB1723_150:
	v_cmp_ge_u32_e32 vcc, v27, v18
                                        ; implicit-def: $vgpr8_vgpr9
	s_and_saveexec_b64 s[4:5], vcc
	s_xor_b64 s[4:5], exec, s[4:5]
	s_cbranch_execz .LBB1723_152
; %bb.151:
	s_waitcnt lgkmcnt(4)
	v_xor_b32_e32 v8, 0xfffff9ff, v0
	v_ashrrev_i32_e32 v9, 31, v8
	v_add_co_u32_e32 v8, vcc, v19, v8
	v_addc_co_u32_e32 v9, vcc, v21, v9, vcc
                                        ; implicit-def: $vgpr27
.LBB1723_152:
	s_andn2_saveexec_b64 s[4:5], s[4:5]
	s_cbranch_execz .LBB1723_154
; %bb.153:
	s_waitcnt lgkmcnt(4)
	v_add_co_u32_e32 v8, vcc, v1, v27
	v_addc_co_u32_e32 v9, vcc, 0, v16, vcc
.LBB1723_154:
	s_or_b64 exec, exec, s[4:5]
	s_waitcnt lgkmcnt(4)
	v_lshlrev_b64 v[8:9], 2, v[8:9]
	v_mov_b32_e32 v10, s25
	v_add_co_u32_e32 v8, vcc, s24, v8
	v_addc_co_u32_e32 v9, vcc, v10, v9, vcc
	s_waitcnt lgkmcnt(3)
	global_store_dword v[8:9], v6, off
	s_or_b64 exec, exec, s[2:3]
	v_cmp_gt_u32_e32 vcc, s33, v26
	s_and_saveexec_b64 s[2:3], vcc
	s_cbranch_execnz .LBB1723_186
.LBB1723_155:
	s_or_b64 exec, exec, s[2:3]
	v_cmp_gt_u32_e32 vcc, s33, v25
	s_and_saveexec_b64 s[2:3], vcc
	s_cbranch_execz .LBB1723_191
.LBB1723_156:
	v_cmp_ge_u32_e32 vcc, v25, v18
                                        ; implicit-def: $vgpr6_vgpr7
	s_and_saveexec_b64 s[4:5], vcc
	s_xor_b64 s[4:5], exec, s[4:5]
	s_cbranch_execz .LBB1723_158
; %bb.157:
	s_waitcnt lgkmcnt(3)
	v_xor_b32_e32 v6, 0xfffff7ff, v0
	v_ashrrev_i32_e32 v7, 31, v6
	v_add_co_u32_e32 v6, vcc, v19, v6
	v_addc_co_u32_e32 v7, vcc, v21, v7, vcc
                                        ; implicit-def: $vgpr25
.LBB1723_158:
	s_andn2_saveexec_b64 s[4:5], s[4:5]
	s_cbranch_execz .LBB1723_160
; %bb.159:
	s_waitcnt lgkmcnt(3)
	v_add_co_u32_e32 v6, vcc, v1, v25
	v_addc_co_u32_e32 v7, vcc, 0, v16, vcc
.LBB1723_160:
	s_or_b64 exec, exec, s[4:5]
	s_waitcnt lgkmcnt(3)
	v_lshlrev_b64 v[6:7], 2, v[6:7]
	v_mov_b32_e32 v8, s25
	v_add_co_u32_e32 v6, vcc, s24, v6
	v_addc_co_u32_e32 v7, vcc, v8, v7, vcc
	s_waitcnt lgkmcnt(2)
	global_store_dword v[6:7], v4, off
	s_or_b64 exec, exec, s[2:3]
	v_cmp_gt_u32_e32 vcc, s33, v24
	s_and_saveexec_b64 s[2:3], vcc
	s_cbranch_execnz .LBB1723_192
.LBB1723_161:
	s_or_b64 exec, exec, s[2:3]
	v_cmp_gt_u32_e32 vcc, s33, v23
	s_and_saveexec_b64 s[2:3], vcc
	s_cbranch_execz .LBB1723_197
.LBB1723_162:
	v_cmp_ge_u32_e32 vcc, v23, v18
                                        ; implicit-def: $vgpr4_vgpr5
	s_and_saveexec_b64 s[4:5], vcc
	s_xor_b64 s[4:5], exec, s[4:5]
	s_cbranch_execz .LBB1723_164
; %bb.163:
	s_waitcnt lgkmcnt(2)
	v_xor_b32_e32 v4, 0xfffff5ff, v0
	v_ashrrev_i32_e32 v5, 31, v4
	v_add_co_u32_e32 v4, vcc, v19, v4
	v_addc_co_u32_e32 v5, vcc, v21, v5, vcc
                                        ; implicit-def: $vgpr23
.LBB1723_164:
	s_andn2_saveexec_b64 s[4:5], s[4:5]
	s_cbranch_execz .LBB1723_166
; %bb.165:
	s_waitcnt lgkmcnt(2)
	v_add_co_u32_e32 v4, vcc, v1, v23
	v_addc_co_u32_e32 v5, vcc, 0, v16, vcc
.LBB1723_166:
	s_or_b64 exec, exec, s[4:5]
	s_waitcnt lgkmcnt(2)
	v_lshlrev_b64 v[4:5], 2, v[4:5]
	v_mov_b32_e32 v6, s25
	v_add_co_u32_e32 v4, vcc, s24, v4
	v_addc_co_u32_e32 v5, vcc, v6, v5, vcc
	s_waitcnt lgkmcnt(1)
	global_store_dword v[4:5], v2, off
	s_or_b64 exec, exec, s[2:3]
	v_cmp_gt_u32_e32 vcc, s33, v22
	s_and_saveexec_b64 s[2:3], vcc
	s_cbranch_execz .LBB1723_203
	s_branch .LBB1723_198
.LBB1723_167:
	s_or_b64 exec, exec, s[2:3]
	v_cmp_gt_u32_e32 vcc, s33, v32
	s_and_saveexec_b64 s[2:3], vcc
	s_cbranch_execz .LBB1723_137
.LBB1723_168:
	v_cmp_ge_u32_e32 vcc, v32, v18
                                        ; implicit-def: $vgpr14_vgpr15
	s_and_saveexec_b64 s[4:5], vcc
	s_xor_b64 s[4:5], exec, s[4:5]
	s_cbranch_execz .LBB1723_170
; %bb.169:
	s_waitcnt lgkmcnt(6)
	v_xor_b32_e32 v12, 0xfffffeff, v0
	v_ashrrev_i32_e32 v15, 31, v12
	v_add_co_u32_e32 v14, vcc, v19, v12
	v_addc_co_u32_e32 v15, vcc, v21, v15, vcc
                                        ; implicit-def: $vgpr32
.LBB1723_170:
	s_andn2_saveexec_b64 s[4:5], s[4:5]
; %bb.171:
	v_add_co_u32_e32 v14, vcc, v1, v32
	v_addc_co_u32_e32 v15, vcc, 0, v16, vcc
; %bb.172:
	s_or_b64 exec, exec, s[4:5]
	v_lshlrev_b64 v[14:15], 2, v[14:15]
	s_waitcnt lgkmcnt(6)
	v_mov_b32_e32 v12, s25
	v_add_co_u32_e32 v14, vcc, s24, v14
	v_addc_co_u32_e32 v15, vcc, v12, v15, vcc
	global_store_dword v[14:15], v13, off
	s_or_b64 exec, exec, s[2:3]
	v_cmp_gt_u32_e32 vcc, s33, v31
	s_and_saveexec_b64 s[2:3], vcc
	s_cbranch_execnz .LBB1723_138
.LBB1723_173:
	s_or_b64 exec, exec, s[2:3]
	v_cmp_gt_u32_e32 vcc, s33, v30
	s_and_saveexec_b64 s[2:3], vcc
	s_cbranch_execz .LBB1723_143
.LBB1723_174:
	v_cmp_ge_u32_e32 vcc, v30, v18
                                        ; implicit-def: $vgpr12_vgpr13
	s_and_saveexec_b64 s[4:5], vcc
	s_xor_b64 s[4:5], exec, s[4:5]
	s_cbranch_execz .LBB1723_176
; %bb.175:
	s_waitcnt lgkmcnt(5)
	v_xor_b32_e32 v10, 0xfffffcff, v0
	v_ashrrev_i32_e32 v13, 31, v10
	v_add_co_u32_e32 v12, vcc, v19, v10
	v_addc_co_u32_e32 v13, vcc, v21, v13, vcc
                                        ; implicit-def: $vgpr30
.LBB1723_176:
	s_andn2_saveexec_b64 s[4:5], s[4:5]
	s_cbranch_execz .LBB1723_178
; %bb.177:
	s_waitcnt lgkmcnt(6)
	v_add_co_u32_e32 v12, vcc, v1, v30
	v_addc_co_u32_e32 v13, vcc, 0, v16, vcc
.LBB1723_178:
	s_or_b64 exec, exec, s[4:5]
	s_waitcnt lgkmcnt(6)
	v_lshlrev_b64 v[12:13], 2, v[12:13]
	s_waitcnt lgkmcnt(5)
	v_mov_b32_e32 v10, s25
	v_add_co_u32_e32 v12, vcc, s24, v12
	v_addc_co_u32_e32 v13, vcc, v10, v13, vcc
	global_store_dword v[12:13], v11, off
	s_or_b64 exec, exec, s[2:3]
	v_cmp_gt_u32_e32 vcc, s33, v29
	s_and_saveexec_b64 s[2:3], vcc
	s_cbranch_execnz .LBB1723_144
.LBB1723_179:
	s_or_b64 exec, exec, s[2:3]
	v_cmp_gt_u32_e32 vcc, s33, v28
	s_and_saveexec_b64 s[2:3], vcc
	s_cbranch_execz .LBB1723_149
.LBB1723_180:
	v_cmp_ge_u32_e32 vcc, v28, v18
                                        ; implicit-def: $vgpr10_vgpr11
	s_and_saveexec_b64 s[4:5], vcc
	s_xor_b64 s[4:5], exec, s[4:5]
	s_cbranch_execz .LBB1723_182
; %bb.181:
	s_waitcnt lgkmcnt(4)
	v_xor_b32_e32 v8, 0xfffffaff, v0
	v_ashrrev_i32_e32 v11, 31, v8
	v_add_co_u32_e32 v10, vcc, v19, v8
	v_addc_co_u32_e32 v11, vcc, v21, v11, vcc
                                        ; implicit-def: $vgpr28
.LBB1723_182:
	s_andn2_saveexec_b64 s[4:5], s[4:5]
	s_cbranch_execz .LBB1723_184
; %bb.183:
	s_waitcnt lgkmcnt(5)
	v_add_co_u32_e32 v10, vcc, v1, v28
	v_addc_co_u32_e32 v11, vcc, 0, v16, vcc
.LBB1723_184:
	s_or_b64 exec, exec, s[4:5]
	s_waitcnt lgkmcnt(5)
	v_lshlrev_b64 v[10:11], 2, v[10:11]
	s_waitcnt lgkmcnt(4)
	v_mov_b32_e32 v8, s25
	v_add_co_u32_e32 v10, vcc, s24, v10
	v_addc_co_u32_e32 v11, vcc, v8, v11, vcc
	global_store_dword v[10:11], v9, off
	s_or_b64 exec, exec, s[2:3]
	v_cmp_gt_u32_e32 vcc, s33, v27
	s_and_saveexec_b64 s[2:3], vcc
	s_cbranch_execnz .LBB1723_150
.LBB1723_185:
	s_or_b64 exec, exec, s[2:3]
	v_cmp_gt_u32_e32 vcc, s33, v26
	s_and_saveexec_b64 s[2:3], vcc
	s_cbranch_execz .LBB1723_155
.LBB1723_186:
	v_cmp_ge_u32_e32 vcc, v26, v18
                                        ; implicit-def: $vgpr8_vgpr9
	s_and_saveexec_b64 s[4:5], vcc
	s_xor_b64 s[4:5], exec, s[4:5]
	s_cbranch_execz .LBB1723_188
; %bb.187:
	s_waitcnt lgkmcnt(3)
	v_xor_b32_e32 v6, 0xfffff8ff, v0
	v_ashrrev_i32_e32 v9, 31, v6
	v_add_co_u32_e32 v8, vcc, v19, v6
	v_addc_co_u32_e32 v9, vcc, v21, v9, vcc
                                        ; implicit-def: $vgpr26
.LBB1723_188:
	s_andn2_saveexec_b64 s[4:5], s[4:5]
	s_cbranch_execz .LBB1723_190
; %bb.189:
	s_waitcnt lgkmcnt(4)
	v_add_co_u32_e32 v8, vcc, v1, v26
	v_addc_co_u32_e32 v9, vcc, 0, v16, vcc
.LBB1723_190:
	s_or_b64 exec, exec, s[4:5]
	s_waitcnt lgkmcnt(4)
	v_lshlrev_b64 v[8:9], 2, v[8:9]
	s_waitcnt lgkmcnt(3)
	v_mov_b32_e32 v6, s25
	v_add_co_u32_e32 v8, vcc, s24, v8
	v_addc_co_u32_e32 v9, vcc, v6, v9, vcc
	global_store_dword v[8:9], v7, off
	s_or_b64 exec, exec, s[2:3]
	v_cmp_gt_u32_e32 vcc, s33, v25
	s_and_saveexec_b64 s[2:3], vcc
	s_cbranch_execnz .LBB1723_156
.LBB1723_191:
	s_or_b64 exec, exec, s[2:3]
	v_cmp_gt_u32_e32 vcc, s33, v24
	s_and_saveexec_b64 s[2:3], vcc
	s_cbranch_execz .LBB1723_161
.LBB1723_192:
	v_cmp_ge_u32_e32 vcc, v24, v18
                                        ; implicit-def: $vgpr6_vgpr7
	s_and_saveexec_b64 s[4:5], vcc
	s_xor_b64 s[4:5], exec, s[4:5]
	s_cbranch_execz .LBB1723_194
; %bb.193:
	s_waitcnt lgkmcnt(2)
	v_xor_b32_e32 v4, 0xfffff6ff, v0
	v_ashrrev_i32_e32 v7, 31, v4
	v_add_co_u32_e32 v6, vcc, v19, v4
	v_addc_co_u32_e32 v7, vcc, v21, v7, vcc
                                        ; implicit-def: $vgpr24
.LBB1723_194:
	s_andn2_saveexec_b64 s[4:5], s[4:5]
	s_cbranch_execz .LBB1723_196
; %bb.195:
	s_waitcnt lgkmcnt(3)
	v_add_co_u32_e32 v6, vcc, v1, v24
	v_addc_co_u32_e32 v7, vcc, 0, v16, vcc
.LBB1723_196:
	s_or_b64 exec, exec, s[4:5]
	s_waitcnt lgkmcnt(3)
	v_lshlrev_b64 v[6:7], 2, v[6:7]
	s_waitcnt lgkmcnt(2)
	v_mov_b32_e32 v4, s25
	v_add_co_u32_e32 v6, vcc, s24, v6
	v_addc_co_u32_e32 v7, vcc, v4, v7, vcc
	global_store_dword v[6:7], v5, off
	s_or_b64 exec, exec, s[2:3]
	v_cmp_gt_u32_e32 vcc, s33, v23
	s_and_saveexec_b64 s[2:3], vcc
	s_cbranch_execnz .LBB1723_162
.LBB1723_197:
	s_or_b64 exec, exec, s[2:3]
	v_cmp_gt_u32_e32 vcc, s33, v22
	s_and_saveexec_b64 s[2:3], vcc
	s_cbranch_execz .LBB1723_203
.LBB1723_198:
	v_cmp_ge_u32_e32 vcc, v22, v18
                                        ; implicit-def: $vgpr4_vgpr5
	s_and_saveexec_b64 s[4:5], vcc
	s_xor_b64 s[4:5], exec, s[4:5]
	s_cbranch_execz .LBB1723_200
; %bb.199:
	s_waitcnt lgkmcnt(1)
	v_xor_b32_e32 v2, 0xfffff4ff, v0
	v_ashrrev_i32_e32 v5, 31, v2
	v_add_co_u32_e32 v4, vcc, v19, v2
	v_addc_co_u32_e32 v5, vcc, v21, v5, vcc
                                        ; implicit-def: $vgpr22
.LBB1723_200:
	s_andn2_saveexec_b64 s[4:5], s[4:5]
	s_cbranch_execz .LBB1723_202
; %bb.201:
	s_waitcnt lgkmcnt(2)
	v_add_co_u32_e32 v4, vcc, v1, v22
	v_addc_co_u32_e32 v5, vcc, 0, v16, vcc
.LBB1723_202:
	s_or_b64 exec, exec, s[4:5]
	s_waitcnt lgkmcnt(2)
	v_lshlrev_b64 v[4:5], 2, v[4:5]
	s_waitcnt lgkmcnt(1)
	v_mov_b32_e32 v2, s25
	v_add_co_u32_e32 v4, vcc, s24, v4
	v_addc_co_u32_e32 v5, vcc, v2, v5, vcc
	global_store_dword v[4:5], v3, off
.LBB1723_203:
	s_or_b64 exec, exec, s[2:3]
	v_cmp_gt_u32_e32 vcc, s33, v20
                                        ; implicit-def: $vgpr14_vgpr15
	s_and_saveexec_b64 s[2:3], vcc
	s_cbranch_execz .LBB1723_209
; %bb.204:
	v_cmp_ge_u32_e32 vcc, v20, v18
                                        ; implicit-def: $vgpr14_vgpr15
	s_and_saveexec_b64 s[4:5], vcc
	s_xor_b64 s[4:5], exec, s[4:5]
	s_cbranch_execz .LBB1723_206
; %bb.205:
	s_waitcnt lgkmcnt(1)
	v_xor_b32_e32 v2, 0xfffff3ff, v0
	v_ashrrev_i32_e32 v3, 31, v2
	v_add_co_u32_e32 v14, vcc, v19, v2
	v_addc_co_u32_e32 v15, vcc, v21, v3, vcc
                                        ; implicit-def: $vgpr20
.LBB1723_206:
	s_andn2_saveexec_b64 s[4:5], s[4:5]
; %bb.207:
	v_add_co_u32_e32 v14, vcc, v1, v20
	v_addc_co_u32_e32 v15, vcc, 0, v16, vcc
; %bb.208:
	s_or_b64 exec, exec, s[4:5]
	s_or_b64 s[0:1], s[0:1], exec
.LBB1723_209:
	s_or_b64 exec, exec, s[2:3]
.LBB1723_210:
	s_and_saveexec_b64 s[2:3], s[0:1]
	s_cbranch_execz .LBB1723_212
; %bb.211:
	s_waitcnt lgkmcnt(1)
	v_lshlrev_b64 v[2:3], 2, v[14:15]
	v_mov_b32_e32 v4, s25
	v_add_co_u32_e32 v2, vcc, s24, v2
	v_addc_co_u32_e32 v3, vcc, v4, v3, vcc
	s_waitcnt lgkmcnt(0)
	global_store_dword v[2:3], v17, off
.LBB1723_212:
	s_or_b64 exec, exec, s[2:3]
	v_cmp_eq_u32_e32 vcc, 0, v0
	s_and_b64 s[0:1], vcc, s[22:23]
	s_and_saveexec_b64 s[2:3], s[0:1]
	s_cbranch_execz .LBB1723_214
; %bb.213:
	v_add_co_u32_e32 v0, vcc, v1, v18
	s_waitcnt lgkmcnt(1)
	v_mov_b32_e32 v2, 0
	v_addc_co_u32_e32 v1, vcc, 0, v16, vcc
	global_store_dwordx2 v2, v[0:1], s[20:21]
.LBB1723_214:
	s_endpgm
	.section	.rodata,"a",@progbits
	.p2align	6, 0x0
	.amdhsa_kernel _ZN7rocprim17ROCPRIM_400000_NS6detail17trampoline_kernelINS0_13select_configILj256ELj13ELNS0_17block_load_methodE3ELS4_3ELS4_3ELNS0_20block_scan_algorithmE0ELj4294967295EEENS1_25partition_config_selectorILNS1_17partition_subalgoE3EjNS0_10empty_typeEbEEZZNS1_14partition_implILS8_3ELb0ES6_jNS0_17counting_iteratorIjlEEPS9_SE_NS0_5tupleIJPjSE_EEENSF_IJSE_SE_EEES9_SG_JZNS1_25segmented_radix_sort_implINS0_14default_configELb1EPK6__halfPSL_PKlPlN2at6native12_GLOBAL__N_18offset_tEEE10hipError_tPvRmT1_PNSt15iterator_traitsISZ_E10value_typeET2_T3_PNS10_IS15_E10value_typeET4_jRbjT5_S1B_jjP12ihipStream_tbEUljE_EEESW_SX_SY_S15_S19_S1B_T6_T7_T9_mT8_S1D_bDpT10_ENKUlT_T0_E_clISt17integral_constantIbLb1EES1P_IbLb0EEEEDaS1L_S1M_EUlS1L_E_NS1_11comp_targetILNS1_3genE4ELNS1_11target_archE910ELNS1_3gpuE8ELNS1_3repE0EEENS1_30default_config_static_selectorELNS0_4arch9wavefront6targetE1EEEvSZ_
		.amdhsa_group_segment_fixed_size 13324
		.amdhsa_private_segment_fixed_size 0
		.amdhsa_kernarg_size 144
		.amdhsa_user_sgpr_count 6
		.amdhsa_user_sgpr_private_segment_buffer 1
		.amdhsa_user_sgpr_dispatch_ptr 0
		.amdhsa_user_sgpr_queue_ptr 0
		.amdhsa_user_sgpr_kernarg_segment_ptr 1
		.amdhsa_user_sgpr_dispatch_id 0
		.amdhsa_user_sgpr_flat_scratch_init 0
		.amdhsa_user_sgpr_kernarg_preload_length 0
		.amdhsa_user_sgpr_kernarg_preload_offset 0
		.amdhsa_user_sgpr_private_segment_size 0
		.amdhsa_uses_dynamic_stack 0
		.amdhsa_system_sgpr_private_segment_wavefront_offset 0
		.amdhsa_system_sgpr_workgroup_id_x 1
		.amdhsa_system_sgpr_workgroup_id_y 0
		.amdhsa_system_sgpr_workgroup_id_z 0
		.amdhsa_system_sgpr_workgroup_info 0
		.amdhsa_system_vgpr_workitem_id 0
		.amdhsa_next_free_vgpr 61
		.amdhsa_next_free_sgpr 46
		.amdhsa_accum_offset 64
		.amdhsa_reserve_vcc 1
		.amdhsa_reserve_flat_scratch 0
		.amdhsa_float_round_mode_32 0
		.amdhsa_float_round_mode_16_64 0
		.amdhsa_float_denorm_mode_32 3
		.amdhsa_float_denorm_mode_16_64 3
		.amdhsa_dx10_clamp 1
		.amdhsa_ieee_mode 1
		.amdhsa_fp16_overflow 0
		.amdhsa_tg_split 0
		.amdhsa_exception_fp_ieee_invalid_op 0
		.amdhsa_exception_fp_denorm_src 0
		.amdhsa_exception_fp_ieee_div_zero 0
		.amdhsa_exception_fp_ieee_overflow 0
		.amdhsa_exception_fp_ieee_underflow 0
		.amdhsa_exception_fp_ieee_inexact 0
		.amdhsa_exception_int_div_zero 0
	.end_amdhsa_kernel
	.section	.text._ZN7rocprim17ROCPRIM_400000_NS6detail17trampoline_kernelINS0_13select_configILj256ELj13ELNS0_17block_load_methodE3ELS4_3ELS4_3ELNS0_20block_scan_algorithmE0ELj4294967295EEENS1_25partition_config_selectorILNS1_17partition_subalgoE3EjNS0_10empty_typeEbEEZZNS1_14partition_implILS8_3ELb0ES6_jNS0_17counting_iteratorIjlEEPS9_SE_NS0_5tupleIJPjSE_EEENSF_IJSE_SE_EEES9_SG_JZNS1_25segmented_radix_sort_implINS0_14default_configELb1EPK6__halfPSL_PKlPlN2at6native12_GLOBAL__N_18offset_tEEE10hipError_tPvRmT1_PNSt15iterator_traitsISZ_E10value_typeET2_T3_PNS10_IS15_E10value_typeET4_jRbjT5_S1B_jjP12ihipStream_tbEUljE_EEESW_SX_SY_S15_S19_S1B_T6_T7_T9_mT8_S1D_bDpT10_ENKUlT_T0_E_clISt17integral_constantIbLb1EES1P_IbLb0EEEEDaS1L_S1M_EUlS1L_E_NS1_11comp_targetILNS1_3genE4ELNS1_11target_archE910ELNS1_3gpuE8ELNS1_3repE0EEENS1_30default_config_static_selectorELNS0_4arch9wavefront6targetE1EEEvSZ_,"axG",@progbits,_ZN7rocprim17ROCPRIM_400000_NS6detail17trampoline_kernelINS0_13select_configILj256ELj13ELNS0_17block_load_methodE3ELS4_3ELS4_3ELNS0_20block_scan_algorithmE0ELj4294967295EEENS1_25partition_config_selectorILNS1_17partition_subalgoE3EjNS0_10empty_typeEbEEZZNS1_14partition_implILS8_3ELb0ES6_jNS0_17counting_iteratorIjlEEPS9_SE_NS0_5tupleIJPjSE_EEENSF_IJSE_SE_EEES9_SG_JZNS1_25segmented_radix_sort_implINS0_14default_configELb1EPK6__halfPSL_PKlPlN2at6native12_GLOBAL__N_18offset_tEEE10hipError_tPvRmT1_PNSt15iterator_traitsISZ_E10value_typeET2_T3_PNS10_IS15_E10value_typeET4_jRbjT5_S1B_jjP12ihipStream_tbEUljE_EEESW_SX_SY_S15_S19_S1B_T6_T7_T9_mT8_S1D_bDpT10_ENKUlT_T0_E_clISt17integral_constantIbLb1EES1P_IbLb0EEEEDaS1L_S1M_EUlS1L_E_NS1_11comp_targetILNS1_3genE4ELNS1_11target_archE910ELNS1_3gpuE8ELNS1_3repE0EEENS1_30default_config_static_selectorELNS0_4arch9wavefront6targetE1EEEvSZ_,comdat
.Lfunc_end1723:
	.size	_ZN7rocprim17ROCPRIM_400000_NS6detail17trampoline_kernelINS0_13select_configILj256ELj13ELNS0_17block_load_methodE3ELS4_3ELS4_3ELNS0_20block_scan_algorithmE0ELj4294967295EEENS1_25partition_config_selectorILNS1_17partition_subalgoE3EjNS0_10empty_typeEbEEZZNS1_14partition_implILS8_3ELb0ES6_jNS0_17counting_iteratorIjlEEPS9_SE_NS0_5tupleIJPjSE_EEENSF_IJSE_SE_EEES9_SG_JZNS1_25segmented_radix_sort_implINS0_14default_configELb1EPK6__halfPSL_PKlPlN2at6native12_GLOBAL__N_18offset_tEEE10hipError_tPvRmT1_PNSt15iterator_traitsISZ_E10value_typeET2_T3_PNS10_IS15_E10value_typeET4_jRbjT5_S1B_jjP12ihipStream_tbEUljE_EEESW_SX_SY_S15_S19_S1B_T6_T7_T9_mT8_S1D_bDpT10_ENKUlT_T0_E_clISt17integral_constantIbLb1EES1P_IbLb0EEEEDaS1L_S1M_EUlS1L_E_NS1_11comp_targetILNS1_3genE4ELNS1_11target_archE910ELNS1_3gpuE8ELNS1_3repE0EEENS1_30default_config_static_selectorELNS0_4arch9wavefront6targetE1EEEvSZ_, .Lfunc_end1723-_ZN7rocprim17ROCPRIM_400000_NS6detail17trampoline_kernelINS0_13select_configILj256ELj13ELNS0_17block_load_methodE3ELS4_3ELS4_3ELNS0_20block_scan_algorithmE0ELj4294967295EEENS1_25partition_config_selectorILNS1_17partition_subalgoE3EjNS0_10empty_typeEbEEZZNS1_14partition_implILS8_3ELb0ES6_jNS0_17counting_iteratorIjlEEPS9_SE_NS0_5tupleIJPjSE_EEENSF_IJSE_SE_EEES9_SG_JZNS1_25segmented_radix_sort_implINS0_14default_configELb1EPK6__halfPSL_PKlPlN2at6native12_GLOBAL__N_18offset_tEEE10hipError_tPvRmT1_PNSt15iterator_traitsISZ_E10value_typeET2_T3_PNS10_IS15_E10value_typeET4_jRbjT5_S1B_jjP12ihipStream_tbEUljE_EEESW_SX_SY_S15_S19_S1B_T6_T7_T9_mT8_S1D_bDpT10_ENKUlT_T0_E_clISt17integral_constantIbLb1EES1P_IbLb0EEEEDaS1L_S1M_EUlS1L_E_NS1_11comp_targetILNS1_3genE4ELNS1_11target_archE910ELNS1_3gpuE8ELNS1_3repE0EEENS1_30default_config_static_selectorELNS0_4arch9wavefront6targetE1EEEvSZ_
                                        ; -- End function
	.section	.AMDGPU.csdata,"",@progbits
; Kernel info:
; codeLenInByte = 7756
; NumSgprs: 50
; NumVgprs: 61
; NumAgprs: 0
; TotalNumVgprs: 61
; ScratchSize: 0
; MemoryBound: 0
; FloatMode: 240
; IeeeMode: 1
; LDSByteSize: 13324 bytes/workgroup (compile time only)
; SGPRBlocks: 6
; VGPRBlocks: 7
; NumSGPRsForWavesPerEU: 50
; NumVGPRsForWavesPerEU: 61
; AccumOffset: 64
; Occupancy: 4
; WaveLimiterHint : 0
; COMPUTE_PGM_RSRC2:SCRATCH_EN: 0
; COMPUTE_PGM_RSRC2:USER_SGPR: 6
; COMPUTE_PGM_RSRC2:TRAP_HANDLER: 0
; COMPUTE_PGM_RSRC2:TGID_X_EN: 1
; COMPUTE_PGM_RSRC2:TGID_Y_EN: 0
; COMPUTE_PGM_RSRC2:TGID_Z_EN: 0
; COMPUTE_PGM_RSRC2:TIDIG_COMP_CNT: 0
; COMPUTE_PGM_RSRC3_GFX90A:ACCUM_OFFSET: 15
; COMPUTE_PGM_RSRC3_GFX90A:TG_SPLIT: 0
	.section	.text._ZN7rocprim17ROCPRIM_400000_NS6detail17trampoline_kernelINS0_13select_configILj256ELj13ELNS0_17block_load_methodE3ELS4_3ELS4_3ELNS0_20block_scan_algorithmE0ELj4294967295EEENS1_25partition_config_selectorILNS1_17partition_subalgoE3EjNS0_10empty_typeEbEEZZNS1_14partition_implILS8_3ELb0ES6_jNS0_17counting_iteratorIjlEEPS9_SE_NS0_5tupleIJPjSE_EEENSF_IJSE_SE_EEES9_SG_JZNS1_25segmented_radix_sort_implINS0_14default_configELb1EPK6__halfPSL_PKlPlN2at6native12_GLOBAL__N_18offset_tEEE10hipError_tPvRmT1_PNSt15iterator_traitsISZ_E10value_typeET2_T3_PNS10_IS15_E10value_typeET4_jRbjT5_S1B_jjP12ihipStream_tbEUljE_EEESW_SX_SY_S15_S19_S1B_T6_T7_T9_mT8_S1D_bDpT10_ENKUlT_T0_E_clISt17integral_constantIbLb1EES1P_IbLb0EEEEDaS1L_S1M_EUlS1L_E_NS1_11comp_targetILNS1_3genE3ELNS1_11target_archE908ELNS1_3gpuE7ELNS1_3repE0EEENS1_30default_config_static_selectorELNS0_4arch9wavefront6targetE1EEEvSZ_,"axG",@progbits,_ZN7rocprim17ROCPRIM_400000_NS6detail17trampoline_kernelINS0_13select_configILj256ELj13ELNS0_17block_load_methodE3ELS4_3ELS4_3ELNS0_20block_scan_algorithmE0ELj4294967295EEENS1_25partition_config_selectorILNS1_17partition_subalgoE3EjNS0_10empty_typeEbEEZZNS1_14partition_implILS8_3ELb0ES6_jNS0_17counting_iteratorIjlEEPS9_SE_NS0_5tupleIJPjSE_EEENSF_IJSE_SE_EEES9_SG_JZNS1_25segmented_radix_sort_implINS0_14default_configELb1EPK6__halfPSL_PKlPlN2at6native12_GLOBAL__N_18offset_tEEE10hipError_tPvRmT1_PNSt15iterator_traitsISZ_E10value_typeET2_T3_PNS10_IS15_E10value_typeET4_jRbjT5_S1B_jjP12ihipStream_tbEUljE_EEESW_SX_SY_S15_S19_S1B_T6_T7_T9_mT8_S1D_bDpT10_ENKUlT_T0_E_clISt17integral_constantIbLb1EES1P_IbLb0EEEEDaS1L_S1M_EUlS1L_E_NS1_11comp_targetILNS1_3genE3ELNS1_11target_archE908ELNS1_3gpuE7ELNS1_3repE0EEENS1_30default_config_static_selectorELNS0_4arch9wavefront6targetE1EEEvSZ_,comdat
	.globl	_ZN7rocprim17ROCPRIM_400000_NS6detail17trampoline_kernelINS0_13select_configILj256ELj13ELNS0_17block_load_methodE3ELS4_3ELS4_3ELNS0_20block_scan_algorithmE0ELj4294967295EEENS1_25partition_config_selectorILNS1_17partition_subalgoE3EjNS0_10empty_typeEbEEZZNS1_14partition_implILS8_3ELb0ES6_jNS0_17counting_iteratorIjlEEPS9_SE_NS0_5tupleIJPjSE_EEENSF_IJSE_SE_EEES9_SG_JZNS1_25segmented_radix_sort_implINS0_14default_configELb1EPK6__halfPSL_PKlPlN2at6native12_GLOBAL__N_18offset_tEEE10hipError_tPvRmT1_PNSt15iterator_traitsISZ_E10value_typeET2_T3_PNS10_IS15_E10value_typeET4_jRbjT5_S1B_jjP12ihipStream_tbEUljE_EEESW_SX_SY_S15_S19_S1B_T6_T7_T9_mT8_S1D_bDpT10_ENKUlT_T0_E_clISt17integral_constantIbLb1EES1P_IbLb0EEEEDaS1L_S1M_EUlS1L_E_NS1_11comp_targetILNS1_3genE3ELNS1_11target_archE908ELNS1_3gpuE7ELNS1_3repE0EEENS1_30default_config_static_selectorELNS0_4arch9wavefront6targetE1EEEvSZ_ ; -- Begin function _ZN7rocprim17ROCPRIM_400000_NS6detail17trampoline_kernelINS0_13select_configILj256ELj13ELNS0_17block_load_methodE3ELS4_3ELS4_3ELNS0_20block_scan_algorithmE0ELj4294967295EEENS1_25partition_config_selectorILNS1_17partition_subalgoE3EjNS0_10empty_typeEbEEZZNS1_14partition_implILS8_3ELb0ES6_jNS0_17counting_iteratorIjlEEPS9_SE_NS0_5tupleIJPjSE_EEENSF_IJSE_SE_EEES9_SG_JZNS1_25segmented_radix_sort_implINS0_14default_configELb1EPK6__halfPSL_PKlPlN2at6native12_GLOBAL__N_18offset_tEEE10hipError_tPvRmT1_PNSt15iterator_traitsISZ_E10value_typeET2_T3_PNS10_IS15_E10value_typeET4_jRbjT5_S1B_jjP12ihipStream_tbEUljE_EEESW_SX_SY_S15_S19_S1B_T6_T7_T9_mT8_S1D_bDpT10_ENKUlT_T0_E_clISt17integral_constantIbLb1EES1P_IbLb0EEEEDaS1L_S1M_EUlS1L_E_NS1_11comp_targetILNS1_3genE3ELNS1_11target_archE908ELNS1_3gpuE7ELNS1_3repE0EEENS1_30default_config_static_selectorELNS0_4arch9wavefront6targetE1EEEvSZ_
	.p2align	8
	.type	_ZN7rocprim17ROCPRIM_400000_NS6detail17trampoline_kernelINS0_13select_configILj256ELj13ELNS0_17block_load_methodE3ELS4_3ELS4_3ELNS0_20block_scan_algorithmE0ELj4294967295EEENS1_25partition_config_selectorILNS1_17partition_subalgoE3EjNS0_10empty_typeEbEEZZNS1_14partition_implILS8_3ELb0ES6_jNS0_17counting_iteratorIjlEEPS9_SE_NS0_5tupleIJPjSE_EEENSF_IJSE_SE_EEES9_SG_JZNS1_25segmented_radix_sort_implINS0_14default_configELb1EPK6__halfPSL_PKlPlN2at6native12_GLOBAL__N_18offset_tEEE10hipError_tPvRmT1_PNSt15iterator_traitsISZ_E10value_typeET2_T3_PNS10_IS15_E10value_typeET4_jRbjT5_S1B_jjP12ihipStream_tbEUljE_EEESW_SX_SY_S15_S19_S1B_T6_T7_T9_mT8_S1D_bDpT10_ENKUlT_T0_E_clISt17integral_constantIbLb1EES1P_IbLb0EEEEDaS1L_S1M_EUlS1L_E_NS1_11comp_targetILNS1_3genE3ELNS1_11target_archE908ELNS1_3gpuE7ELNS1_3repE0EEENS1_30default_config_static_selectorELNS0_4arch9wavefront6targetE1EEEvSZ_,@function
_ZN7rocprim17ROCPRIM_400000_NS6detail17trampoline_kernelINS0_13select_configILj256ELj13ELNS0_17block_load_methodE3ELS4_3ELS4_3ELNS0_20block_scan_algorithmE0ELj4294967295EEENS1_25partition_config_selectorILNS1_17partition_subalgoE3EjNS0_10empty_typeEbEEZZNS1_14partition_implILS8_3ELb0ES6_jNS0_17counting_iteratorIjlEEPS9_SE_NS0_5tupleIJPjSE_EEENSF_IJSE_SE_EEES9_SG_JZNS1_25segmented_radix_sort_implINS0_14default_configELb1EPK6__halfPSL_PKlPlN2at6native12_GLOBAL__N_18offset_tEEE10hipError_tPvRmT1_PNSt15iterator_traitsISZ_E10value_typeET2_T3_PNS10_IS15_E10value_typeET4_jRbjT5_S1B_jjP12ihipStream_tbEUljE_EEESW_SX_SY_S15_S19_S1B_T6_T7_T9_mT8_S1D_bDpT10_ENKUlT_T0_E_clISt17integral_constantIbLb1EES1P_IbLb0EEEEDaS1L_S1M_EUlS1L_E_NS1_11comp_targetILNS1_3genE3ELNS1_11target_archE908ELNS1_3gpuE7ELNS1_3repE0EEENS1_30default_config_static_selectorELNS0_4arch9wavefront6targetE1EEEvSZ_: ; @_ZN7rocprim17ROCPRIM_400000_NS6detail17trampoline_kernelINS0_13select_configILj256ELj13ELNS0_17block_load_methodE3ELS4_3ELS4_3ELNS0_20block_scan_algorithmE0ELj4294967295EEENS1_25partition_config_selectorILNS1_17partition_subalgoE3EjNS0_10empty_typeEbEEZZNS1_14partition_implILS8_3ELb0ES6_jNS0_17counting_iteratorIjlEEPS9_SE_NS0_5tupleIJPjSE_EEENSF_IJSE_SE_EEES9_SG_JZNS1_25segmented_radix_sort_implINS0_14default_configELb1EPK6__halfPSL_PKlPlN2at6native12_GLOBAL__N_18offset_tEEE10hipError_tPvRmT1_PNSt15iterator_traitsISZ_E10value_typeET2_T3_PNS10_IS15_E10value_typeET4_jRbjT5_S1B_jjP12ihipStream_tbEUljE_EEESW_SX_SY_S15_S19_S1B_T6_T7_T9_mT8_S1D_bDpT10_ENKUlT_T0_E_clISt17integral_constantIbLb1EES1P_IbLb0EEEEDaS1L_S1M_EUlS1L_E_NS1_11comp_targetILNS1_3genE3ELNS1_11target_archE908ELNS1_3gpuE7ELNS1_3repE0EEENS1_30default_config_static_selectorELNS0_4arch9wavefront6targetE1EEEvSZ_
; %bb.0:
	.section	.rodata,"a",@progbits
	.p2align	6, 0x0
	.amdhsa_kernel _ZN7rocprim17ROCPRIM_400000_NS6detail17trampoline_kernelINS0_13select_configILj256ELj13ELNS0_17block_load_methodE3ELS4_3ELS4_3ELNS0_20block_scan_algorithmE0ELj4294967295EEENS1_25partition_config_selectorILNS1_17partition_subalgoE3EjNS0_10empty_typeEbEEZZNS1_14partition_implILS8_3ELb0ES6_jNS0_17counting_iteratorIjlEEPS9_SE_NS0_5tupleIJPjSE_EEENSF_IJSE_SE_EEES9_SG_JZNS1_25segmented_radix_sort_implINS0_14default_configELb1EPK6__halfPSL_PKlPlN2at6native12_GLOBAL__N_18offset_tEEE10hipError_tPvRmT1_PNSt15iterator_traitsISZ_E10value_typeET2_T3_PNS10_IS15_E10value_typeET4_jRbjT5_S1B_jjP12ihipStream_tbEUljE_EEESW_SX_SY_S15_S19_S1B_T6_T7_T9_mT8_S1D_bDpT10_ENKUlT_T0_E_clISt17integral_constantIbLb1EES1P_IbLb0EEEEDaS1L_S1M_EUlS1L_E_NS1_11comp_targetILNS1_3genE3ELNS1_11target_archE908ELNS1_3gpuE7ELNS1_3repE0EEENS1_30default_config_static_selectorELNS0_4arch9wavefront6targetE1EEEvSZ_
		.amdhsa_group_segment_fixed_size 0
		.amdhsa_private_segment_fixed_size 0
		.amdhsa_kernarg_size 144
		.amdhsa_user_sgpr_count 6
		.amdhsa_user_sgpr_private_segment_buffer 1
		.amdhsa_user_sgpr_dispatch_ptr 0
		.amdhsa_user_sgpr_queue_ptr 0
		.amdhsa_user_sgpr_kernarg_segment_ptr 1
		.amdhsa_user_sgpr_dispatch_id 0
		.amdhsa_user_sgpr_flat_scratch_init 0
		.amdhsa_user_sgpr_kernarg_preload_length 0
		.amdhsa_user_sgpr_kernarg_preload_offset 0
		.amdhsa_user_sgpr_private_segment_size 0
		.amdhsa_uses_dynamic_stack 0
		.amdhsa_system_sgpr_private_segment_wavefront_offset 0
		.amdhsa_system_sgpr_workgroup_id_x 1
		.amdhsa_system_sgpr_workgroup_id_y 0
		.amdhsa_system_sgpr_workgroup_id_z 0
		.amdhsa_system_sgpr_workgroup_info 0
		.amdhsa_system_vgpr_workitem_id 0
		.amdhsa_next_free_vgpr 1
		.amdhsa_next_free_sgpr 0
		.amdhsa_accum_offset 4
		.amdhsa_reserve_vcc 0
		.amdhsa_reserve_flat_scratch 0
		.amdhsa_float_round_mode_32 0
		.amdhsa_float_round_mode_16_64 0
		.amdhsa_float_denorm_mode_32 3
		.amdhsa_float_denorm_mode_16_64 3
		.amdhsa_dx10_clamp 1
		.amdhsa_ieee_mode 1
		.amdhsa_fp16_overflow 0
		.amdhsa_tg_split 0
		.amdhsa_exception_fp_ieee_invalid_op 0
		.amdhsa_exception_fp_denorm_src 0
		.amdhsa_exception_fp_ieee_div_zero 0
		.amdhsa_exception_fp_ieee_overflow 0
		.amdhsa_exception_fp_ieee_underflow 0
		.amdhsa_exception_fp_ieee_inexact 0
		.amdhsa_exception_int_div_zero 0
	.end_amdhsa_kernel
	.section	.text._ZN7rocprim17ROCPRIM_400000_NS6detail17trampoline_kernelINS0_13select_configILj256ELj13ELNS0_17block_load_methodE3ELS4_3ELS4_3ELNS0_20block_scan_algorithmE0ELj4294967295EEENS1_25partition_config_selectorILNS1_17partition_subalgoE3EjNS0_10empty_typeEbEEZZNS1_14partition_implILS8_3ELb0ES6_jNS0_17counting_iteratorIjlEEPS9_SE_NS0_5tupleIJPjSE_EEENSF_IJSE_SE_EEES9_SG_JZNS1_25segmented_radix_sort_implINS0_14default_configELb1EPK6__halfPSL_PKlPlN2at6native12_GLOBAL__N_18offset_tEEE10hipError_tPvRmT1_PNSt15iterator_traitsISZ_E10value_typeET2_T3_PNS10_IS15_E10value_typeET4_jRbjT5_S1B_jjP12ihipStream_tbEUljE_EEESW_SX_SY_S15_S19_S1B_T6_T7_T9_mT8_S1D_bDpT10_ENKUlT_T0_E_clISt17integral_constantIbLb1EES1P_IbLb0EEEEDaS1L_S1M_EUlS1L_E_NS1_11comp_targetILNS1_3genE3ELNS1_11target_archE908ELNS1_3gpuE7ELNS1_3repE0EEENS1_30default_config_static_selectorELNS0_4arch9wavefront6targetE1EEEvSZ_,"axG",@progbits,_ZN7rocprim17ROCPRIM_400000_NS6detail17trampoline_kernelINS0_13select_configILj256ELj13ELNS0_17block_load_methodE3ELS4_3ELS4_3ELNS0_20block_scan_algorithmE0ELj4294967295EEENS1_25partition_config_selectorILNS1_17partition_subalgoE3EjNS0_10empty_typeEbEEZZNS1_14partition_implILS8_3ELb0ES6_jNS0_17counting_iteratorIjlEEPS9_SE_NS0_5tupleIJPjSE_EEENSF_IJSE_SE_EEES9_SG_JZNS1_25segmented_radix_sort_implINS0_14default_configELb1EPK6__halfPSL_PKlPlN2at6native12_GLOBAL__N_18offset_tEEE10hipError_tPvRmT1_PNSt15iterator_traitsISZ_E10value_typeET2_T3_PNS10_IS15_E10value_typeET4_jRbjT5_S1B_jjP12ihipStream_tbEUljE_EEESW_SX_SY_S15_S19_S1B_T6_T7_T9_mT8_S1D_bDpT10_ENKUlT_T0_E_clISt17integral_constantIbLb1EES1P_IbLb0EEEEDaS1L_S1M_EUlS1L_E_NS1_11comp_targetILNS1_3genE3ELNS1_11target_archE908ELNS1_3gpuE7ELNS1_3repE0EEENS1_30default_config_static_selectorELNS0_4arch9wavefront6targetE1EEEvSZ_,comdat
.Lfunc_end1724:
	.size	_ZN7rocprim17ROCPRIM_400000_NS6detail17trampoline_kernelINS0_13select_configILj256ELj13ELNS0_17block_load_methodE3ELS4_3ELS4_3ELNS0_20block_scan_algorithmE0ELj4294967295EEENS1_25partition_config_selectorILNS1_17partition_subalgoE3EjNS0_10empty_typeEbEEZZNS1_14partition_implILS8_3ELb0ES6_jNS0_17counting_iteratorIjlEEPS9_SE_NS0_5tupleIJPjSE_EEENSF_IJSE_SE_EEES9_SG_JZNS1_25segmented_radix_sort_implINS0_14default_configELb1EPK6__halfPSL_PKlPlN2at6native12_GLOBAL__N_18offset_tEEE10hipError_tPvRmT1_PNSt15iterator_traitsISZ_E10value_typeET2_T3_PNS10_IS15_E10value_typeET4_jRbjT5_S1B_jjP12ihipStream_tbEUljE_EEESW_SX_SY_S15_S19_S1B_T6_T7_T9_mT8_S1D_bDpT10_ENKUlT_T0_E_clISt17integral_constantIbLb1EES1P_IbLb0EEEEDaS1L_S1M_EUlS1L_E_NS1_11comp_targetILNS1_3genE3ELNS1_11target_archE908ELNS1_3gpuE7ELNS1_3repE0EEENS1_30default_config_static_selectorELNS0_4arch9wavefront6targetE1EEEvSZ_, .Lfunc_end1724-_ZN7rocprim17ROCPRIM_400000_NS6detail17trampoline_kernelINS0_13select_configILj256ELj13ELNS0_17block_load_methodE3ELS4_3ELS4_3ELNS0_20block_scan_algorithmE0ELj4294967295EEENS1_25partition_config_selectorILNS1_17partition_subalgoE3EjNS0_10empty_typeEbEEZZNS1_14partition_implILS8_3ELb0ES6_jNS0_17counting_iteratorIjlEEPS9_SE_NS0_5tupleIJPjSE_EEENSF_IJSE_SE_EEES9_SG_JZNS1_25segmented_radix_sort_implINS0_14default_configELb1EPK6__halfPSL_PKlPlN2at6native12_GLOBAL__N_18offset_tEEE10hipError_tPvRmT1_PNSt15iterator_traitsISZ_E10value_typeET2_T3_PNS10_IS15_E10value_typeET4_jRbjT5_S1B_jjP12ihipStream_tbEUljE_EEESW_SX_SY_S15_S19_S1B_T6_T7_T9_mT8_S1D_bDpT10_ENKUlT_T0_E_clISt17integral_constantIbLb1EES1P_IbLb0EEEEDaS1L_S1M_EUlS1L_E_NS1_11comp_targetILNS1_3genE3ELNS1_11target_archE908ELNS1_3gpuE7ELNS1_3repE0EEENS1_30default_config_static_selectorELNS0_4arch9wavefront6targetE1EEEvSZ_
                                        ; -- End function
	.section	.AMDGPU.csdata,"",@progbits
; Kernel info:
; codeLenInByte = 0
; NumSgprs: 4
; NumVgprs: 0
; NumAgprs: 0
; TotalNumVgprs: 0
; ScratchSize: 0
; MemoryBound: 0
; FloatMode: 240
; IeeeMode: 1
; LDSByteSize: 0 bytes/workgroup (compile time only)
; SGPRBlocks: 0
; VGPRBlocks: 0
; NumSGPRsForWavesPerEU: 4
; NumVGPRsForWavesPerEU: 1
; AccumOffset: 4
; Occupancy: 8
; WaveLimiterHint : 0
; COMPUTE_PGM_RSRC2:SCRATCH_EN: 0
; COMPUTE_PGM_RSRC2:USER_SGPR: 6
; COMPUTE_PGM_RSRC2:TRAP_HANDLER: 0
; COMPUTE_PGM_RSRC2:TGID_X_EN: 1
; COMPUTE_PGM_RSRC2:TGID_Y_EN: 0
; COMPUTE_PGM_RSRC2:TGID_Z_EN: 0
; COMPUTE_PGM_RSRC2:TIDIG_COMP_CNT: 0
; COMPUTE_PGM_RSRC3_GFX90A:ACCUM_OFFSET: 0
; COMPUTE_PGM_RSRC3_GFX90A:TG_SPLIT: 0
	.section	.text._ZN7rocprim17ROCPRIM_400000_NS6detail17trampoline_kernelINS0_13select_configILj256ELj13ELNS0_17block_load_methodE3ELS4_3ELS4_3ELNS0_20block_scan_algorithmE0ELj4294967295EEENS1_25partition_config_selectorILNS1_17partition_subalgoE3EjNS0_10empty_typeEbEEZZNS1_14partition_implILS8_3ELb0ES6_jNS0_17counting_iteratorIjlEEPS9_SE_NS0_5tupleIJPjSE_EEENSF_IJSE_SE_EEES9_SG_JZNS1_25segmented_radix_sort_implINS0_14default_configELb1EPK6__halfPSL_PKlPlN2at6native12_GLOBAL__N_18offset_tEEE10hipError_tPvRmT1_PNSt15iterator_traitsISZ_E10value_typeET2_T3_PNS10_IS15_E10value_typeET4_jRbjT5_S1B_jjP12ihipStream_tbEUljE_EEESW_SX_SY_S15_S19_S1B_T6_T7_T9_mT8_S1D_bDpT10_ENKUlT_T0_E_clISt17integral_constantIbLb1EES1P_IbLb0EEEEDaS1L_S1M_EUlS1L_E_NS1_11comp_targetILNS1_3genE2ELNS1_11target_archE906ELNS1_3gpuE6ELNS1_3repE0EEENS1_30default_config_static_selectorELNS0_4arch9wavefront6targetE1EEEvSZ_,"axG",@progbits,_ZN7rocprim17ROCPRIM_400000_NS6detail17trampoline_kernelINS0_13select_configILj256ELj13ELNS0_17block_load_methodE3ELS4_3ELS4_3ELNS0_20block_scan_algorithmE0ELj4294967295EEENS1_25partition_config_selectorILNS1_17partition_subalgoE3EjNS0_10empty_typeEbEEZZNS1_14partition_implILS8_3ELb0ES6_jNS0_17counting_iteratorIjlEEPS9_SE_NS0_5tupleIJPjSE_EEENSF_IJSE_SE_EEES9_SG_JZNS1_25segmented_radix_sort_implINS0_14default_configELb1EPK6__halfPSL_PKlPlN2at6native12_GLOBAL__N_18offset_tEEE10hipError_tPvRmT1_PNSt15iterator_traitsISZ_E10value_typeET2_T3_PNS10_IS15_E10value_typeET4_jRbjT5_S1B_jjP12ihipStream_tbEUljE_EEESW_SX_SY_S15_S19_S1B_T6_T7_T9_mT8_S1D_bDpT10_ENKUlT_T0_E_clISt17integral_constantIbLb1EES1P_IbLb0EEEEDaS1L_S1M_EUlS1L_E_NS1_11comp_targetILNS1_3genE2ELNS1_11target_archE906ELNS1_3gpuE6ELNS1_3repE0EEENS1_30default_config_static_selectorELNS0_4arch9wavefront6targetE1EEEvSZ_,comdat
	.globl	_ZN7rocprim17ROCPRIM_400000_NS6detail17trampoline_kernelINS0_13select_configILj256ELj13ELNS0_17block_load_methodE3ELS4_3ELS4_3ELNS0_20block_scan_algorithmE0ELj4294967295EEENS1_25partition_config_selectorILNS1_17partition_subalgoE3EjNS0_10empty_typeEbEEZZNS1_14partition_implILS8_3ELb0ES6_jNS0_17counting_iteratorIjlEEPS9_SE_NS0_5tupleIJPjSE_EEENSF_IJSE_SE_EEES9_SG_JZNS1_25segmented_radix_sort_implINS0_14default_configELb1EPK6__halfPSL_PKlPlN2at6native12_GLOBAL__N_18offset_tEEE10hipError_tPvRmT1_PNSt15iterator_traitsISZ_E10value_typeET2_T3_PNS10_IS15_E10value_typeET4_jRbjT5_S1B_jjP12ihipStream_tbEUljE_EEESW_SX_SY_S15_S19_S1B_T6_T7_T9_mT8_S1D_bDpT10_ENKUlT_T0_E_clISt17integral_constantIbLb1EES1P_IbLb0EEEEDaS1L_S1M_EUlS1L_E_NS1_11comp_targetILNS1_3genE2ELNS1_11target_archE906ELNS1_3gpuE6ELNS1_3repE0EEENS1_30default_config_static_selectorELNS0_4arch9wavefront6targetE1EEEvSZ_ ; -- Begin function _ZN7rocprim17ROCPRIM_400000_NS6detail17trampoline_kernelINS0_13select_configILj256ELj13ELNS0_17block_load_methodE3ELS4_3ELS4_3ELNS0_20block_scan_algorithmE0ELj4294967295EEENS1_25partition_config_selectorILNS1_17partition_subalgoE3EjNS0_10empty_typeEbEEZZNS1_14partition_implILS8_3ELb0ES6_jNS0_17counting_iteratorIjlEEPS9_SE_NS0_5tupleIJPjSE_EEENSF_IJSE_SE_EEES9_SG_JZNS1_25segmented_radix_sort_implINS0_14default_configELb1EPK6__halfPSL_PKlPlN2at6native12_GLOBAL__N_18offset_tEEE10hipError_tPvRmT1_PNSt15iterator_traitsISZ_E10value_typeET2_T3_PNS10_IS15_E10value_typeET4_jRbjT5_S1B_jjP12ihipStream_tbEUljE_EEESW_SX_SY_S15_S19_S1B_T6_T7_T9_mT8_S1D_bDpT10_ENKUlT_T0_E_clISt17integral_constantIbLb1EES1P_IbLb0EEEEDaS1L_S1M_EUlS1L_E_NS1_11comp_targetILNS1_3genE2ELNS1_11target_archE906ELNS1_3gpuE6ELNS1_3repE0EEENS1_30default_config_static_selectorELNS0_4arch9wavefront6targetE1EEEvSZ_
	.p2align	8
	.type	_ZN7rocprim17ROCPRIM_400000_NS6detail17trampoline_kernelINS0_13select_configILj256ELj13ELNS0_17block_load_methodE3ELS4_3ELS4_3ELNS0_20block_scan_algorithmE0ELj4294967295EEENS1_25partition_config_selectorILNS1_17partition_subalgoE3EjNS0_10empty_typeEbEEZZNS1_14partition_implILS8_3ELb0ES6_jNS0_17counting_iteratorIjlEEPS9_SE_NS0_5tupleIJPjSE_EEENSF_IJSE_SE_EEES9_SG_JZNS1_25segmented_radix_sort_implINS0_14default_configELb1EPK6__halfPSL_PKlPlN2at6native12_GLOBAL__N_18offset_tEEE10hipError_tPvRmT1_PNSt15iterator_traitsISZ_E10value_typeET2_T3_PNS10_IS15_E10value_typeET4_jRbjT5_S1B_jjP12ihipStream_tbEUljE_EEESW_SX_SY_S15_S19_S1B_T6_T7_T9_mT8_S1D_bDpT10_ENKUlT_T0_E_clISt17integral_constantIbLb1EES1P_IbLb0EEEEDaS1L_S1M_EUlS1L_E_NS1_11comp_targetILNS1_3genE2ELNS1_11target_archE906ELNS1_3gpuE6ELNS1_3repE0EEENS1_30default_config_static_selectorELNS0_4arch9wavefront6targetE1EEEvSZ_,@function
_ZN7rocprim17ROCPRIM_400000_NS6detail17trampoline_kernelINS0_13select_configILj256ELj13ELNS0_17block_load_methodE3ELS4_3ELS4_3ELNS0_20block_scan_algorithmE0ELj4294967295EEENS1_25partition_config_selectorILNS1_17partition_subalgoE3EjNS0_10empty_typeEbEEZZNS1_14partition_implILS8_3ELb0ES6_jNS0_17counting_iteratorIjlEEPS9_SE_NS0_5tupleIJPjSE_EEENSF_IJSE_SE_EEES9_SG_JZNS1_25segmented_radix_sort_implINS0_14default_configELb1EPK6__halfPSL_PKlPlN2at6native12_GLOBAL__N_18offset_tEEE10hipError_tPvRmT1_PNSt15iterator_traitsISZ_E10value_typeET2_T3_PNS10_IS15_E10value_typeET4_jRbjT5_S1B_jjP12ihipStream_tbEUljE_EEESW_SX_SY_S15_S19_S1B_T6_T7_T9_mT8_S1D_bDpT10_ENKUlT_T0_E_clISt17integral_constantIbLb1EES1P_IbLb0EEEEDaS1L_S1M_EUlS1L_E_NS1_11comp_targetILNS1_3genE2ELNS1_11target_archE906ELNS1_3gpuE6ELNS1_3repE0EEENS1_30default_config_static_selectorELNS0_4arch9wavefront6targetE1EEEvSZ_: ; @_ZN7rocprim17ROCPRIM_400000_NS6detail17trampoline_kernelINS0_13select_configILj256ELj13ELNS0_17block_load_methodE3ELS4_3ELS4_3ELNS0_20block_scan_algorithmE0ELj4294967295EEENS1_25partition_config_selectorILNS1_17partition_subalgoE3EjNS0_10empty_typeEbEEZZNS1_14partition_implILS8_3ELb0ES6_jNS0_17counting_iteratorIjlEEPS9_SE_NS0_5tupleIJPjSE_EEENSF_IJSE_SE_EEES9_SG_JZNS1_25segmented_radix_sort_implINS0_14default_configELb1EPK6__halfPSL_PKlPlN2at6native12_GLOBAL__N_18offset_tEEE10hipError_tPvRmT1_PNSt15iterator_traitsISZ_E10value_typeET2_T3_PNS10_IS15_E10value_typeET4_jRbjT5_S1B_jjP12ihipStream_tbEUljE_EEESW_SX_SY_S15_S19_S1B_T6_T7_T9_mT8_S1D_bDpT10_ENKUlT_T0_E_clISt17integral_constantIbLb1EES1P_IbLb0EEEEDaS1L_S1M_EUlS1L_E_NS1_11comp_targetILNS1_3genE2ELNS1_11target_archE906ELNS1_3gpuE6ELNS1_3repE0EEENS1_30default_config_static_selectorELNS0_4arch9wavefront6targetE1EEEvSZ_
; %bb.0:
	.section	.rodata,"a",@progbits
	.p2align	6, 0x0
	.amdhsa_kernel _ZN7rocprim17ROCPRIM_400000_NS6detail17trampoline_kernelINS0_13select_configILj256ELj13ELNS0_17block_load_methodE3ELS4_3ELS4_3ELNS0_20block_scan_algorithmE0ELj4294967295EEENS1_25partition_config_selectorILNS1_17partition_subalgoE3EjNS0_10empty_typeEbEEZZNS1_14partition_implILS8_3ELb0ES6_jNS0_17counting_iteratorIjlEEPS9_SE_NS0_5tupleIJPjSE_EEENSF_IJSE_SE_EEES9_SG_JZNS1_25segmented_radix_sort_implINS0_14default_configELb1EPK6__halfPSL_PKlPlN2at6native12_GLOBAL__N_18offset_tEEE10hipError_tPvRmT1_PNSt15iterator_traitsISZ_E10value_typeET2_T3_PNS10_IS15_E10value_typeET4_jRbjT5_S1B_jjP12ihipStream_tbEUljE_EEESW_SX_SY_S15_S19_S1B_T6_T7_T9_mT8_S1D_bDpT10_ENKUlT_T0_E_clISt17integral_constantIbLb1EES1P_IbLb0EEEEDaS1L_S1M_EUlS1L_E_NS1_11comp_targetILNS1_3genE2ELNS1_11target_archE906ELNS1_3gpuE6ELNS1_3repE0EEENS1_30default_config_static_selectorELNS0_4arch9wavefront6targetE1EEEvSZ_
		.amdhsa_group_segment_fixed_size 0
		.amdhsa_private_segment_fixed_size 0
		.amdhsa_kernarg_size 144
		.amdhsa_user_sgpr_count 6
		.amdhsa_user_sgpr_private_segment_buffer 1
		.amdhsa_user_sgpr_dispatch_ptr 0
		.amdhsa_user_sgpr_queue_ptr 0
		.amdhsa_user_sgpr_kernarg_segment_ptr 1
		.amdhsa_user_sgpr_dispatch_id 0
		.amdhsa_user_sgpr_flat_scratch_init 0
		.amdhsa_user_sgpr_kernarg_preload_length 0
		.amdhsa_user_sgpr_kernarg_preload_offset 0
		.amdhsa_user_sgpr_private_segment_size 0
		.amdhsa_uses_dynamic_stack 0
		.amdhsa_system_sgpr_private_segment_wavefront_offset 0
		.amdhsa_system_sgpr_workgroup_id_x 1
		.amdhsa_system_sgpr_workgroup_id_y 0
		.amdhsa_system_sgpr_workgroup_id_z 0
		.amdhsa_system_sgpr_workgroup_info 0
		.amdhsa_system_vgpr_workitem_id 0
		.amdhsa_next_free_vgpr 1
		.amdhsa_next_free_sgpr 0
		.amdhsa_accum_offset 4
		.amdhsa_reserve_vcc 0
		.amdhsa_reserve_flat_scratch 0
		.amdhsa_float_round_mode_32 0
		.amdhsa_float_round_mode_16_64 0
		.amdhsa_float_denorm_mode_32 3
		.amdhsa_float_denorm_mode_16_64 3
		.amdhsa_dx10_clamp 1
		.amdhsa_ieee_mode 1
		.amdhsa_fp16_overflow 0
		.amdhsa_tg_split 0
		.amdhsa_exception_fp_ieee_invalid_op 0
		.amdhsa_exception_fp_denorm_src 0
		.amdhsa_exception_fp_ieee_div_zero 0
		.amdhsa_exception_fp_ieee_overflow 0
		.amdhsa_exception_fp_ieee_underflow 0
		.amdhsa_exception_fp_ieee_inexact 0
		.amdhsa_exception_int_div_zero 0
	.end_amdhsa_kernel
	.section	.text._ZN7rocprim17ROCPRIM_400000_NS6detail17trampoline_kernelINS0_13select_configILj256ELj13ELNS0_17block_load_methodE3ELS4_3ELS4_3ELNS0_20block_scan_algorithmE0ELj4294967295EEENS1_25partition_config_selectorILNS1_17partition_subalgoE3EjNS0_10empty_typeEbEEZZNS1_14partition_implILS8_3ELb0ES6_jNS0_17counting_iteratorIjlEEPS9_SE_NS0_5tupleIJPjSE_EEENSF_IJSE_SE_EEES9_SG_JZNS1_25segmented_radix_sort_implINS0_14default_configELb1EPK6__halfPSL_PKlPlN2at6native12_GLOBAL__N_18offset_tEEE10hipError_tPvRmT1_PNSt15iterator_traitsISZ_E10value_typeET2_T3_PNS10_IS15_E10value_typeET4_jRbjT5_S1B_jjP12ihipStream_tbEUljE_EEESW_SX_SY_S15_S19_S1B_T6_T7_T9_mT8_S1D_bDpT10_ENKUlT_T0_E_clISt17integral_constantIbLb1EES1P_IbLb0EEEEDaS1L_S1M_EUlS1L_E_NS1_11comp_targetILNS1_3genE2ELNS1_11target_archE906ELNS1_3gpuE6ELNS1_3repE0EEENS1_30default_config_static_selectorELNS0_4arch9wavefront6targetE1EEEvSZ_,"axG",@progbits,_ZN7rocprim17ROCPRIM_400000_NS6detail17trampoline_kernelINS0_13select_configILj256ELj13ELNS0_17block_load_methodE3ELS4_3ELS4_3ELNS0_20block_scan_algorithmE0ELj4294967295EEENS1_25partition_config_selectorILNS1_17partition_subalgoE3EjNS0_10empty_typeEbEEZZNS1_14partition_implILS8_3ELb0ES6_jNS0_17counting_iteratorIjlEEPS9_SE_NS0_5tupleIJPjSE_EEENSF_IJSE_SE_EEES9_SG_JZNS1_25segmented_radix_sort_implINS0_14default_configELb1EPK6__halfPSL_PKlPlN2at6native12_GLOBAL__N_18offset_tEEE10hipError_tPvRmT1_PNSt15iterator_traitsISZ_E10value_typeET2_T3_PNS10_IS15_E10value_typeET4_jRbjT5_S1B_jjP12ihipStream_tbEUljE_EEESW_SX_SY_S15_S19_S1B_T6_T7_T9_mT8_S1D_bDpT10_ENKUlT_T0_E_clISt17integral_constantIbLb1EES1P_IbLb0EEEEDaS1L_S1M_EUlS1L_E_NS1_11comp_targetILNS1_3genE2ELNS1_11target_archE906ELNS1_3gpuE6ELNS1_3repE0EEENS1_30default_config_static_selectorELNS0_4arch9wavefront6targetE1EEEvSZ_,comdat
.Lfunc_end1725:
	.size	_ZN7rocprim17ROCPRIM_400000_NS6detail17trampoline_kernelINS0_13select_configILj256ELj13ELNS0_17block_load_methodE3ELS4_3ELS4_3ELNS0_20block_scan_algorithmE0ELj4294967295EEENS1_25partition_config_selectorILNS1_17partition_subalgoE3EjNS0_10empty_typeEbEEZZNS1_14partition_implILS8_3ELb0ES6_jNS0_17counting_iteratorIjlEEPS9_SE_NS0_5tupleIJPjSE_EEENSF_IJSE_SE_EEES9_SG_JZNS1_25segmented_radix_sort_implINS0_14default_configELb1EPK6__halfPSL_PKlPlN2at6native12_GLOBAL__N_18offset_tEEE10hipError_tPvRmT1_PNSt15iterator_traitsISZ_E10value_typeET2_T3_PNS10_IS15_E10value_typeET4_jRbjT5_S1B_jjP12ihipStream_tbEUljE_EEESW_SX_SY_S15_S19_S1B_T6_T7_T9_mT8_S1D_bDpT10_ENKUlT_T0_E_clISt17integral_constantIbLb1EES1P_IbLb0EEEEDaS1L_S1M_EUlS1L_E_NS1_11comp_targetILNS1_3genE2ELNS1_11target_archE906ELNS1_3gpuE6ELNS1_3repE0EEENS1_30default_config_static_selectorELNS0_4arch9wavefront6targetE1EEEvSZ_, .Lfunc_end1725-_ZN7rocprim17ROCPRIM_400000_NS6detail17trampoline_kernelINS0_13select_configILj256ELj13ELNS0_17block_load_methodE3ELS4_3ELS4_3ELNS0_20block_scan_algorithmE0ELj4294967295EEENS1_25partition_config_selectorILNS1_17partition_subalgoE3EjNS0_10empty_typeEbEEZZNS1_14partition_implILS8_3ELb0ES6_jNS0_17counting_iteratorIjlEEPS9_SE_NS0_5tupleIJPjSE_EEENSF_IJSE_SE_EEES9_SG_JZNS1_25segmented_radix_sort_implINS0_14default_configELb1EPK6__halfPSL_PKlPlN2at6native12_GLOBAL__N_18offset_tEEE10hipError_tPvRmT1_PNSt15iterator_traitsISZ_E10value_typeET2_T3_PNS10_IS15_E10value_typeET4_jRbjT5_S1B_jjP12ihipStream_tbEUljE_EEESW_SX_SY_S15_S19_S1B_T6_T7_T9_mT8_S1D_bDpT10_ENKUlT_T0_E_clISt17integral_constantIbLb1EES1P_IbLb0EEEEDaS1L_S1M_EUlS1L_E_NS1_11comp_targetILNS1_3genE2ELNS1_11target_archE906ELNS1_3gpuE6ELNS1_3repE0EEENS1_30default_config_static_selectorELNS0_4arch9wavefront6targetE1EEEvSZ_
                                        ; -- End function
	.section	.AMDGPU.csdata,"",@progbits
; Kernel info:
; codeLenInByte = 0
; NumSgprs: 4
; NumVgprs: 0
; NumAgprs: 0
; TotalNumVgprs: 0
; ScratchSize: 0
; MemoryBound: 0
; FloatMode: 240
; IeeeMode: 1
; LDSByteSize: 0 bytes/workgroup (compile time only)
; SGPRBlocks: 0
; VGPRBlocks: 0
; NumSGPRsForWavesPerEU: 4
; NumVGPRsForWavesPerEU: 1
; AccumOffset: 4
; Occupancy: 8
; WaveLimiterHint : 0
; COMPUTE_PGM_RSRC2:SCRATCH_EN: 0
; COMPUTE_PGM_RSRC2:USER_SGPR: 6
; COMPUTE_PGM_RSRC2:TRAP_HANDLER: 0
; COMPUTE_PGM_RSRC2:TGID_X_EN: 1
; COMPUTE_PGM_RSRC2:TGID_Y_EN: 0
; COMPUTE_PGM_RSRC2:TGID_Z_EN: 0
; COMPUTE_PGM_RSRC2:TIDIG_COMP_CNT: 0
; COMPUTE_PGM_RSRC3_GFX90A:ACCUM_OFFSET: 0
; COMPUTE_PGM_RSRC3_GFX90A:TG_SPLIT: 0
	.section	.text._ZN7rocprim17ROCPRIM_400000_NS6detail17trampoline_kernelINS0_13select_configILj256ELj13ELNS0_17block_load_methodE3ELS4_3ELS4_3ELNS0_20block_scan_algorithmE0ELj4294967295EEENS1_25partition_config_selectorILNS1_17partition_subalgoE3EjNS0_10empty_typeEbEEZZNS1_14partition_implILS8_3ELb0ES6_jNS0_17counting_iteratorIjlEEPS9_SE_NS0_5tupleIJPjSE_EEENSF_IJSE_SE_EEES9_SG_JZNS1_25segmented_radix_sort_implINS0_14default_configELb1EPK6__halfPSL_PKlPlN2at6native12_GLOBAL__N_18offset_tEEE10hipError_tPvRmT1_PNSt15iterator_traitsISZ_E10value_typeET2_T3_PNS10_IS15_E10value_typeET4_jRbjT5_S1B_jjP12ihipStream_tbEUljE_EEESW_SX_SY_S15_S19_S1B_T6_T7_T9_mT8_S1D_bDpT10_ENKUlT_T0_E_clISt17integral_constantIbLb1EES1P_IbLb0EEEEDaS1L_S1M_EUlS1L_E_NS1_11comp_targetILNS1_3genE10ELNS1_11target_archE1200ELNS1_3gpuE4ELNS1_3repE0EEENS1_30default_config_static_selectorELNS0_4arch9wavefront6targetE1EEEvSZ_,"axG",@progbits,_ZN7rocprim17ROCPRIM_400000_NS6detail17trampoline_kernelINS0_13select_configILj256ELj13ELNS0_17block_load_methodE3ELS4_3ELS4_3ELNS0_20block_scan_algorithmE0ELj4294967295EEENS1_25partition_config_selectorILNS1_17partition_subalgoE3EjNS0_10empty_typeEbEEZZNS1_14partition_implILS8_3ELb0ES6_jNS0_17counting_iteratorIjlEEPS9_SE_NS0_5tupleIJPjSE_EEENSF_IJSE_SE_EEES9_SG_JZNS1_25segmented_radix_sort_implINS0_14default_configELb1EPK6__halfPSL_PKlPlN2at6native12_GLOBAL__N_18offset_tEEE10hipError_tPvRmT1_PNSt15iterator_traitsISZ_E10value_typeET2_T3_PNS10_IS15_E10value_typeET4_jRbjT5_S1B_jjP12ihipStream_tbEUljE_EEESW_SX_SY_S15_S19_S1B_T6_T7_T9_mT8_S1D_bDpT10_ENKUlT_T0_E_clISt17integral_constantIbLb1EES1P_IbLb0EEEEDaS1L_S1M_EUlS1L_E_NS1_11comp_targetILNS1_3genE10ELNS1_11target_archE1200ELNS1_3gpuE4ELNS1_3repE0EEENS1_30default_config_static_selectorELNS0_4arch9wavefront6targetE1EEEvSZ_,comdat
	.globl	_ZN7rocprim17ROCPRIM_400000_NS6detail17trampoline_kernelINS0_13select_configILj256ELj13ELNS0_17block_load_methodE3ELS4_3ELS4_3ELNS0_20block_scan_algorithmE0ELj4294967295EEENS1_25partition_config_selectorILNS1_17partition_subalgoE3EjNS0_10empty_typeEbEEZZNS1_14partition_implILS8_3ELb0ES6_jNS0_17counting_iteratorIjlEEPS9_SE_NS0_5tupleIJPjSE_EEENSF_IJSE_SE_EEES9_SG_JZNS1_25segmented_radix_sort_implINS0_14default_configELb1EPK6__halfPSL_PKlPlN2at6native12_GLOBAL__N_18offset_tEEE10hipError_tPvRmT1_PNSt15iterator_traitsISZ_E10value_typeET2_T3_PNS10_IS15_E10value_typeET4_jRbjT5_S1B_jjP12ihipStream_tbEUljE_EEESW_SX_SY_S15_S19_S1B_T6_T7_T9_mT8_S1D_bDpT10_ENKUlT_T0_E_clISt17integral_constantIbLb1EES1P_IbLb0EEEEDaS1L_S1M_EUlS1L_E_NS1_11comp_targetILNS1_3genE10ELNS1_11target_archE1200ELNS1_3gpuE4ELNS1_3repE0EEENS1_30default_config_static_selectorELNS0_4arch9wavefront6targetE1EEEvSZ_ ; -- Begin function _ZN7rocprim17ROCPRIM_400000_NS6detail17trampoline_kernelINS0_13select_configILj256ELj13ELNS0_17block_load_methodE3ELS4_3ELS4_3ELNS0_20block_scan_algorithmE0ELj4294967295EEENS1_25partition_config_selectorILNS1_17partition_subalgoE3EjNS0_10empty_typeEbEEZZNS1_14partition_implILS8_3ELb0ES6_jNS0_17counting_iteratorIjlEEPS9_SE_NS0_5tupleIJPjSE_EEENSF_IJSE_SE_EEES9_SG_JZNS1_25segmented_radix_sort_implINS0_14default_configELb1EPK6__halfPSL_PKlPlN2at6native12_GLOBAL__N_18offset_tEEE10hipError_tPvRmT1_PNSt15iterator_traitsISZ_E10value_typeET2_T3_PNS10_IS15_E10value_typeET4_jRbjT5_S1B_jjP12ihipStream_tbEUljE_EEESW_SX_SY_S15_S19_S1B_T6_T7_T9_mT8_S1D_bDpT10_ENKUlT_T0_E_clISt17integral_constantIbLb1EES1P_IbLb0EEEEDaS1L_S1M_EUlS1L_E_NS1_11comp_targetILNS1_3genE10ELNS1_11target_archE1200ELNS1_3gpuE4ELNS1_3repE0EEENS1_30default_config_static_selectorELNS0_4arch9wavefront6targetE1EEEvSZ_
	.p2align	8
	.type	_ZN7rocprim17ROCPRIM_400000_NS6detail17trampoline_kernelINS0_13select_configILj256ELj13ELNS0_17block_load_methodE3ELS4_3ELS4_3ELNS0_20block_scan_algorithmE0ELj4294967295EEENS1_25partition_config_selectorILNS1_17partition_subalgoE3EjNS0_10empty_typeEbEEZZNS1_14partition_implILS8_3ELb0ES6_jNS0_17counting_iteratorIjlEEPS9_SE_NS0_5tupleIJPjSE_EEENSF_IJSE_SE_EEES9_SG_JZNS1_25segmented_radix_sort_implINS0_14default_configELb1EPK6__halfPSL_PKlPlN2at6native12_GLOBAL__N_18offset_tEEE10hipError_tPvRmT1_PNSt15iterator_traitsISZ_E10value_typeET2_T3_PNS10_IS15_E10value_typeET4_jRbjT5_S1B_jjP12ihipStream_tbEUljE_EEESW_SX_SY_S15_S19_S1B_T6_T7_T9_mT8_S1D_bDpT10_ENKUlT_T0_E_clISt17integral_constantIbLb1EES1P_IbLb0EEEEDaS1L_S1M_EUlS1L_E_NS1_11comp_targetILNS1_3genE10ELNS1_11target_archE1200ELNS1_3gpuE4ELNS1_3repE0EEENS1_30default_config_static_selectorELNS0_4arch9wavefront6targetE1EEEvSZ_,@function
_ZN7rocprim17ROCPRIM_400000_NS6detail17trampoline_kernelINS0_13select_configILj256ELj13ELNS0_17block_load_methodE3ELS4_3ELS4_3ELNS0_20block_scan_algorithmE0ELj4294967295EEENS1_25partition_config_selectorILNS1_17partition_subalgoE3EjNS0_10empty_typeEbEEZZNS1_14partition_implILS8_3ELb0ES6_jNS0_17counting_iteratorIjlEEPS9_SE_NS0_5tupleIJPjSE_EEENSF_IJSE_SE_EEES9_SG_JZNS1_25segmented_radix_sort_implINS0_14default_configELb1EPK6__halfPSL_PKlPlN2at6native12_GLOBAL__N_18offset_tEEE10hipError_tPvRmT1_PNSt15iterator_traitsISZ_E10value_typeET2_T3_PNS10_IS15_E10value_typeET4_jRbjT5_S1B_jjP12ihipStream_tbEUljE_EEESW_SX_SY_S15_S19_S1B_T6_T7_T9_mT8_S1D_bDpT10_ENKUlT_T0_E_clISt17integral_constantIbLb1EES1P_IbLb0EEEEDaS1L_S1M_EUlS1L_E_NS1_11comp_targetILNS1_3genE10ELNS1_11target_archE1200ELNS1_3gpuE4ELNS1_3repE0EEENS1_30default_config_static_selectorELNS0_4arch9wavefront6targetE1EEEvSZ_: ; @_ZN7rocprim17ROCPRIM_400000_NS6detail17trampoline_kernelINS0_13select_configILj256ELj13ELNS0_17block_load_methodE3ELS4_3ELS4_3ELNS0_20block_scan_algorithmE0ELj4294967295EEENS1_25partition_config_selectorILNS1_17partition_subalgoE3EjNS0_10empty_typeEbEEZZNS1_14partition_implILS8_3ELb0ES6_jNS0_17counting_iteratorIjlEEPS9_SE_NS0_5tupleIJPjSE_EEENSF_IJSE_SE_EEES9_SG_JZNS1_25segmented_radix_sort_implINS0_14default_configELb1EPK6__halfPSL_PKlPlN2at6native12_GLOBAL__N_18offset_tEEE10hipError_tPvRmT1_PNSt15iterator_traitsISZ_E10value_typeET2_T3_PNS10_IS15_E10value_typeET4_jRbjT5_S1B_jjP12ihipStream_tbEUljE_EEESW_SX_SY_S15_S19_S1B_T6_T7_T9_mT8_S1D_bDpT10_ENKUlT_T0_E_clISt17integral_constantIbLb1EES1P_IbLb0EEEEDaS1L_S1M_EUlS1L_E_NS1_11comp_targetILNS1_3genE10ELNS1_11target_archE1200ELNS1_3gpuE4ELNS1_3repE0EEENS1_30default_config_static_selectorELNS0_4arch9wavefront6targetE1EEEvSZ_
; %bb.0:
	.section	.rodata,"a",@progbits
	.p2align	6, 0x0
	.amdhsa_kernel _ZN7rocprim17ROCPRIM_400000_NS6detail17trampoline_kernelINS0_13select_configILj256ELj13ELNS0_17block_load_methodE3ELS4_3ELS4_3ELNS0_20block_scan_algorithmE0ELj4294967295EEENS1_25partition_config_selectorILNS1_17partition_subalgoE3EjNS0_10empty_typeEbEEZZNS1_14partition_implILS8_3ELb0ES6_jNS0_17counting_iteratorIjlEEPS9_SE_NS0_5tupleIJPjSE_EEENSF_IJSE_SE_EEES9_SG_JZNS1_25segmented_radix_sort_implINS0_14default_configELb1EPK6__halfPSL_PKlPlN2at6native12_GLOBAL__N_18offset_tEEE10hipError_tPvRmT1_PNSt15iterator_traitsISZ_E10value_typeET2_T3_PNS10_IS15_E10value_typeET4_jRbjT5_S1B_jjP12ihipStream_tbEUljE_EEESW_SX_SY_S15_S19_S1B_T6_T7_T9_mT8_S1D_bDpT10_ENKUlT_T0_E_clISt17integral_constantIbLb1EES1P_IbLb0EEEEDaS1L_S1M_EUlS1L_E_NS1_11comp_targetILNS1_3genE10ELNS1_11target_archE1200ELNS1_3gpuE4ELNS1_3repE0EEENS1_30default_config_static_selectorELNS0_4arch9wavefront6targetE1EEEvSZ_
		.amdhsa_group_segment_fixed_size 0
		.amdhsa_private_segment_fixed_size 0
		.amdhsa_kernarg_size 144
		.amdhsa_user_sgpr_count 6
		.amdhsa_user_sgpr_private_segment_buffer 1
		.amdhsa_user_sgpr_dispatch_ptr 0
		.amdhsa_user_sgpr_queue_ptr 0
		.amdhsa_user_sgpr_kernarg_segment_ptr 1
		.amdhsa_user_sgpr_dispatch_id 0
		.amdhsa_user_sgpr_flat_scratch_init 0
		.amdhsa_user_sgpr_kernarg_preload_length 0
		.amdhsa_user_sgpr_kernarg_preload_offset 0
		.amdhsa_user_sgpr_private_segment_size 0
		.amdhsa_uses_dynamic_stack 0
		.amdhsa_system_sgpr_private_segment_wavefront_offset 0
		.amdhsa_system_sgpr_workgroup_id_x 1
		.amdhsa_system_sgpr_workgroup_id_y 0
		.amdhsa_system_sgpr_workgroup_id_z 0
		.amdhsa_system_sgpr_workgroup_info 0
		.amdhsa_system_vgpr_workitem_id 0
		.amdhsa_next_free_vgpr 1
		.amdhsa_next_free_sgpr 0
		.amdhsa_accum_offset 4
		.amdhsa_reserve_vcc 0
		.amdhsa_reserve_flat_scratch 0
		.amdhsa_float_round_mode_32 0
		.amdhsa_float_round_mode_16_64 0
		.amdhsa_float_denorm_mode_32 3
		.amdhsa_float_denorm_mode_16_64 3
		.amdhsa_dx10_clamp 1
		.amdhsa_ieee_mode 1
		.amdhsa_fp16_overflow 0
		.amdhsa_tg_split 0
		.amdhsa_exception_fp_ieee_invalid_op 0
		.amdhsa_exception_fp_denorm_src 0
		.amdhsa_exception_fp_ieee_div_zero 0
		.amdhsa_exception_fp_ieee_overflow 0
		.amdhsa_exception_fp_ieee_underflow 0
		.amdhsa_exception_fp_ieee_inexact 0
		.amdhsa_exception_int_div_zero 0
	.end_amdhsa_kernel
	.section	.text._ZN7rocprim17ROCPRIM_400000_NS6detail17trampoline_kernelINS0_13select_configILj256ELj13ELNS0_17block_load_methodE3ELS4_3ELS4_3ELNS0_20block_scan_algorithmE0ELj4294967295EEENS1_25partition_config_selectorILNS1_17partition_subalgoE3EjNS0_10empty_typeEbEEZZNS1_14partition_implILS8_3ELb0ES6_jNS0_17counting_iteratorIjlEEPS9_SE_NS0_5tupleIJPjSE_EEENSF_IJSE_SE_EEES9_SG_JZNS1_25segmented_radix_sort_implINS0_14default_configELb1EPK6__halfPSL_PKlPlN2at6native12_GLOBAL__N_18offset_tEEE10hipError_tPvRmT1_PNSt15iterator_traitsISZ_E10value_typeET2_T3_PNS10_IS15_E10value_typeET4_jRbjT5_S1B_jjP12ihipStream_tbEUljE_EEESW_SX_SY_S15_S19_S1B_T6_T7_T9_mT8_S1D_bDpT10_ENKUlT_T0_E_clISt17integral_constantIbLb1EES1P_IbLb0EEEEDaS1L_S1M_EUlS1L_E_NS1_11comp_targetILNS1_3genE10ELNS1_11target_archE1200ELNS1_3gpuE4ELNS1_3repE0EEENS1_30default_config_static_selectorELNS0_4arch9wavefront6targetE1EEEvSZ_,"axG",@progbits,_ZN7rocprim17ROCPRIM_400000_NS6detail17trampoline_kernelINS0_13select_configILj256ELj13ELNS0_17block_load_methodE3ELS4_3ELS4_3ELNS0_20block_scan_algorithmE0ELj4294967295EEENS1_25partition_config_selectorILNS1_17partition_subalgoE3EjNS0_10empty_typeEbEEZZNS1_14partition_implILS8_3ELb0ES6_jNS0_17counting_iteratorIjlEEPS9_SE_NS0_5tupleIJPjSE_EEENSF_IJSE_SE_EEES9_SG_JZNS1_25segmented_radix_sort_implINS0_14default_configELb1EPK6__halfPSL_PKlPlN2at6native12_GLOBAL__N_18offset_tEEE10hipError_tPvRmT1_PNSt15iterator_traitsISZ_E10value_typeET2_T3_PNS10_IS15_E10value_typeET4_jRbjT5_S1B_jjP12ihipStream_tbEUljE_EEESW_SX_SY_S15_S19_S1B_T6_T7_T9_mT8_S1D_bDpT10_ENKUlT_T0_E_clISt17integral_constantIbLb1EES1P_IbLb0EEEEDaS1L_S1M_EUlS1L_E_NS1_11comp_targetILNS1_3genE10ELNS1_11target_archE1200ELNS1_3gpuE4ELNS1_3repE0EEENS1_30default_config_static_selectorELNS0_4arch9wavefront6targetE1EEEvSZ_,comdat
.Lfunc_end1726:
	.size	_ZN7rocprim17ROCPRIM_400000_NS6detail17trampoline_kernelINS0_13select_configILj256ELj13ELNS0_17block_load_methodE3ELS4_3ELS4_3ELNS0_20block_scan_algorithmE0ELj4294967295EEENS1_25partition_config_selectorILNS1_17partition_subalgoE3EjNS0_10empty_typeEbEEZZNS1_14partition_implILS8_3ELb0ES6_jNS0_17counting_iteratorIjlEEPS9_SE_NS0_5tupleIJPjSE_EEENSF_IJSE_SE_EEES9_SG_JZNS1_25segmented_radix_sort_implINS0_14default_configELb1EPK6__halfPSL_PKlPlN2at6native12_GLOBAL__N_18offset_tEEE10hipError_tPvRmT1_PNSt15iterator_traitsISZ_E10value_typeET2_T3_PNS10_IS15_E10value_typeET4_jRbjT5_S1B_jjP12ihipStream_tbEUljE_EEESW_SX_SY_S15_S19_S1B_T6_T7_T9_mT8_S1D_bDpT10_ENKUlT_T0_E_clISt17integral_constantIbLb1EES1P_IbLb0EEEEDaS1L_S1M_EUlS1L_E_NS1_11comp_targetILNS1_3genE10ELNS1_11target_archE1200ELNS1_3gpuE4ELNS1_3repE0EEENS1_30default_config_static_selectorELNS0_4arch9wavefront6targetE1EEEvSZ_, .Lfunc_end1726-_ZN7rocprim17ROCPRIM_400000_NS6detail17trampoline_kernelINS0_13select_configILj256ELj13ELNS0_17block_load_methodE3ELS4_3ELS4_3ELNS0_20block_scan_algorithmE0ELj4294967295EEENS1_25partition_config_selectorILNS1_17partition_subalgoE3EjNS0_10empty_typeEbEEZZNS1_14partition_implILS8_3ELb0ES6_jNS0_17counting_iteratorIjlEEPS9_SE_NS0_5tupleIJPjSE_EEENSF_IJSE_SE_EEES9_SG_JZNS1_25segmented_radix_sort_implINS0_14default_configELb1EPK6__halfPSL_PKlPlN2at6native12_GLOBAL__N_18offset_tEEE10hipError_tPvRmT1_PNSt15iterator_traitsISZ_E10value_typeET2_T3_PNS10_IS15_E10value_typeET4_jRbjT5_S1B_jjP12ihipStream_tbEUljE_EEESW_SX_SY_S15_S19_S1B_T6_T7_T9_mT8_S1D_bDpT10_ENKUlT_T0_E_clISt17integral_constantIbLb1EES1P_IbLb0EEEEDaS1L_S1M_EUlS1L_E_NS1_11comp_targetILNS1_3genE10ELNS1_11target_archE1200ELNS1_3gpuE4ELNS1_3repE0EEENS1_30default_config_static_selectorELNS0_4arch9wavefront6targetE1EEEvSZ_
                                        ; -- End function
	.section	.AMDGPU.csdata,"",@progbits
; Kernel info:
; codeLenInByte = 0
; NumSgprs: 4
; NumVgprs: 0
; NumAgprs: 0
; TotalNumVgprs: 0
; ScratchSize: 0
; MemoryBound: 0
; FloatMode: 240
; IeeeMode: 1
; LDSByteSize: 0 bytes/workgroup (compile time only)
; SGPRBlocks: 0
; VGPRBlocks: 0
; NumSGPRsForWavesPerEU: 4
; NumVGPRsForWavesPerEU: 1
; AccumOffset: 4
; Occupancy: 8
; WaveLimiterHint : 0
; COMPUTE_PGM_RSRC2:SCRATCH_EN: 0
; COMPUTE_PGM_RSRC2:USER_SGPR: 6
; COMPUTE_PGM_RSRC2:TRAP_HANDLER: 0
; COMPUTE_PGM_RSRC2:TGID_X_EN: 1
; COMPUTE_PGM_RSRC2:TGID_Y_EN: 0
; COMPUTE_PGM_RSRC2:TGID_Z_EN: 0
; COMPUTE_PGM_RSRC2:TIDIG_COMP_CNT: 0
; COMPUTE_PGM_RSRC3_GFX90A:ACCUM_OFFSET: 0
; COMPUTE_PGM_RSRC3_GFX90A:TG_SPLIT: 0
	.section	.text._ZN7rocprim17ROCPRIM_400000_NS6detail17trampoline_kernelINS0_13select_configILj256ELj13ELNS0_17block_load_methodE3ELS4_3ELS4_3ELNS0_20block_scan_algorithmE0ELj4294967295EEENS1_25partition_config_selectorILNS1_17partition_subalgoE3EjNS0_10empty_typeEbEEZZNS1_14partition_implILS8_3ELb0ES6_jNS0_17counting_iteratorIjlEEPS9_SE_NS0_5tupleIJPjSE_EEENSF_IJSE_SE_EEES9_SG_JZNS1_25segmented_radix_sort_implINS0_14default_configELb1EPK6__halfPSL_PKlPlN2at6native12_GLOBAL__N_18offset_tEEE10hipError_tPvRmT1_PNSt15iterator_traitsISZ_E10value_typeET2_T3_PNS10_IS15_E10value_typeET4_jRbjT5_S1B_jjP12ihipStream_tbEUljE_EEESW_SX_SY_S15_S19_S1B_T6_T7_T9_mT8_S1D_bDpT10_ENKUlT_T0_E_clISt17integral_constantIbLb1EES1P_IbLb0EEEEDaS1L_S1M_EUlS1L_E_NS1_11comp_targetILNS1_3genE9ELNS1_11target_archE1100ELNS1_3gpuE3ELNS1_3repE0EEENS1_30default_config_static_selectorELNS0_4arch9wavefront6targetE1EEEvSZ_,"axG",@progbits,_ZN7rocprim17ROCPRIM_400000_NS6detail17trampoline_kernelINS0_13select_configILj256ELj13ELNS0_17block_load_methodE3ELS4_3ELS4_3ELNS0_20block_scan_algorithmE0ELj4294967295EEENS1_25partition_config_selectorILNS1_17partition_subalgoE3EjNS0_10empty_typeEbEEZZNS1_14partition_implILS8_3ELb0ES6_jNS0_17counting_iteratorIjlEEPS9_SE_NS0_5tupleIJPjSE_EEENSF_IJSE_SE_EEES9_SG_JZNS1_25segmented_radix_sort_implINS0_14default_configELb1EPK6__halfPSL_PKlPlN2at6native12_GLOBAL__N_18offset_tEEE10hipError_tPvRmT1_PNSt15iterator_traitsISZ_E10value_typeET2_T3_PNS10_IS15_E10value_typeET4_jRbjT5_S1B_jjP12ihipStream_tbEUljE_EEESW_SX_SY_S15_S19_S1B_T6_T7_T9_mT8_S1D_bDpT10_ENKUlT_T0_E_clISt17integral_constantIbLb1EES1P_IbLb0EEEEDaS1L_S1M_EUlS1L_E_NS1_11comp_targetILNS1_3genE9ELNS1_11target_archE1100ELNS1_3gpuE3ELNS1_3repE0EEENS1_30default_config_static_selectorELNS0_4arch9wavefront6targetE1EEEvSZ_,comdat
	.globl	_ZN7rocprim17ROCPRIM_400000_NS6detail17trampoline_kernelINS0_13select_configILj256ELj13ELNS0_17block_load_methodE3ELS4_3ELS4_3ELNS0_20block_scan_algorithmE0ELj4294967295EEENS1_25partition_config_selectorILNS1_17partition_subalgoE3EjNS0_10empty_typeEbEEZZNS1_14partition_implILS8_3ELb0ES6_jNS0_17counting_iteratorIjlEEPS9_SE_NS0_5tupleIJPjSE_EEENSF_IJSE_SE_EEES9_SG_JZNS1_25segmented_radix_sort_implINS0_14default_configELb1EPK6__halfPSL_PKlPlN2at6native12_GLOBAL__N_18offset_tEEE10hipError_tPvRmT1_PNSt15iterator_traitsISZ_E10value_typeET2_T3_PNS10_IS15_E10value_typeET4_jRbjT5_S1B_jjP12ihipStream_tbEUljE_EEESW_SX_SY_S15_S19_S1B_T6_T7_T9_mT8_S1D_bDpT10_ENKUlT_T0_E_clISt17integral_constantIbLb1EES1P_IbLb0EEEEDaS1L_S1M_EUlS1L_E_NS1_11comp_targetILNS1_3genE9ELNS1_11target_archE1100ELNS1_3gpuE3ELNS1_3repE0EEENS1_30default_config_static_selectorELNS0_4arch9wavefront6targetE1EEEvSZ_ ; -- Begin function _ZN7rocprim17ROCPRIM_400000_NS6detail17trampoline_kernelINS0_13select_configILj256ELj13ELNS0_17block_load_methodE3ELS4_3ELS4_3ELNS0_20block_scan_algorithmE0ELj4294967295EEENS1_25partition_config_selectorILNS1_17partition_subalgoE3EjNS0_10empty_typeEbEEZZNS1_14partition_implILS8_3ELb0ES6_jNS0_17counting_iteratorIjlEEPS9_SE_NS0_5tupleIJPjSE_EEENSF_IJSE_SE_EEES9_SG_JZNS1_25segmented_radix_sort_implINS0_14default_configELb1EPK6__halfPSL_PKlPlN2at6native12_GLOBAL__N_18offset_tEEE10hipError_tPvRmT1_PNSt15iterator_traitsISZ_E10value_typeET2_T3_PNS10_IS15_E10value_typeET4_jRbjT5_S1B_jjP12ihipStream_tbEUljE_EEESW_SX_SY_S15_S19_S1B_T6_T7_T9_mT8_S1D_bDpT10_ENKUlT_T0_E_clISt17integral_constantIbLb1EES1P_IbLb0EEEEDaS1L_S1M_EUlS1L_E_NS1_11comp_targetILNS1_3genE9ELNS1_11target_archE1100ELNS1_3gpuE3ELNS1_3repE0EEENS1_30default_config_static_selectorELNS0_4arch9wavefront6targetE1EEEvSZ_
	.p2align	8
	.type	_ZN7rocprim17ROCPRIM_400000_NS6detail17trampoline_kernelINS0_13select_configILj256ELj13ELNS0_17block_load_methodE3ELS4_3ELS4_3ELNS0_20block_scan_algorithmE0ELj4294967295EEENS1_25partition_config_selectorILNS1_17partition_subalgoE3EjNS0_10empty_typeEbEEZZNS1_14partition_implILS8_3ELb0ES6_jNS0_17counting_iteratorIjlEEPS9_SE_NS0_5tupleIJPjSE_EEENSF_IJSE_SE_EEES9_SG_JZNS1_25segmented_radix_sort_implINS0_14default_configELb1EPK6__halfPSL_PKlPlN2at6native12_GLOBAL__N_18offset_tEEE10hipError_tPvRmT1_PNSt15iterator_traitsISZ_E10value_typeET2_T3_PNS10_IS15_E10value_typeET4_jRbjT5_S1B_jjP12ihipStream_tbEUljE_EEESW_SX_SY_S15_S19_S1B_T6_T7_T9_mT8_S1D_bDpT10_ENKUlT_T0_E_clISt17integral_constantIbLb1EES1P_IbLb0EEEEDaS1L_S1M_EUlS1L_E_NS1_11comp_targetILNS1_3genE9ELNS1_11target_archE1100ELNS1_3gpuE3ELNS1_3repE0EEENS1_30default_config_static_selectorELNS0_4arch9wavefront6targetE1EEEvSZ_,@function
_ZN7rocprim17ROCPRIM_400000_NS6detail17trampoline_kernelINS0_13select_configILj256ELj13ELNS0_17block_load_methodE3ELS4_3ELS4_3ELNS0_20block_scan_algorithmE0ELj4294967295EEENS1_25partition_config_selectorILNS1_17partition_subalgoE3EjNS0_10empty_typeEbEEZZNS1_14partition_implILS8_3ELb0ES6_jNS0_17counting_iteratorIjlEEPS9_SE_NS0_5tupleIJPjSE_EEENSF_IJSE_SE_EEES9_SG_JZNS1_25segmented_radix_sort_implINS0_14default_configELb1EPK6__halfPSL_PKlPlN2at6native12_GLOBAL__N_18offset_tEEE10hipError_tPvRmT1_PNSt15iterator_traitsISZ_E10value_typeET2_T3_PNS10_IS15_E10value_typeET4_jRbjT5_S1B_jjP12ihipStream_tbEUljE_EEESW_SX_SY_S15_S19_S1B_T6_T7_T9_mT8_S1D_bDpT10_ENKUlT_T0_E_clISt17integral_constantIbLb1EES1P_IbLb0EEEEDaS1L_S1M_EUlS1L_E_NS1_11comp_targetILNS1_3genE9ELNS1_11target_archE1100ELNS1_3gpuE3ELNS1_3repE0EEENS1_30default_config_static_selectorELNS0_4arch9wavefront6targetE1EEEvSZ_: ; @_ZN7rocprim17ROCPRIM_400000_NS6detail17trampoline_kernelINS0_13select_configILj256ELj13ELNS0_17block_load_methodE3ELS4_3ELS4_3ELNS0_20block_scan_algorithmE0ELj4294967295EEENS1_25partition_config_selectorILNS1_17partition_subalgoE3EjNS0_10empty_typeEbEEZZNS1_14partition_implILS8_3ELb0ES6_jNS0_17counting_iteratorIjlEEPS9_SE_NS0_5tupleIJPjSE_EEENSF_IJSE_SE_EEES9_SG_JZNS1_25segmented_radix_sort_implINS0_14default_configELb1EPK6__halfPSL_PKlPlN2at6native12_GLOBAL__N_18offset_tEEE10hipError_tPvRmT1_PNSt15iterator_traitsISZ_E10value_typeET2_T3_PNS10_IS15_E10value_typeET4_jRbjT5_S1B_jjP12ihipStream_tbEUljE_EEESW_SX_SY_S15_S19_S1B_T6_T7_T9_mT8_S1D_bDpT10_ENKUlT_T0_E_clISt17integral_constantIbLb1EES1P_IbLb0EEEEDaS1L_S1M_EUlS1L_E_NS1_11comp_targetILNS1_3genE9ELNS1_11target_archE1100ELNS1_3gpuE3ELNS1_3repE0EEENS1_30default_config_static_selectorELNS0_4arch9wavefront6targetE1EEEvSZ_
; %bb.0:
	.section	.rodata,"a",@progbits
	.p2align	6, 0x0
	.amdhsa_kernel _ZN7rocprim17ROCPRIM_400000_NS6detail17trampoline_kernelINS0_13select_configILj256ELj13ELNS0_17block_load_methodE3ELS4_3ELS4_3ELNS0_20block_scan_algorithmE0ELj4294967295EEENS1_25partition_config_selectorILNS1_17partition_subalgoE3EjNS0_10empty_typeEbEEZZNS1_14partition_implILS8_3ELb0ES6_jNS0_17counting_iteratorIjlEEPS9_SE_NS0_5tupleIJPjSE_EEENSF_IJSE_SE_EEES9_SG_JZNS1_25segmented_radix_sort_implINS0_14default_configELb1EPK6__halfPSL_PKlPlN2at6native12_GLOBAL__N_18offset_tEEE10hipError_tPvRmT1_PNSt15iterator_traitsISZ_E10value_typeET2_T3_PNS10_IS15_E10value_typeET4_jRbjT5_S1B_jjP12ihipStream_tbEUljE_EEESW_SX_SY_S15_S19_S1B_T6_T7_T9_mT8_S1D_bDpT10_ENKUlT_T0_E_clISt17integral_constantIbLb1EES1P_IbLb0EEEEDaS1L_S1M_EUlS1L_E_NS1_11comp_targetILNS1_3genE9ELNS1_11target_archE1100ELNS1_3gpuE3ELNS1_3repE0EEENS1_30default_config_static_selectorELNS0_4arch9wavefront6targetE1EEEvSZ_
		.amdhsa_group_segment_fixed_size 0
		.amdhsa_private_segment_fixed_size 0
		.amdhsa_kernarg_size 144
		.amdhsa_user_sgpr_count 6
		.amdhsa_user_sgpr_private_segment_buffer 1
		.amdhsa_user_sgpr_dispatch_ptr 0
		.amdhsa_user_sgpr_queue_ptr 0
		.amdhsa_user_sgpr_kernarg_segment_ptr 1
		.amdhsa_user_sgpr_dispatch_id 0
		.amdhsa_user_sgpr_flat_scratch_init 0
		.amdhsa_user_sgpr_kernarg_preload_length 0
		.amdhsa_user_sgpr_kernarg_preload_offset 0
		.amdhsa_user_sgpr_private_segment_size 0
		.amdhsa_uses_dynamic_stack 0
		.amdhsa_system_sgpr_private_segment_wavefront_offset 0
		.amdhsa_system_sgpr_workgroup_id_x 1
		.amdhsa_system_sgpr_workgroup_id_y 0
		.amdhsa_system_sgpr_workgroup_id_z 0
		.amdhsa_system_sgpr_workgroup_info 0
		.amdhsa_system_vgpr_workitem_id 0
		.amdhsa_next_free_vgpr 1
		.amdhsa_next_free_sgpr 0
		.amdhsa_accum_offset 4
		.amdhsa_reserve_vcc 0
		.amdhsa_reserve_flat_scratch 0
		.amdhsa_float_round_mode_32 0
		.amdhsa_float_round_mode_16_64 0
		.amdhsa_float_denorm_mode_32 3
		.amdhsa_float_denorm_mode_16_64 3
		.amdhsa_dx10_clamp 1
		.amdhsa_ieee_mode 1
		.amdhsa_fp16_overflow 0
		.amdhsa_tg_split 0
		.amdhsa_exception_fp_ieee_invalid_op 0
		.amdhsa_exception_fp_denorm_src 0
		.amdhsa_exception_fp_ieee_div_zero 0
		.amdhsa_exception_fp_ieee_overflow 0
		.amdhsa_exception_fp_ieee_underflow 0
		.amdhsa_exception_fp_ieee_inexact 0
		.amdhsa_exception_int_div_zero 0
	.end_amdhsa_kernel
	.section	.text._ZN7rocprim17ROCPRIM_400000_NS6detail17trampoline_kernelINS0_13select_configILj256ELj13ELNS0_17block_load_methodE3ELS4_3ELS4_3ELNS0_20block_scan_algorithmE0ELj4294967295EEENS1_25partition_config_selectorILNS1_17partition_subalgoE3EjNS0_10empty_typeEbEEZZNS1_14partition_implILS8_3ELb0ES6_jNS0_17counting_iteratorIjlEEPS9_SE_NS0_5tupleIJPjSE_EEENSF_IJSE_SE_EEES9_SG_JZNS1_25segmented_radix_sort_implINS0_14default_configELb1EPK6__halfPSL_PKlPlN2at6native12_GLOBAL__N_18offset_tEEE10hipError_tPvRmT1_PNSt15iterator_traitsISZ_E10value_typeET2_T3_PNS10_IS15_E10value_typeET4_jRbjT5_S1B_jjP12ihipStream_tbEUljE_EEESW_SX_SY_S15_S19_S1B_T6_T7_T9_mT8_S1D_bDpT10_ENKUlT_T0_E_clISt17integral_constantIbLb1EES1P_IbLb0EEEEDaS1L_S1M_EUlS1L_E_NS1_11comp_targetILNS1_3genE9ELNS1_11target_archE1100ELNS1_3gpuE3ELNS1_3repE0EEENS1_30default_config_static_selectorELNS0_4arch9wavefront6targetE1EEEvSZ_,"axG",@progbits,_ZN7rocprim17ROCPRIM_400000_NS6detail17trampoline_kernelINS0_13select_configILj256ELj13ELNS0_17block_load_methodE3ELS4_3ELS4_3ELNS0_20block_scan_algorithmE0ELj4294967295EEENS1_25partition_config_selectorILNS1_17partition_subalgoE3EjNS0_10empty_typeEbEEZZNS1_14partition_implILS8_3ELb0ES6_jNS0_17counting_iteratorIjlEEPS9_SE_NS0_5tupleIJPjSE_EEENSF_IJSE_SE_EEES9_SG_JZNS1_25segmented_radix_sort_implINS0_14default_configELb1EPK6__halfPSL_PKlPlN2at6native12_GLOBAL__N_18offset_tEEE10hipError_tPvRmT1_PNSt15iterator_traitsISZ_E10value_typeET2_T3_PNS10_IS15_E10value_typeET4_jRbjT5_S1B_jjP12ihipStream_tbEUljE_EEESW_SX_SY_S15_S19_S1B_T6_T7_T9_mT8_S1D_bDpT10_ENKUlT_T0_E_clISt17integral_constantIbLb1EES1P_IbLb0EEEEDaS1L_S1M_EUlS1L_E_NS1_11comp_targetILNS1_3genE9ELNS1_11target_archE1100ELNS1_3gpuE3ELNS1_3repE0EEENS1_30default_config_static_selectorELNS0_4arch9wavefront6targetE1EEEvSZ_,comdat
.Lfunc_end1727:
	.size	_ZN7rocprim17ROCPRIM_400000_NS6detail17trampoline_kernelINS0_13select_configILj256ELj13ELNS0_17block_load_methodE3ELS4_3ELS4_3ELNS0_20block_scan_algorithmE0ELj4294967295EEENS1_25partition_config_selectorILNS1_17partition_subalgoE3EjNS0_10empty_typeEbEEZZNS1_14partition_implILS8_3ELb0ES6_jNS0_17counting_iteratorIjlEEPS9_SE_NS0_5tupleIJPjSE_EEENSF_IJSE_SE_EEES9_SG_JZNS1_25segmented_radix_sort_implINS0_14default_configELb1EPK6__halfPSL_PKlPlN2at6native12_GLOBAL__N_18offset_tEEE10hipError_tPvRmT1_PNSt15iterator_traitsISZ_E10value_typeET2_T3_PNS10_IS15_E10value_typeET4_jRbjT5_S1B_jjP12ihipStream_tbEUljE_EEESW_SX_SY_S15_S19_S1B_T6_T7_T9_mT8_S1D_bDpT10_ENKUlT_T0_E_clISt17integral_constantIbLb1EES1P_IbLb0EEEEDaS1L_S1M_EUlS1L_E_NS1_11comp_targetILNS1_3genE9ELNS1_11target_archE1100ELNS1_3gpuE3ELNS1_3repE0EEENS1_30default_config_static_selectorELNS0_4arch9wavefront6targetE1EEEvSZ_, .Lfunc_end1727-_ZN7rocprim17ROCPRIM_400000_NS6detail17trampoline_kernelINS0_13select_configILj256ELj13ELNS0_17block_load_methodE3ELS4_3ELS4_3ELNS0_20block_scan_algorithmE0ELj4294967295EEENS1_25partition_config_selectorILNS1_17partition_subalgoE3EjNS0_10empty_typeEbEEZZNS1_14partition_implILS8_3ELb0ES6_jNS0_17counting_iteratorIjlEEPS9_SE_NS0_5tupleIJPjSE_EEENSF_IJSE_SE_EEES9_SG_JZNS1_25segmented_radix_sort_implINS0_14default_configELb1EPK6__halfPSL_PKlPlN2at6native12_GLOBAL__N_18offset_tEEE10hipError_tPvRmT1_PNSt15iterator_traitsISZ_E10value_typeET2_T3_PNS10_IS15_E10value_typeET4_jRbjT5_S1B_jjP12ihipStream_tbEUljE_EEESW_SX_SY_S15_S19_S1B_T6_T7_T9_mT8_S1D_bDpT10_ENKUlT_T0_E_clISt17integral_constantIbLb1EES1P_IbLb0EEEEDaS1L_S1M_EUlS1L_E_NS1_11comp_targetILNS1_3genE9ELNS1_11target_archE1100ELNS1_3gpuE3ELNS1_3repE0EEENS1_30default_config_static_selectorELNS0_4arch9wavefront6targetE1EEEvSZ_
                                        ; -- End function
	.section	.AMDGPU.csdata,"",@progbits
; Kernel info:
; codeLenInByte = 0
; NumSgprs: 4
; NumVgprs: 0
; NumAgprs: 0
; TotalNumVgprs: 0
; ScratchSize: 0
; MemoryBound: 0
; FloatMode: 240
; IeeeMode: 1
; LDSByteSize: 0 bytes/workgroup (compile time only)
; SGPRBlocks: 0
; VGPRBlocks: 0
; NumSGPRsForWavesPerEU: 4
; NumVGPRsForWavesPerEU: 1
; AccumOffset: 4
; Occupancy: 8
; WaveLimiterHint : 0
; COMPUTE_PGM_RSRC2:SCRATCH_EN: 0
; COMPUTE_PGM_RSRC2:USER_SGPR: 6
; COMPUTE_PGM_RSRC2:TRAP_HANDLER: 0
; COMPUTE_PGM_RSRC2:TGID_X_EN: 1
; COMPUTE_PGM_RSRC2:TGID_Y_EN: 0
; COMPUTE_PGM_RSRC2:TGID_Z_EN: 0
; COMPUTE_PGM_RSRC2:TIDIG_COMP_CNT: 0
; COMPUTE_PGM_RSRC3_GFX90A:ACCUM_OFFSET: 0
; COMPUTE_PGM_RSRC3_GFX90A:TG_SPLIT: 0
	.section	.text._ZN7rocprim17ROCPRIM_400000_NS6detail17trampoline_kernelINS0_13select_configILj256ELj13ELNS0_17block_load_methodE3ELS4_3ELS4_3ELNS0_20block_scan_algorithmE0ELj4294967295EEENS1_25partition_config_selectorILNS1_17partition_subalgoE3EjNS0_10empty_typeEbEEZZNS1_14partition_implILS8_3ELb0ES6_jNS0_17counting_iteratorIjlEEPS9_SE_NS0_5tupleIJPjSE_EEENSF_IJSE_SE_EEES9_SG_JZNS1_25segmented_radix_sort_implINS0_14default_configELb1EPK6__halfPSL_PKlPlN2at6native12_GLOBAL__N_18offset_tEEE10hipError_tPvRmT1_PNSt15iterator_traitsISZ_E10value_typeET2_T3_PNS10_IS15_E10value_typeET4_jRbjT5_S1B_jjP12ihipStream_tbEUljE_EEESW_SX_SY_S15_S19_S1B_T6_T7_T9_mT8_S1D_bDpT10_ENKUlT_T0_E_clISt17integral_constantIbLb1EES1P_IbLb0EEEEDaS1L_S1M_EUlS1L_E_NS1_11comp_targetILNS1_3genE8ELNS1_11target_archE1030ELNS1_3gpuE2ELNS1_3repE0EEENS1_30default_config_static_selectorELNS0_4arch9wavefront6targetE1EEEvSZ_,"axG",@progbits,_ZN7rocprim17ROCPRIM_400000_NS6detail17trampoline_kernelINS0_13select_configILj256ELj13ELNS0_17block_load_methodE3ELS4_3ELS4_3ELNS0_20block_scan_algorithmE0ELj4294967295EEENS1_25partition_config_selectorILNS1_17partition_subalgoE3EjNS0_10empty_typeEbEEZZNS1_14partition_implILS8_3ELb0ES6_jNS0_17counting_iteratorIjlEEPS9_SE_NS0_5tupleIJPjSE_EEENSF_IJSE_SE_EEES9_SG_JZNS1_25segmented_radix_sort_implINS0_14default_configELb1EPK6__halfPSL_PKlPlN2at6native12_GLOBAL__N_18offset_tEEE10hipError_tPvRmT1_PNSt15iterator_traitsISZ_E10value_typeET2_T3_PNS10_IS15_E10value_typeET4_jRbjT5_S1B_jjP12ihipStream_tbEUljE_EEESW_SX_SY_S15_S19_S1B_T6_T7_T9_mT8_S1D_bDpT10_ENKUlT_T0_E_clISt17integral_constantIbLb1EES1P_IbLb0EEEEDaS1L_S1M_EUlS1L_E_NS1_11comp_targetILNS1_3genE8ELNS1_11target_archE1030ELNS1_3gpuE2ELNS1_3repE0EEENS1_30default_config_static_selectorELNS0_4arch9wavefront6targetE1EEEvSZ_,comdat
	.globl	_ZN7rocprim17ROCPRIM_400000_NS6detail17trampoline_kernelINS0_13select_configILj256ELj13ELNS0_17block_load_methodE3ELS4_3ELS4_3ELNS0_20block_scan_algorithmE0ELj4294967295EEENS1_25partition_config_selectorILNS1_17partition_subalgoE3EjNS0_10empty_typeEbEEZZNS1_14partition_implILS8_3ELb0ES6_jNS0_17counting_iteratorIjlEEPS9_SE_NS0_5tupleIJPjSE_EEENSF_IJSE_SE_EEES9_SG_JZNS1_25segmented_radix_sort_implINS0_14default_configELb1EPK6__halfPSL_PKlPlN2at6native12_GLOBAL__N_18offset_tEEE10hipError_tPvRmT1_PNSt15iterator_traitsISZ_E10value_typeET2_T3_PNS10_IS15_E10value_typeET4_jRbjT5_S1B_jjP12ihipStream_tbEUljE_EEESW_SX_SY_S15_S19_S1B_T6_T7_T9_mT8_S1D_bDpT10_ENKUlT_T0_E_clISt17integral_constantIbLb1EES1P_IbLb0EEEEDaS1L_S1M_EUlS1L_E_NS1_11comp_targetILNS1_3genE8ELNS1_11target_archE1030ELNS1_3gpuE2ELNS1_3repE0EEENS1_30default_config_static_selectorELNS0_4arch9wavefront6targetE1EEEvSZ_ ; -- Begin function _ZN7rocprim17ROCPRIM_400000_NS6detail17trampoline_kernelINS0_13select_configILj256ELj13ELNS0_17block_load_methodE3ELS4_3ELS4_3ELNS0_20block_scan_algorithmE0ELj4294967295EEENS1_25partition_config_selectorILNS1_17partition_subalgoE3EjNS0_10empty_typeEbEEZZNS1_14partition_implILS8_3ELb0ES6_jNS0_17counting_iteratorIjlEEPS9_SE_NS0_5tupleIJPjSE_EEENSF_IJSE_SE_EEES9_SG_JZNS1_25segmented_radix_sort_implINS0_14default_configELb1EPK6__halfPSL_PKlPlN2at6native12_GLOBAL__N_18offset_tEEE10hipError_tPvRmT1_PNSt15iterator_traitsISZ_E10value_typeET2_T3_PNS10_IS15_E10value_typeET4_jRbjT5_S1B_jjP12ihipStream_tbEUljE_EEESW_SX_SY_S15_S19_S1B_T6_T7_T9_mT8_S1D_bDpT10_ENKUlT_T0_E_clISt17integral_constantIbLb1EES1P_IbLb0EEEEDaS1L_S1M_EUlS1L_E_NS1_11comp_targetILNS1_3genE8ELNS1_11target_archE1030ELNS1_3gpuE2ELNS1_3repE0EEENS1_30default_config_static_selectorELNS0_4arch9wavefront6targetE1EEEvSZ_
	.p2align	8
	.type	_ZN7rocprim17ROCPRIM_400000_NS6detail17trampoline_kernelINS0_13select_configILj256ELj13ELNS0_17block_load_methodE3ELS4_3ELS4_3ELNS0_20block_scan_algorithmE0ELj4294967295EEENS1_25partition_config_selectorILNS1_17partition_subalgoE3EjNS0_10empty_typeEbEEZZNS1_14partition_implILS8_3ELb0ES6_jNS0_17counting_iteratorIjlEEPS9_SE_NS0_5tupleIJPjSE_EEENSF_IJSE_SE_EEES9_SG_JZNS1_25segmented_radix_sort_implINS0_14default_configELb1EPK6__halfPSL_PKlPlN2at6native12_GLOBAL__N_18offset_tEEE10hipError_tPvRmT1_PNSt15iterator_traitsISZ_E10value_typeET2_T3_PNS10_IS15_E10value_typeET4_jRbjT5_S1B_jjP12ihipStream_tbEUljE_EEESW_SX_SY_S15_S19_S1B_T6_T7_T9_mT8_S1D_bDpT10_ENKUlT_T0_E_clISt17integral_constantIbLb1EES1P_IbLb0EEEEDaS1L_S1M_EUlS1L_E_NS1_11comp_targetILNS1_3genE8ELNS1_11target_archE1030ELNS1_3gpuE2ELNS1_3repE0EEENS1_30default_config_static_selectorELNS0_4arch9wavefront6targetE1EEEvSZ_,@function
_ZN7rocprim17ROCPRIM_400000_NS6detail17trampoline_kernelINS0_13select_configILj256ELj13ELNS0_17block_load_methodE3ELS4_3ELS4_3ELNS0_20block_scan_algorithmE0ELj4294967295EEENS1_25partition_config_selectorILNS1_17partition_subalgoE3EjNS0_10empty_typeEbEEZZNS1_14partition_implILS8_3ELb0ES6_jNS0_17counting_iteratorIjlEEPS9_SE_NS0_5tupleIJPjSE_EEENSF_IJSE_SE_EEES9_SG_JZNS1_25segmented_radix_sort_implINS0_14default_configELb1EPK6__halfPSL_PKlPlN2at6native12_GLOBAL__N_18offset_tEEE10hipError_tPvRmT1_PNSt15iterator_traitsISZ_E10value_typeET2_T3_PNS10_IS15_E10value_typeET4_jRbjT5_S1B_jjP12ihipStream_tbEUljE_EEESW_SX_SY_S15_S19_S1B_T6_T7_T9_mT8_S1D_bDpT10_ENKUlT_T0_E_clISt17integral_constantIbLb1EES1P_IbLb0EEEEDaS1L_S1M_EUlS1L_E_NS1_11comp_targetILNS1_3genE8ELNS1_11target_archE1030ELNS1_3gpuE2ELNS1_3repE0EEENS1_30default_config_static_selectorELNS0_4arch9wavefront6targetE1EEEvSZ_: ; @_ZN7rocprim17ROCPRIM_400000_NS6detail17trampoline_kernelINS0_13select_configILj256ELj13ELNS0_17block_load_methodE3ELS4_3ELS4_3ELNS0_20block_scan_algorithmE0ELj4294967295EEENS1_25partition_config_selectorILNS1_17partition_subalgoE3EjNS0_10empty_typeEbEEZZNS1_14partition_implILS8_3ELb0ES6_jNS0_17counting_iteratorIjlEEPS9_SE_NS0_5tupleIJPjSE_EEENSF_IJSE_SE_EEES9_SG_JZNS1_25segmented_radix_sort_implINS0_14default_configELb1EPK6__halfPSL_PKlPlN2at6native12_GLOBAL__N_18offset_tEEE10hipError_tPvRmT1_PNSt15iterator_traitsISZ_E10value_typeET2_T3_PNS10_IS15_E10value_typeET4_jRbjT5_S1B_jjP12ihipStream_tbEUljE_EEESW_SX_SY_S15_S19_S1B_T6_T7_T9_mT8_S1D_bDpT10_ENKUlT_T0_E_clISt17integral_constantIbLb1EES1P_IbLb0EEEEDaS1L_S1M_EUlS1L_E_NS1_11comp_targetILNS1_3genE8ELNS1_11target_archE1030ELNS1_3gpuE2ELNS1_3repE0EEENS1_30default_config_static_selectorELNS0_4arch9wavefront6targetE1EEEvSZ_
; %bb.0:
	.section	.rodata,"a",@progbits
	.p2align	6, 0x0
	.amdhsa_kernel _ZN7rocprim17ROCPRIM_400000_NS6detail17trampoline_kernelINS0_13select_configILj256ELj13ELNS0_17block_load_methodE3ELS4_3ELS4_3ELNS0_20block_scan_algorithmE0ELj4294967295EEENS1_25partition_config_selectorILNS1_17partition_subalgoE3EjNS0_10empty_typeEbEEZZNS1_14partition_implILS8_3ELb0ES6_jNS0_17counting_iteratorIjlEEPS9_SE_NS0_5tupleIJPjSE_EEENSF_IJSE_SE_EEES9_SG_JZNS1_25segmented_radix_sort_implINS0_14default_configELb1EPK6__halfPSL_PKlPlN2at6native12_GLOBAL__N_18offset_tEEE10hipError_tPvRmT1_PNSt15iterator_traitsISZ_E10value_typeET2_T3_PNS10_IS15_E10value_typeET4_jRbjT5_S1B_jjP12ihipStream_tbEUljE_EEESW_SX_SY_S15_S19_S1B_T6_T7_T9_mT8_S1D_bDpT10_ENKUlT_T0_E_clISt17integral_constantIbLb1EES1P_IbLb0EEEEDaS1L_S1M_EUlS1L_E_NS1_11comp_targetILNS1_3genE8ELNS1_11target_archE1030ELNS1_3gpuE2ELNS1_3repE0EEENS1_30default_config_static_selectorELNS0_4arch9wavefront6targetE1EEEvSZ_
		.amdhsa_group_segment_fixed_size 0
		.amdhsa_private_segment_fixed_size 0
		.amdhsa_kernarg_size 144
		.amdhsa_user_sgpr_count 6
		.amdhsa_user_sgpr_private_segment_buffer 1
		.amdhsa_user_sgpr_dispatch_ptr 0
		.amdhsa_user_sgpr_queue_ptr 0
		.amdhsa_user_sgpr_kernarg_segment_ptr 1
		.amdhsa_user_sgpr_dispatch_id 0
		.amdhsa_user_sgpr_flat_scratch_init 0
		.amdhsa_user_sgpr_kernarg_preload_length 0
		.amdhsa_user_sgpr_kernarg_preload_offset 0
		.amdhsa_user_sgpr_private_segment_size 0
		.amdhsa_uses_dynamic_stack 0
		.amdhsa_system_sgpr_private_segment_wavefront_offset 0
		.amdhsa_system_sgpr_workgroup_id_x 1
		.amdhsa_system_sgpr_workgroup_id_y 0
		.amdhsa_system_sgpr_workgroup_id_z 0
		.amdhsa_system_sgpr_workgroup_info 0
		.amdhsa_system_vgpr_workitem_id 0
		.amdhsa_next_free_vgpr 1
		.amdhsa_next_free_sgpr 0
		.amdhsa_accum_offset 4
		.amdhsa_reserve_vcc 0
		.amdhsa_reserve_flat_scratch 0
		.amdhsa_float_round_mode_32 0
		.amdhsa_float_round_mode_16_64 0
		.amdhsa_float_denorm_mode_32 3
		.amdhsa_float_denorm_mode_16_64 3
		.amdhsa_dx10_clamp 1
		.amdhsa_ieee_mode 1
		.amdhsa_fp16_overflow 0
		.amdhsa_tg_split 0
		.amdhsa_exception_fp_ieee_invalid_op 0
		.amdhsa_exception_fp_denorm_src 0
		.amdhsa_exception_fp_ieee_div_zero 0
		.amdhsa_exception_fp_ieee_overflow 0
		.amdhsa_exception_fp_ieee_underflow 0
		.amdhsa_exception_fp_ieee_inexact 0
		.amdhsa_exception_int_div_zero 0
	.end_amdhsa_kernel
	.section	.text._ZN7rocprim17ROCPRIM_400000_NS6detail17trampoline_kernelINS0_13select_configILj256ELj13ELNS0_17block_load_methodE3ELS4_3ELS4_3ELNS0_20block_scan_algorithmE0ELj4294967295EEENS1_25partition_config_selectorILNS1_17partition_subalgoE3EjNS0_10empty_typeEbEEZZNS1_14partition_implILS8_3ELb0ES6_jNS0_17counting_iteratorIjlEEPS9_SE_NS0_5tupleIJPjSE_EEENSF_IJSE_SE_EEES9_SG_JZNS1_25segmented_radix_sort_implINS0_14default_configELb1EPK6__halfPSL_PKlPlN2at6native12_GLOBAL__N_18offset_tEEE10hipError_tPvRmT1_PNSt15iterator_traitsISZ_E10value_typeET2_T3_PNS10_IS15_E10value_typeET4_jRbjT5_S1B_jjP12ihipStream_tbEUljE_EEESW_SX_SY_S15_S19_S1B_T6_T7_T9_mT8_S1D_bDpT10_ENKUlT_T0_E_clISt17integral_constantIbLb1EES1P_IbLb0EEEEDaS1L_S1M_EUlS1L_E_NS1_11comp_targetILNS1_3genE8ELNS1_11target_archE1030ELNS1_3gpuE2ELNS1_3repE0EEENS1_30default_config_static_selectorELNS0_4arch9wavefront6targetE1EEEvSZ_,"axG",@progbits,_ZN7rocprim17ROCPRIM_400000_NS6detail17trampoline_kernelINS0_13select_configILj256ELj13ELNS0_17block_load_methodE3ELS4_3ELS4_3ELNS0_20block_scan_algorithmE0ELj4294967295EEENS1_25partition_config_selectorILNS1_17partition_subalgoE3EjNS0_10empty_typeEbEEZZNS1_14partition_implILS8_3ELb0ES6_jNS0_17counting_iteratorIjlEEPS9_SE_NS0_5tupleIJPjSE_EEENSF_IJSE_SE_EEES9_SG_JZNS1_25segmented_radix_sort_implINS0_14default_configELb1EPK6__halfPSL_PKlPlN2at6native12_GLOBAL__N_18offset_tEEE10hipError_tPvRmT1_PNSt15iterator_traitsISZ_E10value_typeET2_T3_PNS10_IS15_E10value_typeET4_jRbjT5_S1B_jjP12ihipStream_tbEUljE_EEESW_SX_SY_S15_S19_S1B_T6_T7_T9_mT8_S1D_bDpT10_ENKUlT_T0_E_clISt17integral_constantIbLb1EES1P_IbLb0EEEEDaS1L_S1M_EUlS1L_E_NS1_11comp_targetILNS1_3genE8ELNS1_11target_archE1030ELNS1_3gpuE2ELNS1_3repE0EEENS1_30default_config_static_selectorELNS0_4arch9wavefront6targetE1EEEvSZ_,comdat
.Lfunc_end1728:
	.size	_ZN7rocprim17ROCPRIM_400000_NS6detail17trampoline_kernelINS0_13select_configILj256ELj13ELNS0_17block_load_methodE3ELS4_3ELS4_3ELNS0_20block_scan_algorithmE0ELj4294967295EEENS1_25partition_config_selectorILNS1_17partition_subalgoE3EjNS0_10empty_typeEbEEZZNS1_14partition_implILS8_3ELb0ES6_jNS0_17counting_iteratorIjlEEPS9_SE_NS0_5tupleIJPjSE_EEENSF_IJSE_SE_EEES9_SG_JZNS1_25segmented_radix_sort_implINS0_14default_configELb1EPK6__halfPSL_PKlPlN2at6native12_GLOBAL__N_18offset_tEEE10hipError_tPvRmT1_PNSt15iterator_traitsISZ_E10value_typeET2_T3_PNS10_IS15_E10value_typeET4_jRbjT5_S1B_jjP12ihipStream_tbEUljE_EEESW_SX_SY_S15_S19_S1B_T6_T7_T9_mT8_S1D_bDpT10_ENKUlT_T0_E_clISt17integral_constantIbLb1EES1P_IbLb0EEEEDaS1L_S1M_EUlS1L_E_NS1_11comp_targetILNS1_3genE8ELNS1_11target_archE1030ELNS1_3gpuE2ELNS1_3repE0EEENS1_30default_config_static_selectorELNS0_4arch9wavefront6targetE1EEEvSZ_, .Lfunc_end1728-_ZN7rocprim17ROCPRIM_400000_NS6detail17trampoline_kernelINS0_13select_configILj256ELj13ELNS0_17block_load_methodE3ELS4_3ELS4_3ELNS0_20block_scan_algorithmE0ELj4294967295EEENS1_25partition_config_selectorILNS1_17partition_subalgoE3EjNS0_10empty_typeEbEEZZNS1_14partition_implILS8_3ELb0ES6_jNS0_17counting_iteratorIjlEEPS9_SE_NS0_5tupleIJPjSE_EEENSF_IJSE_SE_EEES9_SG_JZNS1_25segmented_radix_sort_implINS0_14default_configELb1EPK6__halfPSL_PKlPlN2at6native12_GLOBAL__N_18offset_tEEE10hipError_tPvRmT1_PNSt15iterator_traitsISZ_E10value_typeET2_T3_PNS10_IS15_E10value_typeET4_jRbjT5_S1B_jjP12ihipStream_tbEUljE_EEESW_SX_SY_S15_S19_S1B_T6_T7_T9_mT8_S1D_bDpT10_ENKUlT_T0_E_clISt17integral_constantIbLb1EES1P_IbLb0EEEEDaS1L_S1M_EUlS1L_E_NS1_11comp_targetILNS1_3genE8ELNS1_11target_archE1030ELNS1_3gpuE2ELNS1_3repE0EEENS1_30default_config_static_selectorELNS0_4arch9wavefront6targetE1EEEvSZ_
                                        ; -- End function
	.section	.AMDGPU.csdata,"",@progbits
; Kernel info:
; codeLenInByte = 0
; NumSgprs: 4
; NumVgprs: 0
; NumAgprs: 0
; TotalNumVgprs: 0
; ScratchSize: 0
; MemoryBound: 0
; FloatMode: 240
; IeeeMode: 1
; LDSByteSize: 0 bytes/workgroup (compile time only)
; SGPRBlocks: 0
; VGPRBlocks: 0
; NumSGPRsForWavesPerEU: 4
; NumVGPRsForWavesPerEU: 1
; AccumOffset: 4
; Occupancy: 8
; WaveLimiterHint : 0
; COMPUTE_PGM_RSRC2:SCRATCH_EN: 0
; COMPUTE_PGM_RSRC2:USER_SGPR: 6
; COMPUTE_PGM_RSRC2:TRAP_HANDLER: 0
; COMPUTE_PGM_RSRC2:TGID_X_EN: 1
; COMPUTE_PGM_RSRC2:TGID_Y_EN: 0
; COMPUTE_PGM_RSRC2:TGID_Z_EN: 0
; COMPUTE_PGM_RSRC2:TIDIG_COMP_CNT: 0
; COMPUTE_PGM_RSRC3_GFX90A:ACCUM_OFFSET: 0
; COMPUTE_PGM_RSRC3_GFX90A:TG_SPLIT: 0
	.section	.text._ZN7rocprim17ROCPRIM_400000_NS6detail17trampoline_kernelINS0_13select_configILj256ELj13ELNS0_17block_load_methodE3ELS4_3ELS4_3ELNS0_20block_scan_algorithmE0ELj4294967295EEENS1_25partition_config_selectorILNS1_17partition_subalgoE3EjNS0_10empty_typeEbEEZZNS1_14partition_implILS8_3ELb0ES6_jNS0_17counting_iteratorIjlEEPS9_SE_NS0_5tupleIJPjSE_EEENSF_IJSE_SE_EEES9_SG_JZNS1_25segmented_radix_sort_implINS0_14default_configELb1EPK6__halfPSL_PKlPlN2at6native12_GLOBAL__N_18offset_tEEE10hipError_tPvRmT1_PNSt15iterator_traitsISZ_E10value_typeET2_T3_PNS10_IS15_E10value_typeET4_jRbjT5_S1B_jjP12ihipStream_tbEUljE_EEESW_SX_SY_S15_S19_S1B_T6_T7_T9_mT8_S1D_bDpT10_ENKUlT_T0_E_clISt17integral_constantIbLb0EES1P_IbLb1EEEEDaS1L_S1M_EUlS1L_E_NS1_11comp_targetILNS1_3genE0ELNS1_11target_archE4294967295ELNS1_3gpuE0ELNS1_3repE0EEENS1_30default_config_static_selectorELNS0_4arch9wavefront6targetE1EEEvSZ_,"axG",@progbits,_ZN7rocprim17ROCPRIM_400000_NS6detail17trampoline_kernelINS0_13select_configILj256ELj13ELNS0_17block_load_methodE3ELS4_3ELS4_3ELNS0_20block_scan_algorithmE0ELj4294967295EEENS1_25partition_config_selectorILNS1_17partition_subalgoE3EjNS0_10empty_typeEbEEZZNS1_14partition_implILS8_3ELb0ES6_jNS0_17counting_iteratorIjlEEPS9_SE_NS0_5tupleIJPjSE_EEENSF_IJSE_SE_EEES9_SG_JZNS1_25segmented_radix_sort_implINS0_14default_configELb1EPK6__halfPSL_PKlPlN2at6native12_GLOBAL__N_18offset_tEEE10hipError_tPvRmT1_PNSt15iterator_traitsISZ_E10value_typeET2_T3_PNS10_IS15_E10value_typeET4_jRbjT5_S1B_jjP12ihipStream_tbEUljE_EEESW_SX_SY_S15_S19_S1B_T6_T7_T9_mT8_S1D_bDpT10_ENKUlT_T0_E_clISt17integral_constantIbLb0EES1P_IbLb1EEEEDaS1L_S1M_EUlS1L_E_NS1_11comp_targetILNS1_3genE0ELNS1_11target_archE4294967295ELNS1_3gpuE0ELNS1_3repE0EEENS1_30default_config_static_selectorELNS0_4arch9wavefront6targetE1EEEvSZ_,comdat
	.globl	_ZN7rocprim17ROCPRIM_400000_NS6detail17trampoline_kernelINS0_13select_configILj256ELj13ELNS0_17block_load_methodE3ELS4_3ELS4_3ELNS0_20block_scan_algorithmE0ELj4294967295EEENS1_25partition_config_selectorILNS1_17partition_subalgoE3EjNS0_10empty_typeEbEEZZNS1_14partition_implILS8_3ELb0ES6_jNS0_17counting_iteratorIjlEEPS9_SE_NS0_5tupleIJPjSE_EEENSF_IJSE_SE_EEES9_SG_JZNS1_25segmented_radix_sort_implINS0_14default_configELb1EPK6__halfPSL_PKlPlN2at6native12_GLOBAL__N_18offset_tEEE10hipError_tPvRmT1_PNSt15iterator_traitsISZ_E10value_typeET2_T3_PNS10_IS15_E10value_typeET4_jRbjT5_S1B_jjP12ihipStream_tbEUljE_EEESW_SX_SY_S15_S19_S1B_T6_T7_T9_mT8_S1D_bDpT10_ENKUlT_T0_E_clISt17integral_constantIbLb0EES1P_IbLb1EEEEDaS1L_S1M_EUlS1L_E_NS1_11comp_targetILNS1_3genE0ELNS1_11target_archE4294967295ELNS1_3gpuE0ELNS1_3repE0EEENS1_30default_config_static_selectorELNS0_4arch9wavefront6targetE1EEEvSZ_ ; -- Begin function _ZN7rocprim17ROCPRIM_400000_NS6detail17trampoline_kernelINS0_13select_configILj256ELj13ELNS0_17block_load_methodE3ELS4_3ELS4_3ELNS0_20block_scan_algorithmE0ELj4294967295EEENS1_25partition_config_selectorILNS1_17partition_subalgoE3EjNS0_10empty_typeEbEEZZNS1_14partition_implILS8_3ELb0ES6_jNS0_17counting_iteratorIjlEEPS9_SE_NS0_5tupleIJPjSE_EEENSF_IJSE_SE_EEES9_SG_JZNS1_25segmented_radix_sort_implINS0_14default_configELb1EPK6__halfPSL_PKlPlN2at6native12_GLOBAL__N_18offset_tEEE10hipError_tPvRmT1_PNSt15iterator_traitsISZ_E10value_typeET2_T3_PNS10_IS15_E10value_typeET4_jRbjT5_S1B_jjP12ihipStream_tbEUljE_EEESW_SX_SY_S15_S19_S1B_T6_T7_T9_mT8_S1D_bDpT10_ENKUlT_T0_E_clISt17integral_constantIbLb0EES1P_IbLb1EEEEDaS1L_S1M_EUlS1L_E_NS1_11comp_targetILNS1_3genE0ELNS1_11target_archE4294967295ELNS1_3gpuE0ELNS1_3repE0EEENS1_30default_config_static_selectorELNS0_4arch9wavefront6targetE1EEEvSZ_
	.p2align	8
	.type	_ZN7rocprim17ROCPRIM_400000_NS6detail17trampoline_kernelINS0_13select_configILj256ELj13ELNS0_17block_load_methodE3ELS4_3ELS4_3ELNS0_20block_scan_algorithmE0ELj4294967295EEENS1_25partition_config_selectorILNS1_17partition_subalgoE3EjNS0_10empty_typeEbEEZZNS1_14partition_implILS8_3ELb0ES6_jNS0_17counting_iteratorIjlEEPS9_SE_NS0_5tupleIJPjSE_EEENSF_IJSE_SE_EEES9_SG_JZNS1_25segmented_radix_sort_implINS0_14default_configELb1EPK6__halfPSL_PKlPlN2at6native12_GLOBAL__N_18offset_tEEE10hipError_tPvRmT1_PNSt15iterator_traitsISZ_E10value_typeET2_T3_PNS10_IS15_E10value_typeET4_jRbjT5_S1B_jjP12ihipStream_tbEUljE_EEESW_SX_SY_S15_S19_S1B_T6_T7_T9_mT8_S1D_bDpT10_ENKUlT_T0_E_clISt17integral_constantIbLb0EES1P_IbLb1EEEEDaS1L_S1M_EUlS1L_E_NS1_11comp_targetILNS1_3genE0ELNS1_11target_archE4294967295ELNS1_3gpuE0ELNS1_3repE0EEENS1_30default_config_static_selectorELNS0_4arch9wavefront6targetE1EEEvSZ_,@function
_ZN7rocprim17ROCPRIM_400000_NS6detail17trampoline_kernelINS0_13select_configILj256ELj13ELNS0_17block_load_methodE3ELS4_3ELS4_3ELNS0_20block_scan_algorithmE0ELj4294967295EEENS1_25partition_config_selectorILNS1_17partition_subalgoE3EjNS0_10empty_typeEbEEZZNS1_14partition_implILS8_3ELb0ES6_jNS0_17counting_iteratorIjlEEPS9_SE_NS0_5tupleIJPjSE_EEENSF_IJSE_SE_EEES9_SG_JZNS1_25segmented_radix_sort_implINS0_14default_configELb1EPK6__halfPSL_PKlPlN2at6native12_GLOBAL__N_18offset_tEEE10hipError_tPvRmT1_PNSt15iterator_traitsISZ_E10value_typeET2_T3_PNS10_IS15_E10value_typeET4_jRbjT5_S1B_jjP12ihipStream_tbEUljE_EEESW_SX_SY_S15_S19_S1B_T6_T7_T9_mT8_S1D_bDpT10_ENKUlT_T0_E_clISt17integral_constantIbLb0EES1P_IbLb1EEEEDaS1L_S1M_EUlS1L_E_NS1_11comp_targetILNS1_3genE0ELNS1_11target_archE4294967295ELNS1_3gpuE0ELNS1_3repE0EEENS1_30default_config_static_selectorELNS0_4arch9wavefront6targetE1EEEvSZ_: ; @_ZN7rocprim17ROCPRIM_400000_NS6detail17trampoline_kernelINS0_13select_configILj256ELj13ELNS0_17block_load_methodE3ELS4_3ELS4_3ELNS0_20block_scan_algorithmE0ELj4294967295EEENS1_25partition_config_selectorILNS1_17partition_subalgoE3EjNS0_10empty_typeEbEEZZNS1_14partition_implILS8_3ELb0ES6_jNS0_17counting_iteratorIjlEEPS9_SE_NS0_5tupleIJPjSE_EEENSF_IJSE_SE_EEES9_SG_JZNS1_25segmented_radix_sort_implINS0_14default_configELb1EPK6__halfPSL_PKlPlN2at6native12_GLOBAL__N_18offset_tEEE10hipError_tPvRmT1_PNSt15iterator_traitsISZ_E10value_typeET2_T3_PNS10_IS15_E10value_typeET4_jRbjT5_S1B_jjP12ihipStream_tbEUljE_EEESW_SX_SY_S15_S19_S1B_T6_T7_T9_mT8_S1D_bDpT10_ENKUlT_T0_E_clISt17integral_constantIbLb0EES1P_IbLb1EEEEDaS1L_S1M_EUlS1L_E_NS1_11comp_targetILNS1_3genE0ELNS1_11target_archE4294967295ELNS1_3gpuE0ELNS1_3repE0EEENS1_30default_config_static_selectorELNS0_4arch9wavefront6targetE1EEEvSZ_
; %bb.0:
	.section	.rodata,"a",@progbits
	.p2align	6, 0x0
	.amdhsa_kernel _ZN7rocprim17ROCPRIM_400000_NS6detail17trampoline_kernelINS0_13select_configILj256ELj13ELNS0_17block_load_methodE3ELS4_3ELS4_3ELNS0_20block_scan_algorithmE0ELj4294967295EEENS1_25partition_config_selectorILNS1_17partition_subalgoE3EjNS0_10empty_typeEbEEZZNS1_14partition_implILS8_3ELb0ES6_jNS0_17counting_iteratorIjlEEPS9_SE_NS0_5tupleIJPjSE_EEENSF_IJSE_SE_EEES9_SG_JZNS1_25segmented_radix_sort_implINS0_14default_configELb1EPK6__halfPSL_PKlPlN2at6native12_GLOBAL__N_18offset_tEEE10hipError_tPvRmT1_PNSt15iterator_traitsISZ_E10value_typeET2_T3_PNS10_IS15_E10value_typeET4_jRbjT5_S1B_jjP12ihipStream_tbEUljE_EEESW_SX_SY_S15_S19_S1B_T6_T7_T9_mT8_S1D_bDpT10_ENKUlT_T0_E_clISt17integral_constantIbLb0EES1P_IbLb1EEEEDaS1L_S1M_EUlS1L_E_NS1_11comp_targetILNS1_3genE0ELNS1_11target_archE4294967295ELNS1_3gpuE0ELNS1_3repE0EEENS1_30default_config_static_selectorELNS0_4arch9wavefront6targetE1EEEvSZ_
		.amdhsa_group_segment_fixed_size 0
		.amdhsa_private_segment_fixed_size 0
		.amdhsa_kernarg_size 152
		.amdhsa_user_sgpr_count 6
		.amdhsa_user_sgpr_private_segment_buffer 1
		.amdhsa_user_sgpr_dispatch_ptr 0
		.amdhsa_user_sgpr_queue_ptr 0
		.amdhsa_user_sgpr_kernarg_segment_ptr 1
		.amdhsa_user_sgpr_dispatch_id 0
		.amdhsa_user_sgpr_flat_scratch_init 0
		.amdhsa_user_sgpr_kernarg_preload_length 0
		.amdhsa_user_sgpr_kernarg_preload_offset 0
		.amdhsa_user_sgpr_private_segment_size 0
		.amdhsa_uses_dynamic_stack 0
		.amdhsa_system_sgpr_private_segment_wavefront_offset 0
		.amdhsa_system_sgpr_workgroup_id_x 1
		.amdhsa_system_sgpr_workgroup_id_y 0
		.amdhsa_system_sgpr_workgroup_id_z 0
		.amdhsa_system_sgpr_workgroup_info 0
		.amdhsa_system_vgpr_workitem_id 0
		.amdhsa_next_free_vgpr 1
		.amdhsa_next_free_sgpr 0
		.amdhsa_accum_offset 4
		.amdhsa_reserve_vcc 0
		.amdhsa_reserve_flat_scratch 0
		.amdhsa_float_round_mode_32 0
		.amdhsa_float_round_mode_16_64 0
		.amdhsa_float_denorm_mode_32 3
		.amdhsa_float_denorm_mode_16_64 3
		.amdhsa_dx10_clamp 1
		.amdhsa_ieee_mode 1
		.amdhsa_fp16_overflow 0
		.amdhsa_tg_split 0
		.amdhsa_exception_fp_ieee_invalid_op 0
		.amdhsa_exception_fp_denorm_src 0
		.amdhsa_exception_fp_ieee_div_zero 0
		.amdhsa_exception_fp_ieee_overflow 0
		.amdhsa_exception_fp_ieee_underflow 0
		.amdhsa_exception_fp_ieee_inexact 0
		.amdhsa_exception_int_div_zero 0
	.end_amdhsa_kernel
	.section	.text._ZN7rocprim17ROCPRIM_400000_NS6detail17trampoline_kernelINS0_13select_configILj256ELj13ELNS0_17block_load_methodE3ELS4_3ELS4_3ELNS0_20block_scan_algorithmE0ELj4294967295EEENS1_25partition_config_selectorILNS1_17partition_subalgoE3EjNS0_10empty_typeEbEEZZNS1_14partition_implILS8_3ELb0ES6_jNS0_17counting_iteratorIjlEEPS9_SE_NS0_5tupleIJPjSE_EEENSF_IJSE_SE_EEES9_SG_JZNS1_25segmented_radix_sort_implINS0_14default_configELb1EPK6__halfPSL_PKlPlN2at6native12_GLOBAL__N_18offset_tEEE10hipError_tPvRmT1_PNSt15iterator_traitsISZ_E10value_typeET2_T3_PNS10_IS15_E10value_typeET4_jRbjT5_S1B_jjP12ihipStream_tbEUljE_EEESW_SX_SY_S15_S19_S1B_T6_T7_T9_mT8_S1D_bDpT10_ENKUlT_T0_E_clISt17integral_constantIbLb0EES1P_IbLb1EEEEDaS1L_S1M_EUlS1L_E_NS1_11comp_targetILNS1_3genE0ELNS1_11target_archE4294967295ELNS1_3gpuE0ELNS1_3repE0EEENS1_30default_config_static_selectorELNS0_4arch9wavefront6targetE1EEEvSZ_,"axG",@progbits,_ZN7rocprim17ROCPRIM_400000_NS6detail17trampoline_kernelINS0_13select_configILj256ELj13ELNS0_17block_load_methodE3ELS4_3ELS4_3ELNS0_20block_scan_algorithmE0ELj4294967295EEENS1_25partition_config_selectorILNS1_17partition_subalgoE3EjNS0_10empty_typeEbEEZZNS1_14partition_implILS8_3ELb0ES6_jNS0_17counting_iteratorIjlEEPS9_SE_NS0_5tupleIJPjSE_EEENSF_IJSE_SE_EEES9_SG_JZNS1_25segmented_radix_sort_implINS0_14default_configELb1EPK6__halfPSL_PKlPlN2at6native12_GLOBAL__N_18offset_tEEE10hipError_tPvRmT1_PNSt15iterator_traitsISZ_E10value_typeET2_T3_PNS10_IS15_E10value_typeET4_jRbjT5_S1B_jjP12ihipStream_tbEUljE_EEESW_SX_SY_S15_S19_S1B_T6_T7_T9_mT8_S1D_bDpT10_ENKUlT_T0_E_clISt17integral_constantIbLb0EES1P_IbLb1EEEEDaS1L_S1M_EUlS1L_E_NS1_11comp_targetILNS1_3genE0ELNS1_11target_archE4294967295ELNS1_3gpuE0ELNS1_3repE0EEENS1_30default_config_static_selectorELNS0_4arch9wavefront6targetE1EEEvSZ_,comdat
.Lfunc_end1729:
	.size	_ZN7rocprim17ROCPRIM_400000_NS6detail17trampoline_kernelINS0_13select_configILj256ELj13ELNS0_17block_load_methodE3ELS4_3ELS4_3ELNS0_20block_scan_algorithmE0ELj4294967295EEENS1_25partition_config_selectorILNS1_17partition_subalgoE3EjNS0_10empty_typeEbEEZZNS1_14partition_implILS8_3ELb0ES6_jNS0_17counting_iteratorIjlEEPS9_SE_NS0_5tupleIJPjSE_EEENSF_IJSE_SE_EEES9_SG_JZNS1_25segmented_radix_sort_implINS0_14default_configELb1EPK6__halfPSL_PKlPlN2at6native12_GLOBAL__N_18offset_tEEE10hipError_tPvRmT1_PNSt15iterator_traitsISZ_E10value_typeET2_T3_PNS10_IS15_E10value_typeET4_jRbjT5_S1B_jjP12ihipStream_tbEUljE_EEESW_SX_SY_S15_S19_S1B_T6_T7_T9_mT8_S1D_bDpT10_ENKUlT_T0_E_clISt17integral_constantIbLb0EES1P_IbLb1EEEEDaS1L_S1M_EUlS1L_E_NS1_11comp_targetILNS1_3genE0ELNS1_11target_archE4294967295ELNS1_3gpuE0ELNS1_3repE0EEENS1_30default_config_static_selectorELNS0_4arch9wavefront6targetE1EEEvSZ_, .Lfunc_end1729-_ZN7rocprim17ROCPRIM_400000_NS6detail17trampoline_kernelINS0_13select_configILj256ELj13ELNS0_17block_load_methodE3ELS4_3ELS4_3ELNS0_20block_scan_algorithmE0ELj4294967295EEENS1_25partition_config_selectorILNS1_17partition_subalgoE3EjNS0_10empty_typeEbEEZZNS1_14partition_implILS8_3ELb0ES6_jNS0_17counting_iteratorIjlEEPS9_SE_NS0_5tupleIJPjSE_EEENSF_IJSE_SE_EEES9_SG_JZNS1_25segmented_radix_sort_implINS0_14default_configELb1EPK6__halfPSL_PKlPlN2at6native12_GLOBAL__N_18offset_tEEE10hipError_tPvRmT1_PNSt15iterator_traitsISZ_E10value_typeET2_T3_PNS10_IS15_E10value_typeET4_jRbjT5_S1B_jjP12ihipStream_tbEUljE_EEESW_SX_SY_S15_S19_S1B_T6_T7_T9_mT8_S1D_bDpT10_ENKUlT_T0_E_clISt17integral_constantIbLb0EES1P_IbLb1EEEEDaS1L_S1M_EUlS1L_E_NS1_11comp_targetILNS1_3genE0ELNS1_11target_archE4294967295ELNS1_3gpuE0ELNS1_3repE0EEENS1_30default_config_static_selectorELNS0_4arch9wavefront6targetE1EEEvSZ_
                                        ; -- End function
	.section	.AMDGPU.csdata,"",@progbits
; Kernel info:
; codeLenInByte = 0
; NumSgprs: 4
; NumVgprs: 0
; NumAgprs: 0
; TotalNumVgprs: 0
; ScratchSize: 0
; MemoryBound: 0
; FloatMode: 240
; IeeeMode: 1
; LDSByteSize: 0 bytes/workgroup (compile time only)
; SGPRBlocks: 0
; VGPRBlocks: 0
; NumSGPRsForWavesPerEU: 4
; NumVGPRsForWavesPerEU: 1
; AccumOffset: 4
; Occupancy: 8
; WaveLimiterHint : 0
; COMPUTE_PGM_RSRC2:SCRATCH_EN: 0
; COMPUTE_PGM_RSRC2:USER_SGPR: 6
; COMPUTE_PGM_RSRC2:TRAP_HANDLER: 0
; COMPUTE_PGM_RSRC2:TGID_X_EN: 1
; COMPUTE_PGM_RSRC2:TGID_Y_EN: 0
; COMPUTE_PGM_RSRC2:TGID_Z_EN: 0
; COMPUTE_PGM_RSRC2:TIDIG_COMP_CNT: 0
; COMPUTE_PGM_RSRC3_GFX90A:ACCUM_OFFSET: 0
; COMPUTE_PGM_RSRC3_GFX90A:TG_SPLIT: 0
	.section	.text._ZN7rocprim17ROCPRIM_400000_NS6detail17trampoline_kernelINS0_13select_configILj256ELj13ELNS0_17block_load_methodE3ELS4_3ELS4_3ELNS0_20block_scan_algorithmE0ELj4294967295EEENS1_25partition_config_selectorILNS1_17partition_subalgoE3EjNS0_10empty_typeEbEEZZNS1_14partition_implILS8_3ELb0ES6_jNS0_17counting_iteratorIjlEEPS9_SE_NS0_5tupleIJPjSE_EEENSF_IJSE_SE_EEES9_SG_JZNS1_25segmented_radix_sort_implINS0_14default_configELb1EPK6__halfPSL_PKlPlN2at6native12_GLOBAL__N_18offset_tEEE10hipError_tPvRmT1_PNSt15iterator_traitsISZ_E10value_typeET2_T3_PNS10_IS15_E10value_typeET4_jRbjT5_S1B_jjP12ihipStream_tbEUljE_EEESW_SX_SY_S15_S19_S1B_T6_T7_T9_mT8_S1D_bDpT10_ENKUlT_T0_E_clISt17integral_constantIbLb0EES1P_IbLb1EEEEDaS1L_S1M_EUlS1L_E_NS1_11comp_targetILNS1_3genE5ELNS1_11target_archE942ELNS1_3gpuE9ELNS1_3repE0EEENS1_30default_config_static_selectorELNS0_4arch9wavefront6targetE1EEEvSZ_,"axG",@progbits,_ZN7rocprim17ROCPRIM_400000_NS6detail17trampoline_kernelINS0_13select_configILj256ELj13ELNS0_17block_load_methodE3ELS4_3ELS4_3ELNS0_20block_scan_algorithmE0ELj4294967295EEENS1_25partition_config_selectorILNS1_17partition_subalgoE3EjNS0_10empty_typeEbEEZZNS1_14partition_implILS8_3ELb0ES6_jNS0_17counting_iteratorIjlEEPS9_SE_NS0_5tupleIJPjSE_EEENSF_IJSE_SE_EEES9_SG_JZNS1_25segmented_radix_sort_implINS0_14default_configELb1EPK6__halfPSL_PKlPlN2at6native12_GLOBAL__N_18offset_tEEE10hipError_tPvRmT1_PNSt15iterator_traitsISZ_E10value_typeET2_T3_PNS10_IS15_E10value_typeET4_jRbjT5_S1B_jjP12ihipStream_tbEUljE_EEESW_SX_SY_S15_S19_S1B_T6_T7_T9_mT8_S1D_bDpT10_ENKUlT_T0_E_clISt17integral_constantIbLb0EES1P_IbLb1EEEEDaS1L_S1M_EUlS1L_E_NS1_11comp_targetILNS1_3genE5ELNS1_11target_archE942ELNS1_3gpuE9ELNS1_3repE0EEENS1_30default_config_static_selectorELNS0_4arch9wavefront6targetE1EEEvSZ_,comdat
	.globl	_ZN7rocprim17ROCPRIM_400000_NS6detail17trampoline_kernelINS0_13select_configILj256ELj13ELNS0_17block_load_methodE3ELS4_3ELS4_3ELNS0_20block_scan_algorithmE0ELj4294967295EEENS1_25partition_config_selectorILNS1_17partition_subalgoE3EjNS0_10empty_typeEbEEZZNS1_14partition_implILS8_3ELb0ES6_jNS0_17counting_iteratorIjlEEPS9_SE_NS0_5tupleIJPjSE_EEENSF_IJSE_SE_EEES9_SG_JZNS1_25segmented_radix_sort_implINS0_14default_configELb1EPK6__halfPSL_PKlPlN2at6native12_GLOBAL__N_18offset_tEEE10hipError_tPvRmT1_PNSt15iterator_traitsISZ_E10value_typeET2_T3_PNS10_IS15_E10value_typeET4_jRbjT5_S1B_jjP12ihipStream_tbEUljE_EEESW_SX_SY_S15_S19_S1B_T6_T7_T9_mT8_S1D_bDpT10_ENKUlT_T0_E_clISt17integral_constantIbLb0EES1P_IbLb1EEEEDaS1L_S1M_EUlS1L_E_NS1_11comp_targetILNS1_3genE5ELNS1_11target_archE942ELNS1_3gpuE9ELNS1_3repE0EEENS1_30default_config_static_selectorELNS0_4arch9wavefront6targetE1EEEvSZ_ ; -- Begin function _ZN7rocprim17ROCPRIM_400000_NS6detail17trampoline_kernelINS0_13select_configILj256ELj13ELNS0_17block_load_methodE3ELS4_3ELS4_3ELNS0_20block_scan_algorithmE0ELj4294967295EEENS1_25partition_config_selectorILNS1_17partition_subalgoE3EjNS0_10empty_typeEbEEZZNS1_14partition_implILS8_3ELb0ES6_jNS0_17counting_iteratorIjlEEPS9_SE_NS0_5tupleIJPjSE_EEENSF_IJSE_SE_EEES9_SG_JZNS1_25segmented_radix_sort_implINS0_14default_configELb1EPK6__halfPSL_PKlPlN2at6native12_GLOBAL__N_18offset_tEEE10hipError_tPvRmT1_PNSt15iterator_traitsISZ_E10value_typeET2_T3_PNS10_IS15_E10value_typeET4_jRbjT5_S1B_jjP12ihipStream_tbEUljE_EEESW_SX_SY_S15_S19_S1B_T6_T7_T9_mT8_S1D_bDpT10_ENKUlT_T0_E_clISt17integral_constantIbLb0EES1P_IbLb1EEEEDaS1L_S1M_EUlS1L_E_NS1_11comp_targetILNS1_3genE5ELNS1_11target_archE942ELNS1_3gpuE9ELNS1_3repE0EEENS1_30default_config_static_selectorELNS0_4arch9wavefront6targetE1EEEvSZ_
	.p2align	8
	.type	_ZN7rocprim17ROCPRIM_400000_NS6detail17trampoline_kernelINS0_13select_configILj256ELj13ELNS0_17block_load_methodE3ELS4_3ELS4_3ELNS0_20block_scan_algorithmE0ELj4294967295EEENS1_25partition_config_selectorILNS1_17partition_subalgoE3EjNS0_10empty_typeEbEEZZNS1_14partition_implILS8_3ELb0ES6_jNS0_17counting_iteratorIjlEEPS9_SE_NS0_5tupleIJPjSE_EEENSF_IJSE_SE_EEES9_SG_JZNS1_25segmented_radix_sort_implINS0_14default_configELb1EPK6__halfPSL_PKlPlN2at6native12_GLOBAL__N_18offset_tEEE10hipError_tPvRmT1_PNSt15iterator_traitsISZ_E10value_typeET2_T3_PNS10_IS15_E10value_typeET4_jRbjT5_S1B_jjP12ihipStream_tbEUljE_EEESW_SX_SY_S15_S19_S1B_T6_T7_T9_mT8_S1D_bDpT10_ENKUlT_T0_E_clISt17integral_constantIbLb0EES1P_IbLb1EEEEDaS1L_S1M_EUlS1L_E_NS1_11comp_targetILNS1_3genE5ELNS1_11target_archE942ELNS1_3gpuE9ELNS1_3repE0EEENS1_30default_config_static_selectorELNS0_4arch9wavefront6targetE1EEEvSZ_,@function
_ZN7rocprim17ROCPRIM_400000_NS6detail17trampoline_kernelINS0_13select_configILj256ELj13ELNS0_17block_load_methodE3ELS4_3ELS4_3ELNS0_20block_scan_algorithmE0ELj4294967295EEENS1_25partition_config_selectorILNS1_17partition_subalgoE3EjNS0_10empty_typeEbEEZZNS1_14partition_implILS8_3ELb0ES6_jNS0_17counting_iteratorIjlEEPS9_SE_NS0_5tupleIJPjSE_EEENSF_IJSE_SE_EEES9_SG_JZNS1_25segmented_radix_sort_implINS0_14default_configELb1EPK6__halfPSL_PKlPlN2at6native12_GLOBAL__N_18offset_tEEE10hipError_tPvRmT1_PNSt15iterator_traitsISZ_E10value_typeET2_T3_PNS10_IS15_E10value_typeET4_jRbjT5_S1B_jjP12ihipStream_tbEUljE_EEESW_SX_SY_S15_S19_S1B_T6_T7_T9_mT8_S1D_bDpT10_ENKUlT_T0_E_clISt17integral_constantIbLb0EES1P_IbLb1EEEEDaS1L_S1M_EUlS1L_E_NS1_11comp_targetILNS1_3genE5ELNS1_11target_archE942ELNS1_3gpuE9ELNS1_3repE0EEENS1_30default_config_static_selectorELNS0_4arch9wavefront6targetE1EEEvSZ_: ; @_ZN7rocprim17ROCPRIM_400000_NS6detail17trampoline_kernelINS0_13select_configILj256ELj13ELNS0_17block_load_methodE3ELS4_3ELS4_3ELNS0_20block_scan_algorithmE0ELj4294967295EEENS1_25partition_config_selectorILNS1_17partition_subalgoE3EjNS0_10empty_typeEbEEZZNS1_14partition_implILS8_3ELb0ES6_jNS0_17counting_iteratorIjlEEPS9_SE_NS0_5tupleIJPjSE_EEENSF_IJSE_SE_EEES9_SG_JZNS1_25segmented_radix_sort_implINS0_14default_configELb1EPK6__halfPSL_PKlPlN2at6native12_GLOBAL__N_18offset_tEEE10hipError_tPvRmT1_PNSt15iterator_traitsISZ_E10value_typeET2_T3_PNS10_IS15_E10value_typeET4_jRbjT5_S1B_jjP12ihipStream_tbEUljE_EEESW_SX_SY_S15_S19_S1B_T6_T7_T9_mT8_S1D_bDpT10_ENKUlT_T0_E_clISt17integral_constantIbLb0EES1P_IbLb1EEEEDaS1L_S1M_EUlS1L_E_NS1_11comp_targetILNS1_3genE5ELNS1_11target_archE942ELNS1_3gpuE9ELNS1_3repE0EEENS1_30default_config_static_selectorELNS0_4arch9wavefront6targetE1EEEvSZ_
; %bb.0:
	.section	.rodata,"a",@progbits
	.p2align	6, 0x0
	.amdhsa_kernel _ZN7rocprim17ROCPRIM_400000_NS6detail17trampoline_kernelINS0_13select_configILj256ELj13ELNS0_17block_load_methodE3ELS4_3ELS4_3ELNS0_20block_scan_algorithmE0ELj4294967295EEENS1_25partition_config_selectorILNS1_17partition_subalgoE3EjNS0_10empty_typeEbEEZZNS1_14partition_implILS8_3ELb0ES6_jNS0_17counting_iteratorIjlEEPS9_SE_NS0_5tupleIJPjSE_EEENSF_IJSE_SE_EEES9_SG_JZNS1_25segmented_radix_sort_implINS0_14default_configELb1EPK6__halfPSL_PKlPlN2at6native12_GLOBAL__N_18offset_tEEE10hipError_tPvRmT1_PNSt15iterator_traitsISZ_E10value_typeET2_T3_PNS10_IS15_E10value_typeET4_jRbjT5_S1B_jjP12ihipStream_tbEUljE_EEESW_SX_SY_S15_S19_S1B_T6_T7_T9_mT8_S1D_bDpT10_ENKUlT_T0_E_clISt17integral_constantIbLb0EES1P_IbLb1EEEEDaS1L_S1M_EUlS1L_E_NS1_11comp_targetILNS1_3genE5ELNS1_11target_archE942ELNS1_3gpuE9ELNS1_3repE0EEENS1_30default_config_static_selectorELNS0_4arch9wavefront6targetE1EEEvSZ_
		.amdhsa_group_segment_fixed_size 0
		.amdhsa_private_segment_fixed_size 0
		.amdhsa_kernarg_size 152
		.amdhsa_user_sgpr_count 6
		.amdhsa_user_sgpr_private_segment_buffer 1
		.amdhsa_user_sgpr_dispatch_ptr 0
		.amdhsa_user_sgpr_queue_ptr 0
		.amdhsa_user_sgpr_kernarg_segment_ptr 1
		.amdhsa_user_sgpr_dispatch_id 0
		.amdhsa_user_sgpr_flat_scratch_init 0
		.amdhsa_user_sgpr_kernarg_preload_length 0
		.amdhsa_user_sgpr_kernarg_preload_offset 0
		.amdhsa_user_sgpr_private_segment_size 0
		.amdhsa_uses_dynamic_stack 0
		.amdhsa_system_sgpr_private_segment_wavefront_offset 0
		.amdhsa_system_sgpr_workgroup_id_x 1
		.amdhsa_system_sgpr_workgroup_id_y 0
		.amdhsa_system_sgpr_workgroup_id_z 0
		.amdhsa_system_sgpr_workgroup_info 0
		.amdhsa_system_vgpr_workitem_id 0
		.amdhsa_next_free_vgpr 1
		.amdhsa_next_free_sgpr 0
		.amdhsa_accum_offset 4
		.amdhsa_reserve_vcc 0
		.amdhsa_reserve_flat_scratch 0
		.amdhsa_float_round_mode_32 0
		.amdhsa_float_round_mode_16_64 0
		.amdhsa_float_denorm_mode_32 3
		.amdhsa_float_denorm_mode_16_64 3
		.amdhsa_dx10_clamp 1
		.amdhsa_ieee_mode 1
		.amdhsa_fp16_overflow 0
		.amdhsa_tg_split 0
		.amdhsa_exception_fp_ieee_invalid_op 0
		.amdhsa_exception_fp_denorm_src 0
		.amdhsa_exception_fp_ieee_div_zero 0
		.amdhsa_exception_fp_ieee_overflow 0
		.amdhsa_exception_fp_ieee_underflow 0
		.amdhsa_exception_fp_ieee_inexact 0
		.amdhsa_exception_int_div_zero 0
	.end_amdhsa_kernel
	.section	.text._ZN7rocprim17ROCPRIM_400000_NS6detail17trampoline_kernelINS0_13select_configILj256ELj13ELNS0_17block_load_methodE3ELS4_3ELS4_3ELNS0_20block_scan_algorithmE0ELj4294967295EEENS1_25partition_config_selectorILNS1_17partition_subalgoE3EjNS0_10empty_typeEbEEZZNS1_14partition_implILS8_3ELb0ES6_jNS0_17counting_iteratorIjlEEPS9_SE_NS0_5tupleIJPjSE_EEENSF_IJSE_SE_EEES9_SG_JZNS1_25segmented_radix_sort_implINS0_14default_configELb1EPK6__halfPSL_PKlPlN2at6native12_GLOBAL__N_18offset_tEEE10hipError_tPvRmT1_PNSt15iterator_traitsISZ_E10value_typeET2_T3_PNS10_IS15_E10value_typeET4_jRbjT5_S1B_jjP12ihipStream_tbEUljE_EEESW_SX_SY_S15_S19_S1B_T6_T7_T9_mT8_S1D_bDpT10_ENKUlT_T0_E_clISt17integral_constantIbLb0EES1P_IbLb1EEEEDaS1L_S1M_EUlS1L_E_NS1_11comp_targetILNS1_3genE5ELNS1_11target_archE942ELNS1_3gpuE9ELNS1_3repE0EEENS1_30default_config_static_selectorELNS0_4arch9wavefront6targetE1EEEvSZ_,"axG",@progbits,_ZN7rocprim17ROCPRIM_400000_NS6detail17trampoline_kernelINS0_13select_configILj256ELj13ELNS0_17block_load_methodE3ELS4_3ELS4_3ELNS0_20block_scan_algorithmE0ELj4294967295EEENS1_25partition_config_selectorILNS1_17partition_subalgoE3EjNS0_10empty_typeEbEEZZNS1_14partition_implILS8_3ELb0ES6_jNS0_17counting_iteratorIjlEEPS9_SE_NS0_5tupleIJPjSE_EEENSF_IJSE_SE_EEES9_SG_JZNS1_25segmented_radix_sort_implINS0_14default_configELb1EPK6__halfPSL_PKlPlN2at6native12_GLOBAL__N_18offset_tEEE10hipError_tPvRmT1_PNSt15iterator_traitsISZ_E10value_typeET2_T3_PNS10_IS15_E10value_typeET4_jRbjT5_S1B_jjP12ihipStream_tbEUljE_EEESW_SX_SY_S15_S19_S1B_T6_T7_T9_mT8_S1D_bDpT10_ENKUlT_T0_E_clISt17integral_constantIbLb0EES1P_IbLb1EEEEDaS1L_S1M_EUlS1L_E_NS1_11comp_targetILNS1_3genE5ELNS1_11target_archE942ELNS1_3gpuE9ELNS1_3repE0EEENS1_30default_config_static_selectorELNS0_4arch9wavefront6targetE1EEEvSZ_,comdat
.Lfunc_end1730:
	.size	_ZN7rocprim17ROCPRIM_400000_NS6detail17trampoline_kernelINS0_13select_configILj256ELj13ELNS0_17block_load_methodE3ELS4_3ELS4_3ELNS0_20block_scan_algorithmE0ELj4294967295EEENS1_25partition_config_selectorILNS1_17partition_subalgoE3EjNS0_10empty_typeEbEEZZNS1_14partition_implILS8_3ELb0ES6_jNS0_17counting_iteratorIjlEEPS9_SE_NS0_5tupleIJPjSE_EEENSF_IJSE_SE_EEES9_SG_JZNS1_25segmented_radix_sort_implINS0_14default_configELb1EPK6__halfPSL_PKlPlN2at6native12_GLOBAL__N_18offset_tEEE10hipError_tPvRmT1_PNSt15iterator_traitsISZ_E10value_typeET2_T3_PNS10_IS15_E10value_typeET4_jRbjT5_S1B_jjP12ihipStream_tbEUljE_EEESW_SX_SY_S15_S19_S1B_T6_T7_T9_mT8_S1D_bDpT10_ENKUlT_T0_E_clISt17integral_constantIbLb0EES1P_IbLb1EEEEDaS1L_S1M_EUlS1L_E_NS1_11comp_targetILNS1_3genE5ELNS1_11target_archE942ELNS1_3gpuE9ELNS1_3repE0EEENS1_30default_config_static_selectorELNS0_4arch9wavefront6targetE1EEEvSZ_, .Lfunc_end1730-_ZN7rocprim17ROCPRIM_400000_NS6detail17trampoline_kernelINS0_13select_configILj256ELj13ELNS0_17block_load_methodE3ELS4_3ELS4_3ELNS0_20block_scan_algorithmE0ELj4294967295EEENS1_25partition_config_selectorILNS1_17partition_subalgoE3EjNS0_10empty_typeEbEEZZNS1_14partition_implILS8_3ELb0ES6_jNS0_17counting_iteratorIjlEEPS9_SE_NS0_5tupleIJPjSE_EEENSF_IJSE_SE_EEES9_SG_JZNS1_25segmented_radix_sort_implINS0_14default_configELb1EPK6__halfPSL_PKlPlN2at6native12_GLOBAL__N_18offset_tEEE10hipError_tPvRmT1_PNSt15iterator_traitsISZ_E10value_typeET2_T3_PNS10_IS15_E10value_typeET4_jRbjT5_S1B_jjP12ihipStream_tbEUljE_EEESW_SX_SY_S15_S19_S1B_T6_T7_T9_mT8_S1D_bDpT10_ENKUlT_T0_E_clISt17integral_constantIbLb0EES1P_IbLb1EEEEDaS1L_S1M_EUlS1L_E_NS1_11comp_targetILNS1_3genE5ELNS1_11target_archE942ELNS1_3gpuE9ELNS1_3repE0EEENS1_30default_config_static_selectorELNS0_4arch9wavefront6targetE1EEEvSZ_
                                        ; -- End function
	.section	.AMDGPU.csdata,"",@progbits
; Kernel info:
; codeLenInByte = 0
; NumSgprs: 4
; NumVgprs: 0
; NumAgprs: 0
; TotalNumVgprs: 0
; ScratchSize: 0
; MemoryBound: 0
; FloatMode: 240
; IeeeMode: 1
; LDSByteSize: 0 bytes/workgroup (compile time only)
; SGPRBlocks: 0
; VGPRBlocks: 0
; NumSGPRsForWavesPerEU: 4
; NumVGPRsForWavesPerEU: 1
; AccumOffset: 4
; Occupancy: 8
; WaveLimiterHint : 0
; COMPUTE_PGM_RSRC2:SCRATCH_EN: 0
; COMPUTE_PGM_RSRC2:USER_SGPR: 6
; COMPUTE_PGM_RSRC2:TRAP_HANDLER: 0
; COMPUTE_PGM_RSRC2:TGID_X_EN: 1
; COMPUTE_PGM_RSRC2:TGID_Y_EN: 0
; COMPUTE_PGM_RSRC2:TGID_Z_EN: 0
; COMPUTE_PGM_RSRC2:TIDIG_COMP_CNT: 0
; COMPUTE_PGM_RSRC3_GFX90A:ACCUM_OFFSET: 0
; COMPUTE_PGM_RSRC3_GFX90A:TG_SPLIT: 0
	.section	.text._ZN7rocprim17ROCPRIM_400000_NS6detail17trampoline_kernelINS0_13select_configILj256ELj13ELNS0_17block_load_methodE3ELS4_3ELS4_3ELNS0_20block_scan_algorithmE0ELj4294967295EEENS1_25partition_config_selectorILNS1_17partition_subalgoE3EjNS0_10empty_typeEbEEZZNS1_14partition_implILS8_3ELb0ES6_jNS0_17counting_iteratorIjlEEPS9_SE_NS0_5tupleIJPjSE_EEENSF_IJSE_SE_EEES9_SG_JZNS1_25segmented_radix_sort_implINS0_14default_configELb1EPK6__halfPSL_PKlPlN2at6native12_GLOBAL__N_18offset_tEEE10hipError_tPvRmT1_PNSt15iterator_traitsISZ_E10value_typeET2_T3_PNS10_IS15_E10value_typeET4_jRbjT5_S1B_jjP12ihipStream_tbEUljE_EEESW_SX_SY_S15_S19_S1B_T6_T7_T9_mT8_S1D_bDpT10_ENKUlT_T0_E_clISt17integral_constantIbLb0EES1P_IbLb1EEEEDaS1L_S1M_EUlS1L_E_NS1_11comp_targetILNS1_3genE4ELNS1_11target_archE910ELNS1_3gpuE8ELNS1_3repE0EEENS1_30default_config_static_selectorELNS0_4arch9wavefront6targetE1EEEvSZ_,"axG",@progbits,_ZN7rocprim17ROCPRIM_400000_NS6detail17trampoline_kernelINS0_13select_configILj256ELj13ELNS0_17block_load_methodE3ELS4_3ELS4_3ELNS0_20block_scan_algorithmE0ELj4294967295EEENS1_25partition_config_selectorILNS1_17partition_subalgoE3EjNS0_10empty_typeEbEEZZNS1_14partition_implILS8_3ELb0ES6_jNS0_17counting_iteratorIjlEEPS9_SE_NS0_5tupleIJPjSE_EEENSF_IJSE_SE_EEES9_SG_JZNS1_25segmented_radix_sort_implINS0_14default_configELb1EPK6__halfPSL_PKlPlN2at6native12_GLOBAL__N_18offset_tEEE10hipError_tPvRmT1_PNSt15iterator_traitsISZ_E10value_typeET2_T3_PNS10_IS15_E10value_typeET4_jRbjT5_S1B_jjP12ihipStream_tbEUljE_EEESW_SX_SY_S15_S19_S1B_T6_T7_T9_mT8_S1D_bDpT10_ENKUlT_T0_E_clISt17integral_constantIbLb0EES1P_IbLb1EEEEDaS1L_S1M_EUlS1L_E_NS1_11comp_targetILNS1_3genE4ELNS1_11target_archE910ELNS1_3gpuE8ELNS1_3repE0EEENS1_30default_config_static_selectorELNS0_4arch9wavefront6targetE1EEEvSZ_,comdat
	.globl	_ZN7rocprim17ROCPRIM_400000_NS6detail17trampoline_kernelINS0_13select_configILj256ELj13ELNS0_17block_load_methodE3ELS4_3ELS4_3ELNS0_20block_scan_algorithmE0ELj4294967295EEENS1_25partition_config_selectorILNS1_17partition_subalgoE3EjNS0_10empty_typeEbEEZZNS1_14partition_implILS8_3ELb0ES6_jNS0_17counting_iteratorIjlEEPS9_SE_NS0_5tupleIJPjSE_EEENSF_IJSE_SE_EEES9_SG_JZNS1_25segmented_radix_sort_implINS0_14default_configELb1EPK6__halfPSL_PKlPlN2at6native12_GLOBAL__N_18offset_tEEE10hipError_tPvRmT1_PNSt15iterator_traitsISZ_E10value_typeET2_T3_PNS10_IS15_E10value_typeET4_jRbjT5_S1B_jjP12ihipStream_tbEUljE_EEESW_SX_SY_S15_S19_S1B_T6_T7_T9_mT8_S1D_bDpT10_ENKUlT_T0_E_clISt17integral_constantIbLb0EES1P_IbLb1EEEEDaS1L_S1M_EUlS1L_E_NS1_11comp_targetILNS1_3genE4ELNS1_11target_archE910ELNS1_3gpuE8ELNS1_3repE0EEENS1_30default_config_static_selectorELNS0_4arch9wavefront6targetE1EEEvSZ_ ; -- Begin function _ZN7rocprim17ROCPRIM_400000_NS6detail17trampoline_kernelINS0_13select_configILj256ELj13ELNS0_17block_load_methodE3ELS4_3ELS4_3ELNS0_20block_scan_algorithmE0ELj4294967295EEENS1_25partition_config_selectorILNS1_17partition_subalgoE3EjNS0_10empty_typeEbEEZZNS1_14partition_implILS8_3ELb0ES6_jNS0_17counting_iteratorIjlEEPS9_SE_NS0_5tupleIJPjSE_EEENSF_IJSE_SE_EEES9_SG_JZNS1_25segmented_radix_sort_implINS0_14default_configELb1EPK6__halfPSL_PKlPlN2at6native12_GLOBAL__N_18offset_tEEE10hipError_tPvRmT1_PNSt15iterator_traitsISZ_E10value_typeET2_T3_PNS10_IS15_E10value_typeET4_jRbjT5_S1B_jjP12ihipStream_tbEUljE_EEESW_SX_SY_S15_S19_S1B_T6_T7_T9_mT8_S1D_bDpT10_ENKUlT_T0_E_clISt17integral_constantIbLb0EES1P_IbLb1EEEEDaS1L_S1M_EUlS1L_E_NS1_11comp_targetILNS1_3genE4ELNS1_11target_archE910ELNS1_3gpuE8ELNS1_3repE0EEENS1_30default_config_static_selectorELNS0_4arch9wavefront6targetE1EEEvSZ_
	.p2align	8
	.type	_ZN7rocprim17ROCPRIM_400000_NS6detail17trampoline_kernelINS0_13select_configILj256ELj13ELNS0_17block_load_methodE3ELS4_3ELS4_3ELNS0_20block_scan_algorithmE0ELj4294967295EEENS1_25partition_config_selectorILNS1_17partition_subalgoE3EjNS0_10empty_typeEbEEZZNS1_14partition_implILS8_3ELb0ES6_jNS0_17counting_iteratorIjlEEPS9_SE_NS0_5tupleIJPjSE_EEENSF_IJSE_SE_EEES9_SG_JZNS1_25segmented_radix_sort_implINS0_14default_configELb1EPK6__halfPSL_PKlPlN2at6native12_GLOBAL__N_18offset_tEEE10hipError_tPvRmT1_PNSt15iterator_traitsISZ_E10value_typeET2_T3_PNS10_IS15_E10value_typeET4_jRbjT5_S1B_jjP12ihipStream_tbEUljE_EEESW_SX_SY_S15_S19_S1B_T6_T7_T9_mT8_S1D_bDpT10_ENKUlT_T0_E_clISt17integral_constantIbLb0EES1P_IbLb1EEEEDaS1L_S1M_EUlS1L_E_NS1_11comp_targetILNS1_3genE4ELNS1_11target_archE910ELNS1_3gpuE8ELNS1_3repE0EEENS1_30default_config_static_selectorELNS0_4arch9wavefront6targetE1EEEvSZ_,@function
_ZN7rocprim17ROCPRIM_400000_NS6detail17trampoline_kernelINS0_13select_configILj256ELj13ELNS0_17block_load_methodE3ELS4_3ELS4_3ELNS0_20block_scan_algorithmE0ELj4294967295EEENS1_25partition_config_selectorILNS1_17partition_subalgoE3EjNS0_10empty_typeEbEEZZNS1_14partition_implILS8_3ELb0ES6_jNS0_17counting_iteratorIjlEEPS9_SE_NS0_5tupleIJPjSE_EEENSF_IJSE_SE_EEES9_SG_JZNS1_25segmented_radix_sort_implINS0_14default_configELb1EPK6__halfPSL_PKlPlN2at6native12_GLOBAL__N_18offset_tEEE10hipError_tPvRmT1_PNSt15iterator_traitsISZ_E10value_typeET2_T3_PNS10_IS15_E10value_typeET4_jRbjT5_S1B_jjP12ihipStream_tbEUljE_EEESW_SX_SY_S15_S19_S1B_T6_T7_T9_mT8_S1D_bDpT10_ENKUlT_T0_E_clISt17integral_constantIbLb0EES1P_IbLb1EEEEDaS1L_S1M_EUlS1L_E_NS1_11comp_targetILNS1_3genE4ELNS1_11target_archE910ELNS1_3gpuE8ELNS1_3repE0EEENS1_30default_config_static_selectorELNS0_4arch9wavefront6targetE1EEEvSZ_: ; @_ZN7rocprim17ROCPRIM_400000_NS6detail17trampoline_kernelINS0_13select_configILj256ELj13ELNS0_17block_load_methodE3ELS4_3ELS4_3ELNS0_20block_scan_algorithmE0ELj4294967295EEENS1_25partition_config_selectorILNS1_17partition_subalgoE3EjNS0_10empty_typeEbEEZZNS1_14partition_implILS8_3ELb0ES6_jNS0_17counting_iteratorIjlEEPS9_SE_NS0_5tupleIJPjSE_EEENSF_IJSE_SE_EEES9_SG_JZNS1_25segmented_radix_sort_implINS0_14default_configELb1EPK6__halfPSL_PKlPlN2at6native12_GLOBAL__N_18offset_tEEE10hipError_tPvRmT1_PNSt15iterator_traitsISZ_E10value_typeET2_T3_PNS10_IS15_E10value_typeET4_jRbjT5_S1B_jjP12ihipStream_tbEUljE_EEESW_SX_SY_S15_S19_S1B_T6_T7_T9_mT8_S1D_bDpT10_ENKUlT_T0_E_clISt17integral_constantIbLb0EES1P_IbLb1EEEEDaS1L_S1M_EUlS1L_E_NS1_11comp_targetILNS1_3genE4ELNS1_11target_archE910ELNS1_3gpuE8ELNS1_3repE0EEENS1_30default_config_static_selectorELNS0_4arch9wavefront6targetE1EEEvSZ_
; %bb.0:
	s_load_dwordx2 s[28:29], s[4:5], 0x10
	s_load_dwordx2 s[24:25], s[4:5], 0x28
	;; [unrolled: 1-line block ×3, first 2 shown]
	s_load_dwordx4 s[20:23], s[4:5], 0x48
	s_load_dword s14, s[4:5], 0x90
	s_load_dwordx2 s[30:31], s[4:5], 0x68
	s_load_dwordx4 s[8:11], s[4:5], 0x80
	v_cmp_eq_u32_e64 s[0:1], 0, v0
	s_and_saveexec_b64 s[2:3], s[0:1]
	s_cbranch_execz .LBB1731_4
; %bb.1:
	s_mov_b64 s[12:13], exec
	v_mbcnt_lo_u32_b32 v1, s12, 0
	v_mbcnt_hi_u32_b32 v1, s13, v1
	v_cmp_eq_u32_e32 vcc, 0, v1
                                        ; implicit-def: $vgpr2
	s_and_saveexec_b64 s[6:7], vcc
	s_cbranch_execz .LBB1731_3
; %bb.2:
	s_load_dwordx2 s[16:17], s[4:5], 0x78
	s_bcnt1_i32_b64 s12, s[12:13]
	v_mov_b32_e32 v2, 0
	v_mov_b32_e32 v3, s12
	s_waitcnt lgkmcnt(0)
	global_atomic_add v2, v2, v3, s[16:17] glc
.LBB1731_3:
	s_or_b64 exec, exec, s[6:7]
	s_waitcnt vmcnt(0)
	v_readfirstlane_b32 s6, v2
	v_add_u32_e32 v1, s6, v1
	v_mov_b32_e32 v2, 0
	ds_write_b32 v2, v1
.LBB1731_4:
	s_or_b64 exec, exec, s[2:3]
	v_mov_b32_e32 v1, 0
	s_load_dword s2, s[4:5], 0x8
	s_load_dword s6, s[4:5], 0x70
	s_waitcnt lgkmcnt(0)
	s_barrier
	ds_read_b32 v2, v1
	s_waitcnt lgkmcnt(0)
	s_barrier
	global_load_dwordx2 v[20:21], v1, s[22:23]
	s_add_i32 s7, s2, s28
	s_movk_i32 s2, 0xd00
	s_add_i32 s4, s6, -1
	s_mulk_i32 s6, 0xd00
	v_mul_lo_u32 v34, v2, s2
	s_add_u32 s2, s28, s6
	v_readfirstlane_b32 s40, v2
	s_addc_u32 s3, s29, 0
	s_cmp_eq_u32 s40, s4
	v_pk_mov_b32 v[2:3], s[26:27], s[26:27] op_sel:[0,1]
	s_cselect_b64 s[22:23], -1, 0
	s_cmp_lg_u32 s40, s4
	v_cmp_lt_u64_e32 vcc, s[2:3], v[2:3]
	s_cselect_b64 s[2:3], -1, 0
	s_or_b64 s[4:5], vcc, s[2:3]
	v_add_u32_e32 v1, s7, v34
	s_mov_b64 s[2:3], -1
	s_and_b64 vcc, exec, s[4:5]
	v_add_u32_e32 v2, v1, v0
	v_lshlrev_b32_e32 v1, 2, v0
	s_cbranch_vccz .LBB1731_6
; %bb.5:
	v_add_u32_e32 v3, 0x100, v2
	v_add_u32_e32 v4, 0x200, v2
	;; [unrolled: 1-line block ×12, first 2 shown]
	ds_write2st64_b32 v1, v2, v3 offset1:4
	ds_write2st64_b32 v1, v4, v5 offset0:8 offset1:12
	ds_write2st64_b32 v1, v6, v7 offset0:16 offset1:20
	;; [unrolled: 1-line block ×5, first 2 shown]
	ds_write_b32 v1, v14 offset:12288
	s_waitcnt lgkmcnt(0)
	s_barrier
	s_mov_b64 s[2:3], 0
.LBB1731_6:
	s_andn2_b64 vcc, exec, s[2:3]
	s_add_i32 s6, s6, s28
	s_cbranch_vccnz .LBB1731_8
; %bb.7:
	v_add_u32_e32 v3, 0x100, v2
	v_add_u32_e32 v4, 0x200, v2
	;; [unrolled: 1-line block ×12, first 2 shown]
	ds_write2st64_b32 v1, v2, v3 offset1:4
	ds_write2st64_b32 v1, v4, v5 offset0:8 offset1:12
	ds_write2st64_b32 v1, v6, v7 offset0:16 offset1:20
	;; [unrolled: 1-line block ×5, first 2 shown]
	ds_write_b32 v1, v14 offset:12288
	s_waitcnt lgkmcnt(0)
	s_barrier
.LBB1731_8:
	v_mul_u32_u24_e32 v36, 13, v0
	v_lshlrev_b32_e32 v2, 2, v36
	ds_read2_b32 v[32:33], v2 offset1:1
	ds_read2_b32 v[30:31], v2 offset0:2 offset1:3
	ds_read2_b32 v[28:29], v2 offset0:4 offset1:5
	;; [unrolled: 1-line block ×5, first 2 shown]
	ds_read_b32 v35, v2 offset:48
	v_cndmask_b32_e64 v2, 0, 1, s[4:5]
	s_sub_i32 s33, s26, s6
	v_cmp_ne_u32_e64 s[2:3], 1, v2
	s_andn2_b64 vcc, exec, s[4:5]
	s_waitcnt lgkmcnt(0)
	s_barrier
	s_cbranch_vccnz .LBB1731_10
; %bb.9:
	v_add_u32_e32 v2, s9, v32
	v_add_u32_e32 v3, s11, v32
	v_mul_lo_u32 v2, v2, s8
	v_mul_lo_u32 v3, v3, s10
	v_sub_u32_e32 v2, v2, v3
	v_add_u32_e32 v3, s9, v33
	v_add_u32_e32 v4, s11, v33
	v_mul_lo_u32 v3, v3, s8
	v_mul_lo_u32 v4, v4, s10
	v_sub_u32_e32 v3, v3, v4
	;; [unrolled: 5-line block ×6, first 2 shown]
	v_add_u32_e32 v8, s9, v26
	v_add_u32_e32 v9, s11, v26
	v_mul_lo_u32 v8, v8, s8
	v_mul_lo_u32 v9, v9, s10
	v_cmp_lt_u32_e32 vcc, s14, v2
	v_sub_u32_e32 v8, v8, v9
	v_add_u32_e32 v9, s9, v27
	v_add_u32_e32 v10, s11, v27
	v_cndmask_b32_e64 v2, 0, 1, vcc
	v_cmp_lt_u32_e32 vcc, s14, v3
	v_mul_lo_u32 v9, v9, s8
	v_mul_lo_u32 v10, v10, s10
	v_cndmask_b32_e64 v3, 0, 1, vcc
	v_cmp_lt_u32_e32 vcc, s14, v4
	v_sub_u32_e32 v9, v9, v10
	v_add_u32_e32 v10, s9, v24
	v_add_u32_e32 v11, s11, v24
	v_cndmask_b32_e64 v4, 0, 1, vcc
	v_cmp_lt_u32_e32 vcc, s14, v5
	v_mul_lo_u32 v10, v10, s8
	v_mul_lo_u32 v11, v11, s10
	v_cndmask_b32_e64 v5, 0, 1, vcc
	;; [unrolled: 9-line block ×4, first 2 shown]
	v_cmp_lt_u32_e32 vcc, s14, v10
	v_sub_u32_e32 v12, v12, v13
	v_add_u32_e32 v13, s9, v23
	v_add_u32_e32 v14, s11, v23
	v_lshlrev_b16_e32 v3, 8, v3
	v_cndmask_b32_e64 v10, 0, 1, vcc
	v_cmp_lt_u32_e32 vcc, s14, v11
	v_mul_lo_u32 v13, v13, s8
	v_mul_lo_u32 v14, v14, s10
	v_or_b32_e32 v2, v2, v3
	v_lshlrev_b16_e32 v3, 8, v5
	v_cndmask_b32_e64 v11, 0, 1, vcc
	v_cmp_lt_u32_e32 vcc, s14, v12
	v_sub_u32_e32 v13, v13, v14
	v_or_b32_sdwa v3, v4, v3 dst_sel:WORD_1 dst_unused:UNUSED_PAD src0_sel:DWORD src1_sel:DWORD
	v_cndmask_b32_e64 v12, 0, 1, vcc
	v_cmp_lt_u32_e32 vcc, s14, v13
	v_add_u32_e32 v14, s9, v35
	v_add_u32_e32 v15, s11, v35
	v_or_b32_sdwa v40, v2, v3 dst_sel:DWORD dst_unused:UNUSED_PAD src0_sel:WORD_0 src1_sel:DWORD
	v_lshlrev_b16_e32 v2, 8, v7
	v_lshlrev_b16_e32 v3, 8, v9
	v_cndmask_b32_e64 v13, 0, 1, vcc
	v_mul_lo_u32 v14, v14, s8
	v_mul_lo_u32 v15, v15, s10
	v_or_b32_e32 v2, v6, v2
	v_or_b32_sdwa v3, v8, v3 dst_sel:WORD_1 dst_unused:UNUSED_PAD src0_sel:DWORD src1_sel:DWORD
	v_sub_u32_e32 v14, v14, v15
	v_or_b32_sdwa v39, v2, v3 dst_sel:DWORD dst_unused:UNUSED_PAD src0_sel:WORD_0 src1_sel:DWORD
	v_lshlrev_b16_e32 v2, 8, v11
	v_lshlrev_b16_e32 v3, 8, v13
	v_cmp_lt_u32_e32 vcc, s14, v14
	v_or_b32_e32 v2, v10, v2
	v_or_b32_sdwa v3, v12, v3 dst_sel:WORD_1 dst_unused:UNUSED_PAD src0_sel:DWORD src1_sel:DWORD
	v_cndmask_b32_e64 v37, 0, 1, vcc
	v_or_b32_sdwa v38, v2, v3 dst_sel:DWORD dst_unused:UNUSED_PAD src0_sel:WORD_0 src1_sel:DWORD
	s_addk_i32 s33, 0xd00
	s_cbranch_execz .LBB1731_11
	s_branch .LBB1731_38
.LBB1731_10:
                                        ; implicit-def: $vgpr37
                                        ; implicit-def: $vgpr38
                                        ; implicit-def: $vgpr39
                                        ; implicit-def: $vgpr40
	s_addk_i32 s33, 0xd00
.LBB1731_11:
	v_cmp_gt_u32_e32 vcc, s33, v36
	v_mov_b32_e32 v3, 0
	v_mov_b32_e32 v2, 0
	s_and_saveexec_b64 s[4:5], vcc
; %bb.12:
	v_add_u32_e32 v2, s9, v32
	v_add_u32_e32 v4, s11, v32
	v_mul_lo_u32 v2, v2, s8
	v_mul_lo_u32 v4, v4, s10
	v_sub_u32_e32 v2, v2, v4
	v_cmp_lt_u32_e32 vcc, s14, v2
	v_cndmask_b32_e64 v2, 0, 1, vcc
; %bb.13:
	s_or_b64 exec, exec, s[4:5]
	v_add_u32_e32 v4, 1, v36
	v_cmp_gt_u32_e32 vcc, s33, v4
	s_and_saveexec_b64 s[4:5], vcc
; %bb.14:
	v_add_u32_e32 v3, s9, v33
	v_add_u32_e32 v4, s11, v33
	v_mul_lo_u32 v3, v3, s8
	v_mul_lo_u32 v4, v4, s10
	v_sub_u32_e32 v3, v3, v4
	v_cmp_lt_u32_e32 vcc, s14, v3
	v_cndmask_b32_e64 v3, 0, 1, vcc
; %bb.15:
	s_or_b64 exec, exec, s[4:5]
	v_add_u32_e32 v4, 2, v36
	v_cmp_gt_u32_e32 vcc, s33, v4
	v_mov_b32_e32 v5, 0
	v_mov_b32_e32 v4, 0
	s_and_saveexec_b64 s[4:5], vcc
; %bb.16:
	v_add_u32_e32 v4, s9, v30
	v_add_u32_e32 v6, s11, v30
	v_mul_lo_u32 v4, v4, s8
	v_mul_lo_u32 v6, v6, s10
	v_sub_u32_e32 v4, v4, v6
	v_cmp_lt_u32_e32 vcc, s14, v4
	v_cndmask_b32_e64 v4, 0, 1, vcc
; %bb.17:
	s_or_b64 exec, exec, s[4:5]
	v_add_u32_e32 v6, 3, v36
	v_cmp_gt_u32_e32 vcc, s33, v6
	s_and_saveexec_b64 s[4:5], vcc
; %bb.18:
	v_add_u32_e32 v5, s9, v31
	v_add_u32_e32 v6, s11, v31
	v_mul_lo_u32 v5, v5, s8
	v_mul_lo_u32 v6, v6, s10
	v_sub_u32_e32 v5, v5, v6
	v_cmp_lt_u32_e32 vcc, s14, v5
	v_cndmask_b32_e64 v5, 0, 1, vcc
; %bb.19:
	s_or_b64 exec, exec, s[4:5]
	v_add_u32_e32 v6, 4, v36
	;; [unrolled: 28-line block ×6, first 2 shown]
	v_cmp_gt_u32_e32 vcc, s33, v14
	v_mov_b32_e32 v37, 0
	s_and_saveexec_b64 s[4:5], vcc
; %bb.36:
	v_add_u32_e32 v14, s9, v35
	v_add_u32_e32 v15, s11, v35
	v_mul_lo_u32 v14, v14, s8
	v_mul_lo_u32 v15, v15, s10
	v_sub_u32_e32 v14, v14, v15
	v_cmp_lt_u32_e32 vcc, s14, v14
	v_cndmask_b32_e64 v37, 0, 1, vcc
; %bb.37:
	s_or_b64 exec, exec, s[4:5]
	v_lshlrev_b16_e32 v3, 8, v3
	v_or_b32_e32 v2, v2, v3
	v_lshlrev_b16_e32 v3, 8, v5
	v_or_b32_sdwa v3, v4, v3 dst_sel:WORD_1 dst_unused:UNUSED_PAD src0_sel:DWORD src1_sel:DWORD
	v_or_b32_sdwa v40, v2, v3 dst_sel:DWORD dst_unused:UNUSED_PAD src0_sel:WORD_0 src1_sel:DWORD
	v_lshlrev_b16_e32 v2, 8, v7
	v_lshlrev_b16_e32 v3, 8, v9
	v_or_b32_e32 v2, v6, v2
	v_or_b32_sdwa v3, v8, v3 dst_sel:WORD_1 dst_unused:UNUSED_PAD src0_sel:DWORD src1_sel:DWORD
	v_or_b32_sdwa v39, v2, v3 dst_sel:DWORD dst_unused:UNUSED_PAD src0_sel:WORD_0 src1_sel:DWORD
	v_lshlrev_b16_e32 v2, 8, v11
	v_lshlrev_b16_e32 v3, 8, v13
	v_or_b32_e32 v2, v10, v2
	v_or_b32_sdwa v3, v12, v3 dst_sel:WORD_1 dst_unused:UNUSED_PAD src0_sel:DWORD src1_sel:DWORD
	v_or_b32_sdwa v38, v2, v3 dst_sel:DWORD dst_unused:UNUSED_PAD src0_sel:WORD_0 src1_sel:DWORD
.LBB1731_38:
	v_and_b32_e32 v44, 0xff, v40
	v_bfe_u32 v45, v40, 8, 8
	v_bfe_u32 v46, v40, 16, 8
	v_lshrrev_b32_e32 v43, 24, v40
	v_and_b32_e32 v47, 0xff, v39
	v_add3_u32 v3, v45, v44, v46
	v_bfe_u32 v48, v39, 8, 8
	v_bfe_u32 v49, v39, 16, 8
	v_add3_u32 v3, v3, v43, v47
	v_lshrrev_b32_e32 v42, 24, v39
	v_and_b32_e32 v50, 0xff, v38
	v_add3_u32 v3, v3, v48, v49
	v_bfe_u32 v51, v38, 8, 8
	v_bfe_u32 v52, v38, 16, 8
	v_add3_u32 v3, v3, v42, v50
	v_lshrrev_b32_e32 v41, 24, v38
	v_and_b32_e32 v2, 0xff, v37
	v_add3_u32 v3, v3, v51, v52
	v_add3_u32 v55, v3, v41, v2
	v_mbcnt_lo_u32_b32 v2, -1, 0
	v_mbcnt_hi_u32_b32 v53, -1, v2
	v_and_b32_e32 v2, 15, v53
	v_cmp_eq_u32_e64 s[16:17], 0, v2
	v_cmp_lt_u32_e64 s[14:15], 1, v2
	v_cmp_lt_u32_e64 s[12:13], 3, v2
	;; [unrolled: 1-line block ×3, first 2 shown]
	v_and_b32_e32 v2, 16, v53
	v_cmp_eq_u32_e64 s[8:9], 0, v2
	v_or_b32_e32 v2, 63, v0
	s_cmp_lg_u32 s40, 0
	v_cmp_lt_u32_e64 s[4:5], 31, v53
	v_lshrrev_b32_e32 v54, 6, v0
	v_cmp_eq_u32_e64 s[6:7], v2, v0
	s_cbranch_scc0 .LBB1731_65
; %bb.39:
	v_mov_b32_dpp v2, v55 row_shr:1 row_mask:0xf bank_mask:0xf
	v_cndmask_b32_e64 v2, v2, 0, s[16:17]
	v_add_u32_e32 v2, v2, v55
	s_nop 1
	v_mov_b32_dpp v3, v2 row_shr:2 row_mask:0xf bank_mask:0xf
	v_cndmask_b32_e64 v3, 0, v3, s[14:15]
	v_add_u32_e32 v2, v2, v3
	s_nop 1
	;; [unrolled: 4-line block ×4, first 2 shown]
	v_mov_b32_dpp v3, v2 row_bcast:15 row_mask:0xf bank_mask:0xf
	v_cndmask_b32_e64 v3, v3, 0, s[8:9]
	v_add_u32_e32 v2, v2, v3
	s_nop 1
	v_mov_b32_dpp v3, v2 row_bcast:31 row_mask:0xf bank_mask:0xf
	v_cndmask_b32_e64 v3, 0, v3, s[4:5]
	v_add_u32_e32 v2, v2, v3
	s_and_saveexec_b64 s[18:19], s[6:7]
	s_cbranch_execz .LBB1731_41
; %bb.40:
	v_lshlrev_b32_e32 v3, 2, v54
	ds_write_b32 v3, v2
.LBB1731_41:
	s_or_b64 exec, exec, s[18:19]
	v_cmp_gt_u32_e32 vcc, 4, v0
	s_waitcnt lgkmcnt(0)
	s_barrier
	s_and_saveexec_b64 s[18:19], vcc
	s_cbranch_execz .LBB1731_43
; %bb.42:
	ds_read_b32 v3, v1
	v_and_b32_e32 v4, 3, v53
	v_cmp_ne_u32_e32 vcc, 0, v4
	s_waitcnt lgkmcnt(0)
	v_mov_b32_dpp v5, v3 row_shr:1 row_mask:0xf bank_mask:0xf
	v_cndmask_b32_e32 v5, 0, v5, vcc
	v_add_u32_e32 v3, v5, v3
	v_cmp_lt_u32_e32 vcc, 1, v4
	s_nop 0
	v_mov_b32_dpp v5, v3 row_shr:2 row_mask:0xf bank_mask:0xf
	v_cndmask_b32_e32 v4, 0, v5, vcc
	v_add_u32_e32 v3, v3, v4
	ds_write_b32 v1, v3
.LBB1731_43:
	s_or_b64 exec, exec, s[18:19]
	v_cmp_gt_u32_e32 vcc, 64, v0
	v_cmp_lt_u32_e64 s[18:19], 63, v0
	s_waitcnt lgkmcnt(0)
	s_barrier
	s_waitcnt lgkmcnt(0)
                                        ; implicit-def: $vgpr12
	s_and_saveexec_b64 s[34:35], s[18:19]
	s_cbranch_execz .LBB1731_45
; %bb.44:
	v_lshl_add_u32 v3, v54, 2, -4
	ds_read_b32 v12, v3
	s_waitcnt lgkmcnt(0)
	v_add_u32_e32 v2, v12, v2
.LBB1731_45:
	s_or_b64 exec, exec, s[34:35]
	v_add_u32_e32 v3, -1, v53
	v_and_b32_e32 v4, 64, v53
	v_cmp_lt_i32_e64 s[18:19], v3, v4
	v_cndmask_b32_e64 v3, v3, v53, s[18:19]
	v_lshlrev_b32_e32 v3, 2, v3
	ds_bpermute_b32 v13, v3, v2
	v_cmp_eq_u32_e64 s[18:19], 0, v53
	s_and_saveexec_b64 s[34:35], vcc
	s_cbranch_execz .LBB1731_64
; %bb.46:
	v_mov_b32_e32 v9, 0
	ds_read_b32 v2, v9 offset:12
	s_and_saveexec_b64 s[36:37], s[18:19]
	s_cbranch_execz .LBB1731_48
; %bb.47:
	s_add_i32 s38, s40, 64
	s_mov_b32 s39, 0
	s_lshl_b64 s[38:39], s[38:39], 3
	s_add_u32 s38, s30, s38
	v_mov_b32_e32 v3, 1
	s_addc_u32 s39, s31, s39
	s_waitcnt lgkmcnt(0)
	global_store_dwordx2 v9, v[2:3], s[38:39]
.LBB1731_48:
	s_or_b64 exec, exec, s[36:37]
	v_xad_u32 v4, v53, -1, s40
	v_add_u32_e32 v8, 64, v4
	v_lshlrev_b64 v[6:7], 3, v[8:9]
	v_mov_b32_e32 v3, s31
	v_add_co_u32_e32 v10, vcc, s30, v6
	v_addc_co_u32_e32 v11, vcc, v3, v7, vcc
	global_load_dwordx2 v[6:7], v[10:11], off glc
	s_waitcnt vmcnt(0)
	v_cmp_eq_u16_sdwa s[38:39], v7, v9 src0_sel:BYTE_0 src1_sel:DWORD
	s_and_saveexec_b64 s[36:37], s[38:39]
	s_cbranch_execz .LBB1731_52
; %bb.49:
	s_mov_b64 s[38:39], 0
	v_mov_b32_e32 v3, 0
.LBB1731_50:                            ; =>This Inner Loop Header: Depth=1
	global_load_dwordx2 v[6:7], v[10:11], off glc
	s_waitcnt vmcnt(0)
	v_cmp_ne_u16_sdwa s[42:43], v7, v3 src0_sel:BYTE_0 src1_sel:DWORD
	s_or_b64 s[38:39], s[42:43], s[38:39]
	s_andn2_b64 exec, exec, s[38:39]
	s_cbranch_execnz .LBB1731_50
; %bb.51:
	s_or_b64 exec, exec, s[38:39]
.LBB1731_52:
	s_or_b64 exec, exec, s[36:37]
	v_and_b32_e32 v14, 63, v53
	v_mov_b32_e32 v3, 2
	v_cmp_ne_u32_e32 vcc, 63, v14
	v_cmp_eq_u16_sdwa s[36:37], v7, v3 src0_sel:BYTE_0 src1_sel:DWORD
	v_lshlrev_b64 v[8:9], v53, -1
	v_addc_co_u32_e32 v11, vcc, 0, v53, vcc
	v_and_b32_e32 v5, s37, v9
	v_lshlrev_b32_e32 v15, 2, v11
	v_or_b32_e32 v5, 0x80000000, v5
	ds_bpermute_b32 v11, v15, v6
	v_and_b32_e32 v10, s36, v8
	v_ffbl_b32_e32 v5, v5
	v_add_u32_e32 v5, 32, v5
	v_ffbl_b32_e32 v10, v10
	v_min_u32_e32 v5, v10, v5
	v_cmp_lt_u32_e32 vcc, v14, v5
	s_waitcnt lgkmcnt(0)
	v_cndmask_b32_e32 v10, 0, v11, vcc
	v_cmp_gt_u32_e32 vcc, 62, v14
	v_add_u32_e32 v6, v10, v6
	v_cndmask_b32_e64 v10, 0, 1, vcc
	v_lshlrev_b32_e32 v10, 1, v10
	v_add_lshl_u32 v16, v10, v53, 2
	ds_bpermute_b32 v10, v16, v6
	v_add_u32_e32 v17, 2, v14
	v_cmp_le_u32_e32 vcc, v17, v5
	v_add_u32_e32 v19, 4, v14
	v_add_u32_e32 v57, 8, v14
	s_waitcnt lgkmcnt(0)
	v_cndmask_b32_e32 v10, 0, v10, vcc
	v_cmp_gt_u32_e32 vcc, 60, v14
	v_add_u32_e32 v6, v6, v10
	v_cndmask_b32_e64 v10, 0, 1, vcc
	v_lshlrev_b32_e32 v10, 2, v10
	v_add_lshl_u32 v18, v10, v53, 2
	ds_bpermute_b32 v10, v18, v6
	v_cmp_le_u32_e32 vcc, v19, v5
	v_add_u32_e32 v60, 16, v14
	v_add_u32_e32 v62, 32, v14
	s_waitcnt lgkmcnt(0)
	v_cndmask_b32_e32 v10, 0, v10, vcc
	v_cmp_gt_u32_e32 vcc, 56, v14
	v_add_u32_e32 v6, v6, v10
	v_cndmask_b32_e64 v10, 0, 1, vcc
	v_lshlrev_b32_e32 v10, 3, v10
	v_add_lshl_u32 v56, v10, v53, 2
	ds_bpermute_b32 v10, v56, v6
	v_cmp_le_u32_e32 vcc, v57, v5
	s_waitcnt lgkmcnt(0)
	v_cndmask_b32_e32 v10, 0, v10, vcc
	v_cmp_gt_u32_e32 vcc, 48, v14
	v_add_u32_e32 v6, v6, v10
	v_cndmask_b32_e64 v10, 0, 1, vcc
	v_lshlrev_b32_e32 v10, 4, v10
	v_add_lshl_u32 v59, v10, v53, 2
	ds_bpermute_b32 v10, v59, v6
	v_cmp_le_u32_e32 vcc, v60, v5
	;; [unrolled: 9-line block ×3, first 2 shown]
	s_waitcnt lgkmcnt(0)
	v_cndmask_b32_e32 v5, 0, v10, vcc
	v_add_u32_e32 v6, v6, v5
	v_mov_b32_e32 v5, 0
	s_branch .LBB1731_54
.LBB1731_53:                            ;   in Loop: Header=BB1731_54 Depth=1
	s_or_b64 exec, exec, s[36:37]
	v_cmp_eq_u16_sdwa s[36:37], v7, v3 src0_sel:BYTE_0 src1_sel:DWORD
	v_and_b32_e32 v10, s37, v9
	v_or_b32_e32 v10, 0x80000000, v10
	ds_bpermute_b32 v63, v15, v6
	v_and_b32_e32 v11, s36, v8
	v_ffbl_b32_e32 v10, v10
	v_add_u32_e32 v10, 32, v10
	v_ffbl_b32_e32 v11, v11
	v_min_u32_e32 v10, v11, v10
	v_cmp_lt_u32_e32 vcc, v14, v10
	s_waitcnt lgkmcnt(0)
	v_cndmask_b32_e32 v11, 0, v63, vcc
	v_add_u32_e32 v6, v11, v6
	ds_bpermute_b32 v11, v16, v6
	v_cmp_le_u32_e32 vcc, v17, v10
	v_subrev_u32_e32 v4, 64, v4
	s_waitcnt lgkmcnt(0)
	v_cndmask_b32_e32 v11, 0, v11, vcc
	v_add_u32_e32 v6, v6, v11
	ds_bpermute_b32 v11, v18, v6
	v_cmp_le_u32_e32 vcc, v19, v10
	s_waitcnt lgkmcnt(0)
	v_cndmask_b32_e32 v11, 0, v11, vcc
	v_add_u32_e32 v6, v6, v11
	ds_bpermute_b32 v11, v56, v6
	v_cmp_le_u32_e32 vcc, v57, v10
	;; [unrolled: 5-line block ×4, first 2 shown]
	s_waitcnt lgkmcnt(0)
	v_cndmask_b32_e32 v10, 0, v11, vcc
	v_add3_u32 v6, v10, v58, v6
.LBB1731_54:                            ; =>This Loop Header: Depth=1
                                        ;     Child Loop BB1731_57 Depth 2
	v_cmp_ne_u16_sdwa s[36:37], v7, v3 src0_sel:BYTE_0 src1_sel:DWORD
	v_cndmask_b32_e64 v7, 0, 1, s[36:37]
	;;#ASMSTART
	;;#ASMEND
	v_cmp_ne_u32_e32 vcc, 0, v7
	s_cmp_lg_u64 vcc, exec
	v_mov_b32_e32 v58, v6
	s_cbranch_scc1 .LBB1731_59
; %bb.55:                               ;   in Loop: Header=BB1731_54 Depth=1
	v_lshlrev_b64 v[6:7], 3, v[4:5]
	v_mov_b32_e32 v11, s31
	v_add_co_u32_e32 v10, vcc, s30, v6
	v_addc_co_u32_e32 v11, vcc, v11, v7, vcc
	global_load_dwordx2 v[6:7], v[10:11], off glc
	s_waitcnt vmcnt(0)
	v_cmp_eq_u16_sdwa s[38:39], v7, v5 src0_sel:BYTE_0 src1_sel:DWORD
	s_and_saveexec_b64 s[36:37], s[38:39]
	s_cbranch_execz .LBB1731_53
; %bb.56:                               ;   in Loop: Header=BB1731_54 Depth=1
	s_mov_b64 s[38:39], 0
.LBB1731_57:                            ;   Parent Loop BB1731_54 Depth=1
                                        ; =>  This Inner Loop Header: Depth=2
	global_load_dwordx2 v[6:7], v[10:11], off glc
	s_waitcnt vmcnt(0)
	v_cmp_ne_u16_sdwa s[42:43], v7, v5 src0_sel:BYTE_0 src1_sel:DWORD
	s_or_b64 s[38:39], s[42:43], s[38:39]
	s_andn2_b64 exec, exec, s[38:39]
	s_cbranch_execnz .LBB1731_57
; %bb.58:                               ;   in Loop: Header=BB1731_54 Depth=1
	s_or_b64 exec, exec, s[38:39]
	s_branch .LBB1731_53
.LBB1731_59:                            ;   in Loop: Header=BB1731_54 Depth=1
                                        ; implicit-def: $vgpr6
                                        ; implicit-def: $vgpr7
	s_cbranch_execz .LBB1731_54
; %bb.60:
	s_and_saveexec_b64 s[36:37], s[18:19]
	s_cbranch_execz .LBB1731_62
; %bb.61:
	s_add_i32 s38, s40, 64
	s_mov_b32 s39, 0
	s_lshl_b64 s[38:39], s[38:39], 3
	s_add_u32 s38, s30, s38
	v_add_u32_e32 v4, v58, v2
	v_mov_b32_e32 v5, 2
	s_addc_u32 s39, s31, s39
	v_mov_b32_e32 v3, 0
	global_store_dwordx2 v3, v[4:5], s[38:39]
	s_movk_i32 s38, 0x3400
	v_add_u32_e64 v3, s38, 0
	ds_write2_b32 v3, v2, v58 offset1:2
.LBB1731_62:
	s_or_b64 exec, exec, s[36:37]
	s_and_b64 exec, exec, s[0:1]
	s_cbranch_execz .LBB1731_64
; %bb.63:
	v_mov_b32_e32 v2, 0
	ds_write_b32 v2, v58 offset:12
.LBB1731_64:
	s_or_b64 exec, exec, s[34:35]
	v_mov_b32_e32 v2, 0
	s_waitcnt lgkmcnt(0)
	s_barrier
	ds_read_b32 v2, v2 offset:12
	v_cndmask_b32_e64 v3, v13, v12, s[18:19]
	v_cndmask_b32_e64 v3, v3, 0, s[0:1]
	s_movk_i32 s18, 0x3400
	v_add_u32_e64 v12, s18, 0
	s_waitcnt lgkmcnt(0)
	v_add_u32_e32 v2, v2, v3
	v_add_u32_e32 v3, v2, v44
	;; [unrolled: 1-line block ×9, first 2 shown]
	s_barrier
	ds_read2_b32 v[18:19], v12 offset1:2
	v_add_u32_e32 v11, v10, v50
	v_add_u32_e32 v12, v11, v51
	;; [unrolled: 1-line block ×4, first 2 shown]
	s_branch .LBB1731_75
.LBB1731_65:
                                        ; implicit-def: $vgpr19
                                        ; implicit-def: $vgpr2_vgpr3_vgpr4_vgpr5_vgpr6_vgpr7_vgpr8_vgpr9_vgpr10_vgpr11_vgpr12_vgpr13_vgpr14_vgpr15_vgpr16_vgpr17
	s_cbranch_execz .LBB1731_75
; %bb.66:
	s_nop 0
	v_mov_b32_dpp v2, v55 row_shr:1 row_mask:0xf bank_mask:0xf
	v_cndmask_b32_e64 v2, v2, 0, s[16:17]
	v_add_u32_e32 v2, v2, v55
	s_nop 1
	v_mov_b32_dpp v3, v2 row_shr:2 row_mask:0xf bank_mask:0xf
	v_cndmask_b32_e64 v3, 0, v3, s[14:15]
	v_add_u32_e32 v2, v2, v3
	;; [unrolled: 4-line block ×4, first 2 shown]
	s_nop 1
	v_mov_b32_dpp v3, v2 row_bcast:15 row_mask:0xf bank_mask:0xf
	v_cndmask_b32_e64 v3, v3, 0, s[8:9]
	v_add_u32_e32 v2, v2, v3
	s_nop 1
	v_mov_b32_dpp v3, v2 row_bcast:31 row_mask:0xf bank_mask:0xf
	v_cndmask_b32_e64 v3, 0, v3, s[4:5]
	v_add_u32_e32 v2, v2, v3
	s_and_saveexec_b64 s[4:5], s[6:7]
	s_cbranch_execz .LBB1731_68
; %bb.67:
	v_lshlrev_b32_e32 v3, 2, v54
	ds_write_b32 v3, v2
.LBB1731_68:
	s_or_b64 exec, exec, s[4:5]
	v_cmp_gt_u32_e32 vcc, 4, v0
	s_waitcnt lgkmcnt(0)
	s_barrier
	s_and_saveexec_b64 s[4:5], vcc
	s_cbranch_execz .LBB1731_70
; %bb.69:
	ds_read_b32 v3, v1
	v_and_b32_e32 v4, 3, v53
	v_cmp_ne_u32_e32 vcc, 0, v4
	s_waitcnt lgkmcnt(0)
	v_mov_b32_dpp v5, v3 row_shr:1 row_mask:0xf bank_mask:0xf
	v_cndmask_b32_e32 v5, 0, v5, vcc
	v_add_u32_e32 v3, v5, v3
	v_cmp_lt_u32_e32 vcc, 1, v4
	s_nop 0
	v_mov_b32_dpp v5, v3 row_shr:2 row_mask:0xf bank_mask:0xf
	v_cndmask_b32_e32 v4, 0, v5, vcc
	v_add_u32_e32 v3, v3, v4
	ds_write_b32 v1, v3
.LBB1731_70:
	s_or_b64 exec, exec, s[4:5]
	v_cmp_lt_u32_e32 vcc, 63, v0
	v_mov_b32_e32 v4, 0
	v_mov_b32_e32 v3, 0
	s_waitcnt lgkmcnt(0)
	s_barrier
	s_and_saveexec_b64 s[4:5], vcc
	s_cbranch_execz .LBB1731_72
; %bb.71:
	v_lshl_add_u32 v3, v54, 2, -4
	ds_read_b32 v3, v3
.LBB1731_72:
	s_or_b64 exec, exec, s[4:5]
	v_add_u32_e32 v5, -1, v53
	v_and_b32_e32 v6, 64, v53
	v_cmp_lt_i32_e32 vcc, v5, v6
	v_cndmask_b32_e32 v5, v5, v53, vcc
	s_waitcnt lgkmcnt(0)
	v_add_u32_e32 v2, v3, v2
	v_lshlrev_b32_e32 v5, 2, v5
	ds_bpermute_b32 v2, v5, v2
	ds_read_b32 v18, v4 offset:12
	s_and_saveexec_b64 s[4:5], s[0:1]
	s_cbranch_execz .LBB1731_74
; %bb.73:
	v_mov_b32_e32 v4, 0
	v_mov_b32_e32 v19, 2
	s_waitcnt lgkmcnt(0)
	global_store_dwordx2 v4, v[18:19], s[30:31] offset:512
.LBB1731_74:
	s_or_b64 exec, exec, s[4:5]
	v_cmp_eq_u32_e32 vcc, 0, v53
	s_waitcnt lgkmcnt(1)
	v_cndmask_b32_e32 v2, v2, v3, vcc
	v_cndmask_b32_e64 v2, v2, 0, s[0:1]
	v_add_u32_e32 v3, v2, v44
	v_add_u32_e32 v4, v3, v45
	;; [unrolled: 1-line block ×11, first 2 shown]
	v_mov_b32_e32 v19, 0
	v_add_u32_e32 v14, v13, v41
	s_waitcnt lgkmcnt(0)
	s_barrier
.LBB1731_75:
	s_waitcnt lgkmcnt(0)
	v_add_u32_e32 v36, v18, v36
	v_sub_u32_e32 v2, v2, v19
	v_and_b32_e32 v45, 1, v40
	v_sub_u32_e32 v44, v36, v2
	v_cmp_eq_u32_e32 vcc, 1, v45
	v_cndmask_b32_e32 v2, v44, v2, vcc
	v_lshlrev_b32_e32 v2, 2, v2
	v_lshrrev_b32_e32 v17, 8, v40
	ds_write_b32 v2, v32
	v_sub_u32_e32 v2, v3, v19
	v_sub_u32_e32 v3, v36, v2
	v_and_b32_e32 v17, 1, v17
	v_add_u32_e32 v3, 1, v3
	v_cmp_eq_u32_e32 vcc, 1, v17
	v_cndmask_b32_e32 v2, v3, v2, vcc
	v_lshlrev_b32_e32 v2, 2, v2
	ds_write_b32 v2, v33
	v_sub_u32_e32 v2, v4, v19
	v_mov_b32_e32 v4, 1
	v_sub_u32_e32 v3, v36, v2
	v_and_b32_sdwa v17, v4, v40 dst_sel:DWORD dst_unused:UNUSED_PAD src0_sel:DWORD src1_sel:WORD_1
	v_add_u32_e32 v3, 2, v3
	v_cmp_eq_u32_e32 vcc, 1, v17
	v_cndmask_b32_e32 v2, v3, v2, vcc
	v_lshlrev_b32_e32 v2, 2, v2
	ds_write_b32 v2, v30
	v_sub_u32_e32 v2, v5, v19
	v_sub_u32_e32 v3, v36, v2
	v_and_b32_e32 v5, 1, v43
	v_add_u32_e32 v3, 3, v3
	v_cmp_eq_u32_e32 vcc, 1, v5
	v_cndmask_b32_e32 v2, v3, v2, vcc
	v_lshlrev_b32_e32 v2, 2, v2
	ds_write_b32 v2, v31
	v_sub_u32_e32 v2, v6, v19
	v_sub_u32_e32 v3, v36, v2
	v_and_b32_e32 v5, 1, v39
	v_add_u32_e32 v3, 4, v3
	v_cmp_eq_u32_e32 vcc, 1, v5
	v_cndmask_b32_e32 v2, v3, v2, vcc
	v_lshlrev_b32_e32 v2, 2, v2
	v_lshrrev_b32_e32 v16, 8, v39
	ds_write_b32 v2, v28
	v_sub_u32_e32 v2, v7, v19
	v_sub_u32_e32 v3, v36, v2
	v_and_b32_e32 v5, 1, v16
	v_add_u32_e32 v3, 5, v3
	v_cmp_eq_u32_e32 vcc, 1, v5
	v_cndmask_b32_e32 v2, v3, v2, vcc
	v_lshlrev_b32_e32 v2, 2, v2
	ds_write_b32 v2, v29
	v_sub_u32_e32 v2, v8, v19
	v_sub_u32_e32 v3, v36, v2
	v_and_b32_sdwa v5, v4, v39 dst_sel:DWORD dst_unused:UNUSED_PAD src0_sel:DWORD src1_sel:WORD_1
	v_add_u32_e32 v3, 6, v3
	v_cmp_eq_u32_e32 vcc, 1, v5
	v_cndmask_b32_e32 v2, v3, v2, vcc
	v_lshlrev_b32_e32 v2, 2, v2
	ds_write_b32 v2, v26
	v_sub_u32_e32 v2, v9, v19
	v_sub_u32_e32 v3, v36, v2
	v_and_b32_e32 v5, 1, v42
	v_add_u32_e32 v3, 7, v3
	v_cmp_eq_u32_e32 vcc, 1, v5
	v_cndmask_b32_e32 v2, v3, v2, vcc
	v_lshlrev_b32_e32 v2, 2, v2
	ds_write_b32 v2, v27
	v_sub_u32_e32 v2, v10, v19
	v_sub_u32_e32 v3, v36, v2
	v_and_b32_e32 v5, 1, v38
	v_add_u32_e32 v3, 8, v3
	v_cmp_eq_u32_e32 vcc, 1, v5
	v_cndmask_b32_e32 v2, v3, v2, vcc
	v_lshlrev_b32_e32 v2, 2, v2
	v_lshrrev_b32_e32 v15, 8, v38
	ds_write_b32 v2, v24
	v_sub_u32_e32 v2, v11, v19
	v_sub_u32_e32 v3, v36, v2
	v_and_b32_e32 v5, 1, v15
	v_add_u32_e32 v3, 9, v3
	v_cmp_eq_u32_e32 vcc, 1, v5
	v_cndmask_b32_e32 v2, v3, v2, vcc
	v_lshlrev_b32_e32 v2, 2, v2
	ds_write_b32 v2, v25
	v_sub_u32_e32 v2, v12, v19
	v_sub_u32_e32 v3, v36, v2
	v_and_b32_sdwa v4, v4, v38 dst_sel:DWORD dst_unused:UNUSED_PAD src0_sel:DWORD src1_sel:WORD_1
	v_add_u32_e32 v3, 10, v3
	v_cmp_eq_u32_e32 vcc, 1, v4
	v_cndmask_b32_e32 v2, v3, v2, vcc
	v_lshlrev_b32_e32 v2, 2, v2
	ds_write_b32 v2, v22
	v_sub_u32_e32 v2, v13, v19
	v_sub_u32_e32 v3, v36, v2
	v_and_b32_e32 v4, 1, v41
	v_add_u32_e32 v3, 11, v3
	v_cmp_eq_u32_e32 vcc, 1, v4
	v_cndmask_b32_e32 v2, v3, v2, vcc
	v_lshlrev_b32_e32 v2, 2, v2
	ds_write_b32 v2, v23
	v_sub_u32_e32 v2, v14, v19
	v_sub_u32_e32 v3, v36, v2
	v_and_b32_e32 v4, 1, v37
	v_add_u32_e32 v3, 12, v3
	v_cmp_eq_u32_e32 vcc, 1, v4
	v_cndmask_b32_e32 v2, v3, v2, vcc
	v_lshlrev_b32_e32 v2, 2, v2
	ds_write_b32 v2, v35
	s_waitcnt lgkmcnt(0)
	s_barrier
	ds_read2st64_b32 v[12:13], v1 offset1:4
	ds_read2st64_b32 v[10:11], v1 offset0:8 offset1:12
	ds_read2st64_b32 v[8:9], v1 offset0:16 offset1:20
	;; [unrolled: 1-line block ×5, first 2 shown]
	ds_read_b32 v17, v1 offset:12288
	s_waitcnt vmcnt(0)
	v_add_co_u32_e32 v1, vcc, v20, v19
	v_addc_co_u32_e32 v16, vcc, 0, v21, vcc
	v_mov_b32_e32 v14, s29
	v_add_co_u32_e32 v15, vcc, s28, v34
	v_addc_co_u32_e32 v14, vcc, 0, v14, vcc
	v_mov_b32_e32 v19, s27
	v_sub_co_u32_e32 v15, vcc, s26, v15
	v_subb_co_u32_e32 v14, vcc, v19, v14, vcc
	v_add_co_u32_e32 v15, vcc, v15, v18
	v_addc_co_u32_e32 v14, vcc, 0, v14, vcc
	s_and_b64 vcc, exec, s[2:3]
	v_add_co_u32_e64 v19, s[2:3], v15, v1
	v_or_b32_e32 v33, 0x100, v0
	v_or_b32_e32 v32, 0x200, v0
	;; [unrolled: 1-line block ×12, first 2 shown]
	v_addc_co_u32_e64 v20, s[2:3], v14, v16, s[2:3]
	s_cbranch_vccnz .LBB1731_132
; %bb.76:
	v_cmp_ge_u32_e32 vcc, v0, v18
                                        ; implicit-def: $vgpr14_vgpr15
	s_and_saveexec_b64 s[2:3], vcc
	s_xor_b64 s[2:3], exec, s[2:3]
; %bb.77:
	v_not_b32_e32 v14, v0
	v_ashrrev_i32_e32 v15, 31, v14
	v_add_co_u32_e32 v14, vcc, v19, v14
	v_addc_co_u32_e32 v15, vcc, v20, v15, vcc
; %bb.78:
	s_andn2_saveexec_b64 s[2:3], s[2:3]
; %bb.79:
	v_add_co_u32_e32 v14, vcc, v1, v0
	v_addc_co_u32_e32 v15, vcc, 0, v16, vcc
; %bb.80:
	s_or_b64 exec, exec, s[2:3]
	v_lshlrev_b64 v[14:15], 2, v[14:15]
	v_mov_b32_e32 v21, s25
	v_add_co_u32_e32 v14, vcc, s24, v14
	v_addc_co_u32_e32 v15, vcc, v21, v15, vcc
	v_cmp_ge_u32_e32 vcc, v33, v18
	s_waitcnt lgkmcnt(6)
	global_store_dword v[14:15], v12, off
                                        ; implicit-def: $vgpr14_vgpr15
	s_and_saveexec_b64 s[2:3], vcc
	s_xor_b64 s[2:3], exec, s[2:3]
; %bb.81:
	v_xor_b32_e32 v14, 0xfffffeff, v0
	v_ashrrev_i32_e32 v15, 31, v14
	v_add_co_u32_e32 v14, vcc, v19, v14
	v_addc_co_u32_e32 v15, vcc, v20, v15, vcc
; %bb.82:
	s_andn2_saveexec_b64 s[2:3], s[2:3]
; %bb.83:
	v_add_co_u32_e32 v14, vcc, v1, v33
	v_addc_co_u32_e32 v15, vcc, 0, v16, vcc
; %bb.84:
	s_or_b64 exec, exec, s[2:3]
	v_lshlrev_b64 v[14:15], 2, v[14:15]
	v_mov_b32_e32 v21, s25
	v_add_co_u32_e32 v14, vcc, s24, v14
	v_addc_co_u32_e32 v15, vcc, v21, v15, vcc
	v_cmp_ge_u32_e32 vcc, v32, v18
	global_store_dword v[14:15], v13, off
                                        ; implicit-def: $vgpr14_vgpr15
	s_and_saveexec_b64 s[2:3], vcc
	s_xor_b64 s[2:3], exec, s[2:3]
; %bb.85:
	v_xor_b32_e32 v14, 0xfffffdff, v0
	v_ashrrev_i32_e32 v15, 31, v14
	v_add_co_u32_e32 v14, vcc, v19, v14
	v_addc_co_u32_e32 v15, vcc, v20, v15, vcc
; %bb.86:
	s_andn2_saveexec_b64 s[2:3], s[2:3]
; %bb.87:
	v_add_co_u32_e32 v14, vcc, v1, v32
	v_addc_co_u32_e32 v15, vcc, 0, v16, vcc
; %bb.88:
	s_or_b64 exec, exec, s[2:3]
	v_lshlrev_b64 v[14:15], 2, v[14:15]
	v_mov_b32_e32 v21, s25
	v_add_co_u32_e32 v14, vcc, s24, v14
	v_addc_co_u32_e32 v15, vcc, v21, v15, vcc
	v_cmp_ge_u32_e32 vcc, v31, v18
	s_waitcnt lgkmcnt(5)
	global_store_dword v[14:15], v10, off
                                        ; implicit-def: $vgpr14_vgpr15
	s_and_saveexec_b64 s[2:3], vcc
	s_xor_b64 s[2:3], exec, s[2:3]
; %bb.89:
	v_xor_b32_e32 v14, 0xfffffcff, v0
	v_ashrrev_i32_e32 v15, 31, v14
	v_add_co_u32_e32 v14, vcc, v19, v14
	v_addc_co_u32_e32 v15, vcc, v20, v15, vcc
; %bb.90:
	s_andn2_saveexec_b64 s[2:3], s[2:3]
; %bb.91:
	v_add_co_u32_e32 v14, vcc, v1, v31
	v_addc_co_u32_e32 v15, vcc, 0, v16, vcc
; %bb.92:
	s_or_b64 exec, exec, s[2:3]
	v_lshlrev_b64 v[14:15], 2, v[14:15]
	v_mov_b32_e32 v21, s25
	v_add_co_u32_e32 v14, vcc, s24, v14
	v_addc_co_u32_e32 v15, vcc, v21, v15, vcc
	v_cmp_ge_u32_e32 vcc, v30, v18
	global_store_dword v[14:15], v11, off
                                        ; implicit-def: $vgpr14_vgpr15
	s_and_saveexec_b64 s[2:3], vcc
	s_xor_b64 s[2:3], exec, s[2:3]
; %bb.93:
	v_xor_b32_e32 v14, 0xfffffbff, v0
	;; [unrolled: 43-line block ×6, first 2 shown]
	v_ashrrev_i32_e32 v15, 31, v14
	v_add_co_u32_e32 v14, vcc, v19, v14
	v_addc_co_u32_e32 v15, vcc, v20, v15, vcc
; %bb.126:
	s_andn2_saveexec_b64 s[2:3], s[2:3]
; %bb.127:
	v_add_co_u32_e32 v14, vcc, v1, v22
	v_addc_co_u32_e32 v15, vcc, 0, v16, vcc
; %bb.128:
	s_or_b64 exec, exec, s[2:3]
	s_mov_b64 s[2:3], -1
.LBB1731_129:
	s_and_saveexec_b64 s[4:5], s[2:3]
	s_cbranch_execz .LBB1731_212
.LBB1731_130:
	s_waitcnt lgkmcnt(1)
	v_lshlrev_b64 v[2:3], 2, v[14:15]
	v_mov_b32_e32 v0, s25
	v_add_co_u32_e32 v2, vcc, s24, v2
	v_addc_co_u32_e32 v3, vcc, v0, v3, vcc
	s_waitcnt lgkmcnt(0)
	global_store_dword v[2:3], v17, off
	s_or_b64 exec, exec, s[4:5]
	s_and_b64 s[0:1], s[0:1], s[22:23]
	s_and_saveexec_b64 s[2:3], s[0:1]
	s_cbranch_execnz .LBB1731_213
.LBB1731_131:
	s_endpgm
.LBB1731_132:
	s_mov_b64 s[2:3], 0
                                        ; implicit-def: $vgpr14_vgpr15
	s_cbranch_execz .LBB1731_129
; %bb.133:
	v_cmp_gt_u32_e32 vcc, s33, v0
	s_and_saveexec_b64 s[4:5], vcc
	s_cbranch_execz .LBB1731_169
; %bb.134:
	v_cmp_ge_u32_e32 vcc, v0, v18
                                        ; implicit-def: $vgpr14_vgpr15
	s_and_saveexec_b64 s[6:7], vcc
	s_xor_b64 s[6:7], exec, s[6:7]
; %bb.135:
	v_not_b32_e32 v14, v0
	v_ashrrev_i32_e32 v15, 31, v14
	v_add_co_u32_e32 v14, vcc, v19, v14
	v_addc_co_u32_e32 v15, vcc, v20, v15, vcc
; %bb.136:
	s_andn2_saveexec_b64 s[6:7], s[6:7]
; %bb.137:
	v_add_co_u32_e32 v14, vcc, v1, v0
	v_addc_co_u32_e32 v15, vcc, 0, v16, vcc
; %bb.138:
	s_or_b64 exec, exec, s[6:7]
	v_lshlrev_b64 v[14:15], 2, v[14:15]
	v_mov_b32_e32 v21, s25
	v_add_co_u32_e32 v14, vcc, s24, v14
	v_addc_co_u32_e32 v15, vcc, v21, v15, vcc
	s_waitcnt lgkmcnt(6)
	global_store_dword v[14:15], v12, off
	s_or_b64 exec, exec, s[4:5]
	v_cmp_gt_u32_e32 vcc, s33, v33
	s_and_saveexec_b64 s[4:5], vcc
	s_cbranch_execnz .LBB1731_170
.LBB1731_139:
	s_or_b64 exec, exec, s[4:5]
	v_cmp_gt_u32_e32 vcc, s33, v32
	s_and_saveexec_b64 s[4:5], vcc
	s_cbranch_execz .LBB1731_175
.LBB1731_140:
	v_cmp_ge_u32_e32 vcc, v32, v18
                                        ; implicit-def: $vgpr12_vgpr13
	s_and_saveexec_b64 s[6:7], vcc
	s_xor_b64 s[6:7], exec, s[6:7]
	s_cbranch_execz .LBB1731_142
; %bb.141:
	s_waitcnt lgkmcnt(6)
	v_xor_b32_e32 v12, 0xfffffdff, v0
	v_ashrrev_i32_e32 v13, 31, v12
	v_add_co_u32_e32 v12, vcc, v19, v12
	v_addc_co_u32_e32 v13, vcc, v20, v13, vcc
                                        ; implicit-def: $vgpr32
.LBB1731_142:
	s_andn2_saveexec_b64 s[6:7], s[6:7]
	s_cbranch_execz .LBB1731_144
; %bb.143:
	s_waitcnt lgkmcnt(6)
	v_add_co_u32_e32 v12, vcc, v1, v32
	v_addc_co_u32_e32 v13, vcc, 0, v16, vcc
.LBB1731_144:
	s_or_b64 exec, exec, s[6:7]
	s_waitcnt lgkmcnt(6)
	v_lshlrev_b64 v[12:13], 2, v[12:13]
	v_mov_b32_e32 v14, s25
	v_add_co_u32_e32 v12, vcc, s24, v12
	v_addc_co_u32_e32 v13, vcc, v14, v13, vcc
	s_waitcnt lgkmcnt(5)
	global_store_dword v[12:13], v10, off
	s_or_b64 exec, exec, s[4:5]
	v_cmp_gt_u32_e32 vcc, s33, v31
	s_and_saveexec_b64 s[4:5], vcc
	s_cbranch_execnz .LBB1731_176
.LBB1731_145:
	s_or_b64 exec, exec, s[4:5]
	v_cmp_gt_u32_e32 vcc, s33, v30
	s_and_saveexec_b64 s[4:5], vcc
	s_cbranch_execz .LBB1731_181
.LBB1731_146:
	v_cmp_ge_u32_e32 vcc, v30, v18
                                        ; implicit-def: $vgpr10_vgpr11
	s_and_saveexec_b64 s[6:7], vcc
	s_xor_b64 s[6:7], exec, s[6:7]
	s_cbranch_execz .LBB1731_148
; %bb.147:
	s_waitcnt lgkmcnt(5)
	v_xor_b32_e32 v10, 0xfffffbff, v0
	v_ashrrev_i32_e32 v11, 31, v10
	v_add_co_u32_e32 v10, vcc, v19, v10
	v_addc_co_u32_e32 v11, vcc, v20, v11, vcc
                                        ; implicit-def: $vgpr30
.LBB1731_148:
	s_andn2_saveexec_b64 s[6:7], s[6:7]
	s_cbranch_execz .LBB1731_150
; %bb.149:
	s_waitcnt lgkmcnt(5)
	v_add_co_u32_e32 v10, vcc, v1, v30
	v_addc_co_u32_e32 v11, vcc, 0, v16, vcc
.LBB1731_150:
	s_or_b64 exec, exec, s[6:7]
	s_waitcnt lgkmcnt(5)
	v_lshlrev_b64 v[10:11], 2, v[10:11]
	v_mov_b32_e32 v12, s25
	v_add_co_u32_e32 v10, vcc, s24, v10
	v_addc_co_u32_e32 v11, vcc, v12, v11, vcc
	s_waitcnt lgkmcnt(4)
	global_store_dword v[10:11], v8, off
	s_or_b64 exec, exec, s[4:5]
	v_cmp_gt_u32_e32 vcc, s33, v29
	s_and_saveexec_b64 s[4:5], vcc
	s_cbranch_execnz .LBB1731_182
.LBB1731_151:
	s_or_b64 exec, exec, s[4:5]
	v_cmp_gt_u32_e32 vcc, s33, v28
	s_and_saveexec_b64 s[4:5], vcc
	s_cbranch_execz .LBB1731_187
.LBB1731_152:
	v_cmp_ge_u32_e32 vcc, v28, v18
                                        ; implicit-def: $vgpr8_vgpr9
	s_and_saveexec_b64 s[6:7], vcc
	s_xor_b64 s[6:7], exec, s[6:7]
	s_cbranch_execz .LBB1731_154
; %bb.153:
	s_waitcnt lgkmcnt(4)
	v_xor_b32_e32 v8, 0xfffff9ff, v0
	v_ashrrev_i32_e32 v9, 31, v8
	v_add_co_u32_e32 v8, vcc, v19, v8
	v_addc_co_u32_e32 v9, vcc, v20, v9, vcc
                                        ; implicit-def: $vgpr28
.LBB1731_154:
	s_andn2_saveexec_b64 s[6:7], s[6:7]
	s_cbranch_execz .LBB1731_156
; %bb.155:
	s_waitcnt lgkmcnt(4)
	v_add_co_u32_e32 v8, vcc, v1, v28
	v_addc_co_u32_e32 v9, vcc, 0, v16, vcc
.LBB1731_156:
	s_or_b64 exec, exec, s[6:7]
	s_waitcnt lgkmcnt(4)
	v_lshlrev_b64 v[8:9], 2, v[8:9]
	v_mov_b32_e32 v10, s25
	v_add_co_u32_e32 v8, vcc, s24, v8
	v_addc_co_u32_e32 v9, vcc, v10, v9, vcc
	s_waitcnt lgkmcnt(3)
	global_store_dword v[8:9], v6, off
	s_or_b64 exec, exec, s[4:5]
	v_cmp_gt_u32_e32 vcc, s33, v27
	s_and_saveexec_b64 s[4:5], vcc
	s_cbranch_execnz .LBB1731_188
.LBB1731_157:
	s_or_b64 exec, exec, s[4:5]
	v_cmp_gt_u32_e32 vcc, s33, v26
	s_and_saveexec_b64 s[4:5], vcc
	s_cbranch_execz .LBB1731_193
.LBB1731_158:
	v_cmp_ge_u32_e32 vcc, v26, v18
                                        ; implicit-def: $vgpr6_vgpr7
	s_and_saveexec_b64 s[6:7], vcc
	s_xor_b64 s[6:7], exec, s[6:7]
	s_cbranch_execz .LBB1731_160
; %bb.159:
	s_waitcnt lgkmcnt(3)
	v_xor_b32_e32 v6, 0xfffff7ff, v0
	v_ashrrev_i32_e32 v7, 31, v6
	v_add_co_u32_e32 v6, vcc, v19, v6
	v_addc_co_u32_e32 v7, vcc, v20, v7, vcc
                                        ; implicit-def: $vgpr26
.LBB1731_160:
	s_andn2_saveexec_b64 s[6:7], s[6:7]
	s_cbranch_execz .LBB1731_162
; %bb.161:
	s_waitcnt lgkmcnt(3)
	v_add_co_u32_e32 v6, vcc, v1, v26
	v_addc_co_u32_e32 v7, vcc, 0, v16, vcc
.LBB1731_162:
	s_or_b64 exec, exec, s[6:7]
	s_waitcnt lgkmcnt(3)
	v_lshlrev_b64 v[6:7], 2, v[6:7]
	v_mov_b32_e32 v8, s25
	v_add_co_u32_e32 v6, vcc, s24, v6
	v_addc_co_u32_e32 v7, vcc, v8, v7, vcc
	s_waitcnt lgkmcnt(2)
	global_store_dword v[6:7], v4, off
	s_or_b64 exec, exec, s[4:5]
	v_cmp_gt_u32_e32 vcc, s33, v25
	s_and_saveexec_b64 s[4:5], vcc
	s_cbranch_execnz .LBB1731_194
.LBB1731_163:
	s_or_b64 exec, exec, s[4:5]
	v_cmp_gt_u32_e32 vcc, s33, v24
	s_and_saveexec_b64 s[4:5], vcc
	s_cbranch_execz .LBB1731_199
.LBB1731_164:
	v_cmp_ge_u32_e32 vcc, v24, v18
                                        ; implicit-def: $vgpr4_vgpr5
	s_and_saveexec_b64 s[6:7], vcc
	s_xor_b64 s[6:7], exec, s[6:7]
	s_cbranch_execz .LBB1731_166
; %bb.165:
	s_waitcnt lgkmcnt(2)
	v_xor_b32_e32 v4, 0xfffff5ff, v0
	v_ashrrev_i32_e32 v5, 31, v4
	v_add_co_u32_e32 v4, vcc, v19, v4
	v_addc_co_u32_e32 v5, vcc, v20, v5, vcc
                                        ; implicit-def: $vgpr24
.LBB1731_166:
	s_andn2_saveexec_b64 s[6:7], s[6:7]
	s_cbranch_execz .LBB1731_168
; %bb.167:
	s_waitcnt lgkmcnt(2)
	v_add_co_u32_e32 v4, vcc, v1, v24
	v_addc_co_u32_e32 v5, vcc, 0, v16, vcc
.LBB1731_168:
	s_or_b64 exec, exec, s[6:7]
	s_waitcnt lgkmcnt(2)
	v_lshlrev_b64 v[4:5], 2, v[4:5]
	v_mov_b32_e32 v6, s25
	v_add_co_u32_e32 v4, vcc, s24, v4
	v_addc_co_u32_e32 v5, vcc, v6, v5, vcc
	s_waitcnt lgkmcnt(1)
	global_store_dword v[4:5], v2, off
	s_or_b64 exec, exec, s[4:5]
	v_cmp_gt_u32_e32 vcc, s33, v23
	s_and_saveexec_b64 s[4:5], vcc
	s_cbranch_execz .LBB1731_205
	s_branch .LBB1731_200
.LBB1731_169:
	s_or_b64 exec, exec, s[4:5]
	v_cmp_gt_u32_e32 vcc, s33, v33
	s_and_saveexec_b64 s[4:5], vcc
	s_cbranch_execz .LBB1731_139
.LBB1731_170:
	v_cmp_ge_u32_e32 vcc, v33, v18
                                        ; implicit-def: $vgpr14_vgpr15
	s_and_saveexec_b64 s[6:7], vcc
	s_xor_b64 s[6:7], exec, s[6:7]
	s_cbranch_execz .LBB1731_172
; %bb.171:
	s_waitcnt lgkmcnt(6)
	v_xor_b32_e32 v12, 0xfffffeff, v0
	v_ashrrev_i32_e32 v15, 31, v12
	v_add_co_u32_e32 v14, vcc, v19, v12
	v_addc_co_u32_e32 v15, vcc, v20, v15, vcc
                                        ; implicit-def: $vgpr33
.LBB1731_172:
	s_andn2_saveexec_b64 s[6:7], s[6:7]
; %bb.173:
	v_add_co_u32_e32 v14, vcc, v1, v33
	v_addc_co_u32_e32 v15, vcc, 0, v16, vcc
; %bb.174:
	s_or_b64 exec, exec, s[6:7]
	v_lshlrev_b64 v[14:15], 2, v[14:15]
	s_waitcnt lgkmcnt(6)
	v_mov_b32_e32 v12, s25
	v_add_co_u32_e32 v14, vcc, s24, v14
	v_addc_co_u32_e32 v15, vcc, v12, v15, vcc
	global_store_dword v[14:15], v13, off
	s_or_b64 exec, exec, s[4:5]
	v_cmp_gt_u32_e32 vcc, s33, v32
	s_and_saveexec_b64 s[4:5], vcc
	s_cbranch_execnz .LBB1731_140
.LBB1731_175:
	s_or_b64 exec, exec, s[4:5]
	v_cmp_gt_u32_e32 vcc, s33, v31
	s_and_saveexec_b64 s[4:5], vcc
	s_cbranch_execz .LBB1731_145
.LBB1731_176:
	v_cmp_ge_u32_e32 vcc, v31, v18
                                        ; implicit-def: $vgpr12_vgpr13
	s_and_saveexec_b64 s[6:7], vcc
	s_xor_b64 s[6:7], exec, s[6:7]
	s_cbranch_execz .LBB1731_178
; %bb.177:
	s_waitcnt lgkmcnt(5)
	v_xor_b32_e32 v10, 0xfffffcff, v0
	v_ashrrev_i32_e32 v13, 31, v10
	v_add_co_u32_e32 v12, vcc, v19, v10
	v_addc_co_u32_e32 v13, vcc, v20, v13, vcc
                                        ; implicit-def: $vgpr31
.LBB1731_178:
	s_andn2_saveexec_b64 s[6:7], s[6:7]
	s_cbranch_execz .LBB1731_180
; %bb.179:
	s_waitcnt lgkmcnt(6)
	v_add_co_u32_e32 v12, vcc, v1, v31
	v_addc_co_u32_e32 v13, vcc, 0, v16, vcc
.LBB1731_180:
	s_or_b64 exec, exec, s[6:7]
	s_waitcnt lgkmcnt(6)
	v_lshlrev_b64 v[12:13], 2, v[12:13]
	s_waitcnt lgkmcnt(5)
	v_mov_b32_e32 v10, s25
	v_add_co_u32_e32 v12, vcc, s24, v12
	v_addc_co_u32_e32 v13, vcc, v10, v13, vcc
	global_store_dword v[12:13], v11, off
	s_or_b64 exec, exec, s[4:5]
	v_cmp_gt_u32_e32 vcc, s33, v30
	s_and_saveexec_b64 s[4:5], vcc
	s_cbranch_execnz .LBB1731_146
.LBB1731_181:
	s_or_b64 exec, exec, s[4:5]
	v_cmp_gt_u32_e32 vcc, s33, v29
	s_and_saveexec_b64 s[4:5], vcc
	s_cbranch_execz .LBB1731_151
.LBB1731_182:
	v_cmp_ge_u32_e32 vcc, v29, v18
                                        ; implicit-def: $vgpr10_vgpr11
	s_and_saveexec_b64 s[6:7], vcc
	s_xor_b64 s[6:7], exec, s[6:7]
	s_cbranch_execz .LBB1731_184
; %bb.183:
	s_waitcnt lgkmcnt(4)
	v_xor_b32_e32 v8, 0xfffffaff, v0
	v_ashrrev_i32_e32 v11, 31, v8
	v_add_co_u32_e32 v10, vcc, v19, v8
	v_addc_co_u32_e32 v11, vcc, v20, v11, vcc
                                        ; implicit-def: $vgpr29
.LBB1731_184:
	s_andn2_saveexec_b64 s[6:7], s[6:7]
	s_cbranch_execz .LBB1731_186
; %bb.185:
	s_waitcnt lgkmcnt(5)
	v_add_co_u32_e32 v10, vcc, v1, v29
	v_addc_co_u32_e32 v11, vcc, 0, v16, vcc
.LBB1731_186:
	s_or_b64 exec, exec, s[6:7]
	s_waitcnt lgkmcnt(5)
	v_lshlrev_b64 v[10:11], 2, v[10:11]
	s_waitcnt lgkmcnt(4)
	v_mov_b32_e32 v8, s25
	v_add_co_u32_e32 v10, vcc, s24, v10
	v_addc_co_u32_e32 v11, vcc, v8, v11, vcc
	global_store_dword v[10:11], v9, off
	s_or_b64 exec, exec, s[4:5]
	v_cmp_gt_u32_e32 vcc, s33, v28
	s_and_saveexec_b64 s[4:5], vcc
	s_cbranch_execnz .LBB1731_152
.LBB1731_187:
	s_or_b64 exec, exec, s[4:5]
	v_cmp_gt_u32_e32 vcc, s33, v27
	s_and_saveexec_b64 s[4:5], vcc
	s_cbranch_execz .LBB1731_157
.LBB1731_188:
	v_cmp_ge_u32_e32 vcc, v27, v18
                                        ; implicit-def: $vgpr8_vgpr9
	s_and_saveexec_b64 s[6:7], vcc
	s_xor_b64 s[6:7], exec, s[6:7]
	s_cbranch_execz .LBB1731_190
; %bb.189:
	s_waitcnt lgkmcnt(3)
	v_xor_b32_e32 v6, 0xfffff8ff, v0
	v_ashrrev_i32_e32 v9, 31, v6
	v_add_co_u32_e32 v8, vcc, v19, v6
	v_addc_co_u32_e32 v9, vcc, v20, v9, vcc
                                        ; implicit-def: $vgpr27
.LBB1731_190:
	s_andn2_saveexec_b64 s[6:7], s[6:7]
	s_cbranch_execz .LBB1731_192
; %bb.191:
	s_waitcnt lgkmcnt(4)
	v_add_co_u32_e32 v8, vcc, v1, v27
	v_addc_co_u32_e32 v9, vcc, 0, v16, vcc
.LBB1731_192:
	s_or_b64 exec, exec, s[6:7]
	s_waitcnt lgkmcnt(4)
	v_lshlrev_b64 v[8:9], 2, v[8:9]
	s_waitcnt lgkmcnt(3)
	v_mov_b32_e32 v6, s25
	v_add_co_u32_e32 v8, vcc, s24, v8
	v_addc_co_u32_e32 v9, vcc, v6, v9, vcc
	global_store_dword v[8:9], v7, off
	s_or_b64 exec, exec, s[4:5]
	v_cmp_gt_u32_e32 vcc, s33, v26
	s_and_saveexec_b64 s[4:5], vcc
	s_cbranch_execnz .LBB1731_158
.LBB1731_193:
	s_or_b64 exec, exec, s[4:5]
	v_cmp_gt_u32_e32 vcc, s33, v25
	s_and_saveexec_b64 s[4:5], vcc
	s_cbranch_execz .LBB1731_163
.LBB1731_194:
	v_cmp_ge_u32_e32 vcc, v25, v18
                                        ; implicit-def: $vgpr6_vgpr7
	s_and_saveexec_b64 s[6:7], vcc
	s_xor_b64 s[6:7], exec, s[6:7]
	s_cbranch_execz .LBB1731_196
; %bb.195:
	s_waitcnt lgkmcnt(2)
	v_xor_b32_e32 v4, 0xfffff6ff, v0
	v_ashrrev_i32_e32 v7, 31, v4
	v_add_co_u32_e32 v6, vcc, v19, v4
	v_addc_co_u32_e32 v7, vcc, v20, v7, vcc
                                        ; implicit-def: $vgpr25
.LBB1731_196:
	s_andn2_saveexec_b64 s[6:7], s[6:7]
	s_cbranch_execz .LBB1731_198
; %bb.197:
	s_waitcnt lgkmcnt(3)
	v_add_co_u32_e32 v6, vcc, v1, v25
	v_addc_co_u32_e32 v7, vcc, 0, v16, vcc
.LBB1731_198:
	s_or_b64 exec, exec, s[6:7]
	s_waitcnt lgkmcnt(3)
	v_lshlrev_b64 v[6:7], 2, v[6:7]
	s_waitcnt lgkmcnt(2)
	v_mov_b32_e32 v4, s25
	v_add_co_u32_e32 v6, vcc, s24, v6
	v_addc_co_u32_e32 v7, vcc, v4, v7, vcc
	global_store_dword v[6:7], v5, off
	s_or_b64 exec, exec, s[4:5]
	v_cmp_gt_u32_e32 vcc, s33, v24
	s_and_saveexec_b64 s[4:5], vcc
	s_cbranch_execnz .LBB1731_164
.LBB1731_199:
	s_or_b64 exec, exec, s[4:5]
	v_cmp_gt_u32_e32 vcc, s33, v23
	s_and_saveexec_b64 s[4:5], vcc
	s_cbranch_execz .LBB1731_205
.LBB1731_200:
	v_cmp_ge_u32_e32 vcc, v23, v18
                                        ; implicit-def: $vgpr4_vgpr5
	s_and_saveexec_b64 s[6:7], vcc
	s_xor_b64 s[6:7], exec, s[6:7]
	s_cbranch_execz .LBB1731_202
; %bb.201:
	s_waitcnt lgkmcnt(1)
	v_xor_b32_e32 v2, 0xfffff4ff, v0
	v_ashrrev_i32_e32 v5, 31, v2
	v_add_co_u32_e32 v4, vcc, v19, v2
	v_addc_co_u32_e32 v5, vcc, v20, v5, vcc
                                        ; implicit-def: $vgpr23
.LBB1731_202:
	s_andn2_saveexec_b64 s[6:7], s[6:7]
	s_cbranch_execz .LBB1731_204
; %bb.203:
	s_waitcnt lgkmcnt(2)
	v_add_co_u32_e32 v4, vcc, v1, v23
	v_addc_co_u32_e32 v5, vcc, 0, v16, vcc
.LBB1731_204:
	s_or_b64 exec, exec, s[6:7]
	s_waitcnt lgkmcnt(2)
	v_lshlrev_b64 v[4:5], 2, v[4:5]
	s_waitcnt lgkmcnt(1)
	v_mov_b32_e32 v2, s25
	v_add_co_u32_e32 v4, vcc, s24, v4
	v_addc_co_u32_e32 v5, vcc, v2, v5, vcc
	global_store_dword v[4:5], v3, off
.LBB1731_205:
	s_or_b64 exec, exec, s[4:5]
	v_cmp_gt_u32_e32 vcc, s33, v22
                                        ; implicit-def: $vgpr14_vgpr15
	s_and_saveexec_b64 s[4:5], vcc
	s_cbranch_execz .LBB1731_211
; %bb.206:
	v_cmp_ge_u32_e32 vcc, v22, v18
                                        ; implicit-def: $vgpr14_vgpr15
	s_and_saveexec_b64 s[6:7], vcc
	s_xor_b64 s[6:7], exec, s[6:7]
	s_cbranch_execz .LBB1731_208
; %bb.207:
	v_xor_b32_e32 v0, 0xfffff3ff, v0
	s_waitcnt lgkmcnt(1)
	v_ashrrev_i32_e32 v2, 31, v0
	v_add_co_u32_e32 v14, vcc, v19, v0
	v_addc_co_u32_e32 v15, vcc, v20, v2, vcc
                                        ; implicit-def: $vgpr22
.LBB1731_208:
	s_andn2_saveexec_b64 s[6:7], s[6:7]
; %bb.209:
	v_add_co_u32_e32 v14, vcc, v1, v22
	v_addc_co_u32_e32 v15, vcc, 0, v16, vcc
; %bb.210:
	s_or_b64 exec, exec, s[6:7]
	s_or_b64 s[2:3], s[2:3], exec
.LBB1731_211:
	s_or_b64 exec, exec, s[4:5]
	s_and_saveexec_b64 s[4:5], s[2:3]
	s_cbranch_execnz .LBB1731_130
.LBB1731_212:
	s_or_b64 exec, exec, s[4:5]
	s_and_b64 s[0:1], s[0:1], s[22:23]
	s_and_saveexec_b64 s[2:3], s[0:1]
	s_cbranch_execz .LBB1731_131
.LBB1731_213:
	v_add_co_u32_e32 v0, vcc, v1, v18
	s_waitcnt lgkmcnt(1)
	v_mov_b32_e32 v2, 0
	v_addc_co_u32_e32 v1, vcc, 0, v16, vcc
	global_store_dwordx2 v2, v[0:1], s[20:21]
	s_endpgm
	.section	.rodata,"a",@progbits
	.p2align	6, 0x0
	.amdhsa_kernel _ZN7rocprim17ROCPRIM_400000_NS6detail17trampoline_kernelINS0_13select_configILj256ELj13ELNS0_17block_load_methodE3ELS4_3ELS4_3ELNS0_20block_scan_algorithmE0ELj4294967295EEENS1_25partition_config_selectorILNS1_17partition_subalgoE3EjNS0_10empty_typeEbEEZZNS1_14partition_implILS8_3ELb0ES6_jNS0_17counting_iteratorIjlEEPS9_SE_NS0_5tupleIJPjSE_EEENSF_IJSE_SE_EEES9_SG_JZNS1_25segmented_radix_sort_implINS0_14default_configELb1EPK6__halfPSL_PKlPlN2at6native12_GLOBAL__N_18offset_tEEE10hipError_tPvRmT1_PNSt15iterator_traitsISZ_E10value_typeET2_T3_PNS10_IS15_E10value_typeET4_jRbjT5_S1B_jjP12ihipStream_tbEUljE_EEESW_SX_SY_S15_S19_S1B_T6_T7_T9_mT8_S1D_bDpT10_ENKUlT_T0_E_clISt17integral_constantIbLb0EES1P_IbLb1EEEEDaS1L_S1M_EUlS1L_E_NS1_11comp_targetILNS1_3genE4ELNS1_11target_archE910ELNS1_3gpuE8ELNS1_3repE0EEENS1_30default_config_static_selectorELNS0_4arch9wavefront6targetE1EEEvSZ_
		.amdhsa_group_segment_fixed_size 13324
		.amdhsa_private_segment_fixed_size 0
		.amdhsa_kernarg_size 152
		.amdhsa_user_sgpr_count 6
		.amdhsa_user_sgpr_private_segment_buffer 1
		.amdhsa_user_sgpr_dispatch_ptr 0
		.amdhsa_user_sgpr_queue_ptr 0
		.amdhsa_user_sgpr_kernarg_segment_ptr 1
		.amdhsa_user_sgpr_dispatch_id 0
		.amdhsa_user_sgpr_flat_scratch_init 0
		.amdhsa_user_sgpr_kernarg_preload_length 0
		.amdhsa_user_sgpr_kernarg_preload_offset 0
		.amdhsa_user_sgpr_private_segment_size 0
		.amdhsa_uses_dynamic_stack 0
		.amdhsa_system_sgpr_private_segment_wavefront_offset 0
		.amdhsa_system_sgpr_workgroup_id_x 1
		.amdhsa_system_sgpr_workgroup_id_y 0
		.amdhsa_system_sgpr_workgroup_id_z 0
		.amdhsa_system_sgpr_workgroup_info 0
		.amdhsa_system_vgpr_workitem_id 0
		.amdhsa_next_free_vgpr 64
		.amdhsa_next_free_sgpr 44
		.amdhsa_accum_offset 64
		.amdhsa_reserve_vcc 1
		.amdhsa_reserve_flat_scratch 0
		.amdhsa_float_round_mode_32 0
		.amdhsa_float_round_mode_16_64 0
		.amdhsa_float_denorm_mode_32 3
		.amdhsa_float_denorm_mode_16_64 3
		.amdhsa_dx10_clamp 1
		.amdhsa_ieee_mode 1
		.amdhsa_fp16_overflow 0
		.amdhsa_tg_split 0
		.amdhsa_exception_fp_ieee_invalid_op 0
		.amdhsa_exception_fp_denorm_src 0
		.amdhsa_exception_fp_ieee_div_zero 0
		.amdhsa_exception_fp_ieee_overflow 0
		.amdhsa_exception_fp_ieee_underflow 0
		.amdhsa_exception_fp_ieee_inexact 0
		.amdhsa_exception_int_div_zero 0
	.end_amdhsa_kernel
	.section	.text._ZN7rocprim17ROCPRIM_400000_NS6detail17trampoline_kernelINS0_13select_configILj256ELj13ELNS0_17block_load_methodE3ELS4_3ELS4_3ELNS0_20block_scan_algorithmE0ELj4294967295EEENS1_25partition_config_selectorILNS1_17partition_subalgoE3EjNS0_10empty_typeEbEEZZNS1_14partition_implILS8_3ELb0ES6_jNS0_17counting_iteratorIjlEEPS9_SE_NS0_5tupleIJPjSE_EEENSF_IJSE_SE_EEES9_SG_JZNS1_25segmented_radix_sort_implINS0_14default_configELb1EPK6__halfPSL_PKlPlN2at6native12_GLOBAL__N_18offset_tEEE10hipError_tPvRmT1_PNSt15iterator_traitsISZ_E10value_typeET2_T3_PNS10_IS15_E10value_typeET4_jRbjT5_S1B_jjP12ihipStream_tbEUljE_EEESW_SX_SY_S15_S19_S1B_T6_T7_T9_mT8_S1D_bDpT10_ENKUlT_T0_E_clISt17integral_constantIbLb0EES1P_IbLb1EEEEDaS1L_S1M_EUlS1L_E_NS1_11comp_targetILNS1_3genE4ELNS1_11target_archE910ELNS1_3gpuE8ELNS1_3repE0EEENS1_30default_config_static_selectorELNS0_4arch9wavefront6targetE1EEEvSZ_,"axG",@progbits,_ZN7rocprim17ROCPRIM_400000_NS6detail17trampoline_kernelINS0_13select_configILj256ELj13ELNS0_17block_load_methodE3ELS4_3ELS4_3ELNS0_20block_scan_algorithmE0ELj4294967295EEENS1_25partition_config_selectorILNS1_17partition_subalgoE3EjNS0_10empty_typeEbEEZZNS1_14partition_implILS8_3ELb0ES6_jNS0_17counting_iteratorIjlEEPS9_SE_NS0_5tupleIJPjSE_EEENSF_IJSE_SE_EEES9_SG_JZNS1_25segmented_radix_sort_implINS0_14default_configELb1EPK6__halfPSL_PKlPlN2at6native12_GLOBAL__N_18offset_tEEE10hipError_tPvRmT1_PNSt15iterator_traitsISZ_E10value_typeET2_T3_PNS10_IS15_E10value_typeET4_jRbjT5_S1B_jjP12ihipStream_tbEUljE_EEESW_SX_SY_S15_S19_S1B_T6_T7_T9_mT8_S1D_bDpT10_ENKUlT_T0_E_clISt17integral_constantIbLb0EES1P_IbLb1EEEEDaS1L_S1M_EUlS1L_E_NS1_11comp_targetILNS1_3genE4ELNS1_11target_archE910ELNS1_3gpuE8ELNS1_3repE0EEENS1_30default_config_static_selectorELNS0_4arch9wavefront6targetE1EEEvSZ_,comdat
.Lfunc_end1731:
	.size	_ZN7rocprim17ROCPRIM_400000_NS6detail17trampoline_kernelINS0_13select_configILj256ELj13ELNS0_17block_load_methodE3ELS4_3ELS4_3ELNS0_20block_scan_algorithmE0ELj4294967295EEENS1_25partition_config_selectorILNS1_17partition_subalgoE3EjNS0_10empty_typeEbEEZZNS1_14partition_implILS8_3ELb0ES6_jNS0_17counting_iteratorIjlEEPS9_SE_NS0_5tupleIJPjSE_EEENSF_IJSE_SE_EEES9_SG_JZNS1_25segmented_radix_sort_implINS0_14default_configELb1EPK6__halfPSL_PKlPlN2at6native12_GLOBAL__N_18offset_tEEE10hipError_tPvRmT1_PNSt15iterator_traitsISZ_E10value_typeET2_T3_PNS10_IS15_E10value_typeET4_jRbjT5_S1B_jjP12ihipStream_tbEUljE_EEESW_SX_SY_S15_S19_S1B_T6_T7_T9_mT8_S1D_bDpT10_ENKUlT_T0_E_clISt17integral_constantIbLb0EES1P_IbLb1EEEEDaS1L_S1M_EUlS1L_E_NS1_11comp_targetILNS1_3genE4ELNS1_11target_archE910ELNS1_3gpuE8ELNS1_3repE0EEENS1_30default_config_static_selectorELNS0_4arch9wavefront6targetE1EEEvSZ_, .Lfunc_end1731-_ZN7rocprim17ROCPRIM_400000_NS6detail17trampoline_kernelINS0_13select_configILj256ELj13ELNS0_17block_load_methodE3ELS4_3ELS4_3ELNS0_20block_scan_algorithmE0ELj4294967295EEENS1_25partition_config_selectorILNS1_17partition_subalgoE3EjNS0_10empty_typeEbEEZZNS1_14partition_implILS8_3ELb0ES6_jNS0_17counting_iteratorIjlEEPS9_SE_NS0_5tupleIJPjSE_EEENSF_IJSE_SE_EEES9_SG_JZNS1_25segmented_radix_sort_implINS0_14default_configELb1EPK6__halfPSL_PKlPlN2at6native12_GLOBAL__N_18offset_tEEE10hipError_tPvRmT1_PNSt15iterator_traitsISZ_E10value_typeET2_T3_PNS10_IS15_E10value_typeET4_jRbjT5_S1B_jjP12ihipStream_tbEUljE_EEESW_SX_SY_S15_S19_S1B_T6_T7_T9_mT8_S1D_bDpT10_ENKUlT_T0_E_clISt17integral_constantIbLb0EES1P_IbLb1EEEEDaS1L_S1M_EUlS1L_E_NS1_11comp_targetILNS1_3genE4ELNS1_11target_archE910ELNS1_3gpuE8ELNS1_3repE0EEENS1_30default_config_static_selectorELNS0_4arch9wavefront6targetE1EEEvSZ_
                                        ; -- End function
	.section	.AMDGPU.csdata,"",@progbits
; Kernel info:
; codeLenInByte = 7816
; NumSgprs: 48
; NumVgprs: 64
; NumAgprs: 0
; TotalNumVgprs: 64
; ScratchSize: 0
; MemoryBound: 0
; FloatMode: 240
; IeeeMode: 1
; LDSByteSize: 13324 bytes/workgroup (compile time only)
; SGPRBlocks: 5
; VGPRBlocks: 7
; NumSGPRsForWavesPerEU: 48
; NumVGPRsForWavesPerEU: 64
; AccumOffset: 64
; Occupancy: 4
; WaveLimiterHint : 0
; COMPUTE_PGM_RSRC2:SCRATCH_EN: 0
; COMPUTE_PGM_RSRC2:USER_SGPR: 6
; COMPUTE_PGM_RSRC2:TRAP_HANDLER: 0
; COMPUTE_PGM_RSRC2:TGID_X_EN: 1
; COMPUTE_PGM_RSRC2:TGID_Y_EN: 0
; COMPUTE_PGM_RSRC2:TGID_Z_EN: 0
; COMPUTE_PGM_RSRC2:TIDIG_COMP_CNT: 0
; COMPUTE_PGM_RSRC3_GFX90A:ACCUM_OFFSET: 15
; COMPUTE_PGM_RSRC3_GFX90A:TG_SPLIT: 0
	.section	.text._ZN7rocprim17ROCPRIM_400000_NS6detail17trampoline_kernelINS0_13select_configILj256ELj13ELNS0_17block_load_methodE3ELS4_3ELS4_3ELNS0_20block_scan_algorithmE0ELj4294967295EEENS1_25partition_config_selectorILNS1_17partition_subalgoE3EjNS0_10empty_typeEbEEZZNS1_14partition_implILS8_3ELb0ES6_jNS0_17counting_iteratorIjlEEPS9_SE_NS0_5tupleIJPjSE_EEENSF_IJSE_SE_EEES9_SG_JZNS1_25segmented_radix_sort_implINS0_14default_configELb1EPK6__halfPSL_PKlPlN2at6native12_GLOBAL__N_18offset_tEEE10hipError_tPvRmT1_PNSt15iterator_traitsISZ_E10value_typeET2_T3_PNS10_IS15_E10value_typeET4_jRbjT5_S1B_jjP12ihipStream_tbEUljE_EEESW_SX_SY_S15_S19_S1B_T6_T7_T9_mT8_S1D_bDpT10_ENKUlT_T0_E_clISt17integral_constantIbLb0EES1P_IbLb1EEEEDaS1L_S1M_EUlS1L_E_NS1_11comp_targetILNS1_3genE3ELNS1_11target_archE908ELNS1_3gpuE7ELNS1_3repE0EEENS1_30default_config_static_selectorELNS0_4arch9wavefront6targetE1EEEvSZ_,"axG",@progbits,_ZN7rocprim17ROCPRIM_400000_NS6detail17trampoline_kernelINS0_13select_configILj256ELj13ELNS0_17block_load_methodE3ELS4_3ELS4_3ELNS0_20block_scan_algorithmE0ELj4294967295EEENS1_25partition_config_selectorILNS1_17partition_subalgoE3EjNS0_10empty_typeEbEEZZNS1_14partition_implILS8_3ELb0ES6_jNS0_17counting_iteratorIjlEEPS9_SE_NS0_5tupleIJPjSE_EEENSF_IJSE_SE_EEES9_SG_JZNS1_25segmented_radix_sort_implINS0_14default_configELb1EPK6__halfPSL_PKlPlN2at6native12_GLOBAL__N_18offset_tEEE10hipError_tPvRmT1_PNSt15iterator_traitsISZ_E10value_typeET2_T3_PNS10_IS15_E10value_typeET4_jRbjT5_S1B_jjP12ihipStream_tbEUljE_EEESW_SX_SY_S15_S19_S1B_T6_T7_T9_mT8_S1D_bDpT10_ENKUlT_T0_E_clISt17integral_constantIbLb0EES1P_IbLb1EEEEDaS1L_S1M_EUlS1L_E_NS1_11comp_targetILNS1_3genE3ELNS1_11target_archE908ELNS1_3gpuE7ELNS1_3repE0EEENS1_30default_config_static_selectorELNS0_4arch9wavefront6targetE1EEEvSZ_,comdat
	.globl	_ZN7rocprim17ROCPRIM_400000_NS6detail17trampoline_kernelINS0_13select_configILj256ELj13ELNS0_17block_load_methodE3ELS4_3ELS4_3ELNS0_20block_scan_algorithmE0ELj4294967295EEENS1_25partition_config_selectorILNS1_17partition_subalgoE3EjNS0_10empty_typeEbEEZZNS1_14partition_implILS8_3ELb0ES6_jNS0_17counting_iteratorIjlEEPS9_SE_NS0_5tupleIJPjSE_EEENSF_IJSE_SE_EEES9_SG_JZNS1_25segmented_radix_sort_implINS0_14default_configELb1EPK6__halfPSL_PKlPlN2at6native12_GLOBAL__N_18offset_tEEE10hipError_tPvRmT1_PNSt15iterator_traitsISZ_E10value_typeET2_T3_PNS10_IS15_E10value_typeET4_jRbjT5_S1B_jjP12ihipStream_tbEUljE_EEESW_SX_SY_S15_S19_S1B_T6_T7_T9_mT8_S1D_bDpT10_ENKUlT_T0_E_clISt17integral_constantIbLb0EES1P_IbLb1EEEEDaS1L_S1M_EUlS1L_E_NS1_11comp_targetILNS1_3genE3ELNS1_11target_archE908ELNS1_3gpuE7ELNS1_3repE0EEENS1_30default_config_static_selectorELNS0_4arch9wavefront6targetE1EEEvSZ_ ; -- Begin function _ZN7rocprim17ROCPRIM_400000_NS6detail17trampoline_kernelINS0_13select_configILj256ELj13ELNS0_17block_load_methodE3ELS4_3ELS4_3ELNS0_20block_scan_algorithmE0ELj4294967295EEENS1_25partition_config_selectorILNS1_17partition_subalgoE3EjNS0_10empty_typeEbEEZZNS1_14partition_implILS8_3ELb0ES6_jNS0_17counting_iteratorIjlEEPS9_SE_NS0_5tupleIJPjSE_EEENSF_IJSE_SE_EEES9_SG_JZNS1_25segmented_radix_sort_implINS0_14default_configELb1EPK6__halfPSL_PKlPlN2at6native12_GLOBAL__N_18offset_tEEE10hipError_tPvRmT1_PNSt15iterator_traitsISZ_E10value_typeET2_T3_PNS10_IS15_E10value_typeET4_jRbjT5_S1B_jjP12ihipStream_tbEUljE_EEESW_SX_SY_S15_S19_S1B_T6_T7_T9_mT8_S1D_bDpT10_ENKUlT_T0_E_clISt17integral_constantIbLb0EES1P_IbLb1EEEEDaS1L_S1M_EUlS1L_E_NS1_11comp_targetILNS1_3genE3ELNS1_11target_archE908ELNS1_3gpuE7ELNS1_3repE0EEENS1_30default_config_static_selectorELNS0_4arch9wavefront6targetE1EEEvSZ_
	.p2align	8
	.type	_ZN7rocprim17ROCPRIM_400000_NS6detail17trampoline_kernelINS0_13select_configILj256ELj13ELNS0_17block_load_methodE3ELS4_3ELS4_3ELNS0_20block_scan_algorithmE0ELj4294967295EEENS1_25partition_config_selectorILNS1_17partition_subalgoE3EjNS0_10empty_typeEbEEZZNS1_14partition_implILS8_3ELb0ES6_jNS0_17counting_iteratorIjlEEPS9_SE_NS0_5tupleIJPjSE_EEENSF_IJSE_SE_EEES9_SG_JZNS1_25segmented_radix_sort_implINS0_14default_configELb1EPK6__halfPSL_PKlPlN2at6native12_GLOBAL__N_18offset_tEEE10hipError_tPvRmT1_PNSt15iterator_traitsISZ_E10value_typeET2_T3_PNS10_IS15_E10value_typeET4_jRbjT5_S1B_jjP12ihipStream_tbEUljE_EEESW_SX_SY_S15_S19_S1B_T6_T7_T9_mT8_S1D_bDpT10_ENKUlT_T0_E_clISt17integral_constantIbLb0EES1P_IbLb1EEEEDaS1L_S1M_EUlS1L_E_NS1_11comp_targetILNS1_3genE3ELNS1_11target_archE908ELNS1_3gpuE7ELNS1_3repE0EEENS1_30default_config_static_selectorELNS0_4arch9wavefront6targetE1EEEvSZ_,@function
_ZN7rocprim17ROCPRIM_400000_NS6detail17trampoline_kernelINS0_13select_configILj256ELj13ELNS0_17block_load_methodE3ELS4_3ELS4_3ELNS0_20block_scan_algorithmE0ELj4294967295EEENS1_25partition_config_selectorILNS1_17partition_subalgoE3EjNS0_10empty_typeEbEEZZNS1_14partition_implILS8_3ELb0ES6_jNS0_17counting_iteratorIjlEEPS9_SE_NS0_5tupleIJPjSE_EEENSF_IJSE_SE_EEES9_SG_JZNS1_25segmented_radix_sort_implINS0_14default_configELb1EPK6__halfPSL_PKlPlN2at6native12_GLOBAL__N_18offset_tEEE10hipError_tPvRmT1_PNSt15iterator_traitsISZ_E10value_typeET2_T3_PNS10_IS15_E10value_typeET4_jRbjT5_S1B_jjP12ihipStream_tbEUljE_EEESW_SX_SY_S15_S19_S1B_T6_T7_T9_mT8_S1D_bDpT10_ENKUlT_T0_E_clISt17integral_constantIbLb0EES1P_IbLb1EEEEDaS1L_S1M_EUlS1L_E_NS1_11comp_targetILNS1_3genE3ELNS1_11target_archE908ELNS1_3gpuE7ELNS1_3repE0EEENS1_30default_config_static_selectorELNS0_4arch9wavefront6targetE1EEEvSZ_: ; @_ZN7rocprim17ROCPRIM_400000_NS6detail17trampoline_kernelINS0_13select_configILj256ELj13ELNS0_17block_load_methodE3ELS4_3ELS4_3ELNS0_20block_scan_algorithmE0ELj4294967295EEENS1_25partition_config_selectorILNS1_17partition_subalgoE3EjNS0_10empty_typeEbEEZZNS1_14partition_implILS8_3ELb0ES6_jNS0_17counting_iteratorIjlEEPS9_SE_NS0_5tupleIJPjSE_EEENSF_IJSE_SE_EEES9_SG_JZNS1_25segmented_radix_sort_implINS0_14default_configELb1EPK6__halfPSL_PKlPlN2at6native12_GLOBAL__N_18offset_tEEE10hipError_tPvRmT1_PNSt15iterator_traitsISZ_E10value_typeET2_T3_PNS10_IS15_E10value_typeET4_jRbjT5_S1B_jjP12ihipStream_tbEUljE_EEESW_SX_SY_S15_S19_S1B_T6_T7_T9_mT8_S1D_bDpT10_ENKUlT_T0_E_clISt17integral_constantIbLb0EES1P_IbLb1EEEEDaS1L_S1M_EUlS1L_E_NS1_11comp_targetILNS1_3genE3ELNS1_11target_archE908ELNS1_3gpuE7ELNS1_3repE0EEENS1_30default_config_static_selectorELNS0_4arch9wavefront6targetE1EEEvSZ_
; %bb.0:
	.section	.rodata,"a",@progbits
	.p2align	6, 0x0
	.amdhsa_kernel _ZN7rocprim17ROCPRIM_400000_NS6detail17trampoline_kernelINS0_13select_configILj256ELj13ELNS0_17block_load_methodE3ELS4_3ELS4_3ELNS0_20block_scan_algorithmE0ELj4294967295EEENS1_25partition_config_selectorILNS1_17partition_subalgoE3EjNS0_10empty_typeEbEEZZNS1_14partition_implILS8_3ELb0ES6_jNS0_17counting_iteratorIjlEEPS9_SE_NS0_5tupleIJPjSE_EEENSF_IJSE_SE_EEES9_SG_JZNS1_25segmented_radix_sort_implINS0_14default_configELb1EPK6__halfPSL_PKlPlN2at6native12_GLOBAL__N_18offset_tEEE10hipError_tPvRmT1_PNSt15iterator_traitsISZ_E10value_typeET2_T3_PNS10_IS15_E10value_typeET4_jRbjT5_S1B_jjP12ihipStream_tbEUljE_EEESW_SX_SY_S15_S19_S1B_T6_T7_T9_mT8_S1D_bDpT10_ENKUlT_T0_E_clISt17integral_constantIbLb0EES1P_IbLb1EEEEDaS1L_S1M_EUlS1L_E_NS1_11comp_targetILNS1_3genE3ELNS1_11target_archE908ELNS1_3gpuE7ELNS1_3repE0EEENS1_30default_config_static_selectorELNS0_4arch9wavefront6targetE1EEEvSZ_
		.amdhsa_group_segment_fixed_size 0
		.amdhsa_private_segment_fixed_size 0
		.amdhsa_kernarg_size 152
		.amdhsa_user_sgpr_count 6
		.amdhsa_user_sgpr_private_segment_buffer 1
		.amdhsa_user_sgpr_dispatch_ptr 0
		.amdhsa_user_sgpr_queue_ptr 0
		.amdhsa_user_sgpr_kernarg_segment_ptr 1
		.amdhsa_user_sgpr_dispatch_id 0
		.amdhsa_user_sgpr_flat_scratch_init 0
		.amdhsa_user_sgpr_kernarg_preload_length 0
		.amdhsa_user_sgpr_kernarg_preload_offset 0
		.amdhsa_user_sgpr_private_segment_size 0
		.amdhsa_uses_dynamic_stack 0
		.amdhsa_system_sgpr_private_segment_wavefront_offset 0
		.amdhsa_system_sgpr_workgroup_id_x 1
		.amdhsa_system_sgpr_workgroup_id_y 0
		.amdhsa_system_sgpr_workgroup_id_z 0
		.amdhsa_system_sgpr_workgroup_info 0
		.amdhsa_system_vgpr_workitem_id 0
		.amdhsa_next_free_vgpr 1
		.amdhsa_next_free_sgpr 0
		.amdhsa_accum_offset 4
		.amdhsa_reserve_vcc 0
		.amdhsa_reserve_flat_scratch 0
		.amdhsa_float_round_mode_32 0
		.amdhsa_float_round_mode_16_64 0
		.amdhsa_float_denorm_mode_32 3
		.amdhsa_float_denorm_mode_16_64 3
		.amdhsa_dx10_clamp 1
		.amdhsa_ieee_mode 1
		.amdhsa_fp16_overflow 0
		.amdhsa_tg_split 0
		.amdhsa_exception_fp_ieee_invalid_op 0
		.amdhsa_exception_fp_denorm_src 0
		.amdhsa_exception_fp_ieee_div_zero 0
		.amdhsa_exception_fp_ieee_overflow 0
		.amdhsa_exception_fp_ieee_underflow 0
		.amdhsa_exception_fp_ieee_inexact 0
		.amdhsa_exception_int_div_zero 0
	.end_amdhsa_kernel
	.section	.text._ZN7rocprim17ROCPRIM_400000_NS6detail17trampoline_kernelINS0_13select_configILj256ELj13ELNS0_17block_load_methodE3ELS4_3ELS4_3ELNS0_20block_scan_algorithmE0ELj4294967295EEENS1_25partition_config_selectorILNS1_17partition_subalgoE3EjNS0_10empty_typeEbEEZZNS1_14partition_implILS8_3ELb0ES6_jNS0_17counting_iteratorIjlEEPS9_SE_NS0_5tupleIJPjSE_EEENSF_IJSE_SE_EEES9_SG_JZNS1_25segmented_radix_sort_implINS0_14default_configELb1EPK6__halfPSL_PKlPlN2at6native12_GLOBAL__N_18offset_tEEE10hipError_tPvRmT1_PNSt15iterator_traitsISZ_E10value_typeET2_T3_PNS10_IS15_E10value_typeET4_jRbjT5_S1B_jjP12ihipStream_tbEUljE_EEESW_SX_SY_S15_S19_S1B_T6_T7_T9_mT8_S1D_bDpT10_ENKUlT_T0_E_clISt17integral_constantIbLb0EES1P_IbLb1EEEEDaS1L_S1M_EUlS1L_E_NS1_11comp_targetILNS1_3genE3ELNS1_11target_archE908ELNS1_3gpuE7ELNS1_3repE0EEENS1_30default_config_static_selectorELNS0_4arch9wavefront6targetE1EEEvSZ_,"axG",@progbits,_ZN7rocprim17ROCPRIM_400000_NS6detail17trampoline_kernelINS0_13select_configILj256ELj13ELNS0_17block_load_methodE3ELS4_3ELS4_3ELNS0_20block_scan_algorithmE0ELj4294967295EEENS1_25partition_config_selectorILNS1_17partition_subalgoE3EjNS0_10empty_typeEbEEZZNS1_14partition_implILS8_3ELb0ES6_jNS0_17counting_iteratorIjlEEPS9_SE_NS0_5tupleIJPjSE_EEENSF_IJSE_SE_EEES9_SG_JZNS1_25segmented_radix_sort_implINS0_14default_configELb1EPK6__halfPSL_PKlPlN2at6native12_GLOBAL__N_18offset_tEEE10hipError_tPvRmT1_PNSt15iterator_traitsISZ_E10value_typeET2_T3_PNS10_IS15_E10value_typeET4_jRbjT5_S1B_jjP12ihipStream_tbEUljE_EEESW_SX_SY_S15_S19_S1B_T6_T7_T9_mT8_S1D_bDpT10_ENKUlT_T0_E_clISt17integral_constantIbLb0EES1P_IbLb1EEEEDaS1L_S1M_EUlS1L_E_NS1_11comp_targetILNS1_3genE3ELNS1_11target_archE908ELNS1_3gpuE7ELNS1_3repE0EEENS1_30default_config_static_selectorELNS0_4arch9wavefront6targetE1EEEvSZ_,comdat
.Lfunc_end1732:
	.size	_ZN7rocprim17ROCPRIM_400000_NS6detail17trampoline_kernelINS0_13select_configILj256ELj13ELNS0_17block_load_methodE3ELS4_3ELS4_3ELNS0_20block_scan_algorithmE0ELj4294967295EEENS1_25partition_config_selectorILNS1_17partition_subalgoE3EjNS0_10empty_typeEbEEZZNS1_14partition_implILS8_3ELb0ES6_jNS0_17counting_iteratorIjlEEPS9_SE_NS0_5tupleIJPjSE_EEENSF_IJSE_SE_EEES9_SG_JZNS1_25segmented_radix_sort_implINS0_14default_configELb1EPK6__halfPSL_PKlPlN2at6native12_GLOBAL__N_18offset_tEEE10hipError_tPvRmT1_PNSt15iterator_traitsISZ_E10value_typeET2_T3_PNS10_IS15_E10value_typeET4_jRbjT5_S1B_jjP12ihipStream_tbEUljE_EEESW_SX_SY_S15_S19_S1B_T6_T7_T9_mT8_S1D_bDpT10_ENKUlT_T0_E_clISt17integral_constantIbLb0EES1P_IbLb1EEEEDaS1L_S1M_EUlS1L_E_NS1_11comp_targetILNS1_3genE3ELNS1_11target_archE908ELNS1_3gpuE7ELNS1_3repE0EEENS1_30default_config_static_selectorELNS0_4arch9wavefront6targetE1EEEvSZ_, .Lfunc_end1732-_ZN7rocprim17ROCPRIM_400000_NS6detail17trampoline_kernelINS0_13select_configILj256ELj13ELNS0_17block_load_methodE3ELS4_3ELS4_3ELNS0_20block_scan_algorithmE0ELj4294967295EEENS1_25partition_config_selectorILNS1_17partition_subalgoE3EjNS0_10empty_typeEbEEZZNS1_14partition_implILS8_3ELb0ES6_jNS0_17counting_iteratorIjlEEPS9_SE_NS0_5tupleIJPjSE_EEENSF_IJSE_SE_EEES9_SG_JZNS1_25segmented_radix_sort_implINS0_14default_configELb1EPK6__halfPSL_PKlPlN2at6native12_GLOBAL__N_18offset_tEEE10hipError_tPvRmT1_PNSt15iterator_traitsISZ_E10value_typeET2_T3_PNS10_IS15_E10value_typeET4_jRbjT5_S1B_jjP12ihipStream_tbEUljE_EEESW_SX_SY_S15_S19_S1B_T6_T7_T9_mT8_S1D_bDpT10_ENKUlT_T0_E_clISt17integral_constantIbLb0EES1P_IbLb1EEEEDaS1L_S1M_EUlS1L_E_NS1_11comp_targetILNS1_3genE3ELNS1_11target_archE908ELNS1_3gpuE7ELNS1_3repE0EEENS1_30default_config_static_selectorELNS0_4arch9wavefront6targetE1EEEvSZ_
                                        ; -- End function
	.section	.AMDGPU.csdata,"",@progbits
; Kernel info:
; codeLenInByte = 0
; NumSgprs: 4
; NumVgprs: 0
; NumAgprs: 0
; TotalNumVgprs: 0
; ScratchSize: 0
; MemoryBound: 0
; FloatMode: 240
; IeeeMode: 1
; LDSByteSize: 0 bytes/workgroup (compile time only)
; SGPRBlocks: 0
; VGPRBlocks: 0
; NumSGPRsForWavesPerEU: 4
; NumVGPRsForWavesPerEU: 1
; AccumOffset: 4
; Occupancy: 8
; WaveLimiterHint : 0
; COMPUTE_PGM_RSRC2:SCRATCH_EN: 0
; COMPUTE_PGM_RSRC2:USER_SGPR: 6
; COMPUTE_PGM_RSRC2:TRAP_HANDLER: 0
; COMPUTE_PGM_RSRC2:TGID_X_EN: 1
; COMPUTE_PGM_RSRC2:TGID_Y_EN: 0
; COMPUTE_PGM_RSRC2:TGID_Z_EN: 0
; COMPUTE_PGM_RSRC2:TIDIG_COMP_CNT: 0
; COMPUTE_PGM_RSRC3_GFX90A:ACCUM_OFFSET: 0
; COMPUTE_PGM_RSRC3_GFX90A:TG_SPLIT: 0
	.section	.text._ZN7rocprim17ROCPRIM_400000_NS6detail17trampoline_kernelINS0_13select_configILj256ELj13ELNS0_17block_load_methodE3ELS4_3ELS4_3ELNS0_20block_scan_algorithmE0ELj4294967295EEENS1_25partition_config_selectorILNS1_17partition_subalgoE3EjNS0_10empty_typeEbEEZZNS1_14partition_implILS8_3ELb0ES6_jNS0_17counting_iteratorIjlEEPS9_SE_NS0_5tupleIJPjSE_EEENSF_IJSE_SE_EEES9_SG_JZNS1_25segmented_radix_sort_implINS0_14default_configELb1EPK6__halfPSL_PKlPlN2at6native12_GLOBAL__N_18offset_tEEE10hipError_tPvRmT1_PNSt15iterator_traitsISZ_E10value_typeET2_T3_PNS10_IS15_E10value_typeET4_jRbjT5_S1B_jjP12ihipStream_tbEUljE_EEESW_SX_SY_S15_S19_S1B_T6_T7_T9_mT8_S1D_bDpT10_ENKUlT_T0_E_clISt17integral_constantIbLb0EES1P_IbLb1EEEEDaS1L_S1M_EUlS1L_E_NS1_11comp_targetILNS1_3genE2ELNS1_11target_archE906ELNS1_3gpuE6ELNS1_3repE0EEENS1_30default_config_static_selectorELNS0_4arch9wavefront6targetE1EEEvSZ_,"axG",@progbits,_ZN7rocprim17ROCPRIM_400000_NS6detail17trampoline_kernelINS0_13select_configILj256ELj13ELNS0_17block_load_methodE3ELS4_3ELS4_3ELNS0_20block_scan_algorithmE0ELj4294967295EEENS1_25partition_config_selectorILNS1_17partition_subalgoE3EjNS0_10empty_typeEbEEZZNS1_14partition_implILS8_3ELb0ES6_jNS0_17counting_iteratorIjlEEPS9_SE_NS0_5tupleIJPjSE_EEENSF_IJSE_SE_EEES9_SG_JZNS1_25segmented_radix_sort_implINS0_14default_configELb1EPK6__halfPSL_PKlPlN2at6native12_GLOBAL__N_18offset_tEEE10hipError_tPvRmT1_PNSt15iterator_traitsISZ_E10value_typeET2_T3_PNS10_IS15_E10value_typeET4_jRbjT5_S1B_jjP12ihipStream_tbEUljE_EEESW_SX_SY_S15_S19_S1B_T6_T7_T9_mT8_S1D_bDpT10_ENKUlT_T0_E_clISt17integral_constantIbLb0EES1P_IbLb1EEEEDaS1L_S1M_EUlS1L_E_NS1_11comp_targetILNS1_3genE2ELNS1_11target_archE906ELNS1_3gpuE6ELNS1_3repE0EEENS1_30default_config_static_selectorELNS0_4arch9wavefront6targetE1EEEvSZ_,comdat
	.globl	_ZN7rocprim17ROCPRIM_400000_NS6detail17trampoline_kernelINS0_13select_configILj256ELj13ELNS0_17block_load_methodE3ELS4_3ELS4_3ELNS0_20block_scan_algorithmE0ELj4294967295EEENS1_25partition_config_selectorILNS1_17partition_subalgoE3EjNS0_10empty_typeEbEEZZNS1_14partition_implILS8_3ELb0ES6_jNS0_17counting_iteratorIjlEEPS9_SE_NS0_5tupleIJPjSE_EEENSF_IJSE_SE_EEES9_SG_JZNS1_25segmented_radix_sort_implINS0_14default_configELb1EPK6__halfPSL_PKlPlN2at6native12_GLOBAL__N_18offset_tEEE10hipError_tPvRmT1_PNSt15iterator_traitsISZ_E10value_typeET2_T3_PNS10_IS15_E10value_typeET4_jRbjT5_S1B_jjP12ihipStream_tbEUljE_EEESW_SX_SY_S15_S19_S1B_T6_T7_T9_mT8_S1D_bDpT10_ENKUlT_T0_E_clISt17integral_constantIbLb0EES1P_IbLb1EEEEDaS1L_S1M_EUlS1L_E_NS1_11comp_targetILNS1_3genE2ELNS1_11target_archE906ELNS1_3gpuE6ELNS1_3repE0EEENS1_30default_config_static_selectorELNS0_4arch9wavefront6targetE1EEEvSZ_ ; -- Begin function _ZN7rocprim17ROCPRIM_400000_NS6detail17trampoline_kernelINS0_13select_configILj256ELj13ELNS0_17block_load_methodE3ELS4_3ELS4_3ELNS0_20block_scan_algorithmE0ELj4294967295EEENS1_25partition_config_selectorILNS1_17partition_subalgoE3EjNS0_10empty_typeEbEEZZNS1_14partition_implILS8_3ELb0ES6_jNS0_17counting_iteratorIjlEEPS9_SE_NS0_5tupleIJPjSE_EEENSF_IJSE_SE_EEES9_SG_JZNS1_25segmented_radix_sort_implINS0_14default_configELb1EPK6__halfPSL_PKlPlN2at6native12_GLOBAL__N_18offset_tEEE10hipError_tPvRmT1_PNSt15iterator_traitsISZ_E10value_typeET2_T3_PNS10_IS15_E10value_typeET4_jRbjT5_S1B_jjP12ihipStream_tbEUljE_EEESW_SX_SY_S15_S19_S1B_T6_T7_T9_mT8_S1D_bDpT10_ENKUlT_T0_E_clISt17integral_constantIbLb0EES1P_IbLb1EEEEDaS1L_S1M_EUlS1L_E_NS1_11comp_targetILNS1_3genE2ELNS1_11target_archE906ELNS1_3gpuE6ELNS1_3repE0EEENS1_30default_config_static_selectorELNS0_4arch9wavefront6targetE1EEEvSZ_
	.p2align	8
	.type	_ZN7rocprim17ROCPRIM_400000_NS6detail17trampoline_kernelINS0_13select_configILj256ELj13ELNS0_17block_load_methodE3ELS4_3ELS4_3ELNS0_20block_scan_algorithmE0ELj4294967295EEENS1_25partition_config_selectorILNS1_17partition_subalgoE3EjNS0_10empty_typeEbEEZZNS1_14partition_implILS8_3ELb0ES6_jNS0_17counting_iteratorIjlEEPS9_SE_NS0_5tupleIJPjSE_EEENSF_IJSE_SE_EEES9_SG_JZNS1_25segmented_radix_sort_implINS0_14default_configELb1EPK6__halfPSL_PKlPlN2at6native12_GLOBAL__N_18offset_tEEE10hipError_tPvRmT1_PNSt15iterator_traitsISZ_E10value_typeET2_T3_PNS10_IS15_E10value_typeET4_jRbjT5_S1B_jjP12ihipStream_tbEUljE_EEESW_SX_SY_S15_S19_S1B_T6_T7_T9_mT8_S1D_bDpT10_ENKUlT_T0_E_clISt17integral_constantIbLb0EES1P_IbLb1EEEEDaS1L_S1M_EUlS1L_E_NS1_11comp_targetILNS1_3genE2ELNS1_11target_archE906ELNS1_3gpuE6ELNS1_3repE0EEENS1_30default_config_static_selectorELNS0_4arch9wavefront6targetE1EEEvSZ_,@function
_ZN7rocprim17ROCPRIM_400000_NS6detail17trampoline_kernelINS0_13select_configILj256ELj13ELNS0_17block_load_methodE3ELS4_3ELS4_3ELNS0_20block_scan_algorithmE0ELj4294967295EEENS1_25partition_config_selectorILNS1_17partition_subalgoE3EjNS0_10empty_typeEbEEZZNS1_14partition_implILS8_3ELb0ES6_jNS0_17counting_iteratorIjlEEPS9_SE_NS0_5tupleIJPjSE_EEENSF_IJSE_SE_EEES9_SG_JZNS1_25segmented_radix_sort_implINS0_14default_configELb1EPK6__halfPSL_PKlPlN2at6native12_GLOBAL__N_18offset_tEEE10hipError_tPvRmT1_PNSt15iterator_traitsISZ_E10value_typeET2_T3_PNS10_IS15_E10value_typeET4_jRbjT5_S1B_jjP12ihipStream_tbEUljE_EEESW_SX_SY_S15_S19_S1B_T6_T7_T9_mT8_S1D_bDpT10_ENKUlT_T0_E_clISt17integral_constantIbLb0EES1P_IbLb1EEEEDaS1L_S1M_EUlS1L_E_NS1_11comp_targetILNS1_3genE2ELNS1_11target_archE906ELNS1_3gpuE6ELNS1_3repE0EEENS1_30default_config_static_selectorELNS0_4arch9wavefront6targetE1EEEvSZ_: ; @_ZN7rocprim17ROCPRIM_400000_NS6detail17trampoline_kernelINS0_13select_configILj256ELj13ELNS0_17block_load_methodE3ELS4_3ELS4_3ELNS0_20block_scan_algorithmE0ELj4294967295EEENS1_25partition_config_selectorILNS1_17partition_subalgoE3EjNS0_10empty_typeEbEEZZNS1_14partition_implILS8_3ELb0ES6_jNS0_17counting_iteratorIjlEEPS9_SE_NS0_5tupleIJPjSE_EEENSF_IJSE_SE_EEES9_SG_JZNS1_25segmented_radix_sort_implINS0_14default_configELb1EPK6__halfPSL_PKlPlN2at6native12_GLOBAL__N_18offset_tEEE10hipError_tPvRmT1_PNSt15iterator_traitsISZ_E10value_typeET2_T3_PNS10_IS15_E10value_typeET4_jRbjT5_S1B_jjP12ihipStream_tbEUljE_EEESW_SX_SY_S15_S19_S1B_T6_T7_T9_mT8_S1D_bDpT10_ENKUlT_T0_E_clISt17integral_constantIbLb0EES1P_IbLb1EEEEDaS1L_S1M_EUlS1L_E_NS1_11comp_targetILNS1_3genE2ELNS1_11target_archE906ELNS1_3gpuE6ELNS1_3repE0EEENS1_30default_config_static_selectorELNS0_4arch9wavefront6targetE1EEEvSZ_
; %bb.0:
	.section	.rodata,"a",@progbits
	.p2align	6, 0x0
	.amdhsa_kernel _ZN7rocprim17ROCPRIM_400000_NS6detail17trampoline_kernelINS0_13select_configILj256ELj13ELNS0_17block_load_methodE3ELS4_3ELS4_3ELNS0_20block_scan_algorithmE0ELj4294967295EEENS1_25partition_config_selectorILNS1_17partition_subalgoE3EjNS0_10empty_typeEbEEZZNS1_14partition_implILS8_3ELb0ES6_jNS0_17counting_iteratorIjlEEPS9_SE_NS0_5tupleIJPjSE_EEENSF_IJSE_SE_EEES9_SG_JZNS1_25segmented_radix_sort_implINS0_14default_configELb1EPK6__halfPSL_PKlPlN2at6native12_GLOBAL__N_18offset_tEEE10hipError_tPvRmT1_PNSt15iterator_traitsISZ_E10value_typeET2_T3_PNS10_IS15_E10value_typeET4_jRbjT5_S1B_jjP12ihipStream_tbEUljE_EEESW_SX_SY_S15_S19_S1B_T6_T7_T9_mT8_S1D_bDpT10_ENKUlT_T0_E_clISt17integral_constantIbLb0EES1P_IbLb1EEEEDaS1L_S1M_EUlS1L_E_NS1_11comp_targetILNS1_3genE2ELNS1_11target_archE906ELNS1_3gpuE6ELNS1_3repE0EEENS1_30default_config_static_selectorELNS0_4arch9wavefront6targetE1EEEvSZ_
		.amdhsa_group_segment_fixed_size 0
		.amdhsa_private_segment_fixed_size 0
		.amdhsa_kernarg_size 152
		.amdhsa_user_sgpr_count 6
		.amdhsa_user_sgpr_private_segment_buffer 1
		.amdhsa_user_sgpr_dispatch_ptr 0
		.amdhsa_user_sgpr_queue_ptr 0
		.amdhsa_user_sgpr_kernarg_segment_ptr 1
		.amdhsa_user_sgpr_dispatch_id 0
		.amdhsa_user_sgpr_flat_scratch_init 0
		.amdhsa_user_sgpr_kernarg_preload_length 0
		.amdhsa_user_sgpr_kernarg_preload_offset 0
		.amdhsa_user_sgpr_private_segment_size 0
		.amdhsa_uses_dynamic_stack 0
		.amdhsa_system_sgpr_private_segment_wavefront_offset 0
		.amdhsa_system_sgpr_workgroup_id_x 1
		.amdhsa_system_sgpr_workgroup_id_y 0
		.amdhsa_system_sgpr_workgroup_id_z 0
		.amdhsa_system_sgpr_workgroup_info 0
		.amdhsa_system_vgpr_workitem_id 0
		.amdhsa_next_free_vgpr 1
		.amdhsa_next_free_sgpr 0
		.amdhsa_accum_offset 4
		.amdhsa_reserve_vcc 0
		.amdhsa_reserve_flat_scratch 0
		.amdhsa_float_round_mode_32 0
		.amdhsa_float_round_mode_16_64 0
		.amdhsa_float_denorm_mode_32 3
		.amdhsa_float_denorm_mode_16_64 3
		.amdhsa_dx10_clamp 1
		.amdhsa_ieee_mode 1
		.amdhsa_fp16_overflow 0
		.amdhsa_tg_split 0
		.amdhsa_exception_fp_ieee_invalid_op 0
		.amdhsa_exception_fp_denorm_src 0
		.amdhsa_exception_fp_ieee_div_zero 0
		.amdhsa_exception_fp_ieee_overflow 0
		.amdhsa_exception_fp_ieee_underflow 0
		.amdhsa_exception_fp_ieee_inexact 0
		.amdhsa_exception_int_div_zero 0
	.end_amdhsa_kernel
	.section	.text._ZN7rocprim17ROCPRIM_400000_NS6detail17trampoline_kernelINS0_13select_configILj256ELj13ELNS0_17block_load_methodE3ELS4_3ELS4_3ELNS0_20block_scan_algorithmE0ELj4294967295EEENS1_25partition_config_selectorILNS1_17partition_subalgoE3EjNS0_10empty_typeEbEEZZNS1_14partition_implILS8_3ELb0ES6_jNS0_17counting_iteratorIjlEEPS9_SE_NS0_5tupleIJPjSE_EEENSF_IJSE_SE_EEES9_SG_JZNS1_25segmented_radix_sort_implINS0_14default_configELb1EPK6__halfPSL_PKlPlN2at6native12_GLOBAL__N_18offset_tEEE10hipError_tPvRmT1_PNSt15iterator_traitsISZ_E10value_typeET2_T3_PNS10_IS15_E10value_typeET4_jRbjT5_S1B_jjP12ihipStream_tbEUljE_EEESW_SX_SY_S15_S19_S1B_T6_T7_T9_mT8_S1D_bDpT10_ENKUlT_T0_E_clISt17integral_constantIbLb0EES1P_IbLb1EEEEDaS1L_S1M_EUlS1L_E_NS1_11comp_targetILNS1_3genE2ELNS1_11target_archE906ELNS1_3gpuE6ELNS1_3repE0EEENS1_30default_config_static_selectorELNS0_4arch9wavefront6targetE1EEEvSZ_,"axG",@progbits,_ZN7rocprim17ROCPRIM_400000_NS6detail17trampoline_kernelINS0_13select_configILj256ELj13ELNS0_17block_load_methodE3ELS4_3ELS4_3ELNS0_20block_scan_algorithmE0ELj4294967295EEENS1_25partition_config_selectorILNS1_17partition_subalgoE3EjNS0_10empty_typeEbEEZZNS1_14partition_implILS8_3ELb0ES6_jNS0_17counting_iteratorIjlEEPS9_SE_NS0_5tupleIJPjSE_EEENSF_IJSE_SE_EEES9_SG_JZNS1_25segmented_radix_sort_implINS0_14default_configELb1EPK6__halfPSL_PKlPlN2at6native12_GLOBAL__N_18offset_tEEE10hipError_tPvRmT1_PNSt15iterator_traitsISZ_E10value_typeET2_T3_PNS10_IS15_E10value_typeET4_jRbjT5_S1B_jjP12ihipStream_tbEUljE_EEESW_SX_SY_S15_S19_S1B_T6_T7_T9_mT8_S1D_bDpT10_ENKUlT_T0_E_clISt17integral_constantIbLb0EES1P_IbLb1EEEEDaS1L_S1M_EUlS1L_E_NS1_11comp_targetILNS1_3genE2ELNS1_11target_archE906ELNS1_3gpuE6ELNS1_3repE0EEENS1_30default_config_static_selectorELNS0_4arch9wavefront6targetE1EEEvSZ_,comdat
.Lfunc_end1733:
	.size	_ZN7rocprim17ROCPRIM_400000_NS6detail17trampoline_kernelINS0_13select_configILj256ELj13ELNS0_17block_load_methodE3ELS4_3ELS4_3ELNS0_20block_scan_algorithmE0ELj4294967295EEENS1_25partition_config_selectorILNS1_17partition_subalgoE3EjNS0_10empty_typeEbEEZZNS1_14partition_implILS8_3ELb0ES6_jNS0_17counting_iteratorIjlEEPS9_SE_NS0_5tupleIJPjSE_EEENSF_IJSE_SE_EEES9_SG_JZNS1_25segmented_radix_sort_implINS0_14default_configELb1EPK6__halfPSL_PKlPlN2at6native12_GLOBAL__N_18offset_tEEE10hipError_tPvRmT1_PNSt15iterator_traitsISZ_E10value_typeET2_T3_PNS10_IS15_E10value_typeET4_jRbjT5_S1B_jjP12ihipStream_tbEUljE_EEESW_SX_SY_S15_S19_S1B_T6_T7_T9_mT8_S1D_bDpT10_ENKUlT_T0_E_clISt17integral_constantIbLb0EES1P_IbLb1EEEEDaS1L_S1M_EUlS1L_E_NS1_11comp_targetILNS1_3genE2ELNS1_11target_archE906ELNS1_3gpuE6ELNS1_3repE0EEENS1_30default_config_static_selectorELNS0_4arch9wavefront6targetE1EEEvSZ_, .Lfunc_end1733-_ZN7rocprim17ROCPRIM_400000_NS6detail17trampoline_kernelINS0_13select_configILj256ELj13ELNS0_17block_load_methodE3ELS4_3ELS4_3ELNS0_20block_scan_algorithmE0ELj4294967295EEENS1_25partition_config_selectorILNS1_17partition_subalgoE3EjNS0_10empty_typeEbEEZZNS1_14partition_implILS8_3ELb0ES6_jNS0_17counting_iteratorIjlEEPS9_SE_NS0_5tupleIJPjSE_EEENSF_IJSE_SE_EEES9_SG_JZNS1_25segmented_radix_sort_implINS0_14default_configELb1EPK6__halfPSL_PKlPlN2at6native12_GLOBAL__N_18offset_tEEE10hipError_tPvRmT1_PNSt15iterator_traitsISZ_E10value_typeET2_T3_PNS10_IS15_E10value_typeET4_jRbjT5_S1B_jjP12ihipStream_tbEUljE_EEESW_SX_SY_S15_S19_S1B_T6_T7_T9_mT8_S1D_bDpT10_ENKUlT_T0_E_clISt17integral_constantIbLb0EES1P_IbLb1EEEEDaS1L_S1M_EUlS1L_E_NS1_11comp_targetILNS1_3genE2ELNS1_11target_archE906ELNS1_3gpuE6ELNS1_3repE0EEENS1_30default_config_static_selectorELNS0_4arch9wavefront6targetE1EEEvSZ_
                                        ; -- End function
	.section	.AMDGPU.csdata,"",@progbits
; Kernel info:
; codeLenInByte = 0
; NumSgprs: 4
; NumVgprs: 0
; NumAgprs: 0
; TotalNumVgprs: 0
; ScratchSize: 0
; MemoryBound: 0
; FloatMode: 240
; IeeeMode: 1
; LDSByteSize: 0 bytes/workgroup (compile time only)
; SGPRBlocks: 0
; VGPRBlocks: 0
; NumSGPRsForWavesPerEU: 4
; NumVGPRsForWavesPerEU: 1
; AccumOffset: 4
; Occupancy: 8
; WaveLimiterHint : 0
; COMPUTE_PGM_RSRC2:SCRATCH_EN: 0
; COMPUTE_PGM_RSRC2:USER_SGPR: 6
; COMPUTE_PGM_RSRC2:TRAP_HANDLER: 0
; COMPUTE_PGM_RSRC2:TGID_X_EN: 1
; COMPUTE_PGM_RSRC2:TGID_Y_EN: 0
; COMPUTE_PGM_RSRC2:TGID_Z_EN: 0
; COMPUTE_PGM_RSRC2:TIDIG_COMP_CNT: 0
; COMPUTE_PGM_RSRC3_GFX90A:ACCUM_OFFSET: 0
; COMPUTE_PGM_RSRC3_GFX90A:TG_SPLIT: 0
	.section	.text._ZN7rocprim17ROCPRIM_400000_NS6detail17trampoline_kernelINS0_13select_configILj256ELj13ELNS0_17block_load_methodE3ELS4_3ELS4_3ELNS0_20block_scan_algorithmE0ELj4294967295EEENS1_25partition_config_selectorILNS1_17partition_subalgoE3EjNS0_10empty_typeEbEEZZNS1_14partition_implILS8_3ELb0ES6_jNS0_17counting_iteratorIjlEEPS9_SE_NS0_5tupleIJPjSE_EEENSF_IJSE_SE_EEES9_SG_JZNS1_25segmented_radix_sort_implINS0_14default_configELb1EPK6__halfPSL_PKlPlN2at6native12_GLOBAL__N_18offset_tEEE10hipError_tPvRmT1_PNSt15iterator_traitsISZ_E10value_typeET2_T3_PNS10_IS15_E10value_typeET4_jRbjT5_S1B_jjP12ihipStream_tbEUljE_EEESW_SX_SY_S15_S19_S1B_T6_T7_T9_mT8_S1D_bDpT10_ENKUlT_T0_E_clISt17integral_constantIbLb0EES1P_IbLb1EEEEDaS1L_S1M_EUlS1L_E_NS1_11comp_targetILNS1_3genE10ELNS1_11target_archE1200ELNS1_3gpuE4ELNS1_3repE0EEENS1_30default_config_static_selectorELNS0_4arch9wavefront6targetE1EEEvSZ_,"axG",@progbits,_ZN7rocprim17ROCPRIM_400000_NS6detail17trampoline_kernelINS0_13select_configILj256ELj13ELNS0_17block_load_methodE3ELS4_3ELS4_3ELNS0_20block_scan_algorithmE0ELj4294967295EEENS1_25partition_config_selectorILNS1_17partition_subalgoE3EjNS0_10empty_typeEbEEZZNS1_14partition_implILS8_3ELb0ES6_jNS0_17counting_iteratorIjlEEPS9_SE_NS0_5tupleIJPjSE_EEENSF_IJSE_SE_EEES9_SG_JZNS1_25segmented_radix_sort_implINS0_14default_configELb1EPK6__halfPSL_PKlPlN2at6native12_GLOBAL__N_18offset_tEEE10hipError_tPvRmT1_PNSt15iterator_traitsISZ_E10value_typeET2_T3_PNS10_IS15_E10value_typeET4_jRbjT5_S1B_jjP12ihipStream_tbEUljE_EEESW_SX_SY_S15_S19_S1B_T6_T7_T9_mT8_S1D_bDpT10_ENKUlT_T0_E_clISt17integral_constantIbLb0EES1P_IbLb1EEEEDaS1L_S1M_EUlS1L_E_NS1_11comp_targetILNS1_3genE10ELNS1_11target_archE1200ELNS1_3gpuE4ELNS1_3repE0EEENS1_30default_config_static_selectorELNS0_4arch9wavefront6targetE1EEEvSZ_,comdat
	.globl	_ZN7rocprim17ROCPRIM_400000_NS6detail17trampoline_kernelINS0_13select_configILj256ELj13ELNS0_17block_load_methodE3ELS4_3ELS4_3ELNS0_20block_scan_algorithmE0ELj4294967295EEENS1_25partition_config_selectorILNS1_17partition_subalgoE3EjNS0_10empty_typeEbEEZZNS1_14partition_implILS8_3ELb0ES6_jNS0_17counting_iteratorIjlEEPS9_SE_NS0_5tupleIJPjSE_EEENSF_IJSE_SE_EEES9_SG_JZNS1_25segmented_radix_sort_implINS0_14default_configELb1EPK6__halfPSL_PKlPlN2at6native12_GLOBAL__N_18offset_tEEE10hipError_tPvRmT1_PNSt15iterator_traitsISZ_E10value_typeET2_T3_PNS10_IS15_E10value_typeET4_jRbjT5_S1B_jjP12ihipStream_tbEUljE_EEESW_SX_SY_S15_S19_S1B_T6_T7_T9_mT8_S1D_bDpT10_ENKUlT_T0_E_clISt17integral_constantIbLb0EES1P_IbLb1EEEEDaS1L_S1M_EUlS1L_E_NS1_11comp_targetILNS1_3genE10ELNS1_11target_archE1200ELNS1_3gpuE4ELNS1_3repE0EEENS1_30default_config_static_selectorELNS0_4arch9wavefront6targetE1EEEvSZ_ ; -- Begin function _ZN7rocprim17ROCPRIM_400000_NS6detail17trampoline_kernelINS0_13select_configILj256ELj13ELNS0_17block_load_methodE3ELS4_3ELS4_3ELNS0_20block_scan_algorithmE0ELj4294967295EEENS1_25partition_config_selectorILNS1_17partition_subalgoE3EjNS0_10empty_typeEbEEZZNS1_14partition_implILS8_3ELb0ES6_jNS0_17counting_iteratorIjlEEPS9_SE_NS0_5tupleIJPjSE_EEENSF_IJSE_SE_EEES9_SG_JZNS1_25segmented_radix_sort_implINS0_14default_configELb1EPK6__halfPSL_PKlPlN2at6native12_GLOBAL__N_18offset_tEEE10hipError_tPvRmT1_PNSt15iterator_traitsISZ_E10value_typeET2_T3_PNS10_IS15_E10value_typeET4_jRbjT5_S1B_jjP12ihipStream_tbEUljE_EEESW_SX_SY_S15_S19_S1B_T6_T7_T9_mT8_S1D_bDpT10_ENKUlT_T0_E_clISt17integral_constantIbLb0EES1P_IbLb1EEEEDaS1L_S1M_EUlS1L_E_NS1_11comp_targetILNS1_3genE10ELNS1_11target_archE1200ELNS1_3gpuE4ELNS1_3repE0EEENS1_30default_config_static_selectorELNS0_4arch9wavefront6targetE1EEEvSZ_
	.p2align	8
	.type	_ZN7rocprim17ROCPRIM_400000_NS6detail17trampoline_kernelINS0_13select_configILj256ELj13ELNS0_17block_load_methodE3ELS4_3ELS4_3ELNS0_20block_scan_algorithmE0ELj4294967295EEENS1_25partition_config_selectorILNS1_17partition_subalgoE3EjNS0_10empty_typeEbEEZZNS1_14partition_implILS8_3ELb0ES6_jNS0_17counting_iteratorIjlEEPS9_SE_NS0_5tupleIJPjSE_EEENSF_IJSE_SE_EEES9_SG_JZNS1_25segmented_radix_sort_implINS0_14default_configELb1EPK6__halfPSL_PKlPlN2at6native12_GLOBAL__N_18offset_tEEE10hipError_tPvRmT1_PNSt15iterator_traitsISZ_E10value_typeET2_T3_PNS10_IS15_E10value_typeET4_jRbjT5_S1B_jjP12ihipStream_tbEUljE_EEESW_SX_SY_S15_S19_S1B_T6_T7_T9_mT8_S1D_bDpT10_ENKUlT_T0_E_clISt17integral_constantIbLb0EES1P_IbLb1EEEEDaS1L_S1M_EUlS1L_E_NS1_11comp_targetILNS1_3genE10ELNS1_11target_archE1200ELNS1_3gpuE4ELNS1_3repE0EEENS1_30default_config_static_selectorELNS0_4arch9wavefront6targetE1EEEvSZ_,@function
_ZN7rocprim17ROCPRIM_400000_NS6detail17trampoline_kernelINS0_13select_configILj256ELj13ELNS0_17block_load_methodE3ELS4_3ELS4_3ELNS0_20block_scan_algorithmE0ELj4294967295EEENS1_25partition_config_selectorILNS1_17partition_subalgoE3EjNS0_10empty_typeEbEEZZNS1_14partition_implILS8_3ELb0ES6_jNS0_17counting_iteratorIjlEEPS9_SE_NS0_5tupleIJPjSE_EEENSF_IJSE_SE_EEES9_SG_JZNS1_25segmented_radix_sort_implINS0_14default_configELb1EPK6__halfPSL_PKlPlN2at6native12_GLOBAL__N_18offset_tEEE10hipError_tPvRmT1_PNSt15iterator_traitsISZ_E10value_typeET2_T3_PNS10_IS15_E10value_typeET4_jRbjT5_S1B_jjP12ihipStream_tbEUljE_EEESW_SX_SY_S15_S19_S1B_T6_T7_T9_mT8_S1D_bDpT10_ENKUlT_T0_E_clISt17integral_constantIbLb0EES1P_IbLb1EEEEDaS1L_S1M_EUlS1L_E_NS1_11comp_targetILNS1_3genE10ELNS1_11target_archE1200ELNS1_3gpuE4ELNS1_3repE0EEENS1_30default_config_static_selectorELNS0_4arch9wavefront6targetE1EEEvSZ_: ; @_ZN7rocprim17ROCPRIM_400000_NS6detail17trampoline_kernelINS0_13select_configILj256ELj13ELNS0_17block_load_methodE3ELS4_3ELS4_3ELNS0_20block_scan_algorithmE0ELj4294967295EEENS1_25partition_config_selectorILNS1_17partition_subalgoE3EjNS0_10empty_typeEbEEZZNS1_14partition_implILS8_3ELb0ES6_jNS0_17counting_iteratorIjlEEPS9_SE_NS0_5tupleIJPjSE_EEENSF_IJSE_SE_EEES9_SG_JZNS1_25segmented_radix_sort_implINS0_14default_configELb1EPK6__halfPSL_PKlPlN2at6native12_GLOBAL__N_18offset_tEEE10hipError_tPvRmT1_PNSt15iterator_traitsISZ_E10value_typeET2_T3_PNS10_IS15_E10value_typeET4_jRbjT5_S1B_jjP12ihipStream_tbEUljE_EEESW_SX_SY_S15_S19_S1B_T6_T7_T9_mT8_S1D_bDpT10_ENKUlT_T0_E_clISt17integral_constantIbLb0EES1P_IbLb1EEEEDaS1L_S1M_EUlS1L_E_NS1_11comp_targetILNS1_3genE10ELNS1_11target_archE1200ELNS1_3gpuE4ELNS1_3repE0EEENS1_30default_config_static_selectorELNS0_4arch9wavefront6targetE1EEEvSZ_
; %bb.0:
	.section	.rodata,"a",@progbits
	.p2align	6, 0x0
	.amdhsa_kernel _ZN7rocprim17ROCPRIM_400000_NS6detail17trampoline_kernelINS0_13select_configILj256ELj13ELNS0_17block_load_methodE3ELS4_3ELS4_3ELNS0_20block_scan_algorithmE0ELj4294967295EEENS1_25partition_config_selectorILNS1_17partition_subalgoE3EjNS0_10empty_typeEbEEZZNS1_14partition_implILS8_3ELb0ES6_jNS0_17counting_iteratorIjlEEPS9_SE_NS0_5tupleIJPjSE_EEENSF_IJSE_SE_EEES9_SG_JZNS1_25segmented_radix_sort_implINS0_14default_configELb1EPK6__halfPSL_PKlPlN2at6native12_GLOBAL__N_18offset_tEEE10hipError_tPvRmT1_PNSt15iterator_traitsISZ_E10value_typeET2_T3_PNS10_IS15_E10value_typeET4_jRbjT5_S1B_jjP12ihipStream_tbEUljE_EEESW_SX_SY_S15_S19_S1B_T6_T7_T9_mT8_S1D_bDpT10_ENKUlT_T0_E_clISt17integral_constantIbLb0EES1P_IbLb1EEEEDaS1L_S1M_EUlS1L_E_NS1_11comp_targetILNS1_3genE10ELNS1_11target_archE1200ELNS1_3gpuE4ELNS1_3repE0EEENS1_30default_config_static_selectorELNS0_4arch9wavefront6targetE1EEEvSZ_
		.amdhsa_group_segment_fixed_size 0
		.amdhsa_private_segment_fixed_size 0
		.amdhsa_kernarg_size 152
		.amdhsa_user_sgpr_count 6
		.amdhsa_user_sgpr_private_segment_buffer 1
		.amdhsa_user_sgpr_dispatch_ptr 0
		.amdhsa_user_sgpr_queue_ptr 0
		.amdhsa_user_sgpr_kernarg_segment_ptr 1
		.amdhsa_user_sgpr_dispatch_id 0
		.amdhsa_user_sgpr_flat_scratch_init 0
		.amdhsa_user_sgpr_kernarg_preload_length 0
		.amdhsa_user_sgpr_kernarg_preload_offset 0
		.amdhsa_user_sgpr_private_segment_size 0
		.amdhsa_uses_dynamic_stack 0
		.amdhsa_system_sgpr_private_segment_wavefront_offset 0
		.amdhsa_system_sgpr_workgroup_id_x 1
		.amdhsa_system_sgpr_workgroup_id_y 0
		.amdhsa_system_sgpr_workgroup_id_z 0
		.amdhsa_system_sgpr_workgroup_info 0
		.amdhsa_system_vgpr_workitem_id 0
		.amdhsa_next_free_vgpr 1
		.amdhsa_next_free_sgpr 0
		.amdhsa_accum_offset 4
		.amdhsa_reserve_vcc 0
		.amdhsa_reserve_flat_scratch 0
		.amdhsa_float_round_mode_32 0
		.amdhsa_float_round_mode_16_64 0
		.amdhsa_float_denorm_mode_32 3
		.amdhsa_float_denorm_mode_16_64 3
		.amdhsa_dx10_clamp 1
		.amdhsa_ieee_mode 1
		.amdhsa_fp16_overflow 0
		.amdhsa_tg_split 0
		.amdhsa_exception_fp_ieee_invalid_op 0
		.amdhsa_exception_fp_denorm_src 0
		.amdhsa_exception_fp_ieee_div_zero 0
		.amdhsa_exception_fp_ieee_overflow 0
		.amdhsa_exception_fp_ieee_underflow 0
		.amdhsa_exception_fp_ieee_inexact 0
		.amdhsa_exception_int_div_zero 0
	.end_amdhsa_kernel
	.section	.text._ZN7rocprim17ROCPRIM_400000_NS6detail17trampoline_kernelINS0_13select_configILj256ELj13ELNS0_17block_load_methodE3ELS4_3ELS4_3ELNS0_20block_scan_algorithmE0ELj4294967295EEENS1_25partition_config_selectorILNS1_17partition_subalgoE3EjNS0_10empty_typeEbEEZZNS1_14partition_implILS8_3ELb0ES6_jNS0_17counting_iteratorIjlEEPS9_SE_NS0_5tupleIJPjSE_EEENSF_IJSE_SE_EEES9_SG_JZNS1_25segmented_radix_sort_implINS0_14default_configELb1EPK6__halfPSL_PKlPlN2at6native12_GLOBAL__N_18offset_tEEE10hipError_tPvRmT1_PNSt15iterator_traitsISZ_E10value_typeET2_T3_PNS10_IS15_E10value_typeET4_jRbjT5_S1B_jjP12ihipStream_tbEUljE_EEESW_SX_SY_S15_S19_S1B_T6_T7_T9_mT8_S1D_bDpT10_ENKUlT_T0_E_clISt17integral_constantIbLb0EES1P_IbLb1EEEEDaS1L_S1M_EUlS1L_E_NS1_11comp_targetILNS1_3genE10ELNS1_11target_archE1200ELNS1_3gpuE4ELNS1_3repE0EEENS1_30default_config_static_selectorELNS0_4arch9wavefront6targetE1EEEvSZ_,"axG",@progbits,_ZN7rocprim17ROCPRIM_400000_NS6detail17trampoline_kernelINS0_13select_configILj256ELj13ELNS0_17block_load_methodE3ELS4_3ELS4_3ELNS0_20block_scan_algorithmE0ELj4294967295EEENS1_25partition_config_selectorILNS1_17partition_subalgoE3EjNS0_10empty_typeEbEEZZNS1_14partition_implILS8_3ELb0ES6_jNS0_17counting_iteratorIjlEEPS9_SE_NS0_5tupleIJPjSE_EEENSF_IJSE_SE_EEES9_SG_JZNS1_25segmented_radix_sort_implINS0_14default_configELb1EPK6__halfPSL_PKlPlN2at6native12_GLOBAL__N_18offset_tEEE10hipError_tPvRmT1_PNSt15iterator_traitsISZ_E10value_typeET2_T3_PNS10_IS15_E10value_typeET4_jRbjT5_S1B_jjP12ihipStream_tbEUljE_EEESW_SX_SY_S15_S19_S1B_T6_T7_T9_mT8_S1D_bDpT10_ENKUlT_T0_E_clISt17integral_constantIbLb0EES1P_IbLb1EEEEDaS1L_S1M_EUlS1L_E_NS1_11comp_targetILNS1_3genE10ELNS1_11target_archE1200ELNS1_3gpuE4ELNS1_3repE0EEENS1_30default_config_static_selectorELNS0_4arch9wavefront6targetE1EEEvSZ_,comdat
.Lfunc_end1734:
	.size	_ZN7rocprim17ROCPRIM_400000_NS6detail17trampoline_kernelINS0_13select_configILj256ELj13ELNS0_17block_load_methodE3ELS4_3ELS4_3ELNS0_20block_scan_algorithmE0ELj4294967295EEENS1_25partition_config_selectorILNS1_17partition_subalgoE3EjNS0_10empty_typeEbEEZZNS1_14partition_implILS8_3ELb0ES6_jNS0_17counting_iteratorIjlEEPS9_SE_NS0_5tupleIJPjSE_EEENSF_IJSE_SE_EEES9_SG_JZNS1_25segmented_radix_sort_implINS0_14default_configELb1EPK6__halfPSL_PKlPlN2at6native12_GLOBAL__N_18offset_tEEE10hipError_tPvRmT1_PNSt15iterator_traitsISZ_E10value_typeET2_T3_PNS10_IS15_E10value_typeET4_jRbjT5_S1B_jjP12ihipStream_tbEUljE_EEESW_SX_SY_S15_S19_S1B_T6_T7_T9_mT8_S1D_bDpT10_ENKUlT_T0_E_clISt17integral_constantIbLb0EES1P_IbLb1EEEEDaS1L_S1M_EUlS1L_E_NS1_11comp_targetILNS1_3genE10ELNS1_11target_archE1200ELNS1_3gpuE4ELNS1_3repE0EEENS1_30default_config_static_selectorELNS0_4arch9wavefront6targetE1EEEvSZ_, .Lfunc_end1734-_ZN7rocprim17ROCPRIM_400000_NS6detail17trampoline_kernelINS0_13select_configILj256ELj13ELNS0_17block_load_methodE3ELS4_3ELS4_3ELNS0_20block_scan_algorithmE0ELj4294967295EEENS1_25partition_config_selectorILNS1_17partition_subalgoE3EjNS0_10empty_typeEbEEZZNS1_14partition_implILS8_3ELb0ES6_jNS0_17counting_iteratorIjlEEPS9_SE_NS0_5tupleIJPjSE_EEENSF_IJSE_SE_EEES9_SG_JZNS1_25segmented_radix_sort_implINS0_14default_configELb1EPK6__halfPSL_PKlPlN2at6native12_GLOBAL__N_18offset_tEEE10hipError_tPvRmT1_PNSt15iterator_traitsISZ_E10value_typeET2_T3_PNS10_IS15_E10value_typeET4_jRbjT5_S1B_jjP12ihipStream_tbEUljE_EEESW_SX_SY_S15_S19_S1B_T6_T7_T9_mT8_S1D_bDpT10_ENKUlT_T0_E_clISt17integral_constantIbLb0EES1P_IbLb1EEEEDaS1L_S1M_EUlS1L_E_NS1_11comp_targetILNS1_3genE10ELNS1_11target_archE1200ELNS1_3gpuE4ELNS1_3repE0EEENS1_30default_config_static_selectorELNS0_4arch9wavefront6targetE1EEEvSZ_
                                        ; -- End function
	.section	.AMDGPU.csdata,"",@progbits
; Kernel info:
; codeLenInByte = 0
; NumSgprs: 4
; NumVgprs: 0
; NumAgprs: 0
; TotalNumVgprs: 0
; ScratchSize: 0
; MemoryBound: 0
; FloatMode: 240
; IeeeMode: 1
; LDSByteSize: 0 bytes/workgroup (compile time only)
; SGPRBlocks: 0
; VGPRBlocks: 0
; NumSGPRsForWavesPerEU: 4
; NumVGPRsForWavesPerEU: 1
; AccumOffset: 4
; Occupancy: 8
; WaveLimiterHint : 0
; COMPUTE_PGM_RSRC2:SCRATCH_EN: 0
; COMPUTE_PGM_RSRC2:USER_SGPR: 6
; COMPUTE_PGM_RSRC2:TRAP_HANDLER: 0
; COMPUTE_PGM_RSRC2:TGID_X_EN: 1
; COMPUTE_PGM_RSRC2:TGID_Y_EN: 0
; COMPUTE_PGM_RSRC2:TGID_Z_EN: 0
; COMPUTE_PGM_RSRC2:TIDIG_COMP_CNT: 0
; COMPUTE_PGM_RSRC3_GFX90A:ACCUM_OFFSET: 0
; COMPUTE_PGM_RSRC3_GFX90A:TG_SPLIT: 0
	.section	.text._ZN7rocprim17ROCPRIM_400000_NS6detail17trampoline_kernelINS0_13select_configILj256ELj13ELNS0_17block_load_methodE3ELS4_3ELS4_3ELNS0_20block_scan_algorithmE0ELj4294967295EEENS1_25partition_config_selectorILNS1_17partition_subalgoE3EjNS0_10empty_typeEbEEZZNS1_14partition_implILS8_3ELb0ES6_jNS0_17counting_iteratorIjlEEPS9_SE_NS0_5tupleIJPjSE_EEENSF_IJSE_SE_EEES9_SG_JZNS1_25segmented_radix_sort_implINS0_14default_configELb1EPK6__halfPSL_PKlPlN2at6native12_GLOBAL__N_18offset_tEEE10hipError_tPvRmT1_PNSt15iterator_traitsISZ_E10value_typeET2_T3_PNS10_IS15_E10value_typeET4_jRbjT5_S1B_jjP12ihipStream_tbEUljE_EEESW_SX_SY_S15_S19_S1B_T6_T7_T9_mT8_S1D_bDpT10_ENKUlT_T0_E_clISt17integral_constantIbLb0EES1P_IbLb1EEEEDaS1L_S1M_EUlS1L_E_NS1_11comp_targetILNS1_3genE9ELNS1_11target_archE1100ELNS1_3gpuE3ELNS1_3repE0EEENS1_30default_config_static_selectorELNS0_4arch9wavefront6targetE1EEEvSZ_,"axG",@progbits,_ZN7rocprim17ROCPRIM_400000_NS6detail17trampoline_kernelINS0_13select_configILj256ELj13ELNS0_17block_load_methodE3ELS4_3ELS4_3ELNS0_20block_scan_algorithmE0ELj4294967295EEENS1_25partition_config_selectorILNS1_17partition_subalgoE3EjNS0_10empty_typeEbEEZZNS1_14partition_implILS8_3ELb0ES6_jNS0_17counting_iteratorIjlEEPS9_SE_NS0_5tupleIJPjSE_EEENSF_IJSE_SE_EEES9_SG_JZNS1_25segmented_radix_sort_implINS0_14default_configELb1EPK6__halfPSL_PKlPlN2at6native12_GLOBAL__N_18offset_tEEE10hipError_tPvRmT1_PNSt15iterator_traitsISZ_E10value_typeET2_T3_PNS10_IS15_E10value_typeET4_jRbjT5_S1B_jjP12ihipStream_tbEUljE_EEESW_SX_SY_S15_S19_S1B_T6_T7_T9_mT8_S1D_bDpT10_ENKUlT_T0_E_clISt17integral_constantIbLb0EES1P_IbLb1EEEEDaS1L_S1M_EUlS1L_E_NS1_11comp_targetILNS1_3genE9ELNS1_11target_archE1100ELNS1_3gpuE3ELNS1_3repE0EEENS1_30default_config_static_selectorELNS0_4arch9wavefront6targetE1EEEvSZ_,comdat
	.globl	_ZN7rocprim17ROCPRIM_400000_NS6detail17trampoline_kernelINS0_13select_configILj256ELj13ELNS0_17block_load_methodE3ELS4_3ELS4_3ELNS0_20block_scan_algorithmE0ELj4294967295EEENS1_25partition_config_selectorILNS1_17partition_subalgoE3EjNS0_10empty_typeEbEEZZNS1_14partition_implILS8_3ELb0ES6_jNS0_17counting_iteratorIjlEEPS9_SE_NS0_5tupleIJPjSE_EEENSF_IJSE_SE_EEES9_SG_JZNS1_25segmented_radix_sort_implINS0_14default_configELb1EPK6__halfPSL_PKlPlN2at6native12_GLOBAL__N_18offset_tEEE10hipError_tPvRmT1_PNSt15iterator_traitsISZ_E10value_typeET2_T3_PNS10_IS15_E10value_typeET4_jRbjT5_S1B_jjP12ihipStream_tbEUljE_EEESW_SX_SY_S15_S19_S1B_T6_T7_T9_mT8_S1D_bDpT10_ENKUlT_T0_E_clISt17integral_constantIbLb0EES1P_IbLb1EEEEDaS1L_S1M_EUlS1L_E_NS1_11comp_targetILNS1_3genE9ELNS1_11target_archE1100ELNS1_3gpuE3ELNS1_3repE0EEENS1_30default_config_static_selectorELNS0_4arch9wavefront6targetE1EEEvSZ_ ; -- Begin function _ZN7rocprim17ROCPRIM_400000_NS6detail17trampoline_kernelINS0_13select_configILj256ELj13ELNS0_17block_load_methodE3ELS4_3ELS4_3ELNS0_20block_scan_algorithmE0ELj4294967295EEENS1_25partition_config_selectorILNS1_17partition_subalgoE3EjNS0_10empty_typeEbEEZZNS1_14partition_implILS8_3ELb0ES6_jNS0_17counting_iteratorIjlEEPS9_SE_NS0_5tupleIJPjSE_EEENSF_IJSE_SE_EEES9_SG_JZNS1_25segmented_radix_sort_implINS0_14default_configELb1EPK6__halfPSL_PKlPlN2at6native12_GLOBAL__N_18offset_tEEE10hipError_tPvRmT1_PNSt15iterator_traitsISZ_E10value_typeET2_T3_PNS10_IS15_E10value_typeET4_jRbjT5_S1B_jjP12ihipStream_tbEUljE_EEESW_SX_SY_S15_S19_S1B_T6_T7_T9_mT8_S1D_bDpT10_ENKUlT_T0_E_clISt17integral_constantIbLb0EES1P_IbLb1EEEEDaS1L_S1M_EUlS1L_E_NS1_11comp_targetILNS1_3genE9ELNS1_11target_archE1100ELNS1_3gpuE3ELNS1_3repE0EEENS1_30default_config_static_selectorELNS0_4arch9wavefront6targetE1EEEvSZ_
	.p2align	8
	.type	_ZN7rocprim17ROCPRIM_400000_NS6detail17trampoline_kernelINS0_13select_configILj256ELj13ELNS0_17block_load_methodE3ELS4_3ELS4_3ELNS0_20block_scan_algorithmE0ELj4294967295EEENS1_25partition_config_selectorILNS1_17partition_subalgoE3EjNS0_10empty_typeEbEEZZNS1_14partition_implILS8_3ELb0ES6_jNS0_17counting_iteratorIjlEEPS9_SE_NS0_5tupleIJPjSE_EEENSF_IJSE_SE_EEES9_SG_JZNS1_25segmented_radix_sort_implINS0_14default_configELb1EPK6__halfPSL_PKlPlN2at6native12_GLOBAL__N_18offset_tEEE10hipError_tPvRmT1_PNSt15iterator_traitsISZ_E10value_typeET2_T3_PNS10_IS15_E10value_typeET4_jRbjT5_S1B_jjP12ihipStream_tbEUljE_EEESW_SX_SY_S15_S19_S1B_T6_T7_T9_mT8_S1D_bDpT10_ENKUlT_T0_E_clISt17integral_constantIbLb0EES1P_IbLb1EEEEDaS1L_S1M_EUlS1L_E_NS1_11comp_targetILNS1_3genE9ELNS1_11target_archE1100ELNS1_3gpuE3ELNS1_3repE0EEENS1_30default_config_static_selectorELNS0_4arch9wavefront6targetE1EEEvSZ_,@function
_ZN7rocprim17ROCPRIM_400000_NS6detail17trampoline_kernelINS0_13select_configILj256ELj13ELNS0_17block_load_methodE3ELS4_3ELS4_3ELNS0_20block_scan_algorithmE0ELj4294967295EEENS1_25partition_config_selectorILNS1_17partition_subalgoE3EjNS0_10empty_typeEbEEZZNS1_14partition_implILS8_3ELb0ES6_jNS0_17counting_iteratorIjlEEPS9_SE_NS0_5tupleIJPjSE_EEENSF_IJSE_SE_EEES9_SG_JZNS1_25segmented_radix_sort_implINS0_14default_configELb1EPK6__halfPSL_PKlPlN2at6native12_GLOBAL__N_18offset_tEEE10hipError_tPvRmT1_PNSt15iterator_traitsISZ_E10value_typeET2_T3_PNS10_IS15_E10value_typeET4_jRbjT5_S1B_jjP12ihipStream_tbEUljE_EEESW_SX_SY_S15_S19_S1B_T6_T7_T9_mT8_S1D_bDpT10_ENKUlT_T0_E_clISt17integral_constantIbLb0EES1P_IbLb1EEEEDaS1L_S1M_EUlS1L_E_NS1_11comp_targetILNS1_3genE9ELNS1_11target_archE1100ELNS1_3gpuE3ELNS1_3repE0EEENS1_30default_config_static_selectorELNS0_4arch9wavefront6targetE1EEEvSZ_: ; @_ZN7rocprim17ROCPRIM_400000_NS6detail17trampoline_kernelINS0_13select_configILj256ELj13ELNS0_17block_load_methodE3ELS4_3ELS4_3ELNS0_20block_scan_algorithmE0ELj4294967295EEENS1_25partition_config_selectorILNS1_17partition_subalgoE3EjNS0_10empty_typeEbEEZZNS1_14partition_implILS8_3ELb0ES6_jNS0_17counting_iteratorIjlEEPS9_SE_NS0_5tupleIJPjSE_EEENSF_IJSE_SE_EEES9_SG_JZNS1_25segmented_radix_sort_implINS0_14default_configELb1EPK6__halfPSL_PKlPlN2at6native12_GLOBAL__N_18offset_tEEE10hipError_tPvRmT1_PNSt15iterator_traitsISZ_E10value_typeET2_T3_PNS10_IS15_E10value_typeET4_jRbjT5_S1B_jjP12ihipStream_tbEUljE_EEESW_SX_SY_S15_S19_S1B_T6_T7_T9_mT8_S1D_bDpT10_ENKUlT_T0_E_clISt17integral_constantIbLb0EES1P_IbLb1EEEEDaS1L_S1M_EUlS1L_E_NS1_11comp_targetILNS1_3genE9ELNS1_11target_archE1100ELNS1_3gpuE3ELNS1_3repE0EEENS1_30default_config_static_selectorELNS0_4arch9wavefront6targetE1EEEvSZ_
; %bb.0:
	.section	.rodata,"a",@progbits
	.p2align	6, 0x0
	.amdhsa_kernel _ZN7rocprim17ROCPRIM_400000_NS6detail17trampoline_kernelINS0_13select_configILj256ELj13ELNS0_17block_load_methodE3ELS4_3ELS4_3ELNS0_20block_scan_algorithmE0ELj4294967295EEENS1_25partition_config_selectorILNS1_17partition_subalgoE3EjNS0_10empty_typeEbEEZZNS1_14partition_implILS8_3ELb0ES6_jNS0_17counting_iteratorIjlEEPS9_SE_NS0_5tupleIJPjSE_EEENSF_IJSE_SE_EEES9_SG_JZNS1_25segmented_radix_sort_implINS0_14default_configELb1EPK6__halfPSL_PKlPlN2at6native12_GLOBAL__N_18offset_tEEE10hipError_tPvRmT1_PNSt15iterator_traitsISZ_E10value_typeET2_T3_PNS10_IS15_E10value_typeET4_jRbjT5_S1B_jjP12ihipStream_tbEUljE_EEESW_SX_SY_S15_S19_S1B_T6_T7_T9_mT8_S1D_bDpT10_ENKUlT_T0_E_clISt17integral_constantIbLb0EES1P_IbLb1EEEEDaS1L_S1M_EUlS1L_E_NS1_11comp_targetILNS1_3genE9ELNS1_11target_archE1100ELNS1_3gpuE3ELNS1_3repE0EEENS1_30default_config_static_selectorELNS0_4arch9wavefront6targetE1EEEvSZ_
		.amdhsa_group_segment_fixed_size 0
		.amdhsa_private_segment_fixed_size 0
		.amdhsa_kernarg_size 152
		.amdhsa_user_sgpr_count 6
		.amdhsa_user_sgpr_private_segment_buffer 1
		.amdhsa_user_sgpr_dispatch_ptr 0
		.amdhsa_user_sgpr_queue_ptr 0
		.amdhsa_user_sgpr_kernarg_segment_ptr 1
		.amdhsa_user_sgpr_dispatch_id 0
		.amdhsa_user_sgpr_flat_scratch_init 0
		.amdhsa_user_sgpr_kernarg_preload_length 0
		.amdhsa_user_sgpr_kernarg_preload_offset 0
		.amdhsa_user_sgpr_private_segment_size 0
		.amdhsa_uses_dynamic_stack 0
		.amdhsa_system_sgpr_private_segment_wavefront_offset 0
		.amdhsa_system_sgpr_workgroup_id_x 1
		.amdhsa_system_sgpr_workgroup_id_y 0
		.amdhsa_system_sgpr_workgroup_id_z 0
		.amdhsa_system_sgpr_workgroup_info 0
		.amdhsa_system_vgpr_workitem_id 0
		.amdhsa_next_free_vgpr 1
		.amdhsa_next_free_sgpr 0
		.amdhsa_accum_offset 4
		.amdhsa_reserve_vcc 0
		.amdhsa_reserve_flat_scratch 0
		.amdhsa_float_round_mode_32 0
		.amdhsa_float_round_mode_16_64 0
		.amdhsa_float_denorm_mode_32 3
		.amdhsa_float_denorm_mode_16_64 3
		.amdhsa_dx10_clamp 1
		.amdhsa_ieee_mode 1
		.amdhsa_fp16_overflow 0
		.amdhsa_tg_split 0
		.amdhsa_exception_fp_ieee_invalid_op 0
		.amdhsa_exception_fp_denorm_src 0
		.amdhsa_exception_fp_ieee_div_zero 0
		.amdhsa_exception_fp_ieee_overflow 0
		.amdhsa_exception_fp_ieee_underflow 0
		.amdhsa_exception_fp_ieee_inexact 0
		.amdhsa_exception_int_div_zero 0
	.end_amdhsa_kernel
	.section	.text._ZN7rocprim17ROCPRIM_400000_NS6detail17trampoline_kernelINS0_13select_configILj256ELj13ELNS0_17block_load_methodE3ELS4_3ELS4_3ELNS0_20block_scan_algorithmE0ELj4294967295EEENS1_25partition_config_selectorILNS1_17partition_subalgoE3EjNS0_10empty_typeEbEEZZNS1_14partition_implILS8_3ELb0ES6_jNS0_17counting_iteratorIjlEEPS9_SE_NS0_5tupleIJPjSE_EEENSF_IJSE_SE_EEES9_SG_JZNS1_25segmented_radix_sort_implINS0_14default_configELb1EPK6__halfPSL_PKlPlN2at6native12_GLOBAL__N_18offset_tEEE10hipError_tPvRmT1_PNSt15iterator_traitsISZ_E10value_typeET2_T3_PNS10_IS15_E10value_typeET4_jRbjT5_S1B_jjP12ihipStream_tbEUljE_EEESW_SX_SY_S15_S19_S1B_T6_T7_T9_mT8_S1D_bDpT10_ENKUlT_T0_E_clISt17integral_constantIbLb0EES1P_IbLb1EEEEDaS1L_S1M_EUlS1L_E_NS1_11comp_targetILNS1_3genE9ELNS1_11target_archE1100ELNS1_3gpuE3ELNS1_3repE0EEENS1_30default_config_static_selectorELNS0_4arch9wavefront6targetE1EEEvSZ_,"axG",@progbits,_ZN7rocprim17ROCPRIM_400000_NS6detail17trampoline_kernelINS0_13select_configILj256ELj13ELNS0_17block_load_methodE3ELS4_3ELS4_3ELNS0_20block_scan_algorithmE0ELj4294967295EEENS1_25partition_config_selectorILNS1_17partition_subalgoE3EjNS0_10empty_typeEbEEZZNS1_14partition_implILS8_3ELb0ES6_jNS0_17counting_iteratorIjlEEPS9_SE_NS0_5tupleIJPjSE_EEENSF_IJSE_SE_EEES9_SG_JZNS1_25segmented_radix_sort_implINS0_14default_configELb1EPK6__halfPSL_PKlPlN2at6native12_GLOBAL__N_18offset_tEEE10hipError_tPvRmT1_PNSt15iterator_traitsISZ_E10value_typeET2_T3_PNS10_IS15_E10value_typeET4_jRbjT5_S1B_jjP12ihipStream_tbEUljE_EEESW_SX_SY_S15_S19_S1B_T6_T7_T9_mT8_S1D_bDpT10_ENKUlT_T0_E_clISt17integral_constantIbLb0EES1P_IbLb1EEEEDaS1L_S1M_EUlS1L_E_NS1_11comp_targetILNS1_3genE9ELNS1_11target_archE1100ELNS1_3gpuE3ELNS1_3repE0EEENS1_30default_config_static_selectorELNS0_4arch9wavefront6targetE1EEEvSZ_,comdat
.Lfunc_end1735:
	.size	_ZN7rocprim17ROCPRIM_400000_NS6detail17trampoline_kernelINS0_13select_configILj256ELj13ELNS0_17block_load_methodE3ELS4_3ELS4_3ELNS0_20block_scan_algorithmE0ELj4294967295EEENS1_25partition_config_selectorILNS1_17partition_subalgoE3EjNS0_10empty_typeEbEEZZNS1_14partition_implILS8_3ELb0ES6_jNS0_17counting_iteratorIjlEEPS9_SE_NS0_5tupleIJPjSE_EEENSF_IJSE_SE_EEES9_SG_JZNS1_25segmented_radix_sort_implINS0_14default_configELb1EPK6__halfPSL_PKlPlN2at6native12_GLOBAL__N_18offset_tEEE10hipError_tPvRmT1_PNSt15iterator_traitsISZ_E10value_typeET2_T3_PNS10_IS15_E10value_typeET4_jRbjT5_S1B_jjP12ihipStream_tbEUljE_EEESW_SX_SY_S15_S19_S1B_T6_T7_T9_mT8_S1D_bDpT10_ENKUlT_T0_E_clISt17integral_constantIbLb0EES1P_IbLb1EEEEDaS1L_S1M_EUlS1L_E_NS1_11comp_targetILNS1_3genE9ELNS1_11target_archE1100ELNS1_3gpuE3ELNS1_3repE0EEENS1_30default_config_static_selectorELNS0_4arch9wavefront6targetE1EEEvSZ_, .Lfunc_end1735-_ZN7rocprim17ROCPRIM_400000_NS6detail17trampoline_kernelINS0_13select_configILj256ELj13ELNS0_17block_load_methodE3ELS4_3ELS4_3ELNS0_20block_scan_algorithmE0ELj4294967295EEENS1_25partition_config_selectorILNS1_17partition_subalgoE3EjNS0_10empty_typeEbEEZZNS1_14partition_implILS8_3ELb0ES6_jNS0_17counting_iteratorIjlEEPS9_SE_NS0_5tupleIJPjSE_EEENSF_IJSE_SE_EEES9_SG_JZNS1_25segmented_radix_sort_implINS0_14default_configELb1EPK6__halfPSL_PKlPlN2at6native12_GLOBAL__N_18offset_tEEE10hipError_tPvRmT1_PNSt15iterator_traitsISZ_E10value_typeET2_T3_PNS10_IS15_E10value_typeET4_jRbjT5_S1B_jjP12ihipStream_tbEUljE_EEESW_SX_SY_S15_S19_S1B_T6_T7_T9_mT8_S1D_bDpT10_ENKUlT_T0_E_clISt17integral_constantIbLb0EES1P_IbLb1EEEEDaS1L_S1M_EUlS1L_E_NS1_11comp_targetILNS1_3genE9ELNS1_11target_archE1100ELNS1_3gpuE3ELNS1_3repE0EEENS1_30default_config_static_selectorELNS0_4arch9wavefront6targetE1EEEvSZ_
                                        ; -- End function
	.section	.AMDGPU.csdata,"",@progbits
; Kernel info:
; codeLenInByte = 0
; NumSgprs: 4
; NumVgprs: 0
; NumAgprs: 0
; TotalNumVgprs: 0
; ScratchSize: 0
; MemoryBound: 0
; FloatMode: 240
; IeeeMode: 1
; LDSByteSize: 0 bytes/workgroup (compile time only)
; SGPRBlocks: 0
; VGPRBlocks: 0
; NumSGPRsForWavesPerEU: 4
; NumVGPRsForWavesPerEU: 1
; AccumOffset: 4
; Occupancy: 8
; WaveLimiterHint : 0
; COMPUTE_PGM_RSRC2:SCRATCH_EN: 0
; COMPUTE_PGM_RSRC2:USER_SGPR: 6
; COMPUTE_PGM_RSRC2:TRAP_HANDLER: 0
; COMPUTE_PGM_RSRC2:TGID_X_EN: 1
; COMPUTE_PGM_RSRC2:TGID_Y_EN: 0
; COMPUTE_PGM_RSRC2:TGID_Z_EN: 0
; COMPUTE_PGM_RSRC2:TIDIG_COMP_CNT: 0
; COMPUTE_PGM_RSRC3_GFX90A:ACCUM_OFFSET: 0
; COMPUTE_PGM_RSRC3_GFX90A:TG_SPLIT: 0
	.section	.text._ZN7rocprim17ROCPRIM_400000_NS6detail17trampoline_kernelINS0_13select_configILj256ELj13ELNS0_17block_load_methodE3ELS4_3ELS4_3ELNS0_20block_scan_algorithmE0ELj4294967295EEENS1_25partition_config_selectorILNS1_17partition_subalgoE3EjNS0_10empty_typeEbEEZZNS1_14partition_implILS8_3ELb0ES6_jNS0_17counting_iteratorIjlEEPS9_SE_NS0_5tupleIJPjSE_EEENSF_IJSE_SE_EEES9_SG_JZNS1_25segmented_radix_sort_implINS0_14default_configELb1EPK6__halfPSL_PKlPlN2at6native12_GLOBAL__N_18offset_tEEE10hipError_tPvRmT1_PNSt15iterator_traitsISZ_E10value_typeET2_T3_PNS10_IS15_E10value_typeET4_jRbjT5_S1B_jjP12ihipStream_tbEUljE_EEESW_SX_SY_S15_S19_S1B_T6_T7_T9_mT8_S1D_bDpT10_ENKUlT_T0_E_clISt17integral_constantIbLb0EES1P_IbLb1EEEEDaS1L_S1M_EUlS1L_E_NS1_11comp_targetILNS1_3genE8ELNS1_11target_archE1030ELNS1_3gpuE2ELNS1_3repE0EEENS1_30default_config_static_selectorELNS0_4arch9wavefront6targetE1EEEvSZ_,"axG",@progbits,_ZN7rocprim17ROCPRIM_400000_NS6detail17trampoline_kernelINS0_13select_configILj256ELj13ELNS0_17block_load_methodE3ELS4_3ELS4_3ELNS0_20block_scan_algorithmE0ELj4294967295EEENS1_25partition_config_selectorILNS1_17partition_subalgoE3EjNS0_10empty_typeEbEEZZNS1_14partition_implILS8_3ELb0ES6_jNS0_17counting_iteratorIjlEEPS9_SE_NS0_5tupleIJPjSE_EEENSF_IJSE_SE_EEES9_SG_JZNS1_25segmented_radix_sort_implINS0_14default_configELb1EPK6__halfPSL_PKlPlN2at6native12_GLOBAL__N_18offset_tEEE10hipError_tPvRmT1_PNSt15iterator_traitsISZ_E10value_typeET2_T3_PNS10_IS15_E10value_typeET4_jRbjT5_S1B_jjP12ihipStream_tbEUljE_EEESW_SX_SY_S15_S19_S1B_T6_T7_T9_mT8_S1D_bDpT10_ENKUlT_T0_E_clISt17integral_constantIbLb0EES1P_IbLb1EEEEDaS1L_S1M_EUlS1L_E_NS1_11comp_targetILNS1_3genE8ELNS1_11target_archE1030ELNS1_3gpuE2ELNS1_3repE0EEENS1_30default_config_static_selectorELNS0_4arch9wavefront6targetE1EEEvSZ_,comdat
	.globl	_ZN7rocprim17ROCPRIM_400000_NS6detail17trampoline_kernelINS0_13select_configILj256ELj13ELNS0_17block_load_methodE3ELS4_3ELS4_3ELNS0_20block_scan_algorithmE0ELj4294967295EEENS1_25partition_config_selectorILNS1_17partition_subalgoE3EjNS0_10empty_typeEbEEZZNS1_14partition_implILS8_3ELb0ES6_jNS0_17counting_iteratorIjlEEPS9_SE_NS0_5tupleIJPjSE_EEENSF_IJSE_SE_EEES9_SG_JZNS1_25segmented_radix_sort_implINS0_14default_configELb1EPK6__halfPSL_PKlPlN2at6native12_GLOBAL__N_18offset_tEEE10hipError_tPvRmT1_PNSt15iterator_traitsISZ_E10value_typeET2_T3_PNS10_IS15_E10value_typeET4_jRbjT5_S1B_jjP12ihipStream_tbEUljE_EEESW_SX_SY_S15_S19_S1B_T6_T7_T9_mT8_S1D_bDpT10_ENKUlT_T0_E_clISt17integral_constantIbLb0EES1P_IbLb1EEEEDaS1L_S1M_EUlS1L_E_NS1_11comp_targetILNS1_3genE8ELNS1_11target_archE1030ELNS1_3gpuE2ELNS1_3repE0EEENS1_30default_config_static_selectorELNS0_4arch9wavefront6targetE1EEEvSZ_ ; -- Begin function _ZN7rocprim17ROCPRIM_400000_NS6detail17trampoline_kernelINS0_13select_configILj256ELj13ELNS0_17block_load_methodE3ELS4_3ELS4_3ELNS0_20block_scan_algorithmE0ELj4294967295EEENS1_25partition_config_selectorILNS1_17partition_subalgoE3EjNS0_10empty_typeEbEEZZNS1_14partition_implILS8_3ELb0ES6_jNS0_17counting_iteratorIjlEEPS9_SE_NS0_5tupleIJPjSE_EEENSF_IJSE_SE_EEES9_SG_JZNS1_25segmented_radix_sort_implINS0_14default_configELb1EPK6__halfPSL_PKlPlN2at6native12_GLOBAL__N_18offset_tEEE10hipError_tPvRmT1_PNSt15iterator_traitsISZ_E10value_typeET2_T3_PNS10_IS15_E10value_typeET4_jRbjT5_S1B_jjP12ihipStream_tbEUljE_EEESW_SX_SY_S15_S19_S1B_T6_T7_T9_mT8_S1D_bDpT10_ENKUlT_T0_E_clISt17integral_constantIbLb0EES1P_IbLb1EEEEDaS1L_S1M_EUlS1L_E_NS1_11comp_targetILNS1_3genE8ELNS1_11target_archE1030ELNS1_3gpuE2ELNS1_3repE0EEENS1_30default_config_static_selectorELNS0_4arch9wavefront6targetE1EEEvSZ_
	.p2align	8
	.type	_ZN7rocprim17ROCPRIM_400000_NS6detail17trampoline_kernelINS0_13select_configILj256ELj13ELNS0_17block_load_methodE3ELS4_3ELS4_3ELNS0_20block_scan_algorithmE0ELj4294967295EEENS1_25partition_config_selectorILNS1_17partition_subalgoE3EjNS0_10empty_typeEbEEZZNS1_14partition_implILS8_3ELb0ES6_jNS0_17counting_iteratorIjlEEPS9_SE_NS0_5tupleIJPjSE_EEENSF_IJSE_SE_EEES9_SG_JZNS1_25segmented_radix_sort_implINS0_14default_configELb1EPK6__halfPSL_PKlPlN2at6native12_GLOBAL__N_18offset_tEEE10hipError_tPvRmT1_PNSt15iterator_traitsISZ_E10value_typeET2_T3_PNS10_IS15_E10value_typeET4_jRbjT5_S1B_jjP12ihipStream_tbEUljE_EEESW_SX_SY_S15_S19_S1B_T6_T7_T9_mT8_S1D_bDpT10_ENKUlT_T0_E_clISt17integral_constantIbLb0EES1P_IbLb1EEEEDaS1L_S1M_EUlS1L_E_NS1_11comp_targetILNS1_3genE8ELNS1_11target_archE1030ELNS1_3gpuE2ELNS1_3repE0EEENS1_30default_config_static_selectorELNS0_4arch9wavefront6targetE1EEEvSZ_,@function
_ZN7rocprim17ROCPRIM_400000_NS6detail17trampoline_kernelINS0_13select_configILj256ELj13ELNS0_17block_load_methodE3ELS4_3ELS4_3ELNS0_20block_scan_algorithmE0ELj4294967295EEENS1_25partition_config_selectorILNS1_17partition_subalgoE3EjNS0_10empty_typeEbEEZZNS1_14partition_implILS8_3ELb0ES6_jNS0_17counting_iteratorIjlEEPS9_SE_NS0_5tupleIJPjSE_EEENSF_IJSE_SE_EEES9_SG_JZNS1_25segmented_radix_sort_implINS0_14default_configELb1EPK6__halfPSL_PKlPlN2at6native12_GLOBAL__N_18offset_tEEE10hipError_tPvRmT1_PNSt15iterator_traitsISZ_E10value_typeET2_T3_PNS10_IS15_E10value_typeET4_jRbjT5_S1B_jjP12ihipStream_tbEUljE_EEESW_SX_SY_S15_S19_S1B_T6_T7_T9_mT8_S1D_bDpT10_ENKUlT_T0_E_clISt17integral_constantIbLb0EES1P_IbLb1EEEEDaS1L_S1M_EUlS1L_E_NS1_11comp_targetILNS1_3genE8ELNS1_11target_archE1030ELNS1_3gpuE2ELNS1_3repE0EEENS1_30default_config_static_selectorELNS0_4arch9wavefront6targetE1EEEvSZ_: ; @_ZN7rocprim17ROCPRIM_400000_NS6detail17trampoline_kernelINS0_13select_configILj256ELj13ELNS0_17block_load_methodE3ELS4_3ELS4_3ELNS0_20block_scan_algorithmE0ELj4294967295EEENS1_25partition_config_selectorILNS1_17partition_subalgoE3EjNS0_10empty_typeEbEEZZNS1_14partition_implILS8_3ELb0ES6_jNS0_17counting_iteratorIjlEEPS9_SE_NS0_5tupleIJPjSE_EEENSF_IJSE_SE_EEES9_SG_JZNS1_25segmented_radix_sort_implINS0_14default_configELb1EPK6__halfPSL_PKlPlN2at6native12_GLOBAL__N_18offset_tEEE10hipError_tPvRmT1_PNSt15iterator_traitsISZ_E10value_typeET2_T3_PNS10_IS15_E10value_typeET4_jRbjT5_S1B_jjP12ihipStream_tbEUljE_EEESW_SX_SY_S15_S19_S1B_T6_T7_T9_mT8_S1D_bDpT10_ENKUlT_T0_E_clISt17integral_constantIbLb0EES1P_IbLb1EEEEDaS1L_S1M_EUlS1L_E_NS1_11comp_targetILNS1_3genE8ELNS1_11target_archE1030ELNS1_3gpuE2ELNS1_3repE0EEENS1_30default_config_static_selectorELNS0_4arch9wavefront6targetE1EEEvSZ_
; %bb.0:
	.section	.rodata,"a",@progbits
	.p2align	6, 0x0
	.amdhsa_kernel _ZN7rocprim17ROCPRIM_400000_NS6detail17trampoline_kernelINS0_13select_configILj256ELj13ELNS0_17block_load_methodE3ELS4_3ELS4_3ELNS0_20block_scan_algorithmE0ELj4294967295EEENS1_25partition_config_selectorILNS1_17partition_subalgoE3EjNS0_10empty_typeEbEEZZNS1_14partition_implILS8_3ELb0ES6_jNS0_17counting_iteratorIjlEEPS9_SE_NS0_5tupleIJPjSE_EEENSF_IJSE_SE_EEES9_SG_JZNS1_25segmented_radix_sort_implINS0_14default_configELb1EPK6__halfPSL_PKlPlN2at6native12_GLOBAL__N_18offset_tEEE10hipError_tPvRmT1_PNSt15iterator_traitsISZ_E10value_typeET2_T3_PNS10_IS15_E10value_typeET4_jRbjT5_S1B_jjP12ihipStream_tbEUljE_EEESW_SX_SY_S15_S19_S1B_T6_T7_T9_mT8_S1D_bDpT10_ENKUlT_T0_E_clISt17integral_constantIbLb0EES1P_IbLb1EEEEDaS1L_S1M_EUlS1L_E_NS1_11comp_targetILNS1_3genE8ELNS1_11target_archE1030ELNS1_3gpuE2ELNS1_3repE0EEENS1_30default_config_static_selectorELNS0_4arch9wavefront6targetE1EEEvSZ_
		.amdhsa_group_segment_fixed_size 0
		.amdhsa_private_segment_fixed_size 0
		.amdhsa_kernarg_size 152
		.amdhsa_user_sgpr_count 6
		.amdhsa_user_sgpr_private_segment_buffer 1
		.amdhsa_user_sgpr_dispatch_ptr 0
		.amdhsa_user_sgpr_queue_ptr 0
		.amdhsa_user_sgpr_kernarg_segment_ptr 1
		.amdhsa_user_sgpr_dispatch_id 0
		.amdhsa_user_sgpr_flat_scratch_init 0
		.amdhsa_user_sgpr_kernarg_preload_length 0
		.amdhsa_user_sgpr_kernarg_preload_offset 0
		.amdhsa_user_sgpr_private_segment_size 0
		.amdhsa_uses_dynamic_stack 0
		.amdhsa_system_sgpr_private_segment_wavefront_offset 0
		.amdhsa_system_sgpr_workgroup_id_x 1
		.amdhsa_system_sgpr_workgroup_id_y 0
		.amdhsa_system_sgpr_workgroup_id_z 0
		.amdhsa_system_sgpr_workgroup_info 0
		.amdhsa_system_vgpr_workitem_id 0
		.amdhsa_next_free_vgpr 1
		.amdhsa_next_free_sgpr 0
		.amdhsa_accum_offset 4
		.amdhsa_reserve_vcc 0
		.amdhsa_reserve_flat_scratch 0
		.amdhsa_float_round_mode_32 0
		.amdhsa_float_round_mode_16_64 0
		.amdhsa_float_denorm_mode_32 3
		.amdhsa_float_denorm_mode_16_64 3
		.amdhsa_dx10_clamp 1
		.amdhsa_ieee_mode 1
		.amdhsa_fp16_overflow 0
		.amdhsa_tg_split 0
		.amdhsa_exception_fp_ieee_invalid_op 0
		.amdhsa_exception_fp_denorm_src 0
		.amdhsa_exception_fp_ieee_div_zero 0
		.amdhsa_exception_fp_ieee_overflow 0
		.amdhsa_exception_fp_ieee_underflow 0
		.amdhsa_exception_fp_ieee_inexact 0
		.amdhsa_exception_int_div_zero 0
	.end_amdhsa_kernel
	.section	.text._ZN7rocprim17ROCPRIM_400000_NS6detail17trampoline_kernelINS0_13select_configILj256ELj13ELNS0_17block_load_methodE3ELS4_3ELS4_3ELNS0_20block_scan_algorithmE0ELj4294967295EEENS1_25partition_config_selectorILNS1_17partition_subalgoE3EjNS0_10empty_typeEbEEZZNS1_14partition_implILS8_3ELb0ES6_jNS0_17counting_iteratorIjlEEPS9_SE_NS0_5tupleIJPjSE_EEENSF_IJSE_SE_EEES9_SG_JZNS1_25segmented_radix_sort_implINS0_14default_configELb1EPK6__halfPSL_PKlPlN2at6native12_GLOBAL__N_18offset_tEEE10hipError_tPvRmT1_PNSt15iterator_traitsISZ_E10value_typeET2_T3_PNS10_IS15_E10value_typeET4_jRbjT5_S1B_jjP12ihipStream_tbEUljE_EEESW_SX_SY_S15_S19_S1B_T6_T7_T9_mT8_S1D_bDpT10_ENKUlT_T0_E_clISt17integral_constantIbLb0EES1P_IbLb1EEEEDaS1L_S1M_EUlS1L_E_NS1_11comp_targetILNS1_3genE8ELNS1_11target_archE1030ELNS1_3gpuE2ELNS1_3repE0EEENS1_30default_config_static_selectorELNS0_4arch9wavefront6targetE1EEEvSZ_,"axG",@progbits,_ZN7rocprim17ROCPRIM_400000_NS6detail17trampoline_kernelINS0_13select_configILj256ELj13ELNS0_17block_load_methodE3ELS4_3ELS4_3ELNS0_20block_scan_algorithmE0ELj4294967295EEENS1_25partition_config_selectorILNS1_17partition_subalgoE3EjNS0_10empty_typeEbEEZZNS1_14partition_implILS8_3ELb0ES6_jNS0_17counting_iteratorIjlEEPS9_SE_NS0_5tupleIJPjSE_EEENSF_IJSE_SE_EEES9_SG_JZNS1_25segmented_radix_sort_implINS0_14default_configELb1EPK6__halfPSL_PKlPlN2at6native12_GLOBAL__N_18offset_tEEE10hipError_tPvRmT1_PNSt15iterator_traitsISZ_E10value_typeET2_T3_PNS10_IS15_E10value_typeET4_jRbjT5_S1B_jjP12ihipStream_tbEUljE_EEESW_SX_SY_S15_S19_S1B_T6_T7_T9_mT8_S1D_bDpT10_ENKUlT_T0_E_clISt17integral_constantIbLb0EES1P_IbLb1EEEEDaS1L_S1M_EUlS1L_E_NS1_11comp_targetILNS1_3genE8ELNS1_11target_archE1030ELNS1_3gpuE2ELNS1_3repE0EEENS1_30default_config_static_selectorELNS0_4arch9wavefront6targetE1EEEvSZ_,comdat
.Lfunc_end1736:
	.size	_ZN7rocprim17ROCPRIM_400000_NS6detail17trampoline_kernelINS0_13select_configILj256ELj13ELNS0_17block_load_methodE3ELS4_3ELS4_3ELNS0_20block_scan_algorithmE0ELj4294967295EEENS1_25partition_config_selectorILNS1_17partition_subalgoE3EjNS0_10empty_typeEbEEZZNS1_14partition_implILS8_3ELb0ES6_jNS0_17counting_iteratorIjlEEPS9_SE_NS0_5tupleIJPjSE_EEENSF_IJSE_SE_EEES9_SG_JZNS1_25segmented_radix_sort_implINS0_14default_configELb1EPK6__halfPSL_PKlPlN2at6native12_GLOBAL__N_18offset_tEEE10hipError_tPvRmT1_PNSt15iterator_traitsISZ_E10value_typeET2_T3_PNS10_IS15_E10value_typeET4_jRbjT5_S1B_jjP12ihipStream_tbEUljE_EEESW_SX_SY_S15_S19_S1B_T6_T7_T9_mT8_S1D_bDpT10_ENKUlT_T0_E_clISt17integral_constantIbLb0EES1P_IbLb1EEEEDaS1L_S1M_EUlS1L_E_NS1_11comp_targetILNS1_3genE8ELNS1_11target_archE1030ELNS1_3gpuE2ELNS1_3repE0EEENS1_30default_config_static_selectorELNS0_4arch9wavefront6targetE1EEEvSZ_, .Lfunc_end1736-_ZN7rocprim17ROCPRIM_400000_NS6detail17trampoline_kernelINS0_13select_configILj256ELj13ELNS0_17block_load_methodE3ELS4_3ELS4_3ELNS0_20block_scan_algorithmE0ELj4294967295EEENS1_25partition_config_selectorILNS1_17partition_subalgoE3EjNS0_10empty_typeEbEEZZNS1_14partition_implILS8_3ELb0ES6_jNS0_17counting_iteratorIjlEEPS9_SE_NS0_5tupleIJPjSE_EEENSF_IJSE_SE_EEES9_SG_JZNS1_25segmented_radix_sort_implINS0_14default_configELb1EPK6__halfPSL_PKlPlN2at6native12_GLOBAL__N_18offset_tEEE10hipError_tPvRmT1_PNSt15iterator_traitsISZ_E10value_typeET2_T3_PNS10_IS15_E10value_typeET4_jRbjT5_S1B_jjP12ihipStream_tbEUljE_EEESW_SX_SY_S15_S19_S1B_T6_T7_T9_mT8_S1D_bDpT10_ENKUlT_T0_E_clISt17integral_constantIbLb0EES1P_IbLb1EEEEDaS1L_S1M_EUlS1L_E_NS1_11comp_targetILNS1_3genE8ELNS1_11target_archE1030ELNS1_3gpuE2ELNS1_3repE0EEENS1_30default_config_static_selectorELNS0_4arch9wavefront6targetE1EEEvSZ_
                                        ; -- End function
	.section	.AMDGPU.csdata,"",@progbits
; Kernel info:
; codeLenInByte = 0
; NumSgprs: 4
; NumVgprs: 0
; NumAgprs: 0
; TotalNumVgprs: 0
; ScratchSize: 0
; MemoryBound: 0
; FloatMode: 240
; IeeeMode: 1
; LDSByteSize: 0 bytes/workgroup (compile time only)
; SGPRBlocks: 0
; VGPRBlocks: 0
; NumSGPRsForWavesPerEU: 4
; NumVGPRsForWavesPerEU: 1
; AccumOffset: 4
; Occupancy: 8
; WaveLimiterHint : 0
; COMPUTE_PGM_RSRC2:SCRATCH_EN: 0
; COMPUTE_PGM_RSRC2:USER_SGPR: 6
; COMPUTE_PGM_RSRC2:TRAP_HANDLER: 0
; COMPUTE_PGM_RSRC2:TGID_X_EN: 1
; COMPUTE_PGM_RSRC2:TGID_Y_EN: 0
; COMPUTE_PGM_RSRC2:TGID_Z_EN: 0
; COMPUTE_PGM_RSRC2:TIDIG_COMP_CNT: 0
; COMPUTE_PGM_RSRC3_GFX90A:ACCUM_OFFSET: 0
; COMPUTE_PGM_RSRC3_GFX90A:TG_SPLIT: 0
	.section	.text._ZN7rocprim17ROCPRIM_400000_NS6detail17trampoline_kernelINS0_14default_configENS1_36segmented_radix_sort_config_selectorI6__halflEEZNS1_25segmented_radix_sort_implIS3_Lb1EPKS5_PS5_PKlPlN2at6native12_GLOBAL__N_18offset_tEEE10hipError_tPvRmT1_PNSt15iterator_traitsISL_E10value_typeET2_T3_PNSM_ISR_E10value_typeET4_jRbjT5_SX_jjP12ihipStream_tbEUlT_E_NS1_11comp_targetILNS1_3genE0ELNS1_11target_archE4294967295ELNS1_3gpuE0ELNS1_3repE0EEENS1_30default_config_static_selectorELNS0_4arch9wavefront6targetE1EEEvSL_,"axG",@progbits,_ZN7rocprim17ROCPRIM_400000_NS6detail17trampoline_kernelINS0_14default_configENS1_36segmented_radix_sort_config_selectorI6__halflEEZNS1_25segmented_radix_sort_implIS3_Lb1EPKS5_PS5_PKlPlN2at6native12_GLOBAL__N_18offset_tEEE10hipError_tPvRmT1_PNSt15iterator_traitsISL_E10value_typeET2_T3_PNSM_ISR_E10value_typeET4_jRbjT5_SX_jjP12ihipStream_tbEUlT_E_NS1_11comp_targetILNS1_3genE0ELNS1_11target_archE4294967295ELNS1_3gpuE0ELNS1_3repE0EEENS1_30default_config_static_selectorELNS0_4arch9wavefront6targetE1EEEvSL_,comdat
	.globl	_ZN7rocprim17ROCPRIM_400000_NS6detail17trampoline_kernelINS0_14default_configENS1_36segmented_radix_sort_config_selectorI6__halflEEZNS1_25segmented_radix_sort_implIS3_Lb1EPKS5_PS5_PKlPlN2at6native12_GLOBAL__N_18offset_tEEE10hipError_tPvRmT1_PNSt15iterator_traitsISL_E10value_typeET2_T3_PNSM_ISR_E10value_typeET4_jRbjT5_SX_jjP12ihipStream_tbEUlT_E_NS1_11comp_targetILNS1_3genE0ELNS1_11target_archE4294967295ELNS1_3gpuE0ELNS1_3repE0EEENS1_30default_config_static_selectorELNS0_4arch9wavefront6targetE1EEEvSL_ ; -- Begin function _ZN7rocprim17ROCPRIM_400000_NS6detail17trampoline_kernelINS0_14default_configENS1_36segmented_radix_sort_config_selectorI6__halflEEZNS1_25segmented_radix_sort_implIS3_Lb1EPKS5_PS5_PKlPlN2at6native12_GLOBAL__N_18offset_tEEE10hipError_tPvRmT1_PNSt15iterator_traitsISL_E10value_typeET2_T3_PNSM_ISR_E10value_typeET4_jRbjT5_SX_jjP12ihipStream_tbEUlT_E_NS1_11comp_targetILNS1_3genE0ELNS1_11target_archE4294967295ELNS1_3gpuE0ELNS1_3repE0EEENS1_30default_config_static_selectorELNS0_4arch9wavefront6targetE1EEEvSL_
	.p2align	8
	.type	_ZN7rocprim17ROCPRIM_400000_NS6detail17trampoline_kernelINS0_14default_configENS1_36segmented_radix_sort_config_selectorI6__halflEEZNS1_25segmented_radix_sort_implIS3_Lb1EPKS5_PS5_PKlPlN2at6native12_GLOBAL__N_18offset_tEEE10hipError_tPvRmT1_PNSt15iterator_traitsISL_E10value_typeET2_T3_PNSM_ISR_E10value_typeET4_jRbjT5_SX_jjP12ihipStream_tbEUlT_E_NS1_11comp_targetILNS1_3genE0ELNS1_11target_archE4294967295ELNS1_3gpuE0ELNS1_3repE0EEENS1_30default_config_static_selectorELNS0_4arch9wavefront6targetE1EEEvSL_,@function
_ZN7rocprim17ROCPRIM_400000_NS6detail17trampoline_kernelINS0_14default_configENS1_36segmented_radix_sort_config_selectorI6__halflEEZNS1_25segmented_radix_sort_implIS3_Lb1EPKS5_PS5_PKlPlN2at6native12_GLOBAL__N_18offset_tEEE10hipError_tPvRmT1_PNSt15iterator_traitsISL_E10value_typeET2_T3_PNSM_ISR_E10value_typeET4_jRbjT5_SX_jjP12ihipStream_tbEUlT_E_NS1_11comp_targetILNS1_3genE0ELNS1_11target_archE4294967295ELNS1_3gpuE0ELNS1_3repE0EEENS1_30default_config_static_selectorELNS0_4arch9wavefront6targetE1EEEvSL_: ; @_ZN7rocprim17ROCPRIM_400000_NS6detail17trampoline_kernelINS0_14default_configENS1_36segmented_radix_sort_config_selectorI6__halflEEZNS1_25segmented_radix_sort_implIS3_Lb1EPKS5_PS5_PKlPlN2at6native12_GLOBAL__N_18offset_tEEE10hipError_tPvRmT1_PNSt15iterator_traitsISL_E10value_typeET2_T3_PNSM_ISR_E10value_typeET4_jRbjT5_SX_jjP12ihipStream_tbEUlT_E_NS1_11comp_targetILNS1_3genE0ELNS1_11target_archE4294967295ELNS1_3gpuE0ELNS1_3repE0EEENS1_30default_config_static_selectorELNS0_4arch9wavefront6targetE1EEEvSL_
; %bb.0:
	.section	.rodata,"a",@progbits
	.p2align	6, 0x0
	.amdhsa_kernel _ZN7rocprim17ROCPRIM_400000_NS6detail17trampoline_kernelINS0_14default_configENS1_36segmented_radix_sort_config_selectorI6__halflEEZNS1_25segmented_radix_sort_implIS3_Lb1EPKS5_PS5_PKlPlN2at6native12_GLOBAL__N_18offset_tEEE10hipError_tPvRmT1_PNSt15iterator_traitsISL_E10value_typeET2_T3_PNSM_ISR_E10value_typeET4_jRbjT5_SX_jjP12ihipStream_tbEUlT_E_NS1_11comp_targetILNS1_3genE0ELNS1_11target_archE4294967295ELNS1_3gpuE0ELNS1_3repE0EEENS1_30default_config_static_selectorELNS0_4arch9wavefront6targetE1EEEvSL_
		.amdhsa_group_segment_fixed_size 0
		.amdhsa_private_segment_fixed_size 0
		.amdhsa_kernarg_size 96
		.amdhsa_user_sgpr_count 6
		.amdhsa_user_sgpr_private_segment_buffer 1
		.amdhsa_user_sgpr_dispatch_ptr 0
		.amdhsa_user_sgpr_queue_ptr 0
		.amdhsa_user_sgpr_kernarg_segment_ptr 1
		.amdhsa_user_sgpr_dispatch_id 0
		.amdhsa_user_sgpr_flat_scratch_init 0
		.amdhsa_user_sgpr_kernarg_preload_length 0
		.amdhsa_user_sgpr_kernarg_preload_offset 0
		.amdhsa_user_sgpr_private_segment_size 0
		.amdhsa_uses_dynamic_stack 0
		.amdhsa_system_sgpr_private_segment_wavefront_offset 0
		.amdhsa_system_sgpr_workgroup_id_x 1
		.amdhsa_system_sgpr_workgroup_id_y 0
		.amdhsa_system_sgpr_workgroup_id_z 0
		.amdhsa_system_sgpr_workgroup_info 0
		.amdhsa_system_vgpr_workitem_id 0
		.amdhsa_next_free_vgpr 1
		.amdhsa_next_free_sgpr 0
		.amdhsa_accum_offset 4
		.amdhsa_reserve_vcc 0
		.amdhsa_reserve_flat_scratch 0
		.amdhsa_float_round_mode_32 0
		.amdhsa_float_round_mode_16_64 0
		.amdhsa_float_denorm_mode_32 3
		.amdhsa_float_denorm_mode_16_64 3
		.amdhsa_dx10_clamp 1
		.amdhsa_ieee_mode 1
		.amdhsa_fp16_overflow 0
		.amdhsa_tg_split 0
		.amdhsa_exception_fp_ieee_invalid_op 0
		.amdhsa_exception_fp_denorm_src 0
		.amdhsa_exception_fp_ieee_div_zero 0
		.amdhsa_exception_fp_ieee_overflow 0
		.amdhsa_exception_fp_ieee_underflow 0
		.amdhsa_exception_fp_ieee_inexact 0
		.amdhsa_exception_int_div_zero 0
	.end_amdhsa_kernel
	.section	.text._ZN7rocprim17ROCPRIM_400000_NS6detail17trampoline_kernelINS0_14default_configENS1_36segmented_radix_sort_config_selectorI6__halflEEZNS1_25segmented_radix_sort_implIS3_Lb1EPKS5_PS5_PKlPlN2at6native12_GLOBAL__N_18offset_tEEE10hipError_tPvRmT1_PNSt15iterator_traitsISL_E10value_typeET2_T3_PNSM_ISR_E10value_typeET4_jRbjT5_SX_jjP12ihipStream_tbEUlT_E_NS1_11comp_targetILNS1_3genE0ELNS1_11target_archE4294967295ELNS1_3gpuE0ELNS1_3repE0EEENS1_30default_config_static_selectorELNS0_4arch9wavefront6targetE1EEEvSL_,"axG",@progbits,_ZN7rocprim17ROCPRIM_400000_NS6detail17trampoline_kernelINS0_14default_configENS1_36segmented_radix_sort_config_selectorI6__halflEEZNS1_25segmented_radix_sort_implIS3_Lb1EPKS5_PS5_PKlPlN2at6native12_GLOBAL__N_18offset_tEEE10hipError_tPvRmT1_PNSt15iterator_traitsISL_E10value_typeET2_T3_PNSM_ISR_E10value_typeET4_jRbjT5_SX_jjP12ihipStream_tbEUlT_E_NS1_11comp_targetILNS1_3genE0ELNS1_11target_archE4294967295ELNS1_3gpuE0ELNS1_3repE0EEENS1_30default_config_static_selectorELNS0_4arch9wavefront6targetE1EEEvSL_,comdat
.Lfunc_end1737:
	.size	_ZN7rocprim17ROCPRIM_400000_NS6detail17trampoline_kernelINS0_14default_configENS1_36segmented_radix_sort_config_selectorI6__halflEEZNS1_25segmented_radix_sort_implIS3_Lb1EPKS5_PS5_PKlPlN2at6native12_GLOBAL__N_18offset_tEEE10hipError_tPvRmT1_PNSt15iterator_traitsISL_E10value_typeET2_T3_PNSM_ISR_E10value_typeET4_jRbjT5_SX_jjP12ihipStream_tbEUlT_E_NS1_11comp_targetILNS1_3genE0ELNS1_11target_archE4294967295ELNS1_3gpuE0ELNS1_3repE0EEENS1_30default_config_static_selectorELNS0_4arch9wavefront6targetE1EEEvSL_, .Lfunc_end1737-_ZN7rocprim17ROCPRIM_400000_NS6detail17trampoline_kernelINS0_14default_configENS1_36segmented_radix_sort_config_selectorI6__halflEEZNS1_25segmented_radix_sort_implIS3_Lb1EPKS5_PS5_PKlPlN2at6native12_GLOBAL__N_18offset_tEEE10hipError_tPvRmT1_PNSt15iterator_traitsISL_E10value_typeET2_T3_PNSM_ISR_E10value_typeET4_jRbjT5_SX_jjP12ihipStream_tbEUlT_E_NS1_11comp_targetILNS1_3genE0ELNS1_11target_archE4294967295ELNS1_3gpuE0ELNS1_3repE0EEENS1_30default_config_static_selectorELNS0_4arch9wavefront6targetE1EEEvSL_
                                        ; -- End function
	.section	.AMDGPU.csdata,"",@progbits
; Kernel info:
; codeLenInByte = 0
; NumSgprs: 4
; NumVgprs: 0
; NumAgprs: 0
; TotalNumVgprs: 0
; ScratchSize: 0
; MemoryBound: 0
; FloatMode: 240
; IeeeMode: 1
; LDSByteSize: 0 bytes/workgroup (compile time only)
; SGPRBlocks: 0
; VGPRBlocks: 0
; NumSGPRsForWavesPerEU: 4
; NumVGPRsForWavesPerEU: 1
; AccumOffset: 4
; Occupancy: 8
; WaveLimiterHint : 0
; COMPUTE_PGM_RSRC2:SCRATCH_EN: 0
; COMPUTE_PGM_RSRC2:USER_SGPR: 6
; COMPUTE_PGM_RSRC2:TRAP_HANDLER: 0
; COMPUTE_PGM_RSRC2:TGID_X_EN: 1
; COMPUTE_PGM_RSRC2:TGID_Y_EN: 0
; COMPUTE_PGM_RSRC2:TGID_Z_EN: 0
; COMPUTE_PGM_RSRC2:TIDIG_COMP_CNT: 0
; COMPUTE_PGM_RSRC3_GFX90A:ACCUM_OFFSET: 0
; COMPUTE_PGM_RSRC3_GFX90A:TG_SPLIT: 0
	.section	.text._ZN7rocprim17ROCPRIM_400000_NS6detail17trampoline_kernelINS0_14default_configENS1_36segmented_radix_sort_config_selectorI6__halflEEZNS1_25segmented_radix_sort_implIS3_Lb1EPKS5_PS5_PKlPlN2at6native12_GLOBAL__N_18offset_tEEE10hipError_tPvRmT1_PNSt15iterator_traitsISL_E10value_typeET2_T3_PNSM_ISR_E10value_typeET4_jRbjT5_SX_jjP12ihipStream_tbEUlT_E_NS1_11comp_targetILNS1_3genE5ELNS1_11target_archE942ELNS1_3gpuE9ELNS1_3repE0EEENS1_30default_config_static_selectorELNS0_4arch9wavefront6targetE1EEEvSL_,"axG",@progbits,_ZN7rocprim17ROCPRIM_400000_NS6detail17trampoline_kernelINS0_14default_configENS1_36segmented_radix_sort_config_selectorI6__halflEEZNS1_25segmented_radix_sort_implIS3_Lb1EPKS5_PS5_PKlPlN2at6native12_GLOBAL__N_18offset_tEEE10hipError_tPvRmT1_PNSt15iterator_traitsISL_E10value_typeET2_T3_PNSM_ISR_E10value_typeET4_jRbjT5_SX_jjP12ihipStream_tbEUlT_E_NS1_11comp_targetILNS1_3genE5ELNS1_11target_archE942ELNS1_3gpuE9ELNS1_3repE0EEENS1_30default_config_static_selectorELNS0_4arch9wavefront6targetE1EEEvSL_,comdat
	.globl	_ZN7rocprim17ROCPRIM_400000_NS6detail17trampoline_kernelINS0_14default_configENS1_36segmented_radix_sort_config_selectorI6__halflEEZNS1_25segmented_radix_sort_implIS3_Lb1EPKS5_PS5_PKlPlN2at6native12_GLOBAL__N_18offset_tEEE10hipError_tPvRmT1_PNSt15iterator_traitsISL_E10value_typeET2_T3_PNSM_ISR_E10value_typeET4_jRbjT5_SX_jjP12ihipStream_tbEUlT_E_NS1_11comp_targetILNS1_3genE5ELNS1_11target_archE942ELNS1_3gpuE9ELNS1_3repE0EEENS1_30default_config_static_selectorELNS0_4arch9wavefront6targetE1EEEvSL_ ; -- Begin function _ZN7rocprim17ROCPRIM_400000_NS6detail17trampoline_kernelINS0_14default_configENS1_36segmented_radix_sort_config_selectorI6__halflEEZNS1_25segmented_radix_sort_implIS3_Lb1EPKS5_PS5_PKlPlN2at6native12_GLOBAL__N_18offset_tEEE10hipError_tPvRmT1_PNSt15iterator_traitsISL_E10value_typeET2_T3_PNSM_ISR_E10value_typeET4_jRbjT5_SX_jjP12ihipStream_tbEUlT_E_NS1_11comp_targetILNS1_3genE5ELNS1_11target_archE942ELNS1_3gpuE9ELNS1_3repE0EEENS1_30default_config_static_selectorELNS0_4arch9wavefront6targetE1EEEvSL_
	.p2align	8
	.type	_ZN7rocprim17ROCPRIM_400000_NS6detail17trampoline_kernelINS0_14default_configENS1_36segmented_radix_sort_config_selectorI6__halflEEZNS1_25segmented_radix_sort_implIS3_Lb1EPKS5_PS5_PKlPlN2at6native12_GLOBAL__N_18offset_tEEE10hipError_tPvRmT1_PNSt15iterator_traitsISL_E10value_typeET2_T3_PNSM_ISR_E10value_typeET4_jRbjT5_SX_jjP12ihipStream_tbEUlT_E_NS1_11comp_targetILNS1_3genE5ELNS1_11target_archE942ELNS1_3gpuE9ELNS1_3repE0EEENS1_30default_config_static_selectorELNS0_4arch9wavefront6targetE1EEEvSL_,@function
_ZN7rocprim17ROCPRIM_400000_NS6detail17trampoline_kernelINS0_14default_configENS1_36segmented_radix_sort_config_selectorI6__halflEEZNS1_25segmented_radix_sort_implIS3_Lb1EPKS5_PS5_PKlPlN2at6native12_GLOBAL__N_18offset_tEEE10hipError_tPvRmT1_PNSt15iterator_traitsISL_E10value_typeET2_T3_PNSM_ISR_E10value_typeET4_jRbjT5_SX_jjP12ihipStream_tbEUlT_E_NS1_11comp_targetILNS1_3genE5ELNS1_11target_archE942ELNS1_3gpuE9ELNS1_3repE0EEENS1_30default_config_static_selectorELNS0_4arch9wavefront6targetE1EEEvSL_: ; @_ZN7rocprim17ROCPRIM_400000_NS6detail17trampoline_kernelINS0_14default_configENS1_36segmented_radix_sort_config_selectorI6__halflEEZNS1_25segmented_radix_sort_implIS3_Lb1EPKS5_PS5_PKlPlN2at6native12_GLOBAL__N_18offset_tEEE10hipError_tPvRmT1_PNSt15iterator_traitsISL_E10value_typeET2_T3_PNSM_ISR_E10value_typeET4_jRbjT5_SX_jjP12ihipStream_tbEUlT_E_NS1_11comp_targetILNS1_3genE5ELNS1_11target_archE942ELNS1_3gpuE9ELNS1_3repE0EEENS1_30default_config_static_selectorELNS0_4arch9wavefront6targetE1EEEvSL_
; %bb.0:
	.section	.rodata,"a",@progbits
	.p2align	6, 0x0
	.amdhsa_kernel _ZN7rocprim17ROCPRIM_400000_NS6detail17trampoline_kernelINS0_14default_configENS1_36segmented_radix_sort_config_selectorI6__halflEEZNS1_25segmented_radix_sort_implIS3_Lb1EPKS5_PS5_PKlPlN2at6native12_GLOBAL__N_18offset_tEEE10hipError_tPvRmT1_PNSt15iterator_traitsISL_E10value_typeET2_T3_PNSM_ISR_E10value_typeET4_jRbjT5_SX_jjP12ihipStream_tbEUlT_E_NS1_11comp_targetILNS1_3genE5ELNS1_11target_archE942ELNS1_3gpuE9ELNS1_3repE0EEENS1_30default_config_static_selectorELNS0_4arch9wavefront6targetE1EEEvSL_
		.amdhsa_group_segment_fixed_size 0
		.amdhsa_private_segment_fixed_size 0
		.amdhsa_kernarg_size 96
		.amdhsa_user_sgpr_count 6
		.amdhsa_user_sgpr_private_segment_buffer 1
		.amdhsa_user_sgpr_dispatch_ptr 0
		.amdhsa_user_sgpr_queue_ptr 0
		.amdhsa_user_sgpr_kernarg_segment_ptr 1
		.amdhsa_user_sgpr_dispatch_id 0
		.amdhsa_user_sgpr_flat_scratch_init 0
		.amdhsa_user_sgpr_kernarg_preload_length 0
		.amdhsa_user_sgpr_kernarg_preload_offset 0
		.amdhsa_user_sgpr_private_segment_size 0
		.amdhsa_uses_dynamic_stack 0
		.amdhsa_system_sgpr_private_segment_wavefront_offset 0
		.amdhsa_system_sgpr_workgroup_id_x 1
		.amdhsa_system_sgpr_workgroup_id_y 0
		.amdhsa_system_sgpr_workgroup_id_z 0
		.amdhsa_system_sgpr_workgroup_info 0
		.amdhsa_system_vgpr_workitem_id 0
		.amdhsa_next_free_vgpr 1
		.amdhsa_next_free_sgpr 0
		.amdhsa_accum_offset 4
		.amdhsa_reserve_vcc 0
		.amdhsa_reserve_flat_scratch 0
		.amdhsa_float_round_mode_32 0
		.amdhsa_float_round_mode_16_64 0
		.amdhsa_float_denorm_mode_32 3
		.amdhsa_float_denorm_mode_16_64 3
		.amdhsa_dx10_clamp 1
		.amdhsa_ieee_mode 1
		.amdhsa_fp16_overflow 0
		.amdhsa_tg_split 0
		.amdhsa_exception_fp_ieee_invalid_op 0
		.amdhsa_exception_fp_denorm_src 0
		.amdhsa_exception_fp_ieee_div_zero 0
		.amdhsa_exception_fp_ieee_overflow 0
		.amdhsa_exception_fp_ieee_underflow 0
		.amdhsa_exception_fp_ieee_inexact 0
		.amdhsa_exception_int_div_zero 0
	.end_amdhsa_kernel
	.section	.text._ZN7rocprim17ROCPRIM_400000_NS6detail17trampoline_kernelINS0_14default_configENS1_36segmented_radix_sort_config_selectorI6__halflEEZNS1_25segmented_radix_sort_implIS3_Lb1EPKS5_PS5_PKlPlN2at6native12_GLOBAL__N_18offset_tEEE10hipError_tPvRmT1_PNSt15iterator_traitsISL_E10value_typeET2_T3_PNSM_ISR_E10value_typeET4_jRbjT5_SX_jjP12ihipStream_tbEUlT_E_NS1_11comp_targetILNS1_3genE5ELNS1_11target_archE942ELNS1_3gpuE9ELNS1_3repE0EEENS1_30default_config_static_selectorELNS0_4arch9wavefront6targetE1EEEvSL_,"axG",@progbits,_ZN7rocprim17ROCPRIM_400000_NS6detail17trampoline_kernelINS0_14default_configENS1_36segmented_radix_sort_config_selectorI6__halflEEZNS1_25segmented_radix_sort_implIS3_Lb1EPKS5_PS5_PKlPlN2at6native12_GLOBAL__N_18offset_tEEE10hipError_tPvRmT1_PNSt15iterator_traitsISL_E10value_typeET2_T3_PNSM_ISR_E10value_typeET4_jRbjT5_SX_jjP12ihipStream_tbEUlT_E_NS1_11comp_targetILNS1_3genE5ELNS1_11target_archE942ELNS1_3gpuE9ELNS1_3repE0EEENS1_30default_config_static_selectorELNS0_4arch9wavefront6targetE1EEEvSL_,comdat
.Lfunc_end1738:
	.size	_ZN7rocprim17ROCPRIM_400000_NS6detail17trampoline_kernelINS0_14default_configENS1_36segmented_radix_sort_config_selectorI6__halflEEZNS1_25segmented_radix_sort_implIS3_Lb1EPKS5_PS5_PKlPlN2at6native12_GLOBAL__N_18offset_tEEE10hipError_tPvRmT1_PNSt15iterator_traitsISL_E10value_typeET2_T3_PNSM_ISR_E10value_typeET4_jRbjT5_SX_jjP12ihipStream_tbEUlT_E_NS1_11comp_targetILNS1_3genE5ELNS1_11target_archE942ELNS1_3gpuE9ELNS1_3repE0EEENS1_30default_config_static_selectorELNS0_4arch9wavefront6targetE1EEEvSL_, .Lfunc_end1738-_ZN7rocprim17ROCPRIM_400000_NS6detail17trampoline_kernelINS0_14default_configENS1_36segmented_radix_sort_config_selectorI6__halflEEZNS1_25segmented_radix_sort_implIS3_Lb1EPKS5_PS5_PKlPlN2at6native12_GLOBAL__N_18offset_tEEE10hipError_tPvRmT1_PNSt15iterator_traitsISL_E10value_typeET2_T3_PNSM_ISR_E10value_typeET4_jRbjT5_SX_jjP12ihipStream_tbEUlT_E_NS1_11comp_targetILNS1_3genE5ELNS1_11target_archE942ELNS1_3gpuE9ELNS1_3repE0EEENS1_30default_config_static_selectorELNS0_4arch9wavefront6targetE1EEEvSL_
                                        ; -- End function
	.section	.AMDGPU.csdata,"",@progbits
; Kernel info:
; codeLenInByte = 0
; NumSgprs: 4
; NumVgprs: 0
; NumAgprs: 0
; TotalNumVgprs: 0
; ScratchSize: 0
; MemoryBound: 0
; FloatMode: 240
; IeeeMode: 1
; LDSByteSize: 0 bytes/workgroup (compile time only)
; SGPRBlocks: 0
; VGPRBlocks: 0
; NumSGPRsForWavesPerEU: 4
; NumVGPRsForWavesPerEU: 1
; AccumOffset: 4
; Occupancy: 8
; WaveLimiterHint : 0
; COMPUTE_PGM_RSRC2:SCRATCH_EN: 0
; COMPUTE_PGM_RSRC2:USER_SGPR: 6
; COMPUTE_PGM_RSRC2:TRAP_HANDLER: 0
; COMPUTE_PGM_RSRC2:TGID_X_EN: 1
; COMPUTE_PGM_RSRC2:TGID_Y_EN: 0
; COMPUTE_PGM_RSRC2:TGID_Z_EN: 0
; COMPUTE_PGM_RSRC2:TIDIG_COMP_CNT: 0
; COMPUTE_PGM_RSRC3_GFX90A:ACCUM_OFFSET: 0
; COMPUTE_PGM_RSRC3_GFX90A:TG_SPLIT: 0
	.text
	.p2align	2                               ; -- Begin function _ZN7rocprim17ROCPRIM_400000_NS6detail40segmented_radix_sort_single_block_helperI6__halflLj256ELj8ELb1EE4sortIPKS3_PS3_PKlPlEEbT_T0_T1_T2_jjjjRNS4_12storage_typeE
	.type	_ZN7rocprim17ROCPRIM_400000_NS6detail40segmented_radix_sort_single_block_helperI6__halflLj256ELj8ELb1EE4sortIPKS3_PS3_PKlPlEEbT_T0_T1_T2_jjjjRNS4_12storage_typeE,@function
_ZN7rocprim17ROCPRIM_400000_NS6detail40segmented_radix_sort_single_block_helperI6__halflLj256ELj8ELb1EE4sortIPKS3_PS3_PKlPlEEbT_T0_T1_T2_jjjjRNS4_12storage_typeE: ; @_ZN7rocprim17ROCPRIM_400000_NS6detail40segmented_radix_sort_single_block_helperI6__halflLj256ELj8ELb1EE4sortIPKS3_PS3_PKlPlEEbT_T0_T1_T2_jjjjRNS4_12storage_typeE
; %bb.0:
	s_waitcnt vmcnt(0) expcnt(0) lgkmcnt(0)
	s_or_saveexec_b64 s[4:5], -1
	buffer_store_dword v40, off, s[0:3], s32 ; 4-byte Folded Spill
	s_mov_b64 exec, s[4:5]
	v_writelane_b32 v40, s34, 0
	v_writelane_b32 v40, s35, 1
	v_writelane_b32 v40, s36, 2
	v_writelane_b32 v40, s37, 3
	v_writelane_b32 v40, s38, 4
	v_writelane_b32 v40, s39, 5
	v_writelane_b32 v40, s40, 6
	v_writelane_b32 v40, s41, 7
	v_writelane_b32 v40, s42, 8
	v_writelane_b32 v40, s43, 9
	v_writelane_b32 v40, s44, 10
	v_writelane_b32 v40, s45, 11
	v_writelane_b32 v40, s46, 12
	v_writelane_b32 v40, s47, 13
	v_writelane_b32 v40, s30, 14
	v_writelane_b32 v40, s31, 15
	v_sub_u32_e32 v148, v9, v8
	s_movk_i32 s4, 0x801
	v_cmp_gt_u32_e32 vcc, s4, v148
	s_and_saveexec_b64 s[38:39], vcc
	s_cbranch_execz .LBB1739_199
; %bb.1:
	s_movk_i32 s4, 0x400
	v_cmp_lt_u32_e32 vcc, s4, v148
	v_bfe_u32 v16, v31, 10, 10
	v_bfe_u32 v17, v31, 20, 10
	v_mbcnt_lo_u32_b32 v14, -1, 0
	s_and_saveexec_b64 s[4:5], vcc
	s_xor_b64 s[40:41], exec, s[4:5]
	s_cbranch_execz .LBB1739_79
; %bb.2:
	s_load_dwordx2 s[4:5], s[8:9], 0x0
	v_mov_b32_e32 v9, 0
	v_mbcnt_hi_u32_b32 v28, -1, v14
	v_lshlrev_b64 v[20:21], 1, v[8:9]
	v_and_b32_e32 v29, 63, v28
	s_waitcnt lgkmcnt(0)
	s_cmp_lt_u32 s12, s4
	s_cselect_b32 s6, 12, 18
	s_cmp_lt_u32 s13, s5
	s_cselect_b32 s4, 14, 20
	s_add_u32 s4, s8, s4
	s_addc_u32 s5, s9, 0
	s_add_u32 s6, s8, s6
	global_load_ushort v18, v9, s[4:5]
	s_addc_u32 s7, s9, 0
	global_load_ushort v19, v9, s[6:7]
	v_add_co_u32_e32 v0, vcc, v0, v20
	v_addc_co_u32_e32 v1, vcc, v1, v21, vcc
	v_lshlrev_b32_e32 v14, 1, v29
	v_and_b32_e32 v22, 0x3ff, v31
	v_mov_b32_e32 v23, -1
	v_add_co_u32_e32 v24, vcc, v0, v14
	v_addc_co_u32_e32 v25, vcc, 0, v1, vcc
	v_mov_b32_e32 v15, v9
	s_waitcnt vmcnt(1)
	v_mad_u32_u24 v0, v17, v18, v16
	s_waitcnt vmcnt(0)
	v_mad_u64_u32 v[0:1], s[4:5], v0, v19, v[22:23]
	v_lshlrev_b32_e32 v1, 3, v0
	v_and_b32_e32 v14, 0xfffffe00, v1
	v_lshlrev_b64 v[16:17], 1, v[14:15]
	v_add_co_u32_e32 v16, vcc, v24, v16
	v_or_b32_e32 v1, v14, v29
	v_addc_co_u32_e32 v17, vcc, v25, v17, vcc
	v_cmp_lt_u32_e32 vcc, v1, v148
	v_mov_b32_e32 v24, -1
	s_and_saveexec_b64 s[4:5], vcc
	s_cbranch_execz .LBB1739_4
; %bb.3:
	flat_load_ushort v24, v[16:17]
.LBB1739_4:
	s_or_b64 exec, exec, s[4:5]
	v_or_b32_e32 v18, 64, v1
	v_cmp_lt_u32_e64 s[4:5], v18, v148
	s_and_saveexec_b64 s[6:7], s[4:5]
	s_cbranch_execz .LBB1739_6
; %bb.5:
	flat_load_ushort v23, v[16:17] offset:128
.LBB1739_6:
	s_or_b64 exec, exec, s[6:7]
	v_or_b32_e32 v18, 0x80, v1
	v_cmp_lt_u32_e64 s[6:7], v18, v148
	v_mov_b32_e32 v25, -1
	v_mov_b32_e32 v26, -1
	s_and_saveexec_b64 s[10:11], s[6:7]
	s_cbranch_execz .LBB1739_8
; %bb.7:
	flat_load_ushort v26, v[16:17] offset:256
.LBB1739_8:
	s_or_b64 exec, exec, s[10:11]
	v_or_b32_e32 v18, 0xc0, v1
	v_cmp_lt_u32_e64 s[10:11], v18, v148
	s_and_saveexec_b64 s[14:15], s[10:11]
	s_cbranch_execz .LBB1739_10
; %bb.9:
	flat_load_ushort v25, v[16:17] offset:384
.LBB1739_10:
	s_or_b64 exec, exec, s[14:15]
	v_or_b32_e32 v18, 0x100, v1
	v_cmp_lt_u32_e64 s[20:21], v18, v148
	v_mov_b32_e32 v27, -1
	v_mov_b32_e32 v30, -1
	s_and_saveexec_b64 s[14:15], s[20:21]
	s_cbranch_execz .LBB1739_12
; %bb.11:
	flat_load_ushort v30, v[16:17] offset:512
.LBB1739_12:
	;; [unrolled: 18-line block ×3, first 2 shown]
	s_or_b64 exec, exec, s[18:19]
	v_or_b32_e32 v1, 0x1c0, v1
	v_cmp_lt_u32_e64 s[18:19], v1, v148
	s_and_saveexec_b64 s[22:23], s[18:19]
	s_cbranch_execz .LBB1739_18
; %bb.17:
	flat_load_ushort v31, v[16:17] offset:896
.LBB1739_18:
	s_or_b64 exec, exec, s[22:23]
	v_lshlrev_b64 v[8:9], 3, v[8:9]
	v_add_co_u32_e64 v1, s[22:23], v4, v8
	v_addc_co_u32_e64 v4, s[22:23], v5, v9, s[22:23]
	v_lshlrev_b32_e32 v5, 3, v29
	v_add_co_u32_e64 v1, s[22:23], v1, v5
	v_addc_co_u32_e64 v16, s[22:23], 0, v4, s[22:23]
	v_lshlrev_b64 v[4:5], 3, v[14:15]
	v_add_co_u32_e64 v4, s[22:23], v1, v4
	v_addc_co_u32_e64 v5, s[22:23], v16, v5, s[22:23]
                                        ; implicit-def: $vgpr16_vgpr17
	s_and_saveexec_b64 s[22:23], vcc
	s_cbranch_execnz .LBB1739_112
; %bb.19:
	s_or_b64 exec, exec, s[22:23]
                                        ; implicit-def: $vgpr18_vgpr19
	s_and_saveexec_b64 s[22:23], s[4:5]
	s_cbranch_execnz .LBB1739_113
.LBB1739_20:
	s_or_b64 exec, exec, s[22:23]
                                        ; implicit-def: $vgpr66_vgpr67
	s_and_saveexec_b64 s[4:5], s[6:7]
	s_cbranch_execnz .LBB1739_114
.LBB1739_21:
	s_or_b64 exec, exec, s[4:5]
                                        ; implicit-def: $vgpr68_vgpr69
	s_and_saveexec_b64 s[4:5], s[10:11]
	s_cbranch_execnz .LBB1739_115
.LBB1739_22:
	s_or_b64 exec, exec, s[4:5]
                                        ; implicit-def: $vgpr80_vgpr81
	s_and_saveexec_b64 s[4:5], s[20:21]
	s_cbranch_execnz .LBB1739_116
.LBB1739_23:
	s_or_b64 exec, exec, s[4:5]
                                        ; implicit-def: $vgpr86_vgpr87
	s_and_saveexec_b64 s[4:5], s[14:15]
	s_cbranch_execnz .LBB1739_117
.LBB1739_24:
	s_or_b64 exec, exec, s[4:5]
                                        ; implicit-def: $vgpr102_vgpr103
	s_and_saveexec_b64 s[4:5], s[16:17]
	s_cbranch_execnz .LBB1739_118
.LBB1739_25:
	s_or_b64 exec, exec, s[4:5]
                                        ; implicit-def: $vgpr114_vgpr115
	s_and_saveexec_b64 s[4:5], s[18:19]
	s_cbranch_execz .LBB1739_27
.LBB1739_26:
	flat_load_dwordx2 v[114:115], v[4:5] offset:3584
.LBB1739_27:
	s_or_b64 exec, exec, s[4:5]
	v_mov_b32_e32 v1, 0x7fff
	s_waitcnt vmcnt(0) lgkmcnt(0)
	v_cmp_gt_i16_e32 vcc, 0, v24
	v_cndmask_b32_e64 v4, v1, 0, vcc
	v_cmp_gt_i16_e32 vcc, 0, v23
	v_xor_b32_e32 v71, v4, v24
	v_cndmask_b32_e64 v4, v1, 0, vcc
	v_cmp_gt_i16_e32 vcc, 0, v26
	v_xor_b32_e32 v83, v4, v23
	;; [unrolled: 3-line block ×7, first 2 shown]
	v_cndmask_b32_e64 v4, v1, 0, vcc
	v_add_co_u32_e32 v23, vcc, 16, v12
	v_xor_b32_e32 v177, v4, v31
	v_addc_co_u32_e32 v149, vcc, 0, v13, vcc
	v_lshlrev_b32_e32 v4, 4, v22
	v_add_co_u32_e32 v4, vcc, v12, v4
	s_getpc_b64 s[4:5]
	s_add_u32 s4, s4, _ZN7rocprim17ROCPRIM_400000_NS16block_radix_sortI6__halfLj256ELj8ElLj1ELj1ELj8ELNS0_26block_radix_rank_algorithmE2ELNS0_18block_padding_hintE2ELNS0_4arch9wavefront6targetE1EE19radix_bits_per_passE@rel32@lo+4
	s_addc_u32 s5, s5, _ZN7rocprim17ROCPRIM_400000_NS16block_radix_sortI6__halfLj256ELj8ElLj1ELj1ELj8ELNS0_26block_radix_rank_algorithmE2ELNS0_18block_padding_hintE2ELNS0_4arch9wavefront6targetE1EE19radix_bits_per_passE@rel32@hi+12
	v_addc_co_u32_e32 v5, vcc, 0, v13, vcc
	v_and_b32_e32 v24, 15, v28
	s_load_dword s46, s[4:5], 0x0
	v_cmp_eq_u32_e32 vcc, 0, v24
	v_cmp_lt_u32_e64 s[4:5], 1, v24
	v_cmp_lt_u32_e64 s[6:7], 3, v24
	v_cmp_lt_u32_e64 s[10:11], 7, v24
	v_and_b32_e32 v24, 16, v28
	v_cmp_eq_u32_e64 s[30:31], 0, v24
	v_and_b32_e32 v24, 0x3c0, v22
	v_min_u32_e32 v24, 0xc0, v24
	v_or_b32_e32 v24, 63, v24
	v_cmp_eq_u32_e64 s[16:17], v24, v22
	v_add_u32_e32 v24, -1, v28
	v_and_b32_e32 v25, 64, v28
	v_cmp_lt_i32_e64 s[22:23], v24, v25
	v_lshrrev_b32_e32 v30, 6, v22
	v_cndmask_b32_e64 v24, v24, v28, s[22:23]
	v_lshlrev_b32_e32 v151, 2, v24
	v_lshlrev_b32_e32 v24, 2, v30
	v_add_co_u32_e64 v24, s[26:27], v12, v24
	v_lshlrev_b32_e32 v14, 2, v22
	v_addc_co_u32_e64 v25, s[26:27], 0, v13, s[26:27]
	v_add_co_u32_e64 v26, s[26:27], v12, v14
	v_addc_co_u32_e64 v27, s[26:27], 0, v13, s[26:27]
	v_and_b32_e32 v14, 3, v28
	v_mov_b32_e32 v15, 0
	v_cmp_eq_u32_e64 s[26:27], 0, v14
	v_cmp_lt_u32_e64 s[28:29], 1, v14
	v_add_u32_e32 v14, -1, v30
	v_lshlrev_b64 v[30:31], 2, v[14:15]
	v_add_co_u32_e64 v38, s[34:35], v12, v30
	v_addc_co_u32_e64 v39, s[34:35], v13, v31, s[34:35]
	v_lshlrev_b32_e32 v14, 3, v22
	s_movk_i32 s34, 0x1e00
	v_and_or_b32 v14, v14, s34, v29
	v_cmp_lt_u32_e64 s[14:15], 31, v28
	v_cmp_eq_u32_e64 s[22:23], 0, v28
	v_lshlrev_b32_e32 v28, 1, v14
	v_add_co_u32_e64 v54, s[34:35], v12, v28
	v_addc_co_u32_e64 v55, s[34:35], 0, v13, s[34:35]
	v_lshrrev_b32_e32 v150, 6, v0
	v_cmp_gt_u32_e64 s[18:19], 4, v22
	v_cmp_lt_u32_e64 s[20:21], 63, v22
	v_cmp_eq_u32_e64 s[24:25], 0, v22
	v_mad_u64_u32 v[64:65], s[34:35], v14, 6, v[54:55]
	v_sub_u32_e32 v160, v11, v10
	s_mov_b64 s[42:43], 0
	s_movk_i32 s47, 0x8000
	s_waitcnt lgkmcnt(0)
	s_barrier
	s_branch .LBB1739_29
.LBB1739_28:                            ;   in Loop: Header=BB1739_29 Depth=1
	s_or_b64 exec, exec, s[36:37]
	s_and_b64 s[34:35], exec, s[44:45]
	s_or_b64 s[42:43], s[34:35], s[42:43]
	s_andn2_b64 exec, exec, s[42:43]
	s_cbranch_execz .LBB1739_53
.LBB1739_29:                            ; =>This Inner Loop Header: Depth=1
	s_waitcnt vmcnt(0)
	v_pk_mov_b32 v[52:53], v[16:17], v[16:17] op_sel:[0,1]
	v_pk_mov_b32 v[50:51], v[18:19], v[18:19] op_sel:[0,1]
	v_mov_b32_e32 v176, v71
	v_min_u32_e32 v18, s46, v160
	v_mov_b32_e32 v14, v15
	v_mov_b32_e32 v16, v15
	;; [unrolled: 1-line block ×3, first 2 shown]
	flat_store_dwordx4 v[4:5], v[14:17] offset:16
	v_cmp_ne_u16_e64 s[34:35], s47, v176
	v_lshlrev_b32_e64 v14, v18, -1
	v_not_b32_e32 v18, v14
	v_cndmask_b32_e64 v14, v1, v176, s[34:35]
	v_lshrrev_b32_sdwa v14, v10, v14 dst_sel:DWORD dst_unused:UNUSED_PAD src0_sel:DWORD src1_sel:WORD_0
	v_and_b32_e32 v14, v14, v18
	v_lshlrev_b32_e32 v16, 2, v14
	v_add_lshl_u32 v16, v16, v150, 2
	v_pk_mov_b32 v[48:49], v[66:67], v[66:67] op_sel:[0,1]
	v_add_co_u32_e64 v66, s[34:35], v23, v16
	v_addc_co_u32_e64 v67, s[34:35], 0, v149, s[34:35]
	v_and_b32_e32 v16, 1, v14
	v_add_co_u32_e64 v17, s[34:35], -1, v16
	v_addc_co_u32_e64 v19, s[34:35], 0, -1, s[34:35]
	v_cmp_ne_u32_e64 s[34:35], 0, v16
	v_xor_b32_e32 v16, s35, v19
	v_xor_b32_e32 v17, s34, v17
	v_pk_mov_b32 v[36:37], v[68:69], v[68:69] op_sel:[0,1]
	v_and_b32_e32 v19, exec_hi, v16
	v_and_b32_e32 v68, exec_lo, v17
	v_lshlrev_b32_e32 v17, 30, v14
	v_mov_b32_e32 v16, v15
	v_cmp_gt_i64_e64 s[34:35], 0, v[16:17]
	v_not_b32_e32 v16, v17
	v_ashrrev_i32_e32 v16, 31, v16
	v_xor_b32_e32 v17, s35, v16
	v_xor_b32_e32 v16, s34, v16
	v_and_b32_e32 v19, v19, v17
	v_and_b32_e32 v68, v68, v16
	v_lshlrev_b32_e32 v17, 29, v14
	v_mov_b32_e32 v16, v15
	v_cmp_gt_i64_e64 s[34:35], 0, v[16:17]
	v_not_b32_e32 v16, v17
	v_ashrrev_i32_e32 v16, 31, v16
	v_xor_b32_e32 v17, s35, v16
	v_xor_b32_e32 v16, s34, v16
	v_and_b32_e32 v19, v19, v17
	v_and_b32_e32 v68, v68, v16
	;; [unrolled: 9-line block ×5, first 2 shown]
	v_lshlrev_b32_e32 v17, 25, v14
	v_mov_b32_e32 v16, v15
	v_cmp_gt_i64_e64 s[34:35], 0, v[16:17]
	v_not_b32_e32 v16, v17
	v_ashrrev_i32_e32 v16, 31, v16
	v_xor_b32_e32 v17, s35, v16
	v_xor_b32_e32 v16, s34, v16
	v_and_b32_e32 v19, v19, v17
	v_lshlrev_b32_e32 v17, 24, v14
	v_and_b32_e32 v68, v68, v16
	v_mov_b32_e32 v16, v15
	v_not_b32_e32 v14, v17
	v_cmp_gt_i64_e64 s[34:35], 0, v[16:17]
	v_ashrrev_i32_e32 v14, 31, v14
	v_xor_b32_e32 v16, s35, v14
	v_xor_b32_e32 v14, s34, v14
	v_and_b32_e32 v17, v19, v16
	v_and_b32_e32 v16, v68, v14
	v_mbcnt_lo_u32_b32 v14, v16, 0
	v_mbcnt_hi_u32_b32 v14, v17, v14
	v_cmp_eq_u32_e64 s[34:35], 0, v14
	v_cmp_ne_u64_e64 s[36:37], 0, v[16:17]
	v_pk_mov_b32 v[34:35], v[80:81], v[80:81] op_sel:[0,1]
	v_pk_mov_b32 v[32:33], v[86:87], v[86:87] op_sel:[0,1]
	;; [unrolled: 1-line block ×4, first 2 shown]
	v_mov_b32_e32 v167, v83
	v_mov_b32_e32 v166, v85
	;; [unrolled: 1-line block ×7, first 2 shown]
	s_and_b64 s[36:37], s[36:37], s[34:35]
	s_waitcnt lgkmcnt(0)
	s_barrier
	s_waitcnt lgkmcnt(0)
	; wave barrier
	s_and_saveexec_b64 s[34:35], s[36:37]
	s_cbranch_execz .LBB1739_31
; %bb.30:                               ;   in Loop: Header=BB1739_29 Depth=1
	v_bcnt_u32_b32 v16, v16, 0
	v_bcnt_u32_b32 v16, v17, v16
	flat_store_dword v[66:67], v16
.LBB1739_31:                            ;   in Loop: Header=BB1739_29 Depth=1
	s_or_b64 exec, exec, s[34:35]
	v_cmp_ne_u16_e64 s[34:35], s47, v167
	v_cndmask_b32_e64 v16, v1, v167, s[34:35]
	v_lshrrev_b32_sdwa v16, v10, v16 dst_sel:DWORD dst_unused:UNUSED_PAD src0_sel:DWORD src1_sel:WORD_0
	v_and_b32_e32 v19, v16, v18
	v_lshlrev_b32_e32 v16, 2, v19
	v_add_lshl_u32 v16, v16, v150, 2
	v_add_co_u32_e64 v68, s[34:35], v23, v16
	v_addc_co_u32_e64 v69, s[34:35], 0, v149, s[34:35]
	; wave barrier
	flat_load_dword v98, v[68:69]
	v_and_b32_e32 v16, 1, v19
	v_add_co_u32_e64 v17, s[34:35], -1, v16
	v_addc_co_u32_e64 v70, s[34:35], 0, -1, s[34:35]
	v_cmp_ne_u32_e64 s[34:35], 0, v16
	v_xor_b32_e32 v16, s35, v70
	v_xor_b32_e32 v17, s34, v17
	v_and_b32_e32 v70, exec_hi, v16
	v_and_b32_e32 v71, exec_lo, v17
	v_lshlrev_b32_e32 v17, 30, v19
	v_mov_b32_e32 v16, v15
	v_cmp_gt_i64_e64 s[34:35], 0, v[16:17]
	v_not_b32_e32 v16, v17
	v_ashrrev_i32_e32 v16, 31, v16
	v_xor_b32_e32 v17, s35, v16
	v_xor_b32_e32 v16, s34, v16
	v_and_b32_e32 v70, v70, v17
	v_and_b32_e32 v71, v71, v16
	v_lshlrev_b32_e32 v17, 29, v19
	v_mov_b32_e32 v16, v15
	v_cmp_gt_i64_e64 s[34:35], 0, v[16:17]
	v_not_b32_e32 v16, v17
	v_ashrrev_i32_e32 v16, 31, v16
	v_xor_b32_e32 v17, s35, v16
	v_xor_b32_e32 v16, s34, v16
	v_and_b32_e32 v70, v70, v17
	v_and_b32_e32 v71, v71, v16
	;; [unrolled: 9-line block ×7, first 2 shown]
	v_mbcnt_lo_u32_b32 v19, v16, 0
	v_mbcnt_hi_u32_b32 v100, v17, v19
	v_cmp_eq_u32_e64 s[34:35], 0, v100
	v_cmp_ne_u64_e64 s[36:37], 0, v[16:17]
	s_and_b64 s[36:37], s[36:37], s[34:35]
	; wave barrier
	s_and_saveexec_b64 s[34:35], s[36:37]
	s_cbranch_execz .LBB1739_33
; %bb.32:                               ;   in Loop: Header=BB1739_29 Depth=1
	v_bcnt_u32_b32 v16, v16, 0
	v_bcnt_u32_b32 v16, v17, v16
	s_waitcnt vmcnt(0) lgkmcnt(0)
	v_add_u32_e32 v16, v98, v16
	flat_store_dword v[68:69], v16
.LBB1739_33:                            ;   in Loop: Header=BB1739_29 Depth=1
	s_or_b64 exec, exec, s[34:35]
	v_cmp_ne_u16_e64 s[34:35], s47, v166
	v_cndmask_b32_e64 v16, v1, v166, s[34:35]
	v_lshrrev_b32_sdwa v16, v10, v16 dst_sel:DWORD dst_unused:UNUSED_PAD src0_sel:DWORD src1_sel:WORD_0
	v_and_b32_e32 v19, v16, v18
	v_lshlrev_b32_e32 v16, 2, v19
	v_add_lshl_u32 v16, v16, v150, 2
	v_add_co_u32_e64 v70, s[34:35], v23, v16
	v_addc_co_u32_e64 v71, s[34:35], 0, v149, s[34:35]
	; wave barrier
	flat_load_dword v102, v[70:71]
	v_and_b32_e32 v16, 1, v19
	v_add_co_u32_e64 v17, s[34:35], -1, v16
	v_addc_co_u32_e64 v80, s[34:35], 0, -1, s[34:35]
	v_cmp_ne_u32_e64 s[34:35], 0, v16
	v_xor_b32_e32 v16, s35, v80
	v_xor_b32_e32 v17, s34, v17
	v_and_b32_e32 v80, exec_hi, v16
	v_and_b32_e32 v81, exec_lo, v17
	v_lshlrev_b32_e32 v17, 30, v19
	v_mov_b32_e32 v16, v15
	v_cmp_gt_i64_e64 s[34:35], 0, v[16:17]
	v_not_b32_e32 v16, v17
	v_ashrrev_i32_e32 v16, 31, v16
	v_xor_b32_e32 v17, s35, v16
	v_xor_b32_e32 v16, s34, v16
	v_and_b32_e32 v80, v80, v17
	v_and_b32_e32 v81, v81, v16
	v_lshlrev_b32_e32 v17, 29, v19
	v_mov_b32_e32 v16, v15
	v_cmp_gt_i64_e64 s[34:35], 0, v[16:17]
	v_not_b32_e32 v16, v17
	v_ashrrev_i32_e32 v16, 31, v16
	v_xor_b32_e32 v17, s35, v16
	v_xor_b32_e32 v16, s34, v16
	v_and_b32_e32 v80, v80, v17
	v_and_b32_e32 v81, v81, v16
	;; [unrolled: 9-line block ×7, first 2 shown]
	v_mbcnt_lo_u32_b32 v19, v16, 0
	v_mbcnt_hi_u32_b32 v103, v17, v19
	v_cmp_eq_u32_e64 s[34:35], 0, v103
	v_cmp_ne_u64_e64 s[36:37], 0, v[16:17]
	s_and_b64 s[36:37], s[36:37], s[34:35]
	; wave barrier
	s_and_saveexec_b64 s[34:35], s[36:37]
	s_cbranch_execz .LBB1739_35
; %bb.34:                               ;   in Loop: Header=BB1739_29 Depth=1
	v_bcnt_u32_b32 v16, v16, 0
	v_bcnt_u32_b32 v16, v17, v16
	s_waitcnt vmcnt(0) lgkmcnt(0)
	v_add_u32_e32 v16, v102, v16
	flat_store_dword v[70:71], v16
.LBB1739_35:                            ;   in Loop: Header=BB1739_29 Depth=1
	s_or_b64 exec, exec, s[34:35]
	v_cmp_ne_u16_e64 s[34:35], s47, v165
	v_cndmask_b32_e64 v16, v1, v165, s[34:35]
	v_lshrrev_b32_sdwa v16, v10, v16 dst_sel:DWORD dst_unused:UNUSED_PAD src0_sel:DWORD src1_sel:WORD_0
	v_and_b32_e32 v19, v16, v18
	v_lshlrev_b32_e32 v16, 2, v19
	v_add_lshl_u32 v16, v16, v150, 2
	v_add_co_u32_e64 v80, s[34:35], v23, v16
	v_addc_co_u32_e64 v81, s[34:35], 0, v149, s[34:35]
	; wave barrier
	flat_load_dword v112, v[80:81]
	v_and_b32_e32 v16, 1, v19
	v_add_co_u32_e64 v17, s[34:35], -1, v16
	v_addc_co_u32_e64 v82, s[34:35], 0, -1, s[34:35]
	v_cmp_ne_u32_e64 s[34:35], 0, v16
	v_xor_b32_e32 v16, s35, v82
	v_xor_b32_e32 v17, s34, v17
	v_and_b32_e32 v82, exec_hi, v16
	v_and_b32_e32 v83, exec_lo, v17
	v_lshlrev_b32_e32 v17, 30, v19
	v_mov_b32_e32 v16, v15
	v_cmp_gt_i64_e64 s[34:35], 0, v[16:17]
	v_not_b32_e32 v16, v17
	v_ashrrev_i32_e32 v16, 31, v16
	v_xor_b32_e32 v17, s35, v16
	v_xor_b32_e32 v16, s34, v16
	v_and_b32_e32 v82, v82, v17
	v_and_b32_e32 v83, v83, v16
	v_lshlrev_b32_e32 v17, 29, v19
	v_mov_b32_e32 v16, v15
	v_cmp_gt_i64_e64 s[34:35], 0, v[16:17]
	v_not_b32_e32 v16, v17
	v_ashrrev_i32_e32 v16, 31, v16
	v_xor_b32_e32 v17, s35, v16
	v_xor_b32_e32 v16, s34, v16
	v_and_b32_e32 v82, v82, v17
	v_and_b32_e32 v83, v83, v16
	;; [unrolled: 9-line block ×7, first 2 shown]
	v_mbcnt_lo_u32_b32 v19, v16, 0
	v_mbcnt_hi_u32_b32 v114, v17, v19
	v_cmp_eq_u32_e64 s[34:35], 0, v114
	v_cmp_ne_u64_e64 s[36:37], 0, v[16:17]
	s_and_b64 s[36:37], s[36:37], s[34:35]
	; wave barrier
	s_and_saveexec_b64 s[34:35], s[36:37]
	s_cbranch_execz .LBB1739_37
; %bb.36:                               ;   in Loop: Header=BB1739_29 Depth=1
	v_bcnt_u32_b32 v16, v16, 0
	v_bcnt_u32_b32 v16, v17, v16
	s_waitcnt vmcnt(0) lgkmcnt(0)
	v_add_u32_e32 v16, v112, v16
	flat_store_dword v[80:81], v16
.LBB1739_37:                            ;   in Loop: Header=BB1739_29 Depth=1
	s_or_b64 exec, exec, s[34:35]
	v_cmp_ne_u16_e64 s[34:35], s47, v164
	v_cndmask_b32_e64 v16, v1, v164, s[34:35]
	v_lshrrev_b32_sdwa v16, v10, v16 dst_sel:DWORD dst_unused:UNUSED_PAD src0_sel:DWORD src1_sel:WORD_0
	v_and_b32_e32 v19, v16, v18
	v_lshlrev_b32_e32 v16, 2, v19
	v_add_lshl_u32 v16, v16, v150, 2
	v_add_co_u32_e64 v82, s[34:35], v23, v16
	v_addc_co_u32_e64 v83, s[34:35], 0, v149, s[34:35]
	; wave barrier
	flat_load_dword v115, v[82:83]
	v_and_b32_e32 v16, 1, v19
	v_add_co_u32_e64 v17, s[34:35], -1, v16
	v_addc_co_u32_e64 v84, s[34:35], 0, -1, s[34:35]
	v_cmp_ne_u32_e64 s[34:35], 0, v16
	v_xor_b32_e32 v16, s35, v84
	v_xor_b32_e32 v17, s34, v17
	v_and_b32_e32 v84, exec_hi, v16
	v_and_b32_e32 v85, exec_lo, v17
	v_lshlrev_b32_e32 v17, 30, v19
	v_mov_b32_e32 v16, v15
	v_cmp_gt_i64_e64 s[34:35], 0, v[16:17]
	v_not_b32_e32 v16, v17
	v_ashrrev_i32_e32 v16, 31, v16
	v_xor_b32_e32 v17, s35, v16
	v_xor_b32_e32 v16, s34, v16
	v_and_b32_e32 v84, v84, v17
	v_and_b32_e32 v85, v85, v16
	v_lshlrev_b32_e32 v17, 29, v19
	v_mov_b32_e32 v16, v15
	v_cmp_gt_i64_e64 s[34:35], 0, v[16:17]
	v_not_b32_e32 v16, v17
	v_ashrrev_i32_e32 v16, 31, v16
	v_xor_b32_e32 v17, s35, v16
	v_xor_b32_e32 v16, s34, v16
	v_and_b32_e32 v84, v84, v17
	v_and_b32_e32 v85, v85, v16
	;; [unrolled: 9-line block ×7, first 2 shown]
	v_mbcnt_lo_u32_b32 v19, v16, 0
	v_mbcnt_hi_u32_b32 v116, v17, v19
	v_cmp_eq_u32_e64 s[34:35], 0, v116
	v_cmp_ne_u64_e64 s[36:37], 0, v[16:17]
	s_and_b64 s[36:37], s[36:37], s[34:35]
	; wave barrier
	s_and_saveexec_b64 s[34:35], s[36:37]
	s_cbranch_execz .LBB1739_39
; %bb.38:                               ;   in Loop: Header=BB1739_29 Depth=1
	v_bcnt_u32_b32 v16, v16, 0
	v_bcnt_u32_b32 v16, v17, v16
	s_waitcnt vmcnt(0) lgkmcnt(0)
	v_add_u32_e32 v16, v115, v16
	flat_store_dword v[82:83], v16
.LBB1739_39:                            ;   in Loop: Header=BB1739_29 Depth=1
	s_or_b64 exec, exec, s[34:35]
	v_cmp_ne_u16_e64 s[34:35], s47, v163
	v_cndmask_b32_e64 v16, v1, v163, s[34:35]
	v_lshrrev_b32_sdwa v16, v10, v16 dst_sel:DWORD dst_unused:UNUSED_PAD src0_sel:DWORD src1_sel:WORD_0
	v_and_b32_e32 v19, v16, v18
	v_lshlrev_b32_e32 v16, 2, v19
	v_add_lshl_u32 v16, v16, v150, 2
	v_add_co_u32_e64 v84, s[34:35], v23, v16
	v_addc_co_u32_e64 v85, s[34:35], 0, v149, s[34:35]
	; wave barrier
	flat_load_dword v117, v[84:85]
	v_and_b32_e32 v16, 1, v19
	v_add_co_u32_e64 v17, s[34:35], -1, v16
	v_addc_co_u32_e64 v86, s[34:35], 0, -1, s[34:35]
	v_cmp_ne_u32_e64 s[34:35], 0, v16
	v_xor_b32_e32 v16, s35, v86
	v_xor_b32_e32 v17, s34, v17
	v_and_b32_e32 v86, exec_hi, v16
	v_and_b32_e32 v87, exec_lo, v17
	v_lshlrev_b32_e32 v17, 30, v19
	v_mov_b32_e32 v16, v15
	v_cmp_gt_i64_e64 s[34:35], 0, v[16:17]
	v_not_b32_e32 v16, v17
	v_ashrrev_i32_e32 v16, 31, v16
	v_xor_b32_e32 v17, s35, v16
	v_xor_b32_e32 v16, s34, v16
	v_and_b32_e32 v86, v86, v17
	v_and_b32_e32 v87, v87, v16
	v_lshlrev_b32_e32 v17, 29, v19
	v_mov_b32_e32 v16, v15
	v_cmp_gt_i64_e64 s[34:35], 0, v[16:17]
	v_not_b32_e32 v16, v17
	v_ashrrev_i32_e32 v16, 31, v16
	v_xor_b32_e32 v17, s35, v16
	v_xor_b32_e32 v16, s34, v16
	v_and_b32_e32 v86, v86, v17
	v_and_b32_e32 v87, v87, v16
	;; [unrolled: 9-line block ×7, first 2 shown]
	v_mbcnt_lo_u32_b32 v19, v16, 0
	v_mbcnt_hi_u32_b32 v118, v17, v19
	v_cmp_eq_u32_e64 s[34:35], 0, v118
	v_cmp_ne_u64_e64 s[36:37], 0, v[16:17]
	s_and_b64 s[36:37], s[36:37], s[34:35]
	; wave barrier
	s_and_saveexec_b64 s[34:35], s[36:37]
	s_cbranch_execz .LBB1739_41
; %bb.40:                               ;   in Loop: Header=BB1739_29 Depth=1
	v_bcnt_u32_b32 v16, v16, 0
	v_bcnt_u32_b32 v16, v17, v16
	s_waitcnt vmcnt(0) lgkmcnt(0)
	v_add_u32_e32 v16, v117, v16
	flat_store_dword v[84:85], v16
.LBB1739_41:                            ;   in Loop: Header=BB1739_29 Depth=1
	s_or_b64 exec, exec, s[34:35]
	v_cmp_ne_u16_e64 s[34:35], s47, v162
	v_cndmask_b32_e64 v16, v1, v162, s[34:35]
	v_lshrrev_b32_sdwa v16, v10, v16 dst_sel:DWORD dst_unused:UNUSED_PAD src0_sel:DWORD src1_sel:WORD_0
	v_and_b32_e32 v19, v16, v18
	v_lshlrev_b32_e32 v16, 2, v19
	v_add_lshl_u32 v16, v16, v150, 2
	v_add_co_u32_e64 v86, s[34:35], v23, v16
	v_addc_co_u32_e64 v87, s[34:35], 0, v149, s[34:35]
	; wave barrier
	flat_load_dword v119, v[86:87]
	v_and_b32_e32 v16, 1, v19
	v_add_co_u32_e64 v17, s[34:35], -1, v16
	v_addc_co_u32_e64 v96, s[34:35], 0, -1, s[34:35]
	v_cmp_ne_u32_e64 s[34:35], 0, v16
	v_xor_b32_e32 v16, s35, v96
	v_xor_b32_e32 v17, s34, v17
	v_and_b32_e32 v96, exec_hi, v16
	v_and_b32_e32 v97, exec_lo, v17
	v_lshlrev_b32_e32 v17, 30, v19
	v_mov_b32_e32 v16, v15
	v_cmp_gt_i64_e64 s[34:35], 0, v[16:17]
	v_not_b32_e32 v16, v17
	v_ashrrev_i32_e32 v16, 31, v16
	v_xor_b32_e32 v17, s35, v16
	v_xor_b32_e32 v16, s34, v16
	v_and_b32_e32 v96, v96, v17
	v_and_b32_e32 v97, v97, v16
	v_lshlrev_b32_e32 v17, 29, v19
	v_mov_b32_e32 v16, v15
	v_cmp_gt_i64_e64 s[34:35], 0, v[16:17]
	v_not_b32_e32 v16, v17
	v_ashrrev_i32_e32 v16, 31, v16
	v_xor_b32_e32 v17, s35, v16
	v_xor_b32_e32 v16, s34, v16
	v_and_b32_e32 v96, v96, v17
	v_and_b32_e32 v97, v97, v16
	v_lshlrev_b32_e32 v17, 28, v19
	v_mov_b32_e32 v16, v15
	v_cmp_gt_i64_e64 s[34:35], 0, v[16:17]
	v_not_b32_e32 v16, v17
	v_ashrrev_i32_e32 v16, 31, v16
	v_xor_b32_e32 v17, s35, v16
	v_xor_b32_e32 v16, s34, v16
	v_and_b32_e32 v96, v96, v17
	v_and_b32_e32 v97, v97, v16
	v_lshlrev_b32_e32 v17, 27, v19
	v_mov_b32_e32 v16, v15
	v_cmp_gt_i64_e64 s[34:35], 0, v[16:17]
	v_not_b32_e32 v16, v17
	v_ashrrev_i32_e32 v16, 31, v16
	v_xor_b32_e32 v17, s35, v16
	v_xor_b32_e32 v16, s34, v16
	v_and_b32_e32 v96, v96, v17
	v_and_b32_e32 v97, v97, v16
	v_lshlrev_b32_e32 v17, 26, v19
	v_mov_b32_e32 v16, v15
	v_cmp_gt_i64_e64 s[34:35], 0, v[16:17]
	v_not_b32_e32 v16, v17
	v_ashrrev_i32_e32 v16, 31, v16
	v_xor_b32_e32 v17, s35, v16
	v_xor_b32_e32 v16, s34, v16
	v_and_b32_e32 v96, v96, v17
	v_and_b32_e32 v97, v97, v16
	v_lshlrev_b32_e32 v17, 25, v19
	v_mov_b32_e32 v16, v15
	v_cmp_gt_i64_e64 s[34:35], 0, v[16:17]
	v_not_b32_e32 v16, v17
	v_ashrrev_i32_e32 v16, 31, v16
	v_xor_b32_e32 v17, s35, v16
	v_xor_b32_e32 v16, s34, v16
	v_and_b32_e32 v96, v96, v17
	v_and_b32_e32 v97, v97, v16
	v_lshlrev_b32_e32 v17, 24, v19
	v_mov_b32_e32 v16, v15
	v_cmp_gt_i64_e64 s[34:35], 0, v[16:17]
	v_not_b32_e32 v16, v17
	v_ashrrev_i32_e32 v16, 31, v16
	v_xor_b32_e32 v17, s35, v16
	v_xor_b32_e32 v16, s34, v16
	v_and_b32_e32 v16, v97, v16
	v_and_b32_e32 v17, v96, v17
	v_mbcnt_lo_u32_b32 v19, v16, 0
	v_mbcnt_hi_u32_b32 v128, v17, v19
	v_cmp_eq_u32_e64 s[34:35], 0, v128
	v_cmp_ne_u64_e64 s[36:37], 0, v[16:17]
	s_and_b64 s[36:37], s[36:37], s[34:35]
	; wave barrier
	s_and_saveexec_b64 s[34:35], s[36:37]
	s_cbranch_execz .LBB1739_43
; %bb.42:                               ;   in Loop: Header=BB1739_29 Depth=1
	v_bcnt_u32_b32 v16, v16, 0
	v_bcnt_u32_b32 v16, v17, v16
	s_waitcnt vmcnt(0) lgkmcnt(0)
	v_add_u32_e32 v16, v119, v16
	flat_store_dword v[86:87], v16
.LBB1739_43:                            ;   in Loop: Header=BB1739_29 Depth=1
	s_or_b64 exec, exec, s[34:35]
	v_cmp_ne_u16_e64 s[34:35], s47, v161
	v_cndmask_b32_e64 v16, v1, v161, s[34:35]
	v_lshrrev_b32_sdwa v16, v10, v16 dst_sel:DWORD dst_unused:UNUSED_PAD src0_sel:DWORD src1_sel:WORD_0
	v_and_b32_e32 v18, v16, v18
	v_lshlrev_b32_e32 v16, 2, v18
	v_add_lshl_u32 v16, v16, v150, 2
	v_add_co_u32_e64 v96, s[34:35], v23, v16
	v_addc_co_u32_e64 v97, s[34:35], 0, v149, s[34:35]
	; wave barrier
	flat_load_dword v129, v[96:97]
	v_and_b32_e32 v16, 1, v18
	v_add_co_u32_e64 v17, s[34:35], -1, v16
	v_addc_co_u32_e64 v19, s[34:35], 0, -1, s[34:35]
	v_cmp_ne_u32_e64 s[34:35], 0, v16
	v_xor_b32_e32 v16, s35, v19
	v_xor_b32_e32 v17, s34, v17
	v_and_b32_e32 v19, exec_hi, v16
	v_and_b32_e32 v99, exec_lo, v17
	v_lshlrev_b32_e32 v17, 30, v18
	v_mov_b32_e32 v16, v15
	v_cmp_gt_i64_e64 s[34:35], 0, v[16:17]
	v_not_b32_e32 v16, v17
	v_ashrrev_i32_e32 v16, 31, v16
	v_xor_b32_e32 v17, s35, v16
	v_xor_b32_e32 v16, s34, v16
	v_and_b32_e32 v19, v19, v17
	v_and_b32_e32 v99, v99, v16
	v_lshlrev_b32_e32 v17, 29, v18
	v_mov_b32_e32 v16, v15
	v_cmp_gt_i64_e64 s[34:35], 0, v[16:17]
	v_not_b32_e32 v16, v17
	v_ashrrev_i32_e32 v16, 31, v16
	v_xor_b32_e32 v17, s35, v16
	v_xor_b32_e32 v16, s34, v16
	v_and_b32_e32 v19, v19, v17
	v_and_b32_e32 v99, v99, v16
	;; [unrolled: 9-line block ×7, first 2 shown]
	v_mbcnt_lo_u32_b32 v18, v16, 0
	v_mbcnt_hi_u32_b32 v130, v17, v18
	v_cmp_eq_u32_e64 s[34:35], 0, v130
	v_cmp_ne_u64_e64 s[36:37], 0, v[16:17]
	s_and_b64 s[36:37], s[36:37], s[34:35]
	; wave barrier
	s_and_saveexec_b64 s[34:35], s[36:37]
	s_cbranch_execz .LBB1739_45
; %bb.44:                               ;   in Loop: Header=BB1739_29 Depth=1
	v_bcnt_u32_b32 v16, v16, 0
	v_bcnt_u32_b32 v16, v17, v16
	s_waitcnt vmcnt(0) lgkmcnt(0)
	v_add_u32_e32 v16, v129, v16
	flat_store_dword v[96:97], v16
.LBB1739_45:                            ;   in Loop: Header=BB1739_29 Depth=1
	s_or_b64 exec, exec, s[34:35]
	; wave barrier
	s_waitcnt lgkmcnt(0)
	s_barrier
	flat_load_dwordx4 v[16:19], v[4:5] offset:16
	s_waitcnt vmcnt(0) lgkmcnt(0)
	v_add_u32_e32 v99, v17, v16
	v_add3_u32 v19, v99, v18, v19
	s_nop 1
	v_mov_b32_dpp v99, v19 row_shr:1 row_mask:0xf bank_mask:0xf
	v_cndmask_b32_e64 v99, v99, 0, vcc
	v_add_u32_e32 v19, v99, v19
	s_nop 1
	v_mov_b32_dpp v99, v19 row_shr:2 row_mask:0xf bank_mask:0xf
	v_cndmask_b32_e64 v99, 0, v99, s[4:5]
	v_add_u32_e32 v19, v19, v99
	s_nop 1
	v_mov_b32_dpp v99, v19 row_shr:4 row_mask:0xf bank_mask:0xf
	v_cndmask_b32_e64 v99, 0, v99, s[6:7]
	;; [unrolled: 4-line block ×3, first 2 shown]
	v_add_u32_e32 v19, v19, v99
	s_nop 1
	v_mov_b32_dpp v99, v19 row_bcast:15 row_mask:0xf bank_mask:0xf
	v_cndmask_b32_e64 v99, v99, 0, s[30:31]
	v_add_u32_e32 v19, v19, v99
	s_nop 1
	v_mov_b32_dpp v99, v19 row_bcast:31 row_mask:0xf bank_mask:0xf
	v_cndmask_b32_e64 v99, 0, v99, s[14:15]
	v_add_u32_e32 v19, v19, v99
	s_and_saveexec_b64 s[34:35], s[16:17]
	s_cbranch_execz .LBB1739_47
; %bb.46:                               ;   in Loop: Header=BB1739_29 Depth=1
	flat_store_dword v[24:25], v19
.LBB1739_47:                            ;   in Loop: Header=BB1739_29 Depth=1
	s_or_b64 exec, exec, s[34:35]
	s_waitcnt lgkmcnt(0)
	s_barrier
	s_and_saveexec_b64 s[34:35], s[18:19]
	s_cbranch_execz .LBB1739_49
; %bb.48:                               ;   in Loop: Header=BB1739_29 Depth=1
	flat_load_dword v99, v[26:27]
	s_waitcnt vmcnt(0) lgkmcnt(0)
	s_nop 0
	v_mov_b32_dpp v101, v99 row_shr:1 row_mask:0xf bank_mask:0xf
	v_cndmask_b32_e64 v101, v101, 0, s[26:27]
	v_add_u32_e32 v99, v101, v99
	s_nop 1
	v_mov_b32_dpp v101, v99 row_shr:2 row_mask:0xf bank_mask:0xf
	v_cndmask_b32_e64 v101, 0, v101, s[28:29]
	v_add_u32_e32 v99, v99, v101
	flat_store_dword v[26:27], v99
.LBB1739_49:                            ;   in Loop: Header=BB1739_29 Depth=1
	s_or_b64 exec, exec, s[34:35]
	v_mov_b32_e32 v99, 0
	s_waitcnt lgkmcnt(0)
	s_barrier
	s_and_saveexec_b64 s[34:35], s[20:21]
	s_cbranch_execz .LBB1739_51
; %bb.50:                               ;   in Loop: Header=BB1739_29 Depth=1
	flat_load_dword v99, v[38:39]
.LBB1739_51:                            ;   in Loop: Header=BB1739_29 Depth=1
	s_or_b64 exec, exec, s[34:35]
	s_waitcnt vmcnt(0) lgkmcnt(0)
	v_add_u32_e32 v19, v99, v19
	ds_bpermute_b32 v19, v151, v19
	v_mov_b32_e32 v101, v15
	v_mov_b32_e32 v113, v15
	v_add_u32_e32 v10, 8, v10
	v_cmp_lt_u32_e64 s[34:35], v10, v11
	s_waitcnt lgkmcnt(0)
	v_cndmask_b32_e64 v19, v19, v99, s[22:23]
	v_cndmask_b32_e64 v132, v19, 0, s[24:25]
	v_add_u32_e32 v133, v132, v16
	v_add_u32_e32 v134, v133, v17
	;; [unrolled: 1-line block ×3, first 2 shown]
	flat_store_dwordx4 v[4:5], v[132:135] offset:16
	s_waitcnt lgkmcnt(0)
	s_barrier
	flat_load_dword v16, v[66:67]
	flat_load_dword v17, v[68:69]
	;; [unrolled: 1-line block ×8, first 2 shown]
	v_mov_b32_e32 v71, v15
	v_mov_b32_e32 v83, v15
	;; [unrolled: 1-line block ×5, first 2 shown]
	s_mov_b64 s[44:45], -1
	s_waitcnt lgkmcnt(0)
                                        ; implicit-def: $vgpr177
	s_waitcnt vmcnt(0) lgkmcnt(0)
	v_add_u32_e32 v14, v16, v14
	v_add3_u32 v70, v100, v98, v17
	v_lshlrev_b64 v[16:17], 1, v[14:15]
	v_add3_u32 v82, v103, v102, v18
	v_add3_u32 v96, v116, v115, v131
	v_add_co_u32_e64 v116, s[36:37], v12, v16
	v_add3_u32 v84, v114, v112, v19
	v_add3_u32 v98, v118, v117, v132
	v_lshlrev_b64 v[18:19], 1, v[70:71]
	v_addc_co_u32_e64 v117, s[36:37], v13, v17, s[36:37]
	v_add_co_u32_e64 v118, s[36:37], v12, v18
	v_add3_u32 v100, v128, v119, v133
	v_lshlrev_b64 v[66:67], 1, v[82:83]
	v_addc_co_u32_e64 v119, s[36:37], v13, v19, s[36:37]
	v_add_co_u32_e64 v128, s[36:37], v12, v66
	;; [unrolled: 4-line block ×3, first 2 shown]
	v_lshlrev_b64 v[80:81], 1, v[96:97]
	v_addc_co_u32_e64 v131, s[36:37], v13, v69, s[36:37]
	v_add_co_u32_e64 v132, s[36:37], v12, v80
	v_lshlrev_b64 v[86:87], 1, v[98:99]
	v_addc_co_u32_e64 v133, s[36:37], v13, v81, s[36:37]
	v_add_co_u32_e64 v134, s[36:37], v12, v86
	;; [unrolled: 3-line block ×4, first 2 shown]
	v_addc_co_u32_e64 v147, s[36:37], v13, v115, s[36:37]
                                        ; implicit-def: $vgpr16_vgpr17
                                        ; implicit-def: $vgpr18_vgpr19
                                        ; implicit-def: $vgpr66_vgpr67
                                        ; implicit-def: $vgpr68_vgpr69
                                        ; implicit-def: $vgpr80_vgpr81
                                        ; implicit-def: $vgpr86_vgpr87
                                        ; implicit-def: $vgpr102_vgpr103
                                        ; implicit-def: $vgpr114_vgpr115
                                        ; implicit-def: $vgpr71
                                        ; implicit-def: $vgpr83
                                        ; implicit-def: $vgpr85
                                        ; implicit-def: $vgpr97
                                        ; implicit-def: $vgpr99
                                        ; implicit-def: $vgpr101
                                        ; implicit-def: $vgpr113
	s_and_saveexec_b64 s[36:37], s[34:35]
	s_cbranch_execz .LBB1739_28
; %bb.52:                               ;   in Loop: Header=BB1739_29 Depth=1
	v_mad_u64_u32 v[16:17], s[34:35], v14, 6, v[116:117]
	s_barrier
	flat_store_short v[116:117], v176
	flat_store_short v[118:119], v167
	;; [unrolled: 1-line block ×8, first 2 shown]
	s_waitcnt lgkmcnt(0)
	s_barrier
	flat_load_ushort v71, v[54:55]
	flat_load_ushort v83, v[54:55] offset:128
	flat_load_ushort v85, v[54:55] offset:256
	;; [unrolled: 1-line block ×7, first 2 shown]
	s_waitcnt lgkmcnt(0)
	s_barrier
	flat_store_dwordx2 v[16:17], v[52:53]
	v_mad_u64_u32 v[16:17], s[34:35], v70, 6, v[118:119]
	flat_store_dwordx2 v[16:17], v[50:51]
	v_mad_u64_u32 v[16:17], s[34:35], v82, 6, v[128:129]
	;; [unrolled: 2-line block ×7, first 2 shown]
	flat_store_dwordx2 v[16:17], v[28:29]
	s_waitcnt lgkmcnt(0)
	s_barrier
	flat_load_dwordx2 v[16:17], v[64:65]
	flat_load_dwordx2 v[18:19], v[64:65] offset:512
	flat_load_dwordx2 v[66:67], v[64:65] offset:1024
	;; [unrolled: 1-line block ×7, first 2 shown]
	v_add_u32_e32 v160, -8, v160
	s_xor_b64 s[44:45], exec, -1
	s_waitcnt lgkmcnt(0)
	s_barrier
	s_branch .LBB1739_28
.LBB1739_53:
	s_or_b64 exec, exec, s[42:43]
	v_lshlrev_b32_e32 v1, 1, v22
	v_add_co_u32_e32 v4, vcc, v12, v1
	v_addc_co_u32_e32 v5, vcc, 0, v13, vcc
	v_mad_u64_u32 v[10:11], s[4:5], v14, 6, v[116:117]
	s_barrier
	flat_store_short v[116:117], v176
	flat_store_short v[118:119], v167
	;; [unrolled: 1-line block ×8, first 2 shown]
	s_waitcnt lgkmcnt(0)
	s_barrier
	s_waitcnt vmcnt(0)
	flat_load_ushort v66, v[4:5]
	flat_load_ushort v65, v[4:5] offset:512
	flat_load_ushort v64, v[4:5] offset:1024
	;; [unrolled: 1-line block ×7, first 2 shown]
	s_waitcnt lgkmcnt(0)
	s_barrier
	flat_store_dwordx2 v[10:11], v[52:53]
	v_mad_u64_u32 v[10:11], s[4:5], v70, 6, v[118:119]
	flat_store_dwordx2 v[10:11], v[50:51]
	v_mad_u64_u32 v[10:11], s[4:5], v82, 6, v[128:129]
	;; [unrolled: 2-line block ×7, first 2 shown]
	v_mad_u64_u32 v[4:5], s[4:5], v22, 6, v[4:5]
	s_movk_i32 s4, 0x1000
	flat_store_dwordx2 v[10:11], v[28:29]
	v_add_co_u32_e32 v10, vcc, s4, v4
	v_mov_b32_e32 v1, 0x2000
	v_addc_co_u32_e32 v11, vcc, 0, v5, vcc
	v_lshl_or_b32 v1, v22, 3, v1
	v_add_co_u32_e32 v28, vcc, v12, v1
	s_movk_i32 s4, 0x2000
	v_addc_co_u32_e32 v29, vcc, 0, v13, vcc
	v_add_co_u32_e32 v30, vcc, s4, v4
	v_addc_co_u32_e32 v31, vcc, 0, v5, vcc
	s_movk_i32 s4, 0x3000
	v_add_co_u32_e32 v32, vcc, s4, v4
	s_waitcnt lgkmcnt(0)
	s_barrier
	flat_load_dwordx2 v[26:27], v[4:5]
	flat_load_dwordx2 v[24:25], v[4:5] offset:2048
	flat_load_dwordx2 v[18:19], v[10:11]
	flat_load_dwordx2 v[14:15], v[10:11] offset:2048
	v_addc_co_u32_e32 v33, vcc, 0, v5, vcc
	flat_load_dwordx2 v[16:17], v[28:29]
	flat_load_dwordx2 v[12:13], v[30:31] offset:2048
	flat_load_dwordx2 v[10:11], v[32:33]
	flat_load_dwordx2 v[4:5], v[32:33] offset:2048
	v_mov_b32_e32 v1, 0
	v_add_co_u32_e32 v20, vcc, v2, v20
	v_addc_co_u32_e32 v21, vcc, v3, v21, vcc
	v_lshlrev_b64 v[2:3], 1, v[0:1]
	v_add_co_u32_e32 v2, vcc, v20, v2
	v_addc_co_u32_e32 v3, vcc, v21, v3, vcc
	v_cmp_lt_u32_e32 vcc, v0, v148
	s_waitcnt lgkmcnt(0)
	s_barrier
	s_and_saveexec_b64 s[6:7], vcc
	s_cbranch_execz .LBB1739_55
; %bb.54:
	v_mov_b32_e32 v20, 0x7fff
	s_waitcnt vmcnt(0)
	v_cmp_gt_i16_e64 s[4:5], 0, v66
	v_cndmask_b32_e64 v20, v20, 0, s[4:5]
	v_xor_b32_e32 v20, v20, v66
	flat_store_short v[2:3], v20
.LBB1739_55:
	s_or_b64 exec, exec, s[6:7]
	v_add_u32_e32 v20, 0x100, v0
	v_cmp_lt_u32_e64 s[4:5], v20, v148
	s_and_saveexec_b64 s[10:11], s[4:5]
	s_cbranch_execz .LBB1739_57
; %bb.56:
	v_mov_b32_e32 v20, 0x7fff
	s_waitcnt vmcnt(0)
	v_cmp_gt_i16_e64 s[6:7], 0, v65
	v_cndmask_b32_e64 v20, v20, 0, s[6:7]
	v_xor_b32_e32 v20, v20, v65
	flat_store_short v[2:3], v20 offset:512
.LBB1739_57:
	s_or_b64 exec, exec, s[10:11]
	v_add_u32_e32 v20, 0x200, v0
	v_cmp_lt_u32_e64 s[6:7], v20, v148
	s_and_saveexec_b64 s[14:15], s[6:7]
	s_cbranch_execz .LBB1739_59
; %bb.58:
	v_mov_b32_e32 v20, 0x7fff
	s_waitcnt vmcnt(0)
	v_cmp_gt_i16_e64 s[10:11], 0, v64
	v_cndmask_b32_e64 v20, v20, 0, s[10:11]
	v_xor_b32_e32 v20, v20, v64
	flat_store_short v[2:3], v20 offset:1024
.LBB1739_59:
	;; [unrolled: 13-line block ×7, first 2 shown]
	s_or_b64 exec, exec, s[24:25]
	v_add_co_u32_e64 v2, s[22:23], v6, v8
	v_addc_co_u32_e64 v3, s[22:23], v7, v9, s[22:23]
	v_lshlrev_b64 v[0:1], 3, v[0:1]
	v_add_co_u32_e64 v0, s[22:23], v2, v0
	v_addc_co_u32_e64 v1, s[22:23], v3, v1, s[22:23]
	s_and_saveexec_b64 s[22:23], vcc
	s_cbranch_execnz .LBB1739_119
; %bb.70:
	s_or_b64 exec, exec, s[22:23]
	s_and_saveexec_b64 s[22:23], s[4:5]
	s_cbranch_execnz .LBB1739_120
.LBB1739_71:
	s_or_b64 exec, exec, s[22:23]
	s_and_saveexec_b64 s[4:5], s[6:7]
	s_cbranch_execnz .LBB1739_121
.LBB1739_72:
	s_or_b64 exec, exec, s[4:5]
	s_and_saveexec_b64 s[4:5], s[10:11]
	s_cbranch_execnz .LBB1739_122
.LBB1739_73:
	s_or_b64 exec, exec, s[4:5]
	s_and_saveexec_b64 s[4:5], s[20:21]
	s_cbranch_execnz .LBB1739_123
.LBB1739_74:
	s_or_b64 exec, exec, s[4:5]
	s_and_saveexec_b64 s[4:5], s[14:15]
	s_cbranch_execnz .LBB1739_124
.LBB1739_75:
	s_or_b64 exec, exec, s[4:5]
	s_and_saveexec_b64 s[4:5], s[16:17]
	s_cbranch_execnz .LBB1739_125
.LBB1739_76:
	s_or_b64 exec, exec, s[4:5]
	s_and_saveexec_b64 s[4:5], s[18:19]
	s_cbranch_execz .LBB1739_78
.LBB1739_77:
	v_add_co_u32_e32 v0, vcc, 0x3000, v0
	v_addc_co_u32_e32 v1, vcc, 0, v1, vcc
	s_waitcnt vmcnt(0)
	flat_store_dwordx2 v[0:1], v[4:5] offset:2048
.LBB1739_78:
	s_or_b64 exec, exec, s[4:5]
                                        ; implicit-def: $vgpr148
                                        ; implicit-def: $vgpr0
                                        ; implicit-def: $vgpr1
                                        ; implicit-def: $vgpr2
                                        ; implicit-def: $vgpr3
                                        ; implicit-def: $vgpr4
                                        ; implicit-def: $vgpr5
                                        ; implicit-def: $vgpr6
                                        ; implicit-def: $vgpr7
                                        ; implicit-def: $vgpr8
                                        ; implicit-def: $vgpr10
                                        ; implicit-def: $vgpr11
                                        ; implicit-def: $vgpr12
                                        ; implicit-def: $vgpr13
                                        ; implicit-def: $vgpr31
                                        ; implicit-def: $vgpr16
                                        ; implicit-def: $vgpr17
                                        ; implicit-def: $vgpr14
.LBB1739_79:
	s_andn2_saveexec_b64 s[4:5], s[40:41]
	s_cbranch_execz .LBB1739_199
; %bb.80:
	s_movk_i32 s4, 0x200
	v_cmp_lt_u32_e32 vcc, s4, v148
	s_and_saveexec_b64 s[4:5], vcc
	s_xor_b64 s[40:41], exec, s[4:5]
	s_cbranch_execz .LBB1739_140
; %bb.81:
	s_load_dwordx2 s[4:5], s[8:9], 0x0
	v_mov_b32_e32 v9, 0
	s_waitcnt vmcnt(0)
	v_mbcnt_hi_u32_b32 v18, -1, v14
	v_lshlrev_b64 v[36:37], 1, v[8:9]
	v_and_b32_e32 v19, 63, v18
	s_waitcnt lgkmcnt(0)
	s_cmp_lt_u32 s12, s4
	s_cselect_b32 s6, 12, 18
	s_cmp_lt_u32 s13, s5
	s_cselect_b32 s4, 14, 20
	s_add_u32 s4, s8, s4
	s_addc_u32 s5, s9, 0
	s_add_u32 s6, s8, s6
	global_load_ushort v21, v9, s[4:5]
	s_addc_u32 s7, s9, 0
	global_load_ushort v22, v9, s[6:7]
	v_add_co_u32_e32 v0, vcc, v0, v36
	v_addc_co_u32_e32 v1, vcc, v1, v37, vcc
	v_lshlrev_b32_e32 v14, 1, v19
	v_and_b32_e32 v34, 0x3ff, v31
	v_add_co_u32_e32 v23, vcc, v0, v14
	v_addc_co_u32_e32 v24, vcc, 0, v1, vcc
	v_mov_b32_e32 v15, v9
	v_mov_b32_e32 v20, -1
	s_waitcnt vmcnt(1)
	v_mad_u32_u24 v0, v17, v21, v16
	v_mov_b32_e32 v21, -1
	s_waitcnt vmcnt(0)
	v_mad_u64_u32 v[0:1], s[4:5], v0, v22, v[34:35]
	v_lshlrev_b32_e32 v1, 2, v0
	v_and_b32_e32 v14, 0xffffff00, v1
	v_lshlrev_b64 v[16:17], 1, v[14:15]
	v_or_b32_e32 v1, v14, v19
	v_add_co_u32_e32 v16, vcc, v23, v16
	v_addc_co_u32_e32 v17, vcc, v24, v17, vcc
	v_cmp_lt_u32_e64 s[10:11], v1, v148
	s_and_saveexec_b64 s[4:5], s[10:11]
	s_cbranch_execz .LBB1739_83
; %bb.82:
	flat_load_ushort v21, v[16:17]
.LBB1739_83:
	s_or_b64 exec, exec, s[4:5]
	v_or_b32_e32 v22, 64, v1
	v_cmp_lt_u32_e64 s[6:7], v22, v148
	s_and_saveexec_b64 s[4:5], s[6:7]
	s_cbranch_execz .LBB1739_85
; %bb.84:
	flat_load_ushort v20, v[16:17] offset:128
.LBB1739_85:
	s_or_b64 exec, exec, s[4:5]
	v_or_b32_e32 v22, 0x80, v1
	v_cmp_lt_u32_e64 s[4:5], v22, v148
	v_mov_b32_e32 v30, -1
	v_mov_b32_e32 v31, -1
	s_and_saveexec_b64 s[14:15], s[4:5]
	s_cbranch_execz .LBB1739_87
; %bb.86:
	flat_load_ushort v31, v[16:17] offset:256
.LBB1739_87:
	s_or_b64 exec, exec, s[14:15]
	v_or_b32_e32 v1, 0xc0, v1
	v_cmp_lt_u32_e32 vcc, v1, v148
	s_and_saveexec_b64 s[14:15], vcc
	s_cbranch_execz .LBB1739_89
; %bb.88:
	flat_load_ushort v30, v[16:17] offset:384
.LBB1739_89:
	s_or_b64 exec, exec, s[14:15]
	v_lshlrev_b64 v[8:9], 3, v[8:9]
	v_add_co_u32_e64 v1, s[14:15], v4, v8
	v_addc_co_u32_e64 v4, s[14:15], v5, v9, s[14:15]
	v_lshlrev_b32_e32 v5, 3, v19
	v_add_co_u32_e64 v1, s[14:15], v1, v5
	v_addc_co_u32_e64 v16, s[14:15], 0, v4, s[14:15]
	v_lshlrev_b64 v[4:5], 3, v[14:15]
	v_add_co_u32_e64 v4, s[14:15], v1, v4
	v_addc_co_u32_e64 v5, s[14:15], v16, v5, s[14:15]
                                        ; implicit-def: $vgpr22_vgpr23_vgpr24_vgpr25_vgpr26_vgpr27_vgpr28_vgpr29
	s_and_saveexec_b64 s[14:15], s[10:11]
	s_cbranch_execnz .LBB1739_164
; %bb.90:
	s_or_b64 exec, exec, s[14:15]
	s_and_saveexec_b64 s[10:11], s[6:7]
	s_cbranch_execnz .LBB1739_165
.LBB1739_91:
	s_or_b64 exec, exec, s[10:11]
	s_and_saveexec_b64 s[6:7], s[4:5]
	s_cbranch_execnz .LBB1739_166
.LBB1739_92:
	s_or_b64 exec, exec, s[6:7]
	s_and_saveexec_b64 s[4:5], vcc
	s_cbranch_execz .LBB1739_94
.LBB1739_93:
	flat_load_dwordx2 v[28:29], v[4:5] offset:1536
.LBB1739_94:
	s_or_b64 exec, exec, s[4:5]
	v_mov_b32_e32 v1, 0x7fff
	s_waitcnt vmcnt(0) lgkmcnt(0)
	v_cmp_gt_i16_e32 vcc, 0, v21
	v_cndmask_b32_e64 v4, v1, 0, vcc
	v_cmp_gt_i16_e32 vcc, 0, v20
	v_xor_b32_e32 v67, v4, v21
	v_cndmask_b32_e64 v4, v1, 0, vcc
	v_cmp_gt_i16_e32 vcc, 0, v31
	v_xor_b32_e32 v69, v4, v20
	;; [unrolled: 3-line block ×3, first 2 shown]
	v_cndmask_b32_e64 v4, v1, 0, vcc
	v_add_co_u32_e32 v35, vcc, 16, v12
	v_and_b32_e32 v14, 0x3c0, v34
	v_xor_b32_e32 v112, v4, v30
	v_addc_co_u32_e32 v96, vcc, 0, v13, vcc
	v_lshlrev_b32_e32 v4, 4, v34
	v_min_u32_e32 v14, 0xc0, v14
	v_add_co_u32_e32 v38, vcc, v12, v4
	v_or_b32_e32 v14, 63, v14
	s_getpc_b64 s[4:5]
	s_add_u32 s4, s4, _ZN7rocprim17ROCPRIM_400000_NS16block_radix_sortI6__halfLj256ELj4ElLj1ELj1ELj8ELNS0_26block_radix_rank_algorithmE2ELNS0_18block_padding_hintE2ELNS0_4arch9wavefront6targetE1EE19radix_bits_per_passE@rel32@lo+4
	s_addc_u32 s5, s5, _ZN7rocprim17ROCPRIM_400000_NS16block_radix_sortI6__halfLj256ELj4ElLj1ELj1ELj8ELNS0_26block_radix_rank_algorithmE2ELNS0_18block_padding_hintE2ELNS0_4arch9wavefront6targetE1EE19radix_bits_per_passE@rel32@hi+12
	v_addc_co_u32_e32 v39, vcc, 0, v13, vcc
	v_and_b32_e32 v4, 15, v18
	v_cmp_eq_u32_e64 s[16:17], v14, v34
	v_add_u32_e32 v14, -1, v18
	v_and_b32_e32 v15, 64, v18
	s_load_dword s46, s[4:5], 0x0
	v_cmp_eq_u32_e32 vcc, 0, v4
	v_cmp_lt_u32_e64 s[4:5], 1, v4
	v_cmp_lt_u32_e64 s[6:7], 3, v4
	;; [unrolled: 1-line block ×3, first 2 shown]
	v_and_b32_e32 v4, 16, v18
	v_cmp_lt_i32_e64 s[22:23], v14, v15
	v_cmp_eq_u32_e64 s[30:31], 0, v4
	v_lshrrev_b32_e32 v4, 6, v34
	v_cndmask_b32_e64 v14, v14, v18, s[22:23]
	v_lshlrev_b32_e32 v98, 2, v14
	v_lshlrev_b32_e32 v14, 2, v4
	v_add_co_u32_e64 v48, s[26:27], v12, v14
	v_lshlrev_b32_e32 v16, 2, v34
	v_addc_co_u32_e64 v49, s[26:27], 0, v13, s[26:27]
	v_add_co_u32_e64 v50, s[26:27], v12, v16
	v_mov_b32_e32 v5, 0
	v_addc_co_u32_e64 v51, s[26:27], 0, v13, s[26:27]
	v_and_b32_e32 v14, 3, v18
	v_add_u32_e32 v4, -1, v4
	v_cmp_eq_u32_e64 s[26:27], 0, v14
	v_cmp_lt_u32_e64 s[28:29], 1, v14
	v_lshlrev_b64 v[14:15], 2, v[4:5]
	v_add_co_u32_e64 v52, s[34:35], v12, v14
	v_addc_co_u32_e64 v53, s[34:35], v13, v15, s[34:35]
	s_movk_i32 s34, 0xf00
	v_and_or_b32 v4, v16, s34, v19
	v_lshlrev_b32_e32 v14, 1, v4
	v_add_co_u32_e64 v54, s[34:35], v12, v14
	v_addc_co_u32_e64 v55, s[34:35], 0, v13, s[34:35]
	v_lshrrev_b32_e32 v97, 6, v0
	v_cmp_lt_u32_e64 s[14:15], 31, v18
	v_cmp_gt_u32_e64 s[18:19], 4, v34
	v_cmp_lt_u32_e64 s[20:21], 63, v34
	v_cmp_eq_u32_e64 s[22:23], 0, v18
	v_cmp_eq_u32_e64 s[24:25], 0, v34
	v_mad_u64_u32 v[64:65], s[34:35], v4, 6, v[54:55]
	v_sub_u32_e32 v99, v11, v10
	s_mov_b64 s[42:43], 0
	s_movk_i32 s47, 0x8000
	v_mov_b32_e32 v30, v5
	v_mov_b32_e32 v31, v5
	v_mov_b32_e32 v32, v5
	v_mov_b32_e32 v33, v5
	s_waitcnt lgkmcnt(0)
	s_barrier
	s_branch .LBB1739_96
.LBB1739_95:                            ;   in Loop: Header=BB1739_96 Depth=1
	s_or_b64 exec, exec, s[36:37]
	s_and_b64 s[34:35], exec, s[44:45]
	s_or_b64 s[42:43], s[34:35], s[42:43]
	s_andn2_b64 exec, exec, s[42:43]
	s_cbranch_execz .LBB1739_126
.LBB1739_96:                            ; =>This Inner Loop Header: Depth=1
	s_waitcnt vmcnt(0)
	v_mov_b32_e32 v103, v67
	v_min_u32_e32 v4, s46, v99
	v_pk_mov_b32 v[14:15], v[22:23], v[22:23] op_sel:[0,1]
	v_lshlrev_b32_e64 v4, v4, -1
	v_cmp_ne_u16_e64 s[34:35], s47, v103
	v_pk_mov_b32 v[16:17], v[24:25], v[24:25] op_sel:[0,1]
	v_pk_mov_b32 v[18:19], v[26:27], v[26:27] op_sel:[0,1]
	;; [unrolled: 1-line block ×3, first 2 shown]
	v_not_b32_e32 v24, v4
	v_cndmask_b32_e64 v4, v1, v103, s[34:35]
	v_lshrrev_b32_sdwa v4, v10, v4 dst_sel:DWORD dst_unused:UNUSED_PAD src0_sel:DWORD src1_sel:WORD_0
	v_and_b32_e32 v4, v4, v24
	v_lshlrev_b32_e32 v22, 2, v4
	v_add_lshl_u32 v22, v22, v97, 2
	v_add_co_u32_e64 v26, s[34:35], v35, v22
	v_addc_co_u32_e64 v27, s[34:35], 0, v96, s[34:35]
	v_and_b32_e32 v22, 1, v4
	v_add_co_u32_e64 v23, s[34:35], -1, v22
	v_addc_co_u32_e64 v25, s[34:35], 0, -1, s[34:35]
	v_cmp_ne_u32_e64 s[34:35], 0, v22
	v_xor_b32_e32 v22, s35, v25
	v_xor_b32_e32 v23, s34, v23
	v_and_b32_e32 v25, exec_hi, v22
	v_and_b32_e32 v28, exec_lo, v23
	v_lshlrev_b32_e32 v23, 30, v4
	v_mov_b32_e32 v22, v5
	v_cmp_gt_i64_e64 s[34:35], 0, v[22:23]
	v_not_b32_e32 v22, v23
	v_ashrrev_i32_e32 v22, 31, v22
	v_xor_b32_e32 v23, s35, v22
	v_xor_b32_e32 v22, s34, v22
	v_and_b32_e32 v25, v25, v23
	v_and_b32_e32 v28, v28, v22
	v_lshlrev_b32_e32 v23, 29, v4
	v_mov_b32_e32 v22, v5
	v_cmp_gt_i64_e64 s[34:35], 0, v[22:23]
	v_not_b32_e32 v22, v23
	v_ashrrev_i32_e32 v22, 31, v22
	v_xor_b32_e32 v23, s35, v22
	v_xor_b32_e32 v22, s34, v22
	v_and_b32_e32 v25, v25, v23
	v_and_b32_e32 v28, v28, v22
	;; [unrolled: 9-line block ×5, first 2 shown]
	v_lshlrev_b32_e32 v23, 25, v4
	v_mov_b32_e32 v22, v5
	v_cmp_gt_i64_e64 s[34:35], 0, v[22:23]
	v_not_b32_e32 v22, v23
	v_ashrrev_i32_e32 v22, 31, v22
	v_xor_b32_e32 v23, s35, v22
	v_xor_b32_e32 v22, s34, v22
	v_and_b32_e32 v25, v25, v23
	v_lshlrev_b32_e32 v23, 24, v4
	v_and_b32_e32 v28, v28, v22
	v_mov_b32_e32 v22, v5
	v_not_b32_e32 v4, v23
	v_cmp_gt_i64_e64 s[34:35], 0, v[22:23]
	v_ashrrev_i32_e32 v4, 31, v4
	v_xor_b32_e32 v22, s35, v4
	v_xor_b32_e32 v4, s34, v4
	v_and_b32_e32 v23, v25, v22
	v_and_b32_e32 v22, v28, v4
	v_mbcnt_lo_u32_b32 v4, v22, 0
	v_mbcnt_hi_u32_b32 v4, v23, v4
	v_cmp_eq_u32_e64 s[34:35], 0, v4
	v_cmp_ne_u64_e64 s[36:37], 0, v[22:23]
	v_mov_b32_e32 v102, v69
	v_mov_b32_e32 v101, v71
	;; [unrolled: 1-line block ×3, first 2 shown]
	s_and_b64 s[36:37], s[36:37], s[34:35]
	flat_store_dwordx4 v[38:39], v[30:33] offset:16
	s_waitcnt lgkmcnt(0)
	s_barrier
	s_waitcnt lgkmcnt(0)
	; wave barrier
	s_and_saveexec_b64 s[34:35], s[36:37]
	s_cbranch_execz .LBB1739_98
; %bb.97:                               ;   in Loop: Header=BB1739_96 Depth=1
	v_bcnt_u32_b32 v22, v22, 0
	v_bcnt_u32_b32 v22, v23, v22
	flat_store_dword v[26:27], v22
.LBB1739_98:                            ;   in Loop: Header=BB1739_96 Depth=1
	s_or_b64 exec, exec, s[34:35]
	v_cmp_ne_u16_e64 s[34:35], s47, v102
	v_cndmask_b32_e64 v22, v1, v102, s[34:35]
	v_lshrrev_b32_sdwa v22, v10, v22 dst_sel:DWORD dst_unused:UNUSED_PAD src0_sel:DWORD src1_sel:WORD_0
	v_and_b32_e32 v25, v22, v24
	v_lshlrev_b32_e32 v22, 2, v25
	v_add_lshl_u32 v22, v22, v97, 2
	v_add_co_u32_e64 v28, s[34:35], v35, v22
	v_addc_co_u32_e64 v29, s[34:35], 0, v96, s[34:35]
	; wave barrier
	flat_load_dword v70, v[28:29]
	v_and_b32_e32 v22, 1, v25
	v_add_co_u32_e64 v23, s[34:35], -1, v22
	v_addc_co_u32_e64 v66, s[34:35], 0, -1, s[34:35]
	v_cmp_ne_u32_e64 s[34:35], 0, v22
	v_xor_b32_e32 v22, s35, v66
	v_xor_b32_e32 v23, s34, v23
	v_and_b32_e32 v66, exec_hi, v22
	v_and_b32_e32 v67, exec_lo, v23
	v_lshlrev_b32_e32 v23, 30, v25
	v_mov_b32_e32 v22, v5
	v_cmp_gt_i64_e64 s[34:35], 0, v[22:23]
	v_not_b32_e32 v22, v23
	v_ashrrev_i32_e32 v22, 31, v22
	v_xor_b32_e32 v23, s35, v22
	v_xor_b32_e32 v22, s34, v22
	v_and_b32_e32 v66, v66, v23
	v_and_b32_e32 v67, v67, v22
	v_lshlrev_b32_e32 v23, 29, v25
	v_mov_b32_e32 v22, v5
	v_cmp_gt_i64_e64 s[34:35], 0, v[22:23]
	v_not_b32_e32 v22, v23
	v_ashrrev_i32_e32 v22, 31, v22
	v_xor_b32_e32 v23, s35, v22
	v_xor_b32_e32 v22, s34, v22
	v_and_b32_e32 v66, v66, v23
	v_and_b32_e32 v67, v67, v22
	;; [unrolled: 9-line block ×7, first 2 shown]
	v_mbcnt_lo_u32_b32 v25, v22, 0
	v_mbcnt_hi_u32_b32 v80, v23, v25
	v_cmp_eq_u32_e64 s[34:35], 0, v80
	v_cmp_ne_u64_e64 s[36:37], 0, v[22:23]
	s_and_b64 s[36:37], s[36:37], s[34:35]
	; wave barrier
	s_and_saveexec_b64 s[34:35], s[36:37]
	s_cbranch_execz .LBB1739_100
; %bb.99:                               ;   in Loop: Header=BB1739_96 Depth=1
	v_bcnt_u32_b32 v22, v22, 0
	v_bcnt_u32_b32 v22, v23, v22
	s_waitcnt vmcnt(0) lgkmcnt(0)
	v_add_u32_e32 v22, v70, v22
	flat_store_dword v[28:29], v22
.LBB1739_100:                           ;   in Loop: Header=BB1739_96 Depth=1
	s_or_b64 exec, exec, s[34:35]
	v_cmp_ne_u16_e64 s[34:35], s47, v101
	v_cndmask_b32_e64 v22, v1, v101, s[34:35]
	v_lshrrev_b32_sdwa v22, v10, v22 dst_sel:DWORD dst_unused:UNUSED_PAD src0_sel:DWORD src1_sel:WORD_0
	v_and_b32_e32 v25, v22, v24
	v_lshlrev_b32_e32 v22, 2, v25
	v_add_lshl_u32 v22, v22, v97, 2
	v_add_co_u32_e64 v66, s[34:35], v35, v22
	v_addc_co_u32_e64 v67, s[34:35], 0, v96, s[34:35]
	; wave barrier
	flat_load_dword v81, v[66:67]
	v_and_b32_e32 v22, 1, v25
	v_add_co_u32_e64 v23, s[34:35], -1, v22
	v_addc_co_u32_e64 v68, s[34:35], 0, -1, s[34:35]
	v_cmp_ne_u32_e64 s[34:35], 0, v22
	v_xor_b32_e32 v22, s35, v68
	v_xor_b32_e32 v23, s34, v23
	v_and_b32_e32 v68, exec_hi, v22
	v_and_b32_e32 v69, exec_lo, v23
	v_lshlrev_b32_e32 v23, 30, v25
	v_mov_b32_e32 v22, v5
	v_cmp_gt_i64_e64 s[34:35], 0, v[22:23]
	v_not_b32_e32 v22, v23
	v_ashrrev_i32_e32 v22, 31, v22
	v_xor_b32_e32 v23, s35, v22
	v_xor_b32_e32 v22, s34, v22
	v_and_b32_e32 v68, v68, v23
	v_and_b32_e32 v69, v69, v22
	v_lshlrev_b32_e32 v23, 29, v25
	v_mov_b32_e32 v22, v5
	v_cmp_gt_i64_e64 s[34:35], 0, v[22:23]
	v_not_b32_e32 v22, v23
	v_ashrrev_i32_e32 v22, 31, v22
	v_xor_b32_e32 v23, s35, v22
	v_xor_b32_e32 v22, s34, v22
	v_and_b32_e32 v68, v68, v23
	v_and_b32_e32 v69, v69, v22
	;; [unrolled: 9-line block ×7, first 2 shown]
	v_mbcnt_lo_u32_b32 v25, v22, 0
	v_mbcnt_hi_u32_b32 v82, v23, v25
	v_cmp_eq_u32_e64 s[34:35], 0, v82
	v_cmp_ne_u64_e64 s[36:37], 0, v[22:23]
	s_and_b64 s[36:37], s[36:37], s[34:35]
	; wave barrier
	s_and_saveexec_b64 s[34:35], s[36:37]
	s_cbranch_execz .LBB1739_102
; %bb.101:                              ;   in Loop: Header=BB1739_96 Depth=1
	v_bcnt_u32_b32 v22, v22, 0
	v_bcnt_u32_b32 v22, v23, v22
	s_waitcnt vmcnt(0) lgkmcnt(0)
	v_add_u32_e32 v22, v81, v22
	flat_store_dword v[66:67], v22
.LBB1739_102:                           ;   in Loop: Header=BB1739_96 Depth=1
	s_or_b64 exec, exec, s[34:35]
	v_cmp_ne_u16_e64 s[34:35], s47, v100
	v_cndmask_b32_e64 v22, v1, v100, s[34:35]
	v_lshrrev_b32_sdwa v22, v10, v22 dst_sel:DWORD dst_unused:UNUSED_PAD src0_sel:DWORD src1_sel:WORD_0
	v_and_b32_e32 v24, v22, v24
	v_lshlrev_b32_e32 v22, 2, v24
	v_add_lshl_u32 v22, v22, v97, 2
	v_add_co_u32_e64 v68, s[34:35], v35, v22
	v_addc_co_u32_e64 v69, s[34:35], 0, v96, s[34:35]
	; wave barrier
	flat_load_dword v83, v[68:69]
	v_and_b32_e32 v22, 1, v24
	v_add_co_u32_e64 v23, s[34:35], -1, v22
	v_addc_co_u32_e64 v25, s[34:35], 0, -1, s[34:35]
	v_cmp_ne_u32_e64 s[34:35], 0, v22
	v_xor_b32_e32 v22, s35, v25
	v_xor_b32_e32 v23, s34, v23
	v_and_b32_e32 v25, exec_hi, v22
	v_and_b32_e32 v71, exec_lo, v23
	v_lshlrev_b32_e32 v23, 30, v24
	v_mov_b32_e32 v22, v5
	v_cmp_gt_i64_e64 s[34:35], 0, v[22:23]
	v_not_b32_e32 v22, v23
	v_ashrrev_i32_e32 v22, 31, v22
	v_xor_b32_e32 v23, s35, v22
	v_xor_b32_e32 v22, s34, v22
	v_and_b32_e32 v25, v25, v23
	v_and_b32_e32 v71, v71, v22
	v_lshlrev_b32_e32 v23, 29, v24
	v_mov_b32_e32 v22, v5
	v_cmp_gt_i64_e64 s[34:35], 0, v[22:23]
	v_not_b32_e32 v22, v23
	v_ashrrev_i32_e32 v22, 31, v22
	v_xor_b32_e32 v23, s35, v22
	v_xor_b32_e32 v22, s34, v22
	v_and_b32_e32 v25, v25, v23
	v_and_b32_e32 v71, v71, v22
	;; [unrolled: 9-line block ×7, first 2 shown]
	v_mbcnt_lo_u32_b32 v24, v22, 0
	v_mbcnt_hi_u32_b32 v84, v23, v24
	v_cmp_eq_u32_e64 s[34:35], 0, v84
	v_cmp_ne_u64_e64 s[36:37], 0, v[22:23]
	s_and_b64 s[36:37], s[36:37], s[34:35]
	; wave barrier
	s_and_saveexec_b64 s[34:35], s[36:37]
	s_cbranch_execz .LBB1739_104
; %bb.103:                              ;   in Loop: Header=BB1739_96 Depth=1
	v_bcnt_u32_b32 v22, v22, 0
	v_bcnt_u32_b32 v22, v23, v22
	s_waitcnt vmcnt(0) lgkmcnt(0)
	v_add_u32_e32 v22, v83, v22
	flat_store_dword v[68:69], v22
.LBB1739_104:                           ;   in Loop: Header=BB1739_96 Depth=1
	s_or_b64 exec, exec, s[34:35]
	; wave barrier
	s_waitcnt lgkmcnt(0)
	s_barrier
	flat_load_dwordx4 v[22:25], v[38:39] offset:16
	s_waitcnt vmcnt(0) lgkmcnt(0)
	v_add_u32_e32 v71, v23, v22
	v_add3_u32 v25, v71, v24, v25
	s_nop 1
	v_mov_b32_dpp v71, v25 row_shr:1 row_mask:0xf bank_mask:0xf
	v_cndmask_b32_e64 v71, v71, 0, vcc
	v_add_u32_e32 v25, v71, v25
	s_nop 1
	v_mov_b32_dpp v71, v25 row_shr:2 row_mask:0xf bank_mask:0xf
	v_cndmask_b32_e64 v71, 0, v71, s[4:5]
	v_add_u32_e32 v25, v25, v71
	s_nop 1
	v_mov_b32_dpp v71, v25 row_shr:4 row_mask:0xf bank_mask:0xf
	v_cndmask_b32_e64 v71, 0, v71, s[6:7]
	;; [unrolled: 4-line block ×3, first 2 shown]
	v_add_u32_e32 v25, v25, v71
	s_nop 1
	v_mov_b32_dpp v71, v25 row_bcast:15 row_mask:0xf bank_mask:0xf
	v_cndmask_b32_e64 v71, v71, 0, s[30:31]
	v_add_u32_e32 v25, v25, v71
	s_nop 1
	v_mov_b32_dpp v71, v25 row_bcast:31 row_mask:0xf bank_mask:0xf
	v_cndmask_b32_e64 v71, 0, v71, s[14:15]
	v_add_u32_e32 v25, v25, v71
	s_and_saveexec_b64 s[34:35], s[16:17]
	s_cbranch_execz .LBB1739_106
; %bb.105:                              ;   in Loop: Header=BB1739_96 Depth=1
	flat_store_dword v[48:49], v25
.LBB1739_106:                           ;   in Loop: Header=BB1739_96 Depth=1
	s_or_b64 exec, exec, s[34:35]
	s_waitcnt lgkmcnt(0)
	s_barrier
	s_and_saveexec_b64 s[34:35], s[18:19]
	s_cbranch_execz .LBB1739_108
; %bb.107:                              ;   in Loop: Header=BB1739_96 Depth=1
	flat_load_dword v71, v[50:51]
	s_waitcnt vmcnt(0) lgkmcnt(0)
	s_nop 0
	v_mov_b32_dpp v85, v71 row_shr:1 row_mask:0xf bank_mask:0xf
	v_cndmask_b32_e64 v85, v85, 0, s[26:27]
	v_add_u32_e32 v71, v85, v71
	s_nop 1
	v_mov_b32_dpp v85, v71 row_shr:2 row_mask:0xf bank_mask:0xf
	v_cndmask_b32_e64 v85, 0, v85, s[28:29]
	v_add_u32_e32 v71, v71, v85
	flat_store_dword v[50:51], v71
.LBB1739_108:                           ;   in Loop: Header=BB1739_96 Depth=1
	s_or_b64 exec, exec, s[34:35]
	v_mov_b32_e32 v71, 0
	s_waitcnt lgkmcnt(0)
	s_barrier
	s_and_saveexec_b64 s[34:35], s[20:21]
	s_cbranch_execz .LBB1739_110
; %bb.109:                              ;   in Loop: Header=BB1739_96 Depth=1
	flat_load_dword v71, v[52:53]
.LBB1739_110:                           ;   in Loop: Header=BB1739_96 Depth=1
	s_or_b64 exec, exec, s[34:35]
	s_waitcnt vmcnt(0) lgkmcnt(0)
	v_add_u32_e32 v25, v71, v25
	ds_bpermute_b32 v25, v98, v25
	v_add_u32_e32 v10, 8, v10
	v_cmp_lt_u32_e64 s[34:35], v10, v11
	s_mov_b64 s[44:45], -1
	s_waitcnt lgkmcnt(0)
	v_cndmask_b32_e64 v25, v25, v71, s[22:23]
	v_cndmask_b32_e64 v112, v25, 0, s[24:25]
	v_add_u32_e32 v113, v112, v22
	v_add_u32_e32 v114, v113, v23
	v_add_u32_e32 v115, v114, v24
	flat_store_dwordx4 v[38:39], v[112:115] offset:16
	s_waitcnt lgkmcnt(0)
	s_barrier
	flat_load_dword v22, v[26:27]
	flat_load_dword v23, v[28:29]
	;; [unrolled: 1-line block ×4, first 2 shown]
	v_mov_b32_e32 v67, v5
	v_mov_b32_e32 v69, v5
	;; [unrolled: 1-line block ×3, first 2 shown]
	s_waitcnt lgkmcnt(0)
                                        ; implicit-def: $vgpr112
	s_waitcnt vmcnt(0) lgkmcnt(0)
	v_add_u32_e32 v4, v22, v4
	v_add3_u32 v66, v80, v70, v23
	v_lshlrev_b64 v[22:23], 1, v[4:5]
	v_add_co_u32_e64 v86, s[36:37], v12, v22
	v_add3_u32 v68, v82, v81, v24
	v_add3_u32 v70, v84, v83, v25
	v_lshlrev_b64 v[24:25], 1, v[66:67]
	v_addc_co_u32_e64 v87, s[36:37], v13, v23, s[36:37]
	v_add_co_u32_e64 v84, s[36:37], v12, v24
	v_lshlrev_b64 v[26:27], 1, v[68:69]
	v_addc_co_u32_e64 v85, s[36:37], v13, v25, s[36:37]
	v_add_co_u32_e64 v82, s[36:37], v12, v26
	;; [unrolled: 3-line block ×3, first 2 shown]
	v_addc_co_u32_e64 v81, s[36:37], v13, v29, s[36:37]
                                        ; implicit-def: $vgpr22_vgpr23_vgpr24_vgpr25_vgpr26_vgpr27_vgpr28_vgpr29
                                        ; implicit-def: $vgpr67
                                        ; implicit-def: $vgpr69
                                        ; implicit-def: $vgpr71
	s_and_saveexec_b64 s[36:37], s[34:35]
	s_cbranch_execz .LBB1739_95
; %bb.111:                              ;   in Loop: Header=BB1739_96 Depth=1
	v_mad_u64_u32 v[22:23], s[34:35], v4, 6, v[86:87]
	s_barrier
	flat_store_short v[86:87], v103
	flat_store_short v[84:85], v102
	;; [unrolled: 1-line block ×4, first 2 shown]
	s_waitcnt lgkmcnt(0)
	s_barrier
	flat_load_ushort v67, v[54:55]
	flat_load_ushort v69, v[54:55] offset:128
	flat_load_ushort v71, v[54:55] offset:256
	;; [unrolled: 1-line block ×3, first 2 shown]
	s_waitcnt lgkmcnt(0)
	s_barrier
	flat_store_dwordx2 v[22:23], v[14:15]
	v_mad_u64_u32 v[22:23], s[34:35], v66, 6, v[84:85]
	flat_store_dwordx2 v[22:23], v[16:17]
	v_mad_u64_u32 v[22:23], s[34:35], v68, 6, v[82:83]
	;; [unrolled: 2-line block ×3, first 2 shown]
	flat_store_dwordx2 v[22:23], v[20:21]
	s_waitcnt lgkmcnt(0)
	s_barrier
	flat_load_dwordx2 v[22:23], v[64:65]
	flat_load_dwordx2 v[24:25], v[64:65] offset:512
	flat_load_dwordx2 v[26:27], v[64:65] offset:1024
	;; [unrolled: 1-line block ×3, first 2 shown]
	v_add_u32_e32 v99, -8, v99
	s_xor_b64 s[44:45], exec, -1
	s_waitcnt lgkmcnt(0)
	s_barrier
	s_branch .LBB1739_95
.LBB1739_112:
	flat_load_dwordx2 v[16:17], v[4:5]
	s_or_b64 exec, exec, s[22:23]
                                        ; implicit-def: $vgpr18_vgpr19
	s_and_saveexec_b64 s[22:23], s[4:5]
	s_cbranch_execz .LBB1739_20
.LBB1739_113:
	flat_load_dwordx2 v[18:19], v[4:5] offset:512
	s_or_b64 exec, exec, s[22:23]
                                        ; implicit-def: $vgpr66_vgpr67
	s_and_saveexec_b64 s[4:5], s[6:7]
	s_cbranch_execz .LBB1739_21
.LBB1739_114:
	flat_load_dwordx2 v[66:67], v[4:5] offset:1024
	s_or_b64 exec, exec, s[4:5]
                                        ; implicit-def: $vgpr68_vgpr69
	s_and_saveexec_b64 s[4:5], s[10:11]
	s_cbranch_execz .LBB1739_22
.LBB1739_115:
	flat_load_dwordx2 v[68:69], v[4:5] offset:1536
	s_or_b64 exec, exec, s[4:5]
                                        ; implicit-def: $vgpr80_vgpr81
	s_and_saveexec_b64 s[4:5], s[20:21]
	s_cbranch_execz .LBB1739_23
.LBB1739_116:
	flat_load_dwordx2 v[80:81], v[4:5] offset:2048
	s_or_b64 exec, exec, s[4:5]
                                        ; implicit-def: $vgpr86_vgpr87
	s_and_saveexec_b64 s[4:5], s[14:15]
	s_cbranch_execz .LBB1739_24
.LBB1739_117:
	flat_load_dwordx2 v[86:87], v[4:5] offset:2560
	s_or_b64 exec, exec, s[4:5]
                                        ; implicit-def: $vgpr102_vgpr103
	s_and_saveexec_b64 s[4:5], s[16:17]
	s_cbranch_execz .LBB1739_25
.LBB1739_118:
	flat_load_dwordx2 v[102:103], v[4:5] offset:3072
	s_or_b64 exec, exec, s[4:5]
                                        ; implicit-def: $vgpr114_vgpr115
	s_and_saveexec_b64 s[4:5], s[18:19]
	s_cbranch_execnz .LBB1739_26
	s_branch .LBB1739_27
.LBB1739_119:
	s_waitcnt vmcnt(0)
	flat_store_dwordx2 v[0:1], v[26:27]
	s_or_b64 exec, exec, s[22:23]
	s_and_saveexec_b64 s[22:23], s[4:5]
	s_cbranch_execz .LBB1739_71
.LBB1739_120:
	s_waitcnt vmcnt(0)
	flat_store_dwordx2 v[0:1], v[24:25] offset:2048
	s_or_b64 exec, exec, s[22:23]
	s_and_saveexec_b64 s[4:5], s[6:7]
	s_cbranch_execz .LBB1739_72
.LBB1739_121:
	v_add_co_u32_e32 v2, vcc, 0x1000, v0
	v_addc_co_u32_e32 v3, vcc, 0, v1, vcc
	s_waitcnt vmcnt(0)
	flat_store_dwordx2 v[2:3], v[18:19]
	s_or_b64 exec, exec, s[4:5]
	s_and_saveexec_b64 s[4:5], s[10:11]
	s_cbranch_execz .LBB1739_73
.LBB1739_122:
	v_add_co_u32_e32 v2, vcc, 0x1000, v0
	v_addc_co_u32_e32 v3, vcc, 0, v1, vcc
	s_waitcnt vmcnt(0)
	flat_store_dwordx2 v[2:3], v[14:15] offset:2048
	s_or_b64 exec, exec, s[4:5]
	s_and_saveexec_b64 s[4:5], s[20:21]
	s_cbranch_execz .LBB1739_74
.LBB1739_123:
	v_add_co_u32_e32 v2, vcc, 0x2000, v0
	v_addc_co_u32_e32 v3, vcc, 0, v1, vcc
	s_waitcnt vmcnt(0)
	flat_store_dwordx2 v[2:3], v[16:17]
	s_or_b64 exec, exec, s[4:5]
	s_and_saveexec_b64 s[4:5], s[14:15]
	s_cbranch_execz .LBB1739_75
.LBB1739_124:
	v_add_co_u32_e32 v2, vcc, 0x2000, v0
	v_addc_co_u32_e32 v3, vcc, 0, v1, vcc
	s_waitcnt vmcnt(0)
	flat_store_dwordx2 v[2:3], v[12:13] offset:2048
	s_or_b64 exec, exec, s[4:5]
	s_and_saveexec_b64 s[4:5], s[16:17]
	s_cbranch_execz .LBB1739_76
.LBB1739_125:
	v_add_co_u32_e32 v2, vcc, 0x3000, v0
	v_addc_co_u32_e32 v3, vcc, 0, v1, vcc
	s_waitcnt vmcnt(0)
	flat_store_dwordx2 v[2:3], v[10:11]
	s_or_b64 exec, exec, s[4:5]
	s_and_saveexec_b64 s[4:5], s[18:19]
	s_cbranch_execnz .LBB1739_77
	s_branch .LBB1739_78
.LBB1739_126:
	s_or_b64 exec, exec, s[42:43]
	v_lshlrev_b32_e32 v1, 1, v34
	v_add_co_u32_e32 v10, vcc, v12, v1
	v_addc_co_u32_e32 v11, vcc, 0, v13, vcc
	v_mad_u64_u32 v[4:5], s[4:5], v4, 6, v[86:87]
	s_barrier
	flat_store_short v[86:87], v103
	flat_store_short v[84:85], v102
	;; [unrolled: 1-line block ×4, first 2 shown]
	s_waitcnt lgkmcnt(0)
	s_barrier
	s_waitcnt vmcnt(0)
	flat_load_ushort v25, v[10:11]
	flat_load_ushort v24, v[10:11] offset:512
	flat_load_ushort v23, v[10:11] offset:1024
	;; [unrolled: 1-line block ×3, first 2 shown]
	s_waitcnt lgkmcnt(0)
	s_barrier
	flat_store_dwordx2 v[4:5], v[14:15]
	v_mad_u64_u32 v[4:5], s[4:5], v66, 6, v[84:85]
	flat_store_dwordx2 v[4:5], v[16:17]
	v_mad_u64_u32 v[4:5], s[4:5], v68, 6, v[82:83]
	flat_store_dwordx2 v[4:5], v[18:19]
	v_mad_u64_u32 v[4:5], s[4:5], v70, 6, v[80:81]
	v_mad_u64_u32 v[16:17], s[4:5], v34, 6, v[10:11]
	s_movk_i32 s4, 0x1000
	v_add_co_u32_e32 v18, vcc, s4, v16
	flat_store_dwordx2 v[4:5], v[20:21]
	s_waitcnt lgkmcnt(0)
	s_barrier
	v_addc_co_u32_e32 v19, vcc, 0, v17, vcc
	flat_load_dwordx2 v[14:15], v[16:17]
	flat_load_dwordx2 v[12:13], v[16:17] offset:2048
	flat_load_dwordx2 v[10:11], v[18:19]
	flat_load_dwordx2 v[4:5], v[18:19] offset:2048
	v_mov_b32_e32 v1, 0
	v_add_co_u32_e32 v16, vcc, v2, v36
	v_addc_co_u32_e32 v17, vcc, v3, v37, vcc
	v_lshlrev_b64 v[2:3], 1, v[0:1]
	v_add_co_u32_e32 v2, vcc, v16, v2
	v_addc_co_u32_e32 v3, vcc, v17, v3, vcc
	v_cmp_lt_u32_e32 vcc, v0, v148
	s_waitcnt lgkmcnt(0)
	s_barrier
	s_and_saveexec_b64 s[6:7], vcc
	s_cbranch_execz .LBB1739_128
; %bb.127:
	v_mov_b32_e32 v16, 0x7fff
	s_waitcnt vmcnt(0)
	v_cmp_gt_i16_e64 s[4:5], 0, v25
	v_cndmask_b32_e64 v16, v16, 0, s[4:5]
	v_xor_b32_e32 v16, v16, v25
	flat_store_short v[2:3], v16
.LBB1739_128:
	s_or_b64 exec, exec, s[6:7]
	v_add_u32_e32 v16, 0x100, v0
	v_cmp_lt_u32_e64 s[4:5], v16, v148
	s_and_saveexec_b64 s[10:11], s[4:5]
	s_cbranch_execz .LBB1739_130
; %bb.129:
	v_mov_b32_e32 v16, 0x7fff
	s_waitcnt vmcnt(0)
	v_cmp_gt_i16_e64 s[6:7], 0, v24
	v_cndmask_b32_e64 v16, v16, 0, s[6:7]
	v_xor_b32_e32 v16, v16, v24
	flat_store_short v[2:3], v16 offset:512
.LBB1739_130:
	s_or_b64 exec, exec, s[10:11]
	v_add_u32_e32 v16, 0x200, v0
	v_cmp_lt_u32_e64 s[6:7], v16, v148
	s_and_saveexec_b64 s[14:15], s[6:7]
	s_cbranch_execz .LBB1739_132
; %bb.131:
	v_mov_b32_e32 v16, 0x7fff
	s_waitcnt vmcnt(0)
	v_cmp_gt_i16_e64 s[10:11], 0, v23
	v_cndmask_b32_e64 v16, v16, 0, s[10:11]
	v_xor_b32_e32 v16, v16, v23
	flat_store_short v[2:3], v16 offset:1024
.LBB1739_132:
	;; [unrolled: 13-line block ×3, first 2 shown]
	s_or_b64 exec, exec, s[16:17]
	v_add_co_u32_e64 v2, s[14:15], v6, v8
	v_addc_co_u32_e64 v3, s[14:15], v7, v9, s[14:15]
	v_lshlrev_b64 v[0:1], 3, v[0:1]
	v_add_co_u32_e64 v0, s[14:15], v2, v0
	v_addc_co_u32_e64 v1, s[14:15], v3, v1, s[14:15]
	s_and_saveexec_b64 s[14:15], vcc
	s_cbranch_execnz .LBB1739_167
; %bb.135:
	s_or_b64 exec, exec, s[14:15]
	s_and_saveexec_b64 s[14:15], s[4:5]
	s_cbranch_execnz .LBB1739_168
.LBB1739_136:
	s_or_b64 exec, exec, s[14:15]
	s_and_saveexec_b64 s[4:5], s[6:7]
	s_cbranch_execnz .LBB1739_169
.LBB1739_137:
	s_or_b64 exec, exec, s[4:5]
	s_and_saveexec_b64 s[4:5], s[10:11]
	s_cbranch_execz .LBB1739_139
.LBB1739_138:
	v_add_co_u32_e32 v0, vcc, 0x1000, v0
	v_addc_co_u32_e32 v1, vcc, 0, v1, vcc
	s_waitcnt vmcnt(0)
	flat_store_dwordx2 v[0:1], v[4:5] offset:2048
.LBB1739_139:
	s_or_b64 exec, exec, s[4:5]
                                        ; implicit-def: $vgpr148
                                        ; implicit-def: $vgpr0
                                        ; implicit-def: $vgpr1
                                        ; implicit-def: $vgpr2
                                        ; implicit-def: $vgpr3
                                        ; implicit-def: $vgpr4
                                        ; implicit-def: $vgpr5
                                        ; implicit-def: $vgpr6
                                        ; implicit-def: $vgpr7
                                        ; implicit-def: $vgpr8
                                        ; implicit-def: $vgpr10
                                        ; implicit-def: $vgpr11
                                        ; implicit-def: $vgpr12
                                        ; implicit-def: $vgpr13
                                        ; implicit-def: $vgpr31
                                        ; implicit-def: $vgpr16
                                        ; implicit-def: $vgpr17
                                        ; implicit-def: $vgpr14
.LBB1739_140:
	s_andn2_saveexec_b64 s[4:5], s[40:41]
	s_cbranch_execz .LBB1739_199
; %bb.141:
	s_load_dwordx2 s[4:5], s[8:9], 0x0
	v_mov_b32_e32 v9, 0
	s_waitcnt vmcnt(0)
	v_and_b32_e32 v26, 0x3ff, v31
	v_lshlrev_b64 v[24:25], 1, v[8:9]
	s_waitcnt lgkmcnt(0)
	s_cmp_lt_u32 s12, s4
	s_cselect_b32 s6, 12, 18
	s_cmp_lt_u32 s13, s5
	s_cselect_b32 s4, 14, 20
	s_add_u32 s4, s8, s4
	s_addc_u32 s5, s9, 0
	s_add_u32 s6, s8, s6
	global_load_ushort v15, v9, s[4:5]
	s_addc_u32 s7, s9, 0
	global_load_ushort v18, v9, s[6:7]
	s_movk_i32 s4, 0x100
	v_cmp_lt_u32_e32 vcc, s4, v148
	s_waitcnt vmcnt(1)
	v_mad_u32_u24 v15, v17, v15, v16
	s_waitcnt vmcnt(0)
	v_mad_u64_u32 v[22:23], s[4:5], v15, v18, v[26:27]
	s_and_saveexec_b64 s[4:5], vcc
	s_xor_b64 s[34:35], exec, s[4:5]
	s_cbranch_execz .LBB1739_179
; %bb.142:
	v_mbcnt_hi_u32_b32 v17, -1, v14
	v_add_co_u32_e32 v0, vcc, v0, v24
	v_and_b32_e32 v16, 63, v17
	v_addc_co_u32_e32 v1, vcc, v1, v25, vcc
	v_lshlrev_b32_e32 v14, 1, v22
	v_lshlrev_b32_e32 v15, 1, v16
	v_and_b32_e32 v14, 0xffffff80, v14
	v_add_co_u32_e32 v18, vcc, v0, v15
	v_mov_b32_e32 v15, v9
	v_addc_co_u32_e32 v19, vcc, 0, v1, vcc
	v_lshlrev_b64 v[0:1], 1, v[14:15]
	v_add_co_u32_e32 v0, vcc, v18, v0
	v_addc_co_u32_e32 v1, vcc, v19, v1, vcc
	v_or_b32_e32 v18, v16, v14
	v_cmp_lt_u32_e32 vcc, v18, v148
	v_mov_b32_e32 v27, -1
	v_mov_b32_e32 v28, -1
	s_and_saveexec_b64 s[4:5], vcc
	s_cbranch_execz .LBB1739_144
; %bb.143:
	flat_load_ushort v28, v[0:1]
.LBB1739_144:
	s_or_b64 exec, exec, s[4:5]
	v_or_b32_e32 v18, 64, v18
	v_cmp_lt_u32_e64 s[4:5], v18, v148
	s_and_saveexec_b64 s[6:7], s[4:5]
	s_cbranch_execz .LBB1739_146
; %bb.145:
	flat_load_ushort v27, v[0:1] offset:128
.LBB1739_146:
	s_or_b64 exec, exec, s[6:7]
	v_lshlrev_b64 v[0:1], 3, v[8:9]
	v_add_co_u32_e64 v4, s[6:7], v4, v0
	v_addc_co_u32_e64 v5, s[6:7], v5, v1, s[6:7]
	v_lshlrev_b32_e32 v8, 3, v16
	v_add_co_u32_e64 v8, s[6:7], v4, v8
	v_addc_co_u32_e64 v9, s[6:7], 0, v5, s[6:7]
	v_lshlrev_b64 v[4:5], 3, v[14:15]
	v_add_co_u32_e64 v4, s[6:7], v8, v4
	v_addc_co_u32_e64 v5, s[6:7], v9, v5, s[6:7]
                                        ; implicit-def: $vgpr18_vgpr19
	s_and_saveexec_b64 s[6:7], vcc
	s_cbranch_execz .LBB1739_148
; %bb.147:
	flat_load_dwordx2 v[18:19], v[4:5]
.LBB1739_148:
	s_or_b64 exec, exec, s[6:7]
                                        ; implicit-def: $vgpr20_vgpr21
	s_and_saveexec_b64 s[6:7], s[4:5]
	s_cbranch_execz .LBB1739_150
; %bb.149:
	flat_load_dwordx2 v[20:21], v[4:5] offset:512
.LBB1739_150:
	s_or_b64 exec, exec, s[6:7]
	v_mov_b32_e32 v23, 0x7fff
	s_waitcnt vmcnt(0) lgkmcnt(0)
	v_cmp_gt_i16_e32 vcc, 0, v28
	v_cndmask_b32_e64 v4, v23, 0, vcc
	v_cmp_gt_i16_e32 vcc, 0, v27
	v_xor_b32_e32 v51, v4, v28
	v_cndmask_b32_e64 v4, v23, 0, vcc
	v_xor_b32_e32 v70, v4, v27
	v_add_co_u32_e32 v27, vcc, 16, v12
	v_and_b32_e32 v15, 0x3c0, v26
	v_addc_co_u32_e32 v64, vcc, 0, v13, vcc
	v_lshlrev_b32_e32 v8, 4, v26
	v_min_u32_e32 v15, 0xc0, v15
	v_add_co_u32_e32 v8, vcc, v12, v8
	v_or_b32_e32 v15, 63, v15
	s_getpc_b64 s[4:5]
	s_add_u32 s4, s4, _ZN7rocprim17ROCPRIM_400000_NS16block_radix_sortI6__halfLj256ELj2ElLj1ELj1ELj8ELNS0_26block_radix_rank_algorithmE2ELNS0_18block_padding_hintE2ELNS0_4arch9wavefront6targetE1EE19radix_bits_per_passE@rel32@lo+4
	s_addc_u32 s5, s5, _ZN7rocprim17ROCPRIM_400000_NS16block_radix_sortI6__halfLj256ELj2ElLj1ELj1ELj8ELNS0_26block_radix_rank_algorithmE2ELNS0_18block_padding_hintE2ELNS0_4arch9wavefront6targetE1EE19radix_bits_per_passE@rel32@hi+12
	v_addc_co_u32_e32 v9, vcc, 0, v13, vcc
	v_and_b32_e32 v14, 15, v17
	v_cmp_eq_u32_e64 s[14:15], v15, v26
	v_add_u32_e32 v15, -1, v17
	v_and_b32_e32 v28, 64, v17
	s_load_dword s42, s[4:5], 0x0
	v_cmp_eq_u32_e32 vcc, 0, v14
	v_cmp_lt_u32_e64 s[4:5], 1, v14
	v_cmp_lt_u32_e64 s[6:7], 3, v14
	;; [unrolled: 1-line block ×3, first 2 shown]
	v_and_b32_e32 v14, 16, v17
	v_cmp_lt_i32_e64 s[20:21], v15, v28
	v_cmp_eq_u32_e64 s[10:11], 0, v14
	v_lshrrev_b32_e32 v14, 6, v26
	v_cndmask_b32_e64 v15, v15, v17, s[20:21]
	v_lshlrev_b32_e32 v66, 2, v15
	v_lshlrev_b32_e32 v15, 2, v14
	v_add_co_u32_e64 v28, s[24:25], v12, v15
	v_lshlrev_b32_e32 v4, 2, v26
	v_addc_co_u32_e64 v29, s[24:25], 0, v13, s[24:25]
	v_add_co_u32_e64 v30, s[24:25], v12, v4
	v_addc_co_u32_e64 v31, s[24:25], 0, v13, s[24:25]
	v_and_b32_e32 v4, 3, v17
	v_mov_b32_e32 v5, 0
	v_cmp_eq_u32_e64 s[24:25], 0, v4
	v_cmp_lt_u32_e64 s[26:27], 1, v4
	v_add_u32_e32 v4, -1, v14
	v_lshlrev_b64 v[14:15], 2, v[4:5]
	v_add_co_u32_e64 v32, s[28:29], v12, v14
	v_addc_co_u32_e64 v33, s[28:29], v13, v15, s[28:29]
	v_lshlrev_b32_e32 v4, 1, v26
	s_movk_i32 s28, 0x780
	v_and_or_b32 v4, v4, s28, v16
	v_lshlrev_b32_e32 v14, 1, v4
	v_add_co_u32_e64 v38, s[28:29], v12, v14
	v_addc_co_u32_e64 v39, s[28:29], 0, v13, s[28:29]
	v_lshrrev_b32_e32 v65, 6, v22
	v_cmp_lt_u32_e64 s[12:13], 31, v17
	v_cmp_gt_u32_e64 s[16:17], 4, v26
	v_cmp_lt_u32_e64 s[18:19], 63, v26
	v_cmp_eq_u32_e64 s[20:21], 0, v17
	v_cmp_eq_u32_e64 s[22:23], 0, v26
	v_mad_u64_u32 v[48:49], s[28:29], v4, 6, v[38:39]
	v_sub_u32_e32 v67, v11, v10
	s_mov_b64 s[36:37], 0
	s_movk_i32 s43, 0x8000
	v_mov_b32_e32 v14, v5
	v_mov_b32_e32 v15, v5
	v_mov_b32_e32 v16, v5
	v_mov_b32_e32 v17, v5
	s_waitcnt lgkmcnt(0)
	s_barrier
	s_branch .LBB1739_152
.LBB1739_151:                           ;   in Loop: Header=BB1739_152 Depth=1
	s_or_b64 exec, exec, s[30:31]
	s_and_b64 s[28:29], exec, s[40:41]
	s_or_b64 s[36:37], s[28:29], s[36:37]
	s_andn2_b64 exec, exec, s[36:37]
	s_cbranch_execz .LBB1739_170
.LBB1739_152:                           ; =>This Inner Loop Header: Depth=1
	s_waitcnt vmcnt(0)
	v_mov_b32_e32 v69, v51
	v_min_u32_e32 v4, s42, v67
	v_lshlrev_b32_e64 v4, v4, -1
	v_cmp_ne_u16_e64 s[28:29], s43, v69
	v_pk_mov_b32 v[34:35], v[20:21], v[20:21] op_sel:[0,1]
	v_not_b32_e32 v20, v4
	v_cndmask_b32_e64 v4, v23, v69, s[28:29]
	v_lshrrev_b32_sdwa v4, v10, v4 dst_sel:DWORD dst_unused:UNUSED_PAD src0_sel:DWORD src1_sel:WORD_0
	v_and_b32_e32 v4, v4, v20
	v_pk_mov_b32 v[36:37], v[18:19], v[18:19] op_sel:[0,1]
	v_lshlrev_b32_e32 v18, 2, v4
	v_add_lshl_u32 v18, v18, v65, 2
	v_add_co_u32_e64 v50, s[28:29], v27, v18
	v_addc_co_u32_e64 v51, s[28:29], 0, v64, s[28:29]
	v_and_b32_e32 v18, 1, v4
	v_add_co_u32_e64 v19, s[28:29], -1, v18
	v_addc_co_u32_e64 v21, s[28:29], 0, -1, s[28:29]
	v_cmp_ne_u32_e64 s[28:29], 0, v18
	v_xor_b32_e32 v18, s29, v21
	v_xor_b32_e32 v19, s28, v19
	v_and_b32_e32 v21, exec_hi, v18
	v_and_b32_e32 v52, exec_lo, v19
	v_lshlrev_b32_e32 v19, 30, v4
	v_mov_b32_e32 v18, v5
	v_cmp_gt_i64_e64 s[28:29], 0, v[18:19]
	v_not_b32_e32 v18, v19
	v_ashrrev_i32_e32 v18, 31, v18
	v_xor_b32_e32 v19, s29, v18
	v_xor_b32_e32 v18, s28, v18
	v_and_b32_e32 v21, v21, v19
	v_and_b32_e32 v52, v52, v18
	v_lshlrev_b32_e32 v19, 29, v4
	v_mov_b32_e32 v18, v5
	v_cmp_gt_i64_e64 s[28:29], 0, v[18:19]
	v_not_b32_e32 v18, v19
	v_ashrrev_i32_e32 v18, 31, v18
	v_xor_b32_e32 v19, s29, v18
	v_xor_b32_e32 v18, s28, v18
	v_and_b32_e32 v21, v21, v19
	v_and_b32_e32 v52, v52, v18
	;; [unrolled: 9-line block ×5, first 2 shown]
	v_lshlrev_b32_e32 v19, 25, v4
	v_mov_b32_e32 v18, v5
	v_cmp_gt_i64_e64 s[28:29], 0, v[18:19]
	v_not_b32_e32 v18, v19
	v_ashrrev_i32_e32 v18, 31, v18
	v_xor_b32_e32 v19, s29, v18
	v_xor_b32_e32 v18, s28, v18
	v_and_b32_e32 v21, v21, v19
	v_lshlrev_b32_e32 v19, 24, v4
	v_and_b32_e32 v52, v52, v18
	v_mov_b32_e32 v18, v5
	v_not_b32_e32 v4, v19
	v_cmp_gt_i64_e64 s[28:29], 0, v[18:19]
	v_ashrrev_i32_e32 v4, 31, v4
	v_xor_b32_e32 v18, s29, v4
	v_xor_b32_e32 v4, s28, v4
	v_and_b32_e32 v19, v21, v18
	v_and_b32_e32 v18, v52, v4
	v_mbcnt_lo_u32_b32 v4, v18, 0
	v_mbcnt_hi_u32_b32 v4, v19, v4
	v_cmp_eq_u32_e64 s[28:29], 0, v4
	v_cmp_ne_u64_e64 s[30:31], 0, v[18:19]
	v_mov_b32_e32 v68, v70
	s_and_b64 s[30:31], s[30:31], s[28:29]
	flat_store_dwordx4 v[8:9], v[14:17] offset:16
	s_waitcnt lgkmcnt(0)
	s_barrier
	s_waitcnt lgkmcnt(0)
	; wave barrier
	s_and_saveexec_b64 s[28:29], s[30:31]
	s_cbranch_execz .LBB1739_154
; %bb.153:                              ;   in Loop: Header=BB1739_152 Depth=1
	v_bcnt_u32_b32 v18, v18, 0
	v_bcnt_u32_b32 v18, v19, v18
	flat_store_dword v[50:51], v18
.LBB1739_154:                           ;   in Loop: Header=BB1739_152 Depth=1
	s_or_b64 exec, exec, s[28:29]
	v_cmp_ne_u16_e64 s[28:29], s43, v68
	v_cndmask_b32_e64 v18, v23, v68, s[28:29]
	v_lshrrev_b32_sdwa v18, v10, v18 dst_sel:DWORD dst_unused:UNUSED_PAD src0_sel:DWORD src1_sel:WORD_0
	v_and_b32_e32 v20, v18, v20
	v_lshlrev_b32_e32 v18, 2, v20
	v_add_lshl_u32 v18, v18, v65, 2
	v_add_co_u32_e64 v52, s[28:29], v27, v18
	v_addc_co_u32_e64 v53, s[28:29], 0, v64, s[28:29]
	; wave barrier
	flat_load_dword v54, v[52:53]
	v_and_b32_e32 v18, 1, v20
	v_add_co_u32_e64 v19, s[28:29], -1, v18
	v_addc_co_u32_e64 v21, s[28:29], 0, -1, s[28:29]
	v_cmp_ne_u32_e64 s[28:29], 0, v18
	v_xor_b32_e32 v18, s29, v21
	v_xor_b32_e32 v19, s28, v19
	v_and_b32_e32 v21, exec_hi, v18
	v_and_b32_e32 v55, exec_lo, v19
	v_lshlrev_b32_e32 v19, 30, v20
	v_mov_b32_e32 v18, v5
	v_cmp_gt_i64_e64 s[28:29], 0, v[18:19]
	v_not_b32_e32 v18, v19
	v_ashrrev_i32_e32 v18, 31, v18
	v_xor_b32_e32 v19, s29, v18
	v_xor_b32_e32 v18, s28, v18
	v_and_b32_e32 v21, v21, v19
	v_and_b32_e32 v55, v55, v18
	v_lshlrev_b32_e32 v19, 29, v20
	v_mov_b32_e32 v18, v5
	v_cmp_gt_i64_e64 s[28:29], 0, v[18:19]
	v_not_b32_e32 v18, v19
	v_ashrrev_i32_e32 v18, 31, v18
	v_xor_b32_e32 v19, s29, v18
	v_xor_b32_e32 v18, s28, v18
	v_and_b32_e32 v21, v21, v19
	v_and_b32_e32 v55, v55, v18
	;; [unrolled: 9-line block ×7, first 2 shown]
	v_mbcnt_lo_u32_b32 v20, v18, 0
	v_mbcnt_hi_u32_b32 v55, v19, v20
	v_cmp_eq_u32_e64 s[28:29], 0, v55
	v_cmp_ne_u64_e64 s[30:31], 0, v[18:19]
	s_and_b64 s[30:31], s[30:31], s[28:29]
	; wave barrier
	s_and_saveexec_b64 s[28:29], s[30:31]
	s_cbranch_execz .LBB1739_156
; %bb.155:                              ;   in Loop: Header=BB1739_152 Depth=1
	v_bcnt_u32_b32 v18, v18, 0
	v_bcnt_u32_b32 v18, v19, v18
	s_waitcnt vmcnt(0) lgkmcnt(0)
	v_add_u32_e32 v18, v54, v18
	flat_store_dword v[52:53], v18
.LBB1739_156:                           ;   in Loop: Header=BB1739_152 Depth=1
	s_or_b64 exec, exec, s[28:29]
	; wave barrier
	s_waitcnt lgkmcnt(0)
	s_barrier
	flat_load_dwordx4 v[18:21], v[8:9] offset:16
	s_waitcnt vmcnt(0) lgkmcnt(0)
	v_add_u32_e32 v70, v19, v18
	v_add3_u32 v21, v70, v20, v21
	s_nop 1
	v_mov_b32_dpp v70, v21 row_shr:1 row_mask:0xf bank_mask:0xf
	v_cndmask_b32_e64 v70, v70, 0, vcc
	v_add_u32_e32 v21, v70, v21
	s_nop 1
	v_mov_b32_dpp v70, v21 row_shr:2 row_mask:0xf bank_mask:0xf
	v_cndmask_b32_e64 v70, 0, v70, s[4:5]
	v_add_u32_e32 v21, v21, v70
	s_nop 1
	v_mov_b32_dpp v70, v21 row_shr:4 row_mask:0xf bank_mask:0xf
	v_cndmask_b32_e64 v70, 0, v70, s[6:7]
	v_add_u32_e32 v21, v21, v70
	s_nop 1
	v_mov_b32_dpp v70, v21 row_shr:8 row_mask:0xf bank_mask:0xf
	v_cndmask_b32_e64 v70, 0, v70, s[8:9]
	v_add_u32_e32 v21, v21, v70
	s_nop 1
	v_mov_b32_dpp v70, v21 row_bcast:15 row_mask:0xf bank_mask:0xf
	v_cndmask_b32_e64 v70, v70, 0, s[10:11]
	v_add_u32_e32 v21, v21, v70
	s_nop 1
	v_mov_b32_dpp v70, v21 row_bcast:31 row_mask:0xf bank_mask:0xf
	v_cndmask_b32_e64 v70, 0, v70, s[12:13]
	v_add_u32_e32 v21, v21, v70
	s_and_saveexec_b64 s[28:29], s[14:15]
	s_cbranch_execz .LBB1739_158
; %bb.157:                              ;   in Loop: Header=BB1739_152 Depth=1
	flat_store_dword v[28:29], v21
.LBB1739_158:                           ;   in Loop: Header=BB1739_152 Depth=1
	s_or_b64 exec, exec, s[28:29]
	s_waitcnt lgkmcnt(0)
	s_barrier
	s_and_saveexec_b64 s[28:29], s[16:17]
	s_cbranch_execz .LBB1739_160
; %bb.159:                              ;   in Loop: Header=BB1739_152 Depth=1
	flat_load_dword v70, v[30:31]
	s_waitcnt vmcnt(0) lgkmcnt(0)
	s_nop 0
	v_mov_b32_dpp v71, v70 row_shr:1 row_mask:0xf bank_mask:0xf
	v_cndmask_b32_e64 v71, v71, 0, s[24:25]
	v_add_u32_e32 v70, v71, v70
	s_nop 1
	v_mov_b32_dpp v71, v70 row_shr:2 row_mask:0xf bank_mask:0xf
	v_cndmask_b32_e64 v71, 0, v71, s[26:27]
	v_add_u32_e32 v70, v70, v71
	flat_store_dword v[30:31], v70
.LBB1739_160:                           ;   in Loop: Header=BB1739_152 Depth=1
	s_or_b64 exec, exec, s[28:29]
	v_mov_b32_e32 v70, 0
	s_waitcnt lgkmcnt(0)
	s_barrier
	s_and_saveexec_b64 s[28:29], s[18:19]
	s_cbranch_execz .LBB1739_162
; %bb.161:                              ;   in Loop: Header=BB1739_152 Depth=1
	flat_load_dword v70, v[32:33]
.LBB1739_162:                           ;   in Loop: Header=BB1739_152 Depth=1
	s_or_b64 exec, exec, s[28:29]
	s_waitcnt vmcnt(0) lgkmcnt(0)
	v_add_u32_e32 v21, v70, v21
	ds_bpermute_b32 v21, v66, v21
	v_add_u32_e32 v10, 8, v10
	v_cmp_lt_u32_e64 s[28:29], v10, v11
	s_mov_b64 s[40:41], -1
	s_waitcnt lgkmcnt(0)
	v_cndmask_b32_e64 v21, v21, v70, s[20:21]
	v_cndmask_b32_e64 v80, v21, 0, s[22:23]
	v_add_u32_e32 v81, v80, v18
	v_add_u32_e32 v82, v81, v19
	;; [unrolled: 1-line block ×3, first 2 shown]
	flat_store_dwordx4 v[8:9], v[80:83] offset:16
	s_waitcnt lgkmcnt(0)
	s_barrier
	flat_load_dword v18, v[50:51]
	flat_load_dword v19, v[52:53]
	v_mov_b32_e32 v51, v5
	s_waitcnt lgkmcnt(0)
                                        ; implicit-def: $vgpr70
	s_waitcnt vmcnt(0) lgkmcnt(0)
	v_add_u32_e32 v4, v18, v4
	v_add3_u32 v50, v55, v54, v19
	v_lshlrev_b64 v[18:19], 1, v[4:5]
	v_add_co_u32_e64 v52, s[30:31], v12, v18
	v_lshlrev_b64 v[20:21], 1, v[50:51]
	v_addc_co_u32_e64 v53, s[30:31], v13, v19, s[30:31]
	v_add_co_u32_e64 v54, s[30:31], v12, v20
	v_addc_co_u32_e64 v55, s[30:31], v13, v21, s[30:31]
                                        ; implicit-def: $vgpr20_vgpr21
                                        ; implicit-def: $vgpr18_vgpr19
                                        ; implicit-def: $vgpr51
	s_and_saveexec_b64 s[30:31], s[28:29]
	s_cbranch_execz .LBB1739_151
; %bb.163:                              ;   in Loop: Header=BB1739_152 Depth=1
	v_mad_u64_u32 v[18:19], s[28:29], v4, 6, v[52:53]
	s_barrier
	flat_store_short v[52:53], v69
	flat_store_short v[54:55], v68
	s_waitcnt lgkmcnt(0)
	s_barrier
	flat_load_ushort v51, v[38:39]
	flat_load_ushort v70, v[38:39] offset:128
	s_waitcnt lgkmcnt(0)
	s_barrier
	flat_store_dwordx2 v[18:19], v[36:37]
	v_mad_u64_u32 v[18:19], s[28:29], v50, 6, v[54:55]
	flat_store_dwordx2 v[18:19], v[34:35]
	s_waitcnt lgkmcnt(0)
	s_barrier
	flat_load_dwordx2 v[18:19], v[48:49]
	flat_load_dwordx2 v[20:21], v[48:49] offset:512
	v_add_u32_e32 v67, -8, v67
	s_xor_b64 s[40:41], exec, -1
	s_waitcnt lgkmcnt(0)
	s_barrier
	s_branch .LBB1739_151
.LBB1739_164:
	flat_load_dwordx2 v[22:23], v[4:5]
	s_or_b64 exec, exec, s[14:15]
	s_and_saveexec_b64 s[10:11], s[6:7]
	s_cbranch_execz .LBB1739_91
.LBB1739_165:
	flat_load_dwordx2 v[24:25], v[4:5] offset:512
	s_or_b64 exec, exec, s[10:11]
	s_and_saveexec_b64 s[6:7], s[4:5]
	s_cbranch_execz .LBB1739_92
.LBB1739_166:
	flat_load_dwordx2 v[26:27], v[4:5] offset:1024
	s_or_b64 exec, exec, s[6:7]
	s_and_saveexec_b64 s[4:5], vcc
	s_cbranch_execnz .LBB1739_93
	s_branch .LBB1739_94
.LBB1739_167:
	s_waitcnt vmcnt(0)
	flat_store_dwordx2 v[0:1], v[14:15]
	s_or_b64 exec, exec, s[14:15]
	s_and_saveexec_b64 s[14:15], s[4:5]
	s_cbranch_execz .LBB1739_136
.LBB1739_168:
	s_waitcnt vmcnt(0)
	flat_store_dwordx2 v[0:1], v[12:13] offset:2048
	s_or_b64 exec, exec, s[14:15]
	s_and_saveexec_b64 s[4:5], s[6:7]
	s_cbranch_execz .LBB1739_137
.LBB1739_169:
	v_add_co_u32_e32 v2, vcc, 0x1000, v0
	v_addc_co_u32_e32 v3, vcc, 0, v1, vcc
	s_waitcnt vmcnt(0)
	flat_store_dwordx2 v[2:3], v[10:11]
	s_or_b64 exec, exec, s[4:5]
	s_and_saveexec_b64 s[4:5], s[10:11]
	s_cbranch_execnz .LBB1739_138
	s_branch .LBB1739_139
.LBB1739_170:
	s_or_b64 exec, exec, s[36:37]
	v_lshlrev_b32_e32 v5, 1, v26
	v_add_co_u32_e32 v8, vcc, v12, v5
	v_addc_co_u32_e32 v9, vcc, 0, v13, vcc
	v_mad_u64_u32 v[4:5], s[4:5], v4, 6, v[52:53]
	s_barrier
	flat_store_short v[52:53], v69
	flat_store_short v[54:55], v68
	s_waitcnt lgkmcnt(0)
	s_barrier
	flat_load_ushort v11, v[8:9]
	flat_load_ushort v10, v[8:9] offset:512
	s_waitcnt lgkmcnt(0)
	s_barrier
	flat_store_dwordx2 v[4:5], v[36:37]
	v_mad_u64_u32 v[4:5], s[4:5], v50, 6, v[54:55]
	v_mad_u64_u32 v[12:13], s[4:5], v26, 6, v[8:9]
	flat_store_dwordx2 v[4:5], v[34:35]
	s_waitcnt lgkmcnt(0)
	s_barrier
	flat_load_dwordx2 v[8:9], v[12:13]
	flat_load_dwordx2 v[4:5], v[12:13] offset:2048
	v_mov_b32_e32 v23, 0
	v_add_co_u32_e32 v12, vcc, v2, v24
	v_addc_co_u32_e32 v13, vcc, v3, v25, vcc
	v_lshlrev_b64 v[2:3], 1, v[22:23]
	v_add_co_u32_e32 v2, vcc, v12, v2
	v_addc_co_u32_e32 v3, vcc, v13, v3, vcc
	v_cmp_lt_u32_e32 vcc, v22, v148
	s_waitcnt lgkmcnt(0)
	s_barrier
	s_and_saveexec_b64 s[6:7], vcc
	s_cbranch_execz .LBB1739_172
; %bb.171:
	v_mov_b32_e32 v12, 0x7fff
	s_waitcnt vmcnt(0)
	v_cmp_gt_i16_e64 s[4:5], 0, v11
	v_cndmask_b32_e64 v12, v12, 0, s[4:5]
	v_xor_b32_e32 v11, v12, v11
	flat_store_short v[2:3], v11
.LBB1739_172:
	s_or_b64 exec, exec, s[6:7]
	s_waitcnt vmcnt(0)
	v_add_u32_e32 v11, 0x100, v22
	v_cmp_lt_u32_e64 s[4:5], v11, v148
	s_and_saveexec_b64 s[8:9], s[4:5]
	s_cbranch_execz .LBB1739_174
; %bb.173:
	v_mov_b32_e32 v11, 0x7fff
	v_cmp_gt_i16_e64 s[6:7], 0, v10
	v_cndmask_b32_e64 v11, v11, 0, s[6:7]
	v_xor_b32_e32 v10, v11, v10
	flat_store_short v[2:3], v10 offset:512
.LBB1739_174:
	s_or_b64 exec, exec, s[8:9]
	v_add_co_u32_e64 v2, s[6:7], v6, v0
	v_addc_co_u32_e64 v3, s[6:7], v7, v1, s[6:7]
	v_lshlrev_b64 v[0:1], 3, v[22:23]
	v_add_co_u32_e64 v0, s[6:7], v2, v0
	v_addc_co_u32_e64 v1, s[6:7], v3, v1, s[6:7]
	s_and_saveexec_b64 s[6:7], vcc
	s_cbranch_execz .LBB1739_176
; %bb.175:
	flat_store_dwordx2 v[0:1], v[8:9]
.LBB1739_176:
	s_or_b64 exec, exec, s[6:7]
	s_and_saveexec_b64 s[6:7], s[4:5]
	s_cbranch_execz .LBB1739_178
; %bb.177:
	flat_store_dwordx2 v[0:1], v[4:5] offset:2048
.LBB1739_178:
	s_or_b64 exec, exec, s[6:7]
                                        ; implicit-def: $vgpr26
                                        ; implicit-def: $vgpr22_vgpr23
                                        ; implicit-def: $vgpr8_vgpr9
                                        ; implicit-def: $vgpr24_vgpr25
                                        ; implicit-def: $vgpr148
                                        ; implicit-def: $vgpr0
                                        ; implicit-def: $vgpr1
                                        ; implicit-def: $vgpr2
                                        ; implicit-def: $vgpr3
                                        ; implicit-def: $vgpr4
                                        ; implicit-def: $vgpr5
                                        ; implicit-def: $vgpr6
                                        ; implicit-def: $vgpr7
                                        ; implicit-def: $vgpr10
                                        ; implicit-def: $vgpr11
                                        ; implicit-def: $vgpr12
                                        ; implicit-def: $vgpr13
                                        ; implicit-def: $vgpr14
.LBB1739_179:
	s_andn2_saveexec_b64 s[4:5], s[34:35]
	s_cbranch_execz .LBB1739_199
; %bb.180:
	v_mbcnt_hi_u32_b32 v17, -1, v14
	v_bfi_b32 v15, 63, v17, v22
	v_and_b32_e32 v16, 63, v17
	v_and_b32_e32 v14, 0xffffffc0, v22
	v_cmp_lt_u32_e32 vcc, v15, v148
	v_mov_b32_e32 v20, -1
	s_and_saveexec_b64 s[6:7], vcc
	s_cbranch_execz .LBB1739_182
; %bb.181:
	v_add_co_u32_e64 v0, s[4:5], v0, v24
	v_addc_co_u32_e64 v1, s[4:5], v1, v25, s[4:5]
	v_lshlrev_b32_e32 v18, 1, v16
	v_mov_b32_e32 v15, 0
	v_add_co_u32_e64 v18, s[4:5], v0, v18
	v_addc_co_u32_e64 v19, s[4:5], 0, v1, s[4:5]
	v_lshlrev_b64 v[0:1], 1, v[14:15]
	v_add_co_u32_e64 v0, s[4:5], v18, v0
	v_addc_co_u32_e64 v1, s[4:5], v19, v1, s[4:5]
	flat_load_ushort v20, v[0:1]
.LBB1739_182:
	s_or_b64 exec, exec, s[6:7]
	v_lshlrev_b64 v[0:1], 3, v[8:9]
                                        ; implicit-def: $vgpr18_vgpr19
	s_and_saveexec_b64 s[4:5], vcc
	s_cbranch_execz .LBB1739_184
; %bb.183:
	v_add_co_u32_e32 v4, vcc, v4, v0
	v_addc_co_u32_e32 v5, vcc, v5, v1, vcc
	v_lshlrev_b32_e32 v8, 3, v16
	v_mov_b32_e32 v15, 0
	v_add_co_u32_e32 v8, vcc, v4, v8
	v_addc_co_u32_e32 v9, vcc, 0, v5, vcc
	v_lshlrev_b64 v[4:5], 3, v[14:15]
	v_add_co_u32_e32 v4, vcc, v8, v4
	v_addc_co_u32_e32 v5, vcc, v9, v5, vcc
	flat_load_dwordx2 v[18:19], v[4:5]
.LBB1739_184:
	s_or_b64 exec, exec, s[4:5]
	v_mov_b32_e32 v23, 0x7fff
	s_waitcnt vmcnt(0) lgkmcnt(0)
	v_cmp_gt_i16_e32 vcc, 0, v20
	v_cndmask_b32_e64 v4, v23, 0, vcc
	v_xor_b32_e32 v48, v4, v20
	v_add_co_u32_e32 v27, vcc, 16, v12
	v_and_b32_e32 v20, 0x3c0, v26
	v_addc_co_u32_e32 v50, vcc, 0, v13, vcc
	v_lshlrev_b32_e32 v8, 4, v26
	v_min_u32_e32 v15, 0xc0, v20
	v_add_co_u32_e32 v8, vcc, v12, v8
	v_or_b32_e32 v15, 63, v15
	s_getpc_b64 s[4:5]
	s_add_u32 s4, s4, _ZN7rocprim17ROCPRIM_400000_NS16block_radix_sortI6__halfLj256ELj1ElLj1ELj1ELj8ELNS0_26block_radix_rank_algorithmE2ELNS0_18block_padding_hintE2ELNS0_4arch9wavefront6targetE1EE19radix_bits_per_passE@rel32@lo+4
	s_addc_u32 s5, s5, _ZN7rocprim17ROCPRIM_400000_NS16block_radix_sortI6__halfLj256ELj1ElLj1ELj1ELj8ELNS0_26block_radix_rank_algorithmE2ELNS0_18block_padding_hintE2ELNS0_4arch9wavefront6targetE1EE19radix_bits_per_passE@rel32@hi+12
	v_addc_co_u32_e32 v9, vcc, 0, v13, vcc
	v_and_b32_e32 v14, 15, v17
	v_cmp_eq_u32_e64 s[14:15], v15, v26
	v_add_u32_e32 v15, -1, v17
	v_and_b32_e32 v21, 64, v17
	s_load_dword s40, s[4:5], 0x0
	v_cmp_eq_u32_e32 vcc, 0, v14
	v_cmp_lt_u32_e64 s[4:5], 1, v14
	v_cmp_lt_u32_e64 s[6:7], 3, v14
	;; [unrolled: 1-line block ×3, first 2 shown]
	v_and_b32_e32 v14, 16, v17
	v_cmp_lt_i32_e64 s[20:21], v15, v21
	v_cmp_eq_u32_e64 s[10:11], 0, v14
	v_lshrrev_b32_e32 v14, 6, v26
	v_cndmask_b32_e64 v15, v15, v17, s[20:21]
	v_lshlrev_b32_e32 v52, 2, v15
	v_lshlrev_b32_e32 v15, 2, v14
	v_add_co_u32_e64 v28, s[24:25], v12, v15
	v_lshlrev_b32_e32 v4, 2, v26
	v_addc_co_u32_e64 v29, s[24:25], 0, v13, s[24:25]
	v_add_co_u32_e64 v30, s[24:25], v12, v4
	v_addc_co_u32_e64 v31, s[24:25], 0, v13, s[24:25]
	v_and_b32_e32 v4, 3, v17
	v_mov_b32_e32 v5, 0
	v_cmp_eq_u32_e64 s[24:25], 0, v4
	v_cmp_lt_u32_e64 s[26:27], 1, v4
	v_add_u32_e32 v4, -1, v14
	v_lshlrev_b64 v[14:15], 2, v[4:5]
	v_add_co_u32_e64 v32, s[28:29], v12, v14
	v_or_b32_e32 v4, v16, v20
	v_addc_co_u32_e64 v33, s[28:29], v13, v15, s[28:29]
	v_lshlrev_b32_e32 v14, 1, v4
	v_add_co_u32_e64 v36, s[28:29], v12, v14
	v_addc_co_u32_e64 v37, s[28:29], 0, v13, s[28:29]
	v_lshrrev_b32_e32 v51, 6, v22
	v_cmp_lt_u32_e64 s[12:13], 31, v17
	v_cmp_gt_u32_e64 s[16:17], 4, v26
	v_cmp_lt_u32_e64 s[18:19], 63, v26
	v_cmp_eq_u32_e64 s[20:21], 0, v17
	v_cmp_eq_u32_e64 s[22:23], 0, v26
	v_mad_u64_u32 v[38:39], s[28:29], v4, 6, v[36:37]
	v_sub_u32_e32 v53, v11, v10
	s_mov_b64 s[34:35], 0
	v_mov_b32_e32 v14, v5
	v_mov_b32_e32 v15, v5
	;; [unrolled: 1-line block ×4, first 2 shown]
	s_movk_i32 s41, 0x8000
	s_waitcnt lgkmcnt(0)
	s_barrier
	s_branch .LBB1739_186
.LBB1739_185:                           ;   in Loop: Header=BB1739_186 Depth=1
	s_or_b64 exec, exec, s[30:31]
	s_and_b64 s[28:29], exec, s[36:37]
	s_or_b64 s[34:35], s[28:29], s[34:35]
	s_andn2_b64 exec, exec, s[34:35]
	s_cbranch_execz .LBB1739_196
.LBB1739_186:                           ; =>This Inner Loop Header: Depth=1
	s_waitcnt vmcnt(0)
	v_mov_b32_e32 v54, v48
	v_cmp_ne_u16_e64 s[28:29], s41, v54
	v_pk_mov_b32 v[34:35], v[18:19], v[18:19] op_sel:[0,1]
	v_cndmask_b32_e64 v18, v23, v54, s[28:29]
	v_min_u32_e32 v4, s40, v53
	v_lshrrev_b32_sdwa v18, v10, v18 dst_sel:DWORD dst_unused:UNUSED_PAD src0_sel:DWORD src1_sel:WORD_0
	v_bfe_u32 v4, v18, 0, v4
	v_lshlrev_b32_e32 v18, 2, v4
	v_add_lshl_u32 v18, v18, v51, 2
	v_add_co_u32_e64 v48, s[28:29], v27, v18
	v_addc_co_u32_e64 v49, s[28:29], 0, v50, s[28:29]
	v_and_b32_e32 v18, 1, v4
	v_add_co_u32_e64 v19, s[28:29], -1, v18
	v_addc_co_u32_e64 v20, s[28:29], 0, -1, s[28:29]
	v_cmp_ne_u32_e64 s[28:29], 0, v18
	v_xor_b32_e32 v18, s29, v20
	v_xor_b32_e32 v19, s28, v19
	v_and_b32_e32 v20, exec_hi, v18
	v_and_b32_e32 v21, exec_lo, v19
	v_lshlrev_b32_e32 v19, 30, v4
	v_mov_b32_e32 v18, v5
	v_cmp_gt_i64_e64 s[28:29], 0, v[18:19]
	v_not_b32_e32 v18, v19
	v_ashrrev_i32_e32 v18, 31, v18
	v_xor_b32_e32 v19, s29, v18
	v_xor_b32_e32 v18, s28, v18
	v_and_b32_e32 v20, v20, v19
	v_and_b32_e32 v21, v21, v18
	v_lshlrev_b32_e32 v19, 29, v4
	v_mov_b32_e32 v18, v5
	v_cmp_gt_i64_e64 s[28:29], 0, v[18:19]
	v_not_b32_e32 v18, v19
	v_ashrrev_i32_e32 v18, 31, v18
	v_xor_b32_e32 v19, s29, v18
	v_xor_b32_e32 v18, s28, v18
	v_and_b32_e32 v20, v20, v19
	v_and_b32_e32 v21, v21, v18
	;; [unrolled: 9-line block ×5, first 2 shown]
	v_lshlrev_b32_e32 v19, 25, v4
	v_mov_b32_e32 v18, v5
	v_cmp_gt_i64_e64 s[28:29], 0, v[18:19]
	v_not_b32_e32 v18, v19
	v_ashrrev_i32_e32 v18, 31, v18
	v_xor_b32_e32 v19, s29, v18
	v_xor_b32_e32 v18, s28, v18
	v_and_b32_e32 v20, v20, v19
	v_lshlrev_b32_e32 v19, 24, v4
	v_and_b32_e32 v21, v21, v18
	v_mov_b32_e32 v18, v5
	v_not_b32_e32 v4, v19
	v_cmp_gt_i64_e64 s[28:29], 0, v[18:19]
	v_ashrrev_i32_e32 v4, 31, v4
	v_xor_b32_e32 v18, s29, v4
	v_xor_b32_e32 v4, s28, v4
	v_and_b32_e32 v19, v20, v18
	v_and_b32_e32 v18, v21, v4
	v_mbcnt_lo_u32_b32 v4, v18, 0
	v_mbcnt_hi_u32_b32 v4, v19, v4
	v_cmp_eq_u32_e64 s[28:29], 0, v4
	v_cmp_ne_u64_e64 s[30:31], 0, v[18:19]
	s_and_b64 s[30:31], s[30:31], s[28:29]
	flat_store_dwordx4 v[8:9], v[14:17] offset:16
	s_waitcnt lgkmcnt(0)
	s_barrier
	s_waitcnt lgkmcnt(0)
	; wave barrier
	s_and_saveexec_b64 s[28:29], s[30:31]
	s_cbranch_execz .LBB1739_188
; %bb.187:                              ;   in Loop: Header=BB1739_186 Depth=1
	v_bcnt_u32_b32 v18, v18, 0
	v_bcnt_u32_b32 v18, v19, v18
	flat_store_dword v[48:49], v18
.LBB1739_188:                           ;   in Loop: Header=BB1739_186 Depth=1
	s_or_b64 exec, exec, s[28:29]
	; wave barrier
	s_waitcnt lgkmcnt(0)
	s_barrier
	flat_load_dwordx4 v[18:21], v[8:9] offset:16
	s_waitcnt vmcnt(0) lgkmcnt(0)
	v_add_u32_e32 v55, v19, v18
	v_add3_u32 v21, v55, v20, v21
	s_nop 1
	v_mov_b32_dpp v55, v21 row_shr:1 row_mask:0xf bank_mask:0xf
	v_cndmask_b32_e64 v55, v55, 0, vcc
	v_add_u32_e32 v21, v55, v21
	s_nop 1
	v_mov_b32_dpp v55, v21 row_shr:2 row_mask:0xf bank_mask:0xf
	v_cndmask_b32_e64 v55, 0, v55, s[4:5]
	v_add_u32_e32 v21, v21, v55
	s_nop 1
	v_mov_b32_dpp v55, v21 row_shr:4 row_mask:0xf bank_mask:0xf
	v_cndmask_b32_e64 v55, 0, v55, s[6:7]
	;; [unrolled: 4-line block ×3, first 2 shown]
	v_add_u32_e32 v21, v21, v55
	s_nop 1
	v_mov_b32_dpp v55, v21 row_bcast:15 row_mask:0xf bank_mask:0xf
	v_cndmask_b32_e64 v55, v55, 0, s[10:11]
	v_add_u32_e32 v21, v21, v55
	s_nop 1
	v_mov_b32_dpp v55, v21 row_bcast:31 row_mask:0xf bank_mask:0xf
	v_cndmask_b32_e64 v55, 0, v55, s[12:13]
	v_add_u32_e32 v21, v21, v55
	s_and_saveexec_b64 s[28:29], s[14:15]
	s_cbranch_execz .LBB1739_190
; %bb.189:                              ;   in Loop: Header=BB1739_186 Depth=1
	flat_store_dword v[28:29], v21
.LBB1739_190:                           ;   in Loop: Header=BB1739_186 Depth=1
	s_or_b64 exec, exec, s[28:29]
	s_waitcnt lgkmcnt(0)
	s_barrier
	s_and_saveexec_b64 s[28:29], s[16:17]
	s_cbranch_execz .LBB1739_192
; %bb.191:                              ;   in Loop: Header=BB1739_186 Depth=1
	flat_load_dword v55, v[30:31]
	s_waitcnt vmcnt(0) lgkmcnt(0)
	s_nop 0
	v_mov_b32_dpp v64, v55 row_shr:1 row_mask:0xf bank_mask:0xf
	v_cndmask_b32_e64 v64, v64, 0, s[24:25]
	v_add_u32_e32 v55, v64, v55
	s_nop 1
	v_mov_b32_dpp v64, v55 row_shr:2 row_mask:0xf bank_mask:0xf
	v_cndmask_b32_e64 v64, 0, v64, s[26:27]
	v_add_u32_e32 v55, v55, v64
	flat_store_dword v[30:31], v55
.LBB1739_192:                           ;   in Loop: Header=BB1739_186 Depth=1
	s_or_b64 exec, exec, s[28:29]
	v_mov_b32_e32 v55, 0
	s_waitcnt lgkmcnt(0)
	s_barrier
	s_and_saveexec_b64 s[28:29], s[18:19]
	s_cbranch_execz .LBB1739_194
; %bb.193:                              ;   in Loop: Header=BB1739_186 Depth=1
	flat_load_dword v55, v[32:33]
.LBB1739_194:                           ;   in Loop: Header=BB1739_186 Depth=1
	s_or_b64 exec, exec, s[28:29]
	s_waitcnt vmcnt(0) lgkmcnt(0)
	v_add_u32_e32 v21, v55, v21
	ds_bpermute_b32 v21, v52, v21
	v_add_u32_e32 v10, 8, v10
	v_cmp_lt_u32_e64 s[28:29], v10, v11
	s_mov_b64 s[36:37], -1
	s_waitcnt lgkmcnt(0)
	v_cndmask_b32_e64 v21, v21, v55, s[20:21]
	v_cndmask_b32_e64 v64, v21, 0, s[22:23]
	v_add_u32_e32 v65, v64, v18
	v_add_u32_e32 v66, v65, v19
	;; [unrolled: 1-line block ×3, first 2 shown]
	flat_store_dwordx4 v[8:9], v[64:67] offset:16
	s_waitcnt lgkmcnt(0)
	s_barrier
	flat_load_dword v18, v[48:49]
	s_waitcnt lgkmcnt(0)
                                        ; implicit-def: $vgpr48
	s_waitcnt vmcnt(0) lgkmcnt(0)
	v_add_u32_e32 v4, v18, v4
	v_lshlrev_b64 v[18:19], 1, v[4:5]
	v_add_co_u32_e64 v20, s[30:31], v12, v18
	v_addc_co_u32_e64 v21, s[30:31], v13, v19, s[30:31]
                                        ; implicit-def: $vgpr18_vgpr19
	s_and_saveexec_b64 s[30:31], s[28:29]
	s_cbranch_execz .LBB1739_185
; %bb.195:                              ;   in Loop: Header=BB1739_186 Depth=1
	v_mad_u64_u32 v[18:19], s[28:29], v4, 6, v[20:21]
	s_barrier
	flat_store_short v[20:21], v54
	s_waitcnt lgkmcnt(0)
	s_barrier
	flat_load_ushort v48, v[36:37]
	s_waitcnt lgkmcnt(0)
	s_barrier
	flat_store_dwordx2 v[18:19], v[34:35]
	s_waitcnt lgkmcnt(0)
	s_barrier
	flat_load_dwordx2 v[18:19], v[38:39]
	v_add_u32_e32 v53, -8, v53
	s_xor_b64 s[36:37], exec, -1
	s_waitcnt lgkmcnt(0)
	s_barrier
	s_branch .LBB1739_185
.LBB1739_196:
	s_or_b64 exec, exec, s[34:35]
	v_lshlrev_b32_e32 v5, 1, v26
	v_add_co_u32_e32 v10, vcc, v12, v5
	v_addc_co_u32_e32 v11, vcc, 0, v13, vcc
	v_mad_u64_u32 v[4:5], s[4:5], v4, 6, v[20:21]
	s_barrier
	flat_store_short v[20:21], v54
	s_waitcnt lgkmcnt(0)
	s_barrier
	flat_load_ushort v8, v[10:11]
	s_waitcnt lgkmcnt(0)
	s_barrier
	flat_store_dwordx2 v[4:5], v[34:35]
	v_mad_u64_u32 v[4:5], s[4:5], v26, 6, v[10:11]
	s_waitcnt lgkmcnt(0)
	s_barrier
	flat_load_dwordx2 v[4:5], v[4:5]
	v_mov_b32_e32 v23, 0
	v_cmp_lt_u32_e32 vcc, v22, v148
	s_waitcnt lgkmcnt(0)
	s_barrier
	s_and_saveexec_b64 s[4:5], vcc
	s_cbranch_execz .LBB1739_198
; %bb.197:
	v_add_co_u32_e32 v6, vcc, v6, v0
	v_addc_co_u32_e32 v7, vcc, v7, v1, vcc
	v_lshlrev_b64 v[0:1], 3, v[22:23]
	v_add_co_u32_e32 v0, vcc, v6, v0
	v_addc_co_u32_e32 v1, vcc, v7, v1, vcc
	v_mov_b32_e32 v6, 0x7fff
	s_waitcnt vmcnt(0)
	v_cmp_gt_i16_e32 vcc, 0, v8
	v_cndmask_b32_e64 v6, v6, 0, vcc
	v_add_co_u32_e32 v7, vcc, v2, v24
	v_xor_b32_e32 v6, v6, v8
	v_addc_co_u32_e32 v8, vcc, v3, v25, vcc
	v_lshlrev_b64 v[2:3], 1, v[22:23]
	v_add_co_u32_e32 v2, vcc, v7, v2
	v_addc_co_u32_e32 v3, vcc, v8, v3, vcc
	flat_store_short v[2:3], v6
	flat_store_dwordx2 v[0:1], v[4:5]
.LBB1739_198:
	s_or_b64 exec, exec, s[4:5]
.LBB1739_199:
	s_or_b64 exec, exec, s[38:39]
	v_readlane_b32 s30, v40, 14
	v_readlane_b32 s31, v40, 15
	v_readlane_b32 s47, v40, 13
	v_readlane_b32 s46, v40, 12
	v_readlane_b32 s45, v40, 11
	v_readlane_b32 s44, v40, 10
	v_readlane_b32 s43, v40, 9
	v_readlane_b32 s42, v40, 8
	v_readlane_b32 s41, v40, 7
	v_readlane_b32 s40, v40, 6
	v_readlane_b32 s39, v40, 5
	v_readlane_b32 s38, v40, 4
	v_readlane_b32 s37, v40, 3
	v_readlane_b32 s36, v40, 2
	v_readlane_b32 s35, v40, 1
	v_readlane_b32 s34, v40, 0
	s_or_saveexec_b64 s[4:5], -1
	buffer_load_dword v40, off, s[0:3], s32 ; 4-byte Folded Reload
	s_mov_b64 exec, s[4:5]
	s_waitcnt vmcnt(0) lgkmcnt(0)
	s_setpc_b64 s[30:31]
.Lfunc_end1739:
	.size	_ZN7rocprim17ROCPRIM_400000_NS6detail40segmented_radix_sort_single_block_helperI6__halflLj256ELj8ELb1EE4sortIPKS3_PS3_PKlPlEEbT_T0_T1_T2_jjjjRNS4_12storage_typeE, .Lfunc_end1739-_ZN7rocprim17ROCPRIM_400000_NS6detail40segmented_radix_sort_single_block_helperI6__halflLj256ELj8ELb1EE4sortIPKS3_PS3_PKlPlEEbT_T0_T1_T2_jjjjRNS4_12storage_typeE
                                        ; -- End function
	.section	.AMDGPU.csdata,"",@progbits
; Function info:
; codeLenInByte = 17164
; NumSgprs: 52
; NumVgprs: 178
; NumAgprs: 0
; TotalNumVgprs: 178
; ScratchSize: 8
; MemoryBound: 1
	.section	.text._ZN7rocprim17ROCPRIM_400000_NS6detail17trampoline_kernelINS0_14default_configENS1_36segmented_radix_sort_config_selectorI6__halflEEZNS1_25segmented_radix_sort_implIS3_Lb1EPKS5_PS5_PKlPlN2at6native12_GLOBAL__N_18offset_tEEE10hipError_tPvRmT1_PNSt15iterator_traitsISL_E10value_typeET2_T3_PNSM_ISR_E10value_typeET4_jRbjT5_SX_jjP12ihipStream_tbEUlT_E_NS1_11comp_targetILNS1_3genE4ELNS1_11target_archE910ELNS1_3gpuE8ELNS1_3repE0EEENS1_30default_config_static_selectorELNS0_4arch9wavefront6targetE1EEEvSL_,"axG",@progbits,_ZN7rocprim17ROCPRIM_400000_NS6detail17trampoline_kernelINS0_14default_configENS1_36segmented_radix_sort_config_selectorI6__halflEEZNS1_25segmented_radix_sort_implIS3_Lb1EPKS5_PS5_PKlPlN2at6native12_GLOBAL__N_18offset_tEEE10hipError_tPvRmT1_PNSt15iterator_traitsISL_E10value_typeET2_T3_PNSM_ISR_E10value_typeET4_jRbjT5_SX_jjP12ihipStream_tbEUlT_E_NS1_11comp_targetILNS1_3genE4ELNS1_11target_archE910ELNS1_3gpuE8ELNS1_3repE0EEENS1_30default_config_static_selectorELNS0_4arch9wavefront6targetE1EEEvSL_,comdat
	.globl	_ZN7rocprim17ROCPRIM_400000_NS6detail17trampoline_kernelINS0_14default_configENS1_36segmented_radix_sort_config_selectorI6__halflEEZNS1_25segmented_radix_sort_implIS3_Lb1EPKS5_PS5_PKlPlN2at6native12_GLOBAL__N_18offset_tEEE10hipError_tPvRmT1_PNSt15iterator_traitsISL_E10value_typeET2_T3_PNSM_ISR_E10value_typeET4_jRbjT5_SX_jjP12ihipStream_tbEUlT_E_NS1_11comp_targetILNS1_3genE4ELNS1_11target_archE910ELNS1_3gpuE8ELNS1_3repE0EEENS1_30default_config_static_selectorELNS0_4arch9wavefront6targetE1EEEvSL_ ; -- Begin function _ZN7rocprim17ROCPRIM_400000_NS6detail17trampoline_kernelINS0_14default_configENS1_36segmented_radix_sort_config_selectorI6__halflEEZNS1_25segmented_radix_sort_implIS3_Lb1EPKS5_PS5_PKlPlN2at6native12_GLOBAL__N_18offset_tEEE10hipError_tPvRmT1_PNSt15iterator_traitsISL_E10value_typeET2_T3_PNSM_ISR_E10value_typeET4_jRbjT5_SX_jjP12ihipStream_tbEUlT_E_NS1_11comp_targetILNS1_3genE4ELNS1_11target_archE910ELNS1_3gpuE8ELNS1_3repE0EEENS1_30default_config_static_selectorELNS0_4arch9wavefront6targetE1EEEvSL_
	.p2align	8
	.type	_ZN7rocprim17ROCPRIM_400000_NS6detail17trampoline_kernelINS0_14default_configENS1_36segmented_radix_sort_config_selectorI6__halflEEZNS1_25segmented_radix_sort_implIS3_Lb1EPKS5_PS5_PKlPlN2at6native12_GLOBAL__N_18offset_tEEE10hipError_tPvRmT1_PNSt15iterator_traitsISL_E10value_typeET2_T3_PNSM_ISR_E10value_typeET4_jRbjT5_SX_jjP12ihipStream_tbEUlT_E_NS1_11comp_targetILNS1_3genE4ELNS1_11target_archE910ELNS1_3gpuE8ELNS1_3repE0EEENS1_30default_config_static_selectorELNS0_4arch9wavefront6targetE1EEEvSL_,@function
_ZN7rocprim17ROCPRIM_400000_NS6detail17trampoline_kernelINS0_14default_configENS1_36segmented_radix_sort_config_selectorI6__halflEEZNS1_25segmented_radix_sort_implIS3_Lb1EPKS5_PS5_PKlPlN2at6native12_GLOBAL__N_18offset_tEEE10hipError_tPvRmT1_PNSt15iterator_traitsISL_E10value_typeET2_T3_PNSM_ISR_E10value_typeET4_jRbjT5_SX_jjP12ihipStream_tbEUlT_E_NS1_11comp_targetILNS1_3genE4ELNS1_11target_archE910ELNS1_3gpuE8ELNS1_3repE0EEENS1_30default_config_static_selectorELNS0_4arch9wavefront6targetE1EEEvSL_: ; @_ZN7rocprim17ROCPRIM_400000_NS6detail17trampoline_kernelINS0_14default_configENS1_36segmented_radix_sort_config_selectorI6__halflEEZNS1_25segmented_radix_sort_implIS3_Lb1EPKS5_PS5_PKlPlN2at6native12_GLOBAL__N_18offset_tEEE10hipError_tPvRmT1_PNSt15iterator_traitsISL_E10value_typeET2_T3_PNSM_ISR_E10value_typeET4_jRbjT5_SX_jjP12ihipStream_tbEUlT_E_NS1_11comp_targetILNS1_3genE4ELNS1_11target_archE910ELNS1_3gpuE8ELNS1_3repE0EEENS1_30default_config_static_selectorELNS0_4arch9wavefront6targetE1EEEvSL_
; %bb.0:
	s_add_u32 flat_scratch_lo, s6, s10
	s_addc_u32 flat_scratch_hi, s7, 0
	s_mov_b32 s33, s9
	s_mov_b64 s[48:49], s[4:5]
	s_mov_b32 s50, s8
	s_load_dwordx2 s[8:9], s[4:5], 0x38
	s_nop 0
	s_load_dwordx4 s[4:7], s[4:5], 0x40
	s_add_u32 s0, s0, s10
	s_mov_b32 s11, 0
	s_mov_b32 s10, s50
	s_addc_u32 s1, s1, 0
	s_lshl_b64 s[10:11], s[10:11], 2
	s_waitcnt lgkmcnt(0)
	s_add_u32 s8, s8, s10
	s_addc_u32 s9, s9, s11
	s_load_dword s8, s[8:9], 0x0
	s_mov_b32 s32, 0
	s_waitcnt lgkmcnt(0)
	s_add_i32 s51, s8, s5
	s_add_i32 s76, s8, s7
	s_mul_i32 s51, s51, s4
	s_mul_i32 s76, s76, s6
	s_cmp_le_u32 s76, s51
	s_cbranch_scc1 .LBB1740_678
; %bb.1:
	s_load_dword s4, s[48:49], 0x30
	s_load_dwordx4 s[64:67], s[48:49], 0x20
	s_load_dwordx4 s[68:71], s[48:49], 0x50
	s_load_dwordx8 s[56:63], s[48:49], 0x0
	s_waitcnt lgkmcnt(0)
	s_bitcmp1_b32 s4, 0
	s_cselect_b64 s[54:55], -1, 0
	s_sub_i32 s71, s76, s51
	s_cmpk_lt_u32 s71, 0x801
	s_mov_b64 s[4:5], -1
	s_cbranch_scc0 .LBB1740_7
; %bb.2:
	s_and_b32 s4, s68, 1
	v_cndmask_b32_e64 v1, 0, 1, s[54:55]
	v_cmp_ne_u32_e32 vcc, s4, v1
	s_mov_b64 s[4:5], -1
	s_cbranch_vccnz .LBB1740_4
; %bb.3:
	s_add_u32 s8, s48, 0x60
	s_mov_b64 s[4:5], src_shared_base
	s_addc_u32 s9, s49, 0
	s_mov_b32 s12, s50
	s_mov_b32 s13, s33
	v_mov_b32_e32 v31, v0
	v_mov_b32_e32 v41, v0
	;; [unrolled: 1-line block ×16, first 2 shown]
	s_getpc_b64 s[6:7]
	s_add_u32 s6, s6, _ZN7rocprim17ROCPRIM_400000_NS6detail40segmented_radix_sort_single_block_helperI6__halflLj256ELj8ELb1EE4sortIPKS3_PS3_PKlPlEEbT_T0_T1_T2_jjjjRNS4_12storage_typeE@rel32@lo+4
	s_addc_u32 s7, s7, _ZN7rocprim17ROCPRIM_400000_NS6detail40segmented_radix_sort_single_block_helperI6__halflLj256ELj8ELb1EE4sortIPKS3_PS3_PKlPlEEbT_T0_T1_T2_jjjjRNS4_12storage_typeE@rel32@hi+12
	s_swappc_b64 s[30:31], s[6:7]
	v_mov_b32_e32 v0, v41
	s_mov_b64 s[4:5], 0
.LBB1740_4:
	s_andn2_b64 vcc, exec, s[4:5]
	s_cbranch_vccnz .LBB1740_6
; %bb.5:
	s_add_u32 s8, s48, 0x60
	s_mov_b64 s[4:5], src_shared_base
	s_addc_u32 s9, s49, 0
	s_mov_b32 s12, s50
	s_mov_b32 s13, s33
	v_mov_b32_e32 v31, v0
	v_mov_b32_e32 v41, v0
	;; [unrolled: 1-line block ×16, first 2 shown]
	s_getpc_b64 s[6:7]
	s_add_u32 s6, s6, _ZN7rocprim17ROCPRIM_400000_NS6detail40segmented_radix_sort_single_block_helperI6__halflLj256ELj8ELb1EE4sortIPKS3_PS3_PKlPlEEbT_T0_T1_T2_jjjjRNS4_12storage_typeE@rel32@lo+4
	s_addc_u32 s7, s7, _ZN7rocprim17ROCPRIM_400000_NS6detail40segmented_radix_sort_single_block_helperI6__halflLj256ELj8ELb1EE4sortIPKS3_PS3_PKlPlEEbT_T0_T1_T2_jjjjRNS4_12storage_typeE@rel32@hi+12
	s_swappc_b64 s[30:31], s[6:7]
	v_mov_b32_e32 v0, v41
.LBB1740_6:
	s_mov_b64 s[4:5], 0
.LBB1740_7:
	s_andn2_b64 vcc, exec, s[4:5]
	s_cbranch_vccnz .LBB1740_678
; %bb.8:
	s_cmp_ge_u32 s69, s70
	s_cbranch_scc1 .LBB1740_678
; %bb.9:
	v_and_b32_e32 v2, 0x3ff, v0
	v_lshlrev_b32_e32 v5, 1, v2
	v_mov_b32_e32 v6, s61
	v_add_co_u32_e32 v27, vcc, s60, v5
	v_addc_co_u32_e32 v28, vcc, 0, v6, vcc
	v_or_b32_e32 v6, 63, v2
	v_lshlrev_b32_e32 v3, 2, v2
	v_cmp_eq_u32_e64 s[6:7], v6, v2
	v_lshrrev_b32_e32 v6, 4, v2
	v_mad_u32_u24 v33, v2, 12, v3
	v_and_b32_e32 v34, 12, v6
	v_lshlrev_b32_e32 v6, 3, v2
	v_bfe_u32 v39, v0, 20, 10
	v_bfe_u32 v40, v0, 10, 10
	v_mul_u32_u24_e32 v0, 5, v2
	v_mov_b32_e32 v42, 0x410
	v_and_b32_e32 v38, 0x600, v6
	v_add_u32_e32 v41, v33, v3
	v_lshl_add_u32 v43, v0, 2, v42
	v_lshlrev_b32_e32 v0, 4, v2
	v_sub_u32_e32 v44, v41, v0
	v_lshlrev_b32_e32 v0, 3, v38
	v_mov_b32_e32 v6, s67
	v_add_co_u32_e32 v45, vcc, s66, v0
	v_addc_co_u32_e32 v46, vcc, 0, v6, vcc
	v_lshlrev_b32_e32 v6, 1, v38
	v_mov_b32_e32 v7, s61
	v_add_co_u32_e32 v47, vcc, s60, v6
	v_addc_co_u32_e32 v48, vcc, 0, v7, vcc
	v_mov_b32_e32 v7, s59
	v_add_co_u32_e32 v52, vcc, s58, v5
	v_addc_co_u32_e32 v53, vcc, 0, v7, vcc
	v_mov_b32_e32 v7, s65
	v_add_co_u32_e32 v54, vcc, s64, v0
	v_addc_co_u32_e32 v55, vcc, 0, v7, vcc
	v_mov_b32_e32 v7, s59
	v_add_co_u32_e32 v56, vcc, s58, v6
	v_addc_co_u32_e32 v57, vcc, 0, v7, vcc
	v_mov_b32_e32 v7, s57
	v_add_co_u32_e32 v58, vcc, s56, v5
	v_addc_co_u32_e32 v59, vcc, 0, v7, vcc
	v_sub_u32_e32 v49, v44, v5
	v_add_u32_e32 v50, 0x400, v5
	v_mov_b32_e32 v5, s63
	v_add_co_u32_e32 v60, vcc, s62, v0
	v_addc_co_u32_e32 v61, vcc, 0, v5, vcc
	v_mov_b32_e32 v0, s57
	v_add_co_u32_e32 v62, vcc, s56, v6
	s_movk_i32 s4, 0x100
	v_and_b32_e32 v1, 3, v2
	s_add_u32 s74, s48, 0x60
	s_movk_i32 s14, 0xff
	v_addc_co_u32_e32 v63, vcc, 0, v0, vcc
	v_mbcnt_lo_u32_b32 v0, -1, 0
	s_mov_b32 s73, 0
	v_mov_b32_e32 v4, 0
	v_or_b32_e32 v24, 0x100, v2
	v_or_b32_e32 v25, 0x200, v2
	;; [unrolled: 1-line block ×7, first 2 shown]
	v_cmp_gt_u32_e64 s[4:5], s4, v2
	v_or_b32_e32 v35, 0x4400, v34
	v_cmp_gt_u32_e64 s[8:9], 4, v2
	v_add_u32_e32 v36, 0x4400, v3
	v_cmp_lt_u32_e64 s[10:11], 63, v2
	v_add_u32_e32 v37, 0x43fc, v34
	s_addc_u32 s75, s49, 0
	v_cmp_eq_u32_e64 s[12:13], 0, v2
	v_cmp_ne_u32_e64 s[14:15], s14, v2
	v_mul_u32_u24_e32 v51, 6, v2
	s_movk_i32 s68, 0x8000
	v_mov_b32_e32 v64, 1
	v_lshlrev_b32_e32 v65, 1, v2
	v_mov_b32_e32 v66, 0x7fff
	v_lshlrev_b32_e32 v67, 2, v1
	v_mbcnt_hi_u32_b32 v68, -1, v0
	s_mov_b32 s77, s69
	s_branch .LBB1740_12
.LBB1740_10:                            ;   in Loop: Header=BB1740_12 Depth=1
	s_waitcnt lgkmcnt(0)
	s_barrier
.LBB1740_11:                            ;   in Loop: Header=BB1740_12 Depth=1
	s_add_i32 s77, s77, 8
	s_cmp_ge_u32 s77, s70
	s_cbranch_scc1 .LBB1740_678
.LBB1740_12:                            ; =>This Loop Header: Depth=1
                                        ;     Child Loop BB1740_16 Depth 2
                                        ;     Child Loop BB1740_66 Depth 2
	;; [unrolled: 1-line block ×8, first 2 shown]
	s_sub_i32 s16, s70, s77
	s_min_u32 s16, s16, 8
	s_lshl_b32 s16, -1, s16
	s_xor_b64 s[54:55], s[54:55], -1
	s_not_b32 s78, s16
	s_cmp_lg_u32 s77, s69
	s_mov_b64 s[16:17], -1
	ds_write2st64_b32 v3, v4, v4 offset1:4
	ds_write2st64_b32 v3, v4, v4 offset0:8 offset1:12
	s_waitcnt lgkmcnt(0)
	s_cbranch_scc0 .LBB1740_346
; %bb.13:                               ;   in Loop: Header=BB1740_12 Depth=1
	s_and_b64 vcc, exec, s[54:55]
	s_cbranch_vccz .LBB1740_179
; %bb.14:                               ;   in Loop: Header=BB1740_12 Depth=1
	s_mov_b32 s22, s71
	s_mov_b32 s72, s51
	s_barrier
	s_waitcnt lgkmcnt(0)
                                        ; implicit-def: $vgpr12
                                        ; implicit-def: $vgpr5
                                        ; implicit-def: $vgpr6
                                        ; implicit-def: $vgpr7
                                        ; implicit-def: $vgpr8
                                        ; implicit-def: $vgpr9
                                        ; implicit-def: $vgpr10
                                        ; implicit-def: $vgpr11
	s_branch .LBB1740_16
.LBB1740_15:                            ;   in Loop: Header=BB1740_16 Depth=2
	s_or_b64 exec, exec, s[16:17]
	s_addk_i32 s22, 0xf800
	s_cmp_ge_u32 s23, s76
	s_mov_b32 s72, s23
	s_cbranch_scc1 .LBB1740_54
.LBB1740_16:                            ;   Parent Loop BB1740_12 Depth=1
                                        ; =>  This Inner Loop Header: Depth=2
	s_add_i32 s23, s72, 0x800
	s_cmp_gt_u32 s23, s76
	s_cbranch_scc1 .LBB1740_19
; %bb.17:                               ;   in Loop: Header=BB1740_16 Depth=2
	s_lshl_b64 s[16:17], s[72:73], 1
	v_mov_b32_e32 v1, s17
	v_add_co_u32_e32 v0, vcc, s16, v27
	v_addc_co_u32_e32 v1, vcc, v28, v1, vcc
	global_load_ushort v14, v[0:1], off
	global_load_ushort v15, v[0:1], off offset:512
	global_load_ushort v16, v[0:1], off offset:1024
	;; [unrolled: 1-line block ×6, first 2 shown]
	v_add_co_u32_e32 v0, vcc, 0xe00, v0
	v_addc_co_u32_e32 v1, vcc, 0, v1, vcc
	s_mov_b64 s[16:17], -1
	s_movk_i32 s24, 0x800
	s_cbranch_execz .LBB1740_20
; %bb.18:                               ;   in Loop: Header=BB1740_16 Depth=2
                                        ; implicit-def: $vgpr11
                                        ; implicit-def: $vgpr10
                                        ; implicit-def: $vgpr9
                                        ; implicit-def: $vgpr8
                                        ; implicit-def: $vgpr7
                                        ; implicit-def: $vgpr6
                                        ; implicit-def: $vgpr5
                                        ; implicit-def: $vgpr12
	v_mov_b32_e32 v13, s22
	s_and_saveexec_b64 s[18:19], s[16:17]
	s_cbranch_execnz .LBB1740_31
	s_branch .LBB1740_32
.LBB1740_19:                            ;   in Loop: Header=BB1740_16 Depth=2
	s_mov_b64 s[16:17], 0
                                        ; implicit-def: $sgpr24
                                        ; implicit-def: $vgpr14
                                        ; implicit-def: $vgpr15
                                        ; implicit-def: $vgpr16
                                        ; implicit-def: $vgpr17
                                        ; implicit-def: $vgpr18
                                        ; implicit-def: $vgpr19
                                        ; implicit-def: $vgpr20
                                        ; implicit-def: $vgpr0_vgpr1
.LBB1740_20:                            ;   in Loop: Header=BB1740_16 Depth=2
	s_lshl_b64 s[18:19], s[72:73], 1
	s_add_u32 s18, s60, s18
	s_addc_u32 s19, s61, s19
	v_cmp_gt_u32_e32 vcc, s22, v2
	s_and_saveexec_b64 s[20:21], vcc
	s_cbranch_execz .LBB1740_48
; %bb.21:                               ;   in Loop: Header=BB1740_16 Depth=2
	global_load_ushort v11, v65, s[18:19]
	s_or_b64 exec, exec, s[20:21]
	v_cmp_gt_u32_e32 vcc, s22, v24
	s_and_saveexec_b64 s[20:21], vcc
	s_cbranch_execnz .LBB1740_49
.LBB1740_22:                            ;   in Loop: Header=BB1740_16 Depth=2
	s_or_b64 exec, exec, s[20:21]
	v_cmp_gt_u32_e32 vcc, s22, v25
	s_and_saveexec_b64 s[20:21], vcc
	s_cbranch_execz .LBB1740_50
.LBB1740_23:                            ;   in Loop: Header=BB1740_16 Depth=2
	global_load_ushort v9, v65, s[18:19] offset:1024
	s_or_b64 exec, exec, s[20:21]
	v_cmp_gt_u32_e32 vcc, s22, v26
	s_and_saveexec_b64 s[20:21], vcc
	s_cbranch_execnz .LBB1740_51
.LBB1740_24:                            ;   in Loop: Header=BB1740_16 Depth=2
	s_or_b64 exec, exec, s[20:21]
	v_cmp_gt_u32_e32 vcc, s22, v29
	s_and_saveexec_b64 s[20:21], vcc
	s_cbranch_execz .LBB1740_52
.LBB1740_25:                            ;   in Loop: Header=BB1740_16 Depth=2
	global_load_ushort v7, v65, s[18:19] offset:2048
	s_or_b64 exec, exec, s[20:21]
	v_cmp_gt_u32_e32 vcc, s22, v30
	s_and_saveexec_b64 s[20:21], vcc
	s_cbranch_execnz .LBB1740_53
.LBB1740_26:                            ;   in Loop: Header=BB1740_16 Depth=2
	s_or_b64 exec, exec, s[20:21]
	v_cmp_gt_u32_e32 vcc, s22, v31
	s_and_saveexec_b64 s[20:21], vcc
	s_cbranch_execz .LBB1740_28
.LBB1740_27:                            ;   in Loop: Header=BB1740_16 Depth=2
	global_load_ushort v5, v65, s[18:19] offset:3072
.LBB1740_28:                            ;   in Loop: Header=BB1740_16 Depth=2
	s_or_b64 exec, exec, s[20:21]
	v_cmp_gt_u32_e32 vcc, s22, v32
                                        ; implicit-def: $sgpr24
                                        ; implicit-def: $vgpr0_vgpr1
	s_and_saveexec_b64 s[20:21], vcc
	s_cbranch_execz .LBB1740_30
; %bb.29:                               ;   in Loop: Header=BB1740_16 Depth=2
	v_mov_b32_e32 v0, s19
	v_add_co_u32_e32 v1, vcc, s18, v65
	s_waitcnt vmcnt(0)
	v_addc_co_u32_e32 v12, vcc, 0, v0, vcc
	v_add_co_u32_e32 v0, vcc, 0xe00, v1
	s_sub_i32 s24, s76, s72
	v_addc_co_u32_e32 v1, vcc, 0, v12, vcc
	s_or_b64 s[16:17], s[16:17], exec
                                        ; implicit-def: $vgpr12
.LBB1740_30:                            ;   in Loop: Header=BB1740_16 Depth=2
	s_or_b64 exec, exec, s[20:21]
	s_waitcnt vmcnt(0)
	v_mov_b32_e32 v14, v11
	v_mov_b32_e32 v15, v10
	;; [unrolled: 1-line block ×8, first 2 shown]
	s_and_saveexec_b64 s[18:19], s[16:17]
	s_cbranch_execz .LBB1740_32
.LBB1740_31:                            ;   in Loop: Header=BB1740_16 Depth=2
	global_load_ushort v12, v[0:1], off
	v_mov_b32_e32 v13, s24
	s_waitcnt vmcnt(1)
	v_mov_b32_e32 v5, v20
	v_mov_b32_e32 v6, v19
	;; [unrolled: 1-line block ×7, first 2 shown]
.LBB1740_32:                            ;   in Loop: Header=BB1740_16 Depth=2
	s_or_b64 exec, exec, s[18:19]
	v_cmp_lt_u32_e32 vcc, v2, v13
	s_and_saveexec_b64 s[16:17], vcc
	s_cbranch_execz .LBB1740_40
; %bb.33:                               ;   in Loop: Header=BB1740_16 Depth=2
	v_cmp_gt_i16_e32 vcc, 0, v11
	v_cndmask_b32_e64 v0, v66, 0, vcc
	v_xor_b32_e32 v0, v0, v11
	v_cmp_ne_u16_e32 vcc, s68, v0
	v_cndmask_b32_e32 v0, v66, v0, vcc
	v_lshrrev_b32_sdwa v0, s77, v0 dst_sel:DWORD dst_unused:UNUSED_PAD src0_sel:DWORD src1_sel:WORD_0
	v_and_b32_e32 v0, s78, v0
	v_lshl_or_b32 v0, v0, 4, v67
	ds_add_u32 v0, v64
	s_or_b64 exec, exec, s[16:17]
	v_cmp_lt_u32_e32 vcc, v24, v13
	s_and_saveexec_b64 s[16:17], vcc
	s_cbranch_execnz .LBB1740_41
.LBB1740_34:                            ;   in Loop: Header=BB1740_16 Depth=2
	s_or_b64 exec, exec, s[16:17]
	v_cmp_lt_u32_e32 vcc, v25, v13
	s_and_saveexec_b64 s[16:17], vcc
	s_cbranch_execz .LBB1740_42
.LBB1740_35:                            ;   in Loop: Header=BB1740_16 Depth=2
	v_cmp_gt_i16_e32 vcc, 0, v9
	v_cndmask_b32_e64 v0, v66, 0, vcc
	v_xor_b32_e32 v0, v0, v9
	v_cmp_ne_u16_e32 vcc, s68, v0
	v_cndmask_b32_e32 v0, v66, v0, vcc
	v_lshrrev_b32_sdwa v0, s77, v0 dst_sel:DWORD dst_unused:UNUSED_PAD src0_sel:DWORD src1_sel:WORD_0
	v_and_b32_e32 v0, s78, v0
	v_lshl_or_b32 v0, v0, 4, v67
	ds_add_u32 v0, v64
	s_or_b64 exec, exec, s[16:17]
	v_cmp_lt_u32_e32 vcc, v26, v13
	s_and_saveexec_b64 s[16:17], vcc
	s_cbranch_execnz .LBB1740_43
.LBB1740_36:                            ;   in Loop: Header=BB1740_16 Depth=2
	s_or_b64 exec, exec, s[16:17]
	v_cmp_lt_u32_e32 vcc, v29, v13
	s_and_saveexec_b64 s[16:17], vcc
	s_cbranch_execz .LBB1740_44
.LBB1740_37:                            ;   in Loop: Header=BB1740_16 Depth=2
	v_cmp_gt_i16_e32 vcc, 0, v7
	v_cndmask_b32_e64 v0, v66, 0, vcc
	v_xor_b32_e32 v0, v0, v7
	v_cmp_ne_u16_e32 vcc, s68, v0
	v_cndmask_b32_e32 v0, v66, v0, vcc
	v_lshrrev_b32_sdwa v0, s77, v0 dst_sel:DWORD dst_unused:UNUSED_PAD src0_sel:DWORD src1_sel:WORD_0
	v_and_b32_e32 v0, s78, v0
	v_lshl_or_b32 v0, v0, 4, v67
	ds_add_u32 v0, v64
	s_or_b64 exec, exec, s[16:17]
	v_cmp_lt_u32_e32 vcc, v30, v13
	s_and_saveexec_b64 s[16:17], vcc
	s_cbranch_execnz .LBB1740_45
.LBB1740_38:                            ;   in Loop: Header=BB1740_16 Depth=2
	s_or_b64 exec, exec, s[16:17]
	v_cmp_lt_u32_e32 vcc, v31, v13
	s_and_saveexec_b64 s[16:17], vcc
	s_cbranch_execz .LBB1740_46
.LBB1740_39:                            ;   in Loop: Header=BB1740_16 Depth=2
	v_cmp_gt_i16_e32 vcc, 0, v5
	v_cndmask_b32_e64 v0, v66, 0, vcc
	v_xor_b32_e32 v0, v0, v5
	v_cmp_ne_u16_e32 vcc, s68, v0
	v_cndmask_b32_e32 v0, v66, v0, vcc
	v_lshrrev_b32_sdwa v0, s77, v0 dst_sel:DWORD dst_unused:UNUSED_PAD src0_sel:DWORD src1_sel:WORD_0
	v_and_b32_e32 v0, s78, v0
	v_lshl_or_b32 v0, v0, 4, v67
	ds_add_u32 v0, v64
	s_or_b64 exec, exec, s[16:17]
	v_cmp_lt_u32_e32 vcc, v32, v13
	s_and_saveexec_b64 s[16:17], vcc
	s_cbranch_execz .LBB1740_15
	s_branch .LBB1740_47
.LBB1740_40:                            ;   in Loop: Header=BB1740_16 Depth=2
	s_or_b64 exec, exec, s[16:17]
	v_cmp_lt_u32_e32 vcc, v24, v13
	s_and_saveexec_b64 s[16:17], vcc
	s_cbranch_execz .LBB1740_34
.LBB1740_41:                            ;   in Loop: Header=BB1740_16 Depth=2
	v_cmp_gt_i16_e32 vcc, 0, v10
	v_cndmask_b32_e64 v0, v66, 0, vcc
	v_xor_b32_e32 v0, v0, v10
	v_cmp_ne_u16_e32 vcc, s68, v0
	v_cndmask_b32_e32 v0, v66, v0, vcc
	v_lshrrev_b32_sdwa v0, s77, v0 dst_sel:DWORD dst_unused:UNUSED_PAD src0_sel:DWORD src1_sel:WORD_0
	v_and_b32_e32 v0, s78, v0
	v_lshl_or_b32 v0, v0, 4, v67
	ds_add_u32 v0, v64
	s_or_b64 exec, exec, s[16:17]
	v_cmp_lt_u32_e32 vcc, v25, v13
	s_and_saveexec_b64 s[16:17], vcc
	s_cbranch_execnz .LBB1740_35
.LBB1740_42:                            ;   in Loop: Header=BB1740_16 Depth=2
	s_or_b64 exec, exec, s[16:17]
	v_cmp_lt_u32_e32 vcc, v26, v13
	s_and_saveexec_b64 s[16:17], vcc
	s_cbranch_execz .LBB1740_36
.LBB1740_43:                            ;   in Loop: Header=BB1740_16 Depth=2
	v_cmp_gt_i16_e32 vcc, 0, v8
	v_cndmask_b32_e64 v0, v66, 0, vcc
	v_xor_b32_e32 v0, v0, v8
	v_cmp_ne_u16_e32 vcc, s68, v0
	v_cndmask_b32_e32 v0, v66, v0, vcc
	v_lshrrev_b32_sdwa v0, s77, v0 dst_sel:DWORD dst_unused:UNUSED_PAD src0_sel:DWORD src1_sel:WORD_0
	v_and_b32_e32 v0, s78, v0
	v_lshl_or_b32 v0, v0, 4, v67
	ds_add_u32 v0, v64
	s_or_b64 exec, exec, s[16:17]
	v_cmp_lt_u32_e32 vcc, v29, v13
	s_and_saveexec_b64 s[16:17], vcc
	s_cbranch_execnz .LBB1740_37
.LBB1740_44:                            ;   in Loop: Header=BB1740_16 Depth=2
	s_or_b64 exec, exec, s[16:17]
	v_cmp_lt_u32_e32 vcc, v30, v13
	s_and_saveexec_b64 s[16:17], vcc
	s_cbranch_execz .LBB1740_38
.LBB1740_45:                            ;   in Loop: Header=BB1740_16 Depth=2
	v_cmp_gt_i16_e32 vcc, 0, v6
	v_cndmask_b32_e64 v0, v66, 0, vcc
	v_xor_b32_e32 v0, v0, v6
	v_cmp_ne_u16_e32 vcc, s68, v0
	v_cndmask_b32_e32 v0, v66, v0, vcc
	v_lshrrev_b32_sdwa v0, s77, v0 dst_sel:DWORD dst_unused:UNUSED_PAD src0_sel:DWORD src1_sel:WORD_0
	v_and_b32_e32 v0, s78, v0
	v_lshl_or_b32 v0, v0, 4, v67
	ds_add_u32 v0, v64
	s_or_b64 exec, exec, s[16:17]
	v_cmp_lt_u32_e32 vcc, v31, v13
	s_and_saveexec_b64 s[16:17], vcc
	s_cbranch_execnz .LBB1740_39
.LBB1740_46:                            ;   in Loop: Header=BB1740_16 Depth=2
	s_or_b64 exec, exec, s[16:17]
	v_cmp_lt_u32_e32 vcc, v32, v13
	s_and_saveexec_b64 s[16:17], vcc
	s_cbranch_execz .LBB1740_15
.LBB1740_47:                            ;   in Loop: Header=BB1740_16 Depth=2
	s_waitcnt vmcnt(0)
	v_cmp_gt_i16_e32 vcc, 0, v12
	v_cndmask_b32_e64 v0, v66, 0, vcc
	v_xor_b32_e32 v0, v0, v12
	v_cmp_ne_u16_e32 vcc, s68, v0
	v_cndmask_b32_e32 v0, v66, v0, vcc
	v_lshrrev_b32_sdwa v0, s77, v0 dst_sel:DWORD dst_unused:UNUSED_PAD src0_sel:DWORD src1_sel:WORD_0
	v_and_b32_e32 v0, s78, v0
	v_lshl_or_b32 v0, v0, 4, v67
	ds_add_u32 v0, v64
	s_branch .LBB1740_15
.LBB1740_48:                            ;   in Loop: Header=BB1740_16 Depth=2
	s_or_b64 exec, exec, s[20:21]
	v_cmp_gt_u32_e32 vcc, s22, v24
	s_and_saveexec_b64 s[20:21], vcc
	s_cbranch_execz .LBB1740_22
.LBB1740_49:                            ;   in Loop: Header=BB1740_16 Depth=2
	global_load_ushort v10, v65, s[18:19] offset:512
	s_or_b64 exec, exec, s[20:21]
	v_cmp_gt_u32_e32 vcc, s22, v25
	s_and_saveexec_b64 s[20:21], vcc
	s_cbranch_execnz .LBB1740_23
.LBB1740_50:                            ;   in Loop: Header=BB1740_16 Depth=2
	s_or_b64 exec, exec, s[20:21]
	v_cmp_gt_u32_e32 vcc, s22, v26
	s_and_saveexec_b64 s[20:21], vcc
	s_cbranch_execz .LBB1740_24
.LBB1740_51:                            ;   in Loop: Header=BB1740_16 Depth=2
	global_load_ushort v8, v65, s[18:19] offset:1536
	s_or_b64 exec, exec, s[20:21]
	v_cmp_gt_u32_e32 vcc, s22, v29
	s_and_saveexec_b64 s[20:21], vcc
	s_cbranch_execnz .LBB1740_25
.LBB1740_52:                            ;   in Loop: Header=BB1740_16 Depth=2
	s_or_b64 exec, exec, s[20:21]
	v_cmp_gt_u32_e32 vcc, s22, v30
	s_and_saveexec_b64 s[20:21], vcc
	s_cbranch_execz .LBB1740_26
.LBB1740_53:                            ;   in Loop: Header=BB1740_16 Depth=2
	global_load_ushort v6, v65, s[18:19] offset:2560
	s_or_b64 exec, exec, s[20:21]
	v_cmp_gt_u32_e32 vcc, s22, v31
	s_and_saveexec_b64 s[20:21], vcc
	s_cbranch_execz .LBB1740_28
	s_branch .LBB1740_27
.LBB1740_54:                            ;   in Loop: Header=BB1740_12 Depth=1
	v_mov_b32_e32 v0, 0
	s_waitcnt lgkmcnt(0)
	s_barrier
	s_and_saveexec_b64 s[16:17], s[4:5]
	s_cbranch_execz .LBB1740_56
; %bb.55:                               ;   in Loop: Header=BB1740_12 Depth=1
	ds_read2_b64 v[6:9], v33 offset1:1
	s_waitcnt lgkmcnt(0)
	v_add_u32_e32 v0, v7, v6
	v_add3_u32 v0, v0, v8, v9
.LBB1740_56:                            ;   in Loop: Header=BB1740_12 Depth=1
	s_or_b64 exec, exec, s[16:17]
	v_and_b32_e32 v1, 15, v68
	v_mov_b32_dpp v5, v0 row_shr:1 row_mask:0xf bank_mask:0xf
	v_cmp_eq_u32_e64 s[16:17], 0, v1
	v_cndmask_b32_e64 v5, v5, 0, s[16:17]
	v_add_u32_e32 v0, v5, v0
	v_cmp_lt_u32_e64 s[18:19], 1, v1
	v_cmp_lt_u32_e64 s[20:21], 3, v1
	v_mov_b32_dpp v5, v0 row_shr:2 row_mask:0xf bank_mask:0xf
	v_cndmask_b32_e64 v5, 0, v5, s[18:19]
	v_add_u32_e32 v0, v0, v5
	v_cmp_lt_u32_e64 s[22:23], 7, v1
	v_cmp_lt_u32_e64 s[26:27], 31, v68
	v_mov_b32_dpp v5, v0 row_shr:4 row_mask:0xf bank_mask:0xf
	v_cndmask_b32_e64 v5, 0, v5, s[20:21]
	v_add_u32_e32 v0, v0, v5
	v_and_b32_e32 v6, 16, v68
	v_cmp_eq_u32_e64 s[24:25], 0, v6
	v_mov_b32_dpp v5, v0 row_shr:8 row_mask:0xf bank_mask:0xf
	v_cndmask_b32_e64 v1, 0, v5, s[22:23]
	v_add_u32_e32 v0, v0, v1
	v_bfe_i32 v5, v68, 4, 1
	s_nop 0
	v_mov_b32_dpp v1, v0 row_bcast:15 row_mask:0xf bank_mask:0xf
	v_and_b32_e32 v1, v5, v1
	v_add_u32_e32 v0, v0, v1
	s_nop 1
	v_mov_b32_dpp v1, v0 row_bcast:31 row_mask:0xf bank_mask:0xf
	v_cndmask_b32_e64 v1, 0, v1, s[26:27]
	v_add_u32_e32 v1, v0, v1
	s_and_saveexec_b64 s[28:29], s[6:7]
	s_cbranch_execz .LBB1740_58
; %bb.57:                               ;   in Loop: Header=BB1740_12 Depth=1
	ds_write_b32 v35, v1
.LBB1740_58:                            ;   in Loop: Header=BB1740_12 Depth=1
	s_or_b64 exec, exec, s[28:29]
	v_and_b32_e32 v0, 3, v68
	s_waitcnt lgkmcnt(0)
	s_barrier
	s_and_saveexec_b64 s[28:29], s[8:9]
	s_cbranch_execz .LBB1740_60
; %bb.59:                               ;   in Loop: Header=BB1740_12 Depth=1
	ds_read_b32 v5, v36
	v_cmp_ne_u32_e32 vcc, 0, v0
	s_waitcnt lgkmcnt(0)
	v_mov_b32_dpp v6, v5 row_shr:1 row_mask:0xf bank_mask:0xf
	v_cndmask_b32_e32 v6, 0, v6, vcc
	v_add_u32_e32 v5, v6, v5
	v_cmp_lt_u32_e32 vcc, 1, v0
	s_nop 0
	v_mov_b32_dpp v6, v5 row_shr:2 row_mask:0xf bank_mask:0xf
	v_cndmask_b32_e32 v6, 0, v6, vcc
	v_add_u32_e32 v5, v5, v6
	ds_write_b32 v36, v5
.LBB1740_60:                            ;   in Loop: Header=BB1740_12 Depth=1
	s_or_b64 exec, exec, s[28:29]
	v_mov_b32_e32 v5, 0
	s_waitcnt lgkmcnt(0)
	s_barrier
	s_and_saveexec_b64 s[28:29], s[10:11]
	s_cbranch_execz .LBB1740_62
; %bb.61:                               ;   in Loop: Header=BB1740_12 Depth=1
	ds_read_b32 v5, v37
.LBB1740_62:                            ;   in Loop: Header=BB1740_12 Depth=1
	s_or_b64 exec, exec, s[28:29]
	v_add_u32_e32 v6, -1, v68
	v_and_b32_e32 v7, 64, v68
	v_cmp_lt_i32_e32 vcc, v6, v7
	v_cndmask_b32_e32 v6, v6, v68, vcc
	s_waitcnt lgkmcnt(0)
	v_add_u32_e32 v1, v5, v1
	v_lshlrev_b32_e32 v69, 2, v6
	ds_bpermute_b32 v1, v69, v1
	v_cmp_eq_u32_e64 s[28:29], 0, v68
	s_waitcnt lgkmcnt(0)
	s_barrier
	s_and_saveexec_b64 s[30:31], s[4:5]
	s_cbranch_execz .LBB1740_64
; %bb.63:                               ;   in Loop: Header=BB1740_12 Depth=1
	v_cndmask_b32_e64 v1, v1, v5, s[28:29]
	v_add_u32_e32 v1, s51, v1
	ds_write_b32 v3, v1
.LBB1740_64:                            ;   in Loop: Header=BB1740_12 Depth=1
	s_or_b64 exec, exec, s[30:31]
	s_load_dword s30, s[74:75], 0x4
	s_load_dword s36, s[74:75], 0xc
	s_waitcnt vmcnt(0)
	v_and_b32_e32 v20, 63, v68
	v_lshlrev_b32_e32 v21, 3, v20
	v_add_co_u32_e32 v77, vcc, v45, v21
	s_waitcnt lgkmcnt(0)
	s_cmp_lt_u32 s33, s30
	s_cselect_b32 s30, 14, 20
	s_add_u32 s30, s74, s30
	s_addc_u32 s31, s75, 0
	global_load_ushort v5, v4, s[30:31]
	v_or_b32_e32 v74, v20, v38
	v_lshlrev_b32_e32 v20, 1, v20
	v_addc_co_u32_e32 v79, vcc, 0, v46, vcc
	v_add_co_u32_e32 v88, vcc, v47, v20
	v_addc_co_u32_e32 v89, vcc, 0, v48, vcc
	s_and_b32 s36, s36, 0xffff
	v_add_co_u32_e32 v90, vcc, 0x380, v88
	v_cmp_eq_u32_e64 s[30:31], 0, v0
	v_cmp_lt_u32_e64 s[34:35], 1, v0
	s_mov_b32 s79, s71
	v_or_b32_e32 v81, 64, v74
	v_or_b32_e32 v82, 0x80, v74
	v_or_b32_e32 v83, 0xc0, v74
	v_or_b32_e32 v84, 0x100, v74
	v_or_b32_e32 v85, 0x140, v74
	v_or_b32_e32 v86, 0x180, v74
	v_or_b32_e32 v87, 0x1c0, v74
	v_addc_co_u32_e32 v91, vcc, 0, v89, vcc
	s_mov_b32 s72, s51
                                        ; implicit-def: $vgpr0_vgpr1
                                        ; implicit-def: $vgpr6_vgpr7
                                        ; implicit-def: $vgpr8_vgpr9
                                        ; implicit-def: $vgpr10_vgpr11
                                        ; implicit-def: $vgpr12_vgpr13
                                        ; implicit-def: $vgpr14_vgpr15
                                        ; implicit-def: $vgpr16_vgpr17
                                        ; implicit-def: $vgpr18_vgpr19
                                        ; implicit-def: $vgpr70
                                        ; implicit-def: $vgpr71
                                        ; implicit-def: $vgpr72
                                        ; implicit-def: $vgpr73
                                        ; implicit-def: $vgpr75
                                        ; implicit-def: $vgpr76
                                        ; implicit-def: $vgpr78
                                        ; implicit-def: $vgpr80
	s_waitcnt vmcnt(0)
	v_mad_u32_u24 v5, v39, v5, v40
	v_mad_u64_u32 v[20:21], s[36:37], v5, s36, v[2:3]
	v_lshrrev_b32_e32 v92, 6, v20
	s_branch .LBB1740_66
.LBB1740_65:                            ;   in Loop: Header=BB1740_66 Depth=2
	s_or_b64 exec, exec, s[36:37]
	s_addk_i32 s79, 0xf800
	s_cmp_lt_u32 s80, s76
	s_mov_b32 s72, s80
	s_cbranch_scc0 .LBB1740_178
.LBB1740_66:                            ;   Parent Loop BB1740_12 Depth=1
                                        ; =>  This Inner Loop Header: Depth=2
	s_add_i32 s80, s72, 0x800
	s_cmp_gt_u32 s80, s76
	s_cbranch_scc1 .LBB1740_69
; %bb.67:                               ;   in Loop: Header=BB1740_66 Depth=2
	s_lshl_b64 s[36:37], s[72:73], 1
	v_mov_b32_e32 v5, s37
	v_add_co_u32_e32 v20, vcc, s36, v88
	v_addc_co_u32_e32 v21, vcc, v89, v5, vcc
	global_load_ushort v5, v[20:21], off
	global_load_ushort v97, v[20:21], off offset:128
	global_load_ushort v101, v[20:21], off offset:256
	;; [unrolled: 1-line block ×6, first 2 shown]
	s_mov_b64 s[36:37], -1
	s_movk_i32 s40, 0x800
	s_cbranch_execz .LBB1740_70
; %bb.68:                               ;   in Loop: Header=BB1740_66 Depth=2
                                        ; implicit-def: $sgpr38
	v_mov_b32_e32 v23, s38
	v_mov_b32_e32 v93, s79
	s_and_saveexec_b64 s[38:39], s[36:37]
	s_cbranch_execnz .LBB1740_85
	s_branch .LBB1740_86
.LBB1740_69:                            ;   in Loop: Header=BB1740_66 Depth=2
	s_mov_b64 s[36:37], 0
                                        ; implicit-def: $sgpr40
                                        ; implicit-def: $vgpr5
                                        ; implicit-def: $vgpr97
                                        ; implicit-def: $vgpr101
                                        ; implicit-def: $vgpr106
                                        ; implicit-def: $vgpr109
                                        ; implicit-def: $vgpr104
                                        ; implicit-def: $vgpr22
.LBB1740_70:                            ;   in Loop: Header=BB1740_66 Depth=2
	s_lshl_b64 s[36:37], s[72:73], 1
	s_waitcnt vmcnt(6)
	v_mov_b32_e32 v5, s37
	v_add_co_u32_e32 v20, vcc, s36, v88
	v_addc_co_u32_e32 v21, vcc, v89, v5, vcc
	v_cmp_gt_u32_e32 vcc, s79, v74
	s_waitcnt vmcnt(5)
	v_mov_b32_e32 v97, -1
	v_mov_b32_e32 v5, -1
	s_and_saveexec_b64 s[36:37], vcc
	s_cbranch_execz .LBB1740_72
; %bb.71:                               ;   in Loop: Header=BB1740_66 Depth=2
	global_load_ushort v5, v[20:21], off
.LBB1740_72:                            ;   in Loop: Header=BB1740_66 Depth=2
	s_or_b64 exec, exec, s[36:37]
	v_cmp_gt_u32_e32 vcc, s79, v81
	s_and_saveexec_b64 s[36:37], vcc
	s_cbranch_execz .LBB1740_74
; %bb.73:                               ;   in Loop: Header=BB1740_66 Depth=2
	global_load_ushort v97, v[20:21], off offset:128
.LBB1740_74:                            ;   in Loop: Header=BB1740_66 Depth=2
	s_or_b64 exec, exec, s[36:37]
	v_cmp_gt_u32_e32 vcc, s79, v82
	s_waitcnt vmcnt(3)
	v_mov_b32_e32 v106, -1
	v_mov_b32_e32 v101, -1
	s_and_saveexec_b64 s[36:37], vcc
	s_cbranch_execz .LBB1740_76
; %bb.75:                               ;   in Loop: Header=BB1740_66 Depth=2
	global_load_ushort v101, v[20:21], off offset:256
.LBB1740_76:                            ;   in Loop: Header=BB1740_66 Depth=2
	s_or_b64 exec, exec, s[36:37]
	v_cmp_gt_u32_e32 vcc, s79, v83
	s_and_saveexec_b64 s[36:37], vcc
	s_cbranch_execz .LBB1740_78
; %bb.77:                               ;   in Loop: Header=BB1740_66 Depth=2
	global_load_ushort v106, v[20:21], off offset:384
.LBB1740_78:                            ;   in Loop: Header=BB1740_66 Depth=2
	s_or_b64 exec, exec, s[36:37]
	v_cmp_gt_u32_e32 vcc, s79, v84
	s_waitcnt vmcnt(1)
	v_mov_b32_e32 v104, -1
	v_mov_b32_e32 v109, -1
	s_and_saveexec_b64 s[36:37], vcc
	s_cbranch_execz .LBB1740_80
; %bb.79:                               ;   in Loop: Header=BB1740_66 Depth=2
	global_load_ushort v109, v[20:21], off offset:512
.LBB1740_80:                            ;   in Loop: Header=BB1740_66 Depth=2
	s_or_b64 exec, exec, s[36:37]
	v_cmp_gt_u32_e32 vcc, s79, v85
	s_and_saveexec_b64 s[36:37], vcc
	s_cbranch_execz .LBB1740_82
; %bb.81:                               ;   in Loop: Header=BB1740_66 Depth=2
	global_load_ushort v104, v[20:21], off offset:640
.LBB1740_82:                            ;   in Loop: Header=BB1740_66 Depth=2
	s_or_b64 exec, exec, s[36:37]
	v_cmp_gt_u32_e32 vcc, s79, v86
	s_waitcnt vmcnt(0)
	v_mov_b32_e32 v22, -1
	s_and_saveexec_b64 s[36:37], vcc
	s_cbranch_execz .LBB1740_84
; %bb.83:                               ;   in Loop: Header=BB1740_66 Depth=2
	global_load_ushort v22, v[20:21], off offset:768
.LBB1740_84:                            ;   in Loop: Header=BB1740_66 Depth=2
	s_or_b64 exec, exec, s[36:37]
	s_sub_i32 s40, s76, s72
	v_cmp_gt_u32_e64 s[36:37], s79, v87
	s_mov_b32 s38, -1
	v_mov_b32_e32 v23, s38
	v_mov_b32_e32 v93, s79
	s_and_saveexec_b64 s[38:39], s[36:37]
	s_cbranch_execz .LBB1740_86
.LBB1740_85:                            ;   in Loop: Header=BB1740_66 Depth=2
	s_lshl_b64 s[36:37], s[72:73], 1
	v_mov_b32_e32 v21, s37
	v_add_co_u32_e32 v20, vcc, s36, v90
	v_addc_co_u32_e32 v21, vcc, v91, v21, vcc
	global_load_ushort v23, v[20:21], off
	v_mov_b32_e32 v93, s40
.LBB1740_86:                            ;   in Loop: Header=BB1740_66 Depth=2
	s_or_b64 exec, exec, s[38:39]
	s_waitcnt vmcnt(6)
	v_cmp_gt_i16_e32 vcc, 0, v5
	v_cndmask_b32_e64 v20, v66, 0, vcc
	v_xor_b32_e32 v94, v20, v5
	v_add_u32_e32 v5, 0x410, v41
	v_cmp_ne_u16_e32 vcc, s68, v94
	ds_write2_b32 v5, v4, v4 offset1:1
	ds_write2_b32 v43, v4, v4 offset0:2 offset1:3
	ds_write_b32 v43, v4 offset:16
	v_cndmask_b32_e32 v5, v66, v94, vcc
	v_lshrrev_b32_sdwa v5, s77, v5 dst_sel:DWORD dst_unused:UNUSED_PAD src0_sel:DWORD src1_sel:WORD_0
	v_and_b32_e32 v20, s78, v5
	v_mad_u32_u24 v5, v20, 5, v92
	v_lshl_add_u32 v95, v5, 2, v42
	v_and_b32_e32 v5, 1, v20
	v_add_co_u32_e32 v21, vcc, -1, v5
	v_addc_co_u32_e64 v96, s[36:37], 0, -1, vcc
	v_cmp_ne_u32_e32 vcc, 0, v5
	v_xor_b32_e32 v5, vcc_hi, v96
	v_and_b32_e32 v96, exec_hi, v5
	v_lshlrev_b32_e32 v5, 30, v20
	v_xor_b32_e32 v21, vcc_lo, v21
	v_cmp_gt_i64_e32 vcc, 0, v[4:5]
	v_not_b32_e32 v5, v5
	v_ashrrev_i32_e32 v5, 31, v5
	v_and_b32_e32 v21, exec_lo, v21
	v_xor_b32_e32 v98, vcc_hi, v5
	v_xor_b32_e32 v5, vcc_lo, v5
	v_and_b32_e32 v21, v21, v5
	v_lshlrev_b32_e32 v5, 29, v20
	v_cmp_gt_i64_e32 vcc, 0, v[4:5]
	v_not_b32_e32 v5, v5
	v_ashrrev_i32_e32 v5, 31, v5
	v_and_b32_e32 v96, v96, v98
	v_xor_b32_e32 v98, vcc_hi, v5
	v_xor_b32_e32 v5, vcc_lo, v5
	v_and_b32_e32 v21, v21, v5
	v_lshlrev_b32_e32 v5, 28, v20
	v_cmp_gt_i64_e32 vcc, 0, v[4:5]
	v_not_b32_e32 v5, v5
	v_ashrrev_i32_e32 v5, 31, v5
	v_and_b32_e32 v96, v96, v98
	;; [unrolled: 8-line block ×5, first 2 shown]
	v_xor_b32_e32 v98, vcc_hi, v5
	v_xor_b32_e32 v5, vcc_lo, v5
	v_and_b32_e32 v96, v96, v98
	v_and_b32_e32 v98, v21, v5
	v_lshlrev_b32_e32 v5, 24, v20
	v_cmp_gt_i64_e32 vcc, 0, v[4:5]
	v_not_b32_e32 v5, v5
	v_ashrrev_i32_e32 v5, 31, v5
	v_xor_b32_e32 v20, vcc_hi, v5
	v_xor_b32_e32 v5, vcc_lo, v5
	v_and_b32_e32 v21, v96, v20
	v_and_b32_e32 v20, v98, v5
	v_mbcnt_lo_u32_b32 v5, v20, 0
	v_mbcnt_hi_u32_b32 v96, v21, v5
	v_cmp_eq_u32_e32 vcc, 0, v96
	v_cmp_ne_u64_e64 s[36:37], 0, v[20:21]
	s_and_b64 s[38:39], s[36:37], vcc
	s_waitcnt lgkmcnt(0)
	s_barrier
	s_waitcnt lgkmcnt(0)
	; wave barrier
	s_and_saveexec_b64 s[36:37], s[38:39]
	s_cbranch_execz .LBB1740_88
; %bb.87:                               ;   in Loop: Header=BB1740_66 Depth=2
	v_bcnt_u32_b32 v5, v20, 0
	v_bcnt_u32_b32 v5, v21, v5
	ds_write_b32 v95, v5
.LBB1740_88:                            ;   in Loop: Header=BB1740_66 Depth=2
	s_or_b64 exec, exec, s[36:37]
	s_waitcnt vmcnt(5)
	v_cmp_gt_i16_e32 vcc, 0, v97
	v_cndmask_b32_e64 v5, v66, 0, vcc
	v_xor_b32_e32 v97, v5, v97
	v_cmp_ne_u16_e32 vcc, s68, v97
	v_cndmask_b32_e32 v5, v66, v97, vcc
	v_lshrrev_b32_sdwa v5, s77, v5 dst_sel:DWORD dst_unused:UNUSED_PAD src0_sel:DWORD src1_sel:WORD_0
	v_and_b32_e32 v20, s78, v5
	v_mul_u32_u24_e32 v5, 5, v20
	v_add_lshl_u32 v5, v5, v92, 2
	; wave barrier
	v_add_u32_e32 v99, 0x410, v5
	ds_read_b32 v98, v5 offset:1040
	v_and_b32_e32 v5, 1, v20
	v_add_co_u32_e32 v21, vcc, -1, v5
	v_addc_co_u32_e64 v100, s[36:37], 0, -1, vcc
	v_cmp_ne_u32_e32 vcc, 0, v5
	v_xor_b32_e32 v5, vcc_hi, v100
	v_and_b32_e32 v100, exec_hi, v5
	v_lshlrev_b32_e32 v5, 30, v20
	v_xor_b32_e32 v21, vcc_lo, v21
	v_cmp_gt_i64_e32 vcc, 0, v[4:5]
	v_not_b32_e32 v5, v5
	v_ashrrev_i32_e32 v5, 31, v5
	v_and_b32_e32 v21, exec_lo, v21
	v_xor_b32_e32 v102, vcc_hi, v5
	v_xor_b32_e32 v5, vcc_lo, v5
	v_and_b32_e32 v21, v21, v5
	v_lshlrev_b32_e32 v5, 29, v20
	v_cmp_gt_i64_e32 vcc, 0, v[4:5]
	v_not_b32_e32 v5, v5
	v_ashrrev_i32_e32 v5, 31, v5
	v_and_b32_e32 v100, v100, v102
	v_xor_b32_e32 v102, vcc_hi, v5
	v_xor_b32_e32 v5, vcc_lo, v5
	v_and_b32_e32 v21, v21, v5
	v_lshlrev_b32_e32 v5, 28, v20
	v_cmp_gt_i64_e32 vcc, 0, v[4:5]
	v_not_b32_e32 v5, v5
	v_ashrrev_i32_e32 v5, 31, v5
	v_and_b32_e32 v100, v100, v102
	;; [unrolled: 8-line block ×5, first 2 shown]
	v_xor_b32_e32 v102, vcc_hi, v5
	v_xor_b32_e32 v5, vcc_lo, v5
	v_and_b32_e32 v100, v100, v102
	v_and_b32_e32 v102, v21, v5
	v_lshlrev_b32_e32 v5, 24, v20
	v_cmp_gt_i64_e32 vcc, 0, v[4:5]
	v_not_b32_e32 v5, v5
	v_ashrrev_i32_e32 v5, 31, v5
	v_xor_b32_e32 v20, vcc_hi, v5
	v_xor_b32_e32 v5, vcc_lo, v5
	v_and_b32_e32 v21, v100, v20
	v_and_b32_e32 v20, v102, v5
	v_mbcnt_lo_u32_b32 v5, v20, 0
	v_mbcnt_hi_u32_b32 v100, v21, v5
	v_cmp_eq_u32_e32 vcc, 0, v100
	v_cmp_ne_u64_e64 s[36:37], 0, v[20:21]
	s_and_b64 s[38:39], s[36:37], vcc
	; wave barrier
	s_and_saveexec_b64 s[36:37], s[38:39]
	s_cbranch_execz .LBB1740_90
; %bb.89:                               ;   in Loop: Header=BB1740_66 Depth=2
	v_bcnt_u32_b32 v5, v20, 0
	v_bcnt_u32_b32 v5, v21, v5
	s_waitcnt lgkmcnt(0)
	v_add_u32_e32 v5, v98, v5
	ds_write_b32 v99, v5
.LBB1740_90:                            ;   in Loop: Header=BB1740_66 Depth=2
	s_or_b64 exec, exec, s[36:37]
	s_waitcnt vmcnt(4)
	v_cmp_gt_i16_e32 vcc, 0, v101
	v_cndmask_b32_e64 v5, v66, 0, vcc
	v_xor_b32_e32 v101, v5, v101
	v_cmp_ne_u16_e32 vcc, s68, v101
	v_cndmask_b32_e32 v5, v66, v101, vcc
	v_lshrrev_b32_sdwa v5, s77, v5 dst_sel:DWORD dst_unused:UNUSED_PAD src0_sel:DWORD src1_sel:WORD_0
	v_and_b32_e32 v20, s78, v5
	v_mul_u32_u24_e32 v5, 5, v20
	v_add_lshl_u32 v5, v5, v92, 2
	; wave barrier
	v_add_u32_e32 v103, 0x410, v5
	ds_read_b32 v102, v5 offset:1040
	v_and_b32_e32 v5, 1, v20
	v_add_co_u32_e32 v21, vcc, -1, v5
	v_addc_co_u32_e64 v105, s[36:37], 0, -1, vcc
	v_cmp_ne_u32_e32 vcc, 0, v5
	v_xor_b32_e32 v5, vcc_hi, v105
	v_and_b32_e32 v105, exec_hi, v5
	v_lshlrev_b32_e32 v5, 30, v20
	v_xor_b32_e32 v21, vcc_lo, v21
	v_cmp_gt_i64_e32 vcc, 0, v[4:5]
	v_not_b32_e32 v5, v5
	v_ashrrev_i32_e32 v5, 31, v5
	v_and_b32_e32 v21, exec_lo, v21
	v_xor_b32_e32 v107, vcc_hi, v5
	v_xor_b32_e32 v5, vcc_lo, v5
	v_and_b32_e32 v21, v21, v5
	v_lshlrev_b32_e32 v5, 29, v20
	v_cmp_gt_i64_e32 vcc, 0, v[4:5]
	v_not_b32_e32 v5, v5
	v_ashrrev_i32_e32 v5, 31, v5
	v_and_b32_e32 v105, v105, v107
	v_xor_b32_e32 v107, vcc_hi, v5
	v_xor_b32_e32 v5, vcc_lo, v5
	v_and_b32_e32 v21, v21, v5
	v_lshlrev_b32_e32 v5, 28, v20
	v_cmp_gt_i64_e32 vcc, 0, v[4:5]
	v_not_b32_e32 v5, v5
	v_ashrrev_i32_e32 v5, 31, v5
	v_and_b32_e32 v105, v105, v107
	;; [unrolled: 8-line block ×5, first 2 shown]
	v_xor_b32_e32 v107, vcc_hi, v5
	v_xor_b32_e32 v5, vcc_lo, v5
	v_and_b32_e32 v105, v105, v107
	v_and_b32_e32 v107, v21, v5
	v_lshlrev_b32_e32 v5, 24, v20
	v_cmp_gt_i64_e32 vcc, 0, v[4:5]
	v_not_b32_e32 v5, v5
	v_ashrrev_i32_e32 v5, 31, v5
	v_xor_b32_e32 v20, vcc_hi, v5
	v_xor_b32_e32 v5, vcc_lo, v5
	v_and_b32_e32 v21, v105, v20
	v_and_b32_e32 v20, v107, v5
	v_mbcnt_lo_u32_b32 v5, v20, 0
	v_mbcnt_hi_u32_b32 v105, v21, v5
	v_cmp_eq_u32_e32 vcc, 0, v105
	v_cmp_ne_u64_e64 s[36:37], 0, v[20:21]
	s_and_b64 s[38:39], s[36:37], vcc
	; wave barrier
	s_and_saveexec_b64 s[36:37], s[38:39]
	s_cbranch_execz .LBB1740_92
; %bb.91:                               ;   in Loop: Header=BB1740_66 Depth=2
	v_bcnt_u32_b32 v5, v20, 0
	v_bcnt_u32_b32 v5, v21, v5
	s_waitcnt lgkmcnt(0)
	v_add_u32_e32 v5, v102, v5
	ds_write_b32 v103, v5
.LBB1740_92:                            ;   in Loop: Header=BB1740_66 Depth=2
	s_or_b64 exec, exec, s[36:37]
	s_waitcnt vmcnt(3)
	v_cmp_gt_i16_e32 vcc, 0, v106
	v_cndmask_b32_e64 v5, v66, 0, vcc
	v_xor_b32_e32 v106, v5, v106
	v_cmp_ne_u16_e32 vcc, s68, v106
	v_cndmask_b32_e32 v5, v66, v106, vcc
	v_lshrrev_b32_sdwa v5, s77, v5 dst_sel:DWORD dst_unused:UNUSED_PAD src0_sel:DWORD src1_sel:WORD_0
	v_and_b32_e32 v20, s78, v5
	v_mul_u32_u24_e32 v5, 5, v20
	v_add_lshl_u32 v5, v5, v92, 2
	; wave barrier
	v_add_u32_e32 v108, 0x410, v5
	ds_read_b32 v107, v5 offset:1040
	v_and_b32_e32 v5, 1, v20
	v_add_co_u32_e32 v21, vcc, -1, v5
	v_addc_co_u32_e64 v110, s[36:37], 0, -1, vcc
	v_cmp_ne_u32_e32 vcc, 0, v5
	v_xor_b32_e32 v5, vcc_hi, v110
	v_and_b32_e32 v110, exec_hi, v5
	v_lshlrev_b32_e32 v5, 30, v20
	v_xor_b32_e32 v21, vcc_lo, v21
	v_cmp_gt_i64_e32 vcc, 0, v[4:5]
	v_not_b32_e32 v5, v5
	v_ashrrev_i32_e32 v5, 31, v5
	v_and_b32_e32 v21, exec_lo, v21
	v_xor_b32_e32 v111, vcc_hi, v5
	v_xor_b32_e32 v5, vcc_lo, v5
	v_and_b32_e32 v21, v21, v5
	v_lshlrev_b32_e32 v5, 29, v20
	v_cmp_gt_i64_e32 vcc, 0, v[4:5]
	v_not_b32_e32 v5, v5
	v_ashrrev_i32_e32 v5, 31, v5
	v_and_b32_e32 v110, v110, v111
	v_xor_b32_e32 v111, vcc_hi, v5
	v_xor_b32_e32 v5, vcc_lo, v5
	v_and_b32_e32 v21, v21, v5
	v_lshlrev_b32_e32 v5, 28, v20
	v_cmp_gt_i64_e32 vcc, 0, v[4:5]
	v_not_b32_e32 v5, v5
	v_ashrrev_i32_e32 v5, 31, v5
	v_and_b32_e32 v110, v110, v111
	;; [unrolled: 8-line block ×5, first 2 shown]
	v_xor_b32_e32 v111, vcc_hi, v5
	v_xor_b32_e32 v5, vcc_lo, v5
	v_and_b32_e32 v110, v110, v111
	v_and_b32_e32 v111, v21, v5
	v_lshlrev_b32_e32 v5, 24, v20
	v_cmp_gt_i64_e32 vcc, 0, v[4:5]
	v_not_b32_e32 v5, v5
	v_ashrrev_i32_e32 v5, 31, v5
	v_xor_b32_e32 v20, vcc_hi, v5
	v_xor_b32_e32 v5, vcc_lo, v5
	v_and_b32_e32 v21, v110, v20
	v_and_b32_e32 v20, v111, v5
	v_mbcnt_lo_u32_b32 v5, v20, 0
	v_mbcnt_hi_u32_b32 v110, v21, v5
	v_cmp_eq_u32_e32 vcc, 0, v110
	v_cmp_ne_u64_e64 s[36:37], 0, v[20:21]
	s_and_b64 s[38:39], s[36:37], vcc
	; wave barrier
	s_and_saveexec_b64 s[36:37], s[38:39]
	s_cbranch_execz .LBB1740_94
; %bb.93:                               ;   in Loop: Header=BB1740_66 Depth=2
	v_bcnt_u32_b32 v5, v20, 0
	v_bcnt_u32_b32 v5, v21, v5
	s_waitcnt lgkmcnt(0)
	v_add_u32_e32 v5, v107, v5
	ds_write_b32 v108, v5
.LBB1740_94:                            ;   in Loop: Header=BB1740_66 Depth=2
	s_or_b64 exec, exec, s[36:37]
	s_waitcnt vmcnt(2)
	v_cmp_gt_i16_e32 vcc, 0, v109
	v_cndmask_b32_e64 v5, v66, 0, vcc
	v_xor_b32_e32 v109, v5, v109
	v_cmp_ne_u16_e32 vcc, s68, v109
	v_cndmask_b32_e32 v5, v66, v109, vcc
	v_lshrrev_b32_sdwa v5, s77, v5 dst_sel:DWORD dst_unused:UNUSED_PAD src0_sel:DWORD src1_sel:WORD_0
	v_and_b32_e32 v20, s78, v5
	v_mul_u32_u24_e32 v5, 5, v20
	v_add_lshl_u32 v5, v5, v92, 2
	; wave barrier
	v_add_u32_e32 v112, 0x410, v5
	ds_read_b32 v111, v5 offset:1040
	v_and_b32_e32 v5, 1, v20
	v_add_co_u32_e32 v21, vcc, -1, v5
	v_addc_co_u32_e64 v113, s[36:37], 0, -1, vcc
	v_cmp_ne_u32_e32 vcc, 0, v5
	v_xor_b32_e32 v5, vcc_hi, v113
	v_and_b32_e32 v113, exec_hi, v5
	v_lshlrev_b32_e32 v5, 30, v20
	v_xor_b32_e32 v21, vcc_lo, v21
	v_cmp_gt_i64_e32 vcc, 0, v[4:5]
	v_not_b32_e32 v5, v5
	v_ashrrev_i32_e32 v5, 31, v5
	v_and_b32_e32 v21, exec_lo, v21
	v_xor_b32_e32 v114, vcc_hi, v5
	v_xor_b32_e32 v5, vcc_lo, v5
	v_and_b32_e32 v21, v21, v5
	v_lshlrev_b32_e32 v5, 29, v20
	v_cmp_gt_i64_e32 vcc, 0, v[4:5]
	v_not_b32_e32 v5, v5
	v_ashrrev_i32_e32 v5, 31, v5
	v_and_b32_e32 v113, v113, v114
	v_xor_b32_e32 v114, vcc_hi, v5
	v_xor_b32_e32 v5, vcc_lo, v5
	v_and_b32_e32 v21, v21, v5
	v_lshlrev_b32_e32 v5, 28, v20
	v_cmp_gt_i64_e32 vcc, 0, v[4:5]
	v_not_b32_e32 v5, v5
	v_ashrrev_i32_e32 v5, 31, v5
	v_and_b32_e32 v113, v113, v114
	;; [unrolled: 8-line block ×5, first 2 shown]
	v_xor_b32_e32 v114, vcc_hi, v5
	v_xor_b32_e32 v5, vcc_lo, v5
	v_and_b32_e32 v113, v113, v114
	v_and_b32_e32 v114, v21, v5
	v_lshlrev_b32_e32 v5, 24, v20
	v_cmp_gt_i64_e32 vcc, 0, v[4:5]
	v_not_b32_e32 v5, v5
	v_ashrrev_i32_e32 v5, 31, v5
	v_xor_b32_e32 v20, vcc_hi, v5
	v_xor_b32_e32 v5, vcc_lo, v5
	v_and_b32_e32 v21, v113, v20
	v_and_b32_e32 v20, v114, v5
	v_mbcnt_lo_u32_b32 v5, v20, 0
	v_mbcnt_hi_u32_b32 v113, v21, v5
	v_cmp_eq_u32_e32 vcc, 0, v113
	v_cmp_ne_u64_e64 s[36:37], 0, v[20:21]
	s_and_b64 s[38:39], s[36:37], vcc
	; wave barrier
	s_and_saveexec_b64 s[36:37], s[38:39]
	s_cbranch_execz .LBB1740_96
; %bb.95:                               ;   in Loop: Header=BB1740_66 Depth=2
	v_bcnt_u32_b32 v5, v20, 0
	v_bcnt_u32_b32 v5, v21, v5
	s_waitcnt lgkmcnt(0)
	v_add_u32_e32 v5, v111, v5
	ds_write_b32 v112, v5
.LBB1740_96:                            ;   in Loop: Header=BB1740_66 Depth=2
	s_or_b64 exec, exec, s[36:37]
	s_waitcnt vmcnt(1)
	v_cmp_gt_i16_e32 vcc, 0, v104
	v_cndmask_b32_e64 v5, v66, 0, vcc
	v_xor_b32_e32 v104, v5, v104
	v_cmp_ne_u16_e32 vcc, s68, v104
	v_cndmask_b32_e32 v5, v66, v104, vcc
	v_lshrrev_b32_sdwa v5, s77, v5 dst_sel:DWORD dst_unused:UNUSED_PAD src0_sel:DWORD src1_sel:WORD_0
	v_and_b32_e32 v20, s78, v5
	v_mul_u32_u24_e32 v5, 5, v20
	v_add_lshl_u32 v5, v5, v92, 2
	; wave barrier
	v_add_u32_e32 v115, 0x410, v5
	ds_read_b32 v114, v5 offset:1040
	v_and_b32_e32 v5, 1, v20
	v_add_co_u32_e32 v21, vcc, -1, v5
	v_addc_co_u32_e64 v116, s[36:37], 0, -1, vcc
	v_cmp_ne_u32_e32 vcc, 0, v5
	v_xor_b32_e32 v5, vcc_hi, v116
	v_and_b32_e32 v116, exec_hi, v5
	v_lshlrev_b32_e32 v5, 30, v20
	v_xor_b32_e32 v21, vcc_lo, v21
	v_cmp_gt_i64_e32 vcc, 0, v[4:5]
	v_not_b32_e32 v5, v5
	v_ashrrev_i32_e32 v5, 31, v5
	v_and_b32_e32 v21, exec_lo, v21
	v_xor_b32_e32 v117, vcc_hi, v5
	v_xor_b32_e32 v5, vcc_lo, v5
	v_and_b32_e32 v21, v21, v5
	v_lshlrev_b32_e32 v5, 29, v20
	v_cmp_gt_i64_e32 vcc, 0, v[4:5]
	v_not_b32_e32 v5, v5
	v_ashrrev_i32_e32 v5, 31, v5
	v_and_b32_e32 v116, v116, v117
	v_xor_b32_e32 v117, vcc_hi, v5
	v_xor_b32_e32 v5, vcc_lo, v5
	v_and_b32_e32 v21, v21, v5
	v_lshlrev_b32_e32 v5, 28, v20
	v_cmp_gt_i64_e32 vcc, 0, v[4:5]
	v_not_b32_e32 v5, v5
	v_ashrrev_i32_e32 v5, 31, v5
	v_and_b32_e32 v116, v116, v117
	;; [unrolled: 8-line block ×5, first 2 shown]
	v_xor_b32_e32 v117, vcc_hi, v5
	v_xor_b32_e32 v5, vcc_lo, v5
	v_and_b32_e32 v116, v116, v117
	v_and_b32_e32 v117, v21, v5
	v_lshlrev_b32_e32 v5, 24, v20
	v_cmp_gt_i64_e32 vcc, 0, v[4:5]
	v_not_b32_e32 v5, v5
	v_ashrrev_i32_e32 v5, 31, v5
	v_xor_b32_e32 v20, vcc_hi, v5
	v_xor_b32_e32 v5, vcc_lo, v5
	v_and_b32_e32 v21, v116, v20
	v_and_b32_e32 v20, v117, v5
	v_mbcnt_lo_u32_b32 v5, v20, 0
	v_mbcnt_hi_u32_b32 v116, v21, v5
	v_cmp_eq_u32_e32 vcc, 0, v116
	v_cmp_ne_u64_e64 s[36:37], 0, v[20:21]
	s_and_b64 s[38:39], s[36:37], vcc
	; wave barrier
	s_and_saveexec_b64 s[36:37], s[38:39]
	s_cbranch_execz .LBB1740_98
; %bb.97:                               ;   in Loop: Header=BB1740_66 Depth=2
	v_bcnt_u32_b32 v5, v20, 0
	v_bcnt_u32_b32 v5, v21, v5
	s_waitcnt lgkmcnt(0)
	v_add_u32_e32 v5, v114, v5
	ds_write_b32 v115, v5
.LBB1740_98:                            ;   in Loop: Header=BB1740_66 Depth=2
	s_or_b64 exec, exec, s[36:37]
	s_waitcnt vmcnt(0)
	v_cmp_gt_i16_e32 vcc, 0, v22
	v_cndmask_b32_e64 v5, v66, 0, vcc
	v_xor_b32_e32 v117, v5, v22
	v_cmp_ne_u16_e32 vcc, s68, v117
	v_cndmask_b32_e32 v5, v66, v117, vcc
	v_lshrrev_b32_sdwa v5, s77, v5 dst_sel:DWORD dst_unused:UNUSED_PAD src0_sel:DWORD src1_sel:WORD_0
	v_and_b32_e32 v20, s78, v5
	v_mul_u32_u24_e32 v5, 5, v20
	v_add_lshl_u32 v5, v5, v92, 2
	; wave barrier
	v_add_u32_e32 v119, 0x410, v5
	ds_read_b32 v118, v5 offset:1040
	v_and_b32_e32 v5, 1, v20
	v_add_co_u32_e32 v21, vcc, -1, v5
	v_addc_co_u32_e64 v22, s[36:37], 0, -1, vcc
	v_cmp_ne_u32_e32 vcc, 0, v5
	v_xor_b32_e32 v5, vcc_hi, v22
	v_and_b32_e32 v22, exec_hi, v5
	v_lshlrev_b32_e32 v5, 30, v20
	v_xor_b32_e32 v21, vcc_lo, v21
	v_cmp_gt_i64_e32 vcc, 0, v[4:5]
	v_not_b32_e32 v5, v5
	v_ashrrev_i32_e32 v5, 31, v5
	v_and_b32_e32 v21, exec_lo, v21
	v_xor_b32_e32 v120, vcc_hi, v5
	v_xor_b32_e32 v5, vcc_lo, v5
	v_and_b32_e32 v21, v21, v5
	v_lshlrev_b32_e32 v5, 29, v20
	v_cmp_gt_i64_e32 vcc, 0, v[4:5]
	v_not_b32_e32 v5, v5
	v_ashrrev_i32_e32 v5, 31, v5
	v_and_b32_e32 v22, v22, v120
	v_xor_b32_e32 v120, vcc_hi, v5
	v_xor_b32_e32 v5, vcc_lo, v5
	v_and_b32_e32 v21, v21, v5
	v_lshlrev_b32_e32 v5, 28, v20
	v_cmp_gt_i64_e32 vcc, 0, v[4:5]
	v_not_b32_e32 v5, v5
	v_ashrrev_i32_e32 v5, 31, v5
	v_and_b32_e32 v22, v22, v120
	;; [unrolled: 8-line block ×5, first 2 shown]
	v_xor_b32_e32 v120, vcc_hi, v5
	v_xor_b32_e32 v5, vcc_lo, v5
	v_and_b32_e32 v22, v22, v120
	v_and_b32_e32 v120, v21, v5
	v_lshlrev_b32_e32 v5, 24, v20
	v_cmp_gt_i64_e32 vcc, 0, v[4:5]
	v_not_b32_e32 v5, v5
	v_ashrrev_i32_e32 v5, 31, v5
	v_xor_b32_e32 v20, vcc_hi, v5
	v_xor_b32_e32 v5, vcc_lo, v5
	v_and_b32_e32 v21, v22, v20
	v_and_b32_e32 v20, v120, v5
	v_mbcnt_lo_u32_b32 v5, v20, 0
	v_mbcnt_hi_u32_b32 v120, v21, v5
	v_cmp_eq_u32_e32 vcc, 0, v120
	v_cmp_ne_u64_e64 s[36:37], 0, v[20:21]
	s_and_b64 s[38:39], s[36:37], vcc
	; wave barrier
	s_and_saveexec_b64 s[36:37], s[38:39]
	s_cbranch_execz .LBB1740_100
; %bb.99:                               ;   in Loop: Header=BB1740_66 Depth=2
	v_bcnt_u32_b32 v5, v20, 0
	v_bcnt_u32_b32 v5, v21, v5
	s_waitcnt lgkmcnt(0)
	v_add_u32_e32 v5, v118, v5
	ds_write_b32 v119, v5
.LBB1740_100:                           ;   in Loop: Header=BB1740_66 Depth=2
	s_or_b64 exec, exec, s[36:37]
	v_cmp_gt_i16_e32 vcc, 0, v23
	v_cndmask_b32_e64 v5, v66, 0, vcc
	v_xor_b32_e32 v121, v5, v23
	v_cmp_ne_u16_e32 vcc, s68, v121
	v_cndmask_b32_e32 v5, v66, v121, vcc
	v_lshrrev_b32_sdwa v5, s77, v5 dst_sel:DWORD dst_unused:UNUSED_PAD src0_sel:DWORD src1_sel:WORD_0
	v_and_b32_e32 v20, s78, v5
	v_mul_u32_u24_e32 v5, 5, v20
	v_add_lshl_u32 v5, v5, v92, 2
	; wave barrier
	v_add_u32_e32 v123, 0x410, v5
	ds_read_b32 v122, v5 offset:1040
	v_and_b32_e32 v5, 1, v20
	v_add_co_u32_e32 v21, vcc, -1, v5
	v_addc_co_u32_e64 v22, s[36:37], 0, -1, vcc
	v_cmp_ne_u32_e32 vcc, 0, v5
	v_xor_b32_e32 v5, vcc_hi, v22
	v_and_b32_e32 v22, exec_hi, v5
	v_lshlrev_b32_e32 v5, 30, v20
	v_xor_b32_e32 v21, vcc_lo, v21
	v_cmp_gt_i64_e32 vcc, 0, v[4:5]
	v_not_b32_e32 v5, v5
	v_ashrrev_i32_e32 v5, 31, v5
	v_and_b32_e32 v21, exec_lo, v21
	v_xor_b32_e32 v23, vcc_hi, v5
	v_xor_b32_e32 v5, vcc_lo, v5
	v_and_b32_e32 v21, v21, v5
	v_lshlrev_b32_e32 v5, 29, v20
	v_cmp_gt_i64_e32 vcc, 0, v[4:5]
	v_not_b32_e32 v5, v5
	v_ashrrev_i32_e32 v5, 31, v5
	v_and_b32_e32 v22, v22, v23
	v_xor_b32_e32 v23, vcc_hi, v5
	v_xor_b32_e32 v5, vcc_lo, v5
	v_and_b32_e32 v21, v21, v5
	v_lshlrev_b32_e32 v5, 28, v20
	v_cmp_gt_i64_e32 vcc, 0, v[4:5]
	v_not_b32_e32 v5, v5
	v_ashrrev_i32_e32 v5, 31, v5
	v_and_b32_e32 v22, v22, v23
	;; [unrolled: 8-line block ×5, first 2 shown]
	v_xor_b32_e32 v23, vcc_hi, v5
	v_xor_b32_e32 v5, vcc_lo, v5
	v_and_b32_e32 v22, v22, v23
	v_and_b32_e32 v23, v21, v5
	v_lshlrev_b32_e32 v5, 24, v20
	v_cmp_gt_i64_e32 vcc, 0, v[4:5]
	v_not_b32_e32 v5, v5
	v_ashrrev_i32_e32 v5, 31, v5
	v_xor_b32_e32 v20, vcc_hi, v5
	v_xor_b32_e32 v5, vcc_lo, v5
	v_and_b32_e32 v21, v22, v20
	v_and_b32_e32 v20, v23, v5
	v_mbcnt_lo_u32_b32 v5, v20, 0
	v_mbcnt_hi_u32_b32 v124, v21, v5
	v_cmp_eq_u32_e32 vcc, 0, v124
	v_cmp_ne_u64_e64 s[36:37], 0, v[20:21]
	s_and_b64 s[38:39], s[36:37], vcc
	; wave barrier
	s_and_saveexec_b64 s[36:37], s[38:39]
	s_cbranch_execz .LBB1740_102
; %bb.101:                              ;   in Loop: Header=BB1740_66 Depth=2
	v_bcnt_u32_b32 v5, v20, 0
	v_bcnt_u32_b32 v5, v21, v5
	s_waitcnt lgkmcnt(0)
	v_add_u32_e32 v5, v122, v5
	ds_write_b32 v123, v5
.LBB1740_102:                           ;   in Loop: Header=BB1740_66 Depth=2
	s_or_b64 exec, exec, s[36:37]
	; wave barrier
	s_waitcnt lgkmcnt(0)
	s_barrier
	ds_read_b32 v5, v41 offset:1040
	ds_read2_b32 v[22:23], v43 offset0:1 offset1:2
	ds_read2_b32 v[20:21], v43 offset0:3 offset1:4
	s_waitcnt lgkmcnt(1)
	v_add3_u32 v125, v22, v5, v23
	s_waitcnt lgkmcnt(0)
	v_add3_u32 v21, v125, v20, v21
	s_nop 1
	v_mov_b32_dpp v125, v21 row_shr:1 row_mask:0xf bank_mask:0xf
	v_cndmask_b32_e64 v125, v125, 0, s[16:17]
	v_add_u32_e32 v21, v125, v21
	s_nop 1
	v_mov_b32_dpp v125, v21 row_shr:2 row_mask:0xf bank_mask:0xf
	v_cndmask_b32_e64 v125, 0, v125, s[18:19]
	v_add_u32_e32 v21, v21, v125
	;; [unrolled: 4-line block ×4, first 2 shown]
	s_nop 1
	v_mov_b32_dpp v125, v21 row_bcast:15 row_mask:0xf bank_mask:0xf
	v_cndmask_b32_e64 v125, v125, 0, s[24:25]
	v_add_u32_e32 v21, v21, v125
	s_nop 1
	v_mov_b32_dpp v125, v21 row_bcast:31 row_mask:0xf bank_mask:0xf
	v_cndmask_b32_e64 v125, 0, v125, s[26:27]
	v_add_u32_e32 v21, v21, v125
	s_and_saveexec_b64 s[36:37], s[6:7]
	s_cbranch_execz .LBB1740_104
; %bb.103:                              ;   in Loop: Header=BB1740_66 Depth=2
	ds_write_b32 v34, v21 offset:1024
.LBB1740_104:                           ;   in Loop: Header=BB1740_66 Depth=2
	s_or_b64 exec, exec, s[36:37]
	s_waitcnt lgkmcnt(0)
	s_barrier
	s_and_saveexec_b64 s[36:37], s[8:9]
	s_cbranch_execz .LBB1740_106
; %bb.105:                              ;   in Loop: Header=BB1740_66 Depth=2
	ds_read_b32 v125, v44 offset:1024
	s_waitcnt lgkmcnt(0)
	s_nop 0
	v_mov_b32_dpp v126, v125 row_shr:1 row_mask:0xf bank_mask:0xf
	v_cndmask_b32_e64 v126, v126, 0, s[30:31]
	v_add_u32_e32 v125, v126, v125
	s_nop 1
	v_mov_b32_dpp v126, v125 row_shr:2 row_mask:0xf bank_mask:0xf
	v_cndmask_b32_e64 v126, 0, v126, s[34:35]
	v_add_u32_e32 v125, v125, v126
	ds_write_b32 v44, v125 offset:1024
.LBB1740_106:                           ;   in Loop: Header=BB1740_66 Depth=2
	s_or_b64 exec, exec, s[36:37]
	v_mov_b32_e32 v125, 0
	s_waitcnt lgkmcnt(0)
	s_barrier
	s_and_saveexec_b64 s[36:37], s[10:11]
	s_cbranch_execz .LBB1740_108
; %bb.107:                              ;   in Loop: Header=BB1740_66 Depth=2
	ds_read_b32 v125, v34 offset:1020
.LBB1740_108:                           ;   in Loop: Header=BB1740_66 Depth=2
	s_or_b64 exec, exec, s[36:37]
	s_waitcnt lgkmcnt(0)
	v_add_u32_e32 v21, v125, v21
	ds_bpermute_b32 v21, v69, v21
	s_waitcnt lgkmcnt(0)
	v_cndmask_b32_e64 v21, v21, v125, s[28:29]
	v_cndmask_b32_e64 v21, v21, 0, s[12:13]
	v_add_u32_e32 v5, v21, v5
	ds_write_b32 v41, v21 offset:1040
	v_add_u32_e32 v21, v5, v22
	v_add_u32_e32 v22, v21, v23
	ds_write2_b32 v43, v5, v21 offset0:1 offset1:2
	v_add_u32_e32 v5, v22, v20
	ds_write2_b32 v43, v22, v5 offset0:3 offset1:4
	s_waitcnt lgkmcnt(0)
	s_barrier
	ds_read_b32 v20, v99
	ds_read_b32 v21, v103
	;; [unrolled: 1-line block ×8, first 2 shown]
	ds_read_b32 v99, v41 offset:1040
	v_mov_b32_e32 v5, 0x800
	s_and_saveexec_b64 s[36:37], s[14:15]
	s_cbranch_execz .LBB1740_110
; %bb.109:                              ;   in Loop: Header=BB1740_66 Depth=2
	ds_read_b32 v5, v41 offset:1060
.LBB1740_110:                           ;   in Loop: Header=BB1740_66 Depth=2
	s_or_b64 exec, exec, s[36:37]
	s_waitcnt lgkmcnt(0)
	s_barrier
	s_and_saveexec_b64 s[36:37], s[4:5]
	s_cbranch_execz .LBB1740_112
; %bb.111:                              ;   in Loop: Header=BB1740_66 Depth=2
	ds_read_b32 v103, v3
	s_waitcnt lgkmcnt(0)
	v_sub_u32_e32 v99, v103, v99
	ds_write_b32 v3, v99
.LBB1740_112:                           ;   in Loop: Header=BB1740_66 Depth=2
	s_or_b64 exec, exec, s[36:37]
	v_add_u32_e32 v103, v95, v96
	v_add3_u32 v100, v100, v98, v20
	v_lshlrev_b32_e32 v20, 1, v103
	v_add3_u32 v99, v105, v102, v21
	ds_write_b16 v20, v94 offset:1024
	v_lshlrev_b32_e32 v20, 1, v100
	v_add3_u32 v98, v110, v107, v22
	ds_write_b16 v20, v97 offset:1024
	;; [unrolled: 3-line block ×6, first 2 shown]
	v_lshlrev_b32_e32 v20, 1, v23
	ds_write_b16 v20, v117 offset:1024
	v_lshlrev_b32_e32 v20, 1, v22
	v_cmp_lt_u32_e32 vcc, v2, v93
	ds_write_b16 v20, v121 offset:1024
	s_waitcnt lgkmcnt(0)
	s_barrier
	s_and_saveexec_b64 s[38:39], vcc
	s_cbranch_execz .LBB1740_120
; %bb.113:                              ;   in Loop: Header=BB1740_66 Depth=2
	ds_read_u16 v20, v49 offset:1024
	v_mov_b32_e32 v21, v4
	v_mov_b32_e32 v97, s59
	s_waitcnt lgkmcnt(0)
	v_cmp_ne_u16_e64 s[36:37], s68, v20
	v_cndmask_b32_e64 v94, v66, v20, s[36:37]
	v_lshrrev_b32_sdwa v94, s77, v94 dst_sel:DWORD dst_unused:UNUSED_PAD src0_sel:DWORD src1_sel:WORD_0
	v_and_b32_e32 v94, s78, v94
	v_lshlrev_b32_e32 v94, 2, v94
	ds_read_b32 v94, v94
	v_cmp_gt_i16_e64 s[36:37], 0, v20
	v_cndmask_b32_e64 v101, v66, 0, s[36:37]
	v_xor_b32_e32 v101, v101, v20
	s_waitcnt lgkmcnt(0)
	v_add_u32_e32 v20, v94, v2
	v_lshlrev_b64 v[20:21], 1, v[20:21]
	v_add_co_u32_e64 v20, s[36:37], s58, v20
	v_addc_co_u32_e64 v21, s[36:37], v97, v21, s[36:37]
	global_store_short v[20:21], v101, off
	s_or_b64 exec, exec, s[38:39]
	v_cmp_lt_u32_e64 s[36:37], v24, v93
	s_and_saveexec_b64 s[40:41], s[36:37]
	s_cbranch_execnz .LBB1740_121
.LBB1740_114:                           ;   in Loop: Header=BB1740_66 Depth=2
	s_or_b64 exec, exec, s[40:41]
	v_cmp_lt_u32_e64 s[38:39], v25, v93
	s_and_saveexec_b64 s[42:43], s[38:39]
	s_cbranch_execz .LBB1740_122
.LBB1740_115:                           ;   in Loop: Header=BB1740_66 Depth=2
	ds_read_u16 v20, v50 offset:1024
	v_mov_b32_e32 v21, v4
	v_mov_b32_e32 v97, s59
	s_waitcnt lgkmcnt(0)
	v_cmp_ne_u16_e64 s[40:41], s68, v20
	v_cndmask_b32_e64 v94, v66, v20, s[40:41]
	v_lshrrev_b32_sdwa v94, s77, v94 dst_sel:DWORD dst_unused:UNUSED_PAD src0_sel:DWORD src1_sel:WORD_0
	v_and_b32_e32 v94, s78, v94
	v_lshlrev_b32_e32 v94, 2, v94
	ds_read_b32 v94, v94
	v_cmp_gt_i16_e64 s[40:41], 0, v20
	v_cndmask_b32_e64 v101, v66, 0, s[40:41]
	v_xor_b32_e32 v101, v101, v20
	s_waitcnt lgkmcnt(0)
	v_add_u32_e32 v20, v94, v25
	v_lshlrev_b64 v[20:21], 1, v[20:21]
	v_add_co_u32_e64 v20, s[40:41], s58, v20
	v_addc_co_u32_e64 v21, s[40:41], v97, v21, s[40:41]
	global_store_short v[20:21], v101, off
	s_or_b64 exec, exec, s[42:43]
	v_cmp_lt_u32_e64 s[40:41], v26, v93
	s_and_saveexec_b64 s[44:45], s[40:41]
	s_cbranch_execnz .LBB1740_123
.LBB1740_116:                           ;   in Loop: Header=BB1740_66 Depth=2
	s_or_b64 exec, exec, s[44:45]
	v_cmp_lt_u32_e64 s[42:43], v29, v93
	s_and_saveexec_b64 s[46:47], s[42:43]
	s_cbranch_execz .LBB1740_124
.LBB1740_117:                           ;   in Loop: Header=BB1740_66 Depth=2
	ds_read_u16 v20, v50 offset:2048
	v_mov_b32_e32 v21, v4
	v_mov_b32_e32 v97, s59
	s_waitcnt lgkmcnt(0)
	v_cmp_ne_u16_e64 s[44:45], s68, v20
	v_cndmask_b32_e64 v94, v66, v20, s[44:45]
	v_lshrrev_b32_sdwa v94, s77, v94 dst_sel:DWORD dst_unused:UNUSED_PAD src0_sel:DWORD src1_sel:WORD_0
	v_and_b32_e32 v94, s78, v94
	v_lshlrev_b32_e32 v94, 2, v94
	ds_read_b32 v94, v94
	v_cmp_gt_i16_e64 s[44:45], 0, v20
	v_cndmask_b32_e64 v101, v66, 0, s[44:45]
	v_xor_b32_e32 v101, v101, v20
	s_waitcnt lgkmcnt(0)
	v_add_u32_e32 v20, v94, v29
	v_lshlrev_b64 v[20:21], 1, v[20:21]
	v_add_co_u32_e64 v20, s[44:45], s58, v20
	v_addc_co_u32_e64 v21, s[44:45], v97, v21, s[44:45]
	global_store_short v[20:21], v101, off
	s_or_b64 exec, exec, s[46:47]
	v_cmp_lt_u32_e64 s[44:45], v30, v93
	s_and_saveexec_b64 s[48:49], s[44:45]
	s_cbranch_execnz .LBB1740_125
.LBB1740_118:                           ;   in Loop: Header=BB1740_66 Depth=2
	s_or_b64 exec, exec, s[48:49]
	v_cmp_lt_u32_e64 s[46:47], v31, v93
	s_and_saveexec_b64 s[52:53], s[46:47]
	s_cbranch_execz .LBB1740_126
.LBB1740_119:                           ;   in Loop: Header=BB1740_66 Depth=2
	ds_read_u16 v20, v50 offset:3072
	v_mov_b32_e32 v21, v4
	v_mov_b32_e32 v97, s59
	s_waitcnt lgkmcnt(0)
	v_cmp_ne_u16_e64 s[48:49], s68, v20
	v_cndmask_b32_e64 v94, v66, v20, s[48:49]
	v_lshrrev_b32_sdwa v94, s77, v94 dst_sel:DWORD dst_unused:UNUSED_PAD src0_sel:DWORD src1_sel:WORD_0
	v_and_b32_e32 v94, s78, v94
	v_lshlrev_b32_e32 v94, 2, v94
	ds_read_b32 v94, v94
	v_cmp_gt_i16_e64 s[48:49], 0, v20
	v_cndmask_b32_e64 v101, v66, 0, s[48:49]
	v_xor_b32_e32 v101, v101, v20
	s_waitcnt lgkmcnt(0)
	v_add_u32_e32 v20, v94, v31
	v_lshlrev_b64 v[20:21], 1, v[20:21]
	v_add_co_u32_e64 v20, s[48:49], s58, v20
	v_addc_co_u32_e64 v21, s[48:49], v97, v21, s[48:49]
	global_store_short v[20:21], v101, off
	s_or_b64 exec, exec, s[52:53]
	v_cmp_lt_u32_e64 s[48:49], v32, v93
	s_and_saveexec_b64 s[62:63], s[48:49]
	s_cbranch_execnz .LBB1740_127
	s_branch .LBB1740_128
.LBB1740_120:                           ;   in Loop: Header=BB1740_66 Depth=2
	s_or_b64 exec, exec, s[38:39]
	v_cmp_lt_u32_e64 s[36:37], v24, v93
	s_and_saveexec_b64 s[40:41], s[36:37]
	s_cbranch_execz .LBB1740_114
.LBB1740_121:                           ;   in Loop: Header=BB1740_66 Depth=2
	ds_read_u16 v20, v50 offset:512
	v_mov_b32_e32 v21, v4
	v_mov_b32_e32 v97, s59
	s_waitcnt lgkmcnt(0)
	v_cmp_ne_u16_e64 s[38:39], s68, v20
	v_cndmask_b32_e64 v94, v66, v20, s[38:39]
	v_lshrrev_b32_sdwa v94, s77, v94 dst_sel:DWORD dst_unused:UNUSED_PAD src0_sel:DWORD src1_sel:WORD_0
	v_and_b32_e32 v94, s78, v94
	v_lshlrev_b32_e32 v94, 2, v94
	ds_read_b32 v94, v94
	v_cmp_gt_i16_e64 s[38:39], 0, v20
	v_cndmask_b32_e64 v101, v66, 0, s[38:39]
	v_xor_b32_e32 v101, v101, v20
	s_waitcnt lgkmcnt(0)
	v_add_u32_e32 v20, v94, v24
	v_lshlrev_b64 v[20:21], 1, v[20:21]
	v_add_co_u32_e64 v20, s[38:39], s58, v20
	v_addc_co_u32_e64 v21, s[38:39], v97, v21, s[38:39]
	global_store_short v[20:21], v101, off
	s_or_b64 exec, exec, s[40:41]
	v_cmp_lt_u32_e64 s[38:39], v25, v93
	s_and_saveexec_b64 s[42:43], s[38:39]
	s_cbranch_execnz .LBB1740_115
.LBB1740_122:                           ;   in Loop: Header=BB1740_66 Depth=2
	s_or_b64 exec, exec, s[42:43]
	v_cmp_lt_u32_e64 s[40:41], v26, v93
	s_and_saveexec_b64 s[44:45], s[40:41]
	s_cbranch_execz .LBB1740_116
.LBB1740_123:                           ;   in Loop: Header=BB1740_66 Depth=2
	ds_read_u16 v20, v50 offset:1536
	v_mov_b32_e32 v21, v4
	v_mov_b32_e32 v97, s59
	s_waitcnt lgkmcnt(0)
	v_cmp_ne_u16_e64 s[42:43], s68, v20
	v_cndmask_b32_e64 v94, v66, v20, s[42:43]
	v_lshrrev_b32_sdwa v94, s77, v94 dst_sel:DWORD dst_unused:UNUSED_PAD src0_sel:DWORD src1_sel:WORD_0
	v_and_b32_e32 v94, s78, v94
	v_lshlrev_b32_e32 v94, 2, v94
	ds_read_b32 v94, v94
	v_cmp_gt_i16_e64 s[42:43], 0, v20
	v_cndmask_b32_e64 v101, v66, 0, s[42:43]
	v_xor_b32_e32 v101, v101, v20
	s_waitcnt lgkmcnt(0)
	v_add_u32_e32 v20, v94, v26
	v_lshlrev_b64 v[20:21], 1, v[20:21]
	v_add_co_u32_e64 v20, s[42:43], s58, v20
	v_addc_co_u32_e64 v21, s[42:43], v97, v21, s[42:43]
	global_store_short v[20:21], v101, off
	s_or_b64 exec, exec, s[44:45]
	v_cmp_lt_u32_e64 s[42:43], v29, v93
	s_and_saveexec_b64 s[46:47], s[42:43]
	s_cbranch_execnz .LBB1740_117
.LBB1740_124:                           ;   in Loop: Header=BB1740_66 Depth=2
	s_or_b64 exec, exec, s[46:47]
	v_cmp_lt_u32_e64 s[44:45], v30, v93
	s_and_saveexec_b64 s[48:49], s[44:45]
	s_cbranch_execz .LBB1740_118
.LBB1740_125:                           ;   in Loop: Header=BB1740_66 Depth=2
	ds_read_u16 v20, v50 offset:2560
	v_mov_b32_e32 v21, v4
	v_mov_b32_e32 v97, s59
	s_waitcnt lgkmcnt(0)
	v_cmp_ne_u16_e64 s[46:47], s68, v20
	v_cndmask_b32_e64 v94, v66, v20, s[46:47]
	v_lshrrev_b32_sdwa v94, s77, v94 dst_sel:DWORD dst_unused:UNUSED_PAD src0_sel:DWORD src1_sel:WORD_0
	v_and_b32_e32 v94, s78, v94
	v_lshlrev_b32_e32 v94, 2, v94
	ds_read_b32 v94, v94
	v_cmp_gt_i16_e64 s[46:47], 0, v20
	v_cndmask_b32_e64 v101, v66, 0, s[46:47]
	v_xor_b32_e32 v101, v101, v20
	s_waitcnt lgkmcnt(0)
	v_add_u32_e32 v20, v94, v30
	v_lshlrev_b64 v[20:21], 1, v[20:21]
	v_add_co_u32_e64 v20, s[46:47], s58, v20
	v_addc_co_u32_e64 v21, s[46:47], v97, v21, s[46:47]
	global_store_short v[20:21], v101, off
	s_or_b64 exec, exec, s[48:49]
	v_cmp_lt_u32_e64 s[46:47], v31, v93
	s_and_saveexec_b64 s[52:53], s[46:47]
	s_cbranch_execnz .LBB1740_119
.LBB1740_126:                           ;   in Loop: Header=BB1740_66 Depth=2
	s_or_b64 exec, exec, s[52:53]
	v_cmp_lt_u32_e64 s[48:49], v32, v93
	s_and_saveexec_b64 s[62:63], s[48:49]
	s_cbranch_execz .LBB1740_128
.LBB1740_127:                           ;   in Loop: Header=BB1740_66 Depth=2
	ds_read_u16 v20, v50 offset:3584
	v_mov_b32_e32 v21, v4
	v_mov_b32_e32 v97, s59
	s_waitcnt lgkmcnt(0)
	v_cmp_ne_u16_e64 s[52:53], s68, v20
	v_cndmask_b32_e64 v94, v66, v20, s[52:53]
	v_lshrrev_b32_sdwa v94, s77, v94 dst_sel:DWORD dst_unused:UNUSED_PAD src0_sel:DWORD src1_sel:WORD_0
	v_and_b32_e32 v94, s78, v94
	v_lshlrev_b32_e32 v94, 2, v94
	ds_read_b32 v94, v94
	v_cmp_gt_i16_e64 s[52:53], 0, v20
	v_cndmask_b32_e64 v101, v66, 0, s[52:53]
	v_xor_b32_e32 v101, v101, v20
	s_waitcnt lgkmcnt(0)
	v_add_u32_e32 v20, v94, v32
	v_lshlrev_b64 v[20:21], 1, v[20:21]
	v_add_co_u32_e64 v20, s[52:53], s58, v20
	v_addc_co_u32_e64 v21, s[52:53], v97, v21, s[52:53]
	global_store_short v[20:21], v101, off
.LBB1740_128:                           ;   in Loop: Header=BB1740_66 Depth=2
	s_or_b64 exec, exec, s[62:63]
	s_lshl_b64 s[52:53], s[72:73], 3
	v_mov_b32_e32 v21, s53
	v_add_co_u32_e64 v20, s[52:53], s52, v77
	v_addc_co_u32_e64 v21, s[52:53], v79, v21, s[52:53]
	v_cmp_lt_u32_e64 s[52:53], v74, v93
	s_and_saveexec_b64 s[62:63], s[52:53]
	s_xor_b64 s[52:53], exec, s[62:63]
	s_cbranch_execz .LBB1740_144
; %bb.129:                              ;   in Loop: Header=BB1740_66 Depth=2
	global_load_dwordx2 v[18:19], v[20:21], off
	s_or_b64 exec, exec, s[52:53]
	v_cmp_lt_u32_e64 s[52:53], v81, v93
	s_and_saveexec_b64 s[62:63], s[52:53]
	s_cbranch_execnz .LBB1740_145
.LBB1740_130:                           ;   in Loop: Header=BB1740_66 Depth=2
	s_or_b64 exec, exec, s[62:63]
	v_cmp_lt_u32_e64 s[52:53], v82, v93
	s_and_saveexec_b64 s[62:63], s[52:53]
	s_cbranch_execz .LBB1740_146
.LBB1740_131:                           ;   in Loop: Header=BB1740_66 Depth=2
	global_load_dwordx2 v[14:15], v[20:21], off offset:1024
	s_or_b64 exec, exec, s[62:63]
	v_cmp_lt_u32_e64 s[52:53], v83, v93
	s_and_saveexec_b64 s[62:63], s[52:53]
	s_cbranch_execnz .LBB1740_147
.LBB1740_132:                           ;   in Loop: Header=BB1740_66 Depth=2
	s_or_b64 exec, exec, s[62:63]
	v_cmp_lt_u32_e64 s[52:53], v84, v93
	s_and_saveexec_b64 s[62:63], s[52:53]
	s_cbranch_execz .LBB1740_148
.LBB1740_133:                           ;   in Loop: Header=BB1740_66 Depth=2
	global_load_dwordx2 v[10:11], v[20:21], off offset:2048
	s_or_b64 exec, exec, s[62:63]
	v_cmp_lt_u32_e64 s[52:53], v85, v93
	s_and_saveexec_b64 s[62:63], s[52:53]
	s_cbranch_execnz .LBB1740_149
.LBB1740_134:                           ;   in Loop: Header=BB1740_66 Depth=2
	s_or_b64 exec, exec, s[62:63]
	v_cmp_lt_u32_e64 s[52:53], v86, v93
	s_and_saveexec_b64 s[62:63], s[52:53]
	s_cbranch_execz .LBB1740_150
.LBB1740_135:                           ;   in Loop: Header=BB1740_66 Depth=2
	global_load_dwordx2 v[6:7], v[20:21], off offset:3072
	s_or_b64 exec, exec, s[62:63]
	v_cmp_lt_u32_e64 s[52:53], v87, v93
	s_and_saveexec_b64 s[62:63], s[52:53]
	s_cbranch_execnz .LBB1740_151
.LBB1740_136:                           ;   in Loop: Header=BB1740_66 Depth=2
	s_or_b64 exec, exec, s[62:63]
	s_and_saveexec_b64 s[62:63], vcc
	s_cbranch_execz .LBB1740_152
.LBB1740_137:                           ;   in Loop: Header=BB1740_66 Depth=2
	ds_read_u16 v20, v49 offset:1024
	s_waitcnt lgkmcnt(0)
	v_cmp_ne_u16_e64 s[52:53], s68, v20
	v_cndmask_b32_e64 v20, v66, v20, s[52:53]
	v_lshrrev_b32_sdwa v20, s77, v20 dst_sel:DWORD dst_unused:UNUSED_PAD src0_sel:DWORD src1_sel:WORD_0
	v_and_b32_e32 v80, s78, v20
	s_or_b64 exec, exec, s[62:63]
	s_and_saveexec_b64 s[62:63], s[36:37]
	s_cbranch_execnz .LBB1740_153
.LBB1740_138:                           ;   in Loop: Header=BB1740_66 Depth=2
	s_or_b64 exec, exec, s[62:63]
	s_and_saveexec_b64 s[62:63], s[38:39]
	s_cbranch_execz .LBB1740_154
.LBB1740_139:                           ;   in Loop: Header=BB1740_66 Depth=2
	ds_read_u16 v20, v50 offset:1024
	s_waitcnt lgkmcnt(0)
	v_cmp_ne_u16_e64 s[52:53], s68, v20
	v_cndmask_b32_e64 v20, v66, v20, s[52:53]
	v_lshrrev_b32_sdwa v20, s77, v20 dst_sel:DWORD dst_unused:UNUSED_PAD src0_sel:DWORD src1_sel:WORD_0
	v_and_b32_e32 v76, s78, v20
	s_or_b64 exec, exec, s[62:63]
	s_and_saveexec_b64 s[62:63], s[40:41]
	s_cbranch_execnz .LBB1740_155
.LBB1740_140:                           ;   in Loop: Header=BB1740_66 Depth=2
	s_or_b64 exec, exec, s[62:63]
	s_and_saveexec_b64 s[62:63], s[42:43]
	s_cbranch_execz .LBB1740_156
.LBB1740_141:                           ;   in Loop: Header=BB1740_66 Depth=2
	ds_read_u16 v20, v50 offset:2048
	s_waitcnt lgkmcnt(0)
	v_cmp_ne_u16_e64 s[52:53], s68, v20
	v_cndmask_b32_e64 v20, v66, v20, s[52:53]
	v_lshrrev_b32_sdwa v20, s77, v20 dst_sel:DWORD dst_unused:UNUSED_PAD src0_sel:DWORD src1_sel:WORD_0
	v_and_b32_e32 v73, s78, v20
	s_or_b64 exec, exec, s[62:63]
	s_and_saveexec_b64 s[62:63], s[44:45]
	s_cbranch_execnz .LBB1740_157
.LBB1740_142:                           ;   in Loop: Header=BB1740_66 Depth=2
	s_or_b64 exec, exec, s[62:63]
	s_and_saveexec_b64 s[62:63], s[46:47]
	s_cbranch_execz .LBB1740_158
.LBB1740_143:                           ;   in Loop: Header=BB1740_66 Depth=2
	ds_read_u16 v20, v50 offset:3072
	s_waitcnt lgkmcnt(0)
	v_cmp_ne_u16_e64 s[52:53], s68, v20
	v_cndmask_b32_e64 v20, v66, v20, s[52:53]
	v_lshrrev_b32_sdwa v20, s77, v20 dst_sel:DWORD dst_unused:UNUSED_PAD src0_sel:DWORD src1_sel:WORD_0
	v_and_b32_e32 v71, s78, v20
	s_or_b64 exec, exec, s[62:63]
	s_and_saveexec_b64 s[62:63], s[48:49]
	s_cbranch_execnz .LBB1740_159
	s_branch .LBB1740_160
.LBB1740_144:                           ;   in Loop: Header=BB1740_66 Depth=2
	s_or_b64 exec, exec, s[52:53]
	v_cmp_lt_u32_e64 s[52:53], v81, v93
	s_and_saveexec_b64 s[62:63], s[52:53]
	s_cbranch_execz .LBB1740_130
.LBB1740_145:                           ;   in Loop: Header=BB1740_66 Depth=2
	global_load_dwordx2 v[16:17], v[20:21], off offset:512
	s_or_b64 exec, exec, s[62:63]
	v_cmp_lt_u32_e64 s[52:53], v82, v93
	s_and_saveexec_b64 s[62:63], s[52:53]
	s_cbranch_execnz .LBB1740_131
.LBB1740_146:                           ;   in Loop: Header=BB1740_66 Depth=2
	s_or_b64 exec, exec, s[62:63]
	v_cmp_lt_u32_e64 s[52:53], v83, v93
	s_and_saveexec_b64 s[62:63], s[52:53]
	s_cbranch_execz .LBB1740_132
.LBB1740_147:                           ;   in Loop: Header=BB1740_66 Depth=2
	global_load_dwordx2 v[12:13], v[20:21], off offset:1536
	s_or_b64 exec, exec, s[62:63]
	v_cmp_lt_u32_e64 s[52:53], v84, v93
	s_and_saveexec_b64 s[62:63], s[52:53]
	s_cbranch_execnz .LBB1740_133
.LBB1740_148:                           ;   in Loop: Header=BB1740_66 Depth=2
	s_or_b64 exec, exec, s[62:63]
	v_cmp_lt_u32_e64 s[52:53], v85, v93
	s_and_saveexec_b64 s[62:63], s[52:53]
	s_cbranch_execz .LBB1740_134
.LBB1740_149:                           ;   in Loop: Header=BB1740_66 Depth=2
	global_load_dwordx2 v[8:9], v[20:21], off offset:2560
	s_or_b64 exec, exec, s[62:63]
	v_cmp_lt_u32_e64 s[52:53], v86, v93
	s_and_saveexec_b64 s[62:63], s[52:53]
	s_cbranch_execnz .LBB1740_135
.LBB1740_150:                           ;   in Loop: Header=BB1740_66 Depth=2
	s_or_b64 exec, exec, s[62:63]
	v_cmp_lt_u32_e64 s[52:53], v87, v93
	s_and_saveexec_b64 s[62:63], s[52:53]
	s_cbranch_execz .LBB1740_136
.LBB1740_151:                           ;   in Loop: Header=BB1740_66 Depth=2
	global_load_dwordx2 v[0:1], v[20:21], off offset:3584
	s_or_b64 exec, exec, s[62:63]
	s_and_saveexec_b64 s[62:63], vcc
	s_cbranch_execnz .LBB1740_137
.LBB1740_152:                           ;   in Loop: Header=BB1740_66 Depth=2
	s_or_b64 exec, exec, s[62:63]
	s_and_saveexec_b64 s[62:63], s[36:37]
	s_cbranch_execz .LBB1740_138
.LBB1740_153:                           ;   in Loop: Header=BB1740_66 Depth=2
	ds_read_u16 v20, v50 offset:512
	s_waitcnt lgkmcnt(0)
	v_cmp_ne_u16_e64 s[52:53], s68, v20
	v_cndmask_b32_e64 v20, v66, v20, s[52:53]
	v_lshrrev_b32_sdwa v20, s77, v20 dst_sel:DWORD dst_unused:UNUSED_PAD src0_sel:DWORD src1_sel:WORD_0
	v_and_b32_e32 v78, s78, v20
	s_or_b64 exec, exec, s[62:63]
	s_and_saveexec_b64 s[62:63], s[38:39]
	s_cbranch_execnz .LBB1740_139
.LBB1740_154:                           ;   in Loop: Header=BB1740_66 Depth=2
	s_or_b64 exec, exec, s[62:63]
	s_and_saveexec_b64 s[62:63], s[40:41]
	s_cbranch_execz .LBB1740_140
.LBB1740_155:                           ;   in Loop: Header=BB1740_66 Depth=2
	ds_read_u16 v20, v50 offset:1536
	s_waitcnt lgkmcnt(0)
	v_cmp_ne_u16_e64 s[52:53], s68, v20
	v_cndmask_b32_e64 v20, v66, v20, s[52:53]
	v_lshrrev_b32_sdwa v20, s77, v20 dst_sel:DWORD dst_unused:UNUSED_PAD src0_sel:DWORD src1_sel:WORD_0
	v_and_b32_e32 v75, s78, v20
	s_or_b64 exec, exec, s[62:63]
	s_and_saveexec_b64 s[62:63], s[42:43]
	s_cbranch_execnz .LBB1740_141
.LBB1740_156:                           ;   in Loop: Header=BB1740_66 Depth=2
	s_or_b64 exec, exec, s[62:63]
	s_and_saveexec_b64 s[62:63], s[44:45]
	s_cbranch_execz .LBB1740_142
.LBB1740_157:                           ;   in Loop: Header=BB1740_66 Depth=2
	ds_read_u16 v20, v50 offset:2560
	s_waitcnt lgkmcnt(0)
	v_cmp_ne_u16_e64 s[52:53], s68, v20
	v_cndmask_b32_e64 v20, v66, v20, s[52:53]
	v_lshrrev_b32_sdwa v20, s77, v20 dst_sel:DWORD dst_unused:UNUSED_PAD src0_sel:DWORD src1_sel:WORD_0
	v_and_b32_e32 v72, s78, v20
	s_or_b64 exec, exec, s[62:63]
	s_and_saveexec_b64 s[62:63], s[46:47]
	s_cbranch_execnz .LBB1740_143
.LBB1740_158:                           ;   in Loop: Header=BB1740_66 Depth=2
	s_or_b64 exec, exec, s[62:63]
	s_and_saveexec_b64 s[62:63], s[48:49]
	s_cbranch_execz .LBB1740_160
.LBB1740_159:                           ;   in Loop: Header=BB1740_66 Depth=2
	ds_read_u16 v20, v50 offset:3584
	s_waitcnt lgkmcnt(0)
	v_cmp_ne_u16_e64 s[52:53], s68, v20
	v_cndmask_b32_e64 v20, v66, v20, s[52:53]
	v_lshrrev_b32_sdwa v20, s77, v20 dst_sel:DWORD dst_unused:UNUSED_PAD src0_sel:DWORD src1_sel:WORD_0
	v_and_b32_e32 v70, s78, v20
.LBB1740_160:                           ;   in Loop: Header=BB1740_66 Depth=2
	s_or_b64 exec, exec, s[62:63]
	v_lshlrev_b32_e32 v20, 3, v103
	s_barrier
	s_waitcnt vmcnt(0)
	ds_write_b64 v20, v[18:19] offset:1024
	v_lshlrev_b32_e32 v20, 3, v100
	ds_write_b64 v20, v[16:17] offset:1024
	v_lshlrev_b32_e32 v20, 3, v99
	;; [unrolled: 2-line block ×7, first 2 shown]
	ds_write_b64 v20, v[0:1] offset:1024
	s_waitcnt lgkmcnt(0)
	s_barrier
	s_and_saveexec_b64 s[52:53], vcc
	s_cbranch_execz .LBB1740_168
; %bb.161:                              ;   in Loop: Header=BB1740_66 Depth=2
	v_lshlrev_b32_e32 v20, 2, v80
	ds_read_b32 v20, v20
	v_add_u32_e32 v22, v49, v51
	ds_read_b64 v[22:23], v22 offset:1024
	v_mov_b32_e32 v21, v4
	v_mov_b32_e32 v93, s65
	s_waitcnt lgkmcnt(1)
	v_add_u32_e32 v20, v20, v2
	v_lshlrev_b64 v[20:21], 3, v[20:21]
	v_add_co_u32_e32 v20, vcc, s64, v20
	v_addc_co_u32_e32 v21, vcc, v93, v21, vcc
	s_waitcnt lgkmcnt(0)
	global_store_dwordx2 v[20:21], v[22:23], off
	s_or_b64 exec, exec, s[52:53]
	s_and_saveexec_b64 s[52:53], s[36:37]
	s_cbranch_execnz .LBB1740_169
.LBB1740_162:                           ;   in Loop: Header=BB1740_66 Depth=2
	s_or_b64 exec, exec, s[52:53]
	s_and_saveexec_b64 s[36:37], s[38:39]
	s_cbranch_execz .LBB1740_170
.LBB1740_163:                           ;   in Loop: Header=BB1740_66 Depth=2
	v_lshlrev_b32_e32 v20, 2, v76
	ds_read_b32 v22, v20
	v_add_u32_e32 v20, v50, v51
	ds_read_b64 v[20:21], v20 offset:4096
	v_mov_b32_e32 v23, v4
	v_mov_b32_e32 v93, s65
	s_waitcnt lgkmcnt(1)
	v_add_u32_e32 v22, v22, v25
	v_lshlrev_b64 v[22:23], 3, v[22:23]
	v_add_co_u32_e32 v22, vcc, s64, v22
	v_addc_co_u32_e32 v23, vcc, v93, v23, vcc
	s_waitcnt lgkmcnt(0)
	global_store_dwordx2 v[22:23], v[20:21], off
	s_or_b64 exec, exec, s[36:37]
	s_and_saveexec_b64 s[36:37], s[40:41]
	s_cbranch_execnz .LBB1740_171
.LBB1740_164:                           ;   in Loop: Header=BB1740_66 Depth=2
	s_or_b64 exec, exec, s[36:37]
	s_and_saveexec_b64 s[36:37], s[42:43]
	s_cbranch_execz .LBB1740_172
.LBB1740_165:                           ;   in Loop: Header=BB1740_66 Depth=2
	v_lshlrev_b32_e32 v20, 2, v73
	ds_read_b32 v22, v20
	v_add_u32_e32 v20, v50, v51
	ds_read_b64 v[20:21], v20 offset:8192
	v_mov_b32_e32 v23, v4
	v_mov_b32_e32 v93, s65
	s_waitcnt lgkmcnt(1)
	v_add_u32_e32 v22, v22, v29
	v_lshlrev_b64 v[22:23], 3, v[22:23]
	v_add_co_u32_e32 v22, vcc, s64, v22
	v_addc_co_u32_e32 v23, vcc, v93, v23, vcc
	s_waitcnt lgkmcnt(0)
	global_store_dwordx2 v[22:23], v[20:21], off
	s_or_b64 exec, exec, s[36:37]
	s_and_saveexec_b64 s[36:37], s[44:45]
	s_cbranch_execnz .LBB1740_173
.LBB1740_166:                           ;   in Loop: Header=BB1740_66 Depth=2
	s_or_b64 exec, exec, s[36:37]
	s_and_saveexec_b64 s[36:37], s[46:47]
	s_cbranch_execz .LBB1740_174
.LBB1740_167:                           ;   in Loop: Header=BB1740_66 Depth=2
	v_lshlrev_b32_e32 v20, 2, v71
	ds_read_b32 v22, v20
	v_add_u32_e32 v20, v50, v51
	ds_read_b64 v[20:21], v20 offset:12288
	v_mov_b32_e32 v23, v4
	v_mov_b32_e32 v93, s65
	s_waitcnt lgkmcnt(1)
	v_add_u32_e32 v22, v22, v31
	v_lshlrev_b64 v[22:23], 3, v[22:23]
	v_add_co_u32_e32 v22, vcc, s64, v22
	v_addc_co_u32_e32 v23, vcc, v93, v23, vcc
	s_waitcnt lgkmcnt(0)
	global_store_dwordx2 v[22:23], v[20:21], off
	s_or_b64 exec, exec, s[36:37]
	s_and_saveexec_b64 s[36:37], s[48:49]
	s_cbranch_execnz .LBB1740_175
	s_branch .LBB1740_176
.LBB1740_168:                           ;   in Loop: Header=BB1740_66 Depth=2
	s_or_b64 exec, exec, s[52:53]
	s_and_saveexec_b64 s[52:53], s[36:37]
	s_cbranch_execz .LBB1740_162
.LBB1740_169:                           ;   in Loop: Header=BB1740_66 Depth=2
	v_lshlrev_b32_e32 v20, 2, v78
	ds_read_b32 v22, v20
	v_add_u32_e32 v20, v50, v51
	ds_read_b64 v[20:21], v20 offset:2048
	v_mov_b32_e32 v23, v4
	v_mov_b32_e32 v93, s65
	s_waitcnt lgkmcnt(1)
	v_add_u32_e32 v22, v22, v24
	v_lshlrev_b64 v[22:23], 3, v[22:23]
	v_add_co_u32_e32 v22, vcc, s64, v22
	v_addc_co_u32_e32 v23, vcc, v93, v23, vcc
	s_waitcnt lgkmcnt(0)
	global_store_dwordx2 v[22:23], v[20:21], off
	s_or_b64 exec, exec, s[52:53]
	s_and_saveexec_b64 s[36:37], s[38:39]
	s_cbranch_execnz .LBB1740_163
.LBB1740_170:                           ;   in Loop: Header=BB1740_66 Depth=2
	s_or_b64 exec, exec, s[36:37]
	s_and_saveexec_b64 s[36:37], s[40:41]
	s_cbranch_execz .LBB1740_164
.LBB1740_171:                           ;   in Loop: Header=BB1740_66 Depth=2
	v_lshlrev_b32_e32 v20, 2, v75
	ds_read_b32 v22, v20
	v_add_u32_e32 v20, v50, v51
	ds_read_b64 v[20:21], v20 offset:6144
	v_mov_b32_e32 v23, v4
	v_mov_b32_e32 v93, s65
	s_waitcnt lgkmcnt(1)
	v_add_u32_e32 v22, v22, v26
	v_lshlrev_b64 v[22:23], 3, v[22:23]
	v_add_co_u32_e32 v22, vcc, s64, v22
	v_addc_co_u32_e32 v23, vcc, v93, v23, vcc
	s_waitcnt lgkmcnt(0)
	global_store_dwordx2 v[22:23], v[20:21], off
	s_or_b64 exec, exec, s[36:37]
	s_and_saveexec_b64 s[36:37], s[42:43]
	s_cbranch_execnz .LBB1740_165
.LBB1740_172:                           ;   in Loop: Header=BB1740_66 Depth=2
	s_or_b64 exec, exec, s[36:37]
	s_and_saveexec_b64 s[36:37], s[44:45]
	s_cbranch_execz .LBB1740_166
.LBB1740_173:                           ;   in Loop: Header=BB1740_66 Depth=2
	v_lshlrev_b32_e32 v20, 2, v72
	ds_read_b32 v22, v20
	v_add_u32_e32 v20, v50, v51
	ds_read_b64 v[20:21], v20 offset:10240
	v_mov_b32_e32 v23, v4
	v_mov_b32_e32 v93, s65
	s_waitcnt lgkmcnt(1)
	v_add_u32_e32 v22, v22, v30
	v_lshlrev_b64 v[22:23], 3, v[22:23]
	v_add_co_u32_e32 v22, vcc, s64, v22
	v_addc_co_u32_e32 v23, vcc, v93, v23, vcc
	s_waitcnt lgkmcnt(0)
	global_store_dwordx2 v[22:23], v[20:21], off
	s_or_b64 exec, exec, s[36:37]
	s_and_saveexec_b64 s[36:37], s[46:47]
	s_cbranch_execnz .LBB1740_167
.LBB1740_174:                           ;   in Loop: Header=BB1740_66 Depth=2
	s_or_b64 exec, exec, s[36:37]
	s_and_saveexec_b64 s[36:37], s[48:49]
	s_cbranch_execz .LBB1740_176
.LBB1740_175:                           ;   in Loop: Header=BB1740_66 Depth=2
	v_lshlrev_b32_e32 v20, 2, v70
	ds_read_b32 v22, v20
	v_add_u32_e32 v20, v50, v51
	ds_read_b64 v[20:21], v20 offset:14336
	v_mov_b32_e32 v23, v4
	v_mov_b32_e32 v93, s65
	s_waitcnt lgkmcnt(1)
	v_add_u32_e32 v22, v22, v32
	v_lshlrev_b64 v[22:23], 3, v[22:23]
	v_add_co_u32_e32 v22, vcc, s64, v22
	v_addc_co_u32_e32 v23, vcc, v93, v23, vcc
	s_waitcnt lgkmcnt(0)
	global_store_dwordx2 v[22:23], v[20:21], off
.LBB1740_176:                           ;   in Loop: Header=BB1740_66 Depth=2
	s_or_b64 exec, exec, s[36:37]
	s_barrier
	s_and_saveexec_b64 s[36:37], s[4:5]
	s_cbranch_execz .LBB1740_65
; %bb.177:                              ;   in Loop: Header=BB1740_66 Depth=2
	ds_read_b32 v20, v3
	s_waitcnt lgkmcnt(0)
	v_add_u32_e32 v5, v20, v5
	ds_write_b32 v3, v5
	s_branch .LBB1740_65
.LBB1740_178:                           ;   in Loop: Header=BB1740_12 Depth=1
	s_waitcnt lgkmcnt(0)
	s_barrier
	s_mov_b64 s[16:17], 0
.LBB1740_179:                           ;   in Loop: Header=BB1740_12 Depth=1
	s_and_b64 vcc, exec, s[16:17]
	s_cbranch_vccz .LBB1740_345
; %bb.180:                              ;   in Loop: Header=BB1740_12 Depth=1
	s_mov_b32 s22, s71
	s_mov_b32 s72, s51
	s_barrier
	s_waitcnt lgkmcnt(0)
                                        ; implicit-def: $vgpr12
                                        ; implicit-def: $vgpr5
                                        ; implicit-def: $vgpr6
                                        ; implicit-def: $vgpr7
                                        ; implicit-def: $vgpr8
                                        ; implicit-def: $vgpr9
                                        ; implicit-def: $vgpr10
                                        ; implicit-def: $vgpr11
	s_branch .LBB1740_182
.LBB1740_181:                           ;   in Loop: Header=BB1740_182 Depth=2
	s_or_b64 exec, exec, s[16:17]
	s_addk_i32 s22, 0xf800
	s_cmp_ge_u32 s23, s76
	s_mov_b32 s72, s23
	s_cbranch_scc1 .LBB1740_220
.LBB1740_182:                           ;   Parent Loop BB1740_12 Depth=1
                                        ; =>  This Inner Loop Header: Depth=2
	s_add_i32 s23, s72, 0x800
	s_cmp_gt_u32 s23, s76
	s_cbranch_scc1 .LBB1740_185
; %bb.183:                              ;   in Loop: Header=BB1740_182 Depth=2
	s_lshl_b64 s[16:17], s[72:73], 1
	v_mov_b32_e32 v1, s17
	v_add_co_u32_e32 v0, vcc, s16, v52
	v_addc_co_u32_e32 v1, vcc, v53, v1, vcc
	global_load_ushort v14, v[0:1], off
	global_load_ushort v15, v[0:1], off offset:512
	global_load_ushort v16, v[0:1], off offset:1024
	;; [unrolled: 1-line block ×6, first 2 shown]
	v_add_co_u32_e32 v0, vcc, 0xe00, v0
	v_addc_co_u32_e32 v1, vcc, 0, v1, vcc
	s_mov_b64 s[16:17], -1
	s_movk_i32 s24, 0x800
	s_cbranch_execz .LBB1740_186
; %bb.184:                              ;   in Loop: Header=BB1740_182 Depth=2
                                        ; implicit-def: $vgpr11
                                        ; implicit-def: $vgpr10
                                        ; implicit-def: $vgpr9
                                        ; implicit-def: $vgpr8
                                        ; implicit-def: $vgpr7
                                        ; implicit-def: $vgpr6
                                        ; implicit-def: $vgpr5
                                        ; implicit-def: $vgpr12
	v_mov_b32_e32 v13, s22
	s_and_saveexec_b64 s[18:19], s[16:17]
	s_cbranch_execnz .LBB1740_197
	s_branch .LBB1740_198
.LBB1740_185:                           ;   in Loop: Header=BB1740_182 Depth=2
	s_mov_b64 s[16:17], 0
                                        ; implicit-def: $sgpr24
                                        ; implicit-def: $vgpr14
                                        ; implicit-def: $vgpr15
                                        ; implicit-def: $vgpr16
                                        ; implicit-def: $vgpr17
                                        ; implicit-def: $vgpr18
                                        ; implicit-def: $vgpr19
                                        ; implicit-def: $vgpr20
                                        ; implicit-def: $vgpr0_vgpr1
.LBB1740_186:                           ;   in Loop: Header=BB1740_182 Depth=2
	s_lshl_b64 s[18:19], s[72:73], 1
	s_add_u32 s18, s58, s18
	s_addc_u32 s19, s59, s19
	v_cmp_gt_u32_e32 vcc, s22, v2
	s_and_saveexec_b64 s[20:21], vcc
	s_cbranch_execz .LBB1740_214
; %bb.187:                              ;   in Loop: Header=BB1740_182 Depth=2
	global_load_ushort v11, v65, s[18:19]
	s_or_b64 exec, exec, s[20:21]
	v_cmp_gt_u32_e32 vcc, s22, v24
	s_and_saveexec_b64 s[20:21], vcc
	s_cbranch_execnz .LBB1740_215
.LBB1740_188:                           ;   in Loop: Header=BB1740_182 Depth=2
	s_or_b64 exec, exec, s[20:21]
	v_cmp_gt_u32_e32 vcc, s22, v25
	s_and_saveexec_b64 s[20:21], vcc
	s_cbranch_execz .LBB1740_216
.LBB1740_189:                           ;   in Loop: Header=BB1740_182 Depth=2
	global_load_ushort v9, v65, s[18:19] offset:1024
	s_or_b64 exec, exec, s[20:21]
	v_cmp_gt_u32_e32 vcc, s22, v26
	s_and_saveexec_b64 s[20:21], vcc
	s_cbranch_execnz .LBB1740_217
.LBB1740_190:                           ;   in Loop: Header=BB1740_182 Depth=2
	s_or_b64 exec, exec, s[20:21]
	v_cmp_gt_u32_e32 vcc, s22, v29
	s_and_saveexec_b64 s[20:21], vcc
	s_cbranch_execz .LBB1740_218
.LBB1740_191:                           ;   in Loop: Header=BB1740_182 Depth=2
	global_load_ushort v7, v65, s[18:19] offset:2048
	s_or_b64 exec, exec, s[20:21]
	v_cmp_gt_u32_e32 vcc, s22, v30
	s_and_saveexec_b64 s[20:21], vcc
	s_cbranch_execnz .LBB1740_219
.LBB1740_192:                           ;   in Loop: Header=BB1740_182 Depth=2
	s_or_b64 exec, exec, s[20:21]
	v_cmp_gt_u32_e32 vcc, s22, v31
	s_and_saveexec_b64 s[20:21], vcc
	s_cbranch_execz .LBB1740_194
.LBB1740_193:                           ;   in Loop: Header=BB1740_182 Depth=2
	global_load_ushort v5, v65, s[18:19] offset:3072
.LBB1740_194:                           ;   in Loop: Header=BB1740_182 Depth=2
	s_or_b64 exec, exec, s[20:21]
	v_cmp_gt_u32_e32 vcc, s22, v32
                                        ; implicit-def: $sgpr24
                                        ; implicit-def: $vgpr0_vgpr1
	s_and_saveexec_b64 s[20:21], vcc
	s_cbranch_execz .LBB1740_196
; %bb.195:                              ;   in Loop: Header=BB1740_182 Depth=2
	v_mov_b32_e32 v0, s19
	v_add_co_u32_e32 v1, vcc, s18, v65
	s_waitcnt vmcnt(0)
	v_addc_co_u32_e32 v12, vcc, 0, v0, vcc
	v_add_co_u32_e32 v0, vcc, 0xe00, v1
	s_sub_i32 s24, s76, s72
	v_addc_co_u32_e32 v1, vcc, 0, v12, vcc
	s_or_b64 s[16:17], s[16:17], exec
                                        ; implicit-def: $vgpr12
.LBB1740_196:                           ;   in Loop: Header=BB1740_182 Depth=2
	s_or_b64 exec, exec, s[20:21]
	s_waitcnt vmcnt(0)
	v_mov_b32_e32 v14, v11
	v_mov_b32_e32 v15, v10
	;; [unrolled: 1-line block ×8, first 2 shown]
	s_and_saveexec_b64 s[18:19], s[16:17]
	s_cbranch_execz .LBB1740_198
.LBB1740_197:                           ;   in Loop: Header=BB1740_182 Depth=2
	global_load_ushort v12, v[0:1], off
	v_mov_b32_e32 v13, s24
	s_waitcnt vmcnt(1)
	v_mov_b32_e32 v5, v20
	v_mov_b32_e32 v6, v19
	;; [unrolled: 1-line block ×7, first 2 shown]
.LBB1740_198:                           ;   in Loop: Header=BB1740_182 Depth=2
	s_or_b64 exec, exec, s[18:19]
	v_cmp_lt_u32_e32 vcc, v2, v13
	s_and_saveexec_b64 s[16:17], vcc
	s_cbranch_execz .LBB1740_206
; %bb.199:                              ;   in Loop: Header=BB1740_182 Depth=2
	v_cmp_gt_i16_e32 vcc, 0, v11
	v_cndmask_b32_e64 v0, v66, 0, vcc
	v_xor_b32_e32 v0, v0, v11
	v_cmp_ne_u16_e32 vcc, s68, v0
	v_cndmask_b32_e32 v0, v66, v0, vcc
	v_lshrrev_b32_sdwa v0, s77, v0 dst_sel:DWORD dst_unused:UNUSED_PAD src0_sel:DWORD src1_sel:WORD_0
	v_and_b32_e32 v0, s78, v0
	v_lshl_or_b32 v0, v0, 4, v67
	ds_add_u32 v0, v64
	s_or_b64 exec, exec, s[16:17]
	v_cmp_lt_u32_e32 vcc, v24, v13
	s_and_saveexec_b64 s[16:17], vcc
	s_cbranch_execnz .LBB1740_207
.LBB1740_200:                           ;   in Loop: Header=BB1740_182 Depth=2
	s_or_b64 exec, exec, s[16:17]
	v_cmp_lt_u32_e32 vcc, v25, v13
	s_and_saveexec_b64 s[16:17], vcc
	s_cbranch_execz .LBB1740_208
.LBB1740_201:                           ;   in Loop: Header=BB1740_182 Depth=2
	v_cmp_gt_i16_e32 vcc, 0, v9
	v_cndmask_b32_e64 v0, v66, 0, vcc
	v_xor_b32_e32 v0, v0, v9
	v_cmp_ne_u16_e32 vcc, s68, v0
	v_cndmask_b32_e32 v0, v66, v0, vcc
	v_lshrrev_b32_sdwa v0, s77, v0 dst_sel:DWORD dst_unused:UNUSED_PAD src0_sel:DWORD src1_sel:WORD_0
	v_and_b32_e32 v0, s78, v0
	v_lshl_or_b32 v0, v0, 4, v67
	ds_add_u32 v0, v64
	s_or_b64 exec, exec, s[16:17]
	v_cmp_lt_u32_e32 vcc, v26, v13
	s_and_saveexec_b64 s[16:17], vcc
	s_cbranch_execnz .LBB1740_209
.LBB1740_202:                           ;   in Loop: Header=BB1740_182 Depth=2
	s_or_b64 exec, exec, s[16:17]
	v_cmp_lt_u32_e32 vcc, v29, v13
	s_and_saveexec_b64 s[16:17], vcc
	s_cbranch_execz .LBB1740_210
.LBB1740_203:                           ;   in Loop: Header=BB1740_182 Depth=2
	v_cmp_gt_i16_e32 vcc, 0, v7
	v_cndmask_b32_e64 v0, v66, 0, vcc
	v_xor_b32_e32 v0, v0, v7
	v_cmp_ne_u16_e32 vcc, s68, v0
	v_cndmask_b32_e32 v0, v66, v0, vcc
	v_lshrrev_b32_sdwa v0, s77, v0 dst_sel:DWORD dst_unused:UNUSED_PAD src0_sel:DWORD src1_sel:WORD_0
	v_and_b32_e32 v0, s78, v0
	v_lshl_or_b32 v0, v0, 4, v67
	ds_add_u32 v0, v64
	s_or_b64 exec, exec, s[16:17]
	v_cmp_lt_u32_e32 vcc, v30, v13
	s_and_saveexec_b64 s[16:17], vcc
	s_cbranch_execnz .LBB1740_211
.LBB1740_204:                           ;   in Loop: Header=BB1740_182 Depth=2
	s_or_b64 exec, exec, s[16:17]
	v_cmp_lt_u32_e32 vcc, v31, v13
	s_and_saveexec_b64 s[16:17], vcc
	s_cbranch_execz .LBB1740_212
.LBB1740_205:                           ;   in Loop: Header=BB1740_182 Depth=2
	v_cmp_gt_i16_e32 vcc, 0, v5
	v_cndmask_b32_e64 v0, v66, 0, vcc
	v_xor_b32_e32 v0, v0, v5
	v_cmp_ne_u16_e32 vcc, s68, v0
	v_cndmask_b32_e32 v0, v66, v0, vcc
	v_lshrrev_b32_sdwa v0, s77, v0 dst_sel:DWORD dst_unused:UNUSED_PAD src0_sel:DWORD src1_sel:WORD_0
	v_and_b32_e32 v0, s78, v0
	v_lshl_or_b32 v0, v0, 4, v67
	ds_add_u32 v0, v64
	s_or_b64 exec, exec, s[16:17]
	v_cmp_lt_u32_e32 vcc, v32, v13
	s_and_saveexec_b64 s[16:17], vcc
	s_cbranch_execz .LBB1740_181
	s_branch .LBB1740_213
.LBB1740_206:                           ;   in Loop: Header=BB1740_182 Depth=2
	s_or_b64 exec, exec, s[16:17]
	v_cmp_lt_u32_e32 vcc, v24, v13
	s_and_saveexec_b64 s[16:17], vcc
	s_cbranch_execz .LBB1740_200
.LBB1740_207:                           ;   in Loop: Header=BB1740_182 Depth=2
	v_cmp_gt_i16_e32 vcc, 0, v10
	v_cndmask_b32_e64 v0, v66, 0, vcc
	v_xor_b32_e32 v0, v0, v10
	v_cmp_ne_u16_e32 vcc, s68, v0
	v_cndmask_b32_e32 v0, v66, v0, vcc
	v_lshrrev_b32_sdwa v0, s77, v0 dst_sel:DWORD dst_unused:UNUSED_PAD src0_sel:DWORD src1_sel:WORD_0
	v_and_b32_e32 v0, s78, v0
	v_lshl_or_b32 v0, v0, 4, v67
	ds_add_u32 v0, v64
	s_or_b64 exec, exec, s[16:17]
	v_cmp_lt_u32_e32 vcc, v25, v13
	s_and_saveexec_b64 s[16:17], vcc
	s_cbranch_execnz .LBB1740_201
.LBB1740_208:                           ;   in Loop: Header=BB1740_182 Depth=2
	s_or_b64 exec, exec, s[16:17]
	v_cmp_lt_u32_e32 vcc, v26, v13
	s_and_saveexec_b64 s[16:17], vcc
	s_cbranch_execz .LBB1740_202
.LBB1740_209:                           ;   in Loop: Header=BB1740_182 Depth=2
	v_cmp_gt_i16_e32 vcc, 0, v8
	v_cndmask_b32_e64 v0, v66, 0, vcc
	v_xor_b32_e32 v0, v0, v8
	v_cmp_ne_u16_e32 vcc, s68, v0
	v_cndmask_b32_e32 v0, v66, v0, vcc
	v_lshrrev_b32_sdwa v0, s77, v0 dst_sel:DWORD dst_unused:UNUSED_PAD src0_sel:DWORD src1_sel:WORD_0
	v_and_b32_e32 v0, s78, v0
	v_lshl_or_b32 v0, v0, 4, v67
	ds_add_u32 v0, v64
	s_or_b64 exec, exec, s[16:17]
	v_cmp_lt_u32_e32 vcc, v29, v13
	s_and_saveexec_b64 s[16:17], vcc
	s_cbranch_execnz .LBB1740_203
.LBB1740_210:                           ;   in Loop: Header=BB1740_182 Depth=2
	s_or_b64 exec, exec, s[16:17]
	v_cmp_lt_u32_e32 vcc, v30, v13
	s_and_saveexec_b64 s[16:17], vcc
	s_cbranch_execz .LBB1740_204
.LBB1740_211:                           ;   in Loop: Header=BB1740_182 Depth=2
	v_cmp_gt_i16_e32 vcc, 0, v6
	v_cndmask_b32_e64 v0, v66, 0, vcc
	v_xor_b32_e32 v0, v0, v6
	v_cmp_ne_u16_e32 vcc, s68, v0
	v_cndmask_b32_e32 v0, v66, v0, vcc
	v_lshrrev_b32_sdwa v0, s77, v0 dst_sel:DWORD dst_unused:UNUSED_PAD src0_sel:DWORD src1_sel:WORD_0
	v_and_b32_e32 v0, s78, v0
	v_lshl_or_b32 v0, v0, 4, v67
	ds_add_u32 v0, v64
	s_or_b64 exec, exec, s[16:17]
	v_cmp_lt_u32_e32 vcc, v31, v13
	s_and_saveexec_b64 s[16:17], vcc
	s_cbranch_execnz .LBB1740_205
.LBB1740_212:                           ;   in Loop: Header=BB1740_182 Depth=2
	s_or_b64 exec, exec, s[16:17]
	v_cmp_lt_u32_e32 vcc, v32, v13
	s_and_saveexec_b64 s[16:17], vcc
	s_cbranch_execz .LBB1740_181
.LBB1740_213:                           ;   in Loop: Header=BB1740_182 Depth=2
	s_waitcnt vmcnt(0)
	v_cmp_gt_i16_e32 vcc, 0, v12
	v_cndmask_b32_e64 v0, v66, 0, vcc
	v_xor_b32_e32 v0, v0, v12
	v_cmp_ne_u16_e32 vcc, s68, v0
	v_cndmask_b32_e32 v0, v66, v0, vcc
	v_lshrrev_b32_sdwa v0, s77, v0 dst_sel:DWORD dst_unused:UNUSED_PAD src0_sel:DWORD src1_sel:WORD_0
	v_and_b32_e32 v0, s78, v0
	v_lshl_or_b32 v0, v0, 4, v67
	ds_add_u32 v0, v64
	s_branch .LBB1740_181
.LBB1740_214:                           ;   in Loop: Header=BB1740_182 Depth=2
	s_or_b64 exec, exec, s[20:21]
	v_cmp_gt_u32_e32 vcc, s22, v24
	s_and_saveexec_b64 s[20:21], vcc
	s_cbranch_execz .LBB1740_188
.LBB1740_215:                           ;   in Loop: Header=BB1740_182 Depth=2
	global_load_ushort v10, v65, s[18:19] offset:512
	s_or_b64 exec, exec, s[20:21]
	v_cmp_gt_u32_e32 vcc, s22, v25
	s_and_saveexec_b64 s[20:21], vcc
	s_cbranch_execnz .LBB1740_189
.LBB1740_216:                           ;   in Loop: Header=BB1740_182 Depth=2
	s_or_b64 exec, exec, s[20:21]
	v_cmp_gt_u32_e32 vcc, s22, v26
	s_and_saveexec_b64 s[20:21], vcc
	s_cbranch_execz .LBB1740_190
.LBB1740_217:                           ;   in Loop: Header=BB1740_182 Depth=2
	global_load_ushort v8, v65, s[18:19] offset:1536
	s_or_b64 exec, exec, s[20:21]
	v_cmp_gt_u32_e32 vcc, s22, v29
	s_and_saveexec_b64 s[20:21], vcc
	s_cbranch_execnz .LBB1740_191
.LBB1740_218:                           ;   in Loop: Header=BB1740_182 Depth=2
	s_or_b64 exec, exec, s[20:21]
	v_cmp_gt_u32_e32 vcc, s22, v30
	s_and_saveexec_b64 s[20:21], vcc
	s_cbranch_execz .LBB1740_192
.LBB1740_219:                           ;   in Loop: Header=BB1740_182 Depth=2
	global_load_ushort v6, v65, s[18:19] offset:2560
	s_or_b64 exec, exec, s[20:21]
	v_cmp_gt_u32_e32 vcc, s22, v31
	s_and_saveexec_b64 s[20:21], vcc
	s_cbranch_execz .LBB1740_194
	s_branch .LBB1740_193
.LBB1740_220:                           ;   in Loop: Header=BB1740_12 Depth=1
	v_mov_b32_e32 v0, 0
	s_waitcnt lgkmcnt(0)
	s_barrier
	s_and_saveexec_b64 s[16:17], s[4:5]
	s_cbranch_execz .LBB1740_222
; %bb.221:                              ;   in Loop: Header=BB1740_12 Depth=1
	ds_read2_b64 v[6:9], v33 offset1:1
	s_waitcnt lgkmcnt(0)
	v_add_u32_e32 v0, v7, v6
	v_add3_u32 v0, v0, v8, v9
.LBB1740_222:                           ;   in Loop: Header=BB1740_12 Depth=1
	s_or_b64 exec, exec, s[16:17]
	v_and_b32_e32 v1, 15, v68
	v_mov_b32_dpp v5, v0 row_shr:1 row_mask:0xf bank_mask:0xf
	v_cmp_eq_u32_e64 s[16:17], 0, v1
	v_cndmask_b32_e64 v5, v5, 0, s[16:17]
	v_add_u32_e32 v0, v5, v0
	v_cmp_lt_u32_e64 s[18:19], 1, v1
	v_cmp_lt_u32_e64 s[20:21], 3, v1
	v_mov_b32_dpp v5, v0 row_shr:2 row_mask:0xf bank_mask:0xf
	v_cndmask_b32_e64 v5, 0, v5, s[18:19]
	v_add_u32_e32 v0, v0, v5
	v_cmp_lt_u32_e64 s[22:23], 7, v1
	v_cmp_lt_u32_e64 s[26:27], 31, v68
	v_mov_b32_dpp v5, v0 row_shr:4 row_mask:0xf bank_mask:0xf
	v_cndmask_b32_e64 v5, 0, v5, s[20:21]
	v_add_u32_e32 v0, v0, v5
	v_and_b32_e32 v6, 16, v68
	v_cmp_eq_u32_e64 s[24:25], 0, v6
	v_mov_b32_dpp v5, v0 row_shr:8 row_mask:0xf bank_mask:0xf
	v_cndmask_b32_e64 v1, 0, v5, s[22:23]
	v_add_u32_e32 v0, v0, v1
	v_bfe_i32 v5, v68, 4, 1
	s_nop 0
	v_mov_b32_dpp v1, v0 row_bcast:15 row_mask:0xf bank_mask:0xf
	v_and_b32_e32 v1, v5, v1
	v_add_u32_e32 v0, v0, v1
	s_nop 1
	v_mov_b32_dpp v1, v0 row_bcast:31 row_mask:0xf bank_mask:0xf
	v_cndmask_b32_e64 v1, 0, v1, s[26:27]
	v_add_u32_e32 v1, v0, v1
	s_and_saveexec_b64 s[28:29], s[6:7]
	s_cbranch_execz .LBB1740_224
; %bb.223:                              ;   in Loop: Header=BB1740_12 Depth=1
	ds_write_b32 v35, v1
.LBB1740_224:                           ;   in Loop: Header=BB1740_12 Depth=1
	s_or_b64 exec, exec, s[28:29]
	v_and_b32_e32 v0, 3, v68
	s_waitcnt lgkmcnt(0)
	s_barrier
	s_and_saveexec_b64 s[28:29], s[8:9]
	s_cbranch_execz .LBB1740_226
; %bb.225:                              ;   in Loop: Header=BB1740_12 Depth=1
	ds_read_b32 v5, v36
	v_cmp_ne_u32_e32 vcc, 0, v0
	s_waitcnt lgkmcnt(0)
	v_mov_b32_dpp v6, v5 row_shr:1 row_mask:0xf bank_mask:0xf
	v_cndmask_b32_e32 v6, 0, v6, vcc
	v_add_u32_e32 v5, v6, v5
	v_cmp_lt_u32_e32 vcc, 1, v0
	s_nop 0
	v_mov_b32_dpp v6, v5 row_shr:2 row_mask:0xf bank_mask:0xf
	v_cndmask_b32_e32 v6, 0, v6, vcc
	v_add_u32_e32 v5, v5, v6
	ds_write_b32 v36, v5
.LBB1740_226:                           ;   in Loop: Header=BB1740_12 Depth=1
	s_or_b64 exec, exec, s[28:29]
	v_mov_b32_e32 v5, 0
	s_waitcnt lgkmcnt(0)
	s_barrier
	s_and_saveexec_b64 s[28:29], s[10:11]
	s_cbranch_execz .LBB1740_228
; %bb.227:                              ;   in Loop: Header=BB1740_12 Depth=1
	ds_read_b32 v5, v37
.LBB1740_228:                           ;   in Loop: Header=BB1740_12 Depth=1
	s_or_b64 exec, exec, s[28:29]
	v_add_u32_e32 v6, -1, v68
	v_and_b32_e32 v7, 64, v68
	v_cmp_lt_i32_e32 vcc, v6, v7
	v_cndmask_b32_e32 v6, v6, v68, vcc
	s_waitcnt lgkmcnt(0)
	v_add_u32_e32 v1, v5, v1
	v_lshlrev_b32_e32 v69, 2, v6
	ds_bpermute_b32 v1, v69, v1
	v_cmp_eq_u32_e64 s[28:29], 0, v68
	s_waitcnt lgkmcnt(0)
	s_barrier
	s_and_saveexec_b64 s[30:31], s[4:5]
	s_cbranch_execz .LBB1740_230
; %bb.229:                              ;   in Loop: Header=BB1740_12 Depth=1
	v_cndmask_b32_e64 v1, v1, v5, s[28:29]
	v_add_u32_e32 v1, s51, v1
	ds_write_b32 v3, v1
.LBB1740_230:                           ;   in Loop: Header=BB1740_12 Depth=1
	s_or_b64 exec, exec, s[30:31]
	s_load_dwordx2 s[30:31], s[74:75], 0x0
	v_and_b32_e32 v21, 63, v68
	v_lshlrev_b32_e32 v22, 3, v21
	v_add_co_u32_e32 v77, vcc, v54, v22
	s_waitcnt lgkmcnt(0)
	s_cmp_lt_u32 s50, s30
	s_cselect_b32 s34, 12, 18
	s_cmp_lt_u32 s33, s31
	s_cselect_b32 s30, 14, 20
	s_add_u32 s30, s74, s30
	s_addc_u32 s31, s75, 0
	s_add_u32 s34, s74, s34
	global_load_ushort v5, v4, s[30:31]
	s_addc_u32 s35, s75, 0
	global_load_ushort v20, v4, s[34:35]
	v_or_b32_e32 v74, v21, v38
	v_lshlrev_b32_e32 v21, 1, v21
	v_addc_co_u32_e32 v79, vcc, 0, v55, vcc
	v_add_co_u32_e32 v88, vcc, v56, v21
	v_addc_co_u32_e32 v89, vcc, 0, v57, vcc
	v_add_co_u32_e32 v90, vcc, 0x380, v88
	v_cmp_eq_u32_e64 s[30:31], 0, v0
	v_cmp_lt_u32_e64 s[34:35], 1, v0
	s_mov_b32 s79, s71
	v_or_b32_e32 v81, 64, v74
	v_or_b32_e32 v82, 0x80, v74
	;; [unrolled: 1-line block ×7, first 2 shown]
	v_addc_co_u32_e32 v91, vcc, 0, v89, vcc
	s_mov_b32 s72, s51
                                        ; implicit-def: $vgpr0_vgpr1
                                        ; implicit-def: $vgpr6_vgpr7
                                        ; implicit-def: $vgpr8_vgpr9
                                        ; implicit-def: $vgpr10_vgpr11
                                        ; implicit-def: $vgpr12_vgpr13
                                        ; implicit-def: $vgpr14_vgpr15
                                        ; implicit-def: $vgpr16_vgpr17
                                        ; implicit-def: $vgpr18_vgpr19
                                        ; implicit-def: $vgpr70
                                        ; implicit-def: $vgpr71
                                        ; implicit-def: $vgpr72
                                        ; implicit-def: $vgpr73
                                        ; implicit-def: $vgpr75
                                        ; implicit-def: $vgpr76
                                        ; implicit-def: $vgpr78
                                        ; implicit-def: $vgpr80
	s_waitcnt vmcnt(1)
	v_mad_u32_u24 v5, v39, v5, v40
	s_waitcnt vmcnt(0)
	v_mad_u64_u32 v[20:21], s[36:37], v5, v20, v[2:3]
	v_lshrrev_b32_e32 v92, 6, v20
	s_branch .LBB1740_232
.LBB1740_231:                           ;   in Loop: Header=BB1740_232 Depth=2
	s_or_b64 exec, exec, s[36:37]
	s_addk_i32 s79, 0xf800
	s_cmp_lt_u32 s80, s76
	s_mov_b32 s72, s80
	s_cbranch_scc0 .LBB1740_344
.LBB1740_232:                           ;   Parent Loop BB1740_12 Depth=1
                                        ; =>  This Inner Loop Header: Depth=2
	s_add_i32 s80, s72, 0x800
	s_cmp_gt_u32 s80, s76
	s_cbranch_scc1 .LBB1740_235
; %bb.233:                              ;   in Loop: Header=BB1740_232 Depth=2
	s_lshl_b64 s[36:37], s[72:73], 1
	v_mov_b32_e32 v5, s37
	v_add_co_u32_e32 v20, vcc, s36, v88
	v_addc_co_u32_e32 v21, vcc, v89, v5, vcc
	global_load_ushort v5, v[20:21], off
	global_load_ushort v97, v[20:21], off offset:128
	global_load_ushort v101, v[20:21], off offset:256
	;; [unrolled: 1-line block ×6, first 2 shown]
	s_mov_b64 s[36:37], -1
	s_movk_i32 s40, 0x800
	s_cbranch_execz .LBB1740_236
; %bb.234:                              ;   in Loop: Header=BB1740_232 Depth=2
                                        ; implicit-def: $sgpr38
	v_mov_b32_e32 v23, s38
	v_mov_b32_e32 v93, s79
	s_and_saveexec_b64 s[38:39], s[36:37]
	s_cbranch_execnz .LBB1740_251
	s_branch .LBB1740_252
.LBB1740_235:                           ;   in Loop: Header=BB1740_232 Depth=2
	s_mov_b64 s[36:37], 0
                                        ; implicit-def: $sgpr40
                                        ; implicit-def: $vgpr5
                                        ; implicit-def: $vgpr97
                                        ; implicit-def: $vgpr101
                                        ; implicit-def: $vgpr106
                                        ; implicit-def: $vgpr109
                                        ; implicit-def: $vgpr104
                                        ; implicit-def: $vgpr22
.LBB1740_236:                           ;   in Loop: Header=BB1740_232 Depth=2
	s_lshl_b64 s[36:37], s[72:73], 1
	s_waitcnt vmcnt(6)
	v_mov_b32_e32 v5, s37
	v_add_co_u32_e32 v20, vcc, s36, v88
	v_addc_co_u32_e32 v21, vcc, v89, v5, vcc
	v_cmp_gt_u32_e32 vcc, s79, v74
	s_waitcnt vmcnt(5)
	v_mov_b32_e32 v97, -1
	v_mov_b32_e32 v5, -1
	s_and_saveexec_b64 s[36:37], vcc
	s_cbranch_execz .LBB1740_238
; %bb.237:                              ;   in Loop: Header=BB1740_232 Depth=2
	global_load_ushort v5, v[20:21], off
.LBB1740_238:                           ;   in Loop: Header=BB1740_232 Depth=2
	s_or_b64 exec, exec, s[36:37]
	v_cmp_gt_u32_e32 vcc, s79, v81
	s_and_saveexec_b64 s[36:37], vcc
	s_cbranch_execz .LBB1740_240
; %bb.239:                              ;   in Loop: Header=BB1740_232 Depth=2
	global_load_ushort v97, v[20:21], off offset:128
.LBB1740_240:                           ;   in Loop: Header=BB1740_232 Depth=2
	s_or_b64 exec, exec, s[36:37]
	v_cmp_gt_u32_e32 vcc, s79, v82
	s_waitcnt vmcnt(3)
	v_mov_b32_e32 v106, -1
	v_mov_b32_e32 v101, -1
	s_and_saveexec_b64 s[36:37], vcc
	s_cbranch_execz .LBB1740_242
; %bb.241:                              ;   in Loop: Header=BB1740_232 Depth=2
	global_load_ushort v101, v[20:21], off offset:256
.LBB1740_242:                           ;   in Loop: Header=BB1740_232 Depth=2
	s_or_b64 exec, exec, s[36:37]
	v_cmp_gt_u32_e32 vcc, s79, v83
	s_and_saveexec_b64 s[36:37], vcc
	s_cbranch_execz .LBB1740_244
; %bb.243:                              ;   in Loop: Header=BB1740_232 Depth=2
	global_load_ushort v106, v[20:21], off offset:384
.LBB1740_244:                           ;   in Loop: Header=BB1740_232 Depth=2
	s_or_b64 exec, exec, s[36:37]
	v_cmp_gt_u32_e32 vcc, s79, v84
	s_waitcnt vmcnt(1)
	v_mov_b32_e32 v104, -1
	v_mov_b32_e32 v109, -1
	s_and_saveexec_b64 s[36:37], vcc
	s_cbranch_execz .LBB1740_246
; %bb.245:                              ;   in Loop: Header=BB1740_232 Depth=2
	global_load_ushort v109, v[20:21], off offset:512
.LBB1740_246:                           ;   in Loop: Header=BB1740_232 Depth=2
	s_or_b64 exec, exec, s[36:37]
	v_cmp_gt_u32_e32 vcc, s79, v85
	s_and_saveexec_b64 s[36:37], vcc
	s_cbranch_execz .LBB1740_248
; %bb.247:                              ;   in Loop: Header=BB1740_232 Depth=2
	global_load_ushort v104, v[20:21], off offset:640
.LBB1740_248:                           ;   in Loop: Header=BB1740_232 Depth=2
	s_or_b64 exec, exec, s[36:37]
	v_cmp_gt_u32_e32 vcc, s79, v86
	s_waitcnt vmcnt(0)
	v_mov_b32_e32 v22, -1
	s_and_saveexec_b64 s[36:37], vcc
	s_cbranch_execz .LBB1740_250
; %bb.249:                              ;   in Loop: Header=BB1740_232 Depth=2
	global_load_ushort v22, v[20:21], off offset:768
.LBB1740_250:                           ;   in Loop: Header=BB1740_232 Depth=2
	s_or_b64 exec, exec, s[36:37]
	s_sub_i32 s40, s76, s72
	v_cmp_gt_u32_e64 s[36:37], s79, v87
	s_mov_b32 s38, -1
	v_mov_b32_e32 v23, s38
	v_mov_b32_e32 v93, s79
	s_and_saveexec_b64 s[38:39], s[36:37]
	s_cbranch_execz .LBB1740_252
.LBB1740_251:                           ;   in Loop: Header=BB1740_232 Depth=2
	s_lshl_b64 s[36:37], s[72:73], 1
	v_mov_b32_e32 v21, s37
	v_add_co_u32_e32 v20, vcc, s36, v90
	v_addc_co_u32_e32 v21, vcc, v91, v21, vcc
	global_load_ushort v23, v[20:21], off
	v_mov_b32_e32 v93, s40
.LBB1740_252:                           ;   in Loop: Header=BB1740_232 Depth=2
	s_or_b64 exec, exec, s[38:39]
	s_waitcnt vmcnt(6)
	v_cmp_gt_i16_e32 vcc, 0, v5
	v_cndmask_b32_e64 v20, v66, 0, vcc
	v_xor_b32_e32 v94, v20, v5
	v_add_u32_e32 v5, 0x410, v41
	v_cmp_ne_u16_e32 vcc, s68, v94
	ds_write2_b32 v5, v4, v4 offset1:1
	ds_write2_b32 v43, v4, v4 offset0:2 offset1:3
	ds_write_b32 v43, v4 offset:16
	v_cndmask_b32_e32 v5, v66, v94, vcc
	v_lshrrev_b32_sdwa v5, s77, v5 dst_sel:DWORD dst_unused:UNUSED_PAD src0_sel:DWORD src1_sel:WORD_0
	v_and_b32_e32 v20, s78, v5
	v_mad_u32_u24 v5, v20, 5, v92
	v_lshl_add_u32 v95, v5, 2, v42
	v_and_b32_e32 v5, 1, v20
	v_add_co_u32_e32 v21, vcc, -1, v5
	v_addc_co_u32_e64 v96, s[36:37], 0, -1, vcc
	v_cmp_ne_u32_e32 vcc, 0, v5
	v_xor_b32_e32 v5, vcc_hi, v96
	v_and_b32_e32 v96, exec_hi, v5
	v_lshlrev_b32_e32 v5, 30, v20
	v_xor_b32_e32 v21, vcc_lo, v21
	v_cmp_gt_i64_e32 vcc, 0, v[4:5]
	v_not_b32_e32 v5, v5
	v_ashrrev_i32_e32 v5, 31, v5
	v_and_b32_e32 v21, exec_lo, v21
	v_xor_b32_e32 v98, vcc_hi, v5
	v_xor_b32_e32 v5, vcc_lo, v5
	v_and_b32_e32 v21, v21, v5
	v_lshlrev_b32_e32 v5, 29, v20
	v_cmp_gt_i64_e32 vcc, 0, v[4:5]
	v_not_b32_e32 v5, v5
	v_ashrrev_i32_e32 v5, 31, v5
	v_and_b32_e32 v96, v96, v98
	v_xor_b32_e32 v98, vcc_hi, v5
	v_xor_b32_e32 v5, vcc_lo, v5
	v_and_b32_e32 v21, v21, v5
	v_lshlrev_b32_e32 v5, 28, v20
	v_cmp_gt_i64_e32 vcc, 0, v[4:5]
	v_not_b32_e32 v5, v5
	v_ashrrev_i32_e32 v5, 31, v5
	v_and_b32_e32 v96, v96, v98
	;; [unrolled: 8-line block ×5, first 2 shown]
	v_xor_b32_e32 v98, vcc_hi, v5
	v_xor_b32_e32 v5, vcc_lo, v5
	v_and_b32_e32 v96, v96, v98
	v_and_b32_e32 v98, v21, v5
	v_lshlrev_b32_e32 v5, 24, v20
	v_cmp_gt_i64_e32 vcc, 0, v[4:5]
	v_not_b32_e32 v5, v5
	v_ashrrev_i32_e32 v5, 31, v5
	v_xor_b32_e32 v20, vcc_hi, v5
	v_xor_b32_e32 v5, vcc_lo, v5
	v_and_b32_e32 v21, v96, v20
	v_and_b32_e32 v20, v98, v5
	v_mbcnt_lo_u32_b32 v5, v20, 0
	v_mbcnt_hi_u32_b32 v96, v21, v5
	v_cmp_eq_u32_e32 vcc, 0, v96
	v_cmp_ne_u64_e64 s[36:37], 0, v[20:21]
	s_and_b64 s[38:39], s[36:37], vcc
	s_waitcnt lgkmcnt(0)
	s_barrier
	s_waitcnt lgkmcnt(0)
	; wave barrier
	s_and_saveexec_b64 s[36:37], s[38:39]
	s_cbranch_execz .LBB1740_254
; %bb.253:                              ;   in Loop: Header=BB1740_232 Depth=2
	v_bcnt_u32_b32 v5, v20, 0
	v_bcnt_u32_b32 v5, v21, v5
	ds_write_b32 v95, v5
.LBB1740_254:                           ;   in Loop: Header=BB1740_232 Depth=2
	s_or_b64 exec, exec, s[36:37]
	s_waitcnt vmcnt(5)
	v_cmp_gt_i16_e32 vcc, 0, v97
	v_cndmask_b32_e64 v5, v66, 0, vcc
	v_xor_b32_e32 v97, v5, v97
	v_cmp_ne_u16_e32 vcc, s68, v97
	v_cndmask_b32_e32 v5, v66, v97, vcc
	v_lshrrev_b32_sdwa v5, s77, v5 dst_sel:DWORD dst_unused:UNUSED_PAD src0_sel:DWORD src1_sel:WORD_0
	v_and_b32_e32 v20, s78, v5
	v_mul_u32_u24_e32 v5, 5, v20
	v_add_lshl_u32 v5, v5, v92, 2
	; wave barrier
	v_add_u32_e32 v99, 0x410, v5
	ds_read_b32 v98, v5 offset:1040
	v_and_b32_e32 v5, 1, v20
	v_add_co_u32_e32 v21, vcc, -1, v5
	v_addc_co_u32_e64 v100, s[36:37], 0, -1, vcc
	v_cmp_ne_u32_e32 vcc, 0, v5
	v_xor_b32_e32 v5, vcc_hi, v100
	v_and_b32_e32 v100, exec_hi, v5
	v_lshlrev_b32_e32 v5, 30, v20
	v_xor_b32_e32 v21, vcc_lo, v21
	v_cmp_gt_i64_e32 vcc, 0, v[4:5]
	v_not_b32_e32 v5, v5
	v_ashrrev_i32_e32 v5, 31, v5
	v_and_b32_e32 v21, exec_lo, v21
	v_xor_b32_e32 v102, vcc_hi, v5
	v_xor_b32_e32 v5, vcc_lo, v5
	v_and_b32_e32 v21, v21, v5
	v_lshlrev_b32_e32 v5, 29, v20
	v_cmp_gt_i64_e32 vcc, 0, v[4:5]
	v_not_b32_e32 v5, v5
	v_ashrrev_i32_e32 v5, 31, v5
	v_and_b32_e32 v100, v100, v102
	v_xor_b32_e32 v102, vcc_hi, v5
	v_xor_b32_e32 v5, vcc_lo, v5
	v_and_b32_e32 v21, v21, v5
	v_lshlrev_b32_e32 v5, 28, v20
	v_cmp_gt_i64_e32 vcc, 0, v[4:5]
	v_not_b32_e32 v5, v5
	v_ashrrev_i32_e32 v5, 31, v5
	v_and_b32_e32 v100, v100, v102
	;; [unrolled: 8-line block ×5, first 2 shown]
	v_xor_b32_e32 v102, vcc_hi, v5
	v_xor_b32_e32 v5, vcc_lo, v5
	v_and_b32_e32 v100, v100, v102
	v_and_b32_e32 v102, v21, v5
	v_lshlrev_b32_e32 v5, 24, v20
	v_cmp_gt_i64_e32 vcc, 0, v[4:5]
	v_not_b32_e32 v5, v5
	v_ashrrev_i32_e32 v5, 31, v5
	v_xor_b32_e32 v20, vcc_hi, v5
	v_xor_b32_e32 v5, vcc_lo, v5
	v_and_b32_e32 v21, v100, v20
	v_and_b32_e32 v20, v102, v5
	v_mbcnt_lo_u32_b32 v5, v20, 0
	v_mbcnt_hi_u32_b32 v100, v21, v5
	v_cmp_eq_u32_e32 vcc, 0, v100
	v_cmp_ne_u64_e64 s[36:37], 0, v[20:21]
	s_and_b64 s[38:39], s[36:37], vcc
	; wave barrier
	s_and_saveexec_b64 s[36:37], s[38:39]
	s_cbranch_execz .LBB1740_256
; %bb.255:                              ;   in Loop: Header=BB1740_232 Depth=2
	v_bcnt_u32_b32 v5, v20, 0
	v_bcnt_u32_b32 v5, v21, v5
	s_waitcnt lgkmcnt(0)
	v_add_u32_e32 v5, v98, v5
	ds_write_b32 v99, v5
.LBB1740_256:                           ;   in Loop: Header=BB1740_232 Depth=2
	s_or_b64 exec, exec, s[36:37]
	s_waitcnt vmcnt(4)
	v_cmp_gt_i16_e32 vcc, 0, v101
	v_cndmask_b32_e64 v5, v66, 0, vcc
	v_xor_b32_e32 v101, v5, v101
	v_cmp_ne_u16_e32 vcc, s68, v101
	v_cndmask_b32_e32 v5, v66, v101, vcc
	v_lshrrev_b32_sdwa v5, s77, v5 dst_sel:DWORD dst_unused:UNUSED_PAD src0_sel:DWORD src1_sel:WORD_0
	v_and_b32_e32 v20, s78, v5
	v_mul_u32_u24_e32 v5, 5, v20
	v_add_lshl_u32 v5, v5, v92, 2
	; wave barrier
	v_add_u32_e32 v103, 0x410, v5
	ds_read_b32 v102, v5 offset:1040
	v_and_b32_e32 v5, 1, v20
	v_add_co_u32_e32 v21, vcc, -1, v5
	v_addc_co_u32_e64 v105, s[36:37], 0, -1, vcc
	v_cmp_ne_u32_e32 vcc, 0, v5
	v_xor_b32_e32 v5, vcc_hi, v105
	v_and_b32_e32 v105, exec_hi, v5
	v_lshlrev_b32_e32 v5, 30, v20
	v_xor_b32_e32 v21, vcc_lo, v21
	v_cmp_gt_i64_e32 vcc, 0, v[4:5]
	v_not_b32_e32 v5, v5
	v_ashrrev_i32_e32 v5, 31, v5
	v_and_b32_e32 v21, exec_lo, v21
	v_xor_b32_e32 v107, vcc_hi, v5
	v_xor_b32_e32 v5, vcc_lo, v5
	v_and_b32_e32 v21, v21, v5
	v_lshlrev_b32_e32 v5, 29, v20
	v_cmp_gt_i64_e32 vcc, 0, v[4:5]
	v_not_b32_e32 v5, v5
	v_ashrrev_i32_e32 v5, 31, v5
	v_and_b32_e32 v105, v105, v107
	v_xor_b32_e32 v107, vcc_hi, v5
	v_xor_b32_e32 v5, vcc_lo, v5
	v_and_b32_e32 v21, v21, v5
	v_lshlrev_b32_e32 v5, 28, v20
	v_cmp_gt_i64_e32 vcc, 0, v[4:5]
	v_not_b32_e32 v5, v5
	v_ashrrev_i32_e32 v5, 31, v5
	v_and_b32_e32 v105, v105, v107
	;; [unrolled: 8-line block ×5, first 2 shown]
	v_xor_b32_e32 v107, vcc_hi, v5
	v_xor_b32_e32 v5, vcc_lo, v5
	v_and_b32_e32 v105, v105, v107
	v_and_b32_e32 v107, v21, v5
	v_lshlrev_b32_e32 v5, 24, v20
	v_cmp_gt_i64_e32 vcc, 0, v[4:5]
	v_not_b32_e32 v5, v5
	v_ashrrev_i32_e32 v5, 31, v5
	v_xor_b32_e32 v20, vcc_hi, v5
	v_xor_b32_e32 v5, vcc_lo, v5
	v_and_b32_e32 v21, v105, v20
	v_and_b32_e32 v20, v107, v5
	v_mbcnt_lo_u32_b32 v5, v20, 0
	v_mbcnt_hi_u32_b32 v105, v21, v5
	v_cmp_eq_u32_e32 vcc, 0, v105
	v_cmp_ne_u64_e64 s[36:37], 0, v[20:21]
	s_and_b64 s[38:39], s[36:37], vcc
	; wave barrier
	s_and_saveexec_b64 s[36:37], s[38:39]
	s_cbranch_execz .LBB1740_258
; %bb.257:                              ;   in Loop: Header=BB1740_232 Depth=2
	v_bcnt_u32_b32 v5, v20, 0
	v_bcnt_u32_b32 v5, v21, v5
	s_waitcnt lgkmcnt(0)
	v_add_u32_e32 v5, v102, v5
	ds_write_b32 v103, v5
.LBB1740_258:                           ;   in Loop: Header=BB1740_232 Depth=2
	s_or_b64 exec, exec, s[36:37]
	s_waitcnt vmcnt(3)
	v_cmp_gt_i16_e32 vcc, 0, v106
	v_cndmask_b32_e64 v5, v66, 0, vcc
	v_xor_b32_e32 v106, v5, v106
	v_cmp_ne_u16_e32 vcc, s68, v106
	v_cndmask_b32_e32 v5, v66, v106, vcc
	v_lshrrev_b32_sdwa v5, s77, v5 dst_sel:DWORD dst_unused:UNUSED_PAD src0_sel:DWORD src1_sel:WORD_0
	v_and_b32_e32 v20, s78, v5
	v_mul_u32_u24_e32 v5, 5, v20
	v_add_lshl_u32 v5, v5, v92, 2
	; wave barrier
	v_add_u32_e32 v108, 0x410, v5
	ds_read_b32 v107, v5 offset:1040
	v_and_b32_e32 v5, 1, v20
	v_add_co_u32_e32 v21, vcc, -1, v5
	v_addc_co_u32_e64 v110, s[36:37], 0, -1, vcc
	v_cmp_ne_u32_e32 vcc, 0, v5
	v_xor_b32_e32 v5, vcc_hi, v110
	v_and_b32_e32 v110, exec_hi, v5
	v_lshlrev_b32_e32 v5, 30, v20
	v_xor_b32_e32 v21, vcc_lo, v21
	v_cmp_gt_i64_e32 vcc, 0, v[4:5]
	v_not_b32_e32 v5, v5
	v_ashrrev_i32_e32 v5, 31, v5
	v_and_b32_e32 v21, exec_lo, v21
	v_xor_b32_e32 v111, vcc_hi, v5
	v_xor_b32_e32 v5, vcc_lo, v5
	v_and_b32_e32 v21, v21, v5
	v_lshlrev_b32_e32 v5, 29, v20
	v_cmp_gt_i64_e32 vcc, 0, v[4:5]
	v_not_b32_e32 v5, v5
	v_ashrrev_i32_e32 v5, 31, v5
	v_and_b32_e32 v110, v110, v111
	v_xor_b32_e32 v111, vcc_hi, v5
	v_xor_b32_e32 v5, vcc_lo, v5
	v_and_b32_e32 v21, v21, v5
	v_lshlrev_b32_e32 v5, 28, v20
	v_cmp_gt_i64_e32 vcc, 0, v[4:5]
	v_not_b32_e32 v5, v5
	v_ashrrev_i32_e32 v5, 31, v5
	v_and_b32_e32 v110, v110, v111
	;; [unrolled: 8-line block ×5, first 2 shown]
	v_xor_b32_e32 v111, vcc_hi, v5
	v_xor_b32_e32 v5, vcc_lo, v5
	v_and_b32_e32 v110, v110, v111
	v_and_b32_e32 v111, v21, v5
	v_lshlrev_b32_e32 v5, 24, v20
	v_cmp_gt_i64_e32 vcc, 0, v[4:5]
	v_not_b32_e32 v5, v5
	v_ashrrev_i32_e32 v5, 31, v5
	v_xor_b32_e32 v20, vcc_hi, v5
	v_xor_b32_e32 v5, vcc_lo, v5
	v_and_b32_e32 v21, v110, v20
	v_and_b32_e32 v20, v111, v5
	v_mbcnt_lo_u32_b32 v5, v20, 0
	v_mbcnt_hi_u32_b32 v110, v21, v5
	v_cmp_eq_u32_e32 vcc, 0, v110
	v_cmp_ne_u64_e64 s[36:37], 0, v[20:21]
	s_and_b64 s[38:39], s[36:37], vcc
	; wave barrier
	s_and_saveexec_b64 s[36:37], s[38:39]
	s_cbranch_execz .LBB1740_260
; %bb.259:                              ;   in Loop: Header=BB1740_232 Depth=2
	v_bcnt_u32_b32 v5, v20, 0
	v_bcnt_u32_b32 v5, v21, v5
	s_waitcnt lgkmcnt(0)
	v_add_u32_e32 v5, v107, v5
	ds_write_b32 v108, v5
.LBB1740_260:                           ;   in Loop: Header=BB1740_232 Depth=2
	s_or_b64 exec, exec, s[36:37]
	s_waitcnt vmcnt(2)
	v_cmp_gt_i16_e32 vcc, 0, v109
	v_cndmask_b32_e64 v5, v66, 0, vcc
	v_xor_b32_e32 v109, v5, v109
	v_cmp_ne_u16_e32 vcc, s68, v109
	v_cndmask_b32_e32 v5, v66, v109, vcc
	v_lshrrev_b32_sdwa v5, s77, v5 dst_sel:DWORD dst_unused:UNUSED_PAD src0_sel:DWORD src1_sel:WORD_0
	v_and_b32_e32 v20, s78, v5
	v_mul_u32_u24_e32 v5, 5, v20
	v_add_lshl_u32 v5, v5, v92, 2
	; wave barrier
	v_add_u32_e32 v112, 0x410, v5
	ds_read_b32 v111, v5 offset:1040
	v_and_b32_e32 v5, 1, v20
	v_add_co_u32_e32 v21, vcc, -1, v5
	v_addc_co_u32_e64 v113, s[36:37], 0, -1, vcc
	v_cmp_ne_u32_e32 vcc, 0, v5
	v_xor_b32_e32 v5, vcc_hi, v113
	v_and_b32_e32 v113, exec_hi, v5
	v_lshlrev_b32_e32 v5, 30, v20
	v_xor_b32_e32 v21, vcc_lo, v21
	v_cmp_gt_i64_e32 vcc, 0, v[4:5]
	v_not_b32_e32 v5, v5
	v_ashrrev_i32_e32 v5, 31, v5
	v_and_b32_e32 v21, exec_lo, v21
	v_xor_b32_e32 v114, vcc_hi, v5
	v_xor_b32_e32 v5, vcc_lo, v5
	v_and_b32_e32 v21, v21, v5
	v_lshlrev_b32_e32 v5, 29, v20
	v_cmp_gt_i64_e32 vcc, 0, v[4:5]
	v_not_b32_e32 v5, v5
	v_ashrrev_i32_e32 v5, 31, v5
	v_and_b32_e32 v113, v113, v114
	v_xor_b32_e32 v114, vcc_hi, v5
	v_xor_b32_e32 v5, vcc_lo, v5
	v_and_b32_e32 v21, v21, v5
	v_lshlrev_b32_e32 v5, 28, v20
	v_cmp_gt_i64_e32 vcc, 0, v[4:5]
	v_not_b32_e32 v5, v5
	v_ashrrev_i32_e32 v5, 31, v5
	v_and_b32_e32 v113, v113, v114
	;; [unrolled: 8-line block ×5, first 2 shown]
	v_xor_b32_e32 v114, vcc_hi, v5
	v_xor_b32_e32 v5, vcc_lo, v5
	v_and_b32_e32 v113, v113, v114
	v_and_b32_e32 v114, v21, v5
	v_lshlrev_b32_e32 v5, 24, v20
	v_cmp_gt_i64_e32 vcc, 0, v[4:5]
	v_not_b32_e32 v5, v5
	v_ashrrev_i32_e32 v5, 31, v5
	v_xor_b32_e32 v20, vcc_hi, v5
	v_xor_b32_e32 v5, vcc_lo, v5
	v_and_b32_e32 v21, v113, v20
	v_and_b32_e32 v20, v114, v5
	v_mbcnt_lo_u32_b32 v5, v20, 0
	v_mbcnt_hi_u32_b32 v113, v21, v5
	v_cmp_eq_u32_e32 vcc, 0, v113
	v_cmp_ne_u64_e64 s[36:37], 0, v[20:21]
	s_and_b64 s[38:39], s[36:37], vcc
	; wave barrier
	s_and_saveexec_b64 s[36:37], s[38:39]
	s_cbranch_execz .LBB1740_262
; %bb.261:                              ;   in Loop: Header=BB1740_232 Depth=2
	v_bcnt_u32_b32 v5, v20, 0
	v_bcnt_u32_b32 v5, v21, v5
	s_waitcnt lgkmcnt(0)
	v_add_u32_e32 v5, v111, v5
	ds_write_b32 v112, v5
.LBB1740_262:                           ;   in Loop: Header=BB1740_232 Depth=2
	s_or_b64 exec, exec, s[36:37]
	s_waitcnt vmcnt(1)
	v_cmp_gt_i16_e32 vcc, 0, v104
	v_cndmask_b32_e64 v5, v66, 0, vcc
	v_xor_b32_e32 v104, v5, v104
	v_cmp_ne_u16_e32 vcc, s68, v104
	v_cndmask_b32_e32 v5, v66, v104, vcc
	v_lshrrev_b32_sdwa v5, s77, v5 dst_sel:DWORD dst_unused:UNUSED_PAD src0_sel:DWORD src1_sel:WORD_0
	v_and_b32_e32 v20, s78, v5
	v_mul_u32_u24_e32 v5, 5, v20
	v_add_lshl_u32 v5, v5, v92, 2
	; wave barrier
	v_add_u32_e32 v115, 0x410, v5
	ds_read_b32 v114, v5 offset:1040
	v_and_b32_e32 v5, 1, v20
	v_add_co_u32_e32 v21, vcc, -1, v5
	v_addc_co_u32_e64 v116, s[36:37], 0, -1, vcc
	v_cmp_ne_u32_e32 vcc, 0, v5
	v_xor_b32_e32 v5, vcc_hi, v116
	v_and_b32_e32 v116, exec_hi, v5
	v_lshlrev_b32_e32 v5, 30, v20
	v_xor_b32_e32 v21, vcc_lo, v21
	v_cmp_gt_i64_e32 vcc, 0, v[4:5]
	v_not_b32_e32 v5, v5
	v_ashrrev_i32_e32 v5, 31, v5
	v_and_b32_e32 v21, exec_lo, v21
	v_xor_b32_e32 v117, vcc_hi, v5
	v_xor_b32_e32 v5, vcc_lo, v5
	v_and_b32_e32 v21, v21, v5
	v_lshlrev_b32_e32 v5, 29, v20
	v_cmp_gt_i64_e32 vcc, 0, v[4:5]
	v_not_b32_e32 v5, v5
	v_ashrrev_i32_e32 v5, 31, v5
	v_and_b32_e32 v116, v116, v117
	v_xor_b32_e32 v117, vcc_hi, v5
	v_xor_b32_e32 v5, vcc_lo, v5
	v_and_b32_e32 v21, v21, v5
	v_lshlrev_b32_e32 v5, 28, v20
	v_cmp_gt_i64_e32 vcc, 0, v[4:5]
	v_not_b32_e32 v5, v5
	v_ashrrev_i32_e32 v5, 31, v5
	v_and_b32_e32 v116, v116, v117
	;; [unrolled: 8-line block ×5, first 2 shown]
	v_xor_b32_e32 v117, vcc_hi, v5
	v_xor_b32_e32 v5, vcc_lo, v5
	v_and_b32_e32 v116, v116, v117
	v_and_b32_e32 v117, v21, v5
	v_lshlrev_b32_e32 v5, 24, v20
	v_cmp_gt_i64_e32 vcc, 0, v[4:5]
	v_not_b32_e32 v5, v5
	v_ashrrev_i32_e32 v5, 31, v5
	v_xor_b32_e32 v20, vcc_hi, v5
	v_xor_b32_e32 v5, vcc_lo, v5
	v_and_b32_e32 v21, v116, v20
	v_and_b32_e32 v20, v117, v5
	v_mbcnt_lo_u32_b32 v5, v20, 0
	v_mbcnt_hi_u32_b32 v116, v21, v5
	v_cmp_eq_u32_e32 vcc, 0, v116
	v_cmp_ne_u64_e64 s[36:37], 0, v[20:21]
	s_and_b64 s[38:39], s[36:37], vcc
	; wave barrier
	s_and_saveexec_b64 s[36:37], s[38:39]
	s_cbranch_execz .LBB1740_264
; %bb.263:                              ;   in Loop: Header=BB1740_232 Depth=2
	v_bcnt_u32_b32 v5, v20, 0
	v_bcnt_u32_b32 v5, v21, v5
	s_waitcnt lgkmcnt(0)
	v_add_u32_e32 v5, v114, v5
	ds_write_b32 v115, v5
.LBB1740_264:                           ;   in Loop: Header=BB1740_232 Depth=2
	s_or_b64 exec, exec, s[36:37]
	s_waitcnt vmcnt(0)
	v_cmp_gt_i16_e32 vcc, 0, v22
	v_cndmask_b32_e64 v5, v66, 0, vcc
	v_xor_b32_e32 v117, v5, v22
	v_cmp_ne_u16_e32 vcc, s68, v117
	v_cndmask_b32_e32 v5, v66, v117, vcc
	v_lshrrev_b32_sdwa v5, s77, v5 dst_sel:DWORD dst_unused:UNUSED_PAD src0_sel:DWORD src1_sel:WORD_0
	v_and_b32_e32 v20, s78, v5
	v_mul_u32_u24_e32 v5, 5, v20
	v_add_lshl_u32 v5, v5, v92, 2
	; wave barrier
	v_add_u32_e32 v119, 0x410, v5
	ds_read_b32 v118, v5 offset:1040
	v_and_b32_e32 v5, 1, v20
	v_add_co_u32_e32 v21, vcc, -1, v5
	v_addc_co_u32_e64 v22, s[36:37], 0, -1, vcc
	v_cmp_ne_u32_e32 vcc, 0, v5
	v_xor_b32_e32 v5, vcc_hi, v22
	v_and_b32_e32 v22, exec_hi, v5
	v_lshlrev_b32_e32 v5, 30, v20
	v_xor_b32_e32 v21, vcc_lo, v21
	v_cmp_gt_i64_e32 vcc, 0, v[4:5]
	v_not_b32_e32 v5, v5
	v_ashrrev_i32_e32 v5, 31, v5
	v_and_b32_e32 v21, exec_lo, v21
	v_xor_b32_e32 v120, vcc_hi, v5
	v_xor_b32_e32 v5, vcc_lo, v5
	v_and_b32_e32 v21, v21, v5
	v_lshlrev_b32_e32 v5, 29, v20
	v_cmp_gt_i64_e32 vcc, 0, v[4:5]
	v_not_b32_e32 v5, v5
	v_ashrrev_i32_e32 v5, 31, v5
	v_and_b32_e32 v22, v22, v120
	v_xor_b32_e32 v120, vcc_hi, v5
	v_xor_b32_e32 v5, vcc_lo, v5
	v_and_b32_e32 v21, v21, v5
	v_lshlrev_b32_e32 v5, 28, v20
	v_cmp_gt_i64_e32 vcc, 0, v[4:5]
	v_not_b32_e32 v5, v5
	v_ashrrev_i32_e32 v5, 31, v5
	v_and_b32_e32 v22, v22, v120
	;; [unrolled: 8-line block ×5, first 2 shown]
	v_xor_b32_e32 v120, vcc_hi, v5
	v_xor_b32_e32 v5, vcc_lo, v5
	v_and_b32_e32 v22, v22, v120
	v_and_b32_e32 v120, v21, v5
	v_lshlrev_b32_e32 v5, 24, v20
	v_cmp_gt_i64_e32 vcc, 0, v[4:5]
	v_not_b32_e32 v5, v5
	v_ashrrev_i32_e32 v5, 31, v5
	v_xor_b32_e32 v20, vcc_hi, v5
	v_xor_b32_e32 v5, vcc_lo, v5
	v_and_b32_e32 v21, v22, v20
	v_and_b32_e32 v20, v120, v5
	v_mbcnt_lo_u32_b32 v5, v20, 0
	v_mbcnt_hi_u32_b32 v120, v21, v5
	v_cmp_eq_u32_e32 vcc, 0, v120
	v_cmp_ne_u64_e64 s[36:37], 0, v[20:21]
	s_and_b64 s[38:39], s[36:37], vcc
	; wave barrier
	s_and_saveexec_b64 s[36:37], s[38:39]
	s_cbranch_execz .LBB1740_266
; %bb.265:                              ;   in Loop: Header=BB1740_232 Depth=2
	v_bcnt_u32_b32 v5, v20, 0
	v_bcnt_u32_b32 v5, v21, v5
	s_waitcnt lgkmcnt(0)
	v_add_u32_e32 v5, v118, v5
	ds_write_b32 v119, v5
.LBB1740_266:                           ;   in Loop: Header=BB1740_232 Depth=2
	s_or_b64 exec, exec, s[36:37]
	v_cmp_gt_i16_e32 vcc, 0, v23
	v_cndmask_b32_e64 v5, v66, 0, vcc
	v_xor_b32_e32 v121, v5, v23
	v_cmp_ne_u16_e32 vcc, s68, v121
	v_cndmask_b32_e32 v5, v66, v121, vcc
	v_lshrrev_b32_sdwa v5, s77, v5 dst_sel:DWORD dst_unused:UNUSED_PAD src0_sel:DWORD src1_sel:WORD_0
	v_and_b32_e32 v20, s78, v5
	v_mul_u32_u24_e32 v5, 5, v20
	v_add_lshl_u32 v5, v5, v92, 2
	; wave barrier
	v_add_u32_e32 v123, 0x410, v5
	ds_read_b32 v122, v5 offset:1040
	v_and_b32_e32 v5, 1, v20
	v_add_co_u32_e32 v21, vcc, -1, v5
	v_addc_co_u32_e64 v22, s[36:37], 0, -1, vcc
	v_cmp_ne_u32_e32 vcc, 0, v5
	v_xor_b32_e32 v5, vcc_hi, v22
	v_and_b32_e32 v22, exec_hi, v5
	v_lshlrev_b32_e32 v5, 30, v20
	v_xor_b32_e32 v21, vcc_lo, v21
	v_cmp_gt_i64_e32 vcc, 0, v[4:5]
	v_not_b32_e32 v5, v5
	v_ashrrev_i32_e32 v5, 31, v5
	v_and_b32_e32 v21, exec_lo, v21
	v_xor_b32_e32 v23, vcc_hi, v5
	v_xor_b32_e32 v5, vcc_lo, v5
	v_and_b32_e32 v21, v21, v5
	v_lshlrev_b32_e32 v5, 29, v20
	v_cmp_gt_i64_e32 vcc, 0, v[4:5]
	v_not_b32_e32 v5, v5
	v_ashrrev_i32_e32 v5, 31, v5
	v_and_b32_e32 v22, v22, v23
	v_xor_b32_e32 v23, vcc_hi, v5
	v_xor_b32_e32 v5, vcc_lo, v5
	v_and_b32_e32 v21, v21, v5
	v_lshlrev_b32_e32 v5, 28, v20
	v_cmp_gt_i64_e32 vcc, 0, v[4:5]
	v_not_b32_e32 v5, v5
	v_ashrrev_i32_e32 v5, 31, v5
	v_and_b32_e32 v22, v22, v23
	;; [unrolled: 8-line block ×5, first 2 shown]
	v_xor_b32_e32 v23, vcc_hi, v5
	v_xor_b32_e32 v5, vcc_lo, v5
	v_and_b32_e32 v22, v22, v23
	v_and_b32_e32 v23, v21, v5
	v_lshlrev_b32_e32 v5, 24, v20
	v_cmp_gt_i64_e32 vcc, 0, v[4:5]
	v_not_b32_e32 v5, v5
	v_ashrrev_i32_e32 v5, 31, v5
	v_xor_b32_e32 v20, vcc_hi, v5
	v_xor_b32_e32 v5, vcc_lo, v5
	v_and_b32_e32 v21, v22, v20
	v_and_b32_e32 v20, v23, v5
	v_mbcnt_lo_u32_b32 v5, v20, 0
	v_mbcnt_hi_u32_b32 v124, v21, v5
	v_cmp_eq_u32_e32 vcc, 0, v124
	v_cmp_ne_u64_e64 s[36:37], 0, v[20:21]
	s_and_b64 s[38:39], s[36:37], vcc
	; wave barrier
	s_and_saveexec_b64 s[36:37], s[38:39]
	s_cbranch_execz .LBB1740_268
; %bb.267:                              ;   in Loop: Header=BB1740_232 Depth=2
	v_bcnt_u32_b32 v5, v20, 0
	v_bcnt_u32_b32 v5, v21, v5
	s_waitcnt lgkmcnt(0)
	v_add_u32_e32 v5, v122, v5
	ds_write_b32 v123, v5
.LBB1740_268:                           ;   in Loop: Header=BB1740_232 Depth=2
	s_or_b64 exec, exec, s[36:37]
	; wave barrier
	s_waitcnt lgkmcnt(0)
	s_barrier
	ds_read_b32 v5, v41 offset:1040
	ds_read2_b32 v[22:23], v43 offset0:1 offset1:2
	ds_read2_b32 v[20:21], v43 offset0:3 offset1:4
	s_waitcnt lgkmcnt(1)
	v_add3_u32 v125, v22, v5, v23
	s_waitcnt lgkmcnt(0)
	v_add3_u32 v21, v125, v20, v21
	s_nop 1
	v_mov_b32_dpp v125, v21 row_shr:1 row_mask:0xf bank_mask:0xf
	v_cndmask_b32_e64 v125, v125, 0, s[16:17]
	v_add_u32_e32 v21, v125, v21
	s_nop 1
	v_mov_b32_dpp v125, v21 row_shr:2 row_mask:0xf bank_mask:0xf
	v_cndmask_b32_e64 v125, 0, v125, s[18:19]
	v_add_u32_e32 v21, v21, v125
	;; [unrolled: 4-line block ×4, first 2 shown]
	s_nop 1
	v_mov_b32_dpp v125, v21 row_bcast:15 row_mask:0xf bank_mask:0xf
	v_cndmask_b32_e64 v125, v125, 0, s[24:25]
	v_add_u32_e32 v21, v21, v125
	s_nop 1
	v_mov_b32_dpp v125, v21 row_bcast:31 row_mask:0xf bank_mask:0xf
	v_cndmask_b32_e64 v125, 0, v125, s[26:27]
	v_add_u32_e32 v21, v21, v125
	s_and_saveexec_b64 s[36:37], s[6:7]
	s_cbranch_execz .LBB1740_270
; %bb.269:                              ;   in Loop: Header=BB1740_232 Depth=2
	ds_write_b32 v34, v21 offset:1024
.LBB1740_270:                           ;   in Loop: Header=BB1740_232 Depth=2
	s_or_b64 exec, exec, s[36:37]
	s_waitcnt lgkmcnt(0)
	s_barrier
	s_and_saveexec_b64 s[36:37], s[8:9]
	s_cbranch_execz .LBB1740_272
; %bb.271:                              ;   in Loop: Header=BB1740_232 Depth=2
	ds_read_b32 v125, v44 offset:1024
	s_waitcnt lgkmcnt(0)
	s_nop 0
	v_mov_b32_dpp v126, v125 row_shr:1 row_mask:0xf bank_mask:0xf
	v_cndmask_b32_e64 v126, v126, 0, s[30:31]
	v_add_u32_e32 v125, v126, v125
	s_nop 1
	v_mov_b32_dpp v126, v125 row_shr:2 row_mask:0xf bank_mask:0xf
	v_cndmask_b32_e64 v126, 0, v126, s[34:35]
	v_add_u32_e32 v125, v125, v126
	ds_write_b32 v44, v125 offset:1024
.LBB1740_272:                           ;   in Loop: Header=BB1740_232 Depth=2
	s_or_b64 exec, exec, s[36:37]
	v_mov_b32_e32 v125, 0
	s_waitcnt lgkmcnt(0)
	s_barrier
	s_and_saveexec_b64 s[36:37], s[10:11]
	s_cbranch_execz .LBB1740_274
; %bb.273:                              ;   in Loop: Header=BB1740_232 Depth=2
	ds_read_b32 v125, v34 offset:1020
.LBB1740_274:                           ;   in Loop: Header=BB1740_232 Depth=2
	s_or_b64 exec, exec, s[36:37]
	s_waitcnt lgkmcnt(0)
	v_add_u32_e32 v21, v125, v21
	ds_bpermute_b32 v21, v69, v21
	s_waitcnt lgkmcnt(0)
	v_cndmask_b32_e64 v21, v21, v125, s[28:29]
	v_cndmask_b32_e64 v21, v21, 0, s[12:13]
	v_add_u32_e32 v5, v21, v5
	ds_write_b32 v41, v21 offset:1040
	v_add_u32_e32 v21, v5, v22
	v_add_u32_e32 v22, v21, v23
	ds_write2_b32 v43, v5, v21 offset0:1 offset1:2
	v_add_u32_e32 v5, v22, v20
	ds_write2_b32 v43, v22, v5 offset0:3 offset1:4
	s_waitcnt lgkmcnt(0)
	s_barrier
	ds_read_b32 v20, v99
	ds_read_b32 v21, v103
	;; [unrolled: 1-line block ×8, first 2 shown]
	ds_read_b32 v99, v41 offset:1040
	v_mov_b32_e32 v5, 0x800
	s_and_saveexec_b64 s[36:37], s[14:15]
	s_cbranch_execz .LBB1740_276
; %bb.275:                              ;   in Loop: Header=BB1740_232 Depth=2
	ds_read_b32 v5, v41 offset:1060
.LBB1740_276:                           ;   in Loop: Header=BB1740_232 Depth=2
	s_or_b64 exec, exec, s[36:37]
	s_waitcnt lgkmcnt(0)
	s_barrier
	s_and_saveexec_b64 s[36:37], s[4:5]
	s_cbranch_execz .LBB1740_278
; %bb.277:                              ;   in Loop: Header=BB1740_232 Depth=2
	ds_read_b32 v103, v3
	s_waitcnt lgkmcnt(0)
	v_sub_u32_e32 v99, v103, v99
	ds_write_b32 v3, v99
.LBB1740_278:                           ;   in Loop: Header=BB1740_232 Depth=2
	s_or_b64 exec, exec, s[36:37]
	v_add_u32_e32 v103, v95, v96
	v_add3_u32 v100, v100, v98, v20
	v_lshlrev_b32_e32 v20, 1, v103
	v_add3_u32 v99, v105, v102, v21
	ds_write_b16 v20, v94 offset:1024
	v_lshlrev_b32_e32 v20, 1, v100
	v_add3_u32 v98, v110, v107, v22
	ds_write_b16 v20, v97 offset:1024
	;; [unrolled: 3-line block ×6, first 2 shown]
	v_lshlrev_b32_e32 v20, 1, v23
	ds_write_b16 v20, v117 offset:1024
	v_lshlrev_b32_e32 v20, 1, v22
	v_cmp_lt_u32_e32 vcc, v2, v93
	ds_write_b16 v20, v121 offset:1024
	s_waitcnt lgkmcnt(0)
	s_barrier
	s_and_saveexec_b64 s[38:39], vcc
	s_cbranch_execz .LBB1740_286
; %bb.279:                              ;   in Loop: Header=BB1740_232 Depth=2
	ds_read_u16 v20, v49 offset:1024
	v_mov_b32_e32 v21, v4
	v_mov_b32_e32 v97, s61
	s_waitcnt lgkmcnt(0)
	v_cmp_ne_u16_e64 s[36:37], s68, v20
	v_cndmask_b32_e64 v94, v66, v20, s[36:37]
	v_lshrrev_b32_sdwa v94, s77, v94 dst_sel:DWORD dst_unused:UNUSED_PAD src0_sel:DWORD src1_sel:WORD_0
	v_and_b32_e32 v94, s78, v94
	v_lshlrev_b32_e32 v94, 2, v94
	ds_read_b32 v94, v94
	v_cmp_gt_i16_e64 s[36:37], 0, v20
	v_cndmask_b32_e64 v101, v66, 0, s[36:37]
	v_xor_b32_e32 v101, v101, v20
	s_waitcnt lgkmcnt(0)
	v_add_u32_e32 v20, v94, v2
	v_lshlrev_b64 v[20:21], 1, v[20:21]
	v_add_co_u32_e64 v20, s[36:37], s60, v20
	v_addc_co_u32_e64 v21, s[36:37], v97, v21, s[36:37]
	global_store_short v[20:21], v101, off
	s_or_b64 exec, exec, s[38:39]
	v_cmp_lt_u32_e64 s[36:37], v24, v93
	s_and_saveexec_b64 s[40:41], s[36:37]
	s_cbranch_execnz .LBB1740_287
.LBB1740_280:                           ;   in Loop: Header=BB1740_232 Depth=2
	s_or_b64 exec, exec, s[40:41]
	v_cmp_lt_u32_e64 s[38:39], v25, v93
	s_and_saveexec_b64 s[42:43], s[38:39]
	s_cbranch_execz .LBB1740_288
.LBB1740_281:                           ;   in Loop: Header=BB1740_232 Depth=2
	ds_read_u16 v20, v50 offset:1024
	v_mov_b32_e32 v21, v4
	v_mov_b32_e32 v97, s61
	s_waitcnt lgkmcnt(0)
	v_cmp_ne_u16_e64 s[40:41], s68, v20
	v_cndmask_b32_e64 v94, v66, v20, s[40:41]
	v_lshrrev_b32_sdwa v94, s77, v94 dst_sel:DWORD dst_unused:UNUSED_PAD src0_sel:DWORD src1_sel:WORD_0
	v_and_b32_e32 v94, s78, v94
	v_lshlrev_b32_e32 v94, 2, v94
	ds_read_b32 v94, v94
	v_cmp_gt_i16_e64 s[40:41], 0, v20
	v_cndmask_b32_e64 v101, v66, 0, s[40:41]
	v_xor_b32_e32 v101, v101, v20
	s_waitcnt lgkmcnt(0)
	v_add_u32_e32 v20, v94, v25
	v_lshlrev_b64 v[20:21], 1, v[20:21]
	v_add_co_u32_e64 v20, s[40:41], s60, v20
	v_addc_co_u32_e64 v21, s[40:41], v97, v21, s[40:41]
	global_store_short v[20:21], v101, off
	s_or_b64 exec, exec, s[42:43]
	v_cmp_lt_u32_e64 s[40:41], v26, v93
	s_and_saveexec_b64 s[44:45], s[40:41]
	s_cbranch_execnz .LBB1740_289
.LBB1740_282:                           ;   in Loop: Header=BB1740_232 Depth=2
	s_or_b64 exec, exec, s[44:45]
	v_cmp_lt_u32_e64 s[42:43], v29, v93
	s_and_saveexec_b64 s[46:47], s[42:43]
	s_cbranch_execz .LBB1740_290
.LBB1740_283:                           ;   in Loop: Header=BB1740_232 Depth=2
	ds_read_u16 v20, v50 offset:2048
	v_mov_b32_e32 v21, v4
	v_mov_b32_e32 v97, s61
	s_waitcnt lgkmcnt(0)
	v_cmp_ne_u16_e64 s[44:45], s68, v20
	v_cndmask_b32_e64 v94, v66, v20, s[44:45]
	v_lshrrev_b32_sdwa v94, s77, v94 dst_sel:DWORD dst_unused:UNUSED_PAD src0_sel:DWORD src1_sel:WORD_0
	v_and_b32_e32 v94, s78, v94
	v_lshlrev_b32_e32 v94, 2, v94
	ds_read_b32 v94, v94
	v_cmp_gt_i16_e64 s[44:45], 0, v20
	v_cndmask_b32_e64 v101, v66, 0, s[44:45]
	v_xor_b32_e32 v101, v101, v20
	s_waitcnt lgkmcnt(0)
	v_add_u32_e32 v20, v94, v29
	v_lshlrev_b64 v[20:21], 1, v[20:21]
	v_add_co_u32_e64 v20, s[44:45], s60, v20
	v_addc_co_u32_e64 v21, s[44:45], v97, v21, s[44:45]
	global_store_short v[20:21], v101, off
	s_or_b64 exec, exec, s[46:47]
	v_cmp_lt_u32_e64 s[44:45], v30, v93
	s_and_saveexec_b64 s[48:49], s[44:45]
	s_cbranch_execnz .LBB1740_291
.LBB1740_284:                           ;   in Loop: Header=BB1740_232 Depth=2
	s_or_b64 exec, exec, s[48:49]
	v_cmp_lt_u32_e64 s[46:47], v31, v93
	s_and_saveexec_b64 s[52:53], s[46:47]
	s_cbranch_execz .LBB1740_292
.LBB1740_285:                           ;   in Loop: Header=BB1740_232 Depth=2
	ds_read_u16 v20, v50 offset:3072
	v_mov_b32_e32 v21, v4
	v_mov_b32_e32 v97, s61
	s_waitcnt lgkmcnt(0)
	v_cmp_ne_u16_e64 s[48:49], s68, v20
	v_cndmask_b32_e64 v94, v66, v20, s[48:49]
	v_lshrrev_b32_sdwa v94, s77, v94 dst_sel:DWORD dst_unused:UNUSED_PAD src0_sel:DWORD src1_sel:WORD_0
	v_and_b32_e32 v94, s78, v94
	v_lshlrev_b32_e32 v94, 2, v94
	ds_read_b32 v94, v94
	v_cmp_gt_i16_e64 s[48:49], 0, v20
	v_cndmask_b32_e64 v101, v66, 0, s[48:49]
	v_xor_b32_e32 v101, v101, v20
	s_waitcnt lgkmcnt(0)
	v_add_u32_e32 v20, v94, v31
	v_lshlrev_b64 v[20:21], 1, v[20:21]
	v_add_co_u32_e64 v20, s[48:49], s60, v20
	v_addc_co_u32_e64 v21, s[48:49], v97, v21, s[48:49]
	global_store_short v[20:21], v101, off
	s_or_b64 exec, exec, s[52:53]
	v_cmp_lt_u32_e64 s[48:49], v32, v93
	s_and_saveexec_b64 s[62:63], s[48:49]
	s_cbranch_execnz .LBB1740_293
	s_branch .LBB1740_294
.LBB1740_286:                           ;   in Loop: Header=BB1740_232 Depth=2
	s_or_b64 exec, exec, s[38:39]
	v_cmp_lt_u32_e64 s[36:37], v24, v93
	s_and_saveexec_b64 s[40:41], s[36:37]
	s_cbranch_execz .LBB1740_280
.LBB1740_287:                           ;   in Loop: Header=BB1740_232 Depth=2
	ds_read_u16 v20, v50 offset:512
	v_mov_b32_e32 v21, v4
	v_mov_b32_e32 v97, s61
	s_waitcnt lgkmcnt(0)
	v_cmp_ne_u16_e64 s[38:39], s68, v20
	v_cndmask_b32_e64 v94, v66, v20, s[38:39]
	v_lshrrev_b32_sdwa v94, s77, v94 dst_sel:DWORD dst_unused:UNUSED_PAD src0_sel:DWORD src1_sel:WORD_0
	v_and_b32_e32 v94, s78, v94
	v_lshlrev_b32_e32 v94, 2, v94
	ds_read_b32 v94, v94
	v_cmp_gt_i16_e64 s[38:39], 0, v20
	v_cndmask_b32_e64 v101, v66, 0, s[38:39]
	v_xor_b32_e32 v101, v101, v20
	s_waitcnt lgkmcnt(0)
	v_add_u32_e32 v20, v94, v24
	v_lshlrev_b64 v[20:21], 1, v[20:21]
	v_add_co_u32_e64 v20, s[38:39], s60, v20
	v_addc_co_u32_e64 v21, s[38:39], v97, v21, s[38:39]
	global_store_short v[20:21], v101, off
	s_or_b64 exec, exec, s[40:41]
	v_cmp_lt_u32_e64 s[38:39], v25, v93
	s_and_saveexec_b64 s[42:43], s[38:39]
	s_cbranch_execnz .LBB1740_281
.LBB1740_288:                           ;   in Loop: Header=BB1740_232 Depth=2
	s_or_b64 exec, exec, s[42:43]
	v_cmp_lt_u32_e64 s[40:41], v26, v93
	s_and_saveexec_b64 s[44:45], s[40:41]
	s_cbranch_execz .LBB1740_282
.LBB1740_289:                           ;   in Loop: Header=BB1740_232 Depth=2
	ds_read_u16 v20, v50 offset:1536
	v_mov_b32_e32 v21, v4
	v_mov_b32_e32 v97, s61
	s_waitcnt lgkmcnt(0)
	v_cmp_ne_u16_e64 s[42:43], s68, v20
	v_cndmask_b32_e64 v94, v66, v20, s[42:43]
	v_lshrrev_b32_sdwa v94, s77, v94 dst_sel:DWORD dst_unused:UNUSED_PAD src0_sel:DWORD src1_sel:WORD_0
	v_and_b32_e32 v94, s78, v94
	v_lshlrev_b32_e32 v94, 2, v94
	ds_read_b32 v94, v94
	v_cmp_gt_i16_e64 s[42:43], 0, v20
	v_cndmask_b32_e64 v101, v66, 0, s[42:43]
	v_xor_b32_e32 v101, v101, v20
	s_waitcnt lgkmcnt(0)
	v_add_u32_e32 v20, v94, v26
	v_lshlrev_b64 v[20:21], 1, v[20:21]
	v_add_co_u32_e64 v20, s[42:43], s60, v20
	v_addc_co_u32_e64 v21, s[42:43], v97, v21, s[42:43]
	global_store_short v[20:21], v101, off
	s_or_b64 exec, exec, s[44:45]
	v_cmp_lt_u32_e64 s[42:43], v29, v93
	s_and_saveexec_b64 s[46:47], s[42:43]
	s_cbranch_execnz .LBB1740_283
.LBB1740_290:                           ;   in Loop: Header=BB1740_232 Depth=2
	s_or_b64 exec, exec, s[46:47]
	v_cmp_lt_u32_e64 s[44:45], v30, v93
	s_and_saveexec_b64 s[48:49], s[44:45]
	s_cbranch_execz .LBB1740_284
.LBB1740_291:                           ;   in Loop: Header=BB1740_232 Depth=2
	ds_read_u16 v20, v50 offset:2560
	v_mov_b32_e32 v21, v4
	v_mov_b32_e32 v97, s61
	s_waitcnt lgkmcnt(0)
	v_cmp_ne_u16_e64 s[46:47], s68, v20
	v_cndmask_b32_e64 v94, v66, v20, s[46:47]
	v_lshrrev_b32_sdwa v94, s77, v94 dst_sel:DWORD dst_unused:UNUSED_PAD src0_sel:DWORD src1_sel:WORD_0
	v_and_b32_e32 v94, s78, v94
	v_lshlrev_b32_e32 v94, 2, v94
	ds_read_b32 v94, v94
	v_cmp_gt_i16_e64 s[46:47], 0, v20
	v_cndmask_b32_e64 v101, v66, 0, s[46:47]
	v_xor_b32_e32 v101, v101, v20
	s_waitcnt lgkmcnt(0)
	v_add_u32_e32 v20, v94, v30
	v_lshlrev_b64 v[20:21], 1, v[20:21]
	v_add_co_u32_e64 v20, s[46:47], s60, v20
	v_addc_co_u32_e64 v21, s[46:47], v97, v21, s[46:47]
	global_store_short v[20:21], v101, off
	s_or_b64 exec, exec, s[48:49]
	v_cmp_lt_u32_e64 s[46:47], v31, v93
	s_and_saveexec_b64 s[52:53], s[46:47]
	s_cbranch_execnz .LBB1740_285
.LBB1740_292:                           ;   in Loop: Header=BB1740_232 Depth=2
	s_or_b64 exec, exec, s[52:53]
	v_cmp_lt_u32_e64 s[48:49], v32, v93
	s_and_saveexec_b64 s[62:63], s[48:49]
	s_cbranch_execz .LBB1740_294
.LBB1740_293:                           ;   in Loop: Header=BB1740_232 Depth=2
	ds_read_u16 v20, v50 offset:3584
	v_mov_b32_e32 v21, v4
	v_mov_b32_e32 v97, s61
	s_waitcnt lgkmcnt(0)
	v_cmp_ne_u16_e64 s[52:53], s68, v20
	v_cndmask_b32_e64 v94, v66, v20, s[52:53]
	v_lshrrev_b32_sdwa v94, s77, v94 dst_sel:DWORD dst_unused:UNUSED_PAD src0_sel:DWORD src1_sel:WORD_0
	v_and_b32_e32 v94, s78, v94
	v_lshlrev_b32_e32 v94, 2, v94
	ds_read_b32 v94, v94
	v_cmp_gt_i16_e64 s[52:53], 0, v20
	v_cndmask_b32_e64 v101, v66, 0, s[52:53]
	v_xor_b32_e32 v101, v101, v20
	s_waitcnt lgkmcnt(0)
	v_add_u32_e32 v20, v94, v32
	v_lshlrev_b64 v[20:21], 1, v[20:21]
	v_add_co_u32_e64 v20, s[52:53], s60, v20
	v_addc_co_u32_e64 v21, s[52:53], v97, v21, s[52:53]
	global_store_short v[20:21], v101, off
.LBB1740_294:                           ;   in Loop: Header=BB1740_232 Depth=2
	s_or_b64 exec, exec, s[62:63]
	s_lshl_b64 s[52:53], s[72:73], 3
	v_mov_b32_e32 v21, s53
	v_add_co_u32_e64 v20, s[52:53], s52, v77
	v_addc_co_u32_e64 v21, s[52:53], v79, v21, s[52:53]
	v_cmp_lt_u32_e64 s[52:53], v74, v93
	s_and_saveexec_b64 s[62:63], s[52:53]
	s_xor_b64 s[52:53], exec, s[62:63]
	s_cbranch_execz .LBB1740_310
; %bb.295:                              ;   in Loop: Header=BB1740_232 Depth=2
	global_load_dwordx2 v[18:19], v[20:21], off
	s_or_b64 exec, exec, s[52:53]
	v_cmp_lt_u32_e64 s[52:53], v81, v93
	s_and_saveexec_b64 s[62:63], s[52:53]
	s_cbranch_execnz .LBB1740_311
.LBB1740_296:                           ;   in Loop: Header=BB1740_232 Depth=2
	s_or_b64 exec, exec, s[62:63]
	v_cmp_lt_u32_e64 s[52:53], v82, v93
	s_and_saveexec_b64 s[62:63], s[52:53]
	s_cbranch_execz .LBB1740_312
.LBB1740_297:                           ;   in Loop: Header=BB1740_232 Depth=2
	global_load_dwordx2 v[14:15], v[20:21], off offset:1024
	s_or_b64 exec, exec, s[62:63]
	v_cmp_lt_u32_e64 s[52:53], v83, v93
	s_and_saveexec_b64 s[62:63], s[52:53]
	s_cbranch_execnz .LBB1740_313
.LBB1740_298:                           ;   in Loop: Header=BB1740_232 Depth=2
	s_or_b64 exec, exec, s[62:63]
	v_cmp_lt_u32_e64 s[52:53], v84, v93
	s_and_saveexec_b64 s[62:63], s[52:53]
	s_cbranch_execz .LBB1740_314
.LBB1740_299:                           ;   in Loop: Header=BB1740_232 Depth=2
	global_load_dwordx2 v[10:11], v[20:21], off offset:2048
	s_or_b64 exec, exec, s[62:63]
	v_cmp_lt_u32_e64 s[52:53], v85, v93
	s_and_saveexec_b64 s[62:63], s[52:53]
	s_cbranch_execnz .LBB1740_315
.LBB1740_300:                           ;   in Loop: Header=BB1740_232 Depth=2
	s_or_b64 exec, exec, s[62:63]
	v_cmp_lt_u32_e64 s[52:53], v86, v93
	s_and_saveexec_b64 s[62:63], s[52:53]
	s_cbranch_execz .LBB1740_316
.LBB1740_301:                           ;   in Loop: Header=BB1740_232 Depth=2
	global_load_dwordx2 v[6:7], v[20:21], off offset:3072
	s_or_b64 exec, exec, s[62:63]
	v_cmp_lt_u32_e64 s[52:53], v87, v93
	s_and_saveexec_b64 s[62:63], s[52:53]
	s_cbranch_execnz .LBB1740_317
.LBB1740_302:                           ;   in Loop: Header=BB1740_232 Depth=2
	s_or_b64 exec, exec, s[62:63]
	s_and_saveexec_b64 s[62:63], vcc
	s_cbranch_execz .LBB1740_318
.LBB1740_303:                           ;   in Loop: Header=BB1740_232 Depth=2
	ds_read_u16 v20, v49 offset:1024
	s_waitcnt lgkmcnt(0)
	v_cmp_ne_u16_e64 s[52:53], s68, v20
	v_cndmask_b32_e64 v20, v66, v20, s[52:53]
	v_lshrrev_b32_sdwa v20, s77, v20 dst_sel:DWORD dst_unused:UNUSED_PAD src0_sel:DWORD src1_sel:WORD_0
	v_and_b32_e32 v80, s78, v20
	s_or_b64 exec, exec, s[62:63]
	s_and_saveexec_b64 s[62:63], s[36:37]
	s_cbranch_execnz .LBB1740_319
.LBB1740_304:                           ;   in Loop: Header=BB1740_232 Depth=2
	s_or_b64 exec, exec, s[62:63]
	s_and_saveexec_b64 s[62:63], s[38:39]
	s_cbranch_execz .LBB1740_320
.LBB1740_305:                           ;   in Loop: Header=BB1740_232 Depth=2
	ds_read_u16 v20, v50 offset:1024
	s_waitcnt lgkmcnt(0)
	v_cmp_ne_u16_e64 s[52:53], s68, v20
	v_cndmask_b32_e64 v20, v66, v20, s[52:53]
	v_lshrrev_b32_sdwa v20, s77, v20 dst_sel:DWORD dst_unused:UNUSED_PAD src0_sel:DWORD src1_sel:WORD_0
	v_and_b32_e32 v76, s78, v20
	s_or_b64 exec, exec, s[62:63]
	s_and_saveexec_b64 s[62:63], s[40:41]
	s_cbranch_execnz .LBB1740_321
.LBB1740_306:                           ;   in Loop: Header=BB1740_232 Depth=2
	s_or_b64 exec, exec, s[62:63]
	s_and_saveexec_b64 s[62:63], s[42:43]
	s_cbranch_execz .LBB1740_322
.LBB1740_307:                           ;   in Loop: Header=BB1740_232 Depth=2
	ds_read_u16 v20, v50 offset:2048
	s_waitcnt lgkmcnt(0)
	v_cmp_ne_u16_e64 s[52:53], s68, v20
	v_cndmask_b32_e64 v20, v66, v20, s[52:53]
	v_lshrrev_b32_sdwa v20, s77, v20 dst_sel:DWORD dst_unused:UNUSED_PAD src0_sel:DWORD src1_sel:WORD_0
	v_and_b32_e32 v73, s78, v20
	s_or_b64 exec, exec, s[62:63]
	s_and_saveexec_b64 s[62:63], s[44:45]
	s_cbranch_execnz .LBB1740_323
.LBB1740_308:                           ;   in Loop: Header=BB1740_232 Depth=2
	s_or_b64 exec, exec, s[62:63]
	s_and_saveexec_b64 s[62:63], s[46:47]
	s_cbranch_execz .LBB1740_324
.LBB1740_309:                           ;   in Loop: Header=BB1740_232 Depth=2
	ds_read_u16 v20, v50 offset:3072
	s_waitcnt lgkmcnt(0)
	v_cmp_ne_u16_e64 s[52:53], s68, v20
	v_cndmask_b32_e64 v20, v66, v20, s[52:53]
	v_lshrrev_b32_sdwa v20, s77, v20 dst_sel:DWORD dst_unused:UNUSED_PAD src0_sel:DWORD src1_sel:WORD_0
	v_and_b32_e32 v71, s78, v20
	s_or_b64 exec, exec, s[62:63]
	s_and_saveexec_b64 s[62:63], s[48:49]
	s_cbranch_execnz .LBB1740_325
	s_branch .LBB1740_326
.LBB1740_310:                           ;   in Loop: Header=BB1740_232 Depth=2
	s_or_b64 exec, exec, s[52:53]
	v_cmp_lt_u32_e64 s[52:53], v81, v93
	s_and_saveexec_b64 s[62:63], s[52:53]
	s_cbranch_execz .LBB1740_296
.LBB1740_311:                           ;   in Loop: Header=BB1740_232 Depth=2
	global_load_dwordx2 v[16:17], v[20:21], off offset:512
	s_or_b64 exec, exec, s[62:63]
	v_cmp_lt_u32_e64 s[52:53], v82, v93
	s_and_saveexec_b64 s[62:63], s[52:53]
	s_cbranch_execnz .LBB1740_297
.LBB1740_312:                           ;   in Loop: Header=BB1740_232 Depth=2
	s_or_b64 exec, exec, s[62:63]
	v_cmp_lt_u32_e64 s[52:53], v83, v93
	s_and_saveexec_b64 s[62:63], s[52:53]
	s_cbranch_execz .LBB1740_298
.LBB1740_313:                           ;   in Loop: Header=BB1740_232 Depth=2
	global_load_dwordx2 v[12:13], v[20:21], off offset:1536
	s_or_b64 exec, exec, s[62:63]
	v_cmp_lt_u32_e64 s[52:53], v84, v93
	s_and_saveexec_b64 s[62:63], s[52:53]
	s_cbranch_execnz .LBB1740_299
.LBB1740_314:                           ;   in Loop: Header=BB1740_232 Depth=2
	s_or_b64 exec, exec, s[62:63]
	v_cmp_lt_u32_e64 s[52:53], v85, v93
	s_and_saveexec_b64 s[62:63], s[52:53]
	s_cbranch_execz .LBB1740_300
.LBB1740_315:                           ;   in Loop: Header=BB1740_232 Depth=2
	global_load_dwordx2 v[8:9], v[20:21], off offset:2560
	s_or_b64 exec, exec, s[62:63]
	v_cmp_lt_u32_e64 s[52:53], v86, v93
	s_and_saveexec_b64 s[62:63], s[52:53]
	s_cbranch_execnz .LBB1740_301
.LBB1740_316:                           ;   in Loop: Header=BB1740_232 Depth=2
	s_or_b64 exec, exec, s[62:63]
	v_cmp_lt_u32_e64 s[52:53], v87, v93
	s_and_saveexec_b64 s[62:63], s[52:53]
	s_cbranch_execz .LBB1740_302
.LBB1740_317:                           ;   in Loop: Header=BB1740_232 Depth=2
	global_load_dwordx2 v[0:1], v[20:21], off offset:3584
	s_or_b64 exec, exec, s[62:63]
	s_and_saveexec_b64 s[62:63], vcc
	s_cbranch_execnz .LBB1740_303
.LBB1740_318:                           ;   in Loop: Header=BB1740_232 Depth=2
	s_or_b64 exec, exec, s[62:63]
	s_and_saveexec_b64 s[62:63], s[36:37]
	s_cbranch_execz .LBB1740_304
.LBB1740_319:                           ;   in Loop: Header=BB1740_232 Depth=2
	ds_read_u16 v20, v50 offset:512
	s_waitcnt lgkmcnt(0)
	v_cmp_ne_u16_e64 s[52:53], s68, v20
	v_cndmask_b32_e64 v20, v66, v20, s[52:53]
	v_lshrrev_b32_sdwa v20, s77, v20 dst_sel:DWORD dst_unused:UNUSED_PAD src0_sel:DWORD src1_sel:WORD_0
	v_and_b32_e32 v78, s78, v20
	s_or_b64 exec, exec, s[62:63]
	s_and_saveexec_b64 s[62:63], s[38:39]
	s_cbranch_execnz .LBB1740_305
.LBB1740_320:                           ;   in Loop: Header=BB1740_232 Depth=2
	s_or_b64 exec, exec, s[62:63]
	s_and_saveexec_b64 s[62:63], s[40:41]
	s_cbranch_execz .LBB1740_306
.LBB1740_321:                           ;   in Loop: Header=BB1740_232 Depth=2
	ds_read_u16 v20, v50 offset:1536
	s_waitcnt lgkmcnt(0)
	v_cmp_ne_u16_e64 s[52:53], s68, v20
	v_cndmask_b32_e64 v20, v66, v20, s[52:53]
	v_lshrrev_b32_sdwa v20, s77, v20 dst_sel:DWORD dst_unused:UNUSED_PAD src0_sel:DWORD src1_sel:WORD_0
	v_and_b32_e32 v75, s78, v20
	s_or_b64 exec, exec, s[62:63]
	s_and_saveexec_b64 s[62:63], s[42:43]
	s_cbranch_execnz .LBB1740_307
.LBB1740_322:                           ;   in Loop: Header=BB1740_232 Depth=2
	s_or_b64 exec, exec, s[62:63]
	s_and_saveexec_b64 s[62:63], s[44:45]
	s_cbranch_execz .LBB1740_308
.LBB1740_323:                           ;   in Loop: Header=BB1740_232 Depth=2
	ds_read_u16 v20, v50 offset:2560
	s_waitcnt lgkmcnt(0)
	v_cmp_ne_u16_e64 s[52:53], s68, v20
	v_cndmask_b32_e64 v20, v66, v20, s[52:53]
	v_lshrrev_b32_sdwa v20, s77, v20 dst_sel:DWORD dst_unused:UNUSED_PAD src0_sel:DWORD src1_sel:WORD_0
	v_and_b32_e32 v72, s78, v20
	s_or_b64 exec, exec, s[62:63]
	s_and_saveexec_b64 s[62:63], s[46:47]
	s_cbranch_execnz .LBB1740_309
.LBB1740_324:                           ;   in Loop: Header=BB1740_232 Depth=2
	s_or_b64 exec, exec, s[62:63]
	s_and_saveexec_b64 s[62:63], s[48:49]
	s_cbranch_execz .LBB1740_326
.LBB1740_325:                           ;   in Loop: Header=BB1740_232 Depth=2
	ds_read_u16 v20, v50 offset:3584
	s_waitcnt lgkmcnt(0)
	v_cmp_ne_u16_e64 s[52:53], s68, v20
	v_cndmask_b32_e64 v20, v66, v20, s[52:53]
	v_lshrrev_b32_sdwa v20, s77, v20 dst_sel:DWORD dst_unused:UNUSED_PAD src0_sel:DWORD src1_sel:WORD_0
	v_and_b32_e32 v70, s78, v20
.LBB1740_326:                           ;   in Loop: Header=BB1740_232 Depth=2
	s_or_b64 exec, exec, s[62:63]
	v_lshlrev_b32_e32 v20, 3, v103
	s_barrier
	s_waitcnt vmcnt(0)
	ds_write_b64 v20, v[18:19] offset:1024
	v_lshlrev_b32_e32 v20, 3, v100
	ds_write_b64 v20, v[16:17] offset:1024
	v_lshlrev_b32_e32 v20, 3, v99
	;; [unrolled: 2-line block ×7, first 2 shown]
	ds_write_b64 v20, v[0:1] offset:1024
	s_waitcnt lgkmcnt(0)
	s_barrier
	s_and_saveexec_b64 s[52:53], vcc
	s_cbranch_execz .LBB1740_334
; %bb.327:                              ;   in Loop: Header=BB1740_232 Depth=2
	v_lshlrev_b32_e32 v20, 2, v80
	ds_read_b32 v20, v20
	v_add_u32_e32 v22, v49, v51
	ds_read_b64 v[22:23], v22 offset:1024
	v_mov_b32_e32 v21, v4
	v_mov_b32_e32 v93, s67
	s_waitcnt lgkmcnt(1)
	v_add_u32_e32 v20, v20, v2
	v_lshlrev_b64 v[20:21], 3, v[20:21]
	v_add_co_u32_e32 v20, vcc, s66, v20
	v_addc_co_u32_e32 v21, vcc, v93, v21, vcc
	s_waitcnt lgkmcnt(0)
	global_store_dwordx2 v[20:21], v[22:23], off
	s_or_b64 exec, exec, s[52:53]
	s_and_saveexec_b64 s[52:53], s[36:37]
	s_cbranch_execnz .LBB1740_335
.LBB1740_328:                           ;   in Loop: Header=BB1740_232 Depth=2
	s_or_b64 exec, exec, s[52:53]
	s_and_saveexec_b64 s[36:37], s[38:39]
	s_cbranch_execz .LBB1740_336
.LBB1740_329:                           ;   in Loop: Header=BB1740_232 Depth=2
	v_lshlrev_b32_e32 v20, 2, v76
	ds_read_b32 v22, v20
	v_add_u32_e32 v20, v50, v51
	ds_read_b64 v[20:21], v20 offset:4096
	v_mov_b32_e32 v23, v4
	v_mov_b32_e32 v93, s67
	s_waitcnt lgkmcnt(1)
	v_add_u32_e32 v22, v22, v25
	v_lshlrev_b64 v[22:23], 3, v[22:23]
	v_add_co_u32_e32 v22, vcc, s66, v22
	v_addc_co_u32_e32 v23, vcc, v93, v23, vcc
	s_waitcnt lgkmcnt(0)
	global_store_dwordx2 v[22:23], v[20:21], off
	s_or_b64 exec, exec, s[36:37]
	s_and_saveexec_b64 s[36:37], s[40:41]
	s_cbranch_execnz .LBB1740_337
.LBB1740_330:                           ;   in Loop: Header=BB1740_232 Depth=2
	s_or_b64 exec, exec, s[36:37]
	s_and_saveexec_b64 s[36:37], s[42:43]
	s_cbranch_execz .LBB1740_338
.LBB1740_331:                           ;   in Loop: Header=BB1740_232 Depth=2
	v_lshlrev_b32_e32 v20, 2, v73
	ds_read_b32 v22, v20
	v_add_u32_e32 v20, v50, v51
	ds_read_b64 v[20:21], v20 offset:8192
	v_mov_b32_e32 v23, v4
	v_mov_b32_e32 v93, s67
	s_waitcnt lgkmcnt(1)
	v_add_u32_e32 v22, v22, v29
	v_lshlrev_b64 v[22:23], 3, v[22:23]
	v_add_co_u32_e32 v22, vcc, s66, v22
	v_addc_co_u32_e32 v23, vcc, v93, v23, vcc
	s_waitcnt lgkmcnt(0)
	global_store_dwordx2 v[22:23], v[20:21], off
	s_or_b64 exec, exec, s[36:37]
	s_and_saveexec_b64 s[36:37], s[44:45]
	s_cbranch_execnz .LBB1740_339
.LBB1740_332:                           ;   in Loop: Header=BB1740_232 Depth=2
	s_or_b64 exec, exec, s[36:37]
	s_and_saveexec_b64 s[36:37], s[46:47]
	s_cbranch_execz .LBB1740_340
.LBB1740_333:                           ;   in Loop: Header=BB1740_232 Depth=2
	v_lshlrev_b32_e32 v20, 2, v71
	ds_read_b32 v22, v20
	v_add_u32_e32 v20, v50, v51
	ds_read_b64 v[20:21], v20 offset:12288
	v_mov_b32_e32 v23, v4
	v_mov_b32_e32 v93, s67
	s_waitcnt lgkmcnt(1)
	v_add_u32_e32 v22, v22, v31
	v_lshlrev_b64 v[22:23], 3, v[22:23]
	v_add_co_u32_e32 v22, vcc, s66, v22
	v_addc_co_u32_e32 v23, vcc, v93, v23, vcc
	s_waitcnt lgkmcnt(0)
	global_store_dwordx2 v[22:23], v[20:21], off
	s_or_b64 exec, exec, s[36:37]
	s_and_saveexec_b64 s[36:37], s[48:49]
	s_cbranch_execnz .LBB1740_341
	s_branch .LBB1740_342
.LBB1740_334:                           ;   in Loop: Header=BB1740_232 Depth=2
	s_or_b64 exec, exec, s[52:53]
	s_and_saveexec_b64 s[52:53], s[36:37]
	s_cbranch_execz .LBB1740_328
.LBB1740_335:                           ;   in Loop: Header=BB1740_232 Depth=2
	v_lshlrev_b32_e32 v20, 2, v78
	ds_read_b32 v22, v20
	v_add_u32_e32 v20, v50, v51
	ds_read_b64 v[20:21], v20 offset:2048
	v_mov_b32_e32 v23, v4
	v_mov_b32_e32 v93, s67
	s_waitcnt lgkmcnt(1)
	v_add_u32_e32 v22, v22, v24
	v_lshlrev_b64 v[22:23], 3, v[22:23]
	v_add_co_u32_e32 v22, vcc, s66, v22
	v_addc_co_u32_e32 v23, vcc, v93, v23, vcc
	s_waitcnt lgkmcnt(0)
	global_store_dwordx2 v[22:23], v[20:21], off
	s_or_b64 exec, exec, s[52:53]
	s_and_saveexec_b64 s[36:37], s[38:39]
	s_cbranch_execnz .LBB1740_329
.LBB1740_336:                           ;   in Loop: Header=BB1740_232 Depth=2
	s_or_b64 exec, exec, s[36:37]
	s_and_saveexec_b64 s[36:37], s[40:41]
	s_cbranch_execz .LBB1740_330
.LBB1740_337:                           ;   in Loop: Header=BB1740_232 Depth=2
	v_lshlrev_b32_e32 v20, 2, v75
	ds_read_b32 v22, v20
	v_add_u32_e32 v20, v50, v51
	ds_read_b64 v[20:21], v20 offset:6144
	v_mov_b32_e32 v23, v4
	v_mov_b32_e32 v93, s67
	s_waitcnt lgkmcnt(1)
	v_add_u32_e32 v22, v22, v26
	v_lshlrev_b64 v[22:23], 3, v[22:23]
	v_add_co_u32_e32 v22, vcc, s66, v22
	v_addc_co_u32_e32 v23, vcc, v93, v23, vcc
	s_waitcnt lgkmcnt(0)
	global_store_dwordx2 v[22:23], v[20:21], off
	s_or_b64 exec, exec, s[36:37]
	s_and_saveexec_b64 s[36:37], s[42:43]
	s_cbranch_execnz .LBB1740_331
.LBB1740_338:                           ;   in Loop: Header=BB1740_232 Depth=2
	s_or_b64 exec, exec, s[36:37]
	s_and_saveexec_b64 s[36:37], s[44:45]
	s_cbranch_execz .LBB1740_332
.LBB1740_339:                           ;   in Loop: Header=BB1740_232 Depth=2
	v_lshlrev_b32_e32 v20, 2, v72
	ds_read_b32 v22, v20
	v_add_u32_e32 v20, v50, v51
	ds_read_b64 v[20:21], v20 offset:10240
	v_mov_b32_e32 v23, v4
	v_mov_b32_e32 v93, s67
	s_waitcnt lgkmcnt(1)
	v_add_u32_e32 v22, v22, v30
	v_lshlrev_b64 v[22:23], 3, v[22:23]
	v_add_co_u32_e32 v22, vcc, s66, v22
	v_addc_co_u32_e32 v23, vcc, v93, v23, vcc
	s_waitcnt lgkmcnt(0)
	global_store_dwordx2 v[22:23], v[20:21], off
	s_or_b64 exec, exec, s[36:37]
	s_and_saveexec_b64 s[36:37], s[46:47]
	s_cbranch_execnz .LBB1740_333
.LBB1740_340:                           ;   in Loop: Header=BB1740_232 Depth=2
	s_or_b64 exec, exec, s[36:37]
	s_and_saveexec_b64 s[36:37], s[48:49]
	s_cbranch_execz .LBB1740_342
.LBB1740_341:                           ;   in Loop: Header=BB1740_232 Depth=2
	v_lshlrev_b32_e32 v20, 2, v70
	ds_read_b32 v22, v20
	v_add_u32_e32 v20, v50, v51
	ds_read_b64 v[20:21], v20 offset:14336
	v_mov_b32_e32 v23, v4
	v_mov_b32_e32 v93, s67
	s_waitcnt lgkmcnt(1)
	v_add_u32_e32 v22, v22, v32
	v_lshlrev_b64 v[22:23], 3, v[22:23]
	v_add_co_u32_e32 v22, vcc, s66, v22
	v_addc_co_u32_e32 v23, vcc, v93, v23, vcc
	s_waitcnt lgkmcnt(0)
	global_store_dwordx2 v[22:23], v[20:21], off
.LBB1740_342:                           ;   in Loop: Header=BB1740_232 Depth=2
	s_or_b64 exec, exec, s[36:37]
	s_barrier
	s_and_saveexec_b64 s[36:37], s[4:5]
	s_cbranch_execz .LBB1740_231
; %bb.343:                              ;   in Loop: Header=BB1740_232 Depth=2
	ds_read_b32 v20, v3
	s_waitcnt lgkmcnt(0)
	v_add_u32_e32 v5, v20, v5
	ds_write_b32 v3, v5
	s_branch .LBB1740_231
.LBB1740_344:                           ;   in Loop: Header=BB1740_12 Depth=1
	s_waitcnt lgkmcnt(0)
	s_barrier
.LBB1740_345:                           ;   in Loop: Header=BB1740_12 Depth=1
	s_mov_b64 s[16:17], 0
.LBB1740_346:                           ;   in Loop: Header=BB1740_12 Depth=1
	s_andn2_b64 vcc, exec, s[16:17]
	s_cbranch_vccnz .LBB1740_11
; %bb.347:                              ;   in Loop: Header=BB1740_12 Depth=1
	s_mov_b64 s[16:17], -1
	s_and_b64 vcc, exec, s[54:55]
	s_cbranch_vccz .LBB1740_513
; %bb.348:                              ;   in Loop: Header=BB1740_12 Depth=1
	s_mov_b32 s22, s71
	s_mov_b32 s72, s51
	s_barrier
	s_waitcnt lgkmcnt(0)
                                        ; implicit-def: $vgpr12
                                        ; implicit-def: $vgpr5
                                        ; implicit-def: $vgpr6
                                        ; implicit-def: $vgpr7
                                        ; implicit-def: $vgpr8
                                        ; implicit-def: $vgpr9
                                        ; implicit-def: $vgpr10
                                        ; implicit-def: $vgpr11
	s_branch .LBB1740_350
.LBB1740_349:                           ;   in Loop: Header=BB1740_350 Depth=2
	s_or_b64 exec, exec, s[16:17]
	s_addk_i32 s22, 0xf800
	s_cmp_ge_u32 s23, s76
	s_mov_b32 s72, s23
	s_cbranch_scc1 .LBB1740_388
.LBB1740_350:                           ;   Parent Loop BB1740_12 Depth=1
                                        ; =>  This Inner Loop Header: Depth=2
	s_add_i32 s23, s72, 0x800
	s_cmp_gt_u32 s23, s76
	s_cbranch_scc1 .LBB1740_353
; %bb.351:                              ;   in Loop: Header=BB1740_350 Depth=2
	s_lshl_b64 s[16:17], s[72:73], 1
	v_mov_b32_e32 v1, s17
	v_add_co_u32_e32 v0, vcc, s16, v58
	v_addc_co_u32_e32 v1, vcc, v59, v1, vcc
	global_load_ushort v14, v[0:1], off
	global_load_ushort v15, v[0:1], off offset:512
	global_load_ushort v16, v[0:1], off offset:1024
	;; [unrolled: 1-line block ×6, first 2 shown]
	v_add_co_u32_e32 v0, vcc, 0xe00, v0
	v_addc_co_u32_e32 v1, vcc, 0, v1, vcc
	s_mov_b64 s[16:17], -1
	s_movk_i32 s24, 0x800
	s_cbranch_execz .LBB1740_354
; %bb.352:                              ;   in Loop: Header=BB1740_350 Depth=2
                                        ; implicit-def: $vgpr11
                                        ; implicit-def: $vgpr10
                                        ; implicit-def: $vgpr9
                                        ; implicit-def: $vgpr8
                                        ; implicit-def: $vgpr7
                                        ; implicit-def: $vgpr6
                                        ; implicit-def: $vgpr5
                                        ; implicit-def: $vgpr12
	v_mov_b32_e32 v13, s22
	s_and_saveexec_b64 s[18:19], s[16:17]
	s_cbranch_execnz .LBB1740_365
	s_branch .LBB1740_366
.LBB1740_353:                           ;   in Loop: Header=BB1740_350 Depth=2
	s_mov_b64 s[16:17], 0
                                        ; implicit-def: $sgpr24
                                        ; implicit-def: $vgpr14
                                        ; implicit-def: $vgpr15
                                        ; implicit-def: $vgpr16
                                        ; implicit-def: $vgpr17
                                        ; implicit-def: $vgpr18
                                        ; implicit-def: $vgpr19
                                        ; implicit-def: $vgpr20
                                        ; implicit-def: $vgpr0_vgpr1
.LBB1740_354:                           ;   in Loop: Header=BB1740_350 Depth=2
	s_lshl_b64 s[18:19], s[72:73], 1
	s_add_u32 s18, s56, s18
	s_addc_u32 s19, s57, s19
	v_cmp_gt_u32_e32 vcc, s22, v2
	s_and_saveexec_b64 s[20:21], vcc
	s_cbranch_execz .LBB1740_382
; %bb.355:                              ;   in Loop: Header=BB1740_350 Depth=2
	global_load_ushort v11, v65, s[18:19]
	s_or_b64 exec, exec, s[20:21]
	v_cmp_gt_u32_e32 vcc, s22, v24
	s_and_saveexec_b64 s[20:21], vcc
	s_cbranch_execnz .LBB1740_383
.LBB1740_356:                           ;   in Loop: Header=BB1740_350 Depth=2
	s_or_b64 exec, exec, s[20:21]
	v_cmp_gt_u32_e32 vcc, s22, v25
	s_and_saveexec_b64 s[20:21], vcc
	s_cbranch_execz .LBB1740_384
.LBB1740_357:                           ;   in Loop: Header=BB1740_350 Depth=2
	global_load_ushort v9, v65, s[18:19] offset:1024
	s_or_b64 exec, exec, s[20:21]
	v_cmp_gt_u32_e32 vcc, s22, v26
	s_and_saveexec_b64 s[20:21], vcc
	s_cbranch_execnz .LBB1740_385
.LBB1740_358:                           ;   in Loop: Header=BB1740_350 Depth=2
	s_or_b64 exec, exec, s[20:21]
	v_cmp_gt_u32_e32 vcc, s22, v29
	s_and_saveexec_b64 s[20:21], vcc
	s_cbranch_execz .LBB1740_386
.LBB1740_359:                           ;   in Loop: Header=BB1740_350 Depth=2
	global_load_ushort v7, v65, s[18:19] offset:2048
	s_or_b64 exec, exec, s[20:21]
	v_cmp_gt_u32_e32 vcc, s22, v30
	s_and_saveexec_b64 s[20:21], vcc
	s_cbranch_execnz .LBB1740_387
.LBB1740_360:                           ;   in Loop: Header=BB1740_350 Depth=2
	s_or_b64 exec, exec, s[20:21]
	v_cmp_gt_u32_e32 vcc, s22, v31
	s_and_saveexec_b64 s[20:21], vcc
	s_cbranch_execz .LBB1740_362
.LBB1740_361:                           ;   in Loop: Header=BB1740_350 Depth=2
	global_load_ushort v5, v65, s[18:19] offset:3072
.LBB1740_362:                           ;   in Loop: Header=BB1740_350 Depth=2
	s_or_b64 exec, exec, s[20:21]
	v_cmp_gt_u32_e32 vcc, s22, v32
                                        ; implicit-def: $sgpr24
                                        ; implicit-def: $vgpr0_vgpr1
	s_and_saveexec_b64 s[20:21], vcc
	s_cbranch_execz .LBB1740_364
; %bb.363:                              ;   in Loop: Header=BB1740_350 Depth=2
	v_mov_b32_e32 v0, s19
	v_add_co_u32_e32 v1, vcc, s18, v65
	s_waitcnt vmcnt(0)
	v_addc_co_u32_e32 v12, vcc, 0, v0, vcc
	v_add_co_u32_e32 v0, vcc, 0xe00, v1
	s_sub_i32 s24, s76, s72
	v_addc_co_u32_e32 v1, vcc, 0, v12, vcc
	s_or_b64 s[16:17], s[16:17], exec
                                        ; implicit-def: $vgpr12
.LBB1740_364:                           ;   in Loop: Header=BB1740_350 Depth=2
	s_or_b64 exec, exec, s[20:21]
	s_waitcnt vmcnt(0)
	v_mov_b32_e32 v14, v11
	v_mov_b32_e32 v15, v10
	;; [unrolled: 1-line block ×8, first 2 shown]
	s_and_saveexec_b64 s[18:19], s[16:17]
	s_cbranch_execz .LBB1740_366
.LBB1740_365:                           ;   in Loop: Header=BB1740_350 Depth=2
	global_load_ushort v12, v[0:1], off
	v_mov_b32_e32 v13, s24
	s_waitcnt vmcnt(1)
	v_mov_b32_e32 v5, v20
	v_mov_b32_e32 v6, v19
	v_mov_b32_e32 v7, v18
	v_mov_b32_e32 v8, v17
	v_mov_b32_e32 v9, v16
	v_mov_b32_e32 v10, v15
	v_mov_b32_e32 v11, v14
.LBB1740_366:                           ;   in Loop: Header=BB1740_350 Depth=2
	s_or_b64 exec, exec, s[18:19]
	v_cmp_lt_u32_e32 vcc, v2, v13
	s_and_saveexec_b64 s[16:17], vcc
	s_cbranch_execz .LBB1740_374
; %bb.367:                              ;   in Loop: Header=BB1740_350 Depth=2
	v_cmp_gt_i16_e32 vcc, 0, v11
	v_cndmask_b32_e64 v0, v66, 0, vcc
	v_xor_b32_e32 v0, v0, v11
	v_cmp_ne_u16_e32 vcc, s68, v0
	v_cndmask_b32_e32 v0, v66, v0, vcc
	v_lshrrev_b32_sdwa v0, s69, v0 dst_sel:DWORD dst_unused:UNUSED_PAD src0_sel:DWORD src1_sel:WORD_0
	v_and_b32_e32 v0, s78, v0
	v_lshl_or_b32 v0, v0, 4, v67
	ds_add_u32 v0, v64
	s_or_b64 exec, exec, s[16:17]
	v_cmp_lt_u32_e32 vcc, v24, v13
	s_and_saveexec_b64 s[16:17], vcc
	s_cbranch_execnz .LBB1740_375
.LBB1740_368:                           ;   in Loop: Header=BB1740_350 Depth=2
	s_or_b64 exec, exec, s[16:17]
	v_cmp_lt_u32_e32 vcc, v25, v13
	s_and_saveexec_b64 s[16:17], vcc
	s_cbranch_execz .LBB1740_376
.LBB1740_369:                           ;   in Loop: Header=BB1740_350 Depth=2
	v_cmp_gt_i16_e32 vcc, 0, v9
	v_cndmask_b32_e64 v0, v66, 0, vcc
	v_xor_b32_e32 v0, v0, v9
	v_cmp_ne_u16_e32 vcc, s68, v0
	v_cndmask_b32_e32 v0, v66, v0, vcc
	v_lshrrev_b32_sdwa v0, s69, v0 dst_sel:DWORD dst_unused:UNUSED_PAD src0_sel:DWORD src1_sel:WORD_0
	v_and_b32_e32 v0, s78, v0
	v_lshl_or_b32 v0, v0, 4, v67
	ds_add_u32 v0, v64
	s_or_b64 exec, exec, s[16:17]
	v_cmp_lt_u32_e32 vcc, v26, v13
	s_and_saveexec_b64 s[16:17], vcc
	s_cbranch_execnz .LBB1740_377
.LBB1740_370:                           ;   in Loop: Header=BB1740_350 Depth=2
	s_or_b64 exec, exec, s[16:17]
	v_cmp_lt_u32_e32 vcc, v29, v13
	s_and_saveexec_b64 s[16:17], vcc
	s_cbranch_execz .LBB1740_378
.LBB1740_371:                           ;   in Loop: Header=BB1740_350 Depth=2
	v_cmp_gt_i16_e32 vcc, 0, v7
	v_cndmask_b32_e64 v0, v66, 0, vcc
	v_xor_b32_e32 v0, v0, v7
	v_cmp_ne_u16_e32 vcc, s68, v0
	v_cndmask_b32_e32 v0, v66, v0, vcc
	v_lshrrev_b32_sdwa v0, s69, v0 dst_sel:DWORD dst_unused:UNUSED_PAD src0_sel:DWORD src1_sel:WORD_0
	v_and_b32_e32 v0, s78, v0
	v_lshl_or_b32 v0, v0, 4, v67
	ds_add_u32 v0, v64
	s_or_b64 exec, exec, s[16:17]
	v_cmp_lt_u32_e32 vcc, v30, v13
	s_and_saveexec_b64 s[16:17], vcc
	s_cbranch_execnz .LBB1740_379
.LBB1740_372:                           ;   in Loop: Header=BB1740_350 Depth=2
	s_or_b64 exec, exec, s[16:17]
	v_cmp_lt_u32_e32 vcc, v31, v13
	s_and_saveexec_b64 s[16:17], vcc
	s_cbranch_execz .LBB1740_380
.LBB1740_373:                           ;   in Loop: Header=BB1740_350 Depth=2
	v_cmp_gt_i16_e32 vcc, 0, v5
	v_cndmask_b32_e64 v0, v66, 0, vcc
	v_xor_b32_e32 v0, v0, v5
	v_cmp_ne_u16_e32 vcc, s68, v0
	v_cndmask_b32_e32 v0, v66, v0, vcc
	v_lshrrev_b32_sdwa v0, s69, v0 dst_sel:DWORD dst_unused:UNUSED_PAD src0_sel:DWORD src1_sel:WORD_0
	v_and_b32_e32 v0, s78, v0
	v_lshl_or_b32 v0, v0, 4, v67
	ds_add_u32 v0, v64
	s_or_b64 exec, exec, s[16:17]
	v_cmp_lt_u32_e32 vcc, v32, v13
	s_and_saveexec_b64 s[16:17], vcc
	s_cbranch_execz .LBB1740_349
	s_branch .LBB1740_381
.LBB1740_374:                           ;   in Loop: Header=BB1740_350 Depth=2
	s_or_b64 exec, exec, s[16:17]
	v_cmp_lt_u32_e32 vcc, v24, v13
	s_and_saveexec_b64 s[16:17], vcc
	s_cbranch_execz .LBB1740_368
.LBB1740_375:                           ;   in Loop: Header=BB1740_350 Depth=2
	v_cmp_gt_i16_e32 vcc, 0, v10
	v_cndmask_b32_e64 v0, v66, 0, vcc
	v_xor_b32_e32 v0, v0, v10
	v_cmp_ne_u16_e32 vcc, s68, v0
	v_cndmask_b32_e32 v0, v66, v0, vcc
	v_lshrrev_b32_sdwa v0, s69, v0 dst_sel:DWORD dst_unused:UNUSED_PAD src0_sel:DWORD src1_sel:WORD_0
	v_and_b32_e32 v0, s78, v0
	v_lshl_or_b32 v0, v0, 4, v67
	ds_add_u32 v0, v64
	s_or_b64 exec, exec, s[16:17]
	v_cmp_lt_u32_e32 vcc, v25, v13
	s_and_saveexec_b64 s[16:17], vcc
	s_cbranch_execnz .LBB1740_369
.LBB1740_376:                           ;   in Loop: Header=BB1740_350 Depth=2
	s_or_b64 exec, exec, s[16:17]
	v_cmp_lt_u32_e32 vcc, v26, v13
	s_and_saveexec_b64 s[16:17], vcc
	s_cbranch_execz .LBB1740_370
.LBB1740_377:                           ;   in Loop: Header=BB1740_350 Depth=2
	v_cmp_gt_i16_e32 vcc, 0, v8
	v_cndmask_b32_e64 v0, v66, 0, vcc
	v_xor_b32_e32 v0, v0, v8
	v_cmp_ne_u16_e32 vcc, s68, v0
	v_cndmask_b32_e32 v0, v66, v0, vcc
	v_lshrrev_b32_sdwa v0, s69, v0 dst_sel:DWORD dst_unused:UNUSED_PAD src0_sel:DWORD src1_sel:WORD_0
	v_and_b32_e32 v0, s78, v0
	v_lshl_or_b32 v0, v0, 4, v67
	ds_add_u32 v0, v64
	s_or_b64 exec, exec, s[16:17]
	v_cmp_lt_u32_e32 vcc, v29, v13
	s_and_saveexec_b64 s[16:17], vcc
	s_cbranch_execnz .LBB1740_371
.LBB1740_378:                           ;   in Loop: Header=BB1740_350 Depth=2
	s_or_b64 exec, exec, s[16:17]
	v_cmp_lt_u32_e32 vcc, v30, v13
	s_and_saveexec_b64 s[16:17], vcc
	s_cbranch_execz .LBB1740_372
.LBB1740_379:                           ;   in Loop: Header=BB1740_350 Depth=2
	v_cmp_gt_i16_e32 vcc, 0, v6
	v_cndmask_b32_e64 v0, v66, 0, vcc
	v_xor_b32_e32 v0, v0, v6
	v_cmp_ne_u16_e32 vcc, s68, v0
	v_cndmask_b32_e32 v0, v66, v0, vcc
	v_lshrrev_b32_sdwa v0, s69, v0 dst_sel:DWORD dst_unused:UNUSED_PAD src0_sel:DWORD src1_sel:WORD_0
	v_and_b32_e32 v0, s78, v0
	v_lshl_or_b32 v0, v0, 4, v67
	ds_add_u32 v0, v64
	s_or_b64 exec, exec, s[16:17]
	v_cmp_lt_u32_e32 vcc, v31, v13
	s_and_saveexec_b64 s[16:17], vcc
	s_cbranch_execnz .LBB1740_373
.LBB1740_380:                           ;   in Loop: Header=BB1740_350 Depth=2
	s_or_b64 exec, exec, s[16:17]
	v_cmp_lt_u32_e32 vcc, v32, v13
	s_and_saveexec_b64 s[16:17], vcc
	s_cbranch_execz .LBB1740_349
.LBB1740_381:                           ;   in Loop: Header=BB1740_350 Depth=2
	s_waitcnt vmcnt(0)
	v_cmp_gt_i16_e32 vcc, 0, v12
	v_cndmask_b32_e64 v0, v66, 0, vcc
	v_xor_b32_e32 v0, v0, v12
	v_cmp_ne_u16_e32 vcc, s68, v0
	v_cndmask_b32_e32 v0, v66, v0, vcc
	v_lshrrev_b32_sdwa v0, s69, v0 dst_sel:DWORD dst_unused:UNUSED_PAD src0_sel:DWORD src1_sel:WORD_0
	v_and_b32_e32 v0, s78, v0
	v_lshl_or_b32 v0, v0, 4, v67
	ds_add_u32 v0, v64
	s_branch .LBB1740_349
.LBB1740_382:                           ;   in Loop: Header=BB1740_350 Depth=2
	s_or_b64 exec, exec, s[20:21]
	v_cmp_gt_u32_e32 vcc, s22, v24
	s_and_saveexec_b64 s[20:21], vcc
	s_cbranch_execz .LBB1740_356
.LBB1740_383:                           ;   in Loop: Header=BB1740_350 Depth=2
	global_load_ushort v10, v65, s[18:19] offset:512
	s_or_b64 exec, exec, s[20:21]
	v_cmp_gt_u32_e32 vcc, s22, v25
	s_and_saveexec_b64 s[20:21], vcc
	s_cbranch_execnz .LBB1740_357
.LBB1740_384:                           ;   in Loop: Header=BB1740_350 Depth=2
	s_or_b64 exec, exec, s[20:21]
	v_cmp_gt_u32_e32 vcc, s22, v26
	s_and_saveexec_b64 s[20:21], vcc
	s_cbranch_execz .LBB1740_358
.LBB1740_385:                           ;   in Loop: Header=BB1740_350 Depth=2
	global_load_ushort v8, v65, s[18:19] offset:1536
	s_or_b64 exec, exec, s[20:21]
	v_cmp_gt_u32_e32 vcc, s22, v29
	s_and_saveexec_b64 s[20:21], vcc
	s_cbranch_execnz .LBB1740_359
.LBB1740_386:                           ;   in Loop: Header=BB1740_350 Depth=2
	s_or_b64 exec, exec, s[20:21]
	v_cmp_gt_u32_e32 vcc, s22, v30
	s_and_saveexec_b64 s[20:21], vcc
	s_cbranch_execz .LBB1740_360
.LBB1740_387:                           ;   in Loop: Header=BB1740_350 Depth=2
	global_load_ushort v6, v65, s[18:19] offset:2560
	s_or_b64 exec, exec, s[20:21]
	v_cmp_gt_u32_e32 vcc, s22, v31
	s_and_saveexec_b64 s[20:21], vcc
	s_cbranch_execz .LBB1740_362
	s_branch .LBB1740_361
.LBB1740_388:                           ;   in Loop: Header=BB1740_12 Depth=1
	v_mov_b32_e32 v0, 0
	s_waitcnt lgkmcnt(0)
	s_barrier
	s_and_saveexec_b64 s[16:17], s[4:5]
	s_cbranch_execz .LBB1740_390
; %bb.389:                              ;   in Loop: Header=BB1740_12 Depth=1
	ds_read2_b64 v[6:9], v33 offset1:1
	s_waitcnt lgkmcnt(0)
	v_add_u32_e32 v0, v7, v6
	v_add3_u32 v0, v0, v8, v9
.LBB1740_390:                           ;   in Loop: Header=BB1740_12 Depth=1
	s_or_b64 exec, exec, s[16:17]
	v_and_b32_e32 v1, 15, v68
	v_mov_b32_dpp v5, v0 row_shr:1 row_mask:0xf bank_mask:0xf
	v_cmp_eq_u32_e64 s[16:17], 0, v1
	v_cndmask_b32_e64 v5, v5, 0, s[16:17]
	v_add_u32_e32 v0, v5, v0
	v_cmp_lt_u32_e64 s[18:19], 1, v1
	v_cmp_lt_u32_e64 s[20:21], 3, v1
	v_mov_b32_dpp v5, v0 row_shr:2 row_mask:0xf bank_mask:0xf
	v_cndmask_b32_e64 v5, 0, v5, s[18:19]
	v_add_u32_e32 v0, v0, v5
	v_cmp_lt_u32_e64 s[22:23], 7, v1
	v_cmp_lt_u32_e64 s[26:27], 31, v68
	v_mov_b32_dpp v5, v0 row_shr:4 row_mask:0xf bank_mask:0xf
	v_cndmask_b32_e64 v5, 0, v5, s[20:21]
	v_add_u32_e32 v0, v0, v5
	v_and_b32_e32 v6, 16, v68
	v_cmp_eq_u32_e64 s[24:25], 0, v6
	v_mov_b32_dpp v5, v0 row_shr:8 row_mask:0xf bank_mask:0xf
	v_cndmask_b32_e64 v1, 0, v5, s[22:23]
	v_add_u32_e32 v0, v0, v1
	v_bfe_i32 v5, v68, 4, 1
	s_nop 0
	v_mov_b32_dpp v1, v0 row_bcast:15 row_mask:0xf bank_mask:0xf
	v_and_b32_e32 v1, v5, v1
	v_add_u32_e32 v0, v0, v1
	s_nop 1
	v_mov_b32_dpp v1, v0 row_bcast:31 row_mask:0xf bank_mask:0xf
	v_cndmask_b32_e64 v1, 0, v1, s[26:27]
	v_add_u32_e32 v1, v0, v1
	s_and_saveexec_b64 s[28:29], s[6:7]
	s_cbranch_execz .LBB1740_392
; %bb.391:                              ;   in Loop: Header=BB1740_12 Depth=1
	ds_write_b32 v35, v1
.LBB1740_392:                           ;   in Loop: Header=BB1740_12 Depth=1
	s_or_b64 exec, exec, s[28:29]
	v_and_b32_e32 v0, 3, v68
	s_waitcnt lgkmcnt(0)
	s_barrier
	s_and_saveexec_b64 s[28:29], s[8:9]
	s_cbranch_execz .LBB1740_394
; %bb.393:                              ;   in Loop: Header=BB1740_12 Depth=1
	ds_read_b32 v5, v36
	v_cmp_ne_u32_e32 vcc, 0, v0
	s_waitcnt lgkmcnt(0)
	v_mov_b32_dpp v6, v5 row_shr:1 row_mask:0xf bank_mask:0xf
	v_cndmask_b32_e32 v6, 0, v6, vcc
	v_add_u32_e32 v5, v6, v5
	v_cmp_lt_u32_e32 vcc, 1, v0
	s_nop 0
	v_mov_b32_dpp v6, v5 row_shr:2 row_mask:0xf bank_mask:0xf
	v_cndmask_b32_e32 v6, 0, v6, vcc
	v_add_u32_e32 v5, v5, v6
	ds_write_b32 v36, v5
.LBB1740_394:                           ;   in Loop: Header=BB1740_12 Depth=1
	s_or_b64 exec, exec, s[28:29]
	v_mov_b32_e32 v5, 0
	s_waitcnt lgkmcnt(0)
	s_barrier
	s_and_saveexec_b64 s[28:29], s[10:11]
	s_cbranch_execz .LBB1740_396
; %bb.395:                              ;   in Loop: Header=BB1740_12 Depth=1
	ds_read_b32 v5, v37
.LBB1740_396:                           ;   in Loop: Header=BB1740_12 Depth=1
	s_or_b64 exec, exec, s[28:29]
	v_add_u32_e32 v6, -1, v68
	v_and_b32_e32 v7, 64, v68
	v_cmp_lt_i32_e32 vcc, v6, v7
	v_cndmask_b32_e32 v6, v6, v68, vcc
	s_waitcnt lgkmcnt(0)
	v_add_u32_e32 v1, v5, v1
	v_lshlrev_b32_e32 v69, 2, v6
	ds_bpermute_b32 v1, v69, v1
	v_cmp_eq_u32_e64 s[28:29], 0, v68
	s_waitcnt lgkmcnt(0)
	s_barrier
	s_and_saveexec_b64 s[30:31], s[4:5]
	s_cbranch_execz .LBB1740_398
; %bb.397:                              ;   in Loop: Header=BB1740_12 Depth=1
	v_cndmask_b32_e64 v1, v1, v5, s[28:29]
	v_add_u32_e32 v1, s51, v1
	ds_write_b32 v3, v1
.LBB1740_398:                           ;   in Loop: Header=BB1740_12 Depth=1
	s_or_b64 exec, exec, s[30:31]
	s_load_dwordx2 s[30:31], s[74:75], 0x0
	v_and_b32_e32 v21, 63, v68
	v_lshlrev_b32_e32 v22, 3, v21
	v_add_co_u32_e32 v77, vcc, v60, v22
	s_waitcnt lgkmcnt(0)
	s_cmp_lt_u32 s50, s30
	s_cselect_b32 s34, 12, 18
	s_cmp_lt_u32 s33, s31
	s_cselect_b32 s30, 14, 20
	s_add_u32 s30, s74, s30
	s_addc_u32 s31, s75, 0
	s_add_u32 s34, s74, s34
	global_load_ushort v5, v4, s[30:31]
	s_addc_u32 s35, s75, 0
	global_load_ushort v20, v4, s[34:35]
	v_or_b32_e32 v74, v21, v38
	v_lshlrev_b32_e32 v21, 1, v21
	v_addc_co_u32_e32 v79, vcc, 0, v61, vcc
	v_add_co_u32_e32 v88, vcc, v62, v21
	v_addc_co_u32_e32 v89, vcc, 0, v63, vcc
	v_add_co_u32_e32 v90, vcc, 0x380, v88
	v_cmp_eq_u32_e64 s[30:31], 0, v0
	v_cmp_lt_u32_e64 s[34:35], 1, v0
	s_mov_b32 s79, s71
	v_or_b32_e32 v81, 64, v74
	v_or_b32_e32 v82, 0x80, v74
	;; [unrolled: 1-line block ×7, first 2 shown]
	v_addc_co_u32_e32 v91, vcc, 0, v89, vcc
	s_mov_b32 s72, s51
                                        ; implicit-def: $vgpr0_vgpr1
                                        ; implicit-def: $vgpr6_vgpr7
                                        ; implicit-def: $vgpr8_vgpr9
                                        ; implicit-def: $vgpr10_vgpr11
                                        ; implicit-def: $vgpr12_vgpr13
                                        ; implicit-def: $vgpr14_vgpr15
                                        ; implicit-def: $vgpr16_vgpr17
                                        ; implicit-def: $vgpr18_vgpr19
                                        ; implicit-def: $vgpr70
                                        ; implicit-def: $vgpr71
                                        ; implicit-def: $vgpr72
                                        ; implicit-def: $vgpr73
                                        ; implicit-def: $vgpr75
                                        ; implicit-def: $vgpr76
                                        ; implicit-def: $vgpr78
                                        ; implicit-def: $vgpr80
	s_waitcnt vmcnt(1)
	v_mad_u32_u24 v5, v39, v5, v40
	s_waitcnt vmcnt(0)
	v_mad_u64_u32 v[20:21], s[36:37], v5, v20, v[2:3]
	v_lshrrev_b32_e32 v92, 6, v20
	s_branch .LBB1740_400
.LBB1740_399:                           ;   in Loop: Header=BB1740_400 Depth=2
	s_or_b64 exec, exec, s[36:37]
	s_addk_i32 s79, 0xf800
	s_cmp_lt_u32 s80, s76
	s_mov_b32 s72, s80
	s_cbranch_scc0 .LBB1740_512
.LBB1740_400:                           ;   Parent Loop BB1740_12 Depth=1
                                        ; =>  This Inner Loop Header: Depth=2
	s_add_i32 s80, s72, 0x800
	s_cmp_gt_u32 s80, s76
	s_cbranch_scc1 .LBB1740_403
; %bb.401:                              ;   in Loop: Header=BB1740_400 Depth=2
	s_lshl_b64 s[36:37], s[72:73], 1
	v_mov_b32_e32 v5, s37
	v_add_co_u32_e32 v20, vcc, s36, v88
	v_addc_co_u32_e32 v21, vcc, v89, v5, vcc
	global_load_ushort v5, v[20:21], off
	global_load_ushort v97, v[20:21], off offset:128
	global_load_ushort v101, v[20:21], off offset:256
	;; [unrolled: 1-line block ×6, first 2 shown]
	s_mov_b64 s[36:37], -1
	s_movk_i32 s40, 0x800
	s_cbranch_execz .LBB1740_404
; %bb.402:                              ;   in Loop: Header=BB1740_400 Depth=2
                                        ; implicit-def: $sgpr38
	v_mov_b32_e32 v23, s38
	v_mov_b32_e32 v93, s79
	s_and_saveexec_b64 s[38:39], s[36:37]
	s_cbranch_execnz .LBB1740_419
	s_branch .LBB1740_420
.LBB1740_403:                           ;   in Loop: Header=BB1740_400 Depth=2
	s_mov_b64 s[36:37], 0
                                        ; implicit-def: $sgpr40
                                        ; implicit-def: $vgpr5
                                        ; implicit-def: $vgpr97
                                        ; implicit-def: $vgpr101
                                        ; implicit-def: $vgpr106
                                        ; implicit-def: $vgpr109
                                        ; implicit-def: $vgpr104
                                        ; implicit-def: $vgpr22
.LBB1740_404:                           ;   in Loop: Header=BB1740_400 Depth=2
	s_lshl_b64 s[36:37], s[72:73], 1
	s_waitcnt vmcnt(6)
	v_mov_b32_e32 v5, s37
	v_add_co_u32_e32 v20, vcc, s36, v88
	v_addc_co_u32_e32 v21, vcc, v89, v5, vcc
	v_cmp_gt_u32_e32 vcc, s79, v74
	s_waitcnt vmcnt(5)
	v_mov_b32_e32 v97, -1
	v_mov_b32_e32 v5, -1
	s_and_saveexec_b64 s[36:37], vcc
	s_cbranch_execz .LBB1740_406
; %bb.405:                              ;   in Loop: Header=BB1740_400 Depth=2
	global_load_ushort v5, v[20:21], off
.LBB1740_406:                           ;   in Loop: Header=BB1740_400 Depth=2
	s_or_b64 exec, exec, s[36:37]
	v_cmp_gt_u32_e32 vcc, s79, v81
	s_and_saveexec_b64 s[36:37], vcc
	s_cbranch_execz .LBB1740_408
; %bb.407:                              ;   in Loop: Header=BB1740_400 Depth=2
	global_load_ushort v97, v[20:21], off offset:128
.LBB1740_408:                           ;   in Loop: Header=BB1740_400 Depth=2
	s_or_b64 exec, exec, s[36:37]
	v_cmp_gt_u32_e32 vcc, s79, v82
	s_waitcnt vmcnt(3)
	v_mov_b32_e32 v106, -1
	v_mov_b32_e32 v101, -1
	s_and_saveexec_b64 s[36:37], vcc
	s_cbranch_execz .LBB1740_410
; %bb.409:                              ;   in Loop: Header=BB1740_400 Depth=2
	global_load_ushort v101, v[20:21], off offset:256
.LBB1740_410:                           ;   in Loop: Header=BB1740_400 Depth=2
	s_or_b64 exec, exec, s[36:37]
	v_cmp_gt_u32_e32 vcc, s79, v83
	s_and_saveexec_b64 s[36:37], vcc
	s_cbranch_execz .LBB1740_412
; %bb.411:                              ;   in Loop: Header=BB1740_400 Depth=2
	global_load_ushort v106, v[20:21], off offset:384
.LBB1740_412:                           ;   in Loop: Header=BB1740_400 Depth=2
	s_or_b64 exec, exec, s[36:37]
	v_cmp_gt_u32_e32 vcc, s79, v84
	s_waitcnt vmcnt(1)
	v_mov_b32_e32 v104, -1
	v_mov_b32_e32 v109, -1
	s_and_saveexec_b64 s[36:37], vcc
	s_cbranch_execz .LBB1740_414
; %bb.413:                              ;   in Loop: Header=BB1740_400 Depth=2
	global_load_ushort v109, v[20:21], off offset:512
.LBB1740_414:                           ;   in Loop: Header=BB1740_400 Depth=2
	s_or_b64 exec, exec, s[36:37]
	v_cmp_gt_u32_e32 vcc, s79, v85
	s_and_saveexec_b64 s[36:37], vcc
	s_cbranch_execz .LBB1740_416
; %bb.415:                              ;   in Loop: Header=BB1740_400 Depth=2
	global_load_ushort v104, v[20:21], off offset:640
.LBB1740_416:                           ;   in Loop: Header=BB1740_400 Depth=2
	s_or_b64 exec, exec, s[36:37]
	v_cmp_gt_u32_e32 vcc, s79, v86
	s_waitcnt vmcnt(0)
	v_mov_b32_e32 v22, -1
	s_and_saveexec_b64 s[36:37], vcc
	s_cbranch_execz .LBB1740_418
; %bb.417:                              ;   in Loop: Header=BB1740_400 Depth=2
	global_load_ushort v22, v[20:21], off offset:768
.LBB1740_418:                           ;   in Loop: Header=BB1740_400 Depth=2
	s_or_b64 exec, exec, s[36:37]
	s_sub_i32 s40, s76, s72
	v_cmp_gt_u32_e64 s[36:37], s79, v87
	s_mov_b32 s38, -1
	v_mov_b32_e32 v23, s38
	v_mov_b32_e32 v93, s79
	s_and_saveexec_b64 s[38:39], s[36:37]
	s_cbranch_execz .LBB1740_420
.LBB1740_419:                           ;   in Loop: Header=BB1740_400 Depth=2
	s_lshl_b64 s[36:37], s[72:73], 1
	v_mov_b32_e32 v21, s37
	v_add_co_u32_e32 v20, vcc, s36, v90
	v_addc_co_u32_e32 v21, vcc, v91, v21, vcc
	global_load_ushort v23, v[20:21], off
	v_mov_b32_e32 v93, s40
.LBB1740_420:                           ;   in Loop: Header=BB1740_400 Depth=2
	s_or_b64 exec, exec, s[38:39]
	s_waitcnt vmcnt(6)
	v_cmp_gt_i16_e32 vcc, 0, v5
	v_cndmask_b32_e64 v20, v66, 0, vcc
	v_xor_b32_e32 v94, v20, v5
	v_add_u32_e32 v5, 0x410, v41
	v_cmp_ne_u16_e32 vcc, s68, v94
	ds_write2_b32 v5, v4, v4 offset1:1
	ds_write2_b32 v43, v4, v4 offset0:2 offset1:3
	ds_write_b32 v43, v4 offset:16
	v_cndmask_b32_e32 v5, v66, v94, vcc
	v_lshrrev_b32_sdwa v5, s69, v5 dst_sel:DWORD dst_unused:UNUSED_PAD src0_sel:DWORD src1_sel:WORD_0
	v_and_b32_e32 v20, s78, v5
	v_mad_u32_u24 v5, v20, 5, v92
	v_lshl_add_u32 v95, v5, 2, v42
	v_and_b32_e32 v5, 1, v20
	v_add_co_u32_e32 v21, vcc, -1, v5
	v_addc_co_u32_e64 v96, s[36:37], 0, -1, vcc
	v_cmp_ne_u32_e32 vcc, 0, v5
	v_xor_b32_e32 v5, vcc_hi, v96
	v_and_b32_e32 v96, exec_hi, v5
	v_lshlrev_b32_e32 v5, 30, v20
	v_xor_b32_e32 v21, vcc_lo, v21
	v_cmp_gt_i64_e32 vcc, 0, v[4:5]
	v_not_b32_e32 v5, v5
	v_ashrrev_i32_e32 v5, 31, v5
	v_and_b32_e32 v21, exec_lo, v21
	v_xor_b32_e32 v98, vcc_hi, v5
	v_xor_b32_e32 v5, vcc_lo, v5
	v_and_b32_e32 v21, v21, v5
	v_lshlrev_b32_e32 v5, 29, v20
	v_cmp_gt_i64_e32 vcc, 0, v[4:5]
	v_not_b32_e32 v5, v5
	v_ashrrev_i32_e32 v5, 31, v5
	v_and_b32_e32 v96, v96, v98
	v_xor_b32_e32 v98, vcc_hi, v5
	v_xor_b32_e32 v5, vcc_lo, v5
	v_and_b32_e32 v21, v21, v5
	v_lshlrev_b32_e32 v5, 28, v20
	v_cmp_gt_i64_e32 vcc, 0, v[4:5]
	v_not_b32_e32 v5, v5
	v_ashrrev_i32_e32 v5, 31, v5
	v_and_b32_e32 v96, v96, v98
	;; [unrolled: 8-line block ×5, first 2 shown]
	v_xor_b32_e32 v98, vcc_hi, v5
	v_xor_b32_e32 v5, vcc_lo, v5
	v_and_b32_e32 v96, v96, v98
	v_and_b32_e32 v98, v21, v5
	v_lshlrev_b32_e32 v5, 24, v20
	v_cmp_gt_i64_e32 vcc, 0, v[4:5]
	v_not_b32_e32 v5, v5
	v_ashrrev_i32_e32 v5, 31, v5
	v_xor_b32_e32 v20, vcc_hi, v5
	v_xor_b32_e32 v5, vcc_lo, v5
	v_and_b32_e32 v21, v96, v20
	v_and_b32_e32 v20, v98, v5
	v_mbcnt_lo_u32_b32 v5, v20, 0
	v_mbcnt_hi_u32_b32 v96, v21, v5
	v_cmp_eq_u32_e32 vcc, 0, v96
	v_cmp_ne_u64_e64 s[36:37], 0, v[20:21]
	s_and_b64 s[38:39], s[36:37], vcc
	s_waitcnt lgkmcnt(0)
	s_barrier
	s_waitcnt lgkmcnt(0)
	; wave barrier
	s_and_saveexec_b64 s[36:37], s[38:39]
	s_cbranch_execz .LBB1740_422
; %bb.421:                              ;   in Loop: Header=BB1740_400 Depth=2
	v_bcnt_u32_b32 v5, v20, 0
	v_bcnt_u32_b32 v5, v21, v5
	ds_write_b32 v95, v5
.LBB1740_422:                           ;   in Loop: Header=BB1740_400 Depth=2
	s_or_b64 exec, exec, s[36:37]
	s_waitcnt vmcnt(5)
	v_cmp_gt_i16_e32 vcc, 0, v97
	v_cndmask_b32_e64 v5, v66, 0, vcc
	v_xor_b32_e32 v97, v5, v97
	v_cmp_ne_u16_e32 vcc, s68, v97
	v_cndmask_b32_e32 v5, v66, v97, vcc
	v_lshrrev_b32_sdwa v5, s69, v5 dst_sel:DWORD dst_unused:UNUSED_PAD src0_sel:DWORD src1_sel:WORD_0
	v_and_b32_e32 v20, s78, v5
	v_mul_u32_u24_e32 v5, 5, v20
	v_add_lshl_u32 v5, v5, v92, 2
	; wave barrier
	v_add_u32_e32 v99, 0x410, v5
	ds_read_b32 v98, v5 offset:1040
	v_and_b32_e32 v5, 1, v20
	v_add_co_u32_e32 v21, vcc, -1, v5
	v_addc_co_u32_e64 v100, s[36:37], 0, -1, vcc
	v_cmp_ne_u32_e32 vcc, 0, v5
	v_xor_b32_e32 v5, vcc_hi, v100
	v_and_b32_e32 v100, exec_hi, v5
	v_lshlrev_b32_e32 v5, 30, v20
	v_xor_b32_e32 v21, vcc_lo, v21
	v_cmp_gt_i64_e32 vcc, 0, v[4:5]
	v_not_b32_e32 v5, v5
	v_ashrrev_i32_e32 v5, 31, v5
	v_and_b32_e32 v21, exec_lo, v21
	v_xor_b32_e32 v102, vcc_hi, v5
	v_xor_b32_e32 v5, vcc_lo, v5
	v_and_b32_e32 v21, v21, v5
	v_lshlrev_b32_e32 v5, 29, v20
	v_cmp_gt_i64_e32 vcc, 0, v[4:5]
	v_not_b32_e32 v5, v5
	v_ashrrev_i32_e32 v5, 31, v5
	v_and_b32_e32 v100, v100, v102
	v_xor_b32_e32 v102, vcc_hi, v5
	v_xor_b32_e32 v5, vcc_lo, v5
	v_and_b32_e32 v21, v21, v5
	v_lshlrev_b32_e32 v5, 28, v20
	v_cmp_gt_i64_e32 vcc, 0, v[4:5]
	v_not_b32_e32 v5, v5
	v_ashrrev_i32_e32 v5, 31, v5
	v_and_b32_e32 v100, v100, v102
	;; [unrolled: 8-line block ×5, first 2 shown]
	v_xor_b32_e32 v102, vcc_hi, v5
	v_xor_b32_e32 v5, vcc_lo, v5
	v_and_b32_e32 v100, v100, v102
	v_and_b32_e32 v102, v21, v5
	v_lshlrev_b32_e32 v5, 24, v20
	v_cmp_gt_i64_e32 vcc, 0, v[4:5]
	v_not_b32_e32 v5, v5
	v_ashrrev_i32_e32 v5, 31, v5
	v_xor_b32_e32 v20, vcc_hi, v5
	v_xor_b32_e32 v5, vcc_lo, v5
	v_and_b32_e32 v21, v100, v20
	v_and_b32_e32 v20, v102, v5
	v_mbcnt_lo_u32_b32 v5, v20, 0
	v_mbcnt_hi_u32_b32 v100, v21, v5
	v_cmp_eq_u32_e32 vcc, 0, v100
	v_cmp_ne_u64_e64 s[36:37], 0, v[20:21]
	s_and_b64 s[38:39], s[36:37], vcc
	; wave barrier
	s_and_saveexec_b64 s[36:37], s[38:39]
	s_cbranch_execz .LBB1740_424
; %bb.423:                              ;   in Loop: Header=BB1740_400 Depth=2
	v_bcnt_u32_b32 v5, v20, 0
	v_bcnt_u32_b32 v5, v21, v5
	s_waitcnt lgkmcnt(0)
	v_add_u32_e32 v5, v98, v5
	ds_write_b32 v99, v5
.LBB1740_424:                           ;   in Loop: Header=BB1740_400 Depth=2
	s_or_b64 exec, exec, s[36:37]
	s_waitcnt vmcnt(4)
	v_cmp_gt_i16_e32 vcc, 0, v101
	v_cndmask_b32_e64 v5, v66, 0, vcc
	v_xor_b32_e32 v101, v5, v101
	v_cmp_ne_u16_e32 vcc, s68, v101
	v_cndmask_b32_e32 v5, v66, v101, vcc
	v_lshrrev_b32_sdwa v5, s69, v5 dst_sel:DWORD dst_unused:UNUSED_PAD src0_sel:DWORD src1_sel:WORD_0
	v_and_b32_e32 v20, s78, v5
	v_mul_u32_u24_e32 v5, 5, v20
	v_add_lshl_u32 v5, v5, v92, 2
	; wave barrier
	v_add_u32_e32 v103, 0x410, v5
	ds_read_b32 v102, v5 offset:1040
	v_and_b32_e32 v5, 1, v20
	v_add_co_u32_e32 v21, vcc, -1, v5
	v_addc_co_u32_e64 v105, s[36:37], 0, -1, vcc
	v_cmp_ne_u32_e32 vcc, 0, v5
	v_xor_b32_e32 v5, vcc_hi, v105
	v_and_b32_e32 v105, exec_hi, v5
	v_lshlrev_b32_e32 v5, 30, v20
	v_xor_b32_e32 v21, vcc_lo, v21
	v_cmp_gt_i64_e32 vcc, 0, v[4:5]
	v_not_b32_e32 v5, v5
	v_ashrrev_i32_e32 v5, 31, v5
	v_and_b32_e32 v21, exec_lo, v21
	v_xor_b32_e32 v107, vcc_hi, v5
	v_xor_b32_e32 v5, vcc_lo, v5
	v_and_b32_e32 v21, v21, v5
	v_lshlrev_b32_e32 v5, 29, v20
	v_cmp_gt_i64_e32 vcc, 0, v[4:5]
	v_not_b32_e32 v5, v5
	v_ashrrev_i32_e32 v5, 31, v5
	v_and_b32_e32 v105, v105, v107
	v_xor_b32_e32 v107, vcc_hi, v5
	v_xor_b32_e32 v5, vcc_lo, v5
	v_and_b32_e32 v21, v21, v5
	v_lshlrev_b32_e32 v5, 28, v20
	v_cmp_gt_i64_e32 vcc, 0, v[4:5]
	v_not_b32_e32 v5, v5
	v_ashrrev_i32_e32 v5, 31, v5
	v_and_b32_e32 v105, v105, v107
	;; [unrolled: 8-line block ×5, first 2 shown]
	v_xor_b32_e32 v107, vcc_hi, v5
	v_xor_b32_e32 v5, vcc_lo, v5
	v_and_b32_e32 v105, v105, v107
	v_and_b32_e32 v107, v21, v5
	v_lshlrev_b32_e32 v5, 24, v20
	v_cmp_gt_i64_e32 vcc, 0, v[4:5]
	v_not_b32_e32 v5, v5
	v_ashrrev_i32_e32 v5, 31, v5
	v_xor_b32_e32 v20, vcc_hi, v5
	v_xor_b32_e32 v5, vcc_lo, v5
	v_and_b32_e32 v21, v105, v20
	v_and_b32_e32 v20, v107, v5
	v_mbcnt_lo_u32_b32 v5, v20, 0
	v_mbcnt_hi_u32_b32 v105, v21, v5
	v_cmp_eq_u32_e32 vcc, 0, v105
	v_cmp_ne_u64_e64 s[36:37], 0, v[20:21]
	s_and_b64 s[38:39], s[36:37], vcc
	; wave barrier
	s_and_saveexec_b64 s[36:37], s[38:39]
	s_cbranch_execz .LBB1740_426
; %bb.425:                              ;   in Loop: Header=BB1740_400 Depth=2
	v_bcnt_u32_b32 v5, v20, 0
	v_bcnt_u32_b32 v5, v21, v5
	s_waitcnt lgkmcnt(0)
	v_add_u32_e32 v5, v102, v5
	ds_write_b32 v103, v5
.LBB1740_426:                           ;   in Loop: Header=BB1740_400 Depth=2
	s_or_b64 exec, exec, s[36:37]
	s_waitcnt vmcnt(3)
	v_cmp_gt_i16_e32 vcc, 0, v106
	v_cndmask_b32_e64 v5, v66, 0, vcc
	v_xor_b32_e32 v106, v5, v106
	v_cmp_ne_u16_e32 vcc, s68, v106
	v_cndmask_b32_e32 v5, v66, v106, vcc
	v_lshrrev_b32_sdwa v5, s69, v5 dst_sel:DWORD dst_unused:UNUSED_PAD src0_sel:DWORD src1_sel:WORD_0
	v_and_b32_e32 v20, s78, v5
	v_mul_u32_u24_e32 v5, 5, v20
	v_add_lshl_u32 v5, v5, v92, 2
	; wave barrier
	v_add_u32_e32 v108, 0x410, v5
	ds_read_b32 v107, v5 offset:1040
	v_and_b32_e32 v5, 1, v20
	v_add_co_u32_e32 v21, vcc, -1, v5
	v_addc_co_u32_e64 v110, s[36:37], 0, -1, vcc
	v_cmp_ne_u32_e32 vcc, 0, v5
	v_xor_b32_e32 v5, vcc_hi, v110
	v_and_b32_e32 v110, exec_hi, v5
	v_lshlrev_b32_e32 v5, 30, v20
	v_xor_b32_e32 v21, vcc_lo, v21
	v_cmp_gt_i64_e32 vcc, 0, v[4:5]
	v_not_b32_e32 v5, v5
	v_ashrrev_i32_e32 v5, 31, v5
	v_and_b32_e32 v21, exec_lo, v21
	v_xor_b32_e32 v111, vcc_hi, v5
	v_xor_b32_e32 v5, vcc_lo, v5
	v_and_b32_e32 v21, v21, v5
	v_lshlrev_b32_e32 v5, 29, v20
	v_cmp_gt_i64_e32 vcc, 0, v[4:5]
	v_not_b32_e32 v5, v5
	v_ashrrev_i32_e32 v5, 31, v5
	v_and_b32_e32 v110, v110, v111
	v_xor_b32_e32 v111, vcc_hi, v5
	v_xor_b32_e32 v5, vcc_lo, v5
	v_and_b32_e32 v21, v21, v5
	v_lshlrev_b32_e32 v5, 28, v20
	v_cmp_gt_i64_e32 vcc, 0, v[4:5]
	v_not_b32_e32 v5, v5
	v_ashrrev_i32_e32 v5, 31, v5
	v_and_b32_e32 v110, v110, v111
	;; [unrolled: 8-line block ×5, first 2 shown]
	v_xor_b32_e32 v111, vcc_hi, v5
	v_xor_b32_e32 v5, vcc_lo, v5
	v_and_b32_e32 v110, v110, v111
	v_and_b32_e32 v111, v21, v5
	v_lshlrev_b32_e32 v5, 24, v20
	v_cmp_gt_i64_e32 vcc, 0, v[4:5]
	v_not_b32_e32 v5, v5
	v_ashrrev_i32_e32 v5, 31, v5
	v_xor_b32_e32 v20, vcc_hi, v5
	v_xor_b32_e32 v5, vcc_lo, v5
	v_and_b32_e32 v21, v110, v20
	v_and_b32_e32 v20, v111, v5
	v_mbcnt_lo_u32_b32 v5, v20, 0
	v_mbcnt_hi_u32_b32 v110, v21, v5
	v_cmp_eq_u32_e32 vcc, 0, v110
	v_cmp_ne_u64_e64 s[36:37], 0, v[20:21]
	s_and_b64 s[38:39], s[36:37], vcc
	; wave barrier
	s_and_saveexec_b64 s[36:37], s[38:39]
	s_cbranch_execz .LBB1740_428
; %bb.427:                              ;   in Loop: Header=BB1740_400 Depth=2
	v_bcnt_u32_b32 v5, v20, 0
	v_bcnt_u32_b32 v5, v21, v5
	s_waitcnt lgkmcnt(0)
	v_add_u32_e32 v5, v107, v5
	ds_write_b32 v108, v5
.LBB1740_428:                           ;   in Loop: Header=BB1740_400 Depth=2
	s_or_b64 exec, exec, s[36:37]
	s_waitcnt vmcnt(2)
	v_cmp_gt_i16_e32 vcc, 0, v109
	v_cndmask_b32_e64 v5, v66, 0, vcc
	v_xor_b32_e32 v109, v5, v109
	v_cmp_ne_u16_e32 vcc, s68, v109
	v_cndmask_b32_e32 v5, v66, v109, vcc
	v_lshrrev_b32_sdwa v5, s69, v5 dst_sel:DWORD dst_unused:UNUSED_PAD src0_sel:DWORD src1_sel:WORD_0
	v_and_b32_e32 v20, s78, v5
	v_mul_u32_u24_e32 v5, 5, v20
	v_add_lshl_u32 v5, v5, v92, 2
	; wave barrier
	v_add_u32_e32 v112, 0x410, v5
	ds_read_b32 v111, v5 offset:1040
	v_and_b32_e32 v5, 1, v20
	v_add_co_u32_e32 v21, vcc, -1, v5
	v_addc_co_u32_e64 v113, s[36:37], 0, -1, vcc
	v_cmp_ne_u32_e32 vcc, 0, v5
	v_xor_b32_e32 v5, vcc_hi, v113
	v_and_b32_e32 v113, exec_hi, v5
	v_lshlrev_b32_e32 v5, 30, v20
	v_xor_b32_e32 v21, vcc_lo, v21
	v_cmp_gt_i64_e32 vcc, 0, v[4:5]
	v_not_b32_e32 v5, v5
	v_ashrrev_i32_e32 v5, 31, v5
	v_and_b32_e32 v21, exec_lo, v21
	v_xor_b32_e32 v114, vcc_hi, v5
	v_xor_b32_e32 v5, vcc_lo, v5
	v_and_b32_e32 v21, v21, v5
	v_lshlrev_b32_e32 v5, 29, v20
	v_cmp_gt_i64_e32 vcc, 0, v[4:5]
	v_not_b32_e32 v5, v5
	v_ashrrev_i32_e32 v5, 31, v5
	v_and_b32_e32 v113, v113, v114
	v_xor_b32_e32 v114, vcc_hi, v5
	v_xor_b32_e32 v5, vcc_lo, v5
	v_and_b32_e32 v21, v21, v5
	v_lshlrev_b32_e32 v5, 28, v20
	v_cmp_gt_i64_e32 vcc, 0, v[4:5]
	v_not_b32_e32 v5, v5
	v_ashrrev_i32_e32 v5, 31, v5
	v_and_b32_e32 v113, v113, v114
	;; [unrolled: 8-line block ×5, first 2 shown]
	v_xor_b32_e32 v114, vcc_hi, v5
	v_xor_b32_e32 v5, vcc_lo, v5
	v_and_b32_e32 v113, v113, v114
	v_and_b32_e32 v114, v21, v5
	v_lshlrev_b32_e32 v5, 24, v20
	v_cmp_gt_i64_e32 vcc, 0, v[4:5]
	v_not_b32_e32 v5, v5
	v_ashrrev_i32_e32 v5, 31, v5
	v_xor_b32_e32 v20, vcc_hi, v5
	v_xor_b32_e32 v5, vcc_lo, v5
	v_and_b32_e32 v21, v113, v20
	v_and_b32_e32 v20, v114, v5
	v_mbcnt_lo_u32_b32 v5, v20, 0
	v_mbcnt_hi_u32_b32 v113, v21, v5
	v_cmp_eq_u32_e32 vcc, 0, v113
	v_cmp_ne_u64_e64 s[36:37], 0, v[20:21]
	s_and_b64 s[38:39], s[36:37], vcc
	; wave barrier
	s_and_saveexec_b64 s[36:37], s[38:39]
	s_cbranch_execz .LBB1740_430
; %bb.429:                              ;   in Loop: Header=BB1740_400 Depth=2
	v_bcnt_u32_b32 v5, v20, 0
	v_bcnt_u32_b32 v5, v21, v5
	s_waitcnt lgkmcnt(0)
	v_add_u32_e32 v5, v111, v5
	ds_write_b32 v112, v5
.LBB1740_430:                           ;   in Loop: Header=BB1740_400 Depth=2
	s_or_b64 exec, exec, s[36:37]
	s_waitcnt vmcnt(1)
	v_cmp_gt_i16_e32 vcc, 0, v104
	v_cndmask_b32_e64 v5, v66, 0, vcc
	v_xor_b32_e32 v104, v5, v104
	v_cmp_ne_u16_e32 vcc, s68, v104
	v_cndmask_b32_e32 v5, v66, v104, vcc
	v_lshrrev_b32_sdwa v5, s69, v5 dst_sel:DWORD dst_unused:UNUSED_PAD src0_sel:DWORD src1_sel:WORD_0
	v_and_b32_e32 v20, s78, v5
	v_mul_u32_u24_e32 v5, 5, v20
	v_add_lshl_u32 v5, v5, v92, 2
	; wave barrier
	v_add_u32_e32 v115, 0x410, v5
	ds_read_b32 v114, v5 offset:1040
	v_and_b32_e32 v5, 1, v20
	v_add_co_u32_e32 v21, vcc, -1, v5
	v_addc_co_u32_e64 v116, s[36:37], 0, -1, vcc
	v_cmp_ne_u32_e32 vcc, 0, v5
	v_xor_b32_e32 v5, vcc_hi, v116
	v_and_b32_e32 v116, exec_hi, v5
	v_lshlrev_b32_e32 v5, 30, v20
	v_xor_b32_e32 v21, vcc_lo, v21
	v_cmp_gt_i64_e32 vcc, 0, v[4:5]
	v_not_b32_e32 v5, v5
	v_ashrrev_i32_e32 v5, 31, v5
	v_and_b32_e32 v21, exec_lo, v21
	v_xor_b32_e32 v117, vcc_hi, v5
	v_xor_b32_e32 v5, vcc_lo, v5
	v_and_b32_e32 v21, v21, v5
	v_lshlrev_b32_e32 v5, 29, v20
	v_cmp_gt_i64_e32 vcc, 0, v[4:5]
	v_not_b32_e32 v5, v5
	v_ashrrev_i32_e32 v5, 31, v5
	v_and_b32_e32 v116, v116, v117
	v_xor_b32_e32 v117, vcc_hi, v5
	v_xor_b32_e32 v5, vcc_lo, v5
	v_and_b32_e32 v21, v21, v5
	v_lshlrev_b32_e32 v5, 28, v20
	v_cmp_gt_i64_e32 vcc, 0, v[4:5]
	v_not_b32_e32 v5, v5
	v_ashrrev_i32_e32 v5, 31, v5
	v_and_b32_e32 v116, v116, v117
	;; [unrolled: 8-line block ×5, first 2 shown]
	v_xor_b32_e32 v117, vcc_hi, v5
	v_xor_b32_e32 v5, vcc_lo, v5
	v_and_b32_e32 v116, v116, v117
	v_and_b32_e32 v117, v21, v5
	v_lshlrev_b32_e32 v5, 24, v20
	v_cmp_gt_i64_e32 vcc, 0, v[4:5]
	v_not_b32_e32 v5, v5
	v_ashrrev_i32_e32 v5, 31, v5
	v_xor_b32_e32 v20, vcc_hi, v5
	v_xor_b32_e32 v5, vcc_lo, v5
	v_and_b32_e32 v21, v116, v20
	v_and_b32_e32 v20, v117, v5
	v_mbcnt_lo_u32_b32 v5, v20, 0
	v_mbcnt_hi_u32_b32 v116, v21, v5
	v_cmp_eq_u32_e32 vcc, 0, v116
	v_cmp_ne_u64_e64 s[36:37], 0, v[20:21]
	s_and_b64 s[38:39], s[36:37], vcc
	; wave barrier
	s_and_saveexec_b64 s[36:37], s[38:39]
	s_cbranch_execz .LBB1740_432
; %bb.431:                              ;   in Loop: Header=BB1740_400 Depth=2
	v_bcnt_u32_b32 v5, v20, 0
	v_bcnt_u32_b32 v5, v21, v5
	s_waitcnt lgkmcnt(0)
	v_add_u32_e32 v5, v114, v5
	ds_write_b32 v115, v5
.LBB1740_432:                           ;   in Loop: Header=BB1740_400 Depth=2
	s_or_b64 exec, exec, s[36:37]
	s_waitcnt vmcnt(0)
	v_cmp_gt_i16_e32 vcc, 0, v22
	v_cndmask_b32_e64 v5, v66, 0, vcc
	v_xor_b32_e32 v117, v5, v22
	v_cmp_ne_u16_e32 vcc, s68, v117
	v_cndmask_b32_e32 v5, v66, v117, vcc
	v_lshrrev_b32_sdwa v5, s69, v5 dst_sel:DWORD dst_unused:UNUSED_PAD src0_sel:DWORD src1_sel:WORD_0
	v_and_b32_e32 v20, s78, v5
	v_mul_u32_u24_e32 v5, 5, v20
	v_add_lshl_u32 v5, v5, v92, 2
	; wave barrier
	v_add_u32_e32 v119, 0x410, v5
	ds_read_b32 v118, v5 offset:1040
	v_and_b32_e32 v5, 1, v20
	v_add_co_u32_e32 v21, vcc, -1, v5
	v_addc_co_u32_e64 v22, s[36:37], 0, -1, vcc
	v_cmp_ne_u32_e32 vcc, 0, v5
	v_xor_b32_e32 v5, vcc_hi, v22
	v_and_b32_e32 v22, exec_hi, v5
	v_lshlrev_b32_e32 v5, 30, v20
	v_xor_b32_e32 v21, vcc_lo, v21
	v_cmp_gt_i64_e32 vcc, 0, v[4:5]
	v_not_b32_e32 v5, v5
	v_ashrrev_i32_e32 v5, 31, v5
	v_and_b32_e32 v21, exec_lo, v21
	v_xor_b32_e32 v120, vcc_hi, v5
	v_xor_b32_e32 v5, vcc_lo, v5
	v_and_b32_e32 v21, v21, v5
	v_lshlrev_b32_e32 v5, 29, v20
	v_cmp_gt_i64_e32 vcc, 0, v[4:5]
	v_not_b32_e32 v5, v5
	v_ashrrev_i32_e32 v5, 31, v5
	v_and_b32_e32 v22, v22, v120
	v_xor_b32_e32 v120, vcc_hi, v5
	v_xor_b32_e32 v5, vcc_lo, v5
	v_and_b32_e32 v21, v21, v5
	v_lshlrev_b32_e32 v5, 28, v20
	v_cmp_gt_i64_e32 vcc, 0, v[4:5]
	v_not_b32_e32 v5, v5
	v_ashrrev_i32_e32 v5, 31, v5
	v_and_b32_e32 v22, v22, v120
	;; [unrolled: 8-line block ×5, first 2 shown]
	v_xor_b32_e32 v120, vcc_hi, v5
	v_xor_b32_e32 v5, vcc_lo, v5
	v_and_b32_e32 v22, v22, v120
	v_and_b32_e32 v120, v21, v5
	v_lshlrev_b32_e32 v5, 24, v20
	v_cmp_gt_i64_e32 vcc, 0, v[4:5]
	v_not_b32_e32 v5, v5
	v_ashrrev_i32_e32 v5, 31, v5
	v_xor_b32_e32 v20, vcc_hi, v5
	v_xor_b32_e32 v5, vcc_lo, v5
	v_and_b32_e32 v21, v22, v20
	v_and_b32_e32 v20, v120, v5
	v_mbcnt_lo_u32_b32 v5, v20, 0
	v_mbcnt_hi_u32_b32 v120, v21, v5
	v_cmp_eq_u32_e32 vcc, 0, v120
	v_cmp_ne_u64_e64 s[36:37], 0, v[20:21]
	s_and_b64 s[38:39], s[36:37], vcc
	; wave barrier
	s_and_saveexec_b64 s[36:37], s[38:39]
	s_cbranch_execz .LBB1740_434
; %bb.433:                              ;   in Loop: Header=BB1740_400 Depth=2
	v_bcnt_u32_b32 v5, v20, 0
	v_bcnt_u32_b32 v5, v21, v5
	s_waitcnt lgkmcnt(0)
	v_add_u32_e32 v5, v118, v5
	ds_write_b32 v119, v5
.LBB1740_434:                           ;   in Loop: Header=BB1740_400 Depth=2
	s_or_b64 exec, exec, s[36:37]
	v_cmp_gt_i16_e32 vcc, 0, v23
	v_cndmask_b32_e64 v5, v66, 0, vcc
	v_xor_b32_e32 v121, v5, v23
	v_cmp_ne_u16_e32 vcc, s68, v121
	v_cndmask_b32_e32 v5, v66, v121, vcc
	v_lshrrev_b32_sdwa v5, s69, v5 dst_sel:DWORD dst_unused:UNUSED_PAD src0_sel:DWORD src1_sel:WORD_0
	v_and_b32_e32 v20, s78, v5
	v_mul_u32_u24_e32 v5, 5, v20
	v_add_lshl_u32 v5, v5, v92, 2
	; wave barrier
	v_add_u32_e32 v123, 0x410, v5
	ds_read_b32 v122, v5 offset:1040
	v_and_b32_e32 v5, 1, v20
	v_add_co_u32_e32 v21, vcc, -1, v5
	v_addc_co_u32_e64 v22, s[36:37], 0, -1, vcc
	v_cmp_ne_u32_e32 vcc, 0, v5
	v_xor_b32_e32 v5, vcc_hi, v22
	v_and_b32_e32 v22, exec_hi, v5
	v_lshlrev_b32_e32 v5, 30, v20
	v_xor_b32_e32 v21, vcc_lo, v21
	v_cmp_gt_i64_e32 vcc, 0, v[4:5]
	v_not_b32_e32 v5, v5
	v_ashrrev_i32_e32 v5, 31, v5
	v_and_b32_e32 v21, exec_lo, v21
	v_xor_b32_e32 v23, vcc_hi, v5
	v_xor_b32_e32 v5, vcc_lo, v5
	v_and_b32_e32 v21, v21, v5
	v_lshlrev_b32_e32 v5, 29, v20
	v_cmp_gt_i64_e32 vcc, 0, v[4:5]
	v_not_b32_e32 v5, v5
	v_ashrrev_i32_e32 v5, 31, v5
	v_and_b32_e32 v22, v22, v23
	v_xor_b32_e32 v23, vcc_hi, v5
	v_xor_b32_e32 v5, vcc_lo, v5
	v_and_b32_e32 v21, v21, v5
	v_lshlrev_b32_e32 v5, 28, v20
	v_cmp_gt_i64_e32 vcc, 0, v[4:5]
	v_not_b32_e32 v5, v5
	v_ashrrev_i32_e32 v5, 31, v5
	v_and_b32_e32 v22, v22, v23
	;; [unrolled: 8-line block ×5, first 2 shown]
	v_xor_b32_e32 v23, vcc_hi, v5
	v_xor_b32_e32 v5, vcc_lo, v5
	v_and_b32_e32 v22, v22, v23
	v_and_b32_e32 v23, v21, v5
	v_lshlrev_b32_e32 v5, 24, v20
	v_cmp_gt_i64_e32 vcc, 0, v[4:5]
	v_not_b32_e32 v5, v5
	v_ashrrev_i32_e32 v5, 31, v5
	v_xor_b32_e32 v20, vcc_hi, v5
	v_xor_b32_e32 v5, vcc_lo, v5
	v_and_b32_e32 v21, v22, v20
	v_and_b32_e32 v20, v23, v5
	v_mbcnt_lo_u32_b32 v5, v20, 0
	v_mbcnt_hi_u32_b32 v124, v21, v5
	v_cmp_eq_u32_e32 vcc, 0, v124
	v_cmp_ne_u64_e64 s[36:37], 0, v[20:21]
	s_and_b64 s[38:39], s[36:37], vcc
	; wave barrier
	s_and_saveexec_b64 s[36:37], s[38:39]
	s_cbranch_execz .LBB1740_436
; %bb.435:                              ;   in Loop: Header=BB1740_400 Depth=2
	v_bcnt_u32_b32 v5, v20, 0
	v_bcnt_u32_b32 v5, v21, v5
	s_waitcnt lgkmcnt(0)
	v_add_u32_e32 v5, v122, v5
	ds_write_b32 v123, v5
.LBB1740_436:                           ;   in Loop: Header=BB1740_400 Depth=2
	s_or_b64 exec, exec, s[36:37]
	; wave barrier
	s_waitcnt lgkmcnt(0)
	s_barrier
	ds_read_b32 v5, v41 offset:1040
	ds_read2_b32 v[22:23], v43 offset0:1 offset1:2
	ds_read2_b32 v[20:21], v43 offset0:3 offset1:4
	s_waitcnt lgkmcnt(1)
	v_add3_u32 v125, v22, v5, v23
	s_waitcnt lgkmcnt(0)
	v_add3_u32 v21, v125, v20, v21
	s_nop 1
	v_mov_b32_dpp v125, v21 row_shr:1 row_mask:0xf bank_mask:0xf
	v_cndmask_b32_e64 v125, v125, 0, s[16:17]
	v_add_u32_e32 v21, v125, v21
	s_nop 1
	v_mov_b32_dpp v125, v21 row_shr:2 row_mask:0xf bank_mask:0xf
	v_cndmask_b32_e64 v125, 0, v125, s[18:19]
	v_add_u32_e32 v21, v21, v125
	;; [unrolled: 4-line block ×4, first 2 shown]
	s_nop 1
	v_mov_b32_dpp v125, v21 row_bcast:15 row_mask:0xf bank_mask:0xf
	v_cndmask_b32_e64 v125, v125, 0, s[24:25]
	v_add_u32_e32 v21, v21, v125
	s_nop 1
	v_mov_b32_dpp v125, v21 row_bcast:31 row_mask:0xf bank_mask:0xf
	v_cndmask_b32_e64 v125, 0, v125, s[26:27]
	v_add_u32_e32 v21, v21, v125
	s_and_saveexec_b64 s[36:37], s[6:7]
	s_cbranch_execz .LBB1740_438
; %bb.437:                              ;   in Loop: Header=BB1740_400 Depth=2
	ds_write_b32 v34, v21 offset:1024
.LBB1740_438:                           ;   in Loop: Header=BB1740_400 Depth=2
	s_or_b64 exec, exec, s[36:37]
	s_waitcnt lgkmcnt(0)
	s_barrier
	s_and_saveexec_b64 s[36:37], s[8:9]
	s_cbranch_execz .LBB1740_440
; %bb.439:                              ;   in Loop: Header=BB1740_400 Depth=2
	ds_read_b32 v125, v44 offset:1024
	s_waitcnt lgkmcnt(0)
	s_nop 0
	v_mov_b32_dpp v126, v125 row_shr:1 row_mask:0xf bank_mask:0xf
	v_cndmask_b32_e64 v126, v126, 0, s[30:31]
	v_add_u32_e32 v125, v126, v125
	s_nop 1
	v_mov_b32_dpp v126, v125 row_shr:2 row_mask:0xf bank_mask:0xf
	v_cndmask_b32_e64 v126, 0, v126, s[34:35]
	v_add_u32_e32 v125, v125, v126
	ds_write_b32 v44, v125 offset:1024
.LBB1740_440:                           ;   in Loop: Header=BB1740_400 Depth=2
	s_or_b64 exec, exec, s[36:37]
	v_mov_b32_e32 v125, 0
	s_waitcnt lgkmcnt(0)
	s_barrier
	s_and_saveexec_b64 s[36:37], s[10:11]
	s_cbranch_execz .LBB1740_442
; %bb.441:                              ;   in Loop: Header=BB1740_400 Depth=2
	ds_read_b32 v125, v34 offset:1020
.LBB1740_442:                           ;   in Loop: Header=BB1740_400 Depth=2
	s_or_b64 exec, exec, s[36:37]
	s_waitcnt lgkmcnt(0)
	v_add_u32_e32 v21, v125, v21
	ds_bpermute_b32 v21, v69, v21
	s_waitcnt lgkmcnt(0)
	v_cndmask_b32_e64 v21, v21, v125, s[28:29]
	v_cndmask_b32_e64 v21, v21, 0, s[12:13]
	v_add_u32_e32 v5, v21, v5
	ds_write_b32 v41, v21 offset:1040
	v_add_u32_e32 v21, v5, v22
	v_add_u32_e32 v22, v21, v23
	ds_write2_b32 v43, v5, v21 offset0:1 offset1:2
	v_add_u32_e32 v5, v22, v20
	ds_write2_b32 v43, v22, v5 offset0:3 offset1:4
	s_waitcnt lgkmcnt(0)
	s_barrier
	ds_read_b32 v20, v99
	ds_read_b32 v21, v103
	;; [unrolled: 1-line block ×8, first 2 shown]
	ds_read_b32 v99, v41 offset:1040
	v_mov_b32_e32 v5, 0x800
	s_and_saveexec_b64 s[36:37], s[14:15]
	s_cbranch_execz .LBB1740_444
; %bb.443:                              ;   in Loop: Header=BB1740_400 Depth=2
	ds_read_b32 v5, v41 offset:1060
.LBB1740_444:                           ;   in Loop: Header=BB1740_400 Depth=2
	s_or_b64 exec, exec, s[36:37]
	s_waitcnt lgkmcnt(0)
	s_barrier
	s_and_saveexec_b64 s[36:37], s[4:5]
	s_cbranch_execz .LBB1740_446
; %bb.445:                              ;   in Loop: Header=BB1740_400 Depth=2
	ds_read_b32 v103, v3
	s_waitcnt lgkmcnt(0)
	v_sub_u32_e32 v99, v103, v99
	ds_write_b32 v3, v99
.LBB1740_446:                           ;   in Loop: Header=BB1740_400 Depth=2
	s_or_b64 exec, exec, s[36:37]
	v_add_u32_e32 v103, v95, v96
	v_add3_u32 v100, v100, v98, v20
	v_lshlrev_b32_e32 v20, 1, v103
	v_add3_u32 v99, v105, v102, v21
	ds_write_b16 v20, v94 offset:1024
	v_lshlrev_b32_e32 v20, 1, v100
	v_add3_u32 v98, v110, v107, v22
	ds_write_b16 v20, v97 offset:1024
	v_lshlrev_b32_e32 v20, 1, v99
	v_add3_u32 v96, v113, v111, v23
	ds_write_b16 v20, v101 offset:1024
	v_lshlrev_b32_e32 v20, 1, v98
	v_add3_u32 v95, v116, v114, v108
	ds_write_b16 v20, v106 offset:1024
	v_lshlrev_b32_e32 v20, 1, v96
	v_add3_u32 v23, v120, v118, v112
	ds_write_b16 v20, v109 offset:1024
	v_lshlrev_b32_e32 v20, 1, v95
	v_add3_u32 v22, v124, v122, v115
	ds_write_b16 v20, v104 offset:1024
	v_lshlrev_b32_e32 v20, 1, v23
	ds_write_b16 v20, v117 offset:1024
	v_lshlrev_b32_e32 v20, 1, v22
	v_cmp_lt_u32_e32 vcc, v2, v93
	ds_write_b16 v20, v121 offset:1024
	s_waitcnt lgkmcnt(0)
	s_barrier
	s_and_saveexec_b64 s[38:39], vcc
	s_cbranch_execz .LBB1740_454
; %bb.447:                              ;   in Loop: Header=BB1740_400 Depth=2
	ds_read_u16 v20, v49 offset:1024
	v_mov_b32_e32 v21, v4
	v_mov_b32_e32 v97, s59
	s_waitcnt lgkmcnt(0)
	v_cmp_ne_u16_e64 s[36:37], s68, v20
	v_cndmask_b32_e64 v94, v66, v20, s[36:37]
	v_lshrrev_b32_sdwa v94, s69, v94 dst_sel:DWORD dst_unused:UNUSED_PAD src0_sel:DWORD src1_sel:WORD_0
	v_and_b32_e32 v94, s78, v94
	v_lshlrev_b32_e32 v94, 2, v94
	ds_read_b32 v94, v94
	v_cmp_gt_i16_e64 s[36:37], 0, v20
	v_cndmask_b32_e64 v101, v66, 0, s[36:37]
	v_xor_b32_e32 v101, v101, v20
	s_waitcnt lgkmcnt(0)
	v_add_u32_e32 v20, v94, v2
	v_lshlrev_b64 v[20:21], 1, v[20:21]
	v_add_co_u32_e64 v20, s[36:37], s58, v20
	v_addc_co_u32_e64 v21, s[36:37], v97, v21, s[36:37]
	global_store_short v[20:21], v101, off
	s_or_b64 exec, exec, s[38:39]
	v_cmp_lt_u32_e64 s[36:37], v24, v93
	s_and_saveexec_b64 s[40:41], s[36:37]
	s_cbranch_execnz .LBB1740_455
.LBB1740_448:                           ;   in Loop: Header=BB1740_400 Depth=2
	s_or_b64 exec, exec, s[40:41]
	v_cmp_lt_u32_e64 s[38:39], v25, v93
	s_and_saveexec_b64 s[42:43], s[38:39]
	s_cbranch_execz .LBB1740_456
.LBB1740_449:                           ;   in Loop: Header=BB1740_400 Depth=2
	ds_read_u16 v20, v50 offset:1024
	v_mov_b32_e32 v21, v4
	v_mov_b32_e32 v97, s59
	s_waitcnt lgkmcnt(0)
	v_cmp_ne_u16_e64 s[40:41], s68, v20
	v_cndmask_b32_e64 v94, v66, v20, s[40:41]
	v_lshrrev_b32_sdwa v94, s69, v94 dst_sel:DWORD dst_unused:UNUSED_PAD src0_sel:DWORD src1_sel:WORD_0
	v_and_b32_e32 v94, s78, v94
	v_lshlrev_b32_e32 v94, 2, v94
	ds_read_b32 v94, v94
	v_cmp_gt_i16_e64 s[40:41], 0, v20
	v_cndmask_b32_e64 v101, v66, 0, s[40:41]
	v_xor_b32_e32 v101, v101, v20
	s_waitcnt lgkmcnt(0)
	v_add_u32_e32 v20, v94, v25
	v_lshlrev_b64 v[20:21], 1, v[20:21]
	v_add_co_u32_e64 v20, s[40:41], s58, v20
	v_addc_co_u32_e64 v21, s[40:41], v97, v21, s[40:41]
	global_store_short v[20:21], v101, off
	s_or_b64 exec, exec, s[42:43]
	v_cmp_lt_u32_e64 s[40:41], v26, v93
	s_and_saveexec_b64 s[44:45], s[40:41]
	s_cbranch_execnz .LBB1740_457
.LBB1740_450:                           ;   in Loop: Header=BB1740_400 Depth=2
	s_or_b64 exec, exec, s[44:45]
	v_cmp_lt_u32_e64 s[42:43], v29, v93
	s_and_saveexec_b64 s[46:47], s[42:43]
	s_cbranch_execz .LBB1740_458
.LBB1740_451:                           ;   in Loop: Header=BB1740_400 Depth=2
	ds_read_u16 v20, v50 offset:2048
	v_mov_b32_e32 v21, v4
	v_mov_b32_e32 v97, s59
	s_waitcnt lgkmcnt(0)
	v_cmp_ne_u16_e64 s[44:45], s68, v20
	v_cndmask_b32_e64 v94, v66, v20, s[44:45]
	v_lshrrev_b32_sdwa v94, s69, v94 dst_sel:DWORD dst_unused:UNUSED_PAD src0_sel:DWORD src1_sel:WORD_0
	v_and_b32_e32 v94, s78, v94
	v_lshlrev_b32_e32 v94, 2, v94
	ds_read_b32 v94, v94
	v_cmp_gt_i16_e64 s[44:45], 0, v20
	v_cndmask_b32_e64 v101, v66, 0, s[44:45]
	v_xor_b32_e32 v101, v101, v20
	s_waitcnt lgkmcnt(0)
	v_add_u32_e32 v20, v94, v29
	v_lshlrev_b64 v[20:21], 1, v[20:21]
	v_add_co_u32_e64 v20, s[44:45], s58, v20
	v_addc_co_u32_e64 v21, s[44:45], v97, v21, s[44:45]
	global_store_short v[20:21], v101, off
	s_or_b64 exec, exec, s[46:47]
	v_cmp_lt_u32_e64 s[44:45], v30, v93
	s_and_saveexec_b64 s[48:49], s[44:45]
	s_cbranch_execnz .LBB1740_459
.LBB1740_452:                           ;   in Loop: Header=BB1740_400 Depth=2
	s_or_b64 exec, exec, s[48:49]
	v_cmp_lt_u32_e64 s[46:47], v31, v93
	s_and_saveexec_b64 s[52:53], s[46:47]
	s_cbranch_execz .LBB1740_460
.LBB1740_453:                           ;   in Loop: Header=BB1740_400 Depth=2
	ds_read_u16 v20, v50 offset:3072
	v_mov_b32_e32 v21, v4
	v_mov_b32_e32 v97, s59
	s_waitcnt lgkmcnt(0)
	v_cmp_ne_u16_e64 s[48:49], s68, v20
	v_cndmask_b32_e64 v94, v66, v20, s[48:49]
	v_lshrrev_b32_sdwa v94, s69, v94 dst_sel:DWORD dst_unused:UNUSED_PAD src0_sel:DWORD src1_sel:WORD_0
	v_and_b32_e32 v94, s78, v94
	v_lshlrev_b32_e32 v94, 2, v94
	ds_read_b32 v94, v94
	v_cmp_gt_i16_e64 s[48:49], 0, v20
	v_cndmask_b32_e64 v101, v66, 0, s[48:49]
	v_xor_b32_e32 v101, v101, v20
	s_waitcnt lgkmcnt(0)
	v_add_u32_e32 v20, v94, v31
	v_lshlrev_b64 v[20:21], 1, v[20:21]
	v_add_co_u32_e64 v20, s[48:49], s58, v20
	v_addc_co_u32_e64 v21, s[48:49], v97, v21, s[48:49]
	global_store_short v[20:21], v101, off
	s_or_b64 exec, exec, s[52:53]
	v_cmp_lt_u32_e64 s[48:49], v32, v93
	s_and_saveexec_b64 s[62:63], s[48:49]
	s_cbranch_execnz .LBB1740_461
	s_branch .LBB1740_462
.LBB1740_454:                           ;   in Loop: Header=BB1740_400 Depth=2
	s_or_b64 exec, exec, s[38:39]
	v_cmp_lt_u32_e64 s[36:37], v24, v93
	s_and_saveexec_b64 s[40:41], s[36:37]
	s_cbranch_execz .LBB1740_448
.LBB1740_455:                           ;   in Loop: Header=BB1740_400 Depth=2
	ds_read_u16 v20, v50 offset:512
	v_mov_b32_e32 v21, v4
	v_mov_b32_e32 v97, s59
	s_waitcnt lgkmcnt(0)
	v_cmp_ne_u16_e64 s[38:39], s68, v20
	v_cndmask_b32_e64 v94, v66, v20, s[38:39]
	v_lshrrev_b32_sdwa v94, s69, v94 dst_sel:DWORD dst_unused:UNUSED_PAD src0_sel:DWORD src1_sel:WORD_0
	v_and_b32_e32 v94, s78, v94
	v_lshlrev_b32_e32 v94, 2, v94
	ds_read_b32 v94, v94
	v_cmp_gt_i16_e64 s[38:39], 0, v20
	v_cndmask_b32_e64 v101, v66, 0, s[38:39]
	v_xor_b32_e32 v101, v101, v20
	s_waitcnt lgkmcnt(0)
	v_add_u32_e32 v20, v94, v24
	v_lshlrev_b64 v[20:21], 1, v[20:21]
	v_add_co_u32_e64 v20, s[38:39], s58, v20
	v_addc_co_u32_e64 v21, s[38:39], v97, v21, s[38:39]
	global_store_short v[20:21], v101, off
	s_or_b64 exec, exec, s[40:41]
	v_cmp_lt_u32_e64 s[38:39], v25, v93
	s_and_saveexec_b64 s[42:43], s[38:39]
	s_cbranch_execnz .LBB1740_449
.LBB1740_456:                           ;   in Loop: Header=BB1740_400 Depth=2
	s_or_b64 exec, exec, s[42:43]
	v_cmp_lt_u32_e64 s[40:41], v26, v93
	s_and_saveexec_b64 s[44:45], s[40:41]
	s_cbranch_execz .LBB1740_450
.LBB1740_457:                           ;   in Loop: Header=BB1740_400 Depth=2
	ds_read_u16 v20, v50 offset:1536
	v_mov_b32_e32 v21, v4
	v_mov_b32_e32 v97, s59
	s_waitcnt lgkmcnt(0)
	v_cmp_ne_u16_e64 s[42:43], s68, v20
	v_cndmask_b32_e64 v94, v66, v20, s[42:43]
	v_lshrrev_b32_sdwa v94, s69, v94 dst_sel:DWORD dst_unused:UNUSED_PAD src0_sel:DWORD src1_sel:WORD_0
	v_and_b32_e32 v94, s78, v94
	v_lshlrev_b32_e32 v94, 2, v94
	ds_read_b32 v94, v94
	v_cmp_gt_i16_e64 s[42:43], 0, v20
	v_cndmask_b32_e64 v101, v66, 0, s[42:43]
	v_xor_b32_e32 v101, v101, v20
	s_waitcnt lgkmcnt(0)
	v_add_u32_e32 v20, v94, v26
	v_lshlrev_b64 v[20:21], 1, v[20:21]
	v_add_co_u32_e64 v20, s[42:43], s58, v20
	v_addc_co_u32_e64 v21, s[42:43], v97, v21, s[42:43]
	global_store_short v[20:21], v101, off
	s_or_b64 exec, exec, s[44:45]
	v_cmp_lt_u32_e64 s[42:43], v29, v93
	s_and_saveexec_b64 s[46:47], s[42:43]
	s_cbranch_execnz .LBB1740_451
.LBB1740_458:                           ;   in Loop: Header=BB1740_400 Depth=2
	s_or_b64 exec, exec, s[46:47]
	v_cmp_lt_u32_e64 s[44:45], v30, v93
	s_and_saveexec_b64 s[48:49], s[44:45]
	s_cbranch_execz .LBB1740_452
.LBB1740_459:                           ;   in Loop: Header=BB1740_400 Depth=2
	ds_read_u16 v20, v50 offset:2560
	v_mov_b32_e32 v21, v4
	v_mov_b32_e32 v97, s59
	s_waitcnt lgkmcnt(0)
	v_cmp_ne_u16_e64 s[46:47], s68, v20
	v_cndmask_b32_e64 v94, v66, v20, s[46:47]
	v_lshrrev_b32_sdwa v94, s69, v94 dst_sel:DWORD dst_unused:UNUSED_PAD src0_sel:DWORD src1_sel:WORD_0
	v_and_b32_e32 v94, s78, v94
	v_lshlrev_b32_e32 v94, 2, v94
	ds_read_b32 v94, v94
	v_cmp_gt_i16_e64 s[46:47], 0, v20
	v_cndmask_b32_e64 v101, v66, 0, s[46:47]
	v_xor_b32_e32 v101, v101, v20
	s_waitcnt lgkmcnt(0)
	v_add_u32_e32 v20, v94, v30
	v_lshlrev_b64 v[20:21], 1, v[20:21]
	v_add_co_u32_e64 v20, s[46:47], s58, v20
	v_addc_co_u32_e64 v21, s[46:47], v97, v21, s[46:47]
	global_store_short v[20:21], v101, off
	s_or_b64 exec, exec, s[48:49]
	v_cmp_lt_u32_e64 s[46:47], v31, v93
	s_and_saveexec_b64 s[52:53], s[46:47]
	s_cbranch_execnz .LBB1740_453
.LBB1740_460:                           ;   in Loop: Header=BB1740_400 Depth=2
	s_or_b64 exec, exec, s[52:53]
	v_cmp_lt_u32_e64 s[48:49], v32, v93
	s_and_saveexec_b64 s[62:63], s[48:49]
	s_cbranch_execz .LBB1740_462
.LBB1740_461:                           ;   in Loop: Header=BB1740_400 Depth=2
	ds_read_u16 v20, v50 offset:3584
	v_mov_b32_e32 v21, v4
	v_mov_b32_e32 v97, s59
	s_waitcnt lgkmcnt(0)
	v_cmp_ne_u16_e64 s[52:53], s68, v20
	v_cndmask_b32_e64 v94, v66, v20, s[52:53]
	v_lshrrev_b32_sdwa v94, s69, v94 dst_sel:DWORD dst_unused:UNUSED_PAD src0_sel:DWORD src1_sel:WORD_0
	v_and_b32_e32 v94, s78, v94
	v_lshlrev_b32_e32 v94, 2, v94
	ds_read_b32 v94, v94
	v_cmp_gt_i16_e64 s[52:53], 0, v20
	v_cndmask_b32_e64 v101, v66, 0, s[52:53]
	v_xor_b32_e32 v101, v101, v20
	s_waitcnt lgkmcnt(0)
	v_add_u32_e32 v20, v94, v32
	v_lshlrev_b64 v[20:21], 1, v[20:21]
	v_add_co_u32_e64 v20, s[52:53], s58, v20
	v_addc_co_u32_e64 v21, s[52:53], v97, v21, s[52:53]
	global_store_short v[20:21], v101, off
.LBB1740_462:                           ;   in Loop: Header=BB1740_400 Depth=2
	s_or_b64 exec, exec, s[62:63]
	s_lshl_b64 s[52:53], s[72:73], 3
	v_mov_b32_e32 v21, s53
	v_add_co_u32_e64 v20, s[52:53], s52, v77
	v_addc_co_u32_e64 v21, s[52:53], v79, v21, s[52:53]
	v_cmp_lt_u32_e64 s[52:53], v74, v93
	s_and_saveexec_b64 s[62:63], s[52:53]
	s_xor_b64 s[52:53], exec, s[62:63]
	s_cbranch_execz .LBB1740_478
; %bb.463:                              ;   in Loop: Header=BB1740_400 Depth=2
	global_load_dwordx2 v[18:19], v[20:21], off
	s_or_b64 exec, exec, s[52:53]
	v_cmp_lt_u32_e64 s[52:53], v81, v93
	s_and_saveexec_b64 s[62:63], s[52:53]
	s_cbranch_execnz .LBB1740_479
.LBB1740_464:                           ;   in Loop: Header=BB1740_400 Depth=2
	s_or_b64 exec, exec, s[62:63]
	v_cmp_lt_u32_e64 s[52:53], v82, v93
	s_and_saveexec_b64 s[62:63], s[52:53]
	s_cbranch_execz .LBB1740_480
.LBB1740_465:                           ;   in Loop: Header=BB1740_400 Depth=2
	global_load_dwordx2 v[14:15], v[20:21], off offset:1024
	s_or_b64 exec, exec, s[62:63]
	v_cmp_lt_u32_e64 s[52:53], v83, v93
	s_and_saveexec_b64 s[62:63], s[52:53]
	s_cbranch_execnz .LBB1740_481
.LBB1740_466:                           ;   in Loop: Header=BB1740_400 Depth=2
	s_or_b64 exec, exec, s[62:63]
	v_cmp_lt_u32_e64 s[52:53], v84, v93
	s_and_saveexec_b64 s[62:63], s[52:53]
	s_cbranch_execz .LBB1740_482
.LBB1740_467:                           ;   in Loop: Header=BB1740_400 Depth=2
	global_load_dwordx2 v[10:11], v[20:21], off offset:2048
	s_or_b64 exec, exec, s[62:63]
	v_cmp_lt_u32_e64 s[52:53], v85, v93
	s_and_saveexec_b64 s[62:63], s[52:53]
	s_cbranch_execnz .LBB1740_483
.LBB1740_468:                           ;   in Loop: Header=BB1740_400 Depth=2
	s_or_b64 exec, exec, s[62:63]
	v_cmp_lt_u32_e64 s[52:53], v86, v93
	s_and_saveexec_b64 s[62:63], s[52:53]
	s_cbranch_execz .LBB1740_484
.LBB1740_469:                           ;   in Loop: Header=BB1740_400 Depth=2
	global_load_dwordx2 v[6:7], v[20:21], off offset:3072
	s_or_b64 exec, exec, s[62:63]
	v_cmp_lt_u32_e64 s[52:53], v87, v93
	s_and_saveexec_b64 s[62:63], s[52:53]
	s_cbranch_execnz .LBB1740_485
.LBB1740_470:                           ;   in Loop: Header=BB1740_400 Depth=2
	s_or_b64 exec, exec, s[62:63]
	s_and_saveexec_b64 s[62:63], vcc
	s_cbranch_execz .LBB1740_486
.LBB1740_471:                           ;   in Loop: Header=BB1740_400 Depth=2
	ds_read_u16 v20, v49 offset:1024
	s_waitcnt lgkmcnt(0)
	v_cmp_ne_u16_e64 s[52:53], s68, v20
	v_cndmask_b32_e64 v20, v66, v20, s[52:53]
	v_lshrrev_b32_sdwa v20, s69, v20 dst_sel:DWORD dst_unused:UNUSED_PAD src0_sel:DWORD src1_sel:WORD_0
	v_and_b32_e32 v80, s78, v20
	s_or_b64 exec, exec, s[62:63]
	s_and_saveexec_b64 s[62:63], s[36:37]
	s_cbranch_execnz .LBB1740_487
.LBB1740_472:                           ;   in Loop: Header=BB1740_400 Depth=2
	s_or_b64 exec, exec, s[62:63]
	s_and_saveexec_b64 s[62:63], s[38:39]
	s_cbranch_execz .LBB1740_488
.LBB1740_473:                           ;   in Loop: Header=BB1740_400 Depth=2
	ds_read_u16 v20, v50 offset:1024
	s_waitcnt lgkmcnt(0)
	v_cmp_ne_u16_e64 s[52:53], s68, v20
	v_cndmask_b32_e64 v20, v66, v20, s[52:53]
	v_lshrrev_b32_sdwa v20, s69, v20 dst_sel:DWORD dst_unused:UNUSED_PAD src0_sel:DWORD src1_sel:WORD_0
	v_and_b32_e32 v76, s78, v20
	s_or_b64 exec, exec, s[62:63]
	s_and_saveexec_b64 s[62:63], s[40:41]
	s_cbranch_execnz .LBB1740_489
.LBB1740_474:                           ;   in Loop: Header=BB1740_400 Depth=2
	s_or_b64 exec, exec, s[62:63]
	s_and_saveexec_b64 s[62:63], s[42:43]
	s_cbranch_execz .LBB1740_490
.LBB1740_475:                           ;   in Loop: Header=BB1740_400 Depth=2
	ds_read_u16 v20, v50 offset:2048
	s_waitcnt lgkmcnt(0)
	v_cmp_ne_u16_e64 s[52:53], s68, v20
	v_cndmask_b32_e64 v20, v66, v20, s[52:53]
	v_lshrrev_b32_sdwa v20, s69, v20 dst_sel:DWORD dst_unused:UNUSED_PAD src0_sel:DWORD src1_sel:WORD_0
	v_and_b32_e32 v73, s78, v20
	s_or_b64 exec, exec, s[62:63]
	s_and_saveexec_b64 s[62:63], s[44:45]
	s_cbranch_execnz .LBB1740_491
.LBB1740_476:                           ;   in Loop: Header=BB1740_400 Depth=2
	s_or_b64 exec, exec, s[62:63]
	s_and_saveexec_b64 s[62:63], s[46:47]
	s_cbranch_execz .LBB1740_492
.LBB1740_477:                           ;   in Loop: Header=BB1740_400 Depth=2
	ds_read_u16 v20, v50 offset:3072
	s_waitcnt lgkmcnt(0)
	v_cmp_ne_u16_e64 s[52:53], s68, v20
	v_cndmask_b32_e64 v20, v66, v20, s[52:53]
	v_lshrrev_b32_sdwa v20, s69, v20 dst_sel:DWORD dst_unused:UNUSED_PAD src0_sel:DWORD src1_sel:WORD_0
	v_and_b32_e32 v71, s78, v20
	s_or_b64 exec, exec, s[62:63]
	s_and_saveexec_b64 s[62:63], s[48:49]
	s_cbranch_execnz .LBB1740_493
	s_branch .LBB1740_494
.LBB1740_478:                           ;   in Loop: Header=BB1740_400 Depth=2
	s_or_b64 exec, exec, s[52:53]
	v_cmp_lt_u32_e64 s[52:53], v81, v93
	s_and_saveexec_b64 s[62:63], s[52:53]
	s_cbranch_execz .LBB1740_464
.LBB1740_479:                           ;   in Loop: Header=BB1740_400 Depth=2
	global_load_dwordx2 v[16:17], v[20:21], off offset:512
	s_or_b64 exec, exec, s[62:63]
	v_cmp_lt_u32_e64 s[52:53], v82, v93
	s_and_saveexec_b64 s[62:63], s[52:53]
	s_cbranch_execnz .LBB1740_465
.LBB1740_480:                           ;   in Loop: Header=BB1740_400 Depth=2
	s_or_b64 exec, exec, s[62:63]
	v_cmp_lt_u32_e64 s[52:53], v83, v93
	s_and_saveexec_b64 s[62:63], s[52:53]
	s_cbranch_execz .LBB1740_466
.LBB1740_481:                           ;   in Loop: Header=BB1740_400 Depth=2
	global_load_dwordx2 v[12:13], v[20:21], off offset:1536
	s_or_b64 exec, exec, s[62:63]
	v_cmp_lt_u32_e64 s[52:53], v84, v93
	s_and_saveexec_b64 s[62:63], s[52:53]
	s_cbranch_execnz .LBB1740_467
.LBB1740_482:                           ;   in Loop: Header=BB1740_400 Depth=2
	s_or_b64 exec, exec, s[62:63]
	v_cmp_lt_u32_e64 s[52:53], v85, v93
	s_and_saveexec_b64 s[62:63], s[52:53]
	s_cbranch_execz .LBB1740_468
.LBB1740_483:                           ;   in Loop: Header=BB1740_400 Depth=2
	global_load_dwordx2 v[8:9], v[20:21], off offset:2560
	s_or_b64 exec, exec, s[62:63]
	v_cmp_lt_u32_e64 s[52:53], v86, v93
	s_and_saveexec_b64 s[62:63], s[52:53]
	s_cbranch_execnz .LBB1740_469
.LBB1740_484:                           ;   in Loop: Header=BB1740_400 Depth=2
	s_or_b64 exec, exec, s[62:63]
	v_cmp_lt_u32_e64 s[52:53], v87, v93
	s_and_saveexec_b64 s[62:63], s[52:53]
	s_cbranch_execz .LBB1740_470
.LBB1740_485:                           ;   in Loop: Header=BB1740_400 Depth=2
	global_load_dwordx2 v[0:1], v[20:21], off offset:3584
	s_or_b64 exec, exec, s[62:63]
	s_and_saveexec_b64 s[62:63], vcc
	s_cbranch_execnz .LBB1740_471
.LBB1740_486:                           ;   in Loop: Header=BB1740_400 Depth=2
	s_or_b64 exec, exec, s[62:63]
	s_and_saveexec_b64 s[62:63], s[36:37]
	s_cbranch_execz .LBB1740_472
.LBB1740_487:                           ;   in Loop: Header=BB1740_400 Depth=2
	ds_read_u16 v20, v50 offset:512
	s_waitcnt lgkmcnt(0)
	v_cmp_ne_u16_e64 s[52:53], s68, v20
	v_cndmask_b32_e64 v20, v66, v20, s[52:53]
	v_lshrrev_b32_sdwa v20, s69, v20 dst_sel:DWORD dst_unused:UNUSED_PAD src0_sel:DWORD src1_sel:WORD_0
	v_and_b32_e32 v78, s78, v20
	s_or_b64 exec, exec, s[62:63]
	s_and_saveexec_b64 s[62:63], s[38:39]
	s_cbranch_execnz .LBB1740_473
.LBB1740_488:                           ;   in Loop: Header=BB1740_400 Depth=2
	s_or_b64 exec, exec, s[62:63]
	s_and_saveexec_b64 s[62:63], s[40:41]
	s_cbranch_execz .LBB1740_474
.LBB1740_489:                           ;   in Loop: Header=BB1740_400 Depth=2
	ds_read_u16 v20, v50 offset:1536
	s_waitcnt lgkmcnt(0)
	v_cmp_ne_u16_e64 s[52:53], s68, v20
	v_cndmask_b32_e64 v20, v66, v20, s[52:53]
	v_lshrrev_b32_sdwa v20, s69, v20 dst_sel:DWORD dst_unused:UNUSED_PAD src0_sel:DWORD src1_sel:WORD_0
	v_and_b32_e32 v75, s78, v20
	s_or_b64 exec, exec, s[62:63]
	s_and_saveexec_b64 s[62:63], s[42:43]
	s_cbranch_execnz .LBB1740_475
.LBB1740_490:                           ;   in Loop: Header=BB1740_400 Depth=2
	s_or_b64 exec, exec, s[62:63]
	s_and_saveexec_b64 s[62:63], s[44:45]
	s_cbranch_execz .LBB1740_476
.LBB1740_491:                           ;   in Loop: Header=BB1740_400 Depth=2
	ds_read_u16 v20, v50 offset:2560
	s_waitcnt lgkmcnt(0)
	v_cmp_ne_u16_e64 s[52:53], s68, v20
	v_cndmask_b32_e64 v20, v66, v20, s[52:53]
	v_lshrrev_b32_sdwa v20, s69, v20 dst_sel:DWORD dst_unused:UNUSED_PAD src0_sel:DWORD src1_sel:WORD_0
	v_and_b32_e32 v72, s78, v20
	s_or_b64 exec, exec, s[62:63]
	s_and_saveexec_b64 s[62:63], s[46:47]
	s_cbranch_execnz .LBB1740_477
.LBB1740_492:                           ;   in Loop: Header=BB1740_400 Depth=2
	s_or_b64 exec, exec, s[62:63]
	s_and_saveexec_b64 s[62:63], s[48:49]
	s_cbranch_execz .LBB1740_494
.LBB1740_493:                           ;   in Loop: Header=BB1740_400 Depth=2
	ds_read_u16 v20, v50 offset:3584
	s_waitcnt lgkmcnt(0)
	v_cmp_ne_u16_e64 s[52:53], s68, v20
	v_cndmask_b32_e64 v20, v66, v20, s[52:53]
	v_lshrrev_b32_sdwa v20, s69, v20 dst_sel:DWORD dst_unused:UNUSED_PAD src0_sel:DWORD src1_sel:WORD_0
	v_and_b32_e32 v70, s78, v20
.LBB1740_494:                           ;   in Loop: Header=BB1740_400 Depth=2
	s_or_b64 exec, exec, s[62:63]
	v_lshlrev_b32_e32 v20, 3, v103
	s_barrier
	s_waitcnt vmcnt(0)
	ds_write_b64 v20, v[18:19] offset:1024
	v_lshlrev_b32_e32 v20, 3, v100
	ds_write_b64 v20, v[16:17] offset:1024
	v_lshlrev_b32_e32 v20, 3, v99
	;; [unrolled: 2-line block ×7, first 2 shown]
	ds_write_b64 v20, v[0:1] offset:1024
	s_waitcnt lgkmcnt(0)
	s_barrier
	s_and_saveexec_b64 s[52:53], vcc
	s_cbranch_execz .LBB1740_502
; %bb.495:                              ;   in Loop: Header=BB1740_400 Depth=2
	v_lshlrev_b32_e32 v20, 2, v80
	ds_read_b32 v20, v20
	v_add_u32_e32 v22, v49, v51
	ds_read_b64 v[22:23], v22 offset:1024
	v_mov_b32_e32 v21, v4
	v_mov_b32_e32 v93, s65
	s_waitcnt lgkmcnt(1)
	v_add_u32_e32 v20, v20, v2
	v_lshlrev_b64 v[20:21], 3, v[20:21]
	v_add_co_u32_e32 v20, vcc, s64, v20
	v_addc_co_u32_e32 v21, vcc, v93, v21, vcc
	s_waitcnt lgkmcnt(0)
	global_store_dwordx2 v[20:21], v[22:23], off
	s_or_b64 exec, exec, s[52:53]
	s_and_saveexec_b64 s[52:53], s[36:37]
	s_cbranch_execnz .LBB1740_503
.LBB1740_496:                           ;   in Loop: Header=BB1740_400 Depth=2
	s_or_b64 exec, exec, s[52:53]
	s_and_saveexec_b64 s[36:37], s[38:39]
	s_cbranch_execz .LBB1740_504
.LBB1740_497:                           ;   in Loop: Header=BB1740_400 Depth=2
	v_lshlrev_b32_e32 v20, 2, v76
	ds_read_b32 v22, v20
	v_add_u32_e32 v20, v50, v51
	ds_read_b64 v[20:21], v20 offset:4096
	v_mov_b32_e32 v23, v4
	v_mov_b32_e32 v93, s65
	s_waitcnt lgkmcnt(1)
	v_add_u32_e32 v22, v22, v25
	v_lshlrev_b64 v[22:23], 3, v[22:23]
	v_add_co_u32_e32 v22, vcc, s64, v22
	v_addc_co_u32_e32 v23, vcc, v93, v23, vcc
	s_waitcnt lgkmcnt(0)
	global_store_dwordx2 v[22:23], v[20:21], off
	s_or_b64 exec, exec, s[36:37]
	s_and_saveexec_b64 s[36:37], s[40:41]
	s_cbranch_execnz .LBB1740_505
.LBB1740_498:                           ;   in Loop: Header=BB1740_400 Depth=2
	s_or_b64 exec, exec, s[36:37]
	s_and_saveexec_b64 s[36:37], s[42:43]
	s_cbranch_execz .LBB1740_506
.LBB1740_499:                           ;   in Loop: Header=BB1740_400 Depth=2
	v_lshlrev_b32_e32 v20, 2, v73
	ds_read_b32 v22, v20
	v_add_u32_e32 v20, v50, v51
	ds_read_b64 v[20:21], v20 offset:8192
	v_mov_b32_e32 v23, v4
	v_mov_b32_e32 v93, s65
	s_waitcnt lgkmcnt(1)
	v_add_u32_e32 v22, v22, v29
	v_lshlrev_b64 v[22:23], 3, v[22:23]
	v_add_co_u32_e32 v22, vcc, s64, v22
	v_addc_co_u32_e32 v23, vcc, v93, v23, vcc
	s_waitcnt lgkmcnt(0)
	global_store_dwordx2 v[22:23], v[20:21], off
	s_or_b64 exec, exec, s[36:37]
	s_and_saveexec_b64 s[36:37], s[44:45]
	s_cbranch_execnz .LBB1740_507
.LBB1740_500:                           ;   in Loop: Header=BB1740_400 Depth=2
	s_or_b64 exec, exec, s[36:37]
	s_and_saveexec_b64 s[36:37], s[46:47]
	s_cbranch_execz .LBB1740_508
.LBB1740_501:                           ;   in Loop: Header=BB1740_400 Depth=2
	v_lshlrev_b32_e32 v20, 2, v71
	ds_read_b32 v22, v20
	v_add_u32_e32 v20, v50, v51
	ds_read_b64 v[20:21], v20 offset:12288
	v_mov_b32_e32 v23, v4
	v_mov_b32_e32 v93, s65
	s_waitcnt lgkmcnt(1)
	v_add_u32_e32 v22, v22, v31
	v_lshlrev_b64 v[22:23], 3, v[22:23]
	v_add_co_u32_e32 v22, vcc, s64, v22
	v_addc_co_u32_e32 v23, vcc, v93, v23, vcc
	s_waitcnt lgkmcnt(0)
	global_store_dwordx2 v[22:23], v[20:21], off
	s_or_b64 exec, exec, s[36:37]
	s_and_saveexec_b64 s[36:37], s[48:49]
	s_cbranch_execnz .LBB1740_509
	s_branch .LBB1740_510
.LBB1740_502:                           ;   in Loop: Header=BB1740_400 Depth=2
	s_or_b64 exec, exec, s[52:53]
	s_and_saveexec_b64 s[52:53], s[36:37]
	s_cbranch_execz .LBB1740_496
.LBB1740_503:                           ;   in Loop: Header=BB1740_400 Depth=2
	v_lshlrev_b32_e32 v20, 2, v78
	ds_read_b32 v22, v20
	v_add_u32_e32 v20, v50, v51
	ds_read_b64 v[20:21], v20 offset:2048
	v_mov_b32_e32 v23, v4
	v_mov_b32_e32 v93, s65
	s_waitcnt lgkmcnt(1)
	v_add_u32_e32 v22, v22, v24
	v_lshlrev_b64 v[22:23], 3, v[22:23]
	v_add_co_u32_e32 v22, vcc, s64, v22
	v_addc_co_u32_e32 v23, vcc, v93, v23, vcc
	s_waitcnt lgkmcnt(0)
	global_store_dwordx2 v[22:23], v[20:21], off
	s_or_b64 exec, exec, s[52:53]
	s_and_saveexec_b64 s[36:37], s[38:39]
	s_cbranch_execnz .LBB1740_497
.LBB1740_504:                           ;   in Loop: Header=BB1740_400 Depth=2
	s_or_b64 exec, exec, s[36:37]
	s_and_saveexec_b64 s[36:37], s[40:41]
	s_cbranch_execz .LBB1740_498
.LBB1740_505:                           ;   in Loop: Header=BB1740_400 Depth=2
	v_lshlrev_b32_e32 v20, 2, v75
	ds_read_b32 v22, v20
	v_add_u32_e32 v20, v50, v51
	ds_read_b64 v[20:21], v20 offset:6144
	v_mov_b32_e32 v23, v4
	v_mov_b32_e32 v93, s65
	s_waitcnt lgkmcnt(1)
	v_add_u32_e32 v22, v22, v26
	v_lshlrev_b64 v[22:23], 3, v[22:23]
	v_add_co_u32_e32 v22, vcc, s64, v22
	v_addc_co_u32_e32 v23, vcc, v93, v23, vcc
	s_waitcnt lgkmcnt(0)
	global_store_dwordx2 v[22:23], v[20:21], off
	s_or_b64 exec, exec, s[36:37]
	s_and_saveexec_b64 s[36:37], s[42:43]
	s_cbranch_execnz .LBB1740_499
.LBB1740_506:                           ;   in Loop: Header=BB1740_400 Depth=2
	s_or_b64 exec, exec, s[36:37]
	s_and_saveexec_b64 s[36:37], s[44:45]
	s_cbranch_execz .LBB1740_500
.LBB1740_507:                           ;   in Loop: Header=BB1740_400 Depth=2
	v_lshlrev_b32_e32 v20, 2, v72
	ds_read_b32 v22, v20
	v_add_u32_e32 v20, v50, v51
	ds_read_b64 v[20:21], v20 offset:10240
	v_mov_b32_e32 v23, v4
	v_mov_b32_e32 v93, s65
	s_waitcnt lgkmcnt(1)
	v_add_u32_e32 v22, v22, v30
	v_lshlrev_b64 v[22:23], 3, v[22:23]
	v_add_co_u32_e32 v22, vcc, s64, v22
	v_addc_co_u32_e32 v23, vcc, v93, v23, vcc
	s_waitcnt lgkmcnt(0)
	global_store_dwordx2 v[22:23], v[20:21], off
	s_or_b64 exec, exec, s[36:37]
	s_and_saveexec_b64 s[36:37], s[46:47]
	s_cbranch_execnz .LBB1740_501
.LBB1740_508:                           ;   in Loop: Header=BB1740_400 Depth=2
	s_or_b64 exec, exec, s[36:37]
	s_and_saveexec_b64 s[36:37], s[48:49]
	s_cbranch_execz .LBB1740_510
.LBB1740_509:                           ;   in Loop: Header=BB1740_400 Depth=2
	v_lshlrev_b32_e32 v20, 2, v70
	ds_read_b32 v22, v20
	v_add_u32_e32 v20, v50, v51
	ds_read_b64 v[20:21], v20 offset:14336
	v_mov_b32_e32 v23, v4
	v_mov_b32_e32 v93, s65
	s_waitcnt lgkmcnt(1)
	v_add_u32_e32 v22, v22, v32
	v_lshlrev_b64 v[22:23], 3, v[22:23]
	v_add_co_u32_e32 v22, vcc, s64, v22
	v_addc_co_u32_e32 v23, vcc, v93, v23, vcc
	s_waitcnt lgkmcnt(0)
	global_store_dwordx2 v[22:23], v[20:21], off
.LBB1740_510:                           ;   in Loop: Header=BB1740_400 Depth=2
	s_or_b64 exec, exec, s[36:37]
	s_barrier
	s_and_saveexec_b64 s[36:37], s[4:5]
	s_cbranch_execz .LBB1740_399
; %bb.511:                              ;   in Loop: Header=BB1740_400 Depth=2
	ds_read_b32 v20, v3
	s_waitcnt lgkmcnt(0)
	v_add_u32_e32 v5, v20, v5
	ds_write_b32 v3, v5
	s_branch .LBB1740_399
.LBB1740_512:                           ;   in Loop: Header=BB1740_12 Depth=1
	s_waitcnt lgkmcnt(0)
	s_barrier
	s_mov_b64 s[16:17], 0
.LBB1740_513:                           ;   in Loop: Header=BB1740_12 Depth=1
	s_and_b64 vcc, exec, s[16:17]
	s_cbranch_vccz .LBB1740_11
; %bb.514:                              ;   in Loop: Header=BB1740_12 Depth=1
	s_mov_b32 s22, s71
	s_mov_b32 s72, s51
	s_barrier
	s_waitcnt lgkmcnt(0)
                                        ; implicit-def: $vgpr12
                                        ; implicit-def: $vgpr5
                                        ; implicit-def: $vgpr6
                                        ; implicit-def: $vgpr7
                                        ; implicit-def: $vgpr8
                                        ; implicit-def: $vgpr9
                                        ; implicit-def: $vgpr10
                                        ; implicit-def: $vgpr11
	s_branch .LBB1740_516
.LBB1740_515:                           ;   in Loop: Header=BB1740_516 Depth=2
	s_or_b64 exec, exec, s[16:17]
	s_addk_i32 s22, 0xf800
	s_cmp_ge_u32 s23, s76
	s_mov_b32 s72, s23
	s_cbranch_scc1 .LBB1740_554
.LBB1740_516:                           ;   Parent Loop BB1740_12 Depth=1
                                        ; =>  This Inner Loop Header: Depth=2
	s_add_i32 s23, s72, 0x800
	s_cmp_gt_u32 s23, s76
	s_cbranch_scc1 .LBB1740_519
; %bb.517:                              ;   in Loop: Header=BB1740_516 Depth=2
	s_lshl_b64 s[16:17], s[72:73], 1
	v_mov_b32_e32 v1, s17
	v_add_co_u32_e32 v0, vcc, s16, v58
	v_addc_co_u32_e32 v1, vcc, v59, v1, vcc
	global_load_ushort v14, v[0:1], off
	global_load_ushort v15, v[0:1], off offset:512
	global_load_ushort v16, v[0:1], off offset:1024
	;; [unrolled: 1-line block ×6, first 2 shown]
	v_add_co_u32_e32 v0, vcc, 0xe00, v0
	v_addc_co_u32_e32 v1, vcc, 0, v1, vcc
	s_mov_b64 s[16:17], -1
	s_movk_i32 s24, 0x800
	s_cbranch_execz .LBB1740_520
; %bb.518:                              ;   in Loop: Header=BB1740_516 Depth=2
                                        ; implicit-def: $vgpr11
                                        ; implicit-def: $vgpr10
                                        ; implicit-def: $vgpr9
                                        ; implicit-def: $vgpr8
                                        ; implicit-def: $vgpr7
                                        ; implicit-def: $vgpr6
                                        ; implicit-def: $vgpr5
                                        ; implicit-def: $vgpr12
	v_mov_b32_e32 v13, s22
	s_and_saveexec_b64 s[18:19], s[16:17]
	s_cbranch_execnz .LBB1740_531
	s_branch .LBB1740_532
.LBB1740_519:                           ;   in Loop: Header=BB1740_516 Depth=2
	s_mov_b64 s[16:17], 0
                                        ; implicit-def: $sgpr24
                                        ; implicit-def: $vgpr14
                                        ; implicit-def: $vgpr15
                                        ; implicit-def: $vgpr16
                                        ; implicit-def: $vgpr17
                                        ; implicit-def: $vgpr18
                                        ; implicit-def: $vgpr19
                                        ; implicit-def: $vgpr20
                                        ; implicit-def: $vgpr0_vgpr1
.LBB1740_520:                           ;   in Loop: Header=BB1740_516 Depth=2
	s_lshl_b64 s[18:19], s[72:73], 1
	s_add_u32 s18, s56, s18
	s_addc_u32 s19, s57, s19
	v_cmp_gt_u32_e32 vcc, s22, v2
	s_and_saveexec_b64 s[20:21], vcc
	s_cbranch_execz .LBB1740_548
; %bb.521:                              ;   in Loop: Header=BB1740_516 Depth=2
	global_load_ushort v11, v65, s[18:19]
	s_or_b64 exec, exec, s[20:21]
	v_cmp_gt_u32_e32 vcc, s22, v24
	s_and_saveexec_b64 s[20:21], vcc
	s_cbranch_execnz .LBB1740_549
.LBB1740_522:                           ;   in Loop: Header=BB1740_516 Depth=2
	s_or_b64 exec, exec, s[20:21]
	v_cmp_gt_u32_e32 vcc, s22, v25
	s_and_saveexec_b64 s[20:21], vcc
	s_cbranch_execz .LBB1740_550
.LBB1740_523:                           ;   in Loop: Header=BB1740_516 Depth=2
	global_load_ushort v9, v65, s[18:19] offset:1024
	s_or_b64 exec, exec, s[20:21]
	v_cmp_gt_u32_e32 vcc, s22, v26
	s_and_saveexec_b64 s[20:21], vcc
	s_cbranch_execnz .LBB1740_551
.LBB1740_524:                           ;   in Loop: Header=BB1740_516 Depth=2
	s_or_b64 exec, exec, s[20:21]
	v_cmp_gt_u32_e32 vcc, s22, v29
	s_and_saveexec_b64 s[20:21], vcc
	s_cbranch_execz .LBB1740_552
.LBB1740_525:                           ;   in Loop: Header=BB1740_516 Depth=2
	global_load_ushort v7, v65, s[18:19] offset:2048
	s_or_b64 exec, exec, s[20:21]
	v_cmp_gt_u32_e32 vcc, s22, v30
	s_and_saveexec_b64 s[20:21], vcc
	s_cbranch_execnz .LBB1740_553
.LBB1740_526:                           ;   in Loop: Header=BB1740_516 Depth=2
	s_or_b64 exec, exec, s[20:21]
	v_cmp_gt_u32_e32 vcc, s22, v31
	s_and_saveexec_b64 s[20:21], vcc
	s_cbranch_execz .LBB1740_528
.LBB1740_527:                           ;   in Loop: Header=BB1740_516 Depth=2
	global_load_ushort v5, v65, s[18:19] offset:3072
.LBB1740_528:                           ;   in Loop: Header=BB1740_516 Depth=2
	s_or_b64 exec, exec, s[20:21]
	v_cmp_gt_u32_e32 vcc, s22, v32
                                        ; implicit-def: $sgpr24
                                        ; implicit-def: $vgpr0_vgpr1
	s_and_saveexec_b64 s[20:21], vcc
	s_cbranch_execz .LBB1740_530
; %bb.529:                              ;   in Loop: Header=BB1740_516 Depth=2
	v_mov_b32_e32 v0, s19
	v_add_co_u32_e32 v1, vcc, s18, v65
	s_waitcnt vmcnt(0)
	v_addc_co_u32_e32 v12, vcc, 0, v0, vcc
	v_add_co_u32_e32 v0, vcc, 0xe00, v1
	s_sub_i32 s24, s76, s72
	v_addc_co_u32_e32 v1, vcc, 0, v12, vcc
	s_or_b64 s[16:17], s[16:17], exec
                                        ; implicit-def: $vgpr12
.LBB1740_530:                           ;   in Loop: Header=BB1740_516 Depth=2
	s_or_b64 exec, exec, s[20:21]
	s_waitcnt vmcnt(0)
	v_mov_b32_e32 v14, v11
	v_mov_b32_e32 v15, v10
	;; [unrolled: 1-line block ×8, first 2 shown]
	s_and_saveexec_b64 s[18:19], s[16:17]
	s_cbranch_execz .LBB1740_532
.LBB1740_531:                           ;   in Loop: Header=BB1740_516 Depth=2
	global_load_ushort v12, v[0:1], off
	v_mov_b32_e32 v13, s24
	s_waitcnt vmcnt(1)
	v_mov_b32_e32 v5, v20
	v_mov_b32_e32 v6, v19
	;; [unrolled: 1-line block ×7, first 2 shown]
.LBB1740_532:                           ;   in Loop: Header=BB1740_516 Depth=2
	s_or_b64 exec, exec, s[18:19]
	v_cmp_lt_u32_e32 vcc, v2, v13
	s_and_saveexec_b64 s[16:17], vcc
	s_cbranch_execz .LBB1740_540
; %bb.533:                              ;   in Loop: Header=BB1740_516 Depth=2
	v_cmp_gt_i16_e32 vcc, 0, v11
	v_cndmask_b32_e64 v0, v66, 0, vcc
	v_xor_b32_e32 v0, v0, v11
	v_cmp_ne_u16_e32 vcc, s68, v0
	v_cndmask_b32_e32 v0, v66, v0, vcc
	v_lshrrev_b32_sdwa v0, s69, v0 dst_sel:DWORD dst_unused:UNUSED_PAD src0_sel:DWORD src1_sel:WORD_0
	v_and_b32_e32 v0, s78, v0
	v_lshl_or_b32 v0, v0, 4, v67
	ds_add_u32 v0, v64
	s_or_b64 exec, exec, s[16:17]
	v_cmp_lt_u32_e32 vcc, v24, v13
	s_and_saveexec_b64 s[16:17], vcc
	s_cbranch_execnz .LBB1740_541
.LBB1740_534:                           ;   in Loop: Header=BB1740_516 Depth=2
	s_or_b64 exec, exec, s[16:17]
	v_cmp_lt_u32_e32 vcc, v25, v13
	s_and_saveexec_b64 s[16:17], vcc
	s_cbranch_execz .LBB1740_542
.LBB1740_535:                           ;   in Loop: Header=BB1740_516 Depth=2
	v_cmp_gt_i16_e32 vcc, 0, v9
	v_cndmask_b32_e64 v0, v66, 0, vcc
	v_xor_b32_e32 v0, v0, v9
	v_cmp_ne_u16_e32 vcc, s68, v0
	v_cndmask_b32_e32 v0, v66, v0, vcc
	v_lshrrev_b32_sdwa v0, s69, v0 dst_sel:DWORD dst_unused:UNUSED_PAD src0_sel:DWORD src1_sel:WORD_0
	v_and_b32_e32 v0, s78, v0
	v_lshl_or_b32 v0, v0, 4, v67
	ds_add_u32 v0, v64
	s_or_b64 exec, exec, s[16:17]
	v_cmp_lt_u32_e32 vcc, v26, v13
	s_and_saveexec_b64 s[16:17], vcc
	s_cbranch_execnz .LBB1740_543
.LBB1740_536:                           ;   in Loop: Header=BB1740_516 Depth=2
	s_or_b64 exec, exec, s[16:17]
	v_cmp_lt_u32_e32 vcc, v29, v13
	s_and_saveexec_b64 s[16:17], vcc
	s_cbranch_execz .LBB1740_544
.LBB1740_537:                           ;   in Loop: Header=BB1740_516 Depth=2
	v_cmp_gt_i16_e32 vcc, 0, v7
	v_cndmask_b32_e64 v0, v66, 0, vcc
	v_xor_b32_e32 v0, v0, v7
	v_cmp_ne_u16_e32 vcc, s68, v0
	v_cndmask_b32_e32 v0, v66, v0, vcc
	v_lshrrev_b32_sdwa v0, s69, v0 dst_sel:DWORD dst_unused:UNUSED_PAD src0_sel:DWORD src1_sel:WORD_0
	v_and_b32_e32 v0, s78, v0
	v_lshl_or_b32 v0, v0, 4, v67
	ds_add_u32 v0, v64
	s_or_b64 exec, exec, s[16:17]
	v_cmp_lt_u32_e32 vcc, v30, v13
	s_and_saveexec_b64 s[16:17], vcc
	s_cbranch_execnz .LBB1740_545
.LBB1740_538:                           ;   in Loop: Header=BB1740_516 Depth=2
	s_or_b64 exec, exec, s[16:17]
	v_cmp_lt_u32_e32 vcc, v31, v13
	s_and_saveexec_b64 s[16:17], vcc
	s_cbranch_execz .LBB1740_546
.LBB1740_539:                           ;   in Loop: Header=BB1740_516 Depth=2
	v_cmp_gt_i16_e32 vcc, 0, v5
	v_cndmask_b32_e64 v0, v66, 0, vcc
	v_xor_b32_e32 v0, v0, v5
	v_cmp_ne_u16_e32 vcc, s68, v0
	v_cndmask_b32_e32 v0, v66, v0, vcc
	v_lshrrev_b32_sdwa v0, s69, v0 dst_sel:DWORD dst_unused:UNUSED_PAD src0_sel:DWORD src1_sel:WORD_0
	v_and_b32_e32 v0, s78, v0
	v_lshl_or_b32 v0, v0, 4, v67
	ds_add_u32 v0, v64
	s_or_b64 exec, exec, s[16:17]
	v_cmp_lt_u32_e32 vcc, v32, v13
	s_and_saveexec_b64 s[16:17], vcc
	s_cbranch_execz .LBB1740_515
	s_branch .LBB1740_547
.LBB1740_540:                           ;   in Loop: Header=BB1740_516 Depth=2
	s_or_b64 exec, exec, s[16:17]
	v_cmp_lt_u32_e32 vcc, v24, v13
	s_and_saveexec_b64 s[16:17], vcc
	s_cbranch_execz .LBB1740_534
.LBB1740_541:                           ;   in Loop: Header=BB1740_516 Depth=2
	v_cmp_gt_i16_e32 vcc, 0, v10
	v_cndmask_b32_e64 v0, v66, 0, vcc
	v_xor_b32_e32 v0, v0, v10
	v_cmp_ne_u16_e32 vcc, s68, v0
	v_cndmask_b32_e32 v0, v66, v0, vcc
	v_lshrrev_b32_sdwa v0, s69, v0 dst_sel:DWORD dst_unused:UNUSED_PAD src0_sel:DWORD src1_sel:WORD_0
	v_and_b32_e32 v0, s78, v0
	v_lshl_or_b32 v0, v0, 4, v67
	ds_add_u32 v0, v64
	s_or_b64 exec, exec, s[16:17]
	v_cmp_lt_u32_e32 vcc, v25, v13
	s_and_saveexec_b64 s[16:17], vcc
	s_cbranch_execnz .LBB1740_535
.LBB1740_542:                           ;   in Loop: Header=BB1740_516 Depth=2
	s_or_b64 exec, exec, s[16:17]
	v_cmp_lt_u32_e32 vcc, v26, v13
	s_and_saveexec_b64 s[16:17], vcc
	s_cbranch_execz .LBB1740_536
.LBB1740_543:                           ;   in Loop: Header=BB1740_516 Depth=2
	v_cmp_gt_i16_e32 vcc, 0, v8
	v_cndmask_b32_e64 v0, v66, 0, vcc
	v_xor_b32_e32 v0, v0, v8
	v_cmp_ne_u16_e32 vcc, s68, v0
	v_cndmask_b32_e32 v0, v66, v0, vcc
	v_lshrrev_b32_sdwa v0, s69, v0 dst_sel:DWORD dst_unused:UNUSED_PAD src0_sel:DWORD src1_sel:WORD_0
	v_and_b32_e32 v0, s78, v0
	v_lshl_or_b32 v0, v0, 4, v67
	ds_add_u32 v0, v64
	s_or_b64 exec, exec, s[16:17]
	v_cmp_lt_u32_e32 vcc, v29, v13
	s_and_saveexec_b64 s[16:17], vcc
	s_cbranch_execnz .LBB1740_537
.LBB1740_544:                           ;   in Loop: Header=BB1740_516 Depth=2
	s_or_b64 exec, exec, s[16:17]
	v_cmp_lt_u32_e32 vcc, v30, v13
	s_and_saveexec_b64 s[16:17], vcc
	s_cbranch_execz .LBB1740_538
.LBB1740_545:                           ;   in Loop: Header=BB1740_516 Depth=2
	v_cmp_gt_i16_e32 vcc, 0, v6
	v_cndmask_b32_e64 v0, v66, 0, vcc
	v_xor_b32_e32 v0, v0, v6
	v_cmp_ne_u16_e32 vcc, s68, v0
	v_cndmask_b32_e32 v0, v66, v0, vcc
	v_lshrrev_b32_sdwa v0, s69, v0 dst_sel:DWORD dst_unused:UNUSED_PAD src0_sel:DWORD src1_sel:WORD_0
	v_and_b32_e32 v0, s78, v0
	v_lshl_or_b32 v0, v0, 4, v67
	ds_add_u32 v0, v64
	s_or_b64 exec, exec, s[16:17]
	v_cmp_lt_u32_e32 vcc, v31, v13
	s_and_saveexec_b64 s[16:17], vcc
	s_cbranch_execnz .LBB1740_539
.LBB1740_546:                           ;   in Loop: Header=BB1740_516 Depth=2
	s_or_b64 exec, exec, s[16:17]
	v_cmp_lt_u32_e32 vcc, v32, v13
	s_and_saveexec_b64 s[16:17], vcc
	s_cbranch_execz .LBB1740_515
.LBB1740_547:                           ;   in Loop: Header=BB1740_516 Depth=2
	s_waitcnt vmcnt(0)
	v_cmp_gt_i16_e32 vcc, 0, v12
	v_cndmask_b32_e64 v0, v66, 0, vcc
	v_xor_b32_e32 v0, v0, v12
	v_cmp_ne_u16_e32 vcc, s68, v0
	v_cndmask_b32_e32 v0, v66, v0, vcc
	v_lshrrev_b32_sdwa v0, s69, v0 dst_sel:DWORD dst_unused:UNUSED_PAD src0_sel:DWORD src1_sel:WORD_0
	v_and_b32_e32 v0, s78, v0
	v_lshl_or_b32 v0, v0, 4, v67
	ds_add_u32 v0, v64
	s_branch .LBB1740_515
.LBB1740_548:                           ;   in Loop: Header=BB1740_516 Depth=2
	s_or_b64 exec, exec, s[20:21]
	v_cmp_gt_u32_e32 vcc, s22, v24
	s_and_saveexec_b64 s[20:21], vcc
	s_cbranch_execz .LBB1740_522
.LBB1740_549:                           ;   in Loop: Header=BB1740_516 Depth=2
	global_load_ushort v10, v65, s[18:19] offset:512
	s_or_b64 exec, exec, s[20:21]
	v_cmp_gt_u32_e32 vcc, s22, v25
	s_and_saveexec_b64 s[20:21], vcc
	s_cbranch_execnz .LBB1740_523
.LBB1740_550:                           ;   in Loop: Header=BB1740_516 Depth=2
	s_or_b64 exec, exec, s[20:21]
	v_cmp_gt_u32_e32 vcc, s22, v26
	s_and_saveexec_b64 s[20:21], vcc
	s_cbranch_execz .LBB1740_524
.LBB1740_551:                           ;   in Loop: Header=BB1740_516 Depth=2
	global_load_ushort v8, v65, s[18:19] offset:1536
	s_or_b64 exec, exec, s[20:21]
	v_cmp_gt_u32_e32 vcc, s22, v29
	s_and_saveexec_b64 s[20:21], vcc
	s_cbranch_execnz .LBB1740_525
.LBB1740_552:                           ;   in Loop: Header=BB1740_516 Depth=2
	s_or_b64 exec, exec, s[20:21]
	v_cmp_gt_u32_e32 vcc, s22, v30
	s_and_saveexec_b64 s[20:21], vcc
	s_cbranch_execz .LBB1740_526
.LBB1740_553:                           ;   in Loop: Header=BB1740_516 Depth=2
	global_load_ushort v6, v65, s[18:19] offset:2560
	s_or_b64 exec, exec, s[20:21]
	v_cmp_gt_u32_e32 vcc, s22, v31
	s_and_saveexec_b64 s[20:21], vcc
	s_cbranch_execz .LBB1740_528
	s_branch .LBB1740_527
.LBB1740_554:                           ;   in Loop: Header=BB1740_12 Depth=1
	v_mov_b32_e32 v0, 0
	s_waitcnt lgkmcnt(0)
	s_barrier
	s_and_saveexec_b64 s[16:17], s[4:5]
	s_cbranch_execz .LBB1740_556
; %bb.555:                              ;   in Loop: Header=BB1740_12 Depth=1
	ds_read2_b64 v[6:9], v33 offset1:1
	s_waitcnt lgkmcnt(0)
	v_add_u32_e32 v0, v7, v6
	v_add3_u32 v0, v0, v8, v9
.LBB1740_556:                           ;   in Loop: Header=BB1740_12 Depth=1
	s_or_b64 exec, exec, s[16:17]
	v_and_b32_e32 v1, 15, v68
	v_mov_b32_dpp v5, v0 row_shr:1 row_mask:0xf bank_mask:0xf
	v_cmp_eq_u32_e64 s[16:17], 0, v1
	v_cndmask_b32_e64 v5, v5, 0, s[16:17]
	v_add_u32_e32 v0, v5, v0
	v_cmp_lt_u32_e64 s[18:19], 1, v1
	v_cmp_lt_u32_e64 s[20:21], 3, v1
	v_mov_b32_dpp v5, v0 row_shr:2 row_mask:0xf bank_mask:0xf
	v_cndmask_b32_e64 v5, 0, v5, s[18:19]
	v_add_u32_e32 v0, v0, v5
	v_cmp_lt_u32_e64 s[22:23], 7, v1
	v_cmp_lt_u32_e64 s[26:27], 31, v68
	v_mov_b32_dpp v5, v0 row_shr:4 row_mask:0xf bank_mask:0xf
	v_cndmask_b32_e64 v5, 0, v5, s[20:21]
	v_add_u32_e32 v0, v0, v5
	v_and_b32_e32 v6, 16, v68
	v_cmp_eq_u32_e64 s[24:25], 0, v6
	v_mov_b32_dpp v5, v0 row_shr:8 row_mask:0xf bank_mask:0xf
	v_cndmask_b32_e64 v1, 0, v5, s[22:23]
	v_add_u32_e32 v0, v0, v1
	v_bfe_i32 v5, v68, 4, 1
	s_nop 0
	v_mov_b32_dpp v1, v0 row_bcast:15 row_mask:0xf bank_mask:0xf
	v_and_b32_e32 v1, v5, v1
	v_add_u32_e32 v0, v0, v1
	s_nop 1
	v_mov_b32_dpp v1, v0 row_bcast:31 row_mask:0xf bank_mask:0xf
	v_cndmask_b32_e64 v1, 0, v1, s[26:27]
	v_add_u32_e32 v1, v0, v1
	s_and_saveexec_b64 s[28:29], s[6:7]
	s_cbranch_execz .LBB1740_558
; %bb.557:                              ;   in Loop: Header=BB1740_12 Depth=1
	ds_write_b32 v35, v1
.LBB1740_558:                           ;   in Loop: Header=BB1740_12 Depth=1
	s_or_b64 exec, exec, s[28:29]
	v_and_b32_e32 v0, 3, v68
	s_waitcnt lgkmcnt(0)
	s_barrier
	s_and_saveexec_b64 s[28:29], s[8:9]
	s_cbranch_execz .LBB1740_560
; %bb.559:                              ;   in Loop: Header=BB1740_12 Depth=1
	ds_read_b32 v5, v36
	v_cmp_ne_u32_e32 vcc, 0, v0
	s_waitcnt lgkmcnt(0)
	v_mov_b32_dpp v6, v5 row_shr:1 row_mask:0xf bank_mask:0xf
	v_cndmask_b32_e32 v6, 0, v6, vcc
	v_add_u32_e32 v5, v6, v5
	v_cmp_lt_u32_e32 vcc, 1, v0
	s_nop 0
	v_mov_b32_dpp v6, v5 row_shr:2 row_mask:0xf bank_mask:0xf
	v_cndmask_b32_e32 v6, 0, v6, vcc
	v_add_u32_e32 v5, v5, v6
	ds_write_b32 v36, v5
.LBB1740_560:                           ;   in Loop: Header=BB1740_12 Depth=1
	s_or_b64 exec, exec, s[28:29]
	v_mov_b32_e32 v5, 0
	s_waitcnt lgkmcnt(0)
	s_barrier
	s_and_saveexec_b64 s[28:29], s[10:11]
	s_cbranch_execz .LBB1740_562
; %bb.561:                              ;   in Loop: Header=BB1740_12 Depth=1
	ds_read_b32 v5, v37
.LBB1740_562:                           ;   in Loop: Header=BB1740_12 Depth=1
	s_or_b64 exec, exec, s[28:29]
	v_add_u32_e32 v6, -1, v68
	v_and_b32_e32 v7, 64, v68
	v_cmp_lt_i32_e32 vcc, v6, v7
	v_cndmask_b32_e32 v6, v6, v68, vcc
	s_waitcnt lgkmcnt(0)
	v_add_u32_e32 v1, v5, v1
	v_lshlrev_b32_e32 v69, 2, v6
	ds_bpermute_b32 v1, v69, v1
	v_cmp_eq_u32_e64 s[28:29], 0, v68
	s_waitcnt lgkmcnt(0)
	s_barrier
	s_and_saveexec_b64 s[30:31], s[4:5]
	s_cbranch_execz .LBB1740_564
; %bb.563:                              ;   in Loop: Header=BB1740_12 Depth=1
	v_cndmask_b32_e64 v1, v1, v5, s[28:29]
	v_add_u32_e32 v1, s51, v1
	ds_write_b32 v3, v1
.LBB1740_564:                           ;   in Loop: Header=BB1740_12 Depth=1
	s_or_b64 exec, exec, s[30:31]
	s_load_dwordx2 s[30:31], s[74:75], 0x0
	v_and_b32_e32 v21, 63, v68
	v_lshlrev_b32_e32 v22, 3, v21
	v_add_co_u32_e32 v77, vcc, v60, v22
	s_waitcnt lgkmcnt(0)
	s_cmp_lt_u32 s50, s30
	s_cselect_b32 s34, 12, 18
	s_cmp_lt_u32 s33, s31
	s_cselect_b32 s30, 14, 20
	s_add_u32 s30, s74, s30
	s_addc_u32 s31, s75, 0
	s_add_u32 s34, s74, s34
	global_load_ushort v5, v4, s[30:31]
	s_addc_u32 s35, s75, 0
	global_load_ushort v20, v4, s[34:35]
	v_or_b32_e32 v74, v21, v38
	v_lshlrev_b32_e32 v21, 1, v21
	v_addc_co_u32_e32 v79, vcc, 0, v61, vcc
	v_add_co_u32_e32 v88, vcc, v62, v21
	v_addc_co_u32_e32 v89, vcc, 0, v63, vcc
	v_add_co_u32_e32 v90, vcc, 0x380, v88
	v_cmp_eq_u32_e64 s[30:31], 0, v0
	v_cmp_lt_u32_e64 s[34:35], 1, v0
	s_mov_b32 s79, s71
	v_or_b32_e32 v81, 64, v74
	v_or_b32_e32 v82, 0x80, v74
	v_or_b32_e32 v83, 0xc0, v74
	v_or_b32_e32 v84, 0x100, v74
	v_or_b32_e32 v85, 0x140, v74
	v_or_b32_e32 v86, 0x180, v74
	v_or_b32_e32 v87, 0x1c0, v74
	v_addc_co_u32_e32 v91, vcc, 0, v89, vcc
	s_mov_b32 s72, s51
                                        ; implicit-def: $vgpr0_vgpr1
                                        ; implicit-def: $vgpr6_vgpr7
                                        ; implicit-def: $vgpr8_vgpr9
                                        ; implicit-def: $vgpr10_vgpr11
                                        ; implicit-def: $vgpr12_vgpr13
                                        ; implicit-def: $vgpr14_vgpr15
                                        ; implicit-def: $vgpr16_vgpr17
                                        ; implicit-def: $vgpr18_vgpr19
                                        ; implicit-def: $vgpr70
                                        ; implicit-def: $vgpr71
                                        ; implicit-def: $vgpr72
                                        ; implicit-def: $vgpr73
                                        ; implicit-def: $vgpr75
                                        ; implicit-def: $vgpr76
                                        ; implicit-def: $vgpr78
                                        ; implicit-def: $vgpr80
	s_waitcnt vmcnt(1)
	v_mad_u32_u24 v5, v39, v5, v40
	s_waitcnt vmcnt(0)
	v_mad_u64_u32 v[20:21], s[36:37], v5, v20, v[2:3]
	v_lshrrev_b32_e32 v92, 6, v20
	s_branch .LBB1740_566
.LBB1740_565:                           ;   in Loop: Header=BB1740_566 Depth=2
	s_or_b64 exec, exec, s[36:37]
	s_addk_i32 s79, 0xf800
	s_cmp_lt_u32 s80, s76
	s_mov_b32 s72, s80
	s_cbranch_scc0 .LBB1740_10
.LBB1740_566:                           ;   Parent Loop BB1740_12 Depth=1
                                        ; =>  This Inner Loop Header: Depth=2
	s_add_i32 s80, s72, 0x800
	s_cmp_gt_u32 s80, s76
	s_cbranch_scc1 .LBB1740_569
; %bb.567:                              ;   in Loop: Header=BB1740_566 Depth=2
	s_lshl_b64 s[36:37], s[72:73], 1
	v_mov_b32_e32 v5, s37
	v_add_co_u32_e32 v20, vcc, s36, v88
	v_addc_co_u32_e32 v21, vcc, v89, v5, vcc
	global_load_ushort v5, v[20:21], off
	global_load_ushort v97, v[20:21], off offset:128
	global_load_ushort v101, v[20:21], off offset:256
	;; [unrolled: 1-line block ×6, first 2 shown]
	s_mov_b64 s[36:37], -1
	s_movk_i32 s40, 0x800
	s_cbranch_execz .LBB1740_570
; %bb.568:                              ;   in Loop: Header=BB1740_566 Depth=2
                                        ; implicit-def: $sgpr38
	v_mov_b32_e32 v23, s38
	v_mov_b32_e32 v93, s79
	s_and_saveexec_b64 s[38:39], s[36:37]
	s_cbranch_execnz .LBB1740_585
	s_branch .LBB1740_586
.LBB1740_569:                           ;   in Loop: Header=BB1740_566 Depth=2
	s_mov_b64 s[36:37], 0
                                        ; implicit-def: $sgpr40
                                        ; implicit-def: $vgpr5
                                        ; implicit-def: $vgpr97
                                        ; implicit-def: $vgpr101
                                        ; implicit-def: $vgpr106
                                        ; implicit-def: $vgpr109
                                        ; implicit-def: $vgpr104
                                        ; implicit-def: $vgpr22
.LBB1740_570:                           ;   in Loop: Header=BB1740_566 Depth=2
	s_lshl_b64 s[36:37], s[72:73], 1
	s_waitcnt vmcnt(6)
	v_mov_b32_e32 v5, s37
	v_add_co_u32_e32 v20, vcc, s36, v88
	v_addc_co_u32_e32 v21, vcc, v89, v5, vcc
	v_cmp_gt_u32_e32 vcc, s79, v74
	s_waitcnt vmcnt(5)
	v_mov_b32_e32 v97, -1
	v_mov_b32_e32 v5, -1
	s_and_saveexec_b64 s[36:37], vcc
	s_cbranch_execz .LBB1740_572
; %bb.571:                              ;   in Loop: Header=BB1740_566 Depth=2
	global_load_ushort v5, v[20:21], off
.LBB1740_572:                           ;   in Loop: Header=BB1740_566 Depth=2
	s_or_b64 exec, exec, s[36:37]
	v_cmp_gt_u32_e32 vcc, s79, v81
	s_and_saveexec_b64 s[36:37], vcc
	s_cbranch_execz .LBB1740_574
; %bb.573:                              ;   in Loop: Header=BB1740_566 Depth=2
	global_load_ushort v97, v[20:21], off offset:128
.LBB1740_574:                           ;   in Loop: Header=BB1740_566 Depth=2
	s_or_b64 exec, exec, s[36:37]
	v_cmp_gt_u32_e32 vcc, s79, v82
	s_waitcnt vmcnt(3)
	v_mov_b32_e32 v106, -1
	v_mov_b32_e32 v101, -1
	s_and_saveexec_b64 s[36:37], vcc
	s_cbranch_execz .LBB1740_576
; %bb.575:                              ;   in Loop: Header=BB1740_566 Depth=2
	global_load_ushort v101, v[20:21], off offset:256
.LBB1740_576:                           ;   in Loop: Header=BB1740_566 Depth=2
	s_or_b64 exec, exec, s[36:37]
	v_cmp_gt_u32_e32 vcc, s79, v83
	s_and_saveexec_b64 s[36:37], vcc
	s_cbranch_execz .LBB1740_578
; %bb.577:                              ;   in Loop: Header=BB1740_566 Depth=2
	global_load_ushort v106, v[20:21], off offset:384
.LBB1740_578:                           ;   in Loop: Header=BB1740_566 Depth=2
	s_or_b64 exec, exec, s[36:37]
	v_cmp_gt_u32_e32 vcc, s79, v84
	s_waitcnt vmcnt(1)
	v_mov_b32_e32 v104, -1
	v_mov_b32_e32 v109, -1
	s_and_saveexec_b64 s[36:37], vcc
	s_cbranch_execz .LBB1740_580
; %bb.579:                              ;   in Loop: Header=BB1740_566 Depth=2
	global_load_ushort v109, v[20:21], off offset:512
.LBB1740_580:                           ;   in Loop: Header=BB1740_566 Depth=2
	s_or_b64 exec, exec, s[36:37]
	v_cmp_gt_u32_e32 vcc, s79, v85
	s_and_saveexec_b64 s[36:37], vcc
	s_cbranch_execz .LBB1740_582
; %bb.581:                              ;   in Loop: Header=BB1740_566 Depth=2
	global_load_ushort v104, v[20:21], off offset:640
.LBB1740_582:                           ;   in Loop: Header=BB1740_566 Depth=2
	s_or_b64 exec, exec, s[36:37]
	v_cmp_gt_u32_e32 vcc, s79, v86
	s_waitcnt vmcnt(0)
	v_mov_b32_e32 v22, -1
	s_and_saveexec_b64 s[36:37], vcc
	s_cbranch_execz .LBB1740_584
; %bb.583:                              ;   in Loop: Header=BB1740_566 Depth=2
	global_load_ushort v22, v[20:21], off offset:768
.LBB1740_584:                           ;   in Loop: Header=BB1740_566 Depth=2
	s_or_b64 exec, exec, s[36:37]
	s_sub_i32 s40, s76, s72
	v_cmp_gt_u32_e64 s[36:37], s79, v87
	s_mov_b32 s38, -1
	v_mov_b32_e32 v23, s38
	v_mov_b32_e32 v93, s79
	s_and_saveexec_b64 s[38:39], s[36:37]
	s_cbranch_execz .LBB1740_586
.LBB1740_585:                           ;   in Loop: Header=BB1740_566 Depth=2
	s_lshl_b64 s[36:37], s[72:73], 1
	v_mov_b32_e32 v21, s37
	v_add_co_u32_e32 v20, vcc, s36, v90
	v_addc_co_u32_e32 v21, vcc, v91, v21, vcc
	global_load_ushort v23, v[20:21], off
	v_mov_b32_e32 v93, s40
.LBB1740_586:                           ;   in Loop: Header=BB1740_566 Depth=2
	s_or_b64 exec, exec, s[38:39]
	s_waitcnt vmcnt(6)
	v_cmp_gt_i16_e32 vcc, 0, v5
	v_cndmask_b32_e64 v20, v66, 0, vcc
	v_xor_b32_e32 v94, v20, v5
	v_add_u32_e32 v5, 0x410, v41
	v_cmp_ne_u16_e32 vcc, s68, v94
	ds_write2_b32 v5, v4, v4 offset1:1
	ds_write2_b32 v43, v4, v4 offset0:2 offset1:3
	ds_write_b32 v43, v4 offset:16
	v_cndmask_b32_e32 v5, v66, v94, vcc
	v_lshrrev_b32_sdwa v5, s69, v5 dst_sel:DWORD dst_unused:UNUSED_PAD src0_sel:DWORD src1_sel:WORD_0
	v_and_b32_e32 v20, s78, v5
	v_mad_u32_u24 v5, v20, 5, v92
	v_lshl_add_u32 v95, v5, 2, v42
	v_and_b32_e32 v5, 1, v20
	v_add_co_u32_e32 v21, vcc, -1, v5
	v_addc_co_u32_e64 v96, s[36:37], 0, -1, vcc
	v_cmp_ne_u32_e32 vcc, 0, v5
	v_xor_b32_e32 v5, vcc_hi, v96
	v_and_b32_e32 v96, exec_hi, v5
	v_lshlrev_b32_e32 v5, 30, v20
	v_xor_b32_e32 v21, vcc_lo, v21
	v_cmp_gt_i64_e32 vcc, 0, v[4:5]
	v_not_b32_e32 v5, v5
	v_ashrrev_i32_e32 v5, 31, v5
	v_and_b32_e32 v21, exec_lo, v21
	v_xor_b32_e32 v98, vcc_hi, v5
	v_xor_b32_e32 v5, vcc_lo, v5
	v_and_b32_e32 v21, v21, v5
	v_lshlrev_b32_e32 v5, 29, v20
	v_cmp_gt_i64_e32 vcc, 0, v[4:5]
	v_not_b32_e32 v5, v5
	v_ashrrev_i32_e32 v5, 31, v5
	v_and_b32_e32 v96, v96, v98
	v_xor_b32_e32 v98, vcc_hi, v5
	v_xor_b32_e32 v5, vcc_lo, v5
	v_and_b32_e32 v21, v21, v5
	v_lshlrev_b32_e32 v5, 28, v20
	v_cmp_gt_i64_e32 vcc, 0, v[4:5]
	v_not_b32_e32 v5, v5
	v_ashrrev_i32_e32 v5, 31, v5
	v_and_b32_e32 v96, v96, v98
	;; [unrolled: 8-line block ×5, first 2 shown]
	v_xor_b32_e32 v98, vcc_hi, v5
	v_xor_b32_e32 v5, vcc_lo, v5
	v_and_b32_e32 v96, v96, v98
	v_and_b32_e32 v98, v21, v5
	v_lshlrev_b32_e32 v5, 24, v20
	v_cmp_gt_i64_e32 vcc, 0, v[4:5]
	v_not_b32_e32 v5, v5
	v_ashrrev_i32_e32 v5, 31, v5
	v_xor_b32_e32 v20, vcc_hi, v5
	v_xor_b32_e32 v5, vcc_lo, v5
	v_and_b32_e32 v21, v96, v20
	v_and_b32_e32 v20, v98, v5
	v_mbcnt_lo_u32_b32 v5, v20, 0
	v_mbcnt_hi_u32_b32 v96, v21, v5
	v_cmp_eq_u32_e32 vcc, 0, v96
	v_cmp_ne_u64_e64 s[36:37], 0, v[20:21]
	s_and_b64 s[38:39], s[36:37], vcc
	s_waitcnt lgkmcnt(0)
	s_barrier
	s_waitcnt lgkmcnt(0)
	; wave barrier
	s_and_saveexec_b64 s[36:37], s[38:39]
	s_cbranch_execz .LBB1740_588
; %bb.587:                              ;   in Loop: Header=BB1740_566 Depth=2
	v_bcnt_u32_b32 v5, v20, 0
	v_bcnt_u32_b32 v5, v21, v5
	ds_write_b32 v95, v5
.LBB1740_588:                           ;   in Loop: Header=BB1740_566 Depth=2
	s_or_b64 exec, exec, s[36:37]
	s_waitcnt vmcnt(5)
	v_cmp_gt_i16_e32 vcc, 0, v97
	v_cndmask_b32_e64 v5, v66, 0, vcc
	v_xor_b32_e32 v97, v5, v97
	v_cmp_ne_u16_e32 vcc, s68, v97
	v_cndmask_b32_e32 v5, v66, v97, vcc
	v_lshrrev_b32_sdwa v5, s69, v5 dst_sel:DWORD dst_unused:UNUSED_PAD src0_sel:DWORD src1_sel:WORD_0
	v_and_b32_e32 v20, s78, v5
	v_mul_u32_u24_e32 v5, 5, v20
	v_add_lshl_u32 v5, v5, v92, 2
	; wave barrier
	v_add_u32_e32 v99, 0x410, v5
	ds_read_b32 v98, v5 offset:1040
	v_and_b32_e32 v5, 1, v20
	v_add_co_u32_e32 v21, vcc, -1, v5
	v_addc_co_u32_e64 v100, s[36:37], 0, -1, vcc
	v_cmp_ne_u32_e32 vcc, 0, v5
	v_xor_b32_e32 v5, vcc_hi, v100
	v_and_b32_e32 v100, exec_hi, v5
	v_lshlrev_b32_e32 v5, 30, v20
	v_xor_b32_e32 v21, vcc_lo, v21
	v_cmp_gt_i64_e32 vcc, 0, v[4:5]
	v_not_b32_e32 v5, v5
	v_ashrrev_i32_e32 v5, 31, v5
	v_and_b32_e32 v21, exec_lo, v21
	v_xor_b32_e32 v102, vcc_hi, v5
	v_xor_b32_e32 v5, vcc_lo, v5
	v_and_b32_e32 v21, v21, v5
	v_lshlrev_b32_e32 v5, 29, v20
	v_cmp_gt_i64_e32 vcc, 0, v[4:5]
	v_not_b32_e32 v5, v5
	v_ashrrev_i32_e32 v5, 31, v5
	v_and_b32_e32 v100, v100, v102
	v_xor_b32_e32 v102, vcc_hi, v5
	v_xor_b32_e32 v5, vcc_lo, v5
	v_and_b32_e32 v21, v21, v5
	v_lshlrev_b32_e32 v5, 28, v20
	v_cmp_gt_i64_e32 vcc, 0, v[4:5]
	v_not_b32_e32 v5, v5
	v_ashrrev_i32_e32 v5, 31, v5
	v_and_b32_e32 v100, v100, v102
	v_xor_b32_e32 v102, vcc_hi, v5
	v_xor_b32_e32 v5, vcc_lo, v5
	v_and_b32_e32 v21, v21, v5
	v_lshlrev_b32_e32 v5, 27, v20
	v_cmp_gt_i64_e32 vcc, 0, v[4:5]
	v_not_b32_e32 v5, v5
	v_ashrrev_i32_e32 v5, 31, v5
	v_and_b32_e32 v100, v100, v102
	v_xor_b32_e32 v102, vcc_hi, v5
	v_xor_b32_e32 v5, vcc_lo, v5
	v_and_b32_e32 v21, v21, v5
	v_lshlrev_b32_e32 v5, 26, v20
	v_cmp_gt_i64_e32 vcc, 0, v[4:5]
	v_not_b32_e32 v5, v5
	v_ashrrev_i32_e32 v5, 31, v5
	v_and_b32_e32 v100, v100, v102
	v_xor_b32_e32 v102, vcc_hi, v5
	v_xor_b32_e32 v5, vcc_lo, v5
	v_and_b32_e32 v21, v21, v5
	v_lshlrev_b32_e32 v5, 25, v20
	v_cmp_gt_i64_e32 vcc, 0, v[4:5]
	v_not_b32_e32 v5, v5
	v_ashrrev_i32_e32 v5, 31, v5
	v_and_b32_e32 v100, v100, v102
	v_xor_b32_e32 v102, vcc_hi, v5
	v_xor_b32_e32 v5, vcc_lo, v5
	v_and_b32_e32 v100, v100, v102
	v_and_b32_e32 v102, v21, v5
	v_lshlrev_b32_e32 v5, 24, v20
	v_cmp_gt_i64_e32 vcc, 0, v[4:5]
	v_not_b32_e32 v5, v5
	v_ashrrev_i32_e32 v5, 31, v5
	v_xor_b32_e32 v20, vcc_hi, v5
	v_xor_b32_e32 v5, vcc_lo, v5
	v_and_b32_e32 v21, v100, v20
	v_and_b32_e32 v20, v102, v5
	v_mbcnt_lo_u32_b32 v5, v20, 0
	v_mbcnt_hi_u32_b32 v100, v21, v5
	v_cmp_eq_u32_e32 vcc, 0, v100
	v_cmp_ne_u64_e64 s[36:37], 0, v[20:21]
	s_and_b64 s[38:39], s[36:37], vcc
	; wave barrier
	s_and_saveexec_b64 s[36:37], s[38:39]
	s_cbranch_execz .LBB1740_590
; %bb.589:                              ;   in Loop: Header=BB1740_566 Depth=2
	v_bcnt_u32_b32 v5, v20, 0
	v_bcnt_u32_b32 v5, v21, v5
	s_waitcnt lgkmcnt(0)
	v_add_u32_e32 v5, v98, v5
	ds_write_b32 v99, v5
.LBB1740_590:                           ;   in Loop: Header=BB1740_566 Depth=2
	s_or_b64 exec, exec, s[36:37]
	s_waitcnt vmcnt(4)
	v_cmp_gt_i16_e32 vcc, 0, v101
	v_cndmask_b32_e64 v5, v66, 0, vcc
	v_xor_b32_e32 v101, v5, v101
	v_cmp_ne_u16_e32 vcc, s68, v101
	v_cndmask_b32_e32 v5, v66, v101, vcc
	v_lshrrev_b32_sdwa v5, s69, v5 dst_sel:DWORD dst_unused:UNUSED_PAD src0_sel:DWORD src1_sel:WORD_0
	v_and_b32_e32 v20, s78, v5
	v_mul_u32_u24_e32 v5, 5, v20
	v_add_lshl_u32 v5, v5, v92, 2
	; wave barrier
	v_add_u32_e32 v103, 0x410, v5
	ds_read_b32 v102, v5 offset:1040
	v_and_b32_e32 v5, 1, v20
	v_add_co_u32_e32 v21, vcc, -1, v5
	v_addc_co_u32_e64 v105, s[36:37], 0, -1, vcc
	v_cmp_ne_u32_e32 vcc, 0, v5
	v_xor_b32_e32 v5, vcc_hi, v105
	v_and_b32_e32 v105, exec_hi, v5
	v_lshlrev_b32_e32 v5, 30, v20
	v_xor_b32_e32 v21, vcc_lo, v21
	v_cmp_gt_i64_e32 vcc, 0, v[4:5]
	v_not_b32_e32 v5, v5
	v_ashrrev_i32_e32 v5, 31, v5
	v_and_b32_e32 v21, exec_lo, v21
	v_xor_b32_e32 v107, vcc_hi, v5
	v_xor_b32_e32 v5, vcc_lo, v5
	v_and_b32_e32 v21, v21, v5
	v_lshlrev_b32_e32 v5, 29, v20
	v_cmp_gt_i64_e32 vcc, 0, v[4:5]
	v_not_b32_e32 v5, v5
	v_ashrrev_i32_e32 v5, 31, v5
	v_and_b32_e32 v105, v105, v107
	v_xor_b32_e32 v107, vcc_hi, v5
	v_xor_b32_e32 v5, vcc_lo, v5
	v_and_b32_e32 v21, v21, v5
	v_lshlrev_b32_e32 v5, 28, v20
	v_cmp_gt_i64_e32 vcc, 0, v[4:5]
	v_not_b32_e32 v5, v5
	v_ashrrev_i32_e32 v5, 31, v5
	v_and_b32_e32 v105, v105, v107
	;; [unrolled: 8-line block ×5, first 2 shown]
	v_xor_b32_e32 v107, vcc_hi, v5
	v_xor_b32_e32 v5, vcc_lo, v5
	v_and_b32_e32 v105, v105, v107
	v_and_b32_e32 v107, v21, v5
	v_lshlrev_b32_e32 v5, 24, v20
	v_cmp_gt_i64_e32 vcc, 0, v[4:5]
	v_not_b32_e32 v5, v5
	v_ashrrev_i32_e32 v5, 31, v5
	v_xor_b32_e32 v20, vcc_hi, v5
	v_xor_b32_e32 v5, vcc_lo, v5
	v_and_b32_e32 v21, v105, v20
	v_and_b32_e32 v20, v107, v5
	v_mbcnt_lo_u32_b32 v5, v20, 0
	v_mbcnt_hi_u32_b32 v105, v21, v5
	v_cmp_eq_u32_e32 vcc, 0, v105
	v_cmp_ne_u64_e64 s[36:37], 0, v[20:21]
	s_and_b64 s[38:39], s[36:37], vcc
	; wave barrier
	s_and_saveexec_b64 s[36:37], s[38:39]
	s_cbranch_execz .LBB1740_592
; %bb.591:                              ;   in Loop: Header=BB1740_566 Depth=2
	v_bcnt_u32_b32 v5, v20, 0
	v_bcnt_u32_b32 v5, v21, v5
	s_waitcnt lgkmcnt(0)
	v_add_u32_e32 v5, v102, v5
	ds_write_b32 v103, v5
.LBB1740_592:                           ;   in Loop: Header=BB1740_566 Depth=2
	s_or_b64 exec, exec, s[36:37]
	s_waitcnt vmcnt(3)
	v_cmp_gt_i16_e32 vcc, 0, v106
	v_cndmask_b32_e64 v5, v66, 0, vcc
	v_xor_b32_e32 v106, v5, v106
	v_cmp_ne_u16_e32 vcc, s68, v106
	v_cndmask_b32_e32 v5, v66, v106, vcc
	v_lshrrev_b32_sdwa v5, s69, v5 dst_sel:DWORD dst_unused:UNUSED_PAD src0_sel:DWORD src1_sel:WORD_0
	v_and_b32_e32 v20, s78, v5
	v_mul_u32_u24_e32 v5, 5, v20
	v_add_lshl_u32 v5, v5, v92, 2
	; wave barrier
	v_add_u32_e32 v108, 0x410, v5
	ds_read_b32 v107, v5 offset:1040
	v_and_b32_e32 v5, 1, v20
	v_add_co_u32_e32 v21, vcc, -1, v5
	v_addc_co_u32_e64 v110, s[36:37], 0, -1, vcc
	v_cmp_ne_u32_e32 vcc, 0, v5
	v_xor_b32_e32 v5, vcc_hi, v110
	v_and_b32_e32 v110, exec_hi, v5
	v_lshlrev_b32_e32 v5, 30, v20
	v_xor_b32_e32 v21, vcc_lo, v21
	v_cmp_gt_i64_e32 vcc, 0, v[4:5]
	v_not_b32_e32 v5, v5
	v_ashrrev_i32_e32 v5, 31, v5
	v_and_b32_e32 v21, exec_lo, v21
	v_xor_b32_e32 v111, vcc_hi, v5
	v_xor_b32_e32 v5, vcc_lo, v5
	v_and_b32_e32 v21, v21, v5
	v_lshlrev_b32_e32 v5, 29, v20
	v_cmp_gt_i64_e32 vcc, 0, v[4:5]
	v_not_b32_e32 v5, v5
	v_ashrrev_i32_e32 v5, 31, v5
	v_and_b32_e32 v110, v110, v111
	v_xor_b32_e32 v111, vcc_hi, v5
	v_xor_b32_e32 v5, vcc_lo, v5
	v_and_b32_e32 v21, v21, v5
	v_lshlrev_b32_e32 v5, 28, v20
	v_cmp_gt_i64_e32 vcc, 0, v[4:5]
	v_not_b32_e32 v5, v5
	v_ashrrev_i32_e32 v5, 31, v5
	v_and_b32_e32 v110, v110, v111
	;; [unrolled: 8-line block ×5, first 2 shown]
	v_xor_b32_e32 v111, vcc_hi, v5
	v_xor_b32_e32 v5, vcc_lo, v5
	v_and_b32_e32 v110, v110, v111
	v_and_b32_e32 v111, v21, v5
	v_lshlrev_b32_e32 v5, 24, v20
	v_cmp_gt_i64_e32 vcc, 0, v[4:5]
	v_not_b32_e32 v5, v5
	v_ashrrev_i32_e32 v5, 31, v5
	v_xor_b32_e32 v20, vcc_hi, v5
	v_xor_b32_e32 v5, vcc_lo, v5
	v_and_b32_e32 v21, v110, v20
	v_and_b32_e32 v20, v111, v5
	v_mbcnt_lo_u32_b32 v5, v20, 0
	v_mbcnt_hi_u32_b32 v110, v21, v5
	v_cmp_eq_u32_e32 vcc, 0, v110
	v_cmp_ne_u64_e64 s[36:37], 0, v[20:21]
	s_and_b64 s[38:39], s[36:37], vcc
	; wave barrier
	s_and_saveexec_b64 s[36:37], s[38:39]
	s_cbranch_execz .LBB1740_594
; %bb.593:                              ;   in Loop: Header=BB1740_566 Depth=2
	v_bcnt_u32_b32 v5, v20, 0
	v_bcnt_u32_b32 v5, v21, v5
	s_waitcnt lgkmcnt(0)
	v_add_u32_e32 v5, v107, v5
	ds_write_b32 v108, v5
.LBB1740_594:                           ;   in Loop: Header=BB1740_566 Depth=2
	s_or_b64 exec, exec, s[36:37]
	s_waitcnt vmcnt(2)
	v_cmp_gt_i16_e32 vcc, 0, v109
	v_cndmask_b32_e64 v5, v66, 0, vcc
	v_xor_b32_e32 v109, v5, v109
	v_cmp_ne_u16_e32 vcc, s68, v109
	v_cndmask_b32_e32 v5, v66, v109, vcc
	v_lshrrev_b32_sdwa v5, s69, v5 dst_sel:DWORD dst_unused:UNUSED_PAD src0_sel:DWORD src1_sel:WORD_0
	v_and_b32_e32 v20, s78, v5
	v_mul_u32_u24_e32 v5, 5, v20
	v_add_lshl_u32 v5, v5, v92, 2
	; wave barrier
	v_add_u32_e32 v112, 0x410, v5
	ds_read_b32 v111, v5 offset:1040
	v_and_b32_e32 v5, 1, v20
	v_add_co_u32_e32 v21, vcc, -1, v5
	v_addc_co_u32_e64 v113, s[36:37], 0, -1, vcc
	v_cmp_ne_u32_e32 vcc, 0, v5
	v_xor_b32_e32 v5, vcc_hi, v113
	v_and_b32_e32 v113, exec_hi, v5
	v_lshlrev_b32_e32 v5, 30, v20
	v_xor_b32_e32 v21, vcc_lo, v21
	v_cmp_gt_i64_e32 vcc, 0, v[4:5]
	v_not_b32_e32 v5, v5
	v_ashrrev_i32_e32 v5, 31, v5
	v_and_b32_e32 v21, exec_lo, v21
	v_xor_b32_e32 v114, vcc_hi, v5
	v_xor_b32_e32 v5, vcc_lo, v5
	v_and_b32_e32 v21, v21, v5
	v_lshlrev_b32_e32 v5, 29, v20
	v_cmp_gt_i64_e32 vcc, 0, v[4:5]
	v_not_b32_e32 v5, v5
	v_ashrrev_i32_e32 v5, 31, v5
	v_and_b32_e32 v113, v113, v114
	v_xor_b32_e32 v114, vcc_hi, v5
	v_xor_b32_e32 v5, vcc_lo, v5
	v_and_b32_e32 v21, v21, v5
	v_lshlrev_b32_e32 v5, 28, v20
	v_cmp_gt_i64_e32 vcc, 0, v[4:5]
	v_not_b32_e32 v5, v5
	v_ashrrev_i32_e32 v5, 31, v5
	v_and_b32_e32 v113, v113, v114
	;; [unrolled: 8-line block ×5, first 2 shown]
	v_xor_b32_e32 v114, vcc_hi, v5
	v_xor_b32_e32 v5, vcc_lo, v5
	v_and_b32_e32 v113, v113, v114
	v_and_b32_e32 v114, v21, v5
	v_lshlrev_b32_e32 v5, 24, v20
	v_cmp_gt_i64_e32 vcc, 0, v[4:5]
	v_not_b32_e32 v5, v5
	v_ashrrev_i32_e32 v5, 31, v5
	v_xor_b32_e32 v20, vcc_hi, v5
	v_xor_b32_e32 v5, vcc_lo, v5
	v_and_b32_e32 v21, v113, v20
	v_and_b32_e32 v20, v114, v5
	v_mbcnt_lo_u32_b32 v5, v20, 0
	v_mbcnt_hi_u32_b32 v113, v21, v5
	v_cmp_eq_u32_e32 vcc, 0, v113
	v_cmp_ne_u64_e64 s[36:37], 0, v[20:21]
	s_and_b64 s[38:39], s[36:37], vcc
	; wave barrier
	s_and_saveexec_b64 s[36:37], s[38:39]
	s_cbranch_execz .LBB1740_596
; %bb.595:                              ;   in Loop: Header=BB1740_566 Depth=2
	v_bcnt_u32_b32 v5, v20, 0
	v_bcnt_u32_b32 v5, v21, v5
	s_waitcnt lgkmcnt(0)
	v_add_u32_e32 v5, v111, v5
	ds_write_b32 v112, v5
.LBB1740_596:                           ;   in Loop: Header=BB1740_566 Depth=2
	s_or_b64 exec, exec, s[36:37]
	s_waitcnt vmcnt(1)
	v_cmp_gt_i16_e32 vcc, 0, v104
	v_cndmask_b32_e64 v5, v66, 0, vcc
	v_xor_b32_e32 v104, v5, v104
	v_cmp_ne_u16_e32 vcc, s68, v104
	v_cndmask_b32_e32 v5, v66, v104, vcc
	v_lshrrev_b32_sdwa v5, s69, v5 dst_sel:DWORD dst_unused:UNUSED_PAD src0_sel:DWORD src1_sel:WORD_0
	v_and_b32_e32 v20, s78, v5
	v_mul_u32_u24_e32 v5, 5, v20
	v_add_lshl_u32 v5, v5, v92, 2
	; wave barrier
	v_add_u32_e32 v115, 0x410, v5
	ds_read_b32 v114, v5 offset:1040
	v_and_b32_e32 v5, 1, v20
	v_add_co_u32_e32 v21, vcc, -1, v5
	v_addc_co_u32_e64 v116, s[36:37], 0, -1, vcc
	v_cmp_ne_u32_e32 vcc, 0, v5
	v_xor_b32_e32 v5, vcc_hi, v116
	v_and_b32_e32 v116, exec_hi, v5
	v_lshlrev_b32_e32 v5, 30, v20
	v_xor_b32_e32 v21, vcc_lo, v21
	v_cmp_gt_i64_e32 vcc, 0, v[4:5]
	v_not_b32_e32 v5, v5
	v_ashrrev_i32_e32 v5, 31, v5
	v_and_b32_e32 v21, exec_lo, v21
	v_xor_b32_e32 v117, vcc_hi, v5
	v_xor_b32_e32 v5, vcc_lo, v5
	v_and_b32_e32 v21, v21, v5
	v_lshlrev_b32_e32 v5, 29, v20
	v_cmp_gt_i64_e32 vcc, 0, v[4:5]
	v_not_b32_e32 v5, v5
	v_ashrrev_i32_e32 v5, 31, v5
	v_and_b32_e32 v116, v116, v117
	v_xor_b32_e32 v117, vcc_hi, v5
	v_xor_b32_e32 v5, vcc_lo, v5
	v_and_b32_e32 v21, v21, v5
	v_lshlrev_b32_e32 v5, 28, v20
	v_cmp_gt_i64_e32 vcc, 0, v[4:5]
	v_not_b32_e32 v5, v5
	v_ashrrev_i32_e32 v5, 31, v5
	v_and_b32_e32 v116, v116, v117
	v_xor_b32_e32 v117, vcc_hi, v5
	v_xor_b32_e32 v5, vcc_lo, v5
	v_and_b32_e32 v21, v21, v5
	v_lshlrev_b32_e32 v5, 27, v20
	v_cmp_gt_i64_e32 vcc, 0, v[4:5]
	v_not_b32_e32 v5, v5
	v_ashrrev_i32_e32 v5, 31, v5
	v_and_b32_e32 v116, v116, v117
	v_xor_b32_e32 v117, vcc_hi, v5
	v_xor_b32_e32 v5, vcc_lo, v5
	v_and_b32_e32 v21, v21, v5
	v_lshlrev_b32_e32 v5, 26, v20
	v_cmp_gt_i64_e32 vcc, 0, v[4:5]
	v_not_b32_e32 v5, v5
	v_ashrrev_i32_e32 v5, 31, v5
	v_and_b32_e32 v116, v116, v117
	v_xor_b32_e32 v117, vcc_hi, v5
	v_xor_b32_e32 v5, vcc_lo, v5
	v_and_b32_e32 v21, v21, v5
	v_lshlrev_b32_e32 v5, 25, v20
	v_cmp_gt_i64_e32 vcc, 0, v[4:5]
	v_not_b32_e32 v5, v5
	v_ashrrev_i32_e32 v5, 31, v5
	v_and_b32_e32 v116, v116, v117
	v_xor_b32_e32 v117, vcc_hi, v5
	v_xor_b32_e32 v5, vcc_lo, v5
	v_and_b32_e32 v116, v116, v117
	v_and_b32_e32 v117, v21, v5
	v_lshlrev_b32_e32 v5, 24, v20
	v_cmp_gt_i64_e32 vcc, 0, v[4:5]
	v_not_b32_e32 v5, v5
	v_ashrrev_i32_e32 v5, 31, v5
	v_xor_b32_e32 v20, vcc_hi, v5
	v_xor_b32_e32 v5, vcc_lo, v5
	v_and_b32_e32 v21, v116, v20
	v_and_b32_e32 v20, v117, v5
	v_mbcnt_lo_u32_b32 v5, v20, 0
	v_mbcnt_hi_u32_b32 v116, v21, v5
	v_cmp_eq_u32_e32 vcc, 0, v116
	v_cmp_ne_u64_e64 s[36:37], 0, v[20:21]
	s_and_b64 s[38:39], s[36:37], vcc
	; wave barrier
	s_and_saveexec_b64 s[36:37], s[38:39]
	s_cbranch_execz .LBB1740_598
; %bb.597:                              ;   in Loop: Header=BB1740_566 Depth=2
	v_bcnt_u32_b32 v5, v20, 0
	v_bcnt_u32_b32 v5, v21, v5
	s_waitcnt lgkmcnt(0)
	v_add_u32_e32 v5, v114, v5
	ds_write_b32 v115, v5
.LBB1740_598:                           ;   in Loop: Header=BB1740_566 Depth=2
	s_or_b64 exec, exec, s[36:37]
	s_waitcnt vmcnt(0)
	v_cmp_gt_i16_e32 vcc, 0, v22
	v_cndmask_b32_e64 v5, v66, 0, vcc
	v_xor_b32_e32 v117, v5, v22
	v_cmp_ne_u16_e32 vcc, s68, v117
	v_cndmask_b32_e32 v5, v66, v117, vcc
	v_lshrrev_b32_sdwa v5, s69, v5 dst_sel:DWORD dst_unused:UNUSED_PAD src0_sel:DWORD src1_sel:WORD_0
	v_and_b32_e32 v20, s78, v5
	v_mul_u32_u24_e32 v5, 5, v20
	v_add_lshl_u32 v5, v5, v92, 2
	; wave barrier
	v_add_u32_e32 v119, 0x410, v5
	ds_read_b32 v118, v5 offset:1040
	v_and_b32_e32 v5, 1, v20
	v_add_co_u32_e32 v21, vcc, -1, v5
	v_addc_co_u32_e64 v22, s[36:37], 0, -1, vcc
	v_cmp_ne_u32_e32 vcc, 0, v5
	v_xor_b32_e32 v5, vcc_hi, v22
	v_and_b32_e32 v22, exec_hi, v5
	v_lshlrev_b32_e32 v5, 30, v20
	v_xor_b32_e32 v21, vcc_lo, v21
	v_cmp_gt_i64_e32 vcc, 0, v[4:5]
	v_not_b32_e32 v5, v5
	v_ashrrev_i32_e32 v5, 31, v5
	v_and_b32_e32 v21, exec_lo, v21
	v_xor_b32_e32 v120, vcc_hi, v5
	v_xor_b32_e32 v5, vcc_lo, v5
	v_and_b32_e32 v21, v21, v5
	v_lshlrev_b32_e32 v5, 29, v20
	v_cmp_gt_i64_e32 vcc, 0, v[4:5]
	v_not_b32_e32 v5, v5
	v_ashrrev_i32_e32 v5, 31, v5
	v_and_b32_e32 v22, v22, v120
	v_xor_b32_e32 v120, vcc_hi, v5
	v_xor_b32_e32 v5, vcc_lo, v5
	v_and_b32_e32 v21, v21, v5
	v_lshlrev_b32_e32 v5, 28, v20
	v_cmp_gt_i64_e32 vcc, 0, v[4:5]
	v_not_b32_e32 v5, v5
	v_ashrrev_i32_e32 v5, 31, v5
	v_and_b32_e32 v22, v22, v120
	;; [unrolled: 8-line block ×5, first 2 shown]
	v_xor_b32_e32 v120, vcc_hi, v5
	v_xor_b32_e32 v5, vcc_lo, v5
	v_and_b32_e32 v22, v22, v120
	v_and_b32_e32 v120, v21, v5
	v_lshlrev_b32_e32 v5, 24, v20
	v_cmp_gt_i64_e32 vcc, 0, v[4:5]
	v_not_b32_e32 v5, v5
	v_ashrrev_i32_e32 v5, 31, v5
	v_xor_b32_e32 v20, vcc_hi, v5
	v_xor_b32_e32 v5, vcc_lo, v5
	v_and_b32_e32 v21, v22, v20
	v_and_b32_e32 v20, v120, v5
	v_mbcnt_lo_u32_b32 v5, v20, 0
	v_mbcnt_hi_u32_b32 v120, v21, v5
	v_cmp_eq_u32_e32 vcc, 0, v120
	v_cmp_ne_u64_e64 s[36:37], 0, v[20:21]
	s_and_b64 s[38:39], s[36:37], vcc
	; wave barrier
	s_and_saveexec_b64 s[36:37], s[38:39]
	s_cbranch_execz .LBB1740_600
; %bb.599:                              ;   in Loop: Header=BB1740_566 Depth=2
	v_bcnt_u32_b32 v5, v20, 0
	v_bcnt_u32_b32 v5, v21, v5
	s_waitcnt lgkmcnt(0)
	v_add_u32_e32 v5, v118, v5
	ds_write_b32 v119, v5
.LBB1740_600:                           ;   in Loop: Header=BB1740_566 Depth=2
	s_or_b64 exec, exec, s[36:37]
	v_cmp_gt_i16_e32 vcc, 0, v23
	v_cndmask_b32_e64 v5, v66, 0, vcc
	v_xor_b32_e32 v121, v5, v23
	v_cmp_ne_u16_e32 vcc, s68, v121
	v_cndmask_b32_e32 v5, v66, v121, vcc
	v_lshrrev_b32_sdwa v5, s69, v5 dst_sel:DWORD dst_unused:UNUSED_PAD src0_sel:DWORD src1_sel:WORD_0
	v_and_b32_e32 v20, s78, v5
	v_mul_u32_u24_e32 v5, 5, v20
	v_add_lshl_u32 v5, v5, v92, 2
	; wave barrier
	v_add_u32_e32 v123, 0x410, v5
	ds_read_b32 v122, v5 offset:1040
	v_and_b32_e32 v5, 1, v20
	v_add_co_u32_e32 v21, vcc, -1, v5
	v_addc_co_u32_e64 v22, s[36:37], 0, -1, vcc
	v_cmp_ne_u32_e32 vcc, 0, v5
	v_xor_b32_e32 v5, vcc_hi, v22
	v_and_b32_e32 v22, exec_hi, v5
	v_lshlrev_b32_e32 v5, 30, v20
	v_xor_b32_e32 v21, vcc_lo, v21
	v_cmp_gt_i64_e32 vcc, 0, v[4:5]
	v_not_b32_e32 v5, v5
	v_ashrrev_i32_e32 v5, 31, v5
	v_and_b32_e32 v21, exec_lo, v21
	v_xor_b32_e32 v23, vcc_hi, v5
	v_xor_b32_e32 v5, vcc_lo, v5
	v_and_b32_e32 v21, v21, v5
	v_lshlrev_b32_e32 v5, 29, v20
	v_cmp_gt_i64_e32 vcc, 0, v[4:5]
	v_not_b32_e32 v5, v5
	v_ashrrev_i32_e32 v5, 31, v5
	v_and_b32_e32 v22, v22, v23
	v_xor_b32_e32 v23, vcc_hi, v5
	v_xor_b32_e32 v5, vcc_lo, v5
	v_and_b32_e32 v21, v21, v5
	v_lshlrev_b32_e32 v5, 28, v20
	v_cmp_gt_i64_e32 vcc, 0, v[4:5]
	v_not_b32_e32 v5, v5
	v_ashrrev_i32_e32 v5, 31, v5
	v_and_b32_e32 v22, v22, v23
	;; [unrolled: 8-line block ×5, first 2 shown]
	v_xor_b32_e32 v23, vcc_hi, v5
	v_xor_b32_e32 v5, vcc_lo, v5
	v_and_b32_e32 v22, v22, v23
	v_and_b32_e32 v23, v21, v5
	v_lshlrev_b32_e32 v5, 24, v20
	v_cmp_gt_i64_e32 vcc, 0, v[4:5]
	v_not_b32_e32 v5, v5
	v_ashrrev_i32_e32 v5, 31, v5
	v_xor_b32_e32 v20, vcc_hi, v5
	v_xor_b32_e32 v5, vcc_lo, v5
	v_and_b32_e32 v21, v22, v20
	v_and_b32_e32 v20, v23, v5
	v_mbcnt_lo_u32_b32 v5, v20, 0
	v_mbcnt_hi_u32_b32 v124, v21, v5
	v_cmp_eq_u32_e32 vcc, 0, v124
	v_cmp_ne_u64_e64 s[36:37], 0, v[20:21]
	s_and_b64 s[38:39], s[36:37], vcc
	; wave barrier
	s_and_saveexec_b64 s[36:37], s[38:39]
	s_cbranch_execz .LBB1740_602
; %bb.601:                              ;   in Loop: Header=BB1740_566 Depth=2
	v_bcnt_u32_b32 v5, v20, 0
	v_bcnt_u32_b32 v5, v21, v5
	s_waitcnt lgkmcnt(0)
	v_add_u32_e32 v5, v122, v5
	ds_write_b32 v123, v5
.LBB1740_602:                           ;   in Loop: Header=BB1740_566 Depth=2
	s_or_b64 exec, exec, s[36:37]
	; wave barrier
	s_waitcnt lgkmcnt(0)
	s_barrier
	ds_read_b32 v5, v41 offset:1040
	ds_read2_b32 v[22:23], v43 offset0:1 offset1:2
	ds_read2_b32 v[20:21], v43 offset0:3 offset1:4
	s_waitcnt lgkmcnt(1)
	v_add3_u32 v125, v22, v5, v23
	s_waitcnt lgkmcnt(0)
	v_add3_u32 v21, v125, v20, v21
	s_nop 1
	v_mov_b32_dpp v125, v21 row_shr:1 row_mask:0xf bank_mask:0xf
	v_cndmask_b32_e64 v125, v125, 0, s[16:17]
	v_add_u32_e32 v21, v125, v21
	s_nop 1
	v_mov_b32_dpp v125, v21 row_shr:2 row_mask:0xf bank_mask:0xf
	v_cndmask_b32_e64 v125, 0, v125, s[18:19]
	v_add_u32_e32 v21, v21, v125
	;; [unrolled: 4-line block ×4, first 2 shown]
	s_nop 1
	v_mov_b32_dpp v125, v21 row_bcast:15 row_mask:0xf bank_mask:0xf
	v_cndmask_b32_e64 v125, v125, 0, s[24:25]
	v_add_u32_e32 v21, v21, v125
	s_nop 1
	v_mov_b32_dpp v125, v21 row_bcast:31 row_mask:0xf bank_mask:0xf
	v_cndmask_b32_e64 v125, 0, v125, s[26:27]
	v_add_u32_e32 v21, v21, v125
	s_and_saveexec_b64 s[36:37], s[6:7]
	s_cbranch_execz .LBB1740_604
; %bb.603:                              ;   in Loop: Header=BB1740_566 Depth=2
	ds_write_b32 v34, v21 offset:1024
.LBB1740_604:                           ;   in Loop: Header=BB1740_566 Depth=2
	s_or_b64 exec, exec, s[36:37]
	s_waitcnt lgkmcnt(0)
	s_barrier
	s_and_saveexec_b64 s[36:37], s[8:9]
	s_cbranch_execz .LBB1740_606
; %bb.605:                              ;   in Loop: Header=BB1740_566 Depth=2
	ds_read_b32 v125, v44 offset:1024
	s_waitcnt lgkmcnt(0)
	s_nop 0
	v_mov_b32_dpp v126, v125 row_shr:1 row_mask:0xf bank_mask:0xf
	v_cndmask_b32_e64 v126, v126, 0, s[30:31]
	v_add_u32_e32 v125, v126, v125
	s_nop 1
	v_mov_b32_dpp v126, v125 row_shr:2 row_mask:0xf bank_mask:0xf
	v_cndmask_b32_e64 v126, 0, v126, s[34:35]
	v_add_u32_e32 v125, v125, v126
	ds_write_b32 v44, v125 offset:1024
.LBB1740_606:                           ;   in Loop: Header=BB1740_566 Depth=2
	s_or_b64 exec, exec, s[36:37]
	v_mov_b32_e32 v125, 0
	s_waitcnt lgkmcnt(0)
	s_barrier
	s_and_saveexec_b64 s[36:37], s[10:11]
	s_cbranch_execz .LBB1740_608
; %bb.607:                              ;   in Loop: Header=BB1740_566 Depth=2
	ds_read_b32 v125, v34 offset:1020
.LBB1740_608:                           ;   in Loop: Header=BB1740_566 Depth=2
	s_or_b64 exec, exec, s[36:37]
	s_waitcnt lgkmcnt(0)
	v_add_u32_e32 v21, v125, v21
	ds_bpermute_b32 v21, v69, v21
	s_waitcnt lgkmcnt(0)
	v_cndmask_b32_e64 v21, v21, v125, s[28:29]
	v_cndmask_b32_e64 v21, v21, 0, s[12:13]
	v_add_u32_e32 v5, v21, v5
	ds_write_b32 v41, v21 offset:1040
	v_add_u32_e32 v21, v5, v22
	v_add_u32_e32 v22, v21, v23
	ds_write2_b32 v43, v5, v21 offset0:1 offset1:2
	v_add_u32_e32 v5, v22, v20
	ds_write2_b32 v43, v22, v5 offset0:3 offset1:4
	s_waitcnt lgkmcnt(0)
	s_barrier
	ds_read_b32 v20, v99
	ds_read_b32 v21, v103
	;; [unrolled: 1-line block ×8, first 2 shown]
	ds_read_b32 v99, v41 offset:1040
	v_mov_b32_e32 v5, 0x800
	s_and_saveexec_b64 s[36:37], s[14:15]
	s_cbranch_execz .LBB1740_610
; %bb.609:                              ;   in Loop: Header=BB1740_566 Depth=2
	ds_read_b32 v5, v41 offset:1060
.LBB1740_610:                           ;   in Loop: Header=BB1740_566 Depth=2
	s_or_b64 exec, exec, s[36:37]
	s_waitcnt lgkmcnt(0)
	s_barrier
	s_and_saveexec_b64 s[36:37], s[4:5]
	s_cbranch_execz .LBB1740_612
; %bb.611:                              ;   in Loop: Header=BB1740_566 Depth=2
	ds_read_b32 v103, v3
	s_waitcnt lgkmcnt(0)
	v_sub_u32_e32 v99, v103, v99
	ds_write_b32 v3, v99
.LBB1740_612:                           ;   in Loop: Header=BB1740_566 Depth=2
	s_or_b64 exec, exec, s[36:37]
	v_add_u32_e32 v103, v95, v96
	v_add3_u32 v100, v100, v98, v20
	v_lshlrev_b32_e32 v20, 1, v103
	v_add3_u32 v99, v105, v102, v21
	ds_write_b16 v20, v94 offset:1024
	v_lshlrev_b32_e32 v20, 1, v100
	v_add3_u32 v98, v110, v107, v22
	ds_write_b16 v20, v97 offset:1024
	;; [unrolled: 3-line block ×6, first 2 shown]
	v_lshlrev_b32_e32 v20, 1, v23
	ds_write_b16 v20, v117 offset:1024
	v_lshlrev_b32_e32 v20, 1, v22
	v_cmp_lt_u32_e32 vcc, v2, v93
	ds_write_b16 v20, v121 offset:1024
	s_waitcnt lgkmcnt(0)
	s_barrier
	s_and_saveexec_b64 s[38:39], vcc
	s_cbranch_execz .LBB1740_620
; %bb.613:                              ;   in Loop: Header=BB1740_566 Depth=2
	ds_read_u16 v20, v49 offset:1024
	v_mov_b32_e32 v21, v4
	v_mov_b32_e32 v97, s61
	s_waitcnt lgkmcnt(0)
	v_cmp_ne_u16_e64 s[36:37], s68, v20
	v_cndmask_b32_e64 v94, v66, v20, s[36:37]
	v_lshrrev_b32_sdwa v94, s69, v94 dst_sel:DWORD dst_unused:UNUSED_PAD src0_sel:DWORD src1_sel:WORD_0
	v_and_b32_e32 v94, s78, v94
	v_lshlrev_b32_e32 v94, 2, v94
	ds_read_b32 v94, v94
	v_cmp_gt_i16_e64 s[36:37], 0, v20
	v_cndmask_b32_e64 v101, v66, 0, s[36:37]
	v_xor_b32_e32 v101, v101, v20
	s_waitcnt lgkmcnt(0)
	v_add_u32_e32 v20, v94, v2
	v_lshlrev_b64 v[20:21], 1, v[20:21]
	v_add_co_u32_e64 v20, s[36:37], s60, v20
	v_addc_co_u32_e64 v21, s[36:37], v97, v21, s[36:37]
	global_store_short v[20:21], v101, off
	s_or_b64 exec, exec, s[38:39]
	v_cmp_lt_u32_e64 s[36:37], v24, v93
	s_and_saveexec_b64 s[40:41], s[36:37]
	s_cbranch_execnz .LBB1740_621
.LBB1740_614:                           ;   in Loop: Header=BB1740_566 Depth=2
	s_or_b64 exec, exec, s[40:41]
	v_cmp_lt_u32_e64 s[38:39], v25, v93
	s_and_saveexec_b64 s[42:43], s[38:39]
	s_cbranch_execz .LBB1740_622
.LBB1740_615:                           ;   in Loop: Header=BB1740_566 Depth=2
	ds_read_u16 v20, v50 offset:1024
	v_mov_b32_e32 v21, v4
	v_mov_b32_e32 v97, s61
	s_waitcnt lgkmcnt(0)
	v_cmp_ne_u16_e64 s[40:41], s68, v20
	v_cndmask_b32_e64 v94, v66, v20, s[40:41]
	v_lshrrev_b32_sdwa v94, s69, v94 dst_sel:DWORD dst_unused:UNUSED_PAD src0_sel:DWORD src1_sel:WORD_0
	v_and_b32_e32 v94, s78, v94
	v_lshlrev_b32_e32 v94, 2, v94
	ds_read_b32 v94, v94
	v_cmp_gt_i16_e64 s[40:41], 0, v20
	v_cndmask_b32_e64 v101, v66, 0, s[40:41]
	v_xor_b32_e32 v101, v101, v20
	s_waitcnt lgkmcnt(0)
	v_add_u32_e32 v20, v94, v25
	v_lshlrev_b64 v[20:21], 1, v[20:21]
	v_add_co_u32_e64 v20, s[40:41], s60, v20
	v_addc_co_u32_e64 v21, s[40:41], v97, v21, s[40:41]
	global_store_short v[20:21], v101, off
	s_or_b64 exec, exec, s[42:43]
	v_cmp_lt_u32_e64 s[40:41], v26, v93
	s_and_saveexec_b64 s[44:45], s[40:41]
	s_cbranch_execnz .LBB1740_623
.LBB1740_616:                           ;   in Loop: Header=BB1740_566 Depth=2
	s_or_b64 exec, exec, s[44:45]
	v_cmp_lt_u32_e64 s[42:43], v29, v93
	s_and_saveexec_b64 s[46:47], s[42:43]
	s_cbranch_execz .LBB1740_624
.LBB1740_617:                           ;   in Loop: Header=BB1740_566 Depth=2
	ds_read_u16 v20, v50 offset:2048
	v_mov_b32_e32 v21, v4
	v_mov_b32_e32 v97, s61
	s_waitcnt lgkmcnt(0)
	v_cmp_ne_u16_e64 s[44:45], s68, v20
	v_cndmask_b32_e64 v94, v66, v20, s[44:45]
	v_lshrrev_b32_sdwa v94, s69, v94 dst_sel:DWORD dst_unused:UNUSED_PAD src0_sel:DWORD src1_sel:WORD_0
	v_and_b32_e32 v94, s78, v94
	v_lshlrev_b32_e32 v94, 2, v94
	ds_read_b32 v94, v94
	v_cmp_gt_i16_e64 s[44:45], 0, v20
	v_cndmask_b32_e64 v101, v66, 0, s[44:45]
	v_xor_b32_e32 v101, v101, v20
	s_waitcnt lgkmcnt(0)
	v_add_u32_e32 v20, v94, v29
	v_lshlrev_b64 v[20:21], 1, v[20:21]
	v_add_co_u32_e64 v20, s[44:45], s60, v20
	v_addc_co_u32_e64 v21, s[44:45], v97, v21, s[44:45]
	global_store_short v[20:21], v101, off
	s_or_b64 exec, exec, s[46:47]
	v_cmp_lt_u32_e64 s[44:45], v30, v93
	s_and_saveexec_b64 s[48:49], s[44:45]
	s_cbranch_execnz .LBB1740_625
.LBB1740_618:                           ;   in Loop: Header=BB1740_566 Depth=2
	s_or_b64 exec, exec, s[48:49]
	v_cmp_lt_u32_e64 s[46:47], v31, v93
	s_and_saveexec_b64 s[52:53], s[46:47]
	s_cbranch_execz .LBB1740_626
.LBB1740_619:                           ;   in Loop: Header=BB1740_566 Depth=2
	ds_read_u16 v20, v50 offset:3072
	v_mov_b32_e32 v21, v4
	v_mov_b32_e32 v97, s61
	s_waitcnt lgkmcnt(0)
	v_cmp_ne_u16_e64 s[48:49], s68, v20
	v_cndmask_b32_e64 v94, v66, v20, s[48:49]
	v_lshrrev_b32_sdwa v94, s69, v94 dst_sel:DWORD dst_unused:UNUSED_PAD src0_sel:DWORD src1_sel:WORD_0
	v_and_b32_e32 v94, s78, v94
	v_lshlrev_b32_e32 v94, 2, v94
	ds_read_b32 v94, v94
	v_cmp_gt_i16_e64 s[48:49], 0, v20
	v_cndmask_b32_e64 v101, v66, 0, s[48:49]
	v_xor_b32_e32 v101, v101, v20
	s_waitcnt lgkmcnt(0)
	v_add_u32_e32 v20, v94, v31
	v_lshlrev_b64 v[20:21], 1, v[20:21]
	v_add_co_u32_e64 v20, s[48:49], s60, v20
	v_addc_co_u32_e64 v21, s[48:49], v97, v21, s[48:49]
	global_store_short v[20:21], v101, off
	s_or_b64 exec, exec, s[52:53]
	v_cmp_lt_u32_e64 s[48:49], v32, v93
	s_and_saveexec_b64 s[62:63], s[48:49]
	s_cbranch_execnz .LBB1740_627
	s_branch .LBB1740_628
.LBB1740_620:                           ;   in Loop: Header=BB1740_566 Depth=2
	s_or_b64 exec, exec, s[38:39]
	v_cmp_lt_u32_e64 s[36:37], v24, v93
	s_and_saveexec_b64 s[40:41], s[36:37]
	s_cbranch_execz .LBB1740_614
.LBB1740_621:                           ;   in Loop: Header=BB1740_566 Depth=2
	ds_read_u16 v20, v50 offset:512
	v_mov_b32_e32 v21, v4
	v_mov_b32_e32 v97, s61
	s_waitcnt lgkmcnt(0)
	v_cmp_ne_u16_e64 s[38:39], s68, v20
	v_cndmask_b32_e64 v94, v66, v20, s[38:39]
	v_lshrrev_b32_sdwa v94, s69, v94 dst_sel:DWORD dst_unused:UNUSED_PAD src0_sel:DWORD src1_sel:WORD_0
	v_and_b32_e32 v94, s78, v94
	v_lshlrev_b32_e32 v94, 2, v94
	ds_read_b32 v94, v94
	v_cmp_gt_i16_e64 s[38:39], 0, v20
	v_cndmask_b32_e64 v101, v66, 0, s[38:39]
	v_xor_b32_e32 v101, v101, v20
	s_waitcnt lgkmcnt(0)
	v_add_u32_e32 v20, v94, v24
	v_lshlrev_b64 v[20:21], 1, v[20:21]
	v_add_co_u32_e64 v20, s[38:39], s60, v20
	v_addc_co_u32_e64 v21, s[38:39], v97, v21, s[38:39]
	global_store_short v[20:21], v101, off
	s_or_b64 exec, exec, s[40:41]
	v_cmp_lt_u32_e64 s[38:39], v25, v93
	s_and_saveexec_b64 s[42:43], s[38:39]
	s_cbranch_execnz .LBB1740_615
.LBB1740_622:                           ;   in Loop: Header=BB1740_566 Depth=2
	s_or_b64 exec, exec, s[42:43]
	v_cmp_lt_u32_e64 s[40:41], v26, v93
	s_and_saveexec_b64 s[44:45], s[40:41]
	s_cbranch_execz .LBB1740_616
.LBB1740_623:                           ;   in Loop: Header=BB1740_566 Depth=2
	ds_read_u16 v20, v50 offset:1536
	v_mov_b32_e32 v21, v4
	v_mov_b32_e32 v97, s61
	s_waitcnt lgkmcnt(0)
	v_cmp_ne_u16_e64 s[42:43], s68, v20
	v_cndmask_b32_e64 v94, v66, v20, s[42:43]
	v_lshrrev_b32_sdwa v94, s69, v94 dst_sel:DWORD dst_unused:UNUSED_PAD src0_sel:DWORD src1_sel:WORD_0
	v_and_b32_e32 v94, s78, v94
	v_lshlrev_b32_e32 v94, 2, v94
	ds_read_b32 v94, v94
	v_cmp_gt_i16_e64 s[42:43], 0, v20
	v_cndmask_b32_e64 v101, v66, 0, s[42:43]
	v_xor_b32_e32 v101, v101, v20
	s_waitcnt lgkmcnt(0)
	v_add_u32_e32 v20, v94, v26
	v_lshlrev_b64 v[20:21], 1, v[20:21]
	v_add_co_u32_e64 v20, s[42:43], s60, v20
	v_addc_co_u32_e64 v21, s[42:43], v97, v21, s[42:43]
	global_store_short v[20:21], v101, off
	s_or_b64 exec, exec, s[44:45]
	v_cmp_lt_u32_e64 s[42:43], v29, v93
	s_and_saveexec_b64 s[46:47], s[42:43]
	s_cbranch_execnz .LBB1740_617
.LBB1740_624:                           ;   in Loop: Header=BB1740_566 Depth=2
	s_or_b64 exec, exec, s[46:47]
	v_cmp_lt_u32_e64 s[44:45], v30, v93
	s_and_saveexec_b64 s[48:49], s[44:45]
	s_cbranch_execz .LBB1740_618
.LBB1740_625:                           ;   in Loop: Header=BB1740_566 Depth=2
	ds_read_u16 v20, v50 offset:2560
	v_mov_b32_e32 v21, v4
	v_mov_b32_e32 v97, s61
	s_waitcnt lgkmcnt(0)
	v_cmp_ne_u16_e64 s[46:47], s68, v20
	v_cndmask_b32_e64 v94, v66, v20, s[46:47]
	v_lshrrev_b32_sdwa v94, s69, v94 dst_sel:DWORD dst_unused:UNUSED_PAD src0_sel:DWORD src1_sel:WORD_0
	v_and_b32_e32 v94, s78, v94
	v_lshlrev_b32_e32 v94, 2, v94
	ds_read_b32 v94, v94
	v_cmp_gt_i16_e64 s[46:47], 0, v20
	v_cndmask_b32_e64 v101, v66, 0, s[46:47]
	v_xor_b32_e32 v101, v101, v20
	s_waitcnt lgkmcnt(0)
	v_add_u32_e32 v20, v94, v30
	v_lshlrev_b64 v[20:21], 1, v[20:21]
	v_add_co_u32_e64 v20, s[46:47], s60, v20
	v_addc_co_u32_e64 v21, s[46:47], v97, v21, s[46:47]
	global_store_short v[20:21], v101, off
	s_or_b64 exec, exec, s[48:49]
	v_cmp_lt_u32_e64 s[46:47], v31, v93
	s_and_saveexec_b64 s[52:53], s[46:47]
	s_cbranch_execnz .LBB1740_619
.LBB1740_626:                           ;   in Loop: Header=BB1740_566 Depth=2
	s_or_b64 exec, exec, s[52:53]
	v_cmp_lt_u32_e64 s[48:49], v32, v93
	s_and_saveexec_b64 s[62:63], s[48:49]
	s_cbranch_execz .LBB1740_628
.LBB1740_627:                           ;   in Loop: Header=BB1740_566 Depth=2
	ds_read_u16 v20, v50 offset:3584
	v_mov_b32_e32 v21, v4
	v_mov_b32_e32 v97, s61
	s_waitcnt lgkmcnt(0)
	v_cmp_ne_u16_e64 s[52:53], s68, v20
	v_cndmask_b32_e64 v94, v66, v20, s[52:53]
	v_lshrrev_b32_sdwa v94, s69, v94 dst_sel:DWORD dst_unused:UNUSED_PAD src0_sel:DWORD src1_sel:WORD_0
	v_and_b32_e32 v94, s78, v94
	v_lshlrev_b32_e32 v94, 2, v94
	ds_read_b32 v94, v94
	v_cmp_gt_i16_e64 s[52:53], 0, v20
	v_cndmask_b32_e64 v101, v66, 0, s[52:53]
	v_xor_b32_e32 v101, v101, v20
	s_waitcnt lgkmcnt(0)
	v_add_u32_e32 v20, v94, v32
	v_lshlrev_b64 v[20:21], 1, v[20:21]
	v_add_co_u32_e64 v20, s[52:53], s60, v20
	v_addc_co_u32_e64 v21, s[52:53], v97, v21, s[52:53]
	global_store_short v[20:21], v101, off
.LBB1740_628:                           ;   in Loop: Header=BB1740_566 Depth=2
	s_or_b64 exec, exec, s[62:63]
	s_lshl_b64 s[52:53], s[72:73], 3
	v_mov_b32_e32 v21, s53
	v_add_co_u32_e64 v20, s[52:53], s52, v77
	v_addc_co_u32_e64 v21, s[52:53], v79, v21, s[52:53]
	v_cmp_lt_u32_e64 s[52:53], v74, v93
	s_and_saveexec_b64 s[62:63], s[52:53]
	s_xor_b64 s[52:53], exec, s[62:63]
	s_cbranch_execz .LBB1740_644
; %bb.629:                              ;   in Loop: Header=BB1740_566 Depth=2
	global_load_dwordx2 v[18:19], v[20:21], off
	s_or_b64 exec, exec, s[52:53]
	v_cmp_lt_u32_e64 s[52:53], v81, v93
	s_and_saveexec_b64 s[62:63], s[52:53]
	s_cbranch_execnz .LBB1740_645
.LBB1740_630:                           ;   in Loop: Header=BB1740_566 Depth=2
	s_or_b64 exec, exec, s[62:63]
	v_cmp_lt_u32_e64 s[52:53], v82, v93
	s_and_saveexec_b64 s[62:63], s[52:53]
	s_cbranch_execz .LBB1740_646
.LBB1740_631:                           ;   in Loop: Header=BB1740_566 Depth=2
	global_load_dwordx2 v[14:15], v[20:21], off offset:1024
	s_or_b64 exec, exec, s[62:63]
	v_cmp_lt_u32_e64 s[52:53], v83, v93
	s_and_saveexec_b64 s[62:63], s[52:53]
	s_cbranch_execnz .LBB1740_647
.LBB1740_632:                           ;   in Loop: Header=BB1740_566 Depth=2
	s_or_b64 exec, exec, s[62:63]
	v_cmp_lt_u32_e64 s[52:53], v84, v93
	s_and_saveexec_b64 s[62:63], s[52:53]
	s_cbranch_execz .LBB1740_648
.LBB1740_633:                           ;   in Loop: Header=BB1740_566 Depth=2
	global_load_dwordx2 v[10:11], v[20:21], off offset:2048
	s_or_b64 exec, exec, s[62:63]
	v_cmp_lt_u32_e64 s[52:53], v85, v93
	s_and_saveexec_b64 s[62:63], s[52:53]
	s_cbranch_execnz .LBB1740_649
.LBB1740_634:                           ;   in Loop: Header=BB1740_566 Depth=2
	s_or_b64 exec, exec, s[62:63]
	v_cmp_lt_u32_e64 s[52:53], v86, v93
	s_and_saveexec_b64 s[62:63], s[52:53]
	s_cbranch_execz .LBB1740_650
.LBB1740_635:                           ;   in Loop: Header=BB1740_566 Depth=2
	global_load_dwordx2 v[6:7], v[20:21], off offset:3072
	s_or_b64 exec, exec, s[62:63]
	v_cmp_lt_u32_e64 s[52:53], v87, v93
	s_and_saveexec_b64 s[62:63], s[52:53]
	s_cbranch_execnz .LBB1740_651
.LBB1740_636:                           ;   in Loop: Header=BB1740_566 Depth=2
	s_or_b64 exec, exec, s[62:63]
	s_and_saveexec_b64 s[62:63], vcc
	s_cbranch_execz .LBB1740_652
.LBB1740_637:                           ;   in Loop: Header=BB1740_566 Depth=2
	ds_read_u16 v20, v49 offset:1024
	s_waitcnt lgkmcnt(0)
	v_cmp_ne_u16_e64 s[52:53], s68, v20
	v_cndmask_b32_e64 v20, v66, v20, s[52:53]
	v_lshrrev_b32_sdwa v20, s69, v20 dst_sel:DWORD dst_unused:UNUSED_PAD src0_sel:DWORD src1_sel:WORD_0
	v_and_b32_e32 v80, s78, v20
	s_or_b64 exec, exec, s[62:63]
	s_and_saveexec_b64 s[62:63], s[36:37]
	s_cbranch_execnz .LBB1740_653
.LBB1740_638:                           ;   in Loop: Header=BB1740_566 Depth=2
	s_or_b64 exec, exec, s[62:63]
	s_and_saveexec_b64 s[62:63], s[38:39]
	s_cbranch_execz .LBB1740_654
.LBB1740_639:                           ;   in Loop: Header=BB1740_566 Depth=2
	ds_read_u16 v20, v50 offset:1024
	s_waitcnt lgkmcnt(0)
	v_cmp_ne_u16_e64 s[52:53], s68, v20
	v_cndmask_b32_e64 v20, v66, v20, s[52:53]
	v_lshrrev_b32_sdwa v20, s69, v20 dst_sel:DWORD dst_unused:UNUSED_PAD src0_sel:DWORD src1_sel:WORD_0
	v_and_b32_e32 v76, s78, v20
	s_or_b64 exec, exec, s[62:63]
	s_and_saveexec_b64 s[62:63], s[40:41]
	s_cbranch_execnz .LBB1740_655
.LBB1740_640:                           ;   in Loop: Header=BB1740_566 Depth=2
	s_or_b64 exec, exec, s[62:63]
	s_and_saveexec_b64 s[62:63], s[42:43]
	s_cbranch_execz .LBB1740_656
.LBB1740_641:                           ;   in Loop: Header=BB1740_566 Depth=2
	ds_read_u16 v20, v50 offset:2048
	s_waitcnt lgkmcnt(0)
	v_cmp_ne_u16_e64 s[52:53], s68, v20
	v_cndmask_b32_e64 v20, v66, v20, s[52:53]
	v_lshrrev_b32_sdwa v20, s69, v20 dst_sel:DWORD dst_unused:UNUSED_PAD src0_sel:DWORD src1_sel:WORD_0
	v_and_b32_e32 v73, s78, v20
	s_or_b64 exec, exec, s[62:63]
	s_and_saveexec_b64 s[62:63], s[44:45]
	s_cbranch_execnz .LBB1740_657
.LBB1740_642:                           ;   in Loop: Header=BB1740_566 Depth=2
	s_or_b64 exec, exec, s[62:63]
	s_and_saveexec_b64 s[62:63], s[46:47]
	s_cbranch_execz .LBB1740_658
.LBB1740_643:                           ;   in Loop: Header=BB1740_566 Depth=2
	ds_read_u16 v20, v50 offset:3072
	s_waitcnt lgkmcnt(0)
	v_cmp_ne_u16_e64 s[52:53], s68, v20
	v_cndmask_b32_e64 v20, v66, v20, s[52:53]
	v_lshrrev_b32_sdwa v20, s69, v20 dst_sel:DWORD dst_unused:UNUSED_PAD src0_sel:DWORD src1_sel:WORD_0
	v_and_b32_e32 v71, s78, v20
	s_or_b64 exec, exec, s[62:63]
	s_and_saveexec_b64 s[62:63], s[48:49]
	s_cbranch_execnz .LBB1740_659
	s_branch .LBB1740_660
.LBB1740_644:                           ;   in Loop: Header=BB1740_566 Depth=2
	s_or_b64 exec, exec, s[52:53]
	v_cmp_lt_u32_e64 s[52:53], v81, v93
	s_and_saveexec_b64 s[62:63], s[52:53]
	s_cbranch_execz .LBB1740_630
.LBB1740_645:                           ;   in Loop: Header=BB1740_566 Depth=2
	global_load_dwordx2 v[16:17], v[20:21], off offset:512
	s_or_b64 exec, exec, s[62:63]
	v_cmp_lt_u32_e64 s[52:53], v82, v93
	s_and_saveexec_b64 s[62:63], s[52:53]
	s_cbranch_execnz .LBB1740_631
.LBB1740_646:                           ;   in Loop: Header=BB1740_566 Depth=2
	s_or_b64 exec, exec, s[62:63]
	v_cmp_lt_u32_e64 s[52:53], v83, v93
	s_and_saveexec_b64 s[62:63], s[52:53]
	s_cbranch_execz .LBB1740_632
.LBB1740_647:                           ;   in Loop: Header=BB1740_566 Depth=2
	global_load_dwordx2 v[12:13], v[20:21], off offset:1536
	s_or_b64 exec, exec, s[62:63]
	v_cmp_lt_u32_e64 s[52:53], v84, v93
	s_and_saveexec_b64 s[62:63], s[52:53]
	s_cbranch_execnz .LBB1740_633
.LBB1740_648:                           ;   in Loop: Header=BB1740_566 Depth=2
	s_or_b64 exec, exec, s[62:63]
	v_cmp_lt_u32_e64 s[52:53], v85, v93
	s_and_saveexec_b64 s[62:63], s[52:53]
	s_cbranch_execz .LBB1740_634
.LBB1740_649:                           ;   in Loop: Header=BB1740_566 Depth=2
	global_load_dwordx2 v[8:9], v[20:21], off offset:2560
	s_or_b64 exec, exec, s[62:63]
	v_cmp_lt_u32_e64 s[52:53], v86, v93
	s_and_saveexec_b64 s[62:63], s[52:53]
	s_cbranch_execnz .LBB1740_635
.LBB1740_650:                           ;   in Loop: Header=BB1740_566 Depth=2
	s_or_b64 exec, exec, s[62:63]
	v_cmp_lt_u32_e64 s[52:53], v87, v93
	s_and_saveexec_b64 s[62:63], s[52:53]
	s_cbranch_execz .LBB1740_636
.LBB1740_651:                           ;   in Loop: Header=BB1740_566 Depth=2
	global_load_dwordx2 v[0:1], v[20:21], off offset:3584
	s_or_b64 exec, exec, s[62:63]
	s_and_saveexec_b64 s[62:63], vcc
	s_cbranch_execnz .LBB1740_637
.LBB1740_652:                           ;   in Loop: Header=BB1740_566 Depth=2
	s_or_b64 exec, exec, s[62:63]
	s_and_saveexec_b64 s[62:63], s[36:37]
	s_cbranch_execz .LBB1740_638
.LBB1740_653:                           ;   in Loop: Header=BB1740_566 Depth=2
	ds_read_u16 v20, v50 offset:512
	s_waitcnt lgkmcnt(0)
	v_cmp_ne_u16_e64 s[52:53], s68, v20
	v_cndmask_b32_e64 v20, v66, v20, s[52:53]
	v_lshrrev_b32_sdwa v20, s69, v20 dst_sel:DWORD dst_unused:UNUSED_PAD src0_sel:DWORD src1_sel:WORD_0
	v_and_b32_e32 v78, s78, v20
	s_or_b64 exec, exec, s[62:63]
	s_and_saveexec_b64 s[62:63], s[38:39]
	s_cbranch_execnz .LBB1740_639
.LBB1740_654:                           ;   in Loop: Header=BB1740_566 Depth=2
	s_or_b64 exec, exec, s[62:63]
	s_and_saveexec_b64 s[62:63], s[40:41]
	s_cbranch_execz .LBB1740_640
.LBB1740_655:                           ;   in Loop: Header=BB1740_566 Depth=2
	ds_read_u16 v20, v50 offset:1536
	s_waitcnt lgkmcnt(0)
	v_cmp_ne_u16_e64 s[52:53], s68, v20
	v_cndmask_b32_e64 v20, v66, v20, s[52:53]
	v_lshrrev_b32_sdwa v20, s69, v20 dst_sel:DWORD dst_unused:UNUSED_PAD src0_sel:DWORD src1_sel:WORD_0
	v_and_b32_e32 v75, s78, v20
	s_or_b64 exec, exec, s[62:63]
	s_and_saveexec_b64 s[62:63], s[42:43]
	s_cbranch_execnz .LBB1740_641
.LBB1740_656:                           ;   in Loop: Header=BB1740_566 Depth=2
	s_or_b64 exec, exec, s[62:63]
	s_and_saveexec_b64 s[62:63], s[44:45]
	s_cbranch_execz .LBB1740_642
.LBB1740_657:                           ;   in Loop: Header=BB1740_566 Depth=2
	ds_read_u16 v20, v50 offset:2560
	s_waitcnt lgkmcnt(0)
	v_cmp_ne_u16_e64 s[52:53], s68, v20
	v_cndmask_b32_e64 v20, v66, v20, s[52:53]
	v_lshrrev_b32_sdwa v20, s69, v20 dst_sel:DWORD dst_unused:UNUSED_PAD src0_sel:DWORD src1_sel:WORD_0
	v_and_b32_e32 v72, s78, v20
	s_or_b64 exec, exec, s[62:63]
	s_and_saveexec_b64 s[62:63], s[46:47]
	s_cbranch_execnz .LBB1740_643
.LBB1740_658:                           ;   in Loop: Header=BB1740_566 Depth=2
	s_or_b64 exec, exec, s[62:63]
	s_and_saveexec_b64 s[62:63], s[48:49]
	s_cbranch_execz .LBB1740_660
.LBB1740_659:                           ;   in Loop: Header=BB1740_566 Depth=2
	ds_read_u16 v20, v50 offset:3584
	s_waitcnt lgkmcnt(0)
	v_cmp_ne_u16_e64 s[52:53], s68, v20
	v_cndmask_b32_e64 v20, v66, v20, s[52:53]
	v_lshrrev_b32_sdwa v20, s69, v20 dst_sel:DWORD dst_unused:UNUSED_PAD src0_sel:DWORD src1_sel:WORD_0
	v_and_b32_e32 v70, s78, v20
.LBB1740_660:                           ;   in Loop: Header=BB1740_566 Depth=2
	s_or_b64 exec, exec, s[62:63]
	v_lshlrev_b32_e32 v20, 3, v103
	s_barrier
	s_waitcnt vmcnt(0)
	ds_write_b64 v20, v[18:19] offset:1024
	v_lshlrev_b32_e32 v20, 3, v100
	ds_write_b64 v20, v[16:17] offset:1024
	v_lshlrev_b32_e32 v20, 3, v99
	;; [unrolled: 2-line block ×7, first 2 shown]
	ds_write_b64 v20, v[0:1] offset:1024
	s_waitcnt lgkmcnt(0)
	s_barrier
	s_and_saveexec_b64 s[52:53], vcc
	s_cbranch_execz .LBB1740_668
; %bb.661:                              ;   in Loop: Header=BB1740_566 Depth=2
	v_lshlrev_b32_e32 v20, 2, v80
	ds_read_b32 v20, v20
	v_add_u32_e32 v22, v49, v51
	ds_read_b64 v[22:23], v22 offset:1024
	v_mov_b32_e32 v21, v4
	v_mov_b32_e32 v93, s67
	s_waitcnt lgkmcnt(1)
	v_add_u32_e32 v20, v20, v2
	v_lshlrev_b64 v[20:21], 3, v[20:21]
	v_add_co_u32_e32 v20, vcc, s66, v20
	v_addc_co_u32_e32 v21, vcc, v93, v21, vcc
	s_waitcnt lgkmcnt(0)
	global_store_dwordx2 v[20:21], v[22:23], off
	s_or_b64 exec, exec, s[52:53]
	v_add_u32_e32 v20, v50, v51
	s_and_saveexec_b64 s[52:53], s[36:37]
	s_cbranch_execnz .LBB1740_669
.LBB1740_662:                           ;   in Loop: Header=BB1740_566 Depth=2
	s_or_b64 exec, exec, s[52:53]
	s_and_saveexec_b64 s[36:37], s[38:39]
	s_cbranch_execz .LBB1740_670
.LBB1740_663:                           ;   in Loop: Header=BB1740_566 Depth=2
	v_lshlrev_b32_e32 v21, 2, v76
	ds_read_b32 v21, v21
	ds_read_b64 v[22:23], v20 offset:4096
	v_mov_b32_e32 v95, v4
	v_mov_b32_e32 v93, s67
	s_waitcnt lgkmcnt(1)
	v_add_u32_e32 v94, v21, v25
	v_lshlrev_b64 v[94:95], 3, v[94:95]
	v_add_co_u32_e32 v94, vcc, s66, v94
	v_addc_co_u32_e32 v95, vcc, v93, v95, vcc
	s_waitcnt lgkmcnt(0)
	global_store_dwordx2 v[94:95], v[22:23], off
	s_or_b64 exec, exec, s[36:37]
	s_and_saveexec_b64 s[36:37], s[40:41]
	s_cbranch_execnz .LBB1740_671
.LBB1740_664:                           ;   in Loop: Header=BB1740_566 Depth=2
	s_or_b64 exec, exec, s[36:37]
	s_and_saveexec_b64 s[36:37], s[42:43]
	s_cbranch_execz .LBB1740_672
.LBB1740_665:                           ;   in Loop: Header=BB1740_566 Depth=2
	v_lshlrev_b32_e32 v21, 2, v73
	ds_read_b32 v21, v21
	ds_read_b64 v[22:23], v20 offset:8192
	v_mov_b32_e32 v95, v4
	v_mov_b32_e32 v93, s67
	s_waitcnt lgkmcnt(1)
	v_add_u32_e32 v94, v21, v29
	v_lshlrev_b64 v[94:95], 3, v[94:95]
	v_add_co_u32_e32 v94, vcc, s66, v94
	v_addc_co_u32_e32 v95, vcc, v93, v95, vcc
	s_waitcnt lgkmcnt(0)
	global_store_dwordx2 v[94:95], v[22:23], off
	s_or_b64 exec, exec, s[36:37]
	s_and_saveexec_b64 s[36:37], s[44:45]
	s_cbranch_execnz .LBB1740_673
.LBB1740_666:                           ;   in Loop: Header=BB1740_566 Depth=2
	s_or_b64 exec, exec, s[36:37]
	s_and_saveexec_b64 s[36:37], s[46:47]
	s_cbranch_execz .LBB1740_674
.LBB1740_667:                           ;   in Loop: Header=BB1740_566 Depth=2
	v_lshlrev_b32_e32 v21, 2, v71
	ds_read_b32 v21, v21
	ds_read_b64 v[22:23], v20 offset:12288
	v_mov_b32_e32 v95, v4
	v_mov_b32_e32 v93, s67
	s_waitcnt lgkmcnt(1)
	v_add_u32_e32 v94, v21, v31
	v_lshlrev_b64 v[94:95], 3, v[94:95]
	v_add_co_u32_e32 v94, vcc, s66, v94
	v_addc_co_u32_e32 v95, vcc, v93, v95, vcc
	s_waitcnt lgkmcnt(0)
	global_store_dwordx2 v[94:95], v[22:23], off
	s_or_b64 exec, exec, s[36:37]
	s_and_saveexec_b64 s[36:37], s[48:49]
	s_cbranch_execnz .LBB1740_675
	s_branch .LBB1740_676
.LBB1740_668:                           ;   in Loop: Header=BB1740_566 Depth=2
	s_or_b64 exec, exec, s[52:53]
	v_add_u32_e32 v20, v50, v51
	s_and_saveexec_b64 s[52:53], s[36:37]
	s_cbranch_execz .LBB1740_662
.LBB1740_669:                           ;   in Loop: Header=BB1740_566 Depth=2
	v_lshlrev_b32_e32 v21, 2, v78
	ds_read_b32 v21, v21
	ds_read_b64 v[22:23], v20 offset:2048
	v_mov_b32_e32 v95, v4
	v_mov_b32_e32 v93, s67
	s_waitcnt lgkmcnt(1)
	v_add_u32_e32 v94, v21, v24
	v_lshlrev_b64 v[94:95], 3, v[94:95]
	v_add_co_u32_e32 v94, vcc, s66, v94
	v_addc_co_u32_e32 v95, vcc, v93, v95, vcc
	s_waitcnt lgkmcnt(0)
	global_store_dwordx2 v[94:95], v[22:23], off
	s_or_b64 exec, exec, s[52:53]
	s_and_saveexec_b64 s[36:37], s[38:39]
	s_cbranch_execnz .LBB1740_663
.LBB1740_670:                           ;   in Loop: Header=BB1740_566 Depth=2
	s_or_b64 exec, exec, s[36:37]
	s_and_saveexec_b64 s[36:37], s[40:41]
	s_cbranch_execz .LBB1740_664
.LBB1740_671:                           ;   in Loop: Header=BB1740_566 Depth=2
	v_lshlrev_b32_e32 v21, 2, v75
	ds_read_b32 v21, v21
	ds_read_b64 v[22:23], v20 offset:6144
	v_mov_b32_e32 v95, v4
	v_mov_b32_e32 v93, s67
	s_waitcnt lgkmcnt(1)
	v_add_u32_e32 v94, v21, v26
	v_lshlrev_b64 v[94:95], 3, v[94:95]
	v_add_co_u32_e32 v94, vcc, s66, v94
	v_addc_co_u32_e32 v95, vcc, v93, v95, vcc
	s_waitcnt lgkmcnt(0)
	global_store_dwordx2 v[94:95], v[22:23], off
	s_or_b64 exec, exec, s[36:37]
	s_and_saveexec_b64 s[36:37], s[42:43]
	s_cbranch_execnz .LBB1740_665
.LBB1740_672:                           ;   in Loop: Header=BB1740_566 Depth=2
	s_or_b64 exec, exec, s[36:37]
	s_and_saveexec_b64 s[36:37], s[44:45]
	s_cbranch_execz .LBB1740_666
.LBB1740_673:                           ;   in Loop: Header=BB1740_566 Depth=2
	v_lshlrev_b32_e32 v21, 2, v72
	ds_read_b32 v21, v21
	ds_read_b64 v[22:23], v20 offset:10240
	v_mov_b32_e32 v95, v4
	v_mov_b32_e32 v93, s67
	s_waitcnt lgkmcnt(1)
	v_add_u32_e32 v94, v21, v30
	v_lshlrev_b64 v[94:95], 3, v[94:95]
	v_add_co_u32_e32 v94, vcc, s66, v94
	v_addc_co_u32_e32 v95, vcc, v93, v95, vcc
	s_waitcnt lgkmcnt(0)
	global_store_dwordx2 v[94:95], v[22:23], off
	s_or_b64 exec, exec, s[36:37]
	s_and_saveexec_b64 s[36:37], s[46:47]
	s_cbranch_execnz .LBB1740_667
.LBB1740_674:                           ;   in Loop: Header=BB1740_566 Depth=2
	s_or_b64 exec, exec, s[36:37]
	s_and_saveexec_b64 s[36:37], s[48:49]
	s_cbranch_execz .LBB1740_676
.LBB1740_675:                           ;   in Loop: Header=BB1740_566 Depth=2
	v_lshlrev_b32_e32 v21, 2, v70
	ds_read_b32 v22, v21
	ds_read_b64 v[20:21], v20 offset:14336
	v_mov_b32_e32 v23, v4
	v_mov_b32_e32 v93, s67
	s_waitcnt lgkmcnt(1)
	v_add_u32_e32 v22, v22, v32
	v_lshlrev_b64 v[22:23], 3, v[22:23]
	v_add_co_u32_e32 v22, vcc, s66, v22
	v_addc_co_u32_e32 v23, vcc, v93, v23, vcc
	s_waitcnt lgkmcnt(0)
	global_store_dwordx2 v[22:23], v[20:21], off
.LBB1740_676:                           ;   in Loop: Header=BB1740_566 Depth=2
	s_or_b64 exec, exec, s[36:37]
	s_barrier
	s_and_saveexec_b64 s[36:37], s[4:5]
	s_cbranch_execz .LBB1740_565
; %bb.677:                              ;   in Loop: Header=BB1740_566 Depth=2
	ds_read_b32 v20, v3
	s_waitcnt lgkmcnt(0)
	v_add_u32_e32 v5, v20, v5
	ds_write_b32 v3, v5
	s_branch .LBB1740_565
.LBB1740_678:
	s_endpgm
	.section	.rodata,"a",@progbits
	.p2align	6, 0x0
	.amdhsa_kernel _ZN7rocprim17ROCPRIM_400000_NS6detail17trampoline_kernelINS0_14default_configENS1_36segmented_radix_sort_config_selectorI6__halflEEZNS1_25segmented_radix_sort_implIS3_Lb1EPKS5_PS5_PKlPlN2at6native12_GLOBAL__N_18offset_tEEE10hipError_tPvRmT1_PNSt15iterator_traitsISL_E10value_typeET2_T3_PNSM_ISR_E10value_typeET4_jRbjT5_SX_jjP12ihipStream_tbEUlT_E_NS1_11comp_targetILNS1_3genE4ELNS1_11target_archE910ELNS1_3gpuE8ELNS1_3repE0EEENS1_30default_config_static_selectorELNS0_4arch9wavefront6targetE1EEEvSL_
		.amdhsa_group_segment_fixed_size 17424
		.amdhsa_private_segment_fixed_size 8
		.amdhsa_kernarg_size 352
		.amdhsa_user_sgpr_count 8
		.amdhsa_user_sgpr_private_segment_buffer 1
		.amdhsa_user_sgpr_dispatch_ptr 0
		.amdhsa_user_sgpr_queue_ptr 0
		.amdhsa_user_sgpr_kernarg_segment_ptr 1
		.amdhsa_user_sgpr_dispatch_id 0
		.amdhsa_user_sgpr_flat_scratch_init 1
		.amdhsa_user_sgpr_kernarg_preload_length 0
		.amdhsa_user_sgpr_kernarg_preload_offset 0
		.amdhsa_user_sgpr_private_segment_size 0
		.amdhsa_uses_dynamic_stack 0
		.amdhsa_system_sgpr_private_segment_wavefront_offset 1
		.amdhsa_system_sgpr_workgroup_id_x 1
		.amdhsa_system_sgpr_workgroup_id_y 1
		.amdhsa_system_sgpr_workgroup_id_z 0
		.amdhsa_system_sgpr_workgroup_info 0
		.amdhsa_system_vgpr_workitem_id 2
		.amdhsa_next_free_vgpr 178
		.amdhsa_next_free_sgpr 81
		.amdhsa_accum_offset 180
		.amdhsa_reserve_vcc 1
		.amdhsa_reserve_flat_scratch 1
		.amdhsa_float_round_mode_32 0
		.amdhsa_float_round_mode_16_64 0
		.amdhsa_float_denorm_mode_32 3
		.amdhsa_float_denorm_mode_16_64 3
		.amdhsa_dx10_clamp 1
		.amdhsa_ieee_mode 1
		.amdhsa_fp16_overflow 0
		.amdhsa_tg_split 0
		.amdhsa_exception_fp_ieee_invalid_op 0
		.amdhsa_exception_fp_denorm_src 0
		.amdhsa_exception_fp_ieee_div_zero 0
		.amdhsa_exception_fp_ieee_overflow 0
		.amdhsa_exception_fp_ieee_underflow 0
		.amdhsa_exception_fp_ieee_inexact 0
		.amdhsa_exception_int_div_zero 0
	.end_amdhsa_kernel
	.section	.text._ZN7rocprim17ROCPRIM_400000_NS6detail17trampoline_kernelINS0_14default_configENS1_36segmented_radix_sort_config_selectorI6__halflEEZNS1_25segmented_radix_sort_implIS3_Lb1EPKS5_PS5_PKlPlN2at6native12_GLOBAL__N_18offset_tEEE10hipError_tPvRmT1_PNSt15iterator_traitsISL_E10value_typeET2_T3_PNSM_ISR_E10value_typeET4_jRbjT5_SX_jjP12ihipStream_tbEUlT_E_NS1_11comp_targetILNS1_3genE4ELNS1_11target_archE910ELNS1_3gpuE8ELNS1_3repE0EEENS1_30default_config_static_selectorELNS0_4arch9wavefront6targetE1EEEvSL_,"axG",@progbits,_ZN7rocprim17ROCPRIM_400000_NS6detail17trampoline_kernelINS0_14default_configENS1_36segmented_radix_sort_config_selectorI6__halflEEZNS1_25segmented_radix_sort_implIS3_Lb1EPKS5_PS5_PKlPlN2at6native12_GLOBAL__N_18offset_tEEE10hipError_tPvRmT1_PNSt15iterator_traitsISL_E10value_typeET2_T3_PNSM_ISR_E10value_typeET4_jRbjT5_SX_jjP12ihipStream_tbEUlT_E_NS1_11comp_targetILNS1_3genE4ELNS1_11target_archE910ELNS1_3gpuE8ELNS1_3repE0EEENS1_30default_config_static_selectorELNS0_4arch9wavefront6targetE1EEEvSL_,comdat
.Lfunc_end1740:
	.size	_ZN7rocprim17ROCPRIM_400000_NS6detail17trampoline_kernelINS0_14default_configENS1_36segmented_radix_sort_config_selectorI6__halflEEZNS1_25segmented_radix_sort_implIS3_Lb1EPKS5_PS5_PKlPlN2at6native12_GLOBAL__N_18offset_tEEE10hipError_tPvRmT1_PNSt15iterator_traitsISL_E10value_typeET2_T3_PNSM_ISR_E10value_typeET4_jRbjT5_SX_jjP12ihipStream_tbEUlT_E_NS1_11comp_targetILNS1_3genE4ELNS1_11target_archE910ELNS1_3gpuE8ELNS1_3repE0EEENS1_30default_config_static_selectorELNS0_4arch9wavefront6targetE1EEEvSL_, .Lfunc_end1740-_ZN7rocprim17ROCPRIM_400000_NS6detail17trampoline_kernelINS0_14default_configENS1_36segmented_radix_sort_config_selectorI6__halflEEZNS1_25segmented_radix_sort_implIS3_Lb1EPKS5_PS5_PKlPlN2at6native12_GLOBAL__N_18offset_tEEE10hipError_tPvRmT1_PNSt15iterator_traitsISL_E10value_typeET2_T3_PNSM_ISR_E10value_typeET4_jRbjT5_SX_jjP12ihipStream_tbEUlT_E_NS1_11comp_targetILNS1_3genE4ELNS1_11target_archE910ELNS1_3gpuE8ELNS1_3repE0EEENS1_30default_config_static_selectorELNS0_4arch9wavefront6targetE1EEEvSL_
                                        ; -- End function
	.section	.AMDGPU.csdata,"",@progbits
; Kernel info:
; codeLenInByte = 38640
; NumSgprs: 87
; NumVgprs: 178
; NumAgprs: 0
; TotalNumVgprs: 178
; ScratchSize: 8
; MemoryBound: 0
; FloatMode: 240
; IeeeMode: 1
; LDSByteSize: 17424 bytes/workgroup (compile time only)
; SGPRBlocks: 10
; VGPRBlocks: 22
; NumSGPRsForWavesPerEU: 87
; NumVGPRsForWavesPerEU: 178
; AccumOffset: 180
; Occupancy: 2
; WaveLimiterHint : 1
; COMPUTE_PGM_RSRC2:SCRATCH_EN: 1
; COMPUTE_PGM_RSRC2:USER_SGPR: 8
; COMPUTE_PGM_RSRC2:TRAP_HANDLER: 0
; COMPUTE_PGM_RSRC2:TGID_X_EN: 1
; COMPUTE_PGM_RSRC2:TGID_Y_EN: 1
; COMPUTE_PGM_RSRC2:TGID_Z_EN: 0
; COMPUTE_PGM_RSRC2:TIDIG_COMP_CNT: 2
; COMPUTE_PGM_RSRC3_GFX90A:ACCUM_OFFSET: 44
; COMPUTE_PGM_RSRC3_GFX90A:TG_SPLIT: 0
	.section	.text._ZN7rocprim17ROCPRIM_400000_NS6detail17trampoline_kernelINS0_14default_configENS1_36segmented_radix_sort_config_selectorI6__halflEEZNS1_25segmented_radix_sort_implIS3_Lb1EPKS5_PS5_PKlPlN2at6native12_GLOBAL__N_18offset_tEEE10hipError_tPvRmT1_PNSt15iterator_traitsISL_E10value_typeET2_T3_PNSM_ISR_E10value_typeET4_jRbjT5_SX_jjP12ihipStream_tbEUlT_E_NS1_11comp_targetILNS1_3genE3ELNS1_11target_archE908ELNS1_3gpuE7ELNS1_3repE0EEENS1_30default_config_static_selectorELNS0_4arch9wavefront6targetE1EEEvSL_,"axG",@progbits,_ZN7rocprim17ROCPRIM_400000_NS6detail17trampoline_kernelINS0_14default_configENS1_36segmented_radix_sort_config_selectorI6__halflEEZNS1_25segmented_radix_sort_implIS3_Lb1EPKS5_PS5_PKlPlN2at6native12_GLOBAL__N_18offset_tEEE10hipError_tPvRmT1_PNSt15iterator_traitsISL_E10value_typeET2_T3_PNSM_ISR_E10value_typeET4_jRbjT5_SX_jjP12ihipStream_tbEUlT_E_NS1_11comp_targetILNS1_3genE3ELNS1_11target_archE908ELNS1_3gpuE7ELNS1_3repE0EEENS1_30default_config_static_selectorELNS0_4arch9wavefront6targetE1EEEvSL_,comdat
	.globl	_ZN7rocprim17ROCPRIM_400000_NS6detail17trampoline_kernelINS0_14default_configENS1_36segmented_radix_sort_config_selectorI6__halflEEZNS1_25segmented_radix_sort_implIS3_Lb1EPKS5_PS5_PKlPlN2at6native12_GLOBAL__N_18offset_tEEE10hipError_tPvRmT1_PNSt15iterator_traitsISL_E10value_typeET2_T3_PNSM_ISR_E10value_typeET4_jRbjT5_SX_jjP12ihipStream_tbEUlT_E_NS1_11comp_targetILNS1_3genE3ELNS1_11target_archE908ELNS1_3gpuE7ELNS1_3repE0EEENS1_30default_config_static_selectorELNS0_4arch9wavefront6targetE1EEEvSL_ ; -- Begin function _ZN7rocprim17ROCPRIM_400000_NS6detail17trampoline_kernelINS0_14default_configENS1_36segmented_radix_sort_config_selectorI6__halflEEZNS1_25segmented_radix_sort_implIS3_Lb1EPKS5_PS5_PKlPlN2at6native12_GLOBAL__N_18offset_tEEE10hipError_tPvRmT1_PNSt15iterator_traitsISL_E10value_typeET2_T3_PNSM_ISR_E10value_typeET4_jRbjT5_SX_jjP12ihipStream_tbEUlT_E_NS1_11comp_targetILNS1_3genE3ELNS1_11target_archE908ELNS1_3gpuE7ELNS1_3repE0EEENS1_30default_config_static_selectorELNS0_4arch9wavefront6targetE1EEEvSL_
	.p2align	8
	.type	_ZN7rocprim17ROCPRIM_400000_NS6detail17trampoline_kernelINS0_14default_configENS1_36segmented_radix_sort_config_selectorI6__halflEEZNS1_25segmented_radix_sort_implIS3_Lb1EPKS5_PS5_PKlPlN2at6native12_GLOBAL__N_18offset_tEEE10hipError_tPvRmT1_PNSt15iterator_traitsISL_E10value_typeET2_T3_PNSM_ISR_E10value_typeET4_jRbjT5_SX_jjP12ihipStream_tbEUlT_E_NS1_11comp_targetILNS1_3genE3ELNS1_11target_archE908ELNS1_3gpuE7ELNS1_3repE0EEENS1_30default_config_static_selectorELNS0_4arch9wavefront6targetE1EEEvSL_,@function
_ZN7rocprim17ROCPRIM_400000_NS6detail17trampoline_kernelINS0_14default_configENS1_36segmented_radix_sort_config_selectorI6__halflEEZNS1_25segmented_radix_sort_implIS3_Lb1EPKS5_PS5_PKlPlN2at6native12_GLOBAL__N_18offset_tEEE10hipError_tPvRmT1_PNSt15iterator_traitsISL_E10value_typeET2_T3_PNSM_ISR_E10value_typeET4_jRbjT5_SX_jjP12ihipStream_tbEUlT_E_NS1_11comp_targetILNS1_3genE3ELNS1_11target_archE908ELNS1_3gpuE7ELNS1_3repE0EEENS1_30default_config_static_selectorELNS0_4arch9wavefront6targetE1EEEvSL_: ; @_ZN7rocprim17ROCPRIM_400000_NS6detail17trampoline_kernelINS0_14default_configENS1_36segmented_radix_sort_config_selectorI6__halflEEZNS1_25segmented_radix_sort_implIS3_Lb1EPKS5_PS5_PKlPlN2at6native12_GLOBAL__N_18offset_tEEE10hipError_tPvRmT1_PNSt15iterator_traitsISL_E10value_typeET2_T3_PNSM_ISR_E10value_typeET4_jRbjT5_SX_jjP12ihipStream_tbEUlT_E_NS1_11comp_targetILNS1_3genE3ELNS1_11target_archE908ELNS1_3gpuE7ELNS1_3repE0EEENS1_30default_config_static_selectorELNS0_4arch9wavefront6targetE1EEEvSL_
; %bb.0:
	.section	.rodata,"a",@progbits
	.p2align	6, 0x0
	.amdhsa_kernel _ZN7rocprim17ROCPRIM_400000_NS6detail17trampoline_kernelINS0_14default_configENS1_36segmented_radix_sort_config_selectorI6__halflEEZNS1_25segmented_radix_sort_implIS3_Lb1EPKS5_PS5_PKlPlN2at6native12_GLOBAL__N_18offset_tEEE10hipError_tPvRmT1_PNSt15iterator_traitsISL_E10value_typeET2_T3_PNSM_ISR_E10value_typeET4_jRbjT5_SX_jjP12ihipStream_tbEUlT_E_NS1_11comp_targetILNS1_3genE3ELNS1_11target_archE908ELNS1_3gpuE7ELNS1_3repE0EEENS1_30default_config_static_selectorELNS0_4arch9wavefront6targetE1EEEvSL_
		.amdhsa_group_segment_fixed_size 0
		.amdhsa_private_segment_fixed_size 0
		.amdhsa_kernarg_size 96
		.amdhsa_user_sgpr_count 6
		.amdhsa_user_sgpr_private_segment_buffer 1
		.amdhsa_user_sgpr_dispatch_ptr 0
		.amdhsa_user_sgpr_queue_ptr 0
		.amdhsa_user_sgpr_kernarg_segment_ptr 1
		.amdhsa_user_sgpr_dispatch_id 0
		.amdhsa_user_sgpr_flat_scratch_init 0
		.amdhsa_user_sgpr_kernarg_preload_length 0
		.amdhsa_user_sgpr_kernarg_preload_offset 0
		.amdhsa_user_sgpr_private_segment_size 0
		.amdhsa_uses_dynamic_stack 0
		.amdhsa_system_sgpr_private_segment_wavefront_offset 0
		.amdhsa_system_sgpr_workgroup_id_x 1
		.amdhsa_system_sgpr_workgroup_id_y 0
		.amdhsa_system_sgpr_workgroup_id_z 0
		.amdhsa_system_sgpr_workgroup_info 0
		.amdhsa_system_vgpr_workitem_id 0
		.amdhsa_next_free_vgpr 1
		.amdhsa_next_free_sgpr 0
		.amdhsa_accum_offset 4
		.amdhsa_reserve_vcc 0
		.amdhsa_reserve_flat_scratch 0
		.amdhsa_float_round_mode_32 0
		.amdhsa_float_round_mode_16_64 0
		.amdhsa_float_denorm_mode_32 3
		.amdhsa_float_denorm_mode_16_64 3
		.amdhsa_dx10_clamp 1
		.amdhsa_ieee_mode 1
		.amdhsa_fp16_overflow 0
		.amdhsa_tg_split 0
		.amdhsa_exception_fp_ieee_invalid_op 0
		.amdhsa_exception_fp_denorm_src 0
		.amdhsa_exception_fp_ieee_div_zero 0
		.amdhsa_exception_fp_ieee_overflow 0
		.amdhsa_exception_fp_ieee_underflow 0
		.amdhsa_exception_fp_ieee_inexact 0
		.amdhsa_exception_int_div_zero 0
	.end_amdhsa_kernel
	.section	.text._ZN7rocprim17ROCPRIM_400000_NS6detail17trampoline_kernelINS0_14default_configENS1_36segmented_radix_sort_config_selectorI6__halflEEZNS1_25segmented_radix_sort_implIS3_Lb1EPKS5_PS5_PKlPlN2at6native12_GLOBAL__N_18offset_tEEE10hipError_tPvRmT1_PNSt15iterator_traitsISL_E10value_typeET2_T3_PNSM_ISR_E10value_typeET4_jRbjT5_SX_jjP12ihipStream_tbEUlT_E_NS1_11comp_targetILNS1_3genE3ELNS1_11target_archE908ELNS1_3gpuE7ELNS1_3repE0EEENS1_30default_config_static_selectorELNS0_4arch9wavefront6targetE1EEEvSL_,"axG",@progbits,_ZN7rocprim17ROCPRIM_400000_NS6detail17trampoline_kernelINS0_14default_configENS1_36segmented_radix_sort_config_selectorI6__halflEEZNS1_25segmented_radix_sort_implIS3_Lb1EPKS5_PS5_PKlPlN2at6native12_GLOBAL__N_18offset_tEEE10hipError_tPvRmT1_PNSt15iterator_traitsISL_E10value_typeET2_T3_PNSM_ISR_E10value_typeET4_jRbjT5_SX_jjP12ihipStream_tbEUlT_E_NS1_11comp_targetILNS1_3genE3ELNS1_11target_archE908ELNS1_3gpuE7ELNS1_3repE0EEENS1_30default_config_static_selectorELNS0_4arch9wavefront6targetE1EEEvSL_,comdat
.Lfunc_end1741:
	.size	_ZN7rocprim17ROCPRIM_400000_NS6detail17trampoline_kernelINS0_14default_configENS1_36segmented_radix_sort_config_selectorI6__halflEEZNS1_25segmented_radix_sort_implIS3_Lb1EPKS5_PS5_PKlPlN2at6native12_GLOBAL__N_18offset_tEEE10hipError_tPvRmT1_PNSt15iterator_traitsISL_E10value_typeET2_T3_PNSM_ISR_E10value_typeET4_jRbjT5_SX_jjP12ihipStream_tbEUlT_E_NS1_11comp_targetILNS1_3genE3ELNS1_11target_archE908ELNS1_3gpuE7ELNS1_3repE0EEENS1_30default_config_static_selectorELNS0_4arch9wavefront6targetE1EEEvSL_, .Lfunc_end1741-_ZN7rocprim17ROCPRIM_400000_NS6detail17trampoline_kernelINS0_14default_configENS1_36segmented_radix_sort_config_selectorI6__halflEEZNS1_25segmented_radix_sort_implIS3_Lb1EPKS5_PS5_PKlPlN2at6native12_GLOBAL__N_18offset_tEEE10hipError_tPvRmT1_PNSt15iterator_traitsISL_E10value_typeET2_T3_PNSM_ISR_E10value_typeET4_jRbjT5_SX_jjP12ihipStream_tbEUlT_E_NS1_11comp_targetILNS1_3genE3ELNS1_11target_archE908ELNS1_3gpuE7ELNS1_3repE0EEENS1_30default_config_static_selectorELNS0_4arch9wavefront6targetE1EEEvSL_
                                        ; -- End function
	.section	.AMDGPU.csdata,"",@progbits
; Kernel info:
; codeLenInByte = 0
; NumSgprs: 4
; NumVgprs: 0
; NumAgprs: 0
; TotalNumVgprs: 0
; ScratchSize: 0
; MemoryBound: 0
; FloatMode: 240
; IeeeMode: 1
; LDSByteSize: 0 bytes/workgroup (compile time only)
; SGPRBlocks: 0
; VGPRBlocks: 0
; NumSGPRsForWavesPerEU: 4
; NumVGPRsForWavesPerEU: 1
; AccumOffset: 4
; Occupancy: 8
; WaveLimiterHint : 0
; COMPUTE_PGM_RSRC2:SCRATCH_EN: 0
; COMPUTE_PGM_RSRC2:USER_SGPR: 6
; COMPUTE_PGM_RSRC2:TRAP_HANDLER: 0
; COMPUTE_PGM_RSRC2:TGID_X_EN: 1
; COMPUTE_PGM_RSRC2:TGID_Y_EN: 0
; COMPUTE_PGM_RSRC2:TGID_Z_EN: 0
; COMPUTE_PGM_RSRC2:TIDIG_COMP_CNT: 0
; COMPUTE_PGM_RSRC3_GFX90A:ACCUM_OFFSET: 0
; COMPUTE_PGM_RSRC3_GFX90A:TG_SPLIT: 0
	.section	.text._ZN7rocprim17ROCPRIM_400000_NS6detail17trampoline_kernelINS0_14default_configENS1_36segmented_radix_sort_config_selectorI6__halflEEZNS1_25segmented_radix_sort_implIS3_Lb1EPKS5_PS5_PKlPlN2at6native12_GLOBAL__N_18offset_tEEE10hipError_tPvRmT1_PNSt15iterator_traitsISL_E10value_typeET2_T3_PNSM_ISR_E10value_typeET4_jRbjT5_SX_jjP12ihipStream_tbEUlT_E_NS1_11comp_targetILNS1_3genE2ELNS1_11target_archE906ELNS1_3gpuE6ELNS1_3repE0EEENS1_30default_config_static_selectorELNS0_4arch9wavefront6targetE1EEEvSL_,"axG",@progbits,_ZN7rocprim17ROCPRIM_400000_NS6detail17trampoline_kernelINS0_14default_configENS1_36segmented_radix_sort_config_selectorI6__halflEEZNS1_25segmented_radix_sort_implIS3_Lb1EPKS5_PS5_PKlPlN2at6native12_GLOBAL__N_18offset_tEEE10hipError_tPvRmT1_PNSt15iterator_traitsISL_E10value_typeET2_T3_PNSM_ISR_E10value_typeET4_jRbjT5_SX_jjP12ihipStream_tbEUlT_E_NS1_11comp_targetILNS1_3genE2ELNS1_11target_archE906ELNS1_3gpuE6ELNS1_3repE0EEENS1_30default_config_static_selectorELNS0_4arch9wavefront6targetE1EEEvSL_,comdat
	.globl	_ZN7rocprim17ROCPRIM_400000_NS6detail17trampoline_kernelINS0_14default_configENS1_36segmented_radix_sort_config_selectorI6__halflEEZNS1_25segmented_radix_sort_implIS3_Lb1EPKS5_PS5_PKlPlN2at6native12_GLOBAL__N_18offset_tEEE10hipError_tPvRmT1_PNSt15iterator_traitsISL_E10value_typeET2_T3_PNSM_ISR_E10value_typeET4_jRbjT5_SX_jjP12ihipStream_tbEUlT_E_NS1_11comp_targetILNS1_3genE2ELNS1_11target_archE906ELNS1_3gpuE6ELNS1_3repE0EEENS1_30default_config_static_selectorELNS0_4arch9wavefront6targetE1EEEvSL_ ; -- Begin function _ZN7rocprim17ROCPRIM_400000_NS6detail17trampoline_kernelINS0_14default_configENS1_36segmented_radix_sort_config_selectorI6__halflEEZNS1_25segmented_radix_sort_implIS3_Lb1EPKS5_PS5_PKlPlN2at6native12_GLOBAL__N_18offset_tEEE10hipError_tPvRmT1_PNSt15iterator_traitsISL_E10value_typeET2_T3_PNSM_ISR_E10value_typeET4_jRbjT5_SX_jjP12ihipStream_tbEUlT_E_NS1_11comp_targetILNS1_3genE2ELNS1_11target_archE906ELNS1_3gpuE6ELNS1_3repE0EEENS1_30default_config_static_selectorELNS0_4arch9wavefront6targetE1EEEvSL_
	.p2align	8
	.type	_ZN7rocprim17ROCPRIM_400000_NS6detail17trampoline_kernelINS0_14default_configENS1_36segmented_radix_sort_config_selectorI6__halflEEZNS1_25segmented_radix_sort_implIS3_Lb1EPKS5_PS5_PKlPlN2at6native12_GLOBAL__N_18offset_tEEE10hipError_tPvRmT1_PNSt15iterator_traitsISL_E10value_typeET2_T3_PNSM_ISR_E10value_typeET4_jRbjT5_SX_jjP12ihipStream_tbEUlT_E_NS1_11comp_targetILNS1_3genE2ELNS1_11target_archE906ELNS1_3gpuE6ELNS1_3repE0EEENS1_30default_config_static_selectorELNS0_4arch9wavefront6targetE1EEEvSL_,@function
_ZN7rocprim17ROCPRIM_400000_NS6detail17trampoline_kernelINS0_14default_configENS1_36segmented_radix_sort_config_selectorI6__halflEEZNS1_25segmented_radix_sort_implIS3_Lb1EPKS5_PS5_PKlPlN2at6native12_GLOBAL__N_18offset_tEEE10hipError_tPvRmT1_PNSt15iterator_traitsISL_E10value_typeET2_T3_PNSM_ISR_E10value_typeET4_jRbjT5_SX_jjP12ihipStream_tbEUlT_E_NS1_11comp_targetILNS1_3genE2ELNS1_11target_archE906ELNS1_3gpuE6ELNS1_3repE0EEENS1_30default_config_static_selectorELNS0_4arch9wavefront6targetE1EEEvSL_: ; @_ZN7rocprim17ROCPRIM_400000_NS6detail17trampoline_kernelINS0_14default_configENS1_36segmented_radix_sort_config_selectorI6__halflEEZNS1_25segmented_radix_sort_implIS3_Lb1EPKS5_PS5_PKlPlN2at6native12_GLOBAL__N_18offset_tEEE10hipError_tPvRmT1_PNSt15iterator_traitsISL_E10value_typeET2_T3_PNSM_ISR_E10value_typeET4_jRbjT5_SX_jjP12ihipStream_tbEUlT_E_NS1_11comp_targetILNS1_3genE2ELNS1_11target_archE906ELNS1_3gpuE6ELNS1_3repE0EEENS1_30default_config_static_selectorELNS0_4arch9wavefront6targetE1EEEvSL_
; %bb.0:
	.section	.rodata,"a",@progbits
	.p2align	6, 0x0
	.amdhsa_kernel _ZN7rocprim17ROCPRIM_400000_NS6detail17trampoline_kernelINS0_14default_configENS1_36segmented_radix_sort_config_selectorI6__halflEEZNS1_25segmented_radix_sort_implIS3_Lb1EPKS5_PS5_PKlPlN2at6native12_GLOBAL__N_18offset_tEEE10hipError_tPvRmT1_PNSt15iterator_traitsISL_E10value_typeET2_T3_PNSM_ISR_E10value_typeET4_jRbjT5_SX_jjP12ihipStream_tbEUlT_E_NS1_11comp_targetILNS1_3genE2ELNS1_11target_archE906ELNS1_3gpuE6ELNS1_3repE0EEENS1_30default_config_static_selectorELNS0_4arch9wavefront6targetE1EEEvSL_
		.amdhsa_group_segment_fixed_size 0
		.amdhsa_private_segment_fixed_size 0
		.amdhsa_kernarg_size 96
		.amdhsa_user_sgpr_count 6
		.amdhsa_user_sgpr_private_segment_buffer 1
		.amdhsa_user_sgpr_dispatch_ptr 0
		.amdhsa_user_sgpr_queue_ptr 0
		.amdhsa_user_sgpr_kernarg_segment_ptr 1
		.amdhsa_user_sgpr_dispatch_id 0
		.amdhsa_user_sgpr_flat_scratch_init 0
		.amdhsa_user_sgpr_kernarg_preload_length 0
		.amdhsa_user_sgpr_kernarg_preload_offset 0
		.amdhsa_user_sgpr_private_segment_size 0
		.amdhsa_uses_dynamic_stack 0
		.amdhsa_system_sgpr_private_segment_wavefront_offset 0
		.amdhsa_system_sgpr_workgroup_id_x 1
		.amdhsa_system_sgpr_workgroup_id_y 0
		.amdhsa_system_sgpr_workgroup_id_z 0
		.amdhsa_system_sgpr_workgroup_info 0
		.amdhsa_system_vgpr_workitem_id 0
		.amdhsa_next_free_vgpr 1
		.amdhsa_next_free_sgpr 0
		.amdhsa_accum_offset 4
		.amdhsa_reserve_vcc 0
		.amdhsa_reserve_flat_scratch 0
		.amdhsa_float_round_mode_32 0
		.amdhsa_float_round_mode_16_64 0
		.amdhsa_float_denorm_mode_32 3
		.amdhsa_float_denorm_mode_16_64 3
		.amdhsa_dx10_clamp 1
		.amdhsa_ieee_mode 1
		.amdhsa_fp16_overflow 0
		.amdhsa_tg_split 0
		.amdhsa_exception_fp_ieee_invalid_op 0
		.amdhsa_exception_fp_denorm_src 0
		.amdhsa_exception_fp_ieee_div_zero 0
		.amdhsa_exception_fp_ieee_overflow 0
		.amdhsa_exception_fp_ieee_underflow 0
		.amdhsa_exception_fp_ieee_inexact 0
		.amdhsa_exception_int_div_zero 0
	.end_amdhsa_kernel
	.section	.text._ZN7rocprim17ROCPRIM_400000_NS6detail17trampoline_kernelINS0_14default_configENS1_36segmented_radix_sort_config_selectorI6__halflEEZNS1_25segmented_radix_sort_implIS3_Lb1EPKS5_PS5_PKlPlN2at6native12_GLOBAL__N_18offset_tEEE10hipError_tPvRmT1_PNSt15iterator_traitsISL_E10value_typeET2_T3_PNSM_ISR_E10value_typeET4_jRbjT5_SX_jjP12ihipStream_tbEUlT_E_NS1_11comp_targetILNS1_3genE2ELNS1_11target_archE906ELNS1_3gpuE6ELNS1_3repE0EEENS1_30default_config_static_selectorELNS0_4arch9wavefront6targetE1EEEvSL_,"axG",@progbits,_ZN7rocprim17ROCPRIM_400000_NS6detail17trampoline_kernelINS0_14default_configENS1_36segmented_radix_sort_config_selectorI6__halflEEZNS1_25segmented_radix_sort_implIS3_Lb1EPKS5_PS5_PKlPlN2at6native12_GLOBAL__N_18offset_tEEE10hipError_tPvRmT1_PNSt15iterator_traitsISL_E10value_typeET2_T3_PNSM_ISR_E10value_typeET4_jRbjT5_SX_jjP12ihipStream_tbEUlT_E_NS1_11comp_targetILNS1_3genE2ELNS1_11target_archE906ELNS1_3gpuE6ELNS1_3repE0EEENS1_30default_config_static_selectorELNS0_4arch9wavefront6targetE1EEEvSL_,comdat
.Lfunc_end1742:
	.size	_ZN7rocprim17ROCPRIM_400000_NS6detail17trampoline_kernelINS0_14default_configENS1_36segmented_radix_sort_config_selectorI6__halflEEZNS1_25segmented_radix_sort_implIS3_Lb1EPKS5_PS5_PKlPlN2at6native12_GLOBAL__N_18offset_tEEE10hipError_tPvRmT1_PNSt15iterator_traitsISL_E10value_typeET2_T3_PNSM_ISR_E10value_typeET4_jRbjT5_SX_jjP12ihipStream_tbEUlT_E_NS1_11comp_targetILNS1_3genE2ELNS1_11target_archE906ELNS1_3gpuE6ELNS1_3repE0EEENS1_30default_config_static_selectorELNS0_4arch9wavefront6targetE1EEEvSL_, .Lfunc_end1742-_ZN7rocprim17ROCPRIM_400000_NS6detail17trampoline_kernelINS0_14default_configENS1_36segmented_radix_sort_config_selectorI6__halflEEZNS1_25segmented_radix_sort_implIS3_Lb1EPKS5_PS5_PKlPlN2at6native12_GLOBAL__N_18offset_tEEE10hipError_tPvRmT1_PNSt15iterator_traitsISL_E10value_typeET2_T3_PNSM_ISR_E10value_typeET4_jRbjT5_SX_jjP12ihipStream_tbEUlT_E_NS1_11comp_targetILNS1_3genE2ELNS1_11target_archE906ELNS1_3gpuE6ELNS1_3repE0EEENS1_30default_config_static_selectorELNS0_4arch9wavefront6targetE1EEEvSL_
                                        ; -- End function
	.section	.AMDGPU.csdata,"",@progbits
; Kernel info:
; codeLenInByte = 0
; NumSgprs: 4
; NumVgprs: 0
; NumAgprs: 0
; TotalNumVgprs: 0
; ScratchSize: 0
; MemoryBound: 0
; FloatMode: 240
; IeeeMode: 1
; LDSByteSize: 0 bytes/workgroup (compile time only)
; SGPRBlocks: 0
; VGPRBlocks: 0
; NumSGPRsForWavesPerEU: 4
; NumVGPRsForWavesPerEU: 1
; AccumOffset: 4
; Occupancy: 8
; WaveLimiterHint : 0
; COMPUTE_PGM_RSRC2:SCRATCH_EN: 0
; COMPUTE_PGM_RSRC2:USER_SGPR: 6
; COMPUTE_PGM_RSRC2:TRAP_HANDLER: 0
; COMPUTE_PGM_RSRC2:TGID_X_EN: 1
; COMPUTE_PGM_RSRC2:TGID_Y_EN: 0
; COMPUTE_PGM_RSRC2:TGID_Z_EN: 0
; COMPUTE_PGM_RSRC2:TIDIG_COMP_CNT: 0
; COMPUTE_PGM_RSRC3_GFX90A:ACCUM_OFFSET: 0
; COMPUTE_PGM_RSRC3_GFX90A:TG_SPLIT: 0
	.section	.text._ZN7rocprim17ROCPRIM_400000_NS6detail17trampoline_kernelINS0_14default_configENS1_36segmented_radix_sort_config_selectorI6__halflEEZNS1_25segmented_radix_sort_implIS3_Lb1EPKS5_PS5_PKlPlN2at6native12_GLOBAL__N_18offset_tEEE10hipError_tPvRmT1_PNSt15iterator_traitsISL_E10value_typeET2_T3_PNSM_ISR_E10value_typeET4_jRbjT5_SX_jjP12ihipStream_tbEUlT_E_NS1_11comp_targetILNS1_3genE10ELNS1_11target_archE1201ELNS1_3gpuE5ELNS1_3repE0EEENS1_30default_config_static_selectorELNS0_4arch9wavefront6targetE1EEEvSL_,"axG",@progbits,_ZN7rocprim17ROCPRIM_400000_NS6detail17trampoline_kernelINS0_14default_configENS1_36segmented_radix_sort_config_selectorI6__halflEEZNS1_25segmented_radix_sort_implIS3_Lb1EPKS5_PS5_PKlPlN2at6native12_GLOBAL__N_18offset_tEEE10hipError_tPvRmT1_PNSt15iterator_traitsISL_E10value_typeET2_T3_PNSM_ISR_E10value_typeET4_jRbjT5_SX_jjP12ihipStream_tbEUlT_E_NS1_11comp_targetILNS1_3genE10ELNS1_11target_archE1201ELNS1_3gpuE5ELNS1_3repE0EEENS1_30default_config_static_selectorELNS0_4arch9wavefront6targetE1EEEvSL_,comdat
	.globl	_ZN7rocprim17ROCPRIM_400000_NS6detail17trampoline_kernelINS0_14default_configENS1_36segmented_radix_sort_config_selectorI6__halflEEZNS1_25segmented_radix_sort_implIS3_Lb1EPKS5_PS5_PKlPlN2at6native12_GLOBAL__N_18offset_tEEE10hipError_tPvRmT1_PNSt15iterator_traitsISL_E10value_typeET2_T3_PNSM_ISR_E10value_typeET4_jRbjT5_SX_jjP12ihipStream_tbEUlT_E_NS1_11comp_targetILNS1_3genE10ELNS1_11target_archE1201ELNS1_3gpuE5ELNS1_3repE0EEENS1_30default_config_static_selectorELNS0_4arch9wavefront6targetE1EEEvSL_ ; -- Begin function _ZN7rocprim17ROCPRIM_400000_NS6detail17trampoline_kernelINS0_14default_configENS1_36segmented_radix_sort_config_selectorI6__halflEEZNS1_25segmented_radix_sort_implIS3_Lb1EPKS5_PS5_PKlPlN2at6native12_GLOBAL__N_18offset_tEEE10hipError_tPvRmT1_PNSt15iterator_traitsISL_E10value_typeET2_T3_PNSM_ISR_E10value_typeET4_jRbjT5_SX_jjP12ihipStream_tbEUlT_E_NS1_11comp_targetILNS1_3genE10ELNS1_11target_archE1201ELNS1_3gpuE5ELNS1_3repE0EEENS1_30default_config_static_selectorELNS0_4arch9wavefront6targetE1EEEvSL_
	.p2align	8
	.type	_ZN7rocprim17ROCPRIM_400000_NS6detail17trampoline_kernelINS0_14default_configENS1_36segmented_radix_sort_config_selectorI6__halflEEZNS1_25segmented_radix_sort_implIS3_Lb1EPKS5_PS5_PKlPlN2at6native12_GLOBAL__N_18offset_tEEE10hipError_tPvRmT1_PNSt15iterator_traitsISL_E10value_typeET2_T3_PNSM_ISR_E10value_typeET4_jRbjT5_SX_jjP12ihipStream_tbEUlT_E_NS1_11comp_targetILNS1_3genE10ELNS1_11target_archE1201ELNS1_3gpuE5ELNS1_3repE0EEENS1_30default_config_static_selectorELNS0_4arch9wavefront6targetE1EEEvSL_,@function
_ZN7rocprim17ROCPRIM_400000_NS6detail17trampoline_kernelINS0_14default_configENS1_36segmented_radix_sort_config_selectorI6__halflEEZNS1_25segmented_radix_sort_implIS3_Lb1EPKS5_PS5_PKlPlN2at6native12_GLOBAL__N_18offset_tEEE10hipError_tPvRmT1_PNSt15iterator_traitsISL_E10value_typeET2_T3_PNSM_ISR_E10value_typeET4_jRbjT5_SX_jjP12ihipStream_tbEUlT_E_NS1_11comp_targetILNS1_3genE10ELNS1_11target_archE1201ELNS1_3gpuE5ELNS1_3repE0EEENS1_30default_config_static_selectorELNS0_4arch9wavefront6targetE1EEEvSL_: ; @_ZN7rocprim17ROCPRIM_400000_NS6detail17trampoline_kernelINS0_14default_configENS1_36segmented_radix_sort_config_selectorI6__halflEEZNS1_25segmented_radix_sort_implIS3_Lb1EPKS5_PS5_PKlPlN2at6native12_GLOBAL__N_18offset_tEEE10hipError_tPvRmT1_PNSt15iterator_traitsISL_E10value_typeET2_T3_PNSM_ISR_E10value_typeET4_jRbjT5_SX_jjP12ihipStream_tbEUlT_E_NS1_11comp_targetILNS1_3genE10ELNS1_11target_archE1201ELNS1_3gpuE5ELNS1_3repE0EEENS1_30default_config_static_selectorELNS0_4arch9wavefront6targetE1EEEvSL_
; %bb.0:
	.section	.rodata,"a",@progbits
	.p2align	6, 0x0
	.amdhsa_kernel _ZN7rocprim17ROCPRIM_400000_NS6detail17trampoline_kernelINS0_14default_configENS1_36segmented_radix_sort_config_selectorI6__halflEEZNS1_25segmented_radix_sort_implIS3_Lb1EPKS5_PS5_PKlPlN2at6native12_GLOBAL__N_18offset_tEEE10hipError_tPvRmT1_PNSt15iterator_traitsISL_E10value_typeET2_T3_PNSM_ISR_E10value_typeET4_jRbjT5_SX_jjP12ihipStream_tbEUlT_E_NS1_11comp_targetILNS1_3genE10ELNS1_11target_archE1201ELNS1_3gpuE5ELNS1_3repE0EEENS1_30default_config_static_selectorELNS0_4arch9wavefront6targetE1EEEvSL_
		.amdhsa_group_segment_fixed_size 0
		.amdhsa_private_segment_fixed_size 0
		.amdhsa_kernarg_size 96
		.amdhsa_user_sgpr_count 6
		.amdhsa_user_sgpr_private_segment_buffer 1
		.amdhsa_user_sgpr_dispatch_ptr 0
		.amdhsa_user_sgpr_queue_ptr 0
		.amdhsa_user_sgpr_kernarg_segment_ptr 1
		.amdhsa_user_sgpr_dispatch_id 0
		.amdhsa_user_sgpr_flat_scratch_init 0
		.amdhsa_user_sgpr_kernarg_preload_length 0
		.amdhsa_user_sgpr_kernarg_preload_offset 0
		.amdhsa_user_sgpr_private_segment_size 0
		.amdhsa_uses_dynamic_stack 0
		.amdhsa_system_sgpr_private_segment_wavefront_offset 0
		.amdhsa_system_sgpr_workgroup_id_x 1
		.amdhsa_system_sgpr_workgroup_id_y 0
		.amdhsa_system_sgpr_workgroup_id_z 0
		.amdhsa_system_sgpr_workgroup_info 0
		.amdhsa_system_vgpr_workitem_id 0
		.amdhsa_next_free_vgpr 1
		.amdhsa_next_free_sgpr 0
		.amdhsa_accum_offset 4
		.amdhsa_reserve_vcc 0
		.amdhsa_reserve_flat_scratch 0
		.amdhsa_float_round_mode_32 0
		.amdhsa_float_round_mode_16_64 0
		.amdhsa_float_denorm_mode_32 3
		.amdhsa_float_denorm_mode_16_64 3
		.amdhsa_dx10_clamp 1
		.amdhsa_ieee_mode 1
		.amdhsa_fp16_overflow 0
		.amdhsa_tg_split 0
		.amdhsa_exception_fp_ieee_invalid_op 0
		.amdhsa_exception_fp_denorm_src 0
		.amdhsa_exception_fp_ieee_div_zero 0
		.amdhsa_exception_fp_ieee_overflow 0
		.amdhsa_exception_fp_ieee_underflow 0
		.amdhsa_exception_fp_ieee_inexact 0
		.amdhsa_exception_int_div_zero 0
	.end_amdhsa_kernel
	.section	.text._ZN7rocprim17ROCPRIM_400000_NS6detail17trampoline_kernelINS0_14default_configENS1_36segmented_radix_sort_config_selectorI6__halflEEZNS1_25segmented_radix_sort_implIS3_Lb1EPKS5_PS5_PKlPlN2at6native12_GLOBAL__N_18offset_tEEE10hipError_tPvRmT1_PNSt15iterator_traitsISL_E10value_typeET2_T3_PNSM_ISR_E10value_typeET4_jRbjT5_SX_jjP12ihipStream_tbEUlT_E_NS1_11comp_targetILNS1_3genE10ELNS1_11target_archE1201ELNS1_3gpuE5ELNS1_3repE0EEENS1_30default_config_static_selectorELNS0_4arch9wavefront6targetE1EEEvSL_,"axG",@progbits,_ZN7rocprim17ROCPRIM_400000_NS6detail17trampoline_kernelINS0_14default_configENS1_36segmented_radix_sort_config_selectorI6__halflEEZNS1_25segmented_radix_sort_implIS3_Lb1EPKS5_PS5_PKlPlN2at6native12_GLOBAL__N_18offset_tEEE10hipError_tPvRmT1_PNSt15iterator_traitsISL_E10value_typeET2_T3_PNSM_ISR_E10value_typeET4_jRbjT5_SX_jjP12ihipStream_tbEUlT_E_NS1_11comp_targetILNS1_3genE10ELNS1_11target_archE1201ELNS1_3gpuE5ELNS1_3repE0EEENS1_30default_config_static_selectorELNS0_4arch9wavefront6targetE1EEEvSL_,comdat
.Lfunc_end1743:
	.size	_ZN7rocprim17ROCPRIM_400000_NS6detail17trampoline_kernelINS0_14default_configENS1_36segmented_radix_sort_config_selectorI6__halflEEZNS1_25segmented_radix_sort_implIS3_Lb1EPKS5_PS5_PKlPlN2at6native12_GLOBAL__N_18offset_tEEE10hipError_tPvRmT1_PNSt15iterator_traitsISL_E10value_typeET2_T3_PNSM_ISR_E10value_typeET4_jRbjT5_SX_jjP12ihipStream_tbEUlT_E_NS1_11comp_targetILNS1_3genE10ELNS1_11target_archE1201ELNS1_3gpuE5ELNS1_3repE0EEENS1_30default_config_static_selectorELNS0_4arch9wavefront6targetE1EEEvSL_, .Lfunc_end1743-_ZN7rocprim17ROCPRIM_400000_NS6detail17trampoline_kernelINS0_14default_configENS1_36segmented_radix_sort_config_selectorI6__halflEEZNS1_25segmented_radix_sort_implIS3_Lb1EPKS5_PS5_PKlPlN2at6native12_GLOBAL__N_18offset_tEEE10hipError_tPvRmT1_PNSt15iterator_traitsISL_E10value_typeET2_T3_PNSM_ISR_E10value_typeET4_jRbjT5_SX_jjP12ihipStream_tbEUlT_E_NS1_11comp_targetILNS1_3genE10ELNS1_11target_archE1201ELNS1_3gpuE5ELNS1_3repE0EEENS1_30default_config_static_selectorELNS0_4arch9wavefront6targetE1EEEvSL_
                                        ; -- End function
	.section	.AMDGPU.csdata,"",@progbits
; Kernel info:
; codeLenInByte = 0
; NumSgprs: 4
; NumVgprs: 0
; NumAgprs: 0
; TotalNumVgprs: 0
; ScratchSize: 0
; MemoryBound: 0
; FloatMode: 240
; IeeeMode: 1
; LDSByteSize: 0 bytes/workgroup (compile time only)
; SGPRBlocks: 0
; VGPRBlocks: 0
; NumSGPRsForWavesPerEU: 4
; NumVGPRsForWavesPerEU: 1
; AccumOffset: 4
; Occupancy: 8
; WaveLimiterHint : 0
; COMPUTE_PGM_RSRC2:SCRATCH_EN: 0
; COMPUTE_PGM_RSRC2:USER_SGPR: 6
; COMPUTE_PGM_RSRC2:TRAP_HANDLER: 0
; COMPUTE_PGM_RSRC2:TGID_X_EN: 1
; COMPUTE_PGM_RSRC2:TGID_Y_EN: 0
; COMPUTE_PGM_RSRC2:TGID_Z_EN: 0
; COMPUTE_PGM_RSRC2:TIDIG_COMP_CNT: 0
; COMPUTE_PGM_RSRC3_GFX90A:ACCUM_OFFSET: 0
; COMPUTE_PGM_RSRC3_GFX90A:TG_SPLIT: 0
	.section	.text._ZN7rocprim17ROCPRIM_400000_NS6detail17trampoline_kernelINS0_14default_configENS1_36segmented_radix_sort_config_selectorI6__halflEEZNS1_25segmented_radix_sort_implIS3_Lb1EPKS5_PS5_PKlPlN2at6native12_GLOBAL__N_18offset_tEEE10hipError_tPvRmT1_PNSt15iterator_traitsISL_E10value_typeET2_T3_PNSM_ISR_E10value_typeET4_jRbjT5_SX_jjP12ihipStream_tbEUlT_E_NS1_11comp_targetILNS1_3genE10ELNS1_11target_archE1200ELNS1_3gpuE4ELNS1_3repE0EEENS1_30default_config_static_selectorELNS0_4arch9wavefront6targetE1EEEvSL_,"axG",@progbits,_ZN7rocprim17ROCPRIM_400000_NS6detail17trampoline_kernelINS0_14default_configENS1_36segmented_radix_sort_config_selectorI6__halflEEZNS1_25segmented_radix_sort_implIS3_Lb1EPKS5_PS5_PKlPlN2at6native12_GLOBAL__N_18offset_tEEE10hipError_tPvRmT1_PNSt15iterator_traitsISL_E10value_typeET2_T3_PNSM_ISR_E10value_typeET4_jRbjT5_SX_jjP12ihipStream_tbEUlT_E_NS1_11comp_targetILNS1_3genE10ELNS1_11target_archE1200ELNS1_3gpuE4ELNS1_3repE0EEENS1_30default_config_static_selectorELNS0_4arch9wavefront6targetE1EEEvSL_,comdat
	.globl	_ZN7rocprim17ROCPRIM_400000_NS6detail17trampoline_kernelINS0_14default_configENS1_36segmented_radix_sort_config_selectorI6__halflEEZNS1_25segmented_radix_sort_implIS3_Lb1EPKS5_PS5_PKlPlN2at6native12_GLOBAL__N_18offset_tEEE10hipError_tPvRmT1_PNSt15iterator_traitsISL_E10value_typeET2_T3_PNSM_ISR_E10value_typeET4_jRbjT5_SX_jjP12ihipStream_tbEUlT_E_NS1_11comp_targetILNS1_3genE10ELNS1_11target_archE1200ELNS1_3gpuE4ELNS1_3repE0EEENS1_30default_config_static_selectorELNS0_4arch9wavefront6targetE1EEEvSL_ ; -- Begin function _ZN7rocprim17ROCPRIM_400000_NS6detail17trampoline_kernelINS0_14default_configENS1_36segmented_radix_sort_config_selectorI6__halflEEZNS1_25segmented_radix_sort_implIS3_Lb1EPKS5_PS5_PKlPlN2at6native12_GLOBAL__N_18offset_tEEE10hipError_tPvRmT1_PNSt15iterator_traitsISL_E10value_typeET2_T3_PNSM_ISR_E10value_typeET4_jRbjT5_SX_jjP12ihipStream_tbEUlT_E_NS1_11comp_targetILNS1_3genE10ELNS1_11target_archE1200ELNS1_3gpuE4ELNS1_3repE0EEENS1_30default_config_static_selectorELNS0_4arch9wavefront6targetE1EEEvSL_
	.p2align	8
	.type	_ZN7rocprim17ROCPRIM_400000_NS6detail17trampoline_kernelINS0_14default_configENS1_36segmented_radix_sort_config_selectorI6__halflEEZNS1_25segmented_radix_sort_implIS3_Lb1EPKS5_PS5_PKlPlN2at6native12_GLOBAL__N_18offset_tEEE10hipError_tPvRmT1_PNSt15iterator_traitsISL_E10value_typeET2_T3_PNSM_ISR_E10value_typeET4_jRbjT5_SX_jjP12ihipStream_tbEUlT_E_NS1_11comp_targetILNS1_3genE10ELNS1_11target_archE1200ELNS1_3gpuE4ELNS1_3repE0EEENS1_30default_config_static_selectorELNS0_4arch9wavefront6targetE1EEEvSL_,@function
_ZN7rocprim17ROCPRIM_400000_NS6detail17trampoline_kernelINS0_14default_configENS1_36segmented_radix_sort_config_selectorI6__halflEEZNS1_25segmented_radix_sort_implIS3_Lb1EPKS5_PS5_PKlPlN2at6native12_GLOBAL__N_18offset_tEEE10hipError_tPvRmT1_PNSt15iterator_traitsISL_E10value_typeET2_T3_PNSM_ISR_E10value_typeET4_jRbjT5_SX_jjP12ihipStream_tbEUlT_E_NS1_11comp_targetILNS1_3genE10ELNS1_11target_archE1200ELNS1_3gpuE4ELNS1_3repE0EEENS1_30default_config_static_selectorELNS0_4arch9wavefront6targetE1EEEvSL_: ; @_ZN7rocprim17ROCPRIM_400000_NS6detail17trampoline_kernelINS0_14default_configENS1_36segmented_radix_sort_config_selectorI6__halflEEZNS1_25segmented_radix_sort_implIS3_Lb1EPKS5_PS5_PKlPlN2at6native12_GLOBAL__N_18offset_tEEE10hipError_tPvRmT1_PNSt15iterator_traitsISL_E10value_typeET2_T3_PNSM_ISR_E10value_typeET4_jRbjT5_SX_jjP12ihipStream_tbEUlT_E_NS1_11comp_targetILNS1_3genE10ELNS1_11target_archE1200ELNS1_3gpuE4ELNS1_3repE0EEENS1_30default_config_static_selectorELNS0_4arch9wavefront6targetE1EEEvSL_
; %bb.0:
	.section	.rodata,"a",@progbits
	.p2align	6, 0x0
	.amdhsa_kernel _ZN7rocprim17ROCPRIM_400000_NS6detail17trampoline_kernelINS0_14default_configENS1_36segmented_radix_sort_config_selectorI6__halflEEZNS1_25segmented_radix_sort_implIS3_Lb1EPKS5_PS5_PKlPlN2at6native12_GLOBAL__N_18offset_tEEE10hipError_tPvRmT1_PNSt15iterator_traitsISL_E10value_typeET2_T3_PNSM_ISR_E10value_typeET4_jRbjT5_SX_jjP12ihipStream_tbEUlT_E_NS1_11comp_targetILNS1_3genE10ELNS1_11target_archE1200ELNS1_3gpuE4ELNS1_3repE0EEENS1_30default_config_static_selectorELNS0_4arch9wavefront6targetE1EEEvSL_
		.amdhsa_group_segment_fixed_size 0
		.amdhsa_private_segment_fixed_size 0
		.amdhsa_kernarg_size 96
		.amdhsa_user_sgpr_count 6
		.amdhsa_user_sgpr_private_segment_buffer 1
		.amdhsa_user_sgpr_dispatch_ptr 0
		.amdhsa_user_sgpr_queue_ptr 0
		.amdhsa_user_sgpr_kernarg_segment_ptr 1
		.amdhsa_user_sgpr_dispatch_id 0
		.amdhsa_user_sgpr_flat_scratch_init 0
		.amdhsa_user_sgpr_kernarg_preload_length 0
		.amdhsa_user_sgpr_kernarg_preload_offset 0
		.amdhsa_user_sgpr_private_segment_size 0
		.amdhsa_uses_dynamic_stack 0
		.amdhsa_system_sgpr_private_segment_wavefront_offset 0
		.amdhsa_system_sgpr_workgroup_id_x 1
		.amdhsa_system_sgpr_workgroup_id_y 0
		.amdhsa_system_sgpr_workgroup_id_z 0
		.amdhsa_system_sgpr_workgroup_info 0
		.amdhsa_system_vgpr_workitem_id 0
		.amdhsa_next_free_vgpr 1
		.amdhsa_next_free_sgpr 0
		.amdhsa_accum_offset 4
		.amdhsa_reserve_vcc 0
		.amdhsa_reserve_flat_scratch 0
		.amdhsa_float_round_mode_32 0
		.amdhsa_float_round_mode_16_64 0
		.amdhsa_float_denorm_mode_32 3
		.amdhsa_float_denorm_mode_16_64 3
		.amdhsa_dx10_clamp 1
		.amdhsa_ieee_mode 1
		.amdhsa_fp16_overflow 0
		.amdhsa_tg_split 0
		.amdhsa_exception_fp_ieee_invalid_op 0
		.amdhsa_exception_fp_denorm_src 0
		.amdhsa_exception_fp_ieee_div_zero 0
		.amdhsa_exception_fp_ieee_overflow 0
		.amdhsa_exception_fp_ieee_underflow 0
		.amdhsa_exception_fp_ieee_inexact 0
		.amdhsa_exception_int_div_zero 0
	.end_amdhsa_kernel
	.section	.text._ZN7rocprim17ROCPRIM_400000_NS6detail17trampoline_kernelINS0_14default_configENS1_36segmented_radix_sort_config_selectorI6__halflEEZNS1_25segmented_radix_sort_implIS3_Lb1EPKS5_PS5_PKlPlN2at6native12_GLOBAL__N_18offset_tEEE10hipError_tPvRmT1_PNSt15iterator_traitsISL_E10value_typeET2_T3_PNSM_ISR_E10value_typeET4_jRbjT5_SX_jjP12ihipStream_tbEUlT_E_NS1_11comp_targetILNS1_3genE10ELNS1_11target_archE1200ELNS1_3gpuE4ELNS1_3repE0EEENS1_30default_config_static_selectorELNS0_4arch9wavefront6targetE1EEEvSL_,"axG",@progbits,_ZN7rocprim17ROCPRIM_400000_NS6detail17trampoline_kernelINS0_14default_configENS1_36segmented_radix_sort_config_selectorI6__halflEEZNS1_25segmented_radix_sort_implIS3_Lb1EPKS5_PS5_PKlPlN2at6native12_GLOBAL__N_18offset_tEEE10hipError_tPvRmT1_PNSt15iterator_traitsISL_E10value_typeET2_T3_PNSM_ISR_E10value_typeET4_jRbjT5_SX_jjP12ihipStream_tbEUlT_E_NS1_11comp_targetILNS1_3genE10ELNS1_11target_archE1200ELNS1_3gpuE4ELNS1_3repE0EEENS1_30default_config_static_selectorELNS0_4arch9wavefront6targetE1EEEvSL_,comdat
.Lfunc_end1744:
	.size	_ZN7rocprim17ROCPRIM_400000_NS6detail17trampoline_kernelINS0_14default_configENS1_36segmented_radix_sort_config_selectorI6__halflEEZNS1_25segmented_radix_sort_implIS3_Lb1EPKS5_PS5_PKlPlN2at6native12_GLOBAL__N_18offset_tEEE10hipError_tPvRmT1_PNSt15iterator_traitsISL_E10value_typeET2_T3_PNSM_ISR_E10value_typeET4_jRbjT5_SX_jjP12ihipStream_tbEUlT_E_NS1_11comp_targetILNS1_3genE10ELNS1_11target_archE1200ELNS1_3gpuE4ELNS1_3repE0EEENS1_30default_config_static_selectorELNS0_4arch9wavefront6targetE1EEEvSL_, .Lfunc_end1744-_ZN7rocprim17ROCPRIM_400000_NS6detail17trampoline_kernelINS0_14default_configENS1_36segmented_radix_sort_config_selectorI6__halflEEZNS1_25segmented_radix_sort_implIS3_Lb1EPKS5_PS5_PKlPlN2at6native12_GLOBAL__N_18offset_tEEE10hipError_tPvRmT1_PNSt15iterator_traitsISL_E10value_typeET2_T3_PNSM_ISR_E10value_typeET4_jRbjT5_SX_jjP12ihipStream_tbEUlT_E_NS1_11comp_targetILNS1_3genE10ELNS1_11target_archE1200ELNS1_3gpuE4ELNS1_3repE0EEENS1_30default_config_static_selectorELNS0_4arch9wavefront6targetE1EEEvSL_
                                        ; -- End function
	.section	.AMDGPU.csdata,"",@progbits
; Kernel info:
; codeLenInByte = 0
; NumSgprs: 4
; NumVgprs: 0
; NumAgprs: 0
; TotalNumVgprs: 0
; ScratchSize: 0
; MemoryBound: 0
; FloatMode: 240
; IeeeMode: 1
; LDSByteSize: 0 bytes/workgroup (compile time only)
; SGPRBlocks: 0
; VGPRBlocks: 0
; NumSGPRsForWavesPerEU: 4
; NumVGPRsForWavesPerEU: 1
; AccumOffset: 4
; Occupancy: 8
; WaveLimiterHint : 0
; COMPUTE_PGM_RSRC2:SCRATCH_EN: 0
; COMPUTE_PGM_RSRC2:USER_SGPR: 6
; COMPUTE_PGM_RSRC2:TRAP_HANDLER: 0
; COMPUTE_PGM_RSRC2:TGID_X_EN: 1
; COMPUTE_PGM_RSRC2:TGID_Y_EN: 0
; COMPUTE_PGM_RSRC2:TGID_Z_EN: 0
; COMPUTE_PGM_RSRC2:TIDIG_COMP_CNT: 0
; COMPUTE_PGM_RSRC3_GFX90A:ACCUM_OFFSET: 0
; COMPUTE_PGM_RSRC3_GFX90A:TG_SPLIT: 0
	.section	.text._ZN7rocprim17ROCPRIM_400000_NS6detail17trampoline_kernelINS0_14default_configENS1_36segmented_radix_sort_config_selectorI6__halflEEZNS1_25segmented_radix_sort_implIS3_Lb1EPKS5_PS5_PKlPlN2at6native12_GLOBAL__N_18offset_tEEE10hipError_tPvRmT1_PNSt15iterator_traitsISL_E10value_typeET2_T3_PNSM_ISR_E10value_typeET4_jRbjT5_SX_jjP12ihipStream_tbEUlT_E_NS1_11comp_targetILNS1_3genE9ELNS1_11target_archE1100ELNS1_3gpuE3ELNS1_3repE0EEENS1_30default_config_static_selectorELNS0_4arch9wavefront6targetE1EEEvSL_,"axG",@progbits,_ZN7rocprim17ROCPRIM_400000_NS6detail17trampoline_kernelINS0_14default_configENS1_36segmented_radix_sort_config_selectorI6__halflEEZNS1_25segmented_radix_sort_implIS3_Lb1EPKS5_PS5_PKlPlN2at6native12_GLOBAL__N_18offset_tEEE10hipError_tPvRmT1_PNSt15iterator_traitsISL_E10value_typeET2_T3_PNSM_ISR_E10value_typeET4_jRbjT5_SX_jjP12ihipStream_tbEUlT_E_NS1_11comp_targetILNS1_3genE9ELNS1_11target_archE1100ELNS1_3gpuE3ELNS1_3repE0EEENS1_30default_config_static_selectorELNS0_4arch9wavefront6targetE1EEEvSL_,comdat
	.globl	_ZN7rocprim17ROCPRIM_400000_NS6detail17trampoline_kernelINS0_14default_configENS1_36segmented_radix_sort_config_selectorI6__halflEEZNS1_25segmented_radix_sort_implIS3_Lb1EPKS5_PS5_PKlPlN2at6native12_GLOBAL__N_18offset_tEEE10hipError_tPvRmT1_PNSt15iterator_traitsISL_E10value_typeET2_T3_PNSM_ISR_E10value_typeET4_jRbjT5_SX_jjP12ihipStream_tbEUlT_E_NS1_11comp_targetILNS1_3genE9ELNS1_11target_archE1100ELNS1_3gpuE3ELNS1_3repE0EEENS1_30default_config_static_selectorELNS0_4arch9wavefront6targetE1EEEvSL_ ; -- Begin function _ZN7rocprim17ROCPRIM_400000_NS6detail17trampoline_kernelINS0_14default_configENS1_36segmented_radix_sort_config_selectorI6__halflEEZNS1_25segmented_radix_sort_implIS3_Lb1EPKS5_PS5_PKlPlN2at6native12_GLOBAL__N_18offset_tEEE10hipError_tPvRmT1_PNSt15iterator_traitsISL_E10value_typeET2_T3_PNSM_ISR_E10value_typeET4_jRbjT5_SX_jjP12ihipStream_tbEUlT_E_NS1_11comp_targetILNS1_3genE9ELNS1_11target_archE1100ELNS1_3gpuE3ELNS1_3repE0EEENS1_30default_config_static_selectorELNS0_4arch9wavefront6targetE1EEEvSL_
	.p2align	8
	.type	_ZN7rocprim17ROCPRIM_400000_NS6detail17trampoline_kernelINS0_14default_configENS1_36segmented_radix_sort_config_selectorI6__halflEEZNS1_25segmented_radix_sort_implIS3_Lb1EPKS5_PS5_PKlPlN2at6native12_GLOBAL__N_18offset_tEEE10hipError_tPvRmT1_PNSt15iterator_traitsISL_E10value_typeET2_T3_PNSM_ISR_E10value_typeET4_jRbjT5_SX_jjP12ihipStream_tbEUlT_E_NS1_11comp_targetILNS1_3genE9ELNS1_11target_archE1100ELNS1_3gpuE3ELNS1_3repE0EEENS1_30default_config_static_selectorELNS0_4arch9wavefront6targetE1EEEvSL_,@function
_ZN7rocprim17ROCPRIM_400000_NS6detail17trampoline_kernelINS0_14default_configENS1_36segmented_radix_sort_config_selectorI6__halflEEZNS1_25segmented_radix_sort_implIS3_Lb1EPKS5_PS5_PKlPlN2at6native12_GLOBAL__N_18offset_tEEE10hipError_tPvRmT1_PNSt15iterator_traitsISL_E10value_typeET2_T3_PNSM_ISR_E10value_typeET4_jRbjT5_SX_jjP12ihipStream_tbEUlT_E_NS1_11comp_targetILNS1_3genE9ELNS1_11target_archE1100ELNS1_3gpuE3ELNS1_3repE0EEENS1_30default_config_static_selectorELNS0_4arch9wavefront6targetE1EEEvSL_: ; @_ZN7rocprim17ROCPRIM_400000_NS6detail17trampoline_kernelINS0_14default_configENS1_36segmented_radix_sort_config_selectorI6__halflEEZNS1_25segmented_radix_sort_implIS3_Lb1EPKS5_PS5_PKlPlN2at6native12_GLOBAL__N_18offset_tEEE10hipError_tPvRmT1_PNSt15iterator_traitsISL_E10value_typeET2_T3_PNSM_ISR_E10value_typeET4_jRbjT5_SX_jjP12ihipStream_tbEUlT_E_NS1_11comp_targetILNS1_3genE9ELNS1_11target_archE1100ELNS1_3gpuE3ELNS1_3repE0EEENS1_30default_config_static_selectorELNS0_4arch9wavefront6targetE1EEEvSL_
; %bb.0:
	.section	.rodata,"a",@progbits
	.p2align	6, 0x0
	.amdhsa_kernel _ZN7rocprim17ROCPRIM_400000_NS6detail17trampoline_kernelINS0_14default_configENS1_36segmented_radix_sort_config_selectorI6__halflEEZNS1_25segmented_radix_sort_implIS3_Lb1EPKS5_PS5_PKlPlN2at6native12_GLOBAL__N_18offset_tEEE10hipError_tPvRmT1_PNSt15iterator_traitsISL_E10value_typeET2_T3_PNSM_ISR_E10value_typeET4_jRbjT5_SX_jjP12ihipStream_tbEUlT_E_NS1_11comp_targetILNS1_3genE9ELNS1_11target_archE1100ELNS1_3gpuE3ELNS1_3repE0EEENS1_30default_config_static_selectorELNS0_4arch9wavefront6targetE1EEEvSL_
		.amdhsa_group_segment_fixed_size 0
		.amdhsa_private_segment_fixed_size 0
		.amdhsa_kernarg_size 96
		.amdhsa_user_sgpr_count 6
		.amdhsa_user_sgpr_private_segment_buffer 1
		.amdhsa_user_sgpr_dispatch_ptr 0
		.amdhsa_user_sgpr_queue_ptr 0
		.amdhsa_user_sgpr_kernarg_segment_ptr 1
		.amdhsa_user_sgpr_dispatch_id 0
		.amdhsa_user_sgpr_flat_scratch_init 0
		.amdhsa_user_sgpr_kernarg_preload_length 0
		.amdhsa_user_sgpr_kernarg_preload_offset 0
		.amdhsa_user_sgpr_private_segment_size 0
		.amdhsa_uses_dynamic_stack 0
		.amdhsa_system_sgpr_private_segment_wavefront_offset 0
		.amdhsa_system_sgpr_workgroup_id_x 1
		.amdhsa_system_sgpr_workgroup_id_y 0
		.amdhsa_system_sgpr_workgroup_id_z 0
		.amdhsa_system_sgpr_workgroup_info 0
		.amdhsa_system_vgpr_workitem_id 0
		.amdhsa_next_free_vgpr 1
		.amdhsa_next_free_sgpr 0
		.amdhsa_accum_offset 4
		.amdhsa_reserve_vcc 0
		.amdhsa_reserve_flat_scratch 0
		.amdhsa_float_round_mode_32 0
		.amdhsa_float_round_mode_16_64 0
		.amdhsa_float_denorm_mode_32 3
		.amdhsa_float_denorm_mode_16_64 3
		.amdhsa_dx10_clamp 1
		.amdhsa_ieee_mode 1
		.amdhsa_fp16_overflow 0
		.amdhsa_tg_split 0
		.amdhsa_exception_fp_ieee_invalid_op 0
		.amdhsa_exception_fp_denorm_src 0
		.amdhsa_exception_fp_ieee_div_zero 0
		.amdhsa_exception_fp_ieee_overflow 0
		.amdhsa_exception_fp_ieee_underflow 0
		.amdhsa_exception_fp_ieee_inexact 0
		.amdhsa_exception_int_div_zero 0
	.end_amdhsa_kernel
	.section	.text._ZN7rocprim17ROCPRIM_400000_NS6detail17trampoline_kernelINS0_14default_configENS1_36segmented_radix_sort_config_selectorI6__halflEEZNS1_25segmented_radix_sort_implIS3_Lb1EPKS5_PS5_PKlPlN2at6native12_GLOBAL__N_18offset_tEEE10hipError_tPvRmT1_PNSt15iterator_traitsISL_E10value_typeET2_T3_PNSM_ISR_E10value_typeET4_jRbjT5_SX_jjP12ihipStream_tbEUlT_E_NS1_11comp_targetILNS1_3genE9ELNS1_11target_archE1100ELNS1_3gpuE3ELNS1_3repE0EEENS1_30default_config_static_selectorELNS0_4arch9wavefront6targetE1EEEvSL_,"axG",@progbits,_ZN7rocprim17ROCPRIM_400000_NS6detail17trampoline_kernelINS0_14default_configENS1_36segmented_radix_sort_config_selectorI6__halflEEZNS1_25segmented_radix_sort_implIS3_Lb1EPKS5_PS5_PKlPlN2at6native12_GLOBAL__N_18offset_tEEE10hipError_tPvRmT1_PNSt15iterator_traitsISL_E10value_typeET2_T3_PNSM_ISR_E10value_typeET4_jRbjT5_SX_jjP12ihipStream_tbEUlT_E_NS1_11comp_targetILNS1_3genE9ELNS1_11target_archE1100ELNS1_3gpuE3ELNS1_3repE0EEENS1_30default_config_static_selectorELNS0_4arch9wavefront6targetE1EEEvSL_,comdat
.Lfunc_end1745:
	.size	_ZN7rocprim17ROCPRIM_400000_NS6detail17trampoline_kernelINS0_14default_configENS1_36segmented_radix_sort_config_selectorI6__halflEEZNS1_25segmented_radix_sort_implIS3_Lb1EPKS5_PS5_PKlPlN2at6native12_GLOBAL__N_18offset_tEEE10hipError_tPvRmT1_PNSt15iterator_traitsISL_E10value_typeET2_T3_PNSM_ISR_E10value_typeET4_jRbjT5_SX_jjP12ihipStream_tbEUlT_E_NS1_11comp_targetILNS1_3genE9ELNS1_11target_archE1100ELNS1_3gpuE3ELNS1_3repE0EEENS1_30default_config_static_selectorELNS0_4arch9wavefront6targetE1EEEvSL_, .Lfunc_end1745-_ZN7rocprim17ROCPRIM_400000_NS6detail17trampoline_kernelINS0_14default_configENS1_36segmented_radix_sort_config_selectorI6__halflEEZNS1_25segmented_radix_sort_implIS3_Lb1EPKS5_PS5_PKlPlN2at6native12_GLOBAL__N_18offset_tEEE10hipError_tPvRmT1_PNSt15iterator_traitsISL_E10value_typeET2_T3_PNSM_ISR_E10value_typeET4_jRbjT5_SX_jjP12ihipStream_tbEUlT_E_NS1_11comp_targetILNS1_3genE9ELNS1_11target_archE1100ELNS1_3gpuE3ELNS1_3repE0EEENS1_30default_config_static_selectorELNS0_4arch9wavefront6targetE1EEEvSL_
                                        ; -- End function
	.section	.AMDGPU.csdata,"",@progbits
; Kernel info:
; codeLenInByte = 0
; NumSgprs: 4
; NumVgprs: 0
; NumAgprs: 0
; TotalNumVgprs: 0
; ScratchSize: 0
; MemoryBound: 0
; FloatMode: 240
; IeeeMode: 1
; LDSByteSize: 0 bytes/workgroup (compile time only)
; SGPRBlocks: 0
; VGPRBlocks: 0
; NumSGPRsForWavesPerEU: 4
; NumVGPRsForWavesPerEU: 1
; AccumOffset: 4
; Occupancy: 8
; WaveLimiterHint : 0
; COMPUTE_PGM_RSRC2:SCRATCH_EN: 0
; COMPUTE_PGM_RSRC2:USER_SGPR: 6
; COMPUTE_PGM_RSRC2:TRAP_HANDLER: 0
; COMPUTE_PGM_RSRC2:TGID_X_EN: 1
; COMPUTE_PGM_RSRC2:TGID_Y_EN: 0
; COMPUTE_PGM_RSRC2:TGID_Z_EN: 0
; COMPUTE_PGM_RSRC2:TIDIG_COMP_CNT: 0
; COMPUTE_PGM_RSRC3_GFX90A:ACCUM_OFFSET: 0
; COMPUTE_PGM_RSRC3_GFX90A:TG_SPLIT: 0
	.section	.text._ZN7rocprim17ROCPRIM_400000_NS6detail17trampoline_kernelINS0_14default_configENS1_36segmented_radix_sort_config_selectorI6__halflEEZNS1_25segmented_radix_sort_implIS3_Lb1EPKS5_PS5_PKlPlN2at6native12_GLOBAL__N_18offset_tEEE10hipError_tPvRmT1_PNSt15iterator_traitsISL_E10value_typeET2_T3_PNSM_ISR_E10value_typeET4_jRbjT5_SX_jjP12ihipStream_tbEUlT_E_NS1_11comp_targetILNS1_3genE8ELNS1_11target_archE1030ELNS1_3gpuE2ELNS1_3repE0EEENS1_30default_config_static_selectorELNS0_4arch9wavefront6targetE1EEEvSL_,"axG",@progbits,_ZN7rocprim17ROCPRIM_400000_NS6detail17trampoline_kernelINS0_14default_configENS1_36segmented_radix_sort_config_selectorI6__halflEEZNS1_25segmented_radix_sort_implIS3_Lb1EPKS5_PS5_PKlPlN2at6native12_GLOBAL__N_18offset_tEEE10hipError_tPvRmT1_PNSt15iterator_traitsISL_E10value_typeET2_T3_PNSM_ISR_E10value_typeET4_jRbjT5_SX_jjP12ihipStream_tbEUlT_E_NS1_11comp_targetILNS1_3genE8ELNS1_11target_archE1030ELNS1_3gpuE2ELNS1_3repE0EEENS1_30default_config_static_selectorELNS0_4arch9wavefront6targetE1EEEvSL_,comdat
	.globl	_ZN7rocprim17ROCPRIM_400000_NS6detail17trampoline_kernelINS0_14default_configENS1_36segmented_radix_sort_config_selectorI6__halflEEZNS1_25segmented_radix_sort_implIS3_Lb1EPKS5_PS5_PKlPlN2at6native12_GLOBAL__N_18offset_tEEE10hipError_tPvRmT1_PNSt15iterator_traitsISL_E10value_typeET2_T3_PNSM_ISR_E10value_typeET4_jRbjT5_SX_jjP12ihipStream_tbEUlT_E_NS1_11comp_targetILNS1_3genE8ELNS1_11target_archE1030ELNS1_3gpuE2ELNS1_3repE0EEENS1_30default_config_static_selectorELNS0_4arch9wavefront6targetE1EEEvSL_ ; -- Begin function _ZN7rocprim17ROCPRIM_400000_NS6detail17trampoline_kernelINS0_14default_configENS1_36segmented_radix_sort_config_selectorI6__halflEEZNS1_25segmented_radix_sort_implIS3_Lb1EPKS5_PS5_PKlPlN2at6native12_GLOBAL__N_18offset_tEEE10hipError_tPvRmT1_PNSt15iterator_traitsISL_E10value_typeET2_T3_PNSM_ISR_E10value_typeET4_jRbjT5_SX_jjP12ihipStream_tbEUlT_E_NS1_11comp_targetILNS1_3genE8ELNS1_11target_archE1030ELNS1_3gpuE2ELNS1_3repE0EEENS1_30default_config_static_selectorELNS0_4arch9wavefront6targetE1EEEvSL_
	.p2align	8
	.type	_ZN7rocprim17ROCPRIM_400000_NS6detail17trampoline_kernelINS0_14default_configENS1_36segmented_radix_sort_config_selectorI6__halflEEZNS1_25segmented_radix_sort_implIS3_Lb1EPKS5_PS5_PKlPlN2at6native12_GLOBAL__N_18offset_tEEE10hipError_tPvRmT1_PNSt15iterator_traitsISL_E10value_typeET2_T3_PNSM_ISR_E10value_typeET4_jRbjT5_SX_jjP12ihipStream_tbEUlT_E_NS1_11comp_targetILNS1_3genE8ELNS1_11target_archE1030ELNS1_3gpuE2ELNS1_3repE0EEENS1_30default_config_static_selectorELNS0_4arch9wavefront6targetE1EEEvSL_,@function
_ZN7rocprim17ROCPRIM_400000_NS6detail17trampoline_kernelINS0_14default_configENS1_36segmented_radix_sort_config_selectorI6__halflEEZNS1_25segmented_radix_sort_implIS3_Lb1EPKS5_PS5_PKlPlN2at6native12_GLOBAL__N_18offset_tEEE10hipError_tPvRmT1_PNSt15iterator_traitsISL_E10value_typeET2_T3_PNSM_ISR_E10value_typeET4_jRbjT5_SX_jjP12ihipStream_tbEUlT_E_NS1_11comp_targetILNS1_3genE8ELNS1_11target_archE1030ELNS1_3gpuE2ELNS1_3repE0EEENS1_30default_config_static_selectorELNS0_4arch9wavefront6targetE1EEEvSL_: ; @_ZN7rocprim17ROCPRIM_400000_NS6detail17trampoline_kernelINS0_14default_configENS1_36segmented_radix_sort_config_selectorI6__halflEEZNS1_25segmented_radix_sort_implIS3_Lb1EPKS5_PS5_PKlPlN2at6native12_GLOBAL__N_18offset_tEEE10hipError_tPvRmT1_PNSt15iterator_traitsISL_E10value_typeET2_T3_PNSM_ISR_E10value_typeET4_jRbjT5_SX_jjP12ihipStream_tbEUlT_E_NS1_11comp_targetILNS1_3genE8ELNS1_11target_archE1030ELNS1_3gpuE2ELNS1_3repE0EEENS1_30default_config_static_selectorELNS0_4arch9wavefront6targetE1EEEvSL_
; %bb.0:
	.section	.rodata,"a",@progbits
	.p2align	6, 0x0
	.amdhsa_kernel _ZN7rocprim17ROCPRIM_400000_NS6detail17trampoline_kernelINS0_14default_configENS1_36segmented_radix_sort_config_selectorI6__halflEEZNS1_25segmented_radix_sort_implIS3_Lb1EPKS5_PS5_PKlPlN2at6native12_GLOBAL__N_18offset_tEEE10hipError_tPvRmT1_PNSt15iterator_traitsISL_E10value_typeET2_T3_PNSM_ISR_E10value_typeET4_jRbjT5_SX_jjP12ihipStream_tbEUlT_E_NS1_11comp_targetILNS1_3genE8ELNS1_11target_archE1030ELNS1_3gpuE2ELNS1_3repE0EEENS1_30default_config_static_selectorELNS0_4arch9wavefront6targetE1EEEvSL_
		.amdhsa_group_segment_fixed_size 0
		.amdhsa_private_segment_fixed_size 0
		.amdhsa_kernarg_size 96
		.amdhsa_user_sgpr_count 6
		.amdhsa_user_sgpr_private_segment_buffer 1
		.amdhsa_user_sgpr_dispatch_ptr 0
		.amdhsa_user_sgpr_queue_ptr 0
		.amdhsa_user_sgpr_kernarg_segment_ptr 1
		.amdhsa_user_sgpr_dispatch_id 0
		.amdhsa_user_sgpr_flat_scratch_init 0
		.amdhsa_user_sgpr_kernarg_preload_length 0
		.amdhsa_user_sgpr_kernarg_preload_offset 0
		.amdhsa_user_sgpr_private_segment_size 0
		.amdhsa_uses_dynamic_stack 0
		.amdhsa_system_sgpr_private_segment_wavefront_offset 0
		.amdhsa_system_sgpr_workgroup_id_x 1
		.amdhsa_system_sgpr_workgroup_id_y 0
		.amdhsa_system_sgpr_workgroup_id_z 0
		.amdhsa_system_sgpr_workgroup_info 0
		.amdhsa_system_vgpr_workitem_id 0
		.amdhsa_next_free_vgpr 1
		.amdhsa_next_free_sgpr 0
		.amdhsa_accum_offset 4
		.amdhsa_reserve_vcc 0
		.amdhsa_reserve_flat_scratch 0
		.amdhsa_float_round_mode_32 0
		.amdhsa_float_round_mode_16_64 0
		.amdhsa_float_denorm_mode_32 3
		.amdhsa_float_denorm_mode_16_64 3
		.amdhsa_dx10_clamp 1
		.amdhsa_ieee_mode 1
		.amdhsa_fp16_overflow 0
		.amdhsa_tg_split 0
		.amdhsa_exception_fp_ieee_invalid_op 0
		.amdhsa_exception_fp_denorm_src 0
		.amdhsa_exception_fp_ieee_div_zero 0
		.amdhsa_exception_fp_ieee_overflow 0
		.amdhsa_exception_fp_ieee_underflow 0
		.amdhsa_exception_fp_ieee_inexact 0
		.amdhsa_exception_int_div_zero 0
	.end_amdhsa_kernel
	.section	.text._ZN7rocprim17ROCPRIM_400000_NS6detail17trampoline_kernelINS0_14default_configENS1_36segmented_radix_sort_config_selectorI6__halflEEZNS1_25segmented_radix_sort_implIS3_Lb1EPKS5_PS5_PKlPlN2at6native12_GLOBAL__N_18offset_tEEE10hipError_tPvRmT1_PNSt15iterator_traitsISL_E10value_typeET2_T3_PNSM_ISR_E10value_typeET4_jRbjT5_SX_jjP12ihipStream_tbEUlT_E_NS1_11comp_targetILNS1_3genE8ELNS1_11target_archE1030ELNS1_3gpuE2ELNS1_3repE0EEENS1_30default_config_static_selectorELNS0_4arch9wavefront6targetE1EEEvSL_,"axG",@progbits,_ZN7rocprim17ROCPRIM_400000_NS6detail17trampoline_kernelINS0_14default_configENS1_36segmented_radix_sort_config_selectorI6__halflEEZNS1_25segmented_radix_sort_implIS3_Lb1EPKS5_PS5_PKlPlN2at6native12_GLOBAL__N_18offset_tEEE10hipError_tPvRmT1_PNSt15iterator_traitsISL_E10value_typeET2_T3_PNSM_ISR_E10value_typeET4_jRbjT5_SX_jjP12ihipStream_tbEUlT_E_NS1_11comp_targetILNS1_3genE8ELNS1_11target_archE1030ELNS1_3gpuE2ELNS1_3repE0EEENS1_30default_config_static_selectorELNS0_4arch9wavefront6targetE1EEEvSL_,comdat
.Lfunc_end1746:
	.size	_ZN7rocprim17ROCPRIM_400000_NS6detail17trampoline_kernelINS0_14default_configENS1_36segmented_radix_sort_config_selectorI6__halflEEZNS1_25segmented_radix_sort_implIS3_Lb1EPKS5_PS5_PKlPlN2at6native12_GLOBAL__N_18offset_tEEE10hipError_tPvRmT1_PNSt15iterator_traitsISL_E10value_typeET2_T3_PNSM_ISR_E10value_typeET4_jRbjT5_SX_jjP12ihipStream_tbEUlT_E_NS1_11comp_targetILNS1_3genE8ELNS1_11target_archE1030ELNS1_3gpuE2ELNS1_3repE0EEENS1_30default_config_static_selectorELNS0_4arch9wavefront6targetE1EEEvSL_, .Lfunc_end1746-_ZN7rocprim17ROCPRIM_400000_NS6detail17trampoline_kernelINS0_14default_configENS1_36segmented_radix_sort_config_selectorI6__halflEEZNS1_25segmented_radix_sort_implIS3_Lb1EPKS5_PS5_PKlPlN2at6native12_GLOBAL__N_18offset_tEEE10hipError_tPvRmT1_PNSt15iterator_traitsISL_E10value_typeET2_T3_PNSM_ISR_E10value_typeET4_jRbjT5_SX_jjP12ihipStream_tbEUlT_E_NS1_11comp_targetILNS1_3genE8ELNS1_11target_archE1030ELNS1_3gpuE2ELNS1_3repE0EEENS1_30default_config_static_selectorELNS0_4arch9wavefront6targetE1EEEvSL_
                                        ; -- End function
	.section	.AMDGPU.csdata,"",@progbits
; Kernel info:
; codeLenInByte = 0
; NumSgprs: 4
; NumVgprs: 0
; NumAgprs: 0
; TotalNumVgprs: 0
; ScratchSize: 0
; MemoryBound: 0
; FloatMode: 240
; IeeeMode: 1
; LDSByteSize: 0 bytes/workgroup (compile time only)
; SGPRBlocks: 0
; VGPRBlocks: 0
; NumSGPRsForWavesPerEU: 4
; NumVGPRsForWavesPerEU: 1
; AccumOffset: 4
; Occupancy: 8
; WaveLimiterHint : 0
; COMPUTE_PGM_RSRC2:SCRATCH_EN: 0
; COMPUTE_PGM_RSRC2:USER_SGPR: 6
; COMPUTE_PGM_RSRC2:TRAP_HANDLER: 0
; COMPUTE_PGM_RSRC2:TGID_X_EN: 1
; COMPUTE_PGM_RSRC2:TGID_Y_EN: 0
; COMPUTE_PGM_RSRC2:TGID_Z_EN: 0
; COMPUTE_PGM_RSRC2:TIDIG_COMP_CNT: 0
; COMPUTE_PGM_RSRC3_GFX90A:ACCUM_OFFSET: 0
; COMPUTE_PGM_RSRC3_GFX90A:TG_SPLIT: 0
	.section	.text._ZN7rocprim17ROCPRIM_400000_NS6detail17trampoline_kernelINS0_14default_configENS1_36segmented_radix_sort_config_selectorI6__halflEEZNS1_25segmented_radix_sort_implIS3_Lb1EPKS5_PS5_PKlPlN2at6native12_GLOBAL__N_18offset_tEEE10hipError_tPvRmT1_PNSt15iterator_traitsISL_E10value_typeET2_T3_PNSM_ISR_E10value_typeET4_jRbjT5_SX_jjP12ihipStream_tbEUlT_E0_NS1_11comp_targetILNS1_3genE0ELNS1_11target_archE4294967295ELNS1_3gpuE0ELNS1_3repE0EEENS1_60segmented_radix_sort_warp_sort_medium_config_static_selectorELNS0_4arch9wavefront6targetE1EEEvSL_,"axG",@progbits,_ZN7rocprim17ROCPRIM_400000_NS6detail17trampoline_kernelINS0_14default_configENS1_36segmented_radix_sort_config_selectorI6__halflEEZNS1_25segmented_radix_sort_implIS3_Lb1EPKS5_PS5_PKlPlN2at6native12_GLOBAL__N_18offset_tEEE10hipError_tPvRmT1_PNSt15iterator_traitsISL_E10value_typeET2_T3_PNSM_ISR_E10value_typeET4_jRbjT5_SX_jjP12ihipStream_tbEUlT_E0_NS1_11comp_targetILNS1_3genE0ELNS1_11target_archE4294967295ELNS1_3gpuE0ELNS1_3repE0EEENS1_60segmented_radix_sort_warp_sort_medium_config_static_selectorELNS0_4arch9wavefront6targetE1EEEvSL_,comdat
	.globl	_ZN7rocprim17ROCPRIM_400000_NS6detail17trampoline_kernelINS0_14default_configENS1_36segmented_radix_sort_config_selectorI6__halflEEZNS1_25segmented_radix_sort_implIS3_Lb1EPKS5_PS5_PKlPlN2at6native12_GLOBAL__N_18offset_tEEE10hipError_tPvRmT1_PNSt15iterator_traitsISL_E10value_typeET2_T3_PNSM_ISR_E10value_typeET4_jRbjT5_SX_jjP12ihipStream_tbEUlT_E0_NS1_11comp_targetILNS1_3genE0ELNS1_11target_archE4294967295ELNS1_3gpuE0ELNS1_3repE0EEENS1_60segmented_radix_sort_warp_sort_medium_config_static_selectorELNS0_4arch9wavefront6targetE1EEEvSL_ ; -- Begin function _ZN7rocprim17ROCPRIM_400000_NS6detail17trampoline_kernelINS0_14default_configENS1_36segmented_radix_sort_config_selectorI6__halflEEZNS1_25segmented_radix_sort_implIS3_Lb1EPKS5_PS5_PKlPlN2at6native12_GLOBAL__N_18offset_tEEE10hipError_tPvRmT1_PNSt15iterator_traitsISL_E10value_typeET2_T3_PNSM_ISR_E10value_typeET4_jRbjT5_SX_jjP12ihipStream_tbEUlT_E0_NS1_11comp_targetILNS1_3genE0ELNS1_11target_archE4294967295ELNS1_3gpuE0ELNS1_3repE0EEENS1_60segmented_radix_sort_warp_sort_medium_config_static_selectorELNS0_4arch9wavefront6targetE1EEEvSL_
	.p2align	8
	.type	_ZN7rocprim17ROCPRIM_400000_NS6detail17trampoline_kernelINS0_14default_configENS1_36segmented_radix_sort_config_selectorI6__halflEEZNS1_25segmented_radix_sort_implIS3_Lb1EPKS5_PS5_PKlPlN2at6native12_GLOBAL__N_18offset_tEEE10hipError_tPvRmT1_PNSt15iterator_traitsISL_E10value_typeET2_T3_PNSM_ISR_E10value_typeET4_jRbjT5_SX_jjP12ihipStream_tbEUlT_E0_NS1_11comp_targetILNS1_3genE0ELNS1_11target_archE4294967295ELNS1_3gpuE0ELNS1_3repE0EEENS1_60segmented_radix_sort_warp_sort_medium_config_static_selectorELNS0_4arch9wavefront6targetE1EEEvSL_,@function
_ZN7rocprim17ROCPRIM_400000_NS6detail17trampoline_kernelINS0_14default_configENS1_36segmented_radix_sort_config_selectorI6__halflEEZNS1_25segmented_radix_sort_implIS3_Lb1EPKS5_PS5_PKlPlN2at6native12_GLOBAL__N_18offset_tEEE10hipError_tPvRmT1_PNSt15iterator_traitsISL_E10value_typeET2_T3_PNSM_ISR_E10value_typeET4_jRbjT5_SX_jjP12ihipStream_tbEUlT_E0_NS1_11comp_targetILNS1_3genE0ELNS1_11target_archE4294967295ELNS1_3gpuE0ELNS1_3repE0EEENS1_60segmented_radix_sort_warp_sort_medium_config_static_selectorELNS0_4arch9wavefront6targetE1EEEvSL_: ; @_ZN7rocprim17ROCPRIM_400000_NS6detail17trampoline_kernelINS0_14default_configENS1_36segmented_radix_sort_config_selectorI6__halflEEZNS1_25segmented_radix_sort_implIS3_Lb1EPKS5_PS5_PKlPlN2at6native12_GLOBAL__N_18offset_tEEE10hipError_tPvRmT1_PNSt15iterator_traitsISL_E10value_typeET2_T3_PNSM_ISR_E10value_typeET4_jRbjT5_SX_jjP12ihipStream_tbEUlT_E0_NS1_11comp_targetILNS1_3genE0ELNS1_11target_archE4294967295ELNS1_3gpuE0ELNS1_3repE0EEENS1_60segmented_radix_sort_warp_sort_medium_config_static_selectorELNS0_4arch9wavefront6targetE1EEEvSL_
; %bb.0:
	.section	.rodata,"a",@progbits
	.p2align	6, 0x0
	.amdhsa_kernel _ZN7rocprim17ROCPRIM_400000_NS6detail17trampoline_kernelINS0_14default_configENS1_36segmented_radix_sort_config_selectorI6__halflEEZNS1_25segmented_radix_sort_implIS3_Lb1EPKS5_PS5_PKlPlN2at6native12_GLOBAL__N_18offset_tEEE10hipError_tPvRmT1_PNSt15iterator_traitsISL_E10value_typeET2_T3_PNSM_ISR_E10value_typeET4_jRbjT5_SX_jjP12ihipStream_tbEUlT_E0_NS1_11comp_targetILNS1_3genE0ELNS1_11target_archE4294967295ELNS1_3gpuE0ELNS1_3repE0EEENS1_60segmented_radix_sort_warp_sort_medium_config_static_selectorELNS0_4arch9wavefront6targetE1EEEvSL_
		.amdhsa_group_segment_fixed_size 0
		.amdhsa_private_segment_fixed_size 0
		.amdhsa_kernarg_size 88
		.amdhsa_user_sgpr_count 6
		.amdhsa_user_sgpr_private_segment_buffer 1
		.amdhsa_user_sgpr_dispatch_ptr 0
		.amdhsa_user_sgpr_queue_ptr 0
		.amdhsa_user_sgpr_kernarg_segment_ptr 1
		.amdhsa_user_sgpr_dispatch_id 0
		.amdhsa_user_sgpr_flat_scratch_init 0
		.amdhsa_user_sgpr_kernarg_preload_length 0
		.amdhsa_user_sgpr_kernarg_preload_offset 0
		.amdhsa_user_sgpr_private_segment_size 0
		.amdhsa_uses_dynamic_stack 0
		.amdhsa_system_sgpr_private_segment_wavefront_offset 0
		.amdhsa_system_sgpr_workgroup_id_x 1
		.amdhsa_system_sgpr_workgroup_id_y 0
		.amdhsa_system_sgpr_workgroup_id_z 0
		.amdhsa_system_sgpr_workgroup_info 0
		.amdhsa_system_vgpr_workitem_id 0
		.amdhsa_next_free_vgpr 1
		.amdhsa_next_free_sgpr 0
		.amdhsa_accum_offset 4
		.amdhsa_reserve_vcc 0
		.amdhsa_reserve_flat_scratch 0
		.amdhsa_float_round_mode_32 0
		.amdhsa_float_round_mode_16_64 0
		.amdhsa_float_denorm_mode_32 3
		.amdhsa_float_denorm_mode_16_64 3
		.amdhsa_dx10_clamp 1
		.amdhsa_ieee_mode 1
		.amdhsa_fp16_overflow 0
		.amdhsa_tg_split 0
		.amdhsa_exception_fp_ieee_invalid_op 0
		.amdhsa_exception_fp_denorm_src 0
		.amdhsa_exception_fp_ieee_div_zero 0
		.amdhsa_exception_fp_ieee_overflow 0
		.amdhsa_exception_fp_ieee_underflow 0
		.amdhsa_exception_fp_ieee_inexact 0
		.amdhsa_exception_int_div_zero 0
	.end_amdhsa_kernel
	.section	.text._ZN7rocprim17ROCPRIM_400000_NS6detail17trampoline_kernelINS0_14default_configENS1_36segmented_radix_sort_config_selectorI6__halflEEZNS1_25segmented_radix_sort_implIS3_Lb1EPKS5_PS5_PKlPlN2at6native12_GLOBAL__N_18offset_tEEE10hipError_tPvRmT1_PNSt15iterator_traitsISL_E10value_typeET2_T3_PNSM_ISR_E10value_typeET4_jRbjT5_SX_jjP12ihipStream_tbEUlT_E0_NS1_11comp_targetILNS1_3genE0ELNS1_11target_archE4294967295ELNS1_3gpuE0ELNS1_3repE0EEENS1_60segmented_radix_sort_warp_sort_medium_config_static_selectorELNS0_4arch9wavefront6targetE1EEEvSL_,"axG",@progbits,_ZN7rocprim17ROCPRIM_400000_NS6detail17trampoline_kernelINS0_14default_configENS1_36segmented_radix_sort_config_selectorI6__halflEEZNS1_25segmented_radix_sort_implIS3_Lb1EPKS5_PS5_PKlPlN2at6native12_GLOBAL__N_18offset_tEEE10hipError_tPvRmT1_PNSt15iterator_traitsISL_E10value_typeET2_T3_PNSM_ISR_E10value_typeET4_jRbjT5_SX_jjP12ihipStream_tbEUlT_E0_NS1_11comp_targetILNS1_3genE0ELNS1_11target_archE4294967295ELNS1_3gpuE0ELNS1_3repE0EEENS1_60segmented_radix_sort_warp_sort_medium_config_static_selectorELNS0_4arch9wavefront6targetE1EEEvSL_,comdat
.Lfunc_end1747:
	.size	_ZN7rocprim17ROCPRIM_400000_NS6detail17trampoline_kernelINS0_14default_configENS1_36segmented_radix_sort_config_selectorI6__halflEEZNS1_25segmented_radix_sort_implIS3_Lb1EPKS5_PS5_PKlPlN2at6native12_GLOBAL__N_18offset_tEEE10hipError_tPvRmT1_PNSt15iterator_traitsISL_E10value_typeET2_T3_PNSM_ISR_E10value_typeET4_jRbjT5_SX_jjP12ihipStream_tbEUlT_E0_NS1_11comp_targetILNS1_3genE0ELNS1_11target_archE4294967295ELNS1_3gpuE0ELNS1_3repE0EEENS1_60segmented_radix_sort_warp_sort_medium_config_static_selectorELNS0_4arch9wavefront6targetE1EEEvSL_, .Lfunc_end1747-_ZN7rocprim17ROCPRIM_400000_NS6detail17trampoline_kernelINS0_14default_configENS1_36segmented_radix_sort_config_selectorI6__halflEEZNS1_25segmented_radix_sort_implIS3_Lb1EPKS5_PS5_PKlPlN2at6native12_GLOBAL__N_18offset_tEEE10hipError_tPvRmT1_PNSt15iterator_traitsISL_E10value_typeET2_T3_PNSM_ISR_E10value_typeET4_jRbjT5_SX_jjP12ihipStream_tbEUlT_E0_NS1_11comp_targetILNS1_3genE0ELNS1_11target_archE4294967295ELNS1_3gpuE0ELNS1_3repE0EEENS1_60segmented_radix_sort_warp_sort_medium_config_static_selectorELNS0_4arch9wavefront6targetE1EEEvSL_
                                        ; -- End function
	.section	.AMDGPU.csdata,"",@progbits
; Kernel info:
; codeLenInByte = 0
; NumSgprs: 4
; NumVgprs: 0
; NumAgprs: 0
; TotalNumVgprs: 0
; ScratchSize: 0
; MemoryBound: 0
; FloatMode: 240
; IeeeMode: 1
; LDSByteSize: 0 bytes/workgroup (compile time only)
; SGPRBlocks: 0
; VGPRBlocks: 0
; NumSGPRsForWavesPerEU: 4
; NumVGPRsForWavesPerEU: 1
; AccumOffset: 4
; Occupancy: 8
; WaveLimiterHint : 0
; COMPUTE_PGM_RSRC2:SCRATCH_EN: 0
; COMPUTE_PGM_RSRC2:USER_SGPR: 6
; COMPUTE_PGM_RSRC2:TRAP_HANDLER: 0
; COMPUTE_PGM_RSRC2:TGID_X_EN: 1
; COMPUTE_PGM_RSRC2:TGID_Y_EN: 0
; COMPUTE_PGM_RSRC2:TGID_Z_EN: 0
; COMPUTE_PGM_RSRC2:TIDIG_COMP_CNT: 0
; COMPUTE_PGM_RSRC3_GFX90A:ACCUM_OFFSET: 0
; COMPUTE_PGM_RSRC3_GFX90A:TG_SPLIT: 0
	.section	.text._ZN7rocprim17ROCPRIM_400000_NS6detail17trampoline_kernelINS0_14default_configENS1_36segmented_radix_sort_config_selectorI6__halflEEZNS1_25segmented_radix_sort_implIS3_Lb1EPKS5_PS5_PKlPlN2at6native12_GLOBAL__N_18offset_tEEE10hipError_tPvRmT1_PNSt15iterator_traitsISL_E10value_typeET2_T3_PNSM_ISR_E10value_typeET4_jRbjT5_SX_jjP12ihipStream_tbEUlT_E0_NS1_11comp_targetILNS1_3genE5ELNS1_11target_archE942ELNS1_3gpuE9ELNS1_3repE0EEENS1_60segmented_radix_sort_warp_sort_medium_config_static_selectorELNS0_4arch9wavefront6targetE1EEEvSL_,"axG",@progbits,_ZN7rocprim17ROCPRIM_400000_NS6detail17trampoline_kernelINS0_14default_configENS1_36segmented_radix_sort_config_selectorI6__halflEEZNS1_25segmented_radix_sort_implIS3_Lb1EPKS5_PS5_PKlPlN2at6native12_GLOBAL__N_18offset_tEEE10hipError_tPvRmT1_PNSt15iterator_traitsISL_E10value_typeET2_T3_PNSM_ISR_E10value_typeET4_jRbjT5_SX_jjP12ihipStream_tbEUlT_E0_NS1_11comp_targetILNS1_3genE5ELNS1_11target_archE942ELNS1_3gpuE9ELNS1_3repE0EEENS1_60segmented_radix_sort_warp_sort_medium_config_static_selectorELNS0_4arch9wavefront6targetE1EEEvSL_,comdat
	.globl	_ZN7rocprim17ROCPRIM_400000_NS6detail17trampoline_kernelINS0_14default_configENS1_36segmented_radix_sort_config_selectorI6__halflEEZNS1_25segmented_radix_sort_implIS3_Lb1EPKS5_PS5_PKlPlN2at6native12_GLOBAL__N_18offset_tEEE10hipError_tPvRmT1_PNSt15iterator_traitsISL_E10value_typeET2_T3_PNSM_ISR_E10value_typeET4_jRbjT5_SX_jjP12ihipStream_tbEUlT_E0_NS1_11comp_targetILNS1_3genE5ELNS1_11target_archE942ELNS1_3gpuE9ELNS1_3repE0EEENS1_60segmented_radix_sort_warp_sort_medium_config_static_selectorELNS0_4arch9wavefront6targetE1EEEvSL_ ; -- Begin function _ZN7rocprim17ROCPRIM_400000_NS6detail17trampoline_kernelINS0_14default_configENS1_36segmented_radix_sort_config_selectorI6__halflEEZNS1_25segmented_radix_sort_implIS3_Lb1EPKS5_PS5_PKlPlN2at6native12_GLOBAL__N_18offset_tEEE10hipError_tPvRmT1_PNSt15iterator_traitsISL_E10value_typeET2_T3_PNSM_ISR_E10value_typeET4_jRbjT5_SX_jjP12ihipStream_tbEUlT_E0_NS1_11comp_targetILNS1_3genE5ELNS1_11target_archE942ELNS1_3gpuE9ELNS1_3repE0EEENS1_60segmented_radix_sort_warp_sort_medium_config_static_selectorELNS0_4arch9wavefront6targetE1EEEvSL_
	.p2align	8
	.type	_ZN7rocprim17ROCPRIM_400000_NS6detail17trampoline_kernelINS0_14default_configENS1_36segmented_radix_sort_config_selectorI6__halflEEZNS1_25segmented_radix_sort_implIS3_Lb1EPKS5_PS5_PKlPlN2at6native12_GLOBAL__N_18offset_tEEE10hipError_tPvRmT1_PNSt15iterator_traitsISL_E10value_typeET2_T3_PNSM_ISR_E10value_typeET4_jRbjT5_SX_jjP12ihipStream_tbEUlT_E0_NS1_11comp_targetILNS1_3genE5ELNS1_11target_archE942ELNS1_3gpuE9ELNS1_3repE0EEENS1_60segmented_radix_sort_warp_sort_medium_config_static_selectorELNS0_4arch9wavefront6targetE1EEEvSL_,@function
_ZN7rocprim17ROCPRIM_400000_NS6detail17trampoline_kernelINS0_14default_configENS1_36segmented_radix_sort_config_selectorI6__halflEEZNS1_25segmented_radix_sort_implIS3_Lb1EPKS5_PS5_PKlPlN2at6native12_GLOBAL__N_18offset_tEEE10hipError_tPvRmT1_PNSt15iterator_traitsISL_E10value_typeET2_T3_PNSM_ISR_E10value_typeET4_jRbjT5_SX_jjP12ihipStream_tbEUlT_E0_NS1_11comp_targetILNS1_3genE5ELNS1_11target_archE942ELNS1_3gpuE9ELNS1_3repE0EEENS1_60segmented_radix_sort_warp_sort_medium_config_static_selectorELNS0_4arch9wavefront6targetE1EEEvSL_: ; @_ZN7rocprim17ROCPRIM_400000_NS6detail17trampoline_kernelINS0_14default_configENS1_36segmented_radix_sort_config_selectorI6__halflEEZNS1_25segmented_radix_sort_implIS3_Lb1EPKS5_PS5_PKlPlN2at6native12_GLOBAL__N_18offset_tEEE10hipError_tPvRmT1_PNSt15iterator_traitsISL_E10value_typeET2_T3_PNSM_ISR_E10value_typeET4_jRbjT5_SX_jjP12ihipStream_tbEUlT_E0_NS1_11comp_targetILNS1_3genE5ELNS1_11target_archE942ELNS1_3gpuE9ELNS1_3repE0EEENS1_60segmented_radix_sort_warp_sort_medium_config_static_selectorELNS0_4arch9wavefront6targetE1EEEvSL_
; %bb.0:
	.section	.rodata,"a",@progbits
	.p2align	6, 0x0
	.amdhsa_kernel _ZN7rocprim17ROCPRIM_400000_NS6detail17trampoline_kernelINS0_14default_configENS1_36segmented_radix_sort_config_selectorI6__halflEEZNS1_25segmented_radix_sort_implIS3_Lb1EPKS5_PS5_PKlPlN2at6native12_GLOBAL__N_18offset_tEEE10hipError_tPvRmT1_PNSt15iterator_traitsISL_E10value_typeET2_T3_PNSM_ISR_E10value_typeET4_jRbjT5_SX_jjP12ihipStream_tbEUlT_E0_NS1_11comp_targetILNS1_3genE5ELNS1_11target_archE942ELNS1_3gpuE9ELNS1_3repE0EEENS1_60segmented_radix_sort_warp_sort_medium_config_static_selectorELNS0_4arch9wavefront6targetE1EEEvSL_
		.amdhsa_group_segment_fixed_size 0
		.amdhsa_private_segment_fixed_size 0
		.amdhsa_kernarg_size 88
		.amdhsa_user_sgpr_count 6
		.amdhsa_user_sgpr_private_segment_buffer 1
		.amdhsa_user_sgpr_dispatch_ptr 0
		.amdhsa_user_sgpr_queue_ptr 0
		.amdhsa_user_sgpr_kernarg_segment_ptr 1
		.amdhsa_user_sgpr_dispatch_id 0
		.amdhsa_user_sgpr_flat_scratch_init 0
		.amdhsa_user_sgpr_kernarg_preload_length 0
		.amdhsa_user_sgpr_kernarg_preload_offset 0
		.amdhsa_user_sgpr_private_segment_size 0
		.amdhsa_uses_dynamic_stack 0
		.amdhsa_system_sgpr_private_segment_wavefront_offset 0
		.amdhsa_system_sgpr_workgroup_id_x 1
		.amdhsa_system_sgpr_workgroup_id_y 0
		.amdhsa_system_sgpr_workgroup_id_z 0
		.amdhsa_system_sgpr_workgroup_info 0
		.amdhsa_system_vgpr_workitem_id 0
		.amdhsa_next_free_vgpr 1
		.amdhsa_next_free_sgpr 0
		.amdhsa_accum_offset 4
		.amdhsa_reserve_vcc 0
		.amdhsa_reserve_flat_scratch 0
		.amdhsa_float_round_mode_32 0
		.amdhsa_float_round_mode_16_64 0
		.amdhsa_float_denorm_mode_32 3
		.amdhsa_float_denorm_mode_16_64 3
		.amdhsa_dx10_clamp 1
		.amdhsa_ieee_mode 1
		.amdhsa_fp16_overflow 0
		.amdhsa_tg_split 0
		.amdhsa_exception_fp_ieee_invalid_op 0
		.amdhsa_exception_fp_denorm_src 0
		.amdhsa_exception_fp_ieee_div_zero 0
		.amdhsa_exception_fp_ieee_overflow 0
		.amdhsa_exception_fp_ieee_underflow 0
		.amdhsa_exception_fp_ieee_inexact 0
		.amdhsa_exception_int_div_zero 0
	.end_amdhsa_kernel
	.section	.text._ZN7rocprim17ROCPRIM_400000_NS6detail17trampoline_kernelINS0_14default_configENS1_36segmented_radix_sort_config_selectorI6__halflEEZNS1_25segmented_radix_sort_implIS3_Lb1EPKS5_PS5_PKlPlN2at6native12_GLOBAL__N_18offset_tEEE10hipError_tPvRmT1_PNSt15iterator_traitsISL_E10value_typeET2_T3_PNSM_ISR_E10value_typeET4_jRbjT5_SX_jjP12ihipStream_tbEUlT_E0_NS1_11comp_targetILNS1_3genE5ELNS1_11target_archE942ELNS1_3gpuE9ELNS1_3repE0EEENS1_60segmented_radix_sort_warp_sort_medium_config_static_selectorELNS0_4arch9wavefront6targetE1EEEvSL_,"axG",@progbits,_ZN7rocprim17ROCPRIM_400000_NS6detail17trampoline_kernelINS0_14default_configENS1_36segmented_radix_sort_config_selectorI6__halflEEZNS1_25segmented_radix_sort_implIS3_Lb1EPKS5_PS5_PKlPlN2at6native12_GLOBAL__N_18offset_tEEE10hipError_tPvRmT1_PNSt15iterator_traitsISL_E10value_typeET2_T3_PNSM_ISR_E10value_typeET4_jRbjT5_SX_jjP12ihipStream_tbEUlT_E0_NS1_11comp_targetILNS1_3genE5ELNS1_11target_archE942ELNS1_3gpuE9ELNS1_3repE0EEENS1_60segmented_radix_sort_warp_sort_medium_config_static_selectorELNS0_4arch9wavefront6targetE1EEEvSL_,comdat
.Lfunc_end1748:
	.size	_ZN7rocprim17ROCPRIM_400000_NS6detail17trampoline_kernelINS0_14default_configENS1_36segmented_radix_sort_config_selectorI6__halflEEZNS1_25segmented_radix_sort_implIS3_Lb1EPKS5_PS5_PKlPlN2at6native12_GLOBAL__N_18offset_tEEE10hipError_tPvRmT1_PNSt15iterator_traitsISL_E10value_typeET2_T3_PNSM_ISR_E10value_typeET4_jRbjT5_SX_jjP12ihipStream_tbEUlT_E0_NS1_11comp_targetILNS1_3genE5ELNS1_11target_archE942ELNS1_3gpuE9ELNS1_3repE0EEENS1_60segmented_radix_sort_warp_sort_medium_config_static_selectorELNS0_4arch9wavefront6targetE1EEEvSL_, .Lfunc_end1748-_ZN7rocprim17ROCPRIM_400000_NS6detail17trampoline_kernelINS0_14default_configENS1_36segmented_radix_sort_config_selectorI6__halflEEZNS1_25segmented_radix_sort_implIS3_Lb1EPKS5_PS5_PKlPlN2at6native12_GLOBAL__N_18offset_tEEE10hipError_tPvRmT1_PNSt15iterator_traitsISL_E10value_typeET2_T3_PNSM_ISR_E10value_typeET4_jRbjT5_SX_jjP12ihipStream_tbEUlT_E0_NS1_11comp_targetILNS1_3genE5ELNS1_11target_archE942ELNS1_3gpuE9ELNS1_3repE0EEENS1_60segmented_radix_sort_warp_sort_medium_config_static_selectorELNS0_4arch9wavefront6targetE1EEEvSL_
                                        ; -- End function
	.section	.AMDGPU.csdata,"",@progbits
; Kernel info:
; codeLenInByte = 0
; NumSgprs: 4
; NumVgprs: 0
; NumAgprs: 0
; TotalNumVgprs: 0
; ScratchSize: 0
; MemoryBound: 0
; FloatMode: 240
; IeeeMode: 1
; LDSByteSize: 0 bytes/workgroup (compile time only)
; SGPRBlocks: 0
; VGPRBlocks: 0
; NumSGPRsForWavesPerEU: 4
; NumVGPRsForWavesPerEU: 1
; AccumOffset: 4
; Occupancy: 8
; WaveLimiterHint : 0
; COMPUTE_PGM_RSRC2:SCRATCH_EN: 0
; COMPUTE_PGM_RSRC2:USER_SGPR: 6
; COMPUTE_PGM_RSRC2:TRAP_HANDLER: 0
; COMPUTE_PGM_RSRC2:TGID_X_EN: 1
; COMPUTE_PGM_RSRC2:TGID_Y_EN: 0
; COMPUTE_PGM_RSRC2:TGID_Z_EN: 0
; COMPUTE_PGM_RSRC2:TIDIG_COMP_CNT: 0
; COMPUTE_PGM_RSRC3_GFX90A:ACCUM_OFFSET: 0
; COMPUTE_PGM_RSRC3_GFX90A:TG_SPLIT: 0
	.text
	.p2align	2                               ; -- Begin function _ZN7rocprim17ROCPRIM_400000_NS6detail26segmented_warp_sort_helperINS1_20WarpSortHelperConfigILj16ELj8ELj256EEE6__halflLi256ELb1EvE4sortIPKS5_PS5_PKlPlEEvT_T0_T1_T2_jjjjRNS6_12storage_typeE
	.type	_ZN7rocprim17ROCPRIM_400000_NS6detail26segmented_warp_sort_helperINS1_20WarpSortHelperConfigILj16ELj8ELj256EEE6__halflLi256ELb1EvE4sortIPKS5_PS5_PKlPlEEvT_T0_T1_T2_jjjjRNS6_12storage_typeE,@function
_ZN7rocprim17ROCPRIM_400000_NS6detail26segmented_warp_sort_helperINS1_20WarpSortHelperConfigILj16ELj8ELj256EEE6__halflLi256ELb1EvE4sortIPKS5_PS5_PKlPlEEvT_T0_T1_T2_jjjjRNS6_12storage_typeE: ; @_ZN7rocprim17ROCPRIM_400000_NS6detail26segmented_warp_sort_helperINS1_20WarpSortHelperConfigILj16ELj8ELj256EEE6__halflLi256ELb1EvE4sortIPKS5_PS5_PKlPlEEvT_T0_T1_T2_jjjjRNS6_12storage_typeE
; %bb.0:
	s_waitcnt vmcnt(0) expcnt(0) lgkmcnt(0)
	s_or_saveexec_b64 s[4:5], -1
	buffer_store_dword v40, off, s[0:3], s32 ; 4-byte Folded Spill
	s_mov_b64 exec, s[4:5]
	v_writelane_b32 v40, s34, 0
	v_writelane_b32 v40, s35, 1
	;; [unrolled: 1-line block ×12, first 2 shown]
	v_mbcnt_lo_u32_b32 v13, -1, 0
	v_sub_u32_e32 v12, v9, v8
	v_mov_b32_e32 v9, 0
	v_mbcnt_hi_u32_b32 v13, -1, v13
	v_lshlrev_b64 v[10:11], 1, v[8:9]
	v_lshlrev_b32_e32 v35, 3, v13
	v_add_co_u32_e32 v0, vcc, v0, v10
	v_and_b32_e32 v34, 0x78, v35
	v_addc_co_u32_e32 v1, vcc, v1, v11, vcc
	v_lshlrev_b32_e32 v32, 1, v34
	v_add_co_u32_e32 v0, vcc, v0, v32
	v_addc_co_u32_e32 v1, vcc, 0, v1, vcc
	v_cmp_lt_u32_e32 vcc, v34, v12
	v_mov_b32_e32 v48, 0xffff
	v_mov_b32_e32 v36, 0xffff
	s_and_saveexec_b64 s[4:5], vcc
	s_cbranch_execz .LBB1749_2
; %bb.1:
	flat_load_ushort v36, v[0:1]
.LBB1749_2:
	s_or_b64 exec, exec, s[4:5]
	v_or_b32_e32 v13, 1, v34
	v_cmp_lt_u32_e64 s[4:5], v13, v12
	s_and_saveexec_b64 s[6:7], s[4:5]
	s_cbranch_execz .LBB1749_4
; %bb.3:
	flat_load_ushort v48, v[0:1] offset:2
.LBB1749_4:
	s_or_b64 exec, exec, s[6:7]
	v_or_b32_e32 v13, 2, v34
	v_cmp_lt_u32_e64 s[6:7], v13, v12
	v_mov_b32_e32 v51, 0xffff
	v_mov_b32_e32 v49, 0xffff
	s_and_saveexec_b64 s[10:11], s[6:7]
	s_cbranch_execz .LBB1749_6
; %bb.5:
	flat_load_ushort v49, v[0:1] offset:4
.LBB1749_6:
	s_or_b64 exec, exec, s[10:11]
	v_or_b32_e32 v13, 3, v34
	v_cmp_lt_u32_e64 s[18:19], v13, v12
	s_and_saveexec_b64 s[10:11], s[18:19]
	s_cbranch_execz .LBB1749_8
; %bb.7:
	flat_load_ushort v51, v[0:1] offset:6
.LBB1749_8:
	s_or_b64 exec, exec, s[10:11]
	v_or_b32_e32 v13, 4, v34
	v_cmp_lt_u32_e64 s[10:11], v13, v12
	v_mov_b32_e32 v38, 0xffff
	v_mov_b32_e32 v39, 0xffff
	s_and_saveexec_b64 s[14:15], s[10:11]
	s_cbranch_execz .LBB1749_10
; %bb.9:
	flat_load_ushort v39, v[0:1] offset:8
.LBB1749_10:
	;; [unrolled: 18-line block ×3, first 2 shown]
	s_or_b64 exec, exec, s[16:17]
	v_or_b32_e32 v13, 7, v34
	v_cmp_lt_u32_e64 s[16:17], v13, v12
	s_and_saveexec_b64 s[22:23], s[16:17]
	s_cbranch_execz .LBB1749_16
; %bb.15:
	flat_load_ushort v37, v[0:1] offset:14
.LBB1749_16:
	s_or_b64 exec, exec, s[22:23]
	v_lshlrev_b64 v[0:1], 3, v[8:9]
	v_add_co_u32_e64 v4, s[22:23], v4, v0
	v_addc_co_u32_e64 v5, s[22:23], v5, v1, s[22:23]
	v_lshlrev_b32_e32 v33, 3, v34
	v_add_co_u32_e64 v12, s[22:23], v4, v33
	v_addc_co_u32_e64 v13, s[22:23], 0, v5, s[22:23]
	; wave barrier
                                        ; implicit-def: $vgpr4_vgpr5
	s_and_saveexec_b64 s[22:23], vcc
	s_cbranch_execnz .LBB1749_262
; %bb.17:
	s_or_b64 exec, exec, s[22:23]
                                        ; implicit-def: $vgpr8_vgpr9
	s_and_saveexec_b64 s[22:23], s[4:5]
	s_cbranch_execnz .LBB1749_263
.LBB1749_18:
	s_or_b64 exec, exec, s[22:23]
                                        ; implicit-def: $vgpr16_vgpr17
	s_and_saveexec_b64 s[22:23], s[6:7]
	s_cbranch_execnz .LBB1749_264
.LBB1749_19:
	s_or_b64 exec, exec, s[22:23]
                                        ; implicit-def: $vgpr18_vgpr19
	s_and_saveexec_b64 s[22:23], s[18:19]
	s_cbranch_execnz .LBB1749_265
.LBB1749_20:
	s_or_b64 exec, exec, s[22:23]
                                        ; implicit-def: $vgpr20_vgpr21
	s_and_saveexec_b64 s[22:23], s[10:11]
	s_cbranch_execnz .LBB1749_266
.LBB1749_21:
	s_or_b64 exec, exec, s[22:23]
                                        ; implicit-def: $vgpr24_vgpr25
	s_and_saveexec_b64 s[22:23], s[20:21]
	s_cbranch_execnz .LBB1749_267
.LBB1749_22:
	s_or_b64 exec, exec, s[22:23]
                                        ; implicit-def: $vgpr22_vgpr23
	s_and_saveexec_b64 s[22:23], s[14:15]
	s_cbranch_execnz .LBB1749_268
.LBB1749_23:
	s_or_b64 exec, exec, s[22:23]
                                        ; implicit-def: $vgpr26_vgpr27
	s_and_saveexec_b64 s[22:23], s[16:17]
	s_cbranch_execz .LBB1749_25
.LBB1749_24:
	flat_load_dwordx2 v[26:27], v[12:13] offset:56
.LBB1749_25:
	s_or_b64 exec, exec, s[22:23]
	; wave barrier
	s_load_dwordx2 s[22:23], s[8:9], 0x0
	v_mov_b32_e32 v12, 0
	v_bfe_u32 v15, v31, 20, 10
	v_and_b32_e32 v28, 0x3ff, v31
	s_waitcnt lgkmcnt(0)
	s_cmp_lt_u32 s12, s22
	s_cselect_b32 s22, 12, 18
	s_cmp_lt_u32 s13, s23
	s_cselect_b32 s12, 14, 20
	s_add_u32 s12, s8, s12
	s_addc_u32 s13, s9, 0
	s_add_u32 s8, s8, s22
	s_addc_u32 s9, s9, 0
	global_load_ushort v13, v12, s[12:13]
	global_load_ushort v14, v12, s[8:9]
	v_bfe_u32 v12, v31, 10, 10
	s_movk_i32 s8, 0x800
	s_waitcnt vmcnt(0)
	v_mad_u32_u24 v12, v15, v13, v12
	v_mul_lo_u32 v12, v12, v14
	v_add_lshl_u32 v52, v12, v28, 3
	v_cmp_gt_u32_e64 s[8:9], s8, v52
	s_and_saveexec_b64 s[12:13], s[8:9]
	s_cbranch_execz .LBB1749_83
; %bb.26:
	v_add_f16_e32 v13, 0, v48
	v_add_f16_e32 v14, 0, v36
	v_mov_b32_e32 v12, 0xffff8000
	v_cmp_lt_i16_e64 s[8:9], -1, v13
	v_cndmask_b32_e64 v15, -1, v12, s[8:9]
	v_cmp_lt_i16_e64 s[8:9], -1, v14
	v_xor_b32_e32 v13, v15, v13
	v_cndmask_b32_e64 v15, -1, v12, s[8:9]
	v_xor_b32_e32 v14, v15, v14
	v_cmp_gt_u16_e64 s[8:9], v13, v14
	v_mov_b32_e32 v31, v48
	v_pk_mov_b32 v[28:29], v[8:9], v[8:9] op_sel:[0,1]
	s_and_saveexec_b64 s[22:23], s[8:9]
; %bb.27:
	v_mov_b32_e32 v31, v36
	v_mov_b32_e32 v36, v48
	v_pk_mov_b32 v[28:29], v[4:5], v[4:5] op_sel:[0,1]
	v_pk_mov_b32 v[4:5], v[8:9], v[8:9] op_sel:[0,1]
; %bb.28:
	s_or_b64 exec, exec, s[22:23]
	v_add_f16_e32 v8, 0, v51
	v_add_f16_e32 v9, 0, v49
	v_cmp_lt_i16_e64 s[8:9], -1, v8
	v_cndmask_b32_e64 v13, -1, v12, s[8:9]
	v_cmp_lt_i16_e64 s[8:9], -1, v9
	v_cndmask_b32_e64 v12, -1, v12, s[8:9]
	v_xor_b32_e32 v8, v13, v8
	v_xor_b32_e32 v9, v12, v9
	v_cmp_gt_u16_e64 s[8:9], v8, v9
	v_mov_b32_e32 v30, v51
	v_pk_mov_b32 v[12:13], v[18:19], v[18:19] op_sel:[0,1]
	s_and_saveexec_b64 s[22:23], s[8:9]
; %bb.29:
	v_mov_b32_e32 v30, v49
	v_mov_b32_e32 v49, v51
	v_pk_mov_b32 v[12:13], v[16:17], v[16:17] op_sel:[0,1]
	v_pk_mov_b32 v[16:17], v[18:19], v[18:19] op_sel:[0,1]
; %bb.30:
	s_or_b64 exec, exec, s[22:23]
	v_add_f16_e32 v9, 0, v38
	v_add_f16_e32 v14, 0, v39
	v_mov_b32_e32 v8, 0xffff8000
	v_cmp_lt_i16_e64 s[8:9], -1, v9
	v_cndmask_b32_e64 v15, -1, v8, s[8:9]
	v_cmp_lt_i16_e64 s[8:9], -1, v14
	v_xor_b32_e32 v9, v15, v9
	v_cndmask_b32_e64 v15, -1, v8, s[8:9]
	v_xor_b32_e32 v14, v15, v14
	v_cmp_gt_u16_e64 s[8:9], v9, v14
	v_pk_mov_b32 v[14:15], v[24:25], v[24:25] op_sel:[0,1]
	v_mov_b32_e32 v51, v39
	s_and_saveexec_b64 s[22:23], s[8:9]
; %bb.31:
	v_pk_mov_b32 v[14:15], v[20:21], v[20:21] op_sel:[0,1]
	v_pk_mov_b32 v[20:21], v[24:25], v[24:25] op_sel:[0,1]
	v_mov_b32_e32 v51, v38
	v_mov_b32_e32 v38, v39
; %bb.32:
	s_or_b64 exec, exec, s[22:23]
	v_add_f16_e32 v9, 0, v37
	v_add_f16_e32 v18, 0, v50
	v_cmp_lt_i16_e64 s[8:9], -1, v9
	v_cndmask_b32_e64 v19, -1, v8, s[8:9]
	v_cmp_lt_i16_e64 s[8:9], -1, v18
	v_cndmask_b32_e64 v8, -1, v8, s[8:9]
	v_xor_b32_e32 v9, v19, v9
	v_xor_b32_e32 v8, v8, v18
	v_cmp_gt_u16_e64 s[8:9], v9, v8
	v_pk_mov_b32 v[8:9], v[26:27], v[26:27] op_sel:[0,1]
	v_mov_b32_e32 v39, v50
	s_and_saveexec_b64 s[22:23], s[8:9]
; %bb.33:
	v_pk_mov_b32 v[8:9], v[22:23], v[22:23] op_sel:[0,1]
	v_pk_mov_b32 v[22:23], v[26:27], v[26:27] op_sel:[0,1]
	v_mov_b32_e32 v39, v37
	v_mov_b32_e32 v37, v50
; %bb.34:
	s_or_b64 exec, exec, s[22:23]
	v_add_f16_e32 v19, 0, v49
	v_add_f16_e32 v24, 0, v31
	v_mov_b32_e32 v18, 0xffff8000
	v_cmp_lt_i16_e64 s[8:9], -1, v19
	v_cndmask_b32_e64 v25, -1, v18, s[8:9]
	v_cmp_lt_i16_e64 s[8:9], -1, v24
	v_xor_b32_e32 v19, v25, v19
	v_cndmask_b32_e64 v25, -1, v18, s[8:9]
	v_xor_b32_e32 v24, v25, v24
	v_cmp_gt_u16_e64 s[8:9], v19, v24
	v_mov_b32_e32 v48, v49
	v_pk_mov_b32 v[24:25], v[16:17], v[16:17] op_sel:[0,1]
	s_and_saveexec_b64 s[22:23], s[8:9]
	s_xor_b64 s[8:9], exec, s[22:23]
; %bb.35:
	v_mov_b32_e32 v48, v31
	v_mov_b32_e32 v31, v49
	v_pk_mov_b32 v[24:25], v[28:29], v[28:29] op_sel:[0,1]
	v_pk_mov_b32 v[28:29], v[16:17], v[16:17] op_sel:[0,1]
; %bb.36:
	s_or_b64 exec, exec, s[8:9]
	v_add_f16_e32 v16, 0, v51
	v_add_f16_e32 v17, 0, v30
	v_cmp_lt_i16_e64 s[8:9], -1, v16
	v_cndmask_b32_e64 v19, -1, v18, s[8:9]
	v_cmp_lt_i16_e64 s[8:9], -1, v17
	v_cndmask_b32_e64 v18, -1, v18, s[8:9]
	v_xor_b32_e32 v16, v19, v16
	v_xor_b32_e32 v17, v18, v17
	v_cmp_gt_u16_e64 s[8:9], v16, v17
	v_mov_b32_e32 v50, v30
	v_pk_mov_b32 v[16:17], v[20:21], v[20:21] op_sel:[0,1]
	s_and_saveexec_b64 s[22:23], s[8:9]
; %bb.37:
	v_mov_b32_e32 v50, v51
	v_pk_mov_b32 v[16:17], v[12:13], v[12:13] op_sel:[0,1]
	v_pk_mov_b32 v[12:13], v[20:21], v[20:21] op_sel:[0,1]
	v_mov_b32_e32 v51, v30
; %bb.38:
	s_or_b64 exec, exec, s[22:23]
	v_add_f16_e32 v18, 0, v39
	v_add_f16_e32 v19, 0, v38
	v_mov_b32_e32 v20, 0xffff8000
	v_cmp_lt_i16_e64 s[8:9], -1, v18
	v_cndmask_b32_e64 v21, -1, v20, s[8:9]
	v_cmp_lt_i16_e64 s[8:9], -1, v19
	v_xor_b32_e32 v18, v21, v18
	v_cndmask_b32_e64 v21, -1, v20, s[8:9]
	v_xor_b32_e32 v19, v21, v19
	v_cmp_gt_u16_e64 s[8:9], v18, v19
	v_pk_mov_b32 v[18:19], v[22:23], v[22:23] op_sel:[0,1]
	v_mov_b32_e32 v49, v38
	s_and_saveexec_b64 s[22:23], s[8:9]
; %bb.39:
	v_pk_mov_b32 v[18:19], v[14:15], v[14:15] op_sel:[0,1]
	v_pk_mov_b32 v[14:15], v[22:23], v[22:23] op_sel:[0,1]
	v_mov_b32_e32 v49, v39
	v_mov_b32_e32 v39, v38
; %bb.40:
	s_or_b64 exec, exec, s[22:23]
	v_add_f16_e32 v21, 0, v31
	v_add_f16_e32 v22, 0, v36
	v_cmp_lt_i16_e64 s[8:9], -1, v21
	v_cndmask_b32_e64 v23, -1, v20, s[8:9]
	v_cmp_lt_i16_e64 s[8:9], -1, v22
	v_cndmask_b32_e64 v20, -1, v20, s[8:9]
	v_xor_b32_e32 v21, v23, v21
	v_xor_b32_e32 v20, v20, v22
	v_cmp_gt_u16_e64 s[8:9], v21, v20
	v_mov_b32_e32 v30, v31
	v_pk_mov_b32 v[20:21], v[28:29], v[28:29] op_sel:[0,1]
	s_and_saveexec_b64 s[22:23], s[8:9]
; %bb.41:
	v_mov_b32_e32 v30, v36
	v_mov_b32_e32 v36, v31
	v_pk_mov_b32 v[20:21], v[4:5], v[4:5] op_sel:[0,1]
	v_pk_mov_b32 v[4:5], v[28:29], v[28:29] op_sel:[0,1]
; %bb.42:
	s_or_b64 exec, exec, s[22:23]
	v_add_f16_e32 v23, 0, v50
	v_add_f16_e32 v26, 0, v48
	v_mov_b32_e32 v22, 0xffff8000
	v_cmp_lt_i16_e64 s[8:9], -1, v23
	v_cndmask_b32_e64 v27, -1, v22, s[8:9]
	v_cmp_lt_i16_e64 s[8:9], -1, v26
	v_xor_b32_e32 v23, v27, v23
	v_cndmask_b32_e64 v27, -1, v22, s[8:9]
	v_xor_b32_e32 v26, v27, v26
	v_cmp_gt_u16_e64 s[8:9], v23, v26
	v_mov_b32_e32 v38, v50
	v_pk_mov_b32 v[26:27], v[12:13], v[12:13] op_sel:[0,1]
	s_and_saveexec_b64 s[22:23], s[8:9]
; %bb.43:
	v_mov_b32_e32 v38, v48
	v_mov_b32_e32 v48, v50
	v_pk_mov_b32 v[26:27], v[24:25], v[24:25] op_sel:[0,1]
	v_pk_mov_b32 v[24:25], v[12:13], v[12:13] op_sel:[0,1]
; %bb.44:
	s_or_b64 exec, exec, s[22:23]
	v_add_f16_e32 v12, 0, v49
	v_add_f16_e32 v13, 0, v51
	v_cmp_lt_i16_e64 s[8:9], -1, v12
	v_cndmask_b32_e64 v23, -1, v22, s[8:9]
	v_cmp_lt_i16_e64 s[8:9], -1, v13
	v_cndmask_b32_e64 v22, -1, v22, s[8:9]
	v_xor_b32_e32 v12, v23, v12
	v_xor_b32_e32 v13, v22, v13
	v_cmp_gt_u16_e64 s[8:9], v12, v13
	v_pk_mov_b32 v[12:13], v[14:15], v[14:15] op_sel:[0,1]
	v_mov_b32_e32 v28, v51
	s_and_saveexec_b64 s[22:23], s[8:9]
; %bb.45:
	v_pk_mov_b32 v[12:13], v[16:17], v[16:17] op_sel:[0,1]
	v_pk_mov_b32 v[16:17], v[14:15], v[14:15] op_sel:[0,1]
	v_mov_b32_e32 v28, v49
	v_mov_b32_e32 v49, v51
; %bb.46:
	s_or_b64 exec, exec, s[22:23]
	v_add_f16_e32 v14, 0, v37
	v_add_f16_e32 v15, 0, v39
	v_mov_b32_e32 v22, 0xffff8000
	v_cmp_lt_i16_e64 s[8:9], -1, v14
	v_cndmask_b32_e64 v23, -1, v22, s[8:9]
	v_cmp_lt_i16_e64 s[8:9], -1, v15
	v_xor_b32_e32 v14, v23, v14
	v_cndmask_b32_e64 v23, -1, v22, s[8:9]
	v_xor_b32_e32 v15, v23, v15
	v_cmp_gt_u16_e64 s[8:9], v14, v15
	v_pk_mov_b32 v[14:15], v[8:9], v[8:9] op_sel:[0,1]
	v_mov_b32_e32 v29, v39
	s_and_saveexec_b64 s[22:23], s[8:9]
; %bb.47:
	v_pk_mov_b32 v[14:15], v[18:19], v[18:19] op_sel:[0,1]
	v_pk_mov_b32 v[18:19], v[8:9], v[8:9] op_sel:[0,1]
	v_mov_b32_e32 v29, v37
	v_mov_b32_e32 v37, v39
; %bb.48:
	s_or_b64 exec, exec, s[22:23]
	v_add_f16_e32 v8, 0, v48
	v_add_f16_e32 v9, 0, v30
	v_cmp_lt_i16_e64 s[8:9], -1, v8
	v_cndmask_b32_e64 v23, -1, v22, s[8:9]
	v_cmp_lt_i16_e64 s[8:9], -1, v9
	v_cndmask_b32_e64 v22, -1, v22, s[8:9]
	v_xor_b32_e32 v8, v23, v8
	v_xor_b32_e32 v9, v22, v9
	v_cmp_gt_u16_e64 s[8:9], v8, v9
	v_mov_b32_e32 v31, v48
	v_pk_mov_b32 v[22:23], v[24:25], v[24:25] op_sel:[0,1]
	s_and_saveexec_b64 s[22:23], s[8:9]
; %bb.49:
	v_mov_b32_e32 v31, v30
	v_mov_b32_e32 v30, v48
	v_pk_mov_b32 v[22:23], v[20:21], v[20:21] op_sel:[0,1]
	v_pk_mov_b32 v[20:21], v[24:25], v[24:25] op_sel:[0,1]
; %bb.50:
	s_or_b64 exec, exec, s[22:23]
	v_add_f16_e32 v9, 0, v28
	v_add_f16_e32 v24, 0, v38
	v_mov_b32_e32 v8, 0xffff8000
	v_cmp_lt_i16_e64 s[8:9], -1, v9
	v_cndmask_b32_e64 v25, -1, v8, s[8:9]
	v_cmp_lt_i16_e64 s[8:9], -1, v24
	v_xor_b32_e32 v9, v25, v9
	v_cndmask_b32_e64 v25, -1, v8, s[8:9]
	v_xor_b32_e32 v24, v25, v24
	v_cmp_gt_u16_e64 s[8:9], v9, v24
	v_mov_b32_e32 v48, v38
	v_pk_mov_b32 v[24:25], v[16:17], v[16:17] op_sel:[0,1]
	s_and_saveexec_b64 s[22:23], s[8:9]
; %bb.51:
	v_mov_b32_e32 v48, v28
	v_pk_mov_b32 v[24:25], v[26:27], v[26:27] op_sel:[0,1]
	v_pk_mov_b32 v[26:27], v[16:17], v[16:17] op_sel:[0,1]
	v_mov_b32_e32 v28, v38
; %bb.52:
	s_or_b64 exec, exec, s[22:23]
	v_add_f16_e32 v9, 0, v29
	v_add_f16_e32 v16, 0, v49
	v_cmp_lt_i16_e64 s[8:9], -1, v9
	v_cndmask_b32_e64 v17, -1, v8, s[8:9]
	v_cmp_lt_i16_e64 s[8:9], -1, v16
	v_cndmask_b32_e64 v8, -1, v8, s[8:9]
	v_xor_b32_e32 v9, v17, v9
	v_xor_b32_e32 v8, v8, v16
	v_cmp_gt_u16_e64 s[8:9], v9, v8
	v_pk_mov_b32 v[8:9], v[18:19], v[18:19] op_sel:[0,1]
	v_mov_b32_e32 v39, v49
	s_and_saveexec_b64 s[22:23], s[8:9]
; %bb.53:
	v_pk_mov_b32 v[8:9], v[12:13], v[12:13] op_sel:[0,1]
	v_pk_mov_b32 v[12:13], v[18:19], v[18:19] op_sel:[0,1]
	v_mov_b32_e32 v39, v29
	v_mov_b32_e32 v29, v49
; %bb.54:
	s_or_b64 exec, exec, s[22:23]
	v_add_f16_e32 v17, 0, v30
	v_add_f16_e32 v18, 0, v36
	v_mov_b32_e32 v16, 0xffff8000
	v_cmp_lt_i16_e64 s[8:9], -1, v17
	v_cndmask_b32_e64 v19, -1, v16, s[8:9]
	v_cmp_lt_i16_e64 s[8:9], -1, v18
	v_xor_b32_e32 v17, v19, v17
	v_cndmask_b32_e64 v19, -1, v16, s[8:9]
	v_xor_b32_e32 v18, v19, v18
	v_cmp_gt_u16_e64 s[8:9], v17, v18
	v_mov_b32_e32 v49, v30
	v_pk_mov_b32 v[18:19], v[20:21], v[20:21] op_sel:[0,1]
	s_and_saveexec_b64 s[22:23], s[8:9]
; %bb.55:
	v_mov_b32_e32 v49, v36
	v_mov_b32_e32 v36, v30
	v_pk_mov_b32 v[18:19], v[4:5], v[4:5] op_sel:[0,1]
	v_pk_mov_b32 v[4:5], v[20:21], v[20:21] op_sel:[0,1]
; %bb.56:
	s_or_b64 exec, exec, s[22:23]
	v_add_f16_e32 v17, 0, v48
	v_add_f16_e32 v20, 0, v31
	v_cmp_lt_i16_e64 s[8:9], -1, v17
	v_cndmask_b32_e64 v21, -1, v16, s[8:9]
	v_cmp_lt_i16_e64 s[8:9], -1, v20
	v_cndmask_b32_e64 v16, -1, v16, s[8:9]
	v_xor_b32_e32 v17, v21, v17
	v_xor_b32_e32 v16, v16, v20
	v_cmp_gt_u16_e64 s[8:9], v17, v16
	v_mov_b32_e32 v30, v48
	v_pk_mov_b32 v[16:17], v[26:27], v[26:27] op_sel:[0,1]
	s_and_saveexec_b64 s[22:23], s[8:9]
; %bb.57:
	v_mov_b32_e32 v30, v31
	v_mov_b32_e32 v31, v48
	v_pk_mov_b32 v[16:17], v[22:23], v[22:23] op_sel:[0,1]
	v_pk_mov_b32 v[22:23], v[26:27], v[26:27] op_sel:[0,1]
; %bb.58:
	s_or_b64 exec, exec, s[22:23]
	v_add_f16_e32 v20, 0, v39
	v_add_f16_e32 v21, 0, v28
	v_mov_b32_e32 v27, 0xffff8000
	v_cmp_lt_i16_e64 s[8:9], -1, v20
	v_cndmask_b32_e64 v26, -1, v27, s[8:9]
	v_cmp_lt_i16_e64 s[8:9], -1, v21
	v_xor_b32_e32 v20, v26, v20
	v_cndmask_b32_e64 v26, -1, v27, s[8:9]
	v_xor_b32_e32 v21, v26, v21
	v_cmp_gt_u16_e64 s[8:9], v20, v21
	v_pk_mov_b32 v[20:21], v[12:13], v[12:13] op_sel:[0,1]
	v_mov_b32_e32 v26, v28
	s_and_saveexec_b64 s[22:23], s[8:9]
; %bb.59:
	v_pk_mov_b32 v[20:21], v[24:25], v[24:25] op_sel:[0,1]
	v_pk_mov_b32 v[24:25], v[12:13], v[12:13] op_sel:[0,1]
	v_mov_b32_e32 v26, v39
	v_mov_b32_e32 v39, v28
; %bb.60:
	s_or_b64 exec, exec, s[22:23]
	v_add_f16_e32 v12, 0, v37
	v_add_f16_e32 v13, 0, v29
	v_cmp_lt_i16_e64 s[8:9], -1, v12
	v_cndmask_b32_e64 v28, -1, v27, s[8:9]
	v_cmp_lt_i16_e64 s[8:9], -1, v13
	v_cndmask_b32_e64 v27, -1, v27, s[8:9]
	v_xor_b32_e32 v12, v28, v12
	v_xor_b32_e32 v13, v27, v13
	v_cmp_gt_u16_e64 s[8:9], v12, v13
	v_pk_mov_b32 v[12:13], v[14:15], v[14:15] op_sel:[0,1]
	v_mov_b32_e32 v50, v29
	s_and_saveexec_b64 s[22:23], s[8:9]
; %bb.61:
	v_pk_mov_b32 v[12:13], v[8:9], v[8:9] op_sel:[0,1]
	v_pk_mov_b32 v[8:9], v[14:15], v[14:15] op_sel:[0,1]
	v_mov_b32_e32 v50, v37
	v_mov_b32_e32 v37, v29
; %bb.62:
	s_or_b64 exec, exec, s[22:23]
	v_add_f16_e32 v15, 0, v31
	v_add_f16_e32 v27, 0, v49
	v_mov_b32_e32 v14, 0xffff8000
	v_cmp_lt_i16_e64 s[8:9], -1, v15
	v_cndmask_b32_e64 v28, -1, v14, s[8:9]
	v_cmp_lt_i16_e64 s[8:9], -1, v27
	v_xor_b32_e32 v15, v28, v15
	v_cndmask_b32_e64 v28, -1, v14, s[8:9]
	v_xor_b32_e32 v27, v28, v27
	v_cmp_gt_u16_e64 s[8:9], v15, v27
	v_mov_b32_e32 v51, v31
	v_pk_mov_b32 v[28:29], v[22:23], v[22:23] op_sel:[0,1]
	s_and_saveexec_b64 s[22:23], s[8:9]
; %bb.63:
	v_mov_b32_e32 v51, v49
	v_mov_b32_e32 v49, v31
	v_pk_mov_b32 v[28:29], v[18:19], v[18:19] op_sel:[0,1]
	v_pk_mov_b32 v[18:19], v[22:23], v[22:23] op_sel:[0,1]
; %bb.64:
	s_or_b64 exec, exec, s[22:23]
	v_add_f16_e32 v15, 0, v26
	v_add_f16_e32 v22, 0, v30
	v_cmp_lt_i16_e64 s[8:9], -1, v15
	v_cndmask_b32_e64 v23, -1, v14, s[8:9]
	v_cmp_lt_i16_e64 s[8:9], -1, v22
	v_cndmask_b32_e64 v14, -1, v14, s[8:9]
	v_xor_b32_e32 v15, v23, v15
	v_xor_b32_e32 v14, v14, v22
	v_cmp_gt_u16_e64 s[8:9], v15, v14
	v_mov_b32_e32 v27, v30
	v_pk_mov_b32 v[14:15], v[24:25], v[24:25] op_sel:[0,1]
	s_and_saveexec_b64 s[22:23], s[8:9]
; %bb.65:
	v_mov_b32_e32 v27, v26
	v_pk_mov_b32 v[14:15], v[16:17], v[16:17] op_sel:[0,1]
	v_pk_mov_b32 v[16:17], v[24:25], v[24:25] op_sel:[0,1]
	v_mov_b32_e32 v26, v30
; %bb.66:
	s_or_b64 exec, exec, s[22:23]
	v_add_f16_e32 v22, 0, v50
	v_add_f16_e32 v23, 0, v39
	v_mov_b32_e32 v24, 0xffff8000
	v_cmp_lt_i16_e64 s[8:9], -1, v22
	v_cndmask_b32_e64 v25, -1, v24, s[8:9]
	v_cmp_lt_i16_e64 s[8:9], -1, v23
	v_xor_b32_e32 v22, v25, v22
	v_cndmask_b32_e64 v25, -1, v24, s[8:9]
	v_xor_b32_e32 v23, v25, v23
	v_cmp_gt_u16_e64 s[8:9], v22, v23
	v_pk_mov_b32 v[22:23], v[8:9], v[8:9] op_sel:[0,1]
	v_mov_b32_e32 v38, v39
	s_and_saveexec_b64 s[22:23], s[8:9]
; %bb.67:
	v_pk_mov_b32 v[22:23], v[20:21], v[20:21] op_sel:[0,1]
	v_pk_mov_b32 v[20:21], v[8:9], v[8:9] op_sel:[0,1]
	v_mov_b32_e32 v38, v50
	v_mov_b32_e32 v50, v39
; %bb.68:
	s_or_b64 exec, exec, s[22:23]
	v_add_f16_e32 v8, 0, v49
	v_add_f16_e32 v9, 0, v36
	v_cmp_lt_i16_e64 s[8:9], -1, v8
	v_cndmask_b32_e64 v25, -1, v24, s[8:9]
	v_cmp_lt_i16_e64 s[8:9], -1, v9
	v_cndmask_b32_e64 v24, -1, v24, s[8:9]
	v_xor_b32_e32 v8, v25, v8
	v_xor_b32_e32 v9, v24, v9
	v_cmp_gt_u16_e64 s[8:9], v8, v9
	v_mov_b32_e32 v48, v49
	v_pk_mov_b32 v[8:9], v[18:19], v[18:19] op_sel:[0,1]
	s_and_saveexec_b64 s[22:23], s[8:9]
; %bb.69:
	v_mov_b32_e32 v48, v36
	v_mov_b32_e32 v36, v49
	v_pk_mov_b32 v[8:9], v[4:5], v[4:5] op_sel:[0,1]
	v_pk_mov_b32 v[4:5], v[18:19], v[18:19] op_sel:[0,1]
; %bb.70:
	s_or_b64 exec, exec, s[22:23]
	v_add_f16_e32 v18, 0, v27
	v_add_f16_e32 v19, 0, v51
	v_mov_b32_e32 v25, 0xffff8000
	v_cmp_lt_i16_e64 s[8:9], -1, v18
	v_cndmask_b32_e64 v24, -1, v25, s[8:9]
	v_cmp_lt_i16_e64 s[8:9], -1, v19
	v_xor_b32_e32 v18, v24, v18
	v_cndmask_b32_e64 v24, -1, v25, s[8:9]
	v_xor_b32_e32 v19, v24, v19
	v_cmp_gt_u16_e64 s[8:9], v18, v19
	v_mov_b32_e32 v24, v27
	v_pk_mov_b32 v[18:19], v[16:17], v[16:17] op_sel:[0,1]
	s_and_saveexec_b64 s[22:23], s[8:9]
; %bb.71:
	v_mov_b32_e32 v24, v51
	v_mov_b32_e32 v51, v27
	v_pk_mov_b32 v[18:19], v[28:29], v[28:29] op_sel:[0,1]
	v_pk_mov_b32 v[28:29], v[16:17], v[16:17] op_sel:[0,1]
; %bb.72:
	s_or_b64 exec, exec, s[22:23]
	v_add_f16_e32 v16, 0, v38
	v_add_f16_e32 v17, 0, v26
	v_cmp_lt_i16_e64 s[8:9], -1, v16
	v_cndmask_b32_e64 v27, -1, v25, s[8:9]
	v_cmp_lt_i16_e64 s[8:9], -1, v17
	v_cndmask_b32_e64 v25, -1, v25, s[8:9]
	v_xor_b32_e32 v16, v27, v16
	v_xor_b32_e32 v17, v25, v17
	v_cmp_gt_u16_e64 s[8:9], v16, v17
	v_pk_mov_b32 v[30:31], v[20:21], v[20:21] op_sel:[0,1]
	v_mov_b32_e32 v39, v26
	s_and_saveexec_b64 s[22:23], s[8:9]
; %bb.73:
	v_pk_mov_b32 v[30:31], v[14:15], v[14:15] op_sel:[0,1]
	v_pk_mov_b32 v[14:15], v[20:21], v[20:21] op_sel:[0,1]
	v_mov_b32_e32 v39, v38
	v_mov_b32_e32 v38, v26
; %bb.74:
	s_or_b64 exec, exec, s[22:23]
	v_add_f16_e32 v17, 0, v37
	v_add_f16_e32 v20, 0, v50
	v_mov_b32_e32 v16, 0xffff8000
	v_cmp_lt_i16_e64 s[8:9], -1, v17
	v_cndmask_b32_e64 v21, -1, v16, s[8:9]
	v_cmp_lt_i16_e64 s[8:9], -1, v20
	v_xor_b32_e32 v17, v21, v17
	v_cndmask_b32_e64 v21, -1, v16, s[8:9]
	v_xor_b32_e32 v20, v21, v20
	v_cmp_gt_u16_e64 s[8:9], v17, v20
	v_pk_mov_b32 v[26:27], v[12:13], v[12:13] op_sel:[0,1]
	v_mov_b32_e32 v53, v50
	s_and_saveexec_b64 s[22:23], s[8:9]
; %bb.75:
	v_pk_mov_b32 v[26:27], v[22:23], v[22:23] op_sel:[0,1]
	v_pk_mov_b32 v[22:23], v[12:13], v[12:13] op_sel:[0,1]
	v_mov_b32_e32 v53, v37
	v_mov_b32_e32 v37, v50
; %bb.76:
	s_or_b64 exec, exec, s[22:23]
	v_add_f16_e32 v12, 0, v51
	v_add_f16_e32 v13, 0, v48
	v_cmp_lt_i16_e64 s[8:9], -1, v12
	v_cndmask_b32_e64 v17, -1, v16, s[8:9]
	v_cmp_lt_i16_e64 s[8:9], -1, v13
	v_cndmask_b32_e64 v16, -1, v16, s[8:9]
	v_xor_b32_e32 v12, v17, v12
	v_xor_b32_e32 v13, v16, v13
	v_cmp_gt_u16_e64 s[8:9], v12, v13
	v_mov_b32_e32 v49, v51
	v_pk_mov_b32 v[16:17], v[28:29], v[28:29] op_sel:[0,1]
	s_and_saveexec_b64 s[22:23], s[8:9]
; %bb.77:
	v_mov_b32_e32 v49, v48
	v_mov_b32_e32 v48, v51
	v_pk_mov_b32 v[16:17], v[8:9], v[8:9] op_sel:[0,1]
	v_pk_mov_b32 v[8:9], v[28:29], v[28:29] op_sel:[0,1]
; %bb.78:
	s_or_b64 exec, exec, s[22:23]
	v_add_f16_e32 v13, 0, v39
	v_add_f16_e32 v20, 0, v24
	v_mov_b32_e32 v12, 0xffff8000
	v_cmp_lt_i16_e64 s[8:9], -1, v13
	v_cndmask_b32_e64 v21, -1, v12, s[8:9]
	v_cmp_lt_i16_e64 s[8:9], -1, v20
	v_xor_b32_e32 v13, v21, v13
	v_cndmask_b32_e64 v21, -1, v12, s[8:9]
	v_xor_b32_e32 v20, v21, v20
	v_cmp_gt_u16_e64 s[8:9], v13, v20
	v_mov_b32_e32 v51, v24
	v_pk_mov_b32 v[20:21], v[14:15], v[14:15] op_sel:[0,1]
	s_and_saveexec_b64 s[22:23], s[8:9]
; %bb.79:
	v_mov_b32_e32 v51, v39
	v_pk_mov_b32 v[20:21], v[18:19], v[18:19] op_sel:[0,1]
	v_pk_mov_b32 v[18:19], v[14:15], v[14:15] op_sel:[0,1]
	v_mov_b32_e32 v39, v24
; %bb.80:
	s_or_b64 exec, exec, s[22:23]
	v_add_f16_e32 v13, 0, v53
	v_add_f16_e32 v14, 0, v38
	v_cmp_lt_i16_e64 s[8:9], -1, v13
	v_cndmask_b32_e64 v15, -1, v12, s[8:9]
	v_cmp_lt_i16_e64 s[8:9], -1, v14
	v_cndmask_b32_e64 v12, -1, v12, s[8:9]
	v_xor_b32_e32 v13, v15, v13
	v_xor_b32_e32 v12, v12, v14
	v_cmp_gt_u16_e64 s[8:9], v13, v12
	v_mov_b32_e32 v50, v53
	v_pk_mov_b32 v[24:25], v[30:31], v[30:31] op_sel:[0,1]
	s_and_saveexec_b64 s[22:23], s[8:9]
; %bb.81:
	v_mov_b32_e32 v50, v38
	v_mov_b32_e32 v38, v53
	v_pk_mov_b32 v[24:25], v[22:23], v[22:23] op_sel:[0,1]
	v_pk_mov_b32 v[22:23], v[30:31], v[30:31] op_sel:[0,1]
; %bb.82:
	s_or_b64 exec, exec, s[22:23]
.LBB1749_83:
	s_or_b64 exec, exec, s[12:13]
	v_and_b32_e32 v12, 0xfffffe00, v52
	s_movk_i32 s8, 0x800
	v_sub_u32_e64 v15, s8, v12 clamp
	v_or_b32_e32 v29, 8, v35
	v_min_u32_e32 v30, v15, v29
	v_add_u32_e32 v29, 8, v30
	v_and_b32_e32 v54, 0x3f0, v35
	v_min_u32_e32 v31, v15, v29
	v_and_b32_e32 v29, 8, v35
	v_lshlrev_b32_e32 v14, 1, v12
	v_min_u32_e32 v55, v15, v29
	v_sub_u32_e32 v29, v30, v54
	v_sub_u32_e32 v53, v31, v30
	v_mad_u64_u32 v[12:13], s[8:9], v12, 6, v[14:15]
	v_sub_u32_e64 v53, v55, v53 clamp
	v_min_u32_e32 v29, v55, v29
	v_lshl_add_u32 v13, v35, 1, v14
	v_lshl_add_u32 v28, v35, 3, v12
	;; [unrolled: 1-line block ×3, first 2 shown]
	v_cmp_lt_u32_e64 s[8:9], v53, v29
	ds_write_b16 v13, v36
	ds_write_b64 v28, v[4:5] offset:4096
	ds_write_b16 v13, v48 offset:2
	ds_write_b64 v28, v[8:9] offset:4104
	ds_write_b16 v13, v49 offset:4
	;; [unrolled: 2-line block ×7, first 2 shown]
	ds_write_b64 v28, v[26:27] offset:4152
	; wave barrier
	s_and_saveexec_b64 s[12:13], s[8:9]
	s_cbranch_execz .LBB1749_87
; %bb.84:
	v_lshlrev_b32_e32 v64, 1, v30
	v_lshlrev_b32_e32 v65, 1, v55
	v_add3_u32 v64, v14, v64, v65
	s_mov_b64 s[22:23], 0
	v_mov_b32_e32 v65, 0xffff8000
.LBB1749_85:                            ; =>This Inner Loop Header: Depth=1
	v_add_u32_e32 v66, v29, v53
	v_lshrrev_b32_e32 v67, 1, v66
	v_and_b32_e32 v66, -2, v66
	v_not_b32_e32 v68, v67
	v_add_u32_e32 v66, v52, v66
	v_lshl_add_u32 v68, v68, 1, v64
	ds_read_u16 v66, v66
	ds_read_u16 v68, v68
	v_add_u32_e32 v69, 1, v67
	s_waitcnt lgkmcnt(1)
	v_add_f16_e32 v66, 0, v66
	s_waitcnt lgkmcnt(0)
	v_add_f16_e32 v68, 0, v68
	v_cmp_lt_i16_e64 s[8:9], -1, v66
	v_cndmask_b32_e64 v70, -1, v65, s[8:9]
	v_cmp_lt_i16_e64 s[8:9], -1, v68
	v_cndmask_b32_e64 v71, -1, v65, s[8:9]
	v_xor_b32_e32 v66, v70, v66
	v_xor_b32_e32 v68, v71, v68
	v_cmp_gt_u16_e64 s[8:9], v68, v66
	v_cndmask_b32_e64 v29, v29, v67, s[8:9]
	v_cndmask_b32_e64 v53, v69, v53, s[8:9]
	v_cmp_ge_u32_e64 s[8:9], v53, v29
	s_or_b64 s[22:23], s[8:9], s[22:23]
	s_andn2_b64 exec, exec, s[22:23]
	s_cbranch_execnz .LBB1749_85
; %bb.86:
	s_or_b64 exec, exec, s[22:23]
.LBB1749_87:
	s_or_b64 exec, exec, s[12:13]
	v_add_u32_e32 v55, v30, v55
	v_add_u32_e32 v54, v53, v54
	v_sub_u32_e32 v55, v55, v53
	v_cmp_le_u32_e64 s[8:9], v54, v30
	v_cmp_le_u32_e64 s[12:13], v55, v31
	v_add_u32_e32 v29, 0x1000, v28
	s_or_b64 s[8:9], s[8:9], s[12:13]
	s_and_saveexec_b64 s[22:23], s[8:9]
	s_cbranch_execz .LBB1749_123
; %bb.88:
	v_cmp_ge_u32_e64 s[8:9], v54, v30
	v_cmp_lt_u32_e64 s[12:13], v54, v30
                                        ; implicit-def: $vgpr36
	s_and_saveexec_b64 s[24:25], s[12:13]
	s_cbranch_execz .LBB1749_90
; %bb.89:
	v_lshl_add_u32 v4, v53, 1, v52
	ds_read_u16 v36, v4
.LBB1749_90:
	s_or_b64 exec, exec, s[24:25]
	v_cmp_ge_u32_e64 s[24:25], v55, v31
	v_cmp_lt_u32_e64 s[12:13], v55, v31
                                        ; implicit-def: $vgpr37
	s_and_saveexec_b64 s[26:27], s[12:13]
	s_cbranch_execz .LBB1749_92
; %bb.91:
	v_lshl_add_u32 v4, v55, 1, v14
	ds_read_u16 v37, v4
.LBB1749_92:
	s_or_b64 exec, exec, s[26:27]
	s_or_b64 s[8:9], s[8:9], s[24:25]
	s_mov_b64 s[12:13], -1
	s_xor_b64 s[8:9], s[8:9], -1
	s_and_saveexec_b64 s[26:27], s[8:9]
	s_cbranch_execz .LBB1749_94
; %bb.93:
	s_waitcnt lgkmcnt(0)
	v_add_f16_e32 v4, 0, v37
	v_add_f16_e32 v5, 0, v36
	v_mov_b32_e32 v8, 0xffff8000
	v_cmp_lt_i16_e64 s[8:9], -1, v4
	v_cndmask_b32_e64 v9, -1, v8, s[8:9]
	v_cmp_lt_i16_e64 s[8:9], -1, v5
	v_cndmask_b32_e64 v8, -1, v8, s[8:9]
	v_xor_b32_e32 v4, v9, v4
	v_xor_b32_e32 v5, v8, v5
	v_cmp_le_u16_e64 s[8:9], v4, v5
	s_andn2_b64 s[24:25], s[24:25], exec
	s_and_b64 s[8:9], s[8:9], exec
	s_or_b64 s[24:25], s[24:25], s[8:9]
.LBB1749_94:
	s_or_b64 exec, exec, s[26:27]
	v_cndmask_b32_e64 v4, v55, v54, s[24:25]
	v_cndmask_b32_e64 v5, v31, v30, s[24:25]
	v_add_u32_e32 v8, 1, v4
	v_add_u32_e32 v5, -1, v5
	v_min_u32_e32 v5, v8, v5
	v_lshl_add_u32 v5, v5, 1, v14
	ds_read_u16 v9, v5
	v_lshl_add_u32 v4, v4, 3, v12
	ds_read_b64 v[4:5], v4 offset:4096
	v_cndmask_b32_e64 v16, v8, v55, s[24:25]
	v_cndmask_b32_e64 v17, v54, v8, s[24:25]
	s_waitcnt lgkmcnt(1)
	v_cndmask_b32_e64 v48, v9, v37, s[24:25]
	v_cndmask_b32_e64 v52, v36, v9, s[24:25]
	v_cmp_lt_u32_e64 s[8:9], v16, v31
	s_and_saveexec_b64 s[26:27], s[8:9]
	s_cbranch_execz .LBB1749_98
; %bb.95:
	v_cmp_lt_u32_e64 s[8:9], v17, v30
	s_mov_b64 s[28:29], 0
	s_and_saveexec_b64 s[12:13], s[8:9]
; %bb.96:
	v_add_f16_e32 v8, 0, v48
	v_add_f16_e32 v9, 0, v52
	v_mov_b32_e32 v18, 0xffff8000
	v_cmp_lt_i16_e64 s[8:9], -1, v8
	v_cndmask_b32_e64 v19, -1, v18, s[8:9]
	v_cmp_lt_i16_e64 s[8:9], -1, v9
	v_cndmask_b32_e64 v18, -1, v18, s[8:9]
	v_xor_b32_e32 v8, v19, v8
	v_xor_b32_e32 v9, v18, v9
	v_cmp_le_u16_e64 s[8:9], v8, v9
	s_and_b64 s[28:29], s[8:9], exec
; %bb.97:
	s_or_b64 exec, exec, s[12:13]
	s_orn2_b64 s[12:13], s[28:29], exec
.LBB1749_98:
	s_or_b64 exec, exec, s[26:27]
	v_cndmask_b32_e64 v8, v16, v17, s[12:13]
	v_cndmask_b32_e64 v9, v31, v30, s[12:13]
	v_add_u32_e32 v19, 1, v8
	v_add_u32_e32 v9, -1, v9
	v_min_u32_e32 v9, v19, v9
	v_lshl_add_u32 v9, v9, 1, v14
	ds_read_u16 v18, v9
	v_lshl_add_u32 v8, v8, 3, v12
	ds_read_b64 v[8:9], v8 offset:4096
	s_mov_b64 s[28:29], -1
	s_mov_b64 s[26:27], -1
	s_waitcnt lgkmcnt(1)
	v_cndmask_b32_e64 v49, v18, v48, s[12:13]
	v_cndmask_b32_e64 v53, v52, v18, s[12:13]
	;; [unrolled: 1-line block ×4, first 2 shown]
	v_cmp_lt_u32_e64 s[8:9], v18, v31
	s_and_saveexec_b64 s[30:31], s[8:9]
	s_cbranch_execz .LBB1749_102
; %bb.99:
	v_cmp_lt_u32_e64 s[8:9], v19, v30
	s_mov_b64 s[34:35], 0
	s_and_saveexec_b64 s[26:27], s[8:9]
; %bb.100:
	v_add_f16_e32 v16, 0, v49
	v_add_f16_e32 v17, 0, v53
	v_mov_b32_e32 v20, 0xffff8000
	v_cmp_lt_i16_e64 s[8:9], -1, v16
	v_cndmask_b32_e64 v21, -1, v20, s[8:9]
	v_cmp_lt_i16_e64 s[8:9], -1, v17
	v_cndmask_b32_e64 v20, -1, v20, s[8:9]
	v_xor_b32_e32 v16, v21, v16
	v_xor_b32_e32 v17, v20, v17
	v_cmp_le_u16_e64 s[8:9], v16, v17
	s_and_b64 s[34:35], s[8:9], exec
; %bb.101:
	s_or_b64 exec, exec, s[26:27]
	s_orn2_b64 s[26:27], s[34:35], exec
.LBB1749_102:
	s_or_b64 exec, exec, s[30:31]
	v_cndmask_b32_e64 v16, v18, v19, s[26:27]
	v_cndmask_b32_e64 v17, v31, v30, s[26:27]
	v_add_u32_e32 v21, 1, v16
	v_add_u32_e32 v17, -1, v17
	v_min_u32_e32 v17, v21, v17
	v_lshl_add_u32 v17, v17, 1, v14
	ds_read_u16 v20, v17
	v_lshl_add_u32 v16, v16, 3, v12
	ds_read_b64 v[16:17], v16 offset:4096
	s_waitcnt lgkmcnt(1)
	v_cndmask_b32_e64 v26, v20, v49, s[26:27]
	v_cndmask_b32_e64 v27, v53, v20, s[26:27]
	v_cndmask_b32_e64 v20, v21, v18, s[26:27]
	v_cndmask_b32_e64 v21, v19, v21, s[26:27]
	v_cmp_lt_u32_e64 s[8:9], v20, v31
	s_and_saveexec_b64 s[30:31], s[8:9]
	s_cbranch_execz .LBB1749_106
; %bb.103:
	v_cmp_lt_u32_e64 s[8:9], v21, v30
	s_mov_b64 s[34:35], 0
	s_and_saveexec_b64 s[28:29], s[8:9]
; %bb.104:
	v_add_f16_e32 v18, 0, v26
	v_add_f16_e32 v19, 0, v27
	v_mov_b32_e32 v22, 0xffff8000
	v_cmp_lt_i16_e64 s[8:9], -1, v18
	v_cndmask_b32_e64 v23, -1, v22, s[8:9]
	v_cmp_lt_i16_e64 s[8:9], -1, v19
	v_cndmask_b32_e64 v22, -1, v22, s[8:9]
	v_xor_b32_e32 v18, v23, v18
	v_xor_b32_e32 v19, v22, v19
	v_cmp_le_u16_e64 s[8:9], v18, v19
	s_and_b64 s[34:35], s[8:9], exec
; %bb.105:
	s_or_b64 exec, exec, s[28:29]
	s_orn2_b64 s[28:29], s[34:35], exec
.LBB1749_106:
	s_or_b64 exec, exec, s[30:31]
	v_cndmask_b32_e64 v18, v20, v21, s[28:29]
	v_cndmask_b32_e64 v19, v31, v30, s[28:29]
	v_add_u32_e32 v23, 1, v18
	v_add_u32_e32 v19, -1, v19
	v_min_u32_e32 v19, v23, v19
	v_lshl_add_u32 v19, v19, 1, v14
	ds_read_u16 v22, v19
	v_lshl_add_u32 v18, v18, 3, v12
	ds_read_b64 v[18:19], v18 offset:4096
	s_mov_b64 s[34:35], -1
	s_mov_b64 s[30:31], -1
	s_waitcnt lgkmcnt(1)
	v_cndmask_b32_e64 v39, v22, v26, s[28:29]
	v_cndmask_b32_e64 v51, v27, v22, s[28:29]
	;; [unrolled: 1-line block ×4, first 2 shown]
	v_cmp_lt_u32_e64 s[8:9], v22, v31
	s_and_saveexec_b64 s[36:37], s[8:9]
	s_cbranch_execz .LBB1749_110
; %bb.107:
	v_cmp_lt_u32_e64 s[8:9], v23, v30
	s_mov_b64 s[38:39], 0
	s_and_saveexec_b64 s[30:31], s[8:9]
; %bb.108:
	v_add_f16_e32 v20, 0, v39
	v_add_f16_e32 v21, 0, v51
	v_mov_b32_e32 v24, 0xffff8000
	v_cmp_lt_i16_e64 s[8:9], -1, v20
	v_cndmask_b32_e64 v25, -1, v24, s[8:9]
	v_cmp_lt_i16_e64 s[8:9], -1, v21
	v_cndmask_b32_e64 v24, -1, v24, s[8:9]
	v_xor_b32_e32 v20, v25, v20
	v_xor_b32_e32 v21, v24, v21
	v_cmp_le_u16_e64 s[8:9], v20, v21
	s_and_b64 s[38:39], s[8:9], exec
; %bb.109:
	s_or_b64 exec, exec, s[30:31]
	s_orn2_b64 s[30:31], s[38:39], exec
.LBB1749_110:
	s_or_b64 exec, exec, s[36:37]
	v_cndmask_b32_e64 v20, v22, v23, s[30:31]
	v_cndmask_b32_e64 v21, v31, v30, s[30:31]
	v_add_u32_e32 v24, 1, v20
	v_add_u32_e32 v21, -1, v21
	v_min_u32_e32 v21, v24, v21
	v_lshl_add_u32 v21, v21, 1, v14
	ds_read_u16 v25, v21
	v_lshl_add_u32 v20, v20, 3, v12
	ds_read_b64 v[20:21], v20 offset:4096
	v_cndmask_b32_e64 v22, v24, v22, s[30:31]
	v_cndmask_b32_e64 v23, v23, v24, s[30:31]
	s_waitcnt lgkmcnt(1)
	v_cndmask_b32_e64 v38, v25, v39, s[30:31]
	v_cndmask_b32_e64 v54, v51, v25, s[30:31]
	v_cmp_lt_u32_e64 s[8:9], v22, v31
	s_and_saveexec_b64 s[36:37], s[8:9]
	s_cbranch_execz .LBB1749_114
; %bb.111:
	v_cmp_lt_u32_e64 s[8:9], v23, v30
	s_mov_b64 s[38:39], 0
	s_and_saveexec_b64 s[34:35], s[8:9]
; %bb.112:
	v_add_f16_e32 v24, 0, v38
	v_add_f16_e32 v25, 0, v54
	v_mov_b32_e32 v50, 0xffff8000
	v_cmp_lt_i16_e64 s[8:9], -1, v24
	v_cndmask_b32_e64 v55, -1, v50, s[8:9]
	v_cmp_lt_i16_e64 s[8:9], -1, v25
	v_cndmask_b32_e64 v50, -1, v50, s[8:9]
	v_xor_b32_e32 v24, v55, v24
	v_xor_b32_e32 v25, v50, v25
	v_cmp_le_u16_e64 s[8:9], v24, v25
	s_and_b64 s[38:39], s[8:9], exec
; %bb.113:
	s_or_b64 exec, exec, s[34:35]
	s_orn2_b64 s[34:35], s[38:39], exec
.LBB1749_114:
	s_or_b64 exec, exec, s[36:37]
	v_cndmask_b32_e64 v24, v22, v23, s[34:35]
	v_cndmask_b32_e64 v25, v31, v30, s[34:35]
	v_add_u32_e32 v64, 1, v24
	v_add_u32_e32 v25, -1, v25
	v_min_u32_e32 v25, v64, v25
	v_lshl_add_u32 v25, v25, 1, v14
	ds_read_u16 v55, v25
	v_lshl_add_u32 v24, v24, 3, v12
	ds_read_b64 v[24:25], v24 offset:4096
	v_cndmask_b32_e64 v66, v64, v22, s[34:35]
	v_cndmask_b32_e64 v67, v23, v64, s[34:35]
	s_waitcnt lgkmcnt(1)
	v_cndmask_b32_e64 v50, v55, v38, s[34:35]
	v_cndmask_b32_e64 v55, v54, v55, s[34:35]
	v_cmp_lt_u32_e64 s[8:9], v66, v31
	s_mov_b64 s[36:37], -1
	s_mov_b64 s[38:39], -1
	s_and_saveexec_b64 s[40:41], s[8:9]
	s_cbranch_execz .LBB1749_118
; %bb.115:
	v_cmp_lt_u32_e64 s[8:9], v67, v30
	s_mov_b64 s[42:43], 0
	s_and_saveexec_b64 s[38:39], s[8:9]
; %bb.116:
	v_add_f16_e32 v22, 0, v50
	v_add_f16_e32 v23, 0, v55
	v_mov_b32_e32 v64, 0xffff8000
	v_cmp_lt_i16_e64 s[8:9], -1, v22
	v_cndmask_b32_e64 v65, -1, v64, s[8:9]
	v_cmp_lt_i16_e64 s[8:9], -1, v23
	v_cndmask_b32_e64 v64, -1, v64, s[8:9]
	v_xor_b32_e32 v22, v65, v22
	v_xor_b32_e32 v23, v64, v23
	v_cmp_le_u16_e64 s[8:9], v22, v23
	s_and_b64 s[42:43], s[8:9], exec
; %bb.117:
	s_or_b64 exec, exec, s[38:39]
	s_orn2_b64 s[38:39], s[42:43], exec
.LBB1749_118:
	s_or_b64 exec, exec, s[40:41]
	v_cndmask_b32_e64 v22, v66, v67, s[38:39]
	v_cndmask_b32_e64 v23, v31, v30, s[38:39]
	v_add_u32_e32 v68, 1, v22
	v_add_u32_e32 v23, -1, v23
	v_min_u32_e32 v23, v68, v23
	v_lshl_add_u32 v23, v23, 1, v14
	ds_read_u16 v65, v23
	v_lshl_add_u32 v22, v22, 3, v12
	ds_read_b64 v[22:23], v22 offset:4096
	v_cndmask_b32_e64 v66, v68, v66, s[38:39]
	v_cndmask_b32_e64 v67, v67, v68, s[38:39]
	s_waitcnt lgkmcnt(1)
	v_cndmask_b32_e64 v64, v65, v50, s[38:39]
	v_cndmask_b32_e64 v65, v55, v65, s[38:39]
	v_cmp_lt_u32_e64 s[8:9], v66, v31
	s_and_saveexec_b64 s[40:41], s[8:9]
	s_cbranch_execz .LBB1749_122
; %bb.119:
	v_cmp_lt_u32_e64 s[8:9], v67, v30
	s_mov_b64 s[42:43], 0
	s_and_saveexec_b64 s[36:37], s[8:9]
; %bb.120:
	v_add_f16_e32 v30, 0, v64
	v_add_f16_e32 v31, 0, v65
	v_mov_b32_e32 v68, 0xffff8000
	v_cmp_lt_i16_e64 s[8:9], -1, v30
	v_cndmask_b32_e64 v69, -1, v68, s[8:9]
	v_cmp_lt_i16_e64 s[8:9], -1, v31
	v_cndmask_b32_e64 v68, -1, v68, s[8:9]
	v_xor_b32_e32 v30, v69, v30
	v_xor_b32_e32 v31, v68, v31
	v_cmp_le_u16_e64 s[8:9], v30, v31
	s_and_b64 s[42:43], s[8:9], exec
; %bb.121:
	s_or_b64 exec, exec, s[36:37]
	s_orn2_b64 s[36:37], s[42:43], exec
.LBB1749_122:
	s_or_b64 exec, exec, s[40:41]
	v_cndmask_b32_e64 v39, v39, v51, s[30:31]
	v_cndmask_b32_e64 v51, v26, v27, s[28:29]
	;; [unrolled: 1-line block ×3, first 2 shown]
	v_lshl_add_u32 v26, v26, 3, v12
	ds_read_b64 v[26:27], v26 offset:4096
	v_cndmask_b32_e64 v50, v50, v55, s[38:39]
	v_cndmask_b32_e64 v38, v38, v54, s[34:35]
	;; [unrolled: 1-line block ×6, first 2 shown]
.LBB1749_123:
	s_or_b64 exec, exec, s[22:23]
	v_and_b32_e32 v54, 0x3e0, v35
	v_or_b32_e32 v30, 16, v54
	v_min_u32_e32 v30, v15, v30
	v_add_u32_e32 v31, 16, v30
	v_min_u32_e32 v31, v15, v31
	v_and_b32_e32 v52, 24, v35
	v_min_u32_e32 v55, v15, v52
	v_sub_u32_e32 v64, v30, v54
	v_sub_u32_e32 v53, v31, v30
	v_sub_u32_e64 v53, v55, v53 clamp
	v_min_u32_e32 v64, v55, v64
	v_lshl_add_u32 v52, v54, 1, v14
	v_cmp_lt_u32_e64 s[8:9], v53, v64
	; wave barrier
	ds_write_b16 v13, v36
	ds_write_b64 v28, v[4:5] offset:4096
	ds_write_b16 v13, v48 offset:2
	ds_write_b64 v29, v[8:9] offset:8
	ds_write_b16 v13, v49 offset:4
	;; [unrolled: 2-line block ×6, first 2 shown]
	s_waitcnt lgkmcnt(14)
	ds_write_b64 v29, v[22:23] offset:48
	ds_write_b16 v13, v37 offset:14
	s_waitcnt lgkmcnt(14)
	ds_write_b64 v29, v[26:27] offset:56
	; wave barrier
	s_and_saveexec_b64 s[12:13], s[8:9]
	s_cbranch_execz .LBB1749_127
; %bb.124:
	v_lshlrev_b32_e32 v65, 1, v30
	v_lshlrev_b32_e32 v66, 1, v55
	v_add3_u32 v65, v14, v65, v66
	s_mov_b64 s[22:23], 0
	v_mov_b32_e32 v66, 0xffff8000
.LBB1749_125:                           ; =>This Inner Loop Header: Depth=1
	v_add_u32_e32 v67, v64, v53
	v_lshrrev_b32_e32 v68, 1, v67
	v_and_b32_e32 v67, -2, v67
	v_not_b32_e32 v69, v68
	v_add_u32_e32 v67, v52, v67
	v_lshl_add_u32 v69, v69, 1, v65
	ds_read_u16 v67, v67
	ds_read_u16 v69, v69
	v_add_u32_e32 v70, 1, v68
	s_waitcnt lgkmcnt(1)
	v_add_f16_e32 v67, 0, v67
	s_waitcnt lgkmcnt(0)
	v_add_f16_e32 v69, 0, v69
	v_cmp_lt_i16_e64 s[8:9], -1, v67
	v_cndmask_b32_e64 v71, -1, v66, s[8:9]
	v_cmp_lt_i16_e64 s[8:9], -1, v69
	v_cndmask_b32_e64 v80, -1, v66, s[8:9]
	v_xor_b32_e32 v67, v71, v67
	v_xor_b32_e32 v69, v80, v69
	v_cmp_gt_u16_e64 s[8:9], v69, v67
	v_cndmask_b32_e64 v64, v64, v68, s[8:9]
	v_cndmask_b32_e64 v53, v70, v53, s[8:9]
	v_cmp_ge_u32_e64 s[8:9], v53, v64
	s_or_b64 s[22:23], s[8:9], s[22:23]
	s_andn2_b64 exec, exec, s[22:23]
	s_cbranch_execnz .LBB1749_125
; %bb.126:
	s_or_b64 exec, exec, s[22:23]
.LBB1749_127:
	s_or_b64 exec, exec, s[12:13]
	v_add_u32_e32 v55, v30, v55
	v_add_u32_e32 v54, v53, v54
	v_sub_u32_e32 v55, v55, v53
	v_cmp_le_u32_e64 s[8:9], v54, v30
	v_cmp_le_u32_e64 s[12:13], v55, v31
	s_or_b64 s[8:9], s[8:9], s[12:13]
	s_and_saveexec_b64 s[22:23], s[8:9]
	s_cbranch_execz .LBB1749_163
; %bb.128:
	v_cmp_ge_u32_e64 s[8:9], v54, v30
	v_cmp_lt_u32_e64 s[12:13], v54, v30
                                        ; implicit-def: $vgpr36
	s_and_saveexec_b64 s[24:25], s[12:13]
	s_cbranch_execz .LBB1749_130
; %bb.129:
	v_lshl_add_u32 v4, v53, 1, v52
	ds_read_u16 v36, v4
.LBB1749_130:
	s_or_b64 exec, exec, s[24:25]
	v_cmp_ge_u32_e64 s[24:25], v55, v31
	v_cmp_lt_u32_e64 s[12:13], v55, v31
                                        ; implicit-def: $vgpr37
	s_and_saveexec_b64 s[26:27], s[12:13]
	s_cbranch_execz .LBB1749_132
; %bb.131:
	v_lshl_add_u32 v4, v55, 1, v14
	ds_read_u16 v37, v4
.LBB1749_132:
	s_or_b64 exec, exec, s[26:27]
	s_or_b64 s[8:9], s[8:9], s[24:25]
	s_mov_b64 s[12:13], -1
	s_xor_b64 s[8:9], s[8:9], -1
	s_and_saveexec_b64 s[26:27], s[8:9]
	s_cbranch_execz .LBB1749_134
; %bb.133:
	s_waitcnt lgkmcnt(0)
	v_add_f16_e32 v4, 0, v37
	v_add_f16_e32 v5, 0, v36
	v_mov_b32_e32 v8, 0xffff8000
	v_cmp_lt_i16_e64 s[8:9], -1, v4
	v_cndmask_b32_e64 v9, -1, v8, s[8:9]
	v_cmp_lt_i16_e64 s[8:9], -1, v5
	v_cndmask_b32_e64 v8, -1, v8, s[8:9]
	v_xor_b32_e32 v4, v9, v4
	v_xor_b32_e32 v5, v8, v5
	v_cmp_le_u16_e64 s[8:9], v4, v5
	s_andn2_b64 s[24:25], s[24:25], exec
	s_and_b64 s[8:9], s[8:9], exec
	s_or_b64 s[24:25], s[24:25], s[8:9]
.LBB1749_134:
	s_or_b64 exec, exec, s[26:27]
	v_cndmask_b32_e64 v4, v55, v54, s[24:25]
	v_cndmask_b32_e64 v5, v31, v30, s[24:25]
	v_add_u32_e32 v8, 1, v4
	v_add_u32_e32 v5, -1, v5
	v_min_u32_e32 v5, v8, v5
	v_lshl_add_u32 v5, v5, 1, v14
	ds_read_u16 v9, v5
	v_lshl_add_u32 v4, v4, 3, v12
	ds_read_b64 v[4:5], v4 offset:4096
	v_cndmask_b32_e64 v16, v8, v55, s[24:25]
	v_cndmask_b32_e64 v17, v54, v8, s[24:25]
	s_waitcnt lgkmcnt(1)
	v_cndmask_b32_e64 v48, v9, v37, s[24:25]
	v_cndmask_b32_e64 v52, v36, v9, s[24:25]
	v_cmp_lt_u32_e64 s[8:9], v16, v31
	s_and_saveexec_b64 s[26:27], s[8:9]
	s_cbranch_execz .LBB1749_138
; %bb.135:
	v_cmp_lt_u32_e64 s[8:9], v17, v30
	s_mov_b64 s[28:29], 0
	s_and_saveexec_b64 s[12:13], s[8:9]
; %bb.136:
	v_add_f16_e32 v8, 0, v48
	v_add_f16_e32 v9, 0, v52
	v_mov_b32_e32 v18, 0xffff8000
	v_cmp_lt_i16_e64 s[8:9], -1, v8
	v_cndmask_b32_e64 v19, -1, v18, s[8:9]
	v_cmp_lt_i16_e64 s[8:9], -1, v9
	v_cndmask_b32_e64 v18, -1, v18, s[8:9]
	v_xor_b32_e32 v8, v19, v8
	v_xor_b32_e32 v9, v18, v9
	v_cmp_le_u16_e64 s[8:9], v8, v9
	s_and_b64 s[28:29], s[8:9], exec
; %bb.137:
	s_or_b64 exec, exec, s[12:13]
	s_orn2_b64 s[12:13], s[28:29], exec
.LBB1749_138:
	s_or_b64 exec, exec, s[26:27]
	v_cndmask_b32_e64 v8, v16, v17, s[12:13]
	v_cndmask_b32_e64 v9, v31, v30, s[12:13]
	v_add_u32_e32 v19, 1, v8
	v_add_u32_e32 v9, -1, v9
	v_min_u32_e32 v9, v19, v9
	v_lshl_add_u32 v9, v9, 1, v14
	ds_read_u16 v18, v9
	v_lshl_add_u32 v8, v8, 3, v12
	ds_read_b64 v[8:9], v8 offset:4096
	s_mov_b64 s[28:29], -1
	s_mov_b64 s[26:27], -1
	s_waitcnt lgkmcnt(1)
	v_cndmask_b32_e64 v49, v18, v48, s[12:13]
	v_cndmask_b32_e64 v53, v52, v18, s[12:13]
	;; [unrolled: 1-line block ×4, first 2 shown]
	v_cmp_lt_u32_e64 s[8:9], v18, v31
	s_and_saveexec_b64 s[30:31], s[8:9]
	s_cbranch_execz .LBB1749_142
; %bb.139:
	v_cmp_lt_u32_e64 s[8:9], v19, v30
	s_mov_b64 s[34:35], 0
	s_and_saveexec_b64 s[26:27], s[8:9]
; %bb.140:
	v_add_f16_e32 v16, 0, v49
	v_add_f16_e32 v17, 0, v53
	v_mov_b32_e32 v20, 0xffff8000
	v_cmp_lt_i16_e64 s[8:9], -1, v16
	v_cndmask_b32_e64 v21, -1, v20, s[8:9]
	v_cmp_lt_i16_e64 s[8:9], -1, v17
	v_cndmask_b32_e64 v20, -1, v20, s[8:9]
	v_xor_b32_e32 v16, v21, v16
	v_xor_b32_e32 v17, v20, v17
	v_cmp_le_u16_e64 s[8:9], v16, v17
	s_and_b64 s[34:35], s[8:9], exec
; %bb.141:
	s_or_b64 exec, exec, s[26:27]
	s_orn2_b64 s[26:27], s[34:35], exec
.LBB1749_142:
	s_or_b64 exec, exec, s[30:31]
	v_cndmask_b32_e64 v16, v18, v19, s[26:27]
	v_cndmask_b32_e64 v17, v31, v30, s[26:27]
	v_add_u32_e32 v21, 1, v16
	v_add_u32_e32 v17, -1, v17
	v_min_u32_e32 v17, v21, v17
	v_lshl_add_u32 v17, v17, 1, v14
	ds_read_u16 v20, v17
	v_lshl_add_u32 v16, v16, 3, v12
	ds_read_b64 v[16:17], v16 offset:4096
	s_waitcnt lgkmcnt(1)
	v_cndmask_b32_e64 v26, v20, v49, s[26:27]
	v_cndmask_b32_e64 v27, v53, v20, s[26:27]
	v_cndmask_b32_e64 v20, v21, v18, s[26:27]
	v_cndmask_b32_e64 v21, v19, v21, s[26:27]
	v_cmp_lt_u32_e64 s[8:9], v20, v31
	s_and_saveexec_b64 s[30:31], s[8:9]
	s_cbranch_execz .LBB1749_146
; %bb.143:
	v_cmp_lt_u32_e64 s[8:9], v21, v30
	s_mov_b64 s[34:35], 0
	s_and_saveexec_b64 s[28:29], s[8:9]
; %bb.144:
	v_add_f16_e32 v18, 0, v26
	v_add_f16_e32 v19, 0, v27
	v_mov_b32_e32 v22, 0xffff8000
	v_cmp_lt_i16_e64 s[8:9], -1, v18
	v_cndmask_b32_e64 v23, -1, v22, s[8:9]
	v_cmp_lt_i16_e64 s[8:9], -1, v19
	v_cndmask_b32_e64 v22, -1, v22, s[8:9]
	v_xor_b32_e32 v18, v23, v18
	v_xor_b32_e32 v19, v22, v19
	v_cmp_le_u16_e64 s[8:9], v18, v19
	s_and_b64 s[34:35], s[8:9], exec
; %bb.145:
	s_or_b64 exec, exec, s[28:29]
	s_orn2_b64 s[28:29], s[34:35], exec
.LBB1749_146:
	s_or_b64 exec, exec, s[30:31]
	v_cndmask_b32_e64 v18, v20, v21, s[28:29]
	v_cndmask_b32_e64 v19, v31, v30, s[28:29]
	v_add_u32_e32 v23, 1, v18
	v_add_u32_e32 v19, -1, v19
	v_min_u32_e32 v19, v23, v19
	v_lshl_add_u32 v19, v19, 1, v14
	ds_read_u16 v22, v19
	v_lshl_add_u32 v18, v18, 3, v12
	ds_read_b64 v[18:19], v18 offset:4096
	s_mov_b64 s[34:35], -1
	s_mov_b64 s[30:31], -1
	s_waitcnt lgkmcnt(1)
	v_cndmask_b32_e64 v39, v22, v26, s[28:29]
	v_cndmask_b32_e64 v51, v27, v22, s[28:29]
	;; [unrolled: 1-line block ×4, first 2 shown]
	v_cmp_lt_u32_e64 s[8:9], v22, v31
	s_and_saveexec_b64 s[36:37], s[8:9]
	s_cbranch_execz .LBB1749_150
; %bb.147:
	v_cmp_lt_u32_e64 s[8:9], v23, v30
	s_mov_b64 s[38:39], 0
	s_and_saveexec_b64 s[30:31], s[8:9]
; %bb.148:
	v_add_f16_e32 v20, 0, v39
	v_add_f16_e32 v21, 0, v51
	v_mov_b32_e32 v24, 0xffff8000
	v_cmp_lt_i16_e64 s[8:9], -1, v20
	v_cndmask_b32_e64 v25, -1, v24, s[8:9]
	v_cmp_lt_i16_e64 s[8:9], -1, v21
	v_cndmask_b32_e64 v24, -1, v24, s[8:9]
	v_xor_b32_e32 v20, v25, v20
	v_xor_b32_e32 v21, v24, v21
	v_cmp_le_u16_e64 s[8:9], v20, v21
	s_and_b64 s[38:39], s[8:9], exec
; %bb.149:
	s_or_b64 exec, exec, s[30:31]
	s_orn2_b64 s[30:31], s[38:39], exec
.LBB1749_150:
	s_or_b64 exec, exec, s[36:37]
	v_cndmask_b32_e64 v20, v22, v23, s[30:31]
	v_cndmask_b32_e64 v21, v31, v30, s[30:31]
	v_add_u32_e32 v24, 1, v20
	v_add_u32_e32 v21, -1, v21
	v_min_u32_e32 v21, v24, v21
	v_lshl_add_u32 v21, v21, 1, v14
	ds_read_u16 v25, v21
	v_lshl_add_u32 v20, v20, 3, v12
	ds_read_b64 v[20:21], v20 offset:4096
	v_cndmask_b32_e64 v22, v24, v22, s[30:31]
	v_cndmask_b32_e64 v23, v23, v24, s[30:31]
	s_waitcnt lgkmcnt(1)
	v_cndmask_b32_e64 v38, v25, v39, s[30:31]
	v_cndmask_b32_e64 v54, v51, v25, s[30:31]
	v_cmp_lt_u32_e64 s[8:9], v22, v31
	s_and_saveexec_b64 s[36:37], s[8:9]
	s_cbranch_execz .LBB1749_154
; %bb.151:
	v_cmp_lt_u32_e64 s[8:9], v23, v30
	s_mov_b64 s[38:39], 0
	s_and_saveexec_b64 s[34:35], s[8:9]
; %bb.152:
	v_add_f16_e32 v24, 0, v38
	v_add_f16_e32 v25, 0, v54
	v_mov_b32_e32 v50, 0xffff8000
	v_cmp_lt_i16_e64 s[8:9], -1, v24
	v_cndmask_b32_e64 v55, -1, v50, s[8:9]
	v_cmp_lt_i16_e64 s[8:9], -1, v25
	v_cndmask_b32_e64 v50, -1, v50, s[8:9]
	v_xor_b32_e32 v24, v55, v24
	v_xor_b32_e32 v25, v50, v25
	v_cmp_le_u16_e64 s[8:9], v24, v25
	s_and_b64 s[38:39], s[8:9], exec
; %bb.153:
	s_or_b64 exec, exec, s[34:35]
	s_orn2_b64 s[34:35], s[38:39], exec
.LBB1749_154:
	s_or_b64 exec, exec, s[36:37]
	v_cndmask_b32_e64 v24, v22, v23, s[34:35]
	v_cndmask_b32_e64 v25, v31, v30, s[34:35]
	v_add_u32_e32 v64, 1, v24
	v_add_u32_e32 v25, -1, v25
	v_min_u32_e32 v25, v64, v25
	v_lshl_add_u32 v25, v25, 1, v14
	ds_read_u16 v55, v25
	v_lshl_add_u32 v24, v24, 3, v12
	ds_read_b64 v[24:25], v24 offset:4096
	v_cndmask_b32_e64 v66, v64, v22, s[34:35]
	v_cndmask_b32_e64 v67, v23, v64, s[34:35]
	s_waitcnt lgkmcnt(1)
	v_cndmask_b32_e64 v50, v55, v38, s[34:35]
	v_cndmask_b32_e64 v55, v54, v55, s[34:35]
	v_cmp_lt_u32_e64 s[8:9], v66, v31
	s_mov_b64 s[36:37], -1
	s_mov_b64 s[38:39], -1
	s_and_saveexec_b64 s[40:41], s[8:9]
	s_cbranch_execz .LBB1749_158
; %bb.155:
	v_cmp_lt_u32_e64 s[8:9], v67, v30
	s_mov_b64 s[42:43], 0
	s_and_saveexec_b64 s[38:39], s[8:9]
; %bb.156:
	v_add_f16_e32 v22, 0, v50
	v_add_f16_e32 v23, 0, v55
	v_mov_b32_e32 v64, 0xffff8000
	v_cmp_lt_i16_e64 s[8:9], -1, v22
	v_cndmask_b32_e64 v65, -1, v64, s[8:9]
	v_cmp_lt_i16_e64 s[8:9], -1, v23
	v_cndmask_b32_e64 v64, -1, v64, s[8:9]
	v_xor_b32_e32 v22, v65, v22
	v_xor_b32_e32 v23, v64, v23
	v_cmp_le_u16_e64 s[8:9], v22, v23
	s_and_b64 s[42:43], s[8:9], exec
; %bb.157:
	s_or_b64 exec, exec, s[38:39]
	s_orn2_b64 s[38:39], s[42:43], exec
.LBB1749_158:
	s_or_b64 exec, exec, s[40:41]
	v_cndmask_b32_e64 v22, v66, v67, s[38:39]
	v_cndmask_b32_e64 v23, v31, v30, s[38:39]
	v_add_u32_e32 v68, 1, v22
	v_add_u32_e32 v23, -1, v23
	v_min_u32_e32 v23, v68, v23
	v_lshl_add_u32 v23, v23, 1, v14
	ds_read_u16 v65, v23
	v_lshl_add_u32 v22, v22, 3, v12
	ds_read_b64 v[22:23], v22 offset:4096
	v_cndmask_b32_e64 v66, v68, v66, s[38:39]
	v_cndmask_b32_e64 v67, v67, v68, s[38:39]
	s_waitcnt lgkmcnt(1)
	v_cndmask_b32_e64 v64, v65, v50, s[38:39]
	v_cndmask_b32_e64 v65, v55, v65, s[38:39]
	v_cmp_lt_u32_e64 s[8:9], v66, v31
	s_and_saveexec_b64 s[40:41], s[8:9]
	s_cbranch_execz .LBB1749_162
; %bb.159:
	v_cmp_lt_u32_e64 s[8:9], v67, v30
	s_mov_b64 s[42:43], 0
	s_and_saveexec_b64 s[36:37], s[8:9]
; %bb.160:
	v_add_f16_e32 v30, 0, v64
	v_add_f16_e32 v31, 0, v65
	v_mov_b32_e32 v68, 0xffff8000
	v_cmp_lt_i16_e64 s[8:9], -1, v30
	v_cndmask_b32_e64 v69, -1, v68, s[8:9]
	v_cmp_lt_i16_e64 s[8:9], -1, v31
	v_cndmask_b32_e64 v68, -1, v68, s[8:9]
	v_xor_b32_e32 v30, v69, v30
	v_xor_b32_e32 v31, v68, v31
	v_cmp_le_u16_e64 s[8:9], v30, v31
	s_and_b64 s[42:43], s[8:9], exec
; %bb.161:
	s_or_b64 exec, exec, s[36:37]
	s_orn2_b64 s[36:37], s[42:43], exec
.LBB1749_162:
	s_or_b64 exec, exec, s[40:41]
	v_cndmask_b32_e64 v39, v39, v51, s[30:31]
	v_cndmask_b32_e64 v51, v26, v27, s[28:29]
	;; [unrolled: 1-line block ×3, first 2 shown]
	v_lshl_add_u32 v26, v26, 3, v12
	ds_read_b64 v[26:27], v26 offset:4096
	v_cndmask_b32_e64 v50, v50, v55, s[38:39]
	v_cndmask_b32_e64 v38, v38, v54, s[34:35]
	;; [unrolled: 1-line block ×6, first 2 shown]
.LBB1749_163:
	s_or_b64 exec, exec, s[22:23]
	v_and_b32_e32 v54, 0x3c0, v35
	v_or_b32_e32 v30, 32, v54
	v_min_u32_e32 v30, v15, v30
	v_add_u32_e32 v31, 32, v30
	v_min_u32_e32 v31, v15, v31
	v_and_b32_e32 v52, 56, v35
	v_min_u32_e32 v55, v15, v52
	v_sub_u32_e32 v64, v30, v54
	v_sub_u32_e32 v53, v31, v30
	v_sub_u32_e64 v53, v55, v53 clamp
	v_min_u32_e32 v64, v55, v64
	v_lshl_add_u32 v52, v54, 1, v14
	v_cmp_lt_u32_e64 s[8:9], v53, v64
	; wave barrier
	ds_write_b16 v13, v36
	ds_write_b64 v28, v[4:5] offset:4096
	ds_write_b16 v13, v48 offset:2
	ds_write_b64 v29, v[8:9] offset:8
	ds_write_b16 v13, v49 offset:4
	ds_write_b64 v29, v[16:17] offset:16
	ds_write_b16 v13, v51 offset:6
	ds_write_b64 v29, v[18:19] offset:24
	ds_write_b16 v13, v39 offset:8
	ds_write_b64 v29, v[20:21] offset:32
	ds_write_b16 v13, v38 offset:10
	ds_write_b64 v29, v[24:25] offset:40
	ds_write_b16 v13, v50 offset:12
	s_waitcnt lgkmcnt(14)
	ds_write_b64 v29, v[22:23] offset:48
	ds_write_b16 v13, v37 offset:14
	s_waitcnt lgkmcnt(14)
	ds_write_b64 v29, v[26:27] offset:56
	; wave barrier
	s_and_saveexec_b64 s[12:13], s[8:9]
	s_cbranch_execz .LBB1749_167
; %bb.164:
	v_lshlrev_b32_e32 v65, 1, v30
	v_lshlrev_b32_e32 v66, 1, v55
	v_add3_u32 v65, v14, v65, v66
	s_mov_b64 s[22:23], 0
	v_mov_b32_e32 v66, 0xffff8000
.LBB1749_165:                           ; =>This Inner Loop Header: Depth=1
	v_add_u32_e32 v67, v64, v53
	v_lshrrev_b32_e32 v68, 1, v67
	v_and_b32_e32 v67, -2, v67
	v_not_b32_e32 v69, v68
	v_add_u32_e32 v67, v52, v67
	v_lshl_add_u32 v69, v69, 1, v65
	ds_read_u16 v67, v67
	ds_read_u16 v69, v69
	v_add_u32_e32 v70, 1, v68
	s_waitcnt lgkmcnt(1)
	v_add_f16_e32 v67, 0, v67
	s_waitcnt lgkmcnt(0)
	v_add_f16_e32 v69, 0, v69
	v_cmp_lt_i16_e64 s[8:9], -1, v67
	v_cndmask_b32_e64 v71, -1, v66, s[8:9]
	v_cmp_lt_i16_e64 s[8:9], -1, v69
	v_cndmask_b32_e64 v80, -1, v66, s[8:9]
	v_xor_b32_e32 v67, v71, v67
	v_xor_b32_e32 v69, v80, v69
	v_cmp_gt_u16_e64 s[8:9], v69, v67
	v_cndmask_b32_e64 v64, v64, v68, s[8:9]
	v_cndmask_b32_e64 v53, v70, v53, s[8:9]
	v_cmp_ge_u32_e64 s[8:9], v53, v64
	s_or_b64 s[22:23], s[8:9], s[22:23]
	s_andn2_b64 exec, exec, s[22:23]
	s_cbranch_execnz .LBB1749_165
; %bb.166:
	s_or_b64 exec, exec, s[22:23]
.LBB1749_167:
	s_or_b64 exec, exec, s[12:13]
	v_add_u32_e32 v55, v30, v55
	v_add_u32_e32 v54, v53, v54
	v_sub_u32_e32 v55, v55, v53
	v_cmp_le_u32_e64 s[8:9], v54, v30
	v_cmp_le_u32_e64 s[12:13], v55, v31
	s_or_b64 s[8:9], s[8:9], s[12:13]
	s_and_saveexec_b64 s[22:23], s[8:9]
	s_cbranch_execz .LBB1749_203
; %bb.168:
	v_cmp_ge_u32_e64 s[8:9], v54, v30
	v_cmp_lt_u32_e64 s[12:13], v54, v30
                                        ; implicit-def: $vgpr36
	s_and_saveexec_b64 s[24:25], s[12:13]
	s_cbranch_execz .LBB1749_170
; %bb.169:
	v_lshl_add_u32 v4, v53, 1, v52
	ds_read_u16 v36, v4
.LBB1749_170:
	s_or_b64 exec, exec, s[24:25]
	v_cmp_ge_u32_e64 s[24:25], v55, v31
	v_cmp_lt_u32_e64 s[12:13], v55, v31
                                        ; implicit-def: $vgpr37
	s_and_saveexec_b64 s[26:27], s[12:13]
	s_cbranch_execz .LBB1749_172
; %bb.171:
	v_lshl_add_u32 v4, v55, 1, v14
	ds_read_u16 v37, v4
.LBB1749_172:
	s_or_b64 exec, exec, s[26:27]
	s_or_b64 s[8:9], s[8:9], s[24:25]
	s_mov_b64 s[12:13], -1
	s_xor_b64 s[8:9], s[8:9], -1
	s_and_saveexec_b64 s[26:27], s[8:9]
	s_cbranch_execz .LBB1749_174
; %bb.173:
	s_waitcnt lgkmcnt(0)
	v_add_f16_e32 v4, 0, v37
	v_add_f16_e32 v5, 0, v36
	v_mov_b32_e32 v8, 0xffff8000
	v_cmp_lt_i16_e64 s[8:9], -1, v4
	v_cndmask_b32_e64 v9, -1, v8, s[8:9]
	v_cmp_lt_i16_e64 s[8:9], -1, v5
	v_cndmask_b32_e64 v8, -1, v8, s[8:9]
	v_xor_b32_e32 v4, v9, v4
	v_xor_b32_e32 v5, v8, v5
	v_cmp_le_u16_e64 s[8:9], v4, v5
	s_andn2_b64 s[24:25], s[24:25], exec
	s_and_b64 s[8:9], s[8:9], exec
	s_or_b64 s[24:25], s[24:25], s[8:9]
.LBB1749_174:
	s_or_b64 exec, exec, s[26:27]
	v_cndmask_b32_e64 v4, v55, v54, s[24:25]
	v_cndmask_b32_e64 v5, v31, v30, s[24:25]
	v_add_u32_e32 v8, 1, v4
	v_add_u32_e32 v5, -1, v5
	v_min_u32_e32 v5, v8, v5
	v_lshl_add_u32 v5, v5, 1, v14
	ds_read_u16 v9, v5
	v_lshl_add_u32 v4, v4, 3, v12
	ds_read_b64 v[4:5], v4 offset:4096
	v_cndmask_b32_e64 v16, v8, v55, s[24:25]
	v_cndmask_b32_e64 v17, v54, v8, s[24:25]
	s_waitcnt lgkmcnt(1)
	v_cndmask_b32_e64 v48, v9, v37, s[24:25]
	v_cndmask_b32_e64 v52, v36, v9, s[24:25]
	v_cmp_lt_u32_e64 s[8:9], v16, v31
	s_and_saveexec_b64 s[26:27], s[8:9]
	s_cbranch_execz .LBB1749_178
; %bb.175:
	v_cmp_lt_u32_e64 s[8:9], v17, v30
	s_mov_b64 s[28:29], 0
	s_and_saveexec_b64 s[12:13], s[8:9]
; %bb.176:
	v_add_f16_e32 v8, 0, v48
	v_add_f16_e32 v9, 0, v52
	v_mov_b32_e32 v18, 0xffff8000
	v_cmp_lt_i16_e64 s[8:9], -1, v8
	v_cndmask_b32_e64 v19, -1, v18, s[8:9]
	v_cmp_lt_i16_e64 s[8:9], -1, v9
	v_cndmask_b32_e64 v18, -1, v18, s[8:9]
	v_xor_b32_e32 v8, v19, v8
	v_xor_b32_e32 v9, v18, v9
	v_cmp_le_u16_e64 s[8:9], v8, v9
	s_and_b64 s[28:29], s[8:9], exec
; %bb.177:
	s_or_b64 exec, exec, s[12:13]
	s_orn2_b64 s[12:13], s[28:29], exec
.LBB1749_178:
	s_or_b64 exec, exec, s[26:27]
	v_cndmask_b32_e64 v8, v16, v17, s[12:13]
	v_cndmask_b32_e64 v9, v31, v30, s[12:13]
	v_add_u32_e32 v19, 1, v8
	v_add_u32_e32 v9, -1, v9
	v_min_u32_e32 v9, v19, v9
	v_lshl_add_u32 v9, v9, 1, v14
	ds_read_u16 v18, v9
	v_lshl_add_u32 v8, v8, 3, v12
	ds_read_b64 v[8:9], v8 offset:4096
	s_mov_b64 s[28:29], -1
	s_mov_b64 s[26:27], -1
	s_waitcnt lgkmcnt(1)
	v_cndmask_b32_e64 v49, v18, v48, s[12:13]
	v_cndmask_b32_e64 v53, v52, v18, s[12:13]
	;; [unrolled: 1-line block ×4, first 2 shown]
	v_cmp_lt_u32_e64 s[8:9], v18, v31
	s_and_saveexec_b64 s[30:31], s[8:9]
	s_cbranch_execz .LBB1749_182
; %bb.179:
	v_cmp_lt_u32_e64 s[8:9], v19, v30
	s_mov_b64 s[34:35], 0
	s_and_saveexec_b64 s[26:27], s[8:9]
; %bb.180:
	v_add_f16_e32 v16, 0, v49
	v_add_f16_e32 v17, 0, v53
	v_mov_b32_e32 v20, 0xffff8000
	v_cmp_lt_i16_e64 s[8:9], -1, v16
	v_cndmask_b32_e64 v21, -1, v20, s[8:9]
	v_cmp_lt_i16_e64 s[8:9], -1, v17
	v_cndmask_b32_e64 v20, -1, v20, s[8:9]
	v_xor_b32_e32 v16, v21, v16
	v_xor_b32_e32 v17, v20, v17
	v_cmp_le_u16_e64 s[8:9], v16, v17
	s_and_b64 s[34:35], s[8:9], exec
; %bb.181:
	s_or_b64 exec, exec, s[26:27]
	s_orn2_b64 s[26:27], s[34:35], exec
.LBB1749_182:
	s_or_b64 exec, exec, s[30:31]
	v_cndmask_b32_e64 v16, v18, v19, s[26:27]
	v_cndmask_b32_e64 v17, v31, v30, s[26:27]
	v_add_u32_e32 v21, 1, v16
	v_add_u32_e32 v17, -1, v17
	v_min_u32_e32 v17, v21, v17
	v_lshl_add_u32 v17, v17, 1, v14
	ds_read_u16 v20, v17
	v_lshl_add_u32 v16, v16, 3, v12
	ds_read_b64 v[16:17], v16 offset:4096
	s_waitcnt lgkmcnt(1)
	v_cndmask_b32_e64 v26, v20, v49, s[26:27]
	v_cndmask_b32_e64 v27, v53, v20, s[26:27]
	v_cndmask_b32_e64 v20, v21, v18, s[26:27]
	v_cndmask_b32_e64 v21, v19, v21, s[26:27]
	v_cmp_lt_u32_e64 s[8:9], v20, v31
	s_and_saveexec_b64 s[30:31], s[8:9]
	s_cbranch_execz .LBB1749_186
; %bb.183:
	v_cmp_lt_u32_e64 s[8:9], v21, v30
	s_mov_b64 s[34:35], 0
	s_and_saveexec_b64 s[28:29], s[8:9]
; %bb.184:
	v_add_f16_e32 v18, 0, v26
	v_add_f16_e32 v19, 0, v27
	v_mov_b32_e32 v22, 0xffff8000
	v_cmp_lt_i16_e64 s[8:9], -1, v18
	v_cndmask_b32_e64 v23, -1, v22, s[8:9]
	v_cmp_lt_i16_e64 s[8:9], -1, v19
	v_cndmask_b32_e64 v22, -1, v22, s[8:9]
	v_xor_b32_e32 v18, v23, v18
	v_xor_b32_e32 v19, v22, v19
	v_cmp_le_u16_e64 s[8:9], v18, v19
	s_and_b64 s[34:35], s[8:9], exec
; %bb.185:
	s_or_b64 exec, exec, s[28:29]
	s_orn2_b64 s[28:29], s[34:35], exec
.LBB1749_186:
	s_or_b64 exec, exec, s[30:31]
	v_cndmask_b32_e64 v18, v20, v21, s[28:29]
	v_cndmask_b32_e64 v19, v31, v30, s[28:29]
	v_add_u32_e32 v23, 1, v18
	v_add_u32_e32 v19, -1, v19
	v_min_u32_e32 v19, v23, v19
	v_lshl_add_u32 v19, v19, 1, v14
	ds_read_u16 v22, v19
	v_lshl_add_u32 v18, v18, 3, v12
	ds_read_b64 v[18:19], v18 offset:4096
	s_mov_b64 s[34:35], -1
	s_mov_b64 s[30:31], -1
	s_waitcnt lgkmcnt(1)
	v_cndmask_b32_e64 v39, v22, v26, s[28:29]
	v_cndmask_b32_e64 v51, v27, v22, s[28:29]
	;; [unrolled: 1-line block ×4, first 2 shown]
	v_cmp_lt_u32_e64 s[8:9], v22, v31
	s_and_saveexec_b64 s[36:37], s[8:9]
	s_cbranch_execz .LBB1749_190
; %bb.187:
	v_cmp_lt_u32_e64 s[8:9], v23, v30
	s_mov_b64 s[38:39], 0
	s_and_saveexec_b64 s[30:31], s[8:9]
; %bb.188:
	v_add_f16_e32 v20, 0, v39
	v_add_f16_e32 v21, 0, v51
	v_mov_b32_e32 v24, 0xffff8000
	v_cmp_lt_i16_e64 s[8:9], -1, v20
	v_cndmask_b32_e64 v25, -1, v24, s[8:9]
	v_cmp_lt_i16_e64 s[8:9], -1, v21
	v_cndmask_b32_e64 v24, -1, v24, s[8:9]
	v_xor_b32_e32 v20, v25, v20
	v_xor_b32_e32 v21, v24, v21
	v_cmp_le_u16_e64 s[8:9], v20, v21
	s_and_b64 s[38:39], s[8:9], exec
; %bb.189:
	s_or_b64 exec, exec, s[30:31]
	s_orn2_b64 s[30:31], s[38:39], exec
.LBB1749_190:
	s_or_b64 exec, exec, s[36:37]
	v_cndmask_b32_e64 v20, v22, v23, s[30:31]
	v_cndmask_b32_e64 v21, v31, v30, s[30:31]
	v_add_u32_e32 v24, 1, v20
	v_add_u32_e32 v21, -1, v21
	v_min_u32_e32 v21, v24, v21
	v_lshl_add_u32 v21, v21, 1, v14
	ds_read_u16 v25, v21
	v_lshl_add_u32 v20, v20, 3, v12
	ds_read_b64 v[20:21], v20 offset:4096
	v_cndmask_b32_e64 v22, v24, v22, s[30:31]
	v_cndmask_b32_e64 v23, v23, v24, s[30:31]
	s_waitcnt lgkmcnt(1)
	v_cndmask_b32_e64 v38, v25, v39, s[30:31]
	v_cndmask_b32_e64 v54, v51, v25, s[30:31]
	v_cmp_lt_u32_e64 s[8:9], v22, v31
	s_and_saveexec_b64 s[36:37], s[8:9]
	s_cbranch_execz .LBB1749_194
; %bb.191:
	v_cmp_lt_u32_e64 s[8:9], v23, v30
	s_mov_b64 s[38:39], 0
	s_and_saveexec_b64 s[34:35], s[8:9]
; %bb.192:
	v_add_f16_e32 v24, 0, v38
	v_add_f16_e32 v25, 0, v54
	v_mov_b32_e32 v50, 0xffff8000
	v_cmp_lt_i16_e64 s[8:9], -1, v24
	v_cndmask_b32_e64 v55, -1, v50, s[8:9]
	v_cmp_lt_i16_e64 s[8:9], -1, v25
	v_cndmask_b32_e64 v50, -1, v50, s[8:9]
	v_xor_b32_e32 v24, v55, v24
	v_xor_b32_e32 v25, v50, v25
	v_cmp_le_u16_e64 s[8:9], v24, v25
	s_and_b64 s[38:39], s[8:9], exec
; %bb.193:
	s_or_b64 exec, exec, s[34:35]
	s_orn2_b64 s[34:35], s[38:39], exec
.LBB1749_194:
	s_or_b64 exec, exec, s[36:37]
	v_cndmask_b32_e64 v24, v22, v23, s[34:35]
	v_cndmask_b32_e64 v25, v31, v30, s[34:35]
	v_add_u32_e32 v64, 1, v24
	v_add_u32_e32 v25, -1, v25
	v_min_u32_e32 v25, v64, v25
	v_lshl_add_u32 v25, v25, 1, v14
	ds_read_u16 v55, v25
	v_lshl_add_u32 v24, v24, 3, v12
	ds_read_b64 v[24:25], v24 offset:4096
	v_cndmask_b32_e64 v66, v64, v22, s[34:35]
	v_cndmask_b32_e64 v67, v23, v64, s[34:35]
	s_waitcnt lgkmcnt(1)
	v_cndmask_b32_e64 v50, v55, v38, s[34:35]
	v_cndmask_b32_e64 v55, v54, v55, s[34:35]
	v_cmp_lt_u32_e64 s[8:9], v66, v31
	s_mov_b64 s[36:37], -1
	s_mov_b64 s[38:39], -1
	s_and_saveexec_b64 s[40:41], s[8:9]
	s_cbranch_execz .LBB1749_198
; %bb.195:
	v_cmp_lt_u32_e64 s[8:9], v67, v30
	s_mov_b64 s[42:43], 0
	s_and_saveexec_b64 s[38:39], s[8:9]
; %bb.196:
	v_add_f16_e32 v22, 0, v50
	v_add_f16_e32 v23, 0, v55
	v_mov_b32_e32 v64, 0xffff8000
	v_cmp_lt_i16_e64 s[8:9], -1, v22
	v_cndmask_b32_e64 v65, -1, v64, s[8:9]
	v_cmp_lt_i16_e64 s[8:9], -1, v23
	v_cndmask_b32_e64 v64, -1, v64, s[8:9]
	v_xor_b32_e32 v22, v65, v22
	v_xor_b32_e32 v23, v64, v23
	v_cmp_le_u16_e64 s[8:9], v22, v23
	s_and_b64 s[42:43], s[8:9], exec
; %bb.197:
	s_or_b64 exec, exec, s[38:39]
	s_orn2_b64 s[38:39], s[42:43], exec
.LBB1749_198:
	s_or_b64 exec, exec, s[40:41]
	v_cndmask_b32_e64 v22, v66, v67, s[38:39]
	v_cndmask_b32_e64 v23, v31, v30, s[38:39]
	v_add_u32_e32 v68, 1, v22
	v_add_u32_e32 v23, -1, v23
	v_min_u32_e32 v23, v68, v23
	v_lshl_add_u32 v23, v23, 1, v14
	ds_read_u16 v65, v23
	v_lshl_add_u32 v22, v22, 3, v12
	ds_read_b64 v[22:23], v22 offset:4096
	v_cndmask_b32_e64 v66, v68, v66, s[38:39]
	v_cndmask_b32_e64 v67, v67, v68, s[38:39]
	s_waitcnt lgkmcnt(1)
	v_cndmask_b32_e64 v64, v65, v50, s[38:39]
	v_cndmask_b32_e64 v65, v55, v65, s[38:39]
	v_cmp_lt_u32_e64 s[8:9], v66, v31
	s_and_saveexec_b64 s[40:41], s[8:9]
	s_cbranch_execz .LBB1749_202
; %bb.199:
	v_cmp_lt_u32_e64 s[8:9], v67, v30
	s_mov_b64 s[42:43], 0
	s_and_saveexec_b64 s[36:37], s[8:9]
; %bb.200:
	v_add_f16_e32 v30, 0, v64
	v_add_f16_e32 v31, 0, v65
	v_mov_b32_e32 v68, 0xffff8000
	v_cmp_lt_i16_e64 s[8:9], -1, v30
	v_cndmask_b32_e64 v69, -1, v68, s[8:9]
	v_cmp_lt_i16_e64 s[8:9], -1, v31
	v_cndmask_b32_e64 v68, -1, v68, s[8:9]
	v_xor_b32_e32 v30, v69, v30
	v_xor_b32_e32 v31, v68, v31
	v_cmp_le_u16_e64 s[8:9], v30, v31
	s_and_b64 s[42:43], s[8:9], exec
; %bb.201:
	s_or_b64 exec, exec, s[36:37]
	s_orn2_b64 s[36:37], s[42:43], exec
.LBB1749_202:
	s_or_b64 exec, exec, s[40:41]
	v_cndmask_b32_e64 v39, v39, v51, s[30:31]
	v_cndmask_b32_e64 v51, v26, v27, s[28:29]
	;; [unrolled: 1-line block ×3, first 2 shown]
	v_lshl_add_u32 v26, v26, 3, v12
	ds_read_b64 v[26:27], v26 offset:4096
	v_cndmask_b32_e64 v50, v50, v55, s[38:39]
	v_cndmask_b32_e64 v38, v38, v54, s[34:35]
	;; [unrolled: 1-line block ×6, first 2 shown]
.LBB1749_203:
	s_or_b64 exec, exec, s[22:23]
	v_and_b32_e32 v31, 0x380, v35
	; wave barrier
	ds_write_b16 v13, v36
	ds_write_b64 v28, v[4:5] offset:4096
	ds_write_b16 v13, v48 offset:2
	ds_write_b64 v29, v[8:9] offset:8
	ds_write_b16 v13, v49 offset:4
	;; [unrolled: 2-line block ×6, first 2 shown]
	s_waitcnt lgkmcnt(14)
	ds_write_b64 v29, v[22:23] offset:48
	ds_write_b16 v13, v37 offset:14
	s_waitcnt lgkmcnt(14)
	ds_write_b64 v29, v[26:27] offset:56
	v_or_b32_e32 v13, 64, v31
	v_min_u32_e32 v13, v15, v13
	v_add_u32_e32 v28, 64, v13
	v_min_u32_e32 v28, v15, v28
	v_min_u32_e32 v15, v15, v34
	v_sub_u32_e32 v34, v13, v31
	v_sub_u32_e32 v30, v28, v13
	v_sub_u32_e64 v30, v15, v30 clamp
	v_min_u32_e32 v34, v15, v34
	v_lshl_add_u32 v29, v31, 1, v14
	v_cmp_lt_u32_e64 s[8:9], v30, v34
	; wave barrier
	s_and_saveexec_b64 s[12:13], s[8:9]
	s_cbranch_execz .LBB1749_207
; %bb.204:
	v_lshlrev_b32_e32 v35, 1, v13
	v_lshlrev_b32_e32 v52, 1, v15
	v_add3_u32 v35, v14, v35, v52
	s_mov_b64 s[22:23], 0
	v_mov_b32_e32 v52, 0xffff8000
.LBB1749_205:                           ; =>This Inner Loop Header: Depth=1
	v_add_u32_e32 v53, v34, v30
	v_lshrrev_b32_e32 v54, 1, v53
	v_and_b32_e32 v53, -2, v53
	v_not_b32_e32 v55, v54
	v_add_u32_e32 v53, v29, v53
	v_lshl_add_u32 v55, v55, 1, v35
	ds_read_u16 v53, v53
	ds_read_u16 v55, v55
	v_add_u32_e32 v64, 1, v54
	s_waitcnt lgkmcnt(1)
	v_add_f16_e32 v53, 0, v53
	s_waitcnt lgkmcnt(0)
	v_add_f16_e32 v55, 0, v55
	v_cmp_lt_i16_e64 s[8:9], -1, v53
	v_cndmask_b32_e64 v65, -1, v52, s[8:9]
	v_cmp_lt_i16_e64 s[8:9], -1, v55
	v_cndmask_b32_e64 v66, -1, v52, s[8:9]
	v_xor_b32_e32 v53, v65, v53
	v_xor_b32_e32 v55, v66, v55
	v_cmp_gt_u16_e64 s[8:9], v55, v53
	v_cndmask_b32_e64 v34, v34, v54, s[8:9]
	v_cndmask_b32_e64 v30, v64, v30, s[8:9]
	v_cmp_ge_u32_e64 s[8:9], v30, v34
	s_or_b64 s[22:23], s[8:9], s[22:23]
	s_andn2_b64 exec, exec, s[22:23]
	s_cbranch_execnz .LBB1749_205
; %bb.206:
	s_or_b64 exec, exec, s[22:23]
.LBB1749_207:
	s_or_b64 exec, exec, s[12:13]
	v_add_u32_e32 v15, v13, v15
	v_add_u32_e32 v34, v30, v31
	v_sub_u32_e32 v35, v15, v30
	v_cmp_le_u32_e64 s[8:9], v34, v13
	v_cmp_le_u32_e64 s[12:13], v35, v28
	s_or_b64 s[8:9], s[8:9], s[12:13]
	s_and_saveexec_b64 s[22:23], s[8:9]
	s_cbranch_execz .LBB1749_243
; %bb.208:
	v_cmp_ge_u32_e64 s[8:9], v34, v13
	v_cmp_lt_u32_e64 s[12:13], v34, v13
                                        ; implicit-def: $vgpr15
	s_and_saveexec_b64 s[24:25], s[12:13]
	s_cbranch_execz .LBB1749_210
; %bb.209:
	v_lshl_add_u32 v4, v30, 1, v29
	ds_read_u16 v15, v4
.LBB1749_210:
	s_or_b64 exec, exec, s[24:25]
	v_cmp_ge_u32_e64 s[24:25], v35, v28
	v_cmp_lt_u32_e64 s[12:13], v35, v28
                                        ; implicit-def: $vgpr29
	s_and_saveexec_b64 s[26:27], s[12:13]
	s_cbranch_execz .LBB1749_212
; %bb.211:
	v_lshl_add_u32 v4, v35, 1, v14
	ds_read_u16 v29, v4
.LBB1749_212:
	s_or_b64 exec, exec, s[26:27]
	s_or_b64 s[8:9], s[8:9], s[24:25]
	s_mov_b64 s[12:13], -1
	s_xor_b64 s[8:9], s[8:9], -1
	s_and_saveexec_b64 s[26:27], s[8:9]
	s_cbranch_execz .LBB1749_214
; %bb.213:
	s_waitcnt lgkmcnt(0)
	v_add_f16_e32 v4, 0, v29
	v_add_f16_e32 v5, 0, v15
	v_mov_b32_e32 v8, 0xffff8000
	v_cmp_lt_i16_e64 s[8:9], -1, v4
	v_cndmask_b32_e64 v9, -1, v8, s[8:9]
	v_cmp_lt_i16_e64 s[8:9], -1, v5
	v_cndmask_b32_e64 v8, -1, v8, s[8:9]
	v_xor_b32_e32 v4, v9, v4
	v_xor_b32_e32 v5, v8, v5
	v_cmp_le_u16_e64 s[8:9], v4, v5
	s_andn2_b64 s[24:25], s[24:25], exec
	s_and_b64 s[8:9], s[8:9], exec
	s_or_b64 s[24:25], s[24:25], s[8:9]
.LBB1749_214:
	s_or_b64 exec, exec, s[26:27]
	v_cndmask_b32_e64 v4, v35, v34, s[24:25]
	v_cndmask_b32_e64 v5, v28, v13, s[24:25]
	v_add_u32_e32 v8, 1, v4
	v_add_u32_e32 v5, -1, v5
	v_min_u32_e32 v5, v8, v5
	v_lshl_add_u32 v5, v5, 1, v14
	ds_read_u16 v9, v5
	v_lshl_add_u32 v4, v4, 3, v12
	ds_read_b64 v[4:5], v4 offset:4096
	v_cndmask_b32_e64 v16, v8, v35, s[24:25]
	v_cndmask_b32_e64 v17, v34, v8, s[24:25]
	s_waitcnt lgkmcnt(1)
	v_cndmask_b32_e64 v30, v9, v29, s[24:25]
	v_cndmask_b32_e64 v31, v15, v9, s[24:25]
	v_cmp_lt_u32_e64 s[8:9], v16, v28
	s_and_saveexec_b64 s[26:27], s[8:9]
	s_cbranch_execz .LBB1749_218
; %bb.215:
	v_cmp_lt_u32_e64 s[8:9], v17, v13
	s_mov_b64 s[28:29], 0
	s_and_saveexec_b64 s[12:13], s[8:9]
; %bb.216:
	v_add_f16_e32 v8, 0, v30
	v_add_f16_e32 v9, 0, v31
	v_mov_b32_e32 v18, 0xffff8000
	v_cmp_lt_i16_e64 s[8:9], -1, v8
	v_cndmask_b32_e64 v19, -1, v18, s[8:9]
	v_cmp_lt_i16_e64 s[8:9], -1, v9
	v_cndmask_b32_e64 v18, -1, v18, s[8:9]
	v_xor_b32_e32 v8, v19, v8
	v_xor_b32_e32 v9, v18, v9
	v_cmp_le_u16_e64 s[8:9], v8, v9
	s_and_b64 s[28:29], s[8:9], exec
; %bb.217:
	s_or_b64 exec, exec, s[12:13]
	s_orn2_b64 s[12:13], s[28:29], exec
.LBB1749_218:
	s_or_b64 exec, exec, s[26:27]
	v_cndmask_b32_e64 v8, v16, v17, s[12:13]
	v_cndmask_b32_e64 v9, v28, v13, s[12:13]
	v_add_u32_e32 v19, 1, v8
	v_add_u32_e32 v9, -1, v9
	v_min_u32_e32 v9, v19, v9
	v_lshl_add_u32 v9, v9, 1, v14
	ds_read_u16 v18, v9
	v_lshl_add_u32 v8, v8, 3, v12
	ds_read_b64 v[8:9], v8 offset:4096
	s_mov_b64 s[28:29], -1
	s_mov_b64 s[26:27], -1
	s_waitcnt lgkmcnt(1)
	v_cndmask_b32_e64 v34, v18, v30, s[12:13]
	v_cndmask_b32_e64 v35, v31, v18, s[12:13]
	;; [unrolled: 1-line block ×4, first 2 shown]
	v_cmp_lt_u32_e64 s[8:9], v18, v28
	s_and_saveexec_b64 s[30:31], s[8:9]
	s_cbranch_execz .LBB1749_222
; %bb.219:
	v_cmp_lt_u32_e64 s[8:9], v19, v13
	s_mov_b64 s[34:35], 0
	s_and_saveexec_b64 s[26:27], s[8:9]
; %bb.220:
	v_add_f16_e32 v16, 0, v34
	v_add_f16_e32 v17, 0, v35
	v_mov_b32_e32 v20, 0xffff8000
	v_cmp_lt_i16_e64 s[8:9], -1, v16
	v_cndmask_b32_e64 v21, -1, v20, s[8:9]
	v_cmp_lt_i16_e64 s[8:9], -1, v17
	v_cndmask_b32_e64 v20, -1, v20, s[8:9]
	v_xor_b32_e32 v16, v21, v16
	v_xor_b32_e32 v17, v20, v17
	v_cmp_le_u16_e64 s[8:9], v16, v17
	s_and_b64 s[34:35], s[8:9], exec
; %bb.221:
	s_or_b64 exec, exec, s[26:27]
	s_orn2_b64 s[26:27], s[34:35], exec
.LBB1749_222:
	s_or_b64 exec, exec, s[30:31]
	v_cndmask_b32_e64 v16, v18, v19, s[26:27]
	v_cndmask_b32_e64 v17, v28, v13, s[26:27]
	v_add_u32_e32 v21, 1, v16
	v_add_u32_e32 v17, -1, v17
	v_min_u32_e32 v17, v21, v17
	v_lshl_add_u32 v17, v17, 1, v14
	ds_read_u16 v20, v17
	v_lshl_add_u32 v16, v16, 3, v12
	ds_read_b64 v[16:17], v16 offset:4096
	s_waitcnt lgkmcnt(1)
	v_cndmask_b32_e64 v26, v20, v34, s[26:27]
	v_cndmask_b32_e64 v27, v35, v20, s[26:27]
	v_cndmask_b32_e64 v20, v21, v18, s[26:27]
	v_cndmask_b32_e64 v21, v19, v21, s[26:27]
	v_cmp_lt_u32_e64 s[8:9], v20, v28
	s_and_saveexec_b64 s[30:31], s[8:9]
	s_cbranch_execz .LBB1749_226
; %bb.223:
	v_cmp_lt_u32_e64 s[8:9], v21, v13
	s_mov_b64 s[34:35], 0
	s_and_saveexec_b64 s[28:29], s[8:9]
; %bb.224:
	v_add_f16_e32 v18, 0, v26
	v_add_f16_e32 v19, 0, v27
	v_mov_b32_e32 v22, 0xffff8000
	v_cmp_lt_i16_e64 s[8:9], -1, v18
	v_cndmask_b32_e64 v23, -1, v22, s[8:9]
	v_cmp_lt_i16_e64 s[8:9], -1, v19
	v_cndmask_b32_e64 v22, -1, v22, s[8:9]
	v_xor_b32_e32 v18, v23, v18
	v_xor_b32_e32 v19, v22, v19
	v_cmp_le_u16_e64 s[8:9], v18, v19
	s_and_b64 s[34:35], s[8:9], exec
; %bb.225:
	s_or_b64 exec, exec, s[28:29]
	s_orn2_b64 s[28:29], s[34:35], exec
.LBB1749_226:
	s_or_b64 exec, exec, s[30:31]
	v_cndmask_b32_e64 v18, v20, v21, s[28:29]
	v_cndmask_b32_e64 v19, v28, v13, s[28:29]
	v_add_u32_e32 v23, 1, v18
	v_add_u32_e32 v19, -1, v19
	v_min_u32_e32 v19, v23, v19
	v_lshl_add_u32 v19, v19, 1, v14
	ds_read_u16 v22, v19
	v_lshl_add_u32 v18, v18, 3, v12
	ds_read_b64 v[18:19], v18 offset:4096
	s_mov_b64 s[34:35], -1
	s_mov_b64 s[30:31], -1
	s_waitcnt lgkmcnt(1)
	v_cndmask_b32_e64 v36, v22, v26, s[28:29]
	v_cndmask_b32_e64 v37, v27, v22, s[28:29]
	;; [unrolled: 1-line block ×4, first 2 shown]
	v_cmp_lt_u32_e64 s[8:9], v22, v28
	s_and_saveexec_b64 s[36:37], s[8:9]
	s_cbranch_execz .LBB1749_230
; %bb.227:
	v_cmp_lt_u32_e64 s[8:9], v23, v13
	s_mov_b64 s[38:39], 0
	s_and_saveexec_b64 s[30:31], s[8:9]
; %bb.228:
	v_add_f16_e32 v20, 0, v36
	v_add_f16_e32 v21, 0, v37
	v_mov_b32_e32 v24, 0xffff8000
	v_cmp_lt_i16_e64 s[8:9], -1, v20
	v_cndmask_b32_e64 v25, -1, v24, s[8:9]
	v_cmp_lt_i16_e64 s[8:9], -1, v21
	v_cndmask_b32_e64 v24, -1, v24, s[8:9]
	v_xor_b32_e32 v20, v25, v20
	v_xor_b32_e32 v21, v24, v21
	v_cmp_le_u16_e64 s[8:9], v20, v21
	s_and_b64 s[38:39], s[8:9], exec
; %bb.229:
	s_or_b64 exec, exec, s[30:31]
	s_orn2_b64 s[30:31], s[38:39], exec
.LBB1749_230:
	s_or_b64 exec, exec, s[36:37]
	v_cndmask_b32_e64 v20, v22, v23, s[30:31]
	v_cndmask_b32_e64 v21, v28, v13, s[30:31]
	v_add_u32_e32 v24, 1, v20
	v_add_u32_e32 v21, -1, v21
	v_min_u32_e32 v21, v24, v21
	v_lshl_add_u32 v21, v21, 1, v14
	ds_read_u16 v25, v21
	v_lshl_add_u32 v20, v20, 3, v12
	ds_read_b64 v[20:21], v20 offset:4096
	v_cndmask_b32_e64 v22, v24, v22, s[30:31]
	v_cndmask_b32_e64 v23, v23, v24, s[30:31]
	s_waitcnt lgkmcnt(1)
	v_cndmask_b32_e64 v38, v25, v36, s[30:31]
	v_cndmask_b32_e64 v39, v37, v25, s[30:31]
	v_cmp_lt_u32_e64 s[8:9], v22, v28
	s_and_saveexec_b64 s[36:37], s[8:9]
	s_cbranch_execz .LBB1749_234
; %bb.231:
	v_cmp_lt_u32_e64 s[8:9], v23, v13
	s_mov_b64 s[38:39], 0
	s_and_saveexec_b64 s[34:35], s[8:9]
; %bb.232:
	v_add_f16_e32 v24, 0, v38
	v_add_f16_e32 v25, 0, v39
	v_mov_b32_e32 v48, 0xffff8000
	v_cmp_lt_i16_e64 s[8:9], -1, v24
	v_cndmask_b32_e64 v49, -1, v48, s[8:9]
	v_cmp_lt_i16_e64 s[8:9], -1, v25
	v_cndmask_b32_e64 v48, -1, v48, s[8:9]
	v_xor_b32_e32 v24, v49, v24
	v_xor_b32_e32 v25, v48, v25
	v_cmp_le_u16_e64 s[8:9], v24, v25
	s_and_b64 s[38:39], s[8:9], exec
; %bb.233:
	s_or_b64 exec, exec, s[34:35]
	s_orn2_b64 s[34:35], s[38:39], exec
.LBB1749_234:
	s_or_b64 exec, exec, s[36:37]
	v_cndmask_b32_e64 v24, v22, v23, s[34:35]
	v_cndmask_b32_e64 v25, v28, v13, s[34:35]
	v_add_u32_e32 v51, 1, v24
	v_add_u32_e32 v25, -1, v25
	v_min_u32_e32 v25, v51, v25
	v_lshl_add_u32 v25, v25, 1, v14
	ds_read_u16 v49, v25
	v_lshl_add_u32 v24, v24, 3, v12
	ds_read_b64 v[24:25], v24 offset:4096
	v_cndmask_b32_e64 v50, v51, v22, s[34:35]
	v_cndmask_b32_e64 v51, v23, v51, s[34:35]
	s_waitcnt lgkmcnt(1)
	v_cndmask_b32_e64 v48, v49, v38, s[34:35]
	v_cndmask_b32_e64 v49, v39, v49, s[34:35]
	v_cmp_lt_u32_e64 s[8:9], v50, v28
	s_mov_b64 s[36:37], -1
	s_mov_b64 s[38:39], -1
	s_and_saveexec_b64 s[40:41], s[8:9]
	s_cbranch_execz .LBB1749_238
; %bb.235:
	v_cmp_lt_u32_e64 s[8:9], v51, v13
	s_mov_b64 s[42:43], 0
	s_and_saveexec_b64 s[38:39], s[8:9]
; %bb.236:
	v_add_f16_e32 v22, 0, v48
	v_add_f16_e32 v23, 0, v49
	v_mov_b32_e32 v52, 0xffff8000
	v_cmp_lt_i16_e64 s[8:9], -1, v22
	v_cndmask_b32_e64 v53, -1, v52, s[8:9]
	v_cmp_lt_i16_e64 s[8:9], -1, v23
	v_cndmask_b32_e64 v52, -1, v52, s[8:9]
	v_xor_b32_e32 v22, v53, v22
	v_xor_b32_e32 v23, v52, v23
	v_cmp_le_u16_e64 s[8:9], v22, v23
	s_and_b64 s[42:43], s[8:9], exec
; %bb.237:
	s_or_b64 exec, exec, s[38:39]
	s_orn2_b64 s[38:39], s[42:43], exec
.LBB1749_238:
	s_or_b64 exec, exec, s[40:41]
	v_cndmask_b32_e64 v22, v50, v51, s[38:39]
	v_cndmask_b32_e64 v23, v28, v13, s[38:39]
	v_add_u32_e32 v54, 1, v22
	v_add_u32_e32 v23, -1, v23
	v_min_u32_e32 v23, v54, v23
	v_lshl_add_u32 v14, v23, 1, v14
	ds_read_u16 v52, v14
	v_lshl_add_u32 v14, v22, 3, v12
	ds_read_b64 v[22:23], v14 offset:4096
	v_cndmask_b32_e64 v53, v54, v50, s[38:39]
	v_cndmask_b32_e64 v54, v51, v54, s[38:39]
	s_waitcnt lgkmcnt(1)
	v_cndmask_b32_e64 v14, v52, v48, s[38:39]
	v_cndmask_b32_e64 v52, v49, v52, s[38:39]
	v_cmp_lt_u32_e64 s[8:9], v53, v28
	s_and_saveexec_b64 s[40:41], s[8:9]
	s_cbranch_execz .LBB1749_242
; %bb.239:
	v_cmp_lt_u32_e64 s[8:9], v54, v13
	s_mov_b64 s[42:43], 0
	s_and_saveexec_b64 s[36:37], s[8:9]
; %bb.240:
	v_add_f16_e32 v13, 0, v14
	v_add_f16_e32 v28, 0, v52
	v_mov_b32_e32 v50, 0xffff8000
	v_cmp_lt_i16_e64 s[8:9], -1, v13
	v_cndmask_b32_e64 v51, -1, v50, s[8:9]
	v_cmp_lt_i16_e64 s[8:9], -1, v28
	v_cndmask_b32_e64 v50, -1, v50, s[8:9]
	v_xor_b32_e32 v13, v51, v13
	v_xor_b32_e32 v28, v50, v28
	v_cmp_le_u16_e64 s[8:9], v13, v28
	s_and_b64 s[42:43], s[8:9], exec
; %bb.241:
	s_or_b64 exec, exec, s[36:37]
	s_orn2_b64 s[36:37], s[42:43], exec
.LBB1749_242:
	s_or_b64 exec, exec, s[40:41]
	v_cndmask_b32_e64 v13, v53, v54, s[36:37]
	v_lshl_add_u32 v12, v13, 3, v12
	v_cndmask_b32_e64 v51, v26, v27, s[28:29]
	ds_read_b64 v[26:27], v12 offset:4096
	v_cndmask_b32_e64 v50, v48, v49, s[38:39]
	v_cndmask_b32_e64 v38, v38, v39, s[34:35]
	;; [unrolled: 1-line block ×7, first 2 shown]
.LBB1749_243:
	s_or_b64 exec, exec, s[22:23]
	v_add_co_u32_e64 v2, s[8:9], v2, v10
	v_addc_co_u32_e64 v3, s[8:9], v3, v11, s[8:9]
	v_add_co_u32_e64 v2, s[8:9], v2, v32
	v_addc_co_u32_e64 v3, s[8:9], 0, v3, s[8:9]
	; wave barrier
	s_waitcnt lgkmcnt(0)
	s_barrier
	s_waitcnt lgkmcnt(0)
	; wave barrier
	s_and_saveexec_b64 s[8:9], vcc
	s_cbranch_execnz .LBB1749_269
; %bb.244:
	s_or_b64 exec, exec, s[8:9]
	s_and_saveexec_b64 s[8:9], s[4:5]
	s_cbranch_execnz .LBB1749_270
.LBB1749_245:
	s_or_b64 exec, exec, s[8:9]
	s_and_saveexec_b64 s[8:9], s[6:7]
	s_cbranch_execnz .LBB1749_271
.LBB1749_246:
	s_or_b64 exec, exec, s[8:9]
	s_and_saveexec_b64 s[8:9], s[18:19]
	s_cbranch_execnz .LBB1749_272
.LBB1749_247:
	s_or_b64 exec, exec, s[8:9]
	s_and_saveexec_b64 s[8:9], s[10:11]
	s_cbranch_execnz .LBB1749_273
.LBB1749_248:
	s_or_b64 exec, exec, s[8:9]
	s_and_saveexec_b64 s[8:9], s[20:21]
	s_cbranch_execnz .LBB1749_274
.LBB1749_249:
	s_or_b64 exec, exec, s[8:9]
	s_and_saveexec_b64 s[8:9], s[14:15]
	s_cbranch_execnz .LBB1749_275
.LBB1749_250:
	s_or_b64 exec, exec, s[8:9]
	s_and_saveexec_b64 s[8:9], s[16:17]
	s_cbranch_execz .LBB1749_252
.LBB1749_251:
	flat_store_short v[2:3], v37 offset:14
.LBB1749_252:
	s_or_b64 exec, exec, s[8:9]
	v_add_co_u32_e64 v0, s[8:9], v6, v0
	v_addc_co_u32_e64 v1, s[8:9], v7, v1, s[8:9]
	v_add_co_u32_e64 v0, s[8:9], v0, v33
	v_addc_co_u32_e64 v1, s[8:9], 0, v1, s[8:9]
	; wave barrier
	s_and_saveexec_b64 s[8:9], vcc
	s_cbranch_execnz .LBB1749_276
; %bb.253:
	s_or_b64 exec, exec, s[8:9]
	s_and_saveexec_b64 s[8:9], s[4:5]
	s_cbranch_execnz .LBB1749_277
.LBB1749_254:
	s_or_b64 exec, exec, s[8:9]
	s_and_saveexec_b64 s[4:5], s[6:7]
	s_cbranch_execnz .LBB1749_278
.LBB1749_255:
	s_or_b64 exec, exec, s[4:5]
	s_and_saveexec_b64 s[4:5], s[18:19]
	s_cbranch_execnz .LBB1749_279
.LBB1749_256:
	s_or_b64 exec, exec, s[4:5]
	s_and_saveexec_b64 s[4:5], s[10:11]
	s_cbranch_execnz .LBB1749_280
.LBB1749_257:
	s_or_b64 exec, exec, s[4:5]
	s_and_saveexec_b64 s[4:5], s[20:21]
	s_cbranch_execnz .LBB1749_281
.LBB1749_258:
	s_or_b64 exec, exec, s[4:5]
	s_and_saveexec_b64 s[4:5], s[14:15]
	s_cbranch_execnz .LBB1749_282
.LBB1749_259:
	s_or_b64 exec, exec, s[4:5]
	s_and_saveexec_b64 s[4:5], s[16:17]
	s_cbranch_execz .LBB1749_261
.LBB1749_260:
	flat_store_dwordx2 v[0:1], v[26:27] offset:56
.LBB1749_261:
	s_or_b64 exec, exec, s[4:5]
	v_readlane_b32 s30, v40, 10
	v_readlane_b32 s31, v40, 11
	;; [unrolled: 1-line block ×12, first 2 shown]
	s_or_saveexec_b64 s[4:5], -1
	buffer_load_dword v40, off, s[0:3], s32 ; 4-byte Folded Reload
	s_mov_b64 exec, s[4:5]
	s_waitcnt vmcnt(0) lgkmcnt(0)
	s_setpc_b64 s[30:31]
.LBB1749_262:
	flat_load_dwordx2 v[4:5], v[12:13]
	s_or_b64 exec, exec, s[22:23]
                                        ; implicit-def: $vgpr8_vgpr9
	s_and_saveexec_b64 s[22:23], s[4:5]
	s_cbranch_execz .LBB1749_18
.LBB1749_263:
	flat_load_dwordx2 v[8:9], v[12:13] offset:8
	s_or_b64 exec, exec, s[22:23]
                                        ; implicit-def: $vgpr16_vgpr17
	s_and_saveexec_b64 s[22:23], s[6:7]
	s_cbranch_execz .LBB1749_19
.LBB1749_264:
	flat_load_dwordx2 v[16:17], v[12:13] offset:16
	s_or_b64 exec, exec, s[22:23]
                                        ; implicit-def: $vgpr18_vgpr19
	s_and_saveexec_b64 s[22:23], s[18:19]
	s_cbranch_execz .LBB1749_20
.LBB1749_265:
	flat_load_dwordx2 v[18:19], v[12:13] offset:24
	s_or_b64 exec, exec, s[22:23]
                                        ; implicit-def: $vgpr20_vgpr21
	s_and_saveexec_b64 s[22:23], s[10:11]
	s_cbranch_execz .LBB1749_21
.LBB1749_266:
	flat_load_dwordx2 v[20:21], v[12:13] offset:32
	s_or_b64 exec, exec, s[22:23]
                                        ; implicit-def: $vgpr24_vgpr25
	s_and_saveexec_b64 s[22:23], s[20:21]
	s_cbranch_execz .LBB1749_22
.LBB1749_267:
	flat_load_dwordx2 v[24:25], v[12:13] offset:40
	s_or_b64 exec, exec, s[22:23]
                                        ; implicit-def: $vgpr22_vgpr23
	s_and_saveexec_b64 s[22:23], s[14:15]
	s_cbranch_execz .LBB1749_23
.LBB1749_268:
	flat_load_dwordx2 v[22:23], v[12:13] offset:48
	s_or_b64 exec, exec, s[22:23]
                                        ; implicit-def: $vgpr26_vgpr27
	s_and_saveexec_b64 s[22:23], s[16:17]
	s_cbranch_execnz .LBB1749_24
	s_branch .LBB1749_25
.LBB1749_269:
	flat_store_short v[2:3], v36
	s_or_b64 exec, exec, s[8:9]
	s_and_saveexec_b64 s[8:9], s[4:5]
	s_cbranch_execz .LBB1749_245
.LBB1749_270:
	flat_store_short v[2:3], v48 offset:2
	s_or_b64 exec, exec, s[8:9]
	s_and_saveexec_b64 s[8:9], s[6:7]
	s_cbranch_execz .LBB1749_246
.LBB1749_271:
	flat_store_short v[2:3], v49 offset:4
	s_or_b64 exec, exec, s[8:9]
	s_and_saveexec_b64 s[8:9], s[18:19]
	s_cbranch_execz .LBB1749_247
.LBB1749_272:
	flat_store_short v[2:3], v51 offset:6
	s_or_b64 exec, exec, s[8:9]
	s_and_saveexec_b64 s[8:9], s[10:11]
	s_cbranch_execz .LBB1749_248
.LBB1749_273:
	flat_store_short v[2:3], v39 offset:8
	s_or_b64 exec, exec, s[8:9]
	s_and_saveexec_b64 s[8:9], s[20:21]
	s_cbranch_execz .LBB1749_249
.LBB1749_274:
	flat_store_short v[2:3], v38 offset:10
	s_or_b64 exec, exec, s[8:9]
	s_and_saveexec_b64 s[8:9], s[14:15]
	s_cbranch_execz .LBB1749_250
.LBB1749_275:
	flat_store_short v[2:3], v50 offset:12
	s_or_b64 exec, exec, s[8:9]
	s_and_saveexec_b64 s[8:9], s[16:17]
	s_cbranch_execnz .LBB1749_251
	s_branch .LBB1749_252
.LBB1749_276:
	flat_store_dwordx2 v[0:1], v[4:5]
	s_or_b64 exec, exec, s[8:9]
	s_and_saveexec_b64 s[8:9], s[4:5]
	s_cbranch_execz .LBB1749_254
.LBB1749_277:
	flat_store_dwordx2 v[0:1], v[8:9] offset:8
	s_or_b64 exec, exec, s[8:9]
	s_and_saveexec_b64 s[4:5], s[6:7]
	s_cbranch_execz .LBB1749_255
.LBB1749_278:
	flat_store_dwordx2 v[0:1], v[16:17] offset:16
	s_or_b64 exec, exec, s[4:5]
	s_and_saveexec_b64 s[4:5], s[18:19]
	s_cbranch_execz .LBB1749_256
.LBB1749_279:
	flat_store_dwordx2 v[0:1], v[18:19] offset:24
	s_or_b64 exec, exec, s[4:5]
	s_and_saveexec_b64 s[4:5], s[10:11]
	s_cbranch_execz .LBB1749_257
.LBB1749_280:
	flat_store_dwordx2 v[0:1], v[20:21] offset:32
	s_or_b64 exec, exec, s[4:5]
	s_and_saveexec_b64 s[4:5], s[20:21]
	s_cbranch_execz .LBB1749_258
.LBB1749_281:
	flat_store_dwordx2 v[0:1], v[24:25] offset:40
	s_or_b64 exec, exec, s[4:5]
	s_and_saveexec_b64 s[4:5], s[14:15]
	s_cbranch_execz .LBB1749_259
.LBB1749_282:
	flat_store_dwordx2 v[0:1], v[22:23] offset:48
	s_or_b64 exec, exec, s[4:5]
	s_and_saveexec_b64 s[4:5], s[16:17]
	s_cbranch_execnz .LBB1749_260
	s_branch .LBB1749_261
.Lfunc_end1749:
	.size	_ZN7rocprim17ROCPRIM_400000_NS6detail26segmented_warp_sort_helperINS1_20WarpSortHelperConfigILj16ELj8ELj256EEE6__halflLi256ELb1EvE4sortIPKS5_PS5_PKlPlEEvT_T0_T1_T2_jjjjRNS6_12storage_typeE, .Lfunc_end1749-_ZN7rocprim17ROCPRIM_400000_NS6detail26segmented_warp_sort_helperINS1_20WarpSortHelperConfigILj16ELj8ELj256EEE6__halflLi256ELb1EvE4sortIPKS5_PS5_PKlPlEEvT_T0_T1_T2_jjjjRNS6_12storage_typeE
                                        ; -- End function
	.section	.AMDGPU.csdata,"",@progbits
; Function info:
; codeLenInByte = 13376
; NumSgprs: 48
; NumVgprs: 81
; NumAgprs: 0
; TotalNumVgprs: 81
; ScratchSize: 8
; MemoryBound: 0
	.section	.text._ZN7rocprim17ROCPRIM_400000_NS6detail17trampoline_kernelINS0_14default_configENS1_36segmented_radix_sort_config_selectorI6__halflEEZNS1_25segmented_radix_sort_implIS3_Lb1EPKS5_PS5_PKlPlN2at6native12_GLOBAL__N_18offset_tEEE10hipError_tPvRmT1_PNSt15iterator_traitsISL_E10value_typeET2_T3_PNSM_ISR_E10value_typeET4_jRbjT5_SX_jjP12ihipStream_tbEUlT_E0_NS1_11comp_targetILNS1_3genE4ELNS1_11target_archE910ELNS1_3gpuE8ELNS1_3repE0EEENS1_60segmented_radix_sort_warp_sort_medium_config_static_selectorELNS0_4arch9wavefront6targetE1EEEvSL_,"axG",@progbits,_ZN7rocprim17ROCPRIM_400000_NS6detail17trampoline_kernelINS0_14default_configENS1_36segmented_radix_sort_config_selectorI6__halflEEZNS1_25segmented_radix_sort_implIS3_Lb1EPKS5_PS5_PKlPlN2at6native12_GLOBAL__N_18offset_tEEE10hipError_tPvRmT1_PNSt15iterator_traitsISL_E10value_typeET2_T3_PNSM_ISR_E10value_typeET4_jRbjT5_SX_jjP12ihipStream_tbEUlT_E0_NS1_11comp_targetILNS1_3genE4ELNS1_11target_archE910ELNS1_3gpuE8ELNS1_3repE0EEENS1_60segmented_radix_sort_warp_sort_medium_config_static_selectorELNS0_4arch9wavefront6targetE1EEEvSL_,comdat
	.globl	_ZN7rocprim17ROCPRIM_400000_NS6detail17trampoline_kernelINS0_14default_configENS1_36segmented_radix_sort_config_selectorI6__halflEEZNS1_25segmented_radix_sort_implIS3_Lb1EPKS5_PS5_PKlPlN2at6native12_GLOBAL__N_18offset_tEEE10hipError_tPvRmT1_PNSt15iterator_traitsISL_E10value_typeET2_T3_PNSM_ISR_E10value_typeET4_jRbjT5_SX_jjP12ihipStream_tbEUlT_E0_NS1_11comp_targetILNS1_3genE4ELNS1_11target_archE910ELNS1_3gpuE8ELNS1_3repE0EEENS1_60segmented_radix_sort_warp_sort_medium_config_static_selectorELNS0_4arch9wavefront6targetE1EEEvSL_ ; -- Begin function _ZN7rocprim17ROCPRIM_400000_NS6detail17trampoline_kernelINS0_14default_configENS1_36segmented_radix_sort_config_selectorI6__halflEEZNS1_25segmented_radix_sort_implIS3_Lb1EPKS5_PS5_PKlPlN2at6native12_GLOBAL__N_18offset_tEEE10hipError_tPvRmT1_PNSt15iterator_traitsISL_E10value_typeET2_T3_PNSM_ISR_E10value_typeET4_jRbjT5_SX_jjP12ihipStream_tbEUlT_E0_NS1_11comp_targetILNS1_3genE4ELNS1_11target_archE910ELNS1_3gpuE8ELNS1_3repE0EEENS1_60segmented_radix_sort_warp_sort_medium_config_static_selectorELNS0_4arch9wavefront6targetE1EEEvSL_
	.p2align	8
	.type	_ZN7rocprim17ROCPRIM_400000_NS6detail17trampoline_kernelINS0_14default_configENS1_36segmented_radix_sort_config_selectorI6__halflEEZNS1_25segmented_radix_sort_implIS3_Lb1EPKS5_PS5_PKlPlN2at6native12_GLOBAL__N_18offset_tEEE10hipError_tPvRmT1_PNSt15iterator_traitsISL_E10value_typeET2_T3_PNSM_ISR_E10value_typeET4_jRbjT5_SX_jjP12ihipStream_tbEUlT_E0_NS1_11comp_targetILNS1_3genE4ELNS1_11target_archE910ELNS1_3gpuE8ELNS1_3repE0EEENS1_60segmented_radix_sort_warp_sort_medium_config_static_selectorELNS0_4arch9wavefront6targetE1EEEvSL_,@function
_ZN7rocprim17ROCPRIM_400000_NS6detail17trampoline_kernelINS0_14default_configENS1_36segmented_radix_sort_config_selectorI6__halflEEZNS1_25segmented_radix_sort_implIS3_Lb1EPKS5_PS5_PKlPlN2at6native12_GLOBAL__N_18offset_tEEE10hipError_tPvRmT1_PNSt15iterator_traitsISL_E10value_typeET2_T3_PNSM_ISR_E10value_typeET4_jRbjT5_SX_jjP12ihipStream_tbEUlT_E0_NS1_11comp_targetILNS1_3genE4ELNS1_11target_archE910ELNS1_3gpuE8ELNS1_3repE0EEENS1_60segmented_radix_sort_warp_sort_medium_config_static_selectorELNS0_4arch9wavefront6targetE1EEEvSL_: ; @_ZN7rocprim17ROCPRIM_400000_NS6detail17trampoline_kernelINS0_14default_configENS1_36segmented_radix_sort_config_selectorI6__halflEEZNS1_25segmented_radix_sort_implIS3_Lb1EPKS5_PS5_PKlPlN2at6native12_GLOBAL__N_18offset_tEEE10hipError_tPvRmT1_PNSt15iterator_traitsISL_E10value_typeET2_T3_PNSM_ISR_E10value_typeET4_jRbjT5_SX_jjP12ihipStream_tbEUlT_E0_NS1_11comp_targetILNS1_3genE4ELNS1_11target_archE910ELNS1_3gpuE8ELNS1_3repE0EEENS1_60segmented_radix_sort_warp_sort_medium_config_static_selectorELNS0_4arch9wavefront6targetE1EEEvSL_
; %bb.0:
	s_add_u32 flat_scratch_lo, s6, s10
	s_addc_u32 flat_scratch_hi, s7, 0
	s_add_u32 s0, s0, s10
	s_load_dword s6, s[4:5], 0x64
	s_load_dword s10, s[4:5], 0x34
	s_addc_u32 s1, s1, 0
	v_bfe_u32 v1, v0, 10, 10
	v_bfe_u32 v2, v0, 20, 10
	s_waitcnt lgkmcnt(0)
	s_lshr_b32 s7, s6, 16
	s_and_b32 s6, s6, 0xffff
	v_mad_u32_u24 v1, v2, s7, v1
	v_and_b32_e32 v2, 0x3ff, v0
	v_mad_u64_u32 v[2:3], s[6:7], v1, s6, v[2:3]
	v_lshrrev_b32_e32 v1, 4, v2
	v_lshl_add_u32 v2, s8, 4, v1
	v_cmp_gt_u32_e32 vcc, s10, v2
	s_mov_b32 s32, 0
	s_and_saveexec_b64 s[6:7], vcc
	s_cbranch_execz .LBB1750_6
; %bb.1:
	s_load_dwordx2 s[6:7], s[4:5], 0x38
	s_load_dwordx4 s[12:15], s[4:5], 0x40
	v_mov_b32_e32 v3, 0
	v_lshlrev_b64 v[2:3], 2, v[2:3]
	s_waitcnt lgkmcnt(0)
	v_mov_b32_e32 v1, s7
	v_add_co_u32_e32 v2, vcc, s6, v2
	v_addc_co_u32_e32 v3, vcc, v1, v3, vcc
	global_load_dword v1, v[2:3], off
	s_waitcnt vmcnt(0)
	v_add_u32_e32 v2, s13, v1
	v_add_u32_e32 v1, s15, v1
	v_mul_lo_u32 v41, v2, s12
	v_mul_lo_u32 v42, v1, s14
	v_cmp_gt_u32_e32 vcc, v42, v41
	s_and_b64 exec, exec, vcc
	s_cbranch_execz .LBB1750_6
; %bb.2:
	s_load_dword s6, s[4:5], 0x30
	s_load_dwordx4 s[56:59], s[4:5], 0x20
	s_load_dwordx8 s[48:55], s[4:5], 0x0
	s_mov_b32 s44, s8
	s_mov_b32 s33, s9
	s_waitcnt lgkmcnt(0)
	s_bitcmp0_b32 s6, 0
	s_mov_b64 s[6:7], -1
	s_cbranch_scc0 .LBB1750_4
; %bb.3:
	s_add_u32 s8, s4, 0x58
	s_addc_u32 s9, s5, 0
	s_mov_b32 s12, s44
	s_mov_b32 s13, s33
	v_mov_b32_e32 v31, v0
	v_mov_b32_e32 v43, v0
	;; [unrolled: 1-line block ×12, first 2 shown]
	s_getpc_b64 s[6:7]
	s_add_u32 s6, s6, _ZN7rocprim17ROCPRIM_400000_NS6detail26segmented_warp_sort_helperINS1_20WarpSortHelperConfigILj16ELj8ELj256EEE6__halflLi256ELb1EvE4sortIPKS5_PS5_PKlPlEEvT_T0_T1_T2_jjjjRNS6_12storage_typeE@rel32@lo+4
	s_addc_u32 s7, s7, _ZN7rocprim17ROCPRIM_400000_NS6detail26segmented_warp_sort_helperINS1_20WarpSortHelperConfigILj16ELj8ELj256EEE6__halflLi256ELb1EvE4sortIPKS5_PS5_PKlPlEEvT_T0_T1_T2_jjjjRNS6_12storage_typeE@rel32@hi+12
	s_mov_b64 s[46:47], s[4:5]
	s_swappc_b64 s[30:31], s[6:7]
	v_mov_b32_e32 v0, v43
	s_mov_b64 s[4:5], s[46:47]
	s_mov_b64 s[6:7], 0
.LBB1750_4:
	s_andn2_b64 vcc, exec, s[6:7]
	s_cbranch_vccnz .LBB1750_6
; %bb.5:
	s_add_u32 s8, s4, 0x58
	s_addc_u32 s9, s5, 0
	s_mov_b32 s12, s44
	s_mov_b32 s13, s33
	v_mov_b32_e32 v31, v0
	v_mov_b32_e32 v0, s48
	;; [unrolled: 1-line block ×11, first 2 shown]
	s_getpc_b64 s[4:5]
	s_add_u32 s4, s4, _ZN7rocprim17ROCPRIM_400000_NS6detail26segmented_warp_sort_helperINS1_20WarpSortHelperConfigILj16ELj8ELj256EEE6__halflLi256ELb1EvE4sortIPKS5_PS5_PKlPlEEvT_T0_T1_T2_jjjjRNS6_12storage_typeE@rel32@lo+4
	s_addc_u32 s5, s5, _ZN7rocprim17ROCPRIM_400000_NS6detail26segmented_warp_sort_helperINS1_20WarpSortHelperConfigILj16ELj8ELj256EEE6__halflLi256ELb1EvE4sortIPKS5_PS5_PKlPlEEvT_T0_T1_T2_jjjjRNS6_12storage_typeE@rel32@hi+12
	s_swappc_b64 s[30:31], s[4:5]
.LBB1750_6:
	s_endpgm
	.section	.rodata,"a",@progbits
	.p2align	6, 0x0
	.amdhsa_kernel _ZN7rocprim17ROCPRIM_400000_NS6detail17trampoline_kernelINS0_14default_configENS1_36segmented_radix_sort_config_selectorI6__halflEEZNS1_25segmented_radix_sort_implIS3_Lb1EPKS5_PS5_PKlPlN2at6native12_GLOBAL__N_18offset_tEEE10hipError_tPvRmT1_PNSt15iterator_traitsISL_E10value_typeET2_T3_PNSM_ISR_E10value_typeET4_jRbjT5_SX_jjP12ihipStream_tbEUlT_E0_NS1_11comp_targetILNS1_3genE4ELNS1_11target_archE910ELNS1_3gpuE8ELNS1_3repE0EEENS1_60segmented_radix_sort_warp_sort_medium_config_static_selectorELNS0_4arch9wavefront6targetE1EEEvSL_
		.amdhsa_group_segment_fixed_size 20480
		.amdhsa_private_segment_fixed_size 8
		.amdhsa_kernarg_size 344
		.amdhsa_user_sgpr_count 8
		.amdhsa_user_sgpr_private_segment_buffer 1
		.amdhsa_user_sgpr_dispatch_ptr 0
		.amdhsa_user_sgpr_queue_ptr 0
		.amdhsa_user_sgpr_kernarg_segment_ptr 1
		.amdhsa_user_sgpr_dispatch_id 0
		.amdhsa_user_sgpr_flat_scratch_init 1
		.amdhsa_user_sgpr_kernarg_preload_length 0
		.amdhsa_user_sgpr_kernarg_preload_offset 0
		.amdhsa_user_sgpr_private_segment_size 0
		.amdhsa_uses_dynamic_stack 0
		.amdhsa_system_sgpr_private_segment_wavefront_offset 1
		.amdhsa_system_sgpr_workgroup_id_x 1
		.amdhsa_system_sgpr_workgroup_id_y 1
		.amdhsa_system_sgpr_workgroup_id_z 0
		.amdhsa_system_sgpr_workgroup_info 0
		.amdhsa_system_vgpr_workitem_id 2
		.amdhsa_next_free_vgpr 81
		.amdhsa_next_free_sgpr 60
		.amdhsa_accum_offset 84
		.amdhsa_reserve_vcc 1
		.amdhsa_reserve_flat_scratch 1
		.amdhsa_float_round_mode_32 0
		.amdhsa_float_round_mode_16_64 0
		.amdhsa_float_denorm_mode_32 3
		.amdhsa_float_denorm_mode_16_64 3
		.amdhsa_dx10_clamp 1
		.amdhsa_ieee_mode 1
		.amdhsa_fp16_overflow 0
		.amdhsa_tg_split 0
		.amdhsa_exception_fp_ieee_invalid_op 0
		.amdhsa_exception_fp_denorm_src 0
		.amdhsa_exception_fp_ieee_div_zero 0
		.amdhsa_exception_fp_ieee_overflow 0
		.amdhsa_exception_fp_ieee_underflow 0
		.amdhsa_exception_fp_ieee_inexact 0
		.amdhsa_exception_int_div_zero 0
	.end_amdhsa_kernel
	.section	.text._ZN7rocprim17ROCPRIM_400000_NS6detail17trampoline_kernelINS0_14default_configENS1_36segmented_radix_sort_config_selectorI6__halflEEZNS1_25segmented_radix_sort_implIS3_Lb1EPKS5_PS5_PKlPlN2at6native12_GLOBAL__N_18offset_tEEE10hipError_tPvRmT1_PNSt15iterator_traitsISL_E10value_typeET2_T3_PNSM_ISR_E10value_typeET4_jRbjT5_SX_jjP12ihipStream_tbEUlT_E0_NS1_11comp_targetILNS1_3genE4ELNS1_11target_archE910ELNS1_3gpuE8ELNS1_3repE0EEENS1_60segmented_radix_sort_warp_sort_medium_config_static_selectorELNS0_4arch9wavefront6targetE1EEEvSL_,"axG",@progbits,_ZN7rocprim17ROCPRIM_400000_NS6detail17trampoline_kernelINS0_14default_configENS1_36segmented_radix_sort_config_selectorI6__halflEEZNS1_25segmented_radix_sort_implIS3_Lb1EPKS5_PS5_PKlPlN2at6native12_GLOBAL__N_18offset_tEEE10hipError_tPvRmT1_PNSt15iterator_traitsISL_E10value_typeET2_T3_PNSM_ISR_E10value_typeET4_jRbjT5_SX_jjP12ihipStream_tbEUlT_E0_NS1_11comp_targetILNS1_3genE4ELNS1_11target_archE910ELNS1_3gpuE8ELNS1_3repE0EEENS1_60segmented_radix_sort_warp_sort_medium_config_static_selectorELNS0_4arch9wavefront6targetE1EEEvSL_,comdat
.Lfunc_end1750:
	.size	_ZN7rocprim17ROCPRIM_400000_NS6detail17trampoline_kernelINS0_14default_configENS1_36segmented_radix_sort_config_selectorI6__halflEEZNS1_25segmented_radix_sort_implIS3_Lb1EPKS5_PS5_PKlPlN2at6native12_GLOBAL__N_18offset_tEEE10hipError_tPvRmT1_PNSt15iterator_traitsISL_E10value_typeET2_T3_PNSM_ISR_E10value_typeET4_jRbjT5_SX_jjP12ihipStream_tbEUlT_E0_NS1_11comp_targetILNS1_3genE4ELNS1_11target_archE910ELNS1_3gpuE8ELNS1_3repE0EEENS1_60segmented_radix_sort_warp_sort_medium_config_static_selectorELNS0_4arch9wavefront6targetE1EEEvSL_, .Lfunc_end1750-_ZN7rocprim17ROCPRIM_400000_NS6detail17trampoline_kernelINS0_14default_configENS1_36segmented_radix_sort_config_selectorI6__halflEEZNS1_25segmented_radix_sort_implIS3_Lb1EPKS5_PS5_PKlPlN2at6native12_GLOBAL__N_18offset_tEEE10hipError_tPvRmT1_PNSt15iterator_traitsISL_E10value_typeET2_T3_PNSM_ISR_E10value_typeET4_jRbjT5_SX_jjP12ihipStream_tbEUlT_E0_NS1_11comp_targetILNS1_3genE4ELNS1_11target_archE910ELNS1_3gpuE8ELNS1_3repE0EEENS1_60segmented_radix_sort_warp_sort_medium_config_static_selectorELNS0_4arch9wavefront6targetE1EEEvSL_
                                        ; -- End function
	.section	.AMDGPU.csdata,"",@progbits
; Kernel info:
; codeLenInByte = 464
; NumSgprs: 66
; NumVgprs: 81
; NumAgprs: 0
; TotalNumVgprs: 81
; ScratchSize: 8
; MemoryBound: 0
; FloatMode: 240
; IeeeMode: 1
; LDSByteSize: 20480 bytes/workgroup (compile time only)
; SGPRBlocks: 8
; VGPRBlocks: 10
; NumSGPRsForWavesPerEU: 66
; NumVGPRsForWavesPerEU: 81
; AccumOffset: 84
; Occupancy: 3
; WaveLimiterHint : 0
; COMPUTE_PGM_RSRC2:SCRATCH_EN: 1
; COMPUTE_PGM_RSRC2:USER_SGPR: 8
; COMPUTE_PGM_RSRC2:TRAP_HANDLER: 0
; COMPUTE_PGM_RSRC2:TGID_X_EN: 1
; COMPUTE_PGM_RSRC2:TGID_Y_EN: 1
; COMPUTE_PGM_RSRC2:TGID_Z_EN: 0
; COMPUTE_PGM_RSRC2:TIDIG_COMP_CNT: 2
; COMPUTE_PGM_RSRC3_GFX90A:ACCUM_OFFSET: 20
; COMPUTE_PGM_RSRC3_GFX90A:TG_SPLIT: 0
	.section	.text._ZN7rocprim17ROCPRIM_400000_NS6detail17trampoline_kernelINS0_14default_configENS1_36segmented_radix_sort_config_selectorI6__halflEEZNS1_25segmented_radix_sort_implIS3_Lb1EPKS5_PS5_PKlPlN2at6native12_GLOBAL__N_18offset_tEEE10hipError_tPvRmT1_PNSt15iterator_traitsISL_E10value_typeET2_T3_PNSM_ISR_E10value_typeET4_jRbjT5_SX_jjP12ihipStream_tbEUlT_E0_NS1_11comp_targetILNS1_3genE3ELNS1_11target_archE908ELNS1_3gpuE7ELNS1_3repE0EEENS1_60segmented_radix_sort_warp_sort_medium_config_static_selectorELNS0_4arch9wavefront6targetE1EEEvSL_,"axG",@progbits,_ZN7rocprim17ROCPRIM_400000_NS6detail17trampoline_kernelINS0_14default_configENS1_36segmented_radix_sort_config_selectorI6__halflEEZNS1_25segmented_radix_sort_implIS3_Lb1EPKS5_PS5_PKlPlN2at6native12_GLOBAL__N_18offset_tEEE10hipError_tPvRmT1_PNSt15iterator_traitsISL_E10value_typeET2_T3_PNSM_ISR_E10value_typeET4_jRbjT5_SX_jjP12ihipStream_tbEUlT_E0_NS1_11comp_targetILNS1_3genE3ELNS1_11target_archE908ELNS1_3gpuE7ELNS1_3repE0EEENS1_60segmented_radix_sort_warp_sort_medium_config_static_selectorELNS0_4arch9wavefront6targetE1EEEvSL_,comdat
	.globl	_ZN7rocprim17ROCPRIM_400000_NS6detail17trampoline_kernelINS0_14default_configENS1_36segmented_radix_sort_config_selectorI6__halflEEZNS1_25segmented_radix_sort_implIS3_Lb1EPKS5_PS5_PKlPlN2at6native12_GLOBAL__N_18offset_tEEE10hipError_tPvRmT1_PNSt15iterator_traitsISL_E10value_typeET2_T3_PNSM_ISR_E10value_typeET4_jRbjT5_SX_jjP12ihipStream_tbEUlT_E0_NS1_11comp_targetILNS1_3genE3ELNS1_11target_archE908ELNS1_3gpuE7ELNS1_3repE0EEENS1_60segmented_radix_sort_warp_sort_medium_config_static_selectorELNS0_4arch9wavefront6targetE1EEEvSL_ ; -- Begin function _ZN7rocprim17ROCPRIM_400000_NS6detail17trampoline_kernelINS0_14default_configENS1_36segmented_radix_sort_config_selectorI6__halflEEZNS1_25segmented_radix_sort_implIS3_Lb1EPKS5_PS5_PKlPlN2at6native12_GLOBAL__N_18offset_tEEE10hipError_tPvRmT1_PNSt15iterator_traitsISL_E10value_typeET2_T3_PNSM_ISR_E10value_typeET4_jRbjT5_SX_jjP12ihipStream_tbEUlT_E0_NS1_11comp_targetILNS1_3genE3ELNS1_11target_archE908ELNS1_3gpuE7ELNS1_3repE0EEENS1_60segmented_radix_sort_warp_sort_medium_config_static_selectorELNS0_4arch9wavefront6targetE1EEEvSL_
	.p2align	8
	.type	_ZN7rocprim17ROCPRIM_400000_NS6detail17trampoline_kernelINS0_14default_configENS1_36segmented_radix_sort_config_selectorI6__halflEEZNS1_25segmented_radix_sort_implIS3_Lb1EPKS5_PS5_PKlPlN2at6native12_GLOBAL__N_18offset_tEEE10hipError_tPvRmT1_PNSt15iterator_traitsISL_E10value_typeET2_T3_PNSM_ISR_E10value_typeET4_jRbjT5_SX_jjP12ihipStream_tbEUlT_E0_NS1_11comp_targetILNS1_3genE3ELNS1_11target_archE908ELNS1_3gpuE7ELNS1_3repE0EEENS1_60segmented_radix_sort_warp_sort_medium_config_static_selectorELNS0_4arch9wavefront6targetE1EEEvSL_,@function
_ZN7rocprim17ROCPRIM_400000_NS6detail17trampoline_kernelINS0_14default_configENS1_36segmented_radix_sort_config_selectorI6__halflEEZNS1_25segmented_radix_sort_implIS3_Lb1EPKS5_PS5_PKlPlN2at6native12_GLOBAL__N_18offset_tEEE10hipError_tPvRmT1_PNSt15iterator_traitsISL_E10value_typeET2_T3_PNSM_ISR_E10value_typeET4_jRbjT5_SX_jjP12ihipStream_tbEUlT_E0_NS1_11comp_targetILNS1_3genE3ELNS1_11target_archE908ELNS1_3gpuE7ELNS1_3repE0EEENS1_60segmented_radix_sort_warp_sort_medium_config_static_selectorELNS0_4arch9wavefront6targetE1EEEvSL_: ; @_ZN7rocprim17ROCPRIM_400000_NS6detail17trampoline_kernelINS0_14default_configENS1_36segmented_radix_sort_config_selectorI6__halflEEZNS1_25segmented_radix_sort_implIS3_Lb1EPKS5_PS5_PKlPlN2at6native12_GLOBAL__N_18offset_tEEE10hipError_tPvRmT1_PNSt15iterator_traitsISL_E10value_typeET2_T3_PNSM_ISR_E10value_typeET4_jRbjT5_SX_jjP12ihipStream_tbEUlT_E0_NS1_11comp_targetILNS1_3genE3ELNS1_11target_archE908ELNS1_3gpuE7ELNS1_3repE0EEENS1_60segmented_radix_sort_warp_sort_medium_config_static_selectorELNS0_4arch9wavefront6targetE1EEEvSL_
; %bb.0:
	.section	.rodata,"a",@progbits
	.p2align	6, 0x0
	.amdhsa_kernel _ZN7rocprim17ROCPRIM_400000_NS6detail17trampoline_kernelINS0_14default_configENS1_36segmented_radix_sort_config_selectorI6__halflEEZNS1_25segmented_radix_sort_implIS3_Lb1EPKS5_PS5_PKlPlN2at6native12_GLOBAL__N_18offset_tEEE10hipError_tPvRmT1_PNSt15iterator_traitsISL_E10value_typeET2_T3_PNSM_ISR_E10value_typeET4_jRbjT5_SX_jjP12ihipStream_tbEUlT_E0_NS1_11comp_targetILNS1_3genE3ELNS1_11target_archE908ELNS1_3gpuE7ELNS1_3repE0EEENS1_60segmented_radix_sort_warp_sort_medium_config_static_selectorELNS0_4arch9wavefront6targetE1EEEvSL_
		.amdhsa_group_segment_fixed_size 0
		.amdhsa_private_segment_fixed_size 0
		.amdhsa_kernarg_size 88
		.amdhsa_user_sgpr_count 6
		.amdhsa_user_sgpr_private_segment_buffer 1
		.amdhsa_user_sgpr_dispatch_ptr 0
		.amdhsa_user_sgpr_queue_ptr 0
		.amdhsa_user_sgpr_kernarg_segment_ptr 1
		.amdhsa_user_sgpr_dispatch_id 0
		.amdhsa_user_sgpr_flat_scratch_init 0
		.amdhsa_user_sgpr_kernarg_preload_length 0
		.amdhsa_user_sgpr_kernarg_preload_offset 0
		.amdhsa_user_sgpr_private_segment_size 0
		.amdhsa_uses_dynamic_stack 0
		.amdhsa_system_sgpr_private_segment_wavefront_offset 0
		.amdhsa_system_sgpr_workgroup_id_x 1
		.amdhsa_system_sgpr_workgroup_id_y 0
		.amdhsa_system_sgpr_workgroup_id_z 0
		.amdhsa_system_sgpr_workgroup_info 0
		.amdhsa_system_vgpr_workitem_id 0
		.amdhsa_next_free_vgpr 1
		.amdhsa_next_free_sgpr 0
		.amdhsa_accum_offset 4
		.amdhsa_reserve_vcc 0
		.amdhsa_reserve_flat_scratch 0
		.amdhsa_float_round_mode_32 0
		.amdhsa_float_round_mode_16_64 0
		.amdhsa_float_denorm_mode_32 3
		.amdhsa_float_denorm_mode_16_64 3
		.amdhsa_dx10_clamp 1
		.amdhsa_ieee_mode 1
		.amdhsa_fp16_overflow 0
		.amdhsa_tg_split 0
		.amdhsa_exception_fp_ieee_invalid_op 0
		.amdhsa_exception_fp_denorm_src 0
		.amdhsa_exception_fp_ieee_div_zero 0
		.amdhsa_exception_fp_ieee_overflow 0
		.amdhsa_exception_fp_ieee_underflow 0
		.amdhsa_exception_fp_ieee_inexact 0
		.amdhsa_exception_int_div_zero 0
	.end_amdhsa_kernel
	.section	.text._ZN7rocprim17ROCPRIM_400000_NS6detail17trampoline_kernelINS0_14default_configENS1_36segmented_radix_sort_config_selectorI6__halflEEZNS1_25segmented_radix_sort_implIS3_Lb1EPKS5_PS5_PKlPlN2at6native12_GLOBAL__N_18offset_tEEE10hipError_tPvRmT1_PNSt15iterator_traitsISL_E10value_typeET2_T3_PNSM_ISR_E10value_typeET4_jRbjT5_SX_jjP12ihipStream_tbEUlT_E0_NS1_11comp_targetILNS1_3genE3ELNS1_11target_archE908ELNS1_3gpuE7ELNS1_3repE0EEENS1_60segmented_radix_sort_warp_sort_medium_config_static_selectorELNS0_4arch9wavefront6targetE1EEEvSL_,"axG",@progbits,_ZN7rocprim17ROCPRIM_400000_NS6detail17trampoline_kernelINS0_14default_configENS1_36segmented_radix_sort_config_selectorI6__halflEEZNS1_25segmented_radix_sort_implIS3_Lb1EPKS5_PS5_PKlPlN2at6native12_GLOBAL__N_18offset_tEEE10hipError_tPvRmT1_PNSt15iterator_traitsISL_E10value_typeET2_T3_PNSM_ISR_E10value_typeET4_jRbjT5_SX_jjP12ihipStream_tbEUlT_E0_NS1_11comp_targetILNS1_3genE3ELNS1_11target_archE908ELNS1_3gpuE7ELNS1_3repE0EEENS1_60segmented_radix_sort_warp_sort_medium_config_static_selectorELNS0_4arch9wavefront6targetE1EEEvSL_,comdat
.Lfunc_end1751:
	.size	_ZN7rocprim17ROCPRIM_400000_NS6detail17trampoline_kernelINS0_14default_configENS1_36segmented_radix_sort_config_selectorI6__halflEEZNS1_25segmented_radix_sort_implIS3_Lb1EPKS5_PS5_PKlPlN2at6native12_GLOBAL__N_18offset_tEEE10hipError_tPvRmT1_PNSt15iterator_traitsISL_E10value_typeET2_T3_PNSM_ISR_E10value_typeET4_jRbjT5_SX_jjP12ihipStream_tbEUlT_E0_NS1_11comp_targetILNS1_3genE3ELNS1_11target_archE908ELNS1_3gpuE7ELNS1_3repE0EEENS1_60segmented_radix_sort_warp_sort_medium_config_static_selectorELNS0_4arch9wavefront6targetE1EEEvSL_, .Lfunc_end1751-_ZN7rocprim17ROCPRIM_400000_NS6detail17trampoline_kernelINS0_14default_configENS1_36segmented_radix_sort_config_selectorI6__halflEEZNS1_25segmented_radix_sort_implIS3_Lb1EPKS5_PS5_PKlPlN2at6native12_GLOBAL__N_18offset_tEEE10hipError_tPvRmT1_PNSt15iterator_traitsISL_E10value_typeET2_T3_PNSM_ISR_E10value_typeET4_jRbjT5_SX_jjP12ihipStream_tbEUlT_E0_NS1_11comp_targetILNS1_3genE3ELNS1_11target_archE908ELNS1_3gpuE7ELNS1_3repE0EEENS1_60segmented_radix_sort_warp_sort_medium_config_static_selectorELNS0_4arch9wavefront6targetE1EEEvSL_
                                        ; -- End function
	.section	.AMDGPU.csdata,"",@progbits
; Kernel info:
; codeLenInByte = 0
; NumSgprs: 4
; NumVgprs: 0
; NumAgprs: 0
; TotalNumVgprs: 0
; ScratchSize: 0
; MemoryBound: 0
; FloatMode: 240
; IeeeMode: 1
; LDSByteSize: 0 bytes/workgroup (compile time only)
; SGPRBlocks: 0
; VGPRBlocks: 0
; NumSGPRsForWavesPerEU: 4
; NumVGPRsForWavesPerEU: 1
; AccumOffset: 4
; Occupancy: 8
; WaveLimiterHint : 0
; COMPUTE_PGM_RSRC2:SCRATCH_EN: 0
; COMPUTE_PGM_RSRC2:USER_SGPR: 6
; COMPUTE_PGM_RSRC2:TRAP_HANDLER: 0
; COMPUTE_PGM_RSRC2:TGID_X_EN: 1
; COMPUTE_PGM_RSRC2:TGID_Y_EN: 0
; COMPUTE_PGM_RSRC2:TGID_Z_EN: 0
; COMPUTE_PGM_RSRC2:TIDIG_COMP_CNT: 0
; COMPUTE_PGM_RSRC3_GFX90A:ACCUM_OFFSET: 0
; COMPUTE_PGM_RSRC3_GFX90A:TG_SPLIT: 0
	.section	.text._ZN7rocprim17ROCPRIM_400000_NS6detail17trampoline_kernelINS0_14default_configENS1_36segmented_radix_sort_config_selectorI6__halflEEZNS1_25segmented_radix_sort_implIS3_Lb1EPKS5_PS5_PKlPlN2at6native12_GLOBAL__N_18offset_tEEE10hipError_tPvRmT1_PNSt15iterator_traitsISL_E10value_typeET2_T3_PNSM_ISR_E10value_typeET4_jRbjT5_SX_jjP12ihipStream_tbEUlT_E0_NS1_11comp_targetILNS1_3genE2ELNS1_11target_archE906ELNS1_3gpuE6ELNS1_3repE0EEENS1_60segmented_radix_sort_warp_sort_medium_config_static_selectorELNS0_4arch9wavefront6targetE1EEEvSL_,"axG",@progbits,_ZN7rocprim17ROCPRIM_400000_NS6detail17trampoline_kernelINS0_14default_configENS1_36segmented_radix_sort_config_selectorI6__halflEEZNS1_25segmented_radix_sort_implIS3_Lb1EPKS5_PS5_PKlPlN2at6native12_GLOBAL__N_18offset_tEEE10hipError_tPvRmT1_PNSt15iterator_traitsISL_E10value_typeET2_T3_PNSM_ISR_E10value_typeET4_jRbjT5_SX_jjP12ihipStream_tbEUlT_E0_NS1_11comp_targetILNS1_3genE2ELNS1_11target_archE906ELNS1_3gpuE6ELNS1_3repE0EEENS1_60segmented_radix_sort_warp_sort_medium_config_static_selectorELNS0_4arch9wavefront6targetE1EEEvSL_,comdat
	.globl	_ZN7rocprim17ROCPRIM_400000_NS6detail17trampoline_kernelINS0_14default_configENS1_36segmented_radix_sort_config_selectorI6__halflEEZNS1_25segmented_radix_sort_implIS3_Lb1EPKS5_PS5_PKlPlN2at6native12_GLOBAL__N_18offset_tEEE10hipError_tPvRmT1_PNSt15iterator_traitsISL_E10value_typeET2_T3_PNSM_ISR_E10value_typeET4_jRbjT5_SX_jjP12ihipStream_tbEUlT_E0_NS1_11comp_targetILNS1_3genE2ELNS1_11target_archE906ELNS1_3gpuE6ELNS1_3repE0EEENS1_60segmented_radix_sort_warp_sort_medium_config_static_selectorELNS0_4arch9wavefront6targetE1EEEvSL_ ; -- Begin function _ZN7rocprim17ROCPRIM_400000_NS6detail17trampoline_kernelINS0_14default_configENS1_36segmented_radix_sort_config_selectorI6__halflEEZNS1_25segmented_radix_sort_implIS3_Lb1EPKS5_PS5_PKlPlN2at6native12_GLOBAL__N_18offset_tEEE10hipError_tPvRmT1_PNSt15iterator_traitsISL_E10value_typeET2_T3_PNSM_ISR_E10value_typeET4_jRbjT5_SX_jjP12ihipStream_tbEUlT_E0_NS1_11comp_targetILNS1_3genE2ELNS1_11target_archE906ELNS1_3gpuE6ELNS1_3repE0EEENS1_60segmented_radix_sort_warp_sort_medium_config_static_selectorELNS0_4arch9wavefront6targetE1EEEvSL_
	.p2align	8
	.type	_ZN7rocprim17ROCPRIM_400000_NS6detail17trampoline_kernelINS0_14default_configENS1_36segmented_radix_sort_config_selectorI6__halflEEZNS1_25segmented_radix_sort_implIS3_Lb1EPKS5_PS5_PKlPlN2at6native12_GLOBAL__N_18offset_tEEE10hipError_tPvRmT1_PNSt15iterator_traitsISL_E10value_typeET2_T3_PNSM_ISR_E10value_typeET4_jRbjT5_SX_jjP12ihipStream_tbEUlT_E0_NS1_11comp_targetILNS1_3genE2ELNS1_11target_archE906ELNS1_3gpuE6ELNS1_3repE0EEENS1_60segmented_radix_sort_warp_sort_medium_config_static_selectorELNS0_4arch9wavefront6targetE1EEEvSL_,@function
_ZN7rocprim17ROCPRIM_400000_NS6detail17trampoline_kernelINS0_14default_configENS1_36segmented_radix_sort_config_selectorI6__halflEEZNS1_25segmented_radix_sort_implIS3_Lb1EPKS5_PS5_PKlPlN2at6native12_GLOBAL__N_18offset_tEEE10hipError_tPvRmT1_PNSt15iterator_traitsISL_E10value_typeET2_T3_PNSM_ISR_E10value_typeET4_jRbjT5_SX_jjP12ihipStream_tbEUlT_E0_NS1_11comp_targetILNS1_3genE2ELNS1_11target_archE906ELNS1_3gpuE6ELNS1_3repE0EEENS1_60segmented_radix_sort_warp_sort_medium_config_static_selectorELNS0_4arch9wavefront6targetE1EEEvSL_: ; @_ZN7rocprim17ROCPRIM_400000_NS6detail17trampoline_kernelINS0_14default_configENS1_36segmented_radix_sort_config_selectorI6__halflEEZNS1_25segmented_radix_sort_implIS3_Lb1EPKS5_PS5_PKlPlN2at6native12_GLOBAL__N_18offset_tEEE10hipError_tPvRmT1_PNSt15iterator_traitsISL_E10value_typeET2_T3_PNSM_ISR_E10value_typeET4_jRbjT5_SX_jjP12ihipStream_tbEUlT_E0_NS1_11comp_targetILNS1_3genE2ELNS1_11target_archE906ELNS1_3gpuE6ELNS1_3repE0EEENS1_60segmented_radix_sort_warp_sort_medium_config_static_selectorELNS0_4arch9wavefront6targetE1EEEvSL_
; %bb.0:
	.section	.rodata,"a",@progbits
	.p2align	6, 0x0
	.amdhsa_kernel _ZN7rocprim17ROCPRIM_400000_NS6detail17trampoline_kernelINS0_14default_configENS1_36segmented_radix_sort_config_selectorI6__halflEEZNS1_25segmented_radix_sort_implIS3_Lb1EPKS5_PS5_PKlPlN2at6native12_GLOBAL__N_18offset_tEEE10hipError_tPvRmT1_PNSt15iterator_traitsISL_E10value_typeET2_T3_PNSM_ISR_E10value_typeET4_jRbjT5_SX_jjP12ihipStream_tbEUlT_E0_NS1_11comp_targetILNS1_3genE2ELNS1_11target_archE906ELNS1_3gpuE6ELNS1_3repE0EEENS1_60segmented_radix_sort_warp_sort_medium_config_static_selectorELNS0_4arch9wavefront6targetE1EEEvSL_
		.amdhsa_group_segment_fixed_size 0
		.amdhsa_private_segment_fixed_size 0
		.amdhsa_kernarg_size 88
		.amdhsa_user_sgpr_count 6
		.amdhsa_user_sgpr_private_segment_buffer 1
		.amdhsa_user_sgpr_dispatch_ptr 0
		.amdhsa_user_sgpr_queue_ptr 0
		.amdhsa_user_sgpr_kernarg_segment_ptr 1
		.amdhsa_user_sgpr_dispatch_id 0
		.amdhsa_user_sgpr_flat_scratch_init 0
		.amdhsa_user_sgpr_kernarg_preload_length 0
		.amdhsa_user_sgpr_kernarg_preload_offset 0
		.amdhsa_user_sgpr_private_segment_size 0
		.amdhsa_uses_dynamic_stack 0
		.amdhsa_system_sgpr_private_segment_wavefront_offset 0
		.amdhsa_system_sgpr_workgroup_id_x 1
		.amdhsa_system_sgpr_workgroup_id_y 0
		.amdhsa_system_sgpr_workgroup_id_z 0
		.amdhsa_system_sgpr_workgroup_info 0
		.amdhsa_system_vgpr_workitem_id 0
		.amdhsa_next_free_vgpr 1
		.amdhsa_next_free_sgpr 0
		.amdhsa_accum_offset 4
		.amdhsa_reserve_vcc 0
		.amdhsa_reserve_flat_scratch 0
		.amdhsa_float_round_mode_32 0
		.amdhsa_float_round_mode_16_64 0
		.amdhsa_float_denorm_mode_32 3
		.amdhsa_float_denorm_mode_16_64 3
		.amdhsa_dx10_clamp 1
		.amdhsa_ieee_mode 1
		.amdhsa_fp16_overflow 0
		.amdhsa_tg_split 0
		.amdhsa_exception_fp_ieee_invalid_op 0
		.amdhsa_exception_fp_denorm_src 0
		.amdhsa_exception_fp_ieee_div_zero 0
		.amdhsa_exception_fp_ieee_overflow 0
		.amdhsa_exception_fp_ieee_underflow 0
		.amdhsa_exception_fp_ieee_inexact 0
		.amdhsa_exception_int_div_zero 0
	.end_amdhsa_kernel
	.section	.text._ZN7rocprim17ROCPRIM_400000_NS6detail17trampoline_kernelINS0_14default_configENS1_36segmented_radix_sort_config_selectorI6__halflEEZNS1_25segmented_radix_sort_implIS3_Lb1EPKS5_PS5_PKlPlN2at6native12_GLOBAL__N_18offset_tEEE10hipError_tPvRmT1_PNSt15iterator_traitsISL_E10value_typeET2_T3_PNSM_ISR_E10value_typeET4_jRbjT5_SX_jjP12ihipStream_tbEUlT_E0_NS1_11comp_targetILNS1_3genE2ELNS1_11target_archE906ELNS1_3gpuE6ELNS1_3repE0EEENS1_60segmented_radix_sort_warp_sort_medium_config_static_selectorELNS0_4arch9wavefront6targetE1EEEvSL_,"axG",@progbits,_ZN7rocprim17ROCPRIM_400000_NS6detail17trampoline_kernelINS0_14default_configENS1_36segmented_radix_sort_config_selectorI6__halflEEZNS1_25segmented_radix_sort_implIS3_Lb1EPKS5_PS5_PKlPlN2at6native12_GLOBAL__N_18offset_tEEE10hipError_tPvRmT1_PNSt15iterator_traitsISL_E10value_typeET2_T3_PNSM_ISR_E10value_typeET4_jRbjT5_SX_jjP12ihipStream_tbEUlT_E0_NS1_11comp_targetILNS1_3genE2ELNS1_11target_archE906ELNS1_3gpuE6ELNS1_3repE0EEENS1_60segmented_radix_sort_warp_sort_medium_config_static_selectorELNS0_4arch9wavefront6targetE1EEEvSL_,comdat
.Lfunc_end1752:
	.size	_ZN7rocprim17ROCPRIM_400000_NS6detail17trampoline_kernelINS0_14default_configENS1_36segmented_radix_sort_config_selectorI6__halflEEZNS1_25segmented_radix_sort_implIS3_Lb1EPKS5_PS5_PKlPlN2at6native12_GLOBAL__N_18offset_tEEE10hipError_tPvRmT1_PNSt15iterator_traitsISL_E10value_typeET2_T3_PNSM_ISR_E10value_typeET4_jRbjT5_SX_jjP12ihipStream_tbEUlT_E0_NS1_11comp_targetILNS1_3genE2ELNS1_11target_archE906ELNS1_3gpuE6ELNS1_3repE0EEENS1_60segmented_radix_sort_warp_sort_medium_config_static_selectorELNS0_4arch9wavefront6targetE1EEEvSL_, .Lfunc_end1752-_ZN7rocprim17ROCPRIM_400000_NS6detail17trampoline_kernelINS0_14default_configENS1_36segmented_radix_sort_config_selectorI6__halflEEZNS1_25segmented_radix_sort_implIS3_Lb1EPKS5_PS5_PKlPlN2at6native12_GLOBAL__N_18offset_tEEE10hipError_tPvRmT1_PNSt15iterator_traitsISL_E10value_typeET2_T3_PNSM_ISR_E10value_typeET4_jRbjT5_SX_jjP12ihipStream_tbEUlT_E0_NS1_11comp_targetILNS1_3genE2ELNS1_11target_archE906ELNS1_3gpuE6ELNS1_3repE0EEENS1_60segmented_radix_sort_warp_sort_medium_config_static_selectorELNS0_4arch9wavefront6targetE1EEEvSL_
                                        ; -- End function
	.section	.AMDGPU.csdata,"",@progbits
; Kernel info:
; codeLenInByte = 0
; NumSgprs: 4
; NumVgprs: 0
; NumAgprs: 0
; TotalNumVgprs: 0
; ScratchSize: 0
; MemoryBound: 0
; FloatMode: 240
; IeeeMode: 1
; LDSByteSize: 0 bytes/workgroup (compile time only)
; SGPRBlocks: 0
; VGPRBlocks: 0
; NumSGPRsForWavesPerEU: 4
; NumVGPRsForWavesPerEU: 1
; AccumOffset: 4
; Occupancy: 8
; WaveLimiterHint : 0
; COMPUTE_PGM_RSRC2:SCRATCH_EN: 0
; COMPUTE_PGM_RSRC2:USER_SGPR: 6
; COMPUTE_PGM_RSRC2:TRAP_HANDLER: 0
; COMPUTE_PGM_RSRC2:TGID_X_EN: 1
; COMPUTE_PGM_RSRC2:TGID_Y_EN: 0
; COMPUTE_PGM_RSRC2:TGID_Z_EN: 0
; COMPUTE_PGM_RSRC2:TIDIG_COMP_CNT: 0
; COMPUTE_PGM_RSRC3_GFX90A:ACCUM_OFFSET: 0
; COMPUTE_PGM_RSRC3_GFX90A:TG_SPLIT: 0
	.section	.text._ZN7rocprim17ROCPRIM_400000_NS6detail17trampoline_kernelINS0_14default_configENS1_36segmented_radix_sort_config_selectorI6__halflEEZNS1_25segmented_radix_sort_implIS3_Lb1EPKS5_PS5_PKlPlN2at6native12_GLOBAL__N_18offset_tEEE10hipError_tPvRmT1_PNSt15iterator_traitsISL_E10value_typeET2_T3_PNSM_ISR_E10value_typeET4_jRbjT5_SX_jjP12ihipStream_tbEUlT_E0_NS1_11comp_targetILNS1_3genE10ELNS1_11target_archE1201ELNS1_3gpuE5ELNS1_3repE0EEENS1_60segmented_radix_sort_warp_sort_medium_config_static_selectorELNS0_4arch9wavefront6targetE1EEEvSL_,"axG",@progbits,_ZN7rocprim17ROCPRIM_400000_NS6detail17trampoline_kernelINS0_14default_configENS1_36segmented_radix_sort_config_selectorI6__halflEEZNS1_25segmented_radix_sort_implIS3_Lb1EPKS5_PS5_PKlPlN2at6native12_GLOBAL__N_18offset_tEEE10hipError_tPvRmT1_PNSt15iterator_traitsISL_E10value_typeET2_T3_PNSM_ISR_E10value_typeET4_jRbjT5_SX_jjP12ihipStream_tbEUlT_E0_NS1_11comp_targetILNS1_3genE10ELNS1_11target_archE1201ELNS1_3gpuE5ELNS1_3repE0EEENS1_60segmented_radix_sort_warp_sort_medium_config_static_selectorELNS0_4arch9wavefront6targetE1EEEvSL_,comdat
	.globl	_ZN7rocprim17ROCPRIM_400000_NS6detail17trampoline_kernelINS0_14default_configENS1_36segmented_radix_sort_config_selectorI6__halflEEZNS1_25segmented_radix_sort_implIS3_Lb1EPKS5_PS5_PKlPlN2at6native12_GLOBAL__N_18offset_tEEE10hipError_tPvRmT1_PNSt15iterator_traitsISL_E10value_typeET2_T3_PNSM_ISR_E10value_typeET4_jRbjT5_SX_jjP12ihipStream_tbEUlT_E0_NS1_11comp_targetILNS1_3genE10ELNS1_11target_archE1201ELNS1_3gpuE5ELNS1_3repE0EEENS1_60segmented_radix_sort_warp_sort_medium_config_static_selectorELNS0_4arch9wavefront6targetE1EEEvSL_ ; -- Begin function _ZN7rocprim17ROCPRIM_400000_NS6detail17trampoline_kernelINS0_14default_configENS1_36segmented_radix_sort_config_selectorI6__halflEEZNS1_25segmented_radix_sort_implIS3_Lb1EPKS5_PS5_PKlPlN2at6native12_GLOBAL__N_18offset_tEEE10hipError_tPvRmT1_PNSt15iterator_traitsISL_E10value_typeET2_T3_PNSM_ISR_E10value_typeET4_jRbjT5_SX_jjP12ihipStream_tbEUlT_E0_NS1_11comp_targetILNS1_3genE10ELNS1_11target_archE1201ELNS1_3gpuE5ELNS1_3repE0EEENS1_60segmented_radix_sort_warp_sort_medium_config_static_selectorELNS0_4arch9wavefront6targetE1EEEvSL_
	.p2align	8
	.type	_ZN7rocprim17ROCPRIM_400000_NS6detail17trampoline_kernelINS0_14default_configENS1_36segmented_radix_sort_config_selectorI6__halflEEZNS1_25segmented_radix_sort_implIS3_Lb1EPKS5_PS5_PKlPlN2at6native12_GLOBAL__N_18offset_tEEE10hipError_tPvRmT1_PNSt15iterator_traitsISL_E10value_typeET2_T3_PNSM_ISR_E10value_typeET4_jRbjT5_SX_jjP12ihipStream_tbEUlT_E0_NS1_11comp_targetILNS1_3genE10ELNS1_11target_archE1201ELNS1_3gpuE5ELNS1_3repE0EEENS1_60segmented_radix_sort_warp_sort_medium_config_static_selectorELNS0_4arch9wavefront6targetE1EEEvSL_,@function
_ZN7rocprim17ROCPRIM_400000_NS6detail17trampoline_kernelINS0_14default_configENS1_36segmented_radix_sort_config_selectorI6__halflEEZNS1_25segmented_radix_sort_implIS3_Lb1EPKS5_PS5_PKlPlN2at6native12_GLOBAL__N_18offset_tEEE10hipError_tPvRmT1_PNSt15iterator_traitsISL_E10value_typeET2_T3_PNSM_ISR_E10value_typeET4_jRbjT5_SX_jjP12ihipStream_tbEUlT_E0_NS1_11comp_targetILNS1_3genE10ELNS1_11target_archE1201ELNS1_3gpuE5ELNS1_3repE0EEENS1_60segmented_radix_sort_warp_sort_medium_config_static_selectorELNS0_4arch9wavefront6targetE1EEEvSL_: ; @_ZN7rocprim17ROCPRIM_400000_NS6detail17trampoline_kernelINS0_14default_configENS1_36segmented_radix_sort_config_selectorI6__halflEEZNS1_25segmented_radix_sort_implIS3_Lb1EPKS5_PS5_PKlPlN2at6native12_GLOBAL__N_18offset_tEEE10hipError_tPvRmT1_PNSt15iterator_traitsISL_E10value_typeET2_T3_PNSM_ISR_E10value_typeET4_jRbjT5_SX_jjP12ihipStream_tbEUlT_E0_NS1_11comp_targetILNS1_3genE10ELNS1_11target_archE1201ELNS1_3gpuE5ELNS1_3repE0EEENS1_60segmented_radix_sort_warp_sort_medium_config_static_selectorELNS0_4arch9wavefront6targetE1EEEvSL_
; %bb.0:
	.section	.rodata,"a",@progbits
	.p2align	6, 0x0
	.amdhsa_kernel _ZN7rocprim17ROCPRIM_400000_NS6detail17trampoline_kernelINS0_14default_configENS1_36segmented_radix_sort_config_selectorI6__halflEEZNS1_25segmented_radix_sort_implIS3_Lb1EPKS5_PS5_PKlPlN2at6native12_GLOBAL__N_18offset_tEEE10hipError_tPvRmT1_PNSt15iterator_traitsISL_E10value_typeET2_T3_PNSM_ISR_E10value_typeET4_jRbjT5_SX_jjP12ihipStream_tbEUlT_E0_NS1_11comp_targetILNS1_3genE10ELNS1_11target_archE1201ELNS1_3gpuE5ELNS1_3repE0EEENS1_60segmented_radix_sort_warp_sort_medium_config_static_selectorELNS0_4arch9wavefront6targetE1EEEvSL_
		.amdhsa_group_segment_fixed_size 0
		.amdhsa_private_segment_fixed_size 0
		.amdhsa_kernarg_size 88
		.amdhsa_user_sgpr_count 6
		.amdhsa_user_sgpr_private_segment_buffer 1
		.amdhsa_user_sgpr_dispatch_ptr 0
		.amdhsa_user_sgpr_queue_ptr 0
		.amdhsa_user_sgpr_kernarg_segment_ptr 1
		.amdhsa_user_sgpr_dispatch_id 0
		.amdhsa_user_sgpr_flat_scratch_init 0
		.amdhsa_user_sgpr_kernarg_preload_length 0
		.amdhsa_user_sgpr_kernarg_preload_offset 0
		.amdhsa_user_sgpr_private_segment_size 0
		.amdhsa_uses_dynamic_stack 0
		.amdhsa_system_sgpr_private_segment_wavefront_offset 0
		.amdhsa_system_sgpr_workgroup_id_x 1
		.amdhsa_system_sgpr_workgroup_id_y 0
		.amdhsa_system_sgpr_workgroup_id_z 0
		.amdhsa_system_sgpr_workgroup_info 0
		.amdhsa_system_vgpr_workitem_id 0
		.amdhsa_next_free_vgpr 1
		.amdhsa_next_free_sgpr 0
		.amdhsa_accum_offset 4
		.amdhsa_reserve_vcc 0
		.amdhsa_reserve_flat_scratch 0
		.amdhsa_float_round_mode_32 0
		.amdhsa_float_round_mode_16_64 0
		.amdhsa_float_denorm_mode_32 3
		.amdhsa_float_denorm_mode_16_64 3
		.amdhsa_dx10_clamp 1
		.amdhsa_ieee_mode 1
		.amdhsa_fp16_overflow 0
		.amdhsa_tg_split 0
		.amdhsa_exception_fp_ieee_invalid_op 0
		.amdhsa_exception_fp_denorm_src 0
		.amdhsa_exception_fp_ieee_div_zero 0
		.amdhsa_exception_fp_ieee_overflow 0
		.amdhsa_exception_fp_ieee_underflow 0
		.amdhsa_exception_fp_ieee_inexact 0
		.amdhsa_exception_int_div_zero 0
	.end_amdhsa_kernel
	.section	.text._ZN7rocprim17ROCPRIM_400000_NS6detail17trampoline_kernelINS0_14default_configENS1_36segmented_radix_sort_config_selectorI6__halflEEZNS1_25segmented_radix_sort_implIS3_Lb1EPKS5_PS5_PKlPlN2at6native12_GLOBAL__N_18offset_tEEE10hipError_tPvRmT1_PNSt15iterator_traitsISL_E10value_typeET2_T3_PNSM_ISR_E10value_typeET4_jRbjT5_SX_jjP12ihipStream_tbEUlT_E0_NS1_11comp_targetILNS1_3genE10ELNS1_11target_archE1201ELNS1_3gpuE5ELNS1_3repE0EEENS1_60segmented_radix_sort_warp_sort_medium_config_static_selectorELNS0_4arch9wavefront6targetE1EEEvSL_,"axG",@progbits,_ZN7rocprim17ROCPRIM_400000_NS6detail17trampoline_kernelINS0_14default_configENS1_36segmented_radix_sort_config_selectorI6__halflEEZNS1_25segmented_radix_sort_implIS3_Lb1EPKS5_PS5_PKlPlN2at6native12_GLOBAL__N_18offset_tEEE10hipError_tPvRmT1_PNSt15iterator_traitsISL_E10value_typeET2_T3_PNSM_ISR_E10value_typeET4_jRbjT5_SX_jjP12ihipStream_tbEUlT_E0_NS1_11comp_targetILNS1_3genE10ELNS1_11target_archE1201ELNS1_3gpuE5ELNS1_3repE0EEENS1_60segmented_radix_sort_warp_sort_medium_config_static_selectorELNS0_4arch9wavefront6targetE1EEEvSL_,comdat
.Lfunc_end1753:
	.size	_ZN7rocprim17ROCPRIM_400000_NS6detail17trampoline_kernelINS0_14default_configENS1_36segmented_radix_sort_config_selectorI6__halflEEZNS1_25segmented_radix_sort_implIS3_Lb1EPKS5_PS5_PKlPlN2at6native12_GLOBAL__N_18offset_tEEE10hipError_tPvRmT1_PNSt15iterator_traitsISL_E10value_typeET2_T3_PNSM_ISR_E10value_typeET4_jRbjT5_SX_jjP12ihipStream_tbEUlT_E0_NS1_11comp_targetILNS1_3genE10ELNS1_11target_archE1201ELNS1_3gpuE5ELNS1_3repE0EEENS1_60segmented_radix_sort_warp_sort_medium_config_static_selectorELNS0_4arch9wavefront6targetE1EEEvSL_, .Lfunc_end1753-_ZN7rocprim17ROCPRIM_400000_NS6detail17trampoline_kernelINS0_14default_configENS1_36segmented_radix_sort_config_selectorI6__halflEEZNS1_25segmented_radix_sort_implIS3_Lb1EPKS5_PS5_PKlPlN2at6native12_GLOBAL__N_18offset_tEEE10hipError_tPvRmT1_PNSt15iterator_traitsISL_E10value_typeET2_T3_PNSM_ISR_E10value_typeET4_jRbjT5_SX_jjP12ihipStream_tbEUlT_E0_NS1_11comp_targetILNS1_3genE10ELNS1_11target_archE1201ELNS1_3gpuE5ELNS1_3repE0EEENS1_60segmented_radix_sort_warp_sort_medium_config_static_selectorELNS0_4arch9wavefront6targetE1EEEvSL_
                                        ; -- End function
	.section	.AMDGPU.csdata,"",@progbits
; Kernel info:
; codeLenInByte = 0
; NumSgprs: 4
; NumVgprs: 0
; NumAgprs: 0
; TotalNumVgprs: 0
; ScratchSize: 0
; MemoryBound: 0
; FloatMode: 240
; IeeeMode: 1
; LDSByteSize: 0 bytes/workgroup (compile time only)
; SGPRBlocks: 0
; VGPRBlocks: 0
; NumSGPRsForWavesPerEU: 4
; NumVGPRsForWavesPerEU: 1
; AccumOffset: 4
; Occupancy: 8
; WaveLimiterHint : 0
; COMPUTE_PGM_RSRC2:SCRATCH_EN: 0
; COMPUTE_PGM_RSRC2:USER_SGPR: 6
; COMPUTE_PGM_RSRC2:TRAP_HANDLER: 0
; COMPUTE_PGM_RSRC2:TGID_X_EN: 1
; COMPUTE_PGM_RSRC2:TGID_Y_EN: 0
; COMPUTE_PGM_RSRC2:TGID_Z_EN: 0
; COMPUTE_PGM_RSRC2:TIDIG_COMP_CNT: 0
; COMPUTE_PGM_RSRC3_GFX90A:ACCUM_OFFSET: 0
; COMPUTE_PGM_RSRC3_GFX90A:TG_SPLIT: 0
	.section	.text._ZN7rocprim17ROCPRIM_400000_NS6detail17trampoline_kernelINS0_14default_configENS1_36segmented_radix_sort_config_selectorI6__halflEEZNS1_25segmented_radix_sort_implIS3_Lb1EPKS5_PS5_PKlPlN2at6native12_GLOBAL__N_18offset_tEEE10hipError_tPvRmT1_PNSt15iterator_traitsISL_E10value_typeET2_T3_PNSM_ISR_E10value_typeET4_jRbjT5_SX_jjP12ihipStream_tbEUlT_E0_NS1_11comp_targetILNS1_3genE10ELNS1_11target_archE1200ELNS1_3gpuE4ELNS1_3repE0EEENS1_60segmented_radix_sort_warp_sort_medium_config_static_selectorELNS0_4arch9wavefront6targetE1EEEvSL_,"axG",@progbits,_ZN7rocprim17ROCPRIM_400000_NS6detail17trampoline_kernelINS0_14default_configENS1_36segmented_radix_sort_config_selectorI6__halflEEZNS1_25segmented_radix_sort_implIS3_Lb1EPKS5_PS5_PKlPlN2at6native12_GLOBAL__N_18offset_tEEE10hipError_tPvRmT1_PNSt15iterator_traitsISL_E10value_typeET2_T3_PNSM_ISR_E10value_typeET4_jRbjT5_SX_jjP12ihipStream_tbEUlT_E0_NS1_11comp_targetILNS1_3genE10ELNS1_11target_archE1200ELNS1_3gpuE4ELNS1_3repE0EEENS1_60segmented_radix_sort_warp_sort_medium_config_static_selectorELNS0_4arch9wavefront6targetE1EEEvSL_,comdat
	.globl	_ZN7rocprim17ROCPRIM_400000_NS6detail17trampoline_kernelINS0_14default_configENS1_36segmented_radix_sort_config_selectorI6__halflEEZNS1_25segmented_radix_sort_implIS3_Lb1EPKS5_PS5_PKlPlN2at6native12_GLOBAL__N_18offset_tEEE10hipError_tPvRmT1_PNSt15iterator_traitsISL_E10value_typeET2_T3_PNSM_ISR_E10value_typeET4_jRbjT5_SX_jjP12ihipStream_tbEUlT_E0_NS1_11comp_targetILNS1_3genE10ELNS1_11target_archE1200ELNS1_3gpuE4ELNS1_3repE0EEENS1_60segmented_radix_sort_warp_sort_medium_config_static_selectorELNS0_4arch9wavefront6targetE1EEEvSL_ ; -- Begin function _ZN7rocprim17ROCPRIM_400000_NS6detail17trampoline_kernelINS0_14default_configENS1_36segmented_radix_sort_config_selectorI6__halflEEZNS1_25segmented_radix_sort_implIS3_Lb1EPKS5_PS5_PKlPlN2at6native12_GLOBAL__N_18offset_tEEE10hipError_tPvRmT1_PNSt15iterator_traitsISL_E10value_typeET2_T3_PNSM_ISR_E10value_typeET4_jRbjT5_SX_jjP12ihipStream_tbEUlT_E0_NS1_11comp_targetILNS1_3genE10ELNS1_11target_archE1200ELNS1_3gpuE4ELNS1_3repE0EEENS1_60segmented_radix_sort_warp_sort_medium_config_static_selectorELNS0_4arch9wavefront6targetE1EEEvSL_
	.p2align	8
	.type	_ZN7rocprim17ROCPRIM_400000_NS6detail17trampoline_kernelINS0_14default_configENS1_36segmented_radix_sort_config_selectorI6__halflEEZNS1_25segmented_radix_sort_implIS3_Lb1EPKS5_PS5_PKlPlN2at6native12_GLOBAL__N_18offset_tEEE10hipError_tPvRmT1_PNSt15iterator_traitsISL_E10value_typeET2_T3_PNSM_ISR_E10value_typeET4_jRbjT5_SX_jjP12ihipStream_tbEUlT_E0_NS1_11comp_targetILNS1_3genE10ELNS1_11target_archE1200ELNS1_3gpuE4ELNS1_3repE0EEENS1_60segmented_radix_sort_warp_sort_medium_config_static_selectorELNS0_4arch9wavefront6targetE1EEEvSL_,@function
_ZN7rocprim17ROCPRIM_400000_NS6detail17trampoline_kernelINS0_14default_configENS1_36segmented_radix_sort_config_selectorI6__halflEEZNS1_25segmented_radix_sort_implIS3_Lb1EPKS5_PS5_PKlPlN2at6native12_GLOBAL__N_18offset_tEEE10hipError_tPvRmT1_PNSt15iterator_traitsISL_E10value_typeET2_T3_PNSM_ISR_E10value_typeET4_jRbjT5_SX_jjP12ihipStream_tbEUlT_E0_NS1_11comp_targetILNS1_3genE10ELNS1_11target_archE1200ELNS1_3gpuE4ELNS1_3repE0EEENS1_60segmented_radix_sort_warp_sort_medium_config_static_selectorELNS0_4arch9wavefront6targetE1EEEvSL_: ; @_ZN7rocprim17ROCPRIM_400000_NS6detail17trampoline_kernelINS0_14default_configENS1_36segmented_radix_sort_config_selectorI6__halflEEZNS1_25segmented_radix_sort_implIS3_Lb1EPKS5_PS5_PKlPlN2at6native12_GLOBAL__N_18offset_tEEE10hipError_tPvRmT1_PNSt15iterator_traitsISL_E10value_typeET2_T3_PNSM_ISR_E10value_typeET4_jRbjT5_SX_jjP12ihipStream_tbEUlT_E0_NS1_11comp_targetILNS1_3genE10ELNS1_11target_archE1200ELNS1_3gpuE4ELNS1_3repE0EEENS1_60segmented_radix_sort_warp_sort_medium_config_static_selectorELNS0_4arch9wavefront6targetE1EEEvSL_
; %bb.0:
	.section	.rodata,"a",@progbits
	.p2align	6, 0x0
	.amdhsa_kernel _ZN7rocprim17ROCPRIM_400000_NS6detail17trampoline_kernelINS0_14default_configENS1_36segmented_radix_sort_config_selectorI6__halflEEZNS1_25segmented_radix_sort_implIS3_Lb1EPKS5_PS5_PKlPlN2at6native12_GLOBAL__N_18offset_tEEE10hipError_tPvRmT1_PNSt15iterator_traitsISL_E10value_typeET2_T3_PNSM_ISR_E10value_typeET4_jRbjT5_SX_jjP12ihipStream_tbEUlT_E0_NS1_11comp_targetILNS1_3genE10ELNS1_11target_archE1200ELNS1_3gpuE4ELNS1_3repE0EEENS1_60segmented_radix_sort_warp_sort_medium_config_static_selectorELNS0_4arch9wavefront6targetE1EEEvSL_
		.amdhsa_group_segment_fixed_size 0
		.amdhsa_private_segment_fixed_size 0
		.amdhsa_kernarg_size 88
		.amdhsa_user_sgpr_count 6
		.amdhsa_user_sgpr_private_segment_buffer 1
		.amdhsa_user_sgpr_dispatch_ptr 0
		.amdhsa_user_sgpr_queue_ptr 0
		.amdhsa_user_sgpr_kernarg_segment_ptr 1
		.amdhsa_user_sgpr_dispatch_id 0
		.amdhsa_user_sgpr_flat_scratch_init 0
		.amdhsa_user_sgpr_kernarg_preload_length 0
		.amdhsa_user_sgpr_kernarg_preload_offset 0
		.amdhsa_user_sgpr_private_segment_size 0
		.amdhsa_uses_dynamic_stack 0
		.amdhsa_system_sgpr_private_segment_wavefront_offset 0
		.amdhsa_system_sgpr_workgroup_id_x 1
		.amdhsa_system_sgpr_workgroup_id_y 0
		.amdhsa_system_sgpr_workgroup_id_z 0
		.amdhsa_system_sgpr_workgroup_info 0
		.amdhsa_system_vgpr_workitem_id 0
		.amdhsa_next_free_vgpr 1
		.amdhsa_next_free_sgpr 0
		.amdhsa_accum_offset 4
		.amdhsa_reserve_vcc 0
		.amdhsa_reserve_flat_scratch 0
		.amdhsa_float_round_mode_32 0
		.amdhsa_float_round_mode_16_64 0
		.amdhsa_float_denorm_mode_32 3
		.amdhsa_float_denorm_mode_16_64 3
		.amdhsa_dx10_clamp 1
		.amdhsa_ieee_mode 1
		.amdhsa_fp16_overflow 0
		.amdhsa_tg_split 0
		.amdhsa_exception_fp_ieee_invalid_op 0
		.amdhsa_exception_fp_denorm_src 0
		.amdhsa_exception_fp_ieee_div_zero 0
		.amdhsa_exception_fp_ieee_overflow 0
		.amdhsa_exception_fp_ieee_underflow 0
		.amdhsa_exception_fp_ieee_inexact 0
		.amdhsa_exception_int_div_zero 0
	.end_amdhsa_kernel
	.section	.text._ZN7rocprim17ROCPRIM_400000_NS6detail17trampoline_kernelINS0_14default_configENS1_36segmented_radix_sort_config_selectorI6__halflEEZNS1_25segmented_radix_sort_implIS3_Lb1EPKS5_PS5_PKlPlN2at6native12_GLOBAL__N_18offset_tEEE10hipError_tPvRmT1_PNSt15iterator_traitsISL_E10value_typeET2_T3_PNSM_ISR_E10value_typeET4_jRbjT5_SX_jjP12ihipStream_tbEUlT_E0_NS1_11comp_targetILNS1_3genE10ELNS1_11target_archE1200ELNS1_3gpuE4ELNS1_3repE0EEENS1_60segmented_radix_sort_warp_sort_medium_config_static_selectorELNS0_4arch9wavefront6targetE1EEEvSL_,"axG",@progbits,_ZN7rocprim17ROCPRIM_400000_NS6detail17trampoline_kernelINS0_14default_configENS1_36segmented_radix_sort_config_selectorI6__halflEEZNS1_25segmented_radix_sort_implIS3_Lb1EPKS5_PS5_PKlPlN2at6native12_GLOBAL__N_18offset_tEEE10hipError_tPvRmT1_PNSt15iterator_traitsISL_E10value_typeET2_T3_PNSM_ISR_E10value_typeET4_jRbjT5_SX_jjP12ihipStream_tbEUlT_E0_NS1_11comp_targetILNS1_3genE10ELNS1_11target_archE1200ELNS1_3gpuE4ELNS1_3repE0EEENS1_60segmented_radix_sort_warp_sort_medium_config_static_selectorELNS0_4arch9wavefront6targetE1EEEvSL_,comdat
.Lfunc_end1754:
	.size	_ZN7rocprim17ROCPRIM_400000_NS6detail17trampoline_kernelINS0_14default_configENS1_36segmented_radix_sort_config_selectorI6__halflEEZNS1_25segmented_radix_sort_implIS3_Lb1EPKS5_PS5_PKlPlN2at6native12_GLOBAL__N_18offset_tEEE10hipError_tPvRmT1_PNSt15iterator_traitsISL_E10value_typeET2_T3_PNSM_ISR_E10value_typeET4_jRbjT5_SX_jjP12ihipStream_tbEUlT_E0_NS1_11comp_targetILNS1_3genE10ELNS1_11target_archE1200ELNS1_3gpuE4ELNS1_3repE0EEENS1_60segmented_radix_sort_warp_sort_medium_config_static_selectorELNS0_4arch9wavefront6targetE1EEEvSL_, .Lfunc_end1754-_ZN7rocprim17ROCPRIM_400000_NS6detail17trampoline_kernelINS0_14default_configENS1_36segmented_radix_sort_config_selectorI6__halflEEZNS1_25segmented_radix_sort_implIS3_Lb1EPKS5_PS5_PKlPlN2at6native12_GLOBAL__N_18offset_tEEE10hipError_tPvRmT1_PNSt15iterator_traitsISL_E10value_typeET2_T3_PNSM_ISR_E10value_typeET4_jRbjT5_SX_jjP12ihipStream_tbEUlT_E0_NS1_11comp_targetILNS1_3genE10ELNS1_11target_archE1200ELNS1_3gpuE4ELNS1_3repE0EEENS1_60segmented_radix_sort_warp_sort_medium_config_static_selectorELNS0_4arch9wavefront6targetE1EEEvSL_
                                        ; -- End function
	.section	.AMDGPU.csdata,"",@progbits
; Kernel info:
; codeLenInByte = 0
; NumSgprs: 4
; NumVgprs: 0
; NumAgprs: 0
; TotalNumVgprs: 0
; ScratchSize: 0
; MemoryBound: 0
; FloatMode: 240
; IeeeMode: 1
; LDSByteSize: 0 bytes/workgroup (compile time only)
; SGPRBlocks: 0
; VGPRBlocks: 0
; NumSGPRsForWavesPerEU: 4
; NumVGPRsForWavesPerEU: 1
; AccumOffset: 4
; Occupancy: 8
; WaveLimiterHint : 0
; COMPUTE_PGM_RSRC2:SCRATCH_EN: 0
; COMPUTE_PGM_RSRC2:USER_SGPR: 6
; COMPUTE_PGM_RSRC2:TRAP_HANDLER: 0
; COMPUTE_PGM_RSRC2:TGID_X_EN: 1
; COMPUTE_PGM_RSRC2:TGID_Y_EN: 0
; COMPUTE_PGM_RSRC2:TGID_Z_EN: 0
; COMPUTE_PGM_RSRC2:TIDIG_COMP_CNT: 0
; COMPUTE_PGM_RSRC3_GFX90A:ACCUM_OFFSET: 0
; COMPUTE_PGM_RSRC3_GFX90A:TG_SPLIT: 0
	.section	.text._ZN7rocprim17ROCPRIM_400000_NS6detail17trampoline_kernelINS0_14default_configENS1_36segmented_radix_sort_config_selectorI6__halflEEZNS1_25segmented_radix_sort_implIS3_Lb1EPKS5_PS5_PKlPlN2at6native12_GLOBAL__N_18offset_tEEE10hipError_tPvRmT1_PNSt15iterator_traitsISL_E10value_typeET2_T3_PNSM_ISR_E10value_typeET4_jRbjT5_SX_jjP12ihipStream_tbEUlT_E0_NS1_11comp_targetILNS1_3genE9ELNS1_11target_archE1100ELNS1_3gpuE3ELNS1_3repE0EEENS1_60segmented_radix_sort_warp_sort_medium_config_static_selectorELNS0_4arch9wavefront6targetE1EEEvSL_,"axG",@progbits,_ZN7rocprim17ROCPRIM_400000_NS6detail17trampoline_kernelINS0_14default_configENS1_36segmented_radix_sort_config_selectorI6__halflEEZNS1_25segmented_radix_sort_implIS3_Lb1EPKS5_PS5_PKlPlN2at6native12_GLOBAL__N_18offset_tEEE10hipError_tPvRmT1_PNSt15iterator_traitsISL_E10value_typeET2_T3_PNSM_ISR_E10value_typeET4_jRbjT5_SX_jjP12ihipStream_tbEUlT_E0_NS1_11comp_targetILNS1_3genE9ELNS1_11target_archE1100ELNS1_3gpuE3ELNS1_3repE0EEENS1_60segmented_radix_sort_warp_sort_medium_config_static_selectorELNS0_4arch9wavefront6targetE1EEEvSL_,comdat
	.globl	_ZN7rocprim17ROCPRIM_400000_NS6detail17trampoline_kernelINS0_14default_configENS1_36segmented_radix_sort_config_selectorI6__halflEEZNS1_25segmented_radix_sort_implIS3_Lb1EPKS5_PS5_PKlPlN2at6native12_GLOBAL__N_18offset_tEEE10hipError_tPvRmT1_PNSt15iterator_traitsISL_E10value_typeET2_T3_PNSM_ISR_E10value_typeET4_jRbjT5_SX_jjP12ihipStream_tbEUlT_E0_NS1_11comp_targetILNS1_3genE9ELNS1_11target_archE1100ELNS1_3gpuE3ELNS1_3repE0EEENS1_60segmented_radix_sort_warp_sort_medium_config_static_selectorELNS0_4arch9wavefront6targetE1EEEvSL_ ; -- Begin function _ZN7rocprim17ROCPRIM_400000_NS6detail17trampoline_kernelINS0_14default_configENS1_36segmented_radix_sort_config_selectorI6__halflEEZNS1_25segmented_radix_sort_implIS3_Lb1EPKS5_PS5_PKlPlN2at6native12_GLOBAL__N_18offset_tEEE10hipError_tPvRmT1_PNSt15iterator_traitsISL_E10value_typeET2_T3_PNSM_ISR_E10value_typeET4_jRbjT5_SX_jjP12ihipStream_tbEUlT_E0_NS1_11comp_targetILNS1_3genE9ELNS1_11target_archE1100ELNS1_3gpuE3ELNS1_3repE0EEENS1_60segmented_radix_sort_warp_sort_medium_config_static_selectorELNS0_4arch9wavefront6targetE1EEEvSL_
	.p2align	8
	.type	_ZN7rocprim17ROCPRIM_400000_NS6detail17trampoline_kernelINS0_14default_configENS1_36segmented_radix_sort_config_selectorI6__halflEEZNS1_25segmented_radix_sort_implIS3_Lb1EPKS5_PS5_PKlPlN2at6native12_GLOBAL__N_18offset_tEEE10hipError_tPvRmT1_PNSt15iterator_traitsISL_E10value_typeET2_T3_PNSM_ISR_E10value_typeET4_jRbjT5_SX_jjP12ihipStream_tbEUlT_E0_NS1_11comp_targetILNS1_3genE9ELNS1_11target_archE1100ELNS1_3gpuE3ELNS1_3repE0EEENS1_60segmented_radix_sort_warp_sort_medium_config_static_selectorELNS0_4arch9wavefront6targetE1EEEvSL_,@function
_ZN7rocprim17ROCPRIM_400000_NS6detail17trampoline_kernelINS0_14default_configENS1_36segmented_radix_sort_config_selectorI6__halflEEZNS1_25segmented_radix_sort_implIS3_Lb1EPKS5_PS5_PKlPlN2at6native12_GLOBAL__N_18offset_tEEE10hipError_tPvRmT1_PNSt15iterator_traitsISL_E10value_typeET2_T3_PNSM_ISR_E10value_typeET4_jRbjT5_SX_jjP12ihipStream_tbEUlT_E0_NS1_11comp_targetILNS1_3genE9ELNS1_11target_archE1100ELNS1_3gpuE3ELNS1_3repE0EEENS1_60segmented_radix_sort_warp_sort_medium_config_static_selectorELNS0_4arch9wavefront6targetE1EEEvSL_: ; @_ZN7rocprim17ROCPRIM_400000_NS6detail17trampoline_kernelINS0_14default_configENS1_36segmented_radix_sort_config_selectorI6__halflEEZNS1_25segmented_radix_sort_implIS3_Lb1EPKS5_PS5_PKlPlN2at6native12_GLOBAL__N_18offset_tEEE10hipError_tPvRmT1_PNSt15iterator_traitsISL_E10value_typeET2_T3_PNSM_ISR_E10value_typeET4_jRbjT5_SX_jjP12ihipStream_tbEUlT_E0_NS1_11comp_targetILNS1_3genE9ELNS1_11target_archE1100ELNS1_3gpuE3ELNS1_3repE0EEENS1_60segmented_radix_sort_warp_sort_medium_config_static_selectorELNS0_4arch9wavefront6targetE1EEEvSL_
; %bb.0:
	.section	.rodata,"a",@progbits
	.p2align	6, 0x0
	.amdhsa_kernel _ZN7rocprim17ROCPRIM_400000_NS6detail17trampoline_kernelINS0_14default_configENS1_36segmented_radix_sort_config_selectorI6__halflEEZNS1_25segmented_radix_sort_implIS3_Lb1EPKS5_PS5_PKlPlN2at6native12_GLOBAL__N_18offset_tEEE10hipError_tPvRmT1_PNSt15iterator_traitsISL_E10value_typeET2_T3_PNSM_ISR_E10value_typeET4_jRbjT5_SX_jjP12ihipStream_tbEUlT_E0_NS1_11comp_targetILNS1_3genE9ELNS1_11target_archE1100ELNS1_3gpuE3ELNS1_3repE0EEENS1_60segmented_radix_sort_warp_sort_medium_config_static_selectorELNS0_4arch9wavefront6targetE1EEEvSL_
		.amdhsa_group_segment_fixed_size 0
		.amdhsa_private_segment_fixed_size 0
		.amdhsa_kernarg_size 88
		.amdhsa_user_sgpr_count 6
		.amdhsa_user_sgpr_private_segment_buffer 1
		.amdhsa_user_sgpr_dispatch_ptr 0
		.amdhsa_user_sgpr_queue_ptr 0
		.amdhsa_user_sgpr_kernarg_segment_ptr 1
		.amdhsa_user_sgpr_dispatch_id 0
		.amdhsa_user_sgpr_flat_scratch_init 0
		.amdhsa_user_sgpr_kernarg_preload_length 0
		.amdhsa_user_sgpr_kernarg_preload_offset 0
		.amdhsa_user_sgpr_private_segment_size 0
		.amdhsa_uses_dynamic_stack 0
		.amdhsa_system_sgpr_private_segment_wavefront_offset 0
		.amdhsa_system_sgpr_workgroup_id_x 1
		.amdhsa_system_sgpr_workgroup_id_y 0
		.amdhsa_system_sgpr_workgroup_id_z 0
		.amdhsa_system_sgpr_workgroup_info 0
		.amdhsa_system_vgpr_workitem_id 0
		.amdhsa_next_free_vgpr 1
		.amdhsa_next_free_sgpr 0
		.amdhsa_accum_offset 4
		.amdhsa_reserve_vcc 0
		.amdhsa_reserve_flat_scratch 0
		.amdhsa_float_round_mode_32 0
		.amdhsa_float_round_mode_16_64 0
		.amdhsa_float_denorm_mode_32 3
		.amdhsa_float_denorm_mode_16_64 3
		.amdhsa_dx10_clamp 1
		.amdhsa_ieee_mode 1
		.amdhsa_fp16_overflow 0
		.amdhsa_tg_split 0
		.amdhsa_exception_fp_ieee_invalid_op 0
		.amdhsa_exception_fp_denorm_src 0
		.amdhsa_exception_fp_ieee_div_zero 0
		.amdhsa_exception_fp_ieee_overflow 0
		.amdhsa_exception_fp_ieee_underflow 0
		.amdhsa_exception_fp_ieee_inexact 0
		.amdhsa_exception_int_div_zero 0
	.end_amdhsa_kernel
	.section	.text._ZN7rocprim17ROCPRIM_400000_NS6detail17trampoline_kernelINS0_14default_configENS1_36segmented_radix_sort_config_selectorI6__halflEEZNS1_25segmented_radix_sort_implIS3_Lb1EPKS5_PS5_PKlPlN2at6native12_GLOBAL__N_18offset_tEEE10hipError_tPvRmT1_PNSt15iterator_traitsISL_E10value_typeET2_T3_PNSM_ISR_E10value_typeET4_jRbjT5_SX_jjP12ihipStream_tbEUlT_E0_NS1_11comp_targetILNS1_3genE9ELNS1_11target_archE1100ELNS1_3gpuE3ELNS1_3repE0EEENS1_60segmented_radix_sort_warp_sort_medium_config_static_selectorELNS0_4arch9wavefront6targetE1EEEvSL_,"axG",@progbits,_ZN7rocprim17ROCPRIM_400000_NS6detail17trampoline_kernelINS0_14default_configENS1_36segmented_radix_sort_config_selectorI6__halflEEZNS1_25segmented_radix_sort_implIS3_Lb1EPKS5_PS5_PKlPlN2at6native12_GLOBAL__N_18offset_tEEE10hipError_tPvRmT1_PNSt15iterator_traitsISL_E10value_typeET2_T3_PNSM_ISR_E10value_typeET4_jRbjT5_SX_jjP12ihipStream_tbEUlT_E0_NS1_11comp_targetILNS1_3genE9ELNS1_11target_archE1100ELNS1_3gpuE3ELNS1_3repE0EEENS1_60segmented_radix_sort_warp_sort_medium_config_static_selectorELNS0_4arch9wavefront6targetE1EEEvSL_,comdat
.Lfunc_end1755:
	.size	_ZN7rocprim17ROCPRIM_400000_NS6detail17trampoline_kernelINS0_14default_configENS1_36segmented_radix_sort_config_selectorI6__halflEEZNS1_25segmented_radix_sort_implIS3_Lb1EPKS5_PS5_PKlPlN2at6native12_GLOBAL__N_18offset_tEEE10hipError_tPvRmT1_PNSt15iterator_traitsISL_E10value_typeET2_T3_PNSM_ISR_E10value_typeET4_jRbjT5_SX_jjP12ihipStream_tbEUlT_E0_NS1_11comp_targetILNS1_3genE9ELNS1_11target_archE1100ELNS1_3gpuE3ELNS1_3repE0EEENS1_60segmented_radix_sort_warp_sort_medium_config_static_selectorELNS0_4arch9wavefront6targetE1EEEvSL_, .Lfunc_end1755-_ZN7rocprim17ROCPRIM_400000_NS6detail17trampoline_kernelINS0_14default_configENS1_36segmented_radix_sort_config_selectorI6__halflEEZNS1_25segmented_radix_sort_implIS3_Lb1EPKS5_PS5_PKlPlN2at6native12_GLOBAL__N_18offset_tEEE10hipError_tPvRmT1_PNSt15iterator_traitsISL_E10value_typeET2_T3_PNSM_ISR_E10value_typeET4_jRbjT5_SX_jjP12ihipStream_tbEUlT_E0_NS1_11comp_targetILNS1_3genE9ELNS1_11target_archE1100ELNS1_3gpuE3ELNS1_3repE0EEENS1_60segmented_radix_sort_warp_sort_medium_config_static_selectorELNS0_4arch9wavefront6targetE1EEEvSL_
                                        ; -- End function
	.section	.AMDGPU.csdata,"",@progbits
; Kernel info:
; codeLenInByte = 0
; NumSgprs: 4
; NumVgprs: 0
; NumAgprs: 0
; TotalNumVgprs: 0
; ScratchSize: 0
; MemoryBound: 0
; FloatMode: 240
; IeeeMode: 1
; LDSByteSize: 0 bytes/workgroup (compile time only)
; SGPRBlocks: 0
; VGPRBlocks: 0
; NumSGPRsForWavesPerEU: 4
; NumVGPRsForWavesPerEU: 1
; AccumOffset: 4
; Occupancy: 8
; WaveLimiterHint : 0
; COMPUTE_PGM_RSRC2:SCRATCH_EN: 0
; COMPUTE_PGM_RSRC2:USER_SGPR: 6
; COMPUTE_PGM_RSRC2:TRAP_HANDLER: 0
; COMPUTE_PGM_RSRC2:TGID_X_EN: 1
; COMPUTE_PGM_RSRC2:TGID_Y_EN: 0
; COMPUTE_PGM_RSRC2:TGID_Z_EN: 0
; COMPUTE_PGM_RSRC2:TIDIG_COMP_CNT: 0
; COMPUTE_PGM_RSRC3_GFX90A:ACCUM_OFFSET: 0
; COMPUTE_PGM_RSRC3_GFX90A:TG_SPLIT: 0
	.section	.text._ZN7rocprim17ROCPRIM_400000_NS6detail17trampoline_kernelINS0_14default_configENS1_36segmented_radix_sort_config_selectorI6__halflEEZNS1_25segmented_radix_sort_implIS3_Lb1EPKS5_PS5_PKlPlN2at6native12_GLOBAL__N_18offset_tEEE10hipError_tPvRmT1_PNSt15iterator_traitsISL_E10value_typeET2_T3_PNSM_ISR_E10value_typeET4_jRbjT5_SX_jjP12ihipStream_tbEUlT_E0_NS1_11comp_targetILNS1_3genE8ELNS1_11target_archE1030ELNS1_3gpuE2ELNS1_3repE0EEENS1_60segmented_radix_sort_warp_sort_medium_config_static_selectorELNS0_4arch9wavefront6targetE1EEEvSL_,"axG",@progbits,_ZN7rocprim17ROCPRIM_400000_NS6detail17trampoline_kernelINS0_14default_configENS1_36segmented_radix_sort_config_selectorI6__halflEEZNS1_25segmented_radix_sort_implIS3_Lb1EPKS5_PS5_PKlPlN2at6native12_GLOBAL__N_18offset_tEEE10hipError_tPvRmT1_PNSt15iterator_traitsISL_E10value_typeET2_T3_PNSM_ISR_E10value_typeET4_jRbjT5_SX_jjP12ihipStream_tbEUlT_E0_NS1_11comp_targetILNS1_3genE8ELNS1_11target_archE1030ELNS1_3gpuE2ELNS1_3repE0EEENS1_60segmented_radix_sort_warp_sort_medium_config_static_selectorELNS0_4arch9wavefront6targetE1EEEvSL_,comdat
	.globl	_ZN7rocprim17ROCPRIM_400000_NS6detail17trampoline_kernelINS0_14default_configENS1_36segmented_radix_sort_config_selectorI6__halflEEZNS1_25segmented_radix_sort_implIS3_Lb1EPKS5_PS5_PKlPlN2at6native12_GLOBAL__N_18offset_tEEE10hipError_tPvRmT1_PNSt15iterator_traitsISL_E10value_typeET2_T3_PNSM_ISR_E10value_typeET4_jRbjT5_SX_jjP12ihipStream_tbEUlT_E0_NS1_11comp_targetILNS1_3genE8ELNS1_11target_archE1030ELNS1_3gpuE2ELNS1_3repE0EEENS1_60segmented_radix_sort_warp_sort_medium_config_static_selectorELNS0_4arch9wavefront6targetE1EEEvSL_ ; -- Begin function _ZN7rocprim17ROCPRIM_400000_NS6detail17trampoline_kernelINS0_14default_configENS1_36segmented_radix_sort_config_selectorI6__halflEEZNS1_25segmented_radix_sort_implIS3_Lb1EPKS5_PS5_PKlPlN2at6native12_GLOBAL__N_18offset_tEEE10hipError_tPvRmT1_PNSt15iterator_traitsISL_E10value_typeET2_T3_PNSM_ISR_E10value_typeET4_jRbjT5_SX_jjP12ihipStream_tbEUlT_E0_NS1_11comp_targetILNS1_3genE8ELNS1_11target_archE1030ELNS1_3gpuE2ELNS1_3repE0EEENS1_60segmented_radix_sort_warp_sort_medium_config_static_selectorELNS0_4arch9wavefront6targetE1EEEvSL_
	.p2align	8
	.type	_ZN7rocprim17ROCPRIM_400000_NS6detail17trampoline_kernelINS0_14default_configENS1_36segmented_radix_sort_config_selectorI6__halflEEZNS1_25segmented_radix_sort_implIS3_Lb1EPKS5_PS5_PKlPlN2at6native12_GLOBAL__N_18offset_tEEE10hipError_tPvRmT1_PNSt15iterator_traitsISL_E10value_typeET2_T3_PNSM_ISR_E10value_typeET4_jRbjT5_SX_jjP12ihipStream_tbEUlT_E0_NS1_11comp_targetILNS1_3genE8ELNS1_11target_archE1030ELNS1_3gpuE2ELNS1_3repE0EEENS1_60segmented_radix_sort_warp_sort_medium_config_static_selectorELNS0_4arch9wavefront6targetE1EEEvSL_,@function
_ZN7rocprim17ROCPRIM_400000_NS6detail17trampoline_kernelINS0_14default_configENS1_36segmented_radix_sort_config_selectorI6__halflEEZNS1_25segmented_radix_sort_implIS3_Lb1EPKS5_PS5_PKlPlN2at6native12_GLOBAL__N_18offset_tEEE10hipError_tPvRmT1_PNSt15iterator_traitsISL_E10value_typeET2_T3_PNSM_ISR_E10value_typeET4_jRbjT5_SX_jjP12ihipStream_tbEUlT_E0_NS1_11comp_targetILNS1_3genE8ELNS1_11target_archE1030ELNS1_3gpuE2ELNS1_3repE0EEENS1_60segmented_radix_sort_warp_sort_medium_config_static_selectorELNS0_4arch9wavefront6targetE1EEEvSL_: ; @_ZN7rocprim17ROCPRIM_400000_NS6detail17trampoline_kernelINS0_14default_configENS1_36segmented_radix_sort_config_selectorI6__halflEEZNS1_25segmented_radix_sort_implIS3_Lb1EPKS5_PS5_PKlPlN2at6native12_GLOBAL__N_18offset_tEEE10hipError_tPvRmT1_PNSt15iterator_traitsISL_E10value_typeET2_T3_PNSM_ISR_E10value_typeET4_jRbjT5_SX_jjP12ihipStream_tbEUlT_E0_NS1_11comp_targetILNS1_3genE8ELNS1_11target_archE1030ELNS1_3gpuE2ELNS1_3repE0EEENS1_60segmented_radix_sort_warp_sort_medium_config_static_selectorELNS0_4arch9wavefront6targetE1EEEvSL_
; %bb.0:
	.section	.rodata,"a",@progbits
	.p2align	6, 0x0
	.amdhsa_kernel _ZN7rocprim17ROCPRIM_400000_NS6detail17trampoline_kernelINS0_14default_configENS1_36segmented_radix_sort_config_selectorI6__halflEEZNS1_25segmented_radix_sort_implIS3_Lb1EPKS5_PS5_PKlPlN2at6native12_GLOBAL__N_18offset_tEEE10hipError_tPvRmT1_PNSt15iterator_traitsISL_E10value_typeET2_T3_PNSM_ISR_E10value_typeET4_jRbjT5_SX_jjP12ihipStream_tbEUlT_E0_NS1_11comp_targetILNS1_3genE8ELNS1_11target_archE1030ELNS1_3gpuE2ELNS1_3repE0EEENS1_60segmented_radix_sort_warp_sort_medium_config_static_selectorELNS0_4arch9wavefront6targetE1EEEvSL_
		.amdhsa_group_segment_fixed_size 0
		.amdhsa_private_segment_fixed_size 0
		.amdhsa_kernarg_size 88
		.amdhsa_user_sgpr_count 6
		.amdhsa_user_sgpr_private_segment_buffer 1
		.amdhsa_user_sgpr_dispatch_ptr 0
		.amdhsa_user_sgpr_queue_ptr 0
		.amdhsa_user_sgpr_kernarg_segment_ptr 1
		.amdhsa_user_sgpr_dispatch_id 0
		.amdhsa_user_sgpr_flat_scratch_init 0
		.amdhsa_user_sgpr_kernarg_preload_length 0
		.amdhsa_user_sgpr_kernarg_preload_offset 0
		.amdhsa_user_sgpr_private_segment_size 0
		.amdhsa_uses_dynamic_stack 0
		.amdhsa_system_sgpr_private_segment_wavefront_offset 0
		.amdhsa_system_sgpr_workgroup_id_x 1
		.amdhsa_system_sgpr_workgroup_id_y 0
		.amdhsa_system_sgpr_workgroup_id_z 0
		.amdhsa_system_sgpr_workgroup_info 0
		.amdhsa_system_vgpr_workitem_id 0
		.amdhsa_next_free_vgpr 1
		.amdhsa_next_free_sgpr 0
		.amdhsa_accum_offset 4
		.amdhsa_reserve_vcc 0
		.amdhsa_reserve_flat_scratch 0
		.amdhsa_float_round_mode_32 0
		.amdhsa_float_round_mode_16_64 0
		.amdhsa_float_denorm_mode_32 3
		.amdhsa_float_denorm_mode_16_64 3
		.amdhsa_dx10_clamp 1
		.amdhsa_ieee_mode 1
		.amdhsa_fp16_overflow 0
		.amdhsa_tg_split 0
		.amdhsa_exception_fp_ieee_invalid_op 0
		.amdhsa_exception_fp_denorm_src 0
		.amdhsa_exception_fp_ieee_div_zero 0
		.amdhsa_exception_fp_ieee_overflow 0
		.amdhsa_exception_fp_ieee_underflow 0
		.amdhsa_exception_fp_ieee_inexact 0
		.amdhsa_exception_int_div_zero 0
	.end_amdhsa_kernel
	.section	.text._ZN7rocprim17ROCPRIM_400000_NS6detail17trampoline_kernelINS0_14default_configENS1_36segmented_radix_sort_config_selectorI6__halflEEZNS1_25segmented_radix_sort_implIS3_Lb1EPKS5_PS5_PKlPlN2at6native12_GLOBAL__N_18offset_tEEE10hipError_tPvRmT1_PNSt15iterator_traitsISL_E10value_typeET2_T3_PNSM_ISR_E10value_typeET4_jRbjT5_SX_jjP12ihipStream_tbEUlT_E0_NS1_11comp_targetILNS1_3genE8ELNS1_11target_archE1030ELNS1_3gpuE2ELNS1_3repE0EEENS1_60segmented_radix_sort_warp_sort_medium_config_static_selectorELNS0_4arch9wavefront6targetE1EEEvSL_,"axG",@progbits,_ZN7rocprim17ROCPRIM_400000_NS6detail17trampoline_kernelINS0_14default_configENS1_36segmented_radix_sort_config_selectorI6__halflEEZNS1_25segmented_radix_sort_implIS3_Lb1EPKS5_PS5_PKlPlN2at6native12_GLOBAL__N_18offset_tEEE10hipError_tPvRmT1_PNSt15iterator_traitsISL_E10value_typeET2_T3_PNSM_ISR_E10value_typeET4_jRbjT5_SX_jjP12ihipStream_tbEUlT_E0_NS1_11comp_targetILNS1_3genE8ELNS1_11target_archE1030ELNS1_3gpuE2ELNS1_3repE0EEENS1_60segmented_radix_sort_warp_sort_medium_config_static_selectorELNS0_4arch9wavefront6targetE1EEEvSL_,comdat
.Lfunc_end1756:
	.size	_ZN7rocprim17ROCPRIM_400000_NS6detail17trampoline_kernelINS0_14default_configENS1_36segmented_radix_sort_config_selectorI6__halflEEZNS1_25segmented_radix_sort_implIS3_Lb1EPKS5_PS5_PKlPlN2at6native12_GLOBAL__N_18offset_tEEE10hipError_tPvRmT1_PNSt15iterator_traitsISL_E10value_typeET2_T3_PNSM_ISR_E10value_typeET4_jRbjT5_SX_jjP12ihipStream_tbEUlT_E0_NS1_11comp_targetILNS1_3genE8ELNS1_11target_archE1030ELNS1_3gpuE2ELNS1_3repE0EEENS1_60segmented_radix_sort_warp_sort_medium_config_static_selectorELNS0_4arch9wavefront6targetE1EEEvSL_, .Lfunc_end1756-_ZN7rocprim17ROCPRIM_400000_NS6detail17trampoline_kernelINS0_14default_configENS1_36segmented_radix_sort_config_selectorI6__halflEEZNS1_25segmented_radix_sort_implIS3_Lb1EPKS5_PS5_PKlPlN2at6native12_GLOBAL__N_18offset_tEEE10hipError_tPvRmT1_PNSt15iterator_traitsISL_E10value_typeET2_T3_PNSM_ISR_E10value_typeET4_jRbjT5_SX_jjP12ihipStream_tbEUlT_E0_NS1_11comp_targetILNS1_3genE8ELNS1_11target_archE1030ELNS1_3gpuE2ELNS1_3repE0EEENS1_60segmented_radix_sort_warp_sort_medium_config_static_selectorELNS0_4arch9wavefront6targetE1EEEvSL_
                                        ; -- End function
	.section	.AMDGPU.csdata,"",@progbits
; Kernel info:
; codeLenInByte = 0
; NumSgprs: 4
; NumVgprs: 0
; NumAgprs: 0
; TotalNumVgprs: 0
; ScratchSize: 0
; MemoryBound: 0
; FloatMode: 240
; IeeeMode: 1
; LDSByteSize: 0 bytes/workgroup (compile time only)
; SGPRBlocks: 0
; VGPRBlocks: 0
; NumSGPRsForWavesPerEU: 4
; NumVGPRsForWavesPerEU: 1
; AccumOffset: 4
; Occupancy: 8
; WaveLimiterHint : 0
; COMPUTE_PGM_RSRC2:SCRATCH_EN: 0
; COMPUTE_PGM_RSRC2:USER_SGPR: 6
; COMPUTE_PGM_RSRC2:TRAP_HANDLER: 0
; COMPUTE_PGM_RSRC2:TGID_X_EN: 1
; COMPUTE_PGM_RSRC2:TGID_Y_EN: 0
; COMPUTE_PGM_RSRC2:TGID_Z_EN: 0
; COMPUTE_PGM_RSRC2:TIDIG_COMP_CNT: 0
; COMPUTE_PGM_RSRC3_GFX90A:ACCUM_OFFSET: 0
; COMPUTE_PGM_RSRC3_GFX90A:TG_SPLIT: 0
	.section	.text._ZN7rocprim17ROCPRIM_400000_NS6detail17trampoline_kernelINS0_14default_configENS1_36segmented_radix_sort_config_selectorI6__halflEEZNS1_25segmented_radix_sort_implIS3_Lb1EPKS5_PS5_PKlPlN2at6native12_GLOBAL__N_18offset_tEEE10hipError_tPvRmT1_PNSt15iterator_traitsISL_E10value_typeET2_T3_PNSM_ISR_E10value_typeET4_jRbjT5_SX_jjP12ihipStream_tbEUlT_E1_NS1_11comp_targetILNS1_3genE0ELNS1_11target_archE4294967295ELNS1_3gpuE0ELNS1_3repE0EEENS1_59segmented_radix_sort_warp_sort_small_config_static_selectorELNS0_4arch9wavefront6targetE1EEEvSL_,"axG",@progbits,_ZN7rocprim17ROCPRIM_400000_NS6detail17trampoline_kernelINS0_14default_configENS1_36segmented_radix_sort_config_selectorI6__halflEEZNS1_25segmented_radix_sort_implIS3_Lb1EPKS5_PS5_PKlPlN2at6native12_GLOBAL__N_18offset_tEEE10hipError_tPvRmT1_PNSt15iterator_traitsISL_E10value_typeET2_T3_PNSM_ISR_E10value_typeET4_jRbjT5_SX_jjP12ihipStream_tbEUlT_E1_NS1_11comp_targetILNS1_3genE0ELNS1_11target_archE4294967295ELNS1_3gpuE0ELNS1_3repE0EEENS1_59segmented_radix_sort_warp_sort_small_config_static_selectorELNS0_4arch9wavefront6targetE1EEEvSL_,comdat
	.globl	_ZN7rocprim17ROCPRIM_400000_NS6detail17trampoline_kernelINS0_14default_configENS1_36segmented_radix_sort_config_selectorI6__halflEEZNS1_25segmented_radix_sort_implIS3_Lb1EPKS5_PS5_PKlPlN2at6native12_GLOBAL__N_18offset_tEEE10hipError_tPvRmT1_PNSt15iterator_traitsISL_E10value_typeET2_T3_PNSM_ISR_E10value_typeET4_jRbjT5_SX_jjP12ihipStream_tbEUlT_E1_NS1_11comp_targetILNS1_3genE0ELNS1_11target_archE4294967295ELNS1_3gpuE0ELNS1_3repE0EEENS1_59segmented_radix_sort_warp_sort_small_config_static_selectorELNS0_4arch9wavefront6targetE1EEEvSL_ ; -- Begin function _ZN7rocprim17ROCPRIM_400000_NS6detail17trampoline_kernelINS0_14default_configENS1_36segmented_radix_sort_config_selectorI6__halflEEZNS1_25segmented_radix_sort_implIS3_Lb1EPKS5_PS5_PKlPlN2at6native12_GLOBAL__N_18offset_tEEE10hipError_tPvRmT1_PNSt15iterator_traitsISL_E10value_typeET2_T3_PNSM_ISR_E10value_typeET4_jRbjT5_SX_jjP12ihipStream_tbEUlT_E1_NS1_11comp_targetILNS1_3genE0ELNS1_11target_archE4294967295ELNS1_3gpuE0ELNS1_3repE0EEENS1_59segmented_radix_sort_warp_sort_small_config_static_selectorELNS0_4arch9wavefront6targetE1EEEvSL_
	.p2align	8
	.type	_ZN7rocprim17ROCPRIM_400000_NS6detail17trampoline_kernelINS0_14default_configENS1_36segmented_radix_sort_config_selectorI6__halflEEZNS1_25segmented_radix_sort_implIS3_Lb1EPKS5_PS5_PKlPlN2at6native12_GLOBAL__N_18offset_tEEE10hipError_tPvRmT1_PNSt15iterator_traitsISL_E10value_typeET2_T3_PNSM_ISR_E10value_typeET4_jRbjT5_SX_jjP12ihipStream_tbEUlT_E1_NS1_11comp_targetILNS1_3genE0ELNS1_11target_archE4294967295ELNS1_3gpuE0ELNS1_3repE0EEENS1_59segmented_radix_sort_warp_sort_small_config_static_selectorELNS0_4arch9wavefront6targetE1EEEvSL_,@function
_ZN7rocprim17ROCPRIM_400000_NS6detail17trampoline_kernelINS0_14default_configENS1_36segmented_radix_sort_config_selectorI6__halflEEZNS1_25segmented_radix_sort_implIS3_Lb1EPKS5_PS5_PKlPlN2at6native12_GLOBAL__N_18offset_tEEE10hipError_tPvRmT1_PNSt15iterator_traitsISL_E10value_typeET2_T3_PNSM_ISR_E10value_typeET4_jRbjT5_SX_jjP12ihipStream_tbEUlT_E1_NS1_11comp_targetILNS1_3genE0ELNS1_11target_archE4294967295ELNS1_3gpuE0ELNS1_3repE0EEENS1_59segmented_radix_sort_warp_sort_small_config_static_selectorELNS0_4arch9wavefront6targetE1EEEvSL_: ; @_ZN7rocprim17ROCPRIM_400000_NS6detail17trampoline_kernelINS0_14default_configENS1_36segmented_radix_sort_config_selectorI6__halflEEZNS1_25segmented_radix_sort_implIS3_Lb1EPKS5_PS5_PKlPlN2at6native12_GLOBAL__N_18offset_tEEE10hipError_tPvRmT1_PNSt15iterator_traitsISL_E10value_typeET2_T3_PNSM_ISR_E10value_typeET4_jRbjT5_SX_jjP12ihipStream_tbEUlT_E1_NS1_11comp_targetILNS1_3genE0ELNS1_11target_archE4294967295ELNS1_3gpuE0ELNS1_3repE0EEENS1_59segmented_radix_sort_warp_sort_small_config_static_selectorELNS0_4arch9wavefront6targetE1EEEvSL_
; %bb.0:
	.section	.rodata,"a",@progbits
	.p2align	6, 0x0
	.amdhsa_kernel _ZN7rocprim17ROCPRIM_400000_NS6detail17trampoline_kernelINS0_14default_configENS1_36segmented_radix_sort_config_selectorI6__halflEEZNS1_25segmented_radix_sort_implIS3_Lb1EPKS5_PS5_PKlPlN2at6native12_GLOBAL__N_18offset_tEEE10hipError_tPvRmT1_PNSt15iterator_traitsISL_E10value_typeET2_T3_PNSM_ISR_E10value_typeET4_jRbjT5_SX_jjP12ihipStream_tbEUlT_E1_NS1_11comp_targetILNS1_3genE0ELNS1_11target_archE4294967295ELNS1_3gpuE0ELNS1_3repE0EEENS1_59segmented_radix_sort_warp_sort_small_config_static_selectorELNS0_4arch9wavefront6targetE1EEEvSL_
		.amdhsa_group_segment_fixed_size 0
		.amdhsa_private_segment_fixed_size 0
		.amdhsa_kernarg_size 88
		.amdhsa_user_sgpr_count 6
		.amdhsa_user_sgpr_private_segment_buffer 1
		.amdhsa_user_sgpr_dispatch_ptr 0
		.amdhsa_user_sgpr_queue_ptr 0
		.amdhsa_user_sgpr_kernarg_segment_ptr 1
		.amdhsa_user_sgpr_dispatch_id 0
		.amdhsa_user_sgpr_flat_scratch_init 0
		.amdhsa_user_sgpr_kernarg_preload_length 0
		.amdhsa_user_sgpr_kernarg_preload_offset 0
		.amdhsa_user_sgpr_private_segment_size 0
		.amdhsa_uses_dynamic_stack 0
		.amdhsa_system_sgpr_private_segment_wavefront_offset 0
		.amdhsa_system_sgpr_workgroup_id_x 1
		.amdhsa_system_sgpr_workgroup_id_y 0
		.amdhsa_system_sgpr_workgroup_id_z 0
		.amdhsa_system_sgpr_workgroup_info 0
		.amdhsa_system_vgpr_workitem_id 0
		.amdhsa_next_free_vgpr 1
		.amdhsa_next_free_sgpr 0
		.amdhsa_accum_offset 4
		.amdhsa_reserve_vcc 0
		.amdhsa_reserve_flat_scratch 0
		.amdhsa_float_round_mode_32 0
		.amdhsa_float_round_mode_16_64 0
		.amdhsa_float_denorm_mode_32 3
		.amdhsa_float_denorm_mode_16_64 3
		.amdhsa_dx10_clamp 1
		.amdhsa_ieee_mode 1
		.amdhsa_fp16_overflow 0
		.amdhsa_tg_split 0
		.amdhsa_exception_fp_ieee_invalid_op 0
		.amdhsa_exception_fp_denorm_src 0
		.amdhsa_exception_fp_ieee_div_zero 0
		.amdhsa_exception_fp_ieee_overflow 0
		.amdhsa_exception_fp_ieee_underflow 0
		.amdhsa_exception_fp_ieee_inexact 0
		.amdhsa_exception_int_div_zero 0
	.end_amdhsa_kernel
	.section	.text._ZN7rocprim17ROCPRIM_400000_NS6detail17trampoline_kernelINS0_14default_configENS1_36segmented_radix_sort_config_selectorI6__halflEEZNS1_25segmented_radix_sort_implIS3_Lb1EPKS5_PS5_PKlPlN2at6native12_GLOBAL__N_18offset_tEEE10hipError_tPvRmT1_PNSt15iterator_traitsISL_E10value_typeET2_T3_PNSM_ISR_E10value_typeET4_jRbjT5_SX_jjP12ihipStream_tbEUlT_E1_NS1_11comp_targetILNS1_3genE0ELNS1_11target_archE4294967295ELNS1_3gpuE0ELNS1_3repE0EEENS1_59segmented_radix_sort_warp_sort_small_config_static_selectorELNS0_4arch9wavefront6targetE1EEEvSL_,"axG",@progbits,_ZN7rocprim17ROCPRIM_400000_NS6detail17trampoline_kernelINS0_14default_configENS1_36segmented_radix_sort_config_selectorI6__halflEEZNS1_25segmented_radix_sort_implIS3_Lb1EPKS5_PS5_PKlPlN2at6native12_GLOBAL__N_18offset_tEEE10hipError_tPvRmT1_PNSt15iterator_traitsISL_E10value_typeET2_T3_PNSM_ISR_E10value_typeET4_jRbjT5_SX_jjP12ihipStream_tbEUlT_E1_NS1_11comp_targetILNS1_3genE0ELNS1_11target_archE4294967295ELNS1_3gpuE0ELNS1_3repE0EEENS1_59segmented_radix_sort_warp_sort_small_config_static_selectorELNS0_4arch9wavefront6targetE1EEEvSL_,comdat
.Lfunc_end1757:
	.size	_ZN7rocprim17ROCPRIM_400000_NS6detail17trampoline_kernelINS0_14default_configENS1_36segmented_radix_sort_config_selectorI6__halflEEZNS1_25segmented_radix_sort_implIS3_Lb1EPKS5_PS5_PKlPlN2at6native12_GLOBAL__N_18offset_tEEE10hipError_tPvRmT1_PNSt15iterator_traitsISL_E10value_typeET2_T3_PNSM_ISR_E10value_typeET4_jRbjT5_SX_jjP12ihipStream_tbEUlT_E1_NS1_11comp_targetILNS1_3genE0ELNS1_11target_archE4294967295ELNS1_3gpuE0ELNS1_3repE0EEENS1_59segmented_radix_sort_warp_sort_small_config_static_selectorELNS0_4arch9wavefront6targetE1EEEvSL_, .Lfunc_end1757-_ZN7rocprim17ROCPRIM_400000_NS6detail17trampoline_kernelINS0_14default_configENS1_36segmented_radix_sort_config_selectorI6__halflEEZNS1_25segmented_radix_sort_implIS3_Lb1EPKS5_PS5_PKlPlN2at6native12_GLOBAL__N_18offset_tEEE10hipError_tPvRmT1_PNSt15iterator_traitsISL_E10value_typeET2_T3_PNSM_ISR_E10value_typeET4_jRbjT5_SX_jjP12ihipStream_tbEUlT_E1_NS1_11comp_targetILNS1_3genE0ELNS1_11target_archE4294967295ELNS1_3gpuE0ELNS1_3repE0EEENS1_59segmented_radix_sort_warp_sort_small_config_static_selectorELNS0_4arch9wavefront6targetE1EEEvSL_
                                        ; -- End function
	.section	.AMDGPU.csdata,"",@progbits
; Kernel info:
; codeLenInByte = 0
; NumSgprs: 4
; NumVgprs: 0
; NumAgprs: 0
; TotalNumVgprs: 0
; ScratchSize: 0
; MemoryBound: 0
; FloatMode: 240
; IeeeMode: 1
; LDSByteSize: 0 bytes/workgroup (compile time only)
; SGPRBlocks: 0
; VGPRBlocks: 0
; NumSGPRsForWavesPerEU: 4
; NumVGPRsForWavesPerEU: 1
; AccumOffset: 4
; Occupancy: 8
; WaveLimiterHint : 0
; COMPUTE_PGM_RSRC2:SCRATCH_EN: 0
; COMPUTE_PGM_RSRC2:USER_SGPR: 6
; COMPUTE_PGM_RSRC2:TRAP_HANDLER: 0
; COMPUTE_PGM_RSRC2:TGID_X_EN: 1
; COMPUTE_PGM_RSRC2:TGID_Y_EN: 0
; COMPUTE_PGM_RSRC2:TGID_Z_EN: 0
; COMPUTE_PGM_RSRC2:TIDIG_COMP_CNT: 0
; COMPUTE_PGM_RSRC3_GFX90A:ACCUM_OFFSET: 0
; COMPUTE_PGM_RSRC3_GFX90A:TG_SPLIT: 0
	.section	.text._ZN7rocprim17ROCPRIM_400000_NS6detail17trampoline_kernelINS0_14default_configENS1_36segmented_radix_sort_config_selectorI6__halflEEZNS1_25segmented_radix_sort_implIS3_Lb1EPKS5_PS5_PKlPlN2at6native12_GLOBAL__N_18offset_tEEE10hipError_tPvRmT1_PNSt15iterator_traitsISL_E10value_typeET2_T3_PNSM_ISR_E10value_typeET4_jRbjT5_SX_jjP12ihipStream_tbEUlT_E1_NS1_11comp_targetILNS1_3genE5ELNS1_11target_archE942ELNS1_3gpuE9ELNS1_3repE0EEENS1_59segmented_radix_sort_warp_sort_small_config_static_selectorELNS0_4arch9wavefront6targetE1EEEvSL_,"axG",@progbits,_ZN7rocprim17ROCPRIM_400000_NS6detail17trampoline_kernelINS0_14default_configENS1_36segmented_radix_sort_config_selectorI6__halflEEZNS1_25segmented_radix_sort_implIS3_Lb1EPKS5_PS5_PKlPlN2at6native12_GLOBAL__N_18offset_tEEE10hipError_tPvRmT1_PNSt15iterator_traitsISL_E10value_typeET2_T3_PNSM_ISR_E10value_typeET4_jRbjT5_SX_jjP12ihipStream_tbEUlT_E1_NS1_11comp_targetILNS1_3genE5ELNS1_11target_archE942ELNS1_3gpuE9ELNS1_3repE0EEENS1_59segmented_radix_sort_warp_sort_small_config_static_selectorELNS0_4arch9wavefront6targetE1EEEvSL_,comdat
	.globl	_ZN7rocprim17ROCPRIM_400000_NS6detail17trampoline_kernelINS0_14default_configENS1_36segmented_radix_sort_config_selectorI6__halflEEZNS1_25segmented_radix_sort_implIS3_Lb1EPKS5_PS5_PKlPlN2at6native12_GLOBAL__N_18offset_tEEE10hipError_tPvRmT1_PNSt15iterator_traitsISL_E10value_typeET2_T3_PNSM_ISR_E10value_typeET4_jRbjT5_SX_jjP12ihipStream_tbEUlT_E1_NS1_11comp_targetILNS1_3genE5ELNS1_11target_archE942ELNS1_3gpuE9ELNS1_3repE0EEENS1_59segmented_radix_sort_warp_sort_small_config_static_selectorELNS0_4arch9wavefront6targetE1EEEvSL_ ; -- Begin function _ZN7rocprim17ROCPRIM_400000_NS6detail17trampoline_kernelINS0_14default_configENS1_36segmented_radix_sort_config_selectorI6__halflEEZNS1_25segmented_radix_sort_implIS3_Lb1EPKS5_PS5_PKlPlN2at6native12_GLOBAL__N_18offset_tEEE10hipError_tPvRmT1_PNSt15iterator_traitsISL_E10value_typeET2_T3_PNSM_ISR_E10value_typeET4_jRbjT5_SX_jjP12ihipStream_tbEUlT_E1_NS1_11comp_targetILNS1_3genE5ELNS1_11target_archE942ELNS1_3gpuE9ELNS1_3repE0EEENS1_59segmented_radix_sort_warp_sort_small_config_static_selectorELNS0_4arch9wavefront6targetE1EEEvSL_
	.p2align	8
	.type	_ZN7rocprim17ROCPRIM_400000_NS6detail17trampoline_kernelINS0_14default_configENS1_36segmented_radix_sort_config_selectorI6__halflEEZNS1_25segmented_radix_sort_implIS3_Lb1EPKS5_PS5_PKlPlN2at6native12_GLOBAL__N_18offset_tEEE10hipError_tPvRmT1_PNSt15iterator_traitsISL_E10value_typeET2_T3_PNSM_ISR_E10value_typeET4_jRbjT5_SX_jjP12ihipStream_tbEUlT_E1_NS1_11comp_targetILNS1_3genE5ELNS1_11target_archE942ELNS1_3gpuE9ELNS1_3repE0EEENS1_59segmented_radix_sort_warp_sort_small_config_static_selectorELNS0_4arch9wavefront6targetE1EEEvSL_,@function
_ZN7rocprim17ROCPRIM_400000_NS6detail17trampoline_kernelINS0_14default_configENS1_36segmented_radix_sort_config_selectorI6__halflEEZNS1_25segmented_radix_sort_implIS3_Lb1EPKS5_PS5_PKlPlN2at6native12_GLOBAL__N_18offset_tEEE10hipError_tPvRmT1_PNSt15iterator_traitsISL_E10value_typeET2_T3_PNSM_ISR_E10value_typeET4_jRbjT5_SX_jjP12ihipStream_tbEUlT_E1_NS1_11comp_targetILNS1_3genE5ELNS1_11target_archE942ELNS1_3gpuE9ELNS1_3repE0EEENS1_59segmented_radix_sort_warp_sort_small_config_static_selectorELNS0_4arch9wavefront6targetE1EEEvSL_: ; @_ZN7rocprim17ROCPRIM_400000_NS6detail17trampoline_kernelINS0_14default_configENS1_36segmented_radix_sort_config_selectorI6__halflEEZNS1_25segmented_radix_sort_implIS3_Lb1EPKS5_PS5_PKlPlN2at6native12_GLOBAL__N_18offset_tEEE10hipError_tPvRmT1_PNSt15iterator_traitsISL_E10value_typeET2_T3_PNSM_ISR_E10value_typeET4_jRbjT5_SX_jjP12ihipStream_tbEUlT_E1_NS1_11comp_targetILNS1_3genE5ELNS1_11target_archE942ELNS1_3gpuE9ELNS1_3repE0EEENS1_59segmented_radix_sort_warp_sort_small_config_static_selectorELNS0_4arch9wavefront6targetE1EEEvSL_
; %bb.0:
	.section	.rodata,"a",@progbits
	.p2align	6, 0x0
	.amdhsa_kernel _ZN7rocprim17ROCPRIM_400000_NS6detail17trampoline_kernelINS0_14default_configENS1_36segmented_radix_sort_config_selectorI6__halflEEZNS1_25segmented_radix_sort_implIS3_Lb1EPKS5_PS5_PKlPlN2at6native12_GLOBAL__N_18offset_tEEE10hipError_tPvRmT1_PNSt15iterator_traitsISL_E10value_typeET2_T3_PNSM_ISR_E10value_typeET4_jRbjT5_SX_jjP12ihipStream_tbEUlT_E1_NS1_11comp_targetILNS1_3genE5ELNS1_11target_archE942ELNS1_3gpuE9ELNS1_3repE0EEENS1_59segmented_radix_sort_warp_sort_small_config_static_selectorELNS0_4arch9wavefront6targetE1EEEvSL_
		.amdhsa_group_segment_fixed_size 0
		.amdhsa_private_segment_fixed_size 0
		.amdhsa_kernarg_size 88
		.amdhsa_user_sgpr_count 6
		.amdhsa_user_sgpr_private_segment_buffer 1
		.amdhsa_user_sgpr_dispatch_ptr 0
		.amdhsa_user_sgpr_queue_ptr 0
		.amdhsa_user_sgpr_kernarg_segment_ptr 1
		.amdhsa_user_sgpr_dispatch_id 0
		.amdhsa_user_sgpr_flat_scratch_init 0
		.amdhsa_user_sgpr_kernarg_preload_length 0
		.amdhsa_user_sgpr_kernarg_preload_offset 0
		.amdhsa_user_sgpr_private_segment_size 0
		.amdhsa_uses_dynamic_stack 0
		.amdhsa_system_sgpr_private_segment_wavefront_offset 0
		.amdhsa_system_sgpr_workgroup_id_x 1
		.amdhsa_system_sgpr_workgroup_id_y 0
		.amdhsa_system_sgpr_workgroup_id_z 0
		.amdhsa_system_sgpr_workgroup_info 0
		.amdhsa_system_vgpr_workitem_id 0
		.amdhsa_next_free_vgpr 1
		.amdhsa_next_free_sgpr 0
		.amdhsa_accum_offset 4
		.amdhsa_reserve_vcc 0
		.amdhsa_reserve_flat_scratch 0
		.amdhsa_float_round_mode_32 0
		.amdhsa_float_round_mode_16_64 0
		.amdhsa_float_denorm_mode_32 3
		.amdhsa_float_denorm_mode_16_64 3
		.amdhsa_dx10_clamp 1
		.amdhsa_ieee_mode 1
		.amdhsa_fp16_overflow 0
		.amdhsa_tg_split 0
		.amdhsa_exception_fp_ieee_invalid_op 0
		.amdhsa_exception_fp_denorm_src 0
		.amdhsa_exception_fp_ieee_div_zero 0
		.amdhsa_exception_fp_ieee_overflow 0
		.amdhsa_exception_fp_ieee_underflow 0
		.amdhsa_exception_fp_ieee_inexact 0
		.amdhsa_exception_int_div_zero 0
	.end_amdhsa_kernel
	.section	.text._ZN7rocprim17ROCPRIM_400000_NS6detail17trampoline_kernelINS0_14default_configENS1_36segmented_radix_sort_config_selectorI6__halflEEZNS1_25segmented_radix_sort_implIS3_Lb1EPKS5_PS5_PKlPlN2at6native12_GLOBAL__N_18offset_tEEE10hipError_tPvRmT1_PNSt15iterator_traitsISL_E10value_typeET2_T3_PNSM_ISR_E10value_typeET4_jRbjT5_SX_jjP12ihipStream_tbEUlT_E1_NS1_11comp_targetILNS1_3genE5ELNS1_11target_archE942ELNS1_3gpuE9ELNS1_3repE0EEENS1_59segmented_radix_sort_warp_sort_small_config_static_selectorELNS0_4arch9wavefront6targetE1EEEvSL_,"axG",@progbits,_ZN7rocprim17ROCPRIM_400000_NS6detail17trampoline_kernelINS0_14default_configENS1_36segmented_radix_sort_config_selectorI6__halflEEZNS1_25segmented_radix_sort_implIS3_Lb1EPKS5_PS5_PKlPlN2at6native12_GLOBAL__N_18offset_tEEE10hipError_tPvRmT1_PNSt15iterator_traitsISL_E10value_typeET2_T3_PNSM_ISR_E10value_typeET4_jRbjT5_SX_jjP12ihipStream_tbEUlT_E1_NS1_11comp_targetILNS1_3genE5ELNS1_11target_archE942ELNS1_3gpuE9ELNS1_3repE0EEENS1_59segmented_radix_sort_warp_sort_small_config_static_selectorELNS0_4arch9wavefront6targetE1EEEvSL_,comdat
.Lfunc_end1758:
	.size	_ZN7rocprim17ROCPRIM_400000_NS6detail17trampoline_kernelINS0_14default_configENS1_36segmented_radix_sort_config_selectorI6__halflEEZNS1_25segmented_radix_sort_implIS3_Lb1EPKS5_PS5_PKlPlN2at6native12_GLOBAL__N_18offset_tEEE10hipError_tPvRmT1_PNSt15iterator_traitsISL_E10value_typeET2_T3_PNSM_ISR_E10value_typeET4_jRbjT5_SX_jjP12ihipStream_tbEUlT_E1_NS1_11comp_targetILNS1_3genE5ELNS1_11target_archE942ELNS1_3gpuE9ELNS1_3repE0EEENS1_59segmented_radix_sort_warp_sort_small_config_static_selectorELNS0_4arch9wavefront6targetE1EEEvSL_, .Lfunc_end1758-_ZN7rocprim17ROCPRIM_400000_NS6detail17trampoline_kernelINS0_14default_configENS1_36segmented_radix_sort_config_selectorI6__halflEEZNS1_25segmented_radix_sort_implIS3_Lb1EPKS5_PS5_PKlPlN2at6native12_GLOBAL__N_18offset_tEEE10hipError_tPvRmT1_PNSt15iterator_traitsISL_E10value_typeET2_T3_PNSM_ISR_E10value_typeET4_jRbjT5_SX_jjP12ihipStream_tbEUlT_E1_NS1_11comp_targetILNS1_3genE5ELNS1_11target_archE942ELNS1_3gpuE9ELNS1_3repE0EEENS1_59segmented_radix_sort_warp_sort_small_config_static_selectorELNS0_4arch9wavefront6targetE1EEEvSL_
                                        ; -- End function
	.section	.AMDGPU.csdata,"",@progbits
; Kernel info:
; codeLenInByte = 0
; NumSgprs: 4
; NumVgprs: 0
; NumAgprs: 0
; TotalNumVgprs: 0
; ScratchSize: 0
; MemoryBound: 0
; FloatMode: 240
; IeeeMode: 1
; LDSByteSize: 0 bytes/workgroup (compile time only)
; SGPRBlocks: 0
; VGPRBlocks: 0
; NumSGPRsForWavesPerEU: 4
; NumVGPRsForWavesPerEU: 1
; AccumOffset: 4
; Occupancy: 8
; WaveLimiterHint : 0
; COMPUTE_PGM_RSRC2:SCRATCH_EN: 0
; COMPUTE_PGM_RSRC2:USER_SGPR: 6
; COMPUTE_PGM_RSRC2:TRAP_HANDLER: 0
; COMPUTE_PGM_RSRC2:TGID_X_EN: 1
; COMPUTE_PGM_RSRC2:TGID_Y_EN: 0
; COMPUTE_PGM_RSRC2:TGID_Z_EN: 0
; COMPUTE_PGM_RSRC2:TIDIG_COMP_CNT: 0
; COMPUTE_PGM_RSRC3_GFX90A:ACCUM_OFFSET: 0
; COMPUTE_PGM_RSRC3_GFX90A:TG_SPLIT: 0
	.text
	.p2align	2                               ; -- Begin function _ZN7rocprim17ROCPRIM_400000_NS6detail26segmented_warp_sort_helperINS1_20WarpSortHelperConfigILj8ELj4ELj256EEE6__halflLi256ELb1EvE4sortIPKS5_PS5_PKlPlEEvT_SA_T0_T1_SD_T2_bjjjjRNS6_12storage_typeE
	.type	_ZN7rocprim17ROCPRIM_400000_NS6detail26segmented_warp_sort_helperINS1_20WarpSortHelperConfigILj8ELj4ELj256EEE6__halflLi256ELb1EvE4sortIPKS5_PS5_PKlPlEEvT_SA_T0_T1_SD_T2_bjjjjRNS6_12storage_typeE,@function
_ZN7rocprim17ROCPRIM_400000_NS6detail26segmented_warp_sort_helperINS1_20WarpSortHelperConfigILj8ELj4ELj256EEE6__halflLi256ELb1EvE4sortIPKS5_PS5_PKlPlEEvT_SA_T0_T1_SD_T2_bjjjjRNS6_12storage_typeE: ; @_ZN7rocprim17ROCPRIM_400000_NS6detail26segmented_warp_sort_helperINS1_20WarpSortHelperConfigILj8ELj4ELj256EEE6__halflLi256ELb1EvE4sortIPKS5_PS5_PKlPlEEvT_SA_T0_T1_SD_T2_bjjjjRNS6_12storage_typeE
; %bb.0:
	s_waitcnt vmcnt(0) expcnt(0) lgkmcnt(0)
	s_or_saveexec_b64 s[4:5], -1
	buffer_store_dword v40, off, s[0:3], s32 ; 4-byte Folded Spill
	s_mov_b64 exec, s[4:5]
	v_writelane_b32 v40, s30, 0
	v_writelane_b32 v40, s31, 1
	v_mbcnt_lo_u32_b32 v17, -1, 0
	v_mov_b32_e32 v34, v13
	v_and_b32_e32 v12, 1, v12
	v_mov_b32_e32 v35, 0
	v_mbcnt_hi_u32_b32 v17, -1, v17
	v_cmp_eq_u32_e32 vcc, 1, v12
	v_lshlrev_b64 v[12:13], 1, v[34:35]
	v_lshlrev_b32_e32 v38, 2, v17
	s_xor_b64 s[4:5], vcc, -1
	v_add_co_u32_e32 v0, vcc, v0, v12
	v_and_b32_e32 v36, 28, v38
	v_addc_co_u32_e32 v1, vcc, v1, v13, vcc
	v_lshlrev_b32_e32 v37, 1, v36
	v_add_co_u32_e32 v0, vcc, v0, v37
	v_sub_u32_e32 v14, v14, v34
	v_addc_co_u32_e32 v1, vcc, 0, v1, vcc
	v_cmp_lt_u32_e32 vcc, v36, v14
	s_mov_b64 s[16:17], 0
                                        ; implicit-def: $vgpr18_vgpr19_vgpr20_vgpr21_vgpr22_vgpr23_vgpr24_vgpr25
	s_and_saveexec_b64 s[6:7], s[4:5]
	s_xor_b64 s[18:19], exec, s[6:7]
	s_cbranch_execnz .LBB1759_5
; %bb.1:
	s_andn2_saveexec_b64 s[18:19], s[18:19]
	s_cbranch_execnz .LBB1759_110
.LBB1759_2:
	s_or_b64 exec, exec, s[18:19]
	s_and_saveexec_b64 s[4:5], s[16:17]
	s_cbranch_execz .LBB1759_4
.LBB1759_3:
	v_lshlrev_b64 v[0:1], 3, v[34:35]
	v_add_co_u32_e32 v0, vcc, v8, v0
	v_addc_co_u32_e32 v1, vcc, v9, v1, vcc
	v_lshlrev_b32_e32 v2, 3, v36
	v_add_co_u32_e32 v0, vcc, v0, v2
	v_addc_co_u32_e32 v1, vcc, 0, v1, vcc
	s_waitcnt vmcnt(0)
	flat_store_dwordx2 v[0:1], v[24:25] offset:24
.LBB1759_4:
	s_or_b64 exec, exec, s[4:5]
	v_readlane_b32 s30, v40, 0
	v_readlane_b32 s31, v40, 1
	s_or_saveexec_b64 s[4:5], -1
	buffer_load_dword v40, off, s[0:3], s32 ; 4-byte Folded Reload
	s_mov_b64 exec, s[4:5]
	s_waitcnt vmcnt(0) lgkmcnt(0)
	s_setpc_b64 s[30:31]
.LBB1759_5:
	v_mov_b32_e32 v49, 0xffff
	v_mov_b32_e32 v50, 0xffff
	s_and_saveexec_b64 s[4:5], vcc
	s_cbranch_execz .LBB1759_7
; %bb.6:
	flat_load_ushort v50, v[0:1]
.LBB1759_7:
	s_or_b64 exec, exec, s[4:5]
	v_or_b32_e32 v4, 1, v36
	v_cmp_lt_u32_e64 s[4:5], v4, v14
	s_and_saveexec_b64 s[6:7], s[4:5]
	s_cbranch_execz .LBB1759_9
; %bb.8:
	flat_load_ushort v49, v[0:1] offset:2
.LBB1759_9:
	s_or_b64 exec, exec, s[6:7]
	v_or_b32_e32 v4, 2, v36
	v_cmp_lt_u32_e64 s[6:7], v4, v14
	v_mov_b32_e32 v48, 0xffff
	v_mov_b32_e32 v51, 0xffff
	s_and_saveexec_b64 s[10:11], s[6:7]
	s_cbranch_execz .LBB1759_11
; %bb.10:
	flat_load_ushort v51, v[0:1] offset:4
.LBB1759_11:
	s_or_b64 exec, exec, s[10:11]
	v_or_b32_e32 v4, 3, v36
	v_cmp_lt_u32_e64 s[10:11], v4, v14
	s_and_saveexec_b64 s[14:15], s[10:11]
	s_cbranch_execz .LBB1759_13
; %bb.12:
	flat_load_ushort v48, v[0:1] offset:6
.LBB1759_13:
	s_or_b64 exec, exec, s[14:15]
	v_lshlrev_b64 v[0:1], 3, v[34:35]
	v_add_co_u32_e64 v4, s[14:15], v6, v0
	v_addc_co_u32_e64 v5, s[14:15], v7, v1, s[14:15]
	v_lshlrev_b32_e32 v39, 3, v36
	v_add_co_u32_e64 v4, s[14:15], v4, v39
	v_addc_co_u32_e64 v5, s[14:15], 0, v5, s[14:15]
	; wave barrier
                                        ; implicit-def: $vgpr18_vgpr19_vgpr20_vgpr21_vgpr22_vgpr23_vgpr24_vgpr25
	s_and_saveexec_b64 s[14:15], vcc
	s_cbranch_execnz .LBB1759_215
; %bb.14:
	s_or_b64 exec, exec, s[14:15]
	s_and_saveexec_b64 s[14:15], s[4:5]
	s_cbranch_execnz .LBB1759_216
.LBB1759_15:
	s_or_b64 exec, exec, s[14:15]
	s_and_saveexec_b64 s[14:15], s[6:7]
	s_cbranch_execnz .LBB1759_217
.LBB1759_16:
	s_or_b64 exec, exec, s[14:15]
	s_and_saveexec_b64 s[14:15], s[10:11]
	s_cbranch_execz .LBB1759_18
.LBB1759_17:
	flat_load_dwordx2 v[24:25], v[4:5] offset:24
.LBB1759_18:
	s_or_b64 exec, exec, s[14:15]
	; wave barrier
	s_load_dwordx2 s[14:15], s[8:9], 0x0
	v_mov_b32_e32 v4, 0
	v_bfe_u32 v7, v31, 20, 10
	v_and_b32_e32 v10, 0x3ff, v31
	s_waitcnt lgkmcnt(0)
	s_cmp_lt_u32 s12, s14
	s_cselect_b32 s16, 12, 18
	s_cmp_lt_u32 s13, s15
	s_cselect_b32 s14, 14, 20
	s_add_u32 s14, s8, s14
	s_addc_u32 s15, s9, 0
	s_add_u32 s16, s8, s16
	s_addc_u32 s17, s9, 0
	global_load_ushort v5, v4, s[14:15]
	global_load_ushort v6, v4, s[16:17]
	v_bfe_u32 v4, v31, 10, 10
	s_movk_i32 s14, 0x400
	s_waitcnt vmcnt(0)
	v_mad_u32_u24 v4, v7, v5, v4
	v_mul_lo_u32 v4, v4, v6
	v_add_lshl_u32 v4, v4, v10, 2
	v_cmp_gt_u32_e64 s[14:15], s14, v4
	s_and_saveexec_b64 s[20:21], s[14:15]
	s_cbranch_execz .LBB1759_28
; %bb.19:
	v_add_f16_e32 v5, 0, v49
	v_add_f16_e32 v7, 0, v50
	v_mov_b32_e32 v6, 0xffff8000
	v_cmp_lt_i16_e64 s[14:15], -1, v5
	v_cndmask_b32_e64 v10, -1, v6, s[14:15]
	v_cmp_lt_i16_e64 s[14:15], -1, v7
	v_xor_b32_e32 v5, v10, v5
	v_cndmask_b32_e64 v10, -1, v6, s[14:15]
	v_xor_b32_e32 v7, v10, v7
	v_add_f16_e32 v10, 0, v48
	v_cmp_gt_u16_e64 s[14:15], v5, v7
	v_add_f16_e32 v7, 0, v51
	v_cmp_lt_i16_e64 s[16:17], -1, v10
	v_cndmask_b32_e64 v5, -1, v6, s[16:17]
	v_cmp_lt_i16_e64 s[16:17], -1, v7
	v_xor_b32_e32 v14, v5, v10
	v_cndmask_b32_e64 v5, -1, v6, s[16:17]
	v_xor_b32_e32 v11, v5, v7
	v_cndmask_b32_e64 v29, v21, v19, s[14:15]
	v_cndmask_b32_e64 v28, v20, v18, s[14:15]
	;; [unrolled: 1-line block ×4, first 2 shown]
	v_cmp_gt_u16_e64 s[16:17], v14, v11
	v_mov_b32_e32 v5, v51
	v_pk_mov_b32 v[30:31], v[22:23], v[22:23] op_sel:[0,1]
	v_pk_mov_b32 v[32:33], v[24:25], v[24:25] op_sel:[0,1]
	s_and_saveexec_b64 s[22:23], s[16:17]
; %bb.20:
	v_mov_b32_e32 v7, v10
	v_mov_b32_e32 v11, v14
	;; [unrolled: 1-line block ×4, first 2 shown]
	v_pk_mov_b32 v[30:31], v[24:25], v[24:25] op_sel:[0,1]
	v_pk_mov_b32 v[32:33], v[22:23], v[22:23] op_sel:[0,1]
; %bb.21:
	s_or_b64 exec, exec, s[22:23]
	v_cndmask_b32_e64 v10, v49, v50, s[14:15]
	v_add_f16_e32 v14, 0, v10
	v_cmp_lt_i16_e64 s[16:17], -1, v14
	v_cndmask_b32_e64 v6, -1, v6, s[16:17]
	v_xor_b32_e32 v6, v6, v14
	v_cmp_gt_u16_e64 s[16:17], v11, v6
	v_mov_b32_e32 v11, v7
	v_mov_b32_e32 v6, v10
	s_and_saveexec_b64 s[22:23], s[16:17]
	s_xor_b64 s[16:17], exec, s[22:23]
	s_cbranch_execz .LBB1759_23
; %bb.22:
	v_pk_mov_b32 v[18:19], v[26:27], v[26:27] op_sel:[0,1]
	v_pk_mov_b32 v[24:25], v[32:33], v[32:33] op_sel:[0,1]
	v_pk_mov_b32 v[20:21], v[28:29], v[28:29] op_sel:[0,1]
	v_pk_mov_b32 v[22:23], v[30:31], v[30:31] op_sel:[0,1]
	v_mov_b32_e32 v24, v32
	v_mov_b32_e32 v25, v33
	;; [unrolled: 1-line block ×6, first 2 shown]
	v_pk_mov_b32 v[32:33], v[24:25], v[24:25] op_sel:[0,1]
	v_pk_mov_b32 v[30:31], v[22:23], v[22:23] op_sel:[0,1]
	;; [unrolled: 1-line block ×4, first 2 shown]
	v_mov_b32_e32 v11, v14
	v_mov_b32_e32 v6, v5
	v_mov_b32_e32 v5, v10
	v_mov_b32_e32 v14, v7
.LBB1759_23:
	s_or_b64 exec, exec, s[16:17]
	v_cndmask_b32_e64 v7, v50, v49, s[14:15]
	v_add_f16_e32 v17, 0, v7
	v_mov_b32_e32 v10, 0xffff8000
	v_cmp_lt_i16_e64 s[14:15], -1, v14
	v_cndmask_b32_e64 v18, -1, v10, s[14:15]
	v_cmp_lt_i16_e64 s[14:15], -1, v17
	v_xor_b32_e32 v14, v18, v14
	v_cndmask_b32_e64 v18, -1, v10, s[14:15]
	v_xor_b32_e32 v17, v18, v17
	v_cmp_gt_u16_e64 s[14:15], v14, v17
	v_add_f16_e32 v14, 0, v48
	v_cmp_lt_i16_e64 s[16:17], -1, v14
	v_cndmask_b32_e64 v17, -1, v10, s[16:17]
	v_cmp_lt_i16_e64 s[16:17], -1, v11
	v_xor_b32_e32 v17, v17, v14
	v_cndmask_b32_e64 v14, -1, v10, s[16:17]
	v_xor_b32_e32 v14, v14, v11
	v_cndmask_b32_e64 v21, v29, v27, s[14:15]
	v_cndmask_b32_e64 v20, v28, v26, s[14:15]
	;; [unrolled: 1-line block ×4, first 2 shown]
	v_mov_b32_e32 v22, v30
	v_mov_b32_e32 v23, v31
	;; [unrolled: 1-line block ×4, first 2 shown]
	v_cmp_gt_u16_e64 s[16:17], v17, v14
	v_mov_b32_e32 v11, v5
	s_and_saveexec_b64 s[22:23], s[16:17]
	s_cbranch_execz .LBB1759_25
; %bb.24:
	v_mov_b32_e32 v26, v18
	v_mov_b32_e32 v27, v19
	;; [unrolled: 1-line block ×8, first 2 shown]
	v_pk_mov_b32 v[18:19], v[26:27], v[26:27] op_sel:[0,1]
	v_mov_b32_e32 v14, v17
	v_mov_b32_e32 v11, v48
	;; [unrolled: 1-line block ×3, first 2 shown]
	v_pk_mov_b32 v[20:21], v[28:29], v[28:29] op_sel:[0,1]
	v_pk_mov_b32 v[22:23], v[30:31], v[30:31] op_sel:[0,1]
	;; [unrolled: 1-line block ×3, first 2 shown]
.LBB1759_25:
	s_or_b64 exec, exec, s[22:23]
	v_cndmask_b32_e64 v49, v6, v7, s[14:15]
	v_add_f16_e32 v5, 0, v49
	v_cmp_lt_i16_e64 s[16:17], -1, v5
	v_cndmask_b32_e64 v10, -1, v10, s[16:17]
	v_xor_b32_e32 v5, v10, v5
	v_cmp_gt_u16_e64 s[16:17], v14, v5
	v_mov_b32_e32 v51, v11
	s_and_saveexec_b64 s[22:23], s[16:17]
	s_cbranch_execz .LBB1759_27
; %bb.26:
	v_mov_b32_e32 v26, v18
	v_mov_b32_e32 v27, v19
	;; [unrolled: 1-line block ×8, first 2 shown]
	v_pk_mov_b32 v[18:19], v[26:27], v[26:27] op_sel:[0,1]
	v_pk_mov_b32 v[20:21], v[28:29], v[28:29] op_sel:[0,1]
	;; [unrolled: 1-line block ×4, first 2 shown]
	v_mov_b32_e32 v51, v49
	v_mov_b32_e32 v49, v11
.LBB1759_27:
	s_or_b64 exec, exec, s[22:23]
	v_cndmask_b32_e64 v50, v7, v6, s[14:15]
.LBB1759_28:
	s_or_b64 exec, exec, s[20:21]
	v_and_b32_e32 v26, 0xffffff00, v4
	v_mov_b32_e32 v27, 0
	s_movk_i32 s14, 0x400
	v_lshlrev_b64 v[4:5], 1, v[26:27]
	v_sub_u32_e64 v30, s14, v26 clamp
	v_add_co_u32_e64 v6, s[14:15], v15, v4
	v_addc_co_u32_e64 v7, s[14:15], v16, v5, s[14:15]
	v_mad_u64_u32 v[4:5], s[14:15], v26, 6, v[6:7]
	v_lshlrev_b32_e32 v10, 1, v38
	v_add_co_u32_e64 v10, s[14:15], v6, v10
	v_addc_co_u32_e64 v11, s[14:15], 0, v7, s[14:15]
	v_lshlrev_b32_e32 v14, 3, v38
	v_add_co_u32_e64 v16, s[14:15], v4, v14
	v_addc_co_u32_e64 v17, s[14:15], 0, v5, s[14:15]
	s_movk_i32 s14, 0x800
	v_add_co_u32_e64 v14, s[14:15], s14, v16
	v_addc_co_u32_e64 v15, s[14:15], 0, v17, s[14:15]
	v_or_b32_e32 v26, 4, v38
	s_mov_b32 s14, 0x5040100
	v_min_u32_e32 v31, v30, v26
	v_perm_b32 v29, v48, v51, s14
	v_perm_b32 v28, v49, v50, s14
	v_add_u32_e32 v26, 4, v31
	flat_store_dwordx4 v[16:17], v[18:21] offset:2048
	flat_store_dwordx2 v[10:11], v[28:29]
	flat_store_dwordx4 v[16:17], v[22:25] offset:2064
	v_and_b32_e32 v28, 0x1f8, v38
	v_min_u32_e32 v32, v30, v26
	v_and_b32_e32 v26, 4, v38
	v_min_u32_e32 v29, v30, v26
	v_sub_u32_e32 v26, v31, v28
	v_sub_u32_e32 v33, v32, v31
	v_sub_u32_e64 v33, v29, v33 clamp
	v_min_u32_e32 v52, v29, v26
	v_cmp_lt_u32_e64 s[14:15], v33, v52
	; wave barrier
	s_and_saveexec_b64 s[16:17], s[14:15]
	s_cbranch_execz .LBB1759_32
; %bb.29:
	v_lshlrev_b32_e32 v26, 1, v28
	v_add_co_u32_e64 v53, s[14:15], v6, v26
	v_addc_co_u32_e64 v54, s[14:15], 0, v7, s[14:15]
	v_lshlrev_b32_e32 v26, 1, v31
	v_add_co_u32_e64 v55, s[14:15], v6, v26
	v_addc_co_u32_e64 v64, s[14:15], 0, v7, s[14:15]
	s_mov_b64 s[20:21], 0
	v_mov_b32_e32 v65, 0xffff8000
.LBB1759_30:                            ; =>This Inner Loop Header: Depth=1
	v_add_u32_e32 v26, v52, v33
	v_and_b32_e32 v66, -2, v26
	v_lshrrev_b32_e32 v68, 1, v26
	v_add_co_u32_e64 v66, s[14:15], v53, v66
	v_xad_u32 v26, v68, -1, v29
	v_addc_co_u32_e64 v67, s[14:15], 0, v54, s[14:15]
	flat_load_ushort v69, v[66:67]
	v_lshlrev_b64 v[66:67], 1, v[26:27]
	v_add_co_u32_e64 v66, s[14:15], v55, v66
	v_addc_co_u32_e64 v67, s[14:15], v64, v67, s[14:15]
	flat_load_ushort v26, v[66:67]
	v_add_u32_e32 v66, 1, v68
	s_waitcnt vmcnt(0) lgkmcnt(0)
	v_add_f16_e32 v67, 0, v69
	v_cmp_lt_i16_e64 s[14:15], -1, v67
	v_cndmask_b32_e64 v69, -1, v65, s[14:15]
	v_xor_b32_e32 v67, v69, v67
	v_add_f16_e32 v26, 0, v26
	v_cmp_lt_i16_e64 s[14:15], -1, v26
	v_cndmask_b32_e64 v69, -1, v65, s[14:15]
	v_xor_b32_e32 v26, v69, v26
	v_cmp_gt_u16_e64 s[14:15], v26, v67
	v_cndmask_b32_e64 v52, v52, v68, s[14:15]
	v_cndmask_b32_e64 v33, v66, v33, s[14:15]
	v_cmp_ge_u32_e64 s[14:15], v33, v52
	s_or_b64 s[20:21], s[14:15], s[20:21]
	s_andn2_b64 exec, exec, s[20:21]
	s_cbranch_execnz .LBB1759_30
; %bb.31:
	s_or_b64 exec, exec, s[20:21]
.LBB1759_32:
	s_or_b64 exec, exec, s[16:17]
	v_add_u32_e32 v27, v31, v29
	v_add_u32_e32 v26, v33, v28
	v_sub_u32_e32 v28, v27, v33
	v_cmp_le_u32_e64 s[14:15], v26, v31
	v_cmp_le_u32_e64 s[16:17], v28, v32
	s_or_b64 s[14:15], s[14:15], s[16:17]
	s_and_saveexec_b64 s[20:21], s[14:15]
	s_cbranch_execz .LBB1759_52
; %bb.33:
	v_cmp_ge_u32_e64 s[14:15], v26, v31
	v_cmp_lt_u32_e64 s[16:17], v26, v31
                                        ; implicit-def: $vgpr27
	s_and_saveexec_b64 s[22:23], s[16:17]
	s_cbranch_execz .LBB1759_35
; %bb.34:
	v_mov_b32_e32 v27, 0
	v_lshlrev_b64 v[18:19], 1, v[26:27]
	v_add_co_u32_e64 v18, s[16:17], v6, v18
	v_addc_co_u32_e64 v19, s[16:17], v7, v19, s[16:17]
	flat_load_ushort v27, v[18:19]
.LBB1759_35:
	s_or_b64 exec, exec, s[22:23]
	v_cmp_ge_u32_e64 s[22:23], v28, v32
	v_cmp_lt_u32_e64 s[16:17], v28, v32
                                        ; implicit-def: $vgpr29
	s_and_saveexec_b64 s[24:25], s[16:17]
	s_cbranch_execz .LBB1759_37
; %bb.36:
	v_mov_b32_e32 v29, 0
	v_lshlrev_b64 v[18:19], 1, v[28:29]
	v_add_co_u32_e64 v18, s[16:17], v6, v18
	v_addc_co_u32_e64 v19, s[16:17], v7, v19, s[16:17]
	flat_load_ushort v29, v[18:19]
.LBB1759_37:
	s_or_b64 exec, exec, s[24:25]
	s_or_b64 s[14:15], s[14:15], s[22:23]
	s_mov_b64 s[16:17], -1
	s_xor_b64 s[14:15], s[14:15], -1
	s_and_saveexec_b64 s[24:25], s[14:15]
	s_cbranch_execz .LBB1759_39
; %bb.38:
	s_waitcnt vmcnt(0) lgkmcnt(0)
	v_add_f16_e32 v18, 0, v29
	v_add_f16_e32 v19, 0, v27
	v_mov_b32_e32 v20, 0xffff8000
	v_cmp_lt_i16_e64 s[14:15], -1, v18
	v_cndmask_b32_e64 v21, -1, v20, s[14:15]
	v_cmp_lt_i16_e64 s[14:15], -1, v19
	v_cndmask_b32_e64 v20, -1, v20, s[14:15]
	v_xor_b32_e32 v18, v21, v18
	v_xor_b32_e32 v19, v20, v19
	v_cmp_le_u16_e64 s[14:15], v18, v19
	s_andn2_b64 s[22:23], s[22:23], exec
	s_and_b64 s[14:15], s[14:15], exec
	s_or_b64 s[22:23], s[22:23], s[14:15]
.LBB1759_39:
	s_or_b64 exec, exec, s[24:25]
	v_cndmask_b32_e64 v20, v28, v26, s[22:23]
	v_cndmask_b32_e64 v22, v32, v31, s[22:23]
	v_mov_b32_e32 v21, 0
	v_lshlrev_b64 v[18:19], 3, v[20:21]
	v_add_u32_e32 v24, 1, v20
	v_add_u32_e32 v20, -1, v22
	v_min_u32_e32 v20, v24, v20
	v_lshlrev_b64 v[22:23], 1, v[20:21]
	v_add_co_u32_e64 v22, s[14:15], v6, v22
	v_addc_co_u32_e64 v23, s[14:15], v7, v23, s[14:15]
	v_add_co_u32_e64 v18, s[14:15], v4, v18
	flat_load_ushort v20, v[22:23]
	v_addc_co_u32_e64 v19, s[14:15], v5, v19, s[14:15]
	flat_load_dwordx2 v[18:19], v[18:19] offset:2048
	v_cndmask_b32_e64 v22, v24, v28, s[22:23]
	v_cndmask_b32_e64 v23, v26, v24, s[22:23]
	v_cmp_lt_u32_e64 s[14:15], v22, v32
	s_waitcnt vmcnt(0) lgkmcnt(0)
	v_cndmask_b32_e64 v26, v20, v29, s[22:23]
	v_cndmask_b32_e64 v28, v27, v20, s[22:23]
	s_and_saveexec_b64 s[24:25], s[14:15]
	s_cbranch_execz .LBB1759_43
; %bb.40:
	v_cmp_lt_u32_e64 s[14:15], v23, v31
	s_mov_b64 s[26:27], 0
	s_and_saveexec_b64 s[16:17], s[14:15]
; %bb.41:
	v_add_f16_e32 v20, 0, v26
	v_add_f16_e32 v24, 0, v28
	v_mov_b32_e32 v25, 0xffff8000
	v_cmp_lt_i16_e64 s[14:15], -1, v20
	v_cndmask_b32_e64 v33, -1, v25, s[14:15]
	v_cmp_lt_i16_e64 s[14:15], -1, v24
	v_cndmask_b32_e64 v25, -1, v25, s[14:15]
	v_xor_b32_e32 v20, v33, v20
	v_xor_b32_e32 v24, v25, v24
	v_cmp_le_u16_e64 s[14:15], v20, v24
	s_and_b64 s[26:27], s[14:15], exec
; %bb.42:
	s_or_b64 exec, exec, s[16:17]
	s_orn2_b64 s[16:17], s[26:27], exec
.LBB1759_43:
	s_or_b64 exec, exec, s[24:25]
	v_cndmask_b32_e64 v20, v22, v23, s[16:17]
	v_cndmask_b32_e64 v33, v32, v31, s[16:17]
	v_lshlrev_b64 v[24:25], 3, v[20:21]
	v_add_u32_e32 v48, 1, v20
	v_add_u32_e32 v20, -1, v33
	v_min_u32_e32 v20, v48, v20
	v_lshlrev_b64 v[20:21], 1, v[20:21]
	v_add_co_u32_e64 v20, s[14:15], v6, v20
	v_addc_co_u32_e64 v21, s[14:15], v7, v21, s[14:15]
	flat_load_ushort v51, v[20:21]
	v_add_co_u32_e64 v20, s[14:15], v4, v24
	v_addc_co_u32_e64 v21, s[14:15], v5, v25, s[14:15]
	flat_load_dwordx2 v[20:21], v[20:21] offset:2048
	v_cndmask_b32_e64 v49, v48, v22, s[16:17]
	s_mov_b64 s[24:25], -1
	v_cndmask_b32_e64 v50, v23, v48, s[16:17]
	v_cmp_lt_u32_e64 s[14:15], v49, v32
	s_mov_b64 s[26:27], -1
	s_waitcnt vmcnt(0) lgkmcnt(0)
	v_cndmask_b32_e64 v33, v51, v26, s[16:17]
	v_cndmask_b32_e64 v48, v28, v51, s[16:17]
	s_and_saveexec_b64 s[28:29], s[14:15]
	s_cbranch_execz .LBB1759_47
; %bb.44:
	v_cmp_lt_u32_e64 s[14:15], v50, v31
	s_mov_b64 s[30:31], 0
	s_and_saveexec_b64 s[26:27], s[14:15]
; %bb.45:
	v_add_f16_e32 v22, 0, v33
	v_add_f16_e32 v23, 0, v48
	v_mov_b32_e32 v24, 0xffff8000
	v_cmp_lt_i16_e64 s[14:15], -1, v22
	v_cndmask_b32_e64 v25, -1, v24, s[14:15]
	v_cmp_lt_i16_e64 s[14:15], -1, v23
	v_cndmask_b32_e64 v24, -1, v24, s[14:15]
	v_xor_b32_e32 v22, v25, v22
	v_xor_b32_e32 v23, v24, v23
	v_cmp_le_u16_e64 s[14:15], v22, v23
	s_and_b64 s[30:31], s[14:15], exec
; %bb.46:
	s_or_b64 exec, exec, s[26:27]
	s_orn2_b64 s[26:27], s[30:31], exec
.LBB1759_47:
	s_or_b64 exec, exec, s[28:29]
	v_cndmask_b32_e64 v24, v49, v50, s[26:27]
	v_cndmask_b32_e64 v51, v32, v31, s[26:27]
	v_mov_b32_e32 v25, 0
	v_lshlrev_b64 v[22:23], 3, v[24:25]
	v_add_u32_e32 v54, 1, v24
	v_add_u32_e32 v24, -1, v51
	v_min_u32_e32 v24, v54, v24
	v_lshlrev_b64 v[52:53], 1, v[24:25]
	v_add_co_u32_e64 v52, s[14:15], v6, v52
	v_addc_co_u32_e64 v53, s[14:15], v7, v53, s[14:15]
	v_add_co_u32_e64 v22, s[14:15], v4, v22
	flat_load_ushort v51, v[52:53]
	v_addc_co_u32_e64 v23, s[14:15], v5, v23, s[14:15]
	flat_load_dwordx2 v[22:23], v[22:23] offset:2048
	v_cndmask_b32_e64 v24, v54, v49, s[26:27]
	v_cndmask_b32_e64 v49, v50, v54, s[26:27]
	v_cmp_lt_u32_e64 s[14:15], v24, v32
	s_waitcnt vmcnt(0) lgkmcnt(0)
	v_cndmask_b32_e64 v52, v51, v33, s[26:27]
	v_cndmask_b32_e64 v53, v48, v51, s[26:27]
	s_and_saveexec_b64 s[28:29], s[14:15]
	s_cbranch_execz .LBB1759_51
; %bb.48:
	v_cmp_lt_u32_e64 s[14:15], v49, v31
	s_mov_b64 s[30:31], 0
	s_and_saveexec_b64 s[24:25], s[14:15]
; %bb.49:
	v_add_f16_e32 v31, 0, v52
	v_add_f16_e32 v32, 0, v53
	v_mov_b32_e32 v50, 0xffff8000
	v_cmp_lt_i16_e64 s[14:15], -1, v31
	v_cndmask_b32_e64 v51, -1, v50, s[14:15]
	v_cmp_lt_i16_e64 s[14:15], -1, v32
	v_cndmask_b32_e64 v50, -1, v50, s[14:15]
	v_xor_b32_e32 v31, v51, v31
	v_xor_b32_e32 v32, v50, v32
	v_cmp_le_u16_e64 s[14:15], v31, v32
	s_and_b64 s[30:31], s[14:15], exec
; %bb.50:
	s_or_b64 exec, exec, s[24:25]
	s_orn2_b64 s[24:25], s[30:31], exec
.LBB1759_51:
	s_or_b64 exec, exec, s[28:29]
	v_cndmask_b32_e64 v24, v24, v49, s[24:25]
	v_lshlrev_b64 v[24:25], 3, v[24:25]
	v_add_co_u32_e64 v24, s[14:15], v4, v24
	v_addc_co_u32_e64 v25, s[14:15], v5, v25, s[14:15]
	flat_load_dwordx2 v[24:25], v[24:25] offset:2048
	v_cndmask_b32_e64 v51, v33, v48, s[26:27]
	v_cndmask_b32_e64 v49, v26, v28, s[16:17]
	;; [unrolled: 1-line block ×4, first 2 shown]
.LBB1759_52:
	s_or_b64 exec, exec, s[20:21]
	s_mov_b32 s14, 0x5040100
	v_perm_b32 v27, v48, v51, s14
	v_perm_b32 v26, v49, v50, s14
	v_and_b32_e32 v28, 0x1f0, v38
	; wave barrier
	flat_store_dwordx4 v[16:17], v[18:21] offset:2048
	flat_store_dwordx2 v[10:11], v[26:27]
	s_waitcnt vmcnt(0) lgkmcnt(0)
	flat_store_dwordx4 v[14:15], v[22:25] offset:16
	v_or_b32_e32 v26, 8, v28
	v_min_u32_e32 v31, v30, v26
	v_add_u32_e32 v26, 8, v31
	v_min_u32_e32 v32, v30, v26
	v_and_b32_e32 v26, 12, v38
	v_min_u32_e32 v29, v30, v26
	v_sub_u32_e32 v26, v31, v28
	v_sub_u32_e32 v27, v32, v31
	v_sub_u32_e64 v33, v29, v27 clamp
	v_min_u32_e32 v52, v29, v26
	v_cmp_lt_u32_e64 s[14:15], v33, v52
	; wave barrier
	s_and_saveexec_b64 s[16:17], s[14:15]
	s_cbranch_execz .LBB1759_56
; %bb.53:
	v_lshlrev_b32_e32 v26, 1, v28
	v_add_co_u32_e64 v53, s[14:15], v6, v26
	v_addc_co_u32_e64 v54, s[14:15], 0, v7, s[14:15]
	v_lshlrev_b32_e32 v26, 1, v31
	v_add_co_u32_e64 v55, s[14:15], v6, v26
	v_addc_co_u32_e64 v64, s[14:15], 0, v7, s[14:15]
	s_mov_b64 s[20:21], 0
	v_mov_b32_e32 v65, 0xffff8000
	v_mov_b32_e32 v27, 0
.LBB1759_54:                            ; =>This Inner Loop Header: Depth=1
	v_add_u32_e32 v26, v52, v33
	v_and_b32_e32 v66, -2, v26
	v_lshrrev_b32_e32 v68, 1, v26
	v_add_co_u32_e64 v66, s[14:15], v53, v66
	v_xad_u32 v26, v68, -1, v29
	v_addc_co_u32_e64 v67, s[14:15], 0, v54, s[14:15]
	flat_load_ushort v69, v[66:67]
	v_lshlrev_b64 v[66:67], 1, v[26:27]
	v_add_co_u32_e64 v66, s[14:15], v55, v66
	v_addc_co_u32_e64 v67, s[14:15], v64, v67, s[14:15]
	flat_load_ushort v26, v[66:67]
	v_add_u32_e32 v66, 1, v68
	s_waitcnt vmcnt(0) lgkmcnt(0)
	v_add_f16_e32 v67, 0, v69
	v_cmp_lt_i16_e64 s[14:15], -1, v67
	v_cndmask_b32_e64 v69, -1, v65, s[14:15]
	v_xor_b32_e32 v67, v69, v67
	v_add_f16_e32 v26, 0, v26
	v_cmp_lt_i16_e64 s[14:15], -1, v26
	v_cndmask_b32_e64 v69, -1, v65, s[14:15]
	v_xor_b32_e32 v26, v69, v26
	v_cmp_gt_u16_e64 s[14:15], v26, v67
	v_cndmask_b32_e64 v52, v52, v68, s[14:15]
	v_cndmask_b32_e64 v33, v66, v33, s[14:15]
	v_cmp_ge_u32_e64 s[14:15], v33, v52
	s_or_b64 s[20:21], s[14:15], s[20:21]
	s_andn2_b64 exec, exec, s[20:21]
	s_cbranch_execnz .LBB1759_54
; %bb.55:
	s_or_b64 exec, exec, s[20:21]
.LBB1759_56:
	s_or_b64 exec, exec, s[16:17]
	v_add_u32_e32 v27, v31, v29
	v_add_u32_e32 v26, v33, v28
	v_sub_u32_e32 v28, v27, v33
	v_cmp_le_u32_e64 s[14:15], v26, v31
	v_cmp_le_u32_e64 s[16:17], v28, v32
	s_or_b64 s[14:15], s[14:15], s[16:17]
	s_and_saveexec_b64 s[20:21], s[14:15]
	s_cbranch_execz .LBB1759_76
; %bb.57:
	v_cmp_ge_u32_e64 s[14:15], v26, v31
	v_cmp_lt_u32_e64 s[16:17], v26, v31
                                        ; implicit-def: $vgpr27
	s_and_saveexec_b64 s[22:23], s[16:17]
	s_cbranch_execz .LBB1759_59
; %bb.58:
	v_mov_b32_e32 v27, 0
	v_lshlrev_b64 v[18:19], 1, v[26:27]
	v_add_co_u32_e64 v18, s[16:17], v6, v18
	v_addc_co_u32_e64 v19, s[16:17], v7, v19, s[16:17]
	flat_load_ushort v27, v[18:19]
.LBB1759_59:
	s_or_b64 exec, exec, s[22:23]
	v_cmp_ge_u32_e64 s[22:23], v28, v32
	v_cmp_lt_u32_e64 s[16:17], v28, v32
                                        ; implicit-def: $vgpr29
	s_and_saveexec_b64 s[24:25], s[16:17]
	s_cbranch_execz .LBB1759_61
; %bb.60:
	v_mov_b32_e32 v29, 0
	v_lshlrev_b64 v[18:19], 1, v[28:29]
	v_add_co_u32_e64 v18, s[16:17], v6, v18
	v_addc_co_u32_e64 v19, s[16:17], v7, v19, s[16:17]
	flat_load_ushort v29, v[18:19]
.LBB1759_61:
	s_or_b64 exec, exec, s[24:25]
	s_or_b64 s[14:15], s[14:15], s[22:23]
	s_mov_b64 s[16:17], -1
	s_xor_b64 s[14:15], s[14:15], -1
	s_and_saveexec_b64 s[24:25], s[14:15]
	s_cbranch_execz .LBB1759_63
; %bb.62:
	s_waitcnt vmcnt(0) lgkmcnt(0)
	v_add_f16_e32 v18, 0, v29
	v_add_f16_e32 v19, 0, v27
	v_mov_b32_e32 v20, 0xffff8000
	v_cmp_lt_i16_e64 s[14:15], -1, v18
	v_cndmask_b32_e64 v21, -1, v20, s[14:15]
	v_cmp_lt_i16_e64 s[14:15], -1, v19
	v_cndmask_b32_e64 v20, -1, v20, s[14:15]
	v_xor_b32_e32 v18, v21, v18
	v_xor_b32_e32 v19, v20, v19
	v_cmp_le_u16_e64 s[14:15], v18, v19
	s_andn2_b64 s[22:23], s[22:23], exec
	s_and_b64 s[14:15], s[14:15], exec
	s_or_b64 s[22:23], s[22:23], s[14:15]
.LBB1759_63:
	s_or_b64 exec, exec, s[24:25]
	v_cndmask_b32_e64 v20, v28, v26, s[22:23]
	v_cndmask_b32_e64 v22, v32, v31, s[22:23]
	v_mov_b32_e32 v21, 0
	v_lshlrev_b64 v[18:19], 3, v[20:21]
	v_add_u32_e32 v24, 1, v20
	v_add_u32_e32 v20, -1, v22
	v_min_u32_e32 v20, v24, v20
	v_lshlrev_b64 v[22:23], 1, v[20:21]
	v_add_co_u32_e64 v22, s[14:15], v6, v22
	v_addc_co_u32_e64 v23, s[14:15], v7, v23, s[14:15]
	v_add_co_u32_e64 v18, s[14:15], v4, v18
	flat_load_ushort v20, v[22:23]
	v_addc_co_u32_e64 v19, s[14:15], v5, v19, s[14:15]
	flat_load_dwordx2 v[18:19], v[18:19] offset:2048
	v_cndmask_b32_e64 v22, v24, v28, s[22:23]
	v_cndmask_b32_e64 v23, v26, v24, s[22:23]
	v_cmp_lt_u32_e64 s[14:15], v22, v32
	s_waitcnt vmcnt(0) lgkmcnt(0)
	v_cndmask_b32_e64 v26, v20, v29, s[22:23]
	v_cndmask_b32_e64 v28, v27, v20, s[22:23]
	s_and_saveexec_b64 s[24:25], s[14:15]
	s_cbranch_execz .LBB1759_67
; %bb.64:
	v_cmp_lt_u32_e64 s[14:15], v23, v31
	s_mov_b64 s[26:27], 0
	s_and_saveexec_b64 s[16:17], s[14:15]
; %bb.65:
	v_add_f16_e32 v20, 0, v26
	v_add_f16_e32 v24, 0, v28
	v_mov_b32_e32 v25, 0xffff8000
	v_cmp_lt_i16_e64 s[14:15], -1, v20
	v_cndmask_b32_e64 v33, -1, v25, s[14:15]
	v_cmp_lt_i16_e64 s[14:15], -1, v24
	v_cndmask_b32_e64 v25, -1, v25, s[14:15]
	v_xor_b32_e32 v20, v33, v20
	v_xor_b32_e32 v24, v25, v24
	v_cmp_le_u16_e64 s[14:15], v20, v24
	s_and_b64 s[26:27], s[14:15], exec
; %bb.66:
	s_or_b64 exec, exec, s[16:17]
	s_orn2_b64 s[16:17], s[26:27], exec
.LBB1759_67:
	s_or_b64 exec, exec, s[24:25]
	v_cndmask_b32_e64 v20, v22, v23, s[16:17]
	v_cndmask_b32_e64 v33, v32, v31, s[16:17]
	v_lshlrev_b64 v[24:25], 3, v[20:21]
	v_add_u32_e32 v48, 1, v20
	v_add_u32_e32 v20, -1, v33
	v_min_u32_e32 v20, v48, v20
	v_lshlrev_b64 v[20:21], 1, v[20:21]
	v_add_co_u32_e64 v20, s[14:15], v6, v20
	v_addc_co_u32_e64 v21, s[14:15], v7, v21, s[14:15]
	flat_load_ushort v51, v[20:21]
	v_add_co_u32_e64 v20, s[14:15], v4, v24
	v_addc_co_u32_e64 v21, s[14:15], v5, v25, s[14:15]
	flat_load_dwordx2 v[20:21], v[20:21] offset:2048
	v_cndmask_b32_e64 v49, v48, v22, s[16:17]
	s_mov_b64 s[24:25], -1
	v_cndmask_b32_e64 v50, v23, v48, s[16:17]
	v_cmp_lt_u32_e64 s[14:15], v49, v32
	s_mov_b64 s[26:27], -1
	s_waitcnt vmcnt(0) lgkmcnt(0)
	v_cndmask_b32_e64 v33, v51, v26, s[16:17]
	v_cndmask_b32_e64 v48, v28, v51, s[16:17]
	s_and_saveexec_b64 s[28:29], s[14:15]
	s_cbranch_execz .LBB1759_71
; %bb.68:
	v_cmp_lt_u32_e64 s[14:15], v50, v31
	s_mov_b64 s[30:31], 0
	s_and_saveexec_b64 s[26:27], s[14:15]
; %bb.69:
	v_add_f16_e32 v22, 0, v33
	v_add_f16_e32 v23, 0, v48
	v_mov_b32_e32 v24, 0xffff8000
	v_cmp_lt_i16_e64 s[14:15], -1, v22
	v_cndmask_b32_e64 v25, -1, v24, s[14:15]
	v_cmp_lt_i16_e64 s[14:15], -1, v23
	v_cndmask_b32_e64 v24, -1, v24, s[14:15]
	v_xor_b32_e32 v22, v25, v22
	v_xor_b32_e32 v23, v24, v23
	v_cmp_le_u16_e64 s[14:15], v22, v23
	s_and_b64 s[30:31], s[14:15], exec
; %bb.70:
	s_or_b64 exec, exec, s[26:27]
	s_orn2_b64 s[26:27], s[30:31], exec
.LBB1759_71:
	s_or_b64 exec, exec, s[28:29]
	v_cndmask_b32_e64 v24, v49, v50, s[26:27]
	v_cndmask_b32_e64 v51, v32, v31, s[26:27]
	v_mov_b32_e32 v25, 0
	v_lshlrev_b64 v[22:23], 3, v[24:25]
	v_add_u32_e32 v54, 1, v24
	v_add_u32_e32 v24, -1, v51
	v_min_u32_e32 v24, v54, v24
	v_lshlrev_b64 v[52:53], 1, v[24:25]
	v_add_co_u32_e64 v52, s[14:15], v6, v52
	v_addc_co_u32_e64 v53, s[14:15], v7, v53, s[14:15]
	v_add_co_u32_e64 v22, s[14:15], v4, v22
	flat_load_ushort v51, v[52:53]
	v_addc_co_u32_e64 v23, s[14:15], v5, v23, s[14:15]
	flat_load_dwordx2 v[22:23], v[22:23] offset:2048
	v_cndmask_b32_e64 v24, v54, v49, s[26:27]
	v_cndmask_b32_e64 v49, v50, v54, s[26:27]
	v_cmp_lt_u32_e64 s[14:15], v24, v32
	s_waitcnt vmcnt(0) lgkmcnt(0)
	v_cndmask_b32_e64 v52, v51, v33, s[26:27]
	v_cndmask_b32_e64 v53, v48, v51, s[26:27]
	s_and_saveexec_b64 s[28:29], s[14:15]
	s_cbranch_execz .LBB1759_75
; %bb.72:
	v_cmp_lt_u32_e64 s[14:15], v49, v31
	s_mov_b64 s[30:31], 0
	s_and_saveexec_b64 s[24:25], s[14:15]
; %bb.73:
	v_add_f16_e32 v31, 0, v52
	v_add_f16_e32 v32, 0, v53
	v_mov_b32_e32 v50, 0xffff8000
	v_cmp_lt_i16_e64 s[14:15], -1, v31
	v_cndmask_b32_e64 v51, -1, v50, s[14:15]
	v_cmp_lt_i16_e64 s[14:15], -1, v32
	v_cndmask_b32_e64 v50, -1, v50, s[14:15]
	v_xor_b32_e32 v31, v51, v31
	v_xor_b32_e32 v32, v50, v32
	v_cmp_le_u16_e64 s[14:15], v31, v32
	s_and_b64 s[30:31], s[14:15], exec
; %bb.74:
	s_or_b64 exec, exec, s[24:25]
	s_orn2_b64 s[24:25], s[30:31], exec
.LBB1759_75:
	s_or_b64 exec, exec, s[28:29]
	v_cndmask_b32_e64 v24, v24, v49, s[24:25]
	v_lshlrev_b64 v[24:25], 3, v[24:25]
	v_add_co_u32_e64 v24, s[14:15], v4, v24
	v_addc_co_u32_e64 v25, s[14:15], v5, v25, s[14:15]
	flat_load_dwordx2 v[24:25], v[24:25] offset:2048
	v_cndmask_b32_e64 v51, v33, v48, s[26:27]
	v_cndmask_b32_e64 v49, v26, v28, s[16:17]
	;; [unrolled: 1-line block ×4, first 2 shown]
.LBB1759_76:
	s_or_b64 exec, exec, s[20:21]
	s_mov_b32 s14, 0x5040100
	; wave barrier
	flat_store_dwordx4 v[16:17], v[18:21] offset:2048
	v_perm_b32 v17, v48, v51, s14
	v_perm_b32 v16, v49, v50, s14
	flat_store_dwordx2 v[10:11], v[16:17]
	s_waitcnt vmcnt(0) lgkmcnt(0)
	flat_store_dwordx4 v[14:15], v[22:25] offset:16
	v_and_b32_e32 v14, 0x1e0, v38
	v_or_b32_e32 v10, 16, v14
	v_min_u32_e32 v26, v30, v10
	v_add_u32_e32 v10, 16, v26
	v_min_u32_e32 v27, v30, v10
	v_min_u32_e32 v15, v30, v36
	v_sub_u32_e32 v10, v26, v14
	v_sub_u32_e32 v11, v27, v26
	v_sub_u32_e64 v16, v15, v11 clamp
	v_min_u32_e32 v17, v15, v10
	v_cmp_lt_u32_e64 s[14:15], v16, v17
	; wave barrier
	s_and_saveexec_b64 s[16:17], s[14:15]
	s_cbranch_execz .LBB1759_80
; %bb.77:
	v_lshlrev_b32_e32 v10, 1, v14
	v_add_co_u32_e64 v28, s[14:15], v6, v10
	v_addc_co_u32_e64 v29, s[14:15], 0, v7, s[14:15]
	v_lshlrev_b32_e32 v10, 1, v26
	v_add_co_u32_e64 v30, s[14:15], v6, v10
	v_addc_co_u32_e64 v31, s[14:15], 0, v7, s[14:15]
	s_mov_b64 s[20:21], 0
	v_mov_b32_e32 v32, 0xffff8000
	v_mov_b32_e32 v11, 0
.LBB1759_78:                            ; =>This Inner Loop Header: Depth=1
	v_add_u32_e32 v10, v17, v16
	v_and_b32_e32 v38, -2, v10
	v_lshrrev_b32_e32 v33, 1, v10
	v_add_co_u32_e64 v52, s[14:15], v28, v38
	v_xad_u32 v10, v33, -1, v15
	v_addc_co_u32_e64 v53, s[14:15], 0, v29, s[14:15]
	flat_load_ushort v38, v[52:53]
	v_lshlrev_b64 v[52:53], 1, v[10:11]
	v_add_co_u32_e64 v52, s[14:15], v30, v52
	v_addc_co_u32_e64 v53, s[14:15], v31, v53, s[14:15]
	flat_load_ushort v10, v[52:53]
	v_add_u32_e32 v52, 1, v33
	s_waitcnt vmcnt(0) lgkmcnt(0)
	v_add_f16_e32 v38, 0, v38
	v_cmp_lt_i16_e64 s[14:15], -1, v38
	v_cndmask_b32_e64 v53, -1, v32, s[14:15]
	v_xor_b32_e32 v38, v53, v38
	v_add_f16_e32 v10, 0, v10
	v_cmp_lt_i16_e64 s[14:15], -1, v10
	v_cndmask_b32_e64 v53, -1, v32, s[14:15]
	v_xor_b32_e32 v10, v53, v10
	v_cmp_gt_u16_e64 s[14:15], v10, v38
	v_cndmask_b32_e64 v17, v17, v33, s[14:15]
	v_cndmask_b32_e64 v16, v52, v16, s[14:15]
	v_cmp_ge_u32_e64 s[14:15], v16, v17
	s_or_b64 s[20:21], s[14:15], s[20:21]
	s_andn2_b64 exec, exec, s[20:21]
	s_cbranch_execnz .LBB1759_78
; %bb.79:
	s_or_b64 exec, exec, s[20:21]
.LBB1759_80:
	s_or_b64 exec, exec, s[16:17]
	v_add_u32_e32 v11, v26, v15
	v_add_u32_e32 v10, v16, v14
	v_sub_u32_e32 v14, v11, v16
	v_cmp_le_u32_e64 s[14:15], v10, v26
	v_cmp_le_u32_e64 s[16:17], v14, v27
	s_or_b64 s[14:15], s[14:15], s[16:17]
	s_and_saveexec_b64 s[20:21], s[14:15]
	s_cbranch_execz .LBB1759_100
; %bb.81:
	v_cmp_ge_u32_e64 s[14:15], v10, v26
	v_cmp_lt_u32_e64 s[16:17], v10, v26
                                        ; implicit-def: $vgpr28
	s_and_saveexec_b64 s[22:23], s[16:17]
	s_cbranch_execz .LBB1759_83
; %bb.82:
	v_mov_b32_e32 v11, 0
	v_lshlrev_b64 v[16:17], 1, v[10:11]
	v_add_co_u32_e64 v16, s[16:17], v6, v16
	v_addc_co_u32_e64 v17, s[16:17], v7, v17, s[16:17]
	flat_load_ushort v28, v[16:17]
.LBB1759_83:
	s_or_b64 exec, exec, s[22:23]
	v_cmp_ge_u32_e64 s[22:23], v14, v27
	v_cmp_lt_u32_e64 s[16:17], v14, v27
                                        ; implicit-def: $vgpr15
	s_and_saveexec_b64 s[24:25], s[16:17]
	s_cbranch_execz .LBB1759_85
; %bb.84:
	v_mov_b32_e32 v15, 0
	v_lshlrev_b64 v[16:17], 1, v[14:15]
	v_add_co_u32_e64 v16, s[16:17], v6, v16
	v_addc_co_u32_e64 v17, s[16:17], v7, v17, s[16:17]
	flat_load_ushort v15, v[16:17]
.LBB1759_85:
	s_or_b64 exec, exec, s[24:25]
	s_or_b64 s[14:15], s[14:15], s[22:23]
	s_mov_b64 s[16:17], -1
	s_xor_b64 s[14:15], s[14:15], -1
	s_and_saveexec_b64 s[24:25], s[14:15]
	s_cbranch_execz .LBB1759_87
; %bb.86:
	s_waitcnt vmcnt(0) lgkmcnt(0)
	v_add_f16_e32 v11, 0, v15
	v_add_f16_e32 v16, 0, v28
	v_mov_b32_e32 v17, 0xffff8000
	v_cmp_lt_i16_e64 s[14:15], -1, v11
	v_cndmask_b32_e64 v18, -1, v17, s[14:15]
	v_cmp_lt_i16_e64 s[14:15], -1, v16
	v_cndmask_b32_e64 v17, -1, v17, s[14:15]
	v_xor_b32_e32 v11, v18, v11
	v_xor_b32_e32 v16, v17, v16
	v_cmp_le_u16_e64 s[14:15], v11, v16
	s_andn2_b64 s[22:23], s[22:23], exec
	s_and_b64 s[14:15], s[14:15], exec
	s_or_b64 s[22:23], s[22:23], s[14:15]
.LBB1759_87:
	s_or_b64 exec, exec, s[24:25]
	v_cndmask_b32_e64 v16, v14, v10, s[22:23]
	v_cndmask_b32_e64 v11, v27, v26, s[22:23]
	v_mov_b32_e32 v17, 0
	v_add_u32_e32 v22, 1, v16
	v_add_u32_e32 v11, -1, v11
	v_lshlrev_b64 v[18:19], 3, v[16:17]
	v_min_u32_e32 v16, v22, v11
	v_lshlrev_b64 v[20:21], 1, v[16:17]
	v_add_co_u32_e64 v20, s[14:15], v6, v20
	v_addc_co_u32_e64 v21, s[14:15], v7, v21, s[14:15]
	v_add_co_u32_e64 v18, s[14:15], v4, v18
	flat_load_ushort v16, v[20:21]
	v_addc_co_u32_e64 v19, s[14:15], v5, v19, s[14:15]
	flat_load_dwordx2 v[18:19], v[18:19] offset:2048
	v_cndmask_b32_e64 v11, v22, v14, s[22:23]
	v_cndmask_b32_e64 v10, v10, v22, s[22:23]
	v_cmp_lt_u32_e64 s[14:15], v11, v27
	s_waitcnt vmcnt(0) lgkmcnt(0)
	v_cndmask_b32_e64 v14, v16, v15, s[22:23]
	v_cndmask_b32_e64 v29, v28, v16, s[22:23]
	s_and_saveexec_b64 s[24:25], s[14:15]
	s_cbranch_execz .LBB1759_91
; %bb.88:
	v_cmp_lt_u32_e64 s[14:15], v10, v26
	s_mov_b64 s[26:27], 0
	s_and_saveexec_b64 s[16:17], s[14:15]
; %bb.89:
	v_add_f16_e32 v16, 0, v14
	v_add_f16_e32 v20, 0, v29
	v_mov_b32_e32 v21, 0xffff8000
	v_cmp_lt_i16_e64 s[14:15], -1, v16
	v_cndmask_b32_e64 v22, -1, v21, s[14:15]
	v_cmp_lt_i16_e64 s[14:15], -1, v20
	v_cndmask_b32_e64 v21, -1, v21, s[14:15]
	v_xor_b32_e32 v16, v22, v16
	v_xor_b32_e32 v20, v21, v20
	v_cmp_le_u16_e64 s[14:15], v16, v20
	s_and_b64 s[26:27], s[14:15], exec
; %bb.90:
	s_or_b64 exec, exec, s[16:17]
	s_orn2_b64 s[16:17], s[26:27], exec
.LBB1759_91:
	s_or_b64 exec, exec, s[24:25]
	v_cndmask_b32_e64 v16, v11, v10, s[16:17]
	v_cndmask_b32_e64 v22, v27, v26, s[16:17]
	v_lshlrev_b64 v[20:21], 3, v[16:17]
	v_add_u32_e32 v23, 1, v16
	v_add_u32_e32 v16, -1, v22
	v_min_u32_e32 v16, v23, v16
	v_lshlrev_b64 v[16:17], 1, v[16:17]
	v_add_co_u32_e64 v16, s[14:15], v6, v16
	v_addc_co_u32_e64 v17, s[14:15], v7, v17, s[14:15]
	flat_load_ushort v22, v[16:17]
	v_add_co_u32_e64 v16, s[14:15], v4, v20
	v_addc_co_u32_e64 v17, s[14:15], v5, v21, s[14:15]
	flat_load_dwordx2 v[20:21], v[16:17] offset:2048
	v_cndmask_b32_e64 v24, v23, v11, s[16:17]
	s_mov_b64 s[24:25], -1
	v_cndmask_b32_e64 v25, v10, v23, s[16:17]
	v_cmp_lt_u32_e64 s[14:15], v24, v27
	s_mov_b64 s[26:27], -1
	s_waitcnt vmcnt(0) lgkmcnt(0)
	v_cndmask_b32_e64 v16, v22, v14, s[16:17]
	v_cndmask_b32_e64 v17, v29, v22, s[16:17]
	s_and_saveexec_b64 s[28:29], s[14:15]
	s_cbranch_execz .LBB1759_95
; %bb.92:
	v_cmp_lt_u32_e64 s[14:15], v25, v26
	s_mov_b64 s[30:31], 0
	s_and_saveexec_b64 s[26:27], s[14:15]
; %bb.93:
	v_add_f16_e32 v10, 0, v16
	v_add_f16_e32 v11, 0, v17
	v_mov_b32_e32 v22, 0xffff8000
	v_cmp_lt_i16_e64 s[14:15], -1, v10
	v_cndmask_b32_e64 v23, -1, v22, s[14:15]
	v_cmp_lt_i16_e64 s[14:15], -1, v11
	v_cndmask_b32_e64 v22, -1, v22, s[14:15]
	v_xor_b32_e32 v10, v23, v10
	v_xor_b32_e32 v11, v22, v11
	v_cmp_le_u16_e64 s[14:15], v10, v11
	s_and_b64 s[30:31], s[14:15], exec
; %bb.94:
	s_or_b64 exec, exec, s[26:27]
	s_orn2_b64 s[26:27], s[30:31], exec
.LBB1759_95:
	s_or_b64 exec, exec, s[28:29]
	v_cndmask_b32_e64 v10, v24, v25, s[26:27]
	v_cndmask_b32_e64 v30, v27, v26, s[26:27]
	v_mov_b32_e32 v11, 0
	v_lshlrev_b64 v[22:23], 3, v[10:11]
	v_add_u32_e32 v32, 1, v10
	v_add_u32_e32 v10, -1, v30
	v_min_u32_e32 v10, v32, v10
	v_lshlrev_b64 v[30:31], 1, v[10:11]
	v_add_co_u32_e64 v6, s[14:15], v6, v30
	v_addc_co_u32_e64 v7, s[14:15], v7, v31, s[14:15]
	flat_load_ushort v30, v[6:7]
	v_add_co_u32_e64 v6, s[14:15], v4, v22
	v_addc_co_u32_e64 v7, s[14:15], v5, v23, s[14:15]
	flat_load_dwordx2 v[22:23], v[6:7] offset:2048
	v_cndmask_b32_e64 v10, v32, v24, s[26:27]
	v_cndmask_b32_e64 v24, v25, v32, s[26:27]
	v_cmp_lt_u32_e64 s[14:15], v10, v27
	s_waitcnt vmcnt(0) lgkmcnt(0)
	v_cndmask_b32_e64 v6, v30, v16, s[26:27]
	v_cndmask_b32_e64 v7, v17, v30, s[26:27]
	s_and_saveexec_b64 s[28:29], s[14:15]
	s_cbranch_execz .LBB1759_99
; %bb.96:
	v_cmp_lt_u32_e64 s[14:15], v24, v26
	s_mov_b64 s[30:31], 0
	s_and_saveexec_b64 s[24:25], s[14:15]
; %bb.97:
	v_add_f16_e32 v25, 0, v6
	v_add_f16_e32 v26, 0, v7
	v_mov_b32_e32 v27, 0xffff8000
	v_cmp_lt_i16_e64 s[14:15], -1, v25
	v_cndmask_b32_e64 v30, -1, v27, s[14:15]
	v_cmp_lt_i16_e64 s[14:15], -1, v26
	v_cndmask_b32_e64 v27, -1, v27, s[14:15]
	v_xor_b32_e32 v25, v30, v25
	v_xor_b32_e32 v26, v27, v26
	v_cmp_le_u16_e64 s[14:15], v25, v26
	s_and_b64 s[30:31], s[14:15], exec
; %bb.98:
	s_or_b64 exec, exec, s[24:25]
	s_orn2_b64 s[24:25], s[30:31], exec
.LBB1759_99:
	s_or_b64 exec, exec, s[28:29]
	v_cndmask_b32_e64 v10, v10, v24, s[24:25]
	v_lshlrev_b64 v[10:11], 3, v[10:11]
	v_add_co_u32_e64 v4, s[14:15], v4, v10
	v_addc_co_u32_e64 v5, s[14:15], v5, v11, s[14:15]
	flat_load_dwordx2 v[24:25], v[4:5] offset:2048
	v_cndmask_b32_e64 v51, v16, v17, s[26:27]
	v_cndmask_b32_e64 v49, v14, v29, s[16:17]
	;; [unrolled: 1-line block ×4, first 2 shown]
.LBB1759_100:
	s_or_b64 exec, exec, s[20:21]
	v_add_co_u32_e64 v2, s[14:15], v2, v12
	v_addc_co_u32_e64 v3, s[14:15], v3, v13, s[14:15]
	v_add_co_u32_e64 v2, s[14:15], v2, v37
	v_addc_co_u32_e64 v3, s[14:15], 0, v3, s[14:15]
	; wave barrier
	s_waitcnt lgkmcnt(0)
	s_barrier
	s_waitcnt lgkmcnt(0)
	; wave barrier
	s_and_saveexec_b64 s[14:15], vcc
	s_cbranch_execnz .LBB1759_218
; %bb.101:
	s_or_b64 exec, exec, s[14:15]
	s_and_saveexec_b64 s[14:15], s[4:5]
	s_cbranch_execnz .LBB1759_219
.LBB1759_102:
	s_or_b64 exec, exec, s[14:15]
	s_and_saveexec_b64 s[14:15], s[6:7]
	s_cbranch_execnz .LBB1759_220
.LBB1759_103:
	s_or_b64 exec, exec, s[14:15]
	s_and_saveexec_b64 s[14:15], s[10:11]
	s_cbranch_execz .LBB1759_105
.LBB1759_104:
	flat_store_short v[2:3], v48 offset:6
.LBB1759_105:
	s_or_b64 exec, exec, s[14:15]
	v_add_co_u32_e64 v0, s[14:15], v8, v0
	v_addc_co_u32_e64 v1, s[14:15], v9, v1, s[14:15]
	v_add_co_u32_e64 v0, s[14:15], v0, v39
	v_addc_co_u32_e64 v1, s[14:15], 0, v1, s[14:15]
	; wave barrier
	s_and_saveexec_b64 s[14:15], vcc
	s_cbranch_execnz .LBB1759_221
; %bb.106:
	s_or_b64 exec, exec, s[14:15]
	s_and_saveexec_b64 s[14:15], s[4:5]
	s_cbranch_execnz .LBB1759_222
.LBB1759_107:
	s_or_b64 exec, exec, s[14:15]
	s_and_saveexec_b64 s[4:5], s[6:7]
	s_cbranch_execz .LBB1759_109
.LBB1759_108:
	flat_store_dwordx2 v[0:1], v[22:23] offset:16
.LBB1759_109:
	s_or_b64 exec, exec, s[4:5]
	s_and_b64 s[16:17], s[10:11], exec
                                        ; implicit-def: $vgpr14
                                        ; implicit-def: $vgpr38
                                        ; implicit-def: $vgpr0_vgpr1
                                        ; implicit-def: $vgpr4
                                        ; implicit-def: $vgpr5
                                        ; implicit-def: $vgpr6
                                        ; implicit-def: $vgpr7
                                        ; implicit-def: $vgpr10
                                        ; implicit-def: $vgpr15
                                        ; implicit-def: $vgpr16
                                        ; implicit-def: $vgpr12_vgpr13
                                        ; implicit-def: $vgpr37
                                        ; implicit-def: $vgpr31
	s_andn2_saveexec_b64 s[18:19], s[18:19]
	s_cbranch_execz .LBB1759_2
.LBB1759_110:
	v_mov_b32_e32 v49, 0xffff
	v_mov_b32_e32 v50, 0xffff
	s_and_saveexec_b64 s[4:5], vcc
	s_cbranch_execz .LBB1759_112
; %bb.111:
	flat_load_ushort v50, v[0:1]
.LBB1759_112:
	s_or_b64 exec, exec, s[4:5]
	v_or_b32_e32 v2, 1, v36
	v_cmp_lt_u32_e64 s[4:5], v2, v14
	s_and_saveexec_b64 s[6:7], s[4:5]
	s_cbranch_execz .LBB1759_114
; %bb.113:
	flat_load_ushort v49, v[0:1] offset:2
.LBB1759_114:
	s_or_b64 exec, exec, s[6:7]
	v_or_b32_e32 v2, 2, v36
	v_cmp_lt_u32_e64 s[6:7], v2, v14
	v_mov_b32_e32 v48, 0xffff
	v_mov_b32_e32 v51, 0xffff
	s_and_saveexec_b64 s[10:11], s[6:7]
	s_cbranch_execz .LBB1759_116
; %bb.115:
	flat_load_ushort v51, v[0:1] offset:4
.LBB1759_116:
	s_or_b64 exec, exec, s[10:11]
	v_or_b32_e32 v2, 3, v36
	v_cmp_lt_u32_e64 s[10:11], v2, v14
	s_and_saveexec_b64 s[14:15], s[10:11]
	s_cbranch_execz .LBB1759_118
; %bb.117:
	flat_load_ushort v48, v[0:1] offset:6
.LBB1759_118:
	s_or_b64 exec, exec, s[14:15]
	v_lshlrev_b64 v[0:1], 3, v[34:35]
	v_add_co_u32_e64 v2, s[14:15], v6, v0
	v_addc_co_u32_e64 v3, s[14:15], v7, v1, s[14:15]
	v_lshlrev_b32_e32 v39, 3, v36
	v_add_co_u32_e64 v2, s[14:15], v2, v39
	v_addc_co_u32_e64 v3, s[14:15], 0, v3, s[14:15]
	; wave barrier
                                        ; implicit-def: $vgpr18_vgpr19_vgpr20_vgpr21_vgpr22_vgpr23_vgpr24_vgpr25
	s_and_saveexec_b64 s[14:15], vcc
	s_cbranch_execnz .LBB1759_223
; %bb.119:
	s_or_b64 exec, exec, s[14:15]
	s_and_saveexec_b64 s[14:15], s[4:5]
	s_cbranch_execnz .LBB1759_224
.LBB1759_120:
	s_or_b64 exec, exec, s[14:15]
	s_and_saveexec_b64 s[14:15], s[6:7]
	s_cbranch_execnz .LBB1759_225
.LBB1759_121:
	s_or_b64 exec, exec, s[14:15]
	s_and_saveexec_b64 s[14:15], s[10:11]
	s_cbranch_execz .LBB1759_123
.LBB1759_122:
	s_waitcnt vmcnt(0)
	flat_load_dwordx2 v[24:25], v[2:3] offset:24
.LBB1759_123:
	s_or_b64 exec, exec, s[14:15]
	; wave barrier
	s_load_dwordx2 s[14:15], s[8:9], 0x0
	v_mov_b32_e32 v2, 0
	v_bfe_u32 v7, v31, 20, 10
	v_and_b32_e32 v8, 0x3ff, v31
	s_waitcnt lgkmcnt(0)
	s_cmp_lt_u32 s12, s14
	s_cselect_b32 s14, 12, 18
	s_cmp_lt_u32 s13, s15
	s_cselect_b32 s12, 14, 20
	s_add_u32 s12, s8, s12
	s_addc_u32 s13, s9, 0
	s_add_u32 s8, s8, s14
	s_addc_u32 s9, s9, 0
	global_load_ushort v3, v2, s[12:13]
	global_load_ushort v6, v2, s[8:9]
	v_bfe_u32 v2, v31, 10, 10
	s_movk_i32 s8, 0x400
	s_waitcnt vmcnt(0)
	v_mad_u32_u24 v2, v7, v3, v2
	v_mul_lo_u32 v2, v2, v6
	v_add_lshl_u32 v2, v2, v8, 2
	v_cmp_gt_u32_e64 s[8:9], s8, v2
	s_and_saveexec_b64 s[14:15], s[8:9]
	s_cbranch_execz .LBB1759_133
; %bb.124:
	v_add_f16_e32 v3, 0, v49
	v_add_f16_e32 v7, 0, v50
	v_mov_b32_e32 v6, 0xffff8000
	v_cmp_lt_i16_e64 s[8:9], -1, v3
	v_cndmask_b32_e64 v8, -1, v6, s[8:9]
	v_cmp_lt_i16_e64 s[8:9], -1, v7
	v_xor_b32_e32 v3, v8, v3
	v_cndmask_b32_e64 v8, -1, v6, s[8:9]
	v_xor_b32_e32 v7, v8, v7
	v_add_f16_e32 v8, 0, v48
	v_cmp_gt_u16_e64 s[8:9], v3, v7
	v_add_f16_e32 v7, 0, v51
	v_cmp_lt_i16_e64 s[12:13], -1, v8
	v_cndmask_b32_e64 v3, -1, v6, s[12:13]
	v_cmp_lt_i16_e64 s[12:13], -1, v7
	v_xor_b32_e32 v14, v3, v8
	v_cndmask_b32_e64 v3, -1, v6, s[12:13]
	v_xor_b32_e32 v9, v3, v7
	v_cndmask_b32_e64 v29, v21, v19, s[8:9]
	v_cndmask_b32_e64 v28, v20, v18, s[8:9]
	;; [unrolled: 1-line block ×4, first 2 shown]
	v_cmp_gt_u16_e64 s[12:13], v14, v9
	v_mov_b32_e32 v3, v51
	v_pk_mov_b32 v[30:31], v[22:23], v[22:23] op_sel:[0,1]
	v_pk_mov_b32 v[32:33], v[24:25], v[24:25] op_sel:[0,1]
	s_and_saveexec_b64 s[20:21], s[12:13]
; %bb.125:
	v_mov_b32_e32 v7, v8
	v_mov_b32_e32 v9, v14
	;; [unrolled: 1-line block ×4, first 2 shown]
	v_pk_mov_b32 v[30:31], v[24:25], v[24:25] op_sel:[0,1]
	v_pk_mov_b32 v[32:33], v[22:23], v[22:23] op_sel:[0,1]
; %bb.126:
	s_or_b64 exec, exec, s[20:21]
	v_cndmask_b32_e64 v8, v49, v50, s[8:9]
	v_add_f16_e32 v14, 0, v8
	v_cmp_lt_i16_e64 s[12:13], -1, v14
	v_cndmask_b32_e64 v6, -1, v6, s[12:13]
	v_xor_b32_e32 v6, v6, v14
	v_cmp_gt_u16_e64 s[12:13], v9, v6
	v_mov_b32_e32 v9, v7
	v_mov_b32_e32 v6, v8
	s_and_saveexec_b64 s[20:21], s[12:13]
	s_xor_b64 s[12:13], exec, s[20:21]
	s_cbranch_execz .LBB1759_128
; %bb.127:
	v_pk_mov_b32 v[18:19], v[26:27], v[26:27] op_sel:[0,1]
	v_pk_mov_b32 v[24:25], v[32:33], v[32:33] op_sel:[0,1]
	;; [unrolled: 1-line block ×4, first 2 shown]
	v_mov_b32_e32 v24, v32
	v_mov_b32_e32 v25, v33
	;; [unrolled: 1-line block ×6, first 2 shown]
	v_pk_mov_b32 v[32:33], v[24:25], v[24:25] op_sel:[0,1]
	v_pk_mov_b32 v[30:31], v[22:23], v[22:23] op_sel:[0,1]
	v_pk_mov_b32 v[28:29], v[20:21], v[20:21] op_sel:[0,1]
	v_pk_mov_b32 v[26:27], v[18:19], v[18:19] op_sel:[0,1]
	v_mov_b32_e32 v9, v14
	v_mov_b32_e32 v6, v3
	;; [unrolled: 1-line block ×4, first 2 shown]
.LBB1759_128:
	s_or_b64 exec, exec, s[12:13]
	v_cndmask_b32_e64 v7, v50, v49, s[8:9]
	v_add_f16_e32 v17, 0, v7
	v_mov_b32_e32 v8, 0xffff8000
	v_cmp_lt_i16_e64 s[8:9], -1, v14
	v_cndmask_b32_e64 v18, -1, v8, s[8:9]
	v_cmp_lt_i16_e64 s[8:9], -1, v17
	v_xor_b32_e32 v14, v18, v14
	v_cndmask_b32_e64 v18, -1, v8, s[8:9]
	v_xor_b32_e32 v17, v18, v17
	v_cmp_gt_u16_e64 s[8:9], v14, v17
	v_add_f16_e32 v14, 0, v48
	v_cmp_lt_i16_e64 s[12:13], -1, v14
	v_cndmask_b32_e64 v17, -1, v8, s[12:13]
	v_cmp_lt_i16_e64 s[12:13], -1, v9
	v_xor_b32_e32 v17, v17, v14
	v_cndmask_b32_e64 v14, -1, v8, s[12:13]
	v_xor_b32_e32 v14, v14, v9
	v_cndmask_b32_e64 v21, v29, v27, s[8:9]
	v_cndmask_b32_e64 v20, v28, v26, s[8:9]
	;; [unrolled: 1-line block ×4, first 2 shown]
	v_mov_b32_e32 v22, v30
	v_mov_b32_e32 v23, v31
	;; [unrolled: 1-line block ×4, first 2 shown]
	v_cmp_gt_u16_e64 s[12:13], v17, v14
	v_mov_b32_e32 v9, v3
	s_and_saveexec_b64 s[20:21], s[12:13]
	s_cbranch_execz .LBB1759_130
; %bb.129:
	v_mov_b32_e32 v26, v18
	v_mov_b32_e32 v27, v19
	;; [unrolled: 1-line block ×8, first 2 shown]
	v_pk_mov_b32 v[18:19], v[26:27], v[26:27] op_sel:[0,1]
	v_mov_b32_e32 v14, v17
	v_mov_b32_e32 v9, v48
	;; [unrolled: 1-line block ×3, first 2 shown]
	v_pk_mov_b32 v[20:21], v[28:29], v[28:29] op_sel:[0,1]
	v_pk_mov_b32 v[22:23], v[30:31], v[30:31] op_sel:[0,1]
	;; [unrolled: 1-line block ×3, first 2 shown]
.LBB1759_130:
	s_or_b64 exec, exec, s[20:21]
	v_cndmask_b32_e64 v49, v6, v7, s[8:9]
	v_add_f16_e32 v3, 0, v49
	v_cmp_lt_i16_e64 s[12:13], -1, v3
	v_cndmask_b32_e64 v8, -1, v8, s[12:13]
	v_xor_b32_e32 v3, v8, v3
	v_cmp_gt_u16_e64 s[12:13], v14, v3
	v_mov_b32_e32 v51, v9
	s_and_saveexec_b64 s[20:21], s[12:13]
	s_cbranch_execz .LBB1759_132
; %bb.131:
	v_mov_b32_e32 v26, v18
	v_mov_b32_e32 v27, v19
	;; [unrolled: 1-line block ×8, first 2 shown]
	v_pk_mov_b32 v[18:19], v[26:27], v[26:27] op_sel:[0,1]
	v_pk_mov_b32 v[20:21], v[28:29], v[28:29] op_sel:[0,1]
	;; [unrolled: 1-line block ×4, first 2 shown]
	v_mov_b32_e32 v51, v49
	v_mov_b32_e32 v49, v9
.LBB1759_132:
	s_or_b64 exec, exec, s[20:21]
	v_cndmask_b32_e64 v50, v7, v6, s[8:9]
.LBB1759_133:
	s_or_b64 exec, exec, s[14:15]
	v_and_b32_e32 v26, 0xffffff00, v2
	v_mov_b32_e32 v27, 0
	s_movk_i32 s8, 0x400
	v_lshlrev_b64 v[2:3], 1, v[26:27]
	v_sub_u32_e64 v30, s8, v26 clamp
	v_add_co_u32_e64 v6, s[8:9], v15, v2
	v_addc_co_u32_e64 v7, s[8:9], v16, v3, s[8:9]
	v_mad_u64_u32 v[2:3], s[8:9], v26, 6, v[6:7]
	v_lshlrev_b32_e32 v8, 1, v38
	v_add_co_u32_e64 v8, s[8:9], v6, v8
	v_addc_co_u32_e64 v9, s[8:9], 0, v7, s[8:9]
	v_lshlrev_b32_e32 v14, 3, v38
	v_add_co_u32_e64 v16, s[8:9], v2, v14
	v_addc_co_u32_e64 v17, s[8:9], 0, v3, s[8:9]
	s_movk_i32 s8, 0x800
	v_add_co_u32_e64 v14, s[8:9], s8, v16
	v_addc_co_u32_e64 v15, s[8:9], 0, v17, s[8:9]
	v_or_b32_e32 v26, 4, v38
	s_mov_b32 s8, 0x5040100
	v_min_u32_e32 v31, v30, v26
	v_perm_b32 v29, v48, v51, s8
	v_perm_b32 v28, v49, v50, s8
	v_add_u32_e32 v26, 4, v31
	flat_store_dwordx4 v[16:17], v[18:21] offset:2048
	flat_store_dwordx2 v[8:9], v[28:29]
	flat_store_dwordx4 v[16:17], v[22:25] offset:2064
	v_and_b32_e32 v28, 0x1f8, v38
	v_min_u32_e32 v32, v30, v26
	v_and_b32_e32 v26, 4, v38
	v_min_u32_e32 v29, v30, v26
	v_sub_u32_e32 v26, v31, v28
	v_sub_u32_e32 v33, v32, v31
	v_sub_u32_e64 v33, v29, v33 clamp
	v_min_u32_e32 v52, v29, v26
	v_cmp_lt_u32_e64 s[8:9], v33, v52
	; wave barrier
	s_and_saveexec_b64 s[12:13], s[8:9]
	s_cbranch_execz .LBB1759_137
; %bb.134:
	v_lshlrev_b32_e32 v26, 1, v28
	v_add_co_u32_e64 v53, s[8:9], v6, v26
	v_addc_co_u32_e64 v54, s[8:9], 0, v7, s[8:9]
	v_lshlrev_b32_e32 v26, 1, v31
	v_add_co_u32_e64 v55, s[8:9], v6, v26
	v_addc_co_u32_e64 v64, s[8:9], 0, v7, s[8:9]
	s_mov_b64 s[14:15], 0
	v_mov_b32_e32 v65, 0xffff8000
.LBB1759_135:                           ; =>This Inner Loop Header: Depth=1
	v_add_u32_e32 v26, v52, v33
	v_and_b32_e32 v66, -2, v26
	v_lshrrev_b32_e32 v68, 1, v26
	v_add_co_u32_e64 v66, s[8:9], v53, v66
	v_xad_u32 v26, v68, -1, v29
	v_addc_co_u32_e64 v67, s[8:9], 0, v54, s[8:9]
	flat_load_ushort v69, v[66:67]
	v_lshlrev_b64 v[66:67], 1, v[26:27]
	v_add_co_u32_e64 v66, s[8:9], v55, v66
	v_addc_co_u32_e64 v67, s[8:9], v64, v67, s[8:9]
	flat_load_ushort v26, v[66:67]
	v_add_u32_e32 v66, 1, v68
	s_waitcnt vmcnt(0) lgkmcnt(0)
	v_add_f16_e32 v67, 0, v69
	v_cmp_lt_i16_e64 s[8:9], -1, v67
	v_cndmask_b32_e64 v69, -1, v65, s[8:9]
	v_xor_b32_e32 v67, v69, v67
	v_add_f16_e32 v26, 0, v26
	v_cmp_lt_i16_e64 s[8:9], -1, v26
	v_cndmask_b32_e64 v69, -1, v65, s[8:9]
	v_xor_b32_e32 v26, v69, v26
	v_cmp_gt_u16_e64 s[8:9], v26, v67
	v_cndmask_b32_e64 v52, v52, v68, s[8:9]
	v_cndmask_b32_e64 v33, v66, v33, s[8:9]
	v_cmp_ge_u32_e64 s[8:9], v33, v52
	s_or_b64 s[14:15], s[8:9], s[14:15]
	s_andn2_b64 exec, exec, s[14:15]
	s_cbranch_execnz .LBB1759_135
; %bb.136:
	s_or_b64 exec, exec, s[14:15]
.LBB1759_137:
	s_or_b64 exec, exec, s[12:13]
	v_add_u32_e32 v27, v31, v29
	v_add_u32_e32 v26, v33, v28
	v_sub_u32_e32 v28, v27, v33
	v_cmp_le_u32_e64 s[8:9], v26, v31
	v_cmp_le_u32_e64 s[12:13], v28, v32
	s_or_b64 s[8:9], s[8:9], s[12:13]
	s_and_saveexec_b64 s[14:15], s[8:9]
	s_cbranch_execz .LBB1759_157
; %bb.138:
	v_cmp_ge_u32_e64 s[8:9], v26, v31
	v_cmp_lt_u32_e64 s[12:13], v26, v31
                                        ; implicit-def: $vgpr27
	s_and_saveexec_b64 s[20:21], s[12:13]
	s_cbranch_execz .LBB1759_140
; %bb.139:
	v_mov_b32_e32 v27, 0
	v_lshlrev_b64 v[18:19], 1, v[26:27]
	v_add_co_u32_e64 v18, s[12:13], v6, v18
	v_addc_co_u32_e64 v19, s[12:13], v7, v19, s[12:13]
	flat_load_ushort v27, v[18:19]
.LBB1759_140:
	s_or_b64 exec, exec, s[20:21]
	v_cmp_ge_u32_e64 s[20:21], v28, v32
	v_cmp_lt_u32_e64 s[12:13], v28, v32
                                        ; implicit-def: $vgpr29
	s_and_saveexec_b64 s[22:23], s[12:13]
	s_cbranch_execz .LBB1759_142
; %bb.141:
	v_mov_b32_e32 v29, 0
	v_lshlrev_b64 v[18:19], 1, v[28:29]
	v_add_co_u32_e64 v18, s[12:13], v6, v18
	v_addc_co_u32_e64 v19, s[12:13], v7, v19, s[12:13]
	flat_load_ushort v29, v[18:19]
.LBB1759_142:
	s_or_b64 exec, exec, s[22:23]
	s_or_b64 s[8:9], s[8:9], s[20:21]
	s_mov_b64 s[12:13], -1
	s_xor_b64 s[8:9], s[8:9], -1
	s_and_saveexec_b64 s[22:23], s[8:9]
	s_cbranch_execz .LBB1759_144
; %bb.143:
	s_waitcnt vmcnt(0) lgkmcnt(0)
	v_add_f16_e32 v18, 0, v29
	v_add_f16_e32 v19, 0, v27
	v_mov_b32_e32 v20, 0xffff8000
	v_cmp_lt_i16_e64 s[8:9], -1, v18
	v_cndmask_b32_e64 v21, -1, v20, s[8:9]
	v_cmp_lt_i16_e64 s[8:9], -1, v19
	v_cndmask_b32_e64 v20, -1, v20, s[8:9]
	v_xor_b32_e32 v18, v21, v18
	v_xor_b32_e32 v19, v20, v19
	v_cmp_le_u16_e64 s[8:9], v18, v19
	s_andn2_b64 s[20:21], s[20:21], exec
	s_and_b64 s[8:9], s[8:9], exec
	s_or_b64 s[20:21], s[20:21], s[8:9]
.LBB1759_144:
	s_or_b64 exec, exec, s[22:23]
	v_cndmask_b32_e64 v20, v28, v26, s[20:21]
	v_cndmask_b32_e64 v22, v32, v31, s[20:21]
	v_mov_b32_e32 v21, 0
	v_lshlrev_b64 v[18:19], 3, v[20:21]
	v_add_u32_e32 v24, 1, v20
	v_add_u32_e32 v20, -1, v22
	v_min_u32_e32 v20, v24, v20
	v_lshlrev_b64 v[22:23], 1, v[20:21]
	v_add_co_u32_e64 v22, s[8:9], v6, v22
	v_addc_co_u32_e64 v23, s[8:9], v7, v23, s[8:9]
	v_add_co_u32_e64 v18, s[8:9], v2, v18
	flat_load_ushort v20, v[22:23]
	v_addc_co_u32_e64 v19, s[8:9], v3, v19, s[8:9]
	flat_load_dwordx2 v[18:19], v[18:19] offset:2048
	v_cndmask_b32_e64 v22, v24, v28, s[20:21]
	v_cndmask_b32_e64 v23, v26, v24, s[20:21]
	v_cmp_lt_u32_e64 s[8:9], v22, v32
	s_waitcnt vmcnt(0) lgkmcnt(0)
	v_cndmask_b32_e64 v26, v20, v29, s[20:21]
	v_cndmask_b32_e64 v28, v27, v20, s[20:21]
	s_and_saveexec_b64 s[22:23], s[8:9]
	s_cbranch_execz .LBB1759_148
; %bb.145:
	v_cmp_lt_u32_e64 s[8:9], v23, v31
	s_mov_b64 s[24:25], 0
	s_and_saveexec_b64 s[12:13], s[8:9]
; %bb.146:
	v_add_f16_e32 v20, 0, v26
	v_add_f16_e32 v24, 0, v28
	v_mov_b32_e32 v25, 0xffff8000
	v_cmp_lt_i16_e64 s[8:9], -1, v20
	v_cndmask_b32_e64 v33, -1, v25, s[8:9]
	v_cmp_lt_i16_e64 s[8:9], -1, v24
	v_cndmask_b32_e64 v25, -1, v25, s[8:9]
	v_xor_b32_e32 v20, v33, v20
	v_xor_b32_e32 v24, v25, v24
	v_cmp_le_u16_e64 s[8:9], v20, v24
	s_and_b64 s[24:25], s[8:9], exec
; %bb.147:
	s_or_b64 exec, exec, s[12:13]
	s_orn2_b64 s[12:13], s[24:25], exec
.LBB1759_148:
	s_or_b64 exec, exec, s[22:23]
	v_cndmask_b32_e64 v20, v22, v23, s[12:13]
	v_cndmask_b32_e64 v33, v32, v31, s[12:13]
	v_lshlrev_b64 v[24:25], 3, v[20:21]
	v_add_u32_e32 v48, 1, v20
	v_add_u32_e32 v20, -1, v33
	v_min_u32_e32 v20, v48, v20
	v_lshlrev_b64 v[20:21], 1, v[20:21]
	v_add_co_u32_e64 v20, s[8:9], v6, v20
	v_addc_co_u32_e64 v21, s[8:9], v7, v21, s[8:9]
	flat_load_ushort v51, v[20:21]
	v_add_co_u32_e64 v20, s[8:9], v2, v24
	v_addc_co_u32_e64 v21, s[8:9], v3, v25, s[8:9]
	flat_load_dwordx2 v[20:21], v[20:21] offset:2048
	v_cndmask_b32_e64 v49, v48, v22, s[12:13]
	s_mov_b64 s[22:23], -1
	v_cndmask_b32_e64 v50, v23, v48, s[12:13]
	v_cmp_lt_u32_e64 s[8:9], v49, v32
	s_mov_b64 s[24:25], -1
	s_waitcnt vmcnt(0) lgkmcnt(0)
	v_cndmask_b32_e64 v33, v51, v26, s[12:13]
	v_cndmask_b32_e64 v48, v28, v51, s[12:13]
	s_and_saveexec_b64 s[26:27], s[8:9]
	s_cbranch_execz .LBB1759_152
; %bb.149:
	v_cmp_lt_u32_e64 s[8:9], v50, v31
	s_mov_b64 s[28:29], 0
	s_and_saveexec_b64 s[24:25], s[8:9]
; %bb.150:
	v_add_f16_e32 v22, 0, v33
	v_add_f16_e32 v23, 0, v48
	v_mov_b32_e32 v24, 0xffff8000
	v_cmp_lt_i16_e64 s[8:9], -1, v22
	v_cndmask_b32_e64 v25, -1, v24, s[8:9]
	v_cmp_lt_i16_e64 s[8:9], -1, v23
	v_cndmask_b32_e64 v24, -1, v24, s[8:9]
	v_xor_b32_e32 v22, v25, v22
	v_xor_b32_e32 v23, v24, v23
	v_cmp_le_u16_e64 s[8:9], v22, v23
	s_and_b64 s[28:29], s[8:9], exec
; %bb.151:
	s_or_b64 exec, exec, s[24:25]
	s_orn2_b64 s[24:25], s[28:29], exec
.LBB1759_152:
	s_or_b64 exec, exec, s[26:27]
	v_cndmask_b32_e64 v24, v49, v50, s[24:25]
	v_cndmask_b32_e64 v51, v32, v31, s[24:25]
	v_mov_b32_e32 v25, 0
	v_lshlrev_b64 v[22:23], 3, v[24:25]
	v_add_u32_e32 v54, 1, v24
	v_add_u32_e32 v24, -1, v51
	v_min_u32_e32 v24, v54, v24
	v_lshlrev_b64 v[52:53], 1, v[24:25]
	v_add_co_u32_e64 v52, s[8:9], v6, v52
	v_addc_co_u32_e64 v53, s[8:9], v7, v53, s[8:9]
	v_add_co_u32_e64 v22, s[8:9], v2, v22
	flat_load_ushort v51, v[52:53]
	v_addc_co_u32_e64 v23, s[8:9], v3, v23, s[8:9]
	flat_load_dwordx2 v[22:23], v[22:23] offset:2048
	v_cndmask_b32_e64 v24, v54, v49, s[24:25]
	v_cndmask_b32_e64 v49, v50, v54, s[24:25]
	v_cmp_lt_u32_e64 s[8:9], v24, v32
	s_waitcnt vmcnt(0) lgkmcnt(0)
	v_cndmask_b32_e64 v52, v51, v33, s[24:25]
	v_cndmask_b32_e64 v53, v48, v51, s[24:25]
	s_and_saveexec_b64 s[26:27], s[8:9]
	s_cbranch_execz .LBB1759_156
; %bb.153:
	v_cmp_lt_u32_e64 s[8:9], v49, v31
	s_mov_b64 s[28:29], 0
	s_and_saveexec_b64 s[22:23], s[8:9]
; %bb.154:
	v_add_f16_e32 v31, 0, v52
	v_add_f16_e32 v32, 0, v53
	v_mov_b32_e32 v50, 0xffff8000
	v_cmp_lt_i16_e64 s[8:9], -1, v31
	v_cndmask_b32_e64 v51, -1, v50, s[8:9]
	v_cmp_lt_i16_e64 s[8:9], -1, v32
	v_cndmask_b32_e64 v50, -1, v50, s[8:9]
	v_xor_b32_e32 v31, v51, v31
	v_xor_b32_e32 v32, v50, v32
	v_cmp_le_u16_e64 s[8:9], v31, v32
	s_and_b64 s[28:29], s[8:9], exec
; %bb.155:
	s_or_b64 exec, exec, s[22:23]
	s_orn2_b64 s[22:23], s[28:29], exec
.LBB1759_156:
	s_or_b64 exec, exec, s[26:27]
	v_cndmask_b32_e64 v24, v24, v49, s[22:23]
	v_lshlrev_b64 v[24:25], 3, v[24:25]
	v_add_co_u32_e64 v24, s[8:9], v2, v24
	v_addc_co_u32_e64 v25, s[8:9], v3, v25, s[8:9]
	flat_load_dwordx2 v[24:25], v[24:25] offset:2048
	v_cndmask_b32_e64 v51, v33, v48, s[24:25]
	v_cndmask_b32_e64 v49, v26, v28, s[12:13]
	;; [unrolled: 1-line block ×4, first 2 shown]
.LBB1759_157:
	s_or_b64 exec, exec, s[14:15]
	s_mov_b32 s8, 0x5040100
	v_perm_b32 v27, v48, v51, s8
	v_perm_b32 v26, v49, v50, s8
	v_and_b32_e32 v28, 0x1f0, v38
	; wave barrier
	flat_store_dwordx4 v[16:17], v[18:21] offset:2048
	flat_store_dwordx2 v[8:9], v[26:27]
	s_waitcnt vmcnt(0) lgkmcnt(0)
	flat_store_dwordx4 v[14:15], v[22:25] offset:16
	v_or_b32_e32 v26, 8, v28
	v_min_u32_e32 v31, v30, v26
	v_add_u32_e32 v26, 8, v31
	v_min_u32_e32 v32, v30, v26
	v_and_b32_e32 v26, 12, v38
	v_min_u32_e32 v29, v30, v26
	v_sub_u32_e32 v26, v31, v28
	v_sub_u32_e32 v27, v32, v31
	v_sub_u32_e64 v33, v29, v27 clamp
	v_min_u32_e32 v52, v29, v26
	v_cmp_lt_u32_e64 s[8:9], v33, v52
	; wave barrier
	s_and_saveexec_b64 s[12:13], s[8:9]
	s_cbranch_execz .LBB1759_161
; %bb.158:
	v_lshlrev_b32_e32 v26, 1, v28
	v_add_co_u32_e64 v53, s[8:9], v6, v26
	v_addc_co_u32_e64 v54, s[8:9], 0, v7, s[8:9]
	v_lshlrev_b32_e32 v26, 1, v31
	v_add_co_u32_e64 v55, s[8:9], v6, v26
	v_addc_co_u32_e64 v64, s[8:9], 0, v7, s[8:9]
	s_mov_b64 s[14:15], 0
	v_mov_b32_e32 v65, 0xffff8000
	v_mov_b32_e32 v27, 0
.LBB1759_159:                           ; =>This Inner Loop Header: Depth=1
	v_add_u32_e32 v26, v52, v33
	v_and_b32_e32 v66, -2, v26
	v_lshrrev_b32_e32 v68, 1, v26
	v_add_co_u32_e64 v66, s[8:9], v53, v66
	v_xad_u32 v26, v68, -1, v29
	v_addc_co_u32_e64 v67, s[8:9], 0, v54, s[8:9]
	flat_load_ushort v69, v[66:67]
	v_lshlrev_b64 v[66:67], 1, v[26:27]
	v_add_co_u32_e64 v66, s[8:9], v55, v66
	v_addc_co_u32_e64 v67, s[8:9], v64, v67, s[8:9]
	flat_load_ushort v26, v[66:67]
	v_add_u32_e32 v66, 1, v68
	s_waitcnt vmcnt(0) lgkmcnt(0)
	v_add_f16_e32 v67, 0, v69
	v_cmp_lt_i16_e64 s[8:9], -1, v67
	v_cndmask_b32_e64 v69, -1, v65, s[8:9]
	v_xor_b32_e32 v67, v69, v67
	v_add_f16_e32 v26, 0, v26
	v_cmp_lt_i16_e64 s[8:9], -1, v26
	v_cndmask_b32_e64 v69, -1, v65, s[8:9]
	v_xor_b32_e32 v26, v69, v26
	v_cmp_gt_u16_e64 s[8:9], v26, v67
	v_cndmask_b32_e64 v52, v52, v68, s[8:9]
	v_cndmask_b32_e64 v33, v66, v33, s[8:9]
	v_cmp_ge_u32_e64 s[8:9], v33, v52
	s_or_b64 s[14:15], s[8:9], s[14:15]
	s_andn2_b64 exec, exec, s[14:15]
	s_cbranch_execnz .LBB1759_159
; %bb.160:
	s_or_b64 exec, exec, s[14:15]
.LBB1759_161:
	s_or_b64 exec, exec, s[12:13]
	v_add_u32_e32 v27, v31, v29
	v_add_u32_e32 v26, v33, v28
	v_sub_u32_e32 v28, v27, v33
	v_cmp_le_u32_e64 s[8:9], v26, v31
	v_cmp_le_u32_e64 s[12:13], v28, v32
	s_or_b64 s[8:9], s[8:9], s[12:13]
	s_and_saveexec_b64 s[14:15], s[8:9]
	s_cbranch_execz .LBB1759_181
; %bb.162:
	v_cmp_ge_u32_e64 s[8:9], v26, v31
	v_cmp_lt_u32_e64 s[12:13], v26, v31
                                        ; implicit-def: $vgpr27
	s_and_saveexec_b64 s[20:21], s[12:13]
	s_cbranch_execz .LBB1759_164
; %bb.163:
	v_mov_b32_e32 v27, 0
	v_lshlrev_b64 v[18:19], 1, v[26:27]
	v_add_co_u32_e64 v18, s[12:13], v6, v18
	v_addc_co_u32_e64 v19, s[12:13], v7, v19, s[12:13]
	flat_load_ushort v27, v[18:19]
.LBB1759_164:
	s_or_b64 exec, exec, s[20:21]
	v_cmp_ge_u32_e64 s[20:21], v28, v32
	v_cmp_lt_u32_e64 s[12:13], v28, v32
                                        ; implicit-def: $vgpr29
	s_and_saveexec_b64 s[22:23], s[12:13]
	s_cbranch_execz .LBB1759_166
; %bb.165:
	v_mov_b32_e32 v29, 0
	v_lshlrev_b64 v[18:19], 1, v[28:29]
	v_add_co_u32_e64 v18, s[12:13], v6, v18
	v_addc_co_u32_e64 v19, s[12:13], v7, v19, s[12:13]
	flat_load_ushort v29, v[18:19]
.LBB1759_166:
	s_or_b64 exec, exec, s[22:23]
	s_or_b64 s[8:9], s[8:9], s[20:21]
	s_mov_b64 s[12:13], -1
	s_xor_b64 s[8:9], s[8:9], -1
	s_and_saveexec_b64 s[22:23], s[8:9]
	s_cbranch_execz .LBB1759_168
; %bb.167:
	s_waitcnt vmcnt(0) lgkmcnt(0)
	v_add_f16_e32 v18, 0, v29
	v_add_f16_e32 v19, 0, v27
	v_mov_b32_e32 v20, 0xffff8000
	v_cmp_lt_i16_e64 s[8:9], -1, v18
	v_cndmask_b32_e64 v21, -1, v20, s[8:9]
	v_cmp_lt_i16_e64 s[8:9], -1, v19
	v_cndmask_b32_e64 v20, -1, v20, s[8:9]
	v_xor_b32_e32 v18, v21, v18
	v_xor_b32_e32 v19, v20, v19
	v_cmp_le_u16_e64 s[8:9], v18, v19
	s_andn2_b64 s[20:21], s[20:21], exec
	s_and_b64 s[8:9], s[8:9], exec
	s_or_b64 s[20:21], s[20:21], s[8:9]
.LBB1759_168:
	s_or_b64 exec, exec, s[22:23]
	v_cndmask_b32_e64 v20, v28, v26, s[20:21]
	v_cndmask_b32_e64 v22, v32, v31, s[20:21]
	v_mov_b32_e32 v21, 0
	v_lshlrev_b64 v[18:19], 3, v[20:21]
	v_add_u32_e32 v24, 1, v20
	v_add_u32_e32 v20, -1, v22
	v_min_u32_e32 v20, v24, v20
	v_lshlrev_b64 v[22:23], 1, v[20:21]
	v_add_co_u32_e64 v22, s[8:9], v6, v22
	v_addc_co_u32_e64 v23, s[8:9], v7, v23, s[8:9]
	v_add_co_u32_e64 v18, s[8:9], v2, v18
	flat_load_ushort v20, v[22:23]
	v_addc_co_u32_e64 v19, s[8:9], v3, v19, s[8:9]
	flat_load_dwordx2 v[18:19], v[18:19] offset:2048
	v_cndmask_b32_e64 v22, v24, v28, s[20:21]
	v_cndmask_b32_e64 v23, v26, v24, s[20:21]
	v_cmp_lt_u32_e64 s[8:9], v22, v32
	s_waitcnt vmcnt(0) lgkmcnt(0)
	v_cndmask_b32_e64 v26, v20, v29, s[20:21]
	v_cndmask_b32_e64 v28, v27, v20, s[20:21]
	s_and_saveexec_b64 s[22:23], s[8:9]
	s_cbranch_execz .LBB1759_172
; %bb.169:
	v_cmp_lt_u32_e64 s[8:9], v23, v31
	s_mov_b64 s[24:25], 0
	s_and_saveexec_b64 s[12:13], s[8:9]
; %bb.170:
	v_add_f16_e32 v20, 0, v26
	v_add_f16_e32 v24, 0, v28
	v_mov_b32_e32 v25, 0xffff8000
	v_cmp_lt_i16_e64 s[8:9], -1, v20
	v_cndmask_b32_e64 v33, -1, v25, s[8:9]
	v_cmp_lt_i16_e64 s[8:9], -1, v24
	v_cndmask_b32_e64 v25, -1, v25, s[8:9]
	v_xor_b32_e32 v20, v33, v20
	v_xor_b32_e32 v24, v25, v24
	v_cmp_le_u16_e64 s[8:9], v20, v24
	s_and_b64 s[24:25], s[8:9], exec
; %bb.171:
	s_or_b64 exec, exec, s[12:13]
	s_orn2_b64 s[12:13], s[24:25], exec
.LBB1759_172:
	s_or_b64 exec, exec, s[22:23]
	v_cndmask_b32_e64 v20, v22, v23, s[12:13]
	v_cndmask_b32_e64 v33, v32, v31, s[12:13]
	v_lshlrev_b64 v[24:25], 3, v[20:21]
	v_add_u32_e32 v48, 1, v20
	v_add_u32_e32 v20, -1, v33
	v_min_u32_e32 v20, v48, v20
	v_lshlrev_b64 v[20:21], 1, v[20:21]
	v_add_co_u32_e64 v20, s[8:9], v6, v20
	v_addc_co_u32_e64 v21, s[8:9], v7, v21, s[8:9]
	flat_load_ushort v51, v[20:21]
	v_add_co_u32_e64 v20, s[8:9], v2, v24
	v_addc_co_u32_e64 v21, s[8:9], v3, v25, s[8:9]
	flat_load_dwordx2 v[20:21], v[20:21] offset:2048
	v_cndmask_b32_e64 v49, v48, v22, s[12:13]
	s_mov_b64 s[22:23], -1
	v_cndmask_b32_e64 v50, v23, v48, s[12:13]
	v_cmp_lt_u32_e64 s[8:9], v49, v32
	s_mov_b64 s[24:25], -1
	s_waitcnt vmcnt(0) lgkmcnt(0)
	v_cndmask_b32_e64 v33, v51, v26, s[12:13]
	v_cndmask_b32_e64 v48, v28, v51, s[12:13]
	s_and_saveexec_b64 s[26:27], s[8:9]
	s_cbranch_execz .LBB1759_176
; %bb.173:
	v_cmp_lt_u32_e64 s[8:9], v50, v31
	s_mov_b64 s[28:29], 0
	s_and_saveexec_b64 s[24:25], s[8:9]
; %bb.174:
	v_add_f16_e32 v22, 0, v33
	v_add_f16_e32 v23, 0, v48
	v_mov_b32_e32 v24, 0xffff8000
	v_cmp_lt_i16_e64 s[8:9], -1, v22
	v_cndmask_b32_e64 v25, -1, v24, s[8:9]
	v_cmp_lt_i16_e64 s[8:9], -1, v23
	v_cndmask_b32_e64 v24, -1, v24, s[8:9]
	v_xor_b32_e32 v22, v25, v22
	v_xor_b32_e32 v23, v24, v23
	v_cmp_le_u16_e64 s[8:9], v22, v23
	s_and_b64 s[28:29], s[8:9], exec
; %bb.175:
	s_or_b64 exec, exec, s[24:25]
	s_orn2_b64 s[24:25], s[28:29], exec
.LBB1759_176:
	s_or_b64 exec, exec, s[26:27]
	v_cndmask_b32_e64 v24, v49, v50, s[24:25]
	v_cndmask_b32_e64 v51, v32, v31, s[24:25]
	v_mov_b32_e32 v25, 0
	v_lshlrev_b64 v[22:23], 3, v[24:25]
	v_add_u32_e32 v54, 1, v24
	v_add_u32_e32 v24, -1, v51
	v_min_u32_e32 v24, v54, v24
	v_lshlrev_b64 v[52:53], 1, v[24:25]
	v_add_co_u32_e64 v52, s[8:9], v6, v52
	v_addc_co_u32_e64 v53, s[8:9], v7, v53, s[8:9]
	v_add_co_u32_e64 v22, s[8:9], v2, v22
	flat_load_ushort v51, v[52:53]
	v_addc_co_u32_e64 v23, s[8:9], v3, v23, s[8:9]
	flat_load_dwordx2 v[22:23], v[22:23] offset:2048
	v_cndmask_b32_e64 v24, v54, v49, s[24:25]
	v_cndmask_b32_e64 v49, v50, v54, s[24:25]
	v_cmp_lt_u32_e64 s[8:9], v24, v32
	s_waitcnt vmcnt(0) lgkmcnt(0)
	v_cndmask_b32_e64 v52, v51, v33, s[24:25]
	v_cndmask_b32_e64 v53, v48, v51, s[24:25]
	s_and_saveexec_b64 s[26:27], s[8:9]
	s_cbranch_execz .LBB1759_180
; %bb.177:
	v_cmp_lt_u32_e64 s[8:9], v49, v31
	s_mov_b64 s[28:29], 0
	s_and_saveexec_b64 s[22:23], s[8:9]
; %bb.178:
	v_add_f16_e32 v31, 0, v52
	v_add_f16_e32 v32, 0, v53
	v_mov_b32_e32 v50, 0xffff8000
	v_cmp_lt_i16_e64 s[8:9], -1, v31
	v_cndmask_b32_e64 v51, -1, v50, s[8:9]
	v_cmp_lt_i16_e64 s[8:9], -1, v32
	v_cndmask_b32_e64 v50, -1, v50, s[8:9]
	v_xor_b32_e32 v31, v51, v31
	v_xor_b32_e32 v32, v50, v32
	v_cmp_le_u16_e64 s[8:9], v31, v32
	s_and_b64 s[28:29], s[8:9], exec
; %bb.179:
	s_or_b64 exec, exec, s[22:23]
	s_orn2_b64 s[22:23], s[28:29], exec
.LBB1759_180:
	s_or_b64 exec, exec, s[26:27]
	v_cndmask_b32_e64 v24, v24, v49, s[22:23]
	v_lshlrev_b64 v[24:25], 3, v[24:25]
	v_add_co_u32_e64 v24, s[8:9], v2, v24
	v_addc_co_u32_e64 v25, s[8:9], v3, v25, s[8:9]
	flat_load_dwordx2 v[24:25], v[24:25] offset:2048
	v_cndmask_b32_e64 v51, v33, v48, s[24:25]
	v_cndmask_b32_e64 v49, v26, v28, s[12:13]
	;; [unrolled: 1-line block ×4, first 2 shown]
.LBB1759_181:
	s_or_b64 exec, exec, s[14:15]
	s_mov_b32 s8, 0x5040100
	; wave barrier
	flat_store_dwordx4 v[16:17], v[18:21] offset:2048
	v_perm_b32 v17, v48, v51, s8
	v_perm_b32 v16, v49, v50, s8
	flat_store_dwordx2 v[8:9], v[16:17]
	s_waitcnt vmcnt(0) lgkmcnt(0)
	flat_store_dwordx4 v[14:15], v[22:25] offset:16
	v_and_b32_e32 v14, 0x1e0, v38
	v_or_b32_e32 v8, 16, v14
	v_min_u32_e32 v26, v30, v8
	v_add_u32_e32 v8, 16, v26
	v_min_u32_e32 v27, v30, v8
	v_min_u32_e32 v15, v30, v36
	v_sub_u32_e32 v8, v26, v14
	v_sub_u32_e32 v9, v27, v26
	v_sub_u32_e64 v16, v15, v9 clamp
	v_min_u32_e32 v17, v15, v8
	v_cmp_lt_u32_e64 s[8:9], v16, v17
	; wave barrier
	s_and_saveexec_b64 s[12:13], s[8:9]
	s_cbranch_execz .LBB1759_185
; %bb.182:
	v_lshlrev_b32_e32 v8, 1, v14
	v_add_co_u32_e64 v28, s[8:9], v6, v8
	v_addc_co_u32_e64 v29, s[8:9], 0, v7, s[8:9]
	v_lshlrev_b32_e32 v8, 1, v26
	v_add_co_u32_e64 v30, s[8:9], v6, v8
	v_addc_co_u32_e64 v31, s[8:9], 0, v7, s[8:9]
	s_mov_b64 s[14:15], 0
	v_mov_b32_e32 v32, 0xffff8000
	v_mov_b32_e32 v9, 0
.LBB1759_183:                           ; =>This Inner Loop Header: Depth=1
	v_add_u32_e32 v8, v17, v16
	v_and_b32_e32 v38, -2, v8
	v_lshrrev_b32_e32 v33, 1, v8
	v_add_co_u32_e64 v52, s[8:9], v28, v38
	v_xad_u32 v8, v33, -1, v15
	v_addc_co_u32_e64 v53, s[8:9], 0, v29, s[8:9]
	flat_load_ushort v38, v[52:53]
	v_lshlrev_b64 v[52:53], 1, v[8:9]
	v_add_co_u32_e64 v52, s[8:9], v30, v52
	v_addc_co_u32_e64 v53, s[8:9], v31, v53, s[8:9]
	flat_load_ushort v8, v[52:53]
	v_add_u32_e32 v52, 1, v33
	s_waitcnt vmcnt(0) lgkmcnt(0)
	v_add_f16_e32 v38, 0, v38
	v_cmp_lt_i16_e64 s[8:9], -1, v38
	v_cndmask_b32_e64 v53, -1, v32, s[8:9]
	v_xor_b32_e32 v38, v53, v38
	v_add_f16_e32 v8, 0, v8
	v_cmp_lt_i16_e64 s[8:9], -1, v8
	v_cndmask_b32_e64 v53, -1, v32, s[8:9]
	v_xor_b32_e32 v8, v53, v8
	v_cmp_gt_u16_e64 s[8:9], v8, v38
	v_cndmask_b32_e64 v17, v17, v33, s[8:9]
	v_cndmask_b32_e64 v16, v52, v16, s[8:9]
	v_cmp_ge_u32_e64 s[8:9], v16, v17
	s_or_b64 s[14:15], s[8:9], s[14:15]
	s_andn2_b64 exec, exec, s[14:15]
	s_cbranch_execnz .LBB1759_183
; %bb.184:
	s_or_b64 exec, exec, s[14:15]
.LBB1759_185:
	s_or_b64 exec, exec, s[12:13]
	v_add_u32_e32 v9, v26, v15
	v_add_u32_e32 v8, v16, v14
	v_sub_u32_e32 v14, v9, v16
	v_cmp_le_u32_e64 s[8:9], v8, v26
	v_cmp_le_u32_e64 s[12:13], v14, v27
	s_or_b64 s[8:9], s[8:9], s[12:13]
	s_and_saveexec_b64 s[14:15], s[8:9]
	s_cbranch_execz .LBB1759_205
; %bb.186:
	v_cmp_ge_u32_e64 s[8:9], v8, v26
	v_cmp_lt_u32_e64 s[12:13], v8, v26
                                        ; implicit-def: $vgpr28
	s_and_saveexec_b64 s[20:21], s[12:13]
	s_cbranch_execz .LBB1759_188
; %bb.187:
	v_mov_b32_e32 v9, 0
	v_lshlrev_b64 v[16:17], 1, v[8:9]
	v_add_co_u32_e64 v16, s[12:13], v6, v16
	v_addc_co_u32_e64 v17, s[12:13], v7, v17, s[12:13]
	flat_load_ushort v28, v[16:17]
.LBB1759_188:
	s_or_b64 exec, exec, s[20:21]
	v_cmp_ge_u32_e64 s[20:21], v14, v27
	v_cmp_lt_u32_e64 s[12:13], v14, v27
                                        ; implicit-def: $vgpr15
	s_and_saveexec_b64 s[22:23], s[12:13]
	s_cbranch_execz .LBB1759_190
; %bb.189:
	v_mov_b32_e32 v15, 0
	v_lshlrev_b64 v[16:17], 1, v[14:15]
	v_add_co_u32_e64 v16, s[12:13], v6, v16
	v_addc_co_u32_e64 v17, s[12:13], v7, v17, s[12:13]
	flat_load_ushort v15, v[16:17]
.LBB1759_190:
	s_or_b64 exec, exec, s[22:23]
	s_or_b64 s[8:9], s[8:9], s[20:21]
	s_mov_b64 s[12:13], -1
	s_xor_b64 s[8:9], s[8:9], -1
	s_and_saveexec_b64 s[22:23], s[8:9]
	s_cbranch_execz .LBB1759_192
; %bb.191:
	s_waitcnt vmcnt(0) lgkmcnt(0)
	v_add_f16_e32 v9, 0, v15
	v_add_f16_e32 v16, 0, v28
	v_mov_b32_e32 v17, 0xffff8000
	v_cmp_lt_i16_e64 s[8:9], -1, v9
	v_cndmask_b32_e64 v18, -1, v17, s[8:9]
	v_cmp_lt_i16_e64 s[8:9], -1, v16
	v_cndmask_b32_e64 v17, -1, v17, s[8:9]
	v_xor_b32_e32 v9, v18, v9
	v_xor_b32_e32 v16, v17, v16
	v_cmp_le_u16_e64 s[8:9], v9, v16
	s_andn2_b64 s[20:21], s[20:21], exec
	s_and_b64 s[8:9], s[8:9], exec
	s_or_b64 s[20:21], s[20:21], s[8:9]
.LBB1759_192:
	s_or_b64 exec, exec, s[22:23]
	v_cndmask_b32_e64 v16, v14, v8, s[20:21]
	v_cndmask_b32_e64 v9, v27, v26, s[20:21]
	v_mov_b32_e32 v17, 0
	v_add_u32_e32 v22, 1, v16
	v_add_u32_e32 v9, -1, v9
	v_lshlrev_b64 v[18:19], 3, v[16:17]
	v_min_u32_e32 v16, v22, v9
	v_lshlrev_b64 v[20:21], 1, v[16:17]
	v_add_co_u32_e64 v20, s[8:9], v6, v20
	v_addc_co_u32_e64 v21, s[8:9], v7, v21, s[8:9]
	v_add_co_u32_e64 v18, s[8:9], v2, v18
	flat_load_ushort v16, v[20:21]
	v_addc_co_u32_e64 v19, s[8:9], v3, v19, s[8:9]
	flat_load_dwordx2 v[18:19], v[18:19] offset:2048
	v_cndmask_b32_e64 v9, v22, v14, s[20:21]
	v_cndmask_b32_e64 v8, v8, v22, s[20:21]
	v_cmp_lt_u32_e64 s[8:9], v9, v27
	s_waitcnt vmcnt(0) lgkmcnt(0)
	v_cndmask_b32_e64 v14, v16, v15, s[20:21]
	v_cndmask_b32_e64 v29, v28, v16, s[20:21]
	s_and_saveexec_b64 s[22:23], s[8:9]
	s_cbranch_execz .LBB1759_196
; %bb.193:
	v_cmp_lt_u32_e64 s[8:9], v8, v26
	s_mov_b64 s[24:25], 0
	s_and_saveexec_b64 s[12:13], s[8:9]
; %bb.194:
	v_add_f16_e32 v16, 0, v14
	v_add_f16_e32 v20, 0, v29
	v_mov_b32_e32 v21, 0xffff8000
	v_cmp_lt_i16_e64 s[8:9], -1, v16
	v_cndmask_b32_e64 v22, -1, v21, s[8:9]
	v_cmp_lt_i16_e64 s[8:9], -1, v20
	v_cndmask_b32_e64 v21, -1, v21, s[8:9]
	v_xor_b32_e32 v16, v22, v16
	v_xor_b32_e32 v20, v21, v20
	v_cmp_le_u16_e64 s[8:9], v16, v20
	s_and_b64 s[24:25], s[8:9], exec
; %bb.195:
	s_or_b64 exec, exec, s[12:13]
	s_orn2_b64 s[12:13], s[24:25], exec
.LBB1759_196:
	s_or_b64 exec, exec, s[22:23]
	v_cndmask_b32_e64 v16, v9, v8, s[12:13]
	v_cndmask_b32_e64 v22, v27, v26, s[12:13]
	v_lshlrev_b64 v[20:21], 3, v[16:17]
	v_add_u32_e32 v23, 1, v16
	v_add_u32_e32 v16, -1, v22
	v_min_u32_e32 v16, v23, v16
	v_lshlrev_b64 v[16:17], 1, v[16:17]
	v_add_co_u32_e64 v16, s[8:9], v6, v16
	v_addc_co_u32_e64 v17, s[8:9], v7, v17, s[8:9]
	flat_load_ushort v22, v[16:17]
	v_add_co_u32_e64 v16, s[8:9], v2, v20
	v_addc_co_u32_e64 v17, s[8:9], v3, v21, s[8:9]
	flat_load_dwordx2 v[20:21], v[16:17] offset:2048
	v_cndmask_b32_e64 v24, v23, v9, s[12:13]
	s_mov_b64 s[22:23], -1
	v_cndmask_b32_e64 v25, v8, v23, s[12:13]
	v_cmp_lt_u32_e64 s[8:9], v24, v27
	s_mov_b64 s[24:25], -1
	s_waitcnt vmcnt(0) lgkmcnt(0)
	v_cndmask_b32_e64 v16, v22, v14, s[12:13]
	v_cndmask_b32_e64 v17, v29, v22, s[12:13]
	s_and_saveexec_b64 s[26:27], s[8:9]
	s_cbranch_execz .LBB1759_200
; %bb.197:
	v_cmp_lt_u32_e64 s[8:9], v25, v26
	s_mov_b64 s[28:29], 0
	s_and_saveexec_b64 s[24:25], s[8:9]
; %bb.198:
	v_add_f16_e32 v8, 0, v16
	v_add_f16_e32 v9, 0, v17
	v_mov_b32_e32 v22, 0xffff8000
	v_cmp_lt_i16_e64 s[8:9], -1, v8
	v_cndmask_b32_e64 v23, -1, v22, s[8:9]
	v_cmp_lt_i16_e64 s[8:9], -1, v9
	v_cndmask_b32_e64 v22, -1, v22, s[8:9]
	v_xor_b32_e32 v8, v23, v8
	v_xor_b32_e32 v9, v22, v9
	v_cmp_le_u16_e64 s[8:9], v8, v9
	s_and_b64 s[28:29], s[8:9], exec
; %bb.199:
	s_or_b64 exec, exec, s[24:25]
	s_orn2_b64 s[24:25], s[28:29], exec
.LBB1759_200:
	s_or_b64 exec, exec, s[26:27]
	v_cndmask_b32_e64 v8, v24, v25, s[24:25]
	v_cndmask_b32_e64 v30, v27, v26, s[24:25]
	v_mov_b32_e32 v9, 0
	v_lshlrev_b64 v[22:23], 3, v[8:9]
	v_add_u32_e32 v32, 1, v8
	v_add_u32_e32 v8, -1, v30
	v_min_u32_e32 v8, v32, v8
	v_lshlrev_b64 v[30:31], 1, v[8:9]
	v_add_co_u32_e64 v6, s[8:9], v6, v30
	v_addc_co_u32_e64 v7, s[8:9], v7, v31, s[8:9]
	flat_load_ushort v30, v[6:7]
	v_add_co_u32_e64 v6, s[8:9], v2, v22
	v_addc_co_u32_e64 v7, s[8:9], v3, v23, s[8:9]
	flat_load_dwordx2 v[22:23], v[6:7] offset:2048
	v_cndmask_b32_e64 v8, v32, v24, s[24:25]
	v_cndmask_b32_e64 v24, v25, v32, s[24:25]
	v_cmp_lt_u32_e64 s[8:9], v8, v27
	s_waitcnt vmcnt(0) lgkmcnt(0)
	v_cndmask_b32_e64 v6, v30, v16, s[24:25]
	v_cndmask_b32_e64 v7, v17, v30, s[24:25]
	s_and_saveexec_b64 s[26:27], s[8:9]
	s_cbranch_execz .LBB1759_204
; %bb.201:
	v_cmp_lt_u32_e64 s[8:9], v24, v26
	s_mov_b64 s[28:29], 0
	s_and_saveexec_b64 s[22:23], s[8:9]
; %bb.202:
	v_add_f16_e32 v25, 0, v6
	v_add_f16_e32 v26, 0, v7
	v_mov_b32_e32 v27, 0xffff8000
	v_cmp_lt_i16_e64 s[8:9], -1, v25
	v_cndmask_b32_e64 v30, -1, v27, s[8:9]
	v_cmp_lt_i16_e64 s[8:9], -1, v26
	v_cndmask_b32_e64 v27, -1, v27, s[8:9]
	v_xor_b32_e32 v25, v30, v25
	v_xor_b32_e32 v26, v27, v26
	v_cmp_le_u16_e64 s[8:9], v25, v26
	s_and_b64 s[28:29], s[8:9], exec
; %bb.203:
	s_or_b64 exec, exec, s[22:23]
	s_orn2_b64 s[22:23], s[28:29], exec
.LBB1759_204:
	s_or_b64 exec, exec, s[26:27]
	v_cndmask_b32_e64 v8, v8, v24, s[22:23]
	v_lshlrev_b64 v[8:9], 3, v[8:9]
	v_add_co_u32_e64 v2, s[8:9], v2, v8
	v_addc_co_u32_e64 v3, s[8:9], v3, v9, s[8:9]
	flat_load_dwordx2 v[24:25], v[2:3] offset:2048
	v_cndmask_b32_e64 v51, v16, v17, s[24:25]
	v_cndmask_b32_e64 v49, v14, v29, s[12:13]
	;; [unrolled: 1-line block ×4, first 2 shown]
.LBB1759_205:
	s_or_b64 exec, exec, s[14:15]
	v_add_co_u32_e64 v2, s[8:9], v4, v12
	v_addc_co_u32_e64 v3, s[8:9], v5, v13, s[8:9]
	v_add_co_u32_e64 v2, s[8:9], v2, v37
	v_addc_co_u32_e64 v3, s[8:9], 0, v3, s[8:9]
	; wave barrier
	s_waitcnt lgkmcnt(0)
	s_barrier
	s_waitcnt lgkmcnt(0)
	; wave barrier
	s_and_saveexec_b64 s[8:9], vcc
	s_cbranch_execnz .LBB1759_226
; %bb.206:
	s_or_b64 exec, exec, s[8:9]
	s_and_saveexec_b64 s[8:9], s[4:5]
	s_cbranch_execnz .LBB1759_227
.LBB1759_207:
	s_or_b64 exec, exec, s[8:9]
	s_and_saveexec_b64 s[8:9], s[6:7]
	s_cbranch_execnz .LBB1759_228
.LBB1759_208:
	s_or_b64 exec, exec, s[8:9]
	s_and_saveexec_b64 s[8:9], s[10:11]
	s_cbranch_execz .LBB1759_210
.LBB1759_209:
	flat_store_short v[2:3], v48 offset:6
.LBB1759_210:
	s_or_b64 exec, exec, s[8:9]
	v_add_co_u32_e64 v0, s[8:9], v10, v0
	v_addc_co_u32_e64 v1, s[8:9], v11, v1, s[8:9]
	v_add_co_u32_e64 v0, s[8:9], v0, v39
	v_addc_co_u32_e64 v1, s[8:9], 0, v1, s[8:9]
	; wave barrier
	s_and_saveexec_b64 s[8:9], vcc
	s_cbranch_execnz .LBB1759_229
; %bb.211:
	s_or_b64 exec, exec, s[8:9]
	s_and_saveexec_b64 s[8:9], s[4:5]
	s_cbranch_execnz .LBB1759_230
.LBB1759_212:
	s_or_b64 exec, exec, s[8:9]
	s_and_saveexec_b64 s[4:5], s[6:7]
	s_cbranch_execz .LBB1759_214
.LBB1759_213:
	flat_store_dwordx2 v[0:1], v[22:23] offset:16
.LBB1759_214:
	s_or_b64 exec, exec, s[4:5]
	s_andn2_b64 s[4:5], s[16:17], exec
	s_and_b64 s[6:7], s[10:11], exec
	s_or_b64 s[16:17], s[4:5], s[6:7]
	v_pk_mov_b32 v[8:9], v[10:11], v[10:11] op_sel:[0,1]
	s_or_b64 exec, exec, s[18:19]
	s_and_saveexec_b64 s[4:5], s[16:17]
	s_cbranch_execnz .LBB1759_3
	s_branch .LBB1759_4
.LBB1759_215:
	flat_load_dwordx2 v[18:19], v[4:5]
	s_or_b64 exec, exec, s[14:15]
	s_and_saveexec_b64 s[14:15], s[4:5]
	s_cbranch_execz .LBB1759_15
.LBB1759_216:
	flat_load_dwordx2 v[20:21], v[4:5] offset:8
	s_or_b64 exec, exec, s[14:15]
	s_and_saveexec_b64 s[14:15], s[6:7]
	s_cbranch_execz .LBB1759_16
.LBB1759_217:
	flat_load_dwordx2 v[22:23], v[4:5] offset:16
	s_or_b64 exec, exec, s[14:15]
	s_and_saveexec_b64 s[14:15], s[10:11]
	s_cbranch_execnz .LBB1759_17
	s_branch .LBB1759_18
.LBB1759_218:
	flat_store_short v[2:3], v50
	s_or_b64 exec, exec, s[14:15]
	s_and_saveexec_b64 s[14:15], s[4:5]
	s_cbranch_execz .LBB1759_102
.LBB1759_219:
	flat_store_short v[2:3], v49 offset:2
	s_or_b64 exec, exec, s[14:15]
	s_and_saveexec_b64 s[14:15], s[6:7]
	s_cbranch_execz .LBB1759_103
.LBB1759_220:
	flat_store_short v[2:3], v51 offset:4
	s_or_b64 exec, exec, s[14:15]
	s_and_saveexec_b64 s[14:15], s[10:11]
	s_cbranch_execnz .LBB1759_104
	s_branch .LBB1759_105
.LBB1759_221:
	flat_store_dwordx2 v[0:1], v[18:19]
	s_or_b64 exec, exec, s[14:15]
	s_and_saveexec_b64 s[14:15], s[4:5]
	s_cbranch_execz .LBB1759_107
.LBB1759_222:
	flat_store_dwordx2 v[0:1], v[20:21] offset:8
	s_or_b64 exec, exec, s[14:15]
	s_and_saveexec_b64 s[4:5], s[6:7]
	s_cbranch_execnz .LBB1759_108
	s_branch .LBB1759_109
.LBB1759_223:
	flat_load_dwordx2 v[18:19], v[2:3]
	s_or_b64 exec, exec, s[14:15]
	s_and_saveexec_b64 s[14:15], s[4:5]
	s_cbranch_execz .LBB1759_120
.LBB1759_224:
	flat_load_dwordx2 v[20:21], v[2:3] offset:8
	s_or_b64 exec, exec, s[14:15]
	s_and_saveexec_b64 s[14:15], s[6:7]
	s_cbranch_execz .LBB1759_121
.LBB1759_225:
	flat_load_dwordx2 v[22:23], v[2:3] offset:16
	s_or_b64 exec, exec, s[14:15]
	s_and_saveexec_b64 s[14:15], s[10:11]
	s_cbranch_execnz .LBB1759_122
	s_branch .LBB1759_123
.LBB1759_226:
	flat_store_short v[2:3], v50
	s_or_b64 exec, exec, s[8:9]
	s_and_saveexec_b64 s[8:9], s[4:5]
	s_cbranch_execz .LBB1759_207
.LBB1759_227:
	flat_store_short v[2:3], v49 offset:2
	s_or_b64 exec, exec, s[8:9]
	s_and_saveexec_b64 s[8:9], s[6:7]
	s_cbranch_execz .LBB1759_208
.LBB1759_228:
	flat_store_short v[2:3], v51 offset:4
	s_or_b64 exec, exec, s[8:9]
	s_and_saveexec_b64 s[8:9], s[10:11]
	s_cbranch_execnz .LBB1759_209
	s_branch .LBB1759_210
.LBB1759_229:
	flat_store_dwordx2 v[0:1], v[18:19]
	s_or_b64 exec, exec, s[8:9]
	s_and_saveexec_b64 s[8:9], s[4:5]
	s_cbranch_execz .LBB1759_212
.LBB1759_230:
	flat_store_dwordx2 v[0:1], v[20:21] offset:8
	s_or_b64 exec, exec, s[8:9]
	s_and_saveexec_b64 s[4:5], s[6:7]
	s_cbranch_execnz .LBB1759_213
	s_branch .LBB1759_214
.Lfunc_end1759:
	.size	_ZN7rocprim17ROCPRIM_400000_NS6detail26segmented_warp_sort_helperINS1_20WarpSortHelperConfigILj8ELj4ELj256EEE6__halflLi256ELb1EvE4sortIPKS5_PS5_PKlPlEEvT_SA_T0_T1_SD_T2_bjjjjRNS6_12storage_typeE, .Lfunc_end1759-_ZN7rocprim17ROCPRIM_400000_NS6detail26segmented_warp_sort_helperINS1_20WarpSortHelperConfigILj8ELj4ELj256EEE6__halflLi256ELb1EvE4sortIPKS5_PS5_PKlPlEEvT_SA_T0_T1_SD_T2_bjjjjRNS6_12storage_typeE
                                        ; -- End function
	.section	.AMDGPU.csdata,"",@progbits
; Function info:
; codeLenInByte = 12184
; NumSgprs: 37
; NumVgprs: 70
; NumAgprs: 0
; TotalNumVgprs: 70
; ScratchSize: 8
; MemoryBound: 1
	.section	.text._ZN7rocprim17ROCPRIM_400000_NS6detail17trampoline_kernelINS0_14default_configENS1_36segmented_radix_sort_config_selectorI6__halflEEZNS1_25segmented_radix_sort_implIS3_Lb1EPKS5_PS5_PKlPlN2at6native12_GLOBAL__N_18offset_tEEE10hipError_tPvRmT1_PNSt15iterator_traitsISL_E10value_typeET2_T3_PNSM_ISR_E10value_typeET4_jRbjT5_SX_jjP12ihipStream_tbEUlT_E1_NS1_11comp_targetILNS1_3genE4ELNS1_11target_archE910ELNS1_3gpuE8ELNS1_3repE0EEENS1_59segmented_radix_sort_warp_sort_small_config_static_selectorELNS0_4arch9wavefront6targetE1EEEvSL_,"axG",@progbits,_ZN7rocprim17ROCPRIM_400000_NS6detail17trampoline_kernelINS0_14default_configENS1_36segmented_radix_sort_config_selectorI6__halflEEZNS1_25segmented_radix_sort_implIS3_Lb1EPKS5_PS5_PKlPlN2at6native12_GLOBAL__N_18offset_tEEE10hipError_tPvRmT1_PNSt15iterator_traitsISL_E10value_typeET2_T3_PNSM_ISR_E10value_typeET4_jRbjT5_SX_jjP12ihipStream_tbEUlT_E1_NS1_11comp_targetILNS1_3genE4ELNS1_11target_archE910ELNS1_3gpuE8ELNS1_3repE0EEENS1_59segmented_radix_sort_warp_sort_small_config_static_selectorELNS0_4arch9wavefront6targetE1EEEvSL_,comdat
	.globl	_ZN7rocprim17ROCPRIM_400000_NS6detail17trampoline_kernelINS0_14default_configENS1_36segmented_radix_sort_config_selectorI6__halflEEZNS1_25segmented_radix_sort_implIS3_Lb1EPKS5_PS5_PKlPlN2at6native12_GLOBAL__N_18offset_tEEE10hipError_tPvRmT1_PNSt15iterator_traitsISL_E10value_typeET2_T3_PNSM_ISR_E10value_typeET4_jRbjT5_SX_jjP12ihipStream_tbEUlT_E1_NS1_11comp_targetILNS1_3genE4ELNS1_11target_archE910ELNS1_3gpuE8ELNS1_3repE0EEENS1_59segmented_radix_sort_warp_sort_small_config_static_selectorELNS0_4arch9wavefront6targetE1EEEvSL_ ; -- Begin function _ZN7rocprim17ROCPRIM_400000_NS6detail17trampoline_kernelINS0_14default_configENS1_36segmented_radix_sort_config_selectorI6__halflEEZNS1_25segmented_radix_sort_implIS3_Lb1EPKS5_PS5_PKlPlN2at6native12_GLOBAL__N_18offset_tEEE10hipError_tPvRmT1_PNSt15iterator_traitsISL_E10value_typeET2_T3_PNSM_ISR_E10value_typeET4_jRbjT5_SX_jjP12ihipStream_tbEUlT_E1_NS1_11comp_targetILNS1_3genE4ELNS1_11target_archE910ELNS1_3gpuE8ELNS1_3repE0EEENS1_59segmented_radix_sort_warp_sort_small_config_static_selectorELNS0_4arch9wavefront6targetE1EEEvSL_
	.p2align	8
	.type	_ZN7rocprim17ROCPRIM_400000_NS6detail17trampoline_kernelINS0_14default_configENS1_36segmented_radix_sort_config_selectorI6__halflEEZNS1_25segmented_radix_sort_implIS3_Lb1EPKS5_PS5_PKlPlN2at6native12_GLOBAL__N_18offset_tEEE10hipError_tPvRmT1_PNSt15iterator_traitsISL_E10value_typeET2_T3_PNSM_ISR_E10value_typeET4_jRbjT5_SX_jjP12ihipStream_tbEUlT_E1_NS1_11comp_targetILNS1_3genE4ELNS1_11target_archE910ELNS1_3gpuE8ELNS1_3repE0EEENS1_59segmented_radix_sort_warp_sort_small_config_static_selectorELNS0_4arch9wavefront6targetE1EEEvSL_,@function
_ZN7rocprim17ROCPRIM_400000_NS6detail17trampoline_kernelINS0_14default_configENS1_36segmented_radix_sort_config_selectorI6__halflEEZNS1_25segmented_radix_sort_implIS3_Lb1EPKS5_PS5_PKlPlN2at6native12_GLOBAL__N_18offset_tEEE10hipError_tPvRmT1_PNSt15iterator_traitsISL_E10value_typeET2_T3_PNSM_ISR_E10value_typeET4_jRbjT5_SX_jjP12ihipStream_tbEUlT_E1_NS1_11comp_targetILNS1_3genE4ELNS1_11target_archE910ELNS1_3gpuE8ELNS1_3repE0EEENS1_59segmented_radix_sort_warp_sort_small_config_static_selectorELNS0_4arch9wavefront6targetE1EEEvSL_: ; @_ZN7rocprim17ROCPRIM_400000_NS6detail17trampoline_kernelINS0_14default_configENS1_36segmented_radix_sort_config_selectorI6__halflEEZNS1_25segmented_radix_sort_implIS3_Lb1EPKS5_PS5_PKlPlN2at6native12_GLOBAL__N_18offset_tEEE10hipError_tPvRmT1_PNSt15iterator_traitsISL_E10value_typeET2_T3_PNSM_ISR_E10value_typeET4_jRbjT5_SX_jjP12ihipStream_tbEUlT_E1_NS1_11comp_targetILNS1_3genE4ELNS1_11target_archE910ELNS1_3gpuE8ELNS1_3repE0EEENS1_59segmented_radix_sort_warp_sort_small_config_static_selectorELNS0_4arch9wavefront6targetE1EEEvSL_
; %bb.0:
	s_add_u32 flat_scratch_lo, s6, s10
	s_mov_b32 s12, s8
	s_load_dword s6, s[4:5], 0x64
	s_load_dword s8, s[4:5], 0x34
	s_addc_u32 flat_scratch_hi, s7, 0
	s_add_u32 s0, s0, s10
	s_addc_u32 s1, s1, 0
	s_waitcnt lgkmcnt(0)
	s_lshr_b32 s7, s6, 16
	v_bfe_u32 v1, v0, 10, 10
	v_bfe_u32 v2, v0, 20, 10
	s_and_b32 s6, s6, 0xffff
	v_mad_u32_u24 v1, v2, s7, v1
	v_and_b32_e32 v2, 0x3ff, v0
	v_mad_u64_u32 v[2:3], s[6:7], v1, s6, v[2:3]
	v_lshrrev_b32_e32 v1, 3, v2
	v_lshl_add_u32 v2, s12, 5, v1
	v_cmp_gt_u32_e32 vcc, s8, v2
	s_mov_b32 s32, 0
	s_and_saveexec_b64 s[6:7], vcc
	s_cbranch_execz .LBB1760_3
; %bb.1:
	s_mov_b32 s13, s9
	s_load_dwordx2 s[6:7], s[4:5], 0x38
	s_load_dwordx4 s[8:11], s[4:5], 0x40
	v_mov_b32_e32 v3, 0
	v_lshlrev_b64 v[2:3], 2, v[2:3]
	s_waitcnt lgkmcnt(0)
	v_mov_b32_e32 v1, s7
	v_sub_co_u32_e32 v2, vcc, s6, v2
	v_subb_co_u32_e32 v3, vcc, v1, v3, vcc
	global_load_dword v1, v[2:3], off offset:-4
	s_waitcnt vmcnt(0)
	v_add_u32_e32 v2, s9, v1
	v_add_u32_e32 v1, s11, v1
	v_mul_lo_u32 v13, v2, s8
	v_mul_lo_u32 v14, v1, s10
	v_cmp_gt_u32_e32 vcc, v14, v13
	s_and_b64 exec, exec, vcc
	s_cbranch_execz .LBB1760_3
; %bb.2:
	s_load_dword s6, s[4:5], 0x30
	s_load_dwordx4 s[24:27], s[4:5], 0x20
	s_load_dwordx8 s[16:23], s[4:5], 0x0
	s_add_u32 s8, s4, 0x58
	s_addc_u32 s9, s5, 0
	s_waitcnt lgkmcnt(0)
	s_and_b32 s10, s6, 1
	s_mov_b64 s[4:5], src_shared_base
	v_mov_b32_e32 v31, v0
	v_mov_b32_e32 v0, s16
	v_mov_b32_e32 v1, s17
	v_mov_b32_e32 v2, s18
	v_mov_b32_e32 v3, s19
	v_mov_b32_e32 v4, s20
	v_mov_b32_e32 v5, s21
	v_mov_b32_e32 v6, s22
	v_mov_b32_e32 v7, s23
	v_mov_b32_e32 v8, s24
	v_mov_b32_e32 v9, s25
	v_mov_b32_e32 v10, s26
	v_mov_b32_e32 v11, s27
	v_mov_b32_e32 v12, s10
	v_mov_b32_e32 v15, 0
	v_mov_b32_e32 v16, s5
	s_getpc_b64 s[6:7]
	s_add_u32 s6, s6, _ZN7rocprim17ROCPRIM_400000_NS6detail26segmented_warp_sort_helperINS1_20WarpSortHelperConfigILj8ELj4ELj256EEE6__halflLi256ELb1EvE4sortIPKS5_PS5_PKlPlEEvT_SA_T0_T1_SD_T2_bjjjjRNS6_12storage_typeE@rel32@lo+4
	s_addc_u32 s7, s7, _ZN7rocprim17ROCPRIM_400000_NS6detail26segmented_warp_sort_helperINS1_20WarpSortHelperConfigILj8ELj4ELj256EEE6__halflLi256ELb1EvE4sortIPKS5_PS5_PKlPlEEvT_SA_T0_T1_SD_T2_bjjjjRNS6_12storage_typeE@rel32@hi+12
	s_swappc_b64 s[30:31], s[6:7]
.LBB1760_3:
	s_endpgm
	.section	.rodata,"a",@progbits
	.p2align	6, 0x0
	.amdhsa_kernel _ZN7rocprim17ROCPRIM_400000_NS6detail17trampoline_kernelINS0_14default_configENS1_36segmented_radix_sort_config_selectorI6__halflEEZNS1_25segmented_radix_sort_implIS3_Lb1EPKS5_PS5_PKlPlN2at6native12_GLOBAL__N_18offset_tEEE10hipError_tPvRmT1_PNSt15iterator_traitsISL_E10value_typeET2_T3_PNSM_ISR_E10value_typeET4_jRbjT5_SX_jjP12ihipStream_tbEUlT_E1_NS1_11comp_targetILNS1_3genE4ELNS1_11target_archE910ELNS1_3gpuE8ELNS1_3repE0EEENS1_59segmented_radix_sort_warp_sort_small_config_static_selectorELNS0_4arch9wavefront6targetE1EEEvSL_
		.amdhsa_group_segment_fixed_size 10240
		.amdhsa_private_segment_fixed_size 8
		.amdhsa_kernarg_size 344
		.amdhsa_user_sgpr_count 8
		.amdhsa_user_sgpr_private_segment_buffer 1
		.amdhsa_user_sgpr_dispatch_ptr 0
		.amdhsa_user_sgpr_queue_ptr 0
		.amdhsa_user_sgpr_kernarg_segment_ptr 1
		.amdhsa_user_sgpr_dispatch_id 0
		.amdhsa_user_sgpr_flat_scratch_init 1
		.amdhsa_user_sgpr_kernarg_preload_length 0
		.amdhsa_user_sgpr_kernarg_preload_offset 0
		.amdhsa_user_sgpr_private_segment_size 0
		.amdhsa_uses_dynamic_stack 0
		.amdhsa_system_sgpr_private_segment_wavefront_offset 1
		.amdhsa_system_sgpr_workgroup_id_x 1
		.amdhsa_system_sgpr_workgroup_id_y 1
		.amdhsa_system_sgpr_workgroup_id_z 0
		.amdhsa_system_sgpr_workgroup_info 0
		.amdhsa_system_vgpr_workitem_id 2
		.amdhsa_next_free_vgpr 70
		.amdhsa_next_free_sgpr 33
		.amdhsa_accum_offset 72
		.amdhsa_reserve_vcc 1
		.amdhsa_reserve_flat_scratch 1
		.amdhsa_float_round_mode_32 0
		.amdhsa_float_round_mode_16_64 0
		.amdhsa_float_denorm_mode_32 3
		.amdhsa_float_denorm_mode_16_64 3
		.amdhsa_dx10_clamp 1
		.amdhsa_ieee_mode 1
		.amdhsa_fp16_overflow 0
		.amdhsa_tg_split 0
		.amdhsa_exception_fp_ieee_invalid_op 0
		.amdhsa_exception_fp_denorm_src 0
		.amdhsa_exception_fp_ieee_div_zero 0
		.amdhsa_exception_fp_ieee_overflow 0
		.amdhsa_exception_fp_ieee_underflow 0
		.amdhsa_exception_fp_ieee_inexact 0
		.amdhsa_exception_int_div_zero 0
	.end_amdhsa_kernel
	.section	.text._ZN7rocprim17ROCPRIM_400000_NS6detail17trampoline_kernelINS0_14default_configENS1_36segmented_radix_sort_config_selectorI6__halflEEZNS1_25segmented_radix_sort_implIS3_Lb1EPKS5_PS5_PKlPlN2at6native12_GLOBAL__N_18offset_tEEE10hipError_tPvRmT1_PNSt15iterator_traitsISL_E10value_typeET2_T3_PNSM_ISR_E10value_typeET4_jRbjT5_SX_jjP12ihipStream_tbEUlT_E1_NS1_11comp_targetILNS1_3genE4ELNS1_11target_archE910ELNS1_3gpuE8ELNS1_3repE0EEENS1_59segmented_radix_sort_warp_sort_small_config_static_selectorELNS0_4arch9wavefront6targetE1EEEvSL_,"axG",@progbits,_ZN7rocprim17ROCPRIM_400000_NS6detail17trampoline_kernelINS0_14default_configENS1_36segmented_radix_sort_config_selectorI6__halflEEZNS1_25segmented_radix_sort_implIS3_Lb1EPKS5_PS5_PKlPlN2at6native12_GLOBAL__N_18offset_tEEE10hipError_tPvRmT1_PNSt15iterator_traitsISL_E10value_typeET2_T3_PNSM_ISR_E10value_typeET4_jRbjT5_SX_jjP12ihipStream_tbEUlT_E1_NS1_11comp_targetILNS1_3genE4ELNS1_11target_archE910ELNS1_3gpuE8ELNS1_3repE0EEENS1_59segmented_radix_sort_warp_sort_small_config_static_selectorELNS0_4arch9wavefront6targetE1EEEvSL_,comdat
.Lfunc_end1760:
	.size	_ZN7rocprim17ROCPRIM_400000_NS6detail17trampoline_kernelINS0_14default_configENS1_36segmented_radix_sort_config_selectorI6__halflEEZNS1_25segmented_radix_sort_implIS3_Lb1EPKS5_PS5_PKlPlN2at6native12_GLOBAL__N_18offset_tEEE10hipError_tPvRmT1_PNSt15iterator_traitsISL_E10value_typeET2_T3_PNSM_ISR_E10value_typeET4_jRbjT5_SX_jjP12ihipStream_tbEUlT_E1_NS1_11comp_targetILNS1_3genE4ELNS1_11target_archE910ELNS1_3gpuE8ELNS1_3repE0EEENS1_59segmented_radix_sort_warp_sort_small_config_static_selectorELNS0_4arch9wavefront6targetE1EEEvSL_, .Lfunc_end1760-_ZN7rocprim17ROCPRIM_400000_NS6detail17trampoline_kernelINS0_14default_configENS1_36segmented_radix_sort_config_selectorI6__halflEEZNS1_25segmented_radix_sort_implIS3_Lb1EPKS5_PS5_PKlPlN2at6native12_GLOBAL__N_18offset_tEEE10hipError_tPvRmT1_PNSt15iterator_traitsISL_E10value_typeET2_T3_PNSM_ISR_E10value_typeET4_jRbjT5_SX_jjP12ihipStream_tbEUlT_E1_NS1_11comp_targetILNS1_3genE4ELNS1_11target_archE910ELNS1_3gpuE8ELNS1_3repE0EEENS1_59segmented_radix_sort_warp_sort_small_config_static_selectorELNS0_4arch9wavefront6targetE1EEEvSL_
                                        ; -- End function
	.section	.AMDGPU.csdata,"",@progbits
; Kernel info:
; codeLenInByte = 356
; NumSgprs: 39
; NumVgprs: 70
; NumAgprs: 0
; TotalNumVgprs: 70
; ScratchSize: 8
; MemoryBound: 0
; FloatMode: 240
; IeeeMode: 1
; LDSByteSize: 10240 bytes/workgroup (compile time only)
; SGPRBlocks: 4
; VGPRBlocks: 8
; NumSGPRsForWavesPerEU: 39
; NumVGPRsForWavesPerEU: 70
; AccumOffset: 72
; Occupancy: 6
; WaveLimiterHint : 0
; COMPUTE_PGM_RSRC2:SCRATCH_EN: 1
; COMPUTE_PGM_RSRC2:USER_SGPR: 8
; COMPUTE_PGM_RSRC2:TRAP_HANDLER: 0
; COMPUTE_PGM_RSRC2:TGID_X_EN: 1
; COMPUTE_PGM_RSRC2:TGID_Y_EN: 1
; COMPUTE_PGM_RSRC2:TGID_Z_EN: 0
; COMPUTE_PGM_RSRC2:TIDIG_COMP_CNT: 2
; COMPUTE_PGM_RSRC3_GFX90A:ACCUM_OFFSET: 17
; COMPUTE_PGM_RSRC3_GFX90A:TG_SPLIT: 0
	.section	.text._ZN7rocprim17ROCPRIM_400000_NS6detail17trampoline_kernelINS0_14default_configENS1_36segmented_radix_sort_config_selectorI6__halflEEZNS1_25segmented_radix_sort_implIS3_Lb1EPKS5_PS5_PKlPlN2at6native12_GLOBAL__N_18offset_tEEE10hipError_tPvRmT1_PNSt15iterator_traitsISL_E10value_typeET2_T3_PNSM_ISR_E10value_typeET4_jRbjT5_SX_jjP12ihipStream_tbEUlT_E1_NS1_11comp_targetILNS1_3genE3ELNS1_11target_archE908ELNS1_3gpuE7ELNS1_3repE0EEENS1_59segmented_radix_sort_warp_sort_small_config_static_selectorELNS0_4arch9wavefront6targetE1EEEvSL_,"axG",@progbits,_ZN7rocprim17ROCPRIM_400000_NS6detail17trampoline_kernelINS0_14default_configENS1_36segmented_radix_sort_config_selectorI6__halflEEZNS1_25segmented_radix_sort_implIS3_Lb1EPKS5_PS5_PKlPlN2at6native12_GLOBAL__N_18offset_tEEE10hipError_tPvRmT1_PNSt15iterator_traitsISL_E10value_typeET2_T3_PNSM_ISR_E10value_typeET4_jRbjT5_SX_jjP12ihipStream_tbEUlT_E1_NS1_11comp_targetILNS1_3genE3ELNS1_11target_archE908ELNS1_3gpuE7ELNS1_3repE0EEENS1_59segmented_radix_sort_warp_sort_small_config_static_selectorELNS0_4arch9wavefront6targetE1EEEvSL_,comdat
	.globl	_ZN7rocprim17ROCPRIM_400000_NS6detail17trampoline_kernelINS0_14default_configENS1_36segmented_radix_sort_config_selectorI6__halflEEZNS1_25segmented_radix_sort_implIS3_Lb1EPKS5_PS5_PKlPlN2at6native12_GLOBAL__N_18offset_tEEE10hipError_tPvRmT1_PNSt15iterator_traitsISL_E10value_typeET2_T3_PNSM_ISR_E10value_typeET4_jRbjT5_SX_jjP12ihipStream_tbEUlT_E1_NS1_11comp_targetILNS1_3genE3ELNS1_11target_archE908ELNS1_3gpuE7ELNS1_3repE0EEENS1_59segmented_radix_sort_warp_sort_small_config_static_selectorELNS0_4arch9wavefront6targetE1EEEvSL_ ; -- Begin function _ZN7rocprim17ROCPRIM_400000_NS6detail17trampoline_kernelINS0_14default_configENS1_36segmented_radix_sort_config_selectorI6__halflEEZNS1_25segmented_radix_sort_implIS3_Lb1EPKS5_PS5_PKlPlN2at6native12_GLOBAL__N_18offset_tEEE10hipError_tPvRmT1_PNSt15iterator_traitsISL_E10value_typeET2_T3_PNSM_ISR_E10value_typeET4_jRbjT5_SX_jjP12ihipStream_tbEUlT_E1_NS1_11comp_targetILNS1_3genE3ELNS1_11target_archE908ELNS1_3gpuE7ELNS1_3repE0EEENS1_59segmented_radix_sort_warp_sort_small_config_static_selectorELNS0_4arch9wavefront6targetE1EEEvSL_
	.p2align	8
	.type	_ZN7rocprim17ROCPRIM_400000_NS6detail17trampoline_kernelINS0_14default_configENS1_36segmented_radix_sort_config_selectorI6__halflEEZNS1_25segmented_radix_sort_implIS3_Lb1EPKS5_PS5_PKlPlN2at6native12_GLOBAL__N_18offset_tEEE10hipError_tPvRmT1_PNSt15iterator_traitsISL_E10value_typeET2_T3_PNSM_ISR_E10value_typeET4_jRbjT5_SX_jjP12ihipStream_tbEUlT_E1_NS1_11comp_targetILNS1_3genE3ELNS1_11target_archE908ELNS1_3gpuE7ELNS1_3repE0EEENS1_59segmented_radix_sort_warp_sort_small_config_static_selectorELNS0_4arch9wavefront6targetE1EEEvSL_,@function
_ZN7rocprim17ROCPRIM_400000_NS6detail17trampoline_kernelINS0_14default_configENS1_36segmented_radix_sort_config_selectorI6__halflEEZNS1_25segmented_radix_sort_implIS3_Lb1EPKS5_PS5_PKlPlN2at6native12_GLOBAL__N_18offset_tEEE10hipError_tPvRmT1_PNSt15iterator_traitsISL_E10value_typeET2_T3_PNSM_ISR_E10value_typeET4_jRbjT5_SX_jjP12ihipStream_tbEUlT_E1_NS1_11comp_targetILNS1_3genE3ELNS1_11target_archE908ELNS1_3gpuE7ELNS1_3repE0EEENS1_59segmented_radix_sort_warp_sort_small_config_static_selectorELNS0_4arch9wavefront6targetE1EEEvSL_: ; @_ZN7rocprim17ROCPRIM_400000_NS6detail17trampoline_kernelINS0_14default_configENS1_36segmented_radix_sort_config_selectorI6__halflEEZNS1_25segmented_radix_sort_implIS3_Lb1EPKS5_PS5_PKlPlN2at6native12_GLOBAL__N_18offset_tEEE10hipError_tPvRmT1_PNSt15iterator_traitsISL_E10value_typeET2_T3_PNSM_ISR_E10value_typeET4_jRbjT5_SX_jjP12ihipStream_tbEUlT_E1_NS1_11comp_targetILNS1_3genE3ELNS1_11target_archE908ELNS1_3gpuE7ELNS1_3repE0EEENS1_59segmented_radix_sort_warp_sort_small_config_static_selectorELNS0_4arch9wavefront6targetE1EEEvSL_
; %bb.0:
	.section	.rodata,"a",@progbits
	.p2align	6, 0x0
	.amdhsa_kernel _ZN7rocprim17ROCPRIM_400000_NS6detail17trampoline_kernelINS0_14default_configENS1_36segmented_radix_sort_config_selectorI6__halflEEZNS1_25segmented_radix_sort_implIS3_Lb1EPKS5_PS5_PKlPlN2at6native12_GLOBAL__N_18offset_tEEE10hipError_tPvRmT1_PNSt15iterator_traitsISL_E10value_typeET2_T3_PNSM_ISR_E10value_typeET4_jRbjT5_SX_jjP12ihipStream_tbEUlT_E1_NS1_11comp_targetILNS1_3genE3ELNS1_11target_archE908ELNS1_3gpuE7ELNS1_3repE0EEENS1_59segmented_radix_sort_warp_sort_small_config_static_selectorELNS0_4arch9wavefront6targetE1EEEvSL_
		.amdhsa_group_segment_fixed_size 0
		.amdhsa_private_segment_fixed_size 0
		.amdhsa_kernarg_size 88
		.amdhsa_user_sgpr_count 6
		.amdhsa_user_sgpr_private_segment_buffer 1
		.amdhsa_user_sgpr_dispatch_ptr 0
		.amdhsa_user_sgpr_queue_ptr 0
		.amdhsa_user_sgpr_kernarg_segment_ptr 1
		.amdhsa_user_sgpr_dispatch_id 0
		.amdhsa_user_sgpr_flat_scratch_init 0
		.amdhsa_user_sgpr_kernarg_preload_length 0
		.amdhsa_user_sgpr_kernarg_preload_offset 0
		.amdhsa_user_sgpr_private_segment_size 0
		.amdhsa_uses_dynamic_stack 0
		.amdhsa_system_sgpr_private_segment_wavefront_offset 0
		.amdhsa_system_sgpr_workgroup_id_x 1
		.amdhsa_system_sgpr_workgroup_id_y 0
		.amdhsa_system_sgpr_workgroup_id_z 0
		.amdhsa_system_sgpr_workgroup_info 0
		.amdhsa_system_vgpr_workitem_id 0
		.amdhsa_next_free_vgpr 1
		.amdhsa_next_free_sgpr 0
		.amdhsa_accum_offset 4
		.amdhsa_reserve_vcc 0
		.amdhsa_reserve_flat_scratch 0
		.amdhsa_float_round_mode_32 0
		.amdhsa_float_round_mode_16_64 0
		.amdhsa_float_denorm_mode_32 3
		.amdhsa_float_denorm_mode_16_64 3
		.amdhsa_dx10_clamp 1
		.amdhsa_ieee_mode 1
		.amdhsa_fp16_overflow 0
		.amdhsa_tg_split 0
		.amdhsa_exception_fp_ieee_invalid_op 0
		.amdhsa_exception_fp_denorm_src 0
		.amdhsa_exception_fp_ieee_div_zero 0
		.amdhsa_exception_fp_ieee_overflow 0
		.amdhsa_exception_fp_ieee_underflow 0
		.amdhsa_exception_fp_ieee_inexact 0
		.amdhsa_exception_int_div_zero 0
	.end_amdhsa_kernel
	.section	.text._ZN7rocprim17ROCPRIM_400000_NS6detail17trampoline_kernelINS0_14default_configENS1_36segmented_radix_sort_config_selectorI6__halflEEZNS1_25segmented_radix_sort_implIS3_Lb1EPKS5_PS5_PKlPlN2at6native12_GLOBAL__N_18offset_tEEE10hipError_tPvRmT1_PNSt15iterator_traitsISL_E10value_typeET2_T3_PNSM_ISR_E10value_typeET4_jRbjT5_SX_jjP12ihipStream_tbEUlT_E1_NS1_11comp_targetILNS1_3genE3ELNS1_11target_archE908ELNS1_3gpuE7ELNS1_3repE0EEENS1_59segmented_radix_sort_warp_sort_small_config_static_selectorELNS0_4arch9wavefront6targetE1EEEvSL_,"axG",@progbits,_ZN7rocprim17ROCPRIM_400000_NS6detail17trampoline_kernelINS0_14default_configENS1_36segmented_radix_sort_config_selectorI6__halflEEZNS1_25segmented_radix_sort_implIS3_Lb1EPKS5_PS5_PKlPlN2at6native12_GLOBAL__N_18offset_tEEE10hipError_tPvRmT1_PNSt15iterator_traitsISL_E10value_typeET2_T3_PNSM_ISR_E10value_typeET4_jRbjT5_SX_jjP12ihipStream_tbEUlT_E1_NS1_11comp_targetILNS1_3genE3ELNS1_11target_archE908ELNS1_3gpuE7ELNS1_3repE0EEENS1_59segmented_radix_sort_warp_sort_small_config_static_selectorELNS0_4arch9wavefront6targetE1EEEvSL_,comdat
.Lfunc_end1761:
	.size	_ZN7rocprim17ROCPRIM_400000_NS6detail17trampoline_kernelINS0_14default_configENS1_36segmented_radix_sort_config_selectorI6__halflEEZNS1_25segmented_radix_sort_implIS3_Lb1EPKS5_PS5_PKlPlN2at6native12_GLOBAL__N_18offset_tEEE10hipError_tPvRmT1_PNSt15iterator_traitsISL_E10value_typeET2_T3_PNSM_ISR_E10value_typeET4_jRbjT5_SX_jjP12ihipStream_tbEUlT_E1_NS1_11comp_targetILNS1_3genE3ELNS1_11target_archE908ELNS1_3gpuE7ELNS1_3repE0EEENS1_59segmented_radix_sort_warp_sort_small_config_static_selectorELNS0_4arch9wavefront6targetE1EEEvSL_, .Lfunc_end1761-_ZN7rocprim17ROCPRIM_400000_NS6detail17trampoline_kernelINS0_14default_configENS1_36segmented_radix_sort_config_selectorI6__halflEEZNS1_25segmented_radix_sort_implIS3_Lb1EPKS5_PS5_PKlPlN2at6native12_GLOBAL__N_18offset_tEEE10hipError_tPvRmT1_PNSt15iterator_traitsISL_E10value_typeET2_T3_PNSM_ISR_E10value_typeET4_jRbjT5_SX_jjP12ihipStream_tbEUlT_E1_NS1_11comp_targetILNS1_3genE3ELNS1_11target_archE908ELNS1_3gpuE7ELNS1_3repE0EEENS1_59segmented_radix_sort_warp_sort_small_config_static_selectorELNS0_4arch9wavefront6targetE1EEEvSL_
                                        ; -- End function
	.section	.AMDGPU.csdata,"",@progbits
; Kernel info:
; codeLenInByte = 0
; NumSgprs: 4
; NumVgprs: 0
; NumAgprs: 0
; TotalNumVgprs: 0
; ScratchSize: 0
; MemoryBound: 0
; FloatMode: 240
; IeeeMode: 1
; LDSByteSize: 0 bytes/workgroup (compile time only)
; SGPRBlocks: 0
; VGPRBlocks: 0
; NumSGPRsForWavesPerEU: 4
; NumVGPRsForWavesPerEU: 1
; AccumOffset: 4
; Occupancy: 8
; WaveLimiterHint : 0
; COMPUTE_PGM_RSRC2:SCRATCH_EN: 0
; COMPUTE_PGM_RSRC2:USER_SGPR: 6
; COMPUTE_PGM_RSRC2:TRAP_HANDLER: 0
; COMPUTE_PGM_RSRC2:TGID_X_EN: 1
; COMPUTE_PGM_RSRC2:TGID_Y_EN: 0
; COMPUTE_PGM_RSRC2:TGID_Z_EN: 0
; COMPUTE_PGM_RSRC2:TIDIG_COMP_CNT: 0
; COMPUTE_PGM_RSRC3_GFX90A:ACCUM_OFFSET: 0
; COMPUTE_PGM_RSRC3_GFX90A:TG_SPLIT: 0
	.section	.text._ZN7rocprim17ROCPRIM_400000_NS6detail17trampoline_kernelINS0_14default_configENS1_36segmented_radix_sort_config_selectorI6__halflEEZNS1_25segmented_radix_sort_implIS3_Lb1EPKS5_PS5_PKlPlN2at6native12_GLOBAL__N_18offset_tEEE10hipError_tPvRmT1_PNSt15iterator_traitsISL_E10value_typeET2_T3_PNSM_ISR_E10value_typeET4_jRbjT5_SX_jjP12ihipStream_tbEUlT_E1_NS1_11comp_targetILNS1_3genE2ELNS1_11target_archE906ELNS1_3gpuE6ELNS1_3repE0EEENS1_59segmented_radix_sort_warp_sort_small_config_static_selectorELNS0_4arch9wavefront6targetE1EEEvSL_,"axG",@progbits,_ZN7rocprim17ROCPRIM_400000_NS6detail17trampoline_kernelINS0_14default_configENS1_36segmented_radix_sort_config_selectorI6__halflEEZNS1_25segmented_radix_sort_implIS3_Lb1EPKS5_PS5_PKlPlN2at6native12_GLOBAL__N_18offset_tEEE10hipError_tPvRmT1_PNSt15iterator_traitsISL_E10value_typeET2_T3_PNSM_ISR_E10value_typeET4_jRbjT5_SX_jjP12ihipStream_tbEUlT_E1_NS1_11comp_targetILNS1_3genE2ELNS1_11target_archE906ELNS1_3gpuE6ELNS1_3repE0EEENS1_59segmented_radix_sort_warp_sort_small_config_static_selectorELNS0_4arch9wavefront6targetE1EEEvSL_,comdat
	.globl	_ZN7rocprim17ROCPRIM_400000_NS6detail17trampoline_kernelINS0_14default_configENS1_36segmented_radix_sort_config_selectorI6__halflEEZNS1_25segmented_radix_sort_implIS3_Lb1EPKS5_PS5_PKlPlN2at6native12_GLOBAL__N_18offset_tEEE10hipError_tPvRmT1_PNSt15iterator_traitsISL_E10value_typeET2_T3_PNSM_ISR_E10value_typeET4_jRbjT5_SX_jjP12ihipStream_tbEUlT_E1_NS1_11comp_targetILNS1_3genE2ELNS1_11target_archE906ELNS1_3gpuE6ELNS1_3repE0EEENS1_59segmented_radix_sort_warp_sort_small_config_static_selectorELNS0_4arch9wavefront6targetE1EEEvSL_ ; -- Begin function _ZN7rocprim17ROCPRIM_400000_NS6detail17trampoline_kernelINS0_14default_configENS1_36segmented_radix_sort_config_selectorI6__halflEEZNS1_25segmented_radix_sort_implIS3_Lb1EPKS5_PS5_PKlPlN2at6native12_GLOBAL__N_18offset_tEEE10hipError_tPvRmT1_PNSt15iterator_traitsISL_E10value_typeET2_T3_PNSM_ISR_E10value_typeET4_jRbjT5_SX_jjP12ihipStream_tbEUlT_E1_NS1_11comp_targetILNS1_3genE2ELNS1_11target_archE906ELNS1_3gpuE6ELNS1_3repE0EEENS1_59segmented_radix_sort_warp_sort_small_config_static_selectorELNS0_4arch9wavefront6targetE1EEEvSL_
	.p2align	8
	.type	_ZN7rocprim17ROCPRIM_400000_NS6detail17trampoline_kernelINS0_14default_configENS1_36segmented_radix_sort_config_selectorI6__halflEEZNS1_25segmented_radix_sort_implIS3_Lb1EPKS5_PS5_PKlPlN2at6native12_GLOBAL__N_18offset_tEEE10hipError_tPvRmT1_PNSt15iterator_traitsISL_E10value_typeET2_T3_PNSM_ISR_E10value_typeET4_jRbjT5_SX_jjP12ihipStream_tbEUlT_E1_NS1_11comp_targetILNS1_3genE2ELNS1_11target_archE906ELNS1_3gpuE6ELNS1_3repE0EEENS1_59segmented_radix_sort_warp_sort_small_config_static_selectorELNS0_4arch9wavefront6targetE1EEEvSL_,@function
_ZN7rocprim17ROCPRIM_400000_NS6detail17trampoline_kernelINS0_14default_configENS1_36segmented_radix_sort_config_selectorI6__halflEEZNS1_25segmented_radix_sort_implIS3_Lb1EPKS5_PS5_PKlPlN2at6native12_GLOBAL__N_18offset_tEEE10hipError_tPvRmT1_PNSt15iterator_traitsISL_E10value_typeET2_T3_PNSM_ISR_E10value_typeET4_jRbjT5_SX_jjP12ihipStream_tbEUlT_E1_NS1_11comp_targetILNS1_3genE2ELNS1_11target_archE906ELNS1_3gpuE6ELNS1_3repE0EEENS1_59segmented_radix_sort_warp_sort_small_config_static_selectorELNS0_4arch9wavefront6targetE1EEEvSL_: ; @_ZN7rocprim17ROCPRIM_400000_NS6detail17trampoline_kernelINS0_14default_configENS1_36segmented_radix_sort_config_selectorI6__halflEEZNS1_25segmented_radix_sort_implIS3_Lb1EPKS5_PS5_PKlPlN2at6native12_GLOBAL__N_18offset_tEEE10hipError_tPvRmT1_PNSt15iterator_traitsISL_E10value_typeET2_T3_PNSM_ISR_E10value_typeET4_jRbjT5_SX_jjP12ihipStream_tbEUlT_E1_NS1_11comp_targetILNS1_3genE2ELNS1_11target_archE906ELNS1_3gpuE6ELNS1_3repE0EEENS1_59segmented_radix_sort_warp_sort_small_config_static_selectorELNS0_4arch9wavefront6targetE1EEEvSL_
; %bb.0:
	.section	.rodata,"a",@progbits
	.p2align	6, 0x0
	.amdhsa_kernel _ZN7rocprim17ROCPRIM_400000_NS6detail17trampoline_kernelINS0_14default_configENS1_36segmented_radix_sort_config_selectorI6__halflEEZNS1_25segmented_radix_sort_implIS3_Lb1EPKS5_PS5_PKlPlN2at6native12_GLOBAL__N_18offset_tEEE10hipError_tPvRmT1_PNSt15iterator_traitsISL_E10value_typeET2_T3_PNSM_ISR_E10value_typeET4_jRbjT5_SX_jjP12ihipStream_tbEUlT_E1_NS1_11comp_targetILNS1_3genE2ELNS1_11target_archE906ELNS1_3gpuE6ELNS1_3repE0EEENS1_59segmented_radix_sort_warp_sort_small_config_static_selectorELNS0_4arch9wavefront6targetE1EEEvSL_
		.amdhsa_group_segment_fixed_size 0
		.amdhsa_private_segment_fixed_size 0
		.amdhsa_kernarg_size 88
		.amdhsa_user_sgpr_count 6
		.amdhsa_user_sgpr_private_segment_buffer 1
		.amdhsa_user_sgpr_dispatch_ptr 0
		.amdhsa_user_sgpr_queue_ptr 0
		.amdhsa_user_sgpr_kernarg_segment_ptr 1
		.amdhsa_user_sgpr_dispatch_id 0
		.amdhsa_user_sgpr_flat_scratch_init 0
		.amdhsa_user_sgpr_kernarg_preload_length 0
		.amdhsa_user_sgpr_kernarg_preload_offset 0
		.amdhsa_user_sgpr_private_segment_size 0
		.amdhsa_uses_dynamic_stack 0
		.amdhsa_system_sgpr_private_segment_wavefront_offset 0
		.amdhsa_system_sgpr_workgroup_id_x 1
		.amdhsa_system_sgpr_workgroup_id_y 0
		.amdhsa_system_sgpr_workgroup_id_z 0
		.amdhsa_system_sgpr_workgroup_info 0
		.amdhsa_system_vgpr_workitem_id 0
		.amdhsa_next_free_vgpr 1
		.amdhsa_next_free_sgpr 0
		.amdhsa_accum_offset 4
		.amdhsa_reserve_vcc 0
		.amdhsa_reserve_flat_scratch 0
		.amdhsa_float_round_mode_32 0
		.amdhsa_float_round_mode_16_64 0
		.amdhsa_float_denorm_mode_32 3
		.amdhsa_float_denorm_mode_16_64 3
		.amdhsa_dx10_clamp 1
		.amdhsa_ieee_mode 1
		.amdhsa_fp16_overflow 0
		.amdhsa_tg_split 0
		.amdhsa_exception_fp_ieee_invalid_op 0
		.amdhsa_exception_fp_denorm_src 0
		.amdhsa_exception_fp_ieee_div_zero 0
		.amdhsa_exception_fp_ieee_overflow 0
		.amdhsa_exception_fp_ieee_underflow 0
		.amdhsa_exception_fp_ieee_inexact 0
		.amdhsa_exception_int_div_zero 0
	.end_amdhsa_kernel
	.section	.text._ZN7rocprim17ROCPRIM_400000_NS6detail17trampoline_kernelINS0_14default_configENS1_36segmented_radix_sort_config_selectorI6__halflEEZNS1_25segmented_radix_sort_implIS3_Lb1EPKS5_PS5_PKlPlN2at6native12_GLOBAL__N_18offset_tEEE10hipError_tPvRmT1_PNSt15iterator_traitsISL_E10value_typeET2_T3_PNSM_ISR_E10value_typeET4_jRbjT5_SX_jjP12ihipStream_tbEUlT_E1_NS1_11comp_targetILNS1_3genE2ELNS1_11target_archE906ELNS1_3gpuE6ELNS1_3repE0EEENS1_59segmented_radix_sort_warp_sort_small_config_static_selectorELNS0_4arch9wavefront6targetE1EEEvSL_,"axG",@progbits,_ZN7rocprim17ROCPRIM_400000_NS6detail17trampoline_kernelINS0_14default_configENS1_36segmented_radix_sort_config_selectorI6__halflEEZNS1_25segmented_radix_sort_implIS3_Lb1EPKS5_PS5_PKlPlN2at6native12_GLOBAL__N_18offset_tEEE10hipError_tPvRmT1_PNSt15iterator_traitsISL_E10value_typeET2_T3_PNSM_ISR_E10value_typeET4_jRbjT5_SX_jjP12ihipStream_tbEUlT_E1_NS1_11comp_targetILNS1_3genE2ELNS1_11target_archE906ELNS1_3gpuE6ELNS1_3repE0EEENS1_59segmented_radix_sort_warp_sort_small_config_static_selectorELNS0_4arch9wavefront6targetE1EEEvSL_,comdat
.Lfunc_end1762:
	.size	_ZN7rocprim17ROCPRIM_400000_NS6detail17trampoline_kernelINS0_14default_configENS1_36segmented_radix_sort_config_selectorI6__halflEEZNS1_25segmented_radix_sort_implIS3_Lb1EPKS5_PS5_PKlPlN2at6native12_GLOBAL__N_18offset_tEEE10hipError_tPvRmT1_PNSt15iterator_traitsISL_E10value_typeET2_T3_PNSM_ISR_E10value_typeET4_jRbjT5_SX_jjP12ihipStream_tbEUlT_E1_NS1_11comp_targetILNS1_3genE2ELNS1_11target_archE906ELNS1_3gpuE6ELNS1_3repE0EEENS1_59segmented_radix_sort_warp_sort_small_config_static_selectorELNS0_4arch9wavefront6targetE1EEEvSL_, .Lfunc_end1762-_ZN7rocprim17ROCPRIM_400000_NS6detail17trampoline_kernelINS0_14default_configENS1_36segmented_radix_sort_config_selectorI6__halflEEZNS1_25segmented_radix_sort_implIS3_Lb1EPKS5_PS5_PKlPlN2at6native12_GLOBAL__N_18offset_tEEE10hipError_tPvRmT1_PNSt15iterator_traitsISL_E10value_typeET2_T3_PNSM_ISR_E10value_typeET4_jRbjT5_SX_jjP12ihipStream_tbEUlT_E1_NS1_11comp_targetILNS1_3genE2ELNS1_11target_archE906ELNS1_3gpuE6ELNS1_3repE0EEENS1_59segmented_radix_sort_warp_sort_small_config_static_selectorELNS0_4arch9wavefront6targetE1EEEvSL_
                                        ; -- End function
	.section	.AMDGPU.csdata,"",@progbits
; Kernel info:
; codeLenInByte = 0
; NumSgprs: 4
; NumVgprs: 0
; NumAgprs: 0
; TotalNumVgprs: 0
; ScratchSize: 0
; MemoryBound: 0
; FloatMode: 240
; IeeeMode: 1
; LDSByteSize: 0 bytes/workgroup (compile time only)
; SGPRBlocks: 0
; VGPRBlocks: 0
; NumSGPRsForWavesPerEU: 4
; NumVGPRsForWavesPerEU: 1
; AccumOffset: 4
; Occupancy: 8
; WaveLimiterHint : 0
; COMPUTE_PGM_RSRC2:SCRATCH_EN: 0
; COMPUTE_PGM_RSRC2:USER_SGPR: 6
; COMPUTE_PGM_RSRC2:TRAP_HANDLER: 0
; COMPUTE_PGM_RSRC2:TGID_X_EN: 1
; COMPUTE_PGM_RSRC2:TGID_Y_EN: 0
; COMPUTE_PGM_RSRC2:TGID_Z_EN: 0
; COMPUTE_PGM_RSRC2:TIDIG_COMP_CNT: 0
; COMPUTE_PGM_RSRC3_GFX90A:ACCUM_OFFSET: 0
; COMPUTE_PGM_RSRC3_GFX90A:TG_SPLIT: 0
	.section	.text._ZN7rocprim17ROCPRIM_400000_NS6detail17trampoline_kernelINS0_14default_configENS1_36segmented_radix_sort_config_selectorI6__halflEEZNS1_25segmented_radix_sort_implIS3_Lb1EPKS5_PS5_PKlPlN2at6native12_GLOBAL__N_18offset_tEEE10hipError_tPvRmT1_PNSt15iterator_traitsISL_E10value_typeET2_T3_PNSM_ISR_E10value_typeET4_jRbjT5_SX_jjP12ihipStream_tbEUlT_E1_NS1_11comp_targetILNS1_3genE10ELNS1_11target_archE1201ELNS1_3gpuE5ELNS1_3repE0EEENS1_59segmented_radix_sort_warp_sort_small_config_static_selectorELNS0_4arch9wavefront6targetE1EEEvSL_,"axG",@progbits,_ZN7rocprim17ROCPRIM_400000_NS6detail17trampoline_kernelINS0_14default_configENS1_36segmented_radix_sort_config_selectorI6__halflEEZNS1_25segmented_radix_sort_implIS3_Lb1EPKS5_PS5_PKlPlN2at6native12_GLOBAL__N_18offset_tEEE10hipError_tPvRmT1_PNSt15iterator_traitsISL_E10value_typeET2_T3_PNSM_ISR_E10value_typeET4_jRbjT5_SX_jjP12ihipStream_tbEUlT_E1_NS1_11comp_targetILNS1_3genE10ELNS1_11target_archE1201ELNS1_3gpuE5ELNS1_3repE0EEENS1_59segmented_radix_sort_warp_sort_small_config_static_selectorELNS0_4arch9wavefront6targetE1EEEvSL_,comdat
	.globl	_ZN7rocprim17ROCPRIM_400000_NS6detail17trampoline_kernelINS0_14default_configENS1_36segmented_radix_sort_config_selectorI6__halflEEZNS1_25segmented_radix_sort_implIS3_Lb1EPKS5_PS5_PKlPlN2at6native12_GLOBAL__N_18offset_tEEE10hipError_tPvRmT1_PNSt15iterator_traitsISL_E10value_typeET2_T3_PNSM_ISR_E10value_typeET4_jRbjT5_SX_jjP12ihipStream_tbEUlT_E1_NS1_11comp_targetILNS1_3genE10ELNS1_11target_archE1201ELNS1_3gpuE5ELNS1_3repE0EEENS1_59segmented_radix_sort_warp_sort_small_config_static_selectorELNS0_4arch9wavefront6targetE1EEEvSL_ ; -- Begin function _ZN7rocprim17ROCPRIM_400000_NS6detail17trampoline_kernelINS0_14default_configENS1_36segmented_radix_sort_config_selectorI6__halflEEZNS1_25segmented_radix_sort_implIS3_Lb1EPKS5_PS5_PKlPlN2at6native12_GLOBAL__N_18offset_tEEE10hipError_tPvRmT1_PNSt15iterator_traitsISL_E10value_typeET2_T3_PNSM_ISR_E10value_typeET4_jRbjT5_SX_jjP12ihipStream_tbEUlT_E1_NS1_11comp_targetILNS1_3genE10ELNS1_11target_archE1201ELNS1_3gpuE5ELNS1_3repE0EEENS1_59segmented_radix_sort_warp_sort_small_config_static_selectorELNS0_4arch9wavefront6targetE1EEEvSL_
	.p2align	8
	.type	_ZN7rocprim17ROCPRIM_400000_NS6detail17trampoline_kernelINS0_14default_configENS1_36segmented_radix_sort_config_selectorI6__halflEEZNS1_25segmented_radix_sort_implIS3_Lb1EPKS5_PS5_PKlPlN2at6native12_GLOBAL__N_18offset_tEEE10hipError_tPvRmT1_PNSt15iterator_traitsISL_E10value_typeET2_T3_PNSM_ISR_E10value_typeET4_jRbjT5_SX_jjP12ihipStream_tbEUlT_E1_NS1_11comp_targetILNS1_3genE10ELNS1_11target_archE1201ELNS1_3gpuE5ELNS1_3repE0EEENS1_59segmented_radix_sort_warp_sort_small_config_static_selectorELNS0_4arch9wavefront6targetE1EEEvSL_,@function
_ZN7rocprim17ROCPRIM_400000_NS6detail17trampoline_kernelINS0_14default_configENS1_36segmented_radix_sort_config_selectorI6__halflEEZNS1_25segmented_radix_sort_implIS3_Lb1EPKS5_PS5_PKlPlN2at6native12_GLOBAL__N_18offset_tEEE10hipError_tPvRmT1_PNSt15iterator_traitsISL_E10value_typeET2_T3_PNSM_ISR_E10value_typeET4_jRbjT5_SX_jjP12ihipStream_tbEUlT_E1_NS1_11comp_targetILNS1_3genE10ELNS1_11target_archE1201ELNS1_3gpuE5ELNS1_3repE0EEENS1_59segmented_radix_sort_warp_sort_small_config_static_selectorELNS0_4arch9wavefront6targetE1EEEvSL_: ; @_ZN7rocprim17ROCPRIM_400000_NS6detail17trampoline_kernelINS0_14default_configENS1_36segmented_radix_sort_config_selectorI6__halflEEZNS1_25segmented_radix_sort_implIS3_Lb1EPKS5_PS5_PKlPlN2at6native12_GLOBAL__N_18offset_tEEE10hipError_tPvRmT1_PNSt15iterator_traitsISL_E10value_typeET2_T3_PNSM_ISR_E10value_typeET4_jRbjT5_SX_jjP12ihipStream_tbEUlT_E1_NS1_11comp_targetILNS1_3genE10ELNS1_11target_archE1201ELNS1_3gpuE5ELNS1_3repE0EEENS1_59segmented_radix_sort_warp_sort_small_config_static_selectorELNS0_4arch9wavefront6targetE1EEEvSL_
; %bb.0:
	.section	.rodata,"a",@progbits
	.p2align	6, 0x0
	.amdhsa_kernel _ZN7rocprim17ROCPRIM_400000_NS6detail17trampoline_kernelINS0_14default_configENS1_36segmented_radix_sort_config_selectorI6__halflEEZNS1_25segmented_radix_sort_implIS3_Lb1EPKS5_PS5_PKlPlN2at6native12_GLOBAL__N_18offset_tEEE10hipError_tPvRmT1_PNSt15iterator_traitsISL_E10value_typeET2_T3_PNSM_ISR_E10value_typeET4_jRbjT5_SX_jjP12ihipStream_tbEUlT_E1_NS1_11comp_targetILNS1_3genE10ELNS1_11target_archE1201ELNS1_3gpuE5ELNS1_3repE0EEENS1_59segmented_radix_sort_warp_sort_small_config_static_selectorELNS0_4arch9wavefront6targetE1EEEvSL_
		.amdhsa_group_segment_fixed_size 0
		.amdhsa_private_segment_fixed_size 0
		.amdhsa_kernarg_size 88
		.amdhsa_user_sgpr_count 6
		.amdhsa_user_sgpr_private_segment_buffer 1
		.amdhsa_user_sgpr_dispatch_ptr 0
		.amdhsa_user_sgpr_queue_ptr 0
		.amdhsa_user_sgpr_kernarg_segment_ptr 1
		.amdhsa_user_sgpr_dispatch_id 0
		.amdhsa_user_sgpr_flat_scratch_init 0
		.amdhsa_user_sgpr_kernarg_preload_length 0
		.amdhsa_user_sgpr_kernarg_preload_offset 0
		.amdhsa_user_sgpr_private_segment_size 0
		.amdhsa_uses_dynamic_stack 0
		.amdhsa_system_sgpr_private_segment_wavefront_offset 0
		.amdhsa_system_sgpr_workgroup_id_x 1
		.amdhsa_system_sgpr_workgroup_id_y 0
		.amdhsa_system_sgpr_workgroup_id_z 0
		.amdhsa_system_sgpr_workgroup_info 0
		.amdhsa_system_vgpr_workitem_id 0
		.amdhsa_next_free_vgpr 1
		.amdhsa_next_free_sgpr 0
		.amdhsa_accum_offset 4
		.amdhsa_reserve_vcc 0
		.amdhsa_reserve_flat_scratch 0
		.amdhsa_float_round_mode_32 0
		.amdhsa_float_round_mode_16_64 0
		.amdhsa_float_denorm_mode_32 3
		.amdhsa_float_denorm_mode_16_64 3
		.amdhsa_dx10_clamp 1
		.amdhsa_ieee_mode 1
		.amdhsa_fp16_overflow 0
		.amdhsa_tg_split 0
		.amdhsa_exception_fp_ieee_invalid_op 0
		.amdhsa_exception_fp_denorm_src 0
		.amdhsa_exception_fp_ieee_div_zero 0
		.amdhsa_exception_fp_ieee_overflow 0
		.amdhsa_exception_fp_ieee_underflow 0
		.amdhsa_exception_fp_ieee_inexact 0
		.amdhsa_exception_int_div_zero 0
	.end_amdhsa_kernel
	.section	.text._ZN7rocprim17ROCPRIM_400000_NS6detail17trampoline_kernelINS0_14default_configENS1_36segmented_radix_sort_config_selectorI6__halflEEZNS1_25segmented_radix_sort_implIS3_Lb1EPKS5_PS5_PKlPlN2at6native12_GLOBAL__N_18offset_tEEE10hipError_tPvRmT1_PNSt15iterator_traitsISL_E10value_typeET2_T3_PNSM_ISR_E10value_typeET4_jRbjT5_SX_jjP12ihipStream_tbEUlT_E1_NS1_11comp_targetILNS1_3genE10ELNS1_11target_archE1201ELNS1_3gpuE5ELNS1_3repE0EEENS1_59segmented_radix_sort_warp_sort_small_config_static_selectorELNS0_4arch9wavefront6targetE1EEEvSL_,"axG",@progbits,_ZN7rocprim17ROCPRIM_400000_NS6detail17trampoline_kernelINS0_14default_configENS1_36segmented_radix_sort_config_selectorI6__halflEEZNS1_25segmented_radix_sort_implIS3_Lb1EPKS5_PS5_PKlPlN2at6native12_GLOBAL__N_18offset_tEEE10hipError_tPvRmT1_PNSt15iterator_traitsISL_E10value_typeET2_T3_PNSM_ISR_E10value_typeET4_jRbjT5_SX_jjP12ihipStream_tbEUlT_E1_NS1_11comp_targetILNS1_3genE10ELNS1_11target_archE1201ELNS1_3gpuE5ELNS1_3repE0EEENS1_59segmented_radix_sort_warp_sort_small_config_static_selectorELNS0_4arch9wavefront6targetE1EEEvSL_,comdat
.Lfunc_end1763:
	.size	_ZN7rocprim17ROCPRIM_400000_NS6detail17trampoline_kernelINS0_14default_configENS1_36segmented_radix_sort_config_selectorI6__halflEEZNS1_25segmented_radix_sort_implIS3_Lb1EPKS5_PS5_PKlPlN2at6native12_GLOBAL__N_18offset_tEEE10hipError_tPvRmT1_PNSt15iterator_traitsISL_E10value_typeET2_T3_PNSM_ISR_E10value_typeET4_jRbjT5_SX_jjP12ihipStream_tbEUlT_E1_NS1_11comp_targetILNS1_3genE10ELNS1_11target_archE1201ELNS1_3gpuE5ELNS1_3repE0EEENS1_59segmented_radix_sort_warp_sort_small_config_static_selectorELNS0_4arch9wavefront6targetE1EEEvSL_, .Lfunc_end1763-_ZN7rocprim17ROCPRIM_400000_NS6detail17trampoline_kernelINS0_14default_configENS1_36segmented_radix_sort_config_selectorI6__halflEEZNS1_25segmented_radix_sort_implIS3_Lb1EPKS5_PS5_PKlPlN2at6native12_GLOBAL__N_18offset_tEEE10hipError_tPvRmT1_PNSt15iterator_traitsISL_E10value_typeET2_T3_PNSM_ISR_E10value_typeET4_jRbjT5_SX_jjP12ihipStream_tbEUlT_E1_NS1_11comp_targetILNS1_3genE10ELNS1_11target_archE1201ELNS1_3gpuE5ELNS1_3repE0EEENS1_59segmented_radix_sort_warp_sort_small_config_static_selectorELNS0_4arch9wavefront6targetE1EEEvSL_
                                        ; -- End function
	.section	.AMDGPU.csdata,"",@progbits
; Kernel info:
; codeLenInByte = 0
; NumSgprs: 4
; NumVgprs: 0
; NumAgprs: 0
; TotalNumVgprs: 0
; ScratchSize: 0
; MemoryBound: 0
; FloatMode: 240
; IeeeMode: 1
; LDSByteSize: 0 bytes/workgroup (compile time only)
; SGPRBlocks: 0
; VGPRBlocks: 0
; NumSGPRsForWavesPerEU: 4
; NumVGPRsForWavesPerEU: 1
; AccumOffset: 4
; Occupancy: 8
; WaveLimiterHint : 0
; COMPUTE_PGM_RSRC2:SCRATCH_EN: 0
; COMPUTE_PGM_RSRC2:USER_SGPR: 6
; COMPUTE_PGM_RSRC2:TRAP_HANDLER: 0
; COMPUTE_PGM_RSRC2:TGID_X_EN: 1
; COMPUTE_PGM_RSRC2:TGID_Y_EN: 0
; COMPUTE_PGM_RSRC2:TGID_Z_EN: 0
; COMPUTE_PGM_RSRC2:TIDIG_COMP_CNT: 0
; COMPUTE_PGM_RSRC3_GFX90A:ACCUM_OFFSET: 0
; COMPUTE_PGM_RSRC3_GFX90A:TG_SPLIT: 0
	.section	.text._ZN7rocprim17ROCPRIM_400000_NS6detail17trampoline_kernelINS0_14default_configENS1_36segmented_radix_sort_config_selectorI6__halflEEZNS1_25segmented_radix_sort_implIS3_Lb1EPKS5_PS5_PKlPlN2at6native12_GLOBAL__N_18offset_tEEE10hipError_tPvRmT1_PNSt15iterator_traitsISL_E10value_typeET2_T3_PNSM_ISR_E10value_typeET4_jRbjT5_SX_jjP12ihipStream_tbEUlT_E1_NS1_11comp_targetILNS1_3genE10ELNS1_11target_archE1200ELNS1_3gpuE4ELNS1_3repE0EEENS1_59segmented_radix_sort_warp_sort_small_config_static_selectorELNS0_4arch9wavefront6targetE1EEEvSL_,"axG",@progbits,_ZN7rocprim17ROCPRIM_400000_NS6detail17trampoline_kernelINS0_14default_configENS1_36segmented_radix_sort_config_selectorI6__halflEEZNS1_25segmented_radix_sort_implIS3_Lb1EPKS5_PS5_PKlPlN2at6native12_GLOBAL__N_18offset_tEEE10hipError_tPvRmT1_PNSt15iterator_traitsISL_E10value_typeET2_T3_PNSM_ISR_E10value_typeET4_jRbjT5_SX_jjP12ihipStream_tbEUlT_E1_NS1_11comp_targetILNS1_3genE10ELNS1_11target_archE1200ELNS1_3gpuE4ELNS1_3repE0EEENS1_59segmented_radix_sort_warp_sort_small_config_static_selectorELNS0_4arch9wavefront6targetE1EEEvSL_,comdat
	.globl	_ZN7rocprim17ROCPRIM_400000_NS6detail17trampoline_kernelINS0_14default_configENS1_36segmented_radix_sort_config_selectorI6__halflEEZNS1_25segmented_radix_sort_implIS3_Lb1EPKS5_PS5_PKlPlN2at6native12_GLOBAL__N_18offset_tEEE10hipError_tPvRmT1_PNSt15iterator_traitsISL_E10value_typeET2_T3_PNSM_ISR_E10value_typeET4_jRbjT5_SX_jjP12ihipStream_tbEUlT_E1_NS1_11comp_targetILNS1_3genE10ELNS1_11target_archE1200ELNS1_3gpuE4ELNS1_3repE0EEENS1_59segmented_radix_sort_warp_sort_small_config_static_selectorELNS0_4arch9wavefront6targetE1EEEvSL_ ; -- Begin function _ZN7rocprim17ROCPRIM_400000_NS6detail17trampoline_kernelINS0_14default_configENS1_36segmented_radix_sort_config_selectorI6__halflEEZNS1_25segmented_radix_sort_implIS3_Lb1EPKS5_PS5_PKlPlN2at6native12_GLOBAL__N_18offset_tEEE10hipError_tPvRmT1_PNSt15iterator_traitsISL_E10value_typeET2_T3_PNSM_ISR_E10value_typeET4_jRbjT5_SX_jjP12ihipStream_tbEUlT_E1_NS1_11comp_targetILNS1_3genE10ELNS1_11target_archE1200ELNS1_3gpuE4ELNS1_3repE0EEENS1_59segmented_radix_sort_warp_sort_small_config_static_selectorELNS0_4arch9wavefront6targetE1EEEvSL_
	.p2align	8
	.type	_ZN7rocprim17ROCPRIM_400000_NS6detail17trampoline_kernelINS0_14default_configENS1_36segmented_radix_sort_config_selectorI6__halflEEZNS1_25segmented_radix_sort_implIS3_Lb1EPKS5_PS5_PKlPlN2at6native12_GLOBAL__N_18offset_tEEE10hipError_tPvRmT1_PNSt15iterator_traitsISL_E10value_typeET2_T3_PNSM_ISR_E10value_typeET4_jRbjT5_SX_jjP12ihipStream_tbEUlT_E1_NS1_11comp_targetILNS1_3genE10ELNS1_11target_archE1200ELNS1_3gpuE4ELNS1_3repE0EEENS1_59segmented_radix_sort_warp_sort_small_config_static_selectorELNS0_4arch9wavefront6targetE1EEEvSL_,@function
_ZN7rocprim17ROCPRIM_400000_NS6detail17trampoline_kernelINS0_14default_configENS1_36segmented_radix_sort_config_selectorI6__halflEEZNS1_25segmented_radix_sort_implIS3_Lb1EPKS5_PS5_PKlPlN2at6native12_GLOBAL__N_18offset_tEEE10hipError_tPvRmT1_PNSt15iterator_traitsISL_E10value_typeET2_T3_PNSM_ISR_E10value_typeET4_jRbjT5_SX_jjP12ihipStream_tbEUlT_E1_NS1_11comp_targetILNS1_3genE10ELNS1_11target_archE1200ELNS1_3gpuE4ELNS1_3repE0EEENS1_59segmented_radix_sort_warp_sort_small_config_static_selectorELNS0_4arch9wavefront6targetE1EEEvSL_: ; @_ZN7rocprim17ROCPRIM_400000_NS6detail17trampoline_kernelINS0_14default_configENS1_36segmented_radix_sort_config_selectorI6__halflEEZNS1_25segmented_radix_sort_implIS3_Lb1EPKS5_PS5_PKlPlN2at6native12_GLOBAL__N_18offset_tEEE10hipError_tPvRmT1_PNSt15iterator_traitsISL_E10value_typeET2_T3_PNSM_ISR_E10value_typeET4_jRbjT5_SX_jjP12ihipStream_tbEUlT_E1_NS1_11comp_targetILNS1_3genE10ELNS1_11target_archE1200ELNS1_3gpuE4ELNS1_3repE0EEENS1_59segmented_radix_sort_warp_sort_small_config_static_selectorELNS0_4arch9wavefront6targetE1EEEvSL_
; %bb.0:
	.section	.rodata,"a",@progbits
	.p2align	6, 0x0
	.amdhsa_kernel _ZN7rocprim17ROCPRIM_400000_NS6detail17trampoline_kernelINS0_14default_configENS1_36segmented_radix_sort_config_selectorI6__halflEEZNS1_25segmented_radix_sort_implIS3_Lb1EPKS5_PS5_PKlPlN2at6native12_GLOBAL__N_18offset_tEEE10hipError_tPvRmT1_PNSt15iterator_traitsISL_E10value_typeET2_T3_PNSM_ISR_E10value_typeET4_jRbjT5_SX_jjP12ihipStream_tbEUlT_E1_NS1_11comp_targetILNS1_3genE10ELNS1_11target_archE1200ELNS1_3gpuE4ELNS1_3repE0EEENS1_59segmented_radix_sort_warp_sort_small_config_static_selectorELNS0_4arch9wavefront6targetE1EEEvSL_
		.amdhsa_group_segment_fixed_size 0
		.amdhsa_private_segment_fixed_size 0
		.amdhsa_kernarg_size 88
		.amdhsa_user_sgpr_count 6
		.amdhsa_user_sgpr_private_segment_buffer 1
		.amdhsa_user_sgpr_dispatch_ptr 0
		.amdhsa_user_sgpr_queue_ptr 0
		.amdhsa_user_sgpr_kernarg_segment_ptr 1
		.amdhsa_user_sgpr_dispatch_id 0
		.amdhsa_user_sgpr_flat_scratch_init 0
		.amdhsa_user_sgpr_kernarg_preload_length 0
		.amdhsa_user_sgpr_kernarg_preload_offset 0
		.amdhsa_user_sgpr_private_segment_size 0
		.amdhsa_uses_dynamic_stack 0
		.amdhsa_system_sgpr_private_segment_wavefront_offset 0
		.amdhsa_system_sgpr_workgroup_id_x 1
		.amdhsa_system_sgpr_workgroup_id_y 0
		.amdhsa_system_sgpr_workgroup_id_z 0
		.amdhsa_system_sgpr_workgroup_info 0
		.amdhsa_system_vgpr_workitem_id 0
		.amdhsa_next_free_vgpr 1
		.amdhsa_next_free_sgpr 0
		.amdhsa_accum_offset 4
		.amdhsa_reserve_vcc 0
		.amdhsa_reserve_flat_scratch 0
		.amdhsa_float_round_mode_32 0
		.amdhsa_float_round_mode_16_64 0
		.amdhsa_float_denorm_mode_32 3
		.amdhsa_float_denorm_mode_16_64 3
		.amdhsa_dx10_clamp 1
		.amdhsa_ieee_mode 1
		.amdhsa_fp16_overflow 0
		.amdhsa_tg_split 0
		.amdhsa_exception_fp_ieee_invalid_op 0
		.amdhsa_exception_fp_denorm_src 0
		.amdhsa_exception_fp_ieee_div_zero 0
		.amdhsa_exception_fp_ieee_overflow 0
		.amdhsa_exception_fp_ieee_underflow 0
		.amdhsa_exception_fp_ieee_inexact 0
		.amdhsa_exception_int_div_zero 0
	.end_amdhsa_kernel
	.section	.text._ZN7rocprim17ROCPRIM_400000_NS6detail17trampoline_kernelINS0_14default_configENS1_36segmented_radix_sort_config_selectorI6__halflEEZNS1_25segmented_radix_sort_implIS3_Lb1EPKS5_PS5_PKlPlN2at6native12_GLOBAL__N_18offset_tEEE10hipError_tPvRmT1_PNSt15iterator_traitsISL_E10value_typeET2_T3_PNSM_ISR_E10value_typeET4_jRbjT5_SX_jjP12ihipStream_tbEUlT_E1_NS1_11comp_targetILNS1_3genE10ELNS1_11target_archE1200ELNS1_3gpuE4ELNS1_3repE0EEENS1_59segmented_radix_sort_warp_sort_small_config_static_selectorELNS0_4arch9wavefront6targetE1EEEvSL_,"axG",@progbits,_ZN7rocprim17ROCPRIM_400000_NS6detail17trampoline_kernelINS0_14default_configENS1_36segmented_radix_sort_config_selectorI6__halflEEZNS1_25segmented_radix_sort_implIS3_Lb1EPKS5_PS5_PKlPlN2at6native12_GLOBAL__N_18offset_tEEE10hipError_tPvRmT1_PNSt15iterator_traitsISL_E10value_typeET2_T3_PNSM_ISR_E10value_typeET4_jRbjT5_SX_jjP12ihipStream_tbEUlT_E1_NS1_11comp_targetILNS1_3genE10ELNS1_11target_archE1200ELNS1_3gpuE4ELNS1_3repE0EEENS1_59segmented_radix_sort_warp_sort_small_config_static_selectorELNS0_4arch9wavefront6targetE1EEEvSL_,comdat
.Lfunc_end1764:
	.size	_ZN7rocprim17ROCPRIM_400000_NS6detail17trampoline_kernelINS0_14default_configENS1_36segmented_radix_sort_config_selectorI6__halflEEZNS1_25segmented_radix_sort_implIS3_Lb1EPKS5_PS5_PKlPlN2at6native12_GLOBAL__N_18offset_tEEE10hipError_tPvRmT1_PNSt15iterator_traitsISL_E10value_typeET2_T3_PNSM_ISR_E10value_typeET4_jRbjT5_SX_jjP12ihipStream_tbEUlT_E1_NS1_11comp_targetILNS1_3genE10ELNS1_11target_archE1200ELNS1_3gpuE4ELNS1_3repE0EEENS1_59segmented_radix_sort_warp_sort_small_config_static_selectorELNS0_4arch9wavefront6targetE1EEEvSL_, .Lfunc_end1764-_ZN7rocprim17ROCPRIM_400000_NS6detail17trampoline_kernelINS0_14default_configENS1_36segmented_radix_sort_config_selectorI6__halflEEZNS1_25segmented_radix_sort_implIS3_Lb1EPKS5_PS5_PKlPlN2at6native12_GLOBAL__N_18offset_tEEE10hipError_tPvRmT1_PNSt15iterator_traitsISL_E10value_typeET2_T3_PNSM_ISR_E10value_typeET4_jRbjT5_SX_jjP12ihipStream_tbEUlT_E1_NS1_11comp_targetILNS1_3genE10ELNS1_11target_archE1200ELNS1_3gpuE4ELNS1_3repE0EEENS1_59segmented_radix_sort_warp_sort_small_config_static_selectorELNS0_4arch9wavefront6targetE1EEEvSL_
                                        ; -- End function
	.section	.AMDGPU.csdata,"",@progbits
; Kernel info:
; codeLenInByte = 0
; NumSgprs: 4
; NumVgprs: 0
; NumAgprs: 0
; TotalNumVgprs: 0
; ScratchSize: 0
; MemoryBound: 0
; FloatMode: 240
; IeeeMode: 1
; LDSByteSize: 0 bytes/workgroup (compile time only)
; SGPRBlocks: 0
; VGPRBlocks: 0
; NumSGPRsForWavesPerEU: 4
; NumVGPRsForWavesPerEU: 1
; AccumOffset: 4
; Occupancy: 8
; WaveLimiterHint : 0
; COMPUTE_PGM_RSRC2:SCRATCH_EN: 0
; COMPUTE_PGM_RSRC2:USER_SGPR: 6
; COMPUTE_PGM_RSRC2:TRAP_HANDLER: 0
; COMPUTE_PGM_RSRC2:TGID_X_EN: 1
; COMPUTE_PGM_RSRC2:TGID_Y_EN: 0
; COMPUTE_PGM_RSRC2:TGID_Z_EN: 0
; COMPUTE_PGM_RSRC2:TIDIG_COMP_CNT: 0
; COMPUTE_PGM_RSRC3_GFX90A:ACCUM_OFFSET: 0
; COMPUTE_PGM_RSRC3_GFX90A:TG_SPLIT: 0
	.section	.text._ZN7rocprim17ROCPRIM_400000_NS6detail17trampoline_kernelINS0_14default_configENS1_36segmented_radix_sort_config_selectorI6__halflEEZNS1_25segmented_radix_sort_implIS3_Lb1EPKS5_PS5_PKlPlN2at6native12_GLOBAL__N_18offset_tEEE10hipError_tPvRmT1_PNSt15iterator_traitsISL_E10value_typeET2_T3_PNSM_ISR_E10value_typeET4_jRbjT5_SX_jjP12ihipStream_tbEUlT_E1_NS1_11comp_targetILNS1_3genE9ELNS1_11target_archE1100ELNS1_3gpuE3ELNS1_3repE0EEENS1_59segmented_radix_sort_warp_sort_small_config_static_selectorELNS0_4arch9wavefront6targetE1EEEvSL_,"axG",@progbits,_ZN7rocprim17ROCPRIM_400000_NS6detail17trampoline_kernelINS0_14default_configENS1_36segmented_radix_sort_config_selectorI6__halflEEZNS1_25segmented_radix_sort_implIS3_Lb1EPKS5_PS5_PKlPlN2at6native12_GLOBAL__N_18offset_tEEE10hipError_tPvRmT1_PNSt15iterator_traitsISL_E10value_typeET2_T3_PNSM_ISR_E10value_typeET4_jRbjT5_SX_jjP12ihipStream_tbEUlT_E1_NS1_11comp_targetILNS1_3genE9ELNS1_11target_archE1100ELNS1_3gpuE3ELNS1_3repE0EEENS1_59segmented_radix_sort_warp_sort_small_config_static_selectorELNS0_4arch9wavefront6targetE1EEEvSL_,comdat
	.globl	_ZN7rocprim17ROCPRIM_400000_NS6detail17trampoline_kernelINS0_14default_configENS1_36segmented_radix_sort_config_selectorI6__halflEEZNS1_25segmented_radix_sort_implIS3_Lb1EPKS5_PS5_PKlPlN2at6native12_GLOBAL__N_18offset_tEEE10hipError_tPvRmT1_PNSt15iterator_traitsISL_E10value_typeET2_T3_PNSM_ISR_E10value_typeET4_jRbjT5_SX_jjP12ihipStream_tbEUlT_E1_NS1_11comp_targetILNS1_3genE9ELNS1_11target_archE1100ELNS1_3gpuE3ELNS1_3repE0EEENS1_59segmented_radix_sort_warp_sort_small_config_static_selectorELNS0_4arch9wavefront6targetE1EEEvSL_ ; -- Begin function _ZN7rocprim17ROCPRIM_400000_NS6detail17trampoline_kernelINS0_14default_configENS1_36segmented_radix_sort_config_selectorI6__halflEEZNS1_25segmented_radix_sort_implIS3_Lb1EPKS5_PS5_PKlPlN2at6native12_GLOBAL__N_18offset_tEEE10hipError_tPvRmT1_PNSt15iterator_traitsISL_E10value_typeET2_T3_PNSM_ISR_E10value_typeET4_jRbjT5_SX_jjP12ihipStream_tbEUlT_E1_NS1_11comp_targetILNS1_3genE9ELNS1_11target_archE1100ELNS1_3gpuE3ELNS1_3repE0EEENS1_59segmented_radix_sort_warp_sort_small_config_static_selectorELNS0_4arch9wavefront6targetE1EEEvSL_
	.p2align	8
	.type	_ZN7rocprim17ROCPRIM_400000_NS6detail17trampoline_kernelINS0_14default_configENS1_36segmented_radix_sort_config_selectorI6__halflEEZNS1_25segmented_radix_sort_implIS3_Lb1EPKS5_PS5_PKlPlN2at6native12_GLOBAL__N_18offset_tEEE10hipError_tPvRmT1_PNSt15iterator_traitsISL_E10value_typeET2_T3_PNSM_ISR_E10value_typeET4_jRbjT5_SX_jjP12ihipStream_tbEUlT_E1_NS1_11comp_targetILNS1_3genE9ELNS1_11target_archE1100ELNS1_3gpuE3ELNS1_3repE0EEENS1_59segmented_radix_sort_warp_sort_small_config_static_selectorELNS0_4arch9wavefront6targetE1EEEvSL_,@function
_ZN7rocprim17ROCPRIM_400000_NS6detail17trampoline_kernelINS0_14default_configENS1_36segmented_radix_sort_config_selectorI6__halflEEZNS1_25segmented_radix_sort_implIS3_Lb1EPKS5_PS5_PKlPlN2at6native12_GLOBAL__N_18offset_tEEE10hipError_tPvRmT1_PNSt15iterator_traitsISL_E10value_typeET2_T3_PNSM_ISR_E10value_typeET4_jRbjT5_SX_jjP12ihipStream_tbEUlT_E1_NS1_11comp_targetILNS1_3genE9ELNS1_11target_archE1100ELNS1_3gpuE3ELNS1_3repE0EEENS1_59segmented_radix_sort_warp_sort_small_config_static_selectorELNS0_4arch9wavefront6targetE1EEEvSL_: ; @_ZN7rocprim17ROCPRIM_400000_NS6detail17trampoline_kernelINS0_14default_configENS1_36segmented_radix_sort_config_selectorI6__halflEEZNS1_25segmented_radix_sort_implIS3_Lb1EPKS5_PS5_PKlPlN2at6native12_GLOBAL__N_18offset_tEEE10hipError_tPvRmT1_PNSt15iterator_traitsISL_E10value_typeET2_T3_PNSM_ISR_E10value_typeET4_jRbjT5_SX_jjP12ihipStream_tbEUlT_E1_NS1_11comp_targetILNS1_3genE9ELNS1_11target_archE1100ELNS1_3gpuE3ELNS1_3repE0EEENS1_59segmented_radix_sort_warp_sort_small_config_static_selectorELNS0_4arch9wavefront6targetE1EEEvSL_
; %bb.0:
	.section	.rodata,"a",@progbits
	.p2align	6, 0x0
	.amdhsa_kernel _ZN7rocprim17ROCPRIM_400000_NS6detail17trampoline_kernelINS0_14default_configENS1_36segmented_radix_sort_config_selectorI6__halflEEZNS1_25segmented_radix_sort_implIS3_Lb1EPKS5_PS5_PKlPlN2at6native12_GLOBAL__N_18offset_tEEE10hipError_tPvRmT1_PNSt15iterator_traitsISL_E10value_typeET2_T3_PNSM_ISR_E10value_typeET4_jRbjT5_SX_jjP12ihipStream_tbEUlT_E1_NS1_11comp_targetILNS1_3genE9ELNS1_11target_archE1100ELNS1_3gpuE3ELNS1_3repE0EEENS1_59segmented_radix_sort_warp_sort_small_config_static_selectorELNS0_4arch9wavefront6targetE1EEEvSL_
		.amdhsa_group_segment_fixed_size 0
		.amdhsa_private_segment_fixed_size 0
		.amdhsa_kernarg_size 88
		.amdhsa_user_sgpr_count 6
		.amdhsa_user_sgpr_private_segment_buffer 1
		.amdhsa_user_sgpr_dispatch_ptr 0
		.amdhsa_user_sgpr_queue_ptr 0
		.amdhsa_user_sgpr_kernarg_segment_ptr 1
		.amdhsa_user_sgpr_dispatch_id 0
		.amdhsa_user_sgpr_flat_scratch_init 0
		.amdhsa_user_sgpr_kernarg_preload_length 0
		.amdhsa_user_sgpr_kernarg_preload_offset 0
		.amdhsa_user_sgpr_private_segment_size 0
		.amdhsa_uses_dynamic_stack 0
		.amdhsa_system_sgpr_private_segment_wavefront_offset 0
		.amdhsa_system_sgpr_workgroup_id_x 1
		.amdhsa_system_sgpr_workgroup_id_y 0
		.amdhsa_system_sgpr_workgroup_id_z 0
		.amdhsa_system_sgpr_workgroup_info 0
		.amdhsa_system_vgpr_workitem_id 0
		.amdhsa_next_free_vgpr 1
		.amdhsa_next_free_sgpr 0
		.amdhsa_accum_offset 4
		.amdhsa_reserve_vcc 0
		.amdhsa_reserve_flat_scratch 0
		.amdhsa_float_round_mode_32 0
		.amdhsa_float_round_mode_16_64 0
		.amdhsa_float_denorm_mode_32 3
		.amdhsa_float_denorm_mode_16_64 3
		.amdhsa_dx10_clamp 1
		.amdhsa_ieee_mode 1
		.amdhsa_fp16_overflow 0
		.amdhsa_tg_split 0
		.amdhsa_exception_fp_ieee_invalid_op 0
		.amdhsa_exception_fp_denorm_src 0
		.amdhsa_exception_fp_ieee_div_zero 0
		.amdhsa_exception_fp_ieee_overflow 0
		.amdhsa_exception_fp_ieee_underflow 0
		.amdhsa_exception_fp_ieee_inexact 0
		.amdhsa_exception_int_div_zero 0
	.end_amdhsa_kernel
	.section	.text._ZN7rocprim17ROCPRIM_400000_NS6detail17trampoline_kernelINS0_14default_configENS1_36segmented_radix_sort_config_selectorI6__halflEEZNS1_25segmented_radix_sort_implIS3_Lb1EPKS5_PS5_PKlPlN2at6native12_GLOBAL__N_18offset_tEEE10hipError_tPvRmT1_PNSt15iterator_traitsISL_E10value_typeET2_T3_PNSM_ISR_E10value_typeET4_jRbjT5_SX_jjP12ihipStream_tbEUlT_E1_NS1_11comp_targetILNS1_3genE9ELNS1_11target_archE1100ELNS1_3gpuE3ELNS1_3repE0EEENS1_59segmented_radix_sort_warp_sort_small_config_static_selectorELNS0_4arch9wavefront6targetE1EEEvSL_,"axG",@progbits,_ZN7rocprim17ROCPRIM_400000_NS6detail17trampoline_kernelINS0_14default_configENS1_36segmented_radix_sort_config_selectorI6__halflEEZNS1_25segmented_radix_sort_implIS3_Lb1EPKS5_PS5_PKlPlN2at6native12_GLOBAL__N_18offset_tEEE10hipError_tPvRmT1_PNSt15iterator_traitsISL_E10value_typeET2_T3_PNSM_ISR_E10value_typeET4_jRbjT5_SX_jjP12ihipStream_tbEUlT_E1_NS1_11comp_targetILNS1_3genE9ELNS1_11target_archE1100ELNS1_3gpuE3ELNS1_3repE0EEENS1_59segmented_radix_sort_warp_sort_small_config_static_selectorELNS0_4arch9wavefront6targetE1EEEvSL_,comdat
.Lfunc_end1765:
	.size	_ZN7rocprim17ROCPRIM_400000_NS6detail17trampoline_kernelINS0_14default_configENS1_36segmented_radix_sort_config_selectorI6__halflEEZNS1_25segmented_radix_sort_implIS3_Lb1EPKS5_PS5_PKlPlN2at6native12_GLOBAL__N_18offset_tEEE10hipError_tPvRmT1_PNSt15iterator_traitsISL_E10value_typeET2_T3_PNSM_ISR_E10value_typeET4_jRbjT5_SX_jjP12ihipStream_tbEUlT_E1_NS1_11comp_targetILNS1_3genE9ELNS1_11target_archE1100ELNS1_3gpuE3ELNS1_3repE0EEENS1_59segmented_radix_sort_warp_sort_small_config_static_selectorELNS0_4arch9wavefront6targetE1EEEvSL_, .Lfunc_end1765-_ZN7rocprim17ROCPRIM_400000_NS6detail17trampoline_kernelINS0_14default_configENS1_36segmented_radix_sort_config_selectorI6__halflEEZNS1_25segmented_radix_sort_implIS3_Lb1EPKS5_PS5_PKlPlN2at6native12_GLOBAL__N_18offset_tEEE10hipError_tPvRmT1_PNSt15iterator_traitsISL_E10value_typeET2_T3_PNSM_ISR_E10value_typeET4_jRbjT5_SX_jjP12ihipStream_tbEUlT_E1_NS1_11comp_targetILNS1_3genE9ELNS1_11target_archE1100ELNS1_3gpuE3ELNS1_3repE0EEENS1_59segmented_radix_sort_warp_sort_small_config_static_selectorELNS0_4arch9wavefront6targetE1EEEvSL_
                                        ; -- End function
	.section	.AMDGPU.csdata,"",@progbits
; Kernel info:
; codeLenInByte = 0
; NumSgprs: 4
; NumVgprs: 0
; NumAgprs: 0
; TotalNumVgprs: 0
; ScratchSize: 0
; MemoryBound: 0
; FloatMode: 240
; IeeeMode: 1
; LDSByteSize: 0 bytes/workgroup (compile time only)
; SGPRBlocks: 0
; VGPRBlocks: 0
; NumSGPRsForWavesPerEU: 4
; NumVGPRsForWavesPerEU: 1
; AccumOffset: 4
; Occupancy: 8
; WaveLimiterHint : 0
; COMPUTE_PGM_RSRC2:SCRATCH_EN: 0
; COMPUTE_PGM_RSRC2:USER_SGPR: 6
; COMPUTE_PGM_RSRC2:TRAP_HANDLER: 0
; COMPUTE_PGM_RSRC2:TGID_X_EN: 1
; COMPUTE_PGM_RSRC2:TGID_Y_EN: 0
; COMPUTE_PGM_RSRC2:TGID_Z_EN: 0
; COMPUTE_PGM_RSRC2:TIDIG_COMP_CNT: 0
; COMPUTE_PGM_RSRC3_GFX90A:ACCUM_OFFSET: 0
; COMPUTE_PGM_RSRC3_GFX90A:TG_SPLIT: 0
	.section	.text._ZN7rocprim17ROCPRIM_400000_NS6detail17trampoline_kernelINS0_14default_configENS1_36segmented_radix_sort_config_selectorI6__halflEEZNS1_25segmented_radix_sort_implIS3_Lb1EPKS5_PS5_PKlPlN2at6native12_GLOBAL__N_18offset_tEEE10hipError_tPvRmT1_PNSt15iterator_traitsISL_E10value_typeET2_T3_PNSM_ISR_E10value_typeET4_jRbjT5_SX_jjP12ihipStream_tbEUlT_E1_NS1_11comp_targetILNS1_3genE8ELNS1_11target_archE1030ELNS1_3gpuE2ELNS1_3repE0EEENS1_59segmented_radix_sort_warp_sort_small_config_static_selectorELNS0_4arch9wavefront6targetE1EEEvSL_,"axG",@progbits,_ZN7rocprim17ROCPRIM_400000_NS6detail17trampoline_kernelINS0_14default_configENS1_36segmented_radix_sort_config_selectorI6__halflEEZNS1_25segmented_radix_sort_implIS3_Lb1EPKS5_PS5_PKlPlN2at6native12_GLOBAL__N_18offset_tEEE10hipError_tPvRmT1_PNSt15iterator_traitsISL_E10value_typeET2_T3_PNSM_ISR_E10value_typeET4_jRbjT5_SX_jjP12ihipStream_tbEUlT_E1_NS1_11comp_targetILNS1_3genE8ELNS1_11target_archE1030ELNS1_3gpuE2ELNS1_3repE0EEENS1_59segmented_radix_sort_warp_sort_small_config_static_selectorELNS0_4arch9wavefront6targetE1EEEvSL_,comdat
	.globl	_ZN7rocprim17ROCPRIM_400000_NS6detail17trampoline_kernelINS0_14default_configENS1_36segmented_radix_sort_config_selectorI6__halflEEZNS1_25segmented_radix_sort_implIS3_Lb1EPKS5_PS5_PKlPlN2at6native12_GLOBAL__N_18offset_tEEE10hipError_tPvRmT1_PNSt15iterator_traitsISL_E10value_typeET2_T3_PNSM_ISR_E10value_typeET4_jRbjT5_SX_jjP12ihipStream_tbEUlT_E1_NS1_11comp_targetILNS1_3genE8ELNS1_11target_archE1030ELNS1_3gpuE2ELNS1_3repE0EEENS1_59segmented_radix_sort_warp_sort_small_config_static_selectorELNS0_4arch9wavefront6targetE1EEEvSL_ ; -- Begin function _ZN7rocprim17ROCPRIM_400000_NS6detail17trampoline_kernelINS0_14default_configENS1_36segmented_radix_sort_config_selectorI6__halflEEZNS1_25segmented_radix_sort_implIS3_Lb1EPKS5_PS5_PKlPlN2at6native12_GLOBAL__N_18offset_tEEE10hipError_tPvRmT1_PNSt15iterator_traitsISL_E10value_typeET2_T3_PNSM_ISR_E10value_typeET4_jRbjT5_SX_jjP12ihipStream_tbEUlT_E1_NS1_11comp_targetILNS1_3genE8ELNS1_11target_archE1030ELNS1_3gpuE2ELNS1_3repE0EEENS1_59segmented_radix_sort_warp_sort_small_config_static_selectorELNS0_4arch9wavefront6targetE1EEEvSL_
	.p2align	8
	.type	_ZN7rocprim17ROCPRIM_400000_NS6detail17trampoline_kernelINS0_14default_configENS1_36segmented_radix_sort_config_selectorI6__halflEEZNS1_25segmented_radix_sort_implIS3_Lb1EPKS5_PS5_PKlPlN2at6native12_GLOBAL__N_18offset_tEEE10hipError_tPvRmT1_PNSt15iterator_traitsISL_E10value_typeET2_T3_PNSM_ISR_E10value_typeET4_jRbjT5_SX_jjP12ihipStream_tbEUlT_E1_NS1_11comp_targetILNS1_3genE8ELNS1_11target_archE1030ELNS1_3gpuE2ELNS1_3repE0EEENS1_59segmented_radix_sort_warp_sort_small_config_static_selectorELNS0_4arch9wavefront6targetE1EEEvSL_,@function
_ZN7rocprim17ROCPRIM_400000_NS6detail17trampoline_kernelINS0_14default_configENS1_36segmented_radix_sort_config_selectorI6__halflEEZNS1_25segmented_radix_sort_implIS3_Lb1EPKS5_PS5_PKlPlN2at6native12_GLOBAL__N_18offset_tEEE10hipError_tPvRmT1_PNSt15iterator_traitsISL_E10value_typeET2_T3_PNSM_ISR_E10value_typeET4_jRbjT5_SX_jjP12ihipStream_tbEUlT_E1_NS1_11comp_targetILNS1_3genE8ELNS1_11target_archE1030ELNS1_3gpuE2ELNS1_3repE0EEENS1_59segmented_radix_sort_warp_sort_small_config_static_selectorELNS0_4arch9wavefront6targetE1EEEvSL_: ; @_ZN7rocprim17ROCPRIM_400000_NS6detail17trampoline_kernelINS0_14default_configENS1_36segmented_radix_sort_config_selectorI6__halflEEZNS1_25segmented_radix_sort_implIS3_Lb1EPKS5_PS5_PKlPlN2at6native12_GLOBAL__N_18offset_tEEE10hipError_tPvRmT1_PNSt15iterator_traitsISL_E10value_typeET2_T3_PNSM_ISR_E10value_typeET4_jRbjT5_SX_jjP12ihipStream_tbEUlT_E1_NS1_11comp_targetILNS1_3genE8ELNS1_11target_archE1030ELNS1_3gpuE2ELNS1_3repE0EEENS1_59segmented_radix_sort_warp_sort_small_config_static_selectorELNS0_4arch9wavefront6targetE1EEEvSL_
; %bb.0:
	.section	.rodata,"a",@progbits
	.p2align	6, 0x0
	.amdhsa_kernel _ZN7rocprim17ROCPRIM_400000_NS6detail17trampoline_kernelINS0_14default_configENS1_36segmented_radix_sort_config_selectorI6__halflEEZNS1_25segmented_radix_sort_implIS3_Lb1EPKS5_PS5_PKlPlN2at6native12_GLOBAL__N_18offset_tEEE10hipError_tPvRmT1_PNSt15iterator_traitsISL_E10value_typeET2_T3_PNSM_ISR_E10value_typeET4_jRbjT5_SX_jjP12ihipStream_tbEUlT_E1_NS1_11comp_targetILNS1_3genE8ELNS1_11target_archE1030ELNS1_3gpuE2ELNS1_3repE0EEENS1_59segmented_radix_sort_warp_sort_small_config_static_selectorELNS0_4arch9wavefront6targetE1EEEvSL_
		.amdhsa_group_segment_fixed_size 0
		.amdhsa_private_segment_fixed_size 0
		.amdhsa_kernarg_size 88
		.amdhsa_user_sgpr_count 6
		.amdhsa_user_sgpr_private_segment_buffer 1
		.amdhsa_user_sgpr_dispatch_ptr 0
		.amdhsa_user_sgpr_queue_ptr 0
		.amdhsa_user_sgpr_kernarg_segment_ptr 1
		.amdhsa_user_sgpr_dispatch_id 0
		.amdhsa_user_sgpr_flat_scratch_init 0
		.amdhsa_user_sgpr_kernarg_preload_length 0
		.amdhsa_user_sgpr_kernarg_preload_offset 0
		.amdhsa_user_sgpr_private_segment_size 0
		.amdhsa_uses_dynamic_stack 0
		.amdhsa_system_sgpr_private_segment_wavefront_offset 0
		.amdhsa_system_sgpr_workgroup_id_x 1
		.amdhsa_system_sgpr_workgroup_id_y 0
		.amdhsa_system_sgpr_workgroup_id_z 0
		.amdhsa_system_sgpr_workgroup_info 0
		.amdhsa_system_vgpr_workitem_id 0
		.amdhsa_next_free_vgpr 1
		.amdhsa_next_free_sgpr 0
		.amdhsa_accum_offset 4
		.amdhsa_reserve_vcc 0
		.amdhsa_reserve_flat_scratch 0
		.amdhsa_float_round_mode_32 0
		.amdhsa_float_round_mode_16_64 0
		.amdhsa_float_denorm_mode_32 3
		.amdhsa_float_denorm_mode_16_64 3
		.amdhsa_dx10_clamp 1
		.amdhsa_ieee_mode 1
		.amdhsa_fp16_overflow 0
		.amdhsa_tg_split 0
		.amdhsa_exception_fp_ieee_invalid_op 0
		.amdhsa_exception_fp_denorm_src 0
		.amdhsa_exception_fp_ieee_div_zero 0
		.amdhsa_exception_fp_ieee_overflow 0
		.amdhsa_exception_fp_ieee_underflow 0
		.amdhsa_exception_fp_ieee_inexact 0
		.amdhsa_exception_int_div_zero 0
	.end_amdhsa_kernel
	.section	.text._ZN7rocprim17ROCPRIM_400000_NS6detail17trampoline_kernelINS0_14default_configENS1_36segmented_radix_sort_config_selectorI6__halflEEZNS1_25segmented_radix_sort_implIS3_Lb1EPKS5_PS5_PKlPlN2at6native12_GLOBAL__N_18offset_tEEE10hipError_tPvRmT1_PNSt15iterator_traitsISL_E10value_typeET2_T3_PNSM_ISR_E10value_typeET4_jRbjT5_SX_jjP12ihipStream_tbEUlT_E1_NS1_11comp_targetILNS1_3genE8ELNS1_11target_archE1030ELNS1_3gpuE2ELNS1_3repE0EEENS1_59segmented_radix_sort_warp_sort_small_config_static_selectorELNS0_4arch9wavefront6targetE1EEEvSL_,"axG",@progbits,_ZN7rocprim17ROCPRIM_400000_NS6detail17trampoline_kernelINS0_14default_configENS1_36segmented_radix_sort_config_selectorI6__halflEEZNS1_25segmented_radix_sort_implIS3_Lb1EPKS5_PS5_PKlPlN2at6native12_GLOBAL__N_18offset_tEEE10hipError_tPvRmT1_PNSt15iterator_traitsISL_E10value_typeET2_T3_PNSM_ISR_E10value_typeET4_jRbjT5_SX_jjP12ihipStream_tbEUlT_E1_NS1_11comp_targetILNS1_3genE8ELNS1_11target_archE1030ELNS1_3gpuE2ELNS1_3repE0EEENS1_59segmented_radix_sort_warp_sort_small_config_static_selectorELNS0_4arch9wavefront6targetE1EEEvSL_,comdat
.Lfunc_end1766:
	.size	_ZN7rocprim17ROCPRIM_400000_NS6detail17trampoline_kernelINS0_14default_configENS1_36segmented_radix_sort_config_selectorI6__halflEEZNS1_25segmented_radix_sort_implIS3_Lb1EPKS5_PS5_PKlPlN2at6native12_GLOBAL__N_18offset_tEEE10hipError_tPvRmT1_PNSt15iterator_traitsISL_E10value_typeET2_T3_PNSM_ISR_E10value_typeET4_jRbjT5_SX_jjP12ihipStream_tbEUlT_E1_NS1_11comp_targetILNS1_3genE8ELNS1_11target_archE1030ELNS1_3gpuE2ELNS1_3repE0EEENS1_59segmented_radix_sort_warp_sort_small_config_static_selectorELNS0_4arch9wavefront6targetE1EEEvSL_, .Lfunc_end1766-_ZN7rocprim17ROCPRIM_400000_NS6detail17trampoline_kernelINS0_14default_configENS1_36segmented_radix_sort_config_selectorI6__halflEEZNS1_25segmented_radix_sort_implIS3_Lb1EPKS5_PS5_PKlPlN2at6native12_GLOBAL__N_18offset_tEEE10hipError_tPvRmT1_PNSt15iterator_traitsISL_E10value_typeET2_T3_PNSM_ISR_E10value_typeET4_jRbjT5_SX_jjP12ihipStream_tbEUlT_E1_NS1_11comp_targetILNS1_3genE8ELNS1_11target_archE1030ELNS1_3gpuE2ELNS1_3repE0EEENS1_59segmented_radix_sort_warp_sort_small_config_static_selectorELNS0_4arch9wavefront6targetE1EEEvSL_
                                        ; -- End function
	.section	.AMDGPU.csdata,"",@progbits
; Kernel info:
; codeLenInByte = 0
; NumSgprs: 4
; NumVgprs: 0
; NumAgprs: 0
; TotalNumVgprs: 0
; ScratchSize: 0
; MemoryBound: 0
; FloatMode: 240
; IeeeMode: 1
; LDSByteSize: 0 bytes/workgroup (compile time only)
; SGPRBlocks: 0
; VGPRBlocks: 0
; NumSGPRsForWavesPerEU: 4
; NumVGPRsForWavesPerEU: 1
; AccumOffset: 4
; Occupancy: 8
; WaveLimiterHint : 0
; COMPUTE_PGM_RSRC2:SCRATCH_EN: 0
; COMPUTE_PGM_RSRC2:USER_SGPR: 6
; COMPUTE_PGM_RSRC2:TRAP_HANDLER: 0
; COMPUTE_PGM_RSRC2:TGID_X_EN: 1
; COMPUTE_PGM_RSRC2:TGID_Y_EN: 0
; COMPUTE_PGM_RSRC2:TGID_Z_EN: 0
; COMPUTE_PGM_RSRC2:TIDIG_COMP_CNT: 0
; COMPUTE_PGM_RSRC3_GFX90A:ACCUM_OFFSET: 0
; COMPUTE_PGM_RSRC3_GFX90A:TG_SPLIT: 0
	.section	.text._ZN7rocprim17ROCPRIM_400000_NS6detail17trampoline_kernelINS0_14default_configENS1_36segmented_radix_sort_config_selectorI6__halflEEZNS1_25segmented_radix_sort_implIS3_Lb1EPKS5_PS5_PKlPlN2at6native12_GLOBAL__N_18offset_tEEE10hipError_tPvRmT1_PNSt15iterator_traitsISL_E10value_typeET2_T3_PNSM_ISR_E10value_typeET4_jRbjT5_SX_jjP12ihipStream_tbEUlT_E2_NS1_11comp_targetILNS1_3genE0ELNS1_11target_archE4294967295ELNS1_3gpuE0ELNS1_3repE0EEENS1_30default_config_static_selectorELNS0_4arch9wavefront6targetE1EEEvSL_,"axG",@progbits,_ZN7rocprim17ROCPRIM_400000_NS6detail17trampoline_kernelINS0_14default_configENS1_36segmented_radix_sort_config_selectorI6__halflEEZNS1_25segmented_radix_sort_implIS3_Lb1EPKS5_PS5_PKlPlN2at6native12_GLOBAL__N_18offset_tEEE10hipError_tPvRmT1_PNSt15iterator_traitsISL_E10value_typeET2_T3_PNSM_ISR_E10value_typeET4_jRbjT5_SX_jjP12ihipStream_tbEUlT_E2_NS1_11comp_targetILNS1_3genE0ELNS1_11target_archE4294967295ELNS1_3gpuE0ELNS1_3repE0EEENS1_30default_config_static_selectorELNS0_4arch9wavefront6targetE1EEEvSL_,comdat
	.globl	_ZN7rocprim17ROCPRIM_400000_NS6detail17trampoline_kernelINS0_14default_configENS1_36segmented_radix_sort_config_selectorI6__halflEEZNS1_25segmented_radix_sort_implIS3_Lb1EPKS5_PS5_PKlPlN2at6native12_GLOBAL__N_18offset_tEEE10hipError_tPvRmT1_PNSt15iterator_traitsISL_E10value_typeET2_T3_PNSM_ISR_E10value_typeET4_jRbjT5_SX_jjP12ihipStream_tbEUlT_E2_NS1_11comp_targetILNS1_3genE0ELNS1_11target_archE4294967295ELNS1_3gpuE0ELNS1_3repE0EEENS1_30default_config_static_selectorELNS0_4arch9wavefront6targetE1EEEvSL_ ; -- Begin function _ZN7rocprim17ROCPRIM_400000_NS6detail17trampoline_kernelINS0_14default_configENS1_36segmented_radix_sort_config_selectorI6__halflEEZNS1_25segmented_radix_sort_implIS3_Lb1EPKS5_PS5_PKlPlN2at6native12_GLOBAL__N_18offset_tEEE10hipError_tPvRmT1_PNSt15iterator_traitsISL_E10value_typeET2_T3_PNSM_ISR_E10value_typeET4_jRbjT5_SX_jjP12ihipStream_tbEUlT_E2_NS1_11comp_targetILNS1_3genE0ELNS1_11target_archE4294967295ELNS1_3gpuE0ELNS1_3repE0EEENS1_30default_config_static_selectorELNS0_4arch9wavefront6targetE1EEEvSL_
	.p2align	8
	.type	_ZN7rocprim17ROCPRIM_400000_NS6detail17trampoline_kernelINS0_14default_configENS1_36segmented_radix_sort_config_selectorI6__halflEEZNS1_25segmented_radix_sort_implIS3_Lb1EPKS5_PS5_PKlPlN2at6native12_GLOBAL__N_18offset_tEEE10hipError_tPvRmT1_PNSt15iterator_traitsISL_E10value_typeET2_T3_PNSM_ISR_E10value_typeET4_jRbjT5_SX_jjP12ihipStream_tbEUlT_E2_NS1_11comp_targetILNS1_3genE0ELNS1_11target_archE4294967295ELNS1_3gpuE0ELNS1_3repE0EEENS1_30default_config_static_selectorELNS0_4arch9wavefront6targetE1EEEvSL_,@function
_ZN7rocprim17ROCPRIM_400000_NS6detail17trampoline_kernelINS0_14default_configENS1_36segmented_radix_sort_config_selectorI6__halflEEZNS1_25segmented_radix_sort_implIS3_Lb1EPKS5_PS5_PKlPlN2at6native12_GLOBAL__N_18offset_tEEE10hipError_tPvRmT1_PNSt15iterator_traitsISL_E10value_typeET2_T3_PNSM_ISR_E10value_typeET4_jRbjT5_SX_jjP12ihipStream_tbEUlT_E2_NS1_11comp_targetILNS1_3genE0ELNS1_11target_archE4294967295ELNS1_3gpuE0ELNS1_3repE0EEENS1_30default_config_static_selectorELNS0_4arch9wavefront6targetE1EEEvSL_: ; @_ZN7rocprim17ROCPRIM_400000_NS6detail17trampoline_kernelINS0_14default_configENS1_36segmented_radix_sort_config_selectorI6__halflEEZNS1_25segmented_radix_sort_implIS3_Lb1EPKS5_PS5_PKlPlN2at6native12_GLOBAL__N_18offset_tEEE10hipError_tPvRmT1_PNSt15iterator_traitsISL_E10value_typeET2_T3_PNSM_ISR_E10value_typeET4_jRbjT5_SX_jjP12ihipStream_tbEUlT_E2_NS1_11comp_targetILNS1_3genE0ELNS1_11target_archE4294967295ELNS1_3gpuE0ELNS1_3repE0EEENS1_30default_config_static_selectorELNS0_4arch9wavefront6targetE1EEEvSL_
; %bb.0:
	.section	.rodata,"a",@progbits
	.p2align	6, 0x0
	.amdhsa_kernel _ZN7rocprim17ROCPRIM_400000_NS6detail17trampoline_kernelINS0_14default_configENS1_36segmented_radix_sort_config_selectorI6__halflEEZNS1_25segmented_radix_sort_implIS3_Lb1EPKS5_PS5_PKlPlN2at6native12_GLOBAL__N_18offset_tEEE10hipError_tPvRmT1_PNSt15iterator_traitsISL_E10value_typeET2_T3_PNSM_ISR_E10value_typeET4_jRbjT5_SX_jjP12ihipStream_tbEUlT_E2_NS1_11comp_targetILNS1_3genE0ELNS1_11target_archE4294967295ELNS1_3gpuE0ELNS1_3repE0EEENS1_30default_config_static_selectorELNS0_4arch9wavefront6targetE1EEEvSL_
		.amdhsa_group_segment_fixed_size 0
		.amdhsa_private_segment_fixed_size 0
		.amdhsa_kernarg_size 80
		.amdhsa_user_sgpr_count 6
		.amdhsa_user_sgpr_private_segment_buffer 1
		.amdhsa_user_sgpr_dispatch_ptr 0
		.amdhsa_user_sgpr_queue_ptr 0
		.amdhsa_user_sgpr_kernarg_segment_ptr 1
		.amdhsa_user_sgpr_dispatch_id 0
		.amdhsa_user_sgpr_flat_scratch_init 0
		.amdhsa_user_sgpr_kernarg_preload_length 0
		.amdhsa_user_sgpr_kernarg_preload_offset 0
		.amdhsa_user_sgpr_private_segment_size 0
		.amdhsa_uses_dynamic_stack 0
		.amdhsa_system_sgpr_private_segment_wavefront_offset 0
		.amdhsa_system_sgpr_workgroup_id_x 1
		.amdhsa_system_sgpr_workgroup_id_y 0
		.amdhsa_system_sgpr_workgroup_id_z 0
		.amdhsa_system_sgpr_workgroup_info 0
		.amdhsa_system_vgpr_workitem_id 0
		.amdhsa_next_free_vgpr 1
		.amdhsa_next_free_sgpr 0
		.amdhsa_accum_offset 4
		.amdhsa_reserve_vcc 0
		.amdhsa_reserve_flat_scratch 0
		.amdhsa_float_round_mode_32 0
		.amdhsa_float_round_mode_16_64 0
		.amdhsa_float_denorm_mode_32 3
		.amdhsa_float_denorm_mode_16_64 3
		.amdhsa_dx10_clamp 1
		.amdhsa_ieee_mode 1
		.amdhsa_fp16_overflow 0
		.amdhsa_tg_split 0
		.amdhsa_exception_fp_ieee_invalid_op 0
		.amdhsa_exception_fp_denorm_src 0
		.amdhsa_exception_fp_ieee_div_zero 0
		.amdhsa_exception_fp_ieee_overflow 0
		.amdhsa_exception_fp_ieee_underflow 0
		.amdhsa_exception_fp_ieee_inexact 0
		.amdhsa_exception_int_div_zero 0
	.end_amdhsa_kernel
	.section	.text._ZN7rocprim17ROCPRIM_400000_NS6detail17trampoline_kernelINS0_14default_configENS1_36segmented_radix_sort_config_selectorI6__halflEEZNS1_25segmented_radix_sort_implIS3_Lb1EPKS5_PS5_PKlPlN2at6native12_GLOBAL__N_18offset_tEEE10hipError_tPvRmT1_PNSt15iterator_traitsISL_E10value_typeET2_T3_PNSM_ISR_E10value_typeET4_jRbjT5_SX_jjP12ihipStream_tbEUlT_E2_NS1_11comp_targetILNS1_3genE0ELNS1_11target_archE4294967295ELNS1_3gpuE0ELNS1_3repE0EEENS1_30default_config_static_selectorELNS0_4arch9wavefront6targetE1EEEvSL_,"axG",@progbits,_ZN7rocprim17ROCPRIM_400000_NS6detail17trampoline_kernelINS0_14default_configENS1_36segmented_radix_sort_config_selectorI6__halflEEZNS1_25segmented_radix_sort_implIS3_Lb1EPKS5_PS5_PKlPlN2at6native12_GLOBAL__N_18offset_tEEE10hipError_tPvRmT1_PNSt15iterator_traitsISL_E10value_typeET2_T3_PNSM_ISR_E10value_typeET4_jRbjT5_SX_jjP12ihipStream_tbEUlT_E2_NS1_11comp_targetILNS1_3genE0ELNS1_11target_archE4294967295ELNS1_3gpuE0ELNS1_3repE0EEENS1_30default_config_static_selectorELNS0_4arch9wavefront6targetE1EEEvSL_,comdat
.Lfunc_end1767:
	.size	_ZN7rocprim17ROCPRIM_400000_NS6detail17trampoline_kernelINS0_14default_configENS1_36segmented_radix_sort_config_selectorI6__halflEEZNS1_25segmented_radix_sort_implIS3_Lb1EPKS5_PS5_PKlPlN2at6native12_GLOBAL__N_18offset_tEEE10hipError_tPvRmT1_PNSt15iterator_traitsISL_E10value_typeET2_T3_PNSM_ISR_E10value_typeET4_jRbjT5_SX_jjP12ihipStream_tbEUlT_E2_NS1_11comp_targetILNS1_3genE0ELNS1_11target_archE4294967295ELNS1_3gpuE0ELNS1_3repE0EEENS1_30default_config_static_selectorELNS0_4arch9wavefront6targetE1EEEvSL_, .Lfunc_end1767-_ZN7rocprim17ROCPRIM_400000_NS6detail17trampoline_kernelINS0_14default_configENS1_36segmented_radix_sort_config_selectorI6__halflEEZNS1_25segmented_radix_sort_implIS3_Lb1EPKS5_PS5_PKlPlN2at6native12_GLOBAL__N_18offset_tEEE10hipError_tPvRmT1_PNSt15iterator_traitsISL_E10value_typeET2_T3_PNSM_ISR_E10value_typeET4_jRbjT5_SX_jjP12ihipStream_tbEUlT_E2_NS1_11comp_targetILNS1_3genE0ELNS1_11target_archE4294967295ELNS1_3gpuE0ELNS1_3repE0EEENS1_30default_config_static_selectorELNS0_4arch9wavefront6targetE1EEEvSL_
                                        ; -- End function
	.section	.AMDGPU.csdata,"",@progbits
; Kernel info:
; codeLenInByte = 0
; NumSgprs: 4
; NumVgprs: 0
; NumAgprs: 0
; TotalNumVgprs: 0
; ScratchSize: 0
; MemoryBound: 0
; FloatMode: 240
; IeeeMode: 1
; LDSByteSize: 0 bytes/workgroup (compile time only)
; SGPRBlocks: 0
; VGPRBlocks: 0
; NumSGPRsForWavesPerEU: 4
; NumVGPRsForWavesPerEU: 1
; AccumOffset: 4
; Occupancy: 8
; WaveLimiterHint : 0
; COMPUTE_PGM_RSRC2:SCRATCH_EN: 0
; COMPUTE_PGM_RSRC2:USER_SGPR: 6
; COMPUTE_PGM_RSRC2:TRAP_HANDLER: 0
; COMPUTE_PGM_RSRC2:TGID_X_EN: 1
; COMPUTE_PGM_RSRC2:TGID_Y_EN: 0
; COMPUTE_PGM_RSRC2:TGID_Z_EN: 0
; COMPUTE_PGM_RSRC2:TIDIG_COMP_CNT: 0
; COMPUTE_PGM_RSRC3_GFX90A:ACCUM_OFFSET: 0
; COMPUTE_PGM_RSRC3_GFX90A:TG_SPLIT: 0
	.section	.text._ZN7rocprim17ROCPRIM_400000_NS6detail17trampoline_kernelINS0_14default_configENS1_36segmented_radix_sort_config_selectorI6__halflEEZNS1_25segmented_radix_sort_implIS3_Lb1EPKS5_PS5_PKlPlN2at6native12_GLOBAL__N_18offset_tEEE10hipError_tPvRmT1_PNSt15iterator_traitsISL_E10value_typeET2_T3_PNSM_ISR_E10value_typeET4_jRbjT5_SX_jjP12ihipStream_tbEUlT_E2_NS1_11comp_targetILNS1_3genE5ELNS1_11target_archE942ELNS1_3gpuE9ELNS1_3repE0EEENS1_30default_config_static_selectorELNS0_4arch9wavefront6targetE1EEEvSL_,"axG",@progbits,_ZN7rocprim17ROCPRIM_400000_NS6detail17trampoline_kernelINS0_14default_configENS1_36segmented_radix_sort_config_selectorI6__halflEEZNS1_25segmented_radix_sort_implIS3_Lb1EPKS5_PS5_PKlPlN2at6native12_GLOBAL__N_18offset_tEEE10hipError_tPvRmT1_PNSt15iterator_traitsISL_E10value_typeET2_T3_PNSM_ISR_E10value_typeET4_jRbjT5_SX_jjP12ihipStream_tbEUlT_E2_NS1_11comp_targetILNS1_3genE5ELNS1_11target_archE942ELNS1_3gpuE9ELNS1_3repE0EEENS1_30default_config_static_selectorELNS0_4arch9wavefront6targetE1EEEvSL_,comdat
	.globl	_ZN7rocprim17ROCPRIM_400000_NS6detail17trampoline_kernelINS0_14default_configENS1_36segmented_radix_sort_config_selectorI6__halflEEZNS1_25segmented_radix_sort_implIS3_Lb1EPKS5_PS5_PKlPlN2at6native12_GLOBAL__N_18offset_tEEE10hipError_tPvRmT1_PNSt15iterator_traitsISL_E10value_typeET2_T3_PNSM_ISR_E10value_typeET4_jRbjT5_SX_jjP12ihipStream_tbEUlT_E2_NS1_11comp_targetILNS1_3genE5ELNS1_11target_archE942ELNS1_3gpuE9ELNS1_3repE0EEENS1_30default_config_static_selectorELNS0_4arch9wavefront6targetE1EEEvSL_ ; -- Begin function _ZN7rocprim17ROCPRIM_400000_NS6detail17trampoline_kernelINS0_14default_configENS1_36segmented_radix_sort_config_selectorI6__halflEEZNS1_25segmented_radix_sort_implIS3_Lb1EPKS5_PS5_PKlPlN2at6native12_GLOBAL__N_18offset_tEEE10hipError_tPvRmT1_PNSt15iterator_traitsISL_E10value_typeET2_T3_PNSM_ISR_E10value_typeET4_jRbjT5_SX_jjP12ihipStream_tbEUlT_E2_NS1_11comp_targetILNS1_3genE5ELNS1_11target_archE942ELNS1_3gpuE9ELNS1_3repE0EEENS1_30default_config_static_selectorELNS0_4arch9wavefront6targetE1EEEvSL_
	.p2align	8
	.type	_ZN7rocprim17ROCPRIM_400000_NS6detail17trampoline_kernelINS0_14default_configENS1_36segmented_radix_sort_config_selectorI6__halflEEZNS1_25segmented_radix_sort_implIS3_Lb1EPKS5_PS5_PKlPlN2at6native12_GLOBAL__N_18offset_tEEE10hipError_tPvRmT1_PNSt15iterator_traitsISL_E10value_typeET2_T3_PNSM_ISR_E10value_typeET4_jRbjT5_SX_jjP12ihipStream_tbEUlT_E2_NS1_11comp_targetILNS1_3genE5ELNS1_11target_archE942ELNS1_3gpuE9ELNS1_3repE0EEENS1_30default_config_static_selectorELNS0_4arch9wavefront6targetE1EEEvSL_,@function
_ZN7rocprim17ROCPRIM_400000_NS6detail17trampoline_kernelINS0_14default_configENS1_36segmented_radix_sort_config_selectorI6__halflEEZNS1_25segmented_radix_sort_implIS3_Lb1EPKS5_PS5_PKlPlN2at6native12_GLOBAL__N_18offset_tEEE10hipError_tPvRmT1_PNSt15iterator_traitsISL_E10value_typeET2_T3_PNSM_ISR_E10value_typeET4_jRbjT5_SX_jjP12ihipStream_tbEUlT_E2_NS1_11comp_targetILNS1_3genE5ELNS1_11target_archE942ELNS1_3gpuE9ELNS1_3repE0EEENS1_30default_config_static_selectorELNS0_4arch9wavefront6targetE1EEEvSL_: ; @_ZN7rocprim17ROCPRIM_400000_NS6detail17trampoline_kernelINS0_14default_configENS1_36segmented_radix_sort_config_selectorI6__halflEEZNS1_25segmented_radix_sort_implIS3_Lb1EPKS5_PS5_PKlPlN2at6native12_GLOBAL__N_18offset_tEEE10hipError_tPvRmT1_PNSt15iterator_traitsISL_E10value_typeET2_T3_PNSM_ISR_E10value_typeET4_jRbjT5_SX_jjP12ihipStream_tbEUlT_E2_NS1_11comp_targetILNS1_3genE5ELNS1_11target_archE942ELNS1_3gpuE9ELNS1_3repE0EEENS1_30default_config_static_selectorELNS0_4arch9wavefront6targetE1EEEvSL_
; %bb.0:
	.section	.rodata,"a",@progbits
	.p2align	6, 0x0
	.amdhsa_kernel _ZN7rocprim17ROCPRIM_400000_NS6detail17trampoline_kernelINS0_14default_configENS1_36segmented_radix_sort_config_selectorI6__halflEEZNS1_25segmented_radix_sort_implIS3_Lb1EPKS5_PS5_PKlPlN2at6native12_GLOBAL__N_18offset_tEEE10hipError_tPvRmT1_PNSt15iterator_traitsISL_E10value_typeET2_T3_PNSM_ISR_E10value_typeET4_jRbjT5_SX_jjP12ihipStream_tbEUlT_E2_NS1_11comp_targetILNS1_3genE5ELNS1_11target_archE942ELNS1_3gpuE9ELNS1_3repE0EEENS1_30default_config_static_selectorELNS0_4arch9wavefront6targetE1EEEvSL_
		.amdhsa_group_segment_fixed_size 0
		.amdhsa_private_segment_fixed_size 0
		.amdhsa_kernarg_size 80
		.amdhsa_user_sgpr_count 6
		.amdhsa_user_sgpr_private_segment_buffer 1
		.amdhsa_user_sgpr_dispatch_ptr 0
		.amdhsa_user_sgpr_queue_ptr 0
		.amdhsa_user_sgpr_kernarg_segment_ptr 1
		.amdhsa_user_sgpr_dispatch_id 0
		.amdhsa_user_sgpr_flat_scratch_init 0
		.amdhsa_user_sgpr_kernarg_preload_length 0
		.amdhsa_user_sgpr_kernarg_preload_offset 0
		.amdhsa_user_sgpr_private_segment_size 0
		.amdhsa_uses_dynamic_stack 0
		.amdhsa_system_sgpr_private_segment_wavefront_offset 0
		.amdhsa_system_sgpr_workgroup_id_x 1
		.amdhsa_system_sgpr_workgroup_id_y 0
		.amdhsa_system_sgpr_workgroup_id_z 0
		.amdhsa_system_sgpr_workgroup_info 0
		.amdhsa_system_vgpr_workitem_id 0
		.amdhsa_next_free_vgpr 1
		.amdhsa_next_free_sgpr 0
		.amdhsa_accum_offset 4
		.amdhsa_reserve_vcc 0
		.amdhsa_reserve_flat_scratch 0
		.amdhsa_float_round_mode_32 0
		.amdhsa_float_round_mode_16_64 0
		.amdhsa_float_denorm_mode_32 3
		.amdhsa_float_denorm_mode_16_64 3
		.amdhsa_dx10_clamp 1
		.amdhsa_ieee_mode 1
		.amdhsa_fp16_overflow 0
		.amdhsa_tg_split 0
		.amdhsa_exception_fp_ieee_invalid_op 0
		.amdhsa_exception_fp_denorm_src 0
		.amdhsa_exception_fp_ieee_div_zero 0
		.amdhsa_exception_fp_ieee_overflow 0
		.amdhsa_exception_fp_ieee_underflow 0
		.amdhsa_exception_fp_ieee_inexact 0
		.amdhsa_exception_int_div_zero 0
	.end_amdhsa_kernel
	.section	.text._ZN7rocprim17ROCPRIM_400000_NS6detail17trampoline_kernelINS0_14default_configENS1_36segmented_radix_sort_config_selectorI6__halflEEZNS1_25segmented_radix_sort_implIS3_Lb1EPKS5_PS5_PKlPlN2at6native12_GLOBAL__N_18offset_tEEE10hipError_tPvRmT1_PNSt15iterator_traitsISL_E10value_typeET2_T3_PNSM_ISR_E10value_typeET4_jRbjT5_SX_jjP12ihipStream_tbEUlT_E2_NS1_11comp_targetILNS1_3genE5ELNS1_11target_archE942ELNS1_3gpuE9ELNS1_3repE0EEENS1_30default_config_static_selectorELNS0_4arch9wavefront6targetE1EEEvSL_,"axG",@progbits,_ZN7rocprim17ROCPRIM_400000_NS6detail17trampoline_kernelINS0_14default_configENS1_36segmented_radix_sort_config_selectorI6__halflEEZNS1_25segmented_radix_sort_implIS3_Lb1EPKS5_PS5_PKlPlN2at6native12_GLOBAL__N_18offset_tEEE10hipError_tPvRmT1_PNSt15iterator_traitsISL_E10value_typeET2_T3_PNSM_ISR_E10value_typeET4_jRbjT5_SX_jjP12ihipStream_tbEUlT_E2_NS1_11comp_targetILNS1_3genE5ELNS1_11target_archE942ELNS1_3gpuE9ELNS1_3repE0EEENS1_30default_config_static_selectorELNS0_4arch9wavefront6targetE1EEEvSL_,comdat
.Lfunc_end1768:
	.size	_ZN7rocprim17ROCPRIM_400000_NS6detail17trampoline_kernelINS0_14default_configENS1_36segmented_radix_sort_config_selectorI6__halflEEZNS1_25segmented_radix_sort_implIS3_Lb1EPKS5_PS5_PKlPlN2at6native12_GLOBAL__N_18offset_tEEE10hipError_tPvRmT1_PNSt15iterator_traitsISL_E10value_typeET2_T3_PNSM_ISR_E10value_typeET4_jRbjT5_SX_jjP12ihipStream_tbEUlT_E2_NS1_11comp_targetILNS1_3genE5ELNS1_11target_archE942ELNS1_3gpuE9ELNS1_3repE0EEENS1_30default_config_static_selectorELNS0_4arch9wavefront6targetE1EEEvSL_, .Lfunc_end1768-_ZN7rocprim17ROCPRIM_400000_NS6detail17trampoline_kernelINS0_14default_configENS1_36segmented_radix_sort_config_selectorI6__halflEEZNS1_25segmented_radix_sort_implIS3_Lb1EPKS5_PS5_PKlPlN2at6native12_GLOBAL__N_18offset_tEEE10hipError_tPvRmT1_PNSt15iterator_traitsISL_E10value_typeET2_T3_PNSM_ISR_E10value_typeET4_jRbjT5_SX_jjP12ihipStream_tbEUlT_E2_NS1_11comp_targetILNS1_3genE5ELNS1_11target_archE942ELNS1_3gpuE9ELNS1_3repE0EEENS1_30default_config_static_selectorELNS0_4arch9wavefront6targetE1EEEvSL_
                                        ; -- End function
	.section	.AMDGPU.csdata,"",@progbits
; Kernel info:
; codeLenInByte = 0
; NumSgprs: 4
; NumVgprs: 0
; NumAgprs: 0
; TotalNumVgprs: 0
; ScratchSize: 0
; MemoryBound: 0
; FloatMode: 240
; IeeeMode: 1
; LDSByteSize: 0 bytes/workgroup (compile time only)
; SGPRBlocks: 0
; VGPRBlocks: 0
; NumSGPRsForWavesPerEU: 4
; NumVGPRsForWavesPerEU: 1
; AccumOffset: 4
; Occupancy: 8
; WaveLimiterHint : 0
; COMPUTE_PGM_RSRC2:SCRATCH_EN: 0
; COMPUTE_PGM_RSRC2:USER_SGPR: 6
; COMPUTE_PGM_RSRC2:TRAP_HANDLER: 0
; COMPUTE_PGM_RSRC2:TGID_X_EN: 1
; COMPUTE_PGM_RSRC2:TGID_Y_EN: 0
; COMPUTE_PGM_RSRC2:TGID_Z_EN: 0
; COMPUTE_PGM_RSRC2:TIDIG_COMP_CNT: 0
; COMPUTE_PGM_RSRC3_GFX90A:ACCUM_OFFSET: 0
; COMPUTE_PGM_RSRC3_GFX90A:TG_SPLIT: 0
	.section	.text._ZN7rocprim17ROCPRIM_400000_NS6detail17trampoline_kernelINS0_14default_configENS1_36segmented_radix_sort_config_selectorI6__halflEEZNS1_25segmented_radix_sort_implIS3_Lb1EPKS5_PS5_PKlPlN2at6native12_GLOBAL__N_18offset_tEEE10hipError_tPvRmT1_PNSt15iterator_traitsISL_E10value_typeET2_T3_PNSM_ISR_E10value_typeET4_jRbjT5_SX_jjP12ihipStream_tbEUlT_E2_NS1_11comp_targetILNS1_3genE4ELNS1_11target_archE910ELNS1_3gpuE8ELNS1_3repE0EEENS1_30default_config_static_selectorELNS0_4arch9wavefront6targetE1EEEvSL_,"axG",@progbits,_ZN7rocprim17ROCPRIM_400000_NS6detail17trampoline_kernelINS0_14default_configENS1_36segmented_radix_sort_config_selectorI6__halflEEZNS1_25segmented_radix_sort_implIS3_Lb1EPKS5_PS5_PKlPlN2at6native12_GLOBAL__N_18offset_tEEE10hipError_tPvRmT1_PNSt15iterator_traitsISL_E10value_typeET2_T3_PNSM_ISR_E10value_typeET4_jRbjT5_SX_jjP12ihipStream_tbEUlT_E2_NS1_11comp_targetILNS1_3genE4ELNS1_11target_archE910ELNS1_3gpuE8ELNS1_3repE0EEENS1_30default_config_static_selectorELNS0_4arch9wavefront6targetE1EEEvSL_,comdat
	.globl	_ZN7rocprim17ROCPRIM_400000_NS6detail17trampoline_kernelINS0_14default_configENS1_36segmented_radix_sort_config_selectorI6__halflEEZNS1_25segmented_radix_sort_implIS3_Lb1EPKS5_PS5_PKlPlN2at6native12_GLOBAL__N_18offset_tEEE10hipError_tPvRmT1_PNSt15iterator_traitsISL_E10value_typeET2_T3_PNSM_ISR_E10value_typeET4_jRbjT5_SX_jjP12ihipStream_tbEUlT_E2_NS1_11comp_targetILNS1_3genE4ELNS1_11target_archE910ELNS1_3gpuE8ELNS1_3repE0EEENS1_30default_config_static_selectorELNS0_4arch9wavefront6targetE1EEEvSL_ ; -- Begin function _ZN7rocprim17ROCPRIM_400000_NS6detail17trampoline_kernelINS0_14default_configENS1_36segmented_radix_sort_config_selectorI6__halflEEZNS1_25segmented_radix_sort_implIS3_Lb1EPKS5_PS5_PKlPlN2at6native12_GLOBAL__N_18offset_tEEE10hipError_tPvRmT1_PNSt15iterator_traitsISL_E10value_typeET2_T3_PNSM_ISR_E10value_typeET4_jRbjT5_SX_jjP12ihipStream_tbEUlT_E2_NS1_11comp_targetILNS1_3genE4ELNS1_11target_archE910ELNS1_3gpuE8ELNS1_3repE0EEENS1_30default_config_static_selectorELNS0_4arch9wavefront6targetE1EEEvSL_
	.p2align	8
	.type	_ZN7rocprim17ROCPRIM_400000_NS6detail17trampoline_kernelINS0_14default_configENS1_36segmented_radix_sort_config_selectorI6__halflEEZNS1_25segmented_radix_sort_implIS3_Lb1EPKS5_PS5_PKlPlN2at6native12_GLOBAL__N_18offset_tEEE10hipError_tPvRmT1_PNSt15iterator_traitsISL_E10value_typeET2_T3_PNSM_ISR_E10value_typeET4_jRbjT5_SX_jjP12ihipStream_tbEUlT_E2_NS1_11comp_targetILNS1_3genE4ELNS1_11target_archE910ELNS1_3gpuE8ELNS1_3repE0EEENS1_30default_config_static_selectorELNS0_4arch9wavefront6targetE1EEEvSL_,@function
_ZN7rocprim17ROCPRIM_400000_NS6detail17trampoline_kernelINS0_14default_configENS1_36segmented_radix_sort_config_selectorI6__halflEEZNS1_25segmented_radix_sort_implIS3_Lb1EPKS5_PS5_PKlPlN2at6native12_GLOBAL__N_18offset_tEEE10hipError_tPvRmT1_PNSt15iterator_traitsISL_E10value_typeET2_T3_PNSM_ISR_E10value_typeET4_jRbjT5_SX_jjP12ihipStream_tbEUlT_E2_NS1_11comp_targetILNS1_3genE4ELNS1_11target_archE910ELNS1_3gpuE8ELNS1_3repE0EEENS1_30default_config_static_selectorELNS0_4arch9wavefront6targetE1EEEvSL_: ; @_ZN7rocprim17ROCPRIM_400000_NS6detail17trampoline_kernelINS0_14default_configENS1_36segmented_radix_sort_config_selectorI6__halflEEZNS1_25segmented_radix_sort_implIS3_Lb1EPKS5_PS5_PKlPlN2at6native12_GLOBAL__N_18offset_tEEE10hipError_tPvRmT1_PNSt15iterator_traitsISL_E10value_typeET2_T3_PNSM_ISR_E10value_typeET4_jRbjT5_SX_jjP12ihipStream_tbEUlT_E2_NS1_11comp_targetILNS1_3genE4ELNS1_11target_archE910ELNS1_3gpuE8ELNS1_3repE0EEENS1_30default_config_static_selectorELNS0_4arch9wavefront6targetE1EEEvSL_
; %bb.0:
	s_add_u32 flat_scratch_lo, s6, s10
	s_addc_u32 flat_scratch_hi, s7, 0
	s_add_u32 s0, s0, s10
	s_mov_b32 s33, s9
	s_mov_b32 s50, s8
	s_load_dwordx4 s[8:11], s[4:5], 0x34
	s_addc_u32 s1, s1, 0
	s_mov_b32 s32, 0
	s_waitcnt lgkmcnt(0)
	s_add_i32 s51, s9, s50
	s_add_i32 s76, s11, s50
	s_mul_i32 s51, s51, s8
	s_mul_i32 s76, s76, s10
	s_cmp_le_u32 s76, s51
	s_cbranch_scc1 .LBB1769_683
; %bb.1:
	s_load_dword s6, s[4:5], 0x30
	s_load_dwordx4 s[64:67], s[4:5], 0x20
	s_load_dwordx4 s[68:71], s[4:5], 0x44
	s_load_dwordx8 s[56:63], s[4:5], 0x0
	s_waitcnt lgkmcnt(0)
	s_bitcmp1_b32 s6, 0
	s_cselect_b64 s[54:55], -1, 0
	s_sub_i32 s71, s76, s51
	s_cmpk_lt_u32 s71, 0x801
	s_mov_b64 s[6:7], -1
	s_cbranch_scc0 .LBB1769_12
; %bb.2:
	s_cmp_lt_u32 s71, 33
	s_cbranch_scc0 .LBB1769_6
; %bb.3:
	s_load_dword s6, s[4:5], 0x5c
	v_bfe_u32 v1, v0, 10, 10
	v_bfe_u32 v3, v0, 20, 10
	v_and_b32_e32 v2, 0x3ff, v0
	s_waitcnt lgkmcnt(0)
	s_lshr_b32 s7, s6, 16
	s_and_b32 s6, s6, 0xffff
	v_mad_u32_u24 v1, v3, s7, v1
	v_mad_u64_u32 v[2:3], s[6:7], v1, s6, v[2:3]
	v_cmp_gt_u32_e32 vcc, 8, v2
	s_and_saveexec_b64 s[34:35], vcc
	s_cbranch_execz .LBB1769_5
; %bb.4:
	s_bitcmp1_b32 s68, 0
	s_cselect_b64 s[6:7], -1, 0
	s_xor_b64 s[6:7], s[54:55], s[6:7]
	s_xor_b64 s[6:7], s[6:7], -1
	v_cndmask_b32_e64 v12, 0, 1, s[6:7]
	s_add_u32 s8, s4, 0x50
	s_mov_b64 s[6:7], src_shared_base
	s_addc_u32 s9, s5, 0
	s_mov_b32 s12, s50
	s_mov_b32 s13, s33
	v_mov_b32_e32 v31, v0
	v_mov_b32_e32 v41, v0
	;; [unrolled: 1-line block ×18, first 2 shown]
	s_getpc_b64 s[10:11]
	s_add_u32 s10, s10, _ZN7rocprim17ROCPRIM_400000_NS6detail26segmented_warp_sort_helperINS1_20WarpSortHelperConfigILj8ELj4ELj256EEE6__halflLi256ELb1EvE4sortIPKS5_PS5_PKlPlEEvT_SA_T0_T1_SD_T2_bjjjjRNS6_12storage_typeE@rel32@lo+4
	s_addc_u32 s11, s11, _ZN7rocprim17ROCPRIM_400000_NS6detail26segmented_warp_sort_helperINS1_20WarpSortHelperConfigILj8ELj4ELj256EEE6__halflLi256ELb1EvE4sortIPKS5_PS5_PKlPlEEvT_SA_T0_T1_SD_T2_bjjjjRNS6_12storage_typeE@rel32@hi+12
	s_mov_b64 s[36:37], s[4:5]
	s_swappc_b64 s[30:31], s[10:11]
	v_mov_b32_e32 v0, v41
	s_mov_b64 s[4:5], s[36:37]
.LBB1769_5:
	s_or_b64 exec, exec, s[34:35]
	s_mov_b64 s[6:7], 0
.LBB1769_6:
	s_andn2_b64 vcc, exec, s[6:7]
	s_cbranch_vccnz .LBB1769_11
; %bb.7:
	s_and_b32 s6, s68, 1
	v_cndmask_b32_e64 v1, 0, 1, s[54:55]
	v_cmp_ne_u32_e32 vcc, s6, v1
	s_mov_b64 s[6:7], -1
	s_cbranch_vccnz .LBB1769_9
; %bb.8:
	s_add_u32 s8, s4, 0x50
	s_mov_b64 s[6:7], src_shared_base
	s_addc_u32 s9, s5, 0
	s_mov_b32 s12, s50
	s_mov_b32 s13, s33
	v_mov_b32_e32 v31, v0
	v_mov_b32_e32 v41, v0
	;; [unrolled: 1-line block ×16, first 2 shown]
	s_getpc_b64 s[10:11]
	s_add_u32 s10, s10, _ZN7rocprim17ROCPRIM_400000_NS6detail40segmented_radix_sort_single_block_helperI6__halflLj256ELj8ELb1EE4sortIPKS3_PS3_PKlPlEEbT_T0_T1_T2_jjjjRNS4_12storage_typeE@rel32@lo+4
	s_addc_u32 s11, s11, _ZN7rocprim17ROCPRIM_400000_NS6detail40segmented_radix_sort_single_block_helperI6__halflLj256ELj8ELb1EE4sortIPKS3_PS3_PKlPlEEbT_T0_T1_T2_jjjjRNS4_12storage_typeE@rel32@hi+12
	s_mov_b64 s[48:49], s[4:5]
	s_swappc_b64 s[30:31], s[10:11]
	v_mov_b32_e32 v0, v41
	s_mov_b64 s[4:5], s[48:49]
	s_mov_b64 s[6:7], 0
.LBB1769_9:
	s_andn2_b64 vcc, exec, s[6:7]
	s_cbranch_vccnz .LBB1769_11
; %bb.10:
	s_add_u32 s8, s4, 0x50
	s_mov_b64 s[6:7], src_shared_base
	s_addc_u32 s9, s5, 0
	s_mov_b32 s12, s50
	s_mov_b32 s13, s33
	v_mov_b32_e32 v31, v0
	v_mov_b32_e32 v41, v0
	;; [unrolled: 1-line block ×16, first 2 shown]
	s_getpc_b64 s[10:11]
	s_add_u32 s10, s10, _ZN7rocprim17ROCPRIM_400000_NS6detail40segmented_radix_sort_single_block_helperI6__halflLj256ELj8ELb1EE4sortIPKS3_PS3_PKlPlEEbT_T0_T1_T2_jjjjRNS4_12storage_typeE@rel32@lo+4
	s_addc_u32 s11, s11, _ZN7rocprim17ROCPRIM_400000_NS6detail40segmented_radix_sort_single_block_helperI6__halflLj256ELj8ELb1EE4sortIPKS3_PS3_PKlPlEEbT_T0_T1_T2_jjjjRNS4_12storage_typeE@rel32@hi+12
	s_mov_b64 s[48:49], s[4:5]
	s_swappc_b64 s[30:31], s[10:11]
	v_mov_b32_e32 v0, v41
	s_mov_b64 s[4:5], s[48:49]
.LBB1769_11:
	s_mov_b64 s[6:7], 0
.LBB1769_12:
	s_andn2_b64 vcc, exec, s[6:7]
	s_cbranch_vccnz .LBB1769_683
; %bb.13:
	s_cmp_ge_u32 s69, s70
	s_cbranch_scc1 .LBB1769_683
; %bb.14:
	v_and_b32_e32 v2, 0x3ff, v0
	v_lshlrev_b32_e32 v5, 1, v2
	v_mov_b32_e32 v6, s61
	v_add_co_u32_e32 v27, vcc, s60, v5
	s_movk_i32 s6, 0x100
	v_addc_co_u32_e32 v28, vcc, 0, v6, vcc
	v_or_b32_e32 v6, 63, v2
	v_lshlrev_b32_e32 v3, 2, v2
	s_mov_b64 s[12:13], s[4:5]
	v_cmp_gt_u32_e64 s[4:5], s6, v2
	v_cmp_eq_u32_e64 s[6:7], v6, v2
	v_lshrrev_b32_e32 v6, 4, v2
	v_mad_u32_u24 v33, v2, 12, v3
	v_and_b32_e32 v34, 12, v6
	v_lshlrev_b32_e32 v6, 3, v2
	v_bfe_u32 v39, v0, 20, 10
	v_bfe_u32 v40, v0, 10, 10
	v_mul_u32_u24_e32 v0, 5, v2
	v_mov_b32_e32 v42, 0x410
	v_and_b32_e32 v38, 0x600, v6
	v_add_u32_e32 v41, v33, v3
	v_lshl_add_u32 v43, v0, 2, v42
	v_lshlrev_b32_e32 v0, 4, v2
	v_sub_u32_e32 v44, v41, v0
	v_lshlrev_b32_e32 v0, 3, v38
	v_mov_b32_e32 v6, s67
	v_add_co_u32_e32 v45, vcc, s66, v0
	v_addc_co_u32_e32 v46, vcc, 0, v6, vcc
	v_lshlrev_b32_e32 v6, 1, v38
	v_mov_b32_e32 v7, s61
	v_add_co_u32_e32 v47, vcc, s60, v6
	v_addc_co_u32_e32 v48, vcc, 0, v7, vcc
	v_mov_b32_e32 v7, s59
	v_add_co_u32_e32 v52, vcc, s58, v5
	v_addc_co_u32_e32 v53, vcc, 0, v7, vcc
	;; [unrolled: 3-line block ×5, first 2 shown]
	v_sub_u32_e32 v49, v44, v5
	v_add_u32_e32 v50, 0x400, v5
	v_mov_b32_e32 v5, s63
	v_add_co_u32_e32 v60, vcc, s62, v0
	v_addc_co_u32_e32 v61, vcc, 0, v5, vcc
	v_mov_b32_e32 v0, s57
	v_add_co_u32_e32 v62, vcc, s56, v6
	v_and_b32_e32 v1, 3, v2
	s_add_u32 s74, s12, 0x50
	s_movk_i32 s14, 0xff
	v_addc_co_u32_e32 v63, vcc, 0, v0, vcc
	v_mbcnt_lo_u32_b32 v0, -1, 0
	s_mov_b32 s73, 0
	v_mov_b32_e32 v4, 0
	v_or_b32_e32 v24, 0x100, v2
	v_or_b32_e32 v25, 0x200, v2
	;; [unrolled: 1-line block ×8, first 2 shown]
	v_cmp_gt_u32_e64 s[8:9], 4, v2
	v_add_u32_e32 v36, 0x4400, v3
	v_cmp_lt_u32_e64 s[10:11], 63, v2
	v_add_u32_e32 v37, 0x43fc, v34
	s_addc_u32 s75, s13, 0
	v_cmp_eq_u32_e64 s[12:13], 0, v2
	v_cmp_ne_u32_e64 s[14:15], s14, v2
	v_mul_u32_u24_e32 v51, 6, v2
	s_movk_i32 s68, 0x8000
	v_mov_b32_e32 v64, 1
	v_lshlrev_b32_e32 v65, 1, v2
	v_mov_b32_e32 v66, 0x7fff
	v_lshlrev_b32_e32 v67, 2, v1
	v_mbcnt_hi_u32_b32 v68, -1, v0
	s_mov_b32 s77, s69
	s_branch .LBB1769_17
.LBB1769_15:                            ;   in Loop: Header=BB1769_17 Depth=1
	s_waitcnt lgkmcnt(0)
	s_barrier
.LBB1769_16:                            ;   in Loop: Header=BB1769_17 Depth=1
	s_add_i32 s77, s77, 8
	s_cmp_ge_u32 s77, s70
	s_cbranch_scc1 .LBB1769_683
.LBB1769_17:                            ; =>This Loop Header: Depth=1
                                        ;     Child Loop BB1769_21 Depth 2
                                        ;     Child Loop BB1769_71 Depth 2
	;; [unrolled: 1-line block ×8, first 2 shown]
	s_sub_i32 s16, s70, s77
	s_min_u32 s16, s16, 8
	s_lshl_b32 s16, -1, s16
	s_xor_b64 s[54:55], s[54:55], -1
	s_not_b32 s78, s16
	s_cmp_lg_u32 s77, s69
	s_mov_b64 s[16:17], -1
	ds_write2st64_b32 v3, v4, v4 offset1:4
	ds_write2st64_b32 v3, v4, v4 offset0:8 offset1:12
	s_waitcnt lgkmcnt(0)
	s_cbranch_scc0 .LBB1769_351
; %bb.18:                               ;   in Loop: Header=BB1769_17 Depth=1
	s_and_b64 vcc, exec, s[54:55]
	s_cbranch_vccz .LBB1769_184
; %bb.19:                               ;   in Loop: Header=BB1769_17 Depth=1
	s_mov_b32 s22, s71
	s_mov_b32 s72, s51
	s_barrier
	s_waitcnt lgkmcnt(0)
                                        ; implicit-def: $vgpr12
                                        ; implicit-def: $vgpr5
                                        ; implicit-def: $vgpr6
                                        ; implicit-def: $vgpr7
                                        ; implicit-def: $vgpr8
                                        ; implicit-def: $vgpr9
                                        ; implicit-def: $vgpr10
                                        ; implicit-def: $vgpr11
	s_branch .LBB1769_21
.LBB1769_20:                            ;   in Loop: Header=BB1769_21 Depth=2
	s_or_b64 exec, exec, s[16:17]
	s_addk_i32 s22, 0xf800
	s_cmp_ge_u32 s23, s76
	s_mov_b32 s72, s23
	s_cbranch_scc1 .LBB1769_59
.LBB1769_21:                            ;   Parent Loop BB1769_17 Depth=1
                                        ; =>  This Inner Loop Header: Depth=2
	s_add_i32 s23, s72, 0x800
	s_cmp_gt_u32 s23, s76
	s_cbranch_scc1 .LBB1769_24
; %bb.22:                               ;   in Loop: Header=BB1769_21 Depth=2
	s_lshl_b64 s[16:17], s[72:73], 1
	v_mov_b32_e32 v1, s17
	v_add_co_u32_e32 v0, vcc, s16, v27
	v_addc_co_u32_e32 v1, vcc, v28, v1, vcc
	global_load_ushort v14, v[0:1], off
	global_load_ushort v15, v[0:1], off offset:512
	global_load_ushort v16, v[0:1], off offset:1024
	;; [unrolled: 1-line block ×6, first 2 shown]
	v_add_co_u32_e32 v0, vcc, 0xe00, v0
	v_addc_co_u32_e32 v1, vcc, 0, v1, vcc
	s_mov_b64 s[16:17], -1
	s_movk_i32 s24, 0x800
	s_cbranch_execz .LBB1769_25
; %bb.23:                               ;   in Loop: Header=BB1769_21 Depth=2
                                        ; implicit-def: $vgpr11
                                        ; implicit-def: $vgpr10
                                        ; implicit-def: $vgpr9
                                        ; implicit-def: $vgpr8
                                        ; implicit-def: $vgpr7
                                        ; implicit-def: $vgpr6
                                        ; implicit-def: $vgpr5
                                        ; implicit-def: $vgpr12
	v_mov_b32_e32 v13, s22
	s_and_saveexec_b64 s[18:19], s[16:17]
	s_cbranch_execnz .LBB1769_36
	s_branch .LBB1769_37
.LBB1769_24:                            ;   in Loop: Header=BB1769_21 Depth=2
	s_mov_b64 s[16:17], 0
                                        ; implicit-def: $sgpr24
                                        ; implicit-def: $vgpr14
                                        ; implicit-def: $vgpr15
                                        ; implicit-def: $vgpr16
                                        ; implicit-def: $vgpr17
                                        ; implicit-def: $vgpr18
                                        ; implicit-def: $vgpr19
                                        ; implicit-def: $vgpr20
                                        ; implicit-def: $vgpr0_vgpr1
.LBB1769_25:                            ;   in Loop: Header=BB1769_21 Depth=2
	s_lshl_b64 s[18:19], s[72:73], 1
	s_add_u32 s18, s60, s18
	s_addc_u32 s19, s61, s19
	v_cmp_gt_u32_e32 vcc, s22, v2
	s_and_saveexec_b64 s[20:21], vcc
	s_cbranch_execz .LBB1769_53
; %bb.26:                               ;   in Loop: Header=BB1769_21 Depth=2
	global_load_ushort v11, v65, s[18:19]
	s_or_b64 exec, exec, s[20:21]
	v_cmp_gt_u32_e32 vcc, s22, v24
	s_and_saveexec_b64 s[20:21], vcc
	s_cbranch_execnz .LBB1769_54
.LBB1769_27:                            ;   in Loop: Header=BB1769_21 Depth=2
	s_or_b64 exec, exec, s[20:21]
	v_cmp_gt_u32_e32 vcc, s22, v25
	s_and_saveexec_b64 s[20:21], vcc
	s_cbranch_execz .LBB1769_55
.LBB1769_28:                            ;   in Loop: Header=BB1769_21 Depth=2
	global_load_ushort v9, v65, s[18:19] offset:1024
	s_or_b64 exec, exec, s[20:21]
	v_cmp_gt_u32_e32 vcc, s22, v26
	s_and_saveexec_b64 s[20:21], vcc
	s_cbranch_execnz .LBB1769_56
.LBB1769_29:                            ;   in Loop: Header=BB1769_21 Depth=2
	s_or_b64 exec, exec, s[20:21]
	v_cmp_gt_u32_e32 vcc, s22, v29
	s_and_saveexec_b64 s[20:21], vcc
	s_cbranch_execz .LBB1769_57
.LBB1769_30:                            ;   in Loop: Header=BB1769_21 Depth=2
	global_load_ushort v7, v65, s[18:19] offset:2048
	s_or_b64 exec, exec, s[20:21]
	v_cmp_gt_u32_e32 vcc, s22, v30
	s_and_saveexec_b64 s[20:21], vcc
	s_cbranch_execnz .LBB1769_58
.LBB1769_31:                            ;   in Loop: Header=BB1769_21 Depth=2
	s_or_b64 exec, exec, s[20:21]
	v_cmp_gt_u32_e32 vcc, s22, v31
	s_and_saveexec_b64 s[20:21], vcc
	s_cbranch_execz .LBB1769_33
.LBB1769_32:                            ;   in Loop: Header=BB1769_21 Depth=2
	global_load_ushort v5, v65, s[18:19] offset:3072
.LBB1769_33:                            ;   in Loop: Header=BB1769_21 Depth=2
	s_or_b64 exec, exec, s[20:21]
	v_cmp_gt_u32_e32 vcc, s22, v32
                                        ; implicit-def: $sgpr24
                                        ; implicit-def: $vgpr0_vgpr1
	s_and_saveexec_b64 s[20:21], vcc
	s_cbranch_execz .LBB1769_35
; %bb.34:                               ;   in Loop: Header=BB1769_21 Depth=2
	v_mov_b32_e32 v0, s19
	v_add_co_u32_e32 v1, vcc, s18, v65
	s_waitcnt vmcnt(0)
	v_addc_co_u32_e32 v12, vcc, 0, v0, vcc
	v_add_co_u32_e32 v0, vcc, 0xe00, v1
	s_sub_i32 s24, s76, s72
	v_addc_co_u32_e32 v1, vcc, 0, v12, vcc
	s_or_b64 s[16:17], s[16:17], exec
                                        ; implicit-def: $vgpr12
.LBB1769_35:                            ;   in Loop: Header=BB1769_21 Depth=2
	s_or_b64 exec, exec, s[20:21]
	s_waitcnt vmcnt(0)
	v_mov_b32_e32 v14, v11
	v_mov_b32_e32 v15, v10
	;; [unrolled: 1-line block ×8, first 2 shown]
	s_and_saveexec_b64 s[18:19], s[16:17]
	s_cbranch_execz .LBB1769_37
.LBB1769_36:                            ;   in Loop: Header=BB1769_21 Depth=2
	global_load_ushort v12, v[0:1], off
	v_mov_b32_e32 v13, s24
	s_waitcnt vmcnt(1)
	v_mov_b32_e32 v5, v20
	v_mov_b32_e32 v6, v19
	;; [unrolled: 1-line block ×7, first 2 shown]
.LBB1769_37:                            ;   in Loop: Header=BB1769_21 Depth=2
	s_or_b64 exec, exec, s[18:19]
	v_cmp_lt_u32_e32 vcc, v2, v13
	s_and_saveexec_b64 s[16:17], vcc
	s_cbranch_execz .LBB1769_45
; %bb.38:                               ;   in Loop: Header=BB1769_21 Depth=2
	v_cmp_gt_i16_e32 vcc, 0, v11
	v_cndmask_b32_e64 v0, v66, 0, vcc
	v_xor_b32_e32 v0, v0, v11
	v_cmp_ne_u16_e32 vcc, s68, v0
	v_cndmask_b32_e32 v0, v66, v0, vcc
	v_lshrrev_b32_sdwa v0, s77, v0 dst_sel:DWORD dst_unused:UNUSED_PAD src0_sel:DWORD src1_sel:WORD_0
	v_and_b32_e32 v0, s78, v0
	v_lshl_or_b32 v0, v0, 4, v67
	ds_add_u32 v0, v64
	s_or_b64 exec, exec, s[16:17]
	v_cmp_lt_u32_e32 vcc, v24, v13
	s_and_saveexec_b64 s[16:17], vcc
	s_cbranch_execnz .LBB1769_46
.LBB1769_39:                            ;   in Loop: Header=BB1769_21 Depth=2
	s_or_b64 exec, exec, s[16:17]
	v_cmp_lt_u32_e32 vcc, v25, v13
	s_and_saveexec_b64 s[16:17], vcc
	s_cbranch_execz .LBB1769_47
.LBB1769_40:                            ;   in Loop: Header=BB1769_21 Depth=2
	v_cmp_gt_i16_e32 vcc, 0, v9
	v_cndmask_b32_e64 v0, v66, 0, vcc
	v_xor_b32_e32 v0, v0, v9
	v_cmp_ne_u16_e32 vcc, s68, v0
	v_cndmask_b32_e32 v0, v66, v0, vcc
	v_lshrrev_b32_sdwa v0, s77, v0 dst_sel:DWORD dst_unused:UNUSED_PAD src0_sel:DWORD src1_sel:WORD_0
	v_and_b32_e32 v0, s78, v0
	v_lshl_or_b32 v0, v0, 4, v67
	ds_add_u32 v0, v64
	s_or_b64 exec, exec, s[16:17]
	v_cmp_lt_u32_e32 vcc, v26, v13
	s_and_saveexec_b64 s[16:17], vcc
	s_cbranch_execnz .LBB1769_48
.LBB1769_41:                            ;   in Loop: Header=BB1769_21 Depth=2
	s_or_b64 exec, exec, s[16:17]
	v_cmp_lt_u32_e32 vcc, v29, v13
	s_and_saveexec_b64 s[16:17], vcc
	s_cbranch_execz .LBB1769_49
.LBB1769_42:                            ;   in Loop: Header=BB1769_21 Depth=2
	v_cmp_gt_i16_e32 vcc, 0, v7
	v_cndmask_b32_e64 v0, v66, 0, vcc
	v_xor_b32_e32 v0, v0, v7
	v_cmp_ne_u16_e32 vcc, s68, v0
	v_cndmask_b32_e32 v0, v66, v0, vcc
	v_lshrrev_b32_sdwa v0, s77, v0 dst_sel:DWORD dst_unused:UNUSED_PAD src0_sel:DWORD src1_sel:WORD_0
	v_and_b32_e32 v0, s78, v0
	v_lshl_or_b32 v0, v0, 4, v67
	ds_add_u32 v0, v64
	s_or_b64 exec, exec, s[16:17]
	v_cmp_lt_u32_e32 vcc, v30, v13
	s_and_saveexec_b64 s[16:17], vcc
	s_cbranch_execnz .LBB1769_50
.LBB1769_43:                            ;   in Loop: Header=BB1769_21 Depth=2
	s_or_b64 exec, exec, s[16:17]
	v_cmp_lt_u32_e32 vcc, v31, v13
	s_and_saveexec_b64 s[16:17], vcc
	s_cbranch_execz .LBB1769_51
.LBB1769_44:                            ;   in Loop: Header=BB1769_21 Depth=2
	v_cmp_gt_i16_e32 vcc, 0, v5
	v_cndmask_b32_e64 v0, v66, 0, vcc
	v_xor_b32_e32 v0, v0, v5
	v_cmp_ne_u16_e32 vcc, s68, v0
	v_cndmask_b32_e32 v0, v66, v0, vcc
	v_lshrrev_b32_sdwa v0, s77, v0 dst_sel:DWORD dst_unused:UNUSED_PAD src0_sel:DWORD src1_sel:WORD_0
	v_and_b32_e32 v0, s78, v0
	v_lshl_or_b32 v0, v0, 4, v67
	ds_add_u32 v0, v64
	s_or_b64 exec, exec, s[16:17]
	v_cmp_lt_u32_e32 vcc, v32, v13
	s_and_saveexec_b64 s[16:17], vcc
	s_cbranch_execz .LBB1769_20
	s_branch .LBB1769_52
.LBB1769_45:                            ;   in Loop: Header=BB1769_21 Depth=2
	s_or_b64 exec, exec, s[16:17]
	v_cmp_lt_u32_e32 vcc, v24, v13
	s_and_saveexec_b64 s[16:17], vcc
	s_cbranch_execz .LBB1769_39
.LBB1769_46:                            ;   in Loop: Header=BB1769_21 Depth=2
	v_cmp_gt_i16_e32 vcc, 0, v10
	v_cndmask_b32_e64 v0, v66, 0, vcc
	v_xor_b32_e32 v0, v0, v10
	v_cmp_ne_u16_e32 vcc, s68, v0
	v_cndmask_b32_e32 v0, v66, v0, vcc
	v_lshrrev_b32_sdwa v0, s77, v0 dst_sel:DWORD dst_unused:UNUSED_PAD src0_sel:DWORD src1_sel:WORD_0
	v_and_b32_e32 v0, s78, v0
	v_lshl_or_b32 v0, v0, 4, v67
	ds_add_u32 v0, v64
	s_or_b64 exec, exec, s[16:17]
	v_cmp_lt_u32_e32 vcc, v25, v13
	s_and_saveexec_b64 s[16:17], vcc
	s_cbranch_execnz .LBB1769_40
.LBB1769_47:                            ;   in Loop: Header=BB1769_21 Depth=2
	s_or_b64 exec, exec, s[16:17]
	v_cmp_lt_u32_e32 vcc, v26, v13
	s_and_saveexec_b64 s[16:17], vcc
	s_cbranch_execz .LBB1769_41
.LBB1769_48:                            ;   in Loop: Header=BB1769_21 Depth=2
	v_cmp_gt_i16_e32 vcc, 0, v8
	v_cndmask_b32_e64 v0, v66, 0, vcc
	v_xor_b32_e32 v0, v0, v8
	v_cmp_ne_u16_e32 vcc, s68, v0
	v_cndmask_b32_e32 v0, v66, v0, vcc
	v_lshrrev_b32_sdwa v0, s77, v0 dst_sel:DWORD dst_unused:UNUSED_PAD src0_sel:DWORD src1_sel:WORD_0
	v_and_b32_e32 v0, s78, v0
	v_lshl_or_b32 v0, v0, 4, v67
	ds_add_u32 v0, v64
	s_or_b64 exec, exec, s[16:17]
	v_cmp_lt_u32_e32 vcc, v29, v13
	s_and_saveexec_b64 s[16:17], vcc
	s_cbranch_execnz .LBB1769_42
.LBB1769_49:                            ;   in Loop: Header=BB1769_21 Depth=2
	s_or_b64 exec, exec, s[16:17]
	v_cmp_lt_u32_e32 vcc, v30, v13
	s_and_saveexec_b64 s[16:17], vcc
	s_cbranch_execz .LBB1769_43
.LBB1769_50:                            ;   in Loop: Header=BB1769_21 Depth=2
	v_cmp_gt_i16_e32 vcc, 0, v6
	v_cndmask_b32_e64 v0, v66, 0, vcc
	v_xor_b32_e32 v0, v0, v6
	v_cmp_ne_u16_e32 vcc, s68, v0
	v_cndmask_b32_e32 v0, v66, v0, vcc
	v_lshrrev_b32_sdwa v0, s77, v0 dst_sel:DWORD dst_unused:UNUSED_PAD src0_sel:DWORD src1_sel:WORD_0
	v_and_b32_e32 v0, s78, v0
	v_lshl_or_b32 v0, v0, 4, v67
	ds_add_u32 v0, v64
	s_or_b64 exec, exec, s[16:17]
	v_cmp_lt_u32_e32 vcc, v31, v13
	s_and_saveexec_b64 s[16:17], vcc
	s_cbranch_execnz .LBB1769_44
.LBB1769_51:                            ;   in Loop: Header=BB1769_21 Depth=2
	s_or_b64 exec, exec, s[16:17]
	v_cmp_lt_u32_e32 vcc, v32, v13
	s_and_saveexec_b64 s[16:17], vcc
	s_cbranch_execz .LBB1769_20
.LBB1769_52:                            ;   in Loop: Header=BB1769_21 Depth=2
	s_waitcnt vmcnt(0)
	v_cmp_gt_i16_e32 vcc, 0, v12
	v_cndmask_b32_e64 v0, v66, 0, vcc
	v_xor_b32_e32 v0, v0, v12
	v_cmp_ne_u16_e32 vcc, s68, v0
	v_cndmask_b32_e32 v0, v66, v0, vcc
	v_lshrrev_b32_sdwa v0, s77, v0 dst_sel:DWORD dst_unused:UNUSED_PAD src0_sel:DWORD src1_sel:WORD_0
	v_and_b32_e32 v0, s78, v0
	v_lshl_or_b32 v0, v0, 4, v67
	ds_add_u32 v0, v64
	s_branch .LBB1769_20
.LBB1769_53:                            ;   in Loop: Header=BB1769_21 Depth=2
	s_or_b64 exec, exec, s[20:21]
	v_cmp_gt_u32_e32 vcc, s22, v24
	s_and_saveexec_b64 s[20:21], vcc
	s_cbranch_execz .LBB1769_27
.LBB1769_54:                            ;   in Loop: Header=BB1769_21 Depth=2
	global_load_ushort v10, v65, s[18:19] offset:512
	s_or_b64 exec, exec, s[20:21]
	v_cmp_gt_u32_e32 vcc, s22, v25
	s_and_saveexec_b64 s[20:21], vcc
	s_cbranch_execnz .LBB1769_28
.LBB1769_55:                            ;   in Loop: Header=BB1769_21 Depth=2
	s_or_b64 exec, exec, s[20:21]
	v_cmp_gt_u32_e32 vcc, s22, v26
	s_and_saveexec_b64 s[20:21], vcc
	s_cbranch_execz .LBB1769_29
.LBB1769_56:                            ;   in Loop: Header=BB1769_21 Depth=2
	global_load_ushort v8, v65, s[18:19] offset:1536
	s_or_b64 exec, exec, s[20:21]
	v_cmp_gt_u32_e32 vcc, s22, v29
	s_and_saveexec_b64 s[20:21], vcc
	s_cbranch_execnz .LBB1769_30
.LBB1769_57:                            ;   in Loop: Header=BB1769_21 Depth=2
	s_or_b64 exec, exec, s[20:21]
	v_cmp_gt_u32_e32 vcc, s22, v30
	s_and_saveexec_b64 s[20:21], vcc
	s_cbranch_execz .LBB1769_31
.LBB1769_58:                            ;   in Loop: Header=BB1769_21 Depth=2
	global_load_ushort v6, v65, s[18:19] offset:2560
	s_or_b64 exec, exec, s[20:21]
	v_cmp_gt_u32_e32 vcc, s22, v31
	s_and_saveexec_b64 s[20:21], vcc
	s_cbranch_execz .LBB1769_33
	s_branch .LBB1769_32
.LBB1769_59:                            ;   in Loop: Header=BB1769_17 Depth=1
	v_mov_b32_e32 v0, 0
	s_waitcnt lgkmcnt(0)
	s_barrier
	s_and_saveexec_b64 s[16:17], s[4:5]
	s_cbranch_execz .LBB1769_61
; %bb.60:                               ;   in Loop: Header=BB1769_17 Depth=1
	ds_read2_b64 v[6:9], v33 offset1:1
	s_waitcnt lgkmcnt(0)
	v_add_u32_e32 v0, v7, v6
	v_add3_u32 v0, v0, v8, v9
.LBB1769_61:                            ;   in Loop: Header=BB1769_17 Depth=1
	s_or_b64 exec, exec, s[16:17]
	v_and_b32_e32 v1, 15, v68
	v_mov_b32_dpp v5, v0 row_shr:1 row_mask:0xf bank_mask:0xf
	v_cmp_eq_u32_e64 s[16:17], 0, v1
	v_cndmask_b32_e64 v5, v5, 0, s[16:17]
	v_add_u32_e32 v0, v5, v0
	v_cmp_lt_u32_e64 s[18:19], 1, v1
	v_cmp_lt_u32_e64 s[20:21], 3, v1
	v_mov_b32_dpp v5, v0 row_shr:2 row_mask:0xf bank_mask:0xf
	v_cndmask_b32_e64 v5, 0, v5, s[18:19]
	v_add_u32_e32 v0, v0, v5
	v_cmp_lt_u32_e64 s[22:23], 7, v1
	v_cmp_lt_u32_e64 s[26:27], 31, v68
	v_mov_b32_dpp v5, v0 row_shr:4 row_mask:0xf bank_mask:0xf
	v_cndmask_b32_e64 v5, 0, v5, s[20:21]
	v_add_u32_e32 v0, v0, v5
	v_and_b32_e32 v6, 16, v68
	v_cmp_eq_u32_e64 s[24:25], 0, v6
	v_mov_b32_dpp v5, v0 row_shr:8 row_mask:0xf bank_mask:0xf
	v_cndmask_b32_e64 v1, 0, v5, s[22:23]
	v_add_u32_e32 v0, v0, v1
	v_bfe_i32 v5, v68, 4, 1
	s_nop 0
	v_mov_b32_dpp v1, v0 row_bcast:15 row_mask:0xf bank_mask:0xf
	v_and_b32_e32 v1, v5, v1
	v_add_u32_e32 v0, v0, v1
	s_nop 1
	v_mov_b32_dpp v1, v0 row_bcast:31 row_mask:0xf bank_mask:0xf
	v_cndmask_b32_e64 v1, 0, v1, s[26:27]
	v_add_u32_e32 v1, v0, v1
	s_and_saveexec_b64 s[28:29], s[6:7]
	s_cbranch_execz .LBB1769_63
; %bb.62:                               ;   in Loop: Header=BB1769_17 Depth=1
	ds_write_b32 v35, v1
.LBB1769_63:                            ;   in Loop: Header=BB1769_17 Depth=1
	s_or_b64 exec, exec, s[28:29]
	v_and_b32_e32 v0, 3, v68
	s_waitcnt lgkmcnt(0)
	s_barrier
	s_and_saveexec_b64 s[28:29], s[8:9]
	s_cbranch_execz .LBB1769_65
; %bb.64:                               ;   in Loop: Header=BB1769_17 Depth=1
	ds_read_b32 v5, v36
	v_cmp_ne_u32_e32 vcc, 0, v0
	s_waitcnt lgkmcnt(0)
	v_mov_b32_dpp v6, v5 row_shr:1 row_mask:0xf bank_mask:0xf
	v_cndmask_b32_e32 v6, 0, v6, vcc
	v_add_u32_e32 v5, v6, v5
	v_cmp_lt_u32_e32 vcc, 1, v0
	s_nop 0
	v_mov_b32_dpp v6, v5 row_shr:2 row_mask:0xf bank_mask:0xf
	v_cndmask_b32_e32 v6, 0, v6, vcc
	v_add_u32_e32 v5, v5, v6
	ds_write_b32 v36, v5
.LBB1769_65:                            ;   in Loop: Header=BB1769_17 Depth=1
	s_or_b64 exec, exec, s[28:29]
	v_mov_b32_e32 v5, 0
	s_waitcnt lgkmcnt(0)
	s_barrier
	s_and_saveexec_b64 s[28:29], s[10:11]
	s_cbranch_execz .LBB1769_67
; %bb.66:                               ;   in Loop: Header=BB1769_17 Depth=1
	ds_read_b32 v5, v37
.LBB1769_67:                            ;   in Loop: Header=BB1769_17 Depth=1
	s_or_b64 exec, exec, s[28:29]
	v_add_u32_e32 v6, -1, v68
	v_and_b32_e32 v7, 64, v68
	v_cmp_lt_i32_e32 vcc, v6, v7
	v_cndmask_b32_e32 v6, v6, v68, vcc
	s_waitcnt lgkmcnt(0)
	v_add_u32_e32 v1, v5, v1
	v_lshlrev_b32_e32 v69, 2, v6
	ds_bpermute_b32 v1, v69, v1
	v_cmp_eq_u32_e64 s[28:29], 0, v68
	s_waitcnt lgkmcnt(0)
	s_barrier
	s_and_saveexec_b64 s[30:31], s[4:5]
	s_cbranch_execz .LBB1769_69
; %bb.68:                               ;   in Loop: Header=BB1769_17 Depth=1
	v_cndmask_b32_e64 v1, v1, v5, s[28:29]
	v_add_u32_e32 v1, s51, v1
	ds_write_b32 v3, v1
.LBB1769_69:                            ;   in Loop: Header=BB1769_17 Depth=1
	s_or_b64 exec, exec, s[30:31]
	s_load_dword s30, s[74:75], 0x4
	s_load_dword s36, s[74:75], 0xc
	s_waitcnt vmcnt(0)
	v_and_b32_e32 v20, 63, v68
	v_lshlrev_b32_e32 v21, 3, v20
	v_add_co_u32_e32 v77, vcc, v45, v21
	s_waitcnt lgkmcnt(0)
	s_cmp_lt_u32 s33, s30
	s_cselect_b32 s30, 14, 20
	s_add_u32 s30, s74, s30
	s_addc_u32 s31, s75, 0
	global_load_ushort v5, v4, s[30:31]
	v_or_b32_e32 v74, v20, v38
	v_lshlrev_b32_e32 v20, 1, v20
	v_addc_co_u32_e32 v79, vcc, 0, v46, vcc
	v_add_co_u32_e32 v88, vcc, v47, v20
	v_addc_co_u32_e32 v89, vcc, 0, v48, vcc
	s_and_b32 s36, s36, 0xffff
	v_add_co_u32_e32 v90, vcc, 0x380, v88
	v_cmp_eq_u32_e64 s[30:31], 0, v0
	v_cmp_lt_u32_e64 s[34:35], 1, v0
	s_mov_b32 s79, s71
	v_or_b32_e32 v81, 64, v74
	v_or_b32_e32 v82, 0x80, v74
	;; [unrolled: 1-line block ×7, first 2 shown]
	v_addc_co_u32_e32 v91, vcc, 0, v89, vcc
	s_mov_b32 s72, s51
                                        ; implicit-def: $vgpr0_vgpr1
                                        ; implicit-def: $vgpr6_vgpr7
                                        ; implicit-def: $vgpr8_vgpr9
                                        ; implicit-def: $vgpr10_vgpr11
                                        ; implicit-def: $vgpr12_vgpr13
                                        ; implicit-def: $vgpr14_vgpr15
                                        ; implicit-def: $vgpr16_vgpr17
                                        ; implicit-def: $vgpr18_vgpr19
                                        ; implicit-def: $vgpr70
                                        ; implicit-def: $vgpr71
                                        ; implicit-def: $vgpr72
                                        ; implicit-def: $vgpr73
                                        ; implicit-def: $vgpr75
                                        ; implicit-def: $vgpr76
                                        ; implicit-def: $vgpr78
                                        ; implicit-def: $vgpr80
	s_waitcnt vmcnt(0)
	v_mad_u32_u24 v5, v39, v5, v40
	v_mad_u64_u32 v[20:21], s[36:37], v5, s36, v[2:3]
	v_lshrrev_b32_e32 v92, 6, v20
	s_branch .LBB1769_71
.LBB1769_70:                            ;   in Loop: Header=BB1769_71 Depth=2
	s_or_b64 exec, exec, s[36:37]
	s_addk_i32 s79, 0xf800
	s_cmp_lt_u32 s80, s76
	s_mov_b32 s72, s80
	s_cbranch_scc0 .LBB1769_183
.LBB1769_71:                            ;   Parent Loop BB1769_17 Depth=1
                                        ; =>  This Inner Loop Header: Depth=2
	s_add_i32 s80, s72, 0x800
	s_cmp_gt_u32 s80, s76
	s_cbranch_scc1 .LBB1769_74
; %bb.72:                               ;   in Loop: Header=BB1769_71 Depth=2
	s_lshl_b64 s[36:37], s[72:73], 1
	v_mov_b32_e32 v5, s37
	v_add_co_u32_e32 v20, vcc, s36, v88
	v_addc_co_u32_e32 v21, vcc, v89, v5, vcc
	global_load_ushort v5, v[20:21], off
	global_load_ushort v97, v[20:21], off offset:128
	global_load_ushort v101, v[20:21], off offset:256
	;; [unrolled: 1-line block ×6, first 2 shown]
	s_mov_b64 s[36:37], -1
	s_movk_i32 s40, 0x800
	s_cbranch_execz .LBB1769_75
; %bb.73:                               ;   in Loop: Header=BB1769_71 Depth=2
                                        ; implicit-def: $sgpr38
	v_mov_b32_e32 v23, s38
	v_mov_b32_e32 v93, s79
	s_and_saveexec_b64 s[38:39], s[36:37]
	s_cbranch_execnz .LBB1769_90
	s_branch .LBB1769_91
.LBB1769_74:                            ;   in Loop: Header=BB1769_71 Depth=2
	s_mov_b64 s[36:37], 0
                                        ; implicit-def: $sgpr40
                                        ; implicit-def: $vgpr5
                                        ; implicit-def: $vgpr97
                                        ; implicit-def: $vgpr101
                                        ; implicit-def: $vgpr106
                                        ; implicit-def: $vgpr109
                                        ; implicit-def: $vgpr104
                                        ; implicit-def: $vgpr22
.LBB1769_75:                            ;   in Loop: Header=BB1769_71 Depth=2
	s_lshl_b64 s[36:37], s[72:73], 1
	s_waitcnt vmcnt(6)
	v_mov_b32_e32 v5, s37
	v_add_co_u32_e32 v20, vcc, s36, v88
	v_addc_co_u32_e32 v21, vcc, v89, v5, vcc
	v_cmp_gt_u32_e32 vcc, s79, v74
	s_waitcnt vmcnt(5)
	v_mov_b32_e32 v97, -1
	v_mov_b32_e32 v5, -1
	s_and_saveexec_b64 s[36:37], vcc
	s_cbranch_execz .LBB1769_77
; %bb.76:                               ;   in Loop: Header=BB1769_71 Depth=2
	global_load_ushort v5, v[20:21], off
.LBB1769_77:                            ;   in Loop: Header=BB1769_71 Depth=2
	s_or_b64 exec, exec, s[36:37]
	v_cmp_gt_u32_e32 vcc, s79, v81
	s_and_saveexec_b64 s[36:37], vcc
	s_cbranch_execz .LBB1769_79
; %bb.78:                               ;   in Loop: Header=BB1769_71 Depth=2
	global_load_ushort v97, v[20:21], off offset:128
.LBB1769_79:                            ;   in Loop: Header=BB1769_71 Depth=2
	s_or_b64 exec, exec, s[36:37]
	v_cmp_gt_u32_e32 vcc, s79, v82
	s_waitcnt vmcnt(3)
	v_mov_b32_e32 v106, -1
	v_mov_b32_e32 v101, -1
	s_and_saveexec_b64 s[36:37], vcc
	s_cbranch_execz .LBB1769_81
; %bb.80:                               ;   in Loop: Header=BB1769_71 Depth=2
	global_load_ushort v101, v[20:21], off offset:256
.LBB1769_81:                            ;   in Loop: Header=BB1769_71 Depth=2
	s_or_b64 exec, exec, s[36:37]
	v_cmp_gt_u32_e32 vcc, s79, v83
	s_and_saveexec_b64 s[36:37], vcc
	s_cbranch_execz .LBB1769_83
; %bb.82:                               ;   in Loop: Header=BB1769_71 Depth=2
	global_load_ushort v106, v[20:21], off offset:384
.LBB1769_83:                            ;   in Loop: Header=BB1769_71 Depth=2
	s_or_b64 exec, exec, s[36:37]
	v_cmp_gt_u32_e32 vcc, s79, v84
	s_waitcnt vmcnt(1)
	v_mov_b32_e32 v104, -1
	v_mov_b32_e32 v109, -1
	s_and_saveexec_b64 s[36:37], vcc
	s_cbranch_execz .LBB1769_85
; %bb.84:                               ;   in Loop: Header=BB1769_71 Depth=2
	global_load_ushort v109, v[20:21], off offset:512
.LBB1769_85:                            ;   in Loop: Header=BB1769_71 Depth=2
	s_or_b64 exec, exec, s[36:37]
	v_cmp_gt_u32_e32 vcc, s79, v85
	s_and_saveexec_b64 s[36:37], vcc
	s_cbranch_execz .LBB1769_87
; %bb.86:                               ;   in Loop: Header=BB1769_71 Depth=2
	global_load_ushort v104, v[20:21], off offset:640
.LBB1769_87:                            ;   in Loop: Header=BB1769_71 Depth=2
	s_or_b64 exec, exec, s[36:37]
	v_cmp_gt_u32_e32 vcc, s79, v86
	s_waitcnt vmcnt(0)
	v_mov_b32_e32 v22, -1
	s_and_saveexec_b64 s[36:37], vcc
	s_cbranch_execz .LBB1769_89
; %bb.88:                               ;   in Loop: Header=BB1769_71 Depth=2
	global_load_ushort v22, v[20:21], off offset:768
.LBB1769_89:                            ;   in Loop: Header=BB1769_71 Depth=2
	s_or_b64 exec, exec, s[36:37]
	s_sub_i32 s40, s76, s72
	v_cmp_gt_u32_e64 s[36:37], s79, v87
	s_mov_b32 s38, -1
	v_mov_b32_e32 v23, s38
	v_mov_b32_e32 v93, s79
	s_and_saveexec_b64 s[38:39], s[36:37]
	s_cbranch_execz .LBB1769_91
.LBB1769_90:                            ;   in Loop: Header=BB1769_71 Depth=2
	s_lshl_b64 s[36:37], s[72:73], 1
	v_mov_b32_e32 v21, s37
	v_add_co_u32_e32 v20, vcc, s36, v90
	v_addc_co_u32_e32 v21, vcc, v91, v21, vcc
	global_load_ushort v23, v[20:21], off
	v_mov_b32_e32 v93, s40
.LBB1769_91:                            ;   in Loop: Header=BB1769_71 Depth=2
	s_or_b64 exec, exec, s[38:39]
	s_waitcnt vmcnt(6)
	v_cmp_gt_i16_e32 vcc, 0, v5
	v_cndmask_b32_e64 v20, v66, 0, vcc
	v_xor_b32_e32 v94, v20, v5
	v_add_u32_e32 v5, 0x410, v41
	v_cmp_ne_u16_e32 vcc, s68, v94
	ds_write2_b32 v5, v4, v4 offset1:1
	ds_write2_b32 v43, v4, v4 offset0:2 offset1:3
	ds_write_b32 v43, v4 offset:16
	v_cndmask_b32_e32 v5, v66, v94, vcc
	v_lshrrev_b32_sdwa v5, s77, v5 dst_sel:DWORD dst_unused:UNUSED_PAD src0_sel:DWORD src1_sel:WORD_0
	v_and_b32_e32 v20, s78, v5
	v_mad_u32_u24 v5, v20, 5, v92
	v_lshl_add_u32 v95, v5, 2, v42
	v_and_b32_e32 v5, 1, v20
	v_add_co_u32_e32 v21, vcc, -1, v5
	v_addc_co_u32_e64 v96, s[36:37], 0, -1, vcc
	v_cmp_ne_u32_e32 vcc, 0, v5
	v_xor_b32_e32 v5, vcc_hi, v96
	v_and_b32_e32 v96, exec_hi, v5
	v_lshlrev_b32_e32 v5, 30, v20
	v_xor_b32_e32 v21, vcc_lo, v21
	v_cmp_gt_i64_e32 vcc, 0, v[4:5]
	v_not_b32_e32 v5, v5
	v_ashrrev_i32_e32 v5, 31, v5
	v_and_b32_e32 v21, exec_lo, v21
	v_xor_b32_e32 v98, vcc_hi, v5
	v_xor_b32_e32 v5, vcc_lo, v5
	v_and_b32_e32 v21, v21, v5
	v_lshlrev_b32_e32 v5, 29, v20
	v_cmp_gt_i64_e32 vcc, 0, v[4:5]
	v_not_b32_e32 v5, v5
	v_ashrrev_i32_e32 v5, 31, v5
	v_and_b32_e32 v96, v96, v98
	v_xor_b32_e32 v98, vcc_hi, v5
	v_xor_b32_e32 v5, vcc_lo, v5
	v_and_b32_e32 v21, v21, v5
	v_lshlrev_b32_e32 v5, 28, v20
	v_cmp_gt_i64_e32 vcc, 0, v[4:5]
	v_not_b32_e32 v5, v5
	v_ashrrev_i32_e32 v5, 31, v5
	v_and_b32_e32 v96, v96, v98
	;; [unrolled: 8-line block ×5, first 2 shown]
	v_xor_b32_e32 v98, vcc_hi, v5
	v_xor_b32_e32 v5, vcc_lo, v5
	v_and_b32_e32 v96, v96, v98
	v_and_b32_e32 v98, v21, v5
	v_lshlrev_b32_e32 v5, 24, v20
	v_cmp_gt_i64_e32 vcc, 0, v[4:5]
	v_not_b32_e32 v5, v5
	v_ashrrev_i32_e32 v5, 31, v5
	v_xor_b32_e32 v20, vcc_hi, v5
	v_xor_b32_e32 v5, vcc_lo, v5
	v_and_b32_e32 v21, v96, v20
	v_and_b32_e32 v20, v98, v5
	v_mbcnt_lo_u32_b32 v5, v20, 0
	v_mbcnt_hi_u32_b32 v96, v21, v5
	v_cmp_eq_u32_e32 vcc, 0, v96
	v_cmp_ne_u64_e64 s[36:37], 0, v[20:21]
	s_and_b64 s[38:39], s[36:37], vcc
	s_waitcnt lgkmcnt(0)
	s_barrier
	s_waitcnt lgkmcnt(0)
	; wave barrier
	s_and_saveexec_b64 s[36:37], s[38:39]
	s_cbranch_execz .LBB1769_93
; %bb.92:                               ;   in Loop: Header=BB1769_71 Depth=2
	v_bcnt_u32_b32 v5, v20, 0
	v_bcnt_u32_b32 v5, v21, v5
	ds_write_b32 v95, v5
.LBB1769_93:                            ;   in Loop: Header=BB1769_71 Depth=2
	s_or_b64 exec, exec, s[36:37]
	s_waitcnt vmcnt(5)
	v_cmp_gt_i16_e32 vcc, 0, v97
	v_cndmask_b32_e64 v5, v66, 0, vcc
	v_xor_b32_e32 v97, v5, v97
	v_cmp_ne_u16_e32 vcc, s68, v97
	v_cndmask_b32_e32 v5, v66, v97, vcc
	v_lshrrev_b32_sdwa v5, s77, v5 dst_sel:DWORD dst_unused:UNUSED_PAD src0_sel:DWORD src1_sel:WORD_0
	v_and_b32_e32 v20, s78, v5
	v_mul_u32_u24_e32 v5, 5, v20
	v_add_lshl_u32 v5, v5, v92, 2
	; wave barrier
	v_add_u32_e32 v99, 0x410, v5
	ds_read_b32 v98, v5 offset:1040
	v_and_b32_e32 v5, 1, v20
	v_add_co_u32_e32 v21, vcc, -1, v5
	v_addc_co_u32_e64 v100, s[36:37], 0, -1, vcc
	v_cmp_ne_u32_e32 vcc, 0, v5
	v_xor_b32_e32 v5, vcc_hi, v100
	v_and_b32_e32 v100, exec_hi, v5
	v_lshlrev_b32_e32 v5, 30, v20
	v_xor_b32_e32 v21, vcc_lo, v21
	v_cmp_gt_i64_e32 vcc, 0, v[4:5]
	v_not_b32_e32 v5, v5
	v_ashrrev_i32_e32 v5, 31, v5
	v_and_b32_e32 v21, exec_lo, v21
	v_xor_b32_e32 v102, vcc_hi, v5
	v_xor_b32_e32 v5, vcc_lo, v5
	v_and_b32_e32 v21, v21, v5
	v_lshlrev_b32_e32 v5, 29, v20
	v_cmp_gt_i64_e32 vcc, 0, v[4:5]
	v_not_b32_e32 v5, v5
	v_ashrrev_i32_e32 v5, 31, v5
	v_and_b32_e32 v100, v100, v102
	v_xor_b32_e32 v102, vcc_hi, v5
	v_xor_b32_e32 v5, vcc_lo, v5
	v_and_b32_e32 v21, v21, v5
	v_lshlrev_b32_e32 v5, 28, v20
	v_cmp_gt_i64_e32 vcc, 0, v[4:5]
	v_not_b32_e32 v5, v5
	v_ashrrev_i32_e32 v5, 31, v5
	v_and_b32_e32 v100, v100, v102
	;; [unrolled: 8-line block ×5, first 2 shown]
	v_xor_b32_e32 v102, vcc_hi, v5
	v_xor_b32_e32 v5, vcc_lo, v5
	v_and_b32_e32 v100, v100, v102
	v_and_b32_e32 v102, v21, v5
	v_lshlrev_b32_e32 v5, 24, v20
	v_cmp_gt_i64_e32 vcc, 0, v[4:5]
	v_not_b32_e32 v5, v5
	v_ashrrev_i32_e32 v5, 31, v5
	v_xor_b32_e32 v20, vcc_hi, v5
	v_xor_b32_e32 v5, vcc_lo, v5
	v_and_b32_e32 v21, v100, v20
	v_and_b32_e32 v20, v102, v5
	v_mbcnt_lo_u32_b32 v5, v20, 0
	v_mbcnt_hi_u32_b32 v100, v21, v5
	v_cmp_eq_u32_e32 vcc, 0, v100
	v_cmp_ne_u64_e64 s[36:37], 0, v[20:21]
	s_and_b64 s[38:39], s[36:37], vcc
	; wave barrier
	s_and_saveexec_b64 s[36:37], s[38:39]
	s_cbranch_execz .LBB1769_95
; %bb.94:                               ;   in Loop: Header=BB1769_71 Depth=2
	v_bcnt_u32_b32 v5, v20, 0
	v_bcnt_u32_b32 v5, v21, v5
	s_waitcnt lgkmcnt(0)
	v_add_u32_e32 v5, v98, v5
	ds_write_b32 v99, v5
.LBB1769_95:                            ;   in Loop: Header=BB1769_71 Depth=2
	s_or_b64 exec, exec, s[36:37]
	s_waitcnt vmcnt(4)
	v_cmp_gt_i16_e32 vcc, 0, v101
	v_cndmask_b32_e64 v5, v66, 0, vcc
	v_xor_b32_e32 v101, v5, v101
	v_cmp_ne_u16_e32 vcc, s68, v101
	v_cndmask_b32_e32 v5, v66, v101, vcc
	v_lshrrev_b32_sdwa v5, s77, v5 dst_sel:DWORD dst_unused:UNUSED_PAD src0_sel:DWORD src1_sel:WORD_0
	v_and_b32_e32 v20, s78, v5
	v_mul_u32_u24_e32 v5, 5, v20
	v_add_lshl_u32 v5, v5, v92, 2
	; wave barrier
	v_add_u32_e32 v103, 0x410, v5
	ds_read_b32 v102, v5 offset:1040
	v_and_b32_e32 v5, 1, v20
	v_add_co_u32_e32 v21, vcc, -1, v5
	v_addc_co_u32_e64 v105, s[36:37], 0, -1, vcc
	v_cmp_ne_u32_e32 vcc, 0, v5
	v_xor_b32_e32 v5, vcc_hi, v105
	v_and_b32_e32 v105, exec_hi, v5
	v_lshlrev_b32_e32 v5, 30, v20
	v_xor_b32_e32 v21, vcc_lo, v21
	v_cmp_gt_i64_e32 vcc, 0, v[4:5]
	v_not_b32_e32 v5, v5
	v_ashrrev_i32_e32 v5, 31, v5
	v_and_b32_e32 v21, exec_lo, v21
	v_xor_b32_e32 v107, vcc_hi, v5
	v_xor_b32_e32 v5, vcc_lo, v5
	v_and_b32_e32 v21, v21, v5
	v_lshlrev_b32_e32 v5, 29, v20
	v_cmp_gt_i64_e32 vcc, 0, v[4:5]
	v_not_b32_e32 v5, v5
	v_ashrrev_i32_e32 v5, 31, v5
	v_and_b32_e32 v105, v105, v107
	v_xor_b32_e32 v107, vcc_hi, v5
	v_xor_b32_e32 v5, vcc_lo, v5
	v_and_b32_e32 v21, v21, v5
	v_lshlrev_b32_e32 v5, 28, v20
	v_cmp_gt_i64_e32 vcc, 0, v[4:5]
	v_not_b32_e32 v5, v5
	v_ashrrev_i32_e32 v5, 31, v5
	v_and_b32_e32 v105, v105, v107
	;; [unrolled: 8-line block ×5, first 2 shown]
	v_xor_b32_e32 v107, vcc_hi, v5
	v_xor_b32_e32 v5, vcc_lo, v5
	v_and_b32_e32 v105, v105, v107
	v_and_b32_e32 v107, v21, v5
	v_lshlrev_b32_e32 v5, 24, v20
	v_cmp_gt_i64_e32 vcc, 0, v[4:5]
	v_not_b32_e32 v5, v5
	v_ashrrev_i32_e32 v5, 31, v5
	v_xor_b32_e32 v20, vcc_hi, v5
	v_xor_b32_e32 v5, vcc_lo, v5
	v_and_b32_e32 v21, v105, v20
	v_and_b32_e32 v20, v107, v5
	v_mbcnt_lo_u32_b32 v5, v20, 0
	v_mbcnt_hi_u32_b32 v105, v21, v5
	v_cmp_eq_u32_e32 vcc, 0, v105
	v_cmp_ne_u64_e64 s[36:37], 0, v[20:21]
	s_and_b64 s[38:39], s[36:37], vcc
	; wave barrier
	s_and_saveexec_b64 s[36:37], s[38:39]
	s_cbranch_execz .LBB1769_97
; %bb.96:                               ;   in Loop: Header=BB1769_71 Depth=2
	v_bcnt_u32_b32 v5, v20, 0
	v_bcnt_u32_b32 v5, v21, v5
	s_waitcnt lgkmcnt(0)
	v_add_u32_e32 v5, v102, v5
	ds_write_b32 v103, v5
.LBB1769_97:                            ;   in Loop: Header=BB1769_71 Depth=2
	s_or_b64 exec, exec, s[36:37]
	s_waitcnt vmcnt(3)
	v_cmp_gt_i16_e32 vcc, 0, v106
	v_cndmask_b32_e64 v5, v66, 0, vcc
	v_xor_b32_e32 v106, v5, v106
	v_cmp_ne_u16_e32 vcc, s68, v106
	v_cndmask_b32_e32 v5, v66, v106, vcc
	v_lshrrev_b32_sdwa v5, s77, v5 dst_sel:DWORD dst_unused:UNUSED_PAD src0_sel:DWORD src1_sel:WORD_0
	v_and_b32_e32 v20, s78, v5
	v_mul_u32_u24_e32 v5, 5, v20
	v_add_lshl_u32 v5, v5, v92, 2
	; wave barrier
	v_add_u32_e32 v108, 0x410, v5
	ds_read_b32 v107, v5 offset:1040
	v_and_b32_e32 v5, 1, v20
	v_add_co_u32_e32 v21, vcc, -1, v5
	v_addc_co_u32_e64 v110, s[36:37], 0, -1, vcc
	v_cmp_ne_u32_e32 vcc, 0, v5
	v_xor_b32_e32 v5, vcc_hi, v110
	v_and_b32_e32 v110, exec_hi, v5
	v_lshlrev_b32_e32 v5, 30, v20
	v_xor_b32_e32 v21, vcc_lo, v21
	v_cmp_gt_i64_e32 vcc, 0, v[4:5]
	v_not_b32_e32 v5, v5
	v_ashrrev_i32_e32 v5, 31, v5
	v_and_b32_e32 v21, exec_lo, v21
	v_xor_b32_e32 v111, vcc_hi, v5
	v_xor_b32_e32 v5, vcc_lo, v5
	v_and_b32_e32 v21, v21, v5
	v_lshlrev_b32_e32 v5, 29, v20
	v_cmp_gt_i64_e32 vcc, 0, v[4:5]
	v_not_b32_e32 v5, v5
	v_ashrrev_i32_e32 v5, 31, v5
	v_and_b32_e32 v110, v110, v111
	v_xor_b32_e32 v111, vcc_hi, v5
	v_xor_b32_e32 v5, vcc_lo, v5
	v_and_b32_e32 v21, v21, v5
	v_lshlrev_b32_e32 v5, 28, v20
	v_cmp_gt_i64_e32 vcc, 0, v[4:5]
	v_not_b32_e32 v5, v5
	v_ashrrev_i32_e32 v5, 31, v5
	v_and_b32_e32 v110, v110, v111
	;; [unrolled: 8-line block ×5, first 2 shown]
	v_xor_b32_e32 v111, vcc_hi, v5
	v_xor_b32_e32 v5, vcc_lo, v5
	v_and_b32_e32 v110, v110, v111
	v_and_b32_e32 v111, v21, v5
	v_lshlrev_b32_e32 v5, 24, v20
	v_cmp_gt_i64_e32 vcc, 0, v[4:5]
	v_not_b32_e32 v5, v5
	v_ashrrev_i32_e32 v5, 31, v5
	v_xor_b32_e32 v20, vcc_hi, v5
	v_xor_b32_e32 v5, vcc_lo, v5
	v_and_b32_e32 v21, v110, v20
	v_and_b32_e32 v20, v111, v5
	v_mbcnt_lo_u32_b32 v5, v20, 0
	v_mbcnt_hi_u32_b32 v110, v21, v5
	v_cmp_eq_u32_e32 vcc, 0, v110
	v_cmp_ne_u64_e64 s[36:37], 0, v[20:21]
	s_and_b64 s[38:39], s[36:37], vcc
	; wave barrier
	s_and_saveexec_b64 s[36:37], s[38:39]
	s_cbranch_execz .LBB1769_99
; %bb.98:                               ;   in Loop: Header=BB1769_71 Depth=2
	v_bcnt_u32_b32 v5, v20, 0
	v_bcnt_u32_b32 v5, v21, v5
	s_waitcnt lgkmcnt(0)
	v_add_u32_e32 v5, v107, v5
	ds_write_b32 v108, v5
.LBB1769_99:                            ;   in Loop: Header=BB1769_71 Depth=2
	s_or_b64 exec, exec, s[36:37]
	s_waitcnt vmcnt(2)
	v_cmp_gt_i16_e32 vcc, 0, v109
	v_cndmask_b32_e64 v5, v66, 0, vcc
	v_xor_b32_e32 v109, v5, v109
	v_cmp_ne_u16_e32 vcc, s68, v109
	v_cndmask_b32_e32 v5, v66, v109, vcc
	v_lshrrev_b32_sdwa v5, s77, v5 dst_sel:DWORD dst_unused:UNUSED_PAD src0_sel:DWORD src1_sel:WORD_0
	v_and_b32_e32 v20, s78, v5
	v_mul_u32_u24_e32 v5, 5, v20
	v_add_lshl_u32 v5, v5, v92, 2
	; wave barrier
	v_add_u32_e32 v112, 0x410, v5
	ds_read_b32 v111, v5 offset:1040
	v_and_b32_e32 v5, 1, v20
	v_add_co_u32_e32 v21, vcc, -1, v5
	v_addc_co_u32_e64 v113, s[36:37], 0, -1, vcc
	v_cmp_ne_u32_e32 vcc, 0, v5
	v_xor_b32_e32 v5, vcc_hi, v113
	v_and_b32_e32 v113, exec_hi, v5
	v_lshlrev_b32_e32 v5, 30, v20
	v_xor_b32_e32 v21, vcc_lo, v21
	v_cmp_gt_i64_e32 vcc, 0, v[4:5]
	v_not_b32_e32 v5, v5
	v_ashrrev_i32_e32 v5, 31, v5
	v_and_b32_e32 v21, exec_lo, v21
	v_xor_b32_e32 v114, vcc_hi, v5
	v_xor_b32_e32 v5, vcc_lo, v5
	v_and_b32_e32 v21, v21, v5
	v_lshlrev_b32_e32 v5, 29, v20
	v_cmp_gt_i64_e32 vcc, 0, v[4:5]
	v_not_b32_e32 v5, v5
	v_ashrrev_i32_e32 v5, 31, v5
	v_and_b32_e32 v113, v113, v114
	v_xor_b32_e32 v114, vcc_hi, v5
	v_xor_b32_e32 v5, vcc_lo, v5
	v_and_b32_e32 v21, v21, v5
	v_lshlrev_b32_e32 v5, 28, v20
	v_cmp_gt_i64_e32 vcc, 0, v[4:5]
	v_not_b32_e32 v5, v5
	v_ashrrev_i32_e32 v5, 31, v5
	v_and_b32_e32 v113, v113, v114
	;; [unrolled: 8-line block ×5, first 2 shown]
	v_xor_b32_e32 v114, vcc_hi, v5
	v_xor_b32_e32 v5, vcc_lo, v5
	v_and_b32_e32 v113, v113, v114
	v_and_b32_e32 v114, v21, v5
	v_lshlrev_b32_e32 v5, 24, v20
	v_cmp_gt_i64_e32 vcc, 0, v[4:5]
	v_not_b32_e32 v5, v5
	v_ashrrev_i32_e32 v5, 31, v5
	v_xor_b32_e32 v20, vcc_hi, v5
	v_xor_b32_e32 v5, vcc_lo, v5
	v_and_b32_e32 v21, v113, v20
	v_and_b32_e32 v20, v114, v5
	v_mbcnt_lo_u32_b32 v5, v20, 0
	v_mbcnt_hi_u32_b32 v113, v21, v5
	v_cmp_eq_u32_e32 vcc, 0, v113
	v_cmp_ne_u64_e64 s[36:37], 0, v[20:21]
	s_and_b64 s[38:39], s[36:37], vcc
	; wave barrier
	s_and_saveexec_b64 s[36:37], s[38:39]
	s_cbranch_execz .LBB1769_101
; %bb.100:                              ;   in Loop: Header=BB1769_71 Depth=2
	v_bcnt_u32_b32 v5, v20, 0
	v_bcnt_u32_b32 v5, v21, v5
	s_waitcnt lgkmcnt(0)
	v_add_u32_e32 v5, v111, v5
	ds_write_b32 v112, v5
.LBB1769_101:                           ;   in Loop: Header=BB1769_71 Depth=2
	s_or_b64 exec, exec, s[36:37]
	s_waitcnt vmcnt(1)
	v_cmp_gt_i16_e32 vcc, 0, v104
	v_cndmask_b32_e64 v5, v66, 0, vcc
	v_xor_b32_e32 v104, v5, v104
	v_cmp_ne_u16_e32 vcc, s68, v104
	v_cndmask_b32_e32 v5, v66, v104, vcc
	v_lshrrev_b32_sdwa v5, s77, v5 dst_sel:DWORD dst_unused:UNUSED_PAD src0_sel:DWORD src1_sel:WORD_0
	v_and_b32_e32 v20, s78, v5
	v_mul_u32_u24_e32 v5, 5, v20
	v_add_lshl_u32 v5, v5, v92, 2
	; wave barrier
	v_add_u32_e32 v115, 0x410, v5
	ds_read_b32 v114, v5 offset:1040
	v_and_b32_e32 v5, 1, v20
	v_add_co_u32_e32 v21, vcc, -1, v5
	v_addc_co_u32_e64 v116, s[36:37], 0, -1, vcc
	v_cmp_ne_u32_e32 vcc, 0, v5
	v_xor_b32_e32 v5, vcc_hi, v116
	v_and_b32_e32 v116, exec_hi, v5
	v_lshlrev_b32_e32 v5, 30, v20
	v_xor_b32_e32 v21, vcc_lo, v21
	v_cmp_gt_i64_e32 vcc, 0, v[4:5]
	v_not_b32_e32 v5, v5
	v_ashrrev_i32_e32 v5, 31, v5
	v_and_b32_e32 v21, exec_lo, v21
	v_xor_b32_e32 v117, vcc_hi, v5
	v_xor_b32_e32 v5, vcc_lo, v5
	v_and_b32_e32 v21, v21, v5
	v_lshlrev_b32_e32 v5, 29, v20
	v_cmp_gt_i64_e32 vcc, 0, v[4:5]
	v_not_b32_e32 v5, v5
	v_ashrrev_i32_e32 v5, 31, v5
	v_and_b32_e32 v116, v116, v117
	v_xor_b32_e32 v117, vcc_hi, v5
	v_xor_b32_e32 v5, vcc_lo, v5
	v_and_b32_e32 v21, v21, v5
	v_lshlrev_b32_e32 v5, 28, v20
	v_cmp_gt_i64_e32 vcc, 0, v[4:5]
	v_not_b32_e32 v5, v5
	v_ashrrev_i32_e32 v5, 31, v5
	v_and_b32_e32 v116, v116, v117
	v_xor_b32_e32 v117, vcc_hi, v5
	v_xor_b32_e32 v5, vcc_lo, v5
	v_and_b32_e32 v21, v21, v5
	v_lshlrev_b32_e32 v5, 27, v20
	v_cmp_gt_i64_e32 vcc, 0, v[4:5]
	v_not_b32_e32 v5, v5
	v_ashrrev_i32_e32 v5, 31, v5
	v_and_b32_e32 v116, v116, v117
	v_xor_b32_e32 v117, vcc_hi, v5
	v_xor_b32_e32 v5, vcc_lo, v5
	v_and_b32_e32 v21, v21, v5
	v_lshlrev_b32_e32 v5, 26, v20
	v_cmp_gt_i64_e32 vcc, 0, v[4:5]
	v_not_b32_e32 v5, v5
	v_ashrrev_i32_e32 v5, 31, v5
	v_and_b32_e32 v116, v116, v117
	v_xor_b32_e32 v117, vcc_hi, v5
	v_xor_b32_e32 v5, vcc_lo, v5
	v_and_b32_e32 v21, v21, v5
	v_lshlrev_b32_e32 v5, 25, v20
	v_cmp_gt_i64_e32 vcc, 0, v[4:5]
	v_not_b32_e32 v5, v5
	v_ashrrev_i32_e32 v5, 31, v5
	v_and_b32_e32 v116, v116, v117
	v_xor_b32_e32 v117, vcc_hi, v5
	v_xor_b32_e32 v5, vcc_lo, v5
	v_and_b32_e32 v116, v116, v117
	v_and_b32_e32 v117, v21, v5
	v_lshlrev_b32_e32 v5, 24, v20
	v_cmp_gt_i64_e32 vcc, 0, v[4:5]
	v_not_b32_e32 v5, v5
	v_ashrrev_i32_e32 v5, 31, v5
	v_xor_b32_e32 v20, vcc_hi, v5
	v_xor_b32_e32 v5, vcc_lo, v5
	v_and_b32_e32 v21, v116, v20
	v_and_b32_e32 v20, v117, v5
	v_mbcnt_lo_u32_b32 v5, v20, 0
	v_mbcnt_hi_u32_b32 v116, v21, v5
	v_cmp_eq_u32_e32 vcc, 0, v116
	v_cmp_ne_u64_e64 s[36:37], 0, v[20:21]
	s_and_b64 s[38:39], s[36:37], vcc
	; wave barrier
	s_and_saveexec_b64 s[36:37], s[38:39]
	s_cbranch_execz .LBB1769_103
; %bb.102:                              ;   in Loop: Header=BB1769_71 Depth=2
	v_bcnt_u32_b32 v5, v20, 0
	v_bcnt_u32_b32 v5, v21, v5
	s_waitcnt lgkmcnt(0)
	v_add_u32_e32 v5, v114, v5
	ds_write_b32 v115, v5
.LBB1769_103:                           ;   in Loop: Header=BB1769_71 Depth=2
	s_or_b64 exec, exec, s[36:37]
	s_waitcnt vmcnt(0)
	v_cmp_gt_i16_e32 vcc, 0, v22
	v_cndmask_b32_e64 v5, v66, 0, vcc
	v_xor_b32_e32 v117, v5, v22
	v_cmp_ne_u16_e32 vcc, s68, v117
	v_cndmask_b32_e32 v5, v66, v117, vcc
	v_lshrrev_b32_sdwa v5, s77, v5 dst_sel:DWORD dst_unused:UNUSED_PAD src0_sel:DWORD src1_sel:WORD_0
	v_and_b32_e32 v20, s78, v5
	v_mul_u32_u24_e32 v5, 5, v20
	v_add_lshl_u32 v5, v5, v92, 2
	; wave barrier
	v_add_u32_e32 v119, 0x410, v5
	ds_read_b32 v118, v5 offset:1040
	v_and_b32_e32 v5, 1, v20
	v_add_co_u32_e32 v21, vcc, -1, v5
	v_addc_co_u32_e64 v22, s[36:37], 0, -1, vcc
	v_cmp_ne_u32_e32 vcc, 0, v5
	v_xor_b32_e32 v5, vcc_hi, v22
	v_and_b32_e32 v22, exec_hi, v5
	v_lshlrev_b32_e32 v5, 30, v20
	v_xor_b32_e32 v21, vcc_lo, v21
	v_cmp_gt_i64_e32 vcc, 0, v[4:5]
	v_not_b32_e32 v5, v5
	v_ashrrev_i32_e32 v5, 31, v5
	v_and_b32_e32 v21, exec_lo, v21
	v_xor_b32_e32 v120, vcc_hi, v5
	v_xor_b32_e32 v5, vcc_lo, v5
	v_and_b32_e32 v21, v21, v5
	v_lshlrev_b32_e32 v5, 29, v20
	v_cmp_gt_i64_e32 vcc, 0, v[4:5]
	v_not_b32_e32 v5, v5
	v_ashrrev_i32_e32 v5, 31, v5
	v_and_b32_e32 v22, v22, v120
	v_xor_b32_e32 v120, vcc_hi, v5
	v_xor_b32_e32 v5, vcc_lo, v5
	v_and_b32_e32 v21, v21, v5
	v_lshlrev_b32_e32 v5, 28, v20
	v_cmp_gt_i64_e32 vcc, 0, v[4:5]
	v_not_b32_e32 v5, v5
	v_ashrrev_i32_e32 v5, 31, v5
	v_and_b32_e32 v22, v22, v120
	;; [unrolled: 8-line block ×5, first 2 shown]
	v_xor_b32_e32 v120, vcc_hi, v5
	v_xor_b32_e32 v5, vcc_lo, v5
	v_and_b32_e32 v22, v22, v120
	v_and_b32_e32 v120, v21, v5
	v_lshlrev_b32_e32 v5, 24, v20
	v_cmp_gt_i64_e32 vcc, 0, v[4:5]
	v_not_b32_e32 v5, v5
	v_ashrrev_i32_e32 v5, 31, v5
	v_xor_b32_e32 v20, vcc_hi, v5
	v_xor_b32_e32 v5, vcc_lo, v5
	v_and_b32_e32 v21, v22, v20
	v_and_b32_e32 v20, v120, v5
	v_mbcnt_lo_u32_b32 v5, v20, 0
	v_mbcnt_hi_u32_b32 v120, v21, v5
	v_cmp_eq_u32_e32 vcc, 0, v120
	v_cmp_ne_u64_e64 s[36:37], 0, v[20:21]
	s_and_b64 s[38:39], s[36:37], vcc
	; wave barrier
	s_and_saveexec_b64 s[36:37], s[38:39]
	s_cbranch_execz .LBB1769_105
; %bb.104:                              ;   in Loop: Header=BB1769_71 Depth=2
	v_bcnt_u32_b32 v5, v20, 0
	v_bcnt_u32_b32 v5, v21, v5
	s_waitcnt lgkmcnt(0)
	v_add_u32_e32 v5, v118, v5
	ds_write_b32 v119, v5
.LBB1769_105:                           ;   in Loop: Header=BB1769_71 Depth=2
	s_or_b64 exec, exec, s[36:37]
	v_cmp_gt_i16_e32 vcc, 0, v23
	v_cndmask_b32_e64 v5, v66, 0, vcc
	v_xor_b32_e32 v121, v5, v23
	v_cmp_ne_u16_e32 vcc, s68, v121
	v_cndmask_b32_e32 v5, v66, v121, vcc
	v_lshrrev_b32_sdwa v5, s77, v5 dst_sel:DWORD dst_unused:UNUSED_PAD src0_sel:DWORD src1_sel:WORD_0
	v_and_b32_e32 v20, s78, v5
	v_mul_u32_u24_e32 v5, 5, v20
	v_add_lshl_u32 v5, v5, v92, 2
	; wave barrier
	v_add_u32_e32 v123, 0x410, v5
	ds_read_b32 v122, v5 offset:1040
	v_and_b32_e32 v5, 1, v20
	v_add_co_u32_e32 v21, vcc, -1, v5
	v_addc_co_u32_e64 v22, s[36:37], 0, -1, vcc
	v_cmp_ne_u32_e32 vcc, 0, v5
	v_xor_b32_e32 v5, vcc_hi, v22
	v_and_b32_e32 v22, exec_hi, v5
	v_lshlrev_b32_e32 v5, 30, v20
	v_xor_b32_e32 v21, vcc_lo, v21
	v_cmp_gt_i64_e32 vcc, 0, v[4:5]
	v_not_b32_e32 v5, v5
	v_ashrrev_i32_e32 v5, 31, v5
	v_and_b32_e32 v21, exec_lo, v21
	v_xor_b32_e32 v23, vcc_hi, v5
	v_xor_b32_e32 v5, vcc_lo, v5
	v_and_b32_e32 v21, v21, v5
	v_lshlrev_b32_e32 v5, 29, v20
	v_cmp_gt_i64_e32 vcc, 0, v[4:5]
	v_not_b32_e32 v5, v5
	v_ashrrev_i32_e32 v5, 31, v5
	v_and_b32_e32 v22, v22, v23
	v_xor_b32_e32 v23, vcc_hi, v5
	v_xor_b32_e32 v5, vcc_lo, v5
	v_and_b32_e32 v21, v21, v5
	v_lshlrev_b32_e32 v5, 28, v20
	v_cmp_gt_i64_e32 vcc, 0, v[4:5]
	v_not_b32_e32 v5, v5
	v_ashrrev_i32_e32 v5, 31, v5
	v_and_b32_e32 v22, v22, v23
	;; [unrolled: 8-line block ×5, first 2 shown]
	v_xor_b32_e32 v23, vcc_hi, v5
	v_xor_b32_e32 v5, vcc_lo, v5
	v_and_b32_e32 v22, v22, v23
	v_and_b32_e32 v23, v21, v5
	v_lshlrev_b32_e32 v5, 24, v20
	v_cmp_gt_i64_e32 vcc, 0, v[4:5]
	v_not_b32_e32 v5, v5
	v_ashrrev_i32_e32 v5, 31, v5
	v_xor_b32_e32 v20, vcc_hi, v5
	v_xor_b32_e32 v5, vcc_lo, v5
	v_and_b32_e32 v21, v22, v20
	v_and_b32_e32 v20, v23, v5
	v_mbcnt_lo_u32_b32 v5, v20, 0
	v_mbcnt_hi_u32_b32 v124, v21, v5
	v_cmp_eq_u32_e32 vcc, 0, v124
	v_cmp_ne_u64_e64 s[36:37], 0, v[20:21]
	s_and_b64 s[38:39], s[36:37], vcc
	; wave barrier
	s_and_saveexec_b64 s[36:37], s[38:39]
	s_cbranch_execz .LBB1769_107
; %bb.106:                              ;   in Loop: Header=BB1769_71 Depth=2
	v_bcnt_u32_b32 v5, v20, 0
	v_bcnt_u32_b32 v5, v21, v5
	s_waitcnt lgkmcnt(0)
	v_add_u32_e32 v5, v122, v5
	ds_write_b32 v123, v5
.LBB1769_107:                           ;   in Loop: Header=BB1769_71 Depth=2
	s_or_b64 exec, exec, s[36:37]
	; wave barrier
	s_waitcnt lgkmcnt(0)
	s_barrier
	ds_read_b32 v5, v41 offset:1040
	ds_read2_b32 v[22:23], v43 offset0:1 offset1:2
	ds_read2_b32 v[20:21], v43 offset0:3 offset1:4
	s_waitcnt lgkmcnt(1)
	v_add3_u32 v125, v22, v5, v23
	s_waitcnt lgkmcnt(0)
	v_add3_u32 v21, v125, v20, v21
	s_nop 1
	v_mov_b32_dpp v125, v21 row_shr:1 row_mask:0xf bank_mask:0xf
	v_cndmask_b32_e64 v125, v125, 0, s[16:17]
	v_add_u32_e32 v21, v125, v21
	s_nop 1
	v_mov_b32_dpp v125, v21 row_shr:2 row_mask:0xf bank_mask:0xf
	v_cndmask_b32_e64 v125, 0, v125, s[18:19]
	v_add_u32_e32 v21, v21, v125
	;; [unrolled: 4-line block ×4, first 2 shown]
	s_nop 1
	v_mov_b32_dpp v125, v21 row_bcast:15 row_mask:0xf bank_mask:0xf
	v_cndmask_b32_e64 v125, v125, 0, s[24:25]
	v_add_u32_e32 v21, v21, v125
	s_nop 1
	v_mov_b32_dpp v125, v21 row_bcast:31 row_mask:0xf bank_mask:0xf
	v_cndmask_b32_e64 v125, 0, v125, s[26:27]
	v_add_u32_e32 v21, v21, v125
	s_and_saveexec_b64 s[36:37], s[6:7]
	s_cbranch_execz .LBB1769_109
; %bb.108:                              ;   in Loop: Header=BB1769_71 Depth=2
	ds_write_b32 v34, v21 offset:1024
.LBB1769_109:                           ;   in Loop: Header=BB1769_71 Depth=2
	s_or_b64 exec, exec, s[36:37]
	s_waitcnt lgkmcnt(0)
	s_barrier
	s_and_saveexec_b64 s[36:37], s[8:9]
	s_cbranch_execz .LBB1769_111
; %bb.110:                              ;   in Loop: Header=BB1769_71 Depth=2
	ds_read_b32 v125, v44 offset:1024
	s_waitcnt lgkmcnt(0)
	s_nop 0
	v_mov_b32_dpp v126, v125 row_shr:1 row_mask:0xf bank_mask:0xf
	v_cndmask_b32_e64 v126, v126, 0, s[30:31]
	v_add_u32_e32 v125, v126, v125
	s_nop 1
	v_mov_b32_dpp v126, v125 row_shr:2 row_mask:0xf bank_mask:0xf
	v_cndmask_b32_e64 v126, 0, v126, s[34:35]
	v_add_u32_e32 v125, v125, v126
	ds_write_b32 v44, v125 offset:1024
.LBB1769_111:                           ;   in Loop: Header=BB1769_71 Depth=2
	s_or_b64 exec, exec, s[36:37]
	v_mov_b32_e32 v125, 0
	s_waitcnt lgkmcnt(0)
	s_barrier
	s_and_saveexec_b64 s[36:37], s[10:11]
	s_cbranch_execz .LBB1769_113
; %bb.112:                              ;   in Loop: Header=BB1769_71 Depth=2
	ds_read_b32 v125, v34 offset:1020
.LBB1769_113:                           ;   in Loop: Header=BB1769_71 Depth=2
	s_or_b64 exec, exec, s[36:37]
	s_waitcnt lgkmcnt(0)
	v_add_u32_e32 v21, v125, v21
	ds_bpermute_b32 v21, v69, v21
	s_waitcnt lgkmcnt(0)
	v_cndmask_b32_e64 v21, v21, v125, s[28:29]
	v_cndmask_b32_e64 v21, v21, 0, s[12:13]
	v_add_u32_e32 v5, v21, v5
	ds_write_b32 v41, v21 offset:1040
	v_add_u32_e32 v21, v5, v22
	v_add_u32_e32 v22, v21, v23
	ds_write2_b32 v43, v5, v21 offset0:1 offset1:2
	v_add_u32_e32 v5, v22, v20
	ds_write2_b32 v43, v22, v5 offset0:3 offset1:4
	s_waitcnt lgkmcnt(0)
	s_barrier
	ds_read_b32 v20, v99
	ds_read_b32 v21, v103
	ds_read_b32 v22, v108
	ds_read_b32 v23, v112
	ds_read_b32 v108, v115
	ds_read_b32 v112, v119
	ds_read_b32 v115, v123
	ds_read_b32 v95, v95
	ds_read_b32 v99, v41 offset:1040
	v_mov_b32_e32 v5, 0x800
	s_and_saveexec_b64 s[36:37], s[14:15]
	s_cbranch_execz .LBB1769_115
; %bb.114:                              ;   in Loop: Header=BB1769_71 Depth=2
	ds_read_b32 v5, v41 offset:1060
.LBB1769_115:                           ;   in Loop: Header=BB1769_71 Depth=2
	s_or_b64 exec, exec, s[36:37]
	s_waitcnt lgkmcnt(0)
	s_barrier
	s_and_saveexec_b64 s[36:37], s[4:5]
	s_cbranch_execz .LBB1769_117
; %bb.116:                              ;   in Loop: Header=BB1769_71 Depth=2
	ds_read_b32 v103, v3
	s_waitcnt lgkmcnt(0)
	v_sub_u32_e32 v99, v103, v99
	ds_write_b32 v3, v99
.LBB1769_117:                           ;   in Loop: Header=BB1769_71 Depth=2
	s_or_b64 exec, exec, s[36:37]
	v_add_u32_e32 v103, v95, v96
	v_add3_u32 v100, v100, v98, v20
	v_lshlrev_b32_e32 v20, 1, v103
	v_add3_u32 v99, v105, v102, v21
	ds_write_b16 v20, v94 offset:1024
	v_lshlrev_b32_e32 v20, 1, v100
	v_add3_u32 v98, v110, v107, v22
	ds_write_b16 v20, v97 offset:1024
	;; [unrolled: 3-line block ×6, first 2 shown]
	v_lshlrev_b32_e32 v20, 1, v23
	ds_write_b16 v20, v117 offset:1024
	v_lshlrev_b32_e32 v20, 1, v22
	v_cmp_lt_u32_e32 vcc, v2, v93
	ds_write_b16 v20, v121 offset:1024
	s_waitcnt lgkmcnt(0)
	s_barrier
	s_and_saveexec_b64 s[38:39], vcc
	s_cbranch_execz .LBB1769_125
; %bb.118:                              ;   in Loop: Header=BB1769_71 Depth=2
	ds_read_u16 v20, v49 offset:1024
	v_mov_b32_e32 v21, v4
	v_mov_b32_e32 v97, s59
	s_waitcnt lgkmcnt(0)
	v_cmp_ne_u16_e64 s[36:37], s68, v20
	v_cndmask_b32_e64 v94, v66, v20, s[36:37]
	v_lshrrev_b32_sdwa v94, s77, v94 dst_sel:DWORD dst_unused:UNUSED_PAD src0_sel:DWORD src1_sel:WORD_0
	v_and_b32_e32 v94, s78, v94
	v_lshlrev_b32_e32 v94, 2, v94
	ds_read_b32 v94, v94
	v_cmp_gt_i16_e64 s[36:37], 0, v20
	v_cndmask_b32_e64 v101, v66, 0, s[36:37]
	v_xor_b32_e32 v101, v101, v20
	s_waitcnt lgkmcnt(0)
	v_add_u32_e32 v20, v94, v2
	v_lshlrev_b64 v[20:21], 1, v[20:21]
	v_add_co_u32_e64 v20, s[36:37], s58, v20
	v_addc_co_u32_e64 v21, s[36:37], v97, v21, s[36:37]
	global_store_short v[20:21], v101, off
	s_or_b64 exec, exec, s[38:39]
	v_cmp_lt_u32_e64 s[36:37], v24, v93
	s_and_saveexec_b64 s[40:41], s[36:37]
	s_cbranch_execnz .LBB1769_126
.LBB1769_119:                           ;   in Loop: Header=BB1769_71 Depth=2
	s_or_b64 exec, exec, s[40:41]
	v_cmp_lt_u32_e64 s[38:39], v25, v93
	s_and_saveexec_b64 s[42:43], s[38:39]
	s_cbranch_execz .LBB1769_127
.LBB1769_120:                           ;   in Loop: Header=BB1769_71 Depth=2
	ds_read_u16 v20, v50 offset:1024
	v_mov_b32_e32 v21, v4
	v_mov_b32_e32 v97, s59
	s_waitcnt lgkmcnt(0)
	v_cmp_ne_u16_e64 s[40:41], s68, v20
	v_cndmask_b32_e64 v94, v66, v20, s[40:41]
	v_lshrrev_b32_sdwa v94, s77, v94 dst_sel:DWORD dst_unused:UNUSED_PAD src0_sel:DWORD src1_sel:WORD_0
	v_and_b32_e32 v94, s78, v94
	v_lshlrev_b32_e32 v94, 2, v94
	ds_read_b32 v94, v94
	v_cmp_gt_i16_e64 s[40:41], 0, v20
	v_cndmask_b32_e64 v101, v66, 0, s[40:41]
	v_xor_b32_e32 v101, v101, v20
	s_waitcnt lgkmcnt(0)
	v_add_u32_e32 v20, v94, v25
	v_lshlrev_b64 v[20:21], 1, v[20:21]
	v_add_co_u32_e64 v20, s[40:41], s58, v20
	v_addc_co_u32_e64 v21, s[40:41], v97, v21, s[40:41]
	global_store_short v[20:21], v101, off
	s_or_b64 exec, exec, s[42:43]
	v_cmp_lt_u32_e64 s[40:41], v26, v93
	s_and_saveexec_b64 s[44:45], s[40:41]
	s_cbranch_execnz .LBB1769_128
.LBB1769_121:                           ;   in Loop: Header=BB1769_71 Depth=2
	s_or_b64 exec, exec, s[44:45]
	v_cmp_lt_u32_e64 s[42:43], v29, v93
	s_and_saveexec_b64 s[46:47], s[42:43]
	s_cbranch_execz .LBB1769_129
.LBB1769_122:                           ;   in Loop: Header=BB1769_71 Depth=2
	ds_read_u16 v20, v50 offset:2048
	v_mov_b32_e32 v21, v4
	v_mov_b32_e32 v97, s59
	s_waitcnt lgkmcnt(0)
	v_cmp_ne_u16_e64 s[44:45], s68, v20
	v_cndmask_b32_e64 v94, v66, v20, s[44:45]
	v_lshrrev_b32_sdwa v94, s77, v94 dst_sel:DWORD dst_unused:UNUSED_PAD src0_sel:DWORD src1_sel:WORD_0
	v_and_b32_e32 v94, s78, v94
	v_lshlrev_b32_e32 v94, 2, v94
	ds_read_b32 v94, v94
	v_cmp_gt_i16_e64 s[44:45], 0, v20
	v_cndmask_b32_e64 v101, v66, 0, s[44:45]
	v_xor_b32_e32 v101, v101, v20
	s_waitcnt lgkmcnt(0)
	v_add_u32_e32 v20, v94, v29
	v_lshlrev_b64 v[20:21], 1, v[20:21]
	v_add_co_u32_e64 v20, s[44:45], s58, v20
	v_addc_co_u32_e64 v21, s[44:45], v97, v21, s[44:45]
	global_store_short v[20:21], v101, off
	s_or_b64 exec, exec, s[46:47]
	v_cmp_lt_u32_e64 s[44:45], v30, v93
	s_and_saveexec_b64 s[48:49], s[44:45]
	s_cbranch_execnz .LBB1769_130
.LBB1769_123:                           ;   in Loop: Header=BB1769_71 Depth=2
	s_or_b64 exec, exec, s[48:49]
	v_cmp_lt_u32_e64 s[46:47], v31, v93
	s_and_saveexec_b64 s[52:53], s[46:47]
	s_cbranch_execz .LBB1769_131
.LBB1769_124:                           ;   in Loop: Header=BB1769_71 Depth=2
	ds_read_u16 v20, v50 offset:3072
	v_mov_b32_e32 v21, v4
	v_mov_b32_e32 v97, s59
	s_waitcnt lgkmcnt(0)
	v_cmp_ne_u16_e64 s[48:49], s68, v20
	v_cndmask_b32_e64 v94, v66, v20, s[48:49]
	v_lshrrev_b32_sdwa v94, s77, v94 dst_sel:DWORD dst_unused:UNUSED_PAD src0_sel:DWORD src1_sel:WORD_0
	v_and_b32_e32 v94, s78, v94
	v_lshlrev_b32_e32 v94, 2, v94
	ds_read_b32 v94, v94
	v_cmp_gt_i16_e64 s[48:49], 0, v20
	v_cndmask_b32_e64 v101, v66, 0, s[48:49]
	v_xor_b32_e32 v101, v101, v20
	s_waitcnt lgkmcnt(0)
	v_add_u32_e32 v20, v94, v31
	v_lshlrev_b64 v[20:21], 1, v[20:21]
	v_add_co_u32_e64 v20, s[48:49], s58, v20
	v_addc_co_u32_e64 v21, s[48:49], v97, v21, s[48:49]
	global_store_short v[20:21], v101, off
	s_or_b64 exec, exec, s[52:53]
	v_cmp_lt_u32_e64 s[48:49], v32, v93
	s_and_saveexec_b64 s[62:63], s[48:49]
	s_cbranch_execnz .LBB1769_132
	s_branch .LBB1769_133
.LBB1769_125:                           ;   in Loop: Header=BB1769_71 Depth=2
	s_or_b64 exec, exec, s[38:39]
	v_cmp_lt_u32_e64 s[36:37], v24, v93
	s_and_saveexec_b64 s[40:41], s[36:37]
	s_cbranch_execz .LBB1769_119
.LBB1769_126:                           ;   in Loop: Header=BB1769_71 Depth=2
	ds_read_u16 v20, v50 offset:512
	v_mov_b32_e32 v21, v4
	v_mov_b32_e32 v97, s59
	s_waitcnt lgkmcnt(0)
	v_cmp_ne_u16_e64 s[38:39], s68, v20
	v_cndmask_b32_e64 v94, v66, v20, s[38:39]
	v_lshrrev_b32_sdwa v94, s77, v94 dst_sel:DWORD dst_unused:UNUSED_PAD src0_sel:DWORD src1_sel:WORD_0
	v_and_b32_e32 v94, s78, v94
	v_lshlrev_b32_e32 v94, 2, v94
	ds_read_b32 v94, v94
	v_cmp_gt_i16_e64 s[38:39], 0, v20
	v_cndmask_b32_e64 v101, v66, 0, s[38:39]
	v_xor_b32_e32 v101, v101, v20
	s_waitcnt lgkmcnt(0)
	v_add_u32_e32 v20, v94, v24
	v_lshlrev_b64 v[20:21], 1, v[20:21]
	v_add_co_u32_e64 v20, s[38:39], s58, v20
	v_addc_co_u32_e64 v21, s[38:39], v97, v21, s[38:39]
	global_store_short v[20:21], v101, off
	s_or_b64 exec, exec, s[40:41]
	v_cmp_lt_u32_e64 s[38:39], v25, v93
	s_and_saveexec_b64 s[42:43], s[38:39]
	s_cbranch_execnz .LBB1769_120
.LBB1769_127:                           ;   in Loop: Header=BB1769_71 Depth=2
	s_or_b64 exec, exec, s[42:43]
	v_cmp_lt_u32_e64 s[40:41], v26, v93
	s_and_saveexec_b64 s[44:45], s[40:41]
	s_cbranch_execz .LBB1769_121
.LBB1769_128:                           ;   in Loop: Header=BB1769_71 Depth=2
	ds_read_u16 v20, v50 offset:1536
	v_mov_b32_e32 v21, v4
	v_mov_b32_e32 v97, s59
	s_waitcnt lgkmcnt(0)
	v_cmp_ne_u16_e64 s[42:43], s68, v20
	v_cndmask_b32_e64 v94, v66, v20, s[42:43]
	v_lshrrev_b32_sdwa v94, s77, v94 dst_sel:DWORD dst_unused:UNUSED_PAD src0_sel:DWORD src1_sel:WORD_0
	v_and_b32_e32 v94, s78, v94
	v_lshlrev_b32_e32 v94, 2, v94
	ds_read_b32 v94, v94
	v_cmp_gt_i16_e64 s[42:43], 0, v20
	v_cndmask_b32_e64 v101, v66, 0, s[42:43]
	v_xor_b32_e32 v101, v101, v20
	s_waitcnt lgkmcnt(0)
	v_add_u32_e32 v20, v94, v26
	v_lshlrev_b64 v[20:21], 1, v[20:21]
	v_add_co_u32_e64 v20, s[42:43], s58, v20
	v_addc_co_u32_e64 v21, s[42:43], v97, v21, s[42:43]
	global_store_short v[20:21], v101, off
	s_or_b64 exec, exec, s[44:45]
	v_cmp_lt_u32_e64 s[42:43], v29, v93
	s_and_saveexec_b64 s[46:47], s[42:43]
	s_cbranch_execnz .LBB1769_122
.LBB1769_129:                           ;   in Loop: Header=BB1769_71 Depth=2
	s_or_b64 exec, exec, s[46:47]
	v_cmp_lt_u32_e64 s[44:45], v30, v93
	s_and_saveexec_b64 s[48:49], s[44:45]
	s_cbranch_execz .LBB1769_123
.LBB1769_130:                           ;   in Loop: Header=BB1769_71 Depth=2
	ds_read_u16 v20, v50 offset:2560
	v_mov_b32_e32 v21, v4
	v_mov_b32_e32 v97, s59
	s_waitcnt lgkmcnt(0)
	v_cmp_ne_u16_e64 s[46:47], s68, v20
	v_cndmask_b32_e64 v94, v66, v20, s[46:47]
	v_lshrrev_b32_sdwa v94, s77, v94 dst_sel:DWORD dst_unused:UNUSED_PAD src0_sel:DWORD src1_sel:WORD_0
	v_and_b32_e32 v94, s78, v94
	v_lshlrev_b32_e32 v94, 2, v94
	ds_read_b32 v94, v94
	v_cmp_gt_i16_e64 s[46:47], 0, v20
	v_cndmask_b32_e64 v101, v66, 0, s[46:47]
	v_xor_b32_e32 v101, v101, v20
	s_waitcnt lgkmcnt(0)
	v_add_u32_e32 v20, v94, v30
	v_lshlrev_b64 v[20:21], 1, v[20:21]
	v_add_co_u32_e64 v20, s[46:47], s58, v20
	v_addc_co_u32_e64 v21, s[46:47], v97, v21, s[46:47]
	global_store_short v[20:21], v101, off
	s_or_b64 exec, exec, s[48:49]
	v_cmp_lt_u32_e64 s[46:47], v31, v93
	s_and_saveexec_b64 s[52:53], s[46:47]
	s_cbranch_execnz .LBB1769_124
.LBB1769_131:                           ;   in Loop: Header=BB1769_71 Depth=2
	s_or_b64 exec, exec, s[52:53]
	v_cmp_lt_u32_e64 s[48:49], v32, v93
	s_and_saveexec_b64 s[62:63], s[48:49]
	s_cbranch_execz .LBB1769_133
.LBB1769_132:                           ;   in Loop: Header=BB1769_71 Depth=2
	ds_read_u16 v20, v50 offset:3584
	v_mov_b32_e32 v21, v4
	v_mov_b32_e32 v97, s59
	s_waitcnt lgkmcnt(0)
	v_cmp_ne_u16_e64 s[52:53], s68, v20
	v_cndmask_b32_e64 v94, v66, v20, s[52:53]
	v_lshrrev_b32_sdwa v94, s77, v94 dst_sel:DWORD dst_unused:UNUSED_PAD src0_sel:DWORD src1_sel:WORD_0
	v_and_b32_e32 v94, s78, v94
	v_lshlrev_b32_e32 v94, 2, v94
	ds_read_b32 v94, v94
	v_cmp_gt_i16_e64 s[52:53], 0, v20
	v_cndmask_b32_e64 v101, v66, 0, s[52:53]
	v_xor_b32_e32 v101, v101, v20
	s_waitcnt lgkmcnt(0)
	v_add_u32_e32 v20, v94, v32
	v_lshlrev_b64 v[20:21], 1, v[20:21]
	v_add_co_u32_e64 v20, s[52:53], s58, v20
	v_addc_co_u32_e64 v21, s[52:53], v97, v21, s[52:53]
	global_store_short v[20:21], v101, off
.LBB1769_133:                           ;   in Loop: Header=BB1769_71 Depth=2
	s_or_b64 exec, exec, s[62:63]
	s_lshl_b64 s[52:53], s[72:73], 3
	v_mov_b32_e32 v21, s53
	v_add_co_u32_e64 v20, s[52:53], s52, v77
	v_addc_co_u32_e64 v21, s[52:53], v79, v21, s[52:53]
	v_cmp_lt_u32_e64 s[52:53], v74, v93
	s_and_saveexec_b64 s[62:63], s[52:53]
	s_xor_b64 s[52:53], exec, s[62:63]
	s_cbranch_execz .LBB1769_149
; %bb.134:                              ;   in Loop: Header=BB1769_71 Depth=2
	global_load_dwordx2 v[18:19], v[20:21], off
	s_or_b64 exec, exec, s[52:53]
	v_cmp_lt_u32_e64 s[52:53], v81, v93
	s_and_saveexec_b64 s[62:63], s[52:53]
	s_cbranch_execnz .LBB1769_150
.LBB1769_135:                           ;   in Loop: Header=BB1769_71 Depth=2
	s_or_b64 exec, exec, s[62:63]
	v_cmp_lt_u32_e64 s[52:53], v82, v93
	s_and_saveexec_b64 s[62:63], s[52:53]
	s_cbranch_execz .LBB1769_151
.LBB1769_136:                           ;   in Loop: Header=BB1769_71 Depth=2
	global_load_dwordx2 v[14:15], v[20:21], off offset:1024
	s_or_b64 exec, exec, s[62:63]
	v_cmp_lt_u32_e64 s[52:53], v83, v93
	s_and_saveexec_b64 s[62:63], s[52:53]
	s_cbranch_execnz .LBB1769_152
.LBB1769_137:                           ;   in Loop: Header=BB1769_71 Depth=2
	s_or_b64 exec, exec, s[62:63]
	v_cmp_lt_u32_e64 s[52:53], v84, v93
	s_and_saveexec_b64 s[62:63], s[52:53]
	s_cbranch_execz .LBB1769_153
.LBB1769_138:                           ;   in Loop: Header=BB1769_71 Depth=2
	global_load_dwordx2 v[10:11], v[20:21], off offset:2048
	s_or_b64 exec, exec, s[62:63]
	v_cmp_lt_u32_e64 s[52:53], v85, v93
	s_and_saveexec_b64 s[62:63], s[52:53]
	s_cbranch_execnz .LBB1769_154
.LBB1769_139:                           ;   in Loop: Header=BB1769_71 Depth=2
	s_or_b64 exec, exec, s[62:63]
	v_cmp_lt_u32_e64 s[52:53], v86, v93
	s_and_saveexec_b64 s[62:63], s[52:53]
	s_cbranch_execz .LBB1769_155
.LBB1769_140:                           ;   in Loop: Header=BB1769_71 Depth=2
	global_load_dwordx2 v[6:7], v[20:21], off offset:3072
	s_or_b64 exec, exec, s[62:63]
	v_cmp_lt_u32_e64 s[52:53], v87, v93
	s_and_saveexec_b64 s[62:63], s[52:53]
	s_cbranch_execnz .LBB1769_156
.LBB1769_141:                           ;   in Loop: Header=BB1769_71 Depth=2
	s_or_b64 exec, exec, s[62:63]
	s_and_saveexec_b64 s[62:63], vcc
	s_cbranch_execz .LBB1769_157
.LBB1769_142:                           ;   in Loop: Header=BB1769_71 Depth=2
	ds_read_u16 v20, v49 offset:1024
	s_waitcnt lgkmcnt(0)
	v_cmp_ne_u16_e64 s[52:53], s68, v20
	v_cndmask_b32_e64 v20, v66, v20, s[52:53]
	v_lshrrev_b32_sdwa v20, s77, v20 dst_sel:DWORD dst_unused:UNUSED_PAD src0_sel:DWORD src1_sel:WORD_0
	v_and_b32_e32 v80, s78, v20
	s_or_b64 exec, exec, s[62:63]
	s_and_saveexec_b64 s[62:63], s[36:37]
	s_cbranch_execnz .LBB1769_158
.LBB1769_143:                           ;   in Loop: Header=BB1769_71 Depth=2
	s_or_b64 exec, exec, s[62:63]
	s_and_saveexec_b64 s[62:63], s[38:39]
	s_cbranch_execz .LBB1769_159
.LBB1769_144:                           ;   in Loop: Header=BB1769_71 Depth=2
	ds_read_u16 v20, v50 offset:1024
	s_waitcnt lgkmcnt(0)
	v_cmp_ne_u16_e64 s[52:53], s68, v20
	v_cndmask_b32_e64 v20, v66, v20, s[52:53]
	v_lshrrev_b32_sdwa v20, s77, v20 dst_sel:DWORD dst_unused:UNUSED_PAD src0_sel:DWORD src1_sel:WORD_0
	v_and_b32_e32 v76, s78, v20
	s_or_b64 exec, exec, s[62:63]
	s_and_saveexec_b64 s[62:63], s[40:41]
	s_cbranch_execnz .LBB1769_160
.LBB1769_145:                           ;   in Loop: Header=BB1769_71 Depth=2
	s_or_b64 exec, exec, s[62:63]
	s_and_saveexec_b64 s[62:63], s[42:43]
	s_cbranch_execz .LBB1769_161
.LBB1769_146:                           ;   in Loop: Header=BB1769_71 Depth=2
	ds_read_u16 v20, v50 offset:2048
	s_waitcnt lgkmcnt(0)
	v_cmp_ne_u16_e64 s[52:53], s68, v20
	v_cndmask_b32_e64 v20, v66, v20, s[52:53]
	v_lshrrev_b32_sdwa v20, s77, v20 dst_sel:DWORD dst_unused:UNUSED_PAD src0_sel:DWORD src1_sel:WORD_0
	v_and_b32_e32 v73, s78, v20
	s_or_b64 exec, exec, s[62:63]
	s_and_saveexec_b64 s[62:63], s[44:45]
	s_cbranch_execnz .LBB1769_162
.LBB1769_147:                           ;   in Loop: Header=BB1769_71 Depth=2
	s_or_b64 exec, exec, s[62:63]
	s_and_saveexec_b64 s[62:63], s[46:47]
	s_cbranch_execz .LBB1769_163
.LBB1769_148:                           ;   in Loop: Header=BB1769_71 Depth=2
	ds_read_u16 v20, v50 offset:3072
	s_waitcnt lgkmcnt(0)
	v_cmp_ne_u16_e64 s[52:53], s68, v20
	v_cndmask_b32_e64 v20, v66, v20, s[52:53]
	v_lshrrev_b32_sdwa v20, s77, v20 dst_sel:DWORD dst_unused:UNUSED_PAD src0_sel:DWORD src1_sel:WORD_0
	v_and_b32_e32 v71, s78, v20
	s_or_b64 exec, exec, s[62:63]
	s_and_saveexec_b64 s[62:63], s[48:49]
	s_cbranch_execnz .LBB1769_164
	s_branch .LBB1769_165
.LBB1769_149:                           ;   in Loop: Header=BB1769_71 Depth=2
	s_or_b64 exec, exec, s[52:53]
	v_cmp_lt_u32_e64 s[52:53], v81, v93
	s_and_saveexec_b64 s[62:63], s[52:53]
	s_cbranch_execz .LBB1769_135
.LBB1769_150:                           ;   in Loop: Header=BB1769_71 Depth=2
	global_load_dwordx2 v[16:17], v[20:21], off offset:512
	s_or_b64 exec, exec, s[62:63]
	v_cmp_lt_u32_e64 s[52:53], v82, v93
	s_and_saveexec_b64 s[62:63], s[52:53]
	s_cbranch_execnz .LBB1769_136
.LBB1769_151:                           ;   in Loop: Header=BB1769_71 Depth=2
	s_or_b64 exec, exec, s[62:63]
	v_cmp_lt_u32_e64 s[52:53], v83, v93
	s_and_saveexec_b64 s[62:63], s[52:53]
	s_cbranch_execz .LBB1769_137
.LBB1769_152:                           ;   in Loop: Header=BB1769_71 Depth=2
	global_load_dwordx2 v[12:13], v[20:21], off offset:1536
	s_or_b64 exec, exec, s[62:63]
	v_cmp_lt_u32_e64 s[52:53], v84, v93
	s_and_saveexec_b64 s[62:63], s[52:53]
	s_cbranch_execnz .LBB1769_138
.LBB1769_153:                           ;   in Loop: Header=BB1769_71 Depth=2
	s_or_b64 exec, exec, s[62:63]
	v_cmp_lt_u32_e64 s[52:53], v85, v93
	s_and_saveexec_b64 s[62:63], s[52:53]
	s_cbranch_execz .LBB1769_139
.LBB1769_154:                           ;   in Loop: Header=BB1769_71 Depth=2
	global_load_dwordx2 v[8:9], v[20:21], off offset:2560
	s_or_b64 exec, exec, s[62:63]
	v_cmp_lt_u32_e64 s[52:53], v86, v93
	s_and_saveexec_b64 s[62:63], s[52:53]
	s_cbranch_execnz .LBB1769_140
.LBB1769_155:                           ;   in Loop: Header=BB1769_71 Depth=2
	s_or_b64 exec, exec, s[62:63]
	v_cmp_lt_u32_e64 s[52:53], v87, v93
	s_and_saveexec_b64 s[62:63], s[52:53]
	s_cbranch_execz .LBB1769_141
.LBB1769_156:                           ;   in Loop: Header=BB1769_71 Depth=2
	global_load_dwordx2 v[0:1], v[20:21], off offset:3584
	s_or_b64 exec, exec, s[62:63]
	s_and_saveexec_b64 s[62:63], vcc
	s_cbranch_execnz .LBB1769_142
.LBB1769_157:                           ;   in Loop: Header=BB1769_71 Depth=2
	s_or_b64 exec, exec, s[62:63]
	s_and_saveexec_b64 s[62:63], s[36:37]
	s_cbranch_execz .LBB1769_143
.LBB1769_158:                           ;   in Loop: Header=BB1769_71 Depth=2
	ds_read_u16 v20, v50 offset:512
	s_waitcnt lgkmcnt(0)
	v_cmp_ne_u16_e64 s[52:53], s68, v20
	v_cndmask_b32_e64 v20, v66, v20, s[52:53]
	v_lshrrev_b32_sdwa v20, s77, v20 dst_sel:DWORD dst_unused:UNUSED_PAD src0_sel:DWORD src1_sel:WORD_0
	v_and_b32_e32 v78, s78, v20
	s_or_b64 exec, exec, s[62:63]
	s_and_saveexec_b64 s[62:63], s[38:39]
	s_cbranch_execnz .LBB1769_144
.LBB1769_159:                           ;   in Loop: Header=BB1769_71 Depth=2
	s_or_b64 exec, exec, s[62:63]
	s_and_saveexec_b64 s[62:63], s[40:41]
	s_cbranch_execz .LBB1769_145
.LBB1769_160:                           ;   in Loop: Header=BB1769_71 Depth=2
	ds_read_u16 v20, v50 offset:1536
	s_waitcnt lgkmcnt(0)
	v_cmp_ne_u16_e64 s[52:53], s68, v20
	v_cndmask_b32_e64 v20, v66, v20, s[52:53]
	v_lshrrev_b32_sdwa v20, s77, v20 dst_sel:DWORD dst_unused:UNUSED_PAD src0_sel:DWORD src1_sel:WORD_0
	v_and_b32_e32 v75, s78, v20
	s_or_b64 exec, exec, s[62:63]
	s_and_saveexec_b64 s[62:63], s[42:43]
	s_cbranch_execnz .LBB1769_146
.LBB1769_161:                           ;   in Loop: Header=BB1769_71 Depth=2
	s_or_b64 exec, exec, s[62:63]
	s_and_saveexec_b64 s[62:63], s[44:45]
	s_cbranch_execz .LBB1769_147
.LBB1769_162:                           ;   in Loop: Header=BB1769_71 Depth=2
	ds_read_u16 v20, v50 offset:2560
	s_waitcnt lgkmcnt(0)
	v_cmp_ne_u16_e64 s[52:53], s68, v20
	v_cndmask_b32_e64 v20, v66, v20, s[52:53]
	v_lshrrev_b32_sdwa v20, s77, v20 dst_sel:DWORD dst_unused:UNUSED_PAD src0_sel:DWORD src1_sel:WORD_0
	v_and_b32_e32 v72, s78, v20
	s_or_b64 exec, exec, s[62:63]
	s_and_saveexec_b64 s[62:63], s[46:47]
	s_cbranch_execnz .LBB1769_148
.LBB1769_163:                           ;   in Loop: Header=BB1769_71 Depth=2
	s_or_b64 exec, exec, s[62:63]
	s_and_saveexec_b64 s[62:63], s[48:49]
	s_cbranch_execz .LBB1769_165
.LBB1769_164:                           ;   in Loop: Header=BB1769_71 Depth=2
	ds_read_u16 v20, v50 offset:3584
	s_waitcnt lgkmcnt(0)
	v_cmp_ne_u16_e64 s[52:53], s68, v20
	v_cndmask_b32_e64 v20, v66, v20, s[52:53]
	v_lshrrev_b32_sdwa v20, s77, v20 dst_sel:DWORD dst_unused:UNUSED_PAD src0_sel:DWORD src1_sel:WORD_0
	v_and_b32_e32 v70, s78, v20
.LBB1769_165:                           ;   in Loop: Header=BB1769_71 Depth=2
	s_or_b64 exec, exec, s[62:63]
	v_lshlrev_b32_e32 v20, 3, v103
	s_barrier
	s_waitcnt vmcnt(0)
	ds_write_b64 v20, v[18:19] offset:1024
	v_lshlrev_b32_e32 v20, 3, v100
	ds_write_b64 v20, v[16:17] offset:1024
	v_lshlrev_b32_e32 v20, 3, v99
	;; [unrolled: 2-line block ×7, first 2 shown]
	ds_write_b64 v20, v[0:1] offset:1024
	s_waitcnt lgkmcnt(0)
	s_barrier
	s_and_saveexec_b64 s[52:53], vcc
	s_cbranch_execz .LBB1769_173
; %bb.166:                              ;   in Loop: Header=BB1769_71 Depth=2
	v_lshlrev_b32_e32 v20, 2, v80
	ds_read_b32 v20, v20
	v_add_u32_e32 v22, v49, v51
	ds_read_b64 v[22:23], v22 offset:1024
	v_mov_b32_e32 v21, v4
	v_mov_b32_e32 v93, s65
	s_waitcnt lgkmcnt(1)
	v_add_u32_e32 v20, v20, v2
	v_lshlrev_b64 v[20:21], 3, v[20:21]
	v_add_co_u32_e32 v20, vcc, s64, v20
	v_addc_co_u32_e32 v21, vcc, v93, v21, vcc
	s_waitcnt lgkmcnt(0)
	global_store_dwordx2 v[20:21], v[22:23], off
	s_or_b64 exec, exec, s[52:53]
	s_and_saveexec_b64 s[52:53], s[36:37]
	s_cbranch_execnz .LBB1769_174
.LBB1769_167:                           ;   in Loop: Header=BB1769_71 Depth=2
	s_or_b64 exec, exec, s[52:53]
	s_and_saveexec_b64 s[36:37], s[38:39]
	s_cbranch_execz .LBB1769_175
.LBB1769_168:                           ;   in Loop: Header=BB1769_71 Depth=2
	v_lshlrev_b32_e32 v20, 2, v76
	ds_read_b32 v22, v20
	v_add_u32_e32 v20, v50, v51
	ds_read_b64 v[20:21], v20 offset:4096
	v_mov_b32_e32 v23, v4
	v_mov_b32_e32 v93, s65
	s_waitcnt lgkmcnt(1)
	v_add_u32_e32 v22, v22, v25
	v_lshlrev_b64 v[22:23], 3, v[22:23]
	v_add_co_u32_e32 v22, vcc, s64, v22
	v_addc_co_u32_e32 v23, vcc, v93, v23, vcc
	s_waitcnt lgkmcnt(0)
	global_store_dwordx2 v[22:23], v[20:21], off
	s_or_b64 exec, exec, s[36:37]
	s_and_saveexec_b64 s[36:37], s[40:41]
	s_cbranch_execnz .LBB1769_176
.LBB1769_169:                           ;   in Loop: Header=BB1769_71 Depth=2
	s_or_b64 exec, exec, s[36:37]
	s_and_saveexec_b64 s[36:37], s[42:43]
	s_cbranch_execz .LBB1769_177
.LBB1769_170:                           ;   in Loop: Header=BB1769_71 Depth=2
	v_lshlrev_b32_e32 v20, 2, v73
	ds_read_b32 v22, v20
	v_add_u32_e32 v20, v50, v51
	ds_read_b64 v[20:21], v20 offset:8192
	v_mov_b32_e32 v23, v4
	v_mov_b32_e32 v93, s65
	s_waitcnt lgkmcnt(1)
	v_add_u32_e32 v22, v22, v29
	v_lshlrev_b64 v[22:23], 3, v[22:23]
	v_add_co_u32_e32 v22, vcc, s64, v22
	v_addc_co_u32_e32 v23, vcc, v93, v23, vcc
	s_waitcnt lgkmcnt(0)
	global_store_dwordx2 v[22:23], v[20:21], off
	s_or_b64 exec, exec, s[36:37]
	s_and_saveexec_b64 s[36:37], s[44:45]
	s_cbranch_execnz .LBB1769_178
.LBB1769_171:                           ;   in Loop: Header=BB1769_71 Depth=2
	s_or_b64 exec, exec, s[36:37]
	s_and_saveexec_b64 s[36:37], s[46:47]
	s_cbranch_execz .LBB1769_179
.LBB1769_172:                           ;   in Loop: Header=BB1769_71 Depth=2
	v_lshlrev_b32_e32 v20, 2, v71
	ds_read_b32 v22, v20
	v_add_u32_e32 v20, v50, v51
	ds_read_b64 v[20:21], v20 offset:12288
	v_mov_b32_e32 v23, v4
	v_mov_b32_e32 v93, s65
	s_waitcnt lgkmcnt(1)
	v_add_u32_e32 v22, v22, v31
	v_lshlrev_b64 v[22:23], 3, v[22:23]
	v_add_co_u32_e32 v22, vcc, s64, v22
	v_addc_co_u32_e32 v23, vcc, v93, v23, vcc
	s_waitcnt lgkmcnt(0)
	global_store_dwordx2 v[22:23], v[20:21], off
	s_or_b64 exec, exec, s[36:37]
	s_and_saveexec_b64 s[36:37], s[48:49]
	s_cbranch_execnz .LBB1769_180
	s_branch .LBB1769_181
.LBB1769_173:                           ;   in Loop: Header=BB1769_71 Depth=2
	s_or_b64 exec, exec, s[52:53]
	s_and_saveexec_b64 s[52:53], s[36:37]
	s_cbranch_execz .LBB1769_167
.LBB1769_174:                           ;   in Loop: Header=BB1769_71 Depth=2
	v_lshlrev_b32_e32 v20, 2, v78
	ds_read_b32 v22, v20
	v_add_u32_e32 v20, v50, v51
	ds_read_b64 v[20:21], v20 offset:2048
	v_mov_b32_e32 v23, v4
	v_mov_b32_e32 v93, s65
	s_waitcnt lgkmcnt(1)
	v_add_u32_e32 v22, v22, v24
	v_lshlrev_b64 v[22:23], 3, v[22:23]
	v_add_co_u32_e32 v22, vcc, s64, v22
	v_addc_co_u32_e32 v23, vcc, v93, v23, vcc
	s_waitcnt lgkmcnt(0)
	global_store_dwordx2 v[22:23], v[20:21], off
	s_or_b64 exec, exec, s[52:53]
	s_and_saveexec_b64 s[36:37], s[38:39]
	s_cbranch_execnz .LBB1769_168
.LBB1769_175:                           ;   in Loop: Header=BB1769_71 Depth=2
	s_or_b64 exec, exec, s[36:37]
	s_and_saveexec_b64 s[36:37], s[40:41]
	s_cbranch_execz .LBB1769_169
.LBB1769_176:                           ;   in Loop: Header=BB1769_71 Depth=2
	v_lshlrev_b32_e32 v20, 2, v75
	ds_read_b32 v22, v20
	v_add_u32_e32 v20, v50, v51
	ds_read_b64 v[20:21], v20 offset:6144
	v_mov_b32_e32 v23, v4
	v_mov_b32_e32 v93, s65
	s_waitcnt lgkmcnt(1)
	v_add_u32_e32 v22, v22, v26
	v_lshlrev_b64 v[22:23], 3, v[22:23]
	v_add_co_u32_e32 v22, vcc, s64, v22
	v_addc_co_u32_e32 v23, vcc, v93, v23, vcc
	s_waitcnt lgkmcnt(0)
	global_store_dwordx2 v[22:23], v[20:21], off
	s_or_b64 exec, exec, s[36:37]
	s_and_saveexec_b64 s[36:37], s[42:43]
	s_cbranch_execnz .LBB1769_170
.LBB1769_177:                           ;   in Loop: Header=BB1769_71 Depth=2
	s_or_b64 exec, exec, s[36:37]
	s_and_saveexec_b64 s[36:37], s[44:45]
	s_cbranch_execz .LBB1769_171
.LBB1769_178:                           ;   in Loop: Header=BB1769_71 Depth=2
	v_lshlrev_b32_e32 v20, 2, v72
	ds_read_b32 v22, v20
	v_add_u32_e32 v20, v50, v51
	ds_read_b64 v[20:21], v20 offset:10240
	v_mov_b32_e32 v23, v4
	v_mov_b32_e32 v93, s65
	s_waitcnt lgkmcnt(1)
	v_add_u32_e32 v22, v22, v30
	v_lshlrev_b64 v[22:23], 3, v[22:23]
	v_add_co_u32_e32 v22, vcc, s64, v22
	v_addc_co_u32_e32 v23, vcc, v93, v23, vcc
	s_waitcnt lgkmcnt(0)
	global_store_dwordx2 v[22:23], v[20:21], off
	s_or_b64 exec, exec, s[36:37]
	s_and_saveexec_b64 s[36:37], s[46:47]
	s_cbranch_execnz .LBB1769_172
.LBB1769_179:                           ;   in Loop: Header=BB1769_71 Depth=2
	s_or_b64 exec, exec, s[36:37]
	s_and_saveexec_b64 s[36:37], s[48:49]
	s_cbranch_execz .LBB1769_181
.LBB1769_180:                           ;   in Loop: Header=BB1769_71 Depth=2
	v_lshlrev_b32_e32 v20, 2, v70
	ds_read_b32 v22, v20
	v_add_u32_e32 v20, v50, v51
	ds_read_b64 v[20:21], v20 offset:14336
	v_mov_b32_e32 v23, v4
	v_mov_b32_e32 v93, s65
	s_waitcnt lgkmcnt(1)
	v_add_u32_e32 v22, v22, v32
	v_lshlrev_b64 v[22:23], 3, v[22:23]
	v_add_co_u32_e32 v22, vcc, s64, v22
	v_addc_co_u32_e32 v23, vcc, v93, v23, vcc
	s_waitcnt lgkmcnt(0)
	global_store_dwordx2 v[22:23], v[20:21], off
.LBB1769_181:                           ;   in Loop: Header=BB1769_71 Depth=2
	s_or_b64 exec, exec, s[36:37]
	s_barrier
	s_and_saveexec_b64 s[36:37], s[4:5]
	s_cbranch_execz .LBB1769_70
; %bb.182:                              ;   in Loop: Header=BB1769_71 Depth=2
	ds_read_b32 v20, v3
	s_waitcnt lgkmcnt(0)
	v_add_u32_e32 v5, v20, v5
	ds_write_b32 v3, v5
	s_branch .LBB1769_70
.LBB1769_183:                           ;   in Loop: Header=BB1769_17 Depth=1
	s_waitcnt lgkmcnt(0)
	s_barrier
	s_mov_b64 s[16:17], 0
.LBB1769_184:                           ;   in Loop: Header=BB1769_17 Depth=1
	s_and_b64 vcc, exec, s[16:17]
	s_cbranch_vccz .LBB1769_350
; %bb.185:                              ;   in Loop: Header=BB1769_17 Depth=1
	s_mov_b32 s22, s71
	s_mov_b32 s72, s51
	s_barrier
	s_waitcnt lgkmcnt(0)
                                        ; implicit-def: $vgpr12
                                        ; implicit-def: $vgpr5
                                        ; implicit-def: $vgpr6
                                        ; implicit-def: $vgpr7
                                        ; implicit-def: $vgpr8
                                        ; implicit-def: $vgpr9
                                        ; implicit-def: $vgpr10
                                        ; implicit-def: $vgpr11
	s_branch .LBB1769_187
.LBB1769_186:                           ;   in Loop: Header=BB1769_187 Depth=2
	s_or_b64 exec, exec, s[16:17]
	s_addk_i32 s22, 0xf800
	s_cmp_ge_u32 s23, s76
	s_mov_b32 s72, s23
	s_cbranch_scc1 .LBB1769_225
.LBB1769_187:                           ;   Parent Loop BB1769_17 Depth=1
                                        ; =>  This Inner Loop Header: Depth=2
	s_add_i32 s23, s72, 0x800
	s_cmp_gt_u32 s23, s76
	s_cbranch_scc1 .LBB1769_190
; %bb.188:                              ;   in Loop: Header=BB1769_187 Depth=2
	s_lshl_b64 s[16:17], s[72:73], 1
	v_mov_b32_e32 v1, s17
	v_add_co_u32_e32 v0, vcc, s16, v52
	v_addc_co_u32_e32 v1, vcc, v53, v1, vcc
	global_load_ushort v14, v[0:1], off
	global_load_ushort v15, v[0:1], off offset:512
	global_load_ushort v16, v[0:1], off offset:1024
	global_load_ushort v17, v[0:1], off offset:1536
	global_load_ushort v18, v[0:1], off offset:2048
	global_load_ushort v19, v[0:1], off offset:2560
	global_load_ushort v20, v[0:1], off offset:3072
	v_add_co_u32_e32 v0, vcc, 0xe00, v0
	v_addc_co_u32_e32 v1, vcc, 0, v1, vcc
	s_mov_b64 s[16:17], -1
	s_movk_i32 s24, 0x800
	s_cbranch_execz .LBB1769_191
; %bb.189:                              ;   in Loop: Header=BB1769_187 Depth=2
                                        ; implicit-def: $vgpr11
                                        ; implicit-def: $vgpr10
                                        ; implicit-def: $vgpr9
                                        ; implicit-def: $vgpr8
                                        ; implicit-def: $vgpr7
                                        ; implicit-def: $vgpr6
                                        ; implicit-def: $vgpr5
                                        ; implicit-def: $vgpr12
	v_mov_b32_e32 v13, s22
	s_and_saveexec_b64 s[18:19], s[16:17]
	s_cbranch_execnz .LBB1769_202
	s_branch .LBB1769_203
.LBB1769_190:                           ;   in Loop: Header=BB1769_187 Depth=2
	s_mov_b64 s[16:17], 0
                                        ; implicit-def: $sgpr24
                                        ; implicit-def: $vgpr14
                                        ; implicit-def: $vgpr15
                                        ; implicit-def: $vgpr16
                                        ; implicit-def: $vgpr17
                                        ; implicit-def: $vgpr18
                                        ; implicit-def: $vgpr19
                                        ; implicit-def: $vgpr20
                                        ; implicit-def: $vgpr0_vgpr1
.LBB1769_191:                           ;   in Loop: Header=BB1769_187 Depth=2
	s_lshl_b64 s[18:19], s[72:73], 1
	s_add_u32 s18, s58, s18
	s_addc_u32 s19, s59, s19
	v_cmp_gt_u32_e32 vcc, s22, v2
	s_and_saveexec_b64 s[20:21], vcc
	s_cbranch_execz .LBB1769_219
; %bb.192:                              ;   in Loop: Header=BB1769_187 Depth=2
	global_load_ushort v11, v65, s[18:19]
	s_or_b64 exec, exec, s[20:21]
	v_cmp_gt_u32_e32 vcc, s22, v24
	s_and_saveexec_b64 s[20:21], vcc
	s_cbranch_execnz .LBB1769_220
.LBB1769_193:                           ;   in Loop: Header=BB1769_187 Depth=2
	s_or_b64 exec, exec, s[20:21]
	v_cmp_gt_u32_e32 vcc, s22, v25
	s_and_saveexec_b64 s[20:21], vcc
	s_cbranch_execz .LBB1769_221
.LBB1769_194:                           ;   in Loop: Header=BB1769_187 Depth=2
	global_load_ushort v9, v65, s[18:19] offset:1024
	s_or_b64 exec, exec, s[20:21]
	v_cmp_gt_u32_e32 vcc, s22, v26
	s_and_saveexec_b64 s[20:21], vcc
	s_cbranch_execnz .LBB1769_222
.LBB1769_195:                           ;   in Loop: Header=BB1769_187 Depth=2
	s_or_b64 exec, exec, s[20:21]
	v_cmp_gt_u32_e32 vcc, s22, v29
	s_and_saveexec_b64 s[20:21], vcc
	s_cbranch_execz .LBB1769_223
.LBB1769_196:                           ;   in Loop: Header=BB1769_187 Depth=2
	global_load_ushort v7, v65, s[18:19] offset:2048
	s_or_b64 exec, exec, s[20:21]
	v_cmp_gt_u32_e32 vcc, s22, v30
	s_and_saveexec_b64 s[20:21], vcc
	s_cbranch_execnz .LBB1769_224
.LBB1769_197:                           ;   in Loop: Header=BB1769_187 Depth=2
	s_or_b64 exec, exec, s[20:21]
	v_cmp_gt_u32_e32 vcc, s22, v31
	s_and_saveexec_b64 s[20:21], vcc
	s_cbranch_execz .LBB1769_199
.LBB1769_198:                           ;   in Loop: Header=BB1769_187 Depth=2
	global_load_ushort v5, v65, s[18:19] offset:3072
.LBB1769_199:                           ;   in Loop: Header=BB1769_187 Depth=2
	s_or_b64 exec, exec, s[20:21]
	v_cmp_gt_u32_e32 vcc, s22, v32
                                        ; implicit-def: $sgpr24
                                        ; implicit-def: $vgpr0_vgpr1
	s_and_saveexec_b64 s[20:21], vcc
	s_cbranch_execz .LBB1769_201
; %bb.200:                              ;   in Loop: Header=BB1769_187 Depth=2
	v_mov_b32_e32 v0, s19
	v_add_co_u32_e32 v1, vcc, s18, v65
	s_waitcnt vmcnt(0)
	v_addc_co_u32_e32 v12, vcc, 0, v0, vcc
	v_add_co_u32_e32 v0, vcc, 0xe00, v1
	s_sub_i32 s24, s76, s72
	v_addc_co_u32_e32 v1, vcc, 0, v12, vcc
	s_or_b64 s[16:17], s[16:17], exec
                                        ; implicit-def: $vgpr12
.LBB1769_201:                           ;   in Loop: Header=BB1769_187 Depth=2
	s_or_b64 exec, exec, s[20:21]
	s_waitcnt vmcnt(0)
	v_mov_b32_e32 v14, v11
	v_mov_b32_e32 v15, v10
	;; [unrolled: 1-line block ×8, first 2 shown]
	s_and_saveexec_b64 s[18:19], s[16:17]
	s_cbranch_execz .LBB1769_203
.LBB1769_202:                           ;   in Loop: Header=BB1769_187 Depth=2
	global_load_ushort v12, v[0:1], off
	v_mov_b32_e32 v13, s24
	s_waitcnt vmcnt(1)
	v_mov_b32_e32 v5, v20
	v_mov_b32_e32 v6, v19
	;; [unrolled: 1-line block ×7, first 2 shown]
.LBB1769_203:                           ;   in Loop: Header=BB1769_187 Depth=2
	s_or_b64 exec, exec, s[18:19]
	v_cmp_lt_u32_e32 vcc, v2, v13
	s_and_saveexec_b64 s[16:17], vcc
	s_cbranch_execz .LBB1769_211
; %bb.204:                              ;   in Loop: Header=BB1769_187 Depth=2
	v_cmp_gt_i16_e32 vcc, 0, v11
	v_cndmask_b32_e64 v0, v66, 0, vcc
	v_xor_b32_e32 v0, v0, v11
	v_cmp_ne_u16_e32 vcc, s68, v0
	v_cndmask_b32_e32 v0, v66, v0, vcc
	v_lshrrev_b32_sdwa v0, s77, v0 dst_sel:DWORD dst_unused:UNUSED_PAD src0_sel:DWORD src1_sel:WORD_0
	v_and_b32_e32 v0, s78, v0
	v_lshl_or_b32 v0, v0, 4, v67
	ds_add_u32 v0, v64
	s_or_b64 exec, exec, s[16:17]
	v_cmp_lt_u32_e32 vcc, v24, v13
	s_and_saveexec_b64 s[16:17], vcc
	s_cbranch_execnz .LBB1769_212
.LBB1769_205:                           ;   in Loop: Header=BB1769_187 Depth=2
	s_or_b64 exec, exec, s[16:17]
	v_cmp_lt_u32_e32 vcc, v25, v13
	s_and_saveexec_b64 s[16:17], vcc
	s_cbranch_execz .LBB1769_213
.LBB1769_206:                           ;   in Loop: Header=BB1769_187 Depth=2
	v_cmp_gt_i16_e32 vcc, 0, v9
	v_cndmask_b32_e64 v0, v66, 0, vcc
	v_xor_b32_e32 v0, v0, v9
	v_cmp_ne_u16_e32 vcc, s68, v0
	v_cndmask_b32_e32 v0, v66, v0, vcc
	v_lshrrev_b32_sdwa v0, s77, v0 dst_sel:DWORD dst_unused:UNUSED_PAD src0_sel:DWORD src1_sel:WORD_0
	v_and_b32_e32 v0, s78, v0
	v_lshl_or_b32 v0, v0, 4, v67
	ds_add_u32 v0, v64
	s_or_b64 exec, exec, s[16:17]
	v_cmp_lt_u32_e32 vcc, v26, v13
	s_and_saveexec_b64 s[16:17], vcc
	s_cbranch_execnz .LBB1769_214
.LBB1769_207:                           ;   in Loop: Header=BB1769_187 Depth=2
	s_or_b64 exec, exec, s[16:17]
	v_cmp_lt_u32_e32 vcc, v29, v13
	s_and_saveexec_b64 s[16:17], vcc
	s_cbranch_execz .LBB1769_215
.LBB1769_208:                           ;   in Loop: Header=BB1769_187 Depth=2
	v_cmp_gt_i16_e32 vcc, 0, v7
	v_cndmask_b32_e64 v0, v66, 0, vcc
	v_xor_b32_e32 v0, v0, v7
	v_cmp_ne_u16_e32 vcc, s68, v0
	v_cndmask_b32_e32 v0, v66, v0, vcc
	v_lshrrev_b32_sdwa v0, s77, v0 dst_sel:DWORD dst_unused:UNUSED_PAD src0_sel:DWORD src1_sel:WORD_0
	v_and_b32_e32 v0, s78, v0
	v_lshl_or_b32 v0, v0, 4, v67
	ds_add_u32 v0, v64
	s_or_b64 exec, exec, s[16:17]
	v_cmp_lt_u32_e32 vcc, v30, v13
	s_and_saveexec_b64 s[16:17], vcc
	s_cbranch_execnz .LBB1769_216
.LBB1769_209:                           ;   in Loop: Header=BB1769_187 Depth=2
	s_or_b64 exec, exec, s[16:17]
	v_cmp_lt_u32_e32 vcc, v31, v13
	s_and_saveexec_b64 s[16:17], vcc
	s_cbranch_execz .LBB1769_217
.LBB1769_210:                           ;   in Loop: Header=BB1769_187 Depth=2
	v_cmp_gt_i16_e32 vcc, 0, v5
	v_cndmask_b32_e64 v0, v66, 0, vcc
	v_xor_b32_e32 v0, v0, v5
	v_cmp_ne_u16_e32 vcc, s68, v0
	v_cndmask_b32_e32 v0, v66, v0, vcc
	v_lshrrev_b32_sdwa v0, s77, v0 dst_sel:DWORD dst_unused:UNUSED_PAD src0_sel:DWORD src1_sel:WORD_0
	v_and_b32_e32 v0, s78, v0
	v_lshl_or_b32 v0, v0, 4, v67
	ds_add_u32 v0, v64
	s_or_b64 exec, exec, s[16:17]
	v_cmp_lt_u32_e32 vcc, v32, v13
	s_and_saveexec_b64 s[16:17], vcc
	s_cbranch_execz .LBB1769_186
	s_branch .LBB1769_218
.LBB1769_211:                           ;   in Loop: Header=BB1769_187 Depth=2
	s_or_b64 exec, exec, s[16:17]
	v_cmp_lt_u32_e32 vcc, v24, v13
	s_and_saveexec_b64 s[16:17], vcc
	s_cbranch_execz .LBB1769_205
.LBB1769_212:                           ;   in Loop: Header=BB1769_187 Depth=2
	v_cmp_gt_i16_e32 vcc, 0, v10
	v_cndmask_b32_e64 v0, v66, 0, vcc
	v_xor_b32_e32 v0, v0, v10
	v_cmp_ne_u16_e32 vcc, s68, v0
	v_cndmask_b32_e32 v0, v66, v0, vcc
	v_lshrrev_b32_sdwa v0, s77, v0 dst_sel:DWORD dst_unused:UNUSED_PAD src0_sel:DWORD src1_sel:WORD_0
	v_and_b32_e32 v0, s78, v0
	v_lshl_or_b32 v0, v0, 4, v67
	ds_add_u32 v0, v64
	s_or_b64 exec, exec, s[16:17]
	v_cmp_lt_u32_e32 vcc, v25, v13
	s_and_saveexec_b64 s[16:17], vcc
	s_cbranch_execnz .LBB1769_206
.LBB1769_213:                           ;   in Loop: Header=BB1769_187 Depth=2
	s_or_b64 exec, exec, s[16:17]
	v_cmp_lt_u32_e32 vcc, v26, v13
	s_and_saveexec_b64 s[16:17], vcc
	s_cbranch_execz .LBB1769_207
.LBB1769_214:                           ;   in Loop: Header=BB1769_187 Depth=2
	v_cmp_gt_i16_e32 vcc, 0, v8
	v_cndmask_b32_e64 v0, v66, 0, vcc
	v_xor_b32_e32 v0, v0, v8
	v_cmp_ne_u16_e32 vcc, s68, v0
	v_cndmask_b32_e32 v0, v66, v0, vcc
	v_lshrrev_b32_sdwa v0, s77, v0 dst_sel:DWORD dst_unused:UNUSED_PAD src0_sel:DWORD src1_sel:WORD_0
	v_and_b32_e32 v0, s78, v0
	v_lshl_or_b32 v0, v0, 4, v67
	ds_add_u32 v0, v64
	s_or_b64 exec, exec, s[16:17]
	v_cmp_lt_u32_e32 vcc, v29, v13
	s_and_saveexec_b64 s[16:17], vcc
	s_cbranch_execnz .LBB1769_208
.LBB1769_215:                           ;   in Loop: Header=BB1769_187 Depth=2
	s_or_b64 exec, exec, s[16:17]
	v_cmp_lt_u32_e32 vcc, v30, v13
	s_and_saveexec_b64 s[16:17], vcc
	s_cbranch_execz .LBB1769_209
.LBB1769_216:                           ;   in Loop: Header=BB1769_187 Depth=2
	v_cmp_gt_i16_e32 vcc, 0, v6
	v_cndmask_b32_e64 v0, v66, 0, vcc
	v_xor_b32_e32 v0, v0, v6
	v_cmp_ne_u16_e32 vcc, s68, v0
	v_cndmask_b32_e32 v0, v66, v0, vcc
	v_lshrrev_b32_sdwa v0, s77, v0 dst_sel:DWORD dst_unused:UNUSED_PAD src0_sel:DWORD src1_sel:WORD_0
	v_and_b32_e32 v0, s78, v0
	v_lshl_or_b32 v0, v0, 4, v67
	ds_add_u32 v0, v64
	s_or_b64 exec, exec, s[16:17]
	v_cmp_lt_u32_e32 vcc, v31, v13
	s_and_saveexec_b64 s[16:17], vcc
	s_cbranch_execnz .LBB1769_210
.LBB1769_217:                           ;   in Loop: Header=BB1769_187 Depth=2
	s_or_b64 exec, exec, s[16:17]
	v_cmp_lt_u32_e32 vcc, v32, v13
	s_and_saveexec_b64 s[16:17], vcc
	s_cbranch_execz .LBB1769_186
.LBB1769_218:                           ;   in Loop: Header=BB1769_187 Depth=2
	s_waitcnt vmcnt(0)
	v_cmp_gt_i16_e32 vcc, 0, v12
	v_cndmask_b32_e64 v0, v66, 0, vcc
	v_xor_b32_e32 v0, v0, v12
	v_cmp_ne_u16_e32 vcc, s68, v0
	v_cndmask_b32_e32 v0, v66, v0, vcc
	v_lshrrev_b32_sdwa v0, s77, v0 dst_sel:DWORD dst_unused:UNUSED_PAD src0_sel:DWORD src1_sel:WORD_0
	v_and_b32_e32 v0, s78, v0
	v_lshl_or_b32 v0, v0, 4, v67
	ds_add_u32 v0, v64
	s_branch .LBB1769_186
.LBB1769_219:                           ;   in Loop: Header=BB1769_187 Depth=2
	s_or_b64 exec, exec, s[20:21]
	v_cmp_gt_u32_e32 vcc, s22, v24
	s_and_saveexec_b64 s[20:21], vcc
	s_cbranch_execz .LBB1769_193
.LBB1769_220:                           ;   in Loop: Header=BB1769_187 Depth=2
	global_load_ushort v10, v65, s[18:19] offset:512
	s_or_b64 exec, exec, s[20:21]
	v_cmp_gt_u32_e32 vcc, s22, v25
	s_and_saveexec_b64 s[20:21], vcc
	s_cbranch_execnz .LBB1769_194
.LBB1769_221:                           ;   in Loop: Header=BB1769_187 Depth=2
	s_or_b64 exec, exec, s[20:21]
	v_cmp_gt_u32_e32 vcc, s22, v26
	s_and_saveexec_b64 s[20:21], vcc
	s_cbranch_execz .LBB1769_195
.LBB1769_222:                           ;   in Loop: Header=BB1769_187 Depth=2
	global_load_ushort v8, v65, s[18:19] offset:1536
	s_or_b64 exec, exec, s[20:21]
	v_cmp_gt_u32_e32 vcc, s22, v29
	s_and_saveexec_b64 s[20:21], vcc
	s_cbranch_execnz .LBB1769_196
.LBB1769_223:                           ;   in Loop: Header=BB1769_187 Depth=2
	s_or_b64 exec, exec, s[20:21]
	v_cmp_gt_u32_e32 vcc, s22, v30
	s_and_saveexec_b64 s[20:21], vcc
	s_cbranch_execz .LBB1769_197
.LBB1769_224:                           ;   in Loop: Header=BB1769_187 Depth=2
	global_load_ushort v6, v65, s[18:19] offset:2560
	s_or_b64 exec, exec, s[20:21]
	v_cmp_gt_u32_e32 vcc, s22, v31
	s_and_saveexec_b64 s[20:21], vcc
	s_cbranch_execz .LBB1769_199
	s_branch .LBB1769_198
.LBB1769_225:                           ;   in Loop: Header=BB1769_17 Depth=1
	v_mov_b32_e32 v0, 0
	s_waitcnt lgkmcnt(0)
	s_barrier
	s_and_saveexec_b64 s[16:17], s[4:5]
	s_cbranch_execz .LBB1769_227
; %bb.226:                              ;   in Loop: Header=BB1769_17 Depth=1
	ds_read2_b64 v[6:9], v33 offset1:1
	s_waitcnt lgkmcnt(0)
	v_add_u32_e32 v0, v7, v6
	v_add3_u32 v0, v0, v8, v9
.LBB1769_227:                           ;   in Loop: Header=BB1769_17 Depth=1
	s_or_b64 exec, exec, s[16:17]
	v_and_b32_e32 v1, 15, v68
	v_mov_b32_dpp v5, v0 row_shr:1 row_mask:0xf bank_mask:0xf
	v_cmp_eq_u32_e64 s[16:17], 0, v1
	v_cndmask_b32_e64 v5, v5, 0, s[16:17]
	v_add_u32_e32 v0, v5, v0
	v_cmp_lt_u32_e64 s[18:19], 1, v1
	v_cmp_lt_u32_e64 s[20:21], 3, v1
	v_mov_b32_dpp v5, v0 row_shr:2 row_mask:0xf bank_mask:0xf
	v_cndmask_b32_e64 v5, 0, v5, s[18:19]
	v_add_u32_e32 v0, v0, v5
	v_cmp_lt_u32_e64 s[22:23], 7, v1
	v_cmp_lt_u32_e64 s[26:27], 31, v68
	v_mov_b32_dpp v5, v0 row_shr:4 row_mask:0xf bank_mask:0xf
	v_cndmask_b32_e64 v5, 0, v5, s[20:21]
	v_add_u32_e32 v0, v0, v5
	v_and_b32_e32 v6, 16, v68
	v_cmp_eq_u32_e64 s[24:25], 0, v6
	v_mov_b32_dpp v5, v0 row_shr:8 row_mask:0xf bank_mask:0xf
	v_cndmask_b32_e64 v1, 0, v5, s[22:23]
	v_add_u32_e32 v0, v0, v1
	v_bfe_i32 v5, v68, 4, 1
	s_nop 0
	v_mov_b32_dpp v1, v0 row_bcast:15 row_mask:0xf bank_mask:0xf
	v_and_b32_e32 v1, v5, v1
	v_add_u32_e32 v0, v0, v1
	s_nop 1
	v_mov_b32_dpp v1, v0 row_bcast:31 row_mask:0xf bank_mask:0xf
	v_cndmask_b32_e64 v1, 0, v1, s[26:27]
	v_add_u32_e32 v1, v0, v1
	s_and_saveexec_b64 s[28:29], s[6:7]
	s_cbranch_execz .LBB1769_229
; %bb.228:                              ;   in Loop: Header=BB1769_17 Depth=1
	ds_write_b32 v35, v1
.LBB1769_229:                           ;   in Loop: Header=BB1769_17 Depth=1
	s_or_b64 exec, exec, s[28:29]
	v_and_b32_e32 v0, 3, v68
	s_waitcnt lgkmcnt(0)
	s_barrier
	s_and_saveexec_b64 s[28:29], s[8:9]
	s_cbranch_execz .LBB1769_231
; %bb.230:                              ;   in Loop: Header=BB1769_17 Depth=1
	ds_read_b32 v5, v36
	v_cmp_ne_u32_e32 vcc, 0, v0
	s_waitcnt lgkmcnt(0)
	v_mov_b32_dpp v6, v5 row_shr:1 row_mask:0xf bank_mask:0xf
	v_cndmask_b32_e32 v6, 0, v6, vcc
	v_add_u32_e32 v5, v6, v5
	v_cmp_lt_u32_e32 vcc, 1, v0
	s_nop 0
	v_mov_b32_dpp v6, v5 row_shr:2 row_mask:0xf bank_mask:0xf
	v_cndmask_b32_e32 v6, 0, v6, vcc
	v_add_u32_e32 v5, v5, v6
	ds_write_b32 v36, v5
.LBB1769_231:                           ;   in Loop: Header=BB1769_17 Depth=1
	s_or_b64 exec, exec, s[28:29]
	v_mov_b32_e32 v5, 0
	s_waitcnt lgkmcnt(0)
	s_barrier
	s_and_saveexec_b64 s[28:29], s[10:11]
	s_cbranch_execz .LBB1769_233
; %bb.232:                              ;   in Loop: Header=BB1769_17 Depth=1
	ds_read_b32 v5, v37
.LBB1769_233:                           ;   in Loop: Header=BB1769_17 Depth=1
	s_or_b64 exec, exec, s[28:29]
	v_add_u32_e32 v6, -1, v68
	v_and_b32_e32 v7, 64, v68
	v_cmp_lt_i32_e32 vcc, v6, v7
	v_cndmask_b32_e32 v6, v6, v68, vcc
	s_waitcnt lgkmcnt(0)
	v_add_u32_e32 v1, v5, v1
	v_lshlrev_b32_e32 v69, 2, v6
	ds_bpermute_b32 v1, v69, v1
	v_cmp_eq_u32_e64 s[28:29], 0, v68
	s_waitcnt lgkmcnt(0)
	s_barrier
	s_and_saveexec_b64 s[30:31], s[4:5]
	s_cbranch_execz .LBB1769_235
; %bb.234:                              ;   in Loop: Header=BB1769_17 Depth=1
	v_cndmask_b32_e64 v1, v1, v5, s[28:29]
	v_add_u32_e32 v1, s51, v1
	ds_write_b32 v3, v1
.LBB1769_235:                           ;   in Loop: Header=BB1769_17 Depth=1
	s_or_b64 exec, exec, s[30:31]
	s_load_dwordx2 s[30:31], s[74:75], 0x0
	v_and_b32_e32 v21, 63, v68
	v_lshlrev_b32_e32 v22, 3, v21
	v_add_co_u32_e32 v77, vcc, v54, v22
	s_waitcnt lgkmcnt(0)
	s_cmp_lt_u32 s50, s30
	s_cselect_b32 s34, 12, 18
	s_cmp_lt_u32 s33, s31
	s_cselect_b32 s30, 14, 20
	s_add_u32 s30, s74, s30
	s_addc_u32 s31, s75, 0
	s_add_u32 s34, s74, s34
	global_load_ushort v5, v4, s[30:31]
	s_addc_u32 s35, s75, 0
	global_load_ushort v20, v4, s[34:35]
	v_or_b32_e32 v74, v21, v38
	v_lshlrev_b32_e32 v21, 1, v21
	v_addc_co_u32_e32 v79, vcc, 0, v55, vcc
	v_add_co_u32_e32 v88, vcc, v56, v21
	v_addc_co_u32_e32 v89, vcc, 0, v57, vcc
	v_add_co_u32_e32 v90, vcc, 0x380, v88
	v_cmp_eq_u32_e64 s[30:31], 0, v0
	v_cmp_lt_u32_e64 s[34:35], 1, v0
	s_mov_b32 s79, s71
	v_or_b32_e32 v81, 64, v74
	v_or_b32_e32 v82, 0x80, v74
	v_or_b32_e32 v83, 0xc0, v74
	v_or_b32_e32 v84, 0x100, v74
	v_or_b32_e32 v85, 0x140, v74
	v_or_b32_e32 v86, 0x180, v74
	v_or_b32_e32 v87, 0x1c0, v74
	v_addc_co_u32_e32 v91, vcc, 0, v89, vcc
	s_mov_b32 s72, s51
                                        ; implicit-def: $vgpr0_vgpr1
                                        ; implicit-def: $vgpr6_vgpr7
                                        ; implicit-def: $vgpr8_vgpr9
                                        ; implicit-def: $vgpr10_vgpr11
                                        ; implicit-def: $vgpr12_vgpr13
                                        ; implicit-def: $vgpr14_vgpr15
                                        ; implicit-def: $vgpr16_vgpr17
                                        ; implicit-def: $vgpr18_vgpr19
                                        ; implicit-def: $vgpr70
                                        ; implicit-def: $vgpr71
                                        ; implicit-def: $vgpr72
                                        ; implicit-def: $vgpr73
                                        ; implicit-def: $vgpr75
                                        ; implicit-def: $vgpr76
                                        ; implicit-def: $vgpr78
                                        ; implicit-def: $vgpr80
	s_waitcnt vmcnt(1)
	v_mad_u32_u24 v5, v39, v5, v40
	s_waitcnt vmcnt(0)
	v_mad_u64_u32 v[20:21], s[36:37], v5, v20, v[2:3]
	v_lshrrev_b32_e32 v92, 6, v20
	s_branch .LBB1769_237
.LBB1769_236:                           ;   in Loop: Header=BB1769_237 Depth=2
	s_or_b64 exec, exec, s[36:37]
	s_addk_i32 s79, 0xf800
	s_cmp_lt_u32 s80, s76
	s_mov_b32 s72, s80
	s_cbranch_scc0 .LBB1769_349
.LBB1769_237:                           ;   Parent Loop BB1769_17 Depth=1
                                        ; =>  This Inner Loop Header: Depth=2
	s_add_i32 s80, s72, 0x800
	s_cmp_gt_u32 s80, s76
	s_cbranch_scc1 .LBB1769_240
; %bb.238:                              ;   in Loop: Header=BB1769_237 Depth=2
	s_lshl_b64 s[36:37], s[72:73], 1
	v_mov_b32_e32 v5, s37
	v_add_co_u32_e32 v20, vcc, s36, v88
	v_addc_co_u32_e32 v21, vcc, v89, v5, vcc
	global_load_ushort v5, v[20:21], off
	global_load_ushort v97, v[20:21], off offset:128
	global_load_ushort v101, v[20:21], off offset:256
	;; [unrolled: 1-line block ×6, first 2 shown]
	s_mov_b64 s[36:37], -1
	s_movk_i32 s40, 0x800
	s_cbranch_execz .LBB1769_241
; %bb.239:                              ;   in Loop: Header=BB1769_237 Depth=2
                                        ; implicit-def: $sgpr38
	v_mov_b32_e32 v23, s38
	v_mov_b32_e32 v93, s79
	s_and_saveexec_b64 s[38:39], s[36:37]
	s_cbranch_execnz .LBB1769_256
	s_branch .LBB1769_257
.LBB1769_240:                           ;   in Loop: Header=BB1769_237 Depth=2
	s_mov_b64 s[36:37], 0
                                        ; implicit-def: $sgpr40
                                        ; implicit-def: $vgpr5
                                        ; implicit-def: $vgpr97
                                        ; implicit-def: $vgpr101
                                        ; implicit-def: $vgpr106
                                        ; implicit-def: $vgpr109
                                        ; implicit-def: $vgpr104
                                        ; implicit-def: $vgpr22
.LBB1769_241:                           ;   in Loop: Header=BB1769_237 Depth=2
	s_lshl_b64 s[36:37], s[72:73], 1
	s_waitcnt vmcnt(6)
	v_mov_b32_e32 v5, s37
	v_add_co_u32_e32 v20, vcc, s36, v88
	v_addc_co_u32_e32 v21, vcc, v89, v5, vcc
	v_cmp_gt_u32_e32 vcc, s79, v74
	s_waitcnt vmcnt(5)
	v_mov_b32_e32 v97, -1
	v_mov_b32_e32 v5, -1
	s_and_saveexec_b64 s[36:37], vcc
	s_cbranch_execz .LBB1769_243
; %bb.242:                              ;   in Loop: Header=BB1769_237 Depth=2
	global_load_ushort v5, v[20:21], off
.LBB1769_243:                           ;   in Loop: Header=BB1769_237 Depth=2
	s_or_b64 exec, exec, s[36:37]
	v_cmp_gt_u32_e32 vcc, s79, v81
	s_and_saveexec_b64 s[36:37], vcc
	s_cbranch_execz .LBB1769_245
; %bb.244:                              ;   in Loop: Header=BB1769_237 Depth=2
	global_load_ushort v97, v[20:21], off offset:128
.LBB1769_245:                           ;   in Loop: Header=BB1769_237 Depth=2
	s_or_b64 exec, exec, s[36:37]
	v_cmp_gt_u32_e32 vcc, s79, v82
	s_waitcnt vmcnt(3)
	v_mov_b32_e32 v106, -1
	v_mov_b32_e32 v101, -1
	s_and_saveexec_b64 s[36:37], vcc
	s_cbranch_execz .LBB1769_247
; %bb.246:                              ;   in Loop: Header=BB1769_237 Depth=2
	global_load_ushort v101, v[20:21], off offset:256
.LBB1769_247:                           ;   in Loop: Header=BB1769_237 Depth=2
	s_or_b64 exec, exec, s[36:37]
	v_cmp_gt_u32_e32 vcc, s79, v83
	s_and_saveexec_b64 s[36:37], vcc
	s_cbranch_execz .LBB1769_249
; %bb.248:                              ;   in Loop: Header=BB1769_237 Depth=2
	global_load_ushort v106, v[20:21], off offset:384
.LBB1769_249:                           ;   in Loop: Header=BB1769_237 Depth=2
	s_or_b64 exec, exec, s[36:37]
	v_cmp_gt_u32_e32 vcc, s79, v84
	s_waitcnt vmcnt(1)
	v_mov_b32_e32 v104, -1
	v_mov_b32_e32 v109, -1
	s_and_saveexec_b64 s[36:37], vcc
	s_cbranch_execz .LBB1769_251
; %bb.250:                              ;   in Loop: Header=BB1769_237 Depth=2
	global_load_ushort v109, v[20:21], off offset:512
.LBB1769_251:                           ;   in Loop: Header=BB1769_237 Depth=2
	s_or_b64 exec, exec, s[36:37]
	v_cmp_gt_u32_e32 vcc, s79, v85
	s_and_saveexec_b64 s[36:37], vcc
	s_cbranch_execz .LBB1769_253
; %bb.252:                              ;   in Loop: Header=BB1769_237 Depth=2
	global_load_ushort v104, v[20:21], off offset:640
.LBB1769_253:                           ;   in Loop: Header=BB1769_237 Depth=2
	s_or_b64 exec, exec, s[36:37]
	v_cmp_gt_u32_e32 vcc, s79, v86
	s_waitcnt vmcnt(0)
	v_mov_b32_e32 v22, -1
	s_and_saveexec_b64 s[36:37], vcc
	s_cbranch_execz .LBB1769_255
; %bb.254:                              ;   in Loop: Header=BB1769_237 Depth=2
	global_load_ushort v22, v[20:21], off offset:768
.LBB1769_255:                           ;   in Loop: Header=BB1769_237 Depth=2
	s_or_b64 exec, exec, s[36:37]
	s_sub_i32 s40, s76, s72
	v_cmp_gt_u32_e64 s[36:37], s79, v87
	s_mov_b32 s38, -1
	v_mov_b32_e32 v23, s38
	v_mov_b32_e32 v93, s79
	s_and_saveexec_b64 s[38:39], s[36:37]
	s_cbranch_execz .LBB1769_257
.LBB1769_256:                           ;   in Loop: Header=BB1769_237 Depth=2
	s_lshl_b64 s[36:37], s[72:73], 1
	v_mov_b32_e32 v21, s37
	v_add_co_u32_e32 v20, vcc, s36, v90
	v_addc_co_u32_e32 v21, vcc, v91, v21, vcc
	global_load_ushort v23, v[20:21], off
	v_mov_b32_e32 v93, s40
.LBB1769_257:                           ;   in Loop: Header=BB1769_237 Depth=2
	s_or_b64 exec, exec, s[38:39]
	s_waitcnt vmcnt(6)
	v_cmp_gt_i16_e32 vcc, 0, v5
	v_cndmask_b32_e64 v20, v66, 0, vcc
	v_xor_b32_e32 v94, v20, v5
	v_add_u32_e32 v5, 0x410, v41
	v_cmp_ne_u16_e32 vcc, s68, v94
	ds_write2_b32 v5, v4, v4 offset1:1
	ds_write2_b32 v43, v4, v4 offset0:2 offset1:3
	ds_write_b32 v43, v4 offset:16
	v_cndmask_b32_e32 v5, v66, v94, vcc
	v_lshrrev_b32_sdwa v5, s77, v5 dst_sel:DWORD dst_unused:UNUSED_PAD src0_sel:DWORD src1_sel:WORD_0
	v_and_b32_e32 v20, s78, v5
	v_mad_u32_u24 v5, v20, 5, v92
	v_lshl_add_u32 v95, v5, 2, v42
	v_and_b32_e32 v5, 1, v20
	v_add_co_u32_e32 v21, vcc, -1, v5
	v_addc_co_u32_e64 v96, s[36:37], 0, -1, vcc
	v_cmp_ne_u32_e32 vcc, 0, v5
	v_xor_b32_e32 v5, vcc_hi, v96
	v_and_b32_e32 v96, exec_hi, v5
	v_lshlrev_b32_e32 v5, 30, v20
	v_xor_b32_e32 v21, vcc_lo, v21
	v_cmp_gt_i64_e32 vcc, 0, v[4:5]
	v_not_b32_e32 v5, v5
	v_ashrrev_i32_e32 v5, 31, v5
	v_and_b32_e32 v21, exec_lo, v21
	v_xor_b32_e32 v98, vcc_hi, v5
	v_xor_b32_e32 v5, vcc_lo, v5
	v_and_b32_e32 v21, v21, v5
	v_lshlrev_b32_e32 v5, 29, v20
	v_cmp_gt_i64_e32 vcc, 0, v[4:5]
	v_not_b32_e32 v5, v5
	v_ashrrev_i32_e32 v5, 31, v5
	v_and_b32_e32 v96, v96, v98
	v_xor_b32_e32 v98, vcc_hi, v5
	v_xor_b32_e32 v5, vcc_lo, v5
	v_and_b32_e32 v21, v21, v5
	v_lshlrev_b32_e32 v5, 28, v20
	v_cmp_gt_i64_e32 vcc, 0, v[4:5]
	v_not_b32_e32 v5, v5
	v_ashrrev_i32_e32 v5, 31, v5
	v_and_b32_e32 v96, v96, v98
	;; [unrolled: 8-line block ×5, first 2 shown]
	v_xor_b32_e32 v98, vcc_hi, v5
	v_xor_b32_e32 v5, vcc_lo, v5
	v_and_b32_e32 v96, v96, v98
	v_and_b32_e32 v98, v21, v5
	v_lshlrev_b32_e32 v5, 24, v20
	v_cmp_gt_i64_e32 vcc, 0, v[4:5]
	v_not_b32_e32 v5, v5
	v_ashrrev_i32_e32 v5, 31, v5
	v_xor_b32_e32 v20, vcc_hi, v5
	v_xor_b32_e32 v5, vcc_lo, v5
	v_and_b32_e32 v21, v96, v20
	v_and_b32_e32 v20, v98, v5
	v_mbcnt_lo_u32_b32 v5, v20, 0
	v_mbcnt_hi_u32_b32 v96, v21, v5
	v_cmp_eq_u32_e32 vcc, 0, v96
	v_cmp_ne_u64_e64 s[36:37], 0, v[20:21]
	s_and_b64 s[38:39], s[36:37], vcc
	s_waitcnt lgkmcnt(0)
	s_barrier
	s_waitcnt lgkmcnt(0)
	; wave barrier
	s_and_saveexec_b64 s[36:37], s[38:39]
	s_cbranch_execz .LBB1769_259
; %bb.258:                              ;   in Loop: Header=BB1769_237 Depth=2
	v_bcnt_u32_b32 v5, v20, 0
	v_bcnt_u32_b32 v5, v21, v5
	ds_write_b32 v95, v5
.LBB1769_259:                           ;   in Loop: Header=BB1769_237 Depth=2
	s_or_b64 exec, exec, s[36:37]
	s_waitcnt vmcnt(5)
	v_cmp_gt_i16_e32 vcc, 0, v97
	v_cndmask_b32_e64 v5, v66, 0, vcc
	v_xor_b32_e32 v97, v5, v97
	v_cmp_ne_u16_e32 vcc, s68, v97
	v_cndmask_b32_e32 v5, v66, v97, vcc
	v_lshrrev_b32_sdwa v5, s77, v5 dst_sel:DWORD dst_unused:UNUSED_PAD src0_sel:DWORD src1_sel:WORD_0
	v_and_b32_e32 v20, s78, v5
	v_mul_u32_u24_e32 v5, 5, v20
	v_add_lshl_u32 v5, v5, v92, 2
	; wave barrier
	v_add_u32_e32 v99, 0x410, v5
	ds_read_b32 v98, v5 offset:1040
	v_and_b32_e32 v5, 1, v20
	v_add_co_u32_e32 v21, vcc, -1, v5
	v_addc_co_u32_e64 v100, s[36:37], 0, -1, vcc
	v_cmp_ne_u32_e32 vcc, 0, v5
	v_xor_b32_e32 v5, vcc_hi, v100
	v_and_b32_e32 v100, exec_hi, v5
	v_lshlrev_b32_e32 v5, 30, v20
	v_xor_b32_e32 v21, vcc_lo, v21
	v_cmp_gt_i64_e32 vcc, 0, v[4:5]
	v_not_b32_e32 v5, v5
	v_ashrrev_i32_e32 v5, 31, v5
	v_and_b32_e32 v21, exec_lo, v21
	v_xor_b32_e32 v102, vcc_hi, v5
	v_xor_b32_e32 v5, vcc_lo, v5
	v_and_b32_e32 v21, v21, v5
	v_lshlrev_b32_e32 v5, 29, v20
	v_cmp_gt_i64_e32 vcc, 0, v[4:5]
	v_not_b32_e32 v5, v5
	v_ashrrev_i32_e32 v5, 31, v5
	v_and_b32_e32 v100, v100, v102
	v_xor_b32_e32 v102, vcc_hi, v5
	v_xor_b32_e32 v5, vcc_lo, v5
	v_and_b32_e32 v21, v21, v5
	v_lshlrev_b32_e32 v5, 28, v20
	v_cmp_gt_i64_e32 vcc, 0, v[4:5]
	v_not_b32_e32 v5, v5
	v_ashrrev_i32_e32 v5, 31, v5
	v_and_b32_e32 v100, v100, v102
	;; [unrolled: 8-line block ×5, first 2 shown]
	v_xor_b32_e32 v102, vcc_hi, v5
	v_xor_b32_e32 v5, vcc_lo, v5
	v_and_b32_e32 v100, v100, v102
	v_and_b32_e32 v102, v21, v5
	v_lshlrev_b32_e32 v5, 24, v20
	v_cmp_gt_i64_e32 vcc, 0, v[4:5]
	v_not_b32_e32 v5, v5
	v_ashrrev_i32_e32 v5, 31, v5
	v_xor_b32_e32 v20, vcc_hi, v5
	v_xor_b32_e32 v5, vcc_lo, v5
	v_and_b32_e32 v21, v100, v20
	v_and_b32_e32 v20, v102, v5
	v_mbcnt_lo_u32_b32 v5, v20, 0
	v_mbcnt_hi_u32_b32 v100, v21, v5
	v_cmp_eq_u32_e32 vcc, 0, v100
	v_cmp_ne_u64_e64 s[36:37], 0, v[20:21]
	s_and_b64 s[38:39], s[36:37], vcc
	; wave barrier
	s_and_saveexec_b64 s[36:37], s[38:39]
	s_cbranch_execz .LBB1769_261
; %bb.260:                              ;   in Loop: Header=BB1769_237 Depth=2
	v_bcnt_u32_b32 v5, v20, 0
	v_bcnt_u32_b32 v5, v21, v5
	s_waitcnt lgkmcnt(0)
	v_add_u32_e32 v5, v98, v5
	ds_write_b32 v99, v5
.LBB1769_261:                           ;   in Loop: Header=BB1769_237 Depth=2
	s_or_b64 exec, exec, s[36:37]
	s_waitcnt vmcnt(4)
	v_cmp_gt_i16_e32 vcc, 0, v101
	v_cndmask_b32_e64 v5, v66, 0, vcc
	v_xor_b32_e32 v101, v5, v101
	v_cmp_ne_u16_e32 vcc, s68, v101
	v_cndmask_b32_e32 v5, v66, v101, vcc
	v_lshrrev_b32_sdwa v5, s77, v5 dst_sel:DWORD dst_unused:UNUSED_PAD src0_sel:DWORD src1_sel:WORD_0
	v_and_b32_e32 v20, s78, v5
	v_mul_u32_u24_e32 v5, 5, v20
	v_add_lshl_u32 v5, v5, v92, 2
	; wave barrier
	v_add_u32_e32 v103, 0x410, v5
	ds_read_b32 v102, v5 offset:1040
	v_and_b32_e32 v5, 1, v20
	v_add_co_u32_e32 v21, vcc, -1, v5
	v_addc_co_u32_e64 v105, s[36:37], 0, -1, vcc
	v_cmp_ne_u32_e32 vcc, 0, v5
	v_xor_b32_e32 v5, vcc_hi, v105
	v_and_b32_e32 v105, exec_hi, v5
	v_lshlrev_b32_e32 v5, 30, v20
	v_xor_b32_e32 v21, vcc_lo, v21
	v_cmp_gt_i64_e32 vcc, 0, v[4:5]
	v_not_b32_e32 v5, v5
	v_ashrrev_i32_e32 v5, 31, v5
	v_and_b32_e32 v21, exec_lo, v21
	v_xor_b32_e32 v107, vcc_hi, v5
	v_xor_b32_e32 v5, vcc_lo, v5
	v_and_b32_e32 v21, v21, v5
	v_lshlrev_b32_e32 v5, 29, v20
	v_cmp_gt_i64_e32 vcc, 0, v[4:5]
	v_not_b32_e32 v5, v5
	v_ashrrev_i32_e32 v5, 31, v5
	v_and_b32_e32 v105, v105, v107
	v_xor_b32_e32 v107, vcc_hi, v5
	v_xor_b32_e32 v5, vcc_lo, v5
	v_and_b32_e32 v21, v21, v5
	v_lshlrev_b32_e32 v5, 28, v20
	v_cmp_gt_i64_e32 vcc, 0, v[4:5]
	v_not_b32_e32 v5, v5
	v_ashrrev_i32_e32 v5, 31, v5
	v_and_b32_e32 v105, v105, v107
	;; [unrolled: 8-line block ×5, first 2 shown]
	v_xor_b32_e32 v107, vcc_hi, v5
	v_xor_b32_e32 v5, vcc_lo, v5
	v_and_b32_e32 v105, v105, v107
	v_and_b32_e32 v107, v21, v5
	v_lshlrev_b32_e32 v5, 24, v20
	v_cmp_gt_i64_e32 vcc, 0, v[4:5]
	v_not_b32_e32 v5, v5
	v_ashrrev_i32_e32 v5, 31, v5
	v_xor_b32_e32 v20, vcc_hi, v5
	v_xor_b32_e32 v5, vcc_lo, v5
	v_and_b32_e32 v21, v105, v20
	v_and_b32_e32 v20, v107, v5
	v_mbcnt_lo_u32_b32 v5, v20, 0
	v_mbcnt_hi_u32_b32 v105, v21, v5
	v_cmp_eq_u32_e32 vcc, 0, v105
	v_cmp_ne_u64_e64 s[36:37], 0, v[20:21]
	s_and_b64 s[38:39], s[36:37], vcc
	; wave barrier
	s_and_saveexec_b64 s[36:37], s[38:39]
	s_cbranch_execz .LBB1769_263
; %bb.262:                              ;   in Loop: Header=BB1769_237 Depth=2
	v_bcnt_u32_b32 v5, v20, 0
	v_bcnt_u32_b32 v5, v21, v5
	s_waitcnt lgkmcnt(0)
	v_add_u32_e32 v5, v102, v5
	ds_write_b32 v103, v5
.LBB1769_263:                           ;   in Loop: Header=BB1769_237 Depth=2
	s_or_b64 exec, exec, s[36:37]
	s_waitcnt vmcnt(3)
	v_cmp_gt_i16_e32 vcc, 0, v106
	v_cndmask_b32_e64 v5, v66, 0, vcc
	v_xor_b32_e32 v106, v5, v106
	v_cmp_ne_u16_e32 vcc, s68, v106
	v_cndmask_b32_e32 v5, v66, v106, vcc
	v_lshrrev_b32_sdwa v5, s77, v5 dst_sel:DWORD dst_unused:UNUSED_PAD src0_sel:DWORD src1_sel:WORD_0
	v_and_b32_e32 v20, s78, v5
	v_mul_u32_u24_e32 v5, 5, v20
	v_add_lshl_u32 v5, v5, v92, 2
	; wave barrier
	v_add_u32_e32 v108, 0x410, v5
	ds_read_b32 v107, v5 offset:1040
	v_and_b32_e32 v5, 1, v20
	v_add_co_u32_e32 v21, vcc, -1, v5
	v_addc_co_u32_e64 v110, s[36:37], 0, -1, vcc
	v_cmp_ne_u32_e32 vcc, 0, v5
	v_xor_b32_e32 v5, vcc_hi, v110
	v_and_b32_e32 v110, exec_hi, v5
	v_lshlrev_b32_e32 v5, 30, v20
	v_xor_b32_e32 v21, vcc_lo, v21
	v_cmp_gt_i64_e32 vcc, 0, v[4:5]
	v_not_b32_e32 v5, v5
	v_ashrrev_i32_e32 v5, 31, v5
	v_and_b32_e32 v21, exec_lo, v21
	v_xor_b32_e32 v111, vcc_hi, v5
	v_xor_b32_e32 v5, vcc_lo, v5
	v_and_b32_e32 v21, v21, v5
	v_lshlrev_b32_e32 v5, 29, v20
	v_cmp_gt_i64_e32 vcc, 0, v[4:5]
	v_not_b32_e32 v5, v5
	v_ashrrev_i32_e32 v5, 31, v5
	v_and_b32_e32 v110, v110, v111
	v_xor_b32_e32 v111, vcc_hi, v5
	v_xor_b32_e32 v5, vcc_lo, v5
	v_and_b32_e32 v21, v21, v5
	v_lshlrev_b32_e32 v5, 28, v20
	v_cmp_gt_i64_e32 vcc, 0, v[4:5]
	v_not_b32_e32 v5, v5
	v_ashrrev_i32_e32 v5, 31, v5
	v_and_b32_e32 v110, v110, v111
	;; [unrolled: 8-line block ×5, first 2 shown]
	v_xor_b32_e32 v111, vcc_hi, v5
	v_xor_b32_e32 v5, vcc_lo, v5
	v_and_b32_e32 v110, v110, v111
	v_and_b32_e32 v111, v21, v5
	v_lshlrev_b32_e32 v5, 24, v20
	v_cmp_gt_i64_e32 vcc, 0, v[4:5]
	v_not_b32_e32 v5, v5
	v_ashrrev_i32_e32 v5, 31, v5
	v_xor_b32_e32 v20, vcc_hi, v5
	v_xor_b32_e32 v5, vcc_lo, v5
	v_and_b32_e32 v21, v110, v20
	v_and_b32_e32 v20, v111, v5
	v_mbcnt_lo_u32_b32 v5, v20, 0
	v_mbcnt_hi_u32_b32 v110, v21, v5
	v_cmp_eq_u32_e32 vcc, 0, v110
	v_cmp_ne_u64_e64 s[36:37], 0, v[20:21]
	s_and_b64 s[38:39], s[36:37], vcc
	; wave barrier
	s_and_saveexec_b64 s[36:37], s[38:39]
	s_cbranch_execz .LBB1769_265
; %bb.264:                              ;   in Loop: Header=BB1769_237 Depth=2
	v_bcnt_u32_b32 v5, v20, 0
	v_bcnt_u32_b32 v5, v21, v5
	s_waitcnt lgkmcnt(0)
	v_add_u32_e32 v5, v107, v5
	ds_write_b32 v108, v5
.LBB1769_265:                           ;   in Loop: Header=BB1769_237 Depth=2
	s_or_b64 exec, exec, s[36:37]
	s_waitcnt vmcnt(2)
	v_cmp_gt_i16_e32 vcc, 0, v109
	v_cndmask_b32_e64 v5, v66, 0, vcc
	v_xor_b32_e32 v109, v5, v109
	v_cmp_ne_u16_e32 vcc, s68, v109
	v_cndmask_b32_e32 v5, v66, v109, vcc
	v_lshrrev_b32_sdwa v5, s77, v5 dst_sel:DWORD dst_unused:UNUSED_PAD src0_sel:DWORD src1_sel:WORD_0
	v_and_b32_e32 v20, s78, v5
	v_mul_u32_u24_e32 v5, 5, v20
	v_add_lshl_u32 v5, v5, v92, 2
	; wave barrier
	v_add_u32_e32 v112, 0x410, v5
	ds_read_b32 v111, v5 offset:1040
	v_and_b32_e32 v5, 1, v20
	v_add_co_u32_e32 v21, vcc, -1, v5
	v_addc_co_u32_e64 v113, s[36:37], 0, -1, vcc
	v_cmp_ne_u32_e32 vcc, 0, v5
	v_xor_b32_e32 v5, vcc_hi, v113
	v_and_b32_e32 v113, exec_hi, v5
	v_lshlrev_b32_e32 v5, 30, v20
	v_xor_b32_e32 v21, vcc_lo, v21
	v_cmp_gt_i64_e32 vcc, 0, v[4:5]
	v_not_b32_e32 v5, v5
	v_ashrrev_i32_e32 v5, 31, v5
	v_and_b32_e32 v21, exec_lo, v21
	v_xor_b32_e32 v114, vcc_hi, v5
	v_xor_b32_e32 v5, vcc_lo, v5
	v_and_b32_e32 v21, v21, v5
	v_lshlrev_b32_e32 v5, 29, v20
	v_cmp_gt_i64_e32 vcc, 0, v[4:5]
	v_not_b32_e32 v5, v5
	v_ashrrev_i32_e32 v5, 31, v5
	v_and_b32_e32 v113, v113, v114
	v_xor_b32_e32 v114, vcc_hi, v5
	v_xor_b32_e32 v5, vcc_lo, v5
	v_and_b32_e32 v21, v21, v5
	v_lshlrev_b32_e32 v5, 28, v20
	v_cmp_gt_i64_e32 vcc, 0, v[4:5]
	v_not_b32_e32 v5, v5
	v_ashrrev_i32_e32 v5, 31, v5
	v_and_b32_e32 v113, v113, v114
	;; [unrolled: 8-line block ×5, first 2 shown]
	v_xor_b32_e32 v114, vcc_hi, v5
	v_xor_b32_e32 v5, vcc_lo, v5
	v_and_b32_e32 v113, v113, v114
	v_and_b32_e32 v114, v21, v5
	v_lshlrev_b32_e32 v5, 24, v20
	v_cmp_gt_i64_e32 vcc, 0, v[4:5]
	v_not_b32_e32 v5, v5
	v_ashrrev_i32_e32 v5, 31, v5
	v_xor_b32_e32 v20, vcc_hi, v5
	v_xor_b32_e32 v5, vcc_lo, v5
	v_and_b32_e32 v21, v113, v20
	v_and_b32_e32 v20, v114, v5
	v_mbcnt_lo_u32_b32 v5, v20, 0
	v_mbcnt_hi_u32_b32 v113, v21, v5
	v_cmp_eq_u32_e32 vcc, 0, v113
	v_cmp_ne_u64_e64 s[36:37], 0, v[20:21]
	s_and_b64 s[38:39], s[36:37], vcc
	; wave barrier
	s_and_saveexec_b64 s[36:37], s[38:39]
	s_cbranch_execz .LBB1769_267
; %bb.266:                              ;   in Loop: Header=BB1769_237 Depth=2
	v_bcnt_u32_b32 v5, v20, 0
	v_bcnt_u32_b32 v5, v21, v5
	s_waitcnt lgkmcnt(0)
	v_add_u32_e32 v5, v111, v5
	ds_write_b32 v112, v5
.LBB1769_267:                           ;   in Loop: Header=BB1769_237 Depth=2
	s_or_b64 exec, exec, s[36:37]
	s_waitcnt vmcnt(1)
	v_cmp_gt_i16_e32 vcc, 0, v104
	v_cndmask_b32_e64 v5, v66, 0, vcc
	v_xor_b32_e32 v104, v5, v104
	v_cmp_ne_u16_e32 vcc, s68, v104
	v_cndmask_b32_e32 v5, v66, v104, vcc
	v_lshrrev_b32_sdwa v5, s77, v5 dst_sel:DWORD dst_unused:UNUSED_PAD src0_sel:DWORD src1_sel:WORD_0
	v_and_b32_e32 v20, s78, v5
	v_mul_u32_u24_e32 v5, 5, v20
	v_add_lshl_u32 v5, v5, v92, 2
	; wave barrier
	v_add_u32_e32 v115, 0x410, v5
	ds_read_b32 v114, v5 offset:1040
	v_and_b32_e32 v5, 1, v20
	v_add_co_u32_e32 v21, vcc, -1, v5
	v_addc_co_u32_e64 v116, s[36:37], 0, -1, vcc
	v_cmp_ne_u32_e32 vcc, 0, v5
	v_xor_b32_e32 v5, vcc_hi, v116
	v_and_b32_e32 v116, exec_hi, v5
	v_lshlrev_b32_e32 v5, 30, v20
	v_xor_b32_e32 v21, vcc_lo, v21
	v_cmp_gt_i64_e32 vcc, 0, v[4:5]
	v_not_b32_e32 v5, v5
	v_ashrrev_i32_e32 v5, 31, v5
	v_and_b32_e32 v21, exec_lo, v21
	v_xor_b32_e32 v117, vcc_hi, v5
	v_xor_b32_e32 v5, vcc_lo, v5
	v_and_b32_e32 v21, v21, v5
	v_lshlrev_b32_e32 v5, 29, v20
	v_cmp_gt_i64_e32 vcc, 0, v[4:5]
	v_not_b32_e32 v5, v5
	v_ashrrev_i32_e32 v5, 31, v5
	v_and_b32_e32 v116, v116, v117
	v_xor_b32_e32 v117, vcc_hi, v5
	v_xor_b32_e32 v5, vcc_lo, v5
	v_and_b32_e32 v21, v21, v5
	v_lshlrev_b32_e32 v5, 28, v20
	v_cmp_gt_i64_e32 vcc, 0, v[4:5]
	v_not_b32_e32 v5, v5
	v_ashrrev_i32_e32 v5, 31, v5
	v_and_b32_e32 v116, v116, v117
	v_xor_b32_e32 v117, vcc_hi, v5
	v_xor_b32_e32 v5, vcc_lo, v5
	v_and_b32_e32 v21, v21, v5
	v_lshlrev_b32_e32 v5, 27, v20
	v_cmp_gt_i64_e32 vcc, 0, v[4:5]
	v_not_b32_e32 v5, v5
	v_ashrrev_i32_e32 v5, 31, v5
	v_and_b32_e32 v116, v116, v117
	v_xor_b32_e32 v117, vcc_hi, v5
	v_xor_b32_e32 v5, vcc_lo, v5
	v_and_b32_e32 v21, v21, v5
	v_lshlrev_b32_e32 v5, 26, v20
	v_cmp_gt_i64_e32 vcc, 0, v[4:5]
	v_not_b32_e32 v5, v5
	v_ashrrev_i32_e32 v5, 31, v5
	v_and_b32_e32 v116, v116, v117
	v_xor_b32_e32 v117, vcc_hi, v5
	v_xor_b32_e32 v5, vcc_lo, v5
	v_and_b32_e32 v21, v21, v5
	v_lshlrev_b32_e32 v5, 25, v20
	v_cmp_gt_i64_e32 vcc, 0, v[4:5]
	v_not_b32_e32 v5, v5
	v_ashrrev_i32_e32 v5, 31, v5
	v_and_b32_e32 v116, v116, v117
	v_xor_b32_e32 v117, vcc_hi, v5
	v_xor_b32_e32 v5, vcc_lo, v5
	v_and_b32_e32 v116, v116, v117
	v_and_b32_e32 v117, v21, v5
	v_lshlrev_b32_e32 v5, 24, v20
	v_cmp_gt_i64_e32 vcc, 0, v[4:5]
	v_not_b32_e32 v5, v5
	v_ashrrev_i32_e32 v5, 31, v5
	v_xor_b32_e32 v20, vcc_hi, v5
	v_xor_b32_e32 v5, vcc_lo, v5
	v_and_b32_e32 v21, v116, v20
	v_and_b32_e32 v20, v117, v5
	v_mbcnt_lo_u32_b32 v5, v20, 0
	v_mbcnt_hi_u32_b32 v116, v21, v5
	v_cmp_eq_u32_e32 vcc, 0, v116
	v_cmp_ne_u64_e64 s[36:37], 0, v[20:21]
	s_and_b64 s[38:39], s[36:37], vcc
	; wave barrier
	s_and_saveexec_b64 s[36:37], s[38:39]
	s_cbranch_execz .LBB1769_269
; %bb.268:                              ;   in Loop: Header=BB1769_237 Depth=2
	v_bcnt_u32_b32 v5, v20, 0
	v_bcnt_u32_b32 v5, v21, v5
	s_waitcnt lgkmcnt(0)
	v_add_u32_e32 v5, v114, v5
	ds_write_b32 v115, v5
.LBB1769_269:                           ;   in Loop: Header=BB1769_237 Depth=2
	s_or_b64 exec, exec, s[36:37]
	s_waitcnt vmcnt(0)
	v_cmp_gt_i16_e32 vcc, 0, v22
	v_cndmask_b32_e64 v5, v66, 0, vcc
	v_xor_b32_e32 v117, v5, v22
	v_cmp_ne_u16_e32 vcc, s68, v117
	v_cndmask_b32_e32 v5, v66, v117, vcc
	v_lshrrev_b32_sdwa v5, s77, v5 dst_sel:DWORD dst_unused:UNUSED_PAD src0_sel:DWORD src1_sel:WORD_0
	v_and_b32_e32 v20, s78, v5
	v_mul_u32_u24_e32 v5, 5, v20
	v_add_lshl_u32 v5, v5, v92, 2
	; wave barrier
	v_add_u32_e32 v119, 0x410, v5
	ds_read_b32 v118, v5 offset:1040
	v_and_b32_e32 v5, 1, v20
	v_add_co_u32_e32 v21, vcc, -1, v5
	v_addc_co_u32_e64 v22, s[36:37], 0, -1, vcc
	v_cmp_ne_u32_e32 vcc, 0, v5
	v_xor_b32_e32 v5, vcc_hi, v22
	v_and_b32_e32 v22, exec_hi, v5
	v_lshlrev_b32_e32 v5, 30, v20
	v_xor_b32_e32 v21, vcc_lo, v21
	v_cmp_gt_i64_e32 vcc, 0, v[4:5]
	v_not_b32_e32 v5, v5
	v_ashrrev_i32_e32 v5, 31, v5
	v_and_b32_e32 v21, exec_lo, v21
	v_xor_b32_e32 v120, vcc_hi, v5
	v_xor_b32_e32 v5, vcc_lo, v5
	v_and_b32_e32 v21, v21, v5
	v_lshlrev_b32_e32 v5, 29, v20
	v_cmp_gt_i64_e32 vcc, 0, v[4:5]
	v_not_b32_e32 v5, v5
	v_ashrrev_i32_e32 v5, 31, v5
	v_and_b32_e32 v22, v22, v120
	v_xor_b32_e32 v120, vcc_hi, v5
	v_xor_b32_e32 v5, vcc_lo, v5
	v_and_b32_e32 v21, v21, v5
	v_lshlrev_b32_e32 v5, 28, v20
	v_cmp_gt_i64_e32 vcc, 0, v[4:5]
	v_not_b32_e32 v5, v5
	v_ashrrev_i32_e32 v5, 31, v5
	v_and_b32_e32 v22, v22, v120
	;; [unrolled: 8-line block ×5, first 2 shown]
	v_xor_b32_e32 v120, vcc_hi, v5
	v_xor_b32_e32 v5, vcc_lo, v5
	v_and_b32_e32 v22, v22, v120
	v_and_b32_e32 v120, v21, v5
	v_lshlrev_b32_e32 v5, 24, v20
	v_cmp_gt_i64_e32 vcc, 0, v[4:5]
	v_not_b32_e32 v5, v5
	v_ashrrev_i32_e32 v5, 31, v5
	v_xor_b32_e32 v20, vcc_hi, v5
	v_xor_b32_e32 v5, vcc_lo, v5
	v_and_b32_e32 v21, v22, v20
	v_and_b32_e32 v20, v120, v5
	v_mbcnt_lo_u32_b32 v5, v20, 0
	v_mbcnt_hi_u32_b32 v120, v21, v5
	v_cmp_eq_u32_e32 vcc, 0, v120
	v_cmp_ne_u64_e64 s[36:37], 0, v[20:21]
	s_and_b64 s[38:39], s[36:37], vcc
	; wave barrier
	s_and_saveexec_b64 s[36:37], s[38:39]
	s_cbranch_execz .LBB1769_271
; %bb.270:                              ;   in Loop: Header=BB1769_237 Depth=2
	v_bcnt_u32_b32 v5, v20, 0
	v_bcnt_u32_b32 v5, v21, v5
	s_waitcnt lgkmcnt(0)
	v_add_u32_e32 v5, v118, v5
	ds_write_b32 v119, v5
.LBB1769_271:                           ;   in Loop: Header=BB1769_237 Depth=2
	s_or_b64 exec, exec, s[36:37]
	v_cmp_gt_i16_e32 vcc, 0, v23
	v_cndmask_b32_e64 v5, v66, 0, vcc
	v_xor_b32_e32 v121, v5, v23
	v_cmp_ne_u16_e32 vcc, s68, v121
	v_cndmask_b32_e32 v5, v66, v121, vcc
	v_lshrrev_b32_sdwa v5, s77, v5 dst_sel:DWORD dst_unused:UNUSED_PAD src0_sel:DWORD src1_sel:WORD_0
	v_and_b32_e32 v20, s78, v5
	v_mul_u32_u24_e32 v5, 5, v20
	v_add_lshl_u32 v5, v5, v92, 2
	; wave barrier
	v_add_u32_e32 v123, 0x410, v5
	ds_read_b32 v122, v5 offset:1040
	v_and_b32_e32 v5, 1, v20
	v_add_co_u32_e32 v21, vcc, -1, v5
	v_addc_co_u32_e64 v22, s[36:37], 0, -1, vcc
	v_cmp_ne_u32_e32 vcc, 0, v5
	v_xor_b32_e32 v5, vcc_hi, v22
	v_and_b32_e32 v22, exec_hi, v5
	v_lshlrev_b32_e32 v5, 30, v20
	v_xor_b32_e32 v21, vcc_lo, v21
	v_cmp_gt_i64_e32 vcc, 0, v[4:5]
	v_not_b32_e32 v5, v5
	v_ashrrev_i32_e32 v5, 31, v5
	v_and_b32_e32 v21, exec_lo, v21
	v_xor_b32_e32 v23, vcc_hi, v5
	v_xor_b32_e32 v5, vcc_lo, v5
	v_and_b32_e32 v21, v21, v5
	v_lshlrev_b32_e32 v5, 29, v20
	v_cmp_gt_i64_e32 vcc, 0, v[4:5]
	v_not_b32_e32 v5, v5
	v_ashrrev_i32_e32 v5, 31, v5
	v_and_b32_e32 v22, v22, v23
	v_xor_b32_e32 v23, vcc_hi, v5
	v_xor_b32_e32 v5, vcc_lo, v5
	v_and_b32_e32 v21, v21, v5
	v_lshlrev_b32_e32 v5, 28, v20
	v_cmp_gt_i64_e32 vcc, 0, v[4:5]
	v_not_b32_e32 v5, v5
	v_ashrrev_i32_e32 v5, 31, v5
	v_and_b32_e32 v22, v22, v23
	;; [unrolled: 8-line block ×5, first 2 shown]
	v_xor_b32_e32 v23, vcc_hi, v5
	v_xor_b32_e32 v5, vcc_lo, v5
	v_and_b32_e32 v22, v22, v23
	v_and_b32_e32 v23, v21, v5
	v_lshlrev_b32_e32 v5, 24, v20
	v_cmp_gt_i64_e32 vcc, 0, v[4:5]
	v_not_b32_e32 v5, v5
	v_ashrrev_i32_e32 v5, 31, v5
	v_xor_b32_e32 v20, vcc_hi, v5
	v_xor_b32_e32 v5, vcc_lo, v5
	v_and_b32_e32 v21, v22, v20
	v_and_b32_e32 v20, v23, v5
	v_mbcnt_lo_u32_b32 v5, v20, 0
	v_mbcnt_hi_u32_b32 v124, v21, v5
	v_cmp_eq_u32_e32 vcc, 0, v124
	v_cmp_ne_u64_e64 s[36:37], 0, v[20:21]
	s_and_b64 s[38:39], s[36:37], vcc
	; wave barrier
	s_and_saveexec_b64 s[36:37], s[38:39]
	s_cbranch_execz .LBB1769_273
; %bb.272:                              ;   in Loop: Header=BB1769_237 Depth=2
	v_bcnt_u32_b32 v5, v20, 0
	v_bcnt_u32_b32 v5, v21, v5
	s_waitcnt lgkmcnt(0)
	v_add_u32_e32 v5, v122, v5
	ds_write_b32 v123, v5
.LBB1769_273:                           ;   in Loop: Header=BB1769_237 Depth=2
	s_or_b64 exec, exec, s[36:37]
	; wave barrier
	s_waitcnt lgkmcnt(0)
	s_barrier
	ds_read_b32 v5, v41 offset:1040
	ds_read2_b32 v[22:23], v43 offset0:1 offset1:2
	ds_read2_b32 v[20:21], v43 offset0:3 offset1:4
	s_waitcnt lgkmcnt(1)
	v_add3_u32 v125, v22, v5, v23
	s_waitcnt lgkmcnt(0)
	v_add3_u32 v21, v125, v20, v21
	s_nop 1
	v_mov_b32_dpp v125, v21 row_shr:1 row_mask:0xf bank_mask:0xf
	v_cndmask_b32_e64 v125, v125, 0, s[16:17]
	v_add_u32_e32 v21, v125, v21
	s_nop 1
	v_mov_b32_dpp v125, v21 row_shr:2 row_mask:0xf bank_mask:0xf
	v_cndmask_b32_e64 v125, 0, v125, s[18:19]
	v_add_u32_e32 v21, v21, v125
	s_nop 1
	v_mov_b32_dpp v125, v21 row_shr:4 row_mask:0xf bank_mask:0xf
	v_cndmask_b32_e64 v125, 0, v125, s[20:21]
	v_add_u32_e32 v21, v21, v125
	s_nop 1
	v_mov_b32_dpp v125, v21 row_shr:8 row_mask:0xf bank_mask:0xf
	v_cndmask_b32_e64 v125, 0, v125, s[22:23]
	v_add_u32_e32 v21, v21, v125
	s_nop 1
	v_mov_b32_dpp v125, v21 row_bcast:15 row_mask:0xf bank_mask:0xf
	v_cndmask_b32_e64 v125, v125, 0, s[24:25]
	v_add_u32_e32 v21, v21, v125
	s_nop 1
	v_mov_b32_dpp v125, v21 row_bcast:31 row_mask:0xf bank_mask:0xf
	v_cndmask_b32_e64 v125, 0, v125, s[26:27]
	v_add_u32_e32 v21, v21, v125
	s_and_saveexec_b64 s[36:37], s[6:7]
	s_cbranch_execz .LBB1769_275
; %bb.274:                              ;   in Loop: Header=BB1769_237 Depth=2
	ds_write_b32 v34, v21 offset:1024
.LBB1769_275:                           ;   in Loop: Header=BB1769_237 Depth=2
	s_or_b64 exec, exec, s[36:37]
	s_waitcnt lgkmcnt(0)
	s_barrier
	s_and_saveexec_b64 s[36:37], s[8:9]
	s_cbranch_execz .LBB1769_277
; %bb.276:                              ;   in Loop: Header=BB1769_237 Depth=2
	ds_read_b32 v125, v44 offset:1024
	s_waitcnt lgkmcnt(0)
	s_nop 0
	v_mov_b32_dpp v126, v125 row_shr:1 row_mask:0xf bank_mask:0xf
	v_cndmask_b32_e64 v126, v126, 0, s[30:31]
	v_add_u32_e32 v125, v126, v125
	s_nop 1
	v_mov_b32_dpp v126, v125 row_shr:2 row_mask:0xf bank_mask:0xf
	v_cndmask_b32_e64 v126, 0, v126, s[34:35]
	v_add_u32_e32 v125, v125, v126
	ds_write_b32 v44, v125 offset:1024
.LBB1769_277:                           ;   in Loop: Header=BB1769_237 Depth=2
	s_or_b64 exec, exec, s[36:37]
	v_mov_b32_e32 v125, 0
	s_waitcnt lgkmcnt(0)
	s_barrier
	s_and_saveexec_b64 s[36:37], s[10:11]
	s_cbranch_execz .LBB1769_279
; %bb.278:                              ;   in Loop: Header=BB1769_237 Depth=2
	ds_read_b32 v125, v34 offset:1020
.LBB1769_279:                           ;   in Loop: Header=BB1769_237 Depth=2
	s_or_b64 exec, exec, s[36:37]
	s_waitcnt lgkmcnt(0)
	v_add_u32_e32 v21, v125, v21
	ds_bpermute_b32 v21, v69, v21
	s_waitcnt lgkmcnt(0)
	v_cndmask_b32_e64 v21, v21, v125, s[28:29]
	v_cndmask_b32_e64 v21, v21, 0, s[12:13]
	v_add_u32_e32 v5, v21, v5
	ds_write_b32 v41, v21 offset:1040
	v_add_u32_e32 v21, v5, v22
	v_add_u32_e32 v22, v21, v23
	ds_write2_b32 v43, v5, v21 offset0:1 offset1:2
	v_add_u32_e32 v5, v22, v20
	ds_write2_b32 v43, v22, v5 offset0:3 offset1:4
	s_waitcnt lgkmcnt(0)
	s_barrier
	ds_read_b32 v20, v99
	ds_read_b32 v21, v103
	;; [unrolled: 1-line block ×8, first 2 shown]
	ds_read_b32 v99, v41 offset:1040
	v_mov_b32_e32 v5, 0x800
	s_and_saveexec_b64 s[36:37], s[14:15]
	s_cbranch_execz .LBB1769_281
; %bb.280:                              ;   in Loop: Header=BB1769_237 Depth=2
	ds_read_b32 v5, v41 offset:1060
.LBB1769_281:                           ;   in Loop: Header=BB1769_237 Depth=2
	s_or_b64 exec, exec, s[36:37]
	s_waitcnt lgkmcnt(0)
	s_barrier
	s_and_saveexec_b64 s[36:37], s[4:5]
	s_cbranch_execz .LBB1769_283
; %bb.282:                              ;   in Loop: Header=BB1769_237 Depth=2
	ds_read_b32 v103, v3
	s_waitcnt lgkmcnt(0)
	v_sub_u32_e32 v99, v103, v99
	ds_write_b32 v3, v99
.LBB1769_283:                           ;   in Loop: Header=BB1769_237 Depth=2
	s_or_b64 exec, exec, s[36:37]
	v_add_u32_e32 v103, v95, v96
	v_add3_u32 v100, v100, v98, v20
	v_lshlrev_b32_e32 v20, 1, v103
	v_add3_u32 v99, v105, v102, v21
	ds_write_b16 v20, v94 offset:1024
	v_lshlrev_b32_e32 v20, 1, v100
	v_add3_u32 v98, v110, v107, v22
	ds_write_b16 v20, v97 offset:1024
	;; [unrolled: 3-line block ×6, first 2 shown]
	v_lshlrev_b32_e32 v20, 1, v23
	ds_write_b16 v20, v117 offset:1024
	v_lshlrev_b32_e32 v20, 1, v22
	v_cmp_lt_u32_e32 vcc, v2, v93
	ds_write_b16 v20, v121 offset:1024
	s_waitcnt lgkmcnt(0)
	s_barrier
	s_and_saveexec_b64 s[38:39], vcc
	s_cbranch_execz .LBB1769_291
; %bb.284:                              ;   in Loop: Header=BB1769_237 Depth=2
	ds_read_u16 v20, v49 offset:1024
	v_mov_b32_e32 v21, v4
	v_mov_b32_e32 v97, s61
	s_waitcnt lgkmcnt(0)
	v_cmp_ne_u16_e64 s[36:37], s68, v20
	v_cndmask_b32_e64 v94, v66, v20, s[36:37]
	v_lshrrev_b32_sdwa v94, s77, v94 dst_sel:DWORD dst_unused:UNUSED_PAD src0_sel:DWORD src1_sel:WORD_0
	v_and_b32_e32 v94, s78, v94
	v_lshlrev_b32_e32 v94, 2, v94
	ds_read_b32 v94, v94
	v_cmp_gt_i16_e64 s[36:37], 0, v20
	v_cndmask_b32_e64 v101, v66, 0, s[36:37]
	v_xor_b32_e32 v101, v101, v20
	s_waitcnt lgkmcnt(0)
	v_add_u32_e32 v20, v94, v2
	v_lshlrev_b64 v[20:21], 1, v[20:21]
	v_add_co_u32_e64 v20, s[36:37], s60, v20
	v_addc_co_u32_e64 v21, s[36:37], v97, v21, s[36:37]
	global_store_short v[20:21], v101, off
	s_or_b64 exec, exec, s[38:39]
	v_cmp_lt_u32_e64 s[36:37], v24, v93
	s_and_saveexec_b64 s[40:41], s[36:37]
	s_cbranch_execnz .LBB1769_292
.LBB1769_285:                           ;   in Loop: Header=BB1769_237 Depth=2
	s_or_b64 exec, exec, s[40:41]
	v_cmp_lt_u32_e64 s[38:39], v25, v93
	s_and_saveexec_b64 s[42:43], s[38:39]
	s_cbranch_execz .LBB1769_293
.LBB1769_286:                           ;   in Loop: Header=BB1769_237 Depth=2
	ds_read_u16 v20, v50 offset:1024
	v_mov_b32_e32 v21, v4
	v_mov_b32_e32 v97, s61
	s_waitcnt lgkmcnt(0)
	v_cmp_ne_u16_e64 s[40:41], s68, v20
	v_cndmask_b32_e64 v94, v66, v20, s[40:41]
	v_lshrrev_b32_sdwa v94, s77, v94 dst_sel:DWORD dst_unused:UNUSED_PAD src0_sel:DWORD src1_sel:WORD_0
	v_and_b32_e32 v94, s78, v94
	v_lshlrev_b32_e32 v94, 2, v94
	ds_read_b32 v94, v94
	v_cmp_gt_i16_e64 s[40:41], 0, v20
	v_cndmask_b32_e64 v101, v66, 0, s[40:41]
	v_xor_b32_e32 v101, v101, v20
	s_waitcnt lgkmcnt(0)
	v_add_u32_e32 v20, v94, v25
	v_lshlrev_b64 v[20:21], 1, v[20:21]
	v_add_co_u32_e64 v20, s[40:41], s60, v20
	v_addc_co_u32_e64 v21, s[40:41], v97, v21, s[40:41]
	global_store_short v[20:21], v101, off
	s_or_b64 exec, exec, s[42:43]
	v_cmp_lt_u32_e64 s[40:41], v26, v93
	s_and_saveexec_b64 s[44:45], s[40:41]
	s_cbranch_execnz .LBB1769_294
.LBB1769_287:                           ;   in Loop: Header=BB1769_237 Depth=2
	s_or_b64 exec, exec, s[44:45]
	v_cmp_lt_u32_e64 s[42:43], v29, v93
	s_and_saveexec_b64 s[46:47], s[42:43]
	s_cbranch_execz .LBB1769_295
.LBB1769_288:                           ;   in Loop: Header=BB1769_237 Depth=2
	ds_read_u16 v20, v50 offset:2048
	v_mov_b32_e32 v21, v4
	v_mov_b32_e32 v97, s61
	s_waitcnt lgkmcnt(0)
	v_cmp_ne_u16_e64 s[44:45], s68, v20
	v_cndmask_b32_e64 v94, v66, v20, s[44:45]
	v_lshrrev_b32_sdwa v94, s77, v94 dst_sel:DWORD dst_unused:UNUSED_PAD src0_sel:DWORD src1_sel:WORD_0
	v_and_b32_e32 v94, s78, v94
	v_lshlrev_b32_e32 v94, 2, v94
	ds_read_b32 v94, v94
	v_cmp_gt_i16_e64 s[44:45], 0, v20
	v_cndmask_b32_e64 v101, v66, 0, s[44:45]
	v_xor_b32_e32 v101, v101, v20
	s_waitcnt lgkmcnt(0)
	v_add_u32_e32 v20, v94, v29
	v_lshlrev_b64 v[20:21], 1, v[20:21]
	v_add_co_u32_e64 v20, s[44:45], s60, v20
	v_addc_co_u32_e64 v21, s[44:45], v97, v21, s[44:45]
	global_store_short v[20:21], v101, off
	s_or_b64 exec, exec, s[46:47]
	v_cmp_lt_u32_e64 s[44:45], v30, v93
	s_and_saveexec_b64 s[48:49], s[44:45]
	s_cbranch_execnz .LBB1769_296
.LBB1769_289:                           ;   in Loop: Header=BB1769_237 Depth=2
	s_or_b64 exec, exec, s[48:49]
	v_cmp_lt_u32_e64 s[46:47], v31, v93
	s_and_saveexec_b64 s[52:53], s[46:47]
	s_cbranch_execz .LBB1769_297
.LBB1769_290:                           ;   in Loop: Header=BB1769_237 Depth=2
	ds_read_u16 v20, v50 offset:3072
	v_mov_b32_e32 v21, v4
	v_mov_b32_e32 v97, s61
	s_waitcnt lgkmcnt(0)
	v_cmp_ne_u16_e64 s[48:49], s68, v20
	v_cndmask_b32_e64 v94, v66, v20, s[48:49]
	v_lshrrev_b32_sdwa v94, s77, v94 dst_sel:DWORD dst_unused:UNUSED_PAD src0_sel:DWORD src1_sel:WORD_0
	v_and_b32_e32 v94, s78, v94
	v_lshlrev_b32_e32 v94, 2, v94
	ds_read_b32 v94, v94
	v_cmp_gt_i16_e64 s[48:49], 0, v20
	v_cndmask_b32_e64 v101, v66, 0, s[48:49]
	v_xor_b32_e32 v101, v101, v20
	s_waitcnt lgkmcnt(0)
	v_add_u32_e32 v20, v94, v31
	v_lshlrev_b64 v[20:21], 1, v[20:21]
	v_add_co_u32_e64 v20, s[48:49], s60, v20
	v_addc_co_u32_e64 v21, s[48:49], v97, v21, s[48:49]
	global_store_short v[20:21], v101, off
	s_or_b64 exec, exec, s[52:53]
	v_cmp_lt_u32_e64 s[48:49], v32, v93
	s_and_saveexec_b64 s[62:63], s[48:49]
	s_cbranch_execnz .LBB1769_298
	s_branch .LBB1769_299
.LBB1769_291:                           ;   in Loop: Header=BB1769_237 Depth=2
	s_or_b64 exec, exec, s[38:39]
	v_cmp_lt_u32_e64 s[36:37], v24, v93
	s_and_saveexec_b64 s[40:41], s[36:37]
	s_cbranch_execz .LBB1769_285
.LBB1769_292:                           ;   in Loop: Header=BB1769_237 Depth=2
	ds_read_u16 v20, v50 offset:512
	v_mov_b32_e32 v21, v4
	v_mov_b32_e32 v97, s61
	s_waitcnt lgkmcnt(0)
	v_cmp_ne_u16_e64 s[38:39], s68, v20
	v_cndmask_b32_e64 v94, v66, v20, s[38:39]
	v_lshrrev_b32_sdwa v94, s77, v94 dst_sel:DWORD dst_unused:UNUSED_PAD src0_sel:DWORD src1_sel:WORD_0
	v_and_b32_e32 v94, s78, v94
	v_lshlrev_b32_e32 v94, 2, v94
	ds_read_b32 v94, v94
	v_cmp_gt_i16_e64 s[38:39], 0, v20
	v_cndmask_b32_e64 v101, v66, 0, s[38:39]
	v_xor_b32_e32 v101, v101, v20
	s_waitcnt lgkmcnt(0)
	v_add_u32_e32 v20, v94, v24
	v_lshlrev_b64 v[20:21], 1, v[20:21]
	v_add_co_u32_e64 v20, s[38:39], s60, v20
	v_addc_co_u32_e64 v21, s[38:39], v97, v21, s[38:39]
	global_store_short v[20:21], v101, off
	s_or_b64 exec, exec, s[40:41]
	v_cmp_lt_u32_e64 s[38:39], v25, v93
	s_and_saveexec_b64 s[42:43], s[38:39]
	s_cbranch_execnz .LBB1769_286
.LBB1769_293:                           ;   in Loop: Header=BB1769_237 Depth=2
	s_or_b64 exec, exec, s[42:43]
	v_cmp_lt_u32_e64 s[40:41], v26, v93
	s_and_saveexec_b64 s[44:45], s[40:41]
	s_cbranch_execz .LBB1769_287
.LBB1769_294:                           ;   in Loop: Header=BB1769_237 Depth=2
	ds_read_u16 v20, v50 offset:1536
	v_mov_b32_e32 v21, v4
	v_mov_b32_e32 v97, s61
	s_waitcnt lgkmcnt(0)
	v_cmp_ne_u16_e64 s[42:43], s68, v20
	v_cndmask_b32_e64 v94, v66, v20, s[42:43]
	v_lshrrev_b32_sdwa v94, s77, v94 dst_sel:DWORD dst_unused:UNUSED_PAD src0_sel:DWORD src1_sel:WORD_0
	v_and_b32_e32 v94, s78, v94
	v_lshlrev_b32_e32 v94, 2, v94
	ds_read_b32 v94, v94
	v_cmp_gt_i16_e64 s[42:43], 0, v20
	v_cndmask_b32_e64 v101, v66, 0, s[42:43]
	v_xor_b32_e32 v101, v101, v20
	s_waitcnt lgkmcnt(0)
	v_add_u32_e32 v20, v94, v26
	v_lshlrev_b64 v[20:21], 1, v[20:21]
	v_add_co_u32_e64 v20, s[42:43], s60, v20
	v_addc_co_u32_e64 v21, s[42:43], v97, v21, s[42:43]
	global_store_short v[20:21], v101, off
	s_or_b64 exec, exec, s[44:45]
	v_cmp_lt_u32_e64 s[42:43], v29, v93
	s_and_saveexec_b64 s[46:47], s[42:43]
	s_cbranch_execnz .LBB1769_288
.LBB1769_295:                           ;   in Loop: Header=BB1769_237 Depth=2
	s_or_b64 exec, exec, s[46:47]
	v_cmp_lt_u32_e64 s[44:45], v30, v93
	s_and_saveexec_b64 s[48:49], s[44:45]
	s_cbranch_execz .LBB1769_289
.LBB1769_296:                           ;   in Loop: Header=BB1769_237 Depth=2
	ds_read_u16 v20, v50 offset:2560
	v_mov_b32_e32 v21, v4
	v_mov_b32_e32 v97, s61
	s_waitcnt lgkmcnt(0)
	v_cmp_ne_u16_e64 s[46:47], s68, v20
	v_cndmask_b32_e64 v94, v66, v20, s[46:47]
	v_lshrrev_b32_sdwa v94, s77, v94 dst_sel:DWORD dst_unused:UNUSED_PAD src0_sel:DWORD src1_sel:WORD_0
	v_and_b32_e32 v94, s78, v94
	v_lshlrev_b32_e32 v94, 2, v94
	ds_read_b32 v94, v94
	v_cmp_gt_i16_e64 s[46:47], 0, v20
	v_cndmask_b32_e64 v101, v66, 0, s[46:47]
	v_xor_b32_e32 v101, v101, v20
	s_waitcnt lgkmcnt(0)
	v_add_u32_e32 v20, v94, v30
	v_lshlrev_b64 v[20:21], 1, v[20:21]
	v_add_co_u32_e64 v20, s[46:47], s60, v20
	v_addc_co_u32_e64 v21, s[46:47], v97, v21, s[46:47]
	global_store_short v[20:21], v101, off
	s_or_b64 exec, exec, s[48:49]
	v_cmp_lt_u32_e64 s[46:47], v31, v93
	s_and_saveexec_b64 s[52:53], s[46:47]
	s_cbranch_execnz .LBB1769_290
.LBB1769_297:                           ;   in Loop: Header=BB1769_237 Depth=2
	s_or_b64 exec, exec, s[52:53]
	v_cmp_lt_u32_e64 s[48:49], v32, v93
	s_and_saveexec_b64 s[62:63], s[48:49]
	s_cbranch_execz .LBB1769_299
.LBB1769_298:                           ;   in Loop: Header=BB1769_237 Depth=2
	ds_read_u16 v20, v50 offset:3584
	v_mov_b32_e32 v21, v4
	v_mov_b32_e32 v97, s61
	s_waitcnt lgkmcnt(0)
	v_cmp_ne_u16_e64 s[52:53], s68, v20
	v_cndmask_b32_e64 v94, v66, v20, s[52:53]
	v_lshrrev_b32_sdwa v94, s77, v94 dst_sel:DWORD dst_unused:UNUSED_PAD src0_sel:DWORD src1_sel:WORD_0
	v_and_b32_e32 v94, s78, v94
	v_lshlrev_b32_e32 v94, 2, v94
	ds_read_b32 v94, v94
	v_cmp_gt_i16_e64 s[52:53], 0, v20
	v_cndmask_b32_e64 v101, v66, 0, s[52:53]
	v_xor_b32_e32 v101, v101, v20
	s_waitcnt lgkmcnt(0)
	v_add_u32_e32 v20, v94, v32
	v_lshlrev_b64 v[20:21], 1, v[20:21]
	v_add_co_u32_e64 v20, s[52:53], s60, v20
	v_addc_co_u32_e64 v21, s[52:53], v97, v21, s[52:53]
	global_store_short v[20:21], v101, off
.LBB1769_299:                           ;   in Loop: Header=BB1769_237 Depth=2
	s_or_b64 exec, exec, s[62:63]
	s_lshl_b64 s[52:53], s[72:73], 3
	v_mov_b32_e32 v21, s53
	v_add_co_u32_e64 v20, s[52:53], s52, v77
	v_addc_co_u32_e64 v21, s[52:53], v79, v21, s[52:53]
	v_cmp_lt_u32_e64 s[52:53], v74, v93
	s_and_saveexec_b64 s[62:63], s[52:53]
	s_xor_b64 s[52:53], exec, s[62:63]
	s_cbranch_execz .LBB1769_315
; %bb.300:                              ;   in Loop: Header=BB1769_237 Depth=2
	global_load_dwordx2 v[18:19], v[20:21], off
	s_or_b64 exec, exec, s[52:53]
	v_cmp_lt_u32_e64 s[52:53], v81, v93
	s_and_saveexec_b64 s[62:63], s[52:53]
	s_cbranch_execnz .LBB1769_316
.LBB1769_301:                           ;   in Loop: Header=BB1769_237 Depth=2
	s_or_b64 exec, exec, s[62:63]
	v_cmp_lt_u32_e64 s[52:53], v82, v93
	s_and_saveexec_b64 s[62:63], s[52:53]
	s_cbranch_execz .LBB1769_317
.LBB1769_302:                           ;   in Loop: Header=BB1769_237 Depth=2
	global_load_dwordx2 v[14:15], v[20:21], off offset:1024
	s_or_b64 exec, exec, s[62:63]
	v_cmp_lt_u32_e64 s[52:53], v83, v93
	s_and_saveexec_b64 s[62:63], s[52:53]
	s_cbranch_execnz .LBB1769_318
.LBB1769_303:                           ;   in Loop: Header=BB1769_237 Depth=2
	s_or_b64 exec, exec, s[62:63]
	v_cmp_lt_u32_e64 s[52:53], v84, v93
	s_and_saveexec_b64 s[62:63], s[52:53]
	s_cbranch_execz .LBB1769_319
.LBB1769_304:                           ;   in Loop: Header=BB1769_237 Depth=2
	global_load_dwordx2 v[10:11], v[20:21], off offset:2048
	s_or_b64 exec, exec, s[62:63]
	v_cmp_lt_u32_e64 s[52:53], v85, v93
	s_and_saveexec_b64 s[62:63], s[52:53]
	s_cbranch_execnz .LBB1769_320
.LBB1769_305:                           ;   in Loop: Header=BB1769_237 Depth=2
	s_or_b64 exec, exec, s[62:63]
	v_cmp_lt_u32_e64 s[52:53], v86, v93
	s_and_saveexec_b64 s[62:63], s[52:53]
	s_cbranch_execz .LBB1769_321
.LBB1769_306:                           ;   in Loop: Header=BB1769_237 Depth=2
	global_load_dwordx2 v[6:7], v[20:21], off offset:3072
	s_or_b64 exec, exec, s[62:63]
	v_cmp_lt_u32_e64 s[52:53], v87, v93
	s_and_saveexec_b64 s[62:63], s[52:53]
	s_cbranch_execnz .LBB1769_322
.LBB1769_307:                           ;   in Loop: Header=BB1769_237 Depth=2
	s_or_b64 exec, exec, s[62:63]
	s_and_saveexec_b64 s[62:63], vcc
	s_cbranch_execz .LBB1769_323
.LBB1769_308:                           ;   in Loop: Header=BB1769_237 Depth=2
	ds_read_u16 v20, v49 offset:1024
	s_waitcnt lgkmcnt(0)
	v_cmp_ne_u16_e64 s[52:53], s68, v20
	v_cndmask_b32_e64 v20, v66, v20, s[52:53]
	v_lshrrev_b32_sdwa v20, s77, v20 dst_sel:DWORD dst_unused:UNUSED_PAD src0_sel:DWORD src1_sel:WORD_0
	v_and_b32_e32 v80, s78, v20
	s_or_b64 exec, exec, s[62:63]
	s_and_saveexec_b64 s[62:63], s[36:37]
	s_cbranch_execnz .LBB1769_324
.LBB1769_309:                           ;   in Loop: Header=BB1769_237 Depth=2
	s_or_b64 exec, exec, s[62:63]
	s_and_saveexec_b64 s[62:63], s[38:39]
	s_cbranch_execz .LBB1769_325
.LBB1769_310:                           ;   in Loop: Header=BB1769_237 Depth=2
	ds_read_u16 v20, v50 offset:1024
	s_waitcnt lgkmcnt(0)
	v_cmp_ne_u16_e64 s[52:53], s68, v20
	v_cndmask_b32_e64 v20, v66, v20, s[52:53]
	v_lshrrev_b32_sdwa v20, s77, v20 dst_sel:DWORD dst_unused:UNUSED_PAD src0_sel:DWORD src1_sel:WORD_0
	v_and_b32_e32 v76, s78, v20
	s_or_b64 exec, exec, s[62:63]
	s_and_saveexec_b64 s[62:63], s[40:41]
	s_cbranch_execnz .LBB1769_326
.LBB1769_311:                           ;   in Loop: Header=BB1769_237 Depth=2
	s_or_b64 exec, exec, s[62:63]
	s_and_saveexec_b64 s[62:63], s[42:43]
	s_cbranch_execz .LBB1769_327
.LBB1769_312:                           ;   in Loop: Header=BB1769_237 Depth=2
	ds_read_u16 v20, v50 offset:2048
	s_waitcnt lgkmcnt(0)
	v_cmp_ne_u16_e64 s[52:53], s68, v20
	v_cndmask_b32_e64 v20, v66, v20, s[52:53]
	v_lshrrev_b32_sdwa v20, s77, v20 dst_sel:DWORD dst_unused:UNUSED_PAD src0_sel:DWORD src1_sel:WORD_0
	v_and_b32_e32 v73, s78, v20
	s_or_b64 exec, exec, s[62:63]
	s_and_saveexec_b64 s[62:63], s[44:45]
	s_cbranch_execnz .LBB1769_328
.LBB1769_313:                           ;   in Loop: Header=BB1769_237 Depth=2
	s_or_b64 exec, exec, s[62:63]
	s_and_saveexec_b64 s[62:63], s[46:47]
	s_cbranch_execz .LBB1769_329
.LBB1769_314:                           ;   in Loop: Header=BB1769_237 Depth=2
	ds_read_u16 v20, v50 offset:3072
	s_waitcnt lgkmcnt(0)
	v_cmp_ne_u16_e64 s[52:53], s68, v20
	v_cndmask_b32_e64 v20, v66, v20, s[52:53]
	v_lshrrev_b32_sdwa v20, s77, v20 dst_sel:DWORD dst_unused:UNUSED_PAD src0_sel:DWORD src1_sel:WORD_0
	v_and_b32_e32 v71, s78, v20
	s_or_b64 exec, exec, s[62:63]
	s_and_saveexec_b64 s[62:63], s[48:49]
	s_cbranch_execnz .LBB1769_330
	s_branch .LBB1769_331
.LBB1769_315:                           ;   in Loop: Header=BB1769_237 Depth=2
	s_or_b64 exec, exec, s[52:53]
	v_cmp_lt_u32_e64 s[52:53], v81, v93
	s_and_saveexec_b64 s[62:63], s[52:53]
	s_cbranch_execz .LBB1769_301
.LBB1769_316:                           ;   in Loop: Header=BB1769_237 Depth=2
	global_load_dwordx2 v[16:17], v[20:21], off offset:512
	s_or_b64 exec, exec, s[62:63]
	v_cmp_lt_u32_e64 s[52:53], v82, v93
	s_and_saveexec_b64 s[62:63], s[52:53]
	s_cbranch_execnz .LBB1769_302
.LBB1769_317:                           ;   in Loop: Header=BB1769_237 Depth=2
	s_or_b64 exec, exec, s[62:63]
	v_cmp_lt_u32_e64 s[52:53], v83, v93
	s_and_saveexec_b64 s[62:63], s[52:53]
	s_cbranch_execz .LBB1769_303
.LBB1769_318:                           ;   in Loop: Header=BB1769_237 Depth=2
	global_load_dwordx2 v[12:13], v[20:21], off offset:1536
	s_or_b64 exec, exec, s[62:63]
	v_cmp_lt_u32_e64 s[52:53], v84, v93
	s_and_saveexec_b64 s[62:63], s[52:53]
	s_cbranch_execnz .LBB1769_304
.LBB1769_319:                           ;   in Loop: Header=BB1769_237 Depth=2
	s_or_b64 exec, exec, s[62:63]
	v_cmp_lt_u32_e64 s[52:53], v85, v93
	s_and_saveexec_b64 s[62:63], s[52:53]
	s_cbranch_execz .LBB1769_305
.LBB1769_320:                           ;   in Loop: Header=BB1769_237 Depth=2
	global_load_dwordx2 v[8:9], v[20:21], off offset:2560
	s_or_b64 exec, exec, s[62:63]
	v_cmp_lt_u32_e64 s[52:53], v86, v93
	s_and_saveexec_b64 s[62:63], s[52:53]
	s_cbranch_execnz .LBB1769_306
.LBB1769_321:                           ;   in Loop: Header=BB1769_237 Depth=2
	s_or_b64 exec, exec, s[62:63]
	v_cmp_lt_u32_e64 s[52:53], v87, v93
	s_and_saveexec_b64 s[62:63], s[52:53]
	s_cbranch_execz .LBB1769_307
.LBB1769_322:                           ;   in Loop: Header=BB1769_237 Depth=2
	global_load_dwordx2 v[0:1], v[20:21], off offset:3584
	s_or_b64 exec, exec, s[62:63]
	s_and_saveexec_b64 s[62:63], vcc
	s_cbranch_execnz .LBB1769_308
.LBB1769_323:                           ;   in Loop: Header=BB1769_237 Depth=2
	s_or_b64 exec, exec, s[62:63]
	s_and_saveexec_b64 s[62:63], s[36:37]
	s_cbranch_execz .LBB1769_309
.LBB1769_324:                           ;   in Loop: Header=BB1769_237 Depth=2
	ds_read_u16 v20, v50 offset:512
	s_waitcnt lgkmcnt(0)
	v_cmp_ne_u16_e64 s[52:53], s68, v20
	v_cndmask_b32_e64 v20, v66, v20, s[52:53]
	v_lshrrev_b32_sdwa v20, s77, v20 dst_sel:DWORD dst_unused:UNUSED_PAD src0_sel:DWORD src1_sel:WORD_0
	v_and_b32_e32 v78, s78, v20
	s_or_b64 exec, exec, s[62:63]
	s_and_saveexec_b64 s[62:63], s[38:39]
	s_cbranch_execnz .LBB1769_310
.LBB1769_325:                           ;   in Loop: Header=BB1769_237 Depth=2
	s_or_b64 exec, exec, s[62:63]
	s_and_saveexec_b64 s[62:63], s[40:41]
	s_cbranch_execz .LBB1769_311
.LBB1769_326:                           ;   in Loop: Header=BB1769_237 Depth=2
	ds_read_u16 v20, v50 offset:1536
	s_waitcnt lgkmcnt(0)
	v_cmp_ne_u16_e64 s[52:53], s68, v20
	v_cndmask_b32_e64 v20, v66, v20, s[52:53]
	v_lshrrev_b32_sdwa v20, s77, v20 dst_sel:DWORD dst_unused:UNUSED_PAD src0_sel:DWORD src1_sel:WORD_0
	v_and_b32_e32 v75, s78, v20
	s_or_b64 exec, exec, s[62:63]
	s_and_saveexec_b64 s[62:63], s[42:43]
	s_cbranch_execnz .LBB1769_312
.LBB1769_327:                           ;   in Loop: Header=BB1769_237 Depth=2
	s_or_b64 exec, exec, s[62:63]
	s_and_saveexec_b64 s[62:63], s[44:45]
	s_cbranch_execz .LBB1769_313
.LBB1769_328:                           ;   in Loop: Header=BB1769_237 Depth=2
	ds_read_u16 v20, v50 offset:2560
	s_waitcnt lgkmcnt(0)
	v_cmp_ne_u16_e64 s[52:53], s68, v20
	v_cndmask_b32_e64 v20, v66, v20, s[52:53]
	v_lshrrev_b32_sdwa v20, s77, v20 dst_sel:DWORD dst_unused:UNUSED_PAD src0_sel:DWORD src1_sel:WORD_0
	v_and_b32_e32 v72, s78, v20
	s_or_b64 exec, exec, s[62:63]
	s_and_saveexec_b64 s[62:63], s[46:47]
	s_cbranch_execnz .LBB1769_314
.LBB1769_329:                           ;   in Loop: Header=BB1769_237 Depth=2
	s_or_b64 exec, exec, s[62:63]
	s_and_saveexec_b64 s[62:63], s[48:49]
	s_cbranch_execz .LBB1769_331
.LBB1769_330:                           ;   in Loop: Header=BB1769_237 Depth=2
	ds_read_u16 v20, v50 offset:3584
	s_waitcnt lgkmcnt(0)
	v_cmp_ne_u16_e64 s[52:53], s68, v20
	v_cndmask_b32_e64 v20, v66, v20, s[52:53]
	v_lshrrev_b32_sdwa v20, s77, v20 dst_sel:DWORD dst_unused:UNUSED_PAD src0_sel:DWORD src1_sel:WORD_0
	v_and_b32_e32 v70, s78, v20
.LBB1769_331:                           ;   in Loop: Header=BB1769_237 Depth=2
	s_or_b64 exec, exec, s[62:63]
	v_lshlrev_b32_e32 v20, 3, v103
	s_barrier
	s_waitcnt vmcnt(0)
	ds_write_b64 v20, v[18:19] offset:1024
	v_lshlrev_b32_e32 v20, 3, v100
	ds_write_b64 v20, v[16:17] offset:1024
	v_lshlrev_b32_e32 v20, 3, v99
	;; [unrolled: 2-line block ×7, first 2 shown]
	ds_write_b64 v20, v[0:1] offset:1024
	s_waitcnt lgkmcnt(0)
	s_barrier
	s_and_saveexec_b64 s[52:53], vcc
	s_cbranch_execz .LBB1769_339
; %bb.332:                              ;   in Loop: Header=BB1769_237 Depth=2
	v_lshlrev_b32_e32 v20, 2, v80
	ds_read_b32 v20, v20
	v_add_u32_e32 v22, v49, v51
	ds_read_b64 v[22:23], v22 offset:1024
	v_mov_b32_e32 v21, v4
	v_mov_b32_e32 v93, s67
	s_waitcnt lgkmcnt(1)
	v_add_u32_e32 v20, v20, v2
	v_lshlrev_b64 v[20:21], 3, v[20:21]
	v_add_co_u32_e32 v20, vcc, s66, v20
	v_addc_co_u32_e32 v21, vcc, v93, v21, vcc
	s_waitcnt lgkmcnt(0)
	global_store_dwordx2 v[20:21], v[22:23], off
	s_or_b64 exec, exec, s[52:53]
	s_and_saveexec_b64 s[52:53], s[36:37]
	s_cbranch_execnz .LBB1769_340
.LBB1769_333:                           ;   in Loop: Header=BB1769_237 Depth=2
	s_or_b64 exec, exec, s[52:53]
	s_and_saveexec_b64 s[36:37], s[38:39]
	s_cbranch_execz .LBB1769_341
.LBB1769_334:                           ;   in Loop: Header=BB1769_237 Depth=2
	v_lshlrev_b32_e32 v20, 2, v76
	ds_read_b32 v22, v20
	v_add_u32_e32 v20, v50, v51
	ds_read_b64 v[20:21], v20 offset:4096
	v_mov_b32_e32 v23, v4
	v_mov_b32_e32 v93, s67
	s_waitcnt lgkmcnt(1)
	v_add_u32_e32 v22, v22, v25
	v_lshlrev_b64 v[22:23], 3, v[22:23]
	v_add_co_u32_e32 v22, vcc, s66, v22
	v_addc_co_u32_e32 v23, vcc, v93, v23, vcc
	s_waitcnt lgkmcnt(0)
	global_store_dwordx2 v[22:23], v[20:21], off
	s_or_b64 exec, exec, s[36:37]
	s_and_saveexec_b64 s[36:37], s[40:41]
	s_cbranch_execnz .LBB1769_342
.LBB1769_335:                           ;   in Loop: Header=BB1769_237 Depth=2
	s_or_b64 exec, exec, s[36:37]
	s_and_saveexec_b64 s[36:37], s[42:43]
	s_cbranch_execz .LBB1769_343
.LBB1769_336:                           ;   in Loop: Header=BB1769_237 Depth=2
	v_lshlrev_b32_e32 v20, 2, v73
	ds_read_b32 v22, v20
	v_add_u32_e32 v20, v50, v51
	ds_read_b64 v[20:21], v20 offset:8192
	v_mov_b32_e32 v23, v4
	v_mov_b32_e32 v93, s67
	s_waitcnt lgkmcnt(1)
	v_add_u32_e32 v22, v22, v29
	v_lshlrev_b64 v[22:23], 3, v[22:23]
	v_add_co_u32_e32 v22, vcc, s66, v22
	v_addc_co_u32_e32 v23, vcc, v93, v23, vcc
	s_waitcnt lgkmcnt(0)
	global_store_dwordx2 v[22:23], v[20:21], off
	s_or_b64 exec, exec, s[36:37]
	s_and_saveexec_b64 s[36:37], s[44:45]
	s_cbranch_execnz .LBB1769_344
.LBB1769_337:                           ;   in Loop: Header=BB1769_237 Depth=2
	s_or_b64 exec, exec, s[36:37]
	s_and_saveexec_b64 s[36:37], s[46:47]
	s_cbranch_execz .LBB1769_345
.LBB1769_338:                           ;   in Loop: Header=BB1769_237 Depth=2
	v_lshlrev_b32_e32 v20, 2, v71
	ds_read_b32 v22, v20
	v_add_u32_e32 v20, v50, v51
	ds_read_b64 v[20:21], v20 offset:12288
	v_mov_b32_e32 v23, v4
	v_mov_b32_e32 v93, s67
	s_waitcnt lgkmcnt(1)
	v_add_u32_e32 v22, v22, v31
	v_lshlrev_b64 v[22:23], 3, v[22:23]
	v_add_co_u32_e32 v22, vcc, s66, v22
	v_addc_co_u32_e32 v23, vcc, v93, v23, vcc
	s_waitcnt lgkmcnt(0)
	global_store_dwordx2 v[22:23], v[20:21], off
	s_or_b64 exec, exec, s[36:37]
	s_and_saveexec_b64 s[36:37], s[48:49]
	s_cbranch_execnz .LBB1769_346
	s_branch .LBB1769_347
.LBB1769_339:                           ;   in Loop: Header=BB1769_237 Depth=2
	s_or_b64 exec, exec, s[52:53]
	s_and_saveexec_b64 s[52:53], s[36:37]
	s_cbranch_execz .LBB1769_333
.LBB1769_340:                           ;   in Loop: Header=BB1769_237 Depth=2
	v_lshlrev_b32_e32 v20, 2, v78
	ds_read_b32 v22, v20
	v_add_u32_e32 v20, v50, v51
	ds_read_b64 v[20:21], v20 offset:2048
	v_mov_b32_e32 v23, v4
	v_mov_b32_e32 v93, s67
	s_waitcnt lgkmcnt(1)
	v_add_u32_e32 v22, v22, v24
	v_lshlrev_b64 v[22:23], 3, v[22:23]
	v_add_co_u32_e32 v22, vcc, s66, v22
	v_addc_co_u32_e32 v23, vcc, v93, v23, vcc
	s_waitcnt lgkmcnt(0)
	global_store_dwordx2 v[22:23], v[20:21], off
	s_or_b64 exec, exec, s[52:53]
	s_and_saveexec_b64 s[36:37], s[38:39]
	s_cbranch_execnz .LBB1769_334
.LBB1769_341:                           ;   in Loop: Header=BB1769_237 Depth=2
	s_or_b64 exec, exec, s[36:37]
	s_and_saveexec_b64 s[36:37], s[40:41]
	s_cbranch_execz .LBB1769_335
.LBB1769_342:                           ;   in Loop: Header=BB1769_237 Depth=2
	v_lshlrev_b32_e32 v20, 2, v75
	ds_read_b32 v22, v20
	v_add_u32_e32 v20, v50, v51
	ds_read_b64 v[20:21], v20 offset:6144
	v_mov_b32_e32 v23, v4
	v_mov_b32_e32 v93, s67
	s_waitcnt lgkmcnt(1)
	v_add_u32_e32 v22, v22, v26
	v_lshlrev_b64 v[22:23], 3, v[22:23]
	v_add_co_u32_e32 v22, vcc, s66, v22
	v_addc_co_u32_e32 v23, vcc, v93, v23, vcc
	s_waitcnt lgkmcnt(0)
	global_store_dwordx2 v[22:23], v[20:21], off
	s_or_b64 exec, exec, s[36:37]
	s_and_saveexec_b64 s[36:37], s[42:43]
	s_cbranch_execnz .LBB1769_336
.LBB1769_343:                           ;   in Loop: Header=BB1769_237 Depth=2
	s_or_b64 exec, exec, s[36:37]
	s_and_saveexec_b64 s[36:37], s[44:45]
	s_cbranch_execz .LBB1769_337
.LBB1769_344:                           ;   in Loop: Header=BB1769_237 Depth=2
	v_lshlrev_b32_e32 v20, 2, v72
	ds_read_b32 v22, v20
	v_add_u32_e32 v20, v50, v51
	ds_read_b64 v[20:21], v20 offset:10240
	v_mov_b32_e32 v23, v4
	v_mov_b32_e32 v93, s67
	s_waitcnt lgkmcnt(1)
	v_add_u32_e32 v22, v22, v30
	v_lshlrev_b64 v[22:23], 3, v[22:23]
	v_add_co_u32_e32 v22, vcc, s66, v22
	v_addc_co_u32_e32 v23, vcc, v93, v23, vcc
	s_waitcnt lgkmcnt(0)
	global_store_dwordx2 v[22:23], v[20:21], off
	s_or_b64 exec, exec, s[36:37]
	s_and_saveexec_b64 s[36:37], s[46:47]
	s_cbranch_execnz .LBB1769_338
.LBB1769_345:                           ;   in Loop: Header=BB1769_237 Depth=2
	s_or_b64 exec, exec, s[36:37]
	s_and_saveexec_b64 s[36:37], s[48:49]
	s_cbranch_execz .LBB1769_347
.LBB1769_346:                           ;   in Loop: Header=BB1769_237 Depth=2
	v_lshlrev_b32_e32 v20, 2, v70
	ds_read_b32 v22, v20
	v_add_u32_e32 v20, v50, v51
	ds_read_b64 v[20:21], v20 offset:14336
	v_mov_b32_e32 v23, v4
	v_mov_b32_e32 v93, s67
	s_waitcnt lgkmcnt(1)
	v_add_u32_e32 v22, v22, v32
	v_lshlrev_b64 v[22:23], 3, v[22:23]
	v_add_co_u32_e32 v22, vcc, s66, v22
	v_addc_co_u32_e32 v23, vcc, v93, v23, vcc
	s_waitcnt lgkmcnt(0)
	global_store_dwordx2 v[22:23], v[20:21], off
.LBB1769_347:                           ;   in Loop: Header=BB1769_237 Depth=2
	s_or_b64 exec, exec, s[36:37]
	s_barrier
	s_and_saveexec_b64 s[36:37], s[4:5]
	s_cbranch_execz .LBB1769_236
; %bb.348:                              ;   in Loop: Header=BB1769_237 Depth=2
	ds_read_b32 v20, v3
	s_waitcnt lgkmcnt(0)
	v_add_u32_e32 v5, v20, v5
	ds_write_b32 v3, v5
	s_branch .LBB1769_236
.LBB1769_349:                           ;   in Loop: Header=BB1769_17 Depth=1
	s_waitcnt lgkmcnt(0)
	s_barrier
.LBB1769_350:                           ;   in Loop: Header=BB1769_17 Depth=1
	s_mov_b64 s[16:17], 0
.LBB1769_351:                           ;   in Loop: Header=BB1769_17 Depth=1
	s_andn2_b64 vcc, exec, s[16:17]
	s_cbranch_vccnz .LBB1769_16
; %bb.352:                              ;   in Loop: Header=BB1769_17 Depth=1
	s_mov_b64 s[16:17], -1
	s_and_b64 vcc, exec, s[54:55]
	s_cbranch_vccz .LBB1769_518
; %bb.353:                              ;   in Loop: Header=BB1769_17 Depth=1
	s_mov_b32 s22, s71
	s_mov_b32 s72, s51
	s_barrier
	s_waitcnt lgkmcnt(0)
                                        ; implicit-def: $vgpr12
                                        ; implicit-def: $vgpr5
                                        ; implicit-def: $vgpr6
                                        ; implicit-def: $vgpr7
                                        ; implicit-def: $vgpr8
                                        ; implicit-def: $vgpr9
                                        ; implicit-def: $vgpr10
                                        ; implicit-def: $vgpr11
	s_branch .LBB1769_355
.LBB1769_354:                           ;   in Loop: Header=BB1769_355 Depth=2
	s_or_b64 exec, exec, s[16:17]
	s_addk_i32 s22, 0xf800
	s_cmp_ge_u32 s23, s76
	s_mov_b32 s72, s23
	s_cbranch_scc1 .LBB1769_393
.LBB1769_355:                           ;   Parent Loop BB1769_17 Depth=1
                                        ; =>  This Inner Loop Header: Depth=2
	s_add_i32 s23, s72, 0x800
	s_cmp_gt_u32 s23, s76
	s_cbranch_scc1 .LBB1769_358
; %bb.356:                              ;   in Loop: Header=BB1769_355 Depth=2
	s_lshl_b64 s[16:17], s[72:73], 1
	v_mov_b32_e32 v1, s17
	v_add_co_u32_e32 v0, vcc, s16, v58
	v_addc_co_u32_e32 v1, vcc, v59, v1, vcc
	global_load_ushort v14, v[0:1], off
	global_load_ushort v15, v[0:1], off offset:512
	global_load_ushort v16, v[0:1], off offset:1024
	;; [unrolled: 1-line block ×6, first 2 shown]
	v_add_co_u32_e32 v0, vcc, 0xe00, v0
	v_addc_co_u32_e32 v1, vcc, 0, v1, vcc
	s_mov_b64 s[16:17], -1
	s_movk_i32 s24, 0x800
	s_cbranch_execz .LBB1769_359
; %bb.357:                              ;   in Loop: Header=BB1769_355 Depth=2
                                        ; implicit-def: $vgpr11
                                        ; implicit-def: $vgpr10
                                        ; implicit-def: $vgpr9
                                        ; implicit-def: $vgpr8
                                        ; implicit-def: $vgpr7
                                        ; implicit-def: $vgpr6
                                        ; implicit-def: $vgpr5
                                        ; implicit-def: $vgpr12
	v_mov_b32_e32 v13, s22
	s_and_saveexec_b64 s[18:19], s[16:17]
	s_cbranch_execnz .LBB1769_370
	s_branch .LBB1769_371
.LBB1769_358:                           ;   in Loop: Header=BB1769_355 Depth=2
	s_mov_b64 s[16:17], 0
                                        ; implicit-def: $sgpr24
                                        ; implicit-def: $vgpr14
                                        ; implicit-def: $vgpr15
                                        ; implicit-def: $vgpr16
                                        ; implicit-def: $vgpr17
                                        ; implicit-def: $vgpr18
                                        ; implicit-def: $vgpr19
                                        ; implicit-def: $vgpr20
                                        ; implicit-def: $vgpr0_vgpr1
.LBB1769_359:                           ;   in Loop: Header=BB1769_355 Depth=2
	s_lshl_b64 s[18:19], s[72:73], 1
	s_add_u32 s18, s56, s18
	s_addc_u32 s19, s57, s19
	v_cmp_gt_u32_e32 vcc, s22, v2
	s_and_saveexec_b64 s[20:21], vcc
	s_cbranch_execz .LBB1769_387
; %bb.360:                              ;   in Loop: Header=BB1769_355 Depth=2
	global_load_ushort v11, v65, s[18:19]
	s_or_b64 exec, exec, s[20:21]
	v_cmp_gt_u32_e32 vcc, s22, v24
	s_and_saveexec_b64 s[20:21], vcc
	s_cbranch_execnz .LBB1769_388
.LBB1769_361:                           ;   in Loop: Header=BB1769_355 Depth=2
	s_or_b64 exec, exec, s[20:21]
	v_cmp_gt_u32_e32 vcc, s22, v25
	s_and_saveexec_b64 s[20:21], vcc
	s_cbranch_execz .LBB1769_389
.LBB1769_362:                           ;   in Loop: Header=BB1769_355 Depth=2
	global_load_ushort v9, v65, s[18:19] offset:1024
	s_or_b64 exec, exec, s[20:21]
	v_cmp_gt_u32_e32 vcc, s22, v26
	s_and_saveexec_b64 s[20:21], vcc
	s_cbranch_execnz .LBB1769_390
.LBB1769_363:                           ;   in Loop: Header=BB1769_355 Depth=2
	s_or_b64 exec, exec, s[20:21]
	v_cmp_gt_u32_e32 vcc, s22, v29
	s_and_saveexec_b64 s[20:21], vcc
	s_cbranch_execz .LBB1769_391
.LBB1769_364:                           ;   in Loop: Header=BB1769_355 Depth=2
	global_load_ushort v7, v65, s[18:19] offset:2048
	s_or_b64 exec, exec, s[20:21]
	v_cmp_gt_u32_e32 vcc, s22, v30
	s_and_saveexec_b64 s[20:21], vcc
	s_cbranch_execnz .LBB1769_392
.LBB1769_365:                           ;   in Loop: Header=BB1769_355 Depth=2
	s_or_b64 exec, exec, s[20:21]
	v_cmp_gt_u32_e32 vcc, s22, v31
	s_and_saveexec_b64 s[20:21], vcc
	s_cbranch_execz .LBB1769_367
.LBB1769_366:                           ;   in Loop: Header=BB1769_355 Depth=2
	global_load_ushort v5, v65, s[18:19] offset:3072
.LBB1769_367:                           ;   in Loop: Header=BB1769_355 Depth=2
	s_or_b64 exec, exec, s[20:21]
	v_cmp_gt_u32_e32 vcc, s22, v32
                                        ; implicit-def: $sgpr24
                                        ; implicit-def: $vgpr0_vgpr1
	s_and_saveexec_b64 s[20:21], vcc
	s_cbranch_execz .LBB1769_369
; %bb.368:                              ;   in Loop: Header=BB1769_355 Depth=2
	v_mov_b32_e32 v0, s19
	v_add_co_u32_e32 v1, vcc, s18, v65
	s_waitcnt vmcnt(0)
	v_addc_co_u32_e32 v12, vcc, 0, v0, vcc
	v_add_co_u32_e32 v0, vcc, 0xe00, v1
	s_sub_i32 s24, s76, s72
	v_addc_co_u32_e32 v1, vcc, 0, v12, vcc
	s_or_b64 s[16:17], s[16:17], exec
                                        ; implicit-def: $vgpr12
.LBB1769_369:                           ;   in Loop: Header=BB1769_355 Depth=2
	s_or_b64 exec, exec, s[20:21]
	s_waitcnt vmcnt(0)
	v_mov_b32_e32 v14, v11
	v_mov_b32_e32 v15, v10
	;; [unrolled: 1-line block ×8, first 2 shown]
	s_and_saveexec_b64 s[18:19], s[16:17]
	s_cbranch_execz .LBB1769_371
.LBB1769_370:                           ;   in Loop: Header=BB1769_355 Depth=2
	global_load_ushort v12, v[0:1], off
	v_mov_b32_e32 v13, s24
	s_waitcnt vmcnt(1)
	v_mov_b32_e32 v5, v20
	v_mov_b32_e32 v6, v19
	;; [unrolled: 1-line block ×7, first 2 shown]
.LBB1769_371:                           ;   in Loop: Header=BB1769_355 Depth=2
	s_or_b64 exec, exec, s[18:19]
	v_cmp_lt_u32_e32 vcc, v2, v13
	s_and_saveexec_b64 s[16:17], vcc
	s_cbranch_execz .LBB1769_379
; %bb.372:                              ;   in Loop: Header=BB1769_355 Depth=2
	v_cmp_gt_i16_e32 vcc, 0, v11
	v_cndmask_b32_e64 v0, v66, 0, vcc
	v_xor_b32_e32 v0, v0, v11
	v_cmp_ne_u16_e32 vcc, s68, v0
	v_cndmask_b32_e32 v0, v66, v0, vcc
	v_lshrrev_b32_sdwa v0, s69, v0 dst_sel:DWORD dst_unused:UNUSED_PAD src0_sel:DWORD src1_sel:WORD_0
	v_and_b32_e32 v0, s78, v0
	v_lshl_or_b32 v0, v0, 4, v67
	ds_add_u32 v0, v64
	s_or_b64 exec, exec, s[16:17]
	v_cmp_lt_u32_e32 vcc, v24, v13
	s_and_saveexec_b64 s[16:17], vcc
	s_cbranch_execnz .LBB1769_380
.LBB1769_373:                           ;   in Loop: Header=BB1769_355 Depth=2
	s_or_b64 exec, exec, s[16:17]
	v_cmp_lt_u32_e32 vcc, v25, v13
	s_and_saveexec_b64 s[16:17], vcc
	s_cbranch_execz .LBB1769_381
.LBB1769_374:                           ;   in Loop: Header=BB1769_355 Depth=2
	v_cmp_gt_i16_e32 vcc, 0, v9
	v_cndmask_b32_e64 v0, v66, 0, vcc
	v_xor_b32_e32 v0, v0, v9
	v_cmp_ne_u16_e32 vcc, s68, v0
	v_cndmask_b32_e32 v0, v66, v0, vcc
	v_lshrrev_b32_sdwa v0, s69, v0 dst_sel:DWORD dst_unused:UNUSED_PAD src0_sel:DWORD src1_sel:WORD_0
	v_and_b32_e32 v0, s78, v0
	v_lshl_or_b32 v0, v0, 4, v67
	ds_add_u32 v0, v64
	s_or_b64 exec, exec, s[16:17]
	v_cmp_lt_u32_e32 vcc, v26, v13
	s_and_saveexec_b64 s[16:17], vcc
	s_cbranch_execnz .LBB1769_382
.LBB1769_375:                           ;   in Loop: Header=BB1769_355 Depth=2
	s_or_b64 exec, exec, s[16:17]
	v_cmp_lt_u32_e32 vcc, v29, v13
	s_and_saveexec_b64 s[16:17], vcc
	s_cbranch_execz .LBB1769_383
.LBB1769_376:                           ;   in Loop: Header=BB1769_355 Depth=2
	v_cmp_gt_i16_e32 vcc, 0, v7
	v_cndmask_b32_e64 v0, v66, 0, vcc
	v_xor_b32_e32 v0, v0, v7
	v_cmp_ne_u16_e32 vcc, s68, v0
	v_cndmask_b32_e32 v0, v66, v0, vcc
	v_lshrrev_b32_sdwa v0, s69, v0 dst_sel:DWORD dst_unused:UNUSED_PAD src0_sel:DWORD src1_sel:WORD_0
	v_and_b32_e32 v0, s78, v0
	v_lshl_or_b32 v0, v0, 4, v67
	ds_add_u32 v0, v64
	s_or_b64 exec, exec, s[16:17]
	v_cmp_lt_u32_e32 vcc, v30, v13
	s_and_saveexec_b64 s[16:17], vcc
	s_cbranch_execnz .LBB1769_384
.LBB1769_377:                           ;   in Loop: Header=BB1769_355 Depth=2
	s_or_b64 exec, exec, s[16:17]
	v_cmp_lt_u32_e32 vcc, v31, v13
	s_and_saveexec_b64 s[16:17], vcc
	s_cbranch_execz .LBB1769_385
.LBB1769_378:                           ;   in Loop: Header=BB1769_355 Depth=2
	v_cmp_gt_i16_e32 vcc, 0, v5
	v_cndmask_b32_e64 v0, v66, 0, vcc
	v_xor_b32_e32 v0, v0, v5
	v_cmp_ne_u16_e32 vcc, s68, v0
	v_cndmask_b32_e32 v0, v66, v0, vcc
	v_lshrrev_b32_sdwa v0, s69, v0 dst_sel:DWORD dst_unused:UNUSED_PAD src0_sel:DWORD src1_sel:WORD_0
	v_and_b32_e32 v0, s78, v0
	v_lshl_or_b32 v0, v0, 4, v67
	ds_add_u32 v0, v64
	s_or_b64 exec, exec, s[16:17]
	v_cmp_lt_u32_e32 vcc, v32, v13
	s_and_saveexec_b64 s[16:17], vcc
	s_cbranch_execz .LBB1769_354
	s_branch .LBB1769_386
.LBB1769_379:                           ;   in Loop: Header=BB1769_355 Depth=2
	s_or_b64 exec, exec, s[16:17]
	v_cmp_lt_u32_e32 vcc, v24, v13
	s_and_saveexec_b64 s[16:17], vcc
	s_cbranch_execz .LBB1769_373
.LBB1769_380:                           ;   in Loop: Header=BB1769_355 Depth=2
	v_cmp_gt_i16_e32 vcc, 0, v10
	v_cndmask_b32_e64 v0, v66, 0, vcc
	v_xor_b32_e32 v0, v0, v10
	v_cmp_ne_u16_e32 vcc, s68, v0
	v_cndmask_b32_e32 v0, v66, v0, vcc
	v_lshrrev_b32_sdwa v0, s69, v0 dst_sel:DWORD dst_unused:UNUSED_PAD src0_sel:DWORD src1_sel:WORD_0
	v_and_b32_e32 v0, s78, v0
	v_lshl_or_b32 v0, v0, 4, v67
	ds_add_u32 v0, v64
	s_or_b64 exec, exec, s[16:17]
	v_cmp_lt_u32_e32 vcc, v25, v13
	s_and_saveexec_b64 s[16:17], vcc
	s_cbranch_execnz .LBB1769_374
.LBB1769_381:                           ;   in Loop: Header=BB1769_355 Depth=2
	s_or_b64 exec, exec, s[16:17]
	v_cmp_lt_u32_e32 vcc, v26, v13
	s_and_saveexec_b64 s[16:17], vcc
	s_cbranch_execz .LBB1769_375
.LBB1769_382:                           ;   in Loop: Header=BB1769_355 Depth=2
	v_cmp_gt_i16_e32 vcc, 0, v8
	v_cndmask_b32_e64 v0, v66, 0, vcc
	v_xor_b32_e32 v0, v0, v8
	v_cmp_ne_u16_e32 vcc, s68, v0
	v_cndmask_b32_e32 v0, v66, v0, vcc
	v_lshrrev_b32_sdwa v0, s69, v0 dst_sel:DWORD dst_unused:UNUSED_PAD src0_sel:DWORD src1_sel:WORD_0
	v_and_b32_e32 v0, s78, v0
	v_lshl_or_b32 v0, v0, 4, v67
	ds_add_u32 v0, v64
	s_or_b64 exec, exec, s[16:17]
	v_cmp_lt_u32_e32 vcc, v29, v13
	s_and_saveexec_b64 s[16:17], vcc
	s_cbranch_execnz .LBB1769_376
.LBB1769_383:                           ;   in Loop: Header=BB1769_355 Depth=2
	s_or_b64 exec, exec, s[16:17]
	v_cmp_lt_u32_e32 vcc, v30, v13
	s_and_saveexec_b64 s[16:17], vcc
	s_cbranch_execz .LBB1769_377
.LBB1769_384:                           ;   in Loop: Header=BB1769_355 Depth=2
	v_cmp_gt_i16_e32 vcc, 0, v6
	v_cndmask_b32_e64 v0, v66, 0, vcc
	v_xor_b32_e32 v0, v0, v6
	v_cmp_ne_u16_e32 vcc, s68, v0
	v_cndmask_b32_e32 v0, v66, v0, vcc
	v_lshrrev_b32_sdwa v0, s69, v0 dst_sel:DWORD dst_unused:UNUSED_PAD src0_sel:DWORD src1_sel:WORD_0
	v_and_b32_e32 v0, s78, v0
	v_lshl_or_b32 v0, v0, 4, v67
	ds_add_u32 v0, v64
	s_or_b64 exec, exec, s[16:17]
	v_cmp_lt_u32_e32 vcc, v31, v13
	s_and_saveexec_b64 s[16:17], vcc
	s_cbranch_execnz .LBB1769_378
.LBB1769_385:                           ;   in Loop: Header=BB1769_355 Depth=2
	s_or_b64 exec, exec, s[16:17]
	v_cmp_lt_u32_e32 vcc, v32, v13
	s_and_saveexec_b64 s[16:17], vcc
	s_cbranch_execz .LBB1769_354
.LBB1769_386:                           ;   in Loop: Header=BB1769_355 Depth=2
	s_waitcnt vmcnt(0)
	v_cmp_gt_i16_e32 vcc, 0, v12
	v_cndmask_b32_e64 v0, v66, 0, vcc
	v_xor_b32_e32 v0, v0, v12
	v_cmp_ne_u16_e32 vcc, s68, v0
	v_cndmask_b32_e32 v0, v66, v0, vcc
	v_lshrrev_b32_sdwa v0, s69, v0 dst_sel:DWORD dst_unused:UNUSED_PAD src0_sel:DWORD src1_sel:WORD_0
	v_and_b32_e32 v0, s78, v0
	v_lshl_or_b32 v0, v0, 4, v67
	ds_add_u32 v0, v64
	s_branch .LBB1769_354
.LBB1769_387:                           ;   in Loop: Header=BB1769_355 Depth=2
	s_or_b64 exec, exec, s[20:21]
	v_cmp_gt_u32_e32 vcc, s22, v24
	s_and_saveexec_b64 s[20:21], vcc
	s_cbranch_execz .LBB1769_361
.LBB1769_388:                           ;   in Loop: Header=BB1769_355 Depth=2
	global_load_ushort v10, v65, s[18:19] offset:512
	s_or_b64 exec, exec, s[20:21]
	v_cmp_gt_u32_e32 vcc, s22, v25
	s_and_saveexec_b64 s[20:21], vcc
	s_cbranch_execnz .LBB1769_362
.LBB1769_389:                           ;   in Loop: Header=BB1769_355 Depth=2
	s_or_b64 exec, exec, s[20:21]
	v_cmp_gt_u32_e32 vcc, s22, v26
	s_and_saveexec_b64 s[20:21], vcc
	s_cbranch_execz .LBB1769_363
.LBB1769_390:                           ;   in Loop: Header=BB1769_355 Depth=2
	global_load_ushort v8, v65, s[18:19] offset:1536
	s_or_b64 exec, exec, s[20:21]
	v_cmp_gt_u32_e32 vcc, s22, v29
	s_and_saveexec_b64 s[20:21], vcc
	s_cbranch_execnz .LBB1769_364
.LBB1769_391:                           ;   in Loop: Header=BB1769_355 Depth=2
	s_or_b64 exec, exec, s[20:21]
	v_cmp_gt_u32_e32 vcc, s22, v30
	s_and_saveexec_b64 s[20:21], vcc
	s_cbranch_execz .LBB1769_365
.LBB1769_392:                           ;   in Loop: Header=BB1769_355 Depth=2
	global_load_ushort v6, v65, s[18:19] offset:2560
	s_or_b64 exec, exec, s[20:21]
	v_cmp_gt_u32_e32 vcc, s22, v31
	s_and_saveexec_b64 s[20:21], vcc
	s_cbranch_execz .LBB1769_367
	s_branch .LBB1769_366
.LBB1769_393:                           ;   in Loop: Header=BB1769_17 Depth=1
	v_mov_b32_e32 v0, 0
	s_waitcnt lgkmcnt(0)
	s_barrier
	s_and_saveexec_b64 s[16:17], s[4:5]
	s_cbranch_execz .LBB1769_395
; %bb.394:                              ;   in Loop: Header=BB1769_17 Depth=1
	ds_read2_b64 v[6:9], v33 offset1:1
	s_waitcnt lgkmcnt(0)
	v_add_u32_e32 v0, v7, v6
	v_add3_u32 v0, v0, v8, v9
.LBB1769_395:                           ;   in Loop: Header=BB1769_17 Depth=1
	s_or_b64 exec, exec, s[16:17]
	v_and_b32_e32 v1, 15, v68
	v_mov_b32_dpp v5, v0 row_shr:1 row_mask:0xf bank_mask:0xf
	v_cmp_eq_u32_e64 s[16:17], 0, v1
	v_cndmask_b32_e64 v5, v5, 0, s[16:17]
	v_add_u32_e32 v0, v5, v0
	v_cmp_lt_u32_e64 s[18:19], 1, v1
	v_cmp_lt_u32_e64 s[20:21], 3, v1
	v_mov_b32_dpp v5, v0 row_shr:2 row_mask:0xf bank_mask:0xf
	v_cndmask_b32_e64 v5, 0, v5, s[18:19]
	v_add_u32_e32 v0, v0, v5
	v_cmp_lt_u32_e64 s[22:23], 7, v1
	v_cmp_lt_u32_e64 s[26:27], 31, v68
	v_mov_b32_dpp v5, v0 row_shr:4 row_mask:0xf bank_mask:0xf
	v_cndmask_b32_e64 v5, 0, v5, s[20:21]
	v_add_u32_e32 v0, v0, v5
	v_and_b32_e32 v6, 16, v68
	v_cmp_eq_u32_e64 s[24:25], 0, v6
	v_mov_b32_dpp v5, v0 row_shr:8 row_mask:0xf bank_mask:0xf
	v_cndmask_b32_e64 v1, 0, v5, s[22:23]
	v_add_u32_e32 v0, v0, v1
	v_bfe_i32 v5, v68, 4, 1
	s_nop 0
	v_mov_b32_dpp v1, v0 row_bcast:15 row_mask:0xf bank_mask:0xf
	v_and_b32_e32 v1, v5, v1
	v_add_u32_e32 v0, v0, v1
	s_nop 1
	v_mov_b32_dpp v1, v0 row_bcast:31 row_mask:0xf bank_mask:0xf
	v_cndmask_b32_e64 v1, 0, v1, s[26:27]
	v_add_u32_e32 v1, v0, v1
	s_and_saveexec_b64 s[28:29], s[6:7]
	s_cbranch_execz .LBB1769_397
; %bb.396:                              ;   in Loop: Header=BB1769_17 Depth=1
	ds_write_b32 v35, v1
.LBB1769_397:                           ;   in Loop: Header=BB1769_17 Depth=1
	s_or_b64 exec, exec, s[28:29]
	v_and_b32_e32 v0, 3, v68
	s_waitcnt lgkmcnt(0)
	s_barrier
	s_and_saveexec_b64 s[28:29], s[8:9]
	s_cbranch_execz .LBB1769_399
; %bb.398:                              ;   in Loop: Header=BB1769_17 Depth=1
	ds_read_b32 v5, v36
	v_cmp_ne_u32_e32 vcc, 0, v0
	s_waitcnt lgkmcnt(0)
	v_mov_b32_dpp v6, v5 row_shr:1 row_mask:0xf bank_mask:0xf
	v_cndmask_b32_e32 v6, 0, v6, vcc
	v_add_u32_e32 v5, v6, v5
	v_cmp_lt_u32_e32 vcc, 1, v0
	s_nop 0
	v_mov_b32_dpp v6, v5 row_shr:2 row_mask:0xf bank_mask:0xf
	v_cndmask_b32_e32 v6, 0, v6, vcc
	v_add_u32_e32 v5, v5, v6
	ds_write_b32 v36, v5
.LBB1769_399:                           ;   in Loop: Header=BB1769_17 Depth=1
	s_or_b64 exec, exec, s[28:29]
	v_mov_b32_e32 v5, 0
	s_waitcnt lgkmcnt(0)
	s_barrier
	s_and_saveexec_b64 s[28:29], s[10:11]
	s_cbranch_execz .LBB1769_401
; %bb.400:                              ;   in Loop: Header=BB1769_17 Depth=1
	ds_read_b32 v5, v37
.LBB1769_401:                           ;   in Loop: Header=BB1769_17 Depth=1
	s_or_b64 exec, exec, s[28:29]
	v_add_u32_e32 v6, -1, v68
	v_and_b32_e32 v7, 64, v68
	v_cmp_lt_i32_e32 vcc, v6, v7
	v_cndmask_b32_e32 v6, v6, v68, vcc
	s_waitcnt lgkmcnt(0)
	v_add_u32_e32 v1, v5, v1
	v_lshlrev_b32_e32 v69, 2, v6
	ds_bpermute_b32 v1, v69, v1
	v_cmp_eq_u32_e64 s[28:29], 0, v68
	s_waitcnt lgkmcnt(0)
	s_barrier
	s_and_saveexec_b64 s[30:31], s[4:5]
	s_cbranch_execz .LBB1769_403
; %bb.402:                              ;   in Loop: Header=BB1769_17 Depth=1
	v_cndmask_b32_e64 v1, v1, v5, s[28:29]
	v_add_u32_e32 v1, s51, v1
	ds_write_b32 v3, v1
.LBB1769_403:                           ;   in Loop: Header=BB1769_17 Depth=1
	s_or_b64 exec, exec, s[30:31]
	s_load_dwordx2 s[30:31], s[74:75], 0x0
	v_and_b32_e32 v21, 63, v68
	v_lshlrev_b32_e32 v22, 3, v21
	v_add_co_u32_e32 v77, vcc, v60, v22
	s_waitcnt lgkmcnt(0)
	s_cmp_lt_u32 s50, s30
	s_cselect_b32 s34, 12, 18
	s_cmp_lt_u32 s33, s31
	s_cselect_b32 s30, 14, 20
	s_add_u32 s30, s74, s30
	s_addc_u32 s31, s75, 0
	s_add_u32 s34, s74, s34
	global_load_ushort v5, v4, s[30:31]
	s_addc_u32 s35, s75, 0
	global_load_ushort v20, v4, s[34:35]
	v_or_b32_e32 v74, v21, v38
	v_lshlrev_b32_e32 v21, 1, v21
	v_addc_co_u32_e32 v79, vcc, 0, v61, vcc
	v_add_co_u32_e32 v88, vcc, v62, v21
	v_addc_co_u32_e32 v89, vcc, 0, v63, vcc
	v_add_co_u32_e32 v90, vcc, 0x380, v88
	v_cmp_eq_u32_e64 s[30:31], 0, v0
	v_cmp_lt_u32_e64 s[34:35], 1, v0
	s_mov_b32 s79, s71
	v_or_b32_e32 v81, 64, v74
	v_or_b32_e32 v82, 0x80, v74
	;; [unrolled: 1-line block ×7, first 2 shown]
	v_addc_co_u32_e32 v91, vcc, 0, v89, vcc
	s_mov_b32 s72, s51
                                        ; implicit-def: $vgpr0_vgpr1
                                        ; implicit-def: $vgpr6_vgpr7
                                        ; implicit-def: $vgpr8_vgpr9
                                        ; implicit-def: $vgpr10_vgpr11
                                        ; implicit-def: $vgpr12_vgpr13
                                        ; implicit-def: $vgpr14_vgpr15
                                        ; implicit-def: $vgpr16_vgpr17
                                        ; implicit-def: $vgpr18_vgpr19
                                        ; implicit-def: $vgpr70
                                        ; implicit-def: $vgpr71
                                        ; implicit-def: $vgpr72
                                        ; implicit-def: $vgpr73
                                        ; implicit-def: $vgpr75
                                        ; implicit-def: $vgpr76
                                        ; implicit-def: $vgpr78
                                        ; implicit-def: $vgpr80
	s_waitcnt vmcnt(1)
	v_mad_u32_u24 v5, v39, v5, v40
	s_waitcnt vmcnt(0)
	v_mad_u64_u32 v[20:21], s[36:37], v5, v20, v[2:3]
	v_lshrrev_b32_e32 v92, 6, v20
	s_branch .LBB1769_405
.LBB1769_404:                           ;   in Loop: Header=BB1769_405 Depth=2
	s_or_b64 exec, exec, s[36:37]
	s_addk_i32 s79, 0xf800
	s_cmp_lt_u32 s80, s76
	s_mov_b32 s72, s80
	s_cbranch_scc0 .LBB1769_517
.LBB1769_405:                           ;   Parent Loop BB1769_17 Depth=1
                                        ; =>  This Inner Loop Header: Depth=2
	s_add_i32 s80, s72, 0x800
	s_cmp_gt_u32 s80, s76
	s_cbranch_scc1 .LBB1769_408
; %bb.406:                              ;   in Loop: Header=BB1769_405 Depth=2
	s_lshl_b64 s[36:37], s[72:73], 1
	v_mov_b32_e32 v5, s37
	v_add_co_u32_e32 v20, vcc, s36, v88
	v_addc_co_u32_e32 v21, vcc, v89, v5, vcc
	global_load_ushort v5, v[20:21], off
	global_load_ushort v97, v[20:21], off offset:128
	global_load_ushort v101, v[20:21], off offset:256
	;; [unrolled: 1-line block ×6, first 2 shown]
	s_mov_b64 s[36:37], -1
	s_movk_i32 s40, 0x800
	s_cbranch_execz .LBB1769_409
; %bb.407:                              ;   in Loop: Header=BB1769_405 Depth=2
                                        ; implicit-def: $sgpr38
	v_mov_b32_e32 v23, s38
	v_mov_b32_e32 v93, s79
	s_and_saveexec_b64 s[38:39], s[36:37]
	s_cbranch_execnz .LBB1769_424
	s_branch .LBB1769_425
.LBB1769_408:                           ;   in Loop: Header=BB1769_405 Depth=2
	s_mov_b64 s[36:37], 0
                                        ; implicit-def: $sgpr40
                                        ; implicit-def: $vgpr5
                                        ; implicit-def: $vgpr97
                                        ; implicit-def: $vgpr101
                                        ; implicit-def: $vgpr106
                                        ; implicit-def: $vgpr109
                                        ; implicit-def: $vgpr104
                                        ; implicit-def: $vgpr22
.LBB1769_409:                           ;   in Loop: Header=BB1769_405 Depth=2
	s_lshl_b64 s[36:37], s[72:73], 1
	s_waitcnt vmcnt(6)
	v_mov_b32_e32 v5, s37
	v_add_co_u32_e32 v20, vcc, s36, v88
	v_addc_co_u32_e32 v21, vcc, v89, v5, vcc
	v_cmp_gt_u32_e32 vcc, s79, v74
	s_waitcnt vmcnt(5)
	v_mov_b32_e32 v97, -1
	v_mov_b32_e32 v5, -1
	s_and_saveexec_b64 s[36:37], vcc
	s_cbranch_execz .LBB1769_411
; %bb.410:                              ;   in Loop: Header=BB1769_405 Depth=2
	global_load_ushort v5, v[20:21], off
.LBB1769_411:                           ;   in Loop: Header=BB1769_405 Depth=2
	s_or_b64 exec, exec, s[36:37]
	v_cmp_gt_u32_e32 vcc, s79, v81
	s_and_saveexec_b64 s[36:37], vcc
	s_cbranch_execz .LBB1769_413
; %bb.412:                              ;   in Loop: Header=BB1769_405 Depth=2
	global_load_ushort v97, v[20:21], off offset:128
.LBB1769_413:                           ;   in Loop: Header=BB1769_405 Depth=2
	s_or_b64 exec, exec, s[36:37]
	v_cmp_gt_u32_e32 vcc, s79, v82
	s_waitcnt vmcnt(3)
	v_mov_b32_e32 v106, -1
	v_mov_b32_e32 v101, -1
	s_and_saveexec_b64 s[36:37], vcc
	s_cbranch_execz .LBB1769_415
; %bb.414:                              ;   in Loop: Header=BB1769_405 Depth=2
	global_load_ushort v101, v[20:21], off offset:256
.LBB1769_415:                           ;   in Loop: Header=BB1769_405 Depth=2
	s_or_b64 exec, exec, s[36:37]
	v_cmp_gt_u32_e32 vcc, s79, v83
	s_and_saveexec_b64 s[36:37], vcc
	s_cbranch_execz .LBB1769_417
; %bb.416:                              ;   in Loop: Header=BB1769_405 Depth=2
	global_load_ushort v106, v[20:21], off offset:384
.LBB1769_417:                           ;   in Loop: Header=BB1769_405 Depth=2
	s_or_b64 exec, exec, s[36:37]
	v_cmp_gt_u32_e32 vcc, s79, v84
	s_waitcnt vmcnt(1)
	v_mov_b32_e32 v104, -1
	v_mov_b32_e32 v109, -1
	s_and_saveexec_b64 s[36:37], vcc
	s_cbranch_execz .LBB1769_419
; %bb.418:                              ;   in Loop: Header=BB1769_405 Depth=2
	global_load_ushort v109, v[20:21], off offset:512
.LBB1769_419:                           ;   in Loop: Header=BB1769_405 Depth=2
	s_or_b64 exec, exec, s[36:37]
	v_cmp_gt_u32_e32 vcc, s79, v85
	s_and_saveexec_b64 s[36:37], vcc
	s_cbranch_execz .LBB1769_421
; %bb.420:                              ;   in Loop: Header=BB1769_405 Depth=2
	global_load_ushort v104, v[20:21], off offset:640
.LBB1769_421:                           ;   in Loop: Header=BB1769_405 Depth=2
	s_or_b64 exec, exec, s[36:37]
	v_cmp_gt_u32_e32 vcc, s79, v86
	s_waitcnt vmcnt(0)
	v_mov_b32_e32 v22, -1
	s_and_saveexec_b64 s[36:37], vcc
	s_cbranch_execz .LBB1769_423
; %bb.422:                              ;   in Loop: Header=BB1769_405 Depth=2
	global_load_ushort v22, v[20:21], off offset:768
.LBB1769_423:                           ;   in Loop: Header=BB1769_405 Depth=2
	s_or_b64 exec, exec, s[36:37]
	s_sub_i32 s40, s76, s72
	v_cmp_gt_u32_e64 s[36:37], s79, v87
	s_mov_b32 s38, -1
	v_mov_b32_e32 v23, s38
	v_mov_b32_e32 v93, s79
	s_and_saveexec_b64 s[38:39], s[36:37]
	s_cbranch_execz .LBB1769_425
.LBB1769_424:                           ;   in Loop: Header=BB1769_405 Depth=2
	s_lshl_b64 s[36:37], s[72:73], 1
	v_mov_b32_e32 v21, s37
	v_add_co_u32_e32 v20, vcc, s36, v90
	v_addc_co_u32_e32 v21, vcc, v91, v21, vcc
	global_load_ushort v23, v[20:21], off
	v_mov_b32_e32 v93, s40
.LBB1769_425:                           ;   in Loop: Header=BB1769_405 Depth=2
	s_or_b64 exec, exec, s[38:39]
	s_waitcnt vmcnt(6)
	v_cmp_gt_i16_e32 vcc, 0, v5
	v_cndmask_b32_e64 v20, v66, 0, vcc
	v_xor_b32_e32 v94, v20, v5
	v_add_u32_e32 v5, 0x410, v41
	v_cmp_ne_u16_e32 vcc, s68, v94
	ds_write2_b32 v5, v4, v4 offset1:1
	ds_write2_b32 v43, v4, v4 offset0:2 offset1:3
	ds_write_b32 v43, v4 offset:16
	v_cndmask_b32_e32 v5, v66, v94, vcc
	v_lshrrev_b32_sdwa v5, s69, v5 dst_sel:DWORD dst_unused:UNUSED_PAD src0_sel:DWORD src1_sel:WORD_0
	v_and_b32_e32 v20, s78, v5
	v_mad_u32_u24 v5, v20, 5, v92
	v_lshl_add_u32 v95, v5, 2, v42
	v_and_b32_e32 v5, 1, v20
	v_add_co_u32_e32 v21, vcc, -1, v5
	v_addc_co_u32_e64 v96, s[36:37], 0, -1, vcc
	v_cmp_ne_u32_e32 vcc, 0, v5
	v_xor_b32_e32 v5, vcc_hi, v96
	v_and_b32_e32 v96, exec_hi, v5
	v_lshlrev_b32_e32 v5, 30, v20
	v_xor_b32_e32 v21, vcc_lo, v21
	v_cmp_gt_i64_e32 vcc, 0, v[4:5]
	v_not_b32_e32 v5, v5
	v_ashrrev_i32_e32 v5, 31, v5
	v_and_b32_e32 v21, exec_lo, v21
	v_xor_b32_e32 v98, vcc_hi, v5
	v_xor_b32_e32 v5, vcc_lo, v5
	v_and_b32_e32 v21, v21, v5
	v_lshlrev_b32_e32 v5, 29, v20
	v_cmp_gt_i64_e32 vcc, 0, v[4:5]
	v_not_b32_e32 v5, v5
	v_ashrrev_i32_e32 v5, 31, v5
	v_and_b32_e32 v96, v96, v98
	v_xor_b32_e32 v98, vcc_hi, v5
	v_xor_b32_e32 v5, vcc_lo, v5
	v_and_b32_e32 v21, v21, v5
	v_lshlrev_b32_e32 v5, 28, v20
	v_cmp_gt_i64_e32 vcc, 0, v[4:5]
	v_not_b32_e32 v5, v5
	v_ashrrev_i32_e32 v5, 31, v5
	v_and_b32_e32 v96, v96, v98
	;; [unrolled: 8-line block ×5, first 2 shown]
	v_xor_b32_e32 v98, vcc_hi, v5
	v_xor_b32_e32 v5, vcc_lo, v5
	v_and_b32_e32 v96, v96, v98
	v_and_b32_e32 v98, v21, v5
	v_lshlrev_b32_e32 v5, 24, v20
	v_cmp_gt_i64_e32 vcc, 0, v[4:5]
	v_not_b32_e32 v5, v5
	v_ashrrev_i32_e32 v5, 31, v5
	v_xor_b32_e32 v20, vcc_hi, v5
	v_xor_b32_e32 v5, vcc_lo, v5
	v_and_b32_e32 v21, v96, v20
	v_and_b32_e32 v20, v98, v5
	v_mbcnt_lo_u32_b32 v5, v20, 0
	v_mbcnt_hi_u32_b32 v96, v21, v5
	v_cmp_eq_u32_e32 vcc, 0, v96
	v_cmp_ne_u64_e64 s[36:37], 0, v[20:21]
	s_and_b64 s[38:39], s[36:37], vcc
	s_waitcnt lgkmcnt(0)
	s_barrier
	s_waitcnt lgkmcnt(0)
	; wave barrier
	s_and_saveexec_b64 s[36:37], s[38:39]
	s_cbranch_execz .LBB1769_427
; %bb.426:                              ;   in Loop: Header=BB1769_405 Depth=2
	v_bcnt_u32_b32 v5, v20, 0
	v_bcnt_u32_b32 v5, v21, v5
	ds_write_b32 v95, v5
.LBB1769_427:                           ;   in Loop: Header=BB1769_405 Depth=2
	s_or_b64 exec, exec, s[36:37]
	s_waitcnt vmcnt(5)
	v_cmp_gt_i16_e32 vcc, 0, v97
	v_cndmask_b32_e64 v5, v66, 0, vcc
	v_xor_b32_e32 v97, v5, v97
	v_cmp_ne_u16_e32 vcc, s68, v97
	v_cndmask_b32_e32 v5, v66, v97, vcc
	v_lshrrev_b32_sdwa v5, s69, v5 dst_sel:DWORD dst_unused:UNUSED_PAD src0_sel:DWORD src1_sel:WORD_0
	v_and_b32_e32 v20, s78, v5
	v_mul_u32_u24_e32 v5, 5, v20
	v_add_lshl_u32 v5, v5, v92, 2
	; wave barrier
	v_add_u32_e32 v99, 0x410, v5
	ds_read_b32 v98, v5 offset:1040
	v_and_b32_e32 v5, 1, v20
	v_add_co_u32_e32 v21, vcc, -1, v5
	v_addc_co_u32_e64 v100, s[36:37], 0, -1, vcc
	v_cmp_ne_u32_e32 vcc, 0, v5
	v_xor_b32_e32 v5, vcc_hi, v100
	v_and_b32_e32 v100, exec_hi, v5
	v_lshlrev_b32_e32 v5, 30, v20
	v_xor_b32_e32 v21, vcc_lo, v21
	v_cmp_gt_i64_e32 vcc, 0, v[4:5]
	v_not_b32_e32 v5, v5
	v_ashrrev_i32_e32 v5, 31, v5
	v_and_b32_e32 v21, exec_lo, v21
	v_xor_b32_e32 v102, vcc_hi, v5
	v_xor_b32_e32 v5, vcc_lo, v5
	v_and_b32_e32 v21, v21, v5
	v_lshlrev_b32_e32 v5, 29, v20
	v_cmp_gt_i64_e32 vcc, 0, v[4:5]
	v_not_b32_e32 v5, v5
	v_ashrrev_i32_e32 v5, 31, v5
	v_and_b32_e32 v100, v100, v102
	v_xor_b32_e32 v102, vcc_hi, v5
	v_xor_b32_e32 v5, vcc_lo, v5
	v_and_b32_e32 v21, v21, v5
	v_lshlrev_b32_e32 v5, 28, v20
	v_cmp_gt_i64_e32 vcc, 0, v[4:5]
	v_not_b32_e32 v5, v5
	v_ashrrev_i32_e32 v5, 31, v5
	v_and_b32_e32 v100, v100, v102
	;; [unrolled: 8-line block ×5, first 2 shown]
	v_xor_b32_e32 v102, vcc_hi, v5
	v_xor_b32_e32 v5, vcc_lo, v5
	v_and_b32_e32 v100, v100, v102
	v_and_b32_e32 v102, v21, v5
	v_lshlrev_b32_e32 v5, 24, v20
	v_cmp_gt_i64_e32 vcc, 0, v[4:5]
	v_not_b32_e32 v5, v5
	v_ashrrev_i32_e32 v5, 31, v5
	v_xor_b32_e32 v20, vcc_hi, v5
	v_xor_b32_e32 v5, vcc_lo, v5
	v_and_b32_e32 v21, v100, v20
	v_and_b32_e32 v20, v102, v5
	v_mbcnt_lo_u32_b32 v5, v20, 0
	v_mbcnt_hi_u32_b32 v100, v21, v5
	v_cmp_eq_u32_e32 vcc, 0, v100
	v_cmp_ne_u64_e64 s[36:37], 0, v[20:21]
	s_and_b64 s[38:39], s[36:37], vcc
	; wave barrier
	s_and_saveexec_b64 s[36:37], s[38:39]
	s_cbranch_execz .LBB1769_429
; %bb.428:                              ;   in Loop: Header=BB1769_405 Depth=2
	v_bcnt_u32_b32 v5, v20, 0
	v_bcnt_u32_b32 v5, v21, v5
	s_waitcnt lgkmcnt(0)
	v_add_u32_e32 v5, v98, v5
	ds_write_b32 v99, v5
.LBB1769_429:                           ;   in Loop: Header=BB1769_405 Depth=2
	s_or_b64 exec, exec, s[36:37]
	s_waitcnt vmcnt(4)
	v_cmp_gt_i16_e32 vcc, 0, v101
	v_cndmask_b32_e64 v5, v66, 0, vcc
	v_xor_b32_e32 v101, v5, v101
	v_cmp_ne_u16_e32 vcc, s68, v101
	v_cndmask_b32_e32 v5, v66, v101, vcc
	v_lshrrev_b32_sdwa v5, s69, v5 dst_sel:DWORD dst_unused:UNUSED_PAD src0_sel:DWORD src1_sel:WORD_0
	v_and_b32_e32 v20, s78, v5
	v_mul_u32_u24_e32 v5, 5, v20
	v_add_lshl_u32 v5, v5, v92, 2
	; wave barrier
	v_add_u32_e32 v103, 0x410, v5
	ds_read_b32 v102, v5 offset:1040
	v_and_b32_e32 v5, 1, v20
	v_add_co_u32_e32 v21, vcc, -1, v5
	v_addc_co_u32_e64 v105, s[36:37], 0, -1, vcc
	v_cmp_ne_u32_e32 vcc, 0, v5
	v_xor_b32_e32 v5, vcc_hi, v105
	v_and_b32_e32 v105, exec_hi, v5
	v_lshlrev_b32_e32 v5, 30, v20
	v_xor_b32_e32 v21, vcc_lo, v21
	v_cmp_gt_i64_e32 vcc, 0, v[4:5]
	v_not_b32_e32 v5, v5
	v_ashrrev_i32_e32 v5, 31, v5
	v_and_b32_e32 v21, exec_lo, v21
	v_xor_b32_e32 v107, vcc_hi, v5
	v_xor_b32_e32 v5, vcc_lo, v5
	v_and_b32_e32 v21, v21, v5
	v_lshlrev_b32_e32 v5, 29, v20
	v_cmp_gt_i64_e32 vcc, 0, v[4:5]
	v_not_b32_e32 v5, v5
	v_ashrrev_i32_e32 v5, 31, v5
	v_and_b32_e32 v105, v105, v107
	v_xor_b32_e32 v107, vcc_hi, v5
	v_xor_b32_e32 v5, vcc_lo, v5
	v_and_b32_e32 v21, v21, v5
	v_lshlrev_b32_e32 v5, 28, v20
	v_cmp_gt_i64_e32 vcc, 0, v[4:5]
	v_not_b32_e32 v5, v5
	v_ashrrev_i32_e32 v5, 31, v5
	v_and_b32_e32 v105, v105, v107
	v_xor_b32_e32 v107, vcc_hi, v5
	v_xor_b32_e32 v5, vcc_lo, v5
	v_and_b32_e32 v21, v21, v5
	v_lshlrev_b32_e32 v5, 27, v20
	v_cmp_gt_i64_e32 vcc, 0, v[4:5]
	v_not_b32_e32 v5, v5
	v_ashrrev_i32_e32 v5, 31, v5
	v_and_b32_e32 v105, v105, v107
	v_xor_b32_e32 v107, vcc_hi, v5
	v_xor_b32_e32 v5, vcc_lo, v5
	v_and_b32_e32 v21, v21, v5
	v_lshlrev_b32_e32 v5, 26, v20
	v_cmp_gt_i64_e32 vcc, 0, v[4:5]
	v_not_b32_e32 v5, v5
	v_ashrrev_i32_e32 v5, 31, v5
	v_and_b32_e32 v105, v105, v107
	v_xor_b32_e32 v107, vcc_hi, v5
	v_xor_b32_e32 v5, vcc_lo, v5
	v_and_b32_e32 v21, v21, v5
	v_lshlrev_b32_e32 v5, 25, v20
	v_cmp_gt_i64_e32 vcc, 0, v[4:5]
	v_not_b32_e32 v5, v5
	v_ashrrev_i32_e32 v5, 31, v5
	v_and_b32_e32 v105, v105, v107
	v_xor_b32_e32 v107, vcc_hi, v5
	v_xor_b32_e32 v5, vcc_lo, v5
	v_and_b32_e32 v105, v105, v107
	v_and_b32_e32 v107, v21, v5
	v_lshlrev_b32_e32 v5, 24, v20
	v_cmp_gt_i64_e32 vcc, 0, v[4:5]
	v_not_b32_e32 v5, v5
	v_ashrrev_i32_e32 v5, 31, v5
	v_xor_b32_e32 v20, vcc_hi, v5
	v_xor_b32_e32 v5, vcc_lo, v5
	v_and_b32_e32 v21, v105, v20
	v_and_b32_e32 v20, v107, v5
	v_mbcnt_lo_u32_b32 v5, v20, 0
	v_mbcnt_hi_u32_b32 v105, v21, v5
	v_cmp_eq_u32_e32 vcc, 0, v105
	v_cmp_ne_u64_e64 s[36:37], 0, v[20:21]
	s_and_b64 s[38:39], s[36:37], vcc
	; wave barrier
	s_and_saveexec_b64 s[36:37], s[38:39]
	s_cbranch_execz .LBB1769_431
; %bb.430:                              ;   in Loop: Header=BB1769_405 Depth=2
	v_bcnt_u32_b32 v5, v20, 0
	v_bcnt_u32_b32 v5, v21, v5
	s_waitcnt lgkmcnt(0)
	v_add_u32_e32 v5, v102, v5
	ds_write_b32 v103, v5
.LBB1769_431:                           ;   in Loop: Header=BB1769_405 Depth=2
	s_or_b64 exec, exec, s[36:37]
	s_waitcnt vmcnt(3)
	v_cmp_gt_i16_e32 vcc, 0, v106
	v_cndmask_b32_e64 v5, v66, 0, vcc
	v_xor_b32_e32 v106, v5, v106
	v_cmp_ne_u16_e32 vcc, s68, v106
	v_cndmask_b32_e32 v5, v66, v106, vcc
	v_lshrrev_b32_sdwa v5, s69, v5 dst_sel:DWORD dst_unused:UNUSED_PAD src0_sel:DWORD src1_sel:WORD_0
	v_and_b32_e32 v20, s78, v5
	v_mul_u32_u24_e32 v5, 5, v20
	v_add_lshl_u32 v5, v5, v92, 2
	; wave barrier
	v_add_u32_e32 v108, 0x410, v5
	ds_read_b32 v107, v5 offset:1040
	v_and_b32_e32 v5, 1, v20
	v_add_co_u32_e32 v21, vcc, -1, v5
	v_addc_co_u32_e64 v110, s[36:37], 0, -1, vcc
	v_cmp_ne_u32_e32 vcc, 0, v5
	v_xor_b32_e32 v5, vcc_hi, v110
	v_and_b32_e32 v110, exec_hi, v5
	v_lshlrev_b32_e32 v5, 30, v20
	v_xor_b32_e32 v21, vcc_lo, v21
	v_cmp_gt_i64_e32 vcc, 0, v[4:5]
	v_not_b32_e32 v5, v5
	v_ashrrev_i32_e32 v5, 31, v5
	v_and_b32_e32 v21, exec_lo, v21
	v_xor_b32_e32 v111, vcc_hi, v5
	v_xor_b32_e32 v5, vcc_lo, v5
	v_and_b32_e32 v21, v21, v5
	v_lshlrev_b32_e32 v5, 29, v20
	v_cmp_gt_i64_e32 vcc, 0, v[4:5]
	v_not_b32_e32 v5, v5
	v_ashrrev_i32_e32 v5, 31, v5
	v_and_b32_e32 v110, v110, v111
	v_xor_b32_e32 v111, vcc_hi, v5
	v_xor_b32_e32 v5, vcc_lo, v5
	v_and_b32_e32 v21, v21, v5
	v_lshlrev_b32_e32 v5, 28, v20
	v_cmp_gt_i64_e32 vcc, 0, v[4:5]
	v_not_b32_e32 v5, v5
	v_ashrrev_i32_e32 v5, 31, v5
	v_and_b32_e32 v110, v110, v111
	v_xor_b32_e32 v111, vcc_hi, v5
	v_xor_b32_e32 v5, vcc_lo, v5
	v_and_b32_e32 v21, v21, v5
	v_lshlrev_b32_e32 v5, 27, v20
	v_cmp_gt_i64_e32 vcc, 0, v[4:5]
	v_not_b32_e32 v5, v5
	v_ashrrev_i32_e32 v5, 31, v5
	v_and_b32_e32 v110, v110, v111
	v_xor_b32_e32 v111, vcc_hi, v5
	v_xor_b32_e32 v5, vcc_lo, v5
	v_and_b32_e32 v21, v21, v5
	v_lshlrev_b32_e32 v5, 26, v20
	v_cmp_gt_i64_e32 vcc, 0, v[4:5]
	v_not_b32_e32 v5, v5
	v_ashrrev_i32_e32 v5, 31, v5
	v_and_b32_e32 v110, v110, v111
	v_xor_b32_e32 v111, vcc_hi, v5
	v_xor_b32_e32 v5, vcc_lo, v5
	v_and_b32_e32 v21, v21, v5
	v_lshlrev_b32_e32 v5, 25, v20
	v_cmp_gt_i64_e32 vcc, 0, v[4:5]
	v_not_b32_e32 v5, v5
	v_ashrrev_i32_e32 v5, 31, v5
	v_and_b32_e32 v110, v110, v111
	v_xor_b32_e32 v111, vcc_hi, v5
	v_xor_b32_e32 v5, vcc_lo, v5
	v_and_b32_e32 v110, v110, v111
	v_and_b32_e32 v111, v21, v5
	v_lshlrev_b32_e32 v5, 24, v20
	v_cmp_gt_i64_e32 vcc, 0, v[4:5]
	v_not_b32_e32 v5, v5
	v_ashrrev_i32_e32 v5, 31, v5
	v_xor_b32_e32 v20, vcc_hi, v5
	v_xor_b32_e32 v5, vcc_lo, v5
	v_and_b32_e32 v21, v110, v20
	v_and_b32_e32 v20, v111, v5
	v_mbcnt_lo_u32_b32 v5, v20, 0
	v_mbcnt_hi_u32_b32 v110, v21, v5
	v_cmp_eq_u32_e32 vcc, 0, v110
	v_cmp_ne_u64_e64 s[36:37], 0, v[20:21]
	s_and_b64 s[38:39], s[36:37], vcc
	; wave barrier
	s_and_saveexec_b64 s[36:37], s[38:39]
	s_cbranch_execz .LBB1769_433
; %bb.432:                              ;   in Loop: Header=BB1769_405 Depth=2
	v_bcnt_u32_b32 v5, v20, 0
	v_bcnt_u32_b32 v5, v21, v5
	s_waitcnt lgkmcnt(0)
	v_add_u32_e32 v5, v107, v5
	ds_write_b32 v108, v5
.LBB1769_433:                           ;   in Loop: Header=BB1769_405 Depth=2
	s_or_b64 exec, exec, s[36:37]
	s_waitcnt vmcnt(2)
	v_cmp_gt_i16_e32 vcc, 0, v109
	v_cndmask_b32_e64 v5, v66, 0, vcc
	v_xor_b32_e32 v109, v5, v109
	v_cmp_ne_u16_e32 vcc, s68, v109
	v_cndmask_b32_e32 v5, v66, v109, vcc
	v_lshrrev_b32_sdwa v5, s69, v5 dst_sel:DWORD dst_unused:UNUSED_PAD src0_sel:DWORD src1_sel:WORD_0
	v_and_b32_e32 v20, s78, v5
	v_mul_u32_u24_e32 v5, 5, v20
	v_add_lshl_u32 v5, v5, v92, 2
	; wave barrier
	v_add_u32_e32 v112, 0x410, v5
	ds_read_b32 v111, v5 offset:1040
	v_and_b32_e32 v5, 1, v20
	v_add_co_u32_e32 v21, vcc, -1, v5
	v_addc_co_u32_e64 v113, s[36:37], 0, -1, vcc
	v_cmp_ne_u32_e32 vcc, 0, v5
	v_xor_b32_e32 v5, vcc_hi, v113
	v_and_b32_e32 v113, exec_hi, v5
	v_lshlrev_b32_e32 v5, 30, v20
	v_xor_b32_e32 v21, vcc_lo, v21
	v_cmp_gt_i64_e32 vcc, 0, v[4:5]
	v_not_b32_e32 v5, v5
	v_ashrrev_i32_e32 v5, 31, v5
	v_and_b32_e32 v21, exec_lo, v21
	v_xor_b32_e32 v114, vcc_hi, v5
	v_xor_b32_e32 v5, vcc_lo, v5
	v_and_b32_e32 v21, v21, v5
	v_lshlrev_b32_e32 v5, 29, v20
	v_cmp_gt_i64_e32 vcc, 0, v[4:5]
	v_not_b32_e32 v5, v5
	v_ashrrev_i32_e32 v5, 31, v5
	v_and_b32_e32 v113, v113, v114
	v_xor_b32_e32 v114, vcc_hi, v5
	v_xor_b32_e32 v5, vcc_lo, v5
	v_and_b32_e32 v21, v21, v5
	v_lshlrev_b32_e32 v5, 28, v20
	v_cmp_gt_i64_e32 vcc, 0, v[4:5]
	v_not_b32_e32 v5, v5
	v_ashrrev_i32_e32 v5, 31, v5
	v_and_b32_e32 v113, v113, v114
	;; [unrolled: 8-line block ×5, first 2 shown]
	v_xor_b32_e32 v114, vcc_hi, v5
	v_xor_b32_e32 v5, vcc_lo, v5
	v_and_b32_e32 v113, v113, v114
	v_and_b32_e32 v114, v21, v5
	v_lshlrev_b32_e32 v5, 24, v20
	v_cmp_gt_i64_e32 vcc, 0, v[4:5]
	v_not_b32_e32 v5, v5
	v_ashrrev_i32_e32 v5, 31, v5
	v_xor_b32_e32 v20, vcc_hi, v5
	v_xor_b32_e32 v5, vcc_lo, v5
	v_and_b32_e32 v21, v113, v20
	v_and_b32_e32 v20, v114, v5
	v_mbcnt_lo_u32_b32 v5, v20, 0
	v_mbcnt_hi_u32_b32 v113, v21, v5
	v_cmp_eq_u32_e32 vcc, 0, v113
	v_cmp_ne_u64_e64 s[36:37], 0, v[20:21]
	s_and_b64 s[38:39], s[36:37], vcc
	; wave barrier
	s_and_saveexec_b64 s[36:37], s[38:39]
	s_cbranch_execz .LBB1769_435
; %bb.434:                              ;   in Loop: Header=BB1769_405 Depth=2
	v_bcnt_u32_b32 v5, v20, 0
	v_bcnt_u32_b32 v5, v21, v5
	s_waitcnt lgkmcnt(0)
	v_add_u32_e32 v5, v111, v5
	ds_write_b32 v112, v5
.LBB1769_435:                           ;   in Loop: Header=BB1769_405 Depth=2
	s_or_b64 exec, exec, s[36:37]
	s_waitcnt vmcnt(1)
	v_cmp_gt_i16_e32 vcc, 0, v104
	v_cndmask_b32_e64 v5, v66, 0, vcc
	v_xor_b32_e32 v104, v5, v104
	v_cmp_ne_u16_e32 vcc, s68, v104
	v_cndmask_b32_e32 v5, v66, v104, vcc
	v_lshrrev_b32_sdwa v5, s69, v5 dst_sel:DWORD dst_unused:UNUSED_PAD src0_sel:DWORD src1_sel:WORD_0
	v_and_b32_e32 v20, s78, v5
	v_mul_u32_u24_e32 v5, 5, v20
	v_add_lshl_u32 v5, v5, v92, 2
	; wave barrier
	v_add_u32_e32 v115, 0x410, v5
	ds_read_b32 v114, v5 offset:1040
	v_and_b32_e32 v5, 1, v20
	v_add_co_u32_e32 v21, vcc, -1, v5
	v_addc_co_u32_e64 v116, s[36:37], 0, -1, vcc
	v_cmp_ne_u32_e32 vcc, 0, v5
	v_xor_b32_e32 v5, vcc_hi, v116
	v_and_b32_e32 v116, exec_hi, v5
	v_lshlrev_b32_e32 v5, 30, v20
	v_xor_b32_e32 v21, vcc_lo, v21
	v_cmp_gt_i64_e32 vcc, 0, v[4:5]
	v_not_b32_e32 v5, v5
	v_ashrrev_i32_e32 v5, 31, v5
	v_and_b32_e32 v21, exec_lo, v21
	v_xor_b32_e32 v117, vcc_hi, v5
	v_xor_b32_e32 v5, vcc_lo, v5
	v_and_b32_e32 v21, v21, v5
	v_lshlrev_b32_e32 v5, 29, v20
	v_cmp_gt_i64_e32 vcc, 0, v[4:5]
	v_not_b32_e32 v5, v5
	v_ashrrev_i32_e32 v5, 31, v5
	v_and_b32_e32 v116, v116, v117
	v_xor_b32_e32 v117, vcc_hi, v5
	v_xor_b32_e32 v5, vcc_lo, v5
	v_and_b32_e32 v21, v21, v5
	v_lshlrev_b32_e32 v5, 28, v20
	v_cmp_gt_i64_e32 vcc, 0, v[4:5]
	v_not_b32_e32 v5, v5
	v_ashrrev_i32_e32 v5, 31, v5
	v_and_b32_e32 v116, v116, v117
	;; [unrolled: 8-line block ×5, first 2 shown]
	v_xor_b32_e32 v117, vcc_hi, v5
	v_xor_b32_e32 v5, vcc_lo, v5
	v_and_b32_e32 v116, v116, v117
	v_and_b32_e32 v117, v21, v5
	v_lshlrev_b32_e32 v5, 24, v20
	v_cmp_gt_i64_e32 vcc, 0, v[4:5]
	v_not_b32_e32 v5, v5
	v_ashrrev_i32_e32 v5, 31, v5
	v_xor_b32_e32 v20, vcc_hi, v5
	v_xor_b32_e32 v5, vcc_lo, v5
	v_and_b32_e32 v21, v116, v20
	v_and_b32_e32 v20, v117, v5
	v_mbcnt_lo_u32_b32 v5, v20, 0
	v_mbcnt_hi_u32_b32 v116, v21, v5
	v_cmp_eq_u32_e32 vcc, 0, v116
	v_cmp_ne_u64_e64 s[36:37], 0, v[20:21]
	s_and_b64 s[38:39], s[36:37], vcc
	; wave barrier
	s_and_saveexec_b64 s[36:37], s[38:39]
	s_cbranch_execz .LBB1769_437
; %bb.436:                              ;   in Loop: Header=BB1769_405 Depth=2
	v_bcnt_u32_b32 v5, v20, 0
	v_bcnt_u32_b32 v5, v21, v5
	s_waitcnt lgkmcnt(0)
	v_add_u32_e32 v5, v114, v5
	ds_write_b32 v115, v5
.LBB1769_437:                           ;   in Loop: Header=BB1769_405 Depth=2
	s_or_b64 exec, exec, s[36:37]
	s_waitcnt vmcnt(0)
	v_cmp_gt_i16_e32 vcc, 0, v22
	v_cndmask_b32_e64 v5, v66, 0, vcc
	v_xor_b32_e32 v117, v5, v22
	v_cmp_ne_u16_e32 vcc, s68, v117
	v_cndmask_b32_e32 v5, v66, v117, vcc
	v_lshrrev_b32_sdwa v5, s69, v5 dst_sel:DWORD dst_unused:UNUSED_PAD src0_sel:DWORD src1_sel:WORD_0
	v_and_b32_e32 v20, s78, v5
	v_mul_u32_u24_e32 v5, 5, v20
	v_add_lshl_u32 v5, v5, v92, 2
	; wave barrier
	v_add_u32_e32 v119, 0x410, v5
	ds_read_b32 v118, v5 offset:1040
	v_and_b32_e32 v5, 1, v20
	v_add_co_u32_e32 v21, vcc, -1, v5
	v_addc_co_u32_e64 v22, s[36:37], 0, -1, vcc
	v_cmp_ne_u32_e32 vcc, 0, v5
	v_xor_b32_e32 v5, vcc_hi, v22
	v_and_b32_e32 v22, exec_hi, v5
	v_lshlrev_b32_e32 v5, 30, v20
	v_xor_b32_e32 v21, vcc_lo, v21
	v_cmp_gt_i64_e32 vcc, 0, v[4:5]
	v_not_b32_e32 v5, v5
	v_ashrrev_i32_e32 v5, 31, v5
	v_and_b32_e32 v21, exec_lo, v21
	v_xor_b32_e32 v120, vcc_hi, v5
	v_xor_b32_e32 v5, vcc_lo, v5
	v_and_b32_e32 v21, v21, v5
	v_lshlrev_b32_e32 v5, 29, v20
	v_cmp_gt_i64_e32 vcc, 0, v[4:5]
	v_not_b32_e32 v5, v5
	v_ashrrev_i32_e32 v5, 31, v5
	v_and_b32_e32 v22, v22, v120
	v_xor_b32_e32 v120, vcc_hi, v5
	v_xor_b32_e32 v5, vcc_lo, v5
	v_and_b32_e32 v21, v21, v5
	v_lshlrev_b32_e32 v5, 28, v20
	v_cmp_gt_i64_e32 vcc, 0, v[4:5]
	v_not_b32_e32 v5, v5
	v_ashrrev_i32_e32 v5, 31, v5
	v_and_b32_e32 v22, v22, v120
	;; [unrolled: 8-line block ×5, first 2 shown]
	v_xor_b32_e32 v120, vcc_hi, v5
	v_xor_b32_e32 v5, vcc_lo, v5
	v_and_b32_e32 v22, v22, v120
	v_and_b32_e32 v120, v21, v5
	v_lshlrev_b32_e32 v5, 24, v20
	v_cmp_gt_i64_e32 vcc, 0, v[4:5]
	v_not_b32_e32 v5, v5
	v_ashrrev_i32_e32 v5, 31, v5
	v_xor_b32_e32 v20, vcc_hi, v5
	v_xor_b32_e32 v5, vcc_lo, v5
	v_and_b32_e32 v21, v22, v20
	v_and_b32_e32 v20, v120, v5
	v_mbcnt_lo_u32_b32 v5, v20, 0
	v_mbcnt_hi_u32_b32 v120, v21, v5
	v_cmp_eq_u32_e32 vcc, 0, v120
	v_cmp_ne_u64_e64 s[36:37], 0, v[20:21]
	s_and_b64 s[38:39], s[36:37], vcc
	; wave barrier
	s_and_saveexec_b64 s[36:37], s[38:39]
	s_cbranch_execz .LBB1769_439
; %bb.438:                              ;   in Loop: Header=BB1769_405 Depth=2
	v_bcnt_u32_b32 v5, v20, 0
	v_bcnt_u32_b32 v5, v21, v5
	s_waitcnt lgkmcnt(0)
	v_add_u32_e32 v5, v118, v5
	ds_write_b32 v119, v5
.LBB1769_439:                           ;   in Loop: Header=BB1769_405 Depth=2
	s_or_b64 exec, exec, s[36:37]
	v_cmp_gt_i16_e32 vcc, 0, v23
	v_cndmask_b32_e64 v5, v66, 0, vcc
	v_xor_b32_e32 v121, v5, v23
	v_cmp_ne_u16_e32 vcc, s68, v121
	v_cndmask_b32_e32 v5, v66, v121, vcc
	v_lshrrev_b32_sdwa v5, s69, v5 dst_sel:DWORD dst_unused:UNUSED_PAD src0_sel:DWORD src1_sel:WORD_0
	v_and_b32_e32 v20, s78, v5
	v_mul_u32_u24_e32 v5, 5, v20
	v_add_lshl_u32 v5, v5, v92, 2
	; wave barrier
	v_add_u32_e32 v123, 0x410, v5
	ds_read_b32 v122, v5 offset:1040
	v_and_b32_e32 v5, 1, v20
	v_add_co_u32_e32 v21, vcc, -1, v5
	v_addc_co_u32_e64 v22, s[36:37], 0, -1, vcc
	v_cmp_ne_u32_e32 vcc, 0, v5
	v_xor_b32_e32 v5, vcc_hi, v22
	v_and_b32_e32 v22, exec_hi, v5
	v_lshlrev_b32_e32 v5, 30, v20
	v_xor_b32_e32 v21, vcc_lo, v21
	v_cmp_gt_i64_e32 vcc, 0, v[4:5]
	v_not_b32_e32 v5, v5
	v_ashrrev_i32_e32 v5, 31, v5
	v_and_b32_e32 v21, exec_lo, v21
	v_xor_b32_e32 v23, vcc_hi, v5
	v_xor_b32_e32 v5, vcc_lo, v5
	v_and_b32_e32 v21, v21, v5
	v_lshlrev_b32_e32 v5, 29, v20
	v_cmp_gt_i64_e32 vcc, 0, v[4:5]
	v_not_b32_e32 v5, v5
	v_ashrrev_i32_e32 v5, 31, v5
	v_and_b32_e32 v22, v22, v23
	v_xor_b32_e32 v23, vcc_hi, v5
	v_xor_b32_e32 v5, vcc_lo, v5
	v_and_b32_e32 v21, v21, v5
	v_lshlrev_b32_e32 v5, 28, v20
	v_cmp_gt_i64_e32 vcc, 0, v[4:5]
	v_not_b32_e32 v5, v5
	v_ashrrev_i32_e32 v5, 31, v5
	v_and_b32_e32 v22, v22, v23
	v_xor_b32_e32 v23, vcc_hi, v5
	v_xor_b32_e32 v5, vcc_lo, v5
	v_and_b32_e32 v21, v21, v5
	v_lshlrev_b32_e32 v5, 27, v20
	v_cmp_gt_i64_e32 vcc, 0, v[4:5]
	v_not_b32_e32 v5, v5
	v_ashrrev_i32_e32 v5, 31, v5
	v_and_b32_e32 v22, v22, v23
	v_xor_b32_e32 v23, vcc_hi, v5
	v_xor_b32_e32 v5, vcc_lo, v5
	v_and_b32_e32 v21, v21, v5
	v_lshlrev_b32_e32 v5, 26, v20
	v_cmp_gt_i64_e32 vcc, 0, v[4:5]
	v_not_b32_e32 v5, v5
	v_ashrrev_i32_e32 v5, 31, v5
	v_and_b32_e32 v22, v22, v23
	v_xor_b32_e32 v23, vcc_hi, v5
	v_xor_b32_e32 v5, vcc_lo, v5
	v_and_b32_e32 v21, v21, v5
	v_lshlrev_b32_e32 v5, 25, v20
	v_cmp_gt_i64_e32 vcc, 0, v[4:5]
	v_not_b32_e32 v5, v5
	v_ashrrev_i32_e32 v5, 31, v5
	v_and_b32_e32 v22, v22, v23
	v_xor_b32_e32 v23, vcc_hi, v5
	v_xor_b32_e32 v5, vcc_lo, v5
	v_and_b32_e32 v22, v22, v23
	v_and_b32_e32 v23, v21, v5
	v_lshlrev_b32_e32 v5, 24, v20
	v_cmp_gt_i64_e32 vcc, 0, v[4:5]
	v_not_b32_e32 v5, v5
	v_ashrrev_i32_e32 v5, 31, v5
	v_xor_b32_e32 v20, vcc_hi, v5
	v_xor_b32_e32 v5, vcc_lo, v5
	v_and_b32_e32 v21, v22, v20
	v_and_b32_e32 v20, v23, v5
	v_mbcnt_lo_u32_b32 v5, v20, 0
	v_mbcnt_hi_u32_b32 v124, v21, v5
	v_cmp_eq_u32_e32 vcc, 0, v124
	v_cmp_ne_u64_e64 s[36:37], 0, v[20:21]
	s_and_b64 s[38:39], s[36:37], vcc
	; wave barrier
	s_and_saveexec_b64 s[36:37], s[38:39]
	s_cbranch_execz .LBB1769_441
; %bb.440:                              ;   in Loop: Header=BB1769_405 Depth=2
	v_bcnt_u32_b32 v5, v20, 0
	v_bcnt_u32_b32 v5, v21, v5
	s_waitcnt lgkmcnt(0)
	v_add_u32_e32 v5, v122, v5
	ds_write_b32 v123, v5
.LBB1769_441:                           ;   in Loop: Header=BB1769_405 Depth=2
	s_or_b64 exec, exec, s[36:37]
	; wave barrier
	s_waitcnt lgkmcnt(0)
	s_barrier
	ds_read_b32 v5, v41 offset:1040
	ds_read2_b32 v[22:23], v43 offset0:1 offset1:2
	ds_read2_b32 v[20:21], v43 offset0:3 offset1:4
	s_waitcnt lgkmcnt(1)
	v_add3_u32 v125, v22, v5, v23
	s_waitcnt lgkmcnt(0)
	v_add3_u32 v21, v125, v20, v21
	s_nop 1
	v_mov_b32_dpp v125, v21 row_shr:1 row_mask:0xf bank_mask:0xf
	v_cndmask_b32_e64 v125, v125, 0, s[16:17]
	v_add_u32_e32 v21, v125, v21
	s_nop 1
	v_mov_b32_dpp v125, v21 row_shr:2 row_mask:0xf bank_mask:0xf
	v_cndmask_b32_e64 v125, 0, v125, s[18:19]
	v_add_u32_e32 v21, v21, v125
	;; [unrolled: 4-line block ×4, first 2 shown]
	s_nop 1
	v_mov_b32_dpp v125, v21 row_bcast:15 row_mask:0xf bank_mask:0xf
	v_cndmask_b32_e64 v125, v125, 0, s[24:25]
	v_add_u32_e32 v21, v21, v125
	s_nop 1
	v_mov_b32_dpp v125, v21 row_bcast:31 row_mask:0xf bank_mask:0xf
	v_cndmask_b32_e64 v125, 0, v125, s[26:27]
	v_add_u32_e32 v21, v21, v125
	s_and_saveexec_b64 s[36:37], s[6:7]
	s_cbranch_execz .LBB1769_443
; %bb.442:                              ;   in Loop: Header=BB1769_405 Depth=2
	ds_write_b32 v34, v21 offset:1024
.LBB1769_443:                           ;   in Loop: Header=BB1769_405 Depth=2
	s_or_b64 exec, exec, s[36:37]
	s_waitcnt lgkmcnt(0)
	s_barrier
	s_and_saveexec_b64 s[36:37], s[8:9]
	s_cbranch_execz .LBB1769_445
; %bb.444:                              ;   in Loop: Header=BB1769_405 Depth=2
	ds_read_b32 v125, v44 offset:1024
	s_waitcnt lgkmcnt(0)
	s_nop 0
	v_mov_b32_dpp v126, v125 row_shr:1 row_mask:0xf bank_mask:0xf
	v_cndmask_b32_e64 v126, v126, 0, s[30:31]
	v_add_u32_e32 v125, v126, v125
	s_nop 1
	v_mov_b32_dpp v126, v125 row_shr:2 row_mask:0xf bank_mask:0xf
	v_cndmask_b32_e64 v126, 0, v126, s[34:35]
	v_add_u32_e32 v125, v125, v126
	ds_write_b32 v44, v125 offset:1024
.LBB1769_445:                           ;   in Loop: Header=BB1769_405 Depth=2
	s_or_b64 exec, exec, s[36:37]
	v_mov_b32_e32 v125, 0
	s_waitcnt lgkmcnt(0)
	s_barrier
	s_and_saveexec_b64 s[36:37], s[10:11]
	s_cbranch_execz .LBB1769_447
; %bb.446:                              ;   in Loop: Header=BB1769_405 Depth=2
	ds_read_b32 v125, v34 offset:1020
.LBB1769_447:                           ;   in Loop: Header=BB1769_405 Depth=2
	s_or_b64 exec, exec, s[36:37]
	s_waitcnt lgkmcnt(0)
	v_add_u32_e32 v21, v125, v21
	ds_bpermute_b32 v21, v69, v21
	s_waitcnt lgkmcnt(0)
	v_cndmask_b32_e64 v21, v21, v125, s[28:29]
	v_cndmask_b32_e64 v21, v21, 0, s[12:13]
	v_add_u32_e32 v5, v21, v5
	ds_write_b32 v41, v21 offset:1040
	v_add_u32_e32 v21, v5, v22
	v_add_u32_e32 v22, v21, v23
	ds_write2_b32 v43, v5, v21 offset0:1 offset1:2
	v_add_u32_e32 v5, v22, v20
	ds_write2_b32 v43, v22, v5 offset0:3 offset1:4
	s_waitcnt lgkmcnt(0)
	s_barrier
	ds_read_b32 v20, v99
	ds_read_b32 v21, v103
	ds_read_b32 v22, v108
	ds_read_b32 v23, v112
	ds_read_b32 v108, v115
	ds_read_b32 v112, v119
	ds_read_b32 v115, v123
	ds_read_b32 v95, v95
	ds_read_b32 v99, v41 offset:1040
	v_mov_b32_e32 v5, 0x800
	s_and_saveexec_b64 s[36:37], s[14:15]
	s_cbranch_execz .LBB1769_449
; %bb.448:                              ;   in Loop: Header=BB1769_405 Depth=2
	ds_read_b32 v5, v41 offset:1060
.LBB1769_449:                           ;   in Loop: Header=BB1769_405 Depth=2
	s_or_b64 exec, exec, s[36:37]
	s_waitcnt lgkmcnt(0)
	s_barrier
	s_and_saveexec_b64 s[36:37], s[4:5]
	s_cbranch_execz .LBB1769_451
; %bb.450:                              ;   in Loop: Header=BB1769_405 Depth=2
	ds_read_b32 v103, v3
	s_waitcnt lgkmcnt(0)
	v_sub_u32_e32 v99, v103, v99
	ds_write_b32 v3, v99
.LBB1769_451:                           ;   in Loop: Header=BB1769_405 Depth=2
	s_or_b64 exec, exec, s[36:37]
	v_add_u32_e32 v103, v95, v96
	v_add3_u32 v100, v100, v98, v20
	v_lshlrev_b32_e32 v20, 1, v103
	v_add3_u32 v99, v105, v102, v21
	ds_write_b16 v20, v94 offset:1024
	v_lshlrev_b32_e32 v20, 1, v100
	v_add3_u32 v98, v110, v107, v22
	ds_write_b16 v20, v97 offset:1024
	;; [unrolled: 3-line block ×6, first 2 shown]
	v_lshlrev_b32_e32 v20, 1, v23
	ds_write_b16 v20, v117 offset:1024
	v_lshlrev_b32_e32 v20, 1, v22
	v_cmp_lt_u32_e32 vcc, v2, v93
	ds_write_b16 v20, v121 offset:1024
	s_waitcnt lgkmcnt(0)
	s_barrier
	s_and_saveexec_b64 s[38:39], vcc
	s_cbranch_execz .LBB1769_459
; %bb.452:                              ;   in Loop: Header=BB1769_405 Depth=2
	ds_read_u16 v20, v49 offset:1024
	v_mov_b32_e32 v21, v4
	v_mov_b32_e32 v97, s59
	s_waitcnt lgkmcnt(0)
	v_cmp_ne_u16_e64 s[36:37], s68, v20
	v_cndmask_b32_e64 v94, v66, v20, s[36:37]
	v_lshrrev_b32_sdwa v94, s69, v94 dst_sel:DWORD dst_unused:UNUSED_PAD src0_sel:DWORD src1_sel:WORD_0
	v_and_b32_e32 v94, s78, v94
	v_lshlrev_b32_e32 v94, 2, v94
	ds_read_b32 v94, v94
	v_cmp_gt_i16_e64 s[36:37], 0, v20
	v_cndmask_b32_e64 v101, v66, 0, s[36:37]
	v_xor_b32_e32 v101, v101, v20
	s_waitcnt lgkmcnt(0)
	v_add_u32_e32 v20, v94, v2
	v_lshlrev_b64 v[20:21], 1, v[20:21]
	v_add_co_u32_e64 v20, s[36:37], s58, v20
	v_addc_co_u32_e64 v21, s[36:37], v97, v21, s[36:37]
	global_store_short v[20:21], v101, off
	s_or_b64 exec, exec, s[38:39]
	v_cmp_lt_u32_e64 s[36:37], v24, v93
	s_and_saveexec_b64 s[40:41], s[36:37]
	s_cbranch_execnz .LBB1769_460
.LBB1769_453:                           ;   in Loop: Header=BB1769_405 Depth=2
	s_or_b64 exec, exec, s[40:41]
	v_cmp_lt_u32_e64 s[38:39], v25, v93
	s_and_saveexec_b64 s[42:43], s[38:39]
	s_cbranch_execz .LBB1769_461
.LBB1769_454:                           ;   in Loop: Header=BB1769_405 Depth=2
	ds_read_u16 v20, v50 offset:1024
	v_mov_b32_e32 v21, v4
	v_mov_b32_e32 v97, s59
	s_waitcnt lgkmcnt(0)
	v_cmp_ne_u16_e64 s[40:41], s68, v20
	v_cndmask_b32_e64 v94, v66, v20, s[40:41]
	v_lshrrev_b32_sdwa v94, s69, v94 dst_sel:DWORD dst_unused:UNUSED_PAD src0_sel:DWORD src1_sel:WORD_0
	v_and_b32_e32 v94, s78, v94
	v_lshlrev_b32_e32 v94, 2, v94
	ds_read_b32 v94, v94
	v_cmp_gt_i16_e64 s[40:41], 0, v20
	v_cndmask_b32_e64 v101, v66, 0, s[40:41]
	v_xor_b32_e32 v101, v101, v20
	s_waitcnt lgkmcnt(0)
	v_add_u32_e32 v20, v94, v25
	v_lshlrev_b64 v[20:21], 1, v[20:21]
	v_add_co_u32_e64 v20, s[40:41], s58, v20
	v_addc_co_u32_e64 v21, s[40:41], v97, v21, s[40:41]
	global_store_short v[20:21], v101, off
	s_or_b64 exec, exec, s[42:43]
	v_cmp_lt_u32_e64 s[40:41], v26, v93
	s_and_saveexec_b64 s[44:45], s[40:41]
	s_cbranch_execnz .LBB1769_462
.LBB1769_455:                           ;   in Loop: Header=BB1769_405 Depth=2
	s_or_b64 exec, exec, s[44:45]
	v_cmp_lt_u32_e64 s[42:43], v29, v93
	s_and_saveexec_b64 s[46:47], s[42:43]
	s_cbranch_execz .LBB1769_463
.LBB1769_456:                           ;   in Loop: Header=BB1769_405 Depth=2
	ds_read_u16 v20, v50 offset:2048
	v_mov_b32_e32 v21, v4
	v_mov_b32_e32 v97, s59
	s_waitcnt lgkmcnt(0)
	v_cmp_ne_u16_e64 s[44:45], s68, v20
	v_cndmask_b32_e64 v94, v66, v20, s[44:45]
	v_lshrrev_b32_sdwa v94, s69, v94 dst_sel:DWORD dst_unused:UNUSED_PAD src0_sel:DWORD src1_sel:WORD_0
	v_and_b32_e32 v94, s78, v94
	v_lshlrev_b32_e32 v94, 2, v94
	ds_read_b32 v94, v94
	v_cmp_gt_i16_e64 s[44:45], 0, v20
	v_cndmask_b32_e64 v101, v66, 0, s[44:45]
	v_xor_b32_e32 v101, v101, v20
	s_waitcnt lgkmcnt(0)
	v_add_u32_e32 v20, v94, v29
	v_lshlrev_b64 v[20:21], 1, v[20:21]
	v_add_co_u32_e64 v20, s[44:45], s58, v20
	v_addc_co_u32_e64 v21, s[44:45], v97, v21, s[44:45]
	global_store_short v[20:21], v101, off
	s_or_b64 exec, exec, s[46:47]
	v_cmp_lt_u32_e64 s[44:45], v30, v93
	s_and_saveexec_b64 s[48:49], s[44:45]
	s_cbranch_execnz .LBB1769_464
.LBB1769_457:                           ;   in Loop: Header=BB1769_405 Depth=2
	s_or_b64 exec, exec, s[48:49]
	v_cmp_lt_u32_e64 s[46:47], v31, v93
	s_and_saveexec_b64 s[52:53], s[46:47]
	s_cbranch_execz .LBB1769_465
.LBB1769_458:                           ;   in Loop: Header=BB1769_405 Depth=2
	ds_read_u16 v20, v50 offset:3072
	v_mov_b32_e32 v21, v4
	v_mov_b32_e32 v97, s59
	s_waitcnt lgkmcnt(0)
	v_cmp_ne_u16_e64 s[48:49], s68, v20
	v_cndmask_b32_e64 v94, v66, v20, s[48:49]
	v_lshrrev_b32_sdwa v94, s69, v94 dst_sel:DWORD dst_unused:UNUSED_PAD src0_sel:DWORD src1_sel:WORD_0
	v_and_b32_e32 v94, s78, v94
	v_lshlrev_b32_e32 v94, 2, v94
	ds_read_b32 v94, v94
	v_cmp_gt_i16_e64 s[48:49], 0, v20
	v_cndmask_b32_e64 v101, v66, 0, s[48:49]
	v_xor_b32_e32 v101, v101, v20
	s_waitcnt lgkmcnt(0)
	v_add_u32_e32 v20, v94, v31
	v_lshlrev_b64 v[20:21], 1, v[20:21]
	v_add_co_u32_e64 v20, s[48:49], s58, v20
	v_addc_co_u32_e64 v21, s[48:49], v97, v21, s[48:49]
	global_store_short v[20:21], v101, off
	s_or_b64 exec, exec, s[52:53]
	v_cmp_lt_u32_e64 s[48:49], v32, v93
	s_and_saveexec_b64 s[62:63], s[48:49]
	s_cbranch_execnz .LBB1769_466
	s_branch .LBB1769_467
.LBB1769_459:                           ;   in Loop: Header=BB1769_405 Depth=2
	s_or_b64 exec, exec, s[38:39]
	v_cmp_lt_u32_e64 s[36:37], v24, v93
	s_and_saveexec_b64 s[40:41], s[36:37]
	s_cbranch_execz .LBB1769_453
.LBB1769_460:                           ;   in Loop: Header=BB1769_405 Depth=2
	ds_read_u16 v20, v50 offset:512
	v_mov_b32_e32 v21, v4
	v_mov_b32_e32 v97, s59
	s_waitcnt lgkmcnt(0)
	v_cmp_ne_u16_e64 s[38:39], s68, v20
	v_cndmask_b32_e64 v94, v66, v20, s[38:39]
	v_lshrrev_b32_sdwa v94, s69, v94 dst_sel:DWORD dst_unused:UNUSED_PAD src0_sel:DWORD src1_sel:WORD_0
	v_and_b32_e32 v94, s78, v94
	v_lshlrev_b32_e32 v94, 2, v94
	ds_read_b32 v94, v94
	v_cmp_gt_i16_e64 s[38:39], 0, v20
	v_cndmask_b32_e64 v101, v66, 0, s[38:39]
	v_xor_b32_e32 v101, v101, v20
	s_waitcnt lgkmcnt(0)
	v_add_u32_e32 v20, v94, v24
	v_lshlrev_b64 v[20:21], 1, v[20:21]
	v_add_co_u32_e64 v20, s[38:39], s58, v20
	v_addc_co_u32_e64 v21, s[38:39], v97, v21, s[38:39]
	global_store_short v[20:21], v101, off
	s_or_b64 exec, exec, s[40:41]
	v_cmp_lt_u32_e64 s[38:39], v25, v93
	s_and_saveexec_b64 s[42:43], s[38:39]
	s_cbranch_execnz .LBB1769_454
.LBB1769_461:                           ;   in Loop: Header=BB1769_405 Depth=2
	s_or_b64 exec, exec, s[42:43]
	v_cmp_lt_u32_e64 s[40:41], v26, v93
	s_and_saveexec_b64 s[44:45], s[40:41]
	s_cbranch_execz .LBB1769_455
.LBB1769_462:                           ;   in Loop: Header=BB1769_405 Depth=2
	ds_read_u16 v20, v50 offset:1536
	v_mov_b32_e32 v21, v4
	v_mov_b32_e32 v97, s59
	s_waitcnt lgkmcnt(0)
	v_cmp_ne_u16_e64 s[42:43], s68, v20
	v_cndmask_b32_e64 v94, v66, v20, s[42:43]
	v_lshrrev_b32_sdwa v94, s69, v94 dst_sel:DWORD dst_unused:UNUSED_PAD src0_sel:DWORD src1_sel:WORD_0
	v_and_b32_e32 v94, s78, v94
	v_lshlrev_b32_e32 v94, 2, v94
	ds_read_b32 v94, v94
	v_cmp_gt_i16_e64 s[42:43], 0, v20
	v_cndmask_b32_e64 v101, v66, 0, s[42:43]
	v_xor_b32_e32 v101, v101, v20
	s_waitcnt lgkmcnt(0)
	v_add_u32_e32 v20, v94, v26
	v_lshlrev_b64 v[20:21], 1, v[20:21]
	v_add_co_u32_e64 v20, s[42:43], s58, v20
	v_addc_co_u32_e64 v21, s[42:43], v97, v21, s[42:43]
	global_store_short v[20:21], v101, off
	s_or_b64 exec, exec, s[44:45]
	v_cmp_lt_u32_e64 s[42:43], v29, v93
	s_and_saveexec_b64 s[46:47], s[42:43]
	s_cbranch_execnz .LBB1769_456
.LBB1769_463:                           ;   in Loop: Header=BB1769_405 Depth=2
	s_or_b64 exec, exec, s[46:47]
	v_cmp_lt_u32_e64 s[44:45], v30, v93
	s_and_saveexec_b64 s[48:49], s[44:45]
	s_cbranch_execz .LBB1769_457
.LBB1769_464:                           ;   in Loop: Header=BB1769_405 Depth=2
	ds_read_u16 v20, v50 offset:2560
	v_mov_b32_e32 v21, v4
	v_mov_b32_e32 v97, s59
	s_waitcnt lgkmcnt(0)
	v_cmp_ne_u16_e64 s[46:47], s68, v20
	v_cndmask_b32_e64 v94, v66, v20, s[46:47]
	v_lshrrev_b32_sdwa v94, s69, v94 dst_sel:DWORD dst_unused:UNUSED_PAD src0_sel:DWORD src1_sel:WORD_0
	v_and_b32_e32 v94, s78, v94
	v_lshlrev_b32_e32 v94, 2, v94
	ds_read_b32 v94, v94
	v_cmp_gt_i16_e64 s[46:47], 0, v20
	v_cndmask_b32_e64 v101, v66, 0, s[46:47]
	v_xor_b32_e32 v101, v101, v20
	s_waitcnt lgkmcnt(0)
	v_add_u32_e32 v20, v94, v30
	v_lshlrev_b64 v[20:21], 1, v[20:21]
	v_add_co_u32_e64 v20, s[46:47], s58, v20
	v_addc_co_u32_e64 v21, s[46:47], v97, v21, s[46:47]
	global_store_short v[20:21], v101, off
	s_or_b64 exec, exec, s[48:49]
	v_cmp_lt_u32_e64 s[46:47], v31, v93
	s_and_saveexec_b64 s[52:53], s[46:47]
	s_cbranch_execnz .LBB1769_458
.LBB1769_465:                           ;   in Loop: Header=BB1769_405 Depth=2
	s_or_b64 exec, exec, s[52:53]
	v_cmp_lt_u32_e64 s[48:49], v32, v93
	s_and_saveexec_b64 s[62:63], s[48:49]
	s_cbranch_execz .LBB1769_467
.LBB1769_466:                           ;   in Loop: Header=BB1769_405 Depth=2
	ds_read_u16 v20, v50 offset:3584
	v_mov_b32_e32 v21, v4
	v_mov_b32_e32 v97, s59
	s_waitcnt lgkmcnt(0)
	v_cmp_ne_u16_e64 s[52:53], s68, v20
	v_cndmask_b32_e64 v94, v66, v20, s[52:53]
	v_lshrrev_b32_sdwa v94, s69, v94 dst_sel:DWORD dst_unused:UNUSED_PAD src0_sel:DWORD src1_sel:WORD_0
	v_and_b32_e32 v94, s78, v94
	v_lshlrev_b32_e32 v94, 2, v94
	ds_read_b32 v94, v94
	v_cmp_gt_i16_e64 s[52:53], 0, v20
	v_cndmask_b32_e64 v101, v66, 0, s[52:53]
	v_xor_b32_e32 v101, v101, v20
	s_waitcnt lgkmcnt(0)
	v_add_u32_e32 v20, v94, v32
	v_lshlrev_b64 v[20:21], 1, v[20:21]
	v_add_co_u32_e64 v20, s[52:53], s58, v20
	v_addc_co_u32_e64 v21, s[52:53], v97, v21, s[52:53]
	global_store_short v[20:21], v101, off
.LBB1769_467:                           ;   in Loop: Header=BB1769_405 Depth=2
	s_or_b64 exec, exec, s[62:63]
	s_lshl_b64 s[52:53], s[72:73], 3
	v_mov_b32_e32 v21, s53
	v_add_co_u32_e64 v20, s[52:53], s52, v77
	v_addc_co_u32_e64 v21, s[52:53], v79, v21, s[52:53]
	v_cmp_lt_u32_e64 s[52:53], v74, v93
	s_and_saveexec_b64 s[62:63], s[52:53]
	s_xor_b64 s[52:53], exec, s[62:63]
	s_cbranch_execz .LBB1769_483
; %bb.468:                              ;   in Loop: Header=BB1769_405 Depth=2
	global_load_dwordx2 v[18:19], v[20:21], off
	s_or_b64 exec, exec, s[52:53]
	v_cmp_lt_u32_e64 s[52:53], v81, v93
	s_and_saveexec_b64 s[62:63], s[52:53]
	s_cbranch_execnz .LBB1769_484
.LBB1769_469:                           ;   in Loop: Header=BB1769_405 Depth=2
	s_or_b64 exec, exec, s[62:63]
	v_cmp_lt_u32_e64 s[52:53], v82, v93
	s_and_saveexec_b64 s[62:63], s[52:53]
	s_cbranch_execz .LBB1769_485
.LBB1769_470:                           ;   in Loop: Header=BB1769_405 Depth=2
	global_load_dwordx2 v[14:15], v[20:21], off offset:1024
	s_or_b64 exec, exec, s[62:63]
	v_cmp_lt_u32_e64 s[52:53], v83, v93
	s_and_saveexec_b64 s[62:63], s[52:53]
	s_cbranch_execnz .LBB1769_486
.LBB1769_471:                           ;   in Loop: Header=BB1769_405 Depth=2
	s_or_b64 exec, exec, s[62:63]
	v_cmp_lt_u32_e64 s[52:53], v84, v93
	s_and_saveexec_b64 s[62:63], s[52:53]
	s_cbranch_execz .LBB1769_487
.LBB1769_472:                           ;   in Loop: Header=BB1769_405 Depth=2
	global_load_dwordx2 v[10:11], v[20:21], off offset:2048
	s_or_b64 exec, exec, s[62:63]
	v_cmp_lt_u32_e64 s[52:53], v85, v93
	s_and_saveexec_b64 s[62:63], s[52:53]
	s_cbranch_execnz .LBB1769_488
.LBB1769_473:                           ;   in Loop: Header=BB1769_405 Depth=2
	s_or_b64 exec, exec, s[62:63]
	v_cmp_lt_u32_e64 s[52:53], v86, v93
	s_and_saveexec_b64 s[62:63], s[52:53]
	s_cbranch_execz .LBB1769_489
.LBB1769_474:                           ;   in Loop: Header=BB1769_405 Depth=2
	global_load_dwordx2 v[6:7], v[20:21], off offset:3072
	s_or_b64 exec, exec, s[62:63]
	v_cmp_lt_u32_e64 s[52:53], v87, v93
	s_and_saveexec_b64 s[62:63], s[52:53]
	s_cbranch_execnz .LBB1769_490
.LBB1769_475:                           ;   in Loop: Header=BB1769_405 Depth=2
	s_or_b64 exec, exec, s[62:63]
	s_and_saveexec_b64 s[62:63], vcc
	s_cbranch_execz .LBB1769_491
.LBB1769_476:                           ;   in Loop: Header=BB1769_405 Depth=2
	ds_read_u16 v20, v49 offset:1024
	s_waitcnt lgkmcnt(0)
	v_cmp_ne_u16_e64 s[52:53], s68, v20
	v_cndmask_b32_e64 v20, v66, v20, s[52:53]
	v_lshrrev_b32_sdwa v20, s69, v20 dst_sel:DWORD dst_unused:UNUSED_PAD src0_sel:DWORD src1_sel:WORD_0
	v_and_b32_e32 v80, s78, v20
	s_or_b64 exec, exec, s[62:63]
	s_and_saveexec_b64 s[62:63], s[36:37]
	s_cbranch_execnz .LBB1769_492
.LBB1769_477:                           ;   in Loop: Header=BB1769_405 Depth=2
	s_or_b64 exec, exec, s[62:63]
	s_and_saveexec_b64 s[62:63], s[38:39]
	s_cbranch_execz .LBB1769_493
.LBB1769_478:                           ;   in Loop: Header=BB1769_405 Depth=2
	ds_read_u16 v20, v50 offset:1024
	s_waitcnt lgkmcnt(0)
	v_cmp_ne_u16_e64 s[52:53], s68, v20
	v_cndmask_b32_e64 v20, v66, v20, s[52:53]
	v_lshrrev_b32_sdwa v20, s69, v20 dst_sel:DWORD dst_unused:UNUSED_PAD src0_sel:DWORD src1_sel:WORD_0
	v_and_b32_e32 v76, s78, v20
	s_or_b64 exec, exec, s[62:63]
	s_and_saveexec_b64 s[62:63], s[40:41]
	s_cbranch_execnz .LBB1769_494
.LBB1769_479:                           ;   in Loop: Header=BB1769_405 Depth=2
	s_or_b64 exec, exec, s[62:63]
	s_and_saveexec_b64 s[62:63], s[42:43]
	s_cbranch_execz .LBB1769_495
.LBB1769_480:                           ;   in Loop: Header=BB1769_405 Depth=2
	ds_read_u16 v20, v50 offset:2048
	s_waitcnt lgkmcnt(0)
	v_cmp_ne_u16_e64 s[52:53], s68, v20
	v_cndmask_b32_e64 v20, v66, v20, s[52:53]
	v_lshrrev_b32_sdwa v20, s69, v20 dst_sel:DWORD dst_unused:UNUSED_PAD src0_sel:DWORD src1_sel:WORD_0
	v_and_b32_e32 v73, s78, v20
	s_or_b64 exec, exec, s[62:63]
	s_and_saveexec_b64 s[62:63], s[44:45]
	s_cbranch_execnz .LBB1769_496
.LBB1769_481:                           ;   in Loop: Header=BB1769_405 Depth=2
	s_or_b64 exec, exec, s[62:63]
	s_and_saveexec_b64 s[62:63], s[46:47]
	s_cbranch_execz .LBB1769_497
.LBB1769_482:                           ;   in Loop: Header=BB1769_405 Depth=2
	ds_read_u16 v20, v50 offset:3072
	s_waitcnt lgkmcnt(0)
	v_cmp_ne_u16_e64 s[52:53], s68, v20
	v_cndmask_b32_e64 v20, v66, v20, s[52:53]
	v_lshrrev_b32_sdwa v20, s69, v20 dst_sel:DWORD dst_unused:UNUSED_PAD src0_sel:DWORD src1_sel:WORD_0
	v_and_b32_e32 v71, s78, v20
	s_or_b64 exec, exec, s[62:63]
	s_and_saveexec_b64 s[62:63], s[48:49]
	s_cbranch_execnz .LBB1769_498
	s_branch .LBB1769_499
.LBB1769_483:                           ;   in Loop: Header=BB1769_405 Depth=2
	s_or_b64 exec, exec, s[52:53]
	v_cmp_lt_u32_e64 s[52:53], v81, v93
	s_and_saveexec_b64 s[62:63], s[52:53]
	s_cbranch_execz .LBB1769_469
.LBB1769_484:                           ;   in Loop: Header=BB1769_405 Depth=2
	global_load_dwordx2 v[16:17], v[20:21], off offset:512
	s_or_b64 exec, exec, s[62:63]
	v_cmp_lt_u32_e64 s[52:53], v82, v93
	s_and_saveexec_b64 s[62:63], s[52:53]
	s_cbranch_execnz .LBB1769_470
.LBB1769_485:                           ;   in Loop: Header=BB1769_405 Depth=2
	s_or_b64 exec, exec, s[62:63]
	v_cmp_lt_u32_e64 s[52:53], v83, v93
	s_and_saveexec_b64 s[62:63], s[52:53]
	s_cbranch_execz .LBB1769_471
.LBB1769_486:                           ;   in Loop: Header=BB1769_405 Depth=2
	global_load_dwordx2 v[12:13], v[20:21], off offset:1536
	s_or_b64 exec, exec, s[62:63]
	v_cmp_lt_u32_e64 s[52:53], v84, v93
	s_and_saveexec_b64 s[62:63], s[52:53]
	s_cbranch_execnz .LBB1769_472
.LBB1769_487:                           ;   in Loop: Header=BB1769_405 Depth=2
	s_or_b64 exec, exec, s[62:63]
	v_cmp_lt_u32_e64 s[52:53], v85, v93
	s_and_saveexec_b64 s[62:63], s[52:53]
	s_cbranch_execz .LBB1769_473
.LBB1769_488:                           ;   in Loop: Header=BB1769_405 Depth=2
	global_load_dwordx2 v[8:9], v[20:21], off offset:2560
	s_or_b64 exec, exec, s[62:63]
	v_cmp_lt_u32_e64 s[52:53], v86, v93
	s_and_saveexec_b64 s[62:63], s[52:53]
	s_cbranch_execnz .LBB1769_474
.LBB1769_489:                           ;   in Loop: Header=BB1769_405 Depth=2
	s_or_b64 exec, exec, s[62:63]
	v_cmp_lt_u32_e64 s[52:53], v87, v93
	s_and_saveexec_b64 s[62:63], s[52:53]
	s_cbranch_execz .LBB1769_475
.LBB1769_490:                           ;   in Loop: Header=BB1769_405 Depth=2
	global_load_dwordx2 v[0:1], v[20:21], off offset:3584
	s_or_b64 exec, exec, s[62:63]
	s_and_saveexec_b64 s[62:63], vcc
	s_cbranch_execnz .LBB1769_476
.LBB1769_491:                           ;   in Loop: Header=BB1769_405 Depth=2
	s_or_b64 exec, exec, s[62:63]
	s_and_saveexec_b64 s[62:63], s[36:37]
	s_cbranch_execz .LBB1769_477
.LBB1769_492:                           ;   in Loop: Header=BB1769_405 Depth=2
	ds_read_u16 v20, v50 offset:512
	s_waitcnt lgkmcnt(0)
	v_cmp_ne_u16_e64 s[52:53], s68, v20
	v_cndmask_b32_e64 v20, v66, v20, s[52:53]
	v_lshrrev_b32_sdwa v20, s69, v20 dst_sel:DWORD dst_unused:UNUSED_PAD src0_sel:DWORD src1_sel:WORD_0
	v_and_b32_e32 v78, s78, v20
	s_or_b64 exec, exec, s[62:63]
	s_and_saveexec_b64 s[62:63], s[38:39]
	s_cbranch_execnz .LBB1769_478
.LBB1769_493:                           ;   in Loop: Header=BB1769_405 Depth=2
	s_or_b64 exec, exec, s[62:63]
	s_and_saveexec_b64 s[62:63], s[40:41]
	s_cbranch_execz .LBB1769_479
.LBB1769_494:                           ;   in Loop: Header=BB1769_405 Depth=2
	ds_read_u16 v20, v50 offset:1536
	s_waitcnt lgkmcnt(0)
	v_cmp_ne_u16_e64 s[52:53], s68, v20
	v_cndmask_b32_e64 v20, v66, v20, s[52:53]
	v_lshrrev_b32_sdwa v20, s69, v20 dst_sel:DWORD dst_unused:UNUSED_PAD src0_sel:DWORD src1_sel:WORD_0
	v_and_b32_e32 v75, s78, v20
	s_or_b64 exec, exec, s[62:63]
	s_and_saveexec_b64 s[62:63], s[42:43]
	s_cbranch_execnz .LBB1769_480
.LBB1769_495:                           ;   in Loop: Header=BB1769_405 Depth=2
	s_or_b64 exec, exec, s[62:63]
	s_and_saveexec_b64 s[62:63], s[44:45]
	s_cbranch_execz .LBB1769_481
.LBB1769_496:                           ;   in Loop: Header=BB1769_405 Depth=2
	ds_read_u16 v20, v50 offset:2560
	s_waitcnt lgkmcnt(0)
	v_cmp_ne_u16_e64 s[52:53], s68, v20
	v_cndmask_b32_e64 v20, v66, v20, s[52:53]
	v_lshrrev_b32_sdwa v20, s69, v20 dst_sel:DWORD dst_unused:UNUSED_PAD src0_sel:DWORD src1_sel:WORD_0
	v_and_b32_e32 v72, s78, v20
	s_or_b64 exec, exec, s[62:63]
	s_and_saveexec_b64 s[62:63], s[46:47]
	s_cbranch_execnz .LBB1769_482
.LBB1769_497:                           ;   in Loop: Header=BB1769_405 Depth=2
	s_or_b64 exec, exec, s[62:63]
	s_and_saveexec_b64 s[62:63], s[48:49]
	s_cbranch_execz .LBB1769_499
.LBB1769_498:                           ;   in Loop: Header=BB1769_405 Depth=2
	ds_read_u16 v20, v50 offset:3584
	s_waitcnt lgkmcnt(0)
	v_cmp_ne_u16_e64 s[52:53], s68, v20
	v_cndmask_b32_e64 v20, v66, v20, s[52:53]
	v_lshrrev_b32_sdwa v20, s69, v20 dst_sel:DWORD dst_unused:UNUSED_PAD src0_sel:DWORD src1_sel:WORD_0
	v_and_b32_e32 v70, s78, v20
.LBB1769_499:                           ;   in Loop: Header=BB1769_405 Depth=2
	s_or_b64 exec, exec, s[62:63]
	v_lshlrev_b32_e32 v20, 3, v103
	s_barrier
	s_waitcnt vmcnt(0)
	ds_write_b64 v20, v[18:19] offset:1024
	v_lshlrev_b32_e32 v20, 3, v100
	ds_write_b64 v20, v[16:17] offset:1024
	v_lshlrev_b32_e32 v20, 3, v99
	;; [unrolled: 2-line block ×7, first 2 shown]
	ds_write_b64 v20, v[0:1] offset:1024
	s_waitcnt lgkmcnt(0)
	s_barrier
	s_and_saveexec_b64 s[52:53], vcc
	s_cbranch_execz .LBB1769_507
; %bb.500:                              ;   in Loop: Header=BB1769_405 Depth=2
	v_lshlrev_b32_e32 v20, 2, v80
	ds_read_b32 v20, v20
	v_add_u32_e32 v22, v49, v51
	ds_read_b64 v[22:23], v22 offset:1024
	v_mov_b32_e32 v21, v4
	v_mov_b32_e32 v93, s65
	s_waitcnt lgkmcnt(1)
	v_add_u32_e32 v20, v20, v2
	v_lshlrev_b64 v[20:21], 3, v[20:21]
	v_add_co_u32_e32 v20, vcc, s64, v20
	v_addc_co_u32_e32 v21, vcc, v93, v21, vcc
	s_waitcnt lgkmcnt(0)
	global_store_dwordx2 v[20:21], v[22:23], off
	s_or_b64 exec, exec, s[52:53]
	s_and_saveexec_b64 s[52:53], s[36:37]
	s_cbranch_execnz .LBB1769_508
.LBB1769_501:                           ;   in Loop: Header=BB1769_405 Depth=2
	s_or_b64 exec, exec, s[52:53]
	s_and_saveexec_b64 s[36:37], s[38:39]
	s_cbranch_execz .LBB1769_509
.LBB1769_502:                           ;   in Loop: Header=BB1769_405 Depth=2
	v_lshlrev_b32_e32 v20, 2, v76
	ds_read_b32 v22, v20
	v_add_u32_e32 v20, v50, v51
	ds_read_b64 v[20:21], v20 offset:4096
	v_mov_b32_e32 v23, v4
	v_mov_b32_e32 v93, s65
	s_waitcnt lgkmcnt(1)
	v_add_u32_e32 v22, v22, v25
	v_lshlrev_b64 v[22:23], 3, v[22:23]
	v_add_co_u32_e32 v22, vcc, s64, v22
	v_addc_co_u32_e32 v23, vcc, v93, v23, vcc
	s_waitcnt lgkmcnt(0)
	global_store_dwordx2 v[22:23], v[20:21], off
	s_or_b64 exec, exec, s[36:37]
	s_and_saveexec_b64 s[36:37], s[40:41]
	s_cbranch_execnz .LBB1769_510
.LBB1769_503:                           ;   in Loop: Header=BB1769_405 Depth=2
	s_or_b64 exec, exec, s[36:37]
	s_and_saveexec_b64 s[36:37], s[42:43]
	s_cbranch_execz .LBB1769_511
.LBB1769_504:                           ;   in Loop: Header=BB1769_405 Depth=2
	v_lshlrev_b32_e32 v20, 2, v73
	ds_read_b32 v22, v20
	v_add_u32_e32 v20, v50, v51
	ds_read_b64 v[20:21], v20 offset:8192
	v_mov_b32_e32 v23, v4
	v_mov_b32_e32 v93, s65
	s_waitcnt lgkmcnt(1)
	v_add_u32_e32 v22, v22, v29
	v_lshlrev_b64 v[22:23], 3, v[22:23]
	v_add_co_u32_e32 v22, vcc, s64, v22
	v_addc_co_u32_e32 v23, vcc, v93, v23, vcc
	s_waitcnt lgkmcnt(0)
	global_store_dwordx2 v[22:23], v[20:21], off
	s_or_b64 exec, exec, s[36:37]
	s_and_saveexec_b64 s[36:37], s[44:45]
	s_cbranch_execnz .LBB1769_512
.LBB1769_505:                           ;   in Loop: Header=BB1769_405 Depth=2
	s_or_b64 exec, exec, s[36:37]
	s_and_saveexec_b64 s[36:37], s[46:47]
	s_cbranch_execz .LBB1769_513
.LBB1769_506:                           ;   in Loop: Header=BB1769_405 Depth=2
	v_lshlrev_b32_e32 v20, 2, v71
	ds_read_b32 v22, v20
	v_add_u32_e32 v20, v50, v51
	ds_read_b64 v[20:21], v20 offset:12288
	v_mov_b32_e32 v23, v4
	v_mov_b32_e32 v93, s65
	s_waitcnt lgkmcnt(1)
	v_add_u32_e32 v22, v22, v31
	v_lshlrev_b64 v[22:23], 3, v[22:23]
	v_add_co_u32_e32 v22, vcc, s64, v22
	v_addc_co_u32_e32 v23, vcc, v93, v23, vcc
	s_waitcnt lgkmcnt(0)
	global_store_dwordx2 v[22:23], v[20:21], off
	s_or_b64 exec, exec, s[36:37]
	s_and_saveexec_b64 s[36:37], s[48:49]
	s_cbranch_execnz .LBB1769_514
	s_branch .LBB1769_515
.LBB1769_507:                           ;   in Loop: Header=BB1769_405 Depth=2
	s_or_b64 exec, exec, s[52:53]
	s_and_saveexec_b64 s[52:53], s[36:37]
	s_cbranch_execz .LBB1769_501
.LBB1769_508:                           ;   in Loop: Header=BB1769_405 Depth=2
	v_lshlrev_b32_e32 v20, 2, v78
	ds_read_b32 v22, v20
	v_add_u32_e32 v20, v50, v51
	ds_read_b64 v[20:21], v20 offset:2048
	v_mov_b32_e32 v23, v4
	v_mov_b32_e32 v93, s65
	s_waitcnt lgkmcnt(1)
	v_add_u32_e32 v22, v22, v24
	v_lshlrev_b64 v[22:23], 3, v[22:23]
	v_add_co_u32_e32 v22, vcc, s64, v22
	v_addc_co_u32_e32 v23, vcc, v93, v23, vcc
	s_waitcnt lgkmcnt(0)
	global_store_dwordx2 v[22:23], v[20:21], off
	s_or_b64 exec, exec, s[52:53]
	s_and_saveexec_b64 s[36:37], s[38:39]
	s_cbranch_execnz .LBB1769_502
.LBB1769_509:                           ;   in Loop: Header=BB1769_405 Depth=2
	s_or_b64 exec, exec, s[36:37]
	s_and_saveexec_b64 s[36:37], s[40:41]
	s_cbranch_execz .LBB1769_503
.LBB1769_510:                           ;   in Loop: Header=BB1769_405 Depth=2
	v_lshlrev_b32_e32 v20, 2, v75
	ds_read_b32 v22, v20
	v_add_u32_e32 v20, v50, v51
	ds_read_b64 v[20:21], v20 offset:6144
	v_mov_b32_e32 v23, v4
	v_mov_b32_e32 v93, s65
	s_waitcnt lgkmcnt(1)
	v_add_u32_e32 v22, v22, v26
	v_lshlrev_b64 v[22:23], 3, v[22:23]
	v_add_co_u32_e32 v22, vcc, s64, v22
	v_addc_co_u32_e32 v23, vcc, v93, v23, vcc
	s_waitcnt lgkmcnt(0)
	global_store_dwordx2 v[22:23], v[20:21], off
	s_or_b64 exec, exec, s[36:37]
	s_and_saveexec_b64 s[36:37], s[42:43]
	s_cbranch_execnz .LBB1769_504
.LBB1769_511:                           ;   in Loop: Header=BB1769_405 Depth=2
	s_or_b64 exec, exec, s[36:37]
	s_and_saveexec_b64 s[36:37], s[44:45]
	s_cbranch_execz .LBB1769_505
.LBB1769_512:                           ;   in Loop: Header=BB1769_405 Depth=2
	v_lshlrev_b32_e32 v20, 2, v72
	ds_read_b32 v22, v20
	v_add_u32_e32 v20, v50, v51
	ds_read_b64 v[20:21], v20 offset:10240
	v_mov_b32_e32 v23, v4
	v_mov_b32_e32 v93, s65
	s_waitcnt lgkmcnt(1)
	v_add_u32_e32 v22, v22, v30
	v_lshlrev_b64 v[22:23], 3, v[22:23]
	v_add_co_u32_e32 v22, vcc, s64, v22
	v_addc_co_u32_e32 v23, vcc, v93, v23, vcc
	s_waitcnt lgkmcnt(0)
	global_store_dwordx2 v[22:23], v[20:21], off
	s_or_b64 exec, exec, s[36:37]
	s_and_saveexec_b64 s[36:37], s[46:47]
	s_cbranch_execnz .LBB1769_506
.LBB1769_513:                           ;   in Loop: Header=BB1769_405 Depth=2
	s_or_b64 exec, exec, s[36:37]
	s_and_saveexec_b64 s[36:37], s[48:49]
	s_cbranch_execz .LBB1769_515
.LBB1769_514:                           ;   in Loop: Header=BB1769_405 Depth=2
	v_lshlrev_b32_e32 v20, 2, v70
	ds_read_b32 v22, v20
	v_add_u32_e32 v20, v50, v51
	ds_read_b64 v[20:21], v20 offset:14336
	v_mov_b32_e32 v23, v4
	v_mov_b32_e32 v93, s65
	s_waitcnt lgkmcnt(1)
	v_add_u32_e32 v22, v22, v32
	v_lshlrev_b64 v[22:23], 3, v[22:23]
	v_add_co_u32_e32 v22, vcc, s64, v22
	v_addc_co_u32_e32 v23, vcc, v93, v23, vcc
	s_waitcnt lgkmcnt(0)
	global_store_dwordx2 v[22:23], v[20:21], off
.LBB1769_515:                           ;   in Loop: Header=BB1769_405 Depth=2
	s_or_b64 exec, exec, s[36:37]
	s_barrier
	s_and_saveexec_b64 s[36:37], s[4:5]
	s_cbranch_execz .LBB1769_404
; %bb.516:                              ;   in Loop: Header=BB1769_405 Depth=2
	ds_read_b32 v20, v3
	s_waitcnt lgkmcnt(0)
	v_add_u32_e32 v5, v20, v5
	ds_write_b32 v3, v5
	s_branch .LBB1769_404
.LBB1769_517:                           ;   in Loop: Header=BB1769_17 Depth=1
	s_waitcnt lgkmcnt(0)
	s_barrier
	s_mov_b64 s[16:17], 0
.LBB1769_518:                           ;   in Loop: Header=BB1769_17 Depth=1
	s_and_b64 vcc, exec, s[16:17]
	s_cbranch_vccz .LBB1769_16
; %bb.519:                              ;   in Loop: Header=BB1769_17 Depth=1
	s_mov_b32 s22, s71
	s_mov_b32 s72, s51
	s_barrier
	s_waitcnt lgkmcnt(0)
                                        ; implicit-def: $vgpr12
                                        ; implicit-def: $vgpr5
                                        ; implicit-def: $vgpr6
                                        ; implicit-def: $vgpr7
                                        ; implicit-def: $vgpr8
                                        ; implicit-def: $vgpr9
                                        ; implicit-def: $vgpr10
                                        ; implicit-def: $vgpr11
	s_branch .LBB1769_521
.LBB1769_520:                           ;   in Loop: Header=BB1769_521 Depth=2
	s_or_b64 exec, exec, s[16:17]
	s_addk_i32 s22, 0xf800
	s_cmp_ge_u32 s23, s76
	s_mov_b32 s72, s23
	s_cbranch_scc1 .LBB1769_559
.LBB1769_521:                           ;   Parent Loop BB1769_17 Depth=1
                                        ; =>  This Inner Loop Header: Depth=2
	s_add_i32 s23, s72, 0x800
	s_cmp_gt_u32 s23, s76
	s_cbranch_scc1 .LBB1769_524
; %bb.522:                              ;   in Loop: Header=BB1769_521 Depth=2
	s_lshl_b64 s[16:17], s[72:73], 1
	v_mov_b32_e32 v1, s17
	v_add_co_u32_e32 v0, vcc, s16, v58
	v_addc_co_u32_e32 v1, vcc, v59, v1, vcc
	global_load_ushort v14, v[0:1], off
	global_load_ushort v15, v[0:1], off offset:512
	global_load_ushort v16, v[0:1], off offset:1024
	;; [unrolled: 1-line block ×6, first 2 shown]
	v_add_co_u32_e32 v0, vcc, 0xe00, v0
	v_addc_co_u32_e32 v1, vcc, 0, v1, vcc
	s_mov_b64 s[16:17], -1
	s_movk_i32 s24, 0x800
	s_cbranch_execz .LBB1769_525
; %bb.523:                              ;   in Loop: Header=BB1769_521 Depth=2
                                        ; implicit-def: $vgpr11
                                        ; implicit-def: $vgpr10
                                        ; implicit-def: $vgpr9
                                        ; implicit-def: $vgpr8
                                        ; implicit-def: $vgpr7
                                        ; implicit-def: $vgpr6
                                        ; implicit-def: $vgpr5
                                        ; implicit-def: $vgpr12
	v_mov_b32_e32 v13, s22
	s_and_saveexec_b64 s[18:19], s[16:17]
	s_cbranch_execnz .LBB1769_536
	s_branch .LBB1769_537
.LBB1769_524:                           ;   in Loop: Header=BB1769_521 Depth=2
	s_mov_b64 s[16:17], 0
                                        ; implicit-def: $sgpr24
                                        ; implicit-def: $vgpr14
                                        ; implicit-def: $vgpr15
                                        ; implicit-def: $vgpr16
                                        ; implicit-def: $vgpr17
                                        ; implicit-def: $vgpr18
                                        ; implicit-def: $vgpr19
                                        ; implicit-def: $vgpr20
                                        ; implicit-def: $vgpr0_vgpr1
.LBB1769_525:                           ;   in Loop: Header=BB1769_521 Depth=2
	s_lshl_b64 s[18:19], s[72:73], 1
	s_add_u32 s18, s56, s18
	s_addc_u32 s19, s57, s19
	v_cmp_gt_u32_e32 vcc, s22, v2
	s_and_saveexec_b64 s[20:21], vcc
	s_cbranch_execz .LBB1769_553
; %bb.526:                              ;   in Loop: Header=BB1769_521 Depth=2
	global_load_ushort v11, v65, s[18:19]
	s_or_b64 exec, exec, s[20:21]
	v_cmp_gt_u32_e32 vcc, s22, v24
	s_and_saveexec_b64 s[20:21], vcc
	s_cbranch_execnz .LBB1769_554
.LBB1769_527:                           ;   in Loop: Header=BB1769_521 Depth=2
	s_or_b64 exec, exec, s[20:21]
	v_cmp_gt_u32_e32 vcc, s22, v25
	s_and_saveexec_b64 s[20:21], vcc
	s_cbranch_execz .LBB1769_555
.LBB1769_528:                           ;   in Loop: Header=BB1769_521 Depth=2
	global_load_ushort v9, v65, s[18:19] offset:1024
	s_or_b64 exec, exec, s[20:21]
	v_cmp_gt_u32_e32 vcc, s22, v26
	s_and_saveexec_b64 s[20:21], vcc
	s_cbranch_execnz .LBB1769_556
.LBB1769_529:                           ;   in Loop: Header=BB1769_521 Depth=2
	s_or_b64 exec, exec, s[20:21]
	v_cmp_gt_u32_e32 vcc, s22, v29
	s_and_saveexec_b64 s[20:21], vcc
	s_cbranch_execz .LBB1769_557
.LBB1769_530:                           ;   in Loop: Header=BB1769_521 Depth=2
	global_load_ushort v7, v65, s[18:19] offset:2048
	s_or_b64 exec, exec, s[20:21]
	v_cmp_gt_u32_e32 vcc, s22, v30
	s_and_saveexec_b64 s[20:21], vcc
	s_cbranch_execnz .LBB1769_558
.LBB1769_531:                           ;   in Loop: Header=BB1769_521 Depth=2
	s_or_b64 exec, exec, s[20:21]
	v_cmp_gt_u32_e32 vcc, s22, v31
	s_and_saveexec_b64 s[20:21], vcc
	s_cbranch_execz .LBB1769_533
.LBB1769_532:                           ;   in Loop: Header=BB1769_521 Depth=2
	global_load_ushort v5, v65, s[18:19] offset:3072
.LBB1769_533:                           ;   in Loop: Header=BB1769_521 Depth=2
	s_or_b64 exec, exec, s[20:21]
	v_cmp_gt_u32_e32 vcc, s22, v32
                                        ; implicit-def: $sgpr24
                                        ; implicit-def: $vgpr0_vgpr1
	s_and_saveexec_b64 s[20:21], vcc
	s_cbranch_execz .LBB1769_535
; %bb.534:                              ;   in Loop: Header=BB1769_521 Depth=2
	v_mov_b32_e32 v0, s19
	v_add_co_u32_e32 v1, vcc, s18, v65
	s_waitcnt vmcnt(0)
	v_addc_co_u32_e32 v12, vcc, 0, v0, vcc
	v_add_co_u32_e32 v0, vcc, 0xe00, v1
	s_sub_i32 s24, s76, s72
	v_addc_co_u32_e32 v1, vcc, 0, v12, vcc
	s_or_b64 s[16:17], s[16:17], exec
                                        ; implicit-def: $vgpr12
.LBB1769_535:                           ;   in Loop: Header=BB1769_521 Depth=2
	s_or_b64 exec, exec, s[20:21]
	s_waitcnt vmcnt(0)
	v_mov_b32_e32 v14, v11
	v_mov_b32_e32 v15, v10
	;; [unrolled: 1-line block ×8, first 2 shown]
	s_and_saveexec_b64 s[18:19], s[16:17]
	s_cbranch_execz .LBB1769_537
.LBB1769_536:                           ;   in Loop: Header=BB1769_521 Depth=2
	global_load_ushort v12, v[0:1], off
	v_mov_b32_e32 v13, s24
	s_waitcnt vmcnt(1)
	v_mov_b32_e32 v5, v20
	v_mov_b32_e32 v6, v19
	;; [unrolled: 1-line block ×7, first 2 shown]
.LBB1769_537:                           ;   in Loop: Header=BB1769_521 Depth=2
	s_or_b64 exec, exec, s[18:19]
	v_cmp_lt_u32_e32 vcc, v2, v13
	s_and_saveexec_b64 s[16:17], vcc
	s_cbranch_execz .LBB1769_545
; %bb.538:                              ;   in Loop: Header=BB1769_521 Depth=2
	v_cmp_gt_i16_e32 vcc, 0, v11
	v_cndmask_b32_e64 v0, v66, 0, vcc
	v_xor_b32_e32 v0, v0, v11
	v_cmp_ne_u16_e32 vcc, s68, v0
	v_cndmask_b32_e32 v0, v66, v0, vcc
	v_lshrrev_b32_sdwa v0, s69, v0 dst_sel:DWORD dst_unused:UNUSED_PAD src0_sel:DWORD src1_sel:WORD_0
	v_and_b32_e32 v0, s78, v0
	v_lshl_or_b32 v0, v0, 4, v67
	ds_add_u32 v0, v64
	s_or_b64 exec, exec, s[16:17]
	v_cmp_lt_u32_e32 vcc, v24, v13
	s_and_saveexec_b64 s[16:17], vcc
	s_cbranch_execnz .LBB1769_546
.LBB1769_539:                           ;   in Loop: Header=BB1769_521 Depth=2
	s_or_b64 exec, exec, s[16:17]
	v_cmp_lt_u32_e32 vcc, v25, v13
	s_and_saveexec_b64 s[16:17], vcc
	s_cbranch_execz .LBB1769_547
.LBB1769_540:                           ;   in Loop: Header=BB1769_521 Depth=2
	v_cmp_gt_i16_e32 vcc, 0, v9
	v_cndmask_b32_e64 v0, v66, 0, vcc
	v_xor_b32_e32 v0, v0, v9
	v_cmp_ne_u16_e32 vcc, s68, v0
	v_cndmask_b32_e32 v0, v66, v0, vcc
	v_lshrrev_b32_sdwa v0, s69, v0 dst_sel:DWORD dst_unused:UNUSED_PAD src0_sel:DWORD src1_sel:WORD_0
	v_and_b32_e32 v0, s78, v0
	v_lshl_or_b32 v0, v0, 4, v67
	ds_add_u32 v0, v64
	s_or_b64 exec, exec, s[16:17]
	v_cmp_lt_u32_e32 vcc, v26, v13
	s_and_saveexec_b64 s[16:17], vcc
	s_cbranch_execnz .LBB1769_548
.LBB1769_541:                           ;   in Loop: Header=BB1769_521 Depth=2
	s_or_b64 exec, exec, s[16:17]
	v_cmp_lt_u32_e32 vcc, v29, v13
	s_and_saveexec_b64 s[16:17], vcc
	s_cbranch_execz .LBB1769_549
.LBB1769_542:                           ;   in Loop: Header=BB1769_521 Depth=2
	v_cmp_gt_i16_e32 vcc, 0, v7
	v_cndmask_b32_e64 v0, v66, 0, vcc
	v_xor_b32_e32 v0, v0, v7
	v_cmp_ne_u16_e32 vcc, s68, v0
	v_cndmask_b32_e32 v0, v66, v0, vcc
	v_lshrrev_b32_sdwa v0, s69, v0 dst_sel:DWORD dst_unused:UNUSED_PAD src0_sel:DWORD src1_sel:WORD_0
	v_and_b32_e32 v0, s78, v0
	v_lshl_or_b32 v0, v0, 4, v67
	ds_add_u32 v0, v64
	s_or_b64 exec, exec, s[16:17]
	v_cmp_lt_u32_e32 vcc, v30, v13
	s_and_saveexec_b64 s[16:17], vcc
	s_cbranch_execnz .LBB1769_550
.LBB1769_543:                           ;   in Loop: Header=BB1769_521 Depth=2
	s_or_b64 exec, exec, s[16:17]
	v_cmp_lt_u32_e32 vcc, v31, v13
	s_and_saveexec_b64 s[16:17], vcc
	s_cbranch_execz .LBB1769_551
.LBB1769_544:                           ;   in Loop: Header=BB1769_521 Depth=2
	v_cmp_gt_i16_e32 vcc, 0, v5
	v_cndmask_b32_e64 v0, v66, 0, vcc
	v_xor_b32_e32 v0, v0, v5
	v_cmp_ne_u16_e32 vcc, s68, v0
	v_cndmask_b32_e32 v0, v66, v0, vcc
	v_lshrrev_b32_sdwa v0, s69, v0 dst_sel:DWORD dst_unused:UNUSED_PAD src0_sel:DWORD src1_sel:WORD_0
	v_and_b32_e32 v0, s78, v0
	v_lshl_or_b32 v0, v0, 4, v67
	ds_add_u32 v0, v64
	s_or_b64 exec, exec, s[16:17]
	v_cmp_lt_u32_e32 vcc, v32, v13
	s_and_saveexec_b64 s[16:17], vcc
	s_cbranch_execz .LBB1769_520
	s_branch .LBB1769_552
.LBB1769_545:                           ;   in Loop: Header=BB1769_521 Depth=2
	s_or_b64 exec, exec, s[16:17]
	v_cmp_lt_u32_e32 vcc, v24, v13
	s_and_saveexec_b64 s[16:17], vcc
	s_cbranch_execz .LBB1769_539
.LBB1769_546:                           ;   in Loop: Header=BB1769_521 Depth=2
	v_cmp_gt_i16_e32 vcc, 0, v10
	v_cndmask_b32_e64 v0, v66, 0, vcc
	v_xor_b32_e32 v0, v0, v10
	v_cmp_ne_u16_e32 vcc, s68, v0
	v_cndmask_b32_e32 v0, v66, v0, vcc
	v_lshrrev_b32_sdwa v0, s69, v0 dst_sel:DWORD dst_unused:UNUSED_PAD src0_sel:DWORD src1_sel:WORD_0
	v_and_b32_e32 v0, s78, v0
	v_lshl_or_b32 v0, v0, 4, v67
	ds_add_u32 v0, v64
	s_or_b64 exec, exec, s[16:17]
	v_cmp_lt_u32_e32 vcc, v25, v13
	s_and_saveexec_b64 s[16:17], vcc
	s_cbranch_execnz .LBB1769_540
.LBB1769_547:                           ;   in Loop: Header=BB1769_521 Depth=2
	s_or_b64 exec, exec, s[16:17]
	v_cmp_lt_u32_e32 vcc, v26, v13
	s_and_saveexec_b64 s[16:17], vcc
	s_cbranch_execz .LBB1769_541
.LBB1769_548:                           ;   in Loop: Header=BB1769_521 Depth=2
	v_cmp_gt_i16_e32 vcc, 0, v8
	v_cndmask_b32_e64 v0, v66, 0, vcc
	v_xor_b32_e32 v0, v0, v8
	v_cmp_ne_u16_e32 vcc, s68, v0
	v_cndmask_b32_e32 v0, v66, v0, vcc
	v_lshrrev_b32_sdwa v0, s69, v0 dst_sel:DWORD dst_unused:UNUSED_PAD src0_sel:DWORD src1_sel:WORD_0
	v_and_b32_e32 v0, s78, v0
	v_lshl_or_b32 v0, v0, 4, v67
	ds_add_u32 v0, v64
	s_or_b64 exec, exec, s[16:17]
	v_cmp_lt_u32_e32 vcc, v29, v13
	s_and_saveexec_b64 s[16:17], vcc
	s_cbranch_execnz .LBB1769_542
.LBB1769_549:                           ;   in Loop: Header=BB1769_521 Depth=2
	s_or_b64 exec, exec, s[16:17]
	v_cmp_lt_u32_e32 vcc, v30, v13
	s_and_saveexec_b64 s[16:17], vcc
	s_cbranch_execz .LBB1769_543
.LBB1769_550:                           ;   in Loop: Header=BB1769_521 Depth=2
	v_cmp_gt_i16_e32 vcc, 0, v6
	v_cndmask_b32_e64 v0, v66, 0, vcc
	v_xor_b32_e32 v0, v0, v6
	v_cmp_ne_u16_e32 vcc, s68, v0
	v_cndmask_b32_e32 v0, v66, v0, vcc
	v_lshrrev_b32_sdwa v0, s69, v0 dst_sel:DWORD dst_unused:UNUSED_PAD src0_sel:DWORD src1_sel:WORD_0
	v_and_b32_e32 v0, s78, v0
	v_lshl_or_b32 v0, v0, 4, v67
	ds_add_u32 v0, v64
	s_or_b64 exec, exec, s[16:17]
	v_cmp_lt_u32_e32 vcc, v31, v13
	s_and_saveexec_b64 s[16:17], vcc
	s_cbranch_execnz .LBB1769_544
.LBB1769_551:                           ;   in Loop: Header=BB1769_521 Depth=2
	s_or_b64 exec, exec, s[16:17]
	v_cmp_lt_u32_e32 vcc, v32, v13
	s_and_saveexec_b64 s[16:17], vcc
	s_cbranch_execz .LBB1769_520
.LBB1769_552:                           ;   in Loop: Header=BB1769_521 Depth=2
	s_waitcnt vmcnt(0)
	v_cmp_gt_i16_e32 vcc, 0, v12
	v_cndmask_b32_e64 v0, v66, 0, vcc
	v_xor_b32_e32 v0, v0, v12
	v_cmp_ne_u16_e32 vcc, s68, v0
	v_cndmask_b32_e32 v0, v66, v0, vcc
	v_lshrrev_b32_sdwa v0, s69, v0 dst_sel:DWORD dst_unused:UNUSED_PAD src0_sel:DWORD src1_sel:WORD_0
	v_and_b32_e32 v0, s78, v0
	v_lshl_or_b32 v0, v0, 4, v67
	ds_add_u32 v0, v64
	s_branch .LBB1769_520
.LBB1769_553:                           ;   in Loop: Header=BB1769_521 Depth=2
	s_or_b64 exec, exec, s[20:21]
	v_cmp_gt_u32_e32 vcc, s22, v24
	s_and_saveexec_b64 s[20:21], vcc
	s_cbranch_execz .LBB1769_527
.LBB1769_554:                           ;   in Loop: Header=BB1769_521 Depth=2
	global_load_ushort v10, v65, s[18:19] offset:512
	s_or_b64 exec, exec, s[20:21]
	v_cmp_gt_u32_e32 vcc, s22, v25
	s_and_saveexec_b64 s[20:21], vcc
	s_cbranch_execnz .LBB1769_528
.LBB1769_555:                           ;   in Loop: Header=BB1769_521 Depth=2
	s_or_b64 exec, exec, s[20:21]
	v_cmp_gt_u32_e32 vcc, s22, v26
	s_and_saveexec_b64 s[20:21], vcc
	s_cbranch_execz .LBB1769_529
.LBB1769_556:                           ;   in Loop: Header=BB1769_521 Depth=2
	global_load_ushort v8, v65, s[18:19] offset:1536
	s_or_b64 exec, exec, s[20:21]
	v_cmp_gt_u32_e32 vcc, s22, v29
	s_and_saveexec_b64 s[20:21], vcc
	s_cbranch_execnz .LBB1769_530
.LBB1769_557:                           ;   in Loop: Header=BB1769_521 Depth=2
	s_or_b64 exec, exec, s[20:21]
	v_cmp_gt_u32_e32 vcc, s22, v30
	s_and_saveexec_b64 s[20:21], vcc
	s_cbranch_execz .LBB1769_531
.LBB1769_558:                           ;   in Loop: Header=BB1769_521 Depth=2
	global_load_ushort v6, v65, s[18:19] offset:2560
	s_or_b64 exec, exec, s[20:21]
	v_cmp_gt_u32_e32 vcc, s22, v31
	s_and_saveexec_b64 s[20:21], vcc
	s_cbranch_execz .LBB1769_533
	s_branch .LBB1769_532
.LBB1769_559:                           ;   in Loop: Header=BB1769_17 Depth=1
	v_mov_b32_e32 v0, 0
	s_waitcnt lgkmcnt(0)
	s_barrier
	s_and_saveexec_b64 s[16:17], s[4:5]
	s_cbranch_execz .LBB1769_561
; %bb.560:                              ;   in Loop: Header=BB1769_17 Depth=1
	ds_read2_b64 v[6:9], v33 offset1:1
	s_waitcnt lgkmcnt(0)
	v_add_u32_e32 v0, v7, v6
	v_add3_u32 v0, v0, v8, v9
.LBB1769_561:                           ;   in Loop: Header=BB1769_17 Depth=1
	s_or_b64 exec, exec, s[16:17]
	v_and_b32_e32 v1, 15, v68
	v_mov_b32_dpp v5, v0 row_shr:1 row_mask:0xf bank_mask:0xf
	v_cmp_eq_u32_e64 s[16:17], 0, v1
	v_cndmask_b32_e64 v5, v5, 0, s[16:17]
	v_add_u32_e32 v0, v5, v0
	v_cmp_lt_u32_e64 s[18:19], 1, v1
	v_cmp_lt_u32_e64 s[20:21], 3, v1
	v_mov_b32_dpp v5, v0 row_shr:2 row_mask:0xf bank_mask:0xf
	v_cndmask_b32_e64 v5, 0, v5, s[18:19]
	v_add_u32_e32 v0, v0, v5
	v_cmp_lt_u32_e64 s[22:23], 7, v1
	v_cmp_lt_u32_e64 s[26:27], 31, v68
	v_mov_b32_dpp v5, v0 row_shr:4 row_mask:0xf bank_mask:0xf
	v_cndmask_b32_e64 v5, 0, v5, s[20:21]
	v_add_u32_e32 v0, v0, v5
	v_and_b32_e32 v6, 16, v68
	v_cmp_eq_u32_e64 s[24:25], 0, v6
	v_mov_b32_dpp v5, v0 row_shr:8 row_mask:0xf bank_mask:0xf
	v_cndmask_b32_e64 v1, 0, v5, s[22:23]
	v_add_u32_e32 v0, v0, v1
	v_bfe_i32 v5, v68, 4, 1
	s_nop 0
	v_mov_b32_dpp v1, v0 row_bcast:15 row_mask:0xf bank_mask:0xf
	v_and_b32_e32 v1, v5, v1
	v_add_u32_e32 v0, v0, v1
	s_nop 1
	v_mov_b32_dpp v1, v0 row_bcast:31 row_mask:0xf bank_mask:0xf
	v_cndmask_b32_e64 v1, 0, v1, s[26:27]
	v_add_u32_e32 v1, v0, v1
	s_and_saveexec_b64 s[28:29], s[6:7]
	s_cbranch_execz .LBB1769_563
; %bb.562:                              ;   in Loop: Header=BB1769_17 Depth=1
	ds_write_b32 v35, v1
.LBB1769_563:                           ;   in Loop: Header=BB1769_17 Depth=1
	s_or_b64 exec, exec, s[28:29]
	v_and_b32_e32 v0, 3, v68
	s_waitcnt lgkmcnt(0)
	s_barrier
	s_and_saveexec_b64 s[28:29], s[8:9]
	s_cbranch_execz .LBB1769_565
; %bb.564:                              ;   in Loop: Header=BB1769_17 Depth=1
	ds_read_b32 v5, v36
	v_cmp_ne_u32_e32 vcc, 0, v0
	s_waitcnt lgkmcnt(0)
	v_mov_b32_dpp v6, v5 row_shr:1 row_mask:0xf bank_mask:0xf
	v_cndmask_b32_e32 v6, 0, v6, vcc
	v_add_u32_e32 v5, v6, v5
	v_cmp_lt_u32_e32 vcc, 1, v0
	s_nop 0
	v_mov_b32_dpp v6, v5 row_shr:2 row_mask:0xf bank_mask:0xf
	v_cndmask_b32_e32 v6, 0, v6, vcc
	v_add_u32_e32 v5, v5, v6
	ds_write_b32 v36, v5
.LBB1769_565:                           ;   in Loop: Header=BB1769_17 Depth=1
	s_or_b64 exec, exec, s[28:29]
	v_mov_b32_e32 v5, 0
	s_waitcnt lgkmcnt(0)
	s_barrier
	s_and_saveexec_b64 s[28:29], s[10:11]
	s_cbranch_execz .LBB1769_567
; %bb.566:                              ;   in Loop: Header=BB1769_17 Depth=1
	ds_read_b32 v5, v37
.LBB1769_567:                           ;   in Loop: Header=BB1769_17 Depth=1
	s_or_b64 exec, exec, s[28:29]
	v_add_u32_e32 v6, -1, v68
	v_and_b32_e32 v7, 64, v68
	v_cmp_lt_i32_e32 vcc, v6, v7
	v_cndmask_b32_e32 v6, v6, v68, vcc
	s_waitcnt lgkmcnt(0)
	v_add_u32_e32 v1, v5, v1
	v_lshlrev_b32_e32 v69, 2, v6
	ds_bpermute_b32 v1, v69, v1
	v_cmp_eq_u32_e64 s[28:29], 0, v68
	s_waitcnt lgkmcnt(0)
	s_barrier
	s_and_saveexec_b64 s[30:31], s[4:5]
	s_cbranch_execz .LBB1769_569
; %bb.568:                              ;   in Loop: Header=BB1769_17 Depth=1
	v_cndmask_b32_e64 v1, v1, v5, s[28:29]
	v_add_u32_e32 v1, s51, v1
	ds_write_b32 v3, v1
.LBB1769_569:                           ;   in Loop: Header=BB1769_17 Depth=1
	s_or_b64 exec, exec, s[30:31]
	s_load_dwordx2 s[30:31], s[74:75], 0x0
	v_and_b32_e32 v21, 63, v68
	v_lshlrev_b32_e32 v22, 3, v21
	v_add_co_u32_e32 v77, vcc, v60, v22
	s_waitcnt lgkmcnt(0)
	s_cmp_lt_u32 s50, s30
	s_cselect_b32 s34, 12, 18
	s_cmp_lt_u32 s33, s31
	s_cselect_b32 s30, 14, 20
	s_add_u32 s30, s74, s30
	s_addc_u32 s31, s75, 0
	s_add_u32 s34, s74, s34
	global_load_ushort v5, v4, s[30:31]
	s_addc_u32 s35, s75, 0
	global_load_ushort v20, v4, s[34:35]
	v_or_b32_e32 v74, v21, v38
	v_lshlrev_b32_e32 v21, 1, v21
	v_addc_co_u32_e32 v79, vcc, 0, v61, vcc
	v_add_co_u32_e32 v88, vcc, v62, v21
	v_addc_co_u32_e32 v89, vcc, 0, v63, vcc
	v_add_co_u32_e32 v90, vcc, 0x380, v88
	v_cmp_eq_u32_e64 s[30:31], 0, v0
	v_cmp_lt_u32_e64 s[34:35], 1, v0
	s_mov_b32 s79, s71
	v_or_b32_e32 v81, 64, v74
	v_or_b32_e32 v82, 0x80, v74
	;; [unrolled: 1-line block ×7, first 2 shown]
	v_addc_co_u32_e32 v91, vcc, 0, v89, vcc
	s_mov_b32 s72, s51
                                        ; implicit-def: $vgpr0_vgpr1
                                        ; implicit-def: $vgpr6_vgpr7
                                        ; implicit-def: $vgpr8_vgpr9
                                        ; implicit-def: $vgpr10_vgpr11
                                        ; implicit-def: $vgpr12_vgpr13
                                        ; implicit-def: $vgpr14_vgpr15
                                        ; implicit-def: $vgpr16_vgpr17
                                        ; implicit-def: $vgpr18_vgpr19
                                        ; implicit-def: $vgpr70
                                        ; implicit-def: $vgpr71
                                        ; implicit-def: $vgpr72
                                        ; implicit-def: $vgpr73
                                        ; implicit-def: $vgpr75
                                        ; implicit-def: $vgpr76
                                        ; implicit-def: $vgpr78
                                        ; implicit-def: $vgpr80
	s_waitcnt vmcnt(1)
	v_mad_u32_u24 v5, v39, v5, v40
	s_waitcnt vmcnt(0)
	v_mad_u64_u32 v[20:21], s[36:37], v5, v20, v[2:3]
	v_lshrrev_b32_e32 v92, 6, v20
	s_branch .LBB1769_571
.LBB1769_570:                           ;   in Loop: Header=BB1769_571 Depth=2
	s_or_b64 exec, exec, s[36:37]
	s_addk_i32 s79, 0xf800
	s_cmp_lt_u32 s80, s76
	s_mov_b32 s72, s80
	s_cbranch_scc0 .LBB1769_15
.LBB1769_571:                           ;   Parent Loop BB1769_17 Depth=1
                                        ; =>  This Inner Loop Header: Depth=2
	s_add_i32 s80, s72, 0x800
	s_cmp_gt_u32 s80, s76
	s_cbranch_scc1 .LBB1769_574
; %bb.572:                              ;   in Loop: Header=BB1769_571 Depth=2
	s_lshl_b64 s[36:37], s[72:73], 1
	v_mov_b32_e32 v5, s37
	v_add_co_u32_e32 v20, vcc, s36, v88
	v_addc_co_u32_e32 v21, vcc, v89, v5, vcc
	global_load_ushort v5, v[20:21], off
	global_load_ushort v97, v[20:21], off offset:128
	global_load_ushort v101, v[20:21], off offset:256
	;; [unrolled: 1-line block ×6, first 2 shown]
	s_mov_b64 s[36:37], -1
	s_movk_i32 s40, 0x800
	s_cbranch_execz .LBB1769_575
; %bb.573:                              ;   in Loop: Header=BB1769_571 Depth=2
                                        ; implicit-def: $sgpr38
	v_mov_b32_e32 v23, s38
	v_mov_b32_e32 v93, s79
	s_and_saveexec_b64 s[38:39], s[36:37]
	s_cbranch_execnz .LBB1769_590
	s_branch .LBB1769_591
.LBB1769_574:                           ;   in Loop: Header=BB1769_571 Depth=2
	s_mov_b64 s[36:37], 0
                                        ; implicit-def: $sgpr40
                                        ; implicit-def: $vgpr5
                                        ; implicit-def: $vgpr97
                                        ; implicit-def: $vgpr101
                                        ; implicit-def: $vgpr106
                                        ; implicit-def: $vgpr109
                                        ; implicit-def: $vgpr104
                                        ; implicit-def: $vgpr22
.LBB1769_575:                           ;   in Loop: Header=BB1769_571 Depth=2
	s_lshl_b64 s[36:37], s[72:73], 1
	s_waitcnt vmcnt(6)
	v_mov_b32_e32 v5, s37
	v_add_co_u32_e32 v20, vcc, s36, v88
	v_addc_co_u32_e32 v21, vcc, v89, v5, vcc
	v_cmp_gt_u32_e32 vcc, s79, v74
	s_waitcnt vmcnt(5)
	v_mov_b32_e32 v97, -1
	v_mov_b32_e32 v5, -1
	s_and_saveexec_b64 s[36:37], vcc
	s_cbranch_execz .LBB1769_577
; %bb.576:                              ;   in Loop: Header=BB1769_571 Depth=2
	global_load_ushort v5, v[20:21], off
.LBB1769_577:                           ;   in Loop: Header=BB1769_571 Depth=2
	s_or_b64 exec, exec, s[36:37]
	v_cmp_gt_u32_e32 vcc, s79, v81
	s_and_saveexec_b64 s[36:37], vcc
	s_cbranch_execz .LBB1769_579
; %bb.578:                              ;   in Loop: Header=BB1769_571 Depth=2
	global_load_ushort v97, v[20:21], off offset:128
.LBB1769_579:                           ;   in Loop: Header=BB1769_571 Depth=2
	s_or_b64 exec, exec, s[36:37]
	v_cmp_gt_u32_e32 vcc, s79, v82
	s_waitcnt vmcnt(3)
	v_mov_b32_e32 v106, -1
	v_mov_b32_e32 v101, -1
	s_and_saveexec_b64 s[36:37], vcc
	s_cbranch_execz .LBB1769_581
; %bb.580:                              ;   in Loop: Header=BB1769_571 Depth=2
	global_load_ushort v101, v[20:21], off offset:256
.LBB1769_581:                           ;   in Loop: Header=BB1769_571 Depth=2
	s_or_b64 exec, exec, s[36:37]
	v_cmp_gt_u32_e32 vcc, s79, v83
	s_and_saveexec_b64 s[36:37], vcc
	s_cbranch_execz .LBB1769_583
; %bb.582:                              ;   in Loop: Header=BB1769_571 Depth=2
	global_load_ushort v106, v[20:21], off offset:384
.LBB1769_583:                           ;   in Loop: Header=BB1769_571 Depth=2
	s_or_b64 exec, exec, s[36:37]
	v_cmp_gt_u32_e32 vcc, s79, v84
	s_waitcnt vmcnt(1)
	v_mov_b32_e32 v104, -1
	v_mov_b32_e32 v109, -1
	s_and_saveexec_b64 s[36:37], vcc
	s_cbranch_execz .LBB1769_585
; %bb.584:                              ;   in Loop: Header=BB1769_571 Depth=2
	global_load_ushort v109, v[20:21], off offset:512
.LBB1769_585:                           ;   in Loop: Header=BB1769_571 Depth=2
	s_or_b64 exec, exec, s[36:37]
	v_cmp_gt_u32_e32 vcc, s79, v85
	s_and_saveexec_b64 s[36:37], vcc
	s_cbranch_execz .LBB1769_587
; %bb.586:                              ;   in Loop: Header=BB1769_571 Depth=2
	global_load_ushort v104, v[20:21], off offset:640
.LBB1769_587:                           ;   in Loop: Header=BB1769_571 Depth=2
	s_or_b64 exec, exec, s[36:37]
	v_cmp_gt_u32_e32 vcc, s79, v86
	s_waitcnt vmcnt(0)
	v_mov_b32_e32 v22, -1
	s_and_saveexec_b64 s[36:37], vcc
	s_cbranch_execz .LBB1769_589
; %bb.588:                              ;   in Loop: Header=BB1769_571 Depth=2
	global_load_ushort v22, v[20:21], off offset:768
.LBB1769_589:                           ;   in Loop: Header=BB1769_571 Depth=2
	s_or_b64 exec, exec, s[36:37]
	s_sub_i32 s40, s76, s72
	v_cmp_gt_u32_e64 s[36:37], s79, v87
	s_mov_b32 s38, -1
	v_mov_b32_e32 v23, s38
	v_mov_b32_e32 v93, s79
	s_and_saveexec_b64 s[38:39], s[36:37]
	s_cbranch_execz .LBB1769_591
.LBB1769_590:                           ;   in Loop: Header=BB1769_571 Depth=2
	s_lshl_b64 s[36:37], s[72:73], 1
	v_mov_b32_e32 v21, s37
	v_add_co_u32_e32 v20, vcc, s36, v90
	v_addc_co_u32_e32 v21, vcc, v91, v21, vcc
	global_load_ushort v23, v[20:21], off
	v_mov_b32_e32 v93, s40
.LBB1769_591:                           ;   in Loop: Header=BB1769_571 Depth=2
	s_or_b64 exec, exec, s[38:39]
	s_waitcnt vmcnt(6)
	v_cmp_gt_i16_e32 vcc, 0, v5
	v_cndmask_b32_e64 v20, v66, 0, vcc
	v_xor_b32_e32 v94, v20, v5
	v_add_u32_e32 v5, 0x410, v41
	v_cmp_ne_u16_e32 vcc, s68, v94
	ds_write2_b32 v5, v4, v4 offset1:1
	ds_write2_b32 v43, v4, v4 offset0:2 offset1:3
	ds_write_b32 v43, v4 offset:16
	v_cndmask_b32_e32 v5, v66, v94, vcc
	v_lshrrev_b32_sdwa v5, s69, v5 dst_sel:DWORD dst_unused:UNUSED_PAD src0_sel:DWORD src1_sel:WORD_0
	v_and_b32_e32 v20, s78, v5
	v_mad_u32_u24 v5, v20, 5, v92
	v_lshl_add_u32 v95, v5, 2, v42
	v_and_b32_e32 v5, 1, v20
	v_add_co_u32_e32 v21, vcc, -1, v5
	v_addc_co_u32_e64 v96, s[36:37], 0, -1, vcc
	v_cmp_ne_u32_e32 vcc, 0, v5
	v_xor_b32_e32 v5, vcc_hi, v96
	v_and_b32_e32 v96, exec_hi, v5
	v_lshlrev_b32_e32 v5, 30, v20
	v_xor_b32_e32 v21, vcc_lo, v21
	v_cmp_gt_i64_e32 vcc, 0, v[4:5]
	v_not_b32_e32 v5, v5
	v_ashrrev_i32_e32 v5, 31, v5
	v_and_b32_e32 v21, exec_lo, v21
	v_xor_b32_e32 v98, vcc_hi, v5
	v_xor_b32_e32 v5, vcc_lo, v5
	v_and_b32_e32 v21, v21, v5
	v_lshlrev_b32_e32 v5, 29, v20
	v_cmp_gt_i64_e32 vcc, 0, v[4:5]
	v_not_b32_e32 v5, v5
	v_ashrrev_i32_e32 v5, 31, v5
	v_and_b32_e32 v96, v96, v98
	v_xor_b32_e32 v98, vcc_hi, v5
	v_xor_b32_e32 v5, vcc_lo, v5
	v_and_b32_e32 v21, v21, v5
	v_lshlrev_b32_e32 v5, 28, v20
	v_cmp_gt_i64_e32 vcc, 0, v[4:5]
	v_not_b32_e32 v5, v5
	v_ashrrev_i32_e32 v5, 31, v5
	v_and_b32_e32 v96, v96, v98
	v_xor_b32_e32 v98, vcc_hi, v5
	v_xor_b32_e32 v5, vcc_lo, v5
	v_and_b32_e32 v21, v21, v5
	v_lshlrev_b32_e32 v5, 27, v20
	v_cmp_gt_i64_e32 vcc, 0, v[4:5]
	v_not_b32_e32 v5, v5
	v_ashrrev_i32_e32 v5, 31, v5
	v_and_b32_e32 v96, v96, v98
	v_xor_b32_e32 v98, vcc_hi, v5
	v_xor_b32_e32 v5, vcc_lo, v5
	v_and_b32_e32 v21, v21, v5
	v_lshlrev_b32_e32 v5, 26, v20
	v_cmp_gt_i64_e32 vcc, 0, v[4:5]
	v_not_b32_e32 v5, v5
	v_ashrrev_i32_e32 v5, 31, v5
	v_and_b32_e32 v96, v96, v98
	v_xor_b32_e32 v98, vcc_hi, v5
	v_xor_b32_e32 v5, vcc_lo, v5
	v_and_b32_e32 v21, v21, v5
	v_lshlrev_b32_e32 v5, 25, v20
	v_cmp_gt_i64_e32 vcc, 0, v[4:5]
	v_not_b32_e32 v5, v5
	v_ashrrev_i32_e32 v5, 31, v5
	v_and_b32_e32 v96, v96, v98
	v_xor_b32_e32 v98, vcc_hi, v5
	v_xor_b32_e32 v5, vcc_lo, v5
	v_and_b32_e32 v96, v96, v98
	v_and_b32_e32 v98, v21, v5
	v_lshlrev_b32_e32 v5, 24, v20
	v_cmp_gt_i64_e32 vcc, 0, v[4:5]
	v_not_b32_e32 v5, v5
	v_ashrrev_i32_e32 v5, 31, v5
	v_xor_b32_e32 v20, vcc_hi, v5
	v_xor_b32_e32 v5, vcc_lo, v5
	v_and_b32_e32 v21, v96, v20
	v_and_b32_e32 v20, v98, v5
	v_mbcnt_lo_u32_b32 v5, v20, 0
	v_mbcnt_hi_u32_b32 v96, v21, v5
	v_cmp_eq_u32_e32 vcc, 0, v96
	v_cmp_ne_u64_e64 s[36:37], 0, v[20:21]
	s_and_b64 s[38:39], s[36:37], vcc
	s_waitcnt lgkmcnt(0)
	s_barrier
	s_waitcnt lgkmcnt(0)
	; wave barrier
	s_and_saveexec_b64 s[36:37], s[38:39]
	s_cbranch_execz .LBB1769_593
; %bb.592:                              ;   in Loop: Header=BB1769_571 Depth=2
	v_bcnt_u32_b32 v5, v20, 0
	v_bcnt_u32_b32 v5, v21, v5
	ds_write_b32 v95, v5
.LBB1769_593:                           ;   in Loop: Header=BB1769_571 Depth=2
	s_or_b64 exec, exec, s[36:37]
	s_waitcnt vmcnt(5)
	v_cmp_gt_i16_e32 vcc, 0, v97
	v_cndmask_b32_e64 v5, v66, 0, vcc
	v_xor_b32_e32 v97, v5, v97
	v_cmp_ne_u16_e32 vcc, s68, v97
	v_cndmask_b32_e32 v5, v66, v97, vcc
	v_lshrrev_b32_sdwa v5, s69, v5 dst_sel:DWORD dst_unused:UNUSED_PAD src0_sel:DWORD src1_sel:WORD_0
	v_and_b32_e32 v20, s78, v5
	v_mul_u32_u24_e32 v5, 5, v20
	v_add_lshl_u32 v5, v5, v92, 2
	; wave barrier
	v_add_u32_e32 v99, 0x410, v5
	ds_read_b32 v98, v5 offset:1040
	v_and_b32_e32 v5, 1, v20
	v_add_co_u32_e32 v21, vcc, -1, v5
	v_addc_co_u32_e64 v100, s[36:37], 0, -1, vcc
	v_cmp_ne_u32_e32 vcc, 0, v5
	v_xor_b32_e32 v5, vcc_hi, v100
	v_and_b32_e32 v100, exec_hi, v5
	v_lshlrev_b32_e32 v5, 30, v20
	v_xor_b32_e32 v21, vcc_lo, v21
	v_cmp_gt_i64_e32 vcc, 0, v[4:5]
	v_not_b32_e32 v5, v5
	v_ashrrev_i32_e32 v5, 31, v5
	v_and_b32_e32 v21, exec_lo, v21
	v_xor_b32_e32 v102, vcc_hi, v5
	v_xor_b32_e32 v5, vcc_lo, v5
	v_and_b32_e32 v21, v21, v5
	v_lshlrev_b32_e32 v5, 29, v20
	v_cmp_gt_i64_e32 vcc, 0, v[4:5]
	v_not_b32_e32 v5, v5
	v_ashrrev_i32_e32 v5, 31, v5
	v_and_b32_e32 v100, v100, v102
	v_xor_b32_e32 v102, vcc_hi, v5
	v_xor_b32_e32 v5, vcc_lo, v5
	v_and_b32_e32 v21, v21, v5
	v_lshlrev_b32_e32 v5, 28, v20
	v_cmp_gt_i64_e32 vcc, 0, v[4:5]
	v_not_b32_e32 v5, v5
	v_ashrrev_i32_e32 v5, 31, v5
	v_and_b32_e32 v100, v100, v102
	;; [unrolled: 8-line block ×5, first 2 shown]
	v_xor_b32_e32 v102, vcc_hi, v5
	v_xor_b32_e32 v5, vcc_lo, v5
	v_and_b32_e32 v100, v100, v102
	v_and_b32_e32 v102, v21, v5
	v_lshlrev_b32_e32 v5, 24, v20
	v_cmp_gt_i64_e32 vcc, 0, v[4:5]
	v_not_b32_e32 v5, v5
	v_ashrrev_i32_e32 v5, 31, v5
	v_xor_b32_e32 v20, vcc_hi, v5
	v_xor_b32_e32 v5, vcc_lo, v5
	v_and_b32_e32 v21, v100, v20
	v_and_b32_e32 v20, v102, v5
	v_mbcnt_lo_u32_b32 v5, v20, 0
	v_mbcnt_hi_u32_b32 v100, v21, v5
	v_cmp_eq_u32_e32 vcc, 0, v100
	v_cmp_ne_u64_e64 s[36:37], 0, v[20:21]
	s_and_b64 s[38:39], s[36:37], vcc
	; wave barrier
	s_and_saveexec_b64 s[36:37], s[38:39]
	s_cbranch_execz .LBB1769_595
; %bb.594:                              ;   in Loop: Header=BB1769_571 Depth=2
	v_bcnt_u32_b32 v5, v20, 0
	v_bcnt_u32_b32 v5, v21, v5
	s_waitcnt lgkmcnt(0)
	v_add_u32_e32 v5, v98, v5
	ds_write_b32 v99, v5
.LBB1769_595:                           ;   in Loop: Header=BB1769_571 Depth=2
	s_or_b64 exec, exec, s[36:37]
	s_waitcnt vmcnt(4)
	v_cmp_gt_i16_e32 vcc, 0, v101
	v_cndmask_b32_e64 v5, v66, 0, vcc
	v_xor_b32_e32 v101, v5, v101
	v_cmp_ne_u16_e32 vcc, s68, v101
	v_cndmask_b32_e32 v5, v66, v101, vcc
	v_lshrrev_b32_sdwa v5, s69, v5 dst_sel:DWORD dst_unused:UNUSED_PAD src0_sel:DWORD src1_sel:WORD_0
	v_and_b32_e32 v20, s78, v5
	v_mul_u32_u24_e32 v5, 5, v20
	v_add_lshl_u32 v5, v5, v92, 2
	; wave barrier
	v_add_u32_e32 v103, 0x410, v5
	ds_read_b32 v102, v5 offset:1040
	v_and_b32_e32 v5, 1, v20
	v_add_co_u32_e32 v21, vcc, -1, v5
	v_addc_co_u32_e64 v105, s[36:37], 0, -1, vcc
	v_cmp_ne_u32_e32 vcc, 0, v5
	v_xor_b32_e32 v5, vcc_hi, v105
	v_and_b32_e32 v105, exec_hi, v5
	v_lshlrev_b32_e32 v5, 30, v20
	v_xor_b32_e32 v21, vcc_lo, v21
	v_cmp_gt_i64_e32 vcc, 0, v[4:5]
	v_not_b32_e32 v5, v5
	v_ashrrev_i32_e32 v5, 31, v5
	v_and_b32_e32 v21, exec_lo, v21
	v_xor_b32_e32 v107, vcc_hi, v5
	v_xor_b32_e32 v5, vcc_lo, v5
	v_and_b32_e32 v21, v21, v5
	v_lshlrev_b32_e32 v5, 29, v20
	v_cmp_gt_i64_e32 vcc, 0, v[4:5]
	v_not_b32_e32 v5, v5
	v_ashrrev_i32_e32 v5, 31, v5
	v_and_b32_e32 v105, v105, v107
	v_xor_b32_e32 v107, vcc_hi, v5
	v_xor_b32_e32 v5, vcc_lo, v5
	v_and_b32_e32 v21, v21, v5
	v_lshlrev_b32_e32 v5, 28, v20
	v_cmp_gt_i64_e32 vcc, 0, v[4:5]
	v_not_b32_e32 v5, v5
	v_ashrrev_i32_e32 v5, 31, v5
	v_and_b32_e32 v105, v105, v107
	;; [unrolled: 8-line block ×5, first 2 shown]
	v_xor_b32_e32 v107, vcc_hi, v5
	v_xor_b32_e32 v5, vcc_lo, v5
	v_and_b32_e32 v105, v105, v107
	v_and_b32_e32 v107, v21, v5
	v_lshlrev_b32_e32 v5, 24, v20
	v_cmp_gt_i64_e32 vcc, 0, v[4:5]
	v_not_b32_e32 v5, v5
	v_ashrrev_i32_e32 v5, 31, v5
	v_xor_b32_e32 v20, vcc_hi, v5
	v_xor_b32_e32 v5, vcc_lo, v5
	v_and_b32_e32 v21, v105, v20
	v_and_b32_e32 v20, v107, v5
	v_mbcnt_lo_u32_b32 v5, v20, 0
	v_mbcnt_hi_u32_b32 v105, v21, v5
	v_cmp_eq_u32_e32 vcc, 0, v105
	v_cmp_ne_u64_e64 s[36:37], 0, v[20:21]
	s_and_b64 s[38:39], s[36:37], vcc
	; wave barrier
	s_and_saveexec_b64 s[36:37], s[38:39]
	s_cbranch_execz .LBB1769_597
; %bb.596:                              ;   in Loop: Header=BB1769_571 Depth=2
	v_bcnt_u32_b32 v5, v20, 0
	v_bcnt_u32_b32 v5, v21, v5
	s_waitcnt lgkmcnt(0)
	v_add_u32_e32 v5, v102, v5
	ds_write_b32 v103, v5
.LBB1769_597:                           ;   in Loop: Header=BB1769_571 Depth=2
	s_or_b64 exec, exec, s[36:37]
	s_waitcnt vmcnt(3)
	v_cmp_gt_i16_e32 vcc, 0, v106
	v_cndmask_b32_e64 v5, v66, 0, vcc
	v_xor_b32_e32 v106, v5, v106
	v_cmp_ne_u16_e32 vcc, s68, v106
	v_cndmask_b32_e32 v5, v66, v106, vcc
	v_lshrrev_b32_sdwa v5, s69, v5 dst_sel:DWORD dst_unused:UNUSED_PAD src0_sel:DWORD src1_sel:WORD_0
	v_and_b32_e32 v20, s78, v5
	v_mul_u32_u24_e32 v5, 5, v20
	v_add_lshl_u32 v5, v5, v92, 2
	; wave barrier
	v_add_u32_e32 v108, 0x410, v5
	ds_read_b32 v107, v5 offset:1040
	v_and_b32_e32 v5, 1, v20
	v_add_co_u32_e32 v21, vcc, -1, v5
	v_addc_co_u32_e64 v110, s[36:37], 0, -1, vcc
	v_cmp_ne_u32_e32 vcc, 0, v5
	v_xor_b32_e32 v5, vcc_hi, v110
	v_and_b32_e32 v110, exec_hi, v5
	v_lshlrev_b32_e32 v5, 30, v20
	v_xor_b32_e32 v21, vcc_lo, v21
	v_cmp_gt_i64_e32 vcc, 0, v[4:5]
	v_not_b32_e32 v5, v5
	v_ashrrev_i32_e32 v5, 31, v5
	v_and_b32_e32 v21, exec_lo, v21
	v_xor_b32_e32 v111, vcc_hi, v5
	v_xor_b32_e32 v5, vcc_lo, v5
	v_and_b32_e32 v21, v21, v5
	v_lshlrev_b32_e32 v5, 29, v20
	v_cmp_gt_i64_e32 vcc, 0, v[4:5]
	v_not_b32_e32 v5, v5
	v_ashrrev_i32_e32 v5, 31, v5
	v_and_b32_e32 v110, v110, v111
	v_xor_b32_e32 v111, vcc_hi, v5
	v_xor_b32_e32 v5, vcc_lo, v5
	v_and_b32_e32 v21, v21, v5
	v_lshlrev_b32_e32 v5, 28, v20
	v_cmp_gt_i64_e32 vcc, 0, v[4:5]
	v_not_b32_e32 v5, v5
	v_ashrrev_i32_e32 v5, 31, v5
	v_and_b32_e32 v110, v110, v111
	;; [unrolled: 8-line block ×5, first 2 shown]
	v_xor_b32_e32 v111, vcc_hi, v5
	v_xor_b32_e32 v5, vcc_lo, v5
	v_and_b32_e32 v110, v110, v111
	v_and_b32_e32 v111, v21, v5
	v_lshlrev_b32_e32 v5, 24, v20
	v_cmp_gt_i64_e32 vcc, 0, v[4:5]
	v_not_b32_e32 v5, v5
	v_ashrrev_i32_e32 v5, 31, v5
	v_xor_b32_e32 v20, vcc_hi, v5
	v_xor_b32_e32 v5, vcc_lo, v5
	v_and_b32_e32 v21, v110, v20
	v_and_b32_e32 v20, v111, v5
	v_mbcnt_lo_u32_b32 v5, v20, 0
	v_mbcnt_hi_u32_b32 v110, v21, v5
	v_cmp_eq_u32_e32 vcc, 0, v110
	v_cmp_ne_u64_e64 s[36:37], 0, v[20:21]
	s_and_b64 s[38:39], s[36:37], vcc
	; wave barrier
	s_and_saveexec_b64 s[36:37], s[38:39]
	s_cbranch_execz .LBB1769_599
; %bb.598:                              ;   in Loop: Header=BB1769_571 Depth=2
	v_bcnt_u32_b32 v5, v20, 0
	v_bcnt_u32_b32 v5, v21, v5
	s_waitcnt lgkmcnt(0)
	v_add_u32_e32 v5, v107, v5
	ds_write_b32 v108, v5
.LBB1769_599:                           ;   in Loop: Header=BB1769_571 Depth=2
	s_or_b64 exec, exec, s[36:37]
	s_waitcnt vmcnt(2)
	v_cmp_gt_i16_e32 vcc, 0, v109
	v_cndmask_b32_e64 v5, v66, 0, vcc
	v_xor_b32_e32 v109, v5, v109
	v_cmp_ne_u16_e32 vcc, s68, v109
	v_cndmask_b32_e32 v5, v66, v109, vcc
	v_lshrrev_b32_sdwa v5, s69, v5 dst_sel:DWORD dst_unused:UNUSED_PAD src0_sel:DWORD src1_sel:WORD_0
	v_and_b32_e32 v20, s78, v5
	v_mul_u32_u24_e32 v5, 5, v20
	v_add_lshl_u32 v5, v5, v92, 2
	; wave barrier
	v_add_u32_e32 v112, 0x410, v5
	ds_read_b32 v111, v5 offset:1040
	v_and_b32_e32 v5, 1, v20
	v_add_co_u32_e32 v21, vcc, -1, v5
	v_addc_co_u32_e64 v113, s[36:37], 0, -1, vcc
	v_cmp_ne_u32_e32 vcc, 0, v5
	v_xor_b32_e32 v5, vcc_hi, v113
	v_and_b32_e32 v113, exec_hi, v5
	v_lshlrev_b32_e32 v5, 30, v20
	v_xor_b32_e32 v21, vcc_lo, v21
	v_cmp_gt_i64_e32 vcc, 0, v[4:5]
	v_not_b32_e32 v5, v5
	v_ashrrev_i32_e32 v5, 31, v5
	v_and_b32_e32 v21, exec_lo, v21
	v_xor_b32_e32 v114, vcc_hi, v5
	v_xor_b32_e32 v5, vcc_lo, v5
	v_and_b32_e32 v21, v21, v5
	v_lshlrev_b32_e32 v5, 29, v20
	v_cmp_gt_i64_e32 vcc, 0, v[4:5]
	v_not_b32_e32 v5, v5
	v_ashrrev_i32_e32 v5, 31, v5
	v_and_b32_e32 v113, v113, v114
	v_xor_b32_e32 v114, vcc_hi, v5
	v_xor_b32_e32 v5, vcc_lo, v5
	v_and_b32_e32 v21, v21, v5
	v_lshlrev_b32_e32 v5, 28, v20
	v_cmp_gt_i64_e32 vcc, 0, v[4:5]
	v_not_b32_e32 v5, v5
	v_ashrrev_i32_e32 v5, 31, v5
	v_and_b32_e32 v113, v113, v114
	;; [unrolled: 8-line block ×5, first 2 shown]
	v_xor_b32_e32 v114, vcc_hi, v5
	v_xor_b32_e32 v5, vcc_lo, v5
	v_and_b32_e32 v113, v113, v114
	v_and_b32_e32 v114, v21, v5
	v_lshlrev_b32_e32 v5, 24, v20
	v_cmp_gt_i64_e32 vcc, 0, v[4:5]
	v_not_b32_e32 v5, v5
	v_ashrrev_i32_e32 v5, 31, v5
	v_xor_b32_e32 v20, vcc_hi, v5
	v_xor_b32_e32 v5, vcc_lo, v5
	v_and_b32_e32 v21, v113, v20
	v_and_b32_e32 v20, v114, v5
	v_mbcnt_lo_u32_b32 v5, v20, 0
	v_mbcnt_hi_u32_b32 v113, v21, v5
	v_cmp_eq_u32_e32 vcc, 0, v113
	v_cmp_ne_u64_e64 s[36:37], 0, v[20:21]
	s_and_b64 s[38:39], s[36:37], vcc
	; wave barrier
	s_and_saveexec_b64 s[36:37], s[38:39]
	s_cbranch_execz .LBB1769_601
; %bb.600:                              ;   in Loop: Header=BB1769_571 Depth=2
	v_bcnt_u32_b32 v5, v20, 0
	v_bcnt_u32_b32 v5, v21, v5
	s_waitcnt lgkmcnt(0)
	v_add_u32_e32 v5, v111, v5
	ds_write_b32 v112, v5
.LBB1769_601:                           ;   in Loop: Header=BB1769_571 Depth=2
	s_or_b64 exec, exec, s[36:37]
	s_waitcnt vmcnt(1)
	v_cmp_gt_i16_e32 vcc, 0, v104
	v_cndmask_b32_e64 v5, v66, 0, vcc
	v_xor_b32_e32 v104, v5, v104
	v_cmp_ne_u16_e32 vcc, s68, v104
	v_cndmask_b32_e32 v5, v66, v104, vcc
	v_lshrrev_b32_sdwa v5, s69, v5 dst_sel:DWORD dst_unused:UNUSED_PAD src0_sel:DWORD src1_sel:WORD_0
	v_and_b32_e32 v20, s78, v5
	v_mul_u32_u24_e32 v5, 5, v20
	v_add_lshl_u32 v5, v5, v92, 2
	; wave barrier
	v_add_u32_e32 v115, 0x410, v5
	ds_read_b32 v114, v5 offset:1040
	v_and_b32_e32 v5, 1, v20
	v_add_co_u32_e32 v21, vcc, -1, v5
	v_addc_co_u32_e64 v116, s[36:37], 0, -1, vcc
	v_cmp_ne_u32_e32 vcc, 0, v5
	v_xor_b32_e32 v5, vcc_hi, v116
	v_and_b32_e32 v116, exec_hi, v5
	v_lshlrev_b32_e32 v5, 30, v20
	v_xor_b32_e32 v21, vcc_lo, v21
	v_cmp_gt_i64_e32 vcc, 0, v[4:5]
	v_not_b32_e32 v5, v5
	v_ashrrev_i32_e32 v5, 31, v5
	v_and_b32_e32 v21, exec_lo, v21
	v_xor_b32_e32 v117, vcc_hi, v5
	v_xor_b32_e32 v5, vcc_lo, v5
	v_and_b32_e32 v21, v21, v5
	v_lshlrev_b32_e32 v5, 29, v20
	v_cmp_gt_i64_e32 vcc, 0, v[4:5]
	v_not_b32_e32 v5, v5
	v_ashrrev_i32_e32 v5, 31, v5
	v_and_b32_e32 v116, v116, v117
	v_xor_b32_e32 v117, vcc_hi, v5
	v_xor_b32_e32 v5, vcc_lo, v5
	v_and_b32_e32 v21, v21, v5
	v_lshlrev_b32_e32 v5, 28, v20
	v_cmp_gt_i64_e32 vcc, 0, v[4:5]
	v_not_b32_e32 v5, v5
	v_ashrrev_i32_e32 v5, 31, v5
	v_and_b32_e32 v116, v116, v117
	;; [unrolled: 8-line block ×5, first 2 shown]
	v_xor_b32_e32 v117, vcc_hi, v5
	v_xor_b32_e32 v5, vcc_lo, v5
	v_and_b32_e32 v116, v116, v117
	v_and_b32_e32 v117, v21, v5
	v_lshlrev_b32_e32 v5, 24, v20
	v_cmp_gt_i64_e32 vcc, 0, v[4:5]
	v_not_b32_e32 v5, v5
	v_ashrrev_i32_e32 v5, 31, v5
	v_xor_b32_e32 v20, vcc_hi, v5
	v_xor_b32_e32 v5, vcc_lo, v5
	v_and_b32_e32 v21, v116, v20
	v_and_b32_e32 v20, v117, v5
	v_mbcnt_lo_u32_b32 v5, v20, 0
	v_mbcnt_hi_u32_b32 v116, v21, v5
	v_cmp_eq_u32_e32 vcc, 0, v116
	v_cmp_ne_u64_e64 s[36:37], 0, v[20:21]
	s_and_b64 s[38:39], s[36:37], vcc
	; wave barrier
	s_and_saveexec_b64 s[36:37], s[38:39]
	s_cbranch_execz .LBB1769_603
; %bb.602:                              ;   in Loop: Header=BB1769_571 Depth=2
	v_bcnt_u32_b32 v5, v20, 0
	v_bcnt_u32_b32 v5, v21, v5
	s_waitcnt lgkmcnt(0)
	v_add_u32_e32 v5, v114, v5
	ds_write_b32 v115, v5
.LBB1769_603:                           ;   in Loop: Header=BB1769_571 Depth=2
	s_or_b64 exec, exec, s[36:37]
	s_waitcnt vmcnt(0)
	v_cmp_gt_i16_e32 vcc, 0, v22
	v_cndmask_b32_e64 v5, v66, 0, vcc
	v_xor_b32_e32 v117, v5, v22
	v_cmp_ne_u16_e32 vcc, s68, v117
	v_cndmask_b32_e32 v5, v66, v117, vcc
	v_lshrrev_b32_sdwa v5, s69, v5 dst_sel:DWORD dst_unused:UNUSED_PAD src0_sel:DWORD src1_sel:WORD_0
	v_and_b32_e32 v20, s78, v5
	v_mul_u32_u24_e32 v5, 5, v20
	v_add_lshl_u32 v5, v5, v92, 2
	; wave barrier
	v_add_u32_e32 v119, 0x410, v5
	ds_read_b32 v118, v5 offset:1040
	v_and_b32_e32 v5, 1, v20
	v_add_co_u32_e32 v21, vcc, -1, v5
	v_addc_co_u32_e64 v22, s[36:37], 0, -1, vcc
	v_cmp_ne_u32_e32 vcc, 0, v5
	v_xor_b32_e32 v5, vcc_hi, v22
	v_and_b32_e32 v22, exec_hi, v5
	v_lshlrev_b32_e32 v5, 30, v20
	v_xor_b32_e32 v21, vcc_lo, v21
	v_cmp_gt_i64_e32 vcc, 0, v[4:5]
	v_not_b32_e32 v5, v5
	v_ashrrev_i32_e32 v5, 31, v5
	v_and_b32_e32 v21, exec_lo, v21
	v_xor_b32_e32 v120, vcc_hi, v5
	v_xor_b32_e32 v5, vcc_lo, v5
	v_and_b32_e32 v21, v21, v5
	v_lshlrev_b32_e32 v5, 29, v20
	v_cmp_gt_i64_e32 vcc, 0, v[4:5]
	v_not_b32_e32 v5, v5
	v_ashrrev_i32_e32 v5, 31, v5
	v_and_b32_e32 v22, v22, v120
	v_xor_b32_e32 v120, vcc_hi, v5
	v_xor_b32_e32 v5, vcc_lo, v5
	v_and_b32_e32 v21, v21, v5
	v_lshlrev_b32_e32 v5, 28, v20
	v_cmp_gt_i64_e32 vcc, 0, v[4:5]
	v_not_b32_e32 v5, v5
	v_ashrrev_i32_e32 v5, 31, v5
	v_and_b32_e32 v22, v22, v120
	;; [unrolled: 8-line block ×5, first 2 shown]
	v_xor_b32_e32 v120, vcc_hi, v5
	v_xor_b32_e32 v5, vcc_lo, v5
	v_and_b32_e32 v22, v22, v120
	v_and_b32_e32 v120, v21, v5
	v_lshlrev_b32_e32 v5, 24, v20
	v_cmp_gt_i64_e32 vcc, 0, v[4:5]
	v_not_b32_e32 v5, v5
	v_ashrrev_i32_e32 v5, 31, v5
	v_xor_b32_e32 v20, vcc_hi, v5
	v_xor_b32_e32 v5, vcc_lo, v5
	v_and_b32_e32 v21, v22, v20
	v_and_b32_e32 v20, v120, v5
	v_mbcnt_lo_u32_b32 v5, v20, 0
	v_mbcnt_hi_u32_b32 v120, v21, v5
	v_cmp_eq_u32_e32 vcc, 0, v120
	v_cmp_ne_u64_e64 s[36:37], 0, v[20:21]
	s_and_b64 s[38:39], s[36:37], vcc
	; wave barrier
	s_and_saveexec_b64 s[36:37], s[38:39]
	s_cbranch_execz .LBB1769_605
; %bb.604:                              ;   in Loop: Header=BB1769_571 Depth=2
	v_bcnt_u32_b32 v5, v20, 0
	v_bcnt_u32_b32 v5, v21, v5
	s_waitcnt lgkmcnt(0)
	v_add_u32_e32 v5, v118, v5
	ds_write_b32 v119, v5
.LBB1769_605:                           ;   in Loop: Header=BB1769_571 Depth=2
	s_or_b64 exec, exec, s[36:37]
	v_cmp_gt_i16_e32 vcc, 0, v23
	v_cndmask_b32_e64 v5, v66, 0, vcc
	v_xor_b32_e32 v121, v5, v23
	v_cmp_ne_u16_e32 vcc, s68, v121
	v_cndmask_b32_e32 v5, v66, v121, vcc
	v_lshrrev_b32_sdwa v5, s69, v5 dst_sel:DWORD dst_unused:UNUSED_PAD src0_sel:DWORD src1_sel:WORD_0
	v_and_b32_e32 v20, s78, v5
	v_mul_u32_u24_e32 v5, 5, v20
	v_add_lshl_u32 v5, v5, v92, 2
	; wave barrier
	v_add_u32_e32 v123, 0x410, v5
	ds_read_b32 v122, v5 offset:1040
	v_and_b32_e32 v5, 1, v20
	v_add_co_u32_e32 v21, vcc, -1, v5
	v_addc_co_u32_e64 v22, s[36:37], 0, -1, vcc
	v_cmp_ne_u32_e32 vcc, 0, v5
	v_xor_b32_e32 v5, vcc_hi, v22
	v_and_b32_e32 v22, exec_hi, v5
	v_lshlrev_b32_e32 v5, 30, v20
	v_xor_b32_e32 v21, vcc_lo, v21
	v_cmp_gt_i64_e32 vcc, 0, v[4:5]
	v_not_b32_e32 v5, v5
	v_ashrrev_i32_e32 v5, 31, v5
	v_and_b32_e32 v21, exec_lo, v21
	v_xor_b32_e32 v23, vcc_hi, v5
	v_xor_b32_e32 v5, vcc_lo, v5
	v_and_b32_e32 v21, v21, v5
	v_lshlrev_b32_e32 v5, 29, v20
	v_cmp_gt_i64_e32 vcc, 0, v[4:5]
	v_not_b32_e32 v5, v5
	v_ashrrev_i32_e32 v5, 31, v5
	v_and_b32_e32 v22, v22, v23
	v_xor_b32_e32 v23, vcc_hi, v5
	v_xor_b32_e32 v5, vcc_lo, v5
	v_and_b32_e32 v21, v21, v5
	v_lshlrev_b32_e32 v5, 28, v20
	v_cmp_gt_i64_e32 vcc, 0, v[4:5]
	v_not_b32_e32 v5, v5
	v_ashrrev_i32_e32 v5, 31, v5
	v_and_b32_e32 v22, v22, v23
	v_xor_b32_e32 v23, vcc_hi, v5
	v_xor_b32_e32 v5, vcc_lo, v5
	v_and_b32_e32 v21, v21, v5
	v_lshlrev_b32_e32 v5, 27, v20
	v_cmp_gt_i64_e32 vcc, 0, v[4:5]
	v_not_b32_e32 v5, v5
	v_ashrrev_i32_e32 v5, 31, v5
	v_and_b32_e32 v22, v22, v23
	v_xor_b32_e32 v23, vcc_hi, v5
	v_xor_b32_e32 v5, vcc_lo, v5
	v_and_b32_e32 v21, v21, v5
	v_lshlrev_b32_e32 v5, 26, v20
	v_cmp_gt_i64_e32 vcc, 0, v[4:5]
	v_not_b32_e32 v5, v5
	v_ashrrev_i32_e32 v5, 31, v5
	v_and_b32_e32 v22, v22, v23
	v_xor_b32_e32 v23, vcc_hi, v5
	v_xor_b32_e32 v5, vcc_lo, v5
	v_and_b32_e32 v21, v21, v5
	v_lshlrev_b32_e32 v5, 25, v20
	v_cmp_gt_i64_e32 vcc, 0, v[4:5]
	v_not_b32_e32 v5, v5
	v_ashrrev_i32_e32 v5, 31, v5
	v_and_b32_e32 v22, v22, v23
	v_xor_b32_e32 v23, vcc_hi, v5
	v_xor_b32_e32 v5, vcc_lo, v5
	v_and_b32_e32 v22, v22, v23
	v_and_b32_e32 v23, v21, v5
	v_lshlrev_b32_e32 v5, 24, v20
	v_cmp_gt_i64_e32 vcc, 0, v[4:5]
	v_not_b32_e32 v5, v5
	v_ashrrev_i32_e32 v5, 31, v5
	v_xor_b32_e32 v20, vcc_hi, v5
	v_xor_b32_e32 v5, vcc_lo, v5
	v_and_b32_e32 v21, v22, v20
	v_and_b32_e32 v20, v23, v5
	v_mbcnt_lo_u32_b32 v5, v20, 0
	v_mbcnt_hi_u32_b32 v124, v21, v5
	v_cmp_eq_u32_e32 vcc, 0, v124
	v_cmp_ne_u64_e64 s[36:37], 0, v[20:21]
	s_and_b64 s[38:39], s[36:37], vcc
	; wave barrier
	s_and_saveexec_b64 s[36:37], s[38:39]
	s_cbranch_execz .LBB1769_607
; %bb.606:                              ;   in Loop: Header=BB1769_571 Depth=2
	v_bcnt_u32_b32 v5, v20, 0
	v_bcnt_u32_b32 v5, v21, v5
	s_waitcnt lgkmcnt(0)
	v_add_u32_e32 v5, v122, v5
	ds_write_b32 v123, v5
.LBB1769_607:                           ;   in Loop: Header=BB1769_571 Depth=2
	s_or_b64 exec, exec, s[36:37]
	; wave barrier
	s_waitcnt lgkmcnt(0)
	s_barrier
	ds_read_b32 v5, v41 offset:1040
	ds_read2_b32 v[22:23], v43 offset0:1 offset1:2
	ds_read2_b32 v[20:21], v43 offset0:3 offset1:4
	s_waitcnt lgkmcnt(1)
	v_add3_u32 v125, v22, v5, v23
	s_waitcnt lgkmcnt(0)
	v_add3_u32 v21, v125, v20, v21
	s_nop 1
	v_mov_b32_dpp v125, v21 row_shr:1 row_mask:0xf bank_mask:0xf
	v_cndmask_b32_e64 v125, v125, 0, s[16:17]
	v_add_u32_e32 v21, v125, v21
	s_nop 1
	v_mov_b32_dpp v125, v21 row_shr:2 row_mask:0xf bank_mask:0xf
	v_cndmask_b32_e64 v125, 0, v125, s[18:19]
	v_add_u32_e32 v21, v21, v125
	;; [unrolled: 4-line block ×4, first 2 shown]
	s_nop 1
	v_mov_b32_dpp v125, v21 row_bcast:15 row_mask:0xf bank_mask:0xf
	v_cndmask_b32_e64 v125, v125, 0, s[24:25]
	v_add_u32_e32 v21, v21, v125
	s_nop 1
	v_mov_b32_dpp v125, v21 row_bcast:31 row_mask:0xf bank_mask:0xf
	v_cndmask_b32_e64 v125, 0, v125, s[26:27]
	v_add_u32_e32 v21, v21, v125
	s_and_saveexec_b64 s[36:37], s[6:7]
	s_cbranch_execz .LBB1769_609
; %bb.608:                              ;   in Loop: Header=BB1769_571 Depth=2
	ds_write_b32 v34, v21 offset:1024
.LBB1769_609:                           ;   in Loop: Header=BB1769_571 Depth=2
	s_or_b64 exec, exec, s[36:37]
	s_waitcnt lgkmcnt(0)
	s_barrier
	s_and_saveexec_b64 s[36:37], s[8:9]
	s_cbranch_execz .LBB1769_611
; %bb.610:                              ;   in Loop: Header=BB1769_571 Depth=2
	ds_read_b32 v125, v44 offset:1024
	s_waitcnt lgkmcnt(0)
	s_nop 0
	v_mov_b32_dpp v126, v125 row_shr:1 row_mask:0xf bank_mask:0xf
	v_cndmask_b32_e64 v126, v126, 0, s[30:31]
	v_add_u32_e32 v125, v126, v125
	s_nop 1
	v_mov_b32_dpp v126, v125 row_shr:2 row_mask:0xf bank_mask:0xf
	v_cndmask_b32_e64 v126, 0, v126, s[34:35]
	v_add_u32_e32 v125, v125, v126
	ds_write_b32 v44, v125 offset:1024
.LBB1769_611:                           ;   in Loop: Header=BB1769_571 Depth=2
	s_or_b64 exec, exec, s[36:37]
	v_mov_b32_e32 v125, 0
	s_waitcnt lgkmcnt(0)
	s_barrier
	s_and_saveexec_b64 s[36:37], s[10:11]
	s_cbranch_execz .LBB1769_613
; %bb.612:                              ;   in Loop: Header=BB1769_571 Depth=2
	ds_read_b32 v125, v34 offset:1020
.LBB1769_613:                           ;   in Loop: Header=BB1769_571 Depth=2
	s_or_b64 exec, exec, s[36:37]
	s_waitcnt lgkmcnt(0)
	v_add_u32_e32 v21, v125, v21
	ds_bpermute_b32 v21, v69, v21
	s_waitcnt lgkmcnt(0)
	v_cndmask_b32_e64 v21, v21, v125, s[28:29]
	v_cndmask_b32_e64 v21, v21, 0, s[12:13]
	v_add_u32_e32 v5, v21, v5
	ds_write_b32 v41, v21 offset:1040
	v_add_u32_e32 v21, v5, v22
	v_add_u32_e32 v22, v21, v23
	ds_write2_b32 v43, v5, v21 offset0:1 offset1:2
	v_add_u32_e32 v5, v22, v20
	ds_write2_b32 v43, v22, v5 offset0:3 offset1:4
	s_waitcnt lgkmcnt(0)
	s_barrier
	ds_read_b32 v20, v99
	ds_read_b32 v21, v103
	;; [unrolled: 1-line block ×8, first 2 shown]
	ds_read_b32 v99, v41 offset:1040
	v_mov_b32_e32 v5, 0x800
	s_and_saveexec_b64 s[36:37], s[14:15]
	s_cbranch_execz .LBB1769_615
; %bb.614:                              ;   in Loop: Header=BB1769_571 Depth=2
	ds_read_b32 v5, v41 offset:1060
.LBB1769_615:                           ;   in Loop: Header=BB1769_571 Depth=2
	s_or_b64 exec, exec, s[36:37]
	s_waitcnt lgkmcnt(0)
	s_barrier
	s_and_saveexec_b64 s[36:37], s[4:5]
	s_cbranch_execz .LBB1769_617
; %bb.616:                              ;   in Loop: Header=BB1769_571 Depth=2
	ds_read_b32 v103, v3
	s_waitcnt lgkmcnt(0)
	v_sub_u32_e32 v99, v103, v99
	ds_write_b32 v3, v99
.LBB1769_617:                           ;   in Loop: Header=BB1769_571 Depth=2
	s_or_b64 exec, exec, s[36:37]
	v_add_u32_e32 v103, v95, v96
	v_add3_u32 v100, v100, v98, v20
	v_lshlrev_b32_e32 v20, 1, v103
	v_add3_u32 v99, v105, v102, v21
	ds_write_b16 v20, v94 offset:1024
	v_lshlrev_b32_e32 v20, 1, v100
	v_add3_u32 v98, v110, v107, v22
	ds_write_b16 v20, v97 offset:1024
	;; [unrolled: 3-line block ×6, first 2 shown]
	v_lshlrev_b32_e32 v20, 1, v23
	ds_write_b16 v20, v117 offset:1024
	v_lshlrev_b32_e32 v20, 1, v22
	v_cmp_lt_u32_e32 vcc, v2, v93
	ds_write_b16 v20, v121 offset:1024
	s_waitcnt lgkmcnt(0)
	s_barrier
	s_and_saveexec_b64 s[38:39], vcc
	s_cbranch_execz .LBB1769_625
; %bb.618:                              ;   in Loop: Header=BB1769_571 Depth=2
	ds_read_u16 v20, v49 offset:1024
	v_mov_b32_e32 v21, v4
	v_mov_b32_e32 v97, s61
	s_waitcnt lgkmcnt(0)
	v_cmp_ne_u16_e64 s[36:37], s68, v20
	v_cndmask_b32_e64 v94, v66, v20, s[36:37]
	v_lshrrev_b32_sdwa v94, s69, v94 dst_sel:DWORD dst_unused:UNUSED_PAD src0_sel:DWORD src1_sel:WORD_0
	v_and_b32_e32 v94, s78, v94
	v_lshlrev_b32_e32 v94, 2, v94
	ds_read_b32 v94, v94
	v_cmp_gt_i16_e64 s[36:37], 0, v20
	v_cndmask_b32_e64 v101, v66, 0, s[36:37]
	v_xor_b32_e32 v101, v101, v20
	s_waitcnt lgkmcnt(0)
	v_add_u32_e32 v20, v94, v2
	v_lshlrev_b64 v[20:21], 1, v[20:21]
	v_add_co_u32_e64 v20, s[36:37], s60, v20
	v_addc_co_u32_e64 v21, s[36:37], v97, v21, s[36:37]
	global_store_short v[20:21], v101, off
	s_or_b64 exec, exec, s[38:39]
	v_cmp_lt_u32_e64 s[36:37], v24, v93
	s_and_saveexec_b64 s[40:41], s[36:37]
	s_cbranch_execnz .LBB1769_626
.LBB1769_619:                           ;   in Loop: Header=BB1769_571 Depth=2
	s_or_b64 exec, exec, s[40:41]
	v_cmp_lt_u32_e64 s[38:39], v25, v93
	s_and_saveexec_b64 s[42:43], s[38:39]
	s_cbranch_execz .LBB1769_627
.LBB1769_620:                           ;   in Loop: Header=BB1769_571 Depth=2
	ds_read_u16 v20, v50 offset:1024
	v_mov_b32_e32 v21, v4
	v_mov_b32_e32 v97, s61
	s_waitcnt lgkmcnt(0)
	v_cmp_ne_u16_e64 s[40:41], s68, v20
	v_cndmask_b32_e64 v94, v66, v20, s[40:41]
	v_lshrrev_b32_sdwa v94, s69, v94 dst_sel:DWORD dst_unused:UNUSED_PAD src0_sel:DWORD src1_sel:WORD_0
	v_and_b32_e32 v94, s78, v94
	v_lshlrev_b32_e32 v94, 2, v94
	ds_read_b32 v94, v94
	v_cmp_gt_i16_e64 s[40:41], 0, v20
	v_cndmask_b32_e64 v101, v66, 0, s[40:41]
	v_xor_b32_e32 v101, v101, v20
	s_waitcnt lgkmcnt(0)
	v_add_u32_e32 v20, v94, v25
	v_lshlrev_b64 v[20:21], 1, v[20:21]
	v_add_co_u32_e64 v20, s[40:41], s60, v20
	v_addc_co_u32_e64 v21, s[40:41], v97, v21, s[40:41]
	global_store_short v[20:21], v101, off
	s_or_b64 exec, exec, s[42:43]
	v_cmp_lt_u32_e64 s[40:41], v26, v93
	s_and_saveexec_b64 s[44:45], s[40:41]
	s_cbranch_execnz .LBB1769_628
.LBB1769_621:                           ;   in Loop: Header=BB1769_571 Depth=2
	s_or_b64 exec, exec, s[44:45]
	v_cmp_lt_u32_e64 s[42:43], v29, v93
	s_and_saveexec_b64 s[46:47], s[42:43]
	s_cbranch_execz .LBB1769_629
.LBB1769_622:                           ;   in Loop: Header=BB1769_571 Depth=2
	ds_read_u16 v20, v50 offset:2048
	v_mov_b32_e32 v21, v4
	v_mov_b32_e32 v97, s61
	s_waitcnt lgkmcnt(0)
	v_cmp_ne_u16_e64 s[44:45], s68, v20
	v_cndmask_b32_e64 v94, v66, v20, s[44:45]
	v_lshrrev_b32_sdwa v94, s69, v94 dst_sel:DWORD dst_unused:UNUSED_PAD src0_sel:DWORD src1_sel:WORD_0
	v_and_b32_e32 v94, s78, v94
	v_lshlrev_b32_e32 v94, 2, v94
	ds_read_b32 v94, v94
	v_cmp_gt_i16_e64 s[44:45], 0, v20
	v_cndmask_b32_e64 v101, v66, 0, s[44:45]
	v_xor_b32_e32 v101, v101, v20
	s_waitcnt lgkmcnt(0)
	v_add_u32_e32 v20, v94, v29
	v_lshlrev_b64 v[20:21], 1, v[20:21]
	v_add_co_u32_e64 v20, s[44:45], s60, v20
	v_addc_co_u32_e64 v21, s[44:45], v97, v21, s[44:45]
	global_store_short v[20:21], v101, off
	s_or_b64 exec, exec, s[46:47]
	v_cmp_lt_u32_e64 s[44:45], v30, v93
	s_and_saveexec_b64 s[48:49], s[44:45]
	s_cbranch_execnz .LBB1769_630
.LBB1769_623:                           ;   in Loop: Header=BB1769_571 Depth=2
	s_or_b64 exec, exec, s[48:49]
	v_cmp_lt_u32_e64 s[46:47], v31, v93
	s_and_saveexec_b64 s[52:53], s[46:47]
	s_cbranch_execz .LBB1769_631
.LBB1769_624:                           ;   in Loop: Header=BB1769_571 Depth=2
	ds_read_u16 v20, v50 offset:3072
	v_mov_b32_e32 v21, v4
	v_mov_b32_e32 v97, s61
	s_waitcnt lgkmcnt(0)
	v_cmp_ne_u16_e64 s[48:49], s68, v20
	v_cndmask_b32_e64 v94, v66, v20, s[48:49]
	v_lshrrev_b32_sdwa v94, s69, v94 dst_sel:DWORD dst_unused:UNUSED_PAD src0_sel:DWORD src1_sel:WORD_0
	v_and_b32_e32 v94, s78, v94
	v_lshlrev_b32_e32 v94, 2, v94
	ds_read_b32 v94, v94
	v_cmp_gt_i16_e64 s[48:49], 0, v20
	v_cndmask_b32_e64 v101, v66, 0, s[48:49]
	v_xor_b32_e32 v101, v101, v20
	s_waitcnt lgkmcnt(0)
	v_add_u32_e32 v20, v94, v31
	v_lshlrev_b64 v[20:21], 1, v[20:21]
	v_add_co_u32_e64 v20, s[48:49], s60, v20
	v_addc_co_u32_e64 v21, s[48:49], v97, v21, s[48:49]
	global_store_short v[20:21], v101, off
	s_or_b64 exec, exec, s[52:53]
	v_cmp_lt_u32_e64 s[48:49], v32, v93
	s_and_saveexec_b64 s[62:63], s[48:49]
	s_cbranch_execnz .LBB1769_632
	s_branch .LBB1769_633
.LBB1769_625:                           ;   in Loop: Header=BB1769_571 Depth=2
	s_or_b64 exec, exec, s[38:39]
	v_cmp_lt_u32_e64 s[36:37], v24, v93
	s_and_saveexec_b64 s[40:41], s[36:37]
	s_cbranch_execz .LBB1769_619
.LBB1769_626:                           ;   in Loop: Header=BB1769_571 Depth=2
	ds_read_u16 v20, v50 offset:512
	v_mov_b32_e32 v21, v4
	v_mov_b32_e32 v97, s61
	s_waitcnt lgkmcnt(0)
	v_cmp_ne_u16_e64 s[38:39], s68, v20
	v_cndmask_b32_e64 v94, v66, v20, s[38:39]
	v_lshrrev_b32_sdwa v94, s69, v94 dst_sel:DWORD dst_unused:UNUSED_PAD src0_sel:DWORD src1_sel:WORD_0
	v_and_b32_e32 v94, s78, v94
	v_lshlrev_b32_e32 v94, 2, v94
	ds_read_b32 v94, v94
	v_cmp_gt_i16_e64 s[38:39], 0, v20
	v_cndmask_b32_e64 v101, v66, 0, s[38:39]
	v_xor_b32_e32 v101, v101, v20
	s_waitcnt lgkmcnt(0)
	v_add_u32_e32 v20, v94, v24
	v_lshlrev_b64 v[20:21], 1, v[20:21]
	v_add_co_u32_e64 v20, s[38:39], s60, v20
	v_addc_co_u32_e64 v21, s[38:39], v97, v21, s[38:39]
	global_store_short v[20:21], v101, off
	s_or_b64 exec, exec, s[40:41]
	v_cmp_lt_u32_e64 s[38:39], v25, v93
	s_and_saveexec_b64 s[42:43], s[38:39]
	s_cbranch_execnz .LBB1769_620
.LBB1769_627:                           ;   in Loop: Header=BB1769_571 Depth=2
	s_or_b64 exec, exec, s[42:43]
	v_cmp_lt_u32_e64 s[40:41], v26, v93
	s_and_saveexec_b64 s[44:45], s[40:41]
	s_cbranch_execz .LBB1769_621
.LBB1769_628:                           ;   in Loop: Header=BB1769_571 Depth=2
	ds_read_u16 v20, v50 offset:1536
	v_mov_b32_e32 v21, v4
	v_mov_b32_e32 v97, s61
	s_waitcnt lgkmcnt(0)
	v_cmp_ne_u16_e64 s[42:43], s68, v20
	v_cndmask_b32_e64 v94, v66, v20, s[42:43]
	v_lshrrev_b32_sdwa v94, s69, v94 dst_sel:DWORD dst_unused:UNUSED_PAD src0_sel:DWORD src1_sel:WORD_0
	v_and_b32_e32 v94, s78, v94
	v_lshlrev_b32_e32 v94, 2, v94
	ds_read_b32 v94, v94
	v_cmp_gt_i16_e64 s[42:43], 0, v20
	v_cndmask_b32_e64 v101, v66, 0, s[42:43]
	v_xor_b32_e32 v101, v101, v20
	s_waitcnt lgkmcnt(0)
	v_add_u32_e32 v20, v94, v26
	v_lshlrev_b64 v[20:21], 1, v[20:21]
	v_add_co_u32_e64 v20, s[42:43], s60, v20
	v_addc_co_u32_e64 v21, s[42:43], v97, v21, s[42:43]
	global_store_short v[20:21], v101, off
	s_or_b64 exec, exec, s[44:45]
	v_cmp_lt_u32_e64 s[42:43], v29, v93
	s_and_saveexec_b64 s[46:47], s[42:43]
	s_cbranch_execnz .LBB1769_622
.LBB1769_629:                           ;   in Loop: Header=BB1769_571 Depth=2
	s_or_b64 exec, exec, s[46:47]
	v_cmp_lt_u32_e64 s[44:45], v30, v93
	s_and_saveexec_b64 s[48:49], s[44:45]
	s_cbranch_execz .LBB1769_623
.LBB1769_630:                           ;   in Loop: Header=BB1769_571 Depth=2
	ds_read_u16 v20, v50 offset:2560
	v_mov_b32_e32 v21, v4
	v_mov_b32_e32 v97, s61
	s_waitcnt lgkmcnt(0)
	v_cmp_ne_u16_e64 s[46:47], s68, v20
	v_cndmask_b32_e64 v94, v66, v20, s[46:47]
	v_lshrrev_b32_sdwa v94, s69, v94 dst_sel:DWORD dst_unused:UNUSED_PAD src0_sel:DWORD src1_sel:WORD_0
	v_and_b32_e32 v94, s78, v94
	v_lshlrev_b32_e32 v94, 2, v94
	ds_read_b32 v94, v94
	v_cmp_gt_i16_e64 s[46:47], 0, v20
	v_cndmask_b32_e64 v101, v66, 0, s[46:47]
	v_xor_b32_e32 v101, v101, v20
	s_waitcnt lgkmcnt(0)
	v_add_u32_e32 v20, v94, v30
	v_lshlrev_b64 v[20:21], 1, v[20:21]
	v_add_co_u32_e64 v20, s[46:47], s60, v20
	v_addc_co_u32_e64 v21, s[46:47], v97, v21, s[46:47]
	global_store_short v[20:21], v101, off
	s_or_b64 exec, exec, s[48:49]
	v_cmp_lt_u32_e64 s[46:47], v31, v93
	s_and_saveexec_b64 s[52:53], s[46:47]
	s_cbranch_execnz .LBB1769_624
.LBB1769_631:                           ;   in Loop: Header=BB1769_571 Depth=2
	s_or_b64 exec, exec, s[52:53]
	v_cmp_lt_u32_e64 s[48:49], v32, v93
	s_and_saveexec_b64 s[62:63], s[48:49]
	s_cbranch_execz .LBB1769_633
.LBB1769_632:                           ;   in Loop: Header=BB1769_571 Depth=2
	ds_read_u16 v20, v50 offset:3584
	v_mov_b32_e32 v21, v4
	v_mov_b32_e32 v97, s61
	s_waitcnt lgkmcnt(0)
	v_cmp_ne_u16_e64 s[52:53], s68, v20
	v_cndmask_b32_e64 v94, v66, v20, s[52:53]
	v_lshrrev_b32_sdwa v94, s69, v94 dst_sel:DWORD dst_unused:UNUSED_PAD src0_sel:DWORD src1_sel:WORD_0
	v_and_b32_e32 v94, s78, v94
	v_lshlrev_b32_e32 v94, 2, v94
	ds_read_b32 v94, v94
	v_cmp_gt_i16_e64 s[52:53], 0, v20
	v_cndmask_b32_e64 v101, v66, 0, s[52:53]
	v_xor_b32_e32 v101, v101, v20
	s_waitcnt lgkmcnt(0)
	v_add_u32_e32 v20, v94, v32
	v_lshlrev_b64 v[20:21], 1, v[20:21]
	v_add_co_u32_e64 v20, s[52:53], s60, v20
	v_addc_co_u32_e64 v21, s[52:53], v97, v21, s[52:53]
	global_store_short v[20:21], v101, off
.LBB1769_633:                           ;   in Loop: Header=BB1769_571 Depth=2
	s_or_b64 exec, exec, s[62:63]
	s_lshl_b64 s[52:53], s[72:73], 3
	v_mov_b32_e32 v21, s53
	v_add_co_u32_e64 v20, s[52:53], s52, v77
	v_addc_co_u32_e64 v21, s[52:53], v79, v21, s[52:53]
	v_cmp_lt_u32_e64 s[52:53], v74, v93
	s_and_saveexec_b64 s[62:63], s[52:53]
	s_xor_b64 s[52:53], exec, s[62:63]
	s_cbranch_execz .LBB1769_649
; %bb.634:                              ;   in Loop: Header=BB1769_571 Depth=2
	global_load_dwordx2 v[18:19], v[20:21], off
	s_or_b64 exec, exec, s[52:53]
	v_cmp_lt_u32_e64 s[52:53], v81, v93
	s_and_saveexec_b64 s[62:63], s[52:53]
	s_cbranch_execnz .LBB1769_650
.LBB1769_635:                           ;   in Loop: Header=BB1769_571 Depth=2
	s_or_b64 exec, exec, s[62:63]
	v_cmp_lt_u32_e64 s[52:53], v82, v93
	s_and_saveexec_b64 s[62:63], s[52:53]
	s_cbranch_execz .LBB1769_651
.LBB1769_636:                           ;   in Loop: Header=BB1769_571 Depth=2
	global_load_dwordx2 v[14:15], v[20:21], off offset:1024
	s_or_b64 exec, exec, s[62:63]
	v_cmp_lt_u32_e64 s[52:53], v83, v93
	s_and_saveexec_b64 s[62:63], s[52:53]
	s_cbranch_execnz .LBB1769_652
.LBB1769_637:                           ;   in Loop: Header=BB1769_571 Depth=2
	s_or_b64 exec, exec, s[62:63]
	v_cmp_lt_u32_e64 s[52:53], v84, v93
	s_and_saveexec_b64 s[62:63], s[52:53]
	s_cbranch_execz .LBB1769_653
.LBB1769_638:                           ;   in Loop: Header=BB1769_571 Depth=2
	global_load_dwordx2 v[10:11], v[20:21], off offset:2048
	s_or_b64 exec, exec, s[62:63]
	v_cmp_lt_u32_e64 s[52:53], v85, v93
	s_and_saveexec_b64 s[62:63], s[52:53]
	s_cbranch_execnz .LBB1769_654
.LBB1769_639:                           ;   in Loop: Header=BB1769_571 Depth=2
	s_or_b64 exec, exec, s[62:63]
	v_cmp_lt_u32_e64 s[52:53], v86, v93
	s_and_saveexec_b64 s[62:63], s[52:53]
	s_cbranch_execz .LBB1769_655
.LBB1769_640:                           ;   in Loop: Header=BB1769_571 Depth=2
	global_load_dwordx2 v[6:7], v[20:21], off offset:3072
	s_or_b64 exec, exec, s[62:63]
	v_cmp_lt_u32_e64 s[52:53], v87, v93
	s_and_saveexec_b64 s[62:63], s[52:53]
	s_cbranch_execnz .LBB1769_656
.LBB1769_641:                           ;   in Loop: Header=BB1769_571 Depth=2
	s_or_b64 exec, exec, s[62:63]
	s_and_saveexec_b64 s[62:63], vcc
	s_cbranch_execz .LBB1769_657
.LBB1769_642:                           ;   in Loop: Header=BB1769_571 Depth=2
	ds_read_u16 v20, v49 offset:1024
	s_waitcnt lgkmcnt(0)
	v_cmp_ne_u16_e64 s[52:53], s68, v20
	v_cndmask_b32_e64 v20, v66, v20, s[52:53]
	v_lshrrev_b32_sdwa v20, s69, v20 dst_sel:DWORD dst_unused:UNUSED_PAD src0_sel:DWORD src1_sel:WORD_0
	v_and_b32_e32 v80, s78, v20
	s_or_b64 exec, exec, s[62:63]
	s_and_saveexec_b64 s[62:63], s[36:37]
	s_cbranch_execnz .LBB1769_658
.LBB1769_643:                           ;   in Loop: Header=BB1769_571 Depth=2
	s_or_b64 exec, exec, s[62:63]
	s_and_saveexec_b64 s[62:63], s[38:39]
	s_cbranch_execz .LBB1769_659
.LBB1769_644:                           ;   in Loop: Header=BB1769_571 Depth=2
	ds_read_u16 v20, v50 offset:1024
	s_waitcnt lgkmcnt(0)
	v_cmp_ne_u16_e64 s[52:53], s68, v20
	v_cndmask_b32_e64 v20, v66, v20, s[52:53]
	v_lshrrev_b32_sdwa v20, s69, v20 dst_sel:DWORD dst_unused:UNUSED_PAD src0_sel:DWORD src1_sel:WORD_0
	v_and_b32_e32 v76, s78, v20
	s_or_b64 exec, exec, s[62:63]
	s_and_saveexec_b64 s[62:63], s[40:41]
	s_cbranch_execnz .LBB1769_660
.LBB1769_645:                           ;   in Loop: Header=BB1769_571 Depth=2
	s_or_b64 exec, exec, s[62:63]
	s_and_saveexec_b64 s[62:63], s[42:43]
	s_cbranch_execz .LBB1769_661
.LBB1769_646:                           ;   in Loop: Header=BB1769_571 Depth=2
	ds_read_u16 v20, v50 offset:2048
	s_waitcnt lgkmcnt(0)
	v_cmp_ne_u16_e64 s[52:53], s68, v20
	v_cndmask_b32_e64 v20, v66, v20, s[52:53]
	v_lshrrev_b32_sdwa v20, s69, v20 dst_sel:DWORD dst_unused:UNUSED_PAD src0_sel:DWORD src1_sel:WORD_0
	v_and_b32_e32 v73, s78, v20
	s_or_b64 exec, exec, s[62:63]
	s_and_saveexec_b64 s[62:63], s[44:45]
	s_cbranch_execnz .LBB1769_662
.LBB1769_647:                           ;   in Loop: Header=BB1769_571 Depth=2
	s_or_b64 exec, exec, s[62:63]
	s_and_saveexec_b64 s[62:63], s[46:47]
	s_cbranch_execz .LBB1769_663
.LBB1769_648:                           ;   in Loop: Header=BB1769_571 Depth=2
	ds_read_u16 v20, v50 offset:3072
	s_waitcnt lgkmcnt(0)
	v_cmp_ne_u16_e64 s[52:53], s68, v20
	v_cndmask_b32_e64 v20, v66, v20, s[52:53]
	v_lshrrev_b32_sdwa v20, s69, v20 dst_sel:DWORD dst_unused:UNUSED_PAD src0_sel:DWORD src1_sel:WORD_0
	v_and_b32_e32 v71, s78, v20
	s_or_b64 exec, exec, s[62:63]
	s_and_saveexec_b64 s[62:63], s[48:49]
	s_cbranch_execnz .LBB1769_664
	s_branch .LBB1769_665
.LBB1769_649:                           ;   in Loop: Header=BB1769_571 Depth=2
	s_or_b64 exec, exec, s[52:53]
	v_cmp_lt_u32_e64 s[52:53], v81, v93
	s_and_saveexec_b64 s[62:63], s[52:53]
	s_cbranch_execz .LBB1769_635
.LBB1769_650:                           ;   in Loop: Header=BB1769_571 Depth=2
	global_load_dwordx2 v[16:17], v[20:21], off offset:512
	s_or_b64 exec, exec, s[62:63]
	v_cmp_lt_u32_e64 s[52:53], v82, v93
	s_and_saveexec_b64 s[62:63], s[52:53]
	s_cbranch_execnz .LBB1769_636
.LBB1769_651:                           ;   in Loop: Header=BB1769_571 Depth=2
	s_or_b64 exec, exec, s[62:63]
	v_cmp_lt_u32_e64 s[52:53], v83, v93
	s_and_saveexec_b64 s[62:63], s[52:53]
	s_cbranch_execz .LBB1769_637
.LBB1769_652:                           ;   in Loop: Header=BB1769_571 Depth=2
	global_load_dwordx2 v[12:13], v[20:21], off offset:1536
	s_or_b64 exec, exec, s[62:63]
	v_cmp_lt_u32_e64 s[52:53], v84, v93
	s_and_saveexec_b64 s[62:63], s[52:53]
	s_cbranch_execnz .LBB1769_638
.LBB1769_653:                           ;   in Loop: Header=BB1769_571 Depth=2
	s_or_b64 exec, exec, s[62:63]
	v_cmp_lt_u32_e64 s[52:53], v85, v93
	s_and_saveexec_b64 s[62:63], s[52:53]
	s_cbranch_execz .LBB1769_639
.LBB1769_654:                           ;   in Loop: Header=BB1769_571 Depth=2
	global_load_dwordx2 v[8:9], v[20:21], off offset:2560
	s_or_b64 exec, exec, s[62:63]
	v_cmp_lt_u32_e64 s[52:53], v86, v93
	s_and_saveexec_b64 s[62:63], s[52:53]
	s_cbranch_execnz .LBB1769_640
.LBB1769_655:                           ;   in Loop: Header=BB1769_571 Depth=2
	s_or_b64 exec, exec, s[62:63]
	v_cmp_lt_u32_e64 s[52:53], v87, v93
	s_and_saveexec_b64 s[62:63], s[52:53]
	s_cbranch_execz .LBB1769_641
.LBB1769_656:                           ;   in Loop: Header=BB1769_571 Depth=2
	global_load_dwordx2 v[0:1], v[20:21], off offset:3584
	s_or_b64 exec, exec, s[62:63]
	s_and_saveexec_b64 s[62:63], vcc
	s_cbranch_execnz .LBB1769_642
.LBB1769_657:                           ;   in Loop: Header=BB1769_571 Depth=2
	s_or_b64 exec, exec, s[62:63]
	s_and_saveexec_b64 s[62:63], s[36:37]
	s_cbranch_execz .LBB1769_643
.LBB1769_658:                           ;   in Loop: Header=BB1769_571 Depth=2
	ds_read_u16 v20, v50 offset:512
	s_waitcnt lgkmcnt(0)
	v_cmp_ne_u16_e64 s[52:53], s68, v20
	v_cndmask_b32_e64 v20, v66, v20, s[52:53]
	v_lshrrev_b32_sdwa v20, s69, v20 dst_sel:DWORD dst_unused:UNUSED_PAD src0_sel:DWORD src1_sel:WORD_0
	v_and_b32_e32 v78, s78, v20
	s_or_b64 exec, exec, s[62:63]
	s_and_saveexec_b64 s[62:63], s[38:39]
	s_cbranch_execnz .LBB1769_644
.LBB1769_659:                           ;   in Loop: Header=BB1769_571 Depth=2
	s_or_b64 exec, exec, s[62:63]
	s_and_saveexec_b64 s[62:63], s[40:41]
	s_cbranch_execz .LBB1769_645
.LBB1769_660:                           ;   in Loop: Header=BB1769_571 Depth=2
	ds_read_u16 v20, v50 offset:1536
	s_waitcnt lgkmcnt(0)
	v_cmp_ne_u16_e64 s[52:53], s68, v20
	v_cndmask_b32_e64 v20, v66, v20, s[52:53]
	v_lshrrev_b32_sdwa v20, s69, v20 dst_sel:DWORD dst_unused:UNUSED_PAD src0_sel:DWORD src1_sel:WORD_0
	v_and_b32_e32 v75, s78, v20
	s_or_b64 exec, exec, s[62:63]
	s_and_saveexec_b64 s[62:63], s[42:43]
	s_cbranch_execnz .LBB1769_646
.LBB1769_661:                           ;   in Loop: Header=BB1769_571 Depth=2
	s_or_b64 exec, exec, s[62:63]
	s_and_saveexec_b64 s[62:63], s[44:45]
	s_cbranch_execz .LBB1769_647
.LBB1769_662:                           ;   in Loop: Header=BB1769_571 Depth=2
	ds_read_u16 v20, v50 offset:2560
	s_waitcnt lgkmcnt(0)
	v_cmp_ne_u16_e64 s[52:53], s68, v20
	v_cndmask_b32_e64 v20, v66, v20, s[52:53]
	v_lshrrev_b32_sdwa v20, s69, v20 dst_sel:DWORD dst_unused:UNUSED_PAD src0_sel:DWORD src1_sel:WORD_0
	v_and_b32_e32 v72, s78, v20
	s_or_b64 exec, exec, s[62:63]
	s_and_saveexec_b64 s[62:63], s[46:47]
	s_cbranch_execnz .LBB1769_648
.LBB1769_663:                           ;   in Loop: Header=BB1769_571 Depth=2
	s_or_b64 exec, exec, s[62:63]
	s_and_saveexec_b64 s[62:63], s[48:49]
	s_cbranch_execz .LBB1769_665
.LBB1769_664:                           ;   in Loop: Header=BB1769_571 Depth=2
	ds_read_u16 v20, v50 offset:3584
	s_waitcnt lgkmcnt(0)
	v_cmp_ne_u16_e64 s[52:53], s68, v20
	v_cndmask_b32_e64 v20, v66, v20, s[52:53]
	v_lshrrev_b32_sdwa v20, s69, v20 dst_sel:DWORD dst_unused:UNUSED_PAD src0_sel:DWORD src1_sel:WORD_0
	v_and_b32_e32 v70, s78, v20
.LBB1769_665:                           ;   in Loop: Header=BB1769_571 Depth=2
	s_or_b64 exec, exec, s[62:63]
	v_lshlrev_b32_e32 v20, 3, v103
	s_barrier
	s_waitcnt vmcnt(0)
	ds_write_b64 v20, v[18:19] offset:1024
	v_lshlrev_b32_e32 v20, 3, v100
	ds_write_b64 v20, v[16:17] offset:1024
	v_lshlrev_b32_e32 v20, 3, v99
	;; [unrolled: 2-line block ×7, first 2 shown]
	ds_write_b64 v20, v[0:1] offset:1024
	s_waitcnt lgkmcnt(0)
	s_barrier
	s_and_saveexec_b64 s[52:53], vcc
	s_cbranch_execz .LBB1769_673
; %bb.666:                              ;   in Loop: Header=BB1769_571 Depth=2
	v_lshlrev_b32_e32 v20, 2, v80
	ds_read_b32 v20, v20
	v_add_u32_e32 v22, v49, v51
	ds_read_b64 v[22:23], v22 offset:1024
	v_mov_b32_e32 v21, v4
	v_mov_b32_e32 v93, s67
	s_waitcnt lgkmcnt(1)
	v_add_u32_e32 v20, v20, v2
	v_lshlrev_b64 v[20:21], 3, v[20:21]
	v_add_co_u32_e32 v20, vcc, s66, v20
	v_addc_co_u32_e32 v21, vcc, v93, v21, vcc
	s_waitcnt lgkmcnt(0)
	global_store_dwordx2 v[20:21], v[22:23], off
	s_or_b64 exec, exec, s[52:53]
	v_add_u32_e32 v20, v50, v51
	s_and_saveexec_b64 s[52:53], s[36:37]
	s_cbranch_execnz .LBB1769_674
.LBB1769_667:                           ;   in Loop: Header=BB1769_571 Depth=2
	s_or_b64 exec, exec, s[52:53]
	s_and_saveexec_b64 s[36:37], s[38:39]
	s_cbranch_execz .LBB1769_675
.LBB1769_668:                           ;   in Loop: Header=BB1769_571 Depth=2
	v_lshlrev_b32_e32 v21, 2, v76
	ds_read_b32 v21, v21
	ds_read_b64 v[22:23], v20 offset:4096
	v_mov_b32_e32 v95, v4
	v_mov_b32_e32 v93, s67
	s_waitcnt lgkmcnt(1)
	v_add_u32_e32 v94, v21, v25
	v_lshlrev_b64 v[94:95], 3, v[94:95]
	v_add_co_u32_e32 v94, vcc, s66, v94
	v_addc_co_u32_e32 v95, vcc, v93, v95, vcc
	s_waitcnt lgkmcnt(0)
	global_store_dwordx2 v[94:95], v[22:23], off
	s_or_b64 exec, exec, s[36:37]
	s_and_saveexec_b64 s[36:37], s[40:41]
	s_cbranch_execnz .LBB1769_676
.LBB1769_669:                           ;   in Loop: Header=BB1769_571 Depth=2
	s_or_b64 exec, exec, s[36:37]
	s_and_saveexec_b64 s[36:37], s[42:43]
	s_cbranch_execz .LBB1769_677
.LBB1769_670:                           ;   in Loop: Header=BB1769_571 Depth=2
	v_lshlrev_b32_e32 v21, 2, v73
	ds_read_b32 v21, v21
	ds_read_b64 v[22:23], v20 offset:8192
	v_mov_b32_e32 v95, v4
	v_mov_b32_e32 v93, s67
	s_waitcnt lgkmcnt(1)
	v_add_u32_e32 v94, v21, v29
	v_lshlrev_b64 v[94:95], 3, v[94:95]
	v_add_co_u32_e32 v94, vcc, s66, v94
	v_addc_co_u32_e32 v95, vcc, v93, v95, vcc
	s_waitcnt lgkmcnt(0)
	global_store_dwordx2 v[94:95], v[22:23], off
	s_or_b64 exec, exec, s[36:37]
	s_and_saveexec_b64 s[36:37], s[44:45]
	s_cbranch_execnz .LBB1769_678
.LBB1769_671:                           ;   in Loop: Header=BB1769_571 Depth=2
	s_or_b64 exec, exec, s[36:37]
	s_and_saveexec_b64 s[36:37], s[46:47]
	s_cbranch_execz .LBB1769_679
.LBB1769_672:                           ;   in Loop: Header=BB1769_571 Depth=2
	v_lshlrev_b32_e32 v21, 2, v71
	ds_read_b32 v21, v21
	ds_read_b64 v[22:23], v20 offset:12288
	v_mov_b32_e32 v95, v4
	v_mov_b32_e32 v93, s67
	s_waitcnt lgkmcnt(1)
	v_add_u32_e32 v94, v21, v31
	v_lshlrev_b64 v[94:95], 3, v[94:95]
	v_add_co_u32_e32 v94, vcc, s66, v94
	v_addc_co_u32_e32 v95, vcc, v93, v95, vcc
	s_waitcnt lgkmcnt(0)
	global_store_dwordx2 v[94:95], v[22:23], off
	s_or_b64 exec, exec, s[36:37]
	s_and_saveexec_b64 s[36:37], s[48:49]
	s_cbranch_execnz .LBB1769_680
	s_branch .LBB1769_681
.LBB1769_673:                           ;   in Loop: Header=BB1769_571 Depth=2
	s_or_b64 exec, exec, s[52:53]
	v_add_u32_e32 v20, v50, v51
	s_and_saveexec_b64 s[52:53], s[36:37]
	s_cbranch_execz .LBB1769_667
.LBB1769_674:                           ;   in Loop: Header=BB1769_571 Depth=2
	v_lshlrev_b32_e32 v21, 2, v78
	ds_read_b32 v21, v21
	ds_read_b64 v[22:23], v20 offset:2048
	v_mov_b32_e32 v95, v4
	v_mov_b32_e32 v93, s67
	s_waitcnt lgkmcnt(1)
	v_add_u32_e32 v94, v21, v24
	v_lshlrev_b64 v[94:95], 3, v[94:95]
	v_add_co_u32_e32 v94, vcc, s66, v94
	v_addc_co_u32_e32 v95, vcc, v93, v95, vcc
	s_waitcnt lgkmcnt(0)
	global_store_dwordx2 v[94:95], v[22:23], off
	s_or_b64 exec, exec, s[52:53]
	s_and_saveexec_b64 s[36:37], s[38:39]
	s_cbranch_execnz .LBB1769_668
.LBB1769_675:                           ;   in Loop: Header=BB1769_571 Depth=2
	s_or_b64 exec, exec, s[36:37]
	s_and_saveexec_b64 s[36:37], s[40:41]
	s_cbranch_execz .LBB1769_669
.LBB1769_676:                           ;   in Loop: Header=BB1769_571 Depth=2
	v_lshlrev_b32_e32 v21, 2, v75
	ds_read_b32 v21, v21
	ds_read_b64 v[22:23], v20 offset:6144
	v_mov_b32_e32 v95, v4
	v_mov_b32_e32 v93, s67
	s_waitcnt lgkmcnt(1)
	v_add_u32_e32 v94, v21, v26
	v_lshlrev_b64 v[94:95], 3, v[94:95]
	v_add_co_u32_e32 v94, vcc, s66, v94
	v_addc_co_u32_e32 v95, vcc, v93, v95, vcc
	s_waitcnt lgkmcnt(0)
	global_store_dwordx2 v[94:95], v[22:23], off
	s_or_b64 exec, exec, s[36:37]
	s_and_saveexec_b64 s[36:37], s[42:43]
	s_cbranch_execnz .LBB1769_670
.LBB1769_677:                           ;   in Loop: Header=BB1769_571 Depth=2
	s_or_b64 exec, exec, s[36:37]
	s_and_saveexec_b64 s[36:37], s[44:45]
	s_cbranch_execz .LBB1769_671
.LBB1769_678:                           ;   in Loop: Header=BB1769_571 Depth=2
	v_lshlrev_b32_e32 v21, 2, v72
	ds_read_b32 v21, v21
	ds_read_b64 v[22:23], v20 offset:10240
	v_mov_b32_e32 v95, v4
	v_mov_b32_e32 v93, s67
	s_waitcnt lgkmcnt(1)
	v_add_u32_e32 v94, v21, v30
	v_lshlrev_b64 v[94:95], 3, v[94:95]
	v_add_co_u32_e32 v94, vcc, s66, v94
	v_addc_co_u32_e32 v95, vcc, v93, v95, vcc
	s_waitcnt lgkmcnt(0)
	global_store_dwordx2 v[94:95], v[22:23], off
	s_or_b64 exec, exec, s[36:37]
	s_and_saveexec_b64 s[36:37], s[46:47]
	s_cbranch_execnz .LBB1769_672
.LBB1769_679:                           ;   in Loop: Header=BB1769_571 Depth=2
	s_or_b64 exec, exec, s[36:37]
	s_and_saveexec_b64 s[36:37], s[48:49]
	s_cbranch_execz .LBB1769_681
.LBB1769_680:                           ;   in Loop: Header=BB1769_571 Depth=2
	v_lshlrev_b32_e32 v21, 2, v70
	ds_read_b32 v22, v21
	ds_read_b64 v[20:21], v20 offset:14336
	v_mov_b32_e32 v23, v4
	v_mov_b32_e32 v93, s67
	s_waitcnt lgkmcnt(1)
	v_add_u32_e32 v22, v22, v32
	v_lshlrev_b64 v[22:23], 3, v[22:23]
	v_add_co_u32_e32 v22, vcc, s66, v22
	v_addc_co_u32_e32 v23, vcc, v93, v23, vcc
	s_waitcnt lgkmcnt(0)
	global_store_dwordx2 v[22:23], v[20:21], off
.LBB1769_681:                           ;   in Loop: Header=BB1769_571 Depth=2
	s_or_b64 exec, exec, s[36:37]
	s_barrier
	s_and_saveexec_b64 s[36:37], s[4:5]
	s_cbranch_execz .LBB1769_570
; %bb.682:                              ;   in Loop: Header=BB1769_571 Depth=2
	ds_read_b32 v20, v3
	s_waitcnt lgkmcnt(0)
	v_add_u32_e32 v5, v20, v5
	ds_write_b32 v3, v5
	s_branch .LBB1769_570
.LBB1769_683:
	s_endpgm
	.section	.rodata,"a",@progbits
	.p2align	6, 0x0
	.amdhsa_kernel _ZN7rocprim17ROCPRIM_400000_NS6detail17trampoline_kernelINS0_14default_configENS1_36segmented_radix_sort_config_selectorI6__halflEEZNS1_25segmented_radix_sort_implIS3_Lb1EPKS5_PS5_PKlPlN2at6native12_GLOBAL__N_18offset_tEEE10hipError_tPvRmT1_PNSt15iterator_traitsISL_E10value_typeET2_T3_PNSM_ISR_E10value_typeET4_jRbjT5_SX_jjP12ihipStream_tbEUlT_E2_NS1_11comp_targetILNS1_3genE4ELNS1_11target_archE910ELNS1_3gpuE8ELNS1_3repE0EEENS1_30default_config_static_selectorELNS0_4arch9wavefront6targetE1EEEvSL_
		.amdhsa_group_segment_fixed_size 17424
		.amdhsa_private_segment_fixed_size 8
		.amdhsa_kernarg_size 336
		.amdhsa_user_sgpr_count 8
		.amdhsa_user_sgpr_private_segment_buffer 1
		.amdhsa_user_sgpr_dispatch_ptr 0
		.amdhsa_user_sgpr_queue_ptr 0
		.amdhsa_user_sgpr_kernarg_segment_ptr 1
		.amdhsa_user_sgpr_dispatch_id 0
		.amdhsa_user_sgpr_flat_scratch_init 1
		.amdhsa_user_sgpr_kernarg_preload_length 0
		.amdhsa_user_sgpr_kernarg_preload_offset 0
		.amdhsa_user_sgpr_private_segment_size 0
		.amdhsa_uses_dynamic_stack 0
		.amdhsa_system_sgpr_private_segment_wavefront_offset 1
		.amdhsa_system_sgpr_workgroup_id_x 1
		.amdhsa_system_sgpr_workgroup_id_y 1
		.amdhsa_system_sgpr_workgroup_id_z 0
		.amdhsa_system_sgpr_workgroup_info 0
		.amdhsa_system_vgpr_workitem_id 2
		.amdhsa_next_free_vgpr 178
		.amdhsa_next_free_sgpr 81
		.amdhsa_accum_offset 180
		.amdhsa_reserve_vcc 1
		.amdhsa_reserve_flat_scratch 1
		.amdhsa_float_round_mode_32 0
		.amdhsa_float_round_mode_16_64 0
		.amdhsa_float_denorm_mode_32 3
		.amdhsa_float_denorm_mode_16_64 3
		.amdhsa_dx10_clamp 1
		.amdhsa_ieee_mode 1
		.amdhsa_fp16_overflow 0
		.amdhsa_tg_split 0
		.amdhsa_exception_fp_ieee_invalid_op 0
		.amdhsa_exception_fp_denorm_src 0
		.amdhsa_exception_fp_ieee_div_zero 0
		.amdhsa_exception_fp_ieee_overflow 0
		.amdhsa_exception_fp_ieee_underflow 0
		.amdhsa_exception_fp_ieee_inexact 0
		.amdhsa_exception_int_div_zero 0
	.end_amdhsa_kernel
	.section	.text._ZN7rocprim17ROCPRIM_400000_NS6detail17trampoline_kernelINS0_14default_configENS1_36segmented_radix_sort_config_selectorI6__halflEEZNS1_25segmented_radix_sort_implIS3_Lb1EPKS5_PS5_PKlPlN2at6native12_GLOBAL__N_18offset_tEEE10hipError_tPvRmT1_PNSt15iterator_traitsISL_E10value_typeET2_T3_PNSM_ISR_E10value_typeET4_jRbjT5_SX_jjP12ihipStream_tbEUlT_E2_NS1_11comp_targetILNS1_3genE4ELNS1_11target_archE910ELNS1_3gpuE8ELNS1_3repE0EEENS1_30default_config_static_selectorELNS0_4arch9wavefront6targetE1EEEvSL_,"axG",@progbits,_ZN7rocprim17ROCPRIM_400000_NS6detail17trampoline_kernelINS0_14default_configENS1_36segmented_radix_sort_config_selectorI6__halflEEZNS1_25segmented_radix_sort_implIS3_Lb1EPKS5_PS5_PKlPlN2at6native12_GLOBAL__N_18offset_tEEE10hipError_tPvRmT1_PNSt15iterator_traitsISL_E10value_typeET2_T3_PNSM_ISR_E10value_typeET4_jRbjT5_SX_jjP12ihipStream_tbEUlT_E2_NS1_11comp_targetILNS1_3genE4ELNS1_11target_archE910ELNS1_3gpuE8ELNS1_3repE0EEENS1_30default_config_static_selectorELNS0_4arch9wavefront6targetE1EEEvSL_,comdat
.Lfunc_end1769:
	.size	_ZN7rocprim17ROCPRIM_400000_NS6detail17trampoline_kernelINS0_14default_configENS1_36segmented_radix_sort_config_selectorI6__halflEEZNS1_25segmented_radix_sort_implIS3_Lb1EPKS5_PS5_PKlPlN2at6native12_GLOBAL__N_18offset_tEEE10hipError_tPvRmT1_PNSt15iterator_traitsISL_E10value_typeET2_T3_PNSM_ISR_E10value_typeET4_jRbjT5_SX_jjP12ihipStream_tbEUlT_E2_NS1_11comp_targetILNS1_3genE4ELNS1_11target_archE910ELNS1_3gpuE8ELNS1_3repE0EEENS1_30default_config_static_selectorELNS0_4arch9wavefront6targetE1EEEvSL_, .Lfunc_end1769-_ZN7rocprim17ROCPRIM_400000_NS6detail17trampoline_kernelINS0_14default_configENS1_36segmented_radix_sort_config_selectorI6__halflEEZNS1_25segmented_radix_sort_implIS3_Lb1EPKS5_PS5_PKlPlN2at6native12_GLOBAL__N_18offset_tEEE10hipError_tPvRmT1_PNSt15iterator_traitsISL_E10value_typeET2_T3_PNSM_ISR_E10value_typeET4_jRbjT5_SX_jjP12ihipStream_tbEUlT_E2_NS1_11comp_targetILNS1_3genE4ELNS1_11target_archE910ELNS1_3gpuE8ELNS1_3repE0EEENS1_30default_config_static_selectorELNS0_4arch9wavefront6targetE1EEEvSL_
                                        ; -- End function
	.section	.AMDGPU.csdata,"",@progbits
; Kernel info:
; codeLenInByte = 38868
; NumSgprs: 87
; NumVgprs: 178
; NumAgprs: 0
; TotalNumVgprs: 178
; ScratchSize: 8
; MemoryBound: 0
; FloatMode: 240
; IeeeMode: 1
; LDSByteSize: 17424 bytes/workgroup (compile time only)
; SGPRBlocks: 10
; VGPRBlocks: 22
; NumSGPRsForWavesPerEU: 87
; NumVGPRsForWavesPerEU: 178
; AccumOffset: 180
; Occupancy: 2
; WaveLimiterHint : 1
; COMPUTE_PGM_RSRC2:SCRATCH_EN: 1
; COMPUTE_PGM_RSRC2:USER_SGPR: 8
; COMPUTE_PGM_RSRC2:TRAP_HANDLER: 0
; COMPUTE_PGM_RSRC2:TGID_X_EN: 1
; COMPUTE_PGM_RSRC2:TGID_Y_EN: 1
; COMPUTE_PGM_RSRC2:TGID_Z_EN: 0
; COMPUTE_PGM_RSRC2:TIDIG_COMP_CNT: 2
; COMPUTE_PGM_RSRC3_GFX90A:ACCUM_OFFSET: 44
; COMPUTE_PGM_RSRC3_GFX90A:TG_SPLIT: 0
	.section	.text._ZN7rocprim17ROCPRIM_400000_NS6detail17trampoline_kernelINS0_14default_configENS1_36segmented_radix_sort_config_selectorI6__halflEEZNS1_25segmented_radix_sort_implIS3_Lb1EPKS5_PS5_PKlPlN2at6native12_GLOBAL__N_18offset_tEEE10hipError_tPvRmT1_PNSt15iterator_traitsISL_E10value_typeET2_T3_PNSM_ISR_E10value_typeET4_jRbjT5_SX_jjP12ihipStream_tbEUlT_E2_NS1_11comp_targetILNS1_3genE3ELNS1_11target_archE908ELNS1_3gpuE7ELNS1_3repE0EEENS1_30default_config_static_selectorELNS0_4arch9wavefront6targetE1EEEvSL_,"axG",@progbits,_ZN7rocprim17ROCPRIM_400000_NS6detail17trampoline_kernelINS0_14default_configENS1_36segmented_radix_sort_config_selectorI6__halflEEZNS1_25segmented_radix_sort_implIS3_Lb1EPKS5_PS5_PKlPlN2at6native12_GLOBAL__N_18offset_tEEE10hipError_tPvRmT1_PNSt15iterator_traitsISL_E10value_typeET2_T3_PNSM_ISR_E10value_typeET4_jRbjT5_SX_jjP12ihipStream_tbEUlT_E2_NS1_11comp_targetILNS1_3genE3ELNS1_11target_archE908ELNS1_3gpuE7ELNS1_3repE0EEENS1_30default_config_static_selectorELNS0_4arch9wavefront6targetE1EEEvSL_,comdat
	.globl	_ZN7rocprim17ROCPRIM_400000_NS6detail17trampoline_kernelINS0_14default_configENS1_36segmented_radix_sort_config_selectorI6__halflEEZNS1_25segmented_radix_sort_implIS3_Lb1EPKS5_PS5_PKlPlN2at6native12_GLOBAL__N_18offset_tEEE10hipError_tPvRmT1_PNSt15iterator_traitsISL_E10value_typeET2_T3_PNSM_ISR_E10value_typeET4_jRbjT5_SX_jjP12ihipStream_tbEUlT_E2_NS1_11comp_targetILNS1_3genE3ELNS1_11target_archE908ELNS1_3gpuE7ELNS1_3repE0EEENS1_30default_config_static_selectorELNS0_4arch9wavefront6targetE1EEEvSL_ ; -- Begin function _ZN7rocprim17ROCPRIM_400000_NS6detail17trampoline_kernelINS0_14default_configENS1_36segmented_radix_sort_config_selectorI6__halflEEZNS1_25segmented_radix_sort_implIS3_Lb1EPKS5_PS5_PKlPlN2at6native12_GLOBAL__N_18offset_tEEE10hipError_tPvRmT1_PNSt15iterator_traitsISL_E10value_typeET2_T3_PNSM_ISR_E10value_typeET4_jRbjT5_SX_jjP12ihipStream_tbEUlT_E2_NS1_11comp_targetILNS1_3genE3ELNS1_11target_archE908ELNS1_3gpuE7ELNS1_3repE0EEENS1_30default_config_static_selectorELNS0_4arch9wavefront6targetE1EEEvSL_
	.p2align	8
	.type	_ZN7rocprim17ROCPRIM_400000_NS6detail17trampoline_kernelINS0_14default_configENS1_36segmented_radix_sort_config_selectorI6__halflEEZNS1_25segmented_radix_sort_implIS3_Lb1EPKS5_PS5_PKlPlN2at6native12_GLOBAL__N_18offset_tEEE10hipError_tPvRmT1_PNSt15iterator_traitsISL_E10value_typeET2_T3_PNSM_ISR_E10value_typeET4_jRbjT5_SX_jjP12ihipStream_tbEUlT_E2_NS1_11comp_targetILNS1_3genE3ELNS1_11target_archE908ELNS1_3gpuE7ELNS1_3repE0EEENS1_30default_config_static_selectorELNS0_4arch9wavefront6targetE1EEEvSL_,@function
_ZN7rocprim17ROCPRIM_400000_NS6detail17trampoline_kernelINS0_14default_configENS1_36segmented_radix_sort_config_selectorI6__halflEEZNS1_25segmented_radix_sort_implIS3_Lb1EPKS5_PS5_PKlPlN2at6native12_GLOBAL__N_18offset_tEEE10hipError_tPvRmT1_PNSt15iterator_traitsISL_E10value_typeET2_T3_PNSM_ISR_E10value_typeET4_jRbjT5_SX_jjP12ihipStream_tbEUlT_E2_NS1_11comp_targetILNS1_3genE3ELNS1_11target_archE908ELNS1_3gpuE7ELNS1_3repE0EEENS1_30default_config_static_selectorELNS0_4arch9wavefront6targetE1EEEvSL_: ; @_ZN7rocprim17ROCPRIM_400000_NS6detail17trampoline_kernelINS0_14default_configENS1_36segmented_radix_sort_config_selectorI6__halflEEZNS1_25segmented_radix_sort_implIS3_Lb1EPKS5_PS5_PKlPlN2at6native12_GLOBAL__N_18offset_tEEE10hipError_tPvRmT1_PNSt15iterator_traitsISL_E10value_typeET2_T3_PNSM_ISR_E10value_typeET4_jRbjT5_SX_jjP12ihipStream_tbEUlT_E2_NS1_11comp_targetILNS1_3genE3ELNS1_11target_archE908ELNS1_3gpuE7ELNS1_3repE0EEENS1_30default_config_static_selectorELNS0_4arch9wavefront6targetE1EEEvSL_
; %bb.0:
	.section	.rodata,"a",@progbits
	.p2align	6, 0x0
	.amdhsa_kernel _ZN7rocprim17ROCPRIM_400000_NS6detail17trampoline_kernelINS0_14default_configENS1_36segmented_radix_sort_config_selectorI6__halflEEZNS1_25segmented_radix_sort_implIS3_Lb1EPKS5_PS5_PKlPlN2at6native12_GLOBAL__N_18offset_tEEE10hipError_tPvRmT1_PNSt15iterator_traitsISL_E10value_typeET2_T3_PNSM_ISR_E10value_typeET4_jRbjT5_SX_jjP12ihipStream_tbEUlT_E2_NS1_11comp_targetILNS1_3genE3ELNS1_11target_archE908ELNS1_3gpuE7ELNS1_3repE0EEENS1_30default_config_static_selectorELNS0_4arch9wavefront6targetE1EEEvSL_
		.amdhsa_group_segment_fixed_size 0
		.amdhsa_private_segment_fixed_size 0
		.amdhsa_kernarg_size 80
		.amdhsa_user_sgpr_count 6
		.amdhsa_user_sgpr_private_segment_buffer 1
		.amdhsa_user_sgpr_dispatch_ptr 0
		.amdhsa_user_sgpr_queue_ptr 0
		.amdhsa_user_sgpr_kernarg_segment_ptr 1
		.amdhsa_user_sgpr_dispatch_id 0
		.amdhsa_user_sgpr_flat_scratch_init 0
		.amdhsa_user_sgpr_kernarg_preload_length 0
		.amdhsa_user_sgpr_kernarg_preload_offset 0
		.amdhsa_user_sgpr_private_segment_size 0
		.amdhsa_uses_dynamic_stack 0
		.amdhsa_system_sgpr_private_segment_wavefront_offset 0
		.amdhsa_system_sgpr_workgroup_id_x 1
		.amdhsa_system_sgpr_workgroup_id_y 0
		.amdhsa_system_sgpr_workgroup_id_z 0
		.amdhsa_system_sgpr_workgroup_info 0
		.amdhsa_system_vgpr_workitem_id 0
		.amdhsa_next_free_vgpr 1
		.amdhsa_next_free_sgpr 0
		.amdhsa_accum_offset 4
		.amdhsa_reserve_vcc 0
		.amdhsa_reserve_flat_scratch 0
		.amdhsa_float_round_mode_32 0
		.amdhsa_float_round_mode_16_64 0
		.amdhsa_float_denorm_mode_32 3
		.amdhsa_float_denorm_mode_16_64 3
		.amdhsa_dx10_clamp 1
		.amdhsa_ieee_mode 1
		.amdhsa_fp16_overflow 0
		.amdhsa_tg_split 0
		.amdhsa_exception_fp_ieee_invalid_op 0
		.amdhsa_exception_fp_denorm_src 0
		.amdhsa_exception_fp_ieee_div_zero 0
		.amdhsa_exception_fp_ieee_overflow 0
		.amdhsa_exception_fp_ieee_underflow 0
		.amdhsa_exception_fp_ieee_inexact 0
		.amdhsa_exception_int_div_zero 0
	.end_amdhsa_kernel
	.section	.text._ZN7rocprim17ROCPRIM_400000_NS6detail17trampoline_kernelINS0_14default_configENS1_36segmented_radix_sort_config_selectorI6__halflEEZNS1_25segmented_radix_sort_implIS3_Lb1EPKS5_PS5_PKlPlN2at6native12_GLOBAL__N_18offset_tEEE10hipError_tPvRmT1_PNSt15iterator_traitsISL_E10value_typeET2_T3_PNSM_ISR_E10value_typeET4_jRbjT5_SX_jjP12ihipStream_tbEUlT_E2_NS1_11comp_targetILNS1_3genE3ELNS1_11target_archE908ELNS1_3gpuE7ELNS1_3repE0EEENS1_30default_config_static_selectorELNS0_4arch9wavefront6targetE1EEEvSL_,"axG",@progbits,_ZN7rocprim17ROCPRIM_400000_NS6detail17trampoline_kernelINS0_14default_configENS1_36segmented_radix_sort_config_selectorI6__halflEEZNS1_25segmented_radix_sort_implIS3_Lb1EPKS5_PS5_PKlPlN2at6native12_GLOBAL__N_18offset_tEEE10hipError_tPvRmT1_PNSt15iterator_traitsISL_E10value_typeET2_T3_PNSM_ISR_E10value_typeET4_jRbjT5_SX_jjP12ihipStream_tbEUlT_E2_NS1_11comp_targetILNS1_3genE3ELNS1_11target_archE908ELNS1_3gpuE7ELNS1_3repE0EEENS1_30default_config_static_selectorELNS0_4arch9wavefront6targetE1EEEvSL_,comdat
.Lfunc_end1770:
	.size	_ZN7rocprim17ROCPRIM_400000_NS6detail17trampoline_kernelINS0_14default_configENS1_36segmented_radix_sort_config_selectorI6__halflEEZNS1_25segmented_radix_sort_implIS3_Lb1EPKS5_PS5_PKlPlN2at6native12_GLOBAL__N_18offset_tEEE10hipError_tPvRmT1_PNSt15iterator_traitsISL_E10value_typeET2_T3_PNSM_ISR_E10value_typeET4_jRbjT5_SX_jjP12ihipStream_tbEUlT_E2_NS1_11comp_targetILNS1_3genE3ELNS1_11target_archE908ELNS1_3gpuE7ELNS1_3repE0EEENS1_30default_config_static_selectorELNS0_4arch9wavefront6targetE1EEEvSL_, .Lfunc_end1770-_ZN7rocprim17ROCPRIM_400000_NS6detail17trampoline_kernelINS0_14default_configENS1_36segmented_radix_sort_config_selectorI6__halflEEZNS1_25segmented_radix_sort_implIS3_Lb1EPKS5_PS5_PKlPlN2at6native12_GLOBAL__N_18offset_tEEE10hipError_tPvRmT1_PNSt15iterator_traitsISL_E10value_typeET2_T3_PNSM_ISR_E10value_typeET4_jRbjT5_SX_jjP12ihipStream_tbEUlT_E2_NS1_11comp_targetILNS1_3genE3ELNS1_11target_archE908ELNS1_3gpuE7ELNS1_3repE0EEENS1_30default_config_static_selectorELNS0_4arch9wavefront6targetE1EEEvSL_
                                        ; -- End function
	.section	.AMDGPU.csdata,"",@progbits
; Kernel info:
; codeLenInByte = 0
; NumSgprs: 4
; NumVgprs: 0
; NumAgprs: 0
; TotalNumVgprs: 0
; ScratchSize: 0
; MemoryBound: 0
; FloatMode: 240
; IeeeMode: 1
; LDSByteSize: 0 bytes/workgroup (compile time only)
; SGPRBlocks: 0
; VGPRBlocks: 0
; NumSGPRsForWavesPerEU: 4
; NumVGPRsForWavesPerEU: 1
; AccumOffset: 4
; Occupancy: 8
; WaveLimiterHint : 0
; COMPUTE_PGM_RSRC2:SCRATCH_EN: 0
; COMPUTE_PGM_RSRC2:USER_SGPR: 6
; COMPUTE_PGM_RSRC2:TRAP_HANDLER: 0
; COMPUTE_PGM_RSRC2:TGID_X_EN: 1
; COMPUTE_PGM_RSRC2:TGID_Y_EN: 0
; COMPUTE_PGM_RSRC2:TGID_Z_EN: 0
; COMPUTE_PGM_RSRC2:TIDIG_COMP_CNT: 0
; COMPUTE_PGM_RSRC3_GFX90A:ACCUM_OFFSET: 0
; COMPUTE_PGM_RSRC3_GFX90A:TG_SPLIT: 0
	.section	.text._ZN7rocprim17ROCPRIM_400000_NS6detail17trampoline_kernelINS0_14default_configENS1_36segmented_radix_sort_config_selectorI6__halflEEZNS1_25segmented_radix_sort_implIS3_Lb1EPKS5_PS5_PKlPlN2at6native12_GLOBAL__N_18offset_tEEE10hipError_tPvRmT1_PNSt15iterator_traitsISL_E10value_typeET2_T3_PNSM_ISR_E10value_typeET4_jRbjT5_SX_jjP12ihipStream_tbEUlT_E2_NS1_11comp_targetILNS1_3genE2ELNS1_11target_archE906ELNS1_3gpuE6ELNS1_3repE0EEENS1_30default_config_static_selectorELNS0_4arch9wavefront6targetE1EEEvSL_,"axG",@progbits,_ZN7rocprim17ROCPRIM_400000_NS6detail17trampoline_kernelINS0_14default_configENS1_36segmented_radix_sort_config_selectorI6__halflEEZNS1_25segmented_radix_sort_implIS3_Lb1EPKS5_PS5_PKlPlN2at6native12_GLOBAL__N_18offset_tEEE10hipError_tPvRmT1_PNSt15iterator_traitsISL_E10value_typeET2_T3_PNSM_ISR_E10value_typeET4_jRbjT5_SX_jjP12ihipStream_tbEUlT_E2_NS1_11comp_targetILNS1_3genE2ELNS1_11target_archE906ELNS1_3gpuE6ELNS1_3repE0EEENS1_30default_config_static_selectorELNS0_4arch9wavefront6targetE1EEEvSL_,comdat
	.globl	_ZN7rocprim17ROCPRIM_400000_NS6detail17trampoline_kernelINS0_14default_configENS1_36segmented_radix_sort_config_selectorI6__halflEEZNS1_25segmented_radix_sort_implIS3_Lb1EPKS5_PS5_PKlPlN2at6native12_GLOBAL__N_18offset_tEEE10hipError_tPvRmT1_PNSt15iterator_traitsISL_E10value_typeET2_T3_PNSM_ISR_E10value_typeET4_jRbjT5_SX_jjP12ihipStream_tbEUlT_E2_NS1_11comp_targetILNS1_3genE2ELNS1_11target_archE906ELNS1_3gpuE6ELNS1_3repE0EEENS1_30default_config_static_selectorELNS0_4arch9wavefront6targetE1EEEvSL_ ; -- Begin function _ZN7rocprim17ROCPRIM_400000_NS6detail17trampoline_kernelINS0_14default_configENS1_36segmented_radix_sort_config_selectorI6__halflEEZNS1_25segmented_radix_sort_implIS3_Lb1EPKS5_PS5_PKlPlN2at6native12_GLOBAL__N_18offset_tEEE10hipError_tPvRmT1_PNSt15iterator_traitsISL_E10value_typeET2_T3_PNSM_ISR_E10value_typeET4_jRbjT5_SX_jjP12ihipStream_tbEUlT_E2_NS1_11comp_targetILNS1_3genE2ELNS1_11target_archE906ELNS1_3gpuE6ELNS1_3repE0EEENS1_30default_config_static_selectorELNS0_4arch9wavefront6targetE1EEEvSL_
	.p2align	8
	.type	_ZN7rocprim17ROCPRIM_400000_NS6detail17trampoline_kernelINS0_14default_configENS1_36segmented_radix_sort_config_selectorI6__halflEEZNS1_25segmented_radix_sort_implIS3_Lb1EPKS5_PS5_PKlPlN2at6native12_GLOBAL__N_18offset_tEEE10hipError_tPvRmT1_PNSt15iterator_traitsISL_E10value_typeET2_T3_PNSM_ISR_E10value_typeET4_jRbjT5_SX_jjP12ihipStream_tbEUlT_E2_NS1_11comp_targetILNS1_3genE2ELNS1_11target_archE906ELNS1_3gpuE6ELNS1_3repE0EEENS1_30default_config_static_selectorELNS0_4arch9wavefront6targetE1EEEvSL_,@function
_ZN7rocprim17ROCPRIM_400000_NS6detail17trampoline_kernelINS0_14default_configENS1_36segmented_radix_sort_config_selectorI6__halflEEZNS1_25segmented_radix_sort_implIS3_Lb1EPKS5_PS5_PKlPlN2at6native12_GLOBAL__N_18offset_tEEE10hipError_tPvRmT1_PNSt15iterator_traitsISL_E10value_typeET2_T3_PNSM_ISR_E10value_typeET4_jRbjT5_SX_jjP12ihipStream_tbEUlT_E2_NS1_11comp_targetILNS1_3genE2ELNS1_11target_archE906ELNS1_3gpuE6ELNS1_3repE0EEENS1_30default_config_static_selectorELNS0_4arch9wavefront6targetE1EEEvSL_: ; @_ZN7rocprim17ROCPRIM_400000_NS6detail17trampoline_kernelINS0_14default_configENS1_36segmented_radix_sort_config_selectorI6__halflEEZNS1_25segmented_radix_sort_implIS3_Lb1EPKS5_PS5_PKlPlN2at6native12_GLOBAL__N_18offset_tEEE10hipError_tPvRmT1_PNSt15iterator_traitsISL_E10value_typeET2_T3_PNSM_ISR_E10value_typeET4_jRbjT5_SX_jjP12ihipStream_tbEUlT_E2_NS1_11comp_targetILNS1_3genE2ELNS1_11target_archE906ELNS1_3gpuE6ELNS1_3repE0EEENS1_30default_config_static_selectorELNS0_4arch9wavefront6targetE1EEEvSL_
; %bb.0:
	.section	.rodata,"a",@progbits
	.p2align	6, 0x0
	.amdhsa_kernel _ZN7rocprim17ROCPRIM_400000_NS6detail17trampoline_kernelINS0_14default_configENS1_36segmented_radix_sort_config_selectorI6__halflEEZNS1_25segmented_radix_sort_implIS3_Lb1EPKS5_PS5_PKlPlN2at6native12_GLOBAL__N_18offset_tEEE10hipError_tPvRmT1_PNSt15iterator_traitsISL_E10value_typeET2_T3_PNSM_ISR_E10value_typeET4_jRbjT5_SX_jjP12ihipStream_tbEUlT_E2_NS1_11comp_targetILNS1_3genE2ELNS1_11target_archE906ELNS1_3gpuE6ELNS1_3repE0EEENS1_30default_config_static_selectorELNS0_4arch9wavefront6targetE1EEEvSL_
		.amdhsa_group_segment_fixed_size 0
		.amdhsa_private_segment_fixed_size 0
		.amdhsa_kernarg_size 80
		.amdhsa_user_sgpr_count 6
		.amdhsa_user_sgpr_private_segment_buffer 1
		.amdhsa_user_sgpr_dispatch_ptr 0
		.amdhsa_user_sgpr_queue_ptr 0
		.amdhsa_user_sgpr_kernarg_segment_ptr 1
		.amdhsa_user_sgpr_dispatch_id 0
		.amdhsa_user_sgpr_flat_scratch_init 0
		.amdhsa_user_sgpr_kernarg_preload_length 0
		.amdhsa_user_sgpr_kernarg_preload_offset 0
		.amdhsa_user_sgpr_private_segment_size 0
		.amdhsa_uses_dynamic_stack 0
		.amdhsa_system_sgpr_private_segment_wavefront_offset 0
		.amdhsa_system_sgpr_workgroup_id_x 1
		.amdhsa_system_sgpr_workgroup_id_y 0
		.amdhsa_system_sgpr_workgroup_id_z 0
		.amdhsa_system_sgpr_workgroup_info 0
		.amdhsa_system_vgpr_workitem_id 0
		.amdhsa_next_free_vgpr 1
		.amdhsa_next_free_sgpr 0
		.amdhsa_accum_offset 4
		.amdhsa_reserve_vcc 0
		.amdhsa_reserve_flat_scratch 0
		.amdhsa_float_round_mode_32 0
		.amdhsa_float_round_mode_16_64 0
		.amdhsa_float_denorm_mode_32 3
		.amdhsa_float_denorm_mode_16_64 3
		.amdhsa_dx10_clamp 1
		.amdhsa_ieee_mode 1
		.amdhsa_fp16_overflow 0
		.amdhsa_tg_split 0
		.amdhsa_exception_fp_ieee_invalid_op 0
		.amdhsa_exception_fp_denorm_src 0
		.amdhsa_exception_fp_ieee_div_zero 0
		.amdhsa_exception_fp_ieee_overflow 0
		.amdhsa_exception_fp_ieee_underflow 0
		.amdhsa_exception_fp_ieee_inexact 0
		.amdhsa_exception_int_div_zero 0
	.end_amdhsa_kernel
	.section	.text._ZN7rocprim17ROCPRIM_400000_NS6detail17trampoline_kernelINS0_14default_configENS1_36segmented_radix_sort_config_selectorI6__halflEEZNS1_25segmented_radix_sort_implIS3_Lb1EPKS5_PS5_PKlPlN2at6native12_GLOBAL__N_18offset_tEEE10hipError_tPvRmT1_PNSt15iterator_traitsISL_E10value_typeET2_T3_PNSM_ISR_E10value_typeET4_jRbjT5_SX_jjP12ihipStream_tbEUlT_E2_NS1_11comp_targetILNS1_3genE2ELNS1_11target_archE906ELNS1_3gpuE6ELNS1_3repE0EEENS1_30default_config_static_selectorELNS0_4arch9wavefront6targetE1EEEvSL_,"axG",@progbits,_ZN7rocprim17ROCPRIM_400000_NS6detail17trampoline_kernelINS0_14default_configENS1_36segmented_radix_sort_config_selectorI6__halflEEZNS1_25segmented_radix_sort_implIS3_Lb1EPKS5_PS5_PKlPlN2at6native12_GLOBAL__N_18offset_tEEE10hipError_tPvRmT1_PNSt15iterator_traitsISL_E10value_typeET2_T3_PNSM_ISR_E10value_typeET4_jRbjT5_SX_jjP12ihipStream_tbEUlT_E2_NS1_11comp_targetILNS1_3genE2ELNS1_11target_archE906ELNS1_3gpuE6ELNS1_3repE0EEENS1_30default_config_static_selectorELNS0_4arch9wavefront6targetE1EEEvSL_,comdat
.Lfunc_end1771:
	.size	_ZN7rocprim17ROCPRIM_400000_NS6detail17trampoline_kernelINS0_14default_configENS1_36segmented_radix_sort_config_selectorI6__halflEEZNS1_25segmented_radix_sort_implIS3_Lb1EPKS5_PS5_PKlPlN2at6native12_GLOBAL__N_18offset_tEEE10hipError_tPvRmT1_PNSt15iterator_traitsISL_E10value_typeET2_T3_PNSM_ISR_E10value_typeET4_jRbjT5_SX_jjP12ihipStream_tbEUlT_E2_NS1_11comp_targetILNS1_3genE2ELNS1_11target_archE906ELNS1_3gpuE6ELNS1_3repE0EEENS1_30default_config_static_selectorELNS0_4arch9wavefront6targetE1EEEvSL_, .Lfunc_end1771-_ZN7rocprim17ROCPRIM_400000_NS6detail17trampoline_kernelINS0_14default_configENS1_36segmented_radix_sort_config_selectorI6__halflEEZNS1_25segmented_radix_sort_implIS3_Lb1EPKS5_PS5_PKlPlN2at6native12_GLOBAL__N_18offset_tEEE10hipError_tPvRmT1_PNSt15iterator_traitsISL_E10value_typeET2_T3_PNSM_ISR_E10value_typeET4_jRbjT5_SX_jjP12ihipStream_tbEUlT_E2_NS1_11comp_targetILNS1_3genE2ELNS1_11target_archE906ELNS1_3gpuE6ELNS1_3repE0EEENS1_30default_config_static_selectorELNS0_4arch9wavefront6targetE1EEEvSL_
                                        ; -- End function
	.section	.AMDGPU.csdata,"",@progbits
; Kernel info:
; codeLenInByte = 0
; NumSgprs: 4
; NumVgprs: 0
; NumAgprs: 0
; TotalNumVgprs: 0
; ScratchSize: 0
; MemoryBound: 0
; FloatMode: 240
; IeeeMode: 1
; LDSByteSize: 0 bytes/workgroup (compile time only)
; SGPRBlocks: 0
; VGPRBlocks: 0
; NumSGPRsForWavesPerEU: 4
; NumVGPRsForWavesPerEU: 1
; AccumOffset: 4
; Occupancy: 8
; WaveLimiterHint : 0
; COMPUTE_PGM_RSRC2:SCRATCH_EN: 0
; COMPUTE_PGM_RSRC2:USER_SGPR: 6
; COMPUTE_PGM_RSRC2:TRAP_HANDLER: 0
; COMPUTE_PGM_RSRC2:TGID_X_EN: 1
; COMPUTE_PGM_RSRC2:TGID_Y_EN: 0
; COMPUTE_PGM_RSRC2:TGID_Z_EN: 0
; COMPUTE_PGM_RSRC2:TIDIG_COMP_CNT: 0
; COMPUTE_PGM_RSRC3_GFX90A:ACCUM_OFFSET: 0
; COMPUTE_PGM_RSRC3_GFX90A:TG_SPLIT: 0
	.section	.text._ZN7rocprim17ROCPRIM_400000_NS6detail17trampoline_kernelINS0_14default_configENS1_36segmented_radix_sort_config_selectorI6__halflEEZNS1_25segmented_radix_sort_implIS3_Lb1EPKS5_PS5_PKlPlN2at6native12_GLOBAL__N_18offset_tEEE10hipError_tPvRmT1_PNSt15iterator_traitsISL_E10value_typeET2_T3_PNSM_ISR_E10value_typeET4_jRbjT5_SX_jjP12ihipStream_tbEUlT_E2_NS1_11comp_targetILNS1_3genE10ELNS1_11target_archE1201ELNS1_3gpuE5ELNS1_3repE0EEENS1_30default_config_static_selectorELNS0_4arch9wavefront6targetE1EEEvSL_,"axG",@progbits,_ZN7rocprim17ROCPRIM_400000_NS6detail17trampoline_kernelINS0_14default_configENS1_36segmented_radix_sort_config_selectorI6__halflEEZNS1_25segmented_radix_sort_implIS3_Lb1EPKS5_PS5_PKlPlN2at6native12_GLOBAL__N_18offset_tEEE10hipError_tPvRmT1_PNSt15iterator_traitsISL_E10value_typeET2_T3_PNSM_ISR_E10value_typeET4_jRbjT5_SX_jjP12ihipStream_tbEUlT_E2_NS1_11comp_targetILNS1_3genE10ELNS1_11target_archE1201ELNS1_3gpuE5ELNS1_3repE0EEENS1_30default_config_static_selectorELNS0_4arch9wavefront6targetE1EEEvSL_,comdat
	.globl	_ZN7rocprim17ROCPRIM_400000_NS6detail17trampoline_kernelINS0_14default_configENS1_36segmented_radix_sort_config_selectorI6__halflEEZNS1_25segmented_radix_sort_implIS3_Lb1EPKS5_PS5_PKlPlN2at6native12_GLOBAL__N_18offset_tEEE10hipError_tPvRmT1_PNSt15iterator_traitsISL_E10value_typeET2_T3_PNSM_ISR_E10value_typeET4_jRbjT5_SX_jjP12ihipStream_tbEUlT_E2_NS1_11comp_targetILNS1_3genE10ELNS1_11target_archE1201ELNS1_3gpuE5ELNS1_3repE0EEENS1_30default_config_static_selectorELNS0_4arch9wavefront6targetE1EEEvSL_ ; -- Begin function _ZN7rocprim17ROCPRIM_400000_NS6detail17trampoline_kernelINS0_14default_configENS1_36segmented_radix_sort_config_selectorI6__halflEEZNS1_25segmented_radix_sort_implIS3_Lb1EPKS5_PS5_PKlPlN2at6native12_GLOBAL__N_18offset_tEEE10hipError_tPvRmT1_PNSt15iterator_traitsISL_E10value_typeET2_T3_PNSM_ISR_E10value_typeET4_jRbjT5_SX_jjP12ihipStream_tbEUlT_E2_NS1_11comp_targetILNS1_3genE10ELNS1_11target_archE1201ELNS1_3gpuE5ELNS1_3repE0EEENS1_30default_config_static_selectorELNS0_4arch9wavefront6targetE1EEEvSL_
	.p2align	8
	.type	_ZN7rocprim17ROCPRIM_400000_NS6detail17trampoline_kernelINS0_14default_configENS1_36segmented_radix_sort_config_selectorI6__halflEEZNS1_25segmented_radix_sort_implIS3_Lb1EPKS5_PS5_PKlPlN2at6native12_GLOBAL__N_18offset_tEEE10hipError_tPvRmT1_PNSt15iterator_traitsISL_E10value_typeET2_T3_PNSM_ISR_E10value_typeET4_jRbjT5_SX_jjP12ihipStream_tbEUlT_E2_NS1_11comp_targetILNS1_3genE10ELNS1_11target_archE1201ELNS1_3gpuE5ELNS1_3repE0EEENS1_30default_config_static_selectorELNS0_4arch9wavefront6targetE1EEEvSL_,@function
_ZN7rocprim17ROCPRIM_400000_NS6detail17trampoline_kernelINS0_14default_configENS1_36segmented_radix_sort_config_selectorI6__halflEEZNS1_25segmented_radix_sort_implIS3_Lb1EPKS5_PS5_PKlPlN2at6native12_GLOBAL__N_18offset_tEEE10hipError_tPvRmT1_PNSt15iterator_traitsISL_E10value_typeET2_T3_PNSM_ISR_E10value_typeET4_jRbjT5_SX_jjP12ihipStream_tbEUlT_E2_NS1_11comp_targetILNS1_3genE10ELNS1_11target_archE1201ELNS1_3gpuE5ELNS1_3repE0EEENS1_30default_config_static_selectorELNS0_4arch9wavefront6targetE1EEEvSL_: ; @_ZN7rocprim17ROCPRIM_400000_NS6detail17trampoline_kernelINS0_14default_configENS1_36segmented_radix_sort_config_selectorI6__halflEEZNS1_25segmented_radix_sort_implIS3_Lb1EPKS5_PS5_PKlPlN2at6native12_GLOBAL__N_18offset_tEEE10hipError_tPvRmT1_PNSt15iterator_traitsISL_E10value_typeET2_T3_PNSM_ISR_E10value_typeET4_jRbjT5_SX_jjP12ihipStream_tbEUlT_E2_NS1_11comp_targetILNS1_3genE10ELNS1_11target_archE1201ELNS1_3gpuE5ELNS1_3repE0EEENS1_30default_config_static_selectorELNS0_4arch9wavefront6targetE1EEEvSL_
; %bb.0:
	.section	.rodata,"a",@progbits
	.p2align	6, 0x0
	.amdhsa_kernel _ZN7rocprim17ROCPRIM_400000_NS6detail17trampoline_kernelINS0_14default_configENS1_36segmented_radix_sort_config_selectorI6__halflEEZNS1_25segmented_radix_sort_implIS3_Lb1EPKS5_PS5_PKlPlN2at6native12_GLOBAL__N_18offset_tEEE10hipError_tPvRmT1_PNSt15iterator_traitsISL_E10value_typeET2_T3_PNSM_ISR_E10value_typeET4_jRbjT5_SX_jjP12ihipStream_tbEUlT_E2_NS1_11comp_targetILNS1_3genE10ELNS1_11target_archE1201ELNS1_3gpuE5ELNS1_3repE0EEENS1_30default_config_static_selectorELNS0_4arch9wavefront6targetE1EEEvSL_
		.amdhsa_group_segment_fixed_size 0
		.amdhsa_private_segment_fixed_size 0
		.amdhsa_kernarg_size 80
		.amdhsa_user_sgpr_count 6
		.amdhsa_user_sgpr_private_segment_buffer 1
		.amdhsa_user_sgpr_dispatch_ptr 0
		.amdhsa_user_sgpr_queue_ptr 0
		.amdhsa_user_sgpr_kernarg_segment_ptr 1
		.amdhsa_user_sgpr_dispatch_id 0
		.amdhsa_user_sgpr_flat_scratch_init 0
		.amdhsa_user_sgpr_kernarg_preload_length 0
		.amdhsa_user_sgpr_kernarg_preload_offset 0
		.amdhsa_user_sgpr_private_segment_size 0
		.amdhsa_uses_dynamic_stack 0
		.amdhsa_system_sgpr_private_segment_wavefront_offset 0
		.amdhsa_system_sgpr_workgroup_id_x 1
		.amdhsa_system_sgpr_workgroup_id_y 0
		.amdhsa_system_sgpr_workgroup_id_z 0
		.amdhsa_system_sgpr_workgroup_info 0
		.amdhsa_system_vgpr_workitem_id 0
		.amdhsa_next_free_vgpr 1
		.amdhsa_next_free_sgpr 0
		.amdhsa_accum_offset 4
		.amdhsa_reserve_vcc 0
		.amdhsa_reserve_flat_scratch 0
		.amdhsa_float_round_mode_32 0
		.amdhsa_float_round_mode_16_64 0
		.amdhsa_float_denorm_mode_32 3
		.amdhsa_float_denorm_mode_16_64 3
		.amdhsa_dx10_clamp 1
		.amdhsa_ieee_mode 1
		.amdhsa_fp16_overflow 0
		.amdhsa_tg_split 0
		.amdhsa_exception_fp_ieee_invalid_op 0
		.amdhsa_exception_fp_denorm_src 0
		.amdhsa_exception_fp_ieee_div_zero 0
		.amdhsa_exception_fp_ieee_overflow 0
		.amdhsa_exception_fp_ieee_underflow 0
		.amdhsa_exception_fp_ieee_inexact 0
		.amdhsa_exception_int_div_zero 0
	.end_amdhsa_kernel
	.section	.text._ZN7rocprim17ROCPRIM_400000_NS6detail17trampoline_kernelINS0_14default_configENS1_36segmented_radix_sort_config_selectorI6__halflEEZNS1_25segmented_radix_sort_implIS3_Lb1EPKS5_PS5_PKlPlN2at6native12_GLOBAL__N_18offset_tEEE10hipError_tPvRmT1_PNSt15iterator_traitsISL_E10value_typeET2_T3_PNSM_ISR_E10value_typeET4_jRbjT5_SX_jjP12ihipStream_tbEUlT_E2_NS1_11comp_targetILNS1_3genE10ELNS1_11target_archE1201ELNS1_3gpuE5ELNS1_3repE0EEENS1_30default_config_static_selectorELNS0_4arch9wavefront6targetE1EEEvSL_,"axG",@progbits,_ZN7rocprim17ROCPRIM_400000_NS6detail17trampoline_kernelINS0_14default_configENS1_36segmented_radix_sort_config_selectorI6__halflEEZNS1_25segmented_radix_sort_implIS3_Lb1EPKS5_PS5_PKlPlN2at6native12_GLOBAL__N_18offset_tEEE10hipError_tPvRmT1_PNSt15iterator_traitsISL_E10value_typeET2_T3_PNSM_ISR_E10value_typeET4_jRbjT5_SX_jjP12ihipStream_tbEUlT_E2_NS1_11comp_targetILNS1_3genE10ELNS1_11target_archE1201ELNS1_3gpuE5ELNS1_3repE0EEENS1_30default_config_static_selectorELNS0_4arch9wavefront6targetE1EEEvSL_,comdat
.Lfunc_end1772:
	.size	_ZN7rocprim17ROCPRIM_400000_NS6detail17trampoline_kernelINS0_14default_configENS1_36segmented_radix_sort_config_selectorI6__halflEEZNS1_25segmented_radix_sort_implIS3_Lb1EPKS5_PS5_PKlPlN2at6native12_GLOBAL__N_18offset_tEEE10hipError_tPvRmT1_PNSt15iterator_traitsISL_E10value_typeET2_T3_PNSM_ISR_E10value_typeET4_jRbjT5_SX_jjP12ihipStream_tbEUlT_E2_NS1_11comp_targetILNS1_3genE10ELNS1_11target_archE1201ELNS1_3gpuE5ELNS1_3repE0EEENS1_30default_config_static_selectorELNS0_4arch9wavefront6targetE1EEEvSL_, .Lfunc_end1772-_ZN7rocprim17ROCPRIM_400000_NS6detail17trampoline_kernelINS0_14default_configENS1_36segmented_radix_sort_config_selectorI6__halflEEZNS1_25segmented_radix_sort_implIS3_Lb1EPKS5_PS5_PKlPlN2at6native12_GLOBAL__N_18offset_tEEE10hipError_tPvRmT1_PNSt15iterator_traitsISL_E10value_typeET2_T3_PNSM_ISR_E10value_typeET4_jRbjT5_SX_jjP12ihipStream_tbEUlT_E2_NS1_11comp_targetILNS1_3genE10ELNS1_11target_archE1201ELNS1_3gpuE5ELNS1_3repE0EEENS1_30default_config_static_selectorELNS0_4arch9wavefront6targetE1EEEvSL_
                                        ; -- End function
	.section	.AMDGPU.csdata,"",@progbits
; Kernel info:
; codeLenInByte = 0
; NumSgprs: 4
; NumVgprs: 0
; NumAgprs: 0
; TotalNumVgprs: 0
; ScratchSize: 0
; MemoryBound: 0
; FloatMode: 240
; IeeeMode: 1
; LDSByteSize: 0 bytes/workgroup (compile time only)
; SGPRBlocks: 0
; VGPRBlocks: 0
; NumSGPRsForWavesPerEU: 4
; NumVGPRsForWavesPerEU: 1
; AccumOffset: 4
; Occupancy: 8
; WaveLimiterHint : 0
; COMPUTE_PGM_RSRC2:SCRATCH_EN: 0
; COMPUTE_PGM_RSRC2:USER_SGPR: 6
; COMPUTE_PGM_RSRC2:TRAP_HANDLER: 0
; COMPUTE_PGM_RSRC2:TGID_X_EN: 1
; COMPUTE_PGM_RSRC2:TGID_Y_EN: 0
; COMPUTE_PGM_RSRC2:TGID_Z_EN: 0
; COMPUTE_PGM_RSRC2:TIDIG_COMP_CNT: 0
; COMPUTE_PGM_RSRC3_GFX90A:ACCUM_OFFSET: 0
; COMPUTE_PGM_RSRC3_GFX90A:TG_SPLIT: 0
	.section	.text._ZN7rocprim17ROCPRIM_400000_NS6detail17trampoline_kernelINS0_14default_configENS1_36segmented_radix_sort_config_selectorI6__halflEEZNS1_25segmented_radix_sort_implIS3_Lb1EPKS5_PS5_PKlPlN2at6native12_GLOBAL__N_18offset_tEEE10hipError_tPvRmT1_PNSt15iterator_traitsISL_E10value_typeET2_T3_PNSM_ISR_E10value_typeET4_jRbjT5_SX_jjP12ihipStream_tbEUlT_E2_NS1_11comp_targetILNS1_3genE10ELNS1_11target_archE1200ELNS1_3gpuE4ELNS1_3repE0EEENS1_30default_config_static_selectorELNS0_4arch9wavefront6targetE1EEEvSL_,"axG",@progbits,_ZN7rocprim17ROCPRIM_400000_NS6detail17trampoline_kernelINS0_14default_configENS1_36segmented_radix_sort_config_selectorI6__halflEEZNS1_25segmented_radix_sort_implIS3_Lb1EPKS5_PS5_PKlPlN2at6native12_GLOBAL__N_18offset_tEEE10hipError_tPvRmT1_PNSt15iterator_traitsISL_E10value_typeET2_T3_PNSM_ISR_E10value_typeET4_jRbjT5_SX_jjP12ihipStream_tbEUlT_E2_NS1_11comp_targetILNS1_3genE10ELNS1_11target_archE1200ELNS1_3gpuE4ELNS1_3repE0EEENS1_30default_config_static_selectorELNS0_4arch9wavefront6targetE1EEEvSL_,comdat
	.globl	_ZN7rocprim17ROCPRIM_400000_NS6detail17trampoline_kernelINS0_14default_configENS1_36segmented_radix_sort_config_selectorI6__halflEEZNS1_25segmented_radix_sort_implIS3_Lb1EPKS5_PS5_PKlPlN2at6native12_GLOBAL__N_18offset_tEEE10hipError_tPvRmT1_PNSt15iterator_traitsISL_E10value_typeET2_T3_PNSM_ISR_E10value_typeET4_jRbjT5_SX_jjP12ihipStream_tbEUlT_E2_NS1_11comp_targetILNS1_3genE10ELNS1_11target_archE1200ELNS1_3gpuE4ELNS1_3repE0EEENS1_30default_config_static_selectorELNS0_4arch9wavefront6targetE1EEEvSL_ ; -- Begin function _ZN7rocprim17ROCPRIM_400000_NS6detail17trampoline_kernelINS0_14default_configENS1_36segmented_radix_sort_config_selectorI6__halflEEZNS1_25segmented_radix_sort_implIS3_Lb1EPKS5_PS5_PKlPlN2at6native12_GLOBAL__N_18offset_tEEE10hipError_tPvRmT1_PNSt15iterator_traitsISL_E10value_typeET2_T3_PNSM_ISR_E10value_typeET4_jRbjT5_SX_jjP12ihipStream_tbEUlT_E2_NS1_11comp_targetILNS1_3genE10ELNS1_11target_archE1200ELNS1_3gpuE4ELNS1_3repE0EEENS1_30default_config_static_selectorELNS0_4arch9wavefront6targetE1EEEvSL_
	.p2align	8
	.type	_ZN7rocprim17ROCPRIM_400000_NS6detail17trampoline_kernelINS0_14default_configENS1_36segmented_radix_sort_config_selectorI6__halflEEZNS1_25segmented_radix_sort_implIS3_Lb1EPKS5_PS5_PKlPlN2at6native12_GLOBAL__N_18offset_tEEE10hipError_tPvRmT1_PNSt15iterator_traitsISL_E10value_typeET2_T3_PNSM_ISR_E10value_typeET4_jRbjT5_SX_jjP12ihipStream_tbEUlT_E2_NS1_11comp_targetILNS1_3genE10ELNS1_11target_archE1200ELNS1_3gpuE4ELNS1_3repE0EEENS1_30default_config_static_selectorELNS0_4arch9wavefront6targetE1EEEvSL_,@function
_ZN7rocprim17ROCPRIM_400000_NS6detail17trampoline_kernelINS0_14default_configENS1_36segmented_radix_sort_config_selectorI6__halflEEZNS1_25segmented_radix_sort_implIS3_Lb1EPKS5_PS5_PKlPlN2at6native12_GLOBAL__N_18offset_tEEE10hipError_tPvRmT1_PNSt15iterator_traitsISL_E10value_typeET2_T3_PNSM_ISR_E10value_typeET4_jRbjT5_SX_jjP12ihipStream_tbEUlT_E2_NS1_11comp_targetILNS1_3genE10ELNS1_11target_archE1200ELNS1_3gpuE4ELNS1_3repE0EEENS1_30default_config_static_selectorELNS0_4arch9wavefront6targetE1EEEvSL_: ; @_ZN7rocprim17ROCPRIM_400000_NS6detail17trampoline_kernelINS0_14default_configENS1_36segmented_radix_sort_config_selectorI6__halflEEZNS1_25segmented_radix_sort_implIS3_Lb1EPKS5_PS5_PKlPlN2at6native12_GLOBAL__N_18offset_tEEE10hipError_tPvRmT1_PNSt15iterator_traitsISL_E10value_typeET2_T3_PNSM_ISR_E10value_typeET4_jRbjT5_SX_jjP12ihipStream_tbEUlT_E2_NS1_11comp_targetILNS1_3genE10ELNS1_11target_archE1200ELNS1_3gpuE4ELNS1_3repE0EEENS1_30default_config_static_selectorELNS0_4arch9wavefront6targetE1EEEvSL_
; %bb.0:
	.section	.rodata,"a",@progbits
	.p2align	6, 0x0
	.amdhsa_kernel _ZN7rocprim17ROCPRIM_400000_NS6detail17trampoline_kernelINS0_14default_configENS1_36segmented_radix_sort_config_selectorI6__halflEEZNS1_25segmented_radix_sort_implIS3_Lb1EPKS5_PS5_PKlPlN2at6native12_GLOBAL__N_18offset_tEEE10hipError_tPvRmT1_PNSt15iterator_traitsISL_E10value_typeET2_T3_PNSM_ISR_E10value_typeET4_jRbjT5_SX_jjP12ihipStream_tbEUlT_E2_NS1_11comp_targetILNS1_3genE10ELNS1_11target_archE1200ELNS1_3gpuE4ELNS1_3repE0EEENS1_30default_config_static_selectorELNS0_4arch9wavefront6targetE1EEEvSL_
		.amdhsa_group_segment_fixed_size 0
		.amdhsa_private_segment_fixed_size 0
		.amdhsa_kernarg_size 80
		.amdhsa_user_sgpr_count 6
		.amdhsa_user_sgpr_private_segment_buffer 1
		.amdhsa_user_sgpr_dispatch_ptr 0
		.amdhsa_user_sgpr_queue_ptr 0
		.amdhsa_user_sgpr_kernarg_segment_ptr 1
		.amdhsa_user_sgpr_dispatch_id 0
		.amdhsa_user_sgpr_flat_scratch_init 0
		.amdhsa_user_sgpr_kernarg_preload_length 0
		.amdhsa_user_sgpr_kernarg_preload_offset 0
		.amdhsa_user_sgpr_private_segment_size 0
		.amdhsa_uses_dynamic_stack 0
		.amdhsa_system_sgpr_private_segment_wavefront_offset 0
		.amdhsa_system_sgpr_workgroup_id_x 1
		.amdhsa_system_sgpr_workgroup_id_y 0
		.amdhsa_system_sgpr_workgroup_id_z 0
		.amdhsa_system_sgpr_workgroup_info 0
		.amdhsa_system_vgpr_workitem_id 0
		.amdhsa_next_free_vgpr 1
		.amdhsa_next_free_sgpr 0
		.amdhsa_accum_offset 4
		.amdhsa_reserve_vcc 0
		.amdhsa_reserve_flat_scratch 0
		.amdhsa_float_round_mode_32 0
		.amdhsa_float_round_mode_16_64 0
		.amdhsa_float_denorm_mode_32 3
		.amdhsa_float_denorm_mode_16_64 3
		.amdhsa_dx10_clamp 1
		.amdhsa_ieee_mode 1
		.amdhsa_fp16_overflow 0
		.amdhsa_tg_split 0
		.amdhsa_exception_fp_ieee_invalid_op 0
		.amdhsa_exception_fp_denorm_src 0
		.amdhsa_exception_fp_ieee_div_zero 0
		.amdhsa_exception_fp_ieee_overflow 0
		.amdhsa_exception_fp_ieee_underflow 0
		.amdhsa_exception_fp_ieee_inexact 0
		.amdhsa_exception_int_div_zero 0
	.end_amdhsa_kernel
	.section	.text._ZN7rocprim17ROCPRIM_400000_NS6detail17trampoline_kernelINS0_14default_configENS1_36segmented_radix_sort_config_selectorI6__halflEEZNS1_25segmented_radix_sort_implIS3_Lb1EPKS5_PS5_PKlPlN2at6native12_GLOBAL__N_18offset_tEEE10hipError_tPvRmT1_PNSt15iterator_traitsISL_E10value_typeET2_T3_PNSM_ISR_E10value_typeET4_jRbjT5_SX_jjP12ihipStream_tbEUlT_E2_NS1_11comp_targetILNS1_3genE10ELNS1_11target_archE1200ELNS1_3gpuE4ELNS1_3repE0EEENS1_30default_config_static_selectorELNS0_4arch9wavefront6targetE1EEEvSL_,"axG",@progbits,_ZN7rocprim17ROCPRIM_400000_NS6detail17trampoline_kernelINS0_14default_configENS1_36segmented_radix_sort_config_selectorI6__halflEEZNS1_25segmented_radix_sort_implIS3_Lb1EPKS5_PS5_PKlPlN2at6native12_GLOBAL__N_18offset_tEEE10hipError_tPvRmT1_PNSt15iterator_traitsISL_E10value_typeET2_T3_PNSM_ISR_E10value_typeET4_jRbjT5_SX_jjP12ihipStream_tbEUlT_E2_NS1_11comp_targetILNS1_3genE10ELNS1_11target_archE1200ELNS1_3gpuE4ELNS1_3repE0EEENS1_30default_config_static_selectorELNS0_4arch9wavefront6targetE1EEEvSL_,comdat
.Lfunc_end1773:
	.size	_ZN7rocprim17ROCPRIM_400000_NS6detail17trampoline_kernelINS0_14default_configENS1_36segmented_radix_sort_config_selectorI6__halflEEZNS1_25segmented_radix_sort_implIS3_Lb1EPKS5_PS5_PKlPlN2at6native12_GLOBAL__N_18offset_tEEE10hipError_tPvRmT1_PNSt15iterator_traitsISL_E10value_typeET2_T3_PNSM_ISR_E10value_typeET4_jRbjT5_SX_jjP12ihipStream_tbEUlT_E2_NS1_11comp_targetILNS1_3genE10ELNS1_11target_archE1200ELNS1_3gpuE4ELNS1_3repE0EEENS1_30default_config_static_selectorELNS0_4arch9wavefront6targetE1EEEvSL_, .Lfunc_end1773-_ZN7rocprim17ROCPRIM_400000_NS6detail17trampoline_kernelINS0_14default_configENS1_36segmented_radix_sort_config_selectorI6__halflEEZNS1_25segmented_radix_sort_implIS3_Lb1EPKS5_PS5_PKlPlN2at6native12_GLOBAL__N_18offset_tEEE10hipError_tPvRmT1_PNSt15iterator_traitsISL_E10value_typeET2_T3_PNSM_ISR_E10value_typeET4_jRbjT5_SX_jjP12ihipStream_tbEUlT_E2_NS1_11comp_targetILNS1_3genE10ELNS1_11target_archE1200ELNS1_3gpuE4ELNS1_3repE0EEENS1_30default_config_static_selectorELNS0_4arch9wavefront6targetE1EEEvSL_
                                        ; -- End function
	.section	.AMDGPU.csdata,"",@progbits
; Kernel info:
; codeLenInByte = 0
; NumSgprs: 4
; NumVgprs: 0
; NumAgprs: 0
; TotalNumVgprs: 0
; ScratchSize: 0
; MemoryBound: 0
; FloatMode: 240
; IeeeMode: 1
; LDSByteSize: 0 bytes/workgroup (compile time only)
; SGPRBlocks: 0
; VGPRBlocks: 0
; NumSGPRsForWavesPerEU: 4
; NumVGPRsForWavesPerEU: 1
; AccumOffset: 4
; Occupancy: 8
; WaveLimiterHint : 0
; COMPUTE_PGM_RSRC2:SCRATCH_EN: 0
; COMPUTE_PGM_RSRC2:USER_SGPR: 6
; COMPUTE_PGM_RSRC2:TRAP_HANDLER: 0
; COMPUTE_PGM_RSRC2:TGID_X_EN: 1
; COMPUTE_PGM_RSRC2:TGID_Y_EN: 0
; COMPUTE_PGM_RSRC2:TGID_Z_EN: 0
; COMPUTE_PGM_RSRC2:TIDIG_COMP_CNT: 0
; COMPUTE_PGM_RSRC3_GFX90A:ACCUM_OFFSET: 0
; COMPUTE_PGM_RSRC3_GFX90A:TG_SPLIT: 0
	.section	.text._ZN7rocprim17ROCPRIM_400000_NS6detail17trampoline_kernelINS0_14default_configENS1_36segmented_radix_sort_config_selectorI6__halflEEZNS1_25segmented_radix_sort_implIS3_Lb1EPKS5_PS5_PKlPlN2at6native12_GLOBAL__N_18offset_tEEE10hipError_tPvRmT1_PNSt15iterator_traitsISL_E10value_typeET2_T3_PNSM_ISR_E10value_typeET4_jRbjT5_SX_jjP12ihipStream_tbEUlT_E2_NS1_11comp_targetILNS1_3genE9ELNS1_11target_archE1100ELNS1_3gpuE3ELNS1_3repE0EEENS1_30default_config_static_selectorELNS0_4arch9wavefront6targetE1EEEvSL_,"axG",@progbits,_ZN7rocprim17ROCPRIM_400000_NS6detail17trampoline_kernelINS0_14default_configENS1_36segmented_radix_sort_config_selectorI6__halflEEZNS1_25segmented_radix_sort_implIS3_Lb1EPKS5_PS5_PKlPlN2at6native12_GLOBAL__N_18offset_tEEE10hipError_tPvRmT1_PNSt15iterator_traitsISL_E10value_typeET2_T3_PNSM_ISR_E10value_typeET4_jRbjT5_SX_jjP12ihipStream_tbEUlT_E2_NS1_11comp_targetILNS1_3genE9ELNS1_11target_archE1100ELNS1_3gpuE3ELNS1_3repE0EEENS1_30default_config_static_selectorELNS0_4arch9wavefront6targetE1EEEvSL_,comdat
	.globl	_ZN7rocprim17ROCPRIM_400000_NS6detail17trampoline_kernelINS0_14default_configENS1_36segmented_radix_sort_config_selectorI6__halflEEZNS1_25segmented_radix_sort_implIS3_Lb1EPKS5_PS5_PKlPlN2at6native12_GLOBAL__N_18offset_tEEE10hipError_tPvRmT1_PNSt15iterator_traitsISL_E10value_typeET2_T3_PNSM_ISR_E10value_typeET4_jRbjT5_SX_jjP12ihipStream_tbEUlT_E2_NS1_11comp_targetILNS1_3genE9ELNS1_11target_archE1100ELNS1_3gpuE3ELNS1_3repE0EEENS1_30default_config_static_selectorELNS0_4arch9wavefront6targetE1EEEvSL_ ; -- Begin function _ZN7rocprim17ROCPRIM_400000_NS6detail17trampoline_kernelINS0_14default_configENS1_36segmented_radix_sort_config_selectorI6__halflEEZNS1_25segmented_radix_sort_implIS3_Lb1EPKS5_PS5_PKlPlN2at6native12_GLOBAL__N_18offset_tEEE10hipError_tPvRmT1_PNSt15iterator_traitsISL_E10value_typeET2_T3_PNSM_ISR_E10value_typeET4_jRbjT5_SX_jjP12ihipStream_tbEUlT_E2_NS1_11comp_targetILNS1_3genE9ELNS1_11target_archE1100ELNS1_3gpuE3ELNS1_3repE0EEENS1_30default_config_static_selectorELNS0_4arch9wavefront6targetE1EEEvSL_
	.p2align	8
	.type	_ZN7rocprim17ROCPRIM_400000_NS6detail17trampoline_kernelINS0_14default_configENS1_36segmented_radix_sort_config_selectorI6__halflEEZNS1_25segmented_radix_sort_implIS3_Lb1EPKS5_PS5_PKlPlN2at6native12_GLOBAL__N_18offset_tEEE10hipError_tPvRmT1_PNSt15iterator_traitsISL_E10value_typeET2_T3_PNSM_ISR_E10value_typeET4_jRbjT5_SX_jjP12ihipStream_tbEUlT_E2_NS1_11comp_targetILNS1_3genE9ELNS1_11target_archE1100ELNS1_3gpuE3ELNS1_3repE0EEENS1_30default_config_static_selectorELNS0_4arch9wavefront6targetE1EEEvSL_,@function
_ZN7rocprim17ROCPRIM_400000_NS6detail17trampoline_kernelINS0_14default_configENS1_36segmented_radix_sort_config_selectorI6__halflEEZNS1_25segmented_radix_sort_implIS3_Lb1EPKS5_PS5_PKlPlN2at6native12_GLOBAL__N_18offset_tEEE10hipError_tPvRmT1_PNSt15iterator_traitsISL_E10value_typeET2_T3_PNSM_ISR_E10value_typeET4_jRbjT5_SX_jjP12ihipStream_tbEUlT_E2_NS1_11comp_targetILNS1_3genE9ELNS1_11target_archE1100ELNS1_3gpuE3ELNS1_3repE0EEENS1_30default_config_static_selectorELNS0_4arch9wavefront6targetE1EEEvSL_: ; @_ZN7rocprim17ROCPRIM_400000_NS6detail17trampoline_kernelINS0_14default_configENS1_36segmented_radix_sort_config_selectorI6__halflEEZNS1_25segmented_radix_sort_implIS3_Lb1EPKS5_PS5_PKlPlN2at6native12_GLOBAL__N_18offset_tEEE10hipError_tPvRmT1_PNSt15iterator_traitsISL_E10value_typeET2_T3_PNSM_ISR_E10value_typeET4_jRbjT5_SX_jjP12ihipStream_tbEUlT_E2_NS1_11comp_targetILNS1_3genE9ELNS1_11target_archE1100ELNS1_3gpuE3ELNS1_3repE0EEENS1_30default_config_static_selectorELNS0_4arch9wavefront6targetE1EEEvSL_
; %bb.0:
	.section	.rodata,"a",@progbits
	.p2align	6, 0x0
	.amdhsa_kernel _ZN7rocprim17ROCPRIM_400000_NS6detail17trampoline_kernelINS0_14default_configENS1_36segmented_radix_sort_config_selectorI6__halflEEZNS1_25segmented_radix_sort_implIS3_Lb1EPKS5_PS5_PKlPlN2at6native12_GLOBAL__N_18offset_tEEE10hipError_tPvRmT1_PNSt15iterator_traitsISL_E10value_typeET2_T3_PNSM_ISR_E10value_typeET4_jRbjT5_SX_jjP12ihipStream_tbEUlT_E2_NS1_11comp_targetILNS1_3genE9ELNS1_11target_archE1100ELNS1_3gpuE3ELNS1_3repE0EEENS1_30default_config_static_selectorELNS0_4arch9wavefront6targetE1EEEvSL_
		.amdhsa_group_segment_fixed_size 0
		.amdhsa_private_segment_fixed_size 0
		.amdhsa_kernarg_size 80
		.amdhsa_user_sgpr_count 6
		.amdhsa_user_sgpr_private_segment_buffer 1
		.amdhsa_user_sgpr_dispatch_ptr 0
		.amdhsa_user_sgpr_queue_ptr 0
		.amdhsa_user_sgpr_kernarg_segment_ptr 1
		.amdhsa_user_sgpr_dispatch_id 0
		.amdhsa_user_sgpr_flat_scratch_init 0
		.amdhsa_user_sgpr_kernarg_preload_length 0
		.amdhsa_user_sgpr_kernarg_preload_offset 0
		.amdhsa_user_sgpr_private_segment_size 0
		.amdhsa_uses_dynamic_stack 0
		.amdhsa_system_sgpr_private_segment_wavefront_offset 0
		.amdhsa_system_sgpr_workgroup_id_x 1
		.amdhsa_system_sgpr_workgroup_id_y 0
		.amdhsa_system_sgpr_workgroup_id_z 0
		.amdhsa_system_sgpr_workgroup_info 0
		.amdhsa_system_vgpr_workitem_id 0
		.amdhsa_next_free_vgpr 1
		.amdhsa_next_free_sgpr 0
		.amdhsa_accum_offset 4
		.amdhsa_reserve_vcc 0
		.amdhsa_reserve_flat_scratch 0
		.amdhsa_float_round_mode_32 0
		.amdhsa_float_round_mode_16_64 0
		.amdhsa_float_denorm_mode_32 3
		.amdhsa_float_denorm_mode_16_64 3
		.amdhsa_dx10_clamp 1
		.amdhsa_ieee_mode 1
		.amdhsa_fp16_overflow 0
		.amdhsa_tg_split 0
		.amdhsa_exception_fp_ieee_invalid_op 0
		.amdhsa_exception_fp_denorm_src 0
		.amdhsa_exception_fp_ieee_div_zero 0
		.amdhsa_exception_fp_ieee_overflow 0
		.amdhsa_exception_fp_ieee_underflow 0
		.amdhsa_exception_fp_ieee_inexact 0
		.amdhsa_exception_int_div_zero 0
	.end_amdhsa_kernel
	.section	.text._ZN7rocprim17ROCPRIM_400000_NS6detail17trampoline_kernelINS0_14default_configENS1_36segmented_radix_sort_config_selectorI6__halflEEZNS1_25segmented_radix_sort_implIS3_Lb1EPKS5_PS5_PKlPlN2at6native12_GLOBAL__N_18offset_tEEE10hipError_tPvRmT1_PNSt15iterator_traitsISL_E10value_typeET2_T3_PNSM_ISR_E10value_typeET4_jRbjT5_SX_jjP12ihipStream_tbEUlT_E2_NS1_11comp_targetILNS1_3genE9ELNS1_11target_archE1100ELNS1_3gpuE3ELNS1_3repE0EEENS1_30default_config_static_selectorELNS0_4arch9wavefront6targetE1EEEvSL_,"axG",@progbits,_ZN7rocprim17ROCPRIM_400000_NS6detail17trampoline_kernelINS0_14default_configENS1_36segmented_radix_sort_config_selectorI6__halflEEZNS1_25segmented_radix_sort_implIS3_Lb1EPKS5_PS5_PKlPlN2at6native12_GLOBAL__N_18offset_tEEE10hipError_tPvRmT1_PNSt15iterator_traitsISL_E10value_typeET2_T3_PNSM_ISR_E10value_typeET4_jRbjT5_SX_jjP12ihipStream_tbEUlT_E2_NS1_11comp_targetILNS1_3genE9ELNS1_11target_archE1100ELNS1_3gpuE3ELNS1_3repE0EEENS1_30default_config_static_selectorELNS0_4arch9wavefront6targetE1EEEvSL_,comdat
.Lfunc_end1774:
	.size	_ZN7rocprim17ROCPRIM_400000_NS6detail17trampoline_kernelINS0_14default_configENS1_36segmented_radix_sort_config_selectorI6__halflEEZNS1_25segmented_radix_sort_implIS3_Lb1EPKS5_PS5_PKlPlN2at6native12_GLOBAL__N_18offset_tEEE10hipError_tPvRmT1_PNSt15iterator_traitsISL_E10value_typeET2_T3_PNSM_ISR_E10value_typeET4_jRbjT5_SX_jjP12ihipStream_tbEUlT_E2_NS1_11comp_targetILNS1_3genE9ELNS1_11target_archE1100ELNS1_3gpuE3ELNS1_3repE0EEENS1_30default_config_static_selectorELNS0_4arch9wavefront6targetE1EEEvSL_, .Lfunc_end1774-_ZN7rocprim17ROCPRIM_400000_NS6detail17trampoline_kernelINS0_14default_configENS1_36segmented_radix_sort_config_selectorI6__halflEEZNS1_25segmented_radix_sort_implIS3_Lb1EPKS5_PS5_PKlPlN2at6native12_GLOBAL__N_18offset_tEEE10hipError_tPvRmT1_PNSt15iterator_traitsISL_E10value_typeET2_T3_PNSM_ISR_E10value_typeET4_jRbjT5_SX_jjP12ihipStream_tbEUlT_E2_NS1_11comp_targetILNS1_3genE9ELNS1_11target_archE1100ELNS1_3gpuE3ELNS1_3repE0EEENS1_30default_config_static_selectorELNS0_4arch9wavefront6targetE1EEEvSL_
                                        ; -- End function
	.section	.AMDGPU.csdata,"",@progbits
; Kernel info:
; codeLenInByte = 0
; NumSgprs: 4
; NumVgprs: 0
; NumAgprs: 0
; TotalNumVgprs: 0
; ScratchSize: 0
; MemoryBound: 0
; FloatMode: 240
; IeeeMode: 1
; LDSByteSize: 0 bytes/workgroup (compile time only)
; SGPRBlocks: 0
; VGPRBlocks: 0
; NumSGPRsForWavesPerEU: 4
; NumVGPRsForWavesPerEU: 1
; AccumOffset: 4
; Occupancy: 8
; WaveLimiterHint : 0
; COMPUTE_PGM_RSRC2:SCRATCH_EN: 0
; COMPUTE_PGM_RSRC2:USER_SGPR: 6
; COMPUTE_PGM_RSRC2:TRAP_HANDLER: 0
; COMPUTE_PGM_RSRC2:TGID_X_EN: 1
; COMPUTE_PGM_RSRC2:TGID_Y_EN: 0
; COMPUTE_PGM_RSRC2:TGID_Z_EN: 0
; COMPUTE_PGM_RSRC2:TIDIG_COMP_CNT: 0
; COMPUTE_PGM_RSRC3_GFX90A:ACCUM_OFFSET: 0
; COMPUTE_PGM_RSRC3_GFX90A:TG_SPLIT: 0
	.section	.text._ZN7rocprim17ROCPRIM_400000_NS6detail17trampoline_kernelINS0_14default_configENS1_36segmented_radix_sort_config_selectorI6__halflEEZNS1_25segmented_radix_sort_implIS3_Lb1EPKS5_PS5_PKlPlN2at6native12_GLOBAL__N_18offset_tEEE10hipError_tPvRmT1_PNSt15iterator_traitsISL_E10value_typeET2_T3_PNSM_ISR_E10value_typeET4_jRbjT5_SX_jjP12ihipStream_tbEUlT_E2_NS1_11comp_targetILNS1_3genE8ELNS1_11target_archE1030ELNS1_3gpuE2ELNS1_3repE0EEENS1_30default_config_static_selectorELNS0_4arch9wavefront6targetE1EEEvSL_,"axG",@progbits,_ZN7rocprim17ROCPRIM_400000_NS6detail17trampoline_kernelINS0_14default_configENS1_36segmented_radix_sort_config_selectorI6__halflEEZNS1_25segmented_radix_sort_implIS3_Lb1EPKS5_PS5_PKlPlN2at6native12_GLOBAL__N_18offset_tEEE10hipError_tPvRmT1_PNSt15iterator_traitsISL_E10value_typeET2_T3_PNSM_ISR_E10value_typeET4_jRbjT5_SX_jjP12ihipStream_tbEUlT_E2_NS1_11comp_targetILNS1_3genE8ELNS1_11target_archE1030ELNS1_3gpuE2ELNS1_3repE0EEENS1_30default_config_static_selectorELNS0_4arch9wavefront6targetE1EEEvSL_,comdat
	.globl	_ZN7rocprim17ROCPRIM_400000_NS6detail17trampoline_kernelINS0_14default_configENS1_36segmented_radix_sort_config_selectorI6__halflEEZNS1_25segmented_radix_sort_implIS3_Lb1EPKS5_PS5_PKlPlN2at6native12_GLOBAL__N_18offset_tEEE10hipError_tPvRmT1_PNSt15iterator_traitsISL_E10value_typeET2_T3_PNSM_ISR_E10value_typeET4_jRbjT5_SX_jjP12ihipStream_tbEUlT_E2_NS1_11comp_targetILNS1_3genE8ELNS1_11target_archE1030ELNS1_3gpuE2ELNS1_3repE0EEENS1_30default_config_static_selectorELNS0_4arch9wavefront6targetE1EEEvSL_ ; -- Begin function _ZN7rocprim17ROCPRIM_400000_NS6detail17trampoline_kernelINS0_14default_configENS1_36segmented_radix_sort_config_selectorI6__halflEEZNS1_25segmented_radix_sort_implIS3_Lb1EPKS5_PS5_PKlPlN2at6native12_GLOBAL__N_18offset_tEEE10hipError_tPvRmT1_PNSt15iterator_traitsISL_E10value_typeET2_T3_PNSM_ISR_E10value_typeET4_jRbjT5_SX_jjP12ihipStream_tbEUlT_E2_NS1_11comp_targetILNS1_3genE8ELNS1_11target_archE1030ELNS1_3gpuE2ELNS1_3repE0EEENS1_30default_config_static_selectorELNS0_4arch9wavefront6targetE1EEEvSL_
	.p2align	8
	.type	_ZN7rocprim17ROCPRIM_400000_NS6detail17trampoline_kernelINS0_14default_configENS1_36segmented_radix_sort_config_selectorI6__halflEEZNS1_25segmented_radix_sort_implIS3_Lb1EPKS5_PS5_PKlPlN2at6native12_GLOBAL__N_18offset_tEEE10hipError_tPvRmT1_PNSt15iterator_traitsISL_E10value_typeET2_T3_PNSM_ISR_E10value_typeET4_jRbjT5_SX_jjP12ihipStream_tbEUlT_E2_NS1_11comp_targetILNS1_3genE8ELNS1_11target_archE1030ELNS1_3gpuE2ELNS1_3repE0EEENS1_30default_config_static_selectorELNS0_4arch9wavefront6targetE1EEEvSL_,@function
_ZN7rocprim17ROCPRIM_400000_NS6detail17trampoline_kernelINS0_14default_configENS1_36segmented_radix_sort_config_selectorI6__halflEEZNS1_25segmented_radix_sort_implIS3_Lb1EPKS5_PS5_PKlPlN2at6native12_GLOBAL__N_18offset_tEEE10hipError_tPvRmT1_PNSt15iterator_traitsISL_E10value_typeET2_T3_PNSM_ISR_E10value_typeET4_jRbjT5_SX_jjP12ihipStream_tbEUlT_E2_NS1_11comp_targetILNS1_3genE8ELNS1_11target_archE1030ELNS1_3gpuE2ELNS1_3repE0EEENS1_30default_config_static_selectorELNS0_4arch9wavefront6targetE1EEEvSL_: ; @_ZN7rocprim17ROCPRIM_400000_NS6detail17trampoline_kernelINS0_14default_configENS1_36segmented_radix_sort_config_selectorI6__halflEEZNS1_25segmented_radix_sort_implIS3_Lb1EPKS5_PS5_PKlPlN2at6native12_GLOBAL__N_18offset_tEEE10hipError_tPvRmT1_PNSt15iterator_traitsISL_E10value_typeET2_T3_PNSM_ISR_E10value_typeET4_jRbjT5_SX_jjP12ihipStream_tbEUlT_E2_NS1_11comp_targetILNS1_3genE8ELNS1_11target_archE1030ELNS1_3gpuE2ELNS1_3repE0EEENS1_30default_config_static_selectorELNS0_4arch9wavefront6targetE1EEEvSL_
; %bb.0:
	.section	.rodata,"a",@progbits
	.p2align	6, 0x0
	.amdhsa_kernel _ZN7rocprim17ROCPRIM_400000_NS6detail17trampoline_kernelINS0_14default_configENS1_36segmented_radix_sort_config_selectorI6__halflEEZNS1_25segmented_radix_sort_implIS3_Lb1EPKS5_PS5_PKlPlN2at6native12_GLOBAL__N_18offset_tEEE10hipError_tPvRmT1_PNSt15iterator_traitsISL_E10value_typeET2_T3_PNSM_ISR_E10value_typeET4_jRbjT5_SX_jjP12ihipStream_tbEUlT_E2_NS1_11comp_targetILNS1_3genE8ELNS1_11target_archE1030ELNS1_3gpuE2ELNS1_3repE0EEENS1_30default_config_static_selectorELNS0_4arch9wavefront6targetE1EEEvSL_
		.amdhsa_group_segment_fixed_size 0
		.amdhsa_private_segment_fixed_size 0
		.amdhsa_kernarg_size 80
		.amdhsa_user_sgpr_count 6
		.amdhsa_user_sgpr_private_segment_buffer 1
		.amdhsa_user_sgpr_dispatch_ptr 0
		.amdhsa_user_sgpr_queue_ptr 0
		.amdhsa_user_sgpr_kernarg_segment_ptr 1
		.amdhsa_user_sgpr_dispatch_id 0
		.amdhsa_user_sgpr_flat_scratch_init 0
		.amdhsa_user_sgpr_kernarg_preload_length 0
		.amdhsa_user_sgpr_kernarg_preload_offset 0
		.amdhsa_user_sgpr_private_segment_size 0
		.amdhsa_uses_dynamic_stack 0
		.amdhsa_system_sgpr_private_segment_wavefront_offset 0
		.amdhsa_system_sgpr_workgroup_id_x 1
		.amdhsa_system_sgpr_workgroup_id_y 0
		.amdhsa_system_sgpr_workgroup_id_z 0
		.amdhsa_system_sgpr_workgroup_info 0
		.amdhsa_system_vgpr_workitem_id 0
		.amdhsa_next_free_vgpr 1
		.amdhsa_next_free_sgpr 0
		.amdhsa_accum_offset 4
		.amdhsa_reserve_vcc 0
		.amdhsa_reserve_flat_scratch 0
		.amdhsa_float_round_mode_32 0
		.amdhsa_float_round_mode_16_64 0
		.amdhsa_float_denorm_mode_32 3
		.amdhsa_float_denorm_mode_16_64 3
		.amdhsa_dx10_clamp 1
		.amdhsa_ieee_mode 1
		.amdhsa_fp16_overflow 0
		.amdhsa_tg_split 0
		.amdhsa_exception_fp_ieee_invalid_op 0
		.amdhsa_exception_fp_denorm_src 0
		.amdhsa_exception_fp_ieee_div_zero 0
		.amdhsa_exception_fp_ieee_overflow 0
		.amdhsa_exception_fp_ieee_underflow 0
		.amdhsa_exception_fp_ieee_inexact 0
		.amdhsa_exception_int_div_zero 0
	.end_amdhsa_kernel
	.section	.text._ZN7rocprim17ROCPRIM_400000_NS6detail17trampoline_kernelINS0_14default_configENS1_36segmented_radix_sort_config_selectorI6__halflEEZNS1_25segmented_radix_sort_implIS3_Lb1EPKS5_PS5_PKlPlN2at6native12_GLOBAL__N_18offset_tEEE10hipError_tPvRmT1_PNSt15iterator_traitsISL_E10value_typeET2_T3_PNSM_ISR_E10value_typeET4_jRbjT5_SX_jjP12ihipStream_tbEUlT_E2_NS1_11comp_targetILNS1_3genE8ELNS1_11target_archE1030ELNS1_3gpuE2ELNS1_3repE0EEENS1_30default_config_static_selectorELNS0_4arch9wavefront6targetE1EEEvSL_,"axG",@progbits,_ZN7rocprim17ROCPRIM_400000_NS6detail17trampoline_kernelINS0_14default_configENS1_36segmented_radix_sort_config_selectorI6__halflEEZNS1_25segmented_radix_sort_implIS3_Lb1EPKS5_PS5_PKlPlN2at6native12_GLOBAL__N_18offset_tEEE10hipError_tPvRmT1_PNSt15iterator_traitsISL_E10value_typeET2_T3_PNSM_ISR_E10value_typeET4_jRbjT5_SX_jjP12ihipStream_tbEUlT_E2_NS1_11comp_targetILNS1_3genE8ELNS1_11target_archE1030ELNS1_3gpuE2ELNS1_3repE0EEENS1_30default_config_static_selectorELNS0_4arch9wavefront6targetE1EEEvSL_,comdat
.Lfunc_end1775:
	.size	_ZN7rocprim17ROCPRIM_400000_NS6detail17trampoline_kernelINS0_14default_configENS1_36segmented_radix_sort_config_selectorI6__halflEEZNS1_25segmented_radix_sort_implIS3_Lb1EPKS5_PS5_PKlPlN2at6native12_GLOBAL__N_18offset_tEEE10hipError_tPvRmT1_PNSt15iterator_traitsISL_E10value_typeET2_T3_PNSM_ISR_E10value_typeET4_jRbjT5_SX_jjP12ihipStream_tbEUlT_E2_NS1_11comp_targetILNS1_3genE8ELNS1_11target_archE1030ELNS1_3gpuE2ELNS1_3repE0EEENS1_30default_config_static_selectorELNS0_4arch9wavefront6targetE1EEEvSL_, .Lfunc_end1775-_ZN7rocprim17ROCPRIM_400000_NS6detail17trampoline_kernelINS0_14default_configENS1_36segmented_radix_sort_config_selectorI6__halflEEZNS1_25segmented_radix_sort_implIS3_Lb1EPKS5_PS5_PKlPlN2at6native12_GLOBAL__N_18offset_tEEE10hipError_tPvRmT1_PNSt15iterator_traitsISL_E10value_typeET2_T3_PNSM_ISR_E10value_typeET4_jRbjT5_SX_jjP12ihipStream_tbEUlT_E2_NS1_11comp_targetILNS1_3genE8ELNS1_11target_archE1030ELNS1_3gpuE2ELNS1_3repE0EEENS1_30default_config_static_selectorELNS0_4arch9wavefront6targetE1EEEvSL_
                                        ; -- End function
	.section	.AMDGPU.csdata,"",@progbits
; Kernel info:
; codeLenInByte = 0
; NumSgprs: 4
; NumVgprs: 0
; NumAgprs: 0
; TotalNumVgprs: 0
; ScratchSize: 0
; MemoryBound: 0
; FloatMode: 240
; IeeeMode: 1
; LDSByteSize: 0 bytes/workgroup (compile time only)
; SGPRBlocks: 0
; VGPRBlocks: 0
; NumSGPRsForWavesPerEU: 4
; NumVGPRsForWavesPerEU: 1
; AccumOffset: 4
; Occupancy: 8
; WaveLimiterHint : 0
; COMPUTE_PGM_RSRC2:SCRATCH_EN: 0
; COMPUTE_PGM_RSRC2:USER_SGPR: 6
; COMPUTE_PGM_RSRC2:TRAP_HANDLER: 0
; COMPUTE_PGM_RSRC2:TGID_X_EN: 1
; COMPUTE_PGM_RSRC2:TGID_Y_EN: 0
; COMPUTE_PGM_RSRC2:TGID_Z_EN: 0
; COMPUTE_PGM_RSRC2:TIDIG_COMP_CNT: 0
; COMPUTE_PGM_RSRC3_GFX90A:ACCUM_OFFSET: 0
; COMPUTE_PGM_RSRC3_GFX90A:TG_SPLIT: 0
	.section	.text._ZN7rocprim17ROCPRIM_400000_NS6detail17trampoline_kernelINS0_13select_configILj256ELj13ELNS0_17block_load_methodE3ELS4_3ELS4_3ELNS0_20block_scan_algorithmE0ELj4294967295EEENS1_25partition_config_selectorILNS1_17partition_subalgoE4EjNS0_10empty_typeEbEEZZNS1_14partition_implILS8_4ELb0ES6_15HIP_vector_typeIjLj2EENS0_17counting_iteratorIjlEEPS9_SG_NS0_5tupleIJPjSI_NS0_16reverse_iteratorISI_EEEEENSH_IJSG_SG_SG_EEES9_SI_JZNS1_25segmented_radix_sort_implINS0_14default_configELb0EPK6__halfPSP_PKlPlN2at6native12_GLOBAL__N_18offset_tEEE10hipError_tPvRmT1_PNSt15iterator_traitsIS13_E10value_typeET2_T3_PNS14_IS19_E10value_typeET4_jRbjT5_S1F_jjP12ihipStream_tbEUljE_ZNSN_ISO_Lb0ESR_SS_SU_SV_SZ_EES10_S11_S12_S13_S17_S18_S19_S1C_S1D_jS1E_jS1F_S1F_jjS1H_bEUljE0_EEES10_S11_S12_S19_S1D_S1F_T6_T7_T9_mT8_S1H_bDpT10_ENKUlT_T0_E_clISt17integral_constantIbLb0EES1V_EEDaS1Q_S1R_EUlS1Q_E_NS1_11comp_targetILNS1_3genE0ELNS1_11target_archE4294967295ELNS1_3gpuE0ELNS1_3repE0EEENS1_30default_config_static_selectorELNS0_4arch9wavefront6targetE1EEEvS13_,"axG",@progbits,_ZN7rocprim17ROCPRIM_400000_NS6detail17trampoline_kernelINS0_13select_configILj256ELj13ELNS0_17block_load_methodE3ELS4_3ELS4_3ELNS0_20block_scan_algorithmE0ELj4294967295EEENS1_25partition_config_selectorILNS1_17partition_subalgoE4EjNS0_10empty_typeEbEEZZNS1_14partition_implILS8_4ELb0ES6_15HIP_vector_typeIjLj2EENS0_17counting_iteratorIjlEEPS9_SG_NS0_5tupleIJPjSI_NS0_16reverse_iteratorISI_EEEEENSH_IJSG_SG_SG_EEES9_SI_JZNS1_25segmented_radix_sort_implINS0_14default_configELb0EPK6__halfPSP_PKlPlN2at6native12_GLOBAL__N_18offset_tEEE10hipError_tPvRmT1_PNSt15iterator_traitsIS13_E10value_typeET2_T3_PNS14_IS19_E10value_typeET4_jRbjT5_S1F_jjP12ihipStream_tbEUljE_ZNSN_ISO_Lb0ESR_SS_SU_SV_SZ_EES10_S11_S12_S13_S17_S18_S19_S1C_S1D_jS1E_jS1F_S1F_jjS1H_bEUljE0_EEES10_S11_S12_S19_S1D_S1F_T6_T7_T9_mT8_S1H_bDpT10_ENKUlT_T0_E_clISt17integral_constantIbLb0EES1V_EEDaS1Q_S1R_EUlS1Q_E_NS1_11comp_targetILNS1_3genE0ELNS1_11target_archE4294967295ELNS1_3gpuE0ELNS1_3repE0EEENS1_30default_config_static_selectorELNS0_4arch9wavefront6targetE1EEEvS13_,comdat
	.globl	_ZN7rocprim17ROCPRIM_400000_NS6detail17trampoline_kernelINS0_13select_configILj256ELj13ELNS0_17block_load_methodE3ELS4_3ELS4_3ELNS0_20block_scan_algorithmE0ELj4294967295EEENS1_25partition_config_selectorILNS1_17partition_subalgoE4EjNS0_10empty_typeEbEEZZNS1_14partition_implILS8_4ELb0ES6_15HIP_vector_typeIjLj2EENS0_17counting_iteratorIjlEEPS9_SG_NS0_5tupleIJPjSI_NS0_16reverse_iteratorISI_EEEEENSH_IJSG_SG_SG_EEES9_SI_JZNS1_25segmented_radix_sort_implINS0_14default_configELb0EPK6__halfPSP_PKlPlN2at6native12_GLOBAL__N_18offset_tEEE10hipError_tPvRmT1_PNSt15iterator_traitsIS13_E10value_typeET2_T3_PNS14_IS19_E10value_typeET4_jRbjT5_S1F_jjP12ihipStream_tbEUljE_ZNSN_ISO_Lb0ESR_SS_SU_SV_SZ_EES10_S11_S12_S13_S17_S18_S19_S1C_S1D_jS1E_jS1F_S1F_jjS1H_bEUljE0_EEES10_S11_S12_S19_S1D_S1F_T6_T7_T9_mT8_S1H_bDpT10_ENKUlT_T0_E_clISt17integral_constantIbLb0EES1V_EEDaS1Q_S1R_EUlS1Q_E_NS1_11comp_targetILNS1_3genE0ELNS1_11target_archE4294967295ELNS1_3gpuE0ELNS1_3repE0EEENS1_30default_config_static_selectorELNS0_4arch9wavefront6targetE1EEEvS13_ ; -- Begin function _ZN7rocprim17ROCPRIM_400000_NS6detail17trampoline_kernelINS0_13select_configILj256ELj13ELNS0_17block_load_methodE3ELS4_3ELS4_3ELNS0_20block_scan_algorithmE0ELj4294967295EEENS1_25partition_config_selectorILNS1_17partition_subalgoE4EjNS0_10empty_typeEbEEZZNS1_14partition_implILS8_4ELb0ES6_15HIP_vector_typeIjLj2EENS0_17counting_iteratorIjlEEPS9_SG_NS0_5tupleIJPjSI_NS0_16reverse_iteratorISI_EEEEENSH_IJSG_SG_SG_EEES9_SI_JZNS1_25segmented_radix_sort_implINS0_14default_configELb0EPK6__halfPSP_PKlPlN2at6native12_GLOBAL__N_18offset_tEEE10hipError_tPvRmT1_PNSt15iterator_traitsIS13_E10value_typeET2_T3_PNS14_IS19_E10value_typeET4_jRbjT5_S1F_jjP12ihipStream_tbEUljE_ZNSN_ISO_Lb0ESR_SS_SU_SV_SZ_EES10_S11_S12_S13_S17_S18_S19_S1C_S1D_jS1E_jS1F_S1F_jjS1H_bEUljE0_EEES10_S11_S12_S19_S1D_S1F_T6_T7_T9_mT8_S1H_bDpT10_ENKUlT_T0_E_clISt17integral_constantIbLb0EES1V_EEDaS1Q_S1R_EUlS1Q_E_NS1_11comp_targetILNS1_3genE0ELNS1_11target_archE4294967295ELNS1_3gpuE0ELNS1_3repE0EEENS1_30default_config_static_selectorELNS0_4arch9wavefront6targetE1EEEvS13_
	.p2align	8
	.type	_ZN7rocprim17ROCPRIM_400000_NS6detail17trampoline_kernelINS0_13select_configILj256ELj13ELNS0_17block_load_methodE3ELS4_3ELS4_3ELNS0_20block_scan_algorithmE0ELj4294967295EEENS1_25partition_config_selectorILNS1_17partition_subalgoE4EjNS0_10empty_typeEbEEZZNS1_14partition_implILS8_4ELb0ES6_15HIP_vector_typeIjLj2EENS0_17counting_iteratorIjlEEPS9_SG_NS0_5tupleIJPjSI_NS0_16reverse_iteratorISI_EEEEENSH_IJSG_SG_SG_EEES9_SI_JZNS1_25segmented_radix_sort_implINS0_14default_configELb0EPK6__halfPSP_PKlPlN2at6native12_GLOBAL__N_18offset_tEEE10hipError_tPvRmT1_PNSt15iterator_traitsIS13_E10value_typeET2_T3_PNS14_IS19_E10value_typeET4_jRbjT5_S1F_jjP12ihipStream_tbEUljE_ZNSN_ISO_Lb0ESR_SS_SU_SV_SZ_EES10_S11_S12_S13_S17_S18_S19_S1C_S1D_jS1E_jS1F_S1F_jjS1H_bEUljE0_EEES10_S11_S12_S19_S1D_S1F_T6_T7_T9_mT8_S1H_bDpT10_ENKUlT_T0_E_clISt17integral_constantIbLb0EES1V_EEDaS1Q_S1R_EUlS1Q_E_NS1_11comp_targetILNS1_3genE0ELNS1_11target_archE4294967295ELNS1_3gpuE0ELNS1_3repE0EEENS1_30default_config_static_selectorELNS0_4arch9wavefront6targetE1EEEvS13_,@function
_ZN7rocprim17ROCPRIM_400000_NS6detail17trampoline_kernelINS0_13select_configILj256ELj13ELNS0_17block_load_methodE3ELS4_3ELS4_3ELNS0_20block_scan_algorithmE0ELj4294967295EEENS1_25partition_config_selectorILNS1_17partition_subalgoE4EjNS0_10empty_typeEbEEZZNS1_14partition_implILS8_4ELb0ES6_15HIP_vector_typeIjLj2EENS0_17counting_iteratorIjlEEPS9_SG_NS0_5tupleIJPjSI_NS0_16reverse_iteratorISI_EEEEENSH_IJSG_SG_SG_EEES9_SI_JZNS1_25segmented_radix_sort_implINS0_14default_configELb0EPK6__halfPSP_PKlPlN2at6native12_GLOBAL__N_18offset_tEEE10hipError_tPvRmT1_PNSt15iterator_traitsIS13_E10value_typeET2_T3_PNS14_IS19_E10value_typeET4_jRbjT5_S1F_jjP12ihipStream_tbEUljE_ZNSN_ISO_Lb0ESR_SS_SU_SV_SZ_EES10_S11_S12_S13_S17_S18_S19_S1C_S1D_jS1E_jS1F_S1F_jjS1H_bEUljE0_EEES10_S11_S12_S19_S1D_S1F_T6_T7_T9_mT8_S1H_bDpT10_ENKUlT_T0_E_clISt17integral_constantIbLb0EES1V_EEDaS1Q_S1R_EUlS1Q_E_NS1_11comp_targetILNS1_3genE0ELNS1_11target_archE4294967295ELNS1_3gpuE0ELNS1_3repE0EEENS1_30default_config_static_selectorELNS0_4arch9wavefront6targetE1EEEvS13_: ; @_ZN7rocprim17ROCPRIM_400000_NS6detail17trampoline_kernelINS0_13select_configILj256ELj13ELNS0_17block_load_methodE3ELS4_3ELS4_3ELNS0_20block_scan_algorithmE0ELj4294967295EEENS1_25partition_config_selectorILNS1_17partition_subalgoE4EjNS0_10empty_typeEbEEZZNS1_14partition_implILS8_4ELb0ES6_15HIP_vector_typeIjLj2EENS0_17counting_iteratorIjlEEPS9_SG_NS0_5tupleIJPjSI_NS0_16reverse_iteratorISI_EEEEENSH_IJSG_SG_SG_EEES9_SI_JZNS1_25segmented_radix_sort_implINS0_14default_configELb0EPK6__halfPSP_PKlPlN2at6native12_GLOBAL__N_18offset_tEEE10hipError_tPvRmT1_PNSt15iterator_traitsIS13_E10value_typeET2_T3_PNS14_IS19_E10value_typeET4_jRbjT5_S1F_jjP12ihipStream_tbEUljE_ZNSN_ISO_Lb0ESR_SS_SU_SV_SZ_EES10_S11_S12_S13_S17_S18_S19_S1C_S1D_jS1E_jS1F_S1F_jjS1H_bEUljE0_EEES10_S11_S12_S19_S1D_S1F_T6_T7_T9_mT8_S1H_bDpT10_ENKUlT_T0_E_clISt17integral_constantIbLb0EES1V_EEDaS1Q_S1R_EUlS1Q_E_NS1_11comp_targetILNS1_3genE0ELNS1_11target_archE4294967295ELNS1_3gpuE0ELNS1_3repE0EEENS1_30default_config_static_selectorELNS0_4arch9wavefront6targetE1EEEvS13_
; %bb.0:
	.section	.rodata,"a",@progbits
	.p2align	6, 0x0
	.amdhsa_kernel _ZN7rocprim17ROCPRIM_400000_NS6detail17trampoline_kernelINS0_13select_configILj256ELj13ELNS0_17block_load_methodE3ELS4_3ELS4_3ELNS0_20block_scan_algorithmE0ELj4294967295EEENS1_25partition_config_selectorILNS1_17partition_subalgoE4EjNS0_10empty_typeEbEEZZNS1_14partition_implILS8_4ELb0ES6_15HIP_vector_typeIjLj2EENS0_17counting_iteratorIjlEEPS9_SG_NS0_5tupleIJPjSI_NS0_16reverse_iteratorISI_EEEEENSH_IJSG_SG_SG_EEES9_SI_JZNS1_25segmented_radix_sort_implINS0_14default_configELb0EPK6__halfPSP_PKlPlN2at6native12_GLOBAL__N_18offset_tEEE10hipError_tPvRmT1_PNSt15iterator_traitsIS13_E10value_typeET2_T3_PNS14_IS19_E10value_typeET4_jRbjT5_S1F_jjP12ihipStream_tbEUljE_ZNSN_ISO_Lb0ESR_SS_SU_SV_SZ_EES10_S11_S12_S13_S17_S18_S19_S1C_S1D_jS1E_jS1F_S1F_jjS1H_bEUljE0_EEES10_S11_S12_S19_S1D_S1F_T6_T7_T9_mT8_S1H_bDpT10_ENKUlT_T0_E_clISt17integral_constantIbLb0EES1V_EEDaS1Q_S1R_EUlS1Q_E_NS1_11comp_targetILNS1_3genE0ELNS1_11target_archE4294967295ELNS1_3gpuE0ELNS1_3repE0EEENS1_30default_config_static_selectorELNS0_4arch9wavefront6targetE1EEEvS13_
		.amdhsa_group_segment_fixed_size 0
		.amdhsa_private_segment_fixed_size 0
		.amdhsa_kernarg_size 176
		.amdhsa_user_sgpr_count 6
		.amdhsa_user_sgpr_private_segment_buffer 1
		.amdhsa_user_sgpr_dispatch_ptr 0
		.amdhsa_user_sgpr_queue_ptr 0
		.amdhsa_user_sgpr_kernarg_segment_ptr 1
		.amdhsa_user_sgpr_dispatch_id 0
		.amdhsa_user_sgpr_flat_scratch_init 0
		.amdhsa_user_sgpr_kernarg_preload_length 0
		.amdhsa_user_sgpr_kernarg_preload_offset 0
		.amdhsa_user_sgpr_private_segment_size 0
		.amdhsa_uses_dynamic_stack 0
		.amdhsa_system_sgpr_private_segment_wavefront_offset 0
		.amdhsa_system_sgpr_workgroup_id_x 1
		.amdhsa_system_sgpr_workgroup_id_y 0
		.amdhsa_system_sgpr_workgroup_id_z 0
		.amdhsa_system_sgpr_workgroup_info 0
		.amdhsa_system_vgpr_workitem_id 0
		.amdhsa_next_free_vgpr 1
		.amdhsa_next_free_sgpr 0
		.amdhsa_accum_offset 4
		.amdhsa_reserve_vcc 0
		.amdhsa_reserve_flat_scratch 0
		.amdhsa_float_round_mode_32 0
		.amdhsa_float_round_mode_16_64 0
		.amdhsa_float_denorm_mode_32 3
		.amdhsa_float_denorm_mode_16_64 3
		.amdhsa_dx10_clamp 1
		.amdhsa_ieee_mode 1
		.amdhsa_fp16_overflow 0
		.amdhsa_tg_split 0
		.amdhsa_exception_fp_ieee_invalid_op 0
		.amdhsa_exception_fp_denorm_src 0
		.amdhsa_exception_fp_ieee_div_zero 0
		.amdhsa_exception_fp_ieee_overflow 0
		.amdhsa_exception_fp_ieee_underflow 0
		.amdhsa_exception_fp_ieee_inexact 0
		.amdhsa_exception_int_div_zero 0
	.end_amdhsa_kernel
	.section	.text._ZN7rocprim17ROCPRIM_400000_NS6detail17trampoline_kernelINS0_13select_configILj256ELj13ELNS0_17block_load_methodE3ELS4_3ELS4_3ELNS0_20block_scan_algorithmE0ELj4294967295EEENS1_25partition_config_selectorILNS1_17partition_subalgoE4EjNS0_10empty_typeEbEEZZNS1_14partition_implILS8_4ELb0ES6_15HIP_vector_typeIjLj2EENS0_17counting_iteratorIjlEEPS9_SG_NS0_5tupleIJPjSI_NS0_16reverse_iteratorISI_EEEEENSH_IJSG_SG_SG_EEES9_SI_JZNS1_25segmented_radix_sort_implINS0_14default_configELb0EPK6__halfPSP_PKlPlN2at6native12_GLOBAL__N_18offset_tEEE10hipError_tPvRmT1_PNSt15iterator_traitsIS13_E10value_typeET2_T3_PNS14_IS19_E10value_typeET4_jRbjT5_S1F_jjP12ihipStream_tbEUljE_ZNSN_ISO_Lb0ESR_SS_SU_SV_SZ_EES10_S11_S12_S13_S17_S18_S19_S1C_S1D_jS1E_jS1F_S1F_jjS1H_bEUljE0_EEES10_S11_S12_S19_S1D_S1F_T6_T7_T9_mT8_S1H_bDpT10_ENKUlT_T0_E_clISt17integral_constantIbLb0EES1V_EEDaS1Q_S1R_EUlS1Q_E_NS1_11comp_targetILNS1_3genE0ELNS1_11target_archE4294967295ELNS1_3gpuE0ELNS1_3repE0EEENS1_30default_config_static_selectorELNS0_4arch9wavefront6targetE1EEEvS13_,"axG",@progbits,_ZN7rocprim17ROCPRIM_400000_NS6detail17trampoline_kernelINS0_13select_configILj256ELj13ELNS0_17block_load_methodE3ELS4_3ELS4_3ELNS0_20block_scan_algorithmE0ELj4294967295EEENS1_25partition_config_selectorILNS1_17partition_subalgoE4EjNS0_10empty_typeEbEEZZNS1_14partition_implILS8_4ELb0ES6_15HIP_vector_typeIjLj2EENS0_17counting_iteratorIjlEEPS9_SG_NS0_5tupleIJPjSI_NS0_16reverse_iteratorISI_EEEEENSH_IJSG_SG_SG_EEES9_SI_JZNS1_25segmented_radix_sort_implINS0_14default_configELb0EPK6__halfPSP_PKlPlN2at6native12_GLOBAL__N_18offset_tEEE10hipError_tPvRmT1_PNSt15iterator_traitsIS13_E10value_typeET2_T3_PNS14_IS19_E10value_typeET4_jRbjT5_S1F_jjP12ihipStream_tbEUljE_ZNSN_ISO_Lb0ESR_SS_SU_SV_SZ_EES10_S11_S12_S13_S17_S18_S19_S1C_S1D_jS1E_jS1F_S1F_jjS1H_bEUljE0_EEES10_S11_S12_S19_S1D_S1F_T6_T7_T9_mT8_S1H_bDpT10_ENKUlT_T0_E_clISt17integral_constantIbLb0EES1V_EEDaS1Q_S1R_EUlS1Q_E_NS1_11comp_targetILNS1_3genE0ELNS1_11target_archE4294967295ELNS1_3gpuE0ELNS1_3repE0EEENS1_30default_config_static_selectorELNS0_4arch9wavefront6targetE1EEEvS13_,comdat
.Lfunc_end1776:
	.size	_ZN7rocprim17ROCPRIM_400000_NS6detail17trampoline_kernelINS0_13select_configILj256ELj13ELNS0_17block_load_methodE3ELS4_3ELS4_3ELNS0_20block_scan_algorithmE0ELj4294967295EEENS1_25partition_config_selectorILNS1_17partition_subalgoE4EjNS0_10empty_typeEbEEZZNS1_14partition_implILS8_4ELb0ES6_15HIP_vector_typeIjLj2EENS0_17counting_iteratorIjlEEPS9_SG_NS0_5tupleIJPjSI_NS0_16reverse_iteratorISI_EEEEENSH_IJSG_SG_SG_EEES9_SI_JZNS1_25segmented_radix_sort_implINS0_14default_configELb0EPK6__halfPSP_PKlPlN2at6native12_GLOBAL__N_18offset_tEEE10hipError_tPvRmT1_PNSt15iterator_traitsIS13_E10value_typeET2_T3_PNS14_IS19_E10value_typeET4_jRbjT5_S1F_jjP12ihipStream_tbEUljE_ZNSN_ISO_Lb0ESR_SS_SU_SV_SZ_EES10_S11_S12_S13_S17_S18_S19_S1C_S1D_jS1E_jS1F_S1F_jjS1H_bEUljE0_EEES10_S11_S12_S19_S1D_S1F_T6_T7_T9_mT8_S1H_bDpT10_ENKUlT_T0_E_clISt17integral_constantIbLb0EES1V_EEDaS1Q_S1R_EUlS1Q_E_NS1_11comp_targetILNS1_3genE0ELNS1_11target_archE4294967295ELNS1_3gpuE0ELNS1_3repE0EEENS1_30default_config_static_selectorELNS0_4arch9wavefront6targetE1EEEvS13_, .Lfunc_end1776-_ZN7rocprim17ROCPRIM_400000_NS6detail17trampoline_kernelINS0_13select_configILj256ELj13ELNS0_17block_load_methodE3ELS4_3ELS4_3ELNS0_20block_scan_algorithmE0ELj4294967295EEENS1_25partition_config_selectorILNS1_17partition_subalgoE4EjNS0_10empty_typeEbEEZZNS1_14partition_implILS8_4ELb0ES6_15HIP_vector_typeIjLj2EENS0_17counting_iteratorIjlEEPS9_SG_NS0_5tupleIJPjSI_NS0_16reverse_iteratorISI_EEEEENSH_IJSG_SG_SG_EEES9_SI_JZNS1_25segmented_radix_sort_implINS0_14default_configELb0EPK6__halfPSP_PKlPlN2at6native12_GLOBAL__N_18offset_tEEE10hipError_tPvRmT1_PNSt15iterator_traitsIS13_E10value_typeET2_T3_PNS14_IS19_E10value_typeET4_jRbjT5_S1F_jjP12ihipStream_tbEUljE_ZNSN_ISO_Lb0ESR_SS_SU_SV_SZ_EES10_S11_S12_S13_S17_S18_S19_S1C_S1D_jS1E_jS1F_S1F_jjS1H_bEUljE0_EEES10_S11_S12_S19_S1D_S1F_T6_T7_T9_mT8_S1H_bDpT10_ENKUlT_T0_E_clISt17integral_constantIbLb0EES1V_EEDaS1Q_S1R_EUlS1Q_E_NS1_11comp_targetILNS1_3genE0ELNS1_11target_archE4294967295ELNS1_3gpuE0ELNS1_3repE0EEENS1_30default_config_static_selectorELNS0_4arch9wavefront6targetE1EEEvS13_
                                        ; -- End function
	.section	.AMDGPU.csdata,"",@progbits
; Kernel info:
; codeLenInByte = 0
; NumSgprs: 4
; NumVgprs: 0
; NumAgprs: 0
; TotalNumVgprs: 0
; ScratchSize: 0
; MemoryBound: 0
; FloatMode: 240
; IeeeMode: 1
; LDSByteSize: 0 bytes/workgroup (compile time only)
; SGPRBlocks: 0
; VGPRBlocks: 0
; NumSGPRsForWavesPerEU: 4
; NumVGPRsForWavesPerEU: 1
; AccumOffset: 4
; Occupancy: 8
; WaveLimiterHint : 0
; COMPUTE_PGM_RSRC2:SCRATCH_EN: 0
; COMPUTE_PGM_RSRC2:USER_SGPR: 6
; COMPUTE_PGM_RSRC2:TRAP_HANDLER: 0
; COMPUTE_PGM_RSRC2:TGID_X_EN: 1
; COMPUTE_PGM_RSRC2:TGID_Y_EN: 0
; COMPUTE_PGM_RSRC2:TGID_Z_EN: 0
; COMPUTE_PGM_RSRC2:TIDIG_COMP_CNT: 0
; COMPUTE_PGM_RSRC3_GFX90A:ACCUM_OFFSET: 0
; COMPUTE_PGM_RSRC3_GFX90A:TG_SPLIT: 0
	.section	.text._ZN7rocprim17ROCPRIM_400000_NS6detail17trampoline_kernelINS0_13select_configILj256ELj13ELNS0_17block_load_methodE3ELS4_3ELS4_3ELNS0_20block_scan_algorithmE0ELj4294967295EEENS1_25partition_config_selectorILNS1_17partition_subalgoE4EjNS0_10empty_typeEbEEZZNS1_14partition_implILS8_4ELb0ES6_15HIP_vector_typeIjLj2EENS0_17counting_iteratorIjlEEPS9_SG_NS0_5tupleIJPjSI_NS0_16reverse_iteratorISI_EEEEENSH_IJSG_SG_SG_EEES9_SI_JZNS1_25segmented_radix_sort_implINS0_14default_configELb0EPK6__halfPSP_PKlPlN2at6native12_GLOBAL__N_18offset_tEEE10hipError_tPvRmT1_PNSt15iterator_traitsIS13_E10value_typeET2_T3_PNS14_IS19_E10value_typeET4_jRbjT5_S1F_jjP12ihipStream_tbEUljE_ZNSN_ISO_Lb0ESR_SS_SU_SV_SZ_EES10_S11_S12_S13_S17_S18_S19_S1C_S1D_jS1E_jS1F_S1F_jjS1H_bEUljE0_EEES10_S11_S12_S19_S1D_S1F_T6_T7_T9_mT8_S1H_bDpT10_ENKUlT_T0_E_clISt17integral_constantIbLb0EES1V_EEDaS1Q_S1R_EUlS1Q_E_NS1_11comp_targetILNS1_3genE5ELNS1_11target_archE942ELNS1_3gpuE9ELNS1_3repE0EEENS1_30default_config_static_selectorELNS0_4arch9wavefront6targetE1EEEvS13_,"axG",@progbits,_ZN7rocprim17ROCPRIM_400000_NS6detail17trampoline_kernelINS0_13select_configILj256ELj13ELNS0_17block_load_methodE3ELS4_3ELS4_3ELNS0_20block_scan_algorithmE0ELj4294967295EEENS1_25partition_config_selectorILNS1_17partition_subalgoE4EjNS0_10empty_typeEbEEZZNS1_14partition_implILS8_4ELb0ES6_15HIP_vector_typeIjLj2EENS0_17counting_iteratorIjlEEPS9_SG_NS0_5tupleIJPjSI_NS0_16reverse_iteratorISI_EEEEENSH_IJSG_SG_SG_EEES9_SI_JZNS1_25segmented_radix_sort_implINS0_14default_configELb0EPK6__halfPSP_PKlPlN2at6native12_GLOBAL__N_18offset_tEEE10hipError_tPvRmT1_PNSt15iterator_traitsIS13_E10value_typeET2_T3_PNS14_IS19_E10value_typeET4_jRbjT5_S1F_jjP12ihipStream_tbEUljE_ZNSN_ISO_Lb0ESR_SS_SU_SV_SZ_EES10_S11_S12_S13_S17_S18_S19_S1C_S1D_jS1E_jS1F_S1F_jjS1H_bEUljE0_EEES10_S11_S12_S19_S1D_S1F_T6_T7_T9_mT8_S1H_bDpT10_ENKUlT_T0_E_clISt17integral_constantIbLb0EES1V_EEDaS1Q_S1R_EUlS1Q_E_NS1_11comp_targetILNS1_3genE5ELNS1_11target_archE942ELNS1_3gpuE9ELNS1_3repE0EEENS1_30default_config_static_selectorELNS0_4arch9wavefront6targetE1EEEvS13_,comdat
	.globl	_ZN7rocprim17ROCPRIM_400000_NS6detail17trampoline_kernelINS0_13select_configILj256ELj13ELNS0_17block_load_methodE3ELS4_3ELS4_3ELNS0_20block_scan_algorithmE0ELj4294967295EEENS1_25partition_config_selectorILNS1_17partition_subalgoE4EjNS0_10empty_typeEbEEZZNS1_14partition_implILS8_4ELb0ES6_15HIP_vector_typeIjLj2EENS0_17counting_iteratorIjlEEPS9_SG_NS0_5tupleIJPjSI_NS0_16reverse_iteratorISI_EEEEENSH_IJSG_SG_SG_EEES9_SI_JZNS1_25segmented_radix_sort_implINS0_14default_configELb0EPK6__halfPSP_PKlPlN2at6native12_GLOBAL__N_18offset_tEEE10hipError_tPvRmT1_PNSt15iterator_traitsIS13_E10value_typeET2_T3_PNS14_IS19_E10value_typeET4_jRbjT5_S1F_jjP12ihipStream_tbEUljE_ZNSN_ISO_Lb0ESR_SS_SU_SV_SZ_EES10_S11_S12_S13_S17_S18_S19_S1C_S1D_jS1E_jS1F_S1F_jjS1H_bEUljE0_EEES10_S11_S12_S19_S1D_S1F_T6_T7_T9_mT8_S1H_bDpT10_ENKUlT_T0_E_clISt17integral_constantIbLb0EES1V_EEDaS1Q_S1R_EUlS1Q_E_NS1_11comp_targetILNS1_3genE5ELNS1_11target_archE942ELNS1_3gpuE9ELNS1_3repE0EEENS1_30default_config_static_selectorELNS0_4arch9wavefront6targetE1EEEvS13_ ; -- Begin function _ZN7rocprim17ROCPRIM_400000_NS6detail17trampoline_kernelINS0_13select_configILj256ELj13ELNS0_17block_load_methodE3ELS4_3ELS4_3ELNS0_20block_scan_algorithmE0ELj4294967295EEENS1_25partition_config_selectorILNS1_17partition_subalgoE4EjNS0_10empty_typeEbEEZZNS1_14partition_implILS8_4ELb0ES6_15HIP_vector_typeIjLj2EENS0_17counting_iteratorIjlEEPS9_SG_NS0_5tupleIJPjSI_NS0_16reverse_iteratorISI_EEEEENSH_IJSG_SG_SG_EEES9_SI_JZNS1_25segmented_radix_sort_implINS0_14default_configELb0EPK6__halfPSP_PKlPlN2at6native12_GLOBAL__N_18offset_tEEE10hipError_tPvRmT1_PNSt15iterator_traitsIS13_E10value_typeET2_T3_PNS14_IS19_E10value_typeET4_jRbjT5_S1F_jjP12ihipStream_tbEUljE_ZNSN_ISO_Lb0ESR_SS_SU_SV_SZ_EES10_S11_S12_S13_S17_S18_S19_S1C_S1D_jS1E_jS1F_S1F_jjS1H_bEUljE0_EEES10_S11_S12_S19_S1D_S1F_T6_T7_T9_mT8_S1H_bDpT10_ENKUlT_T0_E_clISt17integral_constantIbLb0EES1V_EEDaS1Q_S1R_EUlS1Q_E_NS1_11comp_targetILNS1_3genE5ELNS1_11target_archE942ELNS1_3gpuE9ELNS1_3repE0EEENS1_30default_config_static_selectorELNS0_4arch9wavefront6targetE1EEEvS13_
	.p2align	8
	.type	_ZN7rocprim17ROCPRIM_400000_NS6detail17trampoline_kernelINS0_13select_configILj256ELj13ELNS0_17block_load_methodE3ELS4_3ELS4_3ELNS0_20block_scan_algorithmE0ELj4294967295EEENS1_25partition_config_selectorILNS1_17partition_subalgoE4EjNS0_10empty_typeEbEEZZNS1_14partition_implILS8_4ELb0ES6_15HIP_vector_typeIjLj2EENS0_17counting_iteratorIjlEEPS9_SG_NS0_5tupleIJPjSI_NS0_16reverse_iteratorISI_EEEEENSH_IJSG_SG_SG_EEES9_SI_JZNS1_25segmented_radix_sort_implINS0_14default_configELb0EPK6__halfPSP_PKlPlN2at6native12_GLOBAL__N_18offset_tEEE10hipError_tPvRmT1_PNSt15iterator_traitsIS13_E10value_typeET2_T3_PNS14_IS19_E10value_typeET4_jRbjT5_S1F_jjP12ihipStream_tbEUljE_ZNSN_ISO_Lb0ESR_SS_SU_SV_SZ_EES10_S11_S12_S13_S17_S18_S19_S1C_S1D_jS1E_jS1F_S1F_jjS1H_bEUljE0_EEES10_S11_S12_S19_S1D_S1F_T6_T7_T9_mT8_S1H_bDpT10_ENKUlT_T0_E_clISt17integral_constantIbLb0EES1V_EEDaS1Q_S1R_EUlS1Q_E_NS1_11comp_targetILNS1_3genE5ELNS1_11target_archE942ELNS1_3gpuE9ELNS1_3repE0EEENS1_30default_config_static_selectorELNS0_4arch9wavefront6targetE1EEEvS13_,@function
_ZN7rocprim17ROCPRIM_400000_NS6detail17trampoline_kernelINS0_13select_configILj256ELj13ELNS0_17block_load_methodE3ELS4_3ELS4_3ELNS0_20block_scan_algorithmE0ELj4294967295EEENS1_25partition_config_selectorILNS1_17partition_subalgoE4EjNS0_10empty_typeEbEEZZNS1_14partition_implILS8_4ELb0ES6_15HIP_vector_typeIjLj2EENS0_17counting_iteratorIjlEEPS9_SG_NS0_5tupleIJPjSI_NS0_16reverse_iteratorISI_EEEEENSH_IJSG_SG_SG_EEES9_SI_JZNS1_25segmented_radix_sort_implINS0_14default_configELb0EPK6__halfPSP_PKlPlN2at6native12_GLOBAL__N_18offset_tEEE10hipError_tPvRmT1_PNSt15iterator_traitsIS13_E10value_typeET2_T3_PNS14_IS19_E10value_typeET4_jRbjT5_S1F_jjP12ihipStream_tbEUljE_ZNSN_ISO_Lb0ESR_SS_SU_SV_SZ_EES10_S11_S12_S13_S17_S18_S19_S1C_S1D_jS1E_jS1F_S1F_jjS1H_bEUljE0_EEES10_S11_S12_S19_S1D_S1F_T6_T7_T9_mT8_S1H_bDpT10_ENKUlT_T0_E_clISt17integral_constantIbLb0EES1V_EEDaS1Q_S1R_EUlS1Q_E_NS1_11comp_targetILNS1_3genE5ELNS1_11target_archE942ELNS1_3gpuE9ELNS1_3repE0EEENS1_30default_config_static_selectorELNS0_4arch9wavefront6targetE1EEEvS13_: ; @_ZN7rocprim17ROCPRIM_400000_NS6detail17trampoline_kernelINS0_13select_configILj256ELj13ELNS0_17block_load_methodE3ELS4_3ELS4_3ELNS0_20block_scan_algorithmE0ELj4294967295EEENS1_25partition_config_selectorILNS1_17partition_subalgoE4EjNS0_10empty_typeEbEEZZNS1_14partition_implILS8_4ELb0ES6_15HIP_vector_typeIjLj2EENS0_17counting_iteratorIjlEEPS9_SG_NS0_5tupleIJPjSI_NS0_16reverse_iteratorISI_EEEEENSH_IJSG_SG_SG_EEES9_SI_JZNS1_25segmented_radix_sort_implINS0_14default_configELb0EPK6__halfPSP_PKlPlN2at6native12_GLOBAL__N_18offset_tEEE10hipError_tPvRmT1_PNSt15iterator_traitsIS13_E10value_typeET2_T3_PNS14_IS19_E10value_typeET4_jRbjT5_S1F_jjP12ihipStream_tbEUljE_ZNSN_ISO_Lb0ESR_SS_SU_SV_SZ_EES10_S11_S12_S13_S17_S18_S19_S1C_S1D_jS1E_jS1F_S1F_jjS1H_bEUljE0_EEES10_S11_S12_S19_S1D_S1F_T6_T7_T9_mT8_S1H_bDpT10_ENKUlT_T0_E_clISt17integral_constantIbLb0EES1V_EEDaS1Q_S1R_EUlS1Q_E_NS1_11comp_targetILNS1_3genE5ELNS1_11target_archE942ELNS1_3gpuE9ELNS1_3repE0EEENS1_30default_config_static_selectorELNS0_4arch9wavefront6targetE1EEEvS13_
; %bb.0:
	.section	.rodata,"a",@progbits
	.p2align	6, 0x0
	.amdhsa_kernel _ZN7rocprim17ROCPRIM_400000_NS6detail17trampoline_kernelINS0_13select_configILj256ELj13ELNS0_17block_load_methodE3ELS4_3ELS4_3ELNS0_20block_scan_algorithmE0ELj4294967295EEENS1_25partition_config_selectorILNS1_17partition_subalgoE4EjNS0_10empty_typeEbEEZZNS1_14partition_implILS8_4ELb0ES6_15HIP_vector_typeIjLj2EENS0_17counting_iteratorIjlEEPS9_SG_NS0_5tupleIJPjSI_NS0_16reverse_iteratorISI_EEEEENSH_IJSG_SG_SG_EEES9_SI_JZNS1_25segmented_radix_sort_implINS0_14default_configELb0EPK6__halfPSP_PKlPlN2at6native12_GLOBAL__N_18offset_tEEE10hipError_tPvRmT1_PNSt15iterator_traitsIS13_E10value_typeET2_T3_PNS14_IS19_E10value_typeET4_jRbjT5_S1F_jjP12ihipStream_tbEUljE_ZNSN_ISO_Lb0ESR_SS_SU_SV_SZ_EES10_S11_S12_S13_S17_S18_S19_S1C_S1D_jS1E_jS1F_S1F_jjS1H_bEUljE0_EEES10_S11_S12_S19_S1D_S1F_T6_T7_T9_mT8_S1H_bDpT10_ENKUlT_T0_E_clISt17integral_constantIbLb0EES1V_EEDaS1Q_S1R_EUlS1Q_E_NS1_11comp_targetILNS1_3genE5ELNS1_11target_archE942ELNS1_3gpuE9ELNS1_3repE0EEENS1_30default_config_static_selectorELNS0_4arch9wavefront6targetE1EEEvS13_
		.amdhsa_group_segment_fixed_size 0
		.amdhsa_private_segment_fixed_size 0
		.amdhsa_kernarg_size 176
		.amdhsa_user_sgpr_count 6
		.amdhsa_user_sgpr_private_segment_buffer 1
		.amdhsa_user_sgpr_dispatch_ptr 0
		.amdhsa_user_sgpr_queue_ptr 0
		.amdhsa_user_sgpr_kernarg_segment_ptr 1
		.amdhsa_user_sgpr_dispatch_id 0
		.amdhsa_user_sgpr_flat_scratch_init 0
		.amdhsa_user_sgpr_kernarg_preload_length 0
		.amdhsa_user_sgpr_kernarg_preload_offset 0
		.amdhsa_user_sgpr_private_segment_size 0
		.amdhsa_uses_dynamic_stack 0
		.amdhsa_system_sgpr_private_segment_wavefront_offset 0
		.amdhsa_system_sgpr_workgroup_id_x 1
		.amdhsa_system_sgpr_workgroup_id_y 0
		.amdhsa_system_sgpr_workgroup_id_z 0
		.amdhsa_system_sgpr_workgroup_info 0
		.amdhsa_system_vgpr_workitem_id 0
		.amdhsa_next_free_vgpr 1
		.amdhsa_next_free_sgpr 0
		.amdhsa_accum_offset 4
		.amdhsa_reserve_vcc 0
		.amdhsa_reserve_flat_scratch 0
		.amdhsa_float_round_mode_32 0
		.amdhsa_float_round_mode_16_64 0
		.amdhsa_float_denorm_mode_32 3
		.amdhsa_float_denorm_mode_16_64 3
		.amdhsa_dx10_clamp 1
		.amdhsa_ieee_mode 1
		.amdhsa_fp16_overflow 0
		.amdhsa_tg_split 0
		.amdhsa_exception_fp_ieee_invalid_op 0
		.amdhsa_exception_fp_denorm_src 0
		.amdhsa_exception_fp_ieee_div_zero 0
		.amdhsa_exception_fp_ieee_overflow 0
		.amdhsa_exception_fp_ieee_underflow 0
		.amdhsa_exception_fp_ieee_inexact 0
		.amdhsa_exception_int_div_zero 0
	.end_amdhsa_kernel
	.section	.text._ZN7rocprim17ROCPRIM_400000_NS6detail17trampoline_kernelINS0_13select_configILj256ELj13ELNS0_17block_load_methodE3ELS4_3ELS4_3ELNS0_20block_scan_algorithmE0ELj4294967295EEENS1_25partition_config_selectorILNS1_17partition_subalgoE4EjNS0_10empty_typeEbEEZZNS1_14partition_implILS8_4ELb0ES6_15HIP_vector_typeIjLj2EENS0_17counting_iteratorIjlEEPS9_SG_NS0_5tupleIJPjSI_NS0_16reverse_iteratorISI_EEEEENSH_IJSG_SG_SG_EEES9_SI_JZNS1_25segmented_radix_sort_implINS0_14default_configELb0EPK6__halfPSP_PKlPlN2at6native12_GLOBAL__N_18offset_tEEE10hipError_tPvRmT1_PNSt15iterator_traitsIS13_E10value_typeET2_T3_PNS14_IS19_E10value_typeET4_jRbjT5_S1F_jjP12ihipStream_tbEUljE_ZNSN_ISO_Lb0ESR_SS_SU_SV_SZ_EES10_S11_S12_S13_S17_S18_S19_S1C_S1D_jS1E_jS1F_S1F_jjS1H_bEUljE0_EEES10_S11_S12_S19_S1D_S1F_T6_T7_T9_mT8_S1H_bDpT10_ENKUlT_T0_E_clISt17integral_constantIbLb0EES1V_EEDaS1Q_S1R_EUlS1Q_E_NS1_11comp_targetILNS1_3genE5ELNS1_11target_archE942ELNS1_3gpuE9ELNS1_3repE0EEENS1_30default_config_static_selectorELNS0_4arch9wavefront6targetE1EEEvS13_,"axG",@progbits,_ZN7rocprim17ROCPRIM_400000_NS6detail17trampoline_kernelINS0_13select_configILj256ELj13ELNS0_17block_load_methodE3ELS4_3ELS4_3ELNS0_20block_scan_algorithmE0ELj4294967295EEENS1_25partition_config_selectorILNS1_17partition_subalgoE4EjNS0_10empty_typeEbEEZZNS1_14partition_implILS8_4ELb0ES6_15HIP_vector_typeIjLj2EENS0_17counting_iteratorIjlEEPS9_SG_NS0_5tupleIJPjSI_NS0_16reverse_iteratorISI_EEEEENSH_IJSG_SG_SG_EEES9_SI_JZNS1_25segmented_radix_sort_implINS0_14default_configELb0EPK6__halfPSP_PKlPlN2at6native12_GLOBAL__N_18offset_tEEE10hipError_tPvRmT1_PNSt15iterator_traitsIS13_E10value_typeET2_T3_PNS14_IS19_E10value_typeET4_jRbjT5_S1F_jjP12ihipStream_tbEUljE_ZNSN_ISO_Lb0ESR_SS_SU_SV_SZ_EES10_S11_S12_S13_S17_S18_S19_S1C_S1D_jS1E_jS1F_S1F_jjS1H_bEUljE0_EEES10_S11_S12_S19_S1D_S1F_T6_T7_T9_mT8_S1H_bDpT10_ENKUlT_T0_E_clISt17integral_constantIbLb0EES1V_EEDaS1Q_S1R_EUlS1Q_E_NS1_11comp_targetILNS1_3genE5ELNS1_11target_archE942ELNS1_3gpuE9ELNS1_3repE0EEENS1_30default_config_static_selectorELNS0_4arch9wavefront6targetE1EEEvS13_,comdat
.Lfunc_end1777:
	.size	_ZN7rocprim17ROCPRIM_400000_NS6detail17trampoline_kernelINS0_13select_configILj256ELj13ELNS0_17block_load_methodE3ELS4_3ELS4_3ELNS0_20block_scan_algorithmE0ELj4294967295EEENS1_25partition_config_selectorILNS1_17partition_subalgoE4EjNS0_10empty_typeEbEEZZNS1_14partition_implILS8_4ELb0ES6_15HIP_vector_typeIjLj2EENS0_17counting_iteratorIjlEEPS9_SG_NS0_5tupleIJPjSI_NS0_16reverse_iteratorISI_EEEEENSH_IJSG_SG_SG_EEES9_SI_JZNS1_25segmented_radix_sort_implINS0_14default_configELb0EPK6__halfPSP_PKlPlN2at6native12_GLOBAL__N_18offset_tEEE10hipError_tPvRmT1_PNSt15iterator_traitsIS13_E10value_typeET2_T3_PNS14_IS19_E10value_typeET4_jRbjT5_S1F_jjP12ihipStream_tbEUljE_ZNSN_ISO_Lb0ESR_SS_SU_SV_SZ_EES10_S11_S12_S13_S17_S18_S19_S1C_S1D_jS1E_jS1F_S1F_jjS1H_bEUljE0_EEES10_S11_S12_S19_S1D_S1F_T6_T7_T9_mT8_S1H_bDpT10_ENKUlT_T0_E_clISt17integral_constantIbLb0EES1V_EEDaS1Q_S1R_EUlS1Q_E_NS1_11comp_targetILNS1_3genE5ELNS1_11target_archE942ELNS1_3gpuE9ELNS1_3repE0EEENS1_30default_config_static_selectorELNS0_4arch9wavefront6targetE1EEEvS13_, .Lfunc_end1777-_ZN7rocprim17ROCPRIM_400000_NS6detail17trampoline_kernelINS0_13select_configILj256ELj13ELNS0_17block_load_methodE3ELS4_3ELS4_3ELNS0_20block_scan_algorithmE0ELj4294967295EEENS1_25partition_config_selectorILNS1_17partition_subalgoE4EjNS0_10empty_typeEbEEZZNS1_14partition_implILS8_4ELb0ES6_15HIP_vector_typeIjLj2EENS0_17counting_iteratorIjlEEPS9_SG_NS0_5tupleIJPjSI_NS0_16reverse_iteratorISI_EEEEENSH_IJSG_SG_SG_EEES9_SI_JZNS1_25segmented_radix_sort_implINS0_14default_configELb0EPK6__halfPSP_PKlPlN2at6native12_GLOBAL__N_18offset_tEEE10hipError_tPvRmT1_PNSt15iterator_traitsIS13_E10value_typeET2_T3_PNS14_IS19_E10value_typeET4_jRbjT5_S1F_jjP12ihipStream_tbEUljE_ZNSN_ISO_Lb0ESR_SS_SU_SV_SZ_EES10_S11_S12_S13_S17_S18_S19_S1C_S1D_jS1E_jS1F_S1F_jjS1H_bEUljE0_EEES10_S11_S12_S19_S1D_S1F_T6_T7_T9_mT8_S1H_bDpT10_ENKUlT_T0_E_clISt17integral_constantIbLb0EES1V_EEDaS1Q_S1R_EUlS1Q_E_NS1_11comp_targetILNS1_3genE5ELNS1_11target_archE942ELNS1_3gpuE9ELNS1_3repE0EEENS1_30default_config_static_selectorELNS0_4arch9wavefront6targetE1EEEvS13_
                                        ; -- End function
	.section	.AMDGPU.csdata,"",@progbits
; Kernel info:
; codeLenInByte = 0
; NumSgprs: 4
; NumVgprs: 0
; NumAgprs: 0
; TotalNumVgprs: 0
; ScratchSize: 0
; MemoryBound: 0
; FloatMode: 240
; IeeeMode: 1
; LDSByteSize: 0 bytes/workgroup (compile time only)
; SGPRBlocks: 0
; VGPRBlocks: 0
; NumSGPRsForWavesPerEU: 4
; NumVGPRsForWavesPerEU: 1
; AccumOffset: 4
; Occupancy: 8
; WaveLimiterHint : 0
; COMPUTE_PGM_RSRC2:SCRATCH_EN: 0
; COMPUTE_PGM_RSRC2:USER_SGPR: 6
; COMPUTE_PGM_RSRC2:TRAP_HANDLER: 0
; COMPUTE_PGM_RSRC2:TGID_X_EN: 1
; COMPUTE_PGM_RSRC2:TGID_Y_EN: 0
; COMPUTE_PGM_RSRC2:TGID_Z_EN: 0
; COMPUTE_PGM_RSRC2:TIDIG_COMP_CNT: 0
; COMPUTE_PGM_RSRC3_GFX90A:ACCUM_OFFSET: 0
; COMPUTE_PGM_RSRC3_GFX90A:TG_SPLIT: 0
	.section	.text._ZN7rocprim17ROCPRIM_400000_NS6detail17trampoline_kernelINS0_13select_configILj256ELj13ELNS0_17block_load_methodE3ELS4_3ELS4_3ELNS0_20block_scan_algorithmE0ELj4294967295EEENS1_25partition_config_selectorILNS1_17partition_subalgoE4EjNS0_10empty_typeEbEEZZNS1_14partition_implILS8_4ELb0ES6_15HIP_vector_typeIjLj2EENS0_17counting_iteratorIjlEEPS9_SG_NS0_5tupleIJPjSI_NS0_16reverse_iteratorISI_EEEEENSH_IJSG_SG_SG_EEES9_SI_JZNS1_25segmented_radix_sort_implINS0_14default_configELb0EPK6__halfPSP_PKlPlN2at6native12_GLOBAL__N_18offset_tEEE10hipError_tPvRmT1_PNSt15iterator_traitsIS13_E10value_typeET2_T3_PNS14_IS19_E10value_typeET4_jRbjT5_S1F_jjP12ihipStream_tbEUljE_ZNSN_ISO_Lb0ESR_SS_SU_SV_SZ_EES10_S11_S12_S13_S17_S18_S19_S1C_S1D_jS1E_jS1F_S1F_jjS1H_bEUljE0_EEES10_S11_S12_S19_S1D_S1F_T6_T7_T9_mT8_S1H_bDpT10_ENKUlT_T0_E_clISt17integral_constantIbLb0EES1V_EEDaS1Q_S1R_EUlS1Q_E_NS1_11comp_targetILNS1_3genE4ELNS1_11target_archE910ELNS1_3gpuE8ELNS1_3repE0EEENS1_30default_config_static_selectorELNS0_4arch9wavefront6targetE1EEEvS13_,"axG",@progbits,_ZN7rocprim17ROCPRIM_400000_NS6detail17trampoline_kernelINS0_13select_configILj256ELj13ELNS0_17block_load_methodE3ELS4_3ELS4_3ELNS0_20block_scan_algorithmE0ELj4294967295EEENS1_25partition_config_selectorILNS1_17partition_subalgoE4EjNS0_10empty_typeEbEEZZNS1_14partition_implILS8_4ELb0ES6_15HIP_vector_typeIjLj2EENS0_17counting_iteratorIjlEEPS9_SG_NS0_5tupleIJPjSI_NS0_16reverse_iteratorISI_EEEEENSH_IJSG_SG_SG_EEES9_SI_JZNS1_25segmented_radix_sort_implINS0_14default_configELb0EPK6__halfPSP_PKlPlN2at6native12_GLOBAL__N_18offset_tEEE10hipError_tPvRmT1_PNSt15iterator_traitsIS13_E10value_typeET2_T3_PNS14_IS19_E10value_typeET4_jRbjT5_S1F_jjP12ihipStream_tbEUljE_ZNSN_ISO_Lb0ESR_SS_SU_SV_SZ_EES10_S11_S12_S13_S17_S18_S19_S1C_S1D_jS1E_jS1F_S1F_jjS1H_bEUljE0_EEES10_S11_S12_S19_S1D_S1F_T6_T7_T9_mT8_S1H_bDpT10_ENKUlT_T0_E_clISt17integral_constantIbLb0EES1V_EEDaS1Q_S1R_EUlS1Q_E_NS1_11comp_targetILNS1_3genE4ELNS1_11target_archE910ELNS1_3gpuE8ELNS1_3repE0EEENS1_30default_config_static_selectorELNS0_4arch9wavefront6targetE1EEEvS13_,comdat
	.globl	_ZN7rocprim17ROCPRIM_400000_NS6detail17trampoline_kernelINS0_13select_configILj256ELj13ELNS0_17block_load_methodE3ELS4_3ELS4_3ELNS0_20block_scan_algorithmE0ELj4294967295EEENS1_25partition_config_selectorILNS1_17partition_subalgoE4EjNS0_10empty_typeEbEEZZNS1_14partition_implILS8_4ELb0ES6_15HIP_vector_typeIjLj2EENS0_17counting_iteratorIjlEEPS9_SG_NS0_5tupleIJPjSI_NS0_16reverse_iteratorISI_EEEEENSH_IJSG_SG_SG_EEES9_SI_JZNS1_25segmented_radix_sort_implINS0_14default_configELb0EPK6__halfPSP_PKlPlN2at6native12_GLOBAL__N_18offset_tEEE10hipError_tPvRmT1_PNSt15iterator_traitsIS13_E10value_typeET2_T3_PNS14_IS19_E10value_typeET4_jRbjT5_S1F_jjP12ihipStream_tbEUljE_ZNSN_ISO_Lb0ESR_SS_SU_SV_SZ_EES10_S11_S12_S13_S17_S18_S19_S1C_S1D_jS1E_jS1F_S1F_jjS1H_bEUljE0_EEES10_S11_S12_S19_S1D_S1F_T6_T7_T9_mT8_S1H_bDpT10_ENKUlT_T0_E_clISt17integral_constantIbLb0EES1V_EEDaS1Q_S1R_EUlS1Q_E_NS1_11comp_targetILNS1_3genE4ELNS1_11target_archE910ELNS1_3gpuE8ELNS1_3repE0EEENS1_30default_config_static_selectorELNS0_4arch9wavefront6targetE1EEEvS13_ ; -- Begin function _ZN7rocprim17ROCPRIM_400000_NS6detail17trampoline_kernelINS0_13select_configILj256ELj13ELNS0_17block_load_methodE3ELS4_3ELS4_3ELNS0_20block_scan_algorithmE0ELj4294967295EEENS1_25partition_config_selectorILNS1_17partition_subalgoE4EjNS0_10empty_typeEbEEZZNS1_14partition_implILS8_4ELb0ES6_15HIP_vector_typeIjLj2EENS0_17counting_iteratorIjlEEPS9_SG_NS0_5tupleIJPjSI_NS0_16reverse_iteratorISI_EEEEENSH_IJSG_SG_SG_EEES9_SI_JZNS1_25segmented_radix_sort_implINS0_14default_configELb0EPK6__halfPSP_PKlPlN2at6native12_GLOBAL__N_18offset_tEEE10hipError_tPvRmT1_PNSt15iterator_traitsIS13_E10value_typeET2_T3_PNS14_IS19_E10value_typeET4_jRbjT5_S1F_jjP12ihipStream_tbEUljE_ZNSN_ISO_Lb0ESR_SS_SU_SV_SZ_EES10_S11_S12_S13_S17_S18_S19_S1C_S1D_jS1E_jS1F_S1F_jjS1H_bEUljE0_EEES10_S11_S12_S19_S1D_S1F_T6_T7_T9_mT8_S1H_bDpT10_ENKUlT_T0_E_clISt17integral_constantIbLb0EES1V_EEDaS1Q_S1R_EUlS1Q_E_NS1_11comp_targetILNS1_3genE4ELNS1_11target_archE910ELNS1_3gpuE8ELNS1_3repE0EEENS1_30default_config_static_selectorELNS0_4arch9wavefront6targetE1EEEvS13_
	.p2align	8
	.type	_ZN7rocprim17ROCPRIM_400000_NS6detail17trampoline_kernelINS0_13select_configILj256ELj13ELNS0_17block_load_methodE3ELS4_3ELS4_3ELNS0_20block_scan_algorithmE0ELj4294967295EEENS1_25partition_config_selectorILNS1_17partition_subalgoE4EjNS0_10empty_typeEbEEZZNS1_14partition_implILS8_4ELb0ES6_15HIP_vector_typeIjLj2EENS0_17counting_iteratorIjlEEPS9_SG_NS0_5tupleIJPjSI_NS0_16reverse_iteratorISI_EEEEENSH_IJSG_SG_SG_EEES9_SI_JZNS1_25segmented_radix_sort_implINS0_14default_configELb0EPK6__halfPSP_PKlPlN2at6native12_GLOBAL__N_18offset_tEEE10hipError_tPvRmT1_PNSt15iterator_traitsIS13_E10value_typeET2_T3_PNS14_IS19_E10value_typeET4_jRbjT5_S1F_jjP12ihipStream_tbEUljE_ZNSN_ISO_Lb0ESR_SS_SU_SV_SZ_EES10_S11_S12_S13_S17_S18_S19_S1C_S1D_jS1E_jS1F_S1F_jjS1H_bEUljE0_EEES10_S11_S12_S19_S1D_S1F_T6_T7_T9_mT8_S1H_bDpT10_ENKUlT_T0_E_clISt17integral_constantIbLb0EES1V_EEDaS1Q_S1R_EUlS1Q_E_NS1_11comp_targetILNS1_3genE4ELNS1_11target_archE910ELNS1_3gpuE8ELNS1_3repE0EEENS1_30default_config_static_selectorELNS0_4arch9wavefront6targetE1EEEvS13_,@function
_ZN7rocprim17ROCPRIM_400000_NS6detail17trampoline_kernelINS0_13select_configILj256ELj13ELNS0_17block_load_methodE3ELS4_3ELS4_3ELNS0_20block_scan_algorithmE0ELj4294967295EEENS1_25partition_config_selectorILNS1_17partition_subalgoE4EjNS0_10empty_typeEbEEZZNS1_14partition_implILS8_4ELb0ES6_15HIP_vector_typeIjLj2EENS0_17counting_iteratorIjlEEPS9_SG_NS0_5tupleIJPjSI_NS0_16reverse_iteratorISI_EEEEENSH_IJSG_SG_SG_EEES9_SI_JZNS1_25segmented_radix_sort_implINS0_14default_configELb0EPK6__halfPSP_PKlPlN2at6native12_GLOBAL__N_18offset_tEEE10hipError_tPvRmT1_PNSt15iterator_traitsIS13_E10value_typeET2_T3_PNS14_IS19_E10value_typeET4_jRbjT5_S1F_jjP12ihipStream_tbEUljE_ZNSN_ISO_Lb0ESR_SS_SU_SV_SZ_EES10_S11_S12_S13_S17_S18_S19_S1C_S1D_jS1E_jS1F_S1F_jjS1H_bEUljE0_EEES10_S11_S12_S19_S1D_S1F_T6_T7_T9_mT8_S1H_bDpT10_ENKUlT_T0_E_clISt17integral_constantIbLb0EES1V_EEDaS1Q_S1R_EUlS1Q_E_NS1_11comp_targetILNS1_3genE4ELNS1_11target_archE910ELNS1_3gpuE8ELNS1_3repE0EEENS1_30default_config_static_selectorELNS0_4arch9wavefront6targetE1EEEvS13_: ; @_ZN7rocprim17ROCPRIM_400000_NS6detail17trampoline_kernelINS0_13select_configILj256ELj13ELNS0_17block_load_methodE3ELS4_3ELS4_3ELNS0_20block_scan_algorithmE0ELj4294967295EEENS1_25partition_config_selectorILNS1_17partition_subalgoE4EjNS0_10empty_typeEbEEZZNS1_14partition_implILS8_4ELb0ES6_15HIP_vector_typeIjLj2EENS0_17counting_iteratorIjlEEPS9_SG_NS0_5tupleIJPjSI_NS0_16reverse_iteratorISI_EEEEENSH_IJSG_SG_SG_EEES9_SI_JZNS1_25segmented_radix_sort_implINS0_14default_configELb0EPK6__halfPSP_PKlPlN2at6native12_GLOBAL__N_18offset_tEEE10hipError_tPvRmT1_PNSt15iterator_traitsIS13_E10value_typeET2_T3_PNS14_IS19_E10value_typeET4_jRbjT5_S1F_jjP12ihipStream_tbEUljE_ZNSN_ISO_Lb0ESR_SS_SU_SV_SZ_EES10_S11_S12_S13_S17_S18_S19_S1C_S1D_jS1E_jS1F_S1F_jjS1H_bEUljE0_EEES10_S11_S12_S19_S1D_S1F_T6_T7_T9_mT8_S1H_bDpT10_ENKUlT_T0_E_clISt17integral_constantIbLb0EES1V_EEDaS1Q_S1R_EUlS1Q_E_NS1_11comp_targetILNS1_3genE4ELNS1_11target_archE910ELNS1_3gpuE8ELNS1_3repE0EEENS1_30default_config_static_selectorELNS0_4arch9wavefront6targetE1EEEvS13_
; %bb.0:
	s_load_dwordx2 s[0:1], s[4:5], 0x68
	s_load_dword s7, s[4:5], 0x8
	s_load_dwordx2 s[56:57], s[4:5], 0x10
	s_load_dwordx4 s[44:47], s[4:5], 0x58
	s_mul_i32 s33, s6, 0xd00
	s_waitcnt lgkmcnt(0)
	v_mov_b32_e32 v3, s1
	v_mov_b32_e32 v2, s0
	s_load_dword s1, s[4:5], 0x80
	s_load_dwordx2 s[60:61], s[4:5], 0xa8
	s_load_dwordx8 s[36:43], s[4:5], 0x88
	s_load_dwordx4 s[48:51], s[46:47], 0x0
	s_waitcnt lgkmcnt(0)
	s_add_i32 s8, s1, -1
	s_mulk_i32 s1, 0xd00
	s_add_u32 s2, s56, s1
	s_addc_u32 s3, s57, 0
	s_cmp_eq_u32 s6, s8
	s_cselect_b64 s[30:31], -1, 0
	s_cmp_lg_u32 s6, s8
	v_cmp_lt_u64_e32 vcc, s[2:3], v[2:3]
	s_cselect_b64 s[2:3], -1, 0
	s_add_i32 s7, s7, s33
	s_or_b64 s[2:3], s[2:3], vcc
	s_add_i32 s7, s7, s56
	v_add_u32_e32 v1, s7, v0
	s_mov_b64 s[8:9], -1
	s_and_b64 vcc, exec, s[2:3]
	s_cbranch_vccz .LBB1778_2
; %bb.1:
	v_add_u32_e32 v2, 0x100, v1
	v_lshlrev_b32_e32 v14, 2, v0
	v_add_u32_e32 v3, 0x200, v1
	v_add_u32_e32 v4, 0x300, v1
	;; [unrolled: 1-line block ×11, first 2 shown]
	ds_write2st64_b32 v14, v1, v2 offset1:4
	ds_write2st64_b32 v14, v3, v4 offset0:8 offset1:12
	ds_write2st64_b32 v14, v5, v6 offset0:16 offset1:20
	;; [unrolled: 1-line block ×5, first 2 shown]
	ds_write_b32 v14, v13 offset:12288
	s_waitcnt lgkmcnt(0)
	s_barrier
	s_mov_b64 s[8:9], 0
.LBB1778_2:
	s_andn2_b64 vcc, exec, s[8:9]
	s_add_i32 s1, s1, s56
	s_cbranch_vccnz .LBB1778_4
; %bb.3:
	v_add_u32_e32 v2, 0x100, v1
	v_lshlrev_b32_e32 v14, 2, v0
	v_add_u32_e32 v3, 0x200, v1
	v_add_u32_e32 v4, 0x300, v1
	;; [unrolled: 1-line block ×11, first 2 shown]
	ds_write2st64_b32 v14, v1, v2 offset1:4
	ds_write2st64_b32 v14, v3, v4 offset0:8 offset1:12
	ds_write2st64_b32 v14, v5, v6 offset0:16 offset1:20
	;; [unrolled: 1-line block ×5, first 2 shown]
	ds_write_b32 v14, v13 offset:12288
	s_waitcnt lgkmcnt(0)
	s_barrier
.LBB1778_4:
	v_mul_u32_u24_e32 v31, 13, v0
	v_lshlrev_b32_e32 v1, 2, v31
	s_load_dwordx4 s[52:55], s[4:5], 0x28
	s_load_dwordx2 s[34:35], s[4:5], 0x38
	s_waitcnt lgkmcnt(0)
	ds_read2_b32 v[18:19], v1 offset1:1
	ds_read2_b32 v[16:17], v1 offset0:2 offset1:3
	ds_read2_b32 v[14:15], v1 offset0:4 offset1:5
	;; [unrolled: 1-line block ×5, first 2 shown]
	ds_read_b32 v30, v1 offset:48
	v_cndmask_b32_e64 v1, 0, 1, s[2:3]
	s_sub_i32 s7, s0, s1
	v_cmp_ne_u32_e64 s[0:1], 1, v1
	s_andn2_b64 vcc, exec, s[2:3]
	s_waitcnt lgkmcnt(0)
	s_barrier
	s_cbranch_vccnz .LBB1778_32
; %bb.5:
	v_add_u32_e32 v1, s37, v18
	v_add_u32_e32 v2, s39, v18
	v_mul_lo_u32 v1, v1, s36
	v_mul_lo_u32 v2, v2, s38
	v_sub_u32_e32 v1, v1, v2
	v_cmp_lt_u32_e32 vcc, s40, v1
	v_cmp_ge_u32_e64 s[2:3], s40, v1
	s_mov_b64 s[64:65], 0
	s_mov_b64 s[62:63], 0
	s_and_saveexec_b64 s[8:9], s[2:3]
; %bb.6:
	v_add_u32_e32 v1, s42, v18
	v_add_u32_e32 v2, s60, v18
	v_mul_lo_u32 v1, v1, s41
	v_mul_lo_u32 v2, v2, s43
	v_sub_u32_e32 v1, v1, v2
	v_cmp_lt_u32_e64 s[2:3], s61, v1
	s_and_b64 s[62:63], s[2:3], exec
; %bb.7:
	s_or_b64 exec, exec, s[8:9]
	v_add_u32_e32 v1, s37, v19
	v_add_u32_e32 v2, s39, v19
	v_mul_lo_u32 v1, v1, s36
	v_mul_lo_u32 v2, v2, s38
	v_sub_u32_e32 v1, v1, v2
	v_cmp_lt_u32_e64 s[2:3], s40, v1
	v_cmp_ge_u32_e64 s[8:9], s40, v1
	s_and_saveexec_b64 s[10:11], s[8:9]
; %bb.8:
	v_add_u32_e32 v1, s42, v19
	v_add_u32_e32 v2, s60, v19
	v_mul_lo_u32 v1, v1, s41
	v_mul_lo_u32 v2, v2, s43
	v_sub_u32_e32 v1, v1, v2
	v_cmp_lt_u32_e64 s[8:9], s61, v1
	s_and_b64 s[64:65], s[8:9], exec
; %bb.9:
	s_or_b64 exec, exec, s[10:11]
	v_add_u32_e32 v1, s37, v16
	v_add_u32_e32 v2, s39, v16
	v_mul_lo_u32 v1, v1, s36
	v_mul_lo_u32 v2, v2, s38
	v_sub_u32_e32 v1, v1, v2
	v_cmp_lt_u32_e64 s[26:27], s40, v1
	v_cmp_ge_u32_e64 s[8:9], s40, v1
	s_mov_b64 s[68:69], 0
	s_mov_b64 s[66:67], 0
	s_and_saveexec_b64 s[10:11], s[8:9]
; %bb.10:
	v_add_u32_e32 v1, s42, v16
	v_add_u32_e32 v2, s60, v16
	v_mul_lo_u32 v1, v1, s41
	v_mul_lo_u32 v2, v2, s43
	v_sub_u32_e32 v1, v1, v2
	v_cmp_lt_u32_e64 s[8:9], s61, v1
	s_and_b64 s[66:67], s[8:9], exec
; %bb.11:
	s_or_b64 exec, exec, s[10:11]
	v_add_u32_e32 v1, s37, v17
	v_add_u32_e32 v2, s39, v17
	v_mul_lo_u32 v1, v1, s36
	v_mul_lo_u32 v2, v2, s38
	v_sub_u32_e32 v1, v1, v2
	v_cmp_lt_u32_e64 s[8:9], s40, v1
	v_cmp_ge_u32_e64 s[10:11], s40, v1
	s_and_saveexec_b64 s[12:13], s[10:11]
; %bb.12:
	v_add_u32_e32 v1, s42, v17
	v_add_u32_e32 v2, s60, v17
	v_mul_lo_u32 v1, v1, s41
	v_mul_lo_u32 v2, v2, s43
	v_sub_u32_e32 v1, v1, v2
	v_cmp_lt_u32_e64 s[10:11], s61, v1
	s_and_b64 s[68:69], s[10:11], exec
; %bb.13:
	s_or_b64 exec, exec, s[12:13]
	v_add_u32_e32 v1, s37, v14
	v_add_u32_e32 v2, s39, v14
	v_mul_lo_u32 v1, v1, s36
	v_mul_lo_u32 v2, v2, s38
	v_sub_u32_e32 v1, v1, v2
	v_cmp_lt_u32_e64 s[10:11], s40, v1
	;; [unrolled: 38-line block ×5, first 2 shown]
	v_cmp_ge_u32_e64 s[24:25], s40, v1
	s_mov_b64 s[84:85], 0
	s_mov_b64 s[86:87], 0
	s_and_saveexec_b64 s[28:29], s[24:25]
; %bb.26:
	v_add_u32_e32 v1, s42, v8
	v_add_u32_e32 v2, s60, v8
	v_mul_lo_u32 v1, v1, s41
	v_mul_lo_u32 v2, v2, s43
	v_sub_u32_e32 v1, v1, v2
	v_cmp_lt_u32_e64 s[24:25], s61, v1
	s_and_b64 s[86:87], s[24:25], exec
; %bb.27:
	s_or_b64 exec, exec, s[28:29]
	v_add_u32_e32 v1, s37, v9
	v_add_u32_e32 v2, s39, v9
	v_mul_lo_u32 v1, v1, s36
	v_mul_lo_u32 v2, v2, s38
	v_sub_u32_e32 v1, v1, v2
	v_cmp_lt_u32_e64 s[24:25], s40, v1
	v_cmp_ge_u32_e64 s[28:29], s40, v1
	s_and_saveexec_b64 s[46:47], s[28:29]
; %bb.28:
	v_add_u32_e32 v1, s42, v9
	v_add_u32_e32 v2, s60, v9
	v_mul_lo_u32 v1, v1, s41
	v_mul_lo_u32 v2, v2, s43
	v_sub_u32_e32 v1, v1, v2
	v_cmp_lt_u32_e64 s[28:29], s61, v1
	s_and_b64 s[84:85], s[28:29], exec
; %bb.29:
	s_or_b64 exec, exec, s[46:47]
	v_add_u32_e32 v1, s37, v30
	v_add_u32_e32 v2, s39, v30
	v_mul_lo_u32 v1, v1, s36
	v_mul_lo_u32 v2, v2, s38
	v_sub_u32_e32 v1, v1, v2
	v_cmp_ge_u32_e64 s[28:29], s40, v1
	s_mov_b64 s[46:47], -1
	s_mov_b64 s[78:79], 0
	s_mov_b64 s[58:59], 0
	s_and_saveexec_b64 s[88:89], s[28:29]
; %bb.30:
	v_add_u32_e32 v1, s42, v30
	v_add_u32_e32 v2, s60, v30
	v_mul_lo_u32 v1, v1, s41
	v_mul_lo_u32 v2, v2, s43
	v_sub_u32_e32 v1, v1, v2
	v_cmp_lt_u32_e64 s[28:29], s61, v1
	s_and_b64 s[58:59], s[28:29], exec
	s_xor_b64 s[46:47], exec, -1
; %bb.31:
	s_or_b64 exec, exec, s[88:89]
	v_cndmask_b32_e64 v52, 0, 1, s[86:87]
	v_cndmask_b32_e64 v55, 0, 1, s[24:25]
	;; [unrolled: 1-line block ×22, first 2 shown]
	v_cndmask_b32_e64 v32, 0, 1, vcc
	v_cndmask_b32_e64 v54, 0, 1, s[84:85]
	s_load_dwordx2 s[12:13], s[4:5], 0x78
	s_add_i32 s18, s7, 0xd00
	s_and_b64 vcc, exec, s[78:79]
	s_cbranch_vccnz .LBB1778_33
	s_branch .LBB1778_86
.LBB1778_32:
                                        ; implicit-def: $sgpr46_sgpr47
                                        ; implicit-def: $sgpr58_sgpr59
                                        ; implicit-def: $vgpr54
                                        ; implicit-def: $vgpr52
                                        ; implicit-def: $vgpr50
                                        ; implicit-def: $vgpr48
                                        ; implicit-def: $vgpr46
                                        ; implicit-def: $vgpr44
                                        ; implicit-def: $vgpr42
                                        ; implicit-def: $vgpr40
                                        ; implicit-def: $vgpr38
                                        ; implicit-def: $vgpr32
                                        ; implicit-def: $vgpr34
                                        ; implicit-def: $vgpr36
                                        ; implicit-def: $vgpr39
                                        ; implicit-def: $vgpr41
                                        ; implicit-def: $vgpr43
                                        ; implicit-def: $vgpr45
                                        ; implicit-def: $vgpr47
                                        ; implicit-def: $vgpr49
                                        ; implicit-def: $vgpr51
                                        ; implicit-def: $vgpr53
                                        ; implicit-def: $vgpr55
                                        ; implicit-def: $vgpr33
                                        ; implicit-def: $vgpr35
                                        ; implicit-def: $vgpr37
	s_load_dwordx2 s[12:13], s[4:5], 0x78
	s_add_i32 s18, s7, 0xd00
	s_cbranch_execz .LBB1778_86
.LBB1778_33:
	v_cmp_gt_u32_e32 vcc, s18, v31
	v_mov_b32_e32 v33, 0
	v_mov_b32_e32 v32, 0
	s_and_saveexec_b64 s[4:5], vcc
	s_cbranch_execz .LBB1778_37
; %bb.34:
	v_add_u32_e32 v1, s37, v18
	v_add_u32_e32 v2, s39, v18
	v_mul_lo_u32 v1, v1, s36
	v_mul_lo_u32 v2, v2, s38
	v_sub_u32_e32 v1, v1, v2
	v_cmp_lt_u32_e32 vcc, s40, v1
	v_cmp_ge_u32_e64 s[2:3], s40, v1
	s_mov_b64 s[10:11], 0
	s_and_saveexec_b64 s[8:9], s[2:3]
; %bb.35:
	v_add_u32_e32 v1, s42, v18
	v_add_u32_e32 v2, s60, v18
	v_mul_lo_u32 v1, v1, s41
	v_mul_lo_u32 v2, v2, s43
	v_sub_u32_e32 v1, v1, v2
	v_cmp_lt_u32_e64 s[2:3], s61, v1
	s_and_b64 s[10:11], s[2:3], exec
; %bb.36:
	s_or_b64 exec, exec, s[8:9]
	v_cndmask_b32_e64 v32, 0, 1, vcc
	v_cndmask_b32_e64 v33, 0, 1, s[10:11]
.LBB1778_37:
	s_or_b64 exec, exec, s[4:5]
	v_add_u32_e32 v1, 1, v31
	v_cmp_gt_u32_e32 vcc, s18, v1
	v_mov_b32_e32 v34, 0
	v_mov_b32_e32 v35, 0
	s_and_saveexec_b64 s[4:5], vcc
	s_cbranch_execz .LBB1778_41
; %bb.38:
	v_add_u32_e32 v1, s37, v19
	v_add_u32_e32 v2, s39, v19
	v_mul_lo_u32 v1, v1, s36
	v_mul_lo_u32 v2, v2, s38
	v_sub_u32_e32 v1, v1, v2
	v_cmp_lt_u32_e32 vcc, s40, v1
	v_cmp_ge_u32_e64 s[2:3], s40, v1
	s_mov_b64 s[10:11], 0
	s_and_saveexec_b64 s[8:9], s[2:3]
; %bb.39:
	v_add_u32_e32 v1, s42, v19
	v_add_u32_e32 v2, s60, v19
	v_mul_lo_u32 v1, v1, s41
	v_mul_lo_u32 v2, v2, s43
	v_sub_u32_e32 v1, v1, v2
	v_cmp_lt_u32_e64 s[2:3], s61, v1
	s_and_b64 s[10:11], s[2:3], exec
; %bb.40:
	s_or_b64 exec, exec, s[8:9]
	v_cndmask_b32_e64 v34, 0, 1, vcc
	v_cndmask_b32_e64 v35, 0, 1, s[10:11]
.LBB1778_41:
	s_or_b64 exec, exec, s[4:5]
	v_add_u32_e32 v1, 2, v31
	;; [unrolled: 30-line block ×12, first 2 shown]
	v_cmp_gt_u32_e32 vcc, s18, v1
	s_mov_b64 s[46:47], 0
	s_mov_b64 s[58:59], 0
	s_and_saveexec_b64 s[2:3], vcc
	s_cbranch_execz .LBB1778_85
; %bb.82:
	v_add_u32_e32 v1, s37, v30
	v_add_u32_e32 v2, s39, v30
	v_mul_lo_u32 v1, v1, s36
	v_mul_lo_u32 v2, v2, s38
	v_sub_u32_e32 v1, v1, v2
	v_cmp_ge_u32_e32 vcc, s40, v1
	s_mov_b64 s[8:9], -1
	s_mov_b64 s[10:11], 0
	s_and_saveexec_b64 s[4:5], vcc
; %bb.83:
	v_add_u32_e32 v1, s42, v30
	v_add_u32_e32 v2, s60, v30
	v_mul_lo_u32 v1, v1, s41
	v_mul_lo_u32 v2, v2, s43
	v_sub_u32_e32 v1, v1, v2
	v_cmp_lt_u32_e32 vcc, s61, v1
	s_and_b64 s[10:11], vcc, exec
	s_xor_b64 s[8:9], exec, -1
; %bb.84:
	s_or_b64 exec, exec, s[4:5]
	s_and_b64 s[58:59], s[10:11], exec
	s_and_b64 s[46:47], s[8:9], exec
.LBB1778_85:
	s_or_b64 exec, exec, s[2:3]
.LBB1778_86:
	v_and_b32_e32 v63, 0xff, v33
	v_and_b32_e32 v74, 0xff, v35
	;; [unrolled: 1-line block ×5, first 2 shown]
	v_add3_u32 v2, v74, v65, v63
	v_and_b32_e32 v76, 0xff, v42
	v_and_b32_e32 v69, 0xff, v44
	v_add3_u32 v2, v2, v75, v67
	v_and_b32_e32 v62, 0xff, v32
	v_and_b32_e32 v56, 0xff, v34
	v_and_b32_e32 v64, 0xff, v36
	v_and_b32_e32 v77, 0xff, v46
	v_and_b32_e32 v71, 0xff, v48
	v_add3_u32 v2, v2, v76, v69
	v_and_b32_e32 v57, 0xff, v39
	v_and_b32_e32 v66, 0xff, v41
	v_and_b32_e32 v78, 0xff, v50
	v_and_b32_e32 v73, 0xff, v52
	v_add3_u32 v3, v56, v64, v62
	v_add3_u32 v2, v2, v77, v71
	v_and_b32_e32 v58, 0xff, v43
	v_and_b32_e32 v68, 0xff, v45
	;; [unrolled: 1-line block ×3, first 2 shown]
	v_cndmask_b32_e64 v1, 0, 1, s[58:59]
	v_add3_u32 v3, v3, v57, v66
	v_add3_u32 v2, v2, v78, v73
	v_and_b32_e32 v59, 0xff, v47
	v_and_b32_e32 v70, 0xff, v49
	v_add3_u32 v3, v3, v58, v68
	v_add3_u32 v86, v2, v79, v1
	v_mbcnt_lo_u32_b32 v1, -1, 0
	v_and_b32_e32 v60, 0xff, v51
	v_and_b32_e32 v72, 0xff, v53
	v_add3_u32 v3, v3, v59, v70
	v_mbcnt_hi_u32_b32 v80, -1, v1
	v_and_b32_e32 v61, 0xff, v55
	v_add3_u32 v3, v3, v60, v72
	v_cndmask_b32_e64 v4, 0, 1, s[46:47]
	v_and_b32_e32 v84, 15, v80
	s_cmp_lg_u32 s6, 0
	v_add3_u32 v85, v3, v61, v4
	v_cmp_eq_u32_e64 s[4:5], 0, v84
	v_cmp_lt_u32_e64 s[2:3], 1, v84
	v_cmp_lt_u32_e64 s[8:9], 3, v84
	;; [unrolled: 1-line block ×3, first 2 shown]
	v_and_b32_e32 v83, 16, v80
	v_cmp_lt_u32_e32 vcc, 31, v80
	v_lshrrev_b32_e32 v81, 6, v0
	v_or_b32_e32 v82, 63, v0
	s_cbranch_scc0 .LBB1778_115
; %bb.87:
	v_mov_b32_dpp v1, v85 row_shr:1 row_mask:0xf bank_mask:0xf
	v_mov_b32_dpp v2, v86 row_shr:1 row_mask:0xf bank_mask:0xf
	v_add_u32_e32 v1, v1, v85
	v_add_u32_e32 v2, v2, v86
	v_cndmask_b32_e64 v2, v2, v86, s[4:5]
	v_cndmask_b32_e64 v1, v1, v85, s[4:5]
	s_nop 0
	v_mov_b32_dpp v4, v2 row_shr:2 row_mask:0xf bank_mask:0xf
	v_mov_b32_dpp v3, v1 row_shr:2 row_mask:0xf bank_mask:0xf
	v_add_u32_e32 v3, v1, v3
	v_add_u32_e32 v4, v2, v4
	v_cndmask_b32_e64 v2, v2, v4, s[2:3]
	v_cndmask_b32_e64 v1, v1, v3, s[2:3]
	s_nop 0
	v_mov_b32_dpp v4, v2 row_shr:4 row_mask:0xf bank_mask:0xf
	v_mov_b32_dpp v3, v1 row_shr:4 row_mask:0xf bank_mask:0xf
	v_add_u32_e32 v3, v1, v3
	v_add_u32_e32 v4, v2, v4
	v_cndmask_b32_e64 v2, v2, v4, s[8:9]
	v_cndmask_b32_e64 v1, v1, v3, s[8:9]
	v_cmp_eq_u32_e64 s[8:9], 0, v83
	v_mov_b32_dpp v4, v2 row_shr:8 row_mask:0xf bank_mask:0xf
	v_mov_b32_dpp v3, v1 row_shr:8 row_mask:0xf bank_mask:0xf
	v_add_u32_e32 v3, v1, v3
	v_add_u32_e32 v4, v2, v4
	v_cndmask_b32_e64 v2, v2, v4, s[10:11]
	v_cndmask_b32_e64 v1, v1, v3, s[10:11]
	s_nop 0
	v_mov_b32_dpp v4, v2 row_bcast:15 row_mask:0xf bank_mask:0xf
	v_mov_b32_dpp v3, v1 row_bcast:15 row_mask:0xf bank_mask:0xf
	v_add_u32_e32 v3, v1, v3
	v_add_u32_e32 v4, v2, v4
	v_cndmask_b32_e64 v2, v4, v2, s[8:9]
	v_cndmask_b32_e64 v1, v3, v1, s[8:9]
	s_nop 0
	v_mov_b32_dpp v4, v2 row_bcast:31 row_mask:0xf bank_mask:0xf
	v_mov_b32_dpp v3, v1 row_bcast:31 row_mask:0xf bank_mask:0xf
	v_add_u32_e32 v4, v2, v4
	v_add_u32_e32 v5, v1, v3
	v_cndmask_b32_e32 v3, v2, v4, vcc
	v_cndmask_b32_e32 v2, v1, v5, vcc
	v_cmp_eq_u32_e32 vcc, v82, v0
	s_and_saveexec_b64 s[8:9], vcc
	s_cbranch_execz .LBB1778_89
; %bb.88:
	v_lshlrev_b32_e32 v1, 3, v81
	ds_write_b64 v1, v[2:3]
.LBB1778_89:
	s_or_b64 exec, exec, s[8:9]
	v_cmp_gt_u32_e32 vcc, 4, v0
	s_waitcnt lgkmcnt(0)
	s_barrier
	s_and_saveexec_b64 s[8:9], vcc
	s_cbranch_execz .LBB1778_91
; %bb.90:
	v_lshlrev_b32_e32 v1, 3, v0
	ds_read_b64 v[4:5], v1
	v_and_b32_e32 v6, 3, v80
	v_cmp_eq_u32_e32 vcc, 0, v6
	s_waitcnt lgkmcnt(0)
	v_mov_b32_dpp v7, v4 row_shr:1 row_mask:0xf bank_mask:0xf
	v_mov_b32_dpp v20, v5 row_shr:1 row_mask:0xf bank_mask:0xf
	v_add_u32_e32 v7, v7, v4
	v_add_u32_e32 v20, v20, v5
	v_cndmask_b32_e32 v5, v20, v5, vcc
	v_cndmask_b32_e32 v4, v7, v4, vcc
	v_cmp_lt_u32_e32 vcc, 1, v6
	v_mov_b32_dpp v20, v5 row_shr:2 row_mask:0xf bank_mask:0xf
	v_mov_b32_dpp v7, v4 row_shr:2 row_mask:0xf bank_mask:0xf
	v_cndmask_b32_e32 v6, 0, v7, vcc
	v_cndmask_b32_e32 v7, 0, v20, vcc
	v_add_u32_e32 v5, v7, v5
	v_add_u32_e32 v4, v6, v4
	ds_write_b64 v1, v[4:5]
.LBB1778_91:
	s_or_b64 exec, exec, s[8:9]
	v_cmp_gt_u32_e32 vcc, 64, v0
	v_cmp_lt_u32_e64 s[8:9], 63, v0
	s_waitcnt lgkmcnt(0)
	s_barrier
	s_waitcnt lgkmcnt(0)
                                        ; implicit-def: $vgpr21
	s_and_saveexec_b64 s[10:11], s[8:9]
	s_xor_b64 s[8:9], exec, s[10:11]
	s_cbranch_execz .LBB1778_93
; %bb.92:
	v_lshl_add_u32 v1, v81, 3, -8
	ds_read_b64 v[20:21], v1
	s_waitcnt lgkmcnt(0)
	v_add_u32_e32 v3, v21, v3
	v_add_u32_e32 v2, v20, v2
.LBB1778_93:
	s_andn2_saveexec_b64 s[8:9], s[8:9]
; %bb.94:
                                        ; implicit-def: $vgpr20
; %bb.95:
	s_or_b64 exec, exec, s[8:9]
	v_add_u32_e32 v1, -1, v80
	v_and_b32_e32 v4, 64, v80
	v_cmp_lt_i32_e64 s[8:9], v1, v4
	v_cndmask_b32_e64 v1, v1, v80, s[8:9]
	v_lshlrev_b32_e32 v4, 2, v1
	ds_bpermute_b32 v1, v4, v2
	ds_bpermute_b32 v87, v4, v3
	v_cmp_eq_u32_e64 s[8:9], 0, v80
	s_and_saveexec_b64 s[10:11], vcc
	s_cbranch_execz .LBB1778_114
; %bb.96:
	v_mov_b32_e32 v7, 0
	ds_read_b64 v[22:23], v7 offset:24
	s_and_saveexec_b64 s[14:15], s[8:9]
	s_cbranch_execz .LBB1778_98
; %bb.97:
	s_add_i32 s16, s6, 64
	s_mov_b32 s17, 0
	s_lshl_b64 s[16:17], s[16:17], 4
	s_waitcnt lgkmcnt(0)
	v_and_b32_e32 v2, 0xff000000, v23
	v_and_b32_e32 v3, 0xff0000, v23
	s_add_u32 s16, s12, s16
	v_or_b32_e32 v2, v3, v2
	v_and_b32_e32 v3, 0xff00, v23
	s_addc_u32 s17, s13, s17
	v_or_b32_e32 v2, v2, v3
	v_or_b32_sdwa v5, v2, v23 dst_sel:DWORD dst_unused:UNUSED_PAD src0_sel:DWORD src1_sel:BYTE_0
	v_mov_b32_e32 v6, 1
	v_mov_b32_e32 v4, v22
	v_pk_mov_b32 v[2:3], s[16:17], s[16:17] op_sel:[0,1]
	;;#ASMSTART
	global_store_dwordx4 v[2:3], v[4:7] off	
s_waitcnt vmcnt(0)
	;;#ASMEND
.LBB1778_98:
	s_or_b64 exec, exec, s[14:15]
	v_xad_u32 v24, v80, -1, s6
	v_add_u32_e32 v6, 64, v24
	v_lshlrev_b64 v[2:3], 4, v[6:7]
	v_mov_b32_e32 v4, s13
	v_add_co_u32_e32 v26, vcc, s12, v2
	v_addc_co_u32_e32 v27, vcc, v4, v3, vcc
	;;#ASMSTART
	global_load_dwordx4 v[2:5], v[26:27] off glc	
s_waitcnt vmcnt(0)
	;;#ASMEND
	v_and_b32_e32 v5, 0xff, v3
	v_and_b32_e32 v6, 0xff00, v3
	v_or3_b32 v5, 0, v5, v6
	v_or3_b32 v2, v2, 0, 0
	v_and_b32_e32 v6, 0xff000000, v3
	v_and_b32_e32 v3, 0xff0000, v3
	v_or3_b32 v3, v5, v3, v6
	v_or3_b32 v2, v2, 0, 0
	v_cmp_eq_u16_sdwa s[16:17], v4, v7 src0_sel:BYTE_0 src1_sel:DWORD
	s_and_saveexec_b64 s[14:15], s[16:17]
	s_cbranch_execz .LBB1778_102
; %bb.99:
	s_mov_b64 s[16:17], 0
	v_mov_b32_e32 v6, 0
.LBB1778_100:                           ; =>This Inner Loop Header: Depth=1
	;;#ASMSTART
	global_load_dwordx4 v[2:5], v[26:27] off glc	
s_waitcnt vmcnt(0)
	;;#ASMEND
	v_cmp_ne_u16_sdwa s[20:21], v4, v6 src0_sel:BYTE_0 src1_sel:DWORD
	s_or_b64 s[16:17], s[20:21], s[16:17]
	s_andn2_b64 exec, exec, s[16:17]
	s_cbranch_execnz .LBB1778_100
; %bb.101:
	s_or_b64 exec, exec, s[16:17]
.LBB1778_102:
	s_or_b64 exec, exec, s[14:15]
	v_and_b32_e32 v89, 63, v80
	v_cmp_ne_u32_e32 vcc, 63, v89
	v_mov_b32_e32 v88, 2
	v_addc_co_u32_e32 v26, vcc, 0, v80, vcc
	v_cmp_eq_u16_sdwa s[14:15], v4, v88 src0_sel:BYTE_0 src1_sel:DWORD
	v_lshlrev_b64 v[6:7], v80, -1
	v_lshlrev_b32_e32 v90, 2, v26
	v_and_b32_e32 v5, s15, v7
	ds_bpermute_b32 v26, v90, v2
	ds_bpermute_b32 v27, v90, v3
	v_or_b32_e32 v5, 0x80000000, v5
	v_and_b32_e32 v25, s14, v6
	v_ffbl_b32_e32 v5, v5
	v_add_u32_e32 v5, 32, v5
	v_ffbl_b32_e32 v25, v25
	v_min_u32_e32 v5, v25, v5
	s_waitcnt lgkmcnt(1)
	v_add_u32_e32 v25, v26, v2
	s_waitcnt lgkmcnt(0)
	v_add_u32_e32 v26, v27, v3
	v_cmp_lt_u32_e32 vcc, v89, v5
	v_cndmask_b32_e32 v3, v3, v26, vcc
	v_cndmask_b32_e32 v2, v2, v25, vcc
	v_cmp_gt_u32_e32 vcc, 62, v89
	v_cndmask_b32_e64 v25, 0, 1, vcc
	v_lshlrev_b32_e32 v25, 1, v25
	v_add_lshl_u32 v91, v25, v80, 2
	ds_bpermute_b32 v25, v91, v2
	ds_bpermute_b32 v26, v91, v3
	v_add_u32_e32 v92, 2, v89
	v_cmp_gt_u32_e32 vcc, v92, v5
	v_add_u32_e32 v94, 4, v89
	s_waitcnt lgkmcnt(1)
	v_add_u32_e32 v25, v2, v25
	s_waitcnt lgkmcnt(0)
	v_add_u32_e32 v26, v3, v26
	v_cndmask_b32_e32 v3, v26, v3, vcc
	v_cndmask_b32_e32 v2, v25, v2, vcc
	v_cmp_gt_u32_e32 vcc, 60, v89
	v_cndmask_b32_e64 v25, 0, 1, vcc
	v_lshlrev_b32_e32 v25, 2, v25
	v_add_lshl_u32 v93, v25, v80, 2
	ds_bpermute_b32 v25, v93, v2
	ds_bpermute_b32 v26, v93, v3
	v_cmp_gt_u32_e32 vcc, v94, v5
	v_add_u32_e32 v96, 8, v89
	v_add_u32_e32 v98, 16, v89
	s_waitcnt lgkmcnt(1)
	v_add_u32_e32 v25, v2, v25
	s_waitcnt lgkmcnt(0)
	v_add_u32_e32 v26, v3, v26
	v_cndmask_b32_e32 v3, v26, v3, vcc
	v_cndmask_b32_e32 v2, v25, v2, vcc
	v_cmp_gt_u32_e32 vcc, 56, v89
	v_cndmask_b32_e64 v25, 0, 1, vcc
	v_lshlrev_b32_e32 v25, 3, v25
	v_add_lshl_u32 v95, v25, v80, 2
	ds_bpermute_b32 v25, v95, v2
	ds_bpermute_b32 v26, v95, v3
	v_cmp_gt_u32_e32 vcc, v96, v5
	v_add_u32_e32 v100, 32, v89
	s_waitcnt lgkmcnt(1)
	v_add_u32_e32 v25, v2, v25
	s_waitcnt lgkmcnt(0)
	v_add_u32_e32 v26, v3, v26
	v_cndmask_b32_e32 v3, v26, v3, vcc
	v_cndmask_b32_e32 v2, v25, v2, vcc
	v_cmp_gt_u32_e32 vcc, 48, v89
	v_cndmask_b32_e64 v25, 0, 1, vcc
	v_lshlrev_b32_e32 v25, 4, v25
	v_add_lshl_u32 v97, v25, v80, 2
	ds_bpermute_b32 v25, v97, v2
	ds_bpermute_b32 v26, v97, v3
	v_cmp_gt_u32_e32 vcc, v98, v5
	s_waitcnt lgkmcnt(1)
	v_add_u32_e32 v25, v2, v25
	s_waitcnt lgkmcnt(0)
	v_add_u32_e32 v26, v3, v26
	v_cndmask_b32_e32 v3, v26, v3, vcc
	v_cndmask_b32_e32 v2, v25, v2, vcc
	v_cmp_gt_u32_e32 vcc, 32, v89
	v_cndmask_b32_e64 v25, 0, 1, vcc
	v_lshlrev_b32_e32 v25, 5, v25
	v_add_lshl_u32 v99, v25, v80, 2
	ds_bpermute_b32 v25, v99, v2
	ds_bpermute_b32 v26, v99, v3
	v_cmp_le_u32_e32 vcc, v100, v5
	s_waitcnt lgkmcnt(1)
	v_cndmask_b32_e32 v5, 0, v25, vcc
	s_waitcnt lgkmcnt(0)
	v_cndmask_b32_e32 v25, 0, v26, vcc
	v_add_u32_e32 v3, v3, v25
	v_add_u32_e32 v2, v2, v5
	v_mov_b32_e32 v25, 0
	s_branch .LBB1778_104
.LBB1778_103:                           ;   in Loop: Header=BB1778_104 Depth=1
	s_or_b64 exec, exec, s[14:15]
	v_cmp_eq_u16_sdwa s[14:15], v4, v88 src0_sel:BYTE_0 src1_sel:DWORD
	v_and_b32_e32 v5, s15, v7
	ds_bpermute_b32 v29, v90, v2
	ds_bpermute_b32 v101, v90, v3
	v_or_b32_e32 v5, 0x80000000, v5
	v_and_b32_e32 v28, s14, v6
	v_ffbl_b32_e32 v5, v5
	v_add_u32_e32 v5, 32, v5
	v_ffbl_b32_e32 v28, v28
	v_min_u32_e32 v5, v28, v5
	s_waitcnt lgkmcnt(1)
	v_add_u32_e32 v28, v29, v2
	s_waitcnt lgkmcnt(0)
	v_add_u32_e32 v29, v101, v3
	v_cmp_lt_u32_e32 vcc, v89, v5
	v_cndmask_b32_e32 v3, v3, v29, vcc
	v_cndmask_b32_e32 v2, v2, v28, vcc
	ds_bpermute_b32 v28, v91, v2
	ds_bpermute_b32 v29, v91, v3
	v_cmp_gt_u32_e32 vcc, v92, v5
	v_subrev_u32_e32 v24, 64, v24
	s_waitcnt lgkmcnt(1)
	v_add_u32_e32 v28, v2, v28
	s_waitcnt lgkmcnt(0)
	v_add_u32_e32 v29, v3, v29
	v_cndmask_b32_e32 v3, v29, v3, vcc
	v_cndmask_b32_e32 v2, v28, v2, vcc
	ds_bpermute_b32 v28, v93, v2
	ds_bpermute_b32 v29, v93, v3
	v_cmp_gt_u32_e32 vcc, v94, v5
	s_waitcnt lgkmcnt(1)
	v_add_u32_e32 v28, v2, v28
	s_waitcnt lgkmcnt(0)
	v_add_u32_e32 v29, v3, v29
	v_cndmask_b32_e32 v3, v29, v3, vcc
	v_cndmask_b32_e32 v2, v28, v2, vcc
	ds_bpermute_b32 v28, v95, v2
	ds_bpermute_b32 v29, v95, v3
	v_cmp_gt_u32_e32 vcc, v96, v5
	;; [unrolled: 9-line block ×3, first 2 shown]
	s_waitcnt lgkmcnt(1)
	v_add_u32_e32 v28, v2, v28
	s_waitcnt lgkmcnt(0)
	v_add_u32_e32 v29, v3, v29
	v_cndmask_b32_e32 v3, v29, v3, vcc
	v_cndmask_b32_e32 v2, v28, v2, vcc
	ds_bpermute_b32 v28, v99, v2
	ds_bpermute_b32 v29, v99, v3
	v_cmp_le_u32_e32 vcc, v100, v5
	s_waitcnt lgkmcnt(1)
	v_cndmask_b32_e32 v5, 0, v28, vcc
	s_waitcnt lgkmcnt(0)
	v_cndmask_b32_e32 v28, 0, v29, vcc
	v_add3_u32 v3, v28, v27, v3
	v_add3_u32 v2, v5, v26, v2
.LBB1778_104:                           ; =>This Loop Header: Depth=1
                                        ;     Child Loop BB1778_107 Depth 2
	v_cmp_ne_u16_sdwa s[14:15], v4, v88 src0_sel:BYTE_0 src1_sel:DWORD
	v_cndmask_b32_e64 v4, 0, 1, s[14:15]
	;;#ASMSTART
	;;#ASMEND
	v_cmp_ne_u32_e32 vcc, 0, v4
	s_cmp_lg_u64 vcc, exec
	v_pk_mov_b32 v[26:27], v[2:3], v[2:3] op_sel:[0,1]
	s_cbranch_scc1 .LBB1778_109
; %bb.105:                              ;   in Loop: Header=BB1778_104 Depth=1
	v_lshlrev_b64 v[2:3], 4, v[24:25]
	v_mov_b32_e32 v4, s13
	v_add_co_u32_e32 v28, vcc, s12, v2
	v_addc_co_u32_e32 v29, vcc, v4, v3, vcc
	;;#ASMSTART
	global_load_dwordx4 v[2:5], v[28:29] off glc	
s_waitcnt vmcnt(0)
	;;#ASMEND
	v_and_b32_e32 v5, 0xff, v3
	v_and_b32_e32 v101, 0xff00, v3
	v_or3_b32 v5, 0, v5, v101
	v_or3_b32 v2, v2, 0, 0
	v_and_b32_e32 v101, 0xff000000, v3
	v_and_b32_e32 v3, 0xff0000, v3
	v_or3_b32 v3, v5, v3, v101
	v_or3_b32 v2, v2, 0, 0
	v_cmp_eq_u16_sdwa s[16:17], v4, v25 src0_sel:BYTE_0 src1_sel:DWORD
	s_and_saveexec_b64 s[14:15], s[16:17]
	s_cbranch_execz .LBB1778_103
; %bb.106:                              ;   in Loop: Header=BB1778_104 Depth=1
	s_mov_b64 s[16:17], 0
.LBB1778_107:                           ;   Parent Loop BB1778_104 Depth=1
                                        ; =>  This Inner Loop Header: Depth=2
	;;#ASMSTART
	global_load_dwordx4 v[2:5], v[28:29] off glc	
s_waitcnt vmcnt(0)
	;;#ASMEND
	v_cmp_ne_u16_sdwa s[20:21], v4, v25 src0_sel:BYTE_0 src1_sel:DWORD
	s_or_b64 s[16:17], s[20:21], s[16:17]
	s_andn2_b64 exec, exec, s[16:17]
	s_cbranch_execnz .LBB1778_107
; %bb.108:                              ;   in Loop: Header=BB1778_104 Depth=1
	s_or_b64 exec, exec, s[16:17]
	s_branch .LBB1778_103
.LBB1778_109:                           ;   in Loop: Header=BB1778_104 Depth=1
                                        ; implicit-def: $vgpr4
                                        ; implicit-def: $vgpr2_vgpr3
	s_cbranch_execz .LBB1778_104
; %bb.110:
	s_and_saveexec_b64 s[14:15], s[8:9]
	s_cbranch_execz .LBB1778_112
; %bb.111:
	s_add_i32 s6, s6, 64
	s_mov_b32 s7, 0
	v_add_u32_e32 v3, v27, v23
	s_lshl_b64 s[6:7], s[6:7], 4
	s_add_u32 s6, s12, s6
	v_and_b32_e32 v4, 0xff000000, v3
	v_and_b32_e32 v6, 0xff0000, v3
	s_addc_u32 s7, s13, s7
	v_or_b32_e32 v4, v6, v4
	v_and_b32_e32 v6, 0xff00, v3
	v_and_b32_e32 v3, 0xff, v3
	v_add_u32_e32 v2, v26, v22
	v_mov_b32_e32 v5, 0
	v_or3_b32 v3, v4, v6, v3
	v_mov_b32_e32 v4, 2
	v_pk_mov_b32 v[6:7], s[6:7], s[6:7] op_sel:[0,1]
	;;#ASMSTART
	global_store_dwordx4 v[6:7], v[2:5] off	
s_waitcnt vmcnt(0)
	;;#ASMEND
	s_movk_i32 s6, 0x3400
	v_add_u32_e64 v2, s6, 0
	ds_write2_b32 v2, v22, v23 offset1:2
	ds_write2_b32 v2, v26, v27 offset0:4 offset1:6
.LBB1778_112:
	s_or_b64 exec, exec, s[14:15]
	v_cmp_eq_u32_e32 vcc, 0, v0
	s_and_b64 exec, exec, vcc
	s_cbranch_execz .LBB1778_114
; %bb.113:
	v_mov_b32_e32 v2, 0
	ds_write_b64 v2, v[26:27] offset:24
.LBB1778_114:
	s_or_b64 exec, exec, s[10:11]
	v_mov_b32_e32 v2, 0
	s_waitcnt lgkmcnt(0)
	s_barrier
	ds_read_b64 v[6:7], v2 offset:24
	s_movk_i32 s6, 0x3400
	v_cndmask_b32_e64 v2, v87, v21, s[8:9]
	v_cndmask_b32_e64 v1, v1, v20, s[8:9]
	v_add_u32_e64 v4, s6, 0
	s_waitcnt lgkmcnt(0)
	v_add_u32_e32 v20, v6, v1
	v_add_u32_e32 v1, v7, v2
	s_barrier
	ds_read2_b32 v[2:3], v4 offset1:2
	ds_read2_b32 v[4:5], v4 offset0:4 offset1:6
	v_cmp_eq_u32_e32 vcc, 0, v0
	v_cndmask_b32_e32 v1, v1, v7, vcc
	v_cndmask_b32_e32 v20, v20, v6, vcc
	s_branch .LBB1778_125
.LBB1778_115:
                                        ; implicit-def: $vgpr1
                                        ; implicit-def: $vgpr4
                                        ; implicit-def: $vgpr2
                                        ; implicit-def: $vgpr20_vgpr21
	s_cbranch_execz .LBB1778_125
; %bb.116:
	s_nop 0
	v_mov_b32_dpp v1, v85 row_shr:1 row_mask:0xf bank_mask:0xf
	s_waitcnt lgkmcnt(0)
	v_mov_b32_dpp v2, v86 row_shr:1 row_mask:0xf bank_mask:0xf
	v_add_u32_e32 v1, v1, v85
	v_add_u32_e32 v2, v2, v86
	v_cndmask_b32_e64 v2, v2, v86, s[4:5]
	v_cndmask_b32_e64 v1, v1, v85, s[4:5]
	v_cmp_lt_u32_e32 vcc, 3, v84
	v_mov_b32_dpp v4, v2 row_shr:2 row_mask:0xf bank_mask:0xf
	v_mov_b32_dpp v3, v1 row_shr:2 row_mask:0xf bank_mask:0xf
	v_add_u32_e32 v3, v1, v3
	v_add_u32_e32 v4, v2, v4
	v_cndmask_b32_e64 v2, v2, v4, s[2:3]
	v_cndmask_b32_e64 v1, v1, v3, s[2:3]
	s_nop 0
	v_mov_b32_dpp v4, v2 row_shr:4 row_mask:0xf bank_mask:0xf
	v_mov_b32_dpp v3, v1 row_shr:4 row_mask:0xf bank_mask:0xf
	v_add_u32_e32 v3, v1, v3
	v_add_u32_e32 v4, v2, v4
	v_cndmask_b32_e32 v2, v2, v4, vcc
	v_cndmask_b32_e32 v1, v1, v3, vcc
	v_cmp_lt_u32_e32 vcc, 7, v84
	v_mov_b32_dpp v4, v2 row_shr:8 row_mask:0xf bank_mask:0xf
	v_mov_b32_dpp v3, v1 row_shr:8 row_mask:0xf bank_mask:0xf
	v_add_u32_e32 v3, v1, v3
	v_add_u32_e32 v4, v2, v4
	v_cndmask_b32_e32 v2, v2, v4, vcc
	v_cndmask_b32_e32 v1, v1, v3, vcc
	v_cmp_eq_u32_e32 vcc, 0, v83
	v_mov_b32_dpp v4, v2 row_bcast:15 row_mask:0xf bank_mask:0xf
	v_mov_b32_dpp v3, v1 row_bcast:15 row_mask:0xf bank_mask:0xf
	v_add_u32_e32 v3, v1, v3
	v_add_u32_e32 v4, v2, v4
	v_cndmask_b32_e32 v2, v4, v2, vcc
	v_cndmask_b32_e32 v1, v3, v1, vcc
	v_cmp_lt_u32_e32 vcc, 31, v80
	v_mov_b32_dpp v4, v2 row_bcast:31 row_mask:0xf bank_mask:0xf
	v_mov_b32_dpp v3, v1 row_bcast:31 row_mask:0xf bank_mask:0xf
	v_add_u32_e32 v4, v2, v4
	v_add_u32_e32 v5, v1, v3
	v_cndmask_b32_e32 v3, v2, v4, vcc
	v_cndmask_b32_e32 v2, v1, v5, vcc
	v_cmp_eq_u32_e32 vcc, v82, v0
	s_and_saveexec_b64 s[2:3], vcc
	s_cbranch_execz .LBB1778_118
; %bb.117:
	v_lshlrev_b32_e32 v1, 3, v81
	ds_write_b64 v1, v[2:3]
.LBB1778_118:
	s_or_b64 exec, exec, s[2:3]
	v_cmp_gt_u32_e32 vcc, 4, v0
	s_waitcnt lgkmcnt(0)
	s_barrier
	s_and_saveexec_b64 s[2:3], vcc
	s_cbranch_execz .LBB1778_120
; %bb.119:
	v_lshlrev_b32_e32 v1, 3, v0
	ds_read_b64 v[4:5], v1
	v_and_b32_e32 v6, 3, v80
	v_cmp_eq_u32_e32 vcc, 0, v6
	s_waitcnt lgkmcnt(0)
	v_mov_b32_dpp v7, v4 row_shr:1 row_mask:0xf bank_mask:0xf
	v_mov_b32_dpp v20, v5 row_shr:1 row_mask:0xf bank_mask:0xf
	v_add_u32_e32 v7, v7, v4
	v_add_u32_e32 v20, v20, v5
	v_cndmask_b32_e32 v5, v20, v5, vcc
	v_cndmask_b32_e32 v4, v7, v4, vcc
	v_cmp_lt_u32_e32 vcc, 1, v6
	v_mov_b32_dpp v20, v5 row_shr:2 row_mask:0xf bank_mask:0xf
	v_mov_b32_dpp v7, v4 row_shr:2 row_mask:0xf bank_mask:0xf
	v_cndmask_b32_e32 v6, 0, v7, vcc
	v_cndmask_b32_e32 v7, 0, v20, vcc
	v_add_u32_e32 v5, v7, v5
	v_add_u32_e32 v4, v6, v4
	ds_write_b64 v1, v[4:5]
.LBB1778_120:
	s_or_b64 exec, exec, s[2:3]
	v_cmp_lt_u32_e32 vcc, 63, v0
	v_mov_b32_e32 v4, 0
	v_mov_b32_e32 v6, 0
	;; [unrolled: 1-line block ×3, first 2 shown]
	s_waitcnt lgkmcnt(0)
	s_barrier
	s_and_saveexec_b64 s[2:3], vcc
	s_cbranch_execz .LBB1778_122
; %bb.121:
	v_lshl_add_u32 v1, v81, 3, -8
	ds_read_b64 v[6:7], v1
.LBB1778_122:
	s_or_b64 exec, exec, s[2:3]
	s_waitcnt lgkmcnt(0)
	v_add_u32_e32 v5, v7, v3
	v_add_u32_e32 v1, v6, v2
	v_add_u32_e32 v2, -1, v80
	v_and_b32_e32 v3, 64, v80
	v_cmp_lt_i32_e32 vcc, v2, v3
	v_cndmask_b32_e32 v2, v2, v80, vcc
	v_lshlrev_b32_e32 v20, 2, v2
	ds_read_b64 v[2:3], v4 offset:24
	ds_bpermute_b32 v1, v20, v1
	ds_bpermute_b32 v20, v20, v5
	v_cmp_eq_u32_e32 vcc, 0, v0
	s_waitcnt lgkmcnt(2)
	v_readfirstlane_b32 s4, v3
	s_and_saveexec_b64 s[2:3], vcc
	s_cbranch_execz .LBB1778_124
; %bb.123:
	s_add_u32 s6, s12, 0x400
	s_mov_b32 s8, 0
	s_addc_u32 s7, s13, 0
	s_and_b32 s9, s4, 0xff000000
	s_and_b32 s11, s4, 0xff0000
	s_mov_b32 s10, s8
	s_or_b64 s[10:11], s[10:11], s[8:9]
	s_and_b32 s9, s4, 0xff00
	s_or_b64 s[10:11], s[10:11], s[8:9]
	s_and_b32 s9, s4, 0xff
	s_or_b64 s[8:9], s[10:11], s[8:9]
	v_mov_b32_e32 v3, s9
	v_mov_b32_e32 v4, 2
	v_mov_b32_e32 v5, 0
	v_pk_mov_b32 v[22:23], s[6:7], s[6:7] op_sel:[0,1]
	;;#ASMSTART
	global_store_dwordx4 v[22:23], v[2:5] off	
s_waitcnt vmcnt(0)
	;;#ASMEND
.LBB1778_124:
	s_or_b64 exec, exec, s[2:3]
	v_cmp_eq_u32_e64 s[2:3], 0, v80
	s_waitcnt lgkmcnt(1)
	v_cndmask_b32_e64 v3, v1, v6, s[2:3]
	s_waitcnt lgkmcnt(0)
	v_cndmask_b32_e64 v1, v20, v7, s[2:3]
	v_mov_b32_e32 v4, 0
	v_cndmask_b32_e64 v1, v1, 0, vcc
	v_cndmask_b32_e64 v20, v3, 0, vcc
	s_barrier
	v_mov_b32_e32 v3, s4
	v_mov_b32_e32 v5, 0
.LBB1778_125:
	v_add_u32_e32 v24, v1, v63
	v_add_u32_e32 v25, v24, v74
	;; [unrolled: 1-line block ×14, first 2 shown]
	v_mov_b32_e32 v7, s49
	s_waitcnt lgkmcnt(0)
	v_add_co_u32_e32 v6, vcc, s48, v4
	v_add_u32_e32 v64, v58, v68
	v_add_u32_e32 v68, v66, v71
	v_addc_co_u32_e32 v7, vcc, 0, v7, vcc
	v_add_u32_e32 v69, v68, v78
	v_mov_b32_e32 v22, s51
	v_sub_co_u32_e32 v23, vcc, s50, v2
	v_add_u32_e32 v71, v69, v73
	v_subbrev_co_u32_e32 v73, vcc, 0, v22, vcc
	v_add_co_u32_e32 v22, vcc, v23, v5
	v_addc_co_u32_e32 v23, vcc, 0, v73, vcc
	v_lshlrev_b32_e32 v73, 1, v2
	v_sub_u32_e32 v1, v1, v5
	v_add_u32_e32 v74, v73, v3
	v_sub_u32_e32 v20, v20, v4
	v_add_u32_e32 v1, v1, v2
	v_add_u32_e32 v31, v74, v31
	v_and_b32_e32 v33, 1, v33
	v_add_u32_e32 v74, v20, v1
	v_and_b32_e32 v32, 1, v32
	v_sub_u32_e32 v74, v31, v74
	v_cmp_eq_u32_e32 vcc, 1, v33
	v_cndmask_b32_e32 v1, v74, v1, vcc
	v_cmp_eq_u32_e32 vcc, 1, v32
	v_cndmask_b32_e32 v1, v1, v20, vcc
	v_lshlrev_b32_e32 v1, 2, v1
	v_sub_u32_e32 v20, v24, v5
	ds_write_b32 v1, v18
	v_sub_u32_e32 v1, v21, v4
	v_add_u32_e32 v20, v20, v2
	v_add_u32_e32 v24, v20, v1
	v_and_b32_e32 v21, 1, v35
	v_sub_u32_e32 v24, v31, v24
	v_and_b32_e32 v18, 1, v34
	v_add_u32_e32 v24, 1, v24
	v_cmp_eq_u32_e32 vcc, 1, v21
	v_cndmask_b32_e32 v20, v24, v20, vcc
	v_cmp_eq_u32_e32 vcc, 1, v18
	v_cndmask_b32_e32 v1, v20, v1, vcc
	v_lshlrev_b32_e32 v1, 2, v1
	ds_write_b32 v1, v19
	v_sub_u32_e32 v19, v25, v5
	v_sub_u32_e32 v1, v26, v4
	v_add_u32_e32 v19, v19, v2
	v_add_u32_e32 v21, v19, v1
	v_and_b32_e32 v20, 1, v37
	v_sub_u32_e32 v21, v31, v21
	v_and_b32_e32 v18, 1, v36
	v_add_u32_e32 v21, 2, v21
	v_cmp_eq_u32_e32 vcc, 1, v20
	v_cndmask_b32_e32 v19, v21, v19, vcc
	v_cmp_eq_u32_e32 vcc, 1, v18
	v_cndmask_b32_e32 v1, v19, v1, vcc
	v_lshlrev_b32_e32 v1, 2, v1
	v_sub_u32_e32 v18, v28, v5
	ds_write_b32 v1, v16
	v_sub_u32_e32 v1, v27, v4
	v_add_u32_e32 v18, v18, v2
	v_add_u32_e32 v20, v1, v18
	v_and_b32_e32 v19, 1, v38
	v_sub_u32_e32 v20, v31, v20
	v_and_b32_e32 v16, 1, v39
	v_add_u32_e32 v20, 3, v20
	v_cmp_eq_u32_e32 vcc, 1, v19
	v_cndmask_b32_e32 v18, v20, v18, vcc
	v_cmp_eq_u32_e32 vcc, 1, v16
	v_cndmask_b32_e32 v1, v18, v1, vcc
	v_lshlrev_b32_e32 v1, 2, v1
	ds_write_b32 v1, v17
	v_sub_u32_e32 v17, v29, v5
	v_sub_u32_e32 v1, v56, v4
	v_add_u32_e32 v17, v17, v2
	v_add_u32_e32 v19, v1, v17
	v_and_b32_e32 v18, 1, v40
	v_sub_u32_e32 v19, v31, v19
	v_and_b32_e32 v16, 1, v41
	v_add_u32_e32 v19, 4, v19
	;; [unrolled: 28-line block ×3, first 2 shown]
	v_cmp_eq_u32_e32 vcc, 1, v16
	v_cndmask_b32_e32 v15, v17, v15, vcc
	v_cmp_eq_u32_e32 vcc, 1, v14
	v_cndmask_b32_e32 v1, v15, v1, vcc
	v_lshlrev_b32_e32 v1, 2, v1
	v_sub_u32_e32 v14, v65, v5
	ds_write_b32 v1, v12
	v_sub_u32_e32 v1, v64, v4
	v_add_u32_e32 v14, v14, v2
	v_add_u32_e32 v16, v1, v14
	v_and_b32_e32 v15, 1, v46
	v_sub_u32_e32 v16, v31, v16
	v_and_b32_e32 v12, 1, v47
	v_add_u32_e32 v16, 7, v16
	v_cmp_eq_u32_e32 vcc, 1, v15
	v_cndmask_b32_e32 v14, v16, v14, vcc
	v_cmp_eq_u32_e32 vcc, 1, v12
	v_cndmask_b32_e32 v1, v14, v1, vcc
	v_lshlrev_b32_e32 v1, 2, v1
	v_add_u32_e32 v59, v64, v59
	ds_write_b32 v1, v13
	v_sub_u32_e32 v13, v66, v5
	v_sub_u32_e32 v1, v59, v4
	v_add_u32_e32 v13, v13, v2
	v_add_u32_e32 v15, v1, v13
	v_and_b32_e32 v14, 1, v48
	v_sub_u32_e32 v15, v31, v15
	v_and_b32_e32 v12, 1, v49
	v_add_u32_e32 v15, 8, v15
	v_cmp_eq_u32_e32 vcc, 1, v14
	v_cndmask_b32_e32 v13, v15, v13, vcc
	v_cmp_eq_u32_e32 vcc, 1, v12
	v_cndmask_b32_e32 v1, v13, v1, vcc
	v_add_u32_e32 v67, v59, v70
	v_lshlrev_b32_e32 v1, 2, v1
	v_sub_u32_e32 v12, v68, v5
	ds_write_b32 v1, v10
	v_sub_u32_e32 v1, v67, v4
	v_add_u32_e32 v12, v12, v2
	v_add_u32_e32 v14, v1, v12
	v_and_b32_e32 v13, 1, v50
	v_sub_u32_e32 v14, v31, v14
	v_and_b32_e32 v10, 1, v51
	v_add_u32_e32 v14, 9, v14
	v_cmp_eq_u32_e32 vcc, 1, v13
	v_cndmask_b32_e32 v12, v14, v12, vcc
	v_cmp_eq_u32_e32 vcc, 1, v10
	v_cndmask_b32_e32 v1, v12, v1, vcc
	v_lshlrev_b32_e32 v1, 2, v1
	v_add_u32_e32 v60, v67, v60
	ds_write_b32 v1, v11
	v_sub_u32_e32 v11, v69, v5
	v_sub_u32_e32 v1, v60, v4
	v_add_u32_e32 v11, v11, v2
	v_add_u32_e32 v13, v1, v11
	v_and_b32_e32 v12, 1, v52
	v_sub_u32_e32 v13, v31, v13
	v_and_b32_e32 v10, 1, v53
	v_add_u32_e32 v13, 10, v13
	v_cmp_eq_u32_e32 vcc, 1, v12
	v_cndmask_b32_e32 v11, v13, v11, vcc
	v_cmp_eq_u32_e32 vcc, 1, v10
	v_cndmask_b32_e32 v1, v11, v1, vcc
	v_add_u32_e32 v70, v60, v72
	v_lshlrev_b32_e32 v1, 2, v1
	v_sub_u32_e32 v10, v71, v5
	ds_write_b32 v1, v8
	v_sub_u32_e32 v1, v70, v4
	v_add_u32_e32 v10, v10, v2
	v_add_u32_e32 v12, v1, v10
	v_and_b32_e32 v11, 1, v54
	v_sub_u32_e32 v12, v31, v12
	v_and_b32_e32 v8, 1, v55
	v_add_u32_e32 v12, 11, v12
	v_cmp_eq_u32_e32 vcc, 1, v11
	v_cndmask_b32_e32 v10, v12, v10, vcc
	v_cmp_eq_u32_e32 vcc, 1, v8
	v_cndmask_b32_e32 v1, v10, v1, vcc
	v_add_u32_e32 v72, v71, v79
	v_add_u32_e32 v61, v70, v61
	v_lshlrev_b32_e32 v1, 2, v1
	ds_write_b32 v1, v9
	v_sub_u32_e32 v1, v61, v4
	v_sub_u32_e32 v4, v72, v5
	v_add_u32_e32 v4, v4, v2
	v_add_u32_e32 v8, v1, v4
	v_sub_u32_e32 v8, v31, v8
	v_add_u32_e32 v8, 12, v8
	v_cndmask_b32_e64 v4, v8, v4, s[58:59]
	v_cndmask_b32_e64 v1, v4, v1, s[46:47]
	v_lshlrev_b32_e32 v1, 2, v1
	ds_write_b32 v1, v30
	v_add_co_u32_e32 v1, vcc, v3, v73
	v_addc_co_u32_e64 v4, s[2:3], 0, 0, vcc
	v_add_co_u32_e32 v1, vcc, v1, v22
	v_addc_co_u32_e32 v4, vcc, v4, v23, vcc
	s_add_u32 s4, s56, s33
	v_add_co_u32_e32 v1, vcc, v1, v6
	s_addc_u32 s5, s57, 0
	v_addc_co_u32_e32 v4, vcc, v4, v7, vcc
	v_mov_b32_e32 v8, s5
	v_sub_co_u32_e32 v1, vcc, s4, v1
	v_subb_co_u32_e32 v4, vcc, v8, v4, vcc
	v_lshlrev_b64 v[8:9], 2, v[22:23]
	v_mov_b32_e32 v10, s55
	v_add_co_u32_e32 v8, vcc, s54, v8
	v_addc_co_u32_e32 v9, vcc, v10, v9, vcc
	v_lshlrev_b64 v[10:11], 2, v[6:7]
	v_mov_b32_e32 v13, s53
	v_add_co_u32_e32 v10, vcc, s52, v10
	s_add_u32 s6, s34, -4
	v_addc_co_u32_e32 v11, vcc, v13, v11, vcc
	s_addc_u32 s7, s35, -1
	v_add_u32_e32 v12, v2, v3
	s_and_b64 vcc, exec, s[0:1]
	s_mov_b64 s[0:1], -1
	s_waitcnt lgkmcnt(0)
	s_barrier
	s_cbranch_vccz .LBB1778_129
; %bb.126:
	s_and_b64 vcc, exec, s[0:1]
	s_cbranch_vccnz .LBB1778_234
.LBB1778_127:
	v_cmp_eq_u32_e32 vcc, 0, v0
	s_and_b64 s[0:1], vcc, s[30:31]
	s_and_saveexec_b64 s[2:3], s[0:1]
	s_cbranch_execnz .LBB1778_352
.LBB1778_128:
	s_endpgm
.LBB1778_129:
	v_cmp_le_u32_e32 vcc, v2, v0
	s_and_saveexec_b64 s[0:1], vcc
	s_xor_b64 s[0:1], exec, s[0:1]
	s_cbranch_execz .LBB1778_135
; %bb.130:
	v_cmp_le_u32_e32 vcc, v12, v0
	s_and_saveexec_b64 s[2:3], vcc
	s_xor_b64 s[2:3], exec, s[2:3]
	s_cbranch_execz .LBB1778_132
; %bb.131:
	v_lshlrev_b32_e32 v13, 2, v0
	v_add_co_u32_e32 v14, vcc, v1, v0
	ds_read_b32 v13, v13
	v_addc_co_u32_e32 v15, vcc, 0, v4, vcc
	v_lshlrev_b64 v[14:15], 2, v[14:15]
	v_mov_b32_e32 v16, s35
	v_sub_co_u32_e32 v14, vcc, s34, v14
	v_subb_co_u32_e32 v15, vcc, v16, v15, vcc
	s_waitcnt lgkmcnt(0)
	global_store_dword v[14:15], v13, off offset:-4
.LBB1778_132:
	s_andn2_saveexec_b64 s[2:3], s[2:3]
	s_cbranch_execz .LBB1778_134
; %bb.133:
	v_lshlrev_b32_e32 v13, 2, v0
	ds_read_b32 v14, v13
	v_readfirstlane_b32 s4, v8
	v_readfirstlane_b32 s5, v9
	s_waitcnt lgkmcnt(0)
	s_nop 3
	global_store_dword v13, v14, s[4:5]
.LBB1778_134:
	s_or_b64 exec, exec, s[2:3]
.LBB1778_135:
	s_andn2_saveexec_b64 s[0:1], s[0:1]
	s_cbranch_execz .LBB1778_137
; %bb.136:
	v_lshlrev_b32_e32 v13, 2, v0
	ds_read_b32 v14, v13
	v_readfirstlane_b32 s2, v10
	v_readfirstlane_b32 s3, v11
	s_waitcnt lgkmcnt(0)
	s_nop 3
	global_store_dword v13, v14, s[2:3]
.LBB1778_137:
	s_or_b64 exec, exec, s[0:1]
	v_or_b32_e32 v13, 0x100, v0
	v_cmp_le_u32_e32 vcc, v2, v13
	s_and_saveexec_b64 s[0:1], vcc
	s_xor_b64 s[0:1], exec, s[0:1]
	s_cbranch_execz .LBB1778_143
; %bb.138:
	v_cmp_le_u32_e32 vcc, v12, v13
	s_and_saveexec_b64 s[2:3], vcc
	s_xor_b64 s[2:3], exec, s[2:3]
	s_cbranch_execz .LBB1778_140
; %bb.139:
	v_lshlrev_b32_e32 v13, 2, v0
	ds_read_b32 v13, v13 offset:1024
	v_add_co_u32_e32 v14, vcc, v1, v0
	v_addc_co_u32_e32 v15, vcc, 0, v4, vcc
	v_lshlrev_b64 v[14:15], 2, v[14:15]
	v_mov_b32_e32 v16, s7
	v_sub_co_u32_e32 v14, vcc, s6, v14
	v_subb_co_u32_e32 v15, vcc, v16, v15, vcc
	s_waitcnt lgkmcnt(0)
	global_store_dword v[14:15], v13, off offset:-1024
.LBB1778_140:
	s_andn2_saveexec_b64 s[2:3], s[2:3]
	s_cbranch_execz .LBB1778_142
; %bb.141:
	v_lshlrev_b32_e32 v13, 2, v0
	ds_read_b32 v14, v13 offset:1024
	v_readfirstlane_b32 s4, v8
	v_readfirstlane_b32 s5, v9
	s_waitcnt lgkmcnt(0)
	s_nop 3
	global_store_dword v13, v14, s[4:5] offset:1024
.LBB1778_142:
	s_or_b64 exec, exec, s[2:3]
.LBB1778_143:
	s_andn2_saveexec_b64 s[0:1], s[0:1]
	s_cbranch_execz .LBB1778_145
; %bb.144:
	v_lshlrev_b32_e32 v13, 2, v0
	ds_read_b32 v14, v13 offset:1024
	v_readfirstlane_b32 s2, v10
	v_readfirstlane_b32 s3, v11
	s_waitcnt lgkmcnt(0)
	s_nop 3
	global_store_dword v13, v14, s[2:3] offset:1024
.LBB1778_145:
	s_or_b64 exec, exec, s[0:1]
	v_or_b32_e32 v13, 0x200, v0
	v_cmp_le_u32_e32 vcc, v2, v13
	s_and_saveexec_b64 s[0:1], vcc
	s_xor_b64 s[0:1], exec, s[0:1]
	s_cbranch_execz .LBB1778_151
; %bb.146:
	v_cmp_le_u32_e32 vcc, v12, v13
	s_and_saveexec_b64 s[2:3], vcc
	s_xor_b64 s[2:3], exec, s[2:3]
	s_cbranch_execz .LBB1778_148
; %bb.147:
	v_lshlrev_b32_e32 v13, 2, v0
	ds_read_b32 v13, v13 offset:2048
	v_add_co_u32_e32 v14, vcc, v1, v0
	v_addc_co_u32_e32 v15, vcc, 0, v4, vcc
	v_lshlrev_b64 v[14:15], 2, v[14:15]
	v_mov_b32_e32 v16, s7
	v_sub_co_u32_e32 v14, vcc, s6, v14
	v_subb_co_u32_e32 v15, vcc, v16, v15, vcc
	s_waitcnt lgkmcnt(0)
	global_store_dword v[14:15], v13, off offset:-2048
.LBB1778_148:
	s_andn2_saveexec_b64 s[2:3], s[2:3]
	s_cbranch_execz .LBB1778_150
; %bb.149:
	v_lshlrev_b32_e32 v13, 2, v0
	ds_read_b32 v14, v13 offset:2048
	v_readfirstlane_b32 s4, v8
	v_readfirstlane_b32 s5, v9
	s_waitcnt lgkmcnt(0)
	s_nop 3
	global_store_dword v13, v14, s[4:5] offset:2048
.LBB1778_150:
	s_or_b64 exec, exec, s[2:3]
.LBB1778_151:
	s_andn2_saveexec_b64 s[0:1], s[0:1]
	s_cbranch_execz .LBB1778_153
; %bb.152:
	v_lshlrev_b32_e32 v13, 2, v0
	ds_read_b32 v14, v13 offset:2048
	v_readfirstlane_b32 s2, v10
	v_readfirstlane_b32 s3, v11
	s_waitcnt lgkmcnt(0)
	s_nop 3
	global_store_dword v13, v14, s[2:3] offset:2048
.LBB1778_153:
	;; [unrolled: 47-line block ×3, first 2 shown]
	s_or_b64 exec, exec, s[0:1]
	v_or_b32_e32 v13, 0x400, v0
	v_cmp_le_u32_e32 vcc, v2, v13
	s_and_saveexec_b64 s[0:1], vcc
	s_xor_b64 s[0:1], exec, s[0:1]
	s_cbranch_execz .LBB1778_167
; %bb.162:
	v_cmp_le_u32_e32 vcc, v12, v13
	s_and_saveexec_b64 s[2:3], vcc
	s_xor_b64 s[2:3], exec, s[2:3]
	s_cbranch_execz .LBB1778_164
; %bb.163:
	v_lshlrev_b32_e32 v13, 2, v0
	ds_read_b32 v13, v13 offset:4096
	v_add_co_u32_e32 v14, vcc, v1, v0
	v_addc_co_u32_e32 v15, vcc, 0, v4, vcc
	v_lshlrev_b64 v[14:15], 2, v[14:15]
	v_mov_b32_e32 v16, s7
	v_sub_co_u32_e32 v14, vcc, s6, v14
	v_subb_co_u32_e32 v15, vcc, v16, v15, vcc
	s_waitcnt lgkmcnt(0)
	global_store_dword v[14:15], v13, off offset:-4096
                                        ; implicit-def: $vgpr13
.LBB1778_164:
	s_andn2_saveexec_b64 s[2:3], s[2:3]
	s_cbranch_execz .LBB1778_166
; %bb.165:
	v_lshlrev_b32_e32 v14, 2, v0
	ds_read_b32 v14, v14 offset:4096
	v_lshlrev_b32_e32 v13, 2, v13
	v_readfirstlane_b32 s4, v8
	v_readfirstlane_b32 s5, v9
	s_waitcnt lgkmcnt(0)
	s_nop 3
	global_store_dword v13, v14, s[4:5]
.LBB1778_166:
	s_or_b64 exec, exec, s[2:3]
                                        ; implicit-def: $vgpr13
.LBB1778_167:
	s_andn2_saveexec_b64 s[0:1], s[0:1]
	s_cbranch_execz .LBB1778_169
; %bb.168:
	v_lshlrev_b32_e32 v14, 2, v0
	ds_read_b32 v14, v14 offset:4096
	v_lshlrev_b32_e32 v13, 2, v13
	v_readfirstlane_b32 s2, v10
	v_readfirstlane_b32 s3, v11
	s_waitcnt lgkmcnt(0)
	s_nop 3
	global_store_dword v13, v14, s[2:3]
.LBB1778_169:
	s_or_b64 exec, exec, s[0:1]
	v_or_b32_e32 v13, 0x500, v0
	v_cmp_le_u32_e32 vcc, v2, v13
	s_and_saveexec_b64 s[0:1], vcc
	s_xor_b64 s[0:1], exec, s[0:1]
	s_cbranch_execz .LBB1778_175
; %bb.170:
	v_cmp_le_u32_e32 vcc, v12, v13
	s_and_saveexec_b64 s[2:3], vcc
	s_xor_b64 s[2:3], exec, s[2:3]
	s_cbranch_execz .LBB1778_172
; %bb.171:
	v_add_co_u32_e32 v14, vcc, v1, v13
	v_lshlrev_b32_e32 v13, 2, v0
	ds_read_b32 v13, v13 offset:5120
	v_addc_co_u32_e32 v15, vcc, 0, v4, vcc
	v_lshlrev_b64 v[14:15], 2, v[14:15]
	v_mov_b32_e32 v16, s7
	v_sub_co_u32_e32 v14, vcc, s6, v14
	v_subb_co_u32_e32 v15, vcc, v16, v15, vcc
	s_waitcnt lgkmcnt(0)
	global_store_dword v[14:15], v13, off
                                        ; implicit-def: $vgpr13
.LBB1778_172:
	s_andn2_saveexec_b64 s[2:3], s[2:3]
	s_cbranch_execz .LBB1778_174
; %bb.173:
	v_lshlrev_b32_e32 v14, 2, v0
	ds_read_b32 v14, v14 offset:5120
	v_lshlrev_b32_e32 v13, 2, v13
	v_readfirstlane_b32 s4, v8
	v_readfirstlane_b32 s5, v9
	s_waitcnt lgkmcnt(0)
	s_nop 3
	global_store_dword v13, v14, s[4:5]
.LBB1778_174:
	s_or_b64 exec, exec, s[2:3]
                                        ; implicit-def: $vgpr13
.LBB1778_175:
	s_andn2_saveexec_b64 s[0:1], s[0:1]
	s_cbranch_execz .LBB1778_177
; %bb.176:
	v_lshlrev_b32_e32 v14, 2, v0
	ds_read_b32 v14, v14 offset:5120
	v_lshlrev_b32_e32 v13, 2, v13
	v_readfirstlane_b32 s2, v10
	v_readfirstlane_b32 s3, v11
	s_waitcnt lgkmcnt(0)
	s_nop 3
	global_store_dword v13, v14, s[2:3]
.LBB1778_177:
	s_or_b64 exec, exec, s[0:1]
	v_or_b32_e32 v13, 0x600, v0
	v_cmp_le_u32_e32 vcc, v2, v13
	s_and_saveexec_b64 s[0:1], vcc
	s_xor_b64 s[0:1], exec, s[0:1]
	s_cbranch_execz .LBB1778_183
; %bb.178:
	v_cmp_le_u32_e32 vcc, v12, v13
	s_and_saveexec_b64 s[2:3], vcc
	s_xor_b64 s[2:3], exec, s[2:3]
	s_cbranch_execz .LBB1778_180
; %bb.179:
	v_add_co_u32_e32 v14, vcc, v1, v13
	v_lshlrev_b32_e32 v13, 2, v0
	ds_read_b32 v13, v13 offset:6144
	v_addc_co_u32_e32 v15, vcc, 0, v4, vcc
	v_lshlrev_b64 v[14:15], 2, v[14:15]
	v_mov_b32_e32 v16, s7
	v_sub_co_u32_e32 v14, vcc, s6, v14
	v_subb_co_u32_e32 v15, vcc, v16, v15, vcc
	s_waitcnt lgkmcnt(0)
	global_store_dword v[14:15], v13, off
                                        ; implicit-def: $vgpr13
.LBB1778_180:
	s_andn2_saveexec_b64 s[2:3], s[2:3]
	s_cbranch_execz .LBB1778_182
; %bb.181:
	v_lshlrev_b32_e32 v14, 2, v0
	ds_read_b32 v14, v14 offset:6144
	v_lshlrev_b32_e32 v13, 2, v13
	v_readfirstlane_b32 s4, v8
	v_readfirstlane_b32 s5, v9
	s_waitcnt lgkmcnt(0)
	s_nop 3
	global_store_dword v13, v14, s[4:5]
.LBB1778_182:
	s_or_b64 exec, exec, s[2:3]
                                        ; implicit-def: $vgpr13
.LBB1778_183:
	s_andn2_saveexec_b64 s[0:1], s[0:1]
	s_cbranch_execz .LBB1778_185
; %bb.184:
	v_lshlrev_b32_e32 v14, 2, v0
	ds_read_b32 v14, v14 offset:6144
	v_lshlrev_b32_e32 v13, 2, v13
	v_readfirstlane_b32 s2, v10
	v_readfirstlane_b32 s3, v11
	s_waitcnt lgkmcnt(0)
	s_nop 3
	global_store_dword v13, v14, s[2:3]
.LBB1778_185:
	s_or_b64 exec, exec, s[0:1]
	v_or_b32_e32 v13, 0x700, v0
	v_cmp_le_u32_e32 vcc, v2, v13
	s_and_saveexec_b64 s[0:1], vcc
	s_xor_b64 s[0:1], exec, s[0:1]
	s_cbranch_execz .LBB1778_191
; %bb.186:
	v_cmp_le_u32_e32 vcc, v12, v13
	s_and_saveexec_b64 s[2:3], vcc
	s_xor_b64 s[2:3], exec, s[2:3]
	s_cbranch_execz .LBB1778_188
; %bb.187:
	v_add_co_u32_e32 v14, vcc, v1, v13
	v_lshlrev_b32_e32 v13, 2, v0
	ds_read_b32 v13, v13 offset:7168
	v_addc_co_u32_e32 v15, vcc, 0, v4, vcc
	v_lshlrev_b64 v[14:15], 2, v[14:15]
	v_mov_b32_e32 v16, s7
	v_sub_co_u32_e32 v14, vcc, s6, v14
	v_subb_co_u32_e32 v15, vcc, v16, v15, vcc
	s_waitcnt lgkmcnt(0)
	global_store_dword v[14:15], v13, off
                                        ; implicit-def: $vgpr13
.LBB1778_188:
	s_andn2_saveexec_b64 s[2:3], s[2:3]
	s_cbranch_execz .LBB1778_190
; %bb.189:
	v_lshlrev_b32_e32 v14, 2, v0
	ds_read_b32 v14, v14 offset:7168
	v_lshlrev_b32_e32 v13, 2, v13
	v_readfirstlane_b32 s4, v8
	v_readfirstlane_b32 s5, v9
	s_waitcnt lgkmcnt(0)
	s_nop 3
	global_store_dword v13, v14, s[4:5]
.LBB1778_190:
	s_or_b64 exec, exec, s[2:3]
                                        ; implicit-def: $vgpr13
.LBB1778_191:
	s_andn2_saveexec_b64 s[0:1], s[0:1]
	s_cbranch_execz .LBB1778_193
; %bb.192:
	v_lshlrev_b32_e32 v14, 2, v0
	ds_read_b32 v14, v14 offset:7168
	v_lshlrev_b32_e32 v13, 2, v13
	v_readfirstlane_b32 s2, v10
	v_readfirstlane_b32 s3, v11
	s_waitcnt lgkmcnt(0)
	s_nop 3
	global_store_dword v13, v14, s[2:3]
.LBB1778_193:
	s_or_b64 exec, exec, s[0:1]
	v_or_b32_e32 v13, 0x800, v0
	v_cmp_le_u32_e32 vcc, v2, v13
	s_and_saveexec_b64 s[0:1], vcc
	s_xor_b64 s[0:1], exec, s[0:1]
	s_cbranch_execz .LBB1778_199
; %bb.194:
	v_cmp_le_u32_e32 vcc, v12, v13
	s_and_saveexec_b64 s[2:3], vcc
	s_xor_b64 s[2:3], exec, s[2:3]
	s_cbranch_execz .LBB1778_196
; %bb.195:
	v_add_co_u32_e32 v14, vcc, v1, v13
	v_lshlrev_b32_e32 v13, 2, v0
	ds_read_b32 v13, v13 offset:8192
	v_addc_co_u32_e32 v15, vcc, 0, v4, vcc
	v_lshlrev_b64 v[14:15], 2, v[14:15]
	v_mov_b32_e32 v16, s7
	v_sub_co_u32_e32 v14, vcc, s6, v14
	v_subb_co_u32_e32 v15, vcc, v16, v15, vcc
	s_waitcnt lgkmcnt(0)
	global_store_dword v[14:15], v13, off
                                        ; implicit-def: $vgpr13
.LBB1778_196:
	s_andn2_saveexec_b64 s[2:3], s[2:3]
	s_cbranch_execz .LBB1778_198
; %bb.197:
	v_lshlrev_b32_e32 v14, 2, v0
	ds_read_b32 v14, v14 offset:8192
	v_lshlrev_b32_e32 v13, 2, v13
	v_readfirstlane_b32 s4, v8
	v_readfirstlane_b32 s5, v9
	s_waitcnt lgkmcnt(0)
	s_nop 3
	global_store_dword v13, v14, s[4:5]
.LBB1778_198:
	s_or_b64 exec, exec, s[2:3]
                                        ; implicit-def: $vgpr13
.LBB1778_199:
	s_andn2_saveexec_b64 s[0:1], s[0:1]
	s_cbranch_execz .LBB1778_201
; %bb.200:
	v_lshlrev_b32_e32 v14, 2, v0
	ds_read_b32 v14, v14 offset:8192
	v_lshlrev_b32_e32 v13, 2, v13
	v_readfirstlane_b32 s2, v10
	v_readfirstlane_b32 s3, v11
	s_waitcnt lgkmcnt(0)
	s_nop 3
	global_store_dword v13, v14, s[2:3]
.LBB1778_201:
	s_or_b64 exec, exec, s[0:1]
	v_or_b32_e32 v13, 0x900, v0
	v_cmp_le_u32_e32 vcc, v2, v13
	s_and_saveexec_b64 s[0:1], vcc
	s_xor_b64 s[0:1], exec, s[0:1]
	s_cbranch_execz .LBB1778_207
; %bb.202:
	v_cmp_le_u32_e32 vcc, v12, v13
	s_and_saveexec_b64 s[2:3], vcc
	s_xor_b64 s[2:3], exec, s[2:3]
	s_cbranch_execz .LBB1778_204
; %bb.203:
	v_add_co_u32_e32 v14, vcc, v1, v13
	v_lshlrev_b32_e32 v13, 2, v0
	ds_read_b32 v13, v13 offset:9216
	v_addc_co_u32_e32 v15, vcc, 0, v4, vcc
	v_lshlrev_b64 v[14:15], 2, v[14:15]
	v_mov_b32_e32 v16, s7
	v_sub_co_u32_e32 v14, vcc, s6, v14
	v_subb_co_u32_e32 v15, vcc, v16, v15, vcc
	s_waitcnt lgkmcnt(0)
	global_store_dword v[14:15], v13, off
                                        ; implicit-def: $vgpr13
.LBB1778_204:
	s_andn2_saveexec_b64 s[2:3], s[2:3]
	s_cbranch_execz .LBB1778_206
; %bb.205:
	v_lshlrev_b32_e32 v14, 2, v0
	ds_read_b32 v14, v14 offset:9216
	v_lshlrev_b32_e32 v13, 2, v13
	v_readfirstlane_b32 s4, v8
	v_readfirstlane_b32 s5, v9
	s_waitcnt lgkmcnt(0)
	s_nop 3
	global_store_dword v13, v14, s[4:5]
.LBB1778_206:
	s_or_b64 exec, exec, s[2:3]
                                        ; implicit-def: $vgpr13
.LBB1778_207:
	s_andn2_saveexec_b64 s[0:1], s[0:1]
	s_cbranch_execz .LBB1778_209
; %bb.208:
	v_lshlrev_b32_e32 v14, 2, v0
	ds_read_b32 v14, v14 offset:9216
	v_lshlrev_b32_e32 v13, 2, v13
	v_readfirstlane_b32 s2, v10
	v_readfirstlane_b32 s3, v11
	s_waitcnt lgkmcnt(0)
	s_nop 3
	global_store_dword v13, v14, s[2:3]
.LBB1778_209:
	s_or_b64 exec, exec, s[0:1]
	v_or_b32_e32 v13, 0xa00, v0
	v_cmp_le_u32_e32 vcc, v2, v13
	s_and_saveexec_b64 s[0:1], vcc
	s_xor_b64 s[0:1], exec, s[0:1]
	s_cbranch_execz .LBB1778_215
; %bb.210:
	v_cmp_le_u32_e32 vcc, v12, v13
	s_and_saveexec_b64 s[2:3], vcc
	s_xor_b64 s[2:3], exec, s[2:3]
	s_cbranch_execz .LBB1778_212
; %bb.211:
	v_add_co_u32_e32 v14, vcc, v1, v13
	v_lshlrev_b32_e32 v13, 2, v0
	ds_read_b32 v13, v13 offset:10240
	v_addc_co_u32_e32 v15, vcc, 0, v4, vcc
	v_lshlrev_b64 v[14:15], 2, v[14:15]
	v_mov_b32_e32 v16, s7
	v_sub_co_u32_e32 v14, vcc, s6, v14
	v_subb_co_u32_e32 v15, vcc, v16, v15, vcc
	s_waitcnt lgkmcnt(0)
	global_store_dword v[14:15], v13, off
                                        ; implicit-def: $vgpr13
.LBB1778_212:
	s_andn2_saveexec_b64 s[2:3], s[2:3]
	s_cbranch_execz .LBB1778_214
; %bb.213:
	v_lshlrev_b32_e32 v14, 2, v0
	ds_read_b32 v14, v14 offset:10240
	v_lshlrev_b32_e32 v13, 2, v13
	v_readfirstlane_b32 s4, v8
	v_readfirstlane_b32 s5, v9
	s_waitcnt lgkmcnt(0)
	s_nop 3
	global_store_dword v13, v14, s[4:5]
.LBB1778_214:
	s_or_b64 exec, exec, s[2:3]
                                        ; implicit-def: $vgpr13
.LBB1778_215:
	s_andn2_saveexec_b64 s[0:1], s[0:1]
	s_cbranch_execz .LBB1778_217
; %bb.216:
	v_lshlrev_b32_e32 v14, 2, v0
	ds_read_b32 v14, v14 offset:10240
	v_lshlrev_b32_e32 v13, 2, v13
	v_readfirstlane_b32 s2, v10
	v_readfirstlane_b32 s3, v11
	s_waitcnt lgkmcnt(0)
	s_nop 3
	global_store_dword v13, v14, s[2:3]
.LBB1778_217:
	s_or_b64 exec, exec, s[0:1]
	v_or_b32_e32 v13, 0xb00, v0
	v_cmp_le_u32_e32 vcc, v2, v13
	s_and_saveexec_b64 s[0:1], vcc
	s_xor_b64 s[0:1], exec, s[0:1]
	s_cbranch_execz .LBB1778_223
; %bb.218:
	v_cmp_le_u32_e32 vcc, v12, v13
	s_and_saveexec_b64 s[2:3], vcc
	s_xor_b64 s[2:3], exec, s[2:3]
	s_cbranch_execz .LBB1778_220
; %bb.219:
	v_add_co_u32_e32 v14, vcc, v1, v13
	v_lshlrev_b32_e32 v13, 2, v0
	ds_read_b32 v13, v13 offset:11264
	v_addc_co_u32_e32 v15, vcc, 0, v4, vcc
	v_lshlrev_b64 v[14:15], 2, v[14:15]
	v_mov_b32_e32 v16, s7
	v_sub_co_u32_e32 v14, vcc, s6, v14
	v_subb_co_u32_e32 v15, vcc, v16, v15, vcc
	s_waitcnt lgkmcnt(0)
	global_store_dword v[14:15], v13, off
                                        ; implicit-def: $vgpr13
.LBB1778_220:
	s_andn2_saveexec_b64 s[2:3], s[2:3]
	s_cbranch_execz .LBB1778_222
; %bb.221:
	v_lshlrev_b32_e32 v14, 2, v0
	ds_read_b32 v14, v14 offset:11264
	v_lshlrev_b32_e32 v13, 2, v13
	v_readfirstlane_b32 s4, v8
	v_readfirstlane_b32 s5, v9
	s_waitcnt lgkmcnt(0)
	s_nop 3
	global_store_dword v13, v14, s[4:5]
.LBB1778_222:
	s_or_b64 exec, exec, s[2:3]
                                        ; implicit-def: $vgpr13
.LBB1778_223:
	s_andn2_saveexec_b64 s[0:1], s[0:1]
	s_cbranch_execz .LBB1778_225
; %bb.224:
	v_lshlrev_b32_e32 v14, 2, v0
	ds_read_b32 v14, v14 offset:11264
	v_lshlrev_b32_e32 v13, 2, v13
	v_readfirstlane_b32 s2, v10
	v_readfirstlane_b32 s3, v11
	s_waitcnt lgkmcnt(0)
	s_nop 3
	global_store_dword v13, v14, s[2:3]
.LBB1778_225:
	s_or_b64 exec, exec, s[0:1]
	v_or_b32_e32 v13, 0xc00, v0
	v_cmp_le_u32_e32 vcc, v2, v13
	s_and_saveexec_b64 s[0:1], vcc
	s_xor_b64 s[0:1], exec, s[0:1]
	s_cbranch_execz .LBB1778_231
; %bb.226:
	v_cmp_le_u32_e32 vcc, v12, v13
	s_and_saveexec_b64 s[2:3], vcc
	s_xor_b64 s[2:3], exec, s[2:3]
	s_cbranch_execz .LBB1778_228
; %bb.227:
	v_add_co_u32_e32 v14, vcc, v1, v13
	v_lshlrev_b32_e32 v13, 2, v0
	ds_read_b32 v13, v13 offset:12288
	v_addc_co_u32_e32 v15, vcc, 0, v4, vcc
	v_lshlrev_b64 v[14:15], 2, v[14:15]
	v_mov_b32_e32 v16, s7
	v_sub_co_u32_e32 v14, vcc, s6, v14
	v_subb_co_u32_e32 v15, vcc, v16, v15, vcc
	s_waitcnt lgkmcnt(0)
	global_store_dword v[14:15], v13, off
                                        ; implicit-def: $vgpr13
.LBB1778_228:
	s_andn2_saveexec_b64 s[2:3], s[2:3]
	s_cbranch_execz .LBB1778_230
; %bb.229:
	v_lshlrev_b32_e32 v14, 2, v0
	ds_read_b32 v14, v14 offset:12288
	v_lshlrev_b32_e32 v13, 2, v13
	v_readfirstlane_b32 s4, v8
	v_readfirstlane_b32 s5, v9
	s_waitcnt lgkmcnt(0)
	s_nop 3
	global_store_dword v13, v14, s[4:5]
.LBB1778_230:
	s_or_b64 exec, exec, s[2:3]
                                        ; implicit-def: $vgpr13
.LBB1778_231:
	s_andn2_saveexec_b64 s[0:1], s[0:1]
	s_cbranch_execz .LBB1778_233
; %bb.232:
	v_lshlrev_b32_e32 v14, 2, v0
	ds_read_b32 v14, v14 offset:12288
	v_lshlrev_b32_e32 v13, 2, v13
	v_readfirstlane_b32 s2, v10
	v_readfirstlane_b32 s3, v11
	s_waitcnt lgkmcnt(0)
	s_nop 3
	global_store_dword v13, v14, s[2:3]
.LBB1778_233:
	s_or_b64 exec, exec, s[0:1]
	s_branch .LBB1778_127
.LBB1778_234:
	v_cmp_gt_u32_e32 vcc, s18, v0
	s_and_saveexec_b64 s[0:1], vcc
	s_cbranch_execz .LBB1778_243
; %bb.235:
	v_cmp_le_u32_e32 vcc, v2, v0
	s_and_saveexec_b64 s[2:3], vcc
	s_xor_b64 s[2:3], exec, s[2:3]
	s_cbranch_execz .LBB1778_241
; %bb.236:
	v_cmp_le_u32_e32 vcc, v12, v0
	s_and_saveexec_b64 s[4:5], vcc
	s_xor_b64 s[4:5], exec, s[4:5]
	s_cbranch_execz .LBB1778_238
; %bb.237:
	v_lshlrev_b32_e32 v13, 2, v0
	v_add_co_u32_e32 v14, vcc, v1, v0
	ds_read_b32 v13, v13
	v_addc_co_u32_e32 v15, vcc, 0, v4, vcc
	v_lshlrev_b64 v[14:15], 2, v[14:15]
	v_mov_b32_e32 v16, s35
	v_sub_co_u32_e32 v14, vcc, s34, v14
	v_subb_co_u32_e32 v15, vcc, v16, v15, vcc
	s_waitcnt lgkmcnt(0)
	global_store_dword v[14:15], v13, off offset:-4
.LBB1778_238:
	s_andn2_saveexec_b64 s[4:5], s[4:5]
	s_cbranch_execz .LBB1778_240
; %bb.239:
	v_lshlrev_b32_e32 v13, 2, v0
	ds_read_b32 v14, v13
	v_readfirstlane_b32 s8, v8
	v_readfirstlane_b32 s9, v9
	s_waitcnt lgkmcnt(0)
	s_nop 3
	global_store_dword v13, v14, s[8:9]
.LBB1778_240:
	s_or_b64 exec, exec, s[4:5]
.LBB1778_241:
	s_andn2_saveexec_b64 s[2:3], s[2:3]
	s_cbranch_execz .LBB1778_243
; %bb.242:
	v_lshlrev_b32_e32 v13, 2, v0
	ds_read_b32 v14, v13
	v_readfirstlane_b32 s2, v10
	v_readfirstlane_b32 s3, v11
	s_waitcnt lgkmcnt(0)
	s_nop 3
	global_store_dword v13, v14, s[2:3]
.LBB1778_243:
	s_or_b64 exec, exec, s[0:1]
	v_or_b32_e32 v13, 0x100, v0
	v_cmp_gt_u32_e32 vcc, s18, v13
	s_and_saveexec_b64 s[0:1], vcc
	s_cbranch_execz .LBB1778_252
; %bb.244:
	v_cmp_le_u32_e32 vcc, v2, v13
	s_and_saveexec_b64 s[2:3], vcc
	s_xor_b64 s[2:3], exec, s[2:3]
	s_cbranch_execz .LBB1778_250
; %bb.245:
	v_cmp_le_u32_e32 vcc, v12, v13
	s_and_saveexec_b64 s[4:5], vcc
	s_xor_b64 s[4:5], exec, s[4:5]
	s_cbranch_execz .LBB1778_247
; %bb.246:
	v_lshlrev_b32_e32 v13, 2, v0
	ds_read_b32 v13, v13 offset:1024
	v_add_co_u32_e32 v14, vcc, v1, v0
	v_addc_co_u32_e32 v15, vcc, 0, v4, vcc
	v_lshlrev_b64 v[14:15], 2, v[14:15]
	v_mov_b32_e32 v16, s7
	v_sub_co_u32_e32 v14, vcc, s6, v14
	v_subb_co_u32_e32 v15, vcc, v16, v15, vcc
	s_waitcnt lgkmcnt(0)
	global_store_dword v[14:15], v13, off offset:-1024
.LBB1778_247:
	s_andn2_saveexec_b64 s[4:5], s[4:5]
	s_cbranch_execz .LBB1778_249
; %bb.248:
	v_lshlrev_b32_e32 v13, 2, v0
	ds_read_b32 v14, v13 offset:1024
	v_readfirstlane_b32 s8, v8
	v_readfirstlane_b32 s9, v9
	s_waitcnt lgkmcnt(0)
	s_nop 3
	global_store_dword v13, v14, s[8:9] offset:1024
.LBB1778_249:
	s_or_b64 exec, exec, s[4:5]
.LBB1778_250:
	s_andn2_saveexec_b64 s[2:3], s[2:3]
	s_cbranch_execz .LBB1778_252
; %bb.251:
	v_lshlrev_b32_e32 v13, 2, v0
	ds_read_b32 v14, v13 offset:1024
	v_readfirstlane_b32 s2, v10
	v_readfirstlane_b32 s3, v11
	s_waitcnt lgkmcnt(0)
	s_nop 3
	global_store_dword v13, v14, s[2:3] offset:1024
.LBB1778_252:
	s_or_b64 exec, exec, s[0:1]
	v_or_b32_e32 v13, 0x200, v0
	v_cmp_gt_u32_e32 vcc, s18, v13
	s_and_saveexec_b64 s[0:1], vcc
	s_cbranch_execz .LBB1778_261
; %bb.253:
	v_cmp_le_u32_e32 vcc, v2, v13
	s_and_saveexec_b64 s[2:3], vcc
	s_xor_b64 s[2:3], exec, s[2:3]
	s_cbranch_execz .LBB1778_259
; %bb.254:
	v_cmp_le_u32_e32 vcc, v12, v13
	s_and_saveexec_b64 s[4:5], vcc
	s_xor_b64 s[4:5], exec, s[4:5]
	s_cbranch_execz .LBB1778_256
; %bb.255:
	v_lshlrev_b32_e32 v13, 2, v0
	ds_read_b32 v13, v13 offset:2048
	v_add_co_u32_e32 v14, vcc, v1, v0
	v_addc_co_u32_e32 v15, vcc, 0, v4, vcc
	v_lshlrev_b64 v[14:15], 2, v[14:15]
	v_mov_b32_e32 v16, s7
	v_sub_co_u32_e32 v14, vcc, s6, v14
	v_subb_co_u32_e32 v15, vcc, v16, v15, vcc
	s_waitcnt lgkmcnt(0)
	global_store_dword v[14:15], v13, off offset:-2048
.LBB1778_256:
	s_andn2_saveexec_b64 s[4:5], s[4:5]
	s_cbranch_execz .LBB1778_258
; %bb.257:
	v_lshlrev_b32_e32 v13, 2, v0
	ds_read_b32 v14, v13 offset:2048
	v_readfirstlane_b32 s8, v8
	v_readfirstlane_b32 s9, v9
	s_waitcnt lgkmcnt(0)
	s_nop 3
	global_store_dword v13, v14, s[8:9] offset:2048
.LBB1778_258:
	s_or_b64 exec, exec, s[4:5]
.LBB1778_259:
	s_andn2_saveexec_b64 s[2:3], s[2:3]
	s_cbranch_execz .LBB1778_261
; %bb.260:
	v_lshlrev_b32_e32 v13, 2, v0
	ds_read_b32 v14, v13 offset:2048
	v_readfirstlane_b32 s2, v10
	v_readfirstlane_b32 s3, v11
	s_waitcnt lgkmcnt(0)
	s_nop 3
	global_store_dword v13, v14, s[2:3] offset:2048
.LBB1778_261:
	;; [unrolled: 51-line block ×3, first 2 shown]
	s_or_b64 exec, exec, s[0:1]
	v_or_b32_e32 v13, 0x400, v0
	v_cmp_gt_u32_e32 vcc, s18, v13
	s_and_saveexec_b64 s[0:1], vcc
	s_cbranch_execz .LBB1778_279
; %bb.271:
	v_cmp_le_u32_e32 vcc, v2, v13
	s_and_saveexec_b64 s[2:3], vcc
	s_xor_b64 s[2:3], exec, s[2:3]
	s_cbranch_execz .LBB1778_277
; %bb.272:
	v_cmp_le_u32_e32 vcc, v12, v13
	s_and_saveexec_b64 s[4:5], vcc
	s_xor_b64 s[4:5], exec, s[4:5]
	s_cbranch_execz .LBB1778_274
; %bb.273:
	v_lshlrev_b32_e32 v13, 2, v0
	ds_read_b32 v13, v13 offset:4096
	v_add_co_u32_e32 v14, vcc, v1, v0
	v_addc_co_u32_e32 v15, vcc, 0, v4, vcc
	v_lshlrev_b64 v[14:15], 2, v[14:15]
	v_mov_b32_e32 v16, s7
	v_sub_co_u32_e32 v14, vcc, s6, v14
	v_subb_co_u32_e32 v15, vcc, v16, v15, vcc
	s_waitcnt lgkmcnt(0)
	global_store_dword v[14:15], v13, off offset:-4096
                                        ; implicit-def: $vgpr13
.LBB1778_274:
	s_andn2_saveexec_b64 s[4:5], s[4:5]
	s_cbranch_execz .LBB1778_276
; %bb.275:
	v_lshlrev_b32_e32 v14, 2, v0
	ds_read_b32 v14, v14 offset:4096
	v_lshlrev_b32_e32 v13, 2, v13
	v_readfirstlane_b32 s8, v8
	v_readfirstlane_b32 s9, v9
	s_waitcnt lgkmcnt(0)
	s_nop 3
	global_store_dword v13, v14, s[8:9]
.LBB1778_276:
	s_or_b64 exec, exec, s[4:5]
                                        ; implicit-def: $vgpr13
.LBB1778_277:
	s_andn2_saveexec_b64 s[2:3], s[2:3]
	s_cbranch_execz .LBB1778_279
; %bb.278:
	v_lshlrev_b32_e32 v14, 2, v0
	ds_read_b32 v14, v14 offset:4096
	v_lshlrev_b32_e32 v13, 2, v13
	v_readfirstlane_b32 s2, v10
	v_readfirstlane_b32 s3, v11
	s_waitcnt lgkmcnt(0)
	s_nop 3
	global_store_dword v13, v14, s[2:3]
.LBB1778_279:
	s_or_b64 exec, exec, s[0:1]
	v_or_b32_e32 v13, 0x500, v0
	v_cmp_gt_u32_e32 vcc, s18, v13
	s_and_saveexec_b64 s[0:1], vcc
	s_cbranch_execz .LBB1778_288
; %bb.280:
	v_cmp_le_u32_e32 vcc, v2, v13
	s_and_saveexec_b64 s[2:3], vcc
	s_xor_b64 s[2:3], exec, s[2:3]
	s_cbranch_execz .LBB1778_286
; %bb.281:
	v_cmp_le_u32_e32 vcc, v12, v13
	s_and_saveexec_b64 s[4:5], vcc
	s_xor_b64 s[4:5], exec, s[4:5]
	s_cbranch_execz .LBB1778_283
; %bb.282:
	v_add_co_u32_e32 v14, vcc, v1, v13
	v_lshlrev_b32_e32 v13, 2, v0
	ds_read_b32 v13, v13 offset:5120
	v_addc_co_u32_e32 v15, vcc, 0, v4, vcc
	v_lshlrev_b64 v[14:15], 2, v[14:15]
	v_mov_b32_e32 v16, s7
	v_sub_co_u32_e32 v14, vcc, s6, v14
	v_subb_co_u32_e32 v15, vcc, v16, v15, vcc
	s_waitcnt lgkmcnt(0)
	global_store_dword v[14:15], v13, off
                                        ; implicit-def: $vgpr13
.LBB1778_283:
	s_andn2_saveexec_b64 s[4:5], s[4:5]
	s_cbranch_execz .LBB1778_285
; %bb.284:
	v_lshlrev_b32_e32 v14, 2, v0
	ds_read_b32 v14, v14 offset:5120
	v_lshlrev_b32_e32 v13, 2, v13
	v_readfirstlane_b32 s8, v8
	v_readfirstlane_b32 s9, v9
	s_waitcnt lgkmcnt(0)
	s_nop 3
	global_store_dword v13, v14, s[8:9]
.LBB1778_285:
	s_or_b64 exec, exec, s[4:5]
                                        ; implicit-def: $vgpr13
.LBB1778_286:
	s_andn2_saveexec_b64 s[2:3], s[2:3]
	s_cbranch_execz .LBB1778_288
; %bb.287:
	v_lshlrev_b32_e32 v14, 2, v0
	ds_read_b32 v14, v14 offset:5120
	v_lshlrev_b32_e32 v13, 2, v13
	v_readfirstlane_b32 s2, v10
	v_readfirstlane_b32 s3, v11
	s_waitcnt lgkmcnt(0)
	s_nop 3
	global_store_dword v13, v14, s[2:3]
.LBB1778_288:
	s_or_b64 exec, exec, s[0:1]
	v_or_b32_e32 v13, 0x600, v0
	v_cmp_gt_u32_e32 vcc, s18, v13
	s_and_saveexec_b64 s[0:1], vcc
	s_cbranch_execz .LBB1778_297
; %bb.289:
	v_cmp_le_u32_e32 vcc, v2, v13
	s_and_saveexec_b64 s[2:3], vcc
	s_xor_b64 s[2:3], exec, s[2:3]
	s_cbranch_execz .LBB1778_295
; %bb.290:
	v_cmp_le_u32_e32 vcc, v12, v13
	s_and_saveexec_b64 s[4:5], vcc
	s_xor_b64 s[4:5], exec, s[4:5]
	s_cbranch_execz .LBB1778_292
; %bb.291:
	v_add_co_u32_e32 v14, vcc, v1, v13
	v_lshlrev_b32_e32 v13, 2, v0
	ds_read_b32 v13, v13 offset:6144
	v_addc_co_u32_e32 v15, vcc, 0, v4, vcc
	v_lshlrev_b64 v[14:15], 2, v[14:15]
	v_mov_b32_e32 v16, s7
	v_sub_co_u32_e32 v14, vcc, s6, v14
	v_subb_co_u32_e32 v15, vcc, v16, v15, vcc
	s_waitcnt lgkmcnt(0)
	global_store_dword v[14:15], v13, off
                                        ; implicit-def: $vgpr13
.LBB1778_292:
	s_andn2_saveexec_b64 s[4:5], s[4:5]
	s_cbranch_execz .LBB1778_294
; %bb.293:
	v_lshlrev_b32_e32 v14, 2, v0
	ds_read_b32 v14, v14 offset:6144
	v_lshlrev_b32_e32 v13, 2, v13
	v_readfirstlane_b32 s8, v8
	v_readfirstlane_b32 s9, v9
	s_waitcnt lgkmcnt(0)
	s_nop 3
	global_store_dword v13, v14, s[8:9]
.LBB1778_294:
	s_or_b64 exec, exec, s[4:5]
                                        ; implicit-def: $vgpr13
.LBB1778_295:
	s_andn2_saveexec_b64 s[2:3], s[2:3]
	s_cbranch_execz .LBB1778_297
; %bb.296:
	v_lshlrev_b32_e32 v14, 2, v0
	ds_read_b32 v14, v14 offset:6144
	v_lshlrev_b32_e32 v13, 2, v13
	v_readfirstlane_b32 s2, v10
	v_readfirstlane_b32 s3, v11
	s_waitcnt lgkmcnt(0)
	s_nop 3
	global_store_dword v13, v14, s[2:3]
.LBB1778_297:
	;; [unrolled: 55-line block ×7, first 2 shown]
	s_or_b64 exec, exec, s[0:1]
	v_or_b32_e32 v13, 0xc00, v0
	v_cmp_gt_u32_e32 vcc, s18, v13
	s_and_saveexec_b64 s[0:1], vcc
	s_cbranch_execz .LBB1778_351
; %bb.343:
	v_cmp_le_u32_e32 vcc, v2, v13
	s_and_saveexec_b64 s[2:3], vcc
	s_xor_b64 s[2:3], exec, s[2:3]
	s_cbranch_execz .LBB1778_349
; %bb.344:
	v_cmp_le_u32_e32 vcc, v12, v13
	s_and_saveexec_b64 s[4:5], vcc
	s_xor_b64 s[4:5], exec, s[4:5]
	s_cbranch_execz .LBB1778_346
; %bb.345:
	v_add_co_u32_e32 v8, vcc, v1, v13
	v_lshlrev_b32_e32 v1, 2, v0
	ds_read_b32 v1, v1 offset:12288
	v_addc_co_u32_e32 v9, vcc, 0, v4, vcc
	v_lshlrev_b64 v[8:9], 2, v[8:9]
	v_mov_b32_e32 v4, s7
	v_sub_co_u32_e32 v8, vcc, s6, v8
	v_subb_co_u32_e32 v9, vcc, v4, v9, vcc
	s_waitcnt lgkmcnt(0)
	global_store_dword v[8:9], v1, off
                                        ; implicit-def: $vgpr13
                                        ; implicit-def: $vgpr8_vgpr9
.LBB1778_346:
	s_andn2_saveexec_b64 s[4:5], s[4:5]
	s_cbranch_execz .LBB1778_348
; %bb.347:
	v_lshlrev_b32_e32 v1, 2, v0
	ds_read_b32 v1, v1 offset:12288
	v_lshlrev_b32_e32 v4, 2, v13
	v_readfirstlane_b32 s6, v8
	v_readfirstlane_b32 s7, v9
	s_waitcnt lgkmcnt(0)
	s_nop 3
	global_store_dword v4, v1, s[6:7]
.LBB1778_348:
	s_or_b64 exec, exec, s[4:5]
                                        ; implicit-def: $vgpr13
                                        ; implicit-def: $vgpr10_vgpr11
.LBB1778_349:
	s_andn2_saveexec_b64 s[2:3], s[2:3]
	s_cbranch_execz .LBB1778_351
; %bb.350:
	v_lshlrev_b32_e32 v1, 2, v0
	ds_read_b32 v1, v1 offset:12288
	v_lshlrev_b32_e32 v4, 2, v13
	v_readfirstlane_b32 s2, v10
	v_readfirstlane_b32 s3, v11
	s_waitcnt lgkmcnt(0)
	s_nop 3
	global_store_dword v4, v1, s[2:3]
.LBB1778_351:
	s_or_b64 exec, exec, s[0:1]
	v_cmp_eq_u32_e32 vcc, 0, v0
	s_and_b64 s[0:1], vcc, s[30:31]
	s_and_saveexec_b64 s[2:3], s[0:1]
	s_cbranch_execz .LBB1778_128
.LBB1778_352:
	v_add_co_u32_e32 v0, vcc, v6, v2
	v_addc_co_u32_e32 v1, vcc, 0, v7, vcc
	v_mov_b32_e32 v2, s51
	v_add_co_u32_e32 v3, vcc, s50, v3
	v_addc_co_u32_e32 v6, vcc, 0, v2, vcc
	v_add_co_u32_e32 v2, vcc, v3, v5
	v_mov_b32_e32 v4, 0
	v_addc_co_u32_e32 v3, vcc, 0, v6, vcc
	global_store_dwordx4 v4, v[0:3], s[44:45]
	s_endpgm
	.section	.rodata,"a",@progbits
	.p2align	6, 0x0
	.amdhsa_kernel _ZN7rocprim17ROCPRIM_400000_NS6detail17trampoline_kernelINS0_13select_configILj256ELj13ELNS0_17block_load_methodE3ELS4_3ELS4_3ELNS0_20block_scan_algorithmE0ELj4294967295EEENS1_25partition_config_selectorILNS1_17partition_subalgoE4EjNS0_10empty_typeEbEEZZNS1_14partition_implILS8_4ELb0ES6_15HIP_vector_typeIjLj2EENS0_17counting_iteratorIjlEEPS9_SG_NS0_5tupleIJPjSI_NS0_16reverse_iteratorISI_EEEEENSH_IJSG_SG_SG_EEES9_SI_JZNS1_25segmented_radix_sort_implINS0_14default_configELb0EPK6__halfPSP_PKlPlN2at6native12_GLOBAL__N_18offset_tEEE10hipError_tPvRmT1_PNSt15iterator_traitsIS13_E10value_typeET2_T3_PNS14_IS19_E10value_typeET4_jRbjT5_S1F_jjP12ihipStream_tbEUljE_ZNSN_ISO_Lb0ESR_SS_SU_SV_SZ_EES10_S11_S12_S13_S17_S18_S19_S1C_S1D_jS1E_jS1F_S1F_jjS1H_bEUljE0_EEES10_S11_S12_S19_S1D_S1F_T6_T7_T9_mT8_S1H_bDpT10_ENKUlT_T0_E_clISt17integral_constantIbLb0EES1V_EEDaS1Q_S1R_EUlS1Q_E_NS1_11comp_targetILNS1_3genE4ELNS1_11target_archE910ELNS1_3gpuE8ELNS1_3repE0EEENS1_30default_config_static_selectorELNS0_4arch9wavefront6targetE1EEEvS13_
		.amdhsa_group_segment_fixed_size 13340
		.amdhsa_private_segment_fixed_size 0
		.amdhsa_kernarg_size 176
		.amdhsa_user_sgpr_count 6
		.amdhsa_user_sgpr_private_segment_buffer 1
		.amdhsa_user_sgpr_dispatch_ptr 0
		.amdhsa_user_sgpr_queue_ptr 0
		.amdhsa_user_sgpr_kernarg_segment_ptr 1
		.amdhsa_user_sgpr_dispatch_id 0
		.amdhsa_user_sgpr_flat_scratch_init 0
		.amdhsa_user_sgpr_kernarg_preload_length 0
		.amdhsa_user_sgpr_kernarg_preload_offset 0
		.amdhsa_user_sgpr_private_segment_size 0
		.amdhsa_uses_dynamic_stack 0
		.amdhsa_system_sgpr_private_segment_wavefront_offset 0
		.amdhsa_system_sgpr_workgroup_id_x 1
		.amdhsa_system_sgpr_workgroup_id_y 0
		.amdhsa_system_sgpr_workgroup_id_z 0
		.amdhsa_system_sgpr_workgroup_info 0
		.amdhsa_system_vgpr_workitem_id 0
		.amdhsa_next_free_vgpr 102
		.amdhsa_next_free_sgpr 90
		.amdhsa_accum_offset 104
		.amdhsa_reserve_vcc 1
		.amdhsa_reserve_flat_scratch 0
		.amdhsa_float_round_mode_32 0
		.amdhsa_float_round_mode_16_64 0
		.amdhsa_float_denorm_mode_32 3
		.amdhsa_float_denorm_mode_16_64 3
		.amdhsa_dx10_clamp 1
		.amdhsa_ieee_mode 1
		.amdhsa_fp16_overflow 0
		.amdhsa_tg_split 0
		.amdhsa_exception_fp_ieee_invalid_op 0
		.amdhsa_exception_fp_denorm_src 0
		.amdhsa_exception_fp_ieee_div_zero 0
		.amdhsa_exception_fp_ieee_overflow 0
		.amdhsa_exception_fp_ieee_underflow 0
		.amdhsa_exception_fp_ieee_inexact 0
		.amdhsa_exception_int_div_zero 0
	.end_amdhsa_kernel
	.section	.text._ZN7rocprim17ROCPRIM_400000_NS6detail17trampoline_kernelINS0_13select_configILj256ELj13ELNS0_17block_load_methodE3ELS4_3ELS4_3ELNS0_20block_scan_algorithmE0ELj4294967295EEENS1_25partition_config_selectorILNS1_17partition_subalgoE4EjNS0_10empty_typeEbEEZZNS1_14partition_implILS8_4ELb0ES6_15HIP_vector_typeIjLj2EENS0_17counting_iteratorIjlEEPS9_SG_NS0_5tupleIJPjSI_NS0_16reverse_iteratorISI_EEEEENSH_IJSG_SG_SG_EEES9_SI_JZNS1_25segmented_radix_sort_implINS0_14default_configELb0EPK6__halfPSP_PKlPlN2at6native12_GLOBAL__N_18offset_tEEE10hipError_tPvRmT1_PNSt15iterator_traitsIS13_E10value_typeET2_T3_PNS14_IS19_E10value_typeET4_jRbjT5_S1F_jjP12ihipStream_tbEUljE_ZNSN_ISO_Lb0ESR_SS_SU_SV_SZ_EES10_S11_S12_S13_S17_S18_S19_S1C_S1D_jS1E_jS1F_S1F_jjS1H_bEUljE0_EEES10_S11_S12_S19_S1D_S1F_T6_T7_T9_mT8_S1H_bDpT10_ENKUlT_T0_E_clISt17integral_constantIbLb0EES1V_EEDaS1Q_S1R_EUlS1Q_E_NS1_11comp_targetILNS1_3genE4ELNS1_11target_archE910ELNS1_3gpuE8ELNS1_3repE0EEENS1_30default_config_static_selectorELNS0_4arch9wavefront6targetE1EEEvS13_,"axG",@progbits,_ZN7rocprim17ROCPRIM_400000_NS6detail17trampoline_kernelINS0_13select_configILj256ELj13ELNS0_17block_load_methodE3ELS4_3ELS4_3ELNS0_20block_scan_algorithmE0ELj4294967295EEENS1_25partition_config_selectorILNS1_17partition_subalgoE4EjNS0_10empty_typeEbEEZZNS1_14partition_implILS8_4ELb0ES6_15HIP_vector_typeIjLj2EENS0_17counting_iteratorIjlEEPS9_SG_NS0_5tupleIJPjSI_NS0_16reverse_iteratorISI_EEEEENSH_IJSG_SG_SG_EEES9_SI_JZNS1_25segmented_radix_sort_implINS0_14default_configELb0EPK6__halfPSP_PKlPlN2at6native12_GLOBAL__N_18offset_tEEE10hipError_tPvRmT1_PNSt15iterator_traitsIS13_E10value_typeET2_T3_PNS14_IS19_E10value_typeET4_jRbjT5_S1F_jjP12ihipStream_tbEUljE_ZNSN_ISO_Lb0ESR_SS_SU_SV_SZ_EES10_S11_S12_S13_S17_S18_S19_S1C_S1D_jS1E_jS1F_S1F_jjS1H_bEUljE0_EEES10_S11_S12_S19_S1D_S1F_T6_T7_T9_mT8_S1H_bDpT10_ENKUlT_T0_E_clISt17integral_constantIbLb0EES1V_EEDaS1Q_S1R_EUlS1Q_E_NS1_11comp_targetILNS1_3genE4ELNS1_11target_archE910ELNS1_3gpuE8ELNS1_3repE0EEENS1_30default_config_static_selectorELNS0_4arch9wavefront6targetE1EEEvS13_,comdat
.Lfunc_end1778:
	.size	_ZN7rocprim17ROCPRIM_400000_NS6detail17trampoline_kernelINS0_13select_configILj256ELj13ELNS0_17block_load_methodE3ELS4_3ELS4_3ELNS0_20block_scan_algorithmE0ELj4294967295EEENS1_25partition_config_selectorILNS1_17partition_subalgoE4EjNS0_10empty_typeEbEEZZNS1_14partition_implILS8_4ELb0ES6_15HIP_vector_typeIjLj2EENS0_17counting_iteratorIjlEEPS9_SG_NS0_5tupleIJPjSI_NS0_16reverse_iteratorISI_EEEEENSH_IJSG_SG_SG_EEES9_SI_JZNS1_25segmented_radix_sort_implINS0_14default_configELb0EPK6__halfPSP_PKlPlN2at6native12_GLOBAL__N_18offset_tEEE10hipError_tPvRmT1_PNSt15iterator_traitsIS13_E10value_typeET2_T3_PNS14_IS19_E10value_typeET4_jRbjT5_S1F_jjP12ihipStream_tbEUljE_ZNSN_ISO_Lb0ESR_SS_SU_SV_SZ_EES10_S11_S12_S13_S17_S18_S19_S1C_S1D_jS1E_jS1F_S1F_jjS1H_bEUljE0_EEES10_S11_S12_S19_S1D_S1F_T6_T7_T9_mT8_S1H_bDpT10_ENKUlT_T0_E_clISt17integral_constantIbLb0EES1V_EEDaS1Q_S1R_EUlS1Q_E_NS1_11comp_targetILNS1_3genE4ELNS1_11target_archE910ELNS1_3gpuE8ELNS1_3repE0EEENS1_30default_config_static_selectorELNS0_4arch9wavefront6targetE1EEEvS13_, .Lfunc_end1778-_ZN7rocprim17ROCPRIM_400000_NS6detail17trampoline_kernelINS0_13select_configILj256ELj13ELNS0_17block_load_methodE3ELS4_3ELS4_3ELNS0_20block_scan_algorithmE0ELj4294967295EEENS1_25partition_config_selectorILNS1_17partition_subalgoE4EjNS0_10empty_typeEbEEZZNS1_14partition_implILS8_4ELb0ES6_15HIP_vector_typeIjLj2EENS0_17counting_iteratorIjlEEPS9_SG_NS0_5tupleIJPjSI_NS0_16reverse_iteratorISI_EEEEENSH_IJSG_SG_SG_EEES9_SI_JZNS1_25segmented_radix_sort_implINS0_14default_configELb0EPK6__halfPSP_PKlPlN2at6native12_GLOBAL__N_18offset_tEEE10hipError_tPvRmT1_PNSt15iterator_traitsIS13_E10value_typeET2_T3_PNS14_IS19_E10value_typeET4_jRbjT5_S1F_jjP12ihipStream_tbEUljE_ZNSN_ISO_Lb0ESR_SS_SU_SV_SZ_EES10_S11_S12_S13_S17_S18_S19_S1C_S1D_jS1E_jS1F_S1F_jjS1H_bEUljE0_EEES10_S11_S12_S19_S1D_S1F_T6_T7_T9_mT8_S1H_bDpT10_ENKUlT_T0_E_clISt17integral_constantIbLb0EES1V_EEDaS1Q_S1R_EUlS1Q_E_NS1_11comp_targetILNS1_3genE4ELNS1_11target_archE910ELNS1_3gpuE8ELNS1_3repE0EEENS1_30default_config_static_selectorELNS0_4arch9wavefront6targetE1EEEvS13_
                                        ; -- End function
	.section	.AMDGPU.csdata,"",@progbits
; Kernel info:
; codeLenInByte = 13332
; NumSgprs: 94
; NumVgprs: 102
; NumAgprs: 0
; TotalNumVgprs: 102
; ScratchSize: 0
; MemoryBound: 0
; FloatMode: 240
; IeeeMode: 1
; LDSByteSize: 13340 bytes/workgroup (compile time only)
; SGPRBlocks: 11
; VGPRBlocks: 12
; NumSGPRsForWavesPerEU: 94
; NumVGPRsForWavesPerEU: 102
; AccumOffset: 104
; Occupancy: 4
; WaveLimiterHint : 1
; COMPUTE_PGM_RSRC2:SCRATCH_EN: 0
; COMPUTE_PGM_RSRC2:USER_SGPR: 6
; COMPUTE_PGM_RSRC2:TRAP_HANDLER: 0
; COMPUTE_PGM_RSRC2:TGID_X_EN: 1
; COMPUTE_PGM_RSRC2:TGID_Y_EN: 0
; COMPUTE_PGM_RSRC2:TGID_Z_EN: 0
; COMPUTE_PGM_RSRC2:TIDIG_COMP_CNT: 0
; COMPUTE_PGM_RSRC3_GFX90A:ACCUM_OFFSET: 25
; COMPUTE_PGM_RSRC3_GFX90A:TG_SPLIT: 0
	.section	.text._ZN7rocprim17ROCPRIM_400000_NS6detail17trampoline_kernelINS0_13select_configILj256ELj13ELNS0_17block_load_methodE3ELS4_3ELS4_3ELNS0_20block_scan_algorithmE0ELj4294967295EEENS1_25partition_config_selectorILNS1_17partition_subalgoE4EjNS0_10empty_typeEbEEZZNS1_14partition_implILS8_4ELb0ES6_15HIP_vector_typeIjLj2EENS0_17counting_iteratorIjlEEPS9_SG_NS0_5tupleIJPjSI_NS0_16reverse_iteratorISI_EEEEENSH_IJSG_SG_SG_EEES9_SI_JZNS1_25segmented_radix_sort_implINS0_14default_configELb0EPK6__halfPSP_PKlPlN2at6native12_GLOBAL__N_18offset_tEEE10hipError_tPvRmT1_PNSt15iterator_traitsIS13_E10value_typeET2_T3_PNS14_IS19_E10value_typeET4_jRbjT5_S1F_jjP12ihipStream_tbEUljE_ZNSN_ISO_Lb0ESR_SS_SU_SV_SZ_EES10_S11_S12_S13_S17_S18_S19_S1C_S1D_jS1E_jS1F_S1F_jjS1H_bEUljE0_EEES10_S11_S12_S19_S1D_S1F_T6_T7_T9_mT8_S1H_bDpT10_ENKUlT_T0_E_clISt17integral_constantIbLb0EES1V_EEDaS1Q_S1R_EUlS1Q_E_NS1_11comp_targetILNS1_3genE3ELNS1_11target_archE908ELNS1_3gpuE7ELNS1_3repE0EEENS1_30default_config_static_selectorELNS0_4arch9wavefront6targetE1EEEvS13_,"axG",@progbits,_ZN7rocprim17ROCPRIM_400000_NS6detail17trampoline_kernelINS0_13select_configILj256ELj13ELNS0_17block_load_methodE3ELS4_3ELS4_3ELNS0_20block_scan_algorithmE0ELj4294967295EEENS1_25partition_config_selectorILNS1_17partition_subalgoE4EjNS0_10empty_typeEbEEZZNS1_14partition_implILS8_4ELb0ES6_15HIP_vector_typeIjLj2EENS0_17counting_iteratorIjlEEPS9_SG_NS0_5tupleIJPjSI_NS0_16reverse_iteratorISI_EEEEENSH_IJSG_SG_SG_EEES9_SI_JZNS1_25segmented_radix_sort_implINS0_14default_configELb0EPK6__halfPSP_PKlPlN2at6native12_GLOBAL__N_18offset_tEEE10hipError_tPvRmT1_PNSt15iterator_traitsIS13_E10value_typeET2_T3_PNS14_IS19_E10value_typeET4_jRbjT5_S1F_jjP12ihipStream_tbEUljE_ZNSN_ISO_Lb0ESR_SS_SU_SV_SZ_EES10_S11_S12_S13_S17_S18_S19_S1C_S1D_jS1E_jS1F_S1F_jjS1H_bEUljE0_EEES10_S11_S12_S19_S1D_S1F_T6_T7_T9_mT8_S1H_bDpT10_ENKUlT_T0_E_clISt17integral_constantIbLb0EES1V_EEDaS1Q_S1R_EUlS1Q_E_NS1_11comp_targetILNS1_3genE3ELNS1_11target_archE908ELNS1_3gpuE7ELNS1_3repE0EEENS1_30default_config_static_selectorELNS0_4arch9wavefront6targetE1EEEvS13_,comdat
	.globl	_ZN7rocprim17ROCPRIM_400000_NS6detail17trampoline_kernelINS0_13select_configILj256ELj13ELNS0_17block_load_methodE3ELS4_3ELS4_3ELNS0_20block_scan_algorithmE0ELj4294967295EEENS1_25partition_config_selectorILNS1_17partition_subalgoE4EjNS0_10empty_typeEbEEZZNS1_14partition_implILS8_4ELb0ES6_15HIP_vector_typeIjLj2EENS0_17counting_iteratorIjlEEPS9_SG_NS0_5tupleIJPjSI_NS0_16reverse_iteratorISI_EEEEENSH_IJSG_SG_SG_EEES9_SI_JZNS1_25segmented_radix_sort_implINS0_14default_configELb0EPK6__halfPSP_PKlPlN2at6native12_GLOBAL__N_18offset_tEEE10hipError_tPvRmT1_PNSt15iterator_traitsIS13_E10value_typeET2_T3_PNS14_IS19_E10value_typeET4_jRbjT5_S1F_jjP12ihipStream_tbEUljE_ZNSN_ISO_Lb0ESR_SS_SU_SV_SZ_EES10_S11_S12_S13_S17_S18_S19_S1C_S1D_jS1E_jS1F_S1F_jjS1H_bEUljE0_EEES10_S11_S12_S19_S1D_S1F_T6_T7_T9_mT8_S1H_bDpT10_ENKUlT_T0_E_clISt17integral_constantIbLb0EES1V_EEDaS1Q_S1R_EUlS1Q_E_NS1_11comp_targetILNS1_3genE3ELNS1_11target_archE908ELNS1_3gpuE7ELNS1_3repE0EEENS1_30default_config_static_selectorELNS0_4arch9wavefront6targetE1EEEvS13_ ; -- Begin function _ZN7rocprim17ROCPRIM_400000_NS6detail17trampoline_kernelINS0_13select_configILj256ELj13ELNS0_17block_load_methodE3ELS4_3ELS4_3ELNS0_20block_scan_algorithmE0ELj4294967295EEENS1_25partition_config_selectorILNS1_17partition_subalgoE4EjNS0_10empty_typeEbEEZZNS1_14partition_implILS8_4ELb0ES6_15HIP_vector_typeIjLj2EENS0_17counting_iteratorIjlEEPS9_SG_NS0_5tupleIJPjSI_NS0_16reverse_iteratorISI_EEEEENSH_IJSG_SG_SG_EEES9_SI_JZNS1_25segmented_radix_sort_implINS0_14default_configELb0EPK6__halfPSP_PKlPlN2at6native12_GLOBAL__N_18offset_tEEE10hipError_tPvRmT1_PNSt15iterator_traitsIS13_E10value_typeET2_T3_PNS14_IS19_E10value_typeET4_jRbjT5_S1F_jjP12ihipStream_tbEUljE_ZNSN_ISO_Lb0ESR_SS_SU_SV_SZ_EES10_S11_S12_S13_S17_S18_S19_S1C_S1D_jS1E_jS1F_S1F_jjS1H_bEUljE0_EEES10_S11_S12_S19_S1D_S1F_T6_T7_T9_mT8_S1H_bDpT10_ENKUlT_T0_E_clISt17integral_constantIbLb0EES1V_EEDaS1Q_S1R_EUlS1Q_E_NS1_11comp_targetILNS1_3genE3ELNS1_11target_archE908ELNS1_3gpuE7ELNS1_3repE0EEENS1_30default_config_static_selectorELNS0_4arch9wavefront6targetE1EEEvS13_
	.p2align	8
	.type	_ZN7rocprim17ROCPRIM_400000_NS6detail17trampoline_kernelINS0_13select_configILj256ELj13ELNS0_17block_load_methodE3ELS4_3ELS4_3ELNS0_20block_scan_algorithmE0ELj4294967295EEENS1_25partition_config_selectorILNS1_17partition_subalgoE4EjNS0_10empty_typeEbEEZZNS1_14partition_implILS8_4ELb0ES6_15HIP_vector_typeIjLj2EENS0_17counting_iteratorIjlEEPS9_SG_NS0_5tupleIJPjSI_NS0_16reverse_iteratorISI_EEEEENSH_IJSG_SG_SG_EEES9_SI_JZNS1_25segmented_radix_sort_implINS0_14default_configELb0EPK6__halfPSP_PKlPlN2at6native12_GLOBAL__N_18offset_tEEE10hipError_tPvRmT1_PNSt15iterator_traitsIS13_E10value_typeET2_T3_PNS14_IS19_E10value_typeET4_jRbjT5_S1F_jjP12ihipStream_tbEUljE_ZNSN_ISO_Lb0ESR_SS_SU_SV_SZ_EES10_S11_S12_S13_S17_S18_S19_S1C_S1D_jS1E_jS1F_S1F_jjS1H_bEUljE0_EEES10_S11_S12_S19_S1D_S1F_T6_T7_T9_mT8_S1H_bDpT10_ENKUlT_T0_E_clISt17integral_constantIbLb0EES1V_EEDaS1Q_S1R_EUlS1Q_E_NS1_11comp_targetILNS1_3genE3ELNS1_11target_archE908ELNS1_3gpuE7ELNS1_3repE0EEENS1_30default_config_static_selectorELNS0_4arch9wavefront6targetE1EEEvS13_,@function
_ZN7rocprim17ROCPRIM_400000_NS6detail17trampoline_kernelINS0_13select_configILj256ELj13ELNS0_17block_load_methodE3ELS4_3ELS4_3ELNS0_20block_scan_algorithmE0ELj4294967295EEENS1_25partition_config_selectorILNS1_17partition_subalgoE4EjNS0_10empty_typeEbEEZZNS1_14partition_implILS8_4ELb0ES6_15HIP_vector_typeIjLj2EENS0_17counting_iteratorIjlEEPS9_SG_NS0_5tupleIJPjSI_NS0_16reverse_iteratorISI_EEEEENSH_IJSG_SG_SG_EEES9_SI_JZNS1_25segmented_radix_sort_implINS0_14default_configELb0EPK6__halfPSP_PKlPlN2at6native12_GLOBAL__N_18offset_tEEE10hipError_tPvRmT1_PNSt15iterator_traitsIS13_E10value_typeET2_T3_PNS14_IS19_E10value_typeET4_jRbjT5_S1F_jjP12ihipStream_tbEUljE_ZNSN_ISO_Lb0ESR_SS_SU_SV_SZ_EES10_S11_S12_S13_S17_S18_S19_S1C_S1D_jS1E_jS1F_S1F_jjS1H_bEUljE0_EEES10_S11_S12_S19_S1D_S1F_T6_T7_T9_mT8_S1H_bDpT10_ENKUlT_T0_E_clISt17integral_constantIbLb0EES1V_EEDaS1Q_S1R_EUlS1Q_E_NS1_11comp_targetILNS1_3genE3ELNS1_11target_archE908ELNS1_3gpuE7ELNS1_3repE0EEENS1_30default_config_static_selectorELNS0_4arch9wavefront6targetE1EEEvS13_: ; @_ZN7rocprim17ROCPRIM_400000_NS6detail17trampoline_kernelINS0_13select_configILj256ELj13ELNS0_17block_load_methodE3ELS4_3ELS4_3ELNS0_20block_scan_algorithmE0ELj4294967295EEENS1_25partition_config_selectorILNS1_17partition_subalgoE4EjNS0_10empty_typeEbEEZZNS1_14partition_implILS8_4ELb0ES6_15HIP_vector_typeIjLj2EENS0_17counting_iteratorIjlEEPS9_SG_NS0_5tupleIJPjSI_NS0_16reverse_iteratorISI_EEEEENSH_IJSG_SG_SG_EEES9_SI_JZNS1_25segmented_radix_sort_implINS0_14default_configELb0EPK6__halfPSP_PKlPlN2at6native12_GLOBAL__N_18offset_tEEE10hipError_tPvRmT1_PNSt15iterator_traitsIS13_E10value_typeET2_T3_PNS14_IS19_E10value_typeET4_jRbjT5_S1F_jjP12ihipStream_tbEUljE_ZNSN_ISO_Lb0ESR_SS_SU_SV_SZ_EES10_S11_S12_S13_S17_S18_S19_S1C_S1D_jS1E_jS1F_S1F_jjS1H_bEUljE0_EEES10_S11_S12_S19_S1D_S1F_T6_T7_T9_mT8_S1H_bDpT10_ENKUlT_T0_E_clISt17integral_constantIbLb0EES1V_EEDaS1Q_S1R_EUlS1Q_E_NS1_11comp_targetILNS1_3genE3ELNS1_11target_archE908ELNS1_3gpuE7ELNS1_3repE0EEENS1_30default_config_static_selectorELNS0_4arch9wavefront6targetE1EEEvS13_
; %bb.0:
	.section	.rodata,"a",@progbits
	.p2align	6, 0x0
	.amdhsa_kernel _ZN7rocprim17ROCPRIM_400000_NS6detail17trampoline_kernelINS0_13select_configILj256ELj13ELNS0_17block_load_methodE3ELS4_3ELS4_3ELNS0_20block_scan_algorithmE0ELj4294967295EEENS1_25partition_config_selectorILNS1_17partition_subalgoE4EjNS0_10empty_typeEbEEZZNS1_14partition_implILS8_4ELb0ES6_15HIP_vector_typeIjLj2EENS0_17counting_iteratorIjlEEPS9_SG_NS0_5tupleIJPjSI_NS0_16reverse_iteratorISI_EEEEENSH_IJSG_SG_SG_EEES9_SI_JZNS1_25segmented_radix_sort_implINS0_14default_configELb0EPK6__halfPSP_PKlPlN2at6native12_GLOBAL__N_18offset_tEEE10hipError_tPvRmT1_PNSt15iterator_traitsIS13_E10value_typeET2_T3_PNS14_IS19_E10value_typeET4_jRbjT5_S1F_jjP12ihipStream_tbEUljE_ZNSN_ISO_Lb0ESR_SS_SU_SV_SZ_EES10_S11_S12_S13_S17_S18_S19_S1C_S1D_jS1E_jS1F_S1F_jjS1H_bEUljE0_EEES10_S11_S12_S19_S1D_S1F_T6_T7_T9_mT8_S1H_bDpT10_ENKUlT_T0_E_clISt17integral_constantIbLb0EES1V_EEDaS1Q_S1R_EUlS1Q_E_NS1_11comp_targetILNS1_3genE3ELNS1_11target_archE908ELNS1_3gpuE7ELNS1_3repE0EEENS1_30default_config_static_selectorELNS0_4arch9wavefront6targetE1EEEvS13_
		.amdhsa_group_segment_fixed_size 0
		.amdhsa_private_segment_fixed_size 0
		.amdhsa_kernarg_size 176
		.amdhsa_user_sgpr_count 6
		.amdhsa_user_sgpr_private_segment_buffer 1
		.amdhsa_user_sgpr_dispatch_ptr 0
		.amdhsa_user_sgpr_queue_ptr 0
		.amdhsa_user_sgpr_kernarg_segment_ptr 1
		.amdhsa_user_sgpr_dispatch_id 0
		.amdhsa_user_sgpr_flat_scratch_init 0
		.amdhsa_user_sgpr_kernarg_preload_length 0
		.amdhsa_user_sgpr_kernarg_preload_offset 0
		.amdhsa_user_sgpr_private_segment_size 0
		.amdhsa_uses_dynamic_stack 0
		.amdhsa_system_sgpr_private_segment_wavefront_offset 0
		.amdhsa_system_sgpr_workgroup_id_x 1
		.amdhsa_system_sgpr_workgroup_id_y 0
		.amdhsa_system_sgpr_workgroup_id_z 0
		.amdhsa_system_sgpr_workgroup_info 0
		.amdhsa_system_vgpr_workitem_id 0
		.amdhsa_next_free_vgpr 1
		.amdhsa_next_free_sgpr 0
		.amdhsa_accum_offset 4
		.amdhsa_reserve_vcc 0
		.amdhsa_reserve_flat_scratch 0
		.amdhsa_float_round_mode_32 0
		.amdhsa_float_round_mode_16_64 0
		.amdhsa_float_denorm_mode_32 3
		.amdhsa_float_denorm_mode_16_64 3
		.amdhsa_dx10_clamp 1
		.amdhsa_ieee_mode 1
		.amdhsa_fp16_overflow 0
		.amdhsa_tg_split 0
		.amdhsa_exception_fp_ieee_invalid_op 0
		.amdhsa_exception_fp_denorm_src 0
		.amdhsa_exception_fp_ieee_div_zero 0
		.amdhsa_exception_fp_ieee_overflow 0
		.amdhsa_exception_fp_ieee_underflow 0
		.amdhsa_exception_fp_ieee_inexact 0
		.amdhsa_exception_int_div_zero 0
	.end_amdhsa_kernel
	.section	.text._ZN7rocprim17ROCPRIM_400000_NS6detail17trampoline_kernelINS0_13select_configILj256ELj13ELNS0_17block_load_methodE3ELS4_3ELS4_3ELNS0_20block_scan_algorithmE0ELj4294967295EEENS1_25partition_config_selectorILNS1_17partition_subalgoE4EjNS0_10empty_typeEbEEZZNS1_14partition_implILS8_4ELb0ES6_15HIP_vector_typeIjLj2EENS0_17counting_iteratorIjlEEPS9_SG_NS0_5tupleIJPjSI_NS0_16reverse_iteratorISI_EEEEENSH_IJSG_SG_SG_EEES9_SI_JZNS1_25segmented_radix_sort_implINS0_14default_configELb0EPK6__halfPSP_PKlPlN2at6native12_GLOBAL__N_18offset_tEEE10hipError_tPvRmT1_PNSt15iterator_traitsIS13_E10value_typeET2_T3_PNS14_IS19_E10value_typeET4_jRbjT5_S1F_jjP12ihipStream_tbEUljE_ZNSN_ISO_Lb0ESR_SS_SU_SV_SZ_EES10_S11_S12_S13_S17_S18_S19_S1C_S1D_jS1E_jS1F_S1F_jjS1H_bEUljE0_EEES10_S11_S12_S19_S1D_S1F_T6_T7_T9_mT8_S1H_bDpT10_ENKUlT_T0_E_clISt17integral_constantIbLb0EES1V_EEDaS1Q_S1R_EUlS1Q_E_NS1_11comp_targetILNS1_3genE3ELNS1_11target_archE908ELNS1_3gpuE7ELNS1_3repE0EEENS1_30default_config_static_selectorELNS0_4arch9wavefront6targetE1EEEvS13_,"axG",@progbits,_ZN7rocprim17ROCPRIM_400000_NS6detail17trampoline_kernelINS0_13select_configILj256ELj13ELNS0_17block_load_methodE3ELS4_3ELS4_3ELNS0_20block_scan_algorithmE0ELj4294967295EEENS1_25partition_config_selectorILNS1_17partition_subalgoE4EjNS0_10empty_typeEbEEZZNS1_14partition_implILS8_4ELb0ES6_15HIP_vector_typeIjLj2EENS0_17counting_iteratorIjlEEPS9_SG_NS0_5tupleIJPjSI_NS0_16reverse_iteratorISI_EEEEENSH_IJSG_SG_SG_EEES9_SI_JZNS1_25segmented_radix_sort_implINS0_14default_configELb0EPK6__halfPSP_PKlPlN2at6native12_GLOBAL__N_18offset_tEEE10hipError_tPvRmT1_PNSt15iterator_traitsIS13_E10value_typeET2_T3_PNS14_IS19_E10value_typeET4_jRbjT5_S1F_jjP12ihipStream_tbEUljE_ZNSN_ISO_Lb0ESR_SS_SU_SV_SZ_EES10_S11_S12_S13_S17_S18_S19_S1C_S1D_jS1E_jS1F_S1F_jjS1H_bEUljE0_EEES10_S11_S12_S19_S1D_S1F_T6_T7_T9_mT8_S1H_bDpT10_ENKUlT_T0_E_clISt17integral_constantIbLb0EES1V_EEDaS1Q_S1R_EUlS1Q_E_NS1_11comp_targetILNS1_3genE3ELNS1_11target_archE908ELNS1_3gpuE7ELNS1_3repE0EEENS1_30default_config_static_selectorELNS0_4arch9wavefront6targetE1EEEvS13_,comdat
.Lfunc_end1779:
	.size	_ZN7rocprim17ROCPRIM_400000_NS6detail17trampoline_kernelINS0_13select_configILj256ELj13ELNS0_17block_load_methodE3ELS4_3ELS4_3ELNS0_20block_scan_algorithmE0ELj4294967295EEENS1_25partition_config_selectorILNS1_17partition_subalgoE4EjNS0_10empty_typeEbEEZZNS1_14partition_implILS8_4ELb0ES6_15HIP_vector_typeIjLj2EENS0_17counting_iteratorIjlEEPS9_SG_NS0_5tupleIJPjSI_NS0_16reverse_iteratorISI_EEEEENSH_IJSG_SG_SG_EEES9_SI_JZNS1_25segmented_radix_sort_implINS0_14default_configELb0EPK6__halfPSP_PKlPlN2at6native12_GLOBAL__N_18offset_tEEE10hipError_tPvRmT1_PNSt15iterator_traitsIS13_E10value_typeET2_T3_PNS14_IS19_E10value_typeET4_jRbjT5_S1F_jjP12ihipStream_tbEUljE_ZNSN_ISO_Lb0ESR_SS_SU_SV_SZ_EES10_S11_S12_S13_S17_S18_S19_S1C_S1D_jS1E_jS1F_S1F_jjS1H_bEUljE0_EEES10_S11_S12_S19_S1D_S1F_T6_T7_T9_mT8_S1H_bDpT10_ENKUlT_T0_E_clISt17integral_constantIbLb0EES1V_EEDaS1Q_S1R_EUlS1Q_E_NS1_11comp_targetILNS1_3genE3ELNS1_11target_archE908ELNS1_3gpuE7ELNS1_3repE0EEENS1_30default_config_static_selectorELNS0_4arch9wavefront6targetE1EEEvS13_, .Lfunc_end1779-_ZN7rocprim17ROCPRIM_400000_NS6detail17trampoline_kernelINS0_13select_configILj256ELj13ELNS0_17block_load_methodE3ELS4_3ELS4_3ELNS0_20block_scan_algorithmE0ELj4294967295EEENS1_25partition_config_selectorILNS1_17partition_subalgoE4EjNS0_10empty_typeEbEEZZNS1_14partition_implILS8_4ELb0ES6_15HIP_vector_typeIjLj2EENS0_17counting_iteratorIjlEEPS9_SG_NS0_5tupleIJPjSI_NS0_16reverse_iteratorISI_EEEEENSH_IJSG_SG_SG_EEES9_SI_JZNS1_25segmented_radix_sort_implINS0_14default_configELb0EPK6__halfPSP_PKlPlN2at6native12_GLOBAL__N_18offset_tEEE10hipError_tPvRmT1_PNSt15iterator_traitsIS13_E10value_typeET2_T3_PNS14_IS19_E10value_typeET4_jRbjT5_S1F_jjP12ihipStream_tbEUljE_ZNSN_ISO_Lb0ESR_SS_SU_SV_SZ_EES10_S11_S12_S13_S17_S18_S19_S1C_S1D_jS1E_jS1F_S1F_jjS1H_bEUljE0_EEES10_S11_S12_S19_S1D_S1F_T6_T7_T9_mT8_S1H_bDpT10_ENKUlT_T0_E_clISt17integral_constantIbLb0EES1V_EEDaS1Q_S1R_EUlS1Q_E_NS1_11comp_targetILNS1_3genE3ELNS1_11target_archE908ELNS1_3gpuE7ELNS1_3repE0EEENS1_30default_config_static_selectorELNS0_4arch9wavefront6targetE1EEEvS13_
                                        ; -- End function
	.section	.AMDGPU.csdata,"",@progbits
; Kernel info:
; codeLenInByte = 0
; NumSgprs: 4
; NumVgprs: 0
; NumAgprs: 0
; TotalNumVgprs: 0
; ScratchSize: 0
; MemoryBound: 0
; FloatMode: 240
; IeeeMode: 1
; LDSByteSize: 0 bytes/workgroup (compile time only)
; SGPRBlocks: 0
; VGPRBlocks: 0
; NumSGPRsForWavesPerEU: 4
; NumVGPRsForWavesPerEU: 1
; AccumOffset: 4
; Occupancy: 8
; WaveLimiterHint : 0
; COMPUTE_PGM_RSRC2:SCRATCH_EN: 0
; COMPUTE_PGM_RSRC2:USER_SGPR: 6
; COMPUTE_PGM_RSRC2:TRAP_HANDLER: 0
; COMPUTE_PGM_RSRC2:TGID_X_EN: 1
; COMPUTE_PGM_RSRC2:TGID_Y_EN: 0
; COMPUTE_PGM_RSRC2:TGID_Z_EN: 0
; COMPUTE_PGM_RSRC2:TIDIG_COMP_CNT: 0
; COMPUTE_PGM_RSRC3_GFX90A:ACCUM_OFFSET: 0
; COMPUTE_PGM_RSRC3_GFX90A:TG_SPLIT: 0
	.section	.text._ZN7rocprim17ROCPRIM_400000_NS6detail17trampoline_kernelINS0_13select_configILj256ELj13ELNS0_17block_load_methodE3ELS4_3ELS4_3ELNS0_20block_scan_algorithmE0ELj4294967295EEENS1_25partition_config_selectorILNS1_17partition_subalgoE4EjNS0_10empty_typeEbEEZZNS1_14partition_implILS8_4ELb0ES6_15HIP_vector_typeIjLj2EENS0_17counting_iteratorIjlEEPS9_SG_NS0_5tupleIJPjSI_NS0_16reverse_iteratorISI_EEEEENSH_IJSG_SG_SG_EEES9_SI_JZNS1_25segmented_radix_sort_implINS0_14default_configELb0EPK6__halfPSP_PKlPlN2at6native12_GLOBAL__N_18offset_tEEE10hipError_tPvRmT1_PNSt15iterator_traitsIS13_E10value_typeET2_T3_PNS14_IS19_E10value_typeET4_jRbjT5_S1F_jjP12ihipStream_tbEUljE_ZNSN_ISO_Lb0ESR_SS_SU_SV_SZ_EES10_S11_S12_S13_S17_S18_S19_S1C_S1D_jS1E_jS1F_S1F_jjS1H_bEUljE0_EEES10_S11_S12_S19_S1D_S1F_T6_T7_T9_mT8_S1H_bDpT10_ENKUlT_T0_E_clISt17integral_constantIbLb0EES1V_EEDaS1Q_S1R_EUlS1Q_E_NS1_11comp_targetILNS1_3genE2ELNS1_11target_archE906ELNS1_3gpuE6ELNS1_3repE0EEENS1_30default_config_static_selectorELNS0_4arch9wavefront6targetE1EEEvS13_,"axG",@progbits,_ZN7rocprim17ROCPRIM_400000_NS6detail17trampoline_kernelINS0_13select_configILj256ELj13ELNS0_17block_load_methodE3ELS4_3ELS4_3ELNS0_20block_scan_algorithmE0ELj4294967295EEENS1_25partition_config_selectorILNS1_17partition_subalgoE4EjNS0_10empty_typeEbEEZZNS1_14partition_implILS8_4ELb0ES6_15HIP_vector_typeIjLj2EENS0_17counting_iteratorIjlEEPS9_SG_NS0_5tupleIJPjSI_NS0_16reverse_iteratorISI_EEEEENSH_IJSG_SG_SG_EEES9_SI_JZNS1_25segmented_radix_sort_implINS0_14default_configELb0EPK6__halfPSP_PKlPlN2at6native12_GLOBAL__N_18offset_tEEE10hipError_tPvRmT1_PNSt15iterator_traitsIS13_E10value_typeET2_T3_PNS14_IS19_E10value_typeET4_jRbjT5_S1F_jjP12ihipStream_tbEUljE_ZNSN_ISO_Lb0ESR_SS_SU_SV_SZ_EES10_S11_S12_S13_S17_S18_S19_S1C_S1D_jS1E_jS1F_S1F_jjS1H_bEUljE0_EEES10_S11_S12_S19_S1D_S1F_T6_T7_T9_mT8_S1H_bDpT10_ENKUlT_T0_E_clISt17integral_constantIbLb0EES1V_EEDaS1Q_S1R_EUlS1Q_E_NS1_11comp_targetILNS1_3genE2ELNS1_11target_archE906ELNS1_3gpuE6ELNS1_3repE0EEENS1_30default_config_static_selectorELNS0_4arch9wavefront6targetE1EEEvS13_,comdat
	.globl	_ZN7rocprim17ROCPRIM_400000_NS6detail17trampoline_kernelINS0_13select_configILj256ELj13ELNS0_17block_load_methodE3ELS4_3ELS4_3ELNS0_20block_scan_algorithmE0ELj4294967295EEENS1_25partition_config_selectorILNS1_17partition_subalgoE4EjNS0_10empty_typeEbEEZZNS1_14partition_implILS8_4ELb0ES6_15HIP_vector_typeIjLj2EENS0_17counting_iteratorIjlEEPS9_SG_NS0_5tupleIJPjSI_NS0_16reverse_iteratorISI_EEEEENSH_IJSG_SG_SG_EEES9_SI_JZNS1_25segmented_radix_sort_implINS0_14default_configELb0EPK6__halfPSP_PKlPlN2at6native12_GLOBAL__N_18offset_tEEE10hipError_tPvRmT1_PNSt15iterator_traitsIS13_E10value_typeET2_T3_PNS14_IS19_E10value_typeET4_jRbjT5_S1F_jjP12ihipStream_tbEUljE_ZNSN_ISO_Lb0ESR_SS_SU_SV_SZ_EES10_S11_S12_S13_S17_S18_S19_S1C_S1D_jS1E_jS1F_S1F_jjS1H_bEUljE0_EEES10_S11_S12_S19_S1D_S1F_T6_T7_T9_mT8_S1H_bDpT10_ENKUlT_T0_E_clISt17integral_constantIbLb0EES1V_EEDaS1Q_S1R_EUlS1Q_E_NS1_11comp_targetILNS1_3genE2ELNS1_11target_archE906ELNS1_3gpuE6ELNS1_3repE0EEENS1_30default_config_static_selectorELNS0_4arch9wavefront6targetE1EEEvS13_ ; -- Begin function _ZN7rocprim17ROCPRIM_400000_NS6detail17trampoline_kernelINS0_13select_configILj256ELj13ELNS0_17block_load_methodE3ELS4_3ELS4_3ELNS0_20block_scan_algorithmE0ELj4294967295EEENS1_25partition_config_selectorILNS1_17partition_subalgoE4EjNS0_10empty_typeEbEEZZNS1_14partition_implILS8_4ELb0ES6_15HIP_vector_typeIjLj2EENS0_17counting_iteratorIjlEEPS9_SG_NS0_5tupleIJPjSI_NS0_16reverse_iteratorISI_EEEEENSH_IJSG_SG_SG_EEES9_SI_JZNS1_25segmented_radix_sort_implINS0_14default_configELb0EPK6__halfPSP_PKlPlN2at6native12_GLOBAL__N_18offset_tEEE10hipError_tPvRmT1_PNSt15iterator_traitsIS13_E10value_typeET2_T3_PNS14_IS19_E10value_typeET4_jRbjT5_S1F_jjP12ihipStream_tbEUljE_ZNSN_ISO_Lb0ESR_SS_SU_SV_SZ_EES10_S11_S12_S13_S17_S18_S19_S1C_S1D_jS1E_jS1F_S1F_jjS1H_bEUljE0_EEES10_S11_S12_S19_S1D_S1F_T6_T7_T9_mT8_S1H_bDpT10_ENKUlT_T0_E_clISt17integral_constantIbLb0EES1V_EEDaS1Q_S1R_EUlS1Q_E_NS1_11comp_targetILNS1_3genE2ELNS1_11target_archE906ELNS1_3gpuE6ELNS1_3repE0EEENS1_30default_config_static_selectorELNS0_4arch9wavefront6targetE1EEEvS13_
	.p2align	8
	.type	_ZN7rocprim17ROCPRIM_400000_NS6detail17trampoline_kernelINS0_13select_configILj256ELj13ELNS0_17block_load_methodE3ELS4_3ELS4_3ELNS0_20block_scan_algorithmE0ELj4294967295EEENS1_25partition_config_selectorILNS1_17partition_subalgoE4EjNS0_10empty_typeEbEEZZNS1_14partition_implILS8_4ELb0ES6_15HIP_vector_typeIjLj2EENS0_17counting_iteratorIjlEEPS9_SG_NS0_5tupleIJPjSI_NS0_16reverse_iteratorISI_EEEEENSH_IJSG_SG_SG_EEES9_SI_JZNS1_25segmented_radix_sort_implINS0_14default_configELb0EPK6__halfPSP_PKlPlN2at6native12_GLOBAL__N_18offset_tEEE10hipError_tPvRmT1_PNSt15iterator_traitsIS13_E10value_typeET2_T3_PNS14_IS19_E10value_typeET4_jRbjT5_S1F_jjP12ihipStream_tbEUljE_ZNSN_ISO_Lb0ESR_SS_SU_SV_SZ_EES10_S11_S12_S13_S17_S18_S19_S1C_S1D_jS1E_jS1F_S1F_jjS1H_bEUljE0_EEES10_S11_S12_S19_S1D_S1F_T6_T7_T9_mT8_S1H_bDpT10_ENKUlT_T0_E_clISt17integral_constantIbLb0EES1V_EEDaS1Q_S1R_EUlS1Q_E_NS1_11comp_targetILNS1_3genE2ELNS1_11target_archE906ELNS1_3gpuE6ELNS1_3repE0EEENS1_30default_config_static_selectorELNS0_4arch9wavefront6targetE1EEEvS13_,@function
_ZN7rocprim17ROCPRIM_400000_NS6detail17trampoline_kernelINS0_13select_configILj256ELj13ELNS0_17block_load_methodE3ELS4_3ELS4_3ELNS0_20block_scan_algorithmE0ELj4294967295EEENS1_25partition_config_selectorILNS1_17partition_subalgoE4EjNS0_10empty_typeEbEEZZNS1_14partition_implILS8_4ELb0ES6_15HIP_vector_typeIjLj2EENS0_17counting_iteratorIjlEEPS9_SG_NS0_5tupleIJPjSI_NS0_16reverse_iteratorISI_EEEEENSH_IJSG_SG_SG_EEES9_SI_JZNS1_25segmented_radix_sort_implINS0_14default_configELb0EPK6__halfPSP_PKlPlN2at6native12_GLOBAL__N_18offset_tEEE10hipError_tPvRmT1_PNSt15iterator_traitsIS13_E10value_typeET2_T3_PNS14_IS19_E10value_typeET4_jRbjT5_S1F_jjP12ihipStream_tbEUljE_ZNSN_ISO_Lb0ESR_SS_SU_SV_SZ_EES10_S11_S12_S13_S17_S18_S19_S1C_S1D_jS1E_jS1F_S1F_jjS1H_bEUljE0_EEES10_S11_S12_S19_S1D_S1F_T6_T7_T9_mT8_S1H_bDpT10_ENKUlT_T0_E_clISt17integral_constantIbLb0EES1V_EEDaS1Q_S1R_EUlS1Q_E_NS1_11comp_targetILNS1_3genE2ELNS1_11target_archE906ELNS1_3gpuE6ELNS1_3repE0EEENS1_30default_config_static_selectorELNS0_4arch9wavefront6targetE1EEEvS13_: ; @_ZN7rocprim17ROCPRIM_400000_NS6detail17trampoline_kernelINS0_13select_configILj256ELj13ELNS0_17block_load_methodE3ELS4_3ELS4_3ELNS0_20block_scan_algorithmE0ELj4294967295EEENS1_25partition_config_selectorILNS1_17partition_subalgoE4EjNS0_10empty_typeEbEEZZNS1_14partition_implILS8_4ELb0ES6_15HIP_vector_typeIjLj2EENS0_17counting_iteratorIjlEEPS9_SG_NS0_5tupleIJPjSI_NS0_16reverse_iteratorISI_EEEEENSH_IJSG_SG_SG_EEES9_SI_JZNS1_25segmented_radix_sort_implINS0_14default_configELb0EPK6__halfPSP_PKlPlN2at6native12_GLOBAL__N_18offset_tEEE10hipError_tPvRmT1_PNSt15iterator_traitsIS13_E10value_typeET2_T3_PNS14_IS19_E10value_typeET4_jRbjT5_S1F_jjP12ihipStream_tbEUljE_ZNSN_ISO_Lb0ESR_SS_SU_SV_SZ_EES10_S11_S12_S13_S17_S18_S19_S1C_S1D_jS1E_jS1F_S1F_jjS1H_bEUljE0_EEES10_S11_S12_S19_S1D_S1F_T6_T7_T9_mT8_S1H_bDpT10_ENKUlT_T0_E_clISt17integral_constantIbLb0EES1V_EEDaS1Q_S1R_EUlS1Q_E_NS1_11comp_targetILNS1_3genE2ELNS1_11target_archE906ELNS1_3gpuE6ELNS1_3repE0EEENS1_30default_config_static_selectorELNS0_4arch9wavefront6targetE1EEEvS13_
; %bb.0:
	.section	.rodata,"a",@progbits
	.p2align	6, 0x0
	.amdhsa_kernel _ZN7rocprim17ROCPRIM_400000_NS6detail17trampoline_kernelINS0_13select_configILj256ELj13ELNS0_17block_load_methodE3ELS4_3ELS4_3ELNS0_20block_scan_algorithmE0ELj4294967295EEENS1_25partition_config_selectorILNS1_17partition_subalgoE4EjNS0_10empty_typeEbEEZZNS1_14partition_implILS8_4ELb0ES6_15HIP_vector_typeIjLj2EENS0_17counting_iteratorIjlEEPS9_SG_NS0_5tupleIJPjSI_NS0_16reverse_iteratorISI_EEEEENSH_IJSG_SG_SG_EEES9_SI_JZNS1_25segmented_radix_sort_implINS0_14default_configELb0EPK6__halfPSP_PKlPlN2at6native12_GLOBAL__N_18offset_tEEE10hipError_tPvRmT1_PNSt15iterator_traitsIS13_E10value_typeET2_T3_PNS14_IS19_E10value_typeET4_jRbjT5_S1F_jjP12ihipStream_tbEUljE_ZNSN_ISO_Lb0ESR_SS_SU_SV_SZ_EES10_S11_S12_S13_S17_S18_S19_S1C_S1D_jS1E_jS1F_S1F_jjS1H_bEUljE0_EEES10_S11_S12_S19_S1D_S1F_T6_T7_T9_mT8_S1H_bDpT10_ENKUlT_T0_E_clISt17integral_constantIbLb0EES1V_EEDaS1Q_S1R_EUlS1Q_E_NS1_11comp_targetILNS1_3genE2ELNS1_11target_archE906ELNS1_3gpuE6ELNS1_3repE0EEENS1_30default_config_static_selectorELNS0_4arch9wavefront6targetE1EEEvS13_
		.amdhsa_group_segment_fixed_size 0
		.amdhsa_private_segment_fixed_size 0
		.amdhsa_kernarg_size 176
		.amdhsa_user_sgpr_count 6
		.amdhsa_user_sgpr_private_segment_buffer 1
		.amdhsa_user_sgpr_dispatch_ptr 0
		.amdhsa_user_sgpr_queue_ptr 0
		.amdhsa_user_sgpr_kernarg_segment_ptr 1
		.amdhsa_user_sgpr_dispatch_id 0
		.amdhsa_user_sgpr_flat_scratch_init 0
		.amdhsa_user_sgpr_kernarg_preload_length 0
		.amdhsa_user_sgpr_kernarg_preload_offset 0
		.amdhsa_user_sgpr_private_segment_size 0
		.amdhsa_uses_dynamic_stack 0
		.amdhsa_system_sgpr_private_segment_wavefront_offset 0
		.amdhsa_system_sgpr_workgroup_id_x 1
		.amdhsa_system_sgpr_workgroup_id_y 0
		.amdhsa_system_sgpr_workgroup_id_z 0
		.amdhsa_system_sgpr_workgroup_info 0
		.amdhsa_system_vgpr_workitem_id 0
		.amdhsa_next_free_vgpr 1
		.amdhsa_next_free_sgpr 0
		.amdhsa_accum_offset 4
		.amdhsa_reserve_vcc 0
		.amdhsa_reserve_flat_scratch 0
		.amdhsa_float_round_mode_32 0
		.amdhsa_float_round_mode_16_64 0
		.amdhsa_float_denorm_mode_32 3
		.amdhsa_float_denorm_mode_16_64 3
		.amdhsa_dx10_clamp 1
		.amdhsa_ieee_mode 1
		.amdhsa_fp16_overflow 0
		.amdhsa_tg_split 0
		.amdhsa_exception_fp_ieee_invalid_op 0
		.amdhsa_exception_fp_denorm_src 0
		.amdhsa_exception_fp_ieee_div_zero 0
		.amdhsa_exception_fp_ieee_overflow 0
		.amdhsa_exception_fp_ieee_underflow 0
		.amdhsa_exception_fp_ieee_inexact 0
		.amdhsa_exception_int_div_zero 0
	.end_amdhsa_kernel
	.section	.text._ZN7rocprim17ROCPRIM_400000_NS6detail17trampoline_kernelINS0_13select_configILj256ELj13ELNS0_17block_load_methodE3ELS4_3ELS4_3ELNS0_20block_scan_algorithmE0ELj4294967295EEENS1_25partition_config_selectorILNS1_17partition_subalgoE4EjNS0_10empty_typeEbEEZZNS1_14partition_implILS8_4ELb0ES6_15HIP_vector_typeIjLj2EENS0_17counting_iteratorIjlEEPS9_SG_NS0_5tupleIJPjSI_NS0_16reverse_iteratorISI_EEEEENSH_IJSG_SG_SG_EEES9_SI_JZNS1_25segmented_radix_sort_implINS0_14default_configELb0EPK6__halfPSP_PKlPlN2at6native12_GLOBAL__N_18offset_tEEE10hipError_tPvRmT1_PNSt15iterator_traitsIS13_E10value_typeET2_T3_PNS14_IS19_E10value_typeET4_jRbjT5_S1F_jjP12ihipStream_tbEUljE_ZNSN_ISO_Lb0ESR_SS_SU_SV_SZ_EES10_S11_S12_S13_S17_S18_S19_S1C_S1D_jS1E_jS1F_S1F_jjS1H_bEUljE0_EEES10_S11_S12_S19_S1D_S1F_T6_T7_T9_mT8_S1H_bDpT10_ENKUlT_T0_E_clISt17integral_constantIbLb0EES1V_EEDaS1Q_S1R_EUlS1Q_E_NS1_11comp_targetILNS1_3genE2ELNS1_11target_archE906ELNS1_3gpuE6ELNS1_3repE0EEENS1_30default_config_static_selectorELNS0_4arch9wavefront6targetE1EEEvS13_,"axG",@progbits,_ZN7rocprim17ROCPRIM_400000_NS6detail17trampoline_kernelINS0_13select_configILj256ELj13ELNS0_17block_load_methodE3ELS4_3ELS4_3ELNS0_20block_scan_algorithmE0ELj4294967295EEENS1_25partition_config_selectorILNS1_17partition_subalgoE4EjNS0_10empty_typeEbEEZZNS1_14partition_implILS8_4ELb0ES6_15HIP_vector_typeIjLj2EENS0_17counting_iteratorIjlEEPS9_SG_NS0_5tupleIJPjSI_NS0_16reverse_iteratorISI_EEEEENSH_IJSG_SG_SG_EEES9_SI_JZNS1_25segmented_radix_sort_implINS0_14default_configELb0EPK6__halfPSP_PKlPlN2at6native12_GLOBAL__N_18offset_tEEE10hipError_tPvRmT1_PNSt15iterator_traitsIS13_E10value_typeET2_T3_PNS14_IS19_E10value_typeET4_jRbjT5_S1F_jjP12ihipStream_tbEUljE_ZNSN_ISO_Lb0ESR_SS_SU_SV_SZ_EES10_S11_S12_S13_S17_S18_S19_S1C_S1D_jS1E_jS1F_S1F_jjS1H_bEUljE0_EEES10_S11_S12_S19_S1D_S1F_T6_T7_T9_mT8_S1H_bDpT10_ENKUlT_T0_E_clISt17integral_constantIbLb0EES1V_EEDaS1Q_S1R_EUlS1Q_E_NS1_11comp_targetILNS1_3genE2ELNS1_11target_archE906ELNS1_3gpuE6ELNS1_3repE0EEENS1_30default_config_static_selectorELNS0_4arch9wavefront6targetE1EEEvS13_,comdat
.Lfunc_end1780:
	.size	_ZN7rocprim17ROCPRIM_400000_NS6detail17trampoline_kernelINS0_13select_configILj256ELj13ELNS0_17block_load_methodE3ELS4_3ELS4_3ELNS0_20block_scan_algorithmE0ELj4294967295EEENS1_25partition_config_selectorILNS1_17partition_subalgoE4EjNS0_10empty_typeEbEEZZNS1_14partition_implILS8_4ELb0ES6_15HIP_vector_typeIjLj2EENS0_17counting_iteratorIjlEEPS9_SG_NS0_5tupleIJPjSI_NS0_16reverse_iteratorISI_EEEEENSH_IJSG_SG_SG_EEES9_SI_JZNS1_25segmented_radix_sort_implINS0_14default_configELb0EPK6__halfPSP_PKlPlN2at6native12_GLOBAL__N_18offset_tEEE10hipError_tPvRmT1_PNSt15iterator_traitsIS13_E10value_typeET2_T3_PNS14_IS19_E10value_typeET4_jRbjT5_S1F_jjP12ihipStream_tbEUljE_ZNSN_ISO_Lb0ESR_SS_SU_SV_SZ_EES10_S11_S12_S13_S17_S18_S19_S1C_S1D_jS1E_jS1F_S1F_jjS1H_bEUljE0_EEES10_S11_S12_S19_S1D_S1F_T6_T7_T9_mT8_S1H_bDpT10_ENKUlT_T0_E_clISt17integral_constantIbLb0EES1V_EEDaS1Q_S1R_EUlS1Q_E_NS1_11comp_targetILNS1_3genE2ELNS1_11target_archE906ELNS1_3gpuE6ELNS1_3repE0EEENS1_30default_config_static_selectorELNS0_4arch9wavefront6targetE1EEEvS13_, .Lfunc_end1780-_ZN7rocprim17ROCPRIM_400000_NS6detail17trampoline_kernelINS0_13select_configILj256ELj13ELNS0_17block_load_methodE3ELS4_3ELS4_3ELNS0_20block_scan_algorithmE0ELj4294967295EEENS1_25partition_config_selectorILNS1_17partition_subalgoE4EjNS0_10empty_typeEbEEZZNS1_14partition_implILS8_4ELb0ES6_15HIP_vector_typeIjLj2EENS0_17counting_iteratorIjlEEPS9_SG_NS0_5tupleIJPjSI_NS0_16reverse_iteratorISI_EEEEENSH_IJSG_SG_SG_EEES9_SI_JZNS1_25segmented_radix_sort_implINS0_14default_configELb0EPK6__halfPSP_PKlPlN2at6native12_GLOBAL__N_18offset_tEEE10hipError_tPvRmT1_PNSt15iterator_traitsIS13_E10value_typeET2_T3_PNS14_IS19_E10value_typeET4_jRbjT5_S1F_jjP12ihipStream_tbEUljE_ZNSN_ISO_Lb0ESR_SS_SU_SV_SZ_EES10_S11_S12_S13_S17_S18_S19_S1C_S1D_jS1E_jS1F_S1F_jjS1H_bEUljE0_EEES10_S11_S12_S19_S1D_S1F_T6_T7_T9_mT8_S1H_bDpT10_ENKUlT_T0_E_clISt17integral_constantIbLb0EES1V_EEDaS1Q_S1R_EUlS1Q_E_NS1_11comp_targetILNS1_3genE2ELNS1_11target_archE906ELNS1_3gpuE6ELNS1_3repE0EEENS1_30default_config_static_selectorELNS0_4arch9wavefront6targetE1EEEvS13_
                                        ; -- End function
	.section	.AMDGPU.csdata,"",@progbits
; Kernel info:
; codeLenInByte = 0
; NumSgprs: 4
; NumVgprs: 0
; NumAgprs: 0
; TotalNumVgprs: 0
; ScratchSize: 0
; MemoryBound: 0
; FloatMode: 240
; IeeeMode: 1
; LDSByteSize: 0 bytes/workgroup (compile time only)
; SGPRBlocks: 0
; VGPRBlocks: 0
; NumSGPRsForWavesPerEU: 4
; NumVGPRsForWavesPerEU: 1
; AccumOffset: 4
; Occupancy: 8
; WaveLimiterHint : 0
; COMPUTE_PGM_RSRC2:SCRATCH_EN: 0
; COMPUTE_PGM_RSRC2:USER_SGPR: 6
; COMPUTE_PGM_RSRC2:TRAP_HANDLER: 0
; COMPUTE_PGM_RSRC2:TGID_X_EN: 1
; COMPUTE_PGM_RSRC2:TGID_Y_EN: 0
; COMPUTE_PGM_RSRC2:TGID_Z_EN: 0
; COMPUTE_PGM_RSRC2:TIDIG_COMP_CNT: 0
; COMPUTE_PGM_RSRC3_GFX90A:ACCUM_OFFSET: 0
; COMPUTE_PGM_RSRC3_GFX90A:TG_SPLIT: 0
	.section	.text._ZN7rocprim17ROCPRIM_400000_NS6detail17trampoline_kernelINS0_13select_configILj256ELj13ELNS0_17block_load_methodE3ELS4_3ELS4_3ELNS0_20block_scan_algorithmE0ELj4294967295EEENS1_25partition_config_selectorILNS1_17partition_subalgoE4EjNS0_10empty_typeEbEEZZNS1_14partition_implILS8_4ELb0ES6_15HIP_vector_typeIjLj2EENS0_17counting_iteratorIjlEEPS9_SG_NS0_5tupleIJPjSI_NS0_16reverse_iteratorISI_EEEEENSH_IJSG_SG_SG_EEES9_SI_JZNS1_25segmented_radix_sort_implINS0_14default_configELb0EPK6__halfPSP_PKlPlN2at6native12_GLOBAL__N_18offset_tEEE10hipError_tPvRmT1_PNSt15iterator_traitsIS13_E10value_typeET2_T3_PNS14_IS19_E10value_typeET4_jRbjT5_S1F_jjP12ihipStream_tbEUljE_ZNSN_ISO_Lb0ESR_SS_SU_SV_SZ_EES10_S11_S12_S13_S17_S18_S19_S1C_S1D_jS1E_jS1F_S1F_jjS1H_bEUljE0_EEES10_S11_S12_S19_S1D_S1F_T6_T7_T9_mT8_S1H_bDpT10_ENKUlT_T0_E_clISt17integral_constantIbLb0EES1V_EEDaS1Q_S1R_EUlS1Q_E_NS1_11comp_targetILNS1_3genE10ELNS1_11target_archE1200ELNS1_3gpuE4ELNS1_3repE0EEENS1_30default_config_static_selectorELNS0_4arch9wavefront6targetE1EEEvS13_,"axG",@progbits,_ZN7rocprim17ROCPRIM_400000_NS6detail17trampoline_kernelINS0_13select_configILj256ELj13ELNS0_17block_load_methodE3ELS4_3ELS4_3ELNS0_20block_scan_algorithmE0ELj4294967295EEENS1_25partition_config_selectorILNS1_17partition_subalgoE4EjNS0_10empty_typeEbEEZZNS1_14partition_implILS8_4ELb0ES6_15HIP_vector_typeIjLj2EENS0_17counting_iteratorIjlEEPS9_SG_NS0_5tupleIJPjSI_NS0_16reverse_iteratorISI_EEEEENSH_IJSG_SG_SG_EEES9_SI_JZNS1_25segmented_radix_sort_implINS0_14default_configELb0EPK6__halfPSP_PKlPlN2at6native12_GLOBAL__N_18offset_tEEE10hipError_tPvRmT1_PNSt15iterator_traitsIS13_E10value_typeET2_T3_PNS14_IS19_E10value_typeET4_jRbjT5_S1F_jjP12ihipStream_tbEUljE_ZNSN_ISO_Lb0ESR_SS_SU_SV_SZ_EES10_S11_S12_S13_S17_S18_S19_S1C_S1D_jS1E_jS1F_S1F_jjS1H_bEUljE0_EEES10_S11_S12_S19_S1D_S1F_T6_T7_T9_mT8_S1H_bDpT10_ENKUlT_T0_E_clISt17integral_constantIbLb0EES1V_EEDaS1Q_S1R_EUlS1Q_E_NS1_11comp_targetILNS1_3genE10ELNS1_11target_archE1200ELNS1_3gpuE4ELNS1_3repE0EEENS1_30default_config_static_selectorELNS0_4arch9wavefront6targetE1EEEvS13_,comdat
	.globl	_ZN7rocprim17ROCPRIM_400000_NS6detail17trampoline_kernelINS0_13select_configILj256ELj13ELNS0_17block_load_methodE3ELS4_3ELS4_3ELNS0_20block_scan_algorithmE0ELj4294967295EEENS1_25partition_config_selectorILNS1_17partition_subalgoE4EjNS0_10empty_typeEbEEZZNS1_14partition_implILS8_4ELb0ES6_15HIP_vector_typeIjLj2EENS0_17counting_iteratorIjlEEPS9_SG_NS0_5tupleIJPjSI_NS0_16reverse_iteratorISI_EEEEENSH_IJSG_SG_SG_EEES9_SI_JZNS1_25segmented_radix_sort_implINS0_14default_configELb0EPK6__halfPSP_PKlPlN2at6native12_GLOBAL__N_18offset_tEEE10hipError_tPvRmT1_PNSt15iterator_traitsIS13_E10value_typeET2_T3_PNS14_IS19_E10value_typeET4_jRbjT5_S1F_jjP12ihipStream_tbEUljE_ZNSN_ISO_Lb0ESR_SS_SU_SV_SZ_EES10_S11_S12_S13_S17_S18_S19_S1C_S1D_jS1E_jS1F_S1F_jjS1H_bEUljE0_EEES10_S11_S12_S19_S1D_S1F_T6_T7_T9_mT8_S1H_bDpT10_ENKUlT_T0_E_clISt17integral_constantIbLb0EES1V_EEDaS1Q_S1R_EUlS1Q_E_NS1_11comp_targetILNS1_3genE10ELNS1_11target_archE1200ELNS1_3gpuE4ELNS1_3repE0EEENS1_30default_config_static_selectorELNS0_4arch9wavefront6targetE1EEEvS13_ ; -- Begin function _ZN7rocprim17ROCPRIM_400000_NS6detail17trampoline_kernelINS0_13select_configILj256ELj13ELNS0_17block_load_methodE3ELS4_3ELS4_3ELNS0_20block_scan_algorithmE0ELj4294967295EEENS1_25partition_config_selectorILNS1_17partition_subalgoE4EjNS0_10empty_typeEbEEZZNS1_14partition_implILS8_4ELb0ES6_15HIP_vector_typeIjLj2EENS0_17counting_iteratorIjlEEPS9_SG_NS0_5tupleIJPjSI_NS0_16reverse_iteratorISI_EEEEENSH_IJSG_SG_SG_EEES9_SI_JZNS1_25segmented_radix_sort_implINS0_14default_configELb0EPK6__halfPSP_PKlPlN2at6native12_GLOBAL__N_18offset_tEEE10hipError_tPvRmT1_PNSt15iterator_traitsIS13_E10value_typeET2_T3_PNS14_IS19_E10value_typeET4_jRbjT5_S1F_jjP12ihipStream_tbEUljE_ZNSN_ISO_Lb0ESR_SS_SU_SV_SZ_EES10_S11_S12_S13_S17_S18_S19_S1C_S1D_jS1E_jS1F_S1F_jjS1H_bEUljE0_EEES10_S11_S12_S19_S1D_S1F_T6_T7_T9_mT8_S1H_bDpT10_ENKUlT_T0_E_clISt17integral_constantIbLb0EES1V_EEDaS1Q_S1R_EUlS1Q_E_NS1_11comp_targetILNS1_3genE10ELNS1_11target_archE1200ELNS1_3gpuE4ELNS1_3repE0EEENS1_30default_config_static_selectorELNS0_4arch9wavefront6targetE1EEEvS13_
	.p2align	8
	.type	_ZN7rocprim17ROCPRIM_400000_NS6detail17trampoline_kernelINS0_13select_configILj256ELj13ELNS0_17block_load_methodE3ELS4_3ELS4_3ELNS0_20block_scan_algorithmE0ELj4294967295EEENS1_25partition_config_selectorILNS1_17partition_subalgoE4EjNS0_10empty_typeEbEEZZNS1_14partition_implILS8_4ELb0ES6_15HIP_vector_typeIjLj2EENS0_17counting_iteratorIjlEEPS9_SG_NS0_5tupleIJPjSI_NS0_16reverse_iteratorISI_EEEEENSH_IJSG_SG_SG_EEES9_SI_JZNS1_25segmented_radix_sort_implINS0_14default_configELb0EPK6__halfPSP_PKlPlN2at6native12_GLOBAL__N_18offset_tEEE10hipError_tPvRmT1_PNSt15iterator_traitsIS13_E10value_typeET2_T3_PNS14_IS19_E10value_typeET4_jRbjT5_S1F_jjP12ihipStream_tbEUljE_ZNSN_ISO_Lb0ESR_SS_SU_SV_SZ_EES10_S11_S12_S13_S17_S18_S19_S1C_S1D_jS1E_jS1F_S1F_jjS1H_bEUljE0_EEES10_S11_S12_S19_S1D_S1F_T6_T7_T9_mT8_S1H_bDpT10_ENKUlT_T0_E_clISt17integral_constantIbLb0EES1V_EEDaS1Q_S1R_EUlS1Q_E_NS1_11comp_targetILNS1_3genE10ELNS1_11target_archE1200ELNS1_3gpuE4ELNS1_3repE0EEENS1_30default_config_static_selectorELNS0_4arch9wavefront6targetE1EEEvS13_,@function
_ZN7rocprim17ROCPRIM_400000_NS6detail17trampoline_kernelINS0_13select_configILj256ELj13ELNS0_17block_load_methodE3ELS4_3ELS4_3ELNS0_20block_scan_algorithmE0ELj4294967295EEENS1_25partition_config_selectorILNS1_17partition_subalgoE4EjNS0_10empty_typeEbEEZZNS1_14partition_implILS8_4ELb0ES6_15HIP_vector_typeIjLj2EENS0_17counting_iteratorIjlEEPS9_SG_NS0_5tupleIJPjSI_NS0_16reverse_iteratorISI_EEEEENSH_IJSG_SG_SG_EEES9_SI_JZNS1_25segmented_radix_sort_implINS0_14default_configELb0EPK6__halfPSP_PKlPlN2at6native12_GLOBAL__N_18offset_tEEE10hipError_tPvRmT1_PNSt15iterator_traitsIS13_E10value_typeET2_T3_PNS14_IS19_E10value_typeET4_jRbjT5_S1F_jjP12ihipStream_tbEUljE_ZNSN_ISO_Lb0ESR_SS_SU_SV_SZ_EES10_S11_S12_S13_S17_S18_S19_S1C_S1D_jS1E_jS1F_S1F_jjS1H_bEUljE0_EEES10_S11_S12_S19_S1D_S1F_T6_T7_T9_mT8_S1H_bDpT10_ENKUlT_T0_E_clISt17integral_constantIbLb0EES1V_EEDaS1Q_S1R_EUlS1Q_E_NS1_11comp_targetILNS1_3genE10ELNS1_11target_archE1200ELNS1_3gpuE4ELNS1_3repE0EEENS1_30default_config_static_selectorELNS0_4arch9wavefront6targetE1EEEvS13_: ; @_ZN7rocprim17ROCPRIM_400000_NS6detail17trampoline_kernelINS0_13select_configILj256ELj13ELNS0_17block_load_methodE3ELS4_3ELS4_3ELNS0_20block_scan_algorithmE0ELj4294967295EEENS1_25partition_config_selectorILNS1_17partition_subalgoE4EjNS0_10empty_typeEbEEZZNS1_14partition_implILS8_4ELb0ES6_15HIP_vector_typeIjLj2EENS0_17counting_iteratorIjlEEPS9_SG_NS0_5tupleIJPjSI_NS0_16reverse_iteratorISI_EEEEENSH_IJSG_SG_SG_EEES9_SI_JZNS1_25segmented_radix_sort_implINS0_14default_configELb0EPK6__halfPSP_PKlPlN2at6native12_GLOBAL__N_18offset_tEEE10hipError_tPvRmT1_PNSt15iterator_traitsIS13_E10value_typeET2_T3_PNS14_IS19_E10value_typeET4_jRbjT5_S1F_jjP12ihipStream_tbEUljE_ZNSN_ISO_Lb0ESR_SS_SU_SV_SZ_EES10_S11_S12_S13_S17_S18_S19_S1C_S1D_jS1E_jS1F_S1F_jjS1H_bEUljE0_EEES10_S11_S12_S19_S1D_S1F_T6_T7_T9_mT8_S1H_bDpT10_ENKUlT_T0_E_clISt17integral_constantIbLb0EES1V_EEDaS1Q_S1R_EUlS1Q_E_NS1_11comp_targetILNS1_3genE10ELNS1_11target_archE1200ELNS1_3gpuE4ELNS1_3repE0EEENS1_30default_config_static_selectorELNS0_4arch9wavefront6targetE1EEEvS13_
; %bb.0:
	.section	.rodata,"a",@progbits
	.p2align	6, 0x0
	.amdhsa_kernel _ZN7rocprim17ROCPRIM_400000_NS6detail17trampoline_kernelINS0_13select_configILj256ELj13ELNS0_17block_load_methodE3ELS4_3ELS4_3ELNS0_20block_scan_algorithmE0ELj4294967295EEENS1_25partition_config_selectorILNS1_17partition_subalgoE4EjNS0_10empty_typeEbEEZZNS1_14partition_implILS8_4ELb0ES6_15HIP_vector_typeIjLj2EENS0_17counting_iteratorIjlEEPS9_SG_NS0_5tupleIJPjSI_NS0_16reverse_iteratorISI_EEEEENSH_IJSG_SG_SG_EEES9_SI_JZNS1_25segmented_radix_sort_implINS0_14default_configELb0EPK6__halfPSP_PKlPlN2at6native12_GLOBAL__N_18offset_tEEE10hipError_tPvRmT1_PNSt15iterator_traitsIS13_E10value_typeET2_T3_PNS14_IS19_E10value_typeET4_jRbjT5_S1F_jjP12ihipStream_tbEUljE_ZNSN_ISO_Lb0ESR_SS_SU_SV_SZ_EES10_S11_S12_S13_S17_S18_S19_S1C_S1D_jS1E_jS1F_S1F_jjS1H_bEUljE0_EEES10_S11_S12_S19_S1D_S1F_T6_T7_T9_mT8_S1H_bDpT10_ENKUlT_T0_E_clISt17integral_constantIbLb0EES1V_EEDaS1Q_S1R_EUlS1Q_E_NS1_11comp_targetILNS1_3genE10ELNS1_11target_archE1200ELNS1_3gpuE4ELNS1_3repE0EEENS1_30default_config_static_selectorELNS0_4arch9wavefront6targetE1EEEvS13_
		.amdhsa_group_segment_fixed_size 0
		.amdhsa_private_segment_fixed_size 0
		.amdhsa_kernarg_size 176
		.amdhsa_user_sgpr_count 6
		.amdhsa_user_sgpr_private_segment_buffer 1
		.amdhsa_user_sgpr_dispatch_ptr 0
		.amdhsa_user_sgpr_queue_ptr 0
		.amdhsa_user_sgpr_kernarg_segment_ptr 1
		.amdhsa_user_sgpr_dispatch_id 0
		.amdhsa_user_sgpr_flat_scratch_init 0
		.amdhsa_user_sgpr_kernarg_preload_length 0
		.amdhsa_user_sgpr_kernarg_preload_offset 0
		.amdhsa_user_sgpr_private_segment_size 0
		.amdhsa_uses_dynamic_stack 0
		.amdhsa_system_sgpr_private_segment_wavefront_offset 0
		.amdhsa_system_sgpr_workgroup_id_x 1
		.amdhsa_system_sgpr_workgroup_id_y 0
		.amdhsa_system_sgpr_workgroup_id_z 0
		.amdhsa_system_sgpr_workgroup_info 0
		.amdhsa_system_vgpr_workitem_id 0
		.amdhsa_next_free_vgpr 1
		.amdhsa_next_free_sgpr 0
		.amdhsa_accum_offset 4
		.amdhsa_reserve_vcc 0
		.amdhsa_reserve_flat_scratch 0
		.amdhsa_float_round_mode_32 0
		.amdhsa_float_round_mode_16_64 0
		.amdhsa_float_denorm_mode_32 3
		.amdhsa_float_denorm_mode_16_64 3
		.amdhsa_dx10_clamp 1
		.amdhsa_ieee_mode 1
		.amdhsa_fp16_overflow 0
		.amdhsa_tg_split 0
		.amdhsa_exception_fp_ieee_invalid_op 0
		.amdhsa_exception_fp_denorm_src 0
		.amdhsa_exception_fp_ieee_div_zero 0
		.amdhsa_exception_fp_ieee_overflow 0
		.amdhsa_exception_fp_ieee_underflow 0
		.amdhsa_exception_fp_ieee_inexact 0
		.amdhsa_exception_int_div_zero 0
	.end_amdhsa_kernel
	.section	.text._ZN7rocprim17ROCPRIM_400000_NS6detail17trampoline_kernelINS0_13select_configILj256ELj13ELNS0_17block_load_methodE3ELS4_3ELS4_3ELNS0_20block_scan_algorithmE0ELj4294967295EEENS1_25partition_config_selectorILNS1_17partition_subalgoE4EjNS0_10empty_typeEbEEZZNS1_14partition_implILS8_4ELb0ES6_15HIP_vector_typeIjLj2EENS0_17counting_iteratorIjlEEPS9_SG_NS0_5tupleIJPjSI_NS0_16reverse_iteratorISI_EEEEENSH_IJSG_SG_SG_EEES9_SI_JZNS1_25segmented_radix_sort_implINS0_14default_configELb0EPK6__halfPSP_PKlPlN2at6native12_GLOBAL__N_18offset_tEEE10hipError_tPvRmT1_PNSt15iterator_traitsIS13_E10value_typeET2_T3_PNS14_IS19_E10value_typeET4_jRbjT5_S1F_jjP12ihipStream_tbEUljE_ZNSN_ISO_Lb0ESR_SS_SU_SV_SZ_EES10_S11_S12_S13_S17_S18_S19_S1C_S1D_jS1E_jS1F_S1F_jjS1H_bEUljE0_EEES10_S11_S12_S19_S1D_S1F_T6_T7_T9_mT8_S1H_bDpT10_ENKUlT_T0_E_clISt17integral_constantIbLb0EES1V_EEDaS1Q_S1R_EUlS1Q_E_NS1_11comp_targetILNS1_3genE10ELNS1_11target_archE1200ELNS1_3gpuE4ELNS1_3repE0EEENS1_30default_config_static_selectorELNS0_4arch9wavefront6targetE1EEEvS13_,"axG",@progbits,_ZN7rocprim17ROCPRIM_400000_NS6detail17trampoline_kernelINS0_13select_configILj256ELj13ELNS0_17block_load_methodE3ELS4_3ELS4_3ELNS0_20block_scan_algorithmE0ELj4294967295EEENS1_25partition_config_selectorILNS1_17partition_subalgoE4EjNS0_10empty_typeEbEEZZNS1_14partition_implILS8_4ELb0ES6_15HIP_vector_typeIjLj2EENS0_17counting_iteratorIjlEEPS9_SG_NS0_5tupleIJPjSI_NS0_16reverse_iteratorISI_EEEEENSH_IJSG_SG_SG_EEES9_SI_JZNS1_25segmented_radix_sort_implINS0_14default_configELb0EPK6__halfPSP_PKlPlN2at6native12_GLOBAL__N_18offset_tEEE10hipError_tPvRmT1_PNSt15iterator_traitsIS13_E10value_typeET2_T3_PNS14_IS19_E10value_typeET4_jRbjT5_S1F_jjP12ihipStream_tbEUljE_ZNSN_ISO_Lb0ESR_SS_SU_SV_SZ_EES10_S11_S12_S13_S17_S18_S19_S1C_S1D_jS1E_jS1F_S1F_jjS1H_bEUljE0_EEES10_S11_S12_S19_S1D_S1F_T6_T7_T9_mT8_S1H_bDpT10_ENKUlT_T0_E_clISt17integral_constantIbLb0EES1V_EEDaS1Q_S1R_EUlS1Q_E_NS1_11comp_targetILNS1_3genE10ELNS1_11target_archE1200ELNS1_3gpuE4ELNS1_3repE0EEENS1_30default_config_static_selectorELNS0_4arch9wavefront6targetE1EEEvS13_,comdat
.Lfunc_end1781:
	.size	_ZN7rocprim17ROCPRIM_400000_NS6detail17trampoline_kernelINS0_13select_configILj256ELj13ELNS0_17block_load_methodE3ELS4_3ELS4_3ELNS0_20block_scan_algorithmE0ELj4294967295EEENS1_25partition_config_selectorILNS1_17partition_subalgoE4EjNS0_10empty_typeEbEEZZNS1_14partition_implILS8_4ELb0ES6_15HIP_vector_typeIjLj2EENS0_17counting_iteratorIjlEEPS9_SG_NS0_5tupleIJPjSI_NS0_16reverse_iteratorISI_EEEEENSH_IJSG_SG_SG_EEES9_SI_JZNS1_25segmented_radix_sort_implINS0_14default_configELb0EPK6__halfPSP_PKlPlN2at6native12_GLOBAL__N_18offset_tEEE10hipError_tPvRmT1_PNSt15iterator_traitsIS13_E10value_typeET2_T3_PNS14_IS19_E10value_typeET4_jRbjT5_S1F_jjP12ihipStream_tbEUljE_ZNSN_ISO_Lb0ESR_SS_SU_SV_SZ_EES10_S11_S12_S13_S17_S18_S19_S1C_S1D_jS1E_jS1F_S1F_jjS1H_bEUljE0_EEES10_S11_S12_S19_S1D_S1F_T6_T7_T9_mT8_S1H_bDpT10_ENKUlT_T0_E_clISt17integral_constantIbLb0EES1V_EEDaS1Q_S1R_EUlS1Q_E_NS1_11comp_targetILNS1_3genE10ELNS1_11target_archE1200ELNS1_3gpuE4ELNS1_3repE0EEENS1_30default_config_static_selectorELNS0_4arch9wavefront6targetE1EEEvS13_, .Lfunc_end1781-_ZN7rocprim17ROCPRIM_400000_NS6detail17trampoline_kernelINS0_13select_configILj256ELj13ELNS0_17block_load_methodE3ELS4_3ELS4_3ELNS0_20block_scan_algorithmE0ELj4294967295EEENS1_25partition_config_selectorILNS1_17partition_subalgoE4EjNS0_10empty_typeEbEEZZNS1_14partition_implILS8_4ELb0ES6_15HIP_vector_typeIjLj2EENS0_17counting_iteratorIjlEEPS9_SG_NS0_5tupleIJPjSI_NS0_16reverse_iteratorISI_EEEEENSH_IJSG_SG_SG_EEES9_SI_JZNS1_25segmented_radix_sort_implINS0_14default_configELb0EPK6__halfPSP_PKlPlN2at6native12_GLOBAL__N_18offset_tEEE10hipError_tPvRmT1_PNSt15iterator_traitsIS13_E10value_typeET2_T3_PNS14_IS19_E10value_typeET4_jRbjT5_S1F_jjP12ihipStream_tbEUljE_ZNSN_ISO_Lb0ESR_SS_SU_SV_SZ_EES10_S11_S12_S13_S17_S18_S19_S1C_S1D_jS1E_jS1F_S1F_jjS1H_bEUljE0_EEES10_S11_S12_S19_S1D_S1F_T6_T7_T9_mT8_S1H_bDpT10_ENKUlT_T0_E_clISt17integral_constantIbLb0EES1V_EEDaS1Q_S1R_EUlS1Q_E_NS1_11comp_targetILNS1_3genE10ELNS1_11target_archE1200ELNS1_3gpuE4ELNS1_3repE0EEENS1_30default_config_static_selectorELNS0_4arch9wavefront6targetE1EEEvS13_
                                        ; -- End function
	.section	.AMDGPU.csdata,"",@progbits
; Kernel info:
; codeLenInByte = 0
; NumSgprs: 4
; NumVgprs: 0
; NumAgprs: 0
; TotalNumVgprs: 0
; ScratchSize: 0
; MemoryBound: 0
; FloatMode: 240
; IeeeMode: 1
; LDSByteSize: 0 bytes/workgroup (compile time only)
; SGPRBlocks: 0
; VGPRBlocks: 0
; NumSGPRsForWavesPerEU: 4
; NumVGPRsForWavesPerEU: 1
; AccumOffset: 4
; Occupancy: 8
; WaveLimiterHint : 0
; COMPUTE_PGM_RSRC2:SCRATCH_EN: 0
; COMPUTE_PGM_RSRC2:USER_SGPR: 6
; COMPUTE_PGM_RSRC2:TRAP_HANDLER: 0
; COMPUTE_PGM_RSRC2:TGID_X_EN: 1
; COMPUTE_PGM_RSRC2:TGID_Y_EN: 0
; COMPUTE_PGM_RSRC2:TGID_Z_EN: 0
; COMPUTE_PGM_RSRC2:TIDIG_COMP_CNT: 0
; COMPUTE_PGM_RSRC3_GFX90A:ACCUM_OFFSET: 0
; COMPUTE_PGM_RSRC3_GFX90A:TG_SPLIT: 0
	.section	.text._ZN7rocprim17ROCPRIM_400000_NS6detail17trampoline_kernelINS0_13select_configILj256ELj13ELNS0_17block_load_methodE3ELS4_3ELS4_3ELNS0_20block_scan_algorithmE0ELj4294967295EEENS1_25partition_config_selectorILNS1_17partition_subalgoE4EjNS0_10empty_typeEbEEZZNS1_14partition_implILS8_4ELb0ES6_15HIP_vector_typeIjLj2EENS0_17counting_iteratorIjlEEPS9_SG_NS0_5tupleIJPjSI_NS0_16reverse_iteratorISI_EEEEENSH_IJSG_SG_SG_EEES9_SI_JZNS1_25segmented_radix_sort_implINS0_14default_configELb0EPK6__halfPSP_PKlPlN2at6native12_GLOBAL__N_18offset_tEEE10hipError_tPvRmT1_PNSt15iterator_traitsIS13_E10value_typeET2_T3_PNS14_IS19_E10value_typeET4_jRbjT5_S1F_jjP12ihipStream_tbEUljE_ZNSN_ISO_Lb0ESR_SS_SU_SV_SZ_EES10_S11_S12_S13_S17_S18_S19_S1C_S1D_jS1E_jS1F_S1F_jjS1H_bEUljE0_EEES10_S11_S12_S19_S1D_S1F_T6_T7_T9_mT8_S1H_bDpT10_ENKUlT_T0_E_clISt17integral_constantIbLb0EES1V_EEDaS1Q_S1R_EUlS1Q_E_NS1_11comp_targetILNS1_3genE9ELNS1_11target_archE1100ELNS1_3gpuE3ELNS1_3repE0EEENS1_30default_config_static_selectorELNS0_4arch9wavefront6targetE1EEEvS13_,"axG",@progbits,_ZN7rocprim17ROCPRIM_400000_NS6detail17trampoline_kernelINS0_13select_configILj256ELj13ELNS0_17block_load_methodE3ELS4_3ELS4_3ELNS0_20block_scan_algorithmE0ELj4294967295EEENS1_25partition_config_selectorILNS1_17partition_subalgoE4EjNS0_10empty_typeEbEEZZNS1_14partition_implILS8_4ELb0ES6_15HIP_vector_typeIjLj2EENS0_17counting_iteratorIjlEEPS9_SG_NS0_5tupleIJPjSI_NS0_16reverse_iteratorISI_EEEEENSH_IJSG_SG_SG_EEES9_SI_JZNS1_25segmented_radix_sort_implINS0_14default_configELb0EPK6__halfPSP_PKlPlN2at6native12_GLOBAL__N_18offset_tEEE10hipError_tPvRmT1_PNSt15iterator_traitsIS13_E10value_typeET2_T3_PNS14_IS19_E10value_typeET4_jRbjT5_S1F_jjP12ihipStream_tbEUljE_ZNSN_ISO_Lb0ESR_SS_SU_SV_SZ_EES10_S11_S12_S13_S17_S18_S19_S1C_S1D_jS1E_jS1F_S1F_jjS1H_bEUljE0_EEES10_S11_S12_S19_S1D_S1F_T6_T7_T9_mT8_S1H_bDpT10_ENKUlT_T0_E_clISt17integral_constantIbLb0EES1V_EEDaS1Q_S1R_EUlS1Q_E_NS1_11comp_targetILNS1_3genE9ELNS1_11target_archE1100ELNS1_3gpuE3ELNS1_3repE0EEENS1_30default_config_static_selectorELNS0_4arch9wavefront6targetE1EEEvS13_,comdat
	.globl	_ZN7rocprim17ROCPRIM_400000_NS6detail17trampoline_kernelINS0_13select_configILj256ELj13ELNS0_17block_load_methodE3ELS4_3ELS4_3ELNS0_20block_scan_algorithmE0ELj4294967295EEENS1_25partition_config_selectorILNS1_17partition_subalgoE4EjNS0_10empty_typeEbEEZZNS1_14partition_implILS8_4ELb0ES6_15HIP_vector_typeIjLj2EENS0_17counting_iteratorIjlEEPS9_SG_NS0_5tupleIJPjSI_NS0_16reverse_iteratorISI_EEEEENSH_IJSG_SG_SG_EEES9_SI_JZNS1_25segmented_radix_sort_implINS0_14default_configELb0EPK6__halfPSP_PKlPlN2at6native12_GLOBAL__N_18offset_tEEE10hipError_tPvRmT1_PNSt15iterator_traitsIS13_E10value_typeET2_T3_PNS14_IS19_E10value_typeET4_jRbjT5_S1F_jjP12ihipStream_tbEUljE_ZNSN_ISO_Lb0ESR_SS_SU_SV_SZ_EES10_S11_S12_S13_S17_S18_S19_S1C_S1D_jS1E_jS1F_S1F_jjS1H_bEUljE0_EEES10_S11_S12_S19_S1D_S1F_T6_T7_T9_mT8_S1H_bDpT10_ENKUlT_T0_E_clISt17integral_constantIbLb0EES1V_EEDaS1Q_S1R_EUlS1Q_E_NS1_11comp_targetILNS1_3genE9ELNS1_11target_archE1100ELNS1_3gpuE3ELNS1_3repE0EEENS1_30default_config_static_selectorELNS0_4arch9wavefront6targetE1EEEvS13_ ; -- Begin function _ZN7rocprim17ROCPRIM_400000_NS6detail17trampoline_kernelINS0_13select_configILj256ELj13ELNS0_17block_load_methodE3ELS4_3ELS4_3ELNS0_20block_scan_algorithmE0ELj4294967295EEENS1_25partition_config_selectorILNS1_17partition_subalgoE4EjNS0_10empty_typeEbEEZZNS1_14partition_implILS8_4ELb0ES6_15HIP_vector_typeIjLj2EENS0_17counting_iteratorIjlEEPS9_SG_NS0_5tupleIJPjSI_NS0_16reverse_iteratorISI_EEEEENSH_IJSG_SG_SG_EEES9_SI_JZNS1_25segmented_radix_sort_implINS0_14default_configELb0EPK6__halfPSP_PKlPlN2at6native12_GLOBAL__N_18offset_tEEE10hipError_tPvRmT1_PNSt15iterator_traitsIS13_E10value_typeET2_T3_PNS14_IS19_E10value_typeET4_jRbjT5_S1F_jjP12ihipStream_tbEUljE_ZNSN_ISO_Lb0ESR_SS_SU_SV_SZ_EES10_S11_S12_S13_S17_S18_S19_S1C_S1D_jS1E_jS1F_S1F_jjS1H_bEUljE0_EEES10_S11_S12_S19_S1D_S1F_T6_T7_T9_mT8_S1H_bDpT10_ENKUlT_T0_E_clISt17integral_constantIbLb0EES1V_EEDaS1Q_S1R_EUlS1Q_E_NS1_11comp_targetILNS1_3genE9ELNS1_11target_archE1100ELNS1_3gpuE3ELNS1_3repE0EEENS1_30default_config_static_selectorELNS0_4arch9wavefront6targetE1EEEvS13_
	.p2align	8
	.type	_ZN7rocprim17ROCPRIM_400000_NS6detail17trampoline_kernelINS0_13select_configILj256ELj13ELNS0_17block_load_methodE3ELS4_3ELS4_3ELNS0_20block_scan_algorithmE0ELj4294967295EEENS1_25partition_config_selectorILNS1_17partition_subalgoE4EjNS0_10empty_typeEbEEZZNS1_14partition_implILS8_4ELb0ES6_15HIP_vector_typeIjLj2EENS0_17counting_iteratorIjlEEPS9_SG_NS0_5tupleIJPjSI_NS0_16reverse_iteratorISI_EEEEENSH_IJSG_SG_SG_EEES9_SI_JZNS1_25segmented_radix_sort_implINS0_14default_configELb0EPK6__halfPSP_PKlPlN2at6native12_GLOBAL__N_18offset_tEEE10hipError_tPvRmT1_PNSt15iterator_traitsIS13_E10value_typeET2_T3_PNS14_IS19_E10value_typeET4_jRbjT5_S1F_jjP12ihipStream_tbEUljE_ZNSN_ISO_Lb0ESR_SS_SU_SV_SZ_EES10_S11_S12_S13_S17_S18_S19_S1C_S1D_jS1E_jS1F_S1F_jjS1H_bEUljE0_EEES10_S11_S12_S19_S1D_S1F_T6_T7_T9_mT8_S1H_bDpT10_ENKUlT_T0_E_clISt17integral_constantIbLb0EES1V_EEDaS1Q_S1R_EUlS1Q_E_NS1_11comp_targetILNS1_3genE9ELNS1_11target_archE1100ELNS1_3gpuE3ELNS1_3repE0EEENS1_30default_config_static_selectorELNS0_4arch9wavefront6targetE1EEEvS13_,@function
_ZN7rocprim17ROCPRIM_400000_NS6detail17trampoline_kernelINS0_13select_configILj256ELj13ELNS0_17block_load_methodE3ELS4_3ELS4_3ELNS0_20block_scan_algorithmE0ELj4294967295EEENS1_25partition_config_selectorILNS1_17partition_subalgoE4EjNS0_10empty_typeEbEEZZNS1_14partition_implILS8_4ELb0ES6_15HIP_vector_typeIjLj2EENS0_17counting_iteratorIjlEEPS9_SG_NS0_5tupleIJPjSI_NS0_16reverse_iteratorISI_EEEEENSH_IJSG_SG_SG_EEES9_SI_JZNS1_25segmented_radix_sort_implINS0_14default_configELb0EPK6__halfPSP_PKlPlN2at6native12_GLOBAL__N_18offset_tEEE10hipError_tPvRmT1_PNSt15iterator_traitsIS13_E10value_typeET2_T3_PNS14_IS19_E10value_typeET4_jRbjT5_S1F_jjP12ihipStream_tbEUljE_ZNSN_ISO_Lb0ESR_SS_SU_SV_SZ_EES10_S11_S12_S13_S17_S18_S19_S1C_S1D_jS1E_jS1F_S1F_jjS1H_bEUljE0_EEES10_S11_S12_S19_S1D_S1F_T6_T7_T9_mT8_S1H_bDpT10_ENKUlT_T0_E_clISt17integral_constantIbLb0EES1V_EEDaS1Q_S1R_EUlS1Q_E_NS1_11comp_targetILNS1_3genE9ELNS1_11target_archE1100ELNS1_3gpuE3ELNS1_3repE0EEENS1_30default_config_static_selectorELNS0_4arch9wavefront6targetE1EEEvS13_: ; @_ZN7rocprim17ROCPRIM_400000_NS6detail17trampoline_kernelINS0_13select_configILj256ELj13ELNS0_17block_load_methodE3ELS4_3ELS4_3ELNS0_20block_scan_algorithmE0ELj4294967295EEENS1_25partition_config_selectorILNS1_17partition_subalgoE4EjNS0_10empty_typeEbEEZZNS1_14partition_implILS8_4ELb0ES6_15HIP_vector_typeIjLj2EENS0_17counting_iteratorIjlEEPS9_SG_NS0_5tupleIJPjSI_NS0_16reverse_iteratorISI_EEEEENSH_IJSG_SG_SG_EEES9_SI_JZNS1_25segmented_radix_sort_implINS0_14default_configELb0EPK6__halfPSP_PKlPlN2at6native12_GLOBAL__N_18offset_tEEE10hipError_tPvRmT1_PNSt15iterator_traitsIS13_E10value_typeET2_T3_PNS14_IS19_E10value_typeET4_jRbjT5_S1F_jjP12ihipStream_tbEUljE_ZNSN_ISO_Lb0ESR_SS_SU_SV_SZ_EES10_S11_S12_S13_S17_S18_S19_S1C_S1D_jS1E_jS1F_S1F_jjS1H_bEUljE0_EEES10_S11_S12_S19_S1D_S1F_T6_T7_T9_mT8_S1H_bDpT10_ENKUlT_T0_E_clISt17integral_constantIbLb0EES1V_EEDaS1Q_S1R_EUlS1Q_E_NS1_11comp_targetILNS1_3genE9ELNS1_11target_archE1100ELNS1_3gpuE3ELNS1_3repE0EEENS1_30default_config_static_selectorELNS0_4arch9wavefront6targetE1EEEvS13_
; %bb.0:
	.section	.rodata,"a",@progbits
	.p2align	6, 0x0
	.amdhsa_kernel _ZN7rocprim17ROCPRIM_400000_NS6detail17trampoline_kernelINS0_13select_configILj256ELj13ELNS0_17block_load_methodE3ELS4_3ELS4_3ELNS0_20block_scan_algorithmE0ELj4294967295EEENS1_25partition_config_selectorILNS1_17partition_subalgoE4EjNS0_10empty_typeEbEEZZNS1_14partition_implILS8_4ELb0ES6_15HIP_vector_typeIjLj2EENS0_17counting_iteratorIjlEEPS9_SG_NS0_5tupleIJPjSI_NS0_16reverse_iteratorISI_EEEEENSH_IJSG_SG_SG_EEES9_SI_JZNS1_25segmented_radix_sort_implINS0_14default_configELb0EPK6__halfPSP_PKlPlN2at6native12_GLOBAL__N_18offset_tEEE10hipError_tPvRmT1_PNSt15iterator_traitsIS13_E10value_typeET2_T3_PNS14_IS19_E10value_typeET4_jRbjT5_S1F_jjP12ihipStream_tbEUljE_ZNSN_ISO_Lb0ESR_SS_SU_SV_SZ_EES10_S11_S12_S13_S17_S18_S19_S1C_S1D_jS1E_jS1F_S1F_jjS1H_bEUljE0_EEES10_S11_S12_S19_S1D_S1F_T6_T7_T9_mT8_S1H_bDpT10_ENKUlT_T0_E_clISt17integral_constantIbLb0EES1V_EEDaS1Q_S1R_EUlS1Q_E_NS1_11comp_targetILNS1_3genE9ELNS1_11target_archE1100ELNS1_3gpuE3ELNS1_3repE0EEENS1_30default_config_static_selectorELNS0_4arch9wavefront6targetE1EEEvS13_
		.amdhsa_group_segment_fixed_size 0
		.amdhsa_private_segment_fixed_size 0
		.amdhsa_kernarg_size 176
		.amdhsa_user_sgpr_count 6
		.amdhsa_user_sgpr_private_segment_buffer 1
		.amdhsa_user_sgpr_dispatch_ptr 0
		.amdhsa_user_sgpr_queue_ptr 0
		.amdhsa_user_sgpr_kernarg_segment_ptr 1
		.amdhsa_user_sgpr_dispatch_id 0
		.amdhsa_user_sgpr_flat_scratch_init 0
		.amdhsa_user_sgpr_kernarg_preload_length 0
		.amdhsa_user_sgpr_kernarg_preload_offset 0
		.amdhsa_user_sgpr_private_segment_size 0
		.amdhsa_uses_dynamic_stack 0
		.amdhsa_system_sgpr_private_segment_wavefront_offset 0
		.amdhsa_system_sgpr_workgroup_id_x 1
		.amdhsa_system_sgpr_workgroup_id_y 0
		.amdhsa_system_sgpr_workgroup_id_z 0
		.amdhsa_system_sgpr_workgroup_info 0
		.amdhsa_system_vgpr_workitem_id 0
		.amdhsa_next_free_vgpr 1
		.amdhsa_next_free_sgpr 0
		.amdhsa_accum_offset 4
		.amdhsa_reserve_vcc 0
		.amdhsa_reserve_flat_scratch 0
		.amdhsa_float_round_mode_32 0
		.amdhsa_float_round_mode_16_64 0
		.amdhsa_float_denorm_mode_32 3
		.amdhsa_float_denorm_mode_16_64 3
		.amdhsa_dx10_clamp 1
		.amdhsa_ieee_mode 1
		.amdhsa_fp16_overflow 0
		.amdhsa_tg_split 0
		.amdhsa_exception_fp_ieee_invalid_op 0
		.amdhsa_exception_fp_denorm_src 0
		.amdhsa_exception_fp_ieee_div_zero 0
		.amdhsa_exception_fp_ieee_overflow 0
		.amdhsa_exception_fp_ieee_underflow 0
		.amdhsa_exception_fp_ieee_inexact 0
		.amdhsa_exception_int_div_zero 0
	.end_amdhsa_kernel
	.section	.text._ZN7rocprim17ROCPRIM_400000_NS6detail17trampoline_kernelINS0_13select_configILj256ELj13ELNS0_17block_load_methodE3ELS4_3ELS4_3ELNS0_20block_scan_algorithmE0ELj4294967295EEENS1_25partition_config_selectorILNS1_17partition_subalgoE4EjNS0_10empty_typeEbEEZZNS1_14partition_implILS8_4ELb0ES6_15HIP_vector_typeIjLj2EENS0_17counting_iteratorIjlEEPS9_SG_NS0_5tupleIJPjSI_NS0_16reverse_iteratorISI_EEEEENSH_IJSG_SG_SG_EEES9_SI_JZNS1_25segmented_radix_sort_implINS0_14default_configELb0EPK6__halfPSP_PKlPlN2at6native12_GLOBAL__N_18offset_tEEE10hipError_tPvRmT1_PNSt15iterator_traitsIS13_E10value_typeET2_T3_PNS14_IS19_E10value_typeET4_jRbjT5_S1F_jjP12ihipStream_tbEUljE_ZNSN_ISO_Lb0ESR_SS_SU_SV_SZ_EES10_S11_S12_S13_S17_S18_S19_S1C_S1D_jS1E_jS1F_S1F_jjS1H_bEUljE0_EEES10_S11_S12_S19_S1D_S1F_T6_T7_T9_mT8_S1H_bDpT10_ENKUlT_T0_E_clISt17integral_constantIbLb0EES1V_EEDaS1Q_S1R_EUlS1Q_E_NS1_11comp_targetILNS1_3genE9ELNS1_11target_archE1100ELNS1_3gpuE3ELNS1_3repE0EEENS1_30default_config_static_selectorELNS0_4arch9wavefront6targetE1EEEvS13_,"axG",@progbits,_ZN7rocprim17ROCPRIM_400000_NS6detail17trampoline_kernelINS0_13select_configILj256ELj13ELNS0_17block_load_methodE3ELS4_3ELS4_3ELNS0_20block_scan_algorithmE0ELj4294967295EEENS1_25partition_config_selectorILNS1_17partition_subalgoE4EjNS0_10empty_typeEbEEZZNS1_14partition_implILS8_4ELb0ES6_15HIP_vector_typeIjLj2EENS0_17counting_iteratorIjlEEPS9_SG_NS0_5tupleIJPjSI_NS0_16reverse_iteratorISI_EEEEENSH_IJSG_SG_SG_EEES9_SI_JZNS1_25segmented_radix_sort_implINS0_14default_configELb0EPK6__halfPSP_PKlPlN2at6native12_GLOBAL__N_18offset_tEEE10hipError_tPvRmT1_PNSt15iterator_traitsIS13_E10value_typeET2_T3_PNS14_IS19_E10value_typeET4_jRbjT5_S1F_jjP12ihipStream_tbEUljE_ZNSN_ISO_Lb0ESR_SS_SU_SV_SZ_EES10_S11_S12_S13_S17_S18_S19_S1C_S1D_jS1E_jS1F_S1F_jjS1H_bEUljE0_EEES10_S11_S12_S19_S1D_S1F_T6_T7_T9_mT8_S1H_bDpT10_ENKUlT_T0_E_clISt17integral_constantIbLb0EES1V_EEDaS1Q_S1R_EUlS1Q_E_NS1_11comp_targetILNS1_3genE9ELNS1_11target_archE1100ELNS1_3gpuE3ELNS1_3repE0EEENS1_30default_config_static_selectorELNS0_4arch9wavefront6targetE1EEEvS13_,comdat
.Lfunc_end1782:
	.size	_ZN7rocprim17ROCPRIM_400000_NS6detail17trampoline_kernelINS0_13select_configILj256ELj13ELNS0_17block_load_methodE3ELS4_3ELS4_3ELNS0_20block_scan_algorithmE0ELj4294967295EEENS1_25partition_config_selectorILNS1_17partition_subalgoE4EjNS0_10empty_typeEbEEZZNS1_14partition_implILS8_4ELb0ES6_15HIP_vector_typeIjLj2EENS0_17counting_iteratorIjlEEPS9_SG_NS0_5tupleIJPjSI_NS0_16reverse_iteratorISI_EEEEENSH_IJSG_SG_SG_EEES9_SI_JZNS1_25segmented_radix_sort_implINS0_14default_configELb0EPK6__halfPSP_PKlPlN2at6native12_GLOBAL__N_18offset_tEEE10hipError_tPvRmT1_PNSt15iterator_traitsIS13_E10value_typeET2_T3_PNS14_IS19_E10value_typeET4_jRbjT5_S1F_jjP12ihipStream_tbEUljE_ZNSN_ISO_Lb0ESR_SS_SU_SV_SZ_EES10_S11_S12_S13_S17_S18_S19_S1C_S1D_jS1E_jS1F_S1F_jjS1H_bEUljE0_EEES10_S11_S12_S19_S1D_S1F_T6_T7_T9_mT8_S1H_bDpT10_ENKUlT_T0_E_clISt17integral_constantIbLb0EES1V_EEDaS1Q_S1R_EUlS1Q_E_NS1_11comp_targetILNS1_3genE9ELNS1_11target_archE1100ELNS1_3gpuE3ELNS1_3repE0EEENS1_30default_config_static_selectorELNS0_4arch9wavefront6targetE1EEEvS13_, .Lfunc_end1782-_ZN7rocprim17ROCPRIM_400000_NS6detail17trampoline_kernelINS0_13select_configILj256ELj13ELNS0_17block_load_methodE3ELS4_3ELS4_3ELNS0_20block_scan_algorithmE0ELj4294967295EEENS1_25partition_config_selectorILNS1_17partition_subalgoE4EjNS0_10empty_typeEbEEZZNS1_14partition_implILS8_4ELb0ES6_15HIP_vector_typeIjLj2EENS0_17counting_iteratorIjlEEPS9_SG_NS0_5tupleIJPjSI_NS0_16reverse_iteratorISI_EEEEENSH_IJSG_SG_SG_EEES9_SI_JZNS1_25segmented_radix_sort_implINS0_14default_configELb0EPK6__halfPSP_PKlPlN2at6native12_GLOBAL__N_18offset_tEEE10hipError_tPvRmT1_PNSt15iterator_traitsIS13_E10value_typeET2_T3_PNS14_IS19_E10value_typeET4_jRbjT5_S1F_jjP12ihipStream_tbEUljE_ZNSN_ISO_Lb0ESR_SS_SU_SV_SZ_EES10_S11_S12_S13_S17_S18_S19_S1C_S1D_jS1E_jS1F_S1F_jjS1H_bEUljE0_EEES10_S11_S12_S19_S1D_S1F_T6_T7_T9_mT8_S1H_bDpT10_ENKUlT_T0_E_clISt17integral_constantIbLb0EES1V_EEDaS1Q_S1R_EUlS1Q_E_NS1_11comp_targetILNS1_3genE9ELNS1_11target_archE1100ELNS1_3gpuE3ELNS1_3repE0EEENS1_30default_config_static_selectorELNS0_4arch9wavefront6targetE1EEEvS13_
                                        ; -- End function
	.section	.AMDGPU.csdata,"",@progbits
; Kernel info:
; codeLenInByte = 0
; NumSgprs: 4
; NumVgprs: 0
; NumAgprs: 0
; TotalNumVgprs: 0
; ScratchSize: 0
; MemoryBound: 0
; FloatMode: 240
; IeeeMode: 1
; LDSByteSize: 0 bytes/workgroup (compile time only)
; SGPRBlocks: 0
; VGPRBlocks: 0
; NumSGPRsForWavesPerEU: 4
; NumVGPRsForWavesPerEU: 1
; AccumOffset: 4
; Occupancy: 8
; WaveLimiterHint : 0
; COMPUTE_PGM_RSRC2:SCRATCH_EN: 0
; COMPUTE_PGM_RSRC2:USER_SGPR: 6
; COMPUTE_PGM_RSRC2:TRAP_HANDLER: 0
; COMPUTE_PGM_RSRC2:TGID_X_EN: 1
; COMPUTE_PGM_RSRC2:TGID_Y_EN: 0
; COMPUTE_PGM_RSRC2:TGID_Z_EN: 0
; COMPUTE_PGM_RSRC2:TIDIG_COMP_CNT: 0
; COMPUTE_PGM_RSRC3_GFX90A:ACCUM_OFFSET: 0
; COMPUTE_PGM_RSRC3_GFX90A:TG_SPLIT: 0
	.section	.text._ZN7rocprim17ROCPRIM_400000_NS6detail17trampoline_kernelINS0_13select_configILj256ELj13ELNS0_17block_load_methodE3ELS4_3ELS4_3ELNS0_20block_scan_algorithmE0ELj4294967295EEENS1_25partition_config_selectorILNS1_17partition_subalgoE4EjNS0_10empty_typeEbEEZZNS1_14partition_implILS8_4ELb0ES6_15HIP_vector_typeIjLj2EENS0_17counting_iteratorIjlEEPS9_SG_NS0_5tupleIJPjSI_NS0_16reverse_iteratorISI_EEEEENSH_IJSG_SG_SG_EEES9_SI_JZNS1_25segmented_radix_sort_implINS0_14default_configELb0EPK6__halfPSP_PKlPlN2at6native12_GLOBAL__N_18offset_tEEE10hipError_tPvRmT1_PNSt15iterator_traitsIS13_E10value_typeET2_T3_PNS14_IS19_E10value_typeET4_jRbjT5_S1F_jjP12ihipStream_tbEUljE_ZNSN_ISO_Lb0ESR_SS_SU_SV_SZ_EES10_S11_S12_S13_S17_S18_S19_S1C_S1D_jS1E_jS1F_S1F_jjS1H_bEUljE0_EEES10_S11_S12_S19_S1D_S1F_T6_T7_T9_mT8_S1H_bDpT10_ENKUlT_T0_E_clISt17integral_constantIbLb0EES1V_EEDaS1Q_S1R_EUlS1Q_E_NS1_11comp_targetILNS1_3genE8ELNS1_11target_archE1030ELNS1_3gpuE2ELNS1_3repE0EEENS1_30default_config_static_selectorELNS0_4arch9wavefront6targetE1EEEvS13_,"axG",@progbits,_ZN7rocprim17ROCPRIM_400000_NS6detail17trampoline_kernelINS0_13select_configILj256ELj13ELNS0_17block_load_methodE3ELS4_3ELS4_3ELNS0_20block_scan_algorithmE0ELj4294967295EEENS1_25partition_config_selectorILNS1_17partition_subalgoE4EjNS0_10empty_typeEbEEZZNS1_14partition_implILS8_4ELb0ES6_15HIP_vector_typeIjLj2EENS0_17counting_iteratorIjlEEPS9_SG_NS0_5tupleIJPjSI_NS0_16reverse_iteratorISI_EEEEENSH_IJSG_SG_SG_EEES9_SI_JZNS1_25segmented_radix_sort_implINS0_14default_configELb0EPK6__halfPSP_PKlPlN2at6native12_GLOBAL__N_18offset_tEEE10hipError_tPvRmT1_PNSt15iterator_traitsIS13_E10value_typeET2_T3_PNS14_IS19_E10value_typeET4_jRbjT5_S1F_jjP12ihipStream_tbEUljE_ZNSN_ISO_Lb0ESR_SS_SU_SV_SZ_EES10_S11_S12_S13_S17_S18_S19_S1C_S1D_jS1E_jS1F_S1F_jjS1H_bEUljE0_EEES10_S11_S12_S19_S1D_S1F_T6_T7_T9_mT8_S1H_bDpT10_ENKUlT_T0_E_clISt17integral_constantIbLb0EES1V_EEDaS1Q_S1R_EUlS1Q_E_NS1_11comp_targetILNS1_3genE8ELNS1_11target_archE1030ELNS1_3gpuE2ELNS1_3repE0EEENS1_30default_config_static_selectorELNS0_4arch9wavefront6targetE1EEEvS13_,comdat
	.globl	_ZN7rocprim17ROCPRIM_400000_NS6detail17trampoline_kernelINS0_13select_configILj256ELj13ELNS0_17block_load_methodE3ELS4_3ELS4_3ELNS0_20block_scan_algorithmE0ELj4294967295EEENS1_25partition_config_selectorILNS1_17partition_subalgoE4EjNS0_10empty_typeEbEEZZNS1_14partition_implILS8_4ELb0ES6_15HIP_vector_typeIjLj2EENS0_17counting_iteratorIjlEEPS9_SG_NS0_5tupleIJPjSI_NS0_16reverse_iteratorISI_EEEEENSH_IJSG_SG_SG_EEES9_SI_JZNS1_25segmented_radix_sort_implINS0_14default_configELb0EPK6__halfPSP_PKlPlN2at6native12_GLOBAL__N_18offset_tEEE10hipError_tPvRmT1_PNSt15iterator_traitsIS13_E10value_typeET2_T3_PNS14_IS19_E10value_typeET4_jRbjT5_S1F_jjP12ihipStream_tbEUljE_ZNSN_ISO_Lb0ESR_SS_SU_SV_SZ_EES10_S11_S12_S13_S17_S18_S19_S1C_S1D_jS1E_jS1F_S1F_jjS1H_bEUljE0_EEES10_S11_S12_S19_S1D_S1F_T6_T7_T9_mT8_S1H_bDpT10_ENKUlT_T0_E_clISt17integral_constantIbLb0EES1V_EEDaS1Q_S1R_EUlS1Q_E_NS1_11comp_targetILNS1_3genE8ELNS1_11target_archE1030ELNS1_3gpuE2ELNS1_3repE0EEENS1_30default_config_static_selectorELNS0_4arch9wavefront6targetE1EEEvS13_ ; -- Begin function _ZN7rocprim17ROCPRIM_400000_NS6detail17trampoline_kernelINS0_13select_configILj256ELj13ELNS0_17block_load_methodE3ELS4_3ELS4_3ELNS0_20block_scan_algorithmE0ELj4294967295EEENS1_25partition_config_selectorILNS1_17partition_subalgoE4EjNS0_10empty_typeEbEEZZNS1_14partition_implILS8_4ELb0ES6_15HIP_vector_typeIjLj2EENS0_17counting_iteratorIjlEEPS9_SG_NS0_5tupleIJPjSI_NS0_16reverse_iteratorISI_EEEEENSH_IJSG_SG_SG_EEES9_SI_JZNS1_25segmented_radix_sort_implINS0_14default_configELb0EPK6__halfPSP_PKlPlN2at6native12_GLOBAL__N_18offset_tEEE10hipError_tPvRmT1_PNSt15iterator_traitsIS13_E10value_typeET2_T3_PNS14_IS19_E10value_typeET4_jRbjT5_S1F_jjP12ihipStream_tbEUljE_ZNSN_ISO_Lb0ESR_SS_SU_SV_SZ_EES10_S11_S12_S13_S17_S18_S19_S1C_S1D_jS1E_jS1F_S1F_jjS1H_bEUljE0_EEES10_S11_S12_S19_S1D_S1F_T6_T7_T9_mT8_S1H_bDpT10_ENKUlT_T0_E_clISt17integral_constantIbLb0EES1V_EEDaS1Q_S1R_EUlS1Q_E_NS1_11comp_targetILNS1_3genE8ELNS1_11target_archE1030ELNS1_3gpuE2ELNS1_3repE0EEENS1_30default_config_static_selectorELNS0_4arch9wavefront6targetE1EEEvS13_
	.p2align	8
	.type	_ZN7rocprim17ROCPRIM_400000_NS6detail17trampoline_kernelINS0_13select_configILj256ELj13ELNS0_17block_load_methodE3ELS4_3ELS4_3ELNS0_20block_scan_algorithmE0ELj4294967295EEENS1_25partition_config_selectorILNS1_17partition_subalgoE4EjNS0_10empty_typeEbEEZZNS1_14partition_implILS8_4ELb0ES6_15HIP_vector_typeIjLj2EENS0_17counting_iteratorIjlEEPS9_SG_NS0_5tupleIJPjSI_NS0_16reverse_iteratorISI_EEEEENSH_IJSG_SG_SG_EEES9_SI_JZNS1_25segmented_radix_sort_implINS0_14default_configELb0EPK6__halfPSP_PKlPlN2at6native12_GLOBAL__N_18offset_tEEE10hipError_tPvRmT1_PNSt15iterator_traitsIS13_E10value_typeET2_T3_PNS14_IS19_E10value_typeET4_jRbjT5_S1F_jjP12ihipStream_tbEUljE_ZNSN_ISO_Lb0ESR_SS_SU_SV_SZ_EES10_S11_S12_S13_S17_S18_S19_S1C_S1D_jS1E_jS1F_S1F_jjS1H_bEUljE0_EEES10_S11_S12_S19_S1D_S1F_T6_T7_T9_mT8_S1H_bDpT10_ENKUlT_T0_E_clISt17integral_constantIbLb0EES1V_EEDaS1Q_S1R_EUlS1Q_E_NS1_11comp_targetILNS1_3genE8ELNS1_11target_archE1030ELNS1_3gpuE2ELNS1_3repE0EEENS1_30default_config_static_selectorELNS0_4arch9wavefront6targetE1EEEvS13_,@function
_ZN7rocprim17ROCPRIM_400000_NS6detail17trampoline_kernelINS0_13select_configILj256ELj13ELNS0_17block_load_methodE3ELS4_3ELS4_3ELNS0_20block_scan_algorithmE0ELj4294967295EEENS1_25partition_config_selectorILNS1_17partition_subalgoE4EjNS0_10empty_typeEbEEZZNS1_14partition_implILS8_4ELb0ES6_15HIP_vector_typeIjLj2EENS0_17counting_iteratorIjlEEPS9_SG_NS0_5tupleIJPjSI_NS0_16reverse_iteratorISI_EEEEENSH_IJSG_SG_SG_EEES9_SI_JZNS1_25segmented_radix_sort_implINS0_14default_configELb0EPK6__halfPSP_PKlPlN2at6native12_GLOBAL__N_18offset_tEEE10hipError_tPvRmT1_PNSt15iterator_traitsIS13_E10value_typeET2_T3_PNS14_IS19_E10value_typeET4_jRbjT5_S1F_jjP12ihipStream_tbEUljE_ZNSN_ISO_Lb0ESR_SS_SU_SV_SZ_EES10_S11_S12_S13_S17_S18_S19_S1C_S1D_jS1E_jS1F_S1F_jjS1H_bEUljE0_EEES10_S11_S12_S19_S1D_S1F_T6_T7_T9_mT8_S1H_bDpT10_ENKUlT_T0_E_clISt17integral_constantIbLb0EES1V_EEDaS1Q_S1R_EUlS1Q_E_NS1_11comp_targetILNS1_3genE8ELNS1_11target_archE1030ELNS1_3gpuE2ELNS1_3repE0EEENS1_30default_config_static_selectorELNS0_4arch9wavefront6targetE1EEEvS13_: ; @_ZN7rocprim17ROCPRIM_400000_NS6detail17trampoline_kernelINS0_13select_configILj256ELj13ELNS0_17block_load_methodE3ELS4_3ELS4_3ELNS0_20block_scan_algorithmE0ELj4294967295EEENS1_25partition_config_selectorILNS1_17partition_subalgoE4EjNS0_10empty_typeEbEEZZNS1_14partition_implILS8_4ELb0ES6_15HIP_vector_typeIjLj2EENS0_17counting_iteratorIjlEEPS9_SG_NS0_5tupleIJPjSI_NS0_16reverse_iteratorISI_EEEEENSH_IJSG_SG_SG_EEES9_SI_JZNS1_25segmented_radix_sort_implINS0_14default_configELb0EPK6__halfPSP_PKlPlN2at6native12_GLOBAL__N_18offset_tEEE10hipError_tPvRmT1_PNSt15iterator_traitsIS13_E10value_typeET2_T3_PNS14_IS19_E10value_typeET4_jRbjT5_S1F_jjP12ihipStream_tbEUljE_ZNSN_ISO_Lb0ESR_SS_SU_SV_SZ_EES10_S11_S12_S13_S17_S18_S19_S1C_S1D_jS1E_jS1F_S1F_jjS1H_bEUljE0_EEES10_S11_S12_S19_S1D_S1F_T6_T7_T9_mT8_S1H_bDpT10_ENKUlT_T0_E_clISt17integral_constantIbLb0EES1V_EEDaS1Q_S1R_EUlS1Q_E_NS1_11comp_targetILNS1_3genE8ELNS1_11target_archE1030ELNS1_3gpuE2ELNS1_3repE0EEENS1_30default_config_static_selectorELNS0_4arch9wavefront6targetE1EEEvS13_
; %bb.0:
	.section	.rodata,"a",@progbits
	.p2align	6, 0x0
	.amdhsa_kernel _ZN7rocprim17ROCPRIM_400000_NS6detail17trampoline_kernelINS0_13select_configILj256ELj13ELNS0_17block_load_methodE3ELS4_3ELS4_3ELNS0_20block_scan_algorithmE0ELj4294967295EEENS1_25partition_config_selectorILNS1_17partition_subalgoE4EjNS0_10empty_typeEbEEZZNS1_14partition_implILS8_4ELb0ES6_15HIP_vector_typeIjLj2EENS0_17counting_iteratorIjlEEPS9_SG_NS0_5tupleIJPjSI_NS0_16reverse_iteratorISI_EEEEENSH_IJSG_SG_SG_EEES9_SI_JZNS1_25segmented_radix_sort_implINS0_14default_configELb0EPK6__halfPSP_PKlPlN2at6native12_GLOBAL__N_18offset_tEEE10hipError_tPvRmT1_PNSt15iterator_traitsIS13_E10value_typeET2_T3_PNS14_IS19_E10value_typeET4_jRbjT5_S1F_jjP12ihipStream_tbEUljE_ZNSN_ISO_Lb0ESR_SS_SU_SV_SZ_EES10_S11_S12_S13_S17_S18_S19_S1C_S1D_jS1E_jS1F_S1F_jjS1H_bEUljE0_EEES10_S11_S12_S19_S1D_S1F_T6_T7_T9_mT8_S1H_bDpT10_ENKUlT_T0_E_clISt17integral_constantIbLb0EES1V_EEDaS1Q_S1R_EUlS1Q_E_NS1_11comp_targetILNS1_3genE8ELNS1_11target_archE1030ELNS1_3gpuE2ELNS1_3repE0EEENS1_30default_config_static_selectorELNS0_4arch9wavefront6targetE1EEEvS13_
		.amdhsa_group_segment_fixed_size 0
		.amdhsa_private_segment_fixed_size 0
		.amdhsa_kernarg_size 176
		.amdhsa_user_sgpr_count 6
		.amdhsa_user_sgpr_private_segment_buffer 1
		.amdhsa_user_sgpr_dispatch_ptr 0
		.amdhsa_user_sgpr_queue_ptr 0
		.amdhsa_user_sgpr_kernarg_segment_ptr 1
		.amdhsa_user_sgpr_dispatch_id 0
		.amdhsa_user_sgpr_flat_scratch_init 0
		.amdhsa_user_sgpr_kernarg_preload_length 0
		.amdhsa_user_sgpr_kernarg_preload_offset 0
		.amdhsa_user_sgpr_private_segment_size 0
		.amdhsa_uses_dynamic_stack 0
		.amdhsa_system_sgpr_private_segment_wavefront_offset 0
		.amdhsa_system_sgpr_workgroup_id_x 1
		.amdhsa_system_sgpr_workgroup_id_y 0
		.amdhsa_system_sgpr_workgroup_id_z 0
		.amdhsa_system_sgpr_workgroup_info 0
		.amdhsa_system_vgpr_workitem_id 0
		.amdhsa_next_free_vgpr 1
		.amdhsa_next_free_sgpr 0
		.amdhsa_accum_offset 4
		.amdhsa_reserve_vcc 0
		.amdhsa_reserve_flat_scratch 0
		.amdhsa_float_round_mode_32 0
		.amdhsa_float_round_mode_16_64 0
		.amdhsa_float_denorm_mode_32 3
		.amdhsa_float_denorm_mode_16_64 3
		.amdhsa_dx10_clamp 1
		.amdhsa_ieee_mode 1
		.amdhsa_fp16_overflow 0
		.amdhsa_tg_split 0
		.amdhsa_exception_fp_ieee_invalid_op 0
		.amdhsa_exception_fp_denorm_src 0
		.amdhsa_exception_fp_ieee_div_zero 0
		.amdhsa_exception_fp_ieee_overflow 0
		.amdhsa_exception_fp_ieee_underflow 0
		.amdhsa_exception_fp_ieee_inexact 0
		.amdhsa_exception_int_div_zero 0
	.end_amdhsa_kernel
	.section	.text._ZN7rocprim17ROCPRIM_400000_NS6detail17trampoline_kernelINS0_13select_configILj256ELj13ELNS0_17block_load_methodE3ELS4_3ELS4_3ELNS0_20block_scan_algorithmE0ELj4294967295EEENS1_25partition_config_selectorILNS1_17partition_subalgoE4EjNS0_10empty_typeEbEEZZNS1_14partition_implILS8_4ELb0ES6_15HIP_vector_typeIjLj2EENS0_17counting_iteratorIjlEEPS9_SG_NS0_5tupleIJPjSI_NS0_16reverse_iteratorISI_EEEEENSH_IJSG_SG_SG_EEES9_SI_JZNS1_25segmented_radix_sort_implINS0_14default_configELb0EPK6__halfPSP_PKlPlN2at6native12_GLOBAL__N_18offset_tEEE10hipError_tPvRmT1_PNSt15iterator_traitsIS13_E10value_typeET2_T3_PNS14_IS19_E10value_typeET4_jRbjT5_S1F_jjP12ihipStream_tbEUljE_ZNSN_ISO_Lb0ESR_SS_SU_SV_SZ_EES10_S11_S12_S13_S17_S18_S19_S1C_S1D_jS1E_jS1F_S1F_jjS1H_bEUljE0_EEES10_S11_S12_S19_S1D_S1F_T6_T7_T9_mT8_S1H_bDpT10_ENKUlT_T0_E_clISt17integral_constantIbLb0EES1V_EEDaS1Q_S1R_EUlS1Q_E_NS1_11comp_targetILNS1_3genE8ELNS1_11target_archE1030ELNS1_3gpuE2ELNS1_3repE0EEENS1_30default_config_static_selectorELNS0_4arch9wavefront6targetE1EEEvS13_,"axG",@progbits,_ZN7rocprim17ROCPRIM_400000_NS6detail17trampoline_kernelINS0_13select_configILj256ELj13ELNS0_17block_load_methodE3ELS4_3ELS4_3ELNS0_20block_scan_algorithmE0ELj4294967295EEENS1_25partition_config_selectorILNS1_17partition_subalgoE4EjNS0_10empty_typeEbEEZZNS1_14partition_implILS8_4ELb0ES6_15HIP_vector_typeIjLj2EENS0_17counting_iteratorIjlEEPS9_SG_NS0_5tupleIJPjSI_NS0_16reverse_iteratorISI_EEEEENSH_IJSG_SG_SG_EEES9_SI_JZNS1_25segmented_radix_sort_implINS0_14default_configELb0EPK6__halfPSP_PKlPlN2at6native12_GLOBAL__N_18offset_tEEE10hipError_tPvRmT1_PNSt15iterator_traitsIS13_E10value_typeET2_T3_PNS14_IS19_E10value_typeET4_jRbjT5_S1F_jjP12ihipStream_tbEUljE_ZNSN_ISO_Lb0ESR_SS_SU_SV_SZ_EES10_S11_S12_S13_S17_S18_S19_S1C_S1D_jS1E_jS1F_S1F_jjS1H_bEUljE0_EEES10_S11_S12_S19_S1D_S1F_T6_T7_T9_mT8_S1H_bDpT10_ENKUlT_T0_E_clISt17integral_constantIbLb0EES1V_EEDaS1Q_S1R_EUlS1Q_E_NS1_11comp_targetILNS1_3genE8ELNS1_11target_archE1030ELNS1_3gpuE2ELNS1_3repE0EEENS1_30default_config_static_selectorELNS0_4arch9wavefront6targetE1EEEvS13_,comdat
.Lfunc_end1783:
	.size	_ZN7rocprim17ROCPRIM_400000_NS6detail17trampoline_kernelINS0_13select_configILj256ELj13ELNS0_17block_load_methodE3ELS4_3ELS4_3ELNS0_20block_scan_algorithmE0ELj4294967295EEENS1_25partition_config_selectorILNS1_17partition_subalgoE4EjNS0_10empty_typeEbEEZZNS1_14partition_implILS8_4ELb0ES6_15HIP_vector_typeIjLj2EENS0_17counting_iteratorIjlEEPS9_SG_NS0_5tupleIJPjSI_NS0_16reverse_iteratorISI_EEEEENSH_IJSG_SG_SG_EEES9_SI_JZNS1_25segmented_radix_sort_implINS0_14default_configELb0EPK6__halfPSP_PKlPlN2at6native12_GLOBAL__N_18offset_tEEE10hipError_tPvRmT1_PNSt15iterator_traitsIS13_E10value_typeET2_T3_PNS14_IS19_E10value_typeET4_jRbjT5_S1F_jjP12ihipStream_tbEUljE_ZNSN_ISO_Lb0ESR_SS_SU_SV_SZ_EES10_S11_S12_S13_S17_S18_S19_S1C_S1D_jS1E_jS1F_S1F_jjS1H_bEUljE0_EEES10_S11_S12_S19_S1D_S1F_T6_T7_T9_mT8_S1H_bDpT10_ENKUlT_T0_E_clISt17integral_constantIbLb0EES1V_EEDaS1Q_S1R_EUlS1Q_E_NS1_11comp_targetILNS1_3genE8ELNS1_11target_archE1030ELNS1_3gpuE2ELNS1_3repE0EEENS1_30default_config_static_selectorELNS0_4arch9wavefront6targetE1EEEvS13_, .Lfunc_end1783-_ZN7rocprim17ROCPRIM_400000_NS6detail17trampoline_kernelINS0_13select_configILj256ELj13ELNS0_17block_load_methodE3ELS4_3ELS4_3ELNS0_20block_scan_algorithmE0ELj4294967295EEENS1_25partition_config_selectorILNS1_17partition_subalgoE4EjNS0_10empty_typeEbEEZZNS1_14partition_implILS8_4ELb0ES6_15HIP_vector_typeIjLj2EENS0_17counting_iteratorIjlEEPS9_SG_NS0_5tupleIJPjSI_NS0_16reverse_iteratorISI_EEEEENSH_IJSG_SG_SG_EEES9_SI_JZNS1_25segmented_radix_sort_implINS0_14default_configELb0EPK6__halfPSP_PKlPlN2at6native12_GLOBAL__N_18offset_tEEE10hipError_tPvRmT1_PNSt15iterator_traitsIS13_E10value_typeET2_T3_PNS14_IS19_E10value_typeET4_jRbjT5_S1F_jjP12ihipStream_tbEUljE_ZNSN_ISO_Lb0ESR_SS_SU_SV_SZ_EES10_S11_S12_S13_S17_S18_S19_S1C_S1D_jS1E_jS1F_S1F_jjS1H_bEUljE0_EEES10_S11_S12_S19_S1D_S1F_T6_T7_T9_mT8_S1H_bDpT10_ENKUlT_T0_E_clISt17integral_constantIbLb0EES1V_EEDaS1Q_S1R_EUlS1Q_E_NS1_11comp_targetILNS1_3genE8ELNS1_11target_archE1030ELNS1_3gpuE2ELNS1_3repE0EEENS1_30default_config_static_selectorELNS0_4arch9wavefront6targetE1EEEvS13_
                                        ; -- End function
	.section	.AMDGPU.csdata,"",@progbits
; Kernel info:
; codeLenInByte = 0
; NumSgprs: 4
; NumVgprs: 0
; NumAgprs: 0
; TotalNumVgprs: 0
; ScratchSize: 0
; MemoryBound: 0
; FloatMode: 240
; IeeeMode: 1
; LDSByteSize: 0 bytes/workgroup (compile time only)
; SGPRBlocks: 0
; VGPRBlocks: 0
; NumSGPRsForWavesPerEU: 4
; NumVGPRsForWavesPerEU: 1
; AccumOffset: 4
; Occupancy: 8
; WaveLimiterHint : 0
; COMPUTE_PGM_RSRC2:SCRATCH_EN: 0
; COMPUTE_PGM_RSRC2:USER_SGPR: 6
; COMPUTE_PGM_RSRC2:TRAP_HANDLER: 0
; COMPUTE_PGM_RSRC2:TGID_X_EN: 1
; COMPUTE_PGM_RSRC2:TGID_Y_EN: 0
; COMPUTE_PGM_RSRC2:TGID_Z_EN: 0
; COMPUTE_PGM_RSRC2:TIDIG_COMP_CNT: 0
; COMPUTE_PGM_RSRC3_GFX90A:ACCUM_OFFSET: 0
; COMPUTE_PGM_RSRC3_GFX90A:TG_SPLIT: 0
	.section	.text._ZN7rocprim17ROCPRIM_400000_NS6detail17trampoline_kernelINS0_13select_configILj256ELj13ELNS0_17block_load_methodE3ELS4_3ELS4_3ELNS0_20block_scan_algorithmE0ELj4294967295EEENS1_25partition_config_selectorILNS1_17partition_subalgoE4EjNS0_10empty_typeEbEEZZNS1_14partition_implILS8_4ELb0ES6_15HIP_vector_typeIjLj2EENS0_17counting_iteratorIjlEEPS9_SG_NS0_5tupleIJPjSI_NS0_16reverse_iteratorISI_EEEEENSH_IJSG_SG_SG_EEES9_SI_JZNS1_25segmented_radix_sort_implINS0_14default_configELb0EPK6__halfPSP_PKlPlN2at6native12_GLOBAL__N_18offset_tEEE10hipError_tPvRmT1_PNSt15iterator_traitsIS13_E10value_typeET2_T3_PNS14_IS19_E10value_typeET4_jRbjT5_S1F_jjP12ihipStream_tbEUljE_ZNSN_ISO_Lb0ESR_SS_SU_SV_SZ_EES10_S11_S12_S13_S17_S18_S19_S1C_S1D_jS1E_jS1F_S1F_jjS1H_bEUljE0_EEES10_S11_S12_S19_S1D_S1F_T6_T7_T9_mT8_S1H_bDpT10_ENKUlT_T0_E_clISt17integral_constantIbLb1EES1V_EEDaS1Q_S1R_EUlS1Q_E_NS1_11comp_targetILNS1_3genE0ELNS1_11target_archE4294967295ELNS1_3gpuE0ELNS1_3repE0EEENS1_30default_config_static_selectorELNS0_4arch9wavefront6targetE1EEEvS13_,"axG",@progbits,_ZN7rocprim17ROCPRIM_400000_NS6detail17trampoline_kernelINS0_13select_configILj256ELj13ELNS0_17block_load_methodE3ELS4_3ELS4_3ELNS0_20block_scan_algorithmE0ELj4294967295EEENS1_25partition_config_selectorILNS1_17partition_subalgoE4EjNS0_10empty_typeEbEEZZNS1_14partition_implILS8_4ELb0ES6_15HIP_vector_typeIjLj2EENS0_17counting_iteratorIjlEEPS9_SG_NS0_5tupleIJPjSI_NS0_16reverse_iteratorISI_EEEEENSH_IJSG_SG_SG_EEES9_SI_JZNS1_25segmented_radix_sort_implINS0_14default_configELb0EPK6__halfPSP_PKlPlN2at6native12_GLOBAL__N_18offset_tEEE10hipError_tPvRmT1_PNSt15iterator_traitsIS13_E10value_typeET2_T3_PNS14_IS19_E10value_typeET4_jRbjT5_S1F_jjP12ihipStream_tbEUljE_ZNSN_ISO_Lb0ESR_SS_SU_SV_SZ_EES10_S11_S12_S13_S17_S18_S19_S1C_S1D_jS1E_jS1F_S1F_jjS1H_bEUljE0_EEES10_S11_S12_S19_S1D_S1F_T6_T7_T9_mT8_S1H_bDpT10_ENKUlT_T0_E_clISt17integral_constantIbLb1EES1V_EEDaS1Q_S1R_EUlS1Q_E_NS1_11comp_targetILNS1_3genE0ELNS1_11target_archE4294967295ELNS1_3gpuE0ELNS1_3repE0EEENS1_30default_config_static_selectorELNS0_4arch9wavefront6targetE1EEEvS13_,comdat
	.globl	_ZN7rocprim17ROCPRIM_400000_NS6detail17trampoline_kernelINS0_13select_configILj256ELj13ELNS0_17block_load_methodE3ELS4_3ELS4_3ELNS0_20block_scan_algorithmE0ELj4294967295EEENS1_25partition_config_selectorILNS1_17partition_subalgoE4EjNS0_10empty_typeEbEEZZNS1_14partition_implILS8_4ELb0ES6_15HIP_vector_typeIjLj2EENS0_17counting_iteratorIjlEEPS9_SG_NS0_5tupleIJPjSI_NS0_16reverse_iteratorISI_EEEEENSH_IJSG_SG_SG_EEES9_SI_JZNS1_25segmented_radix_sort_implINS0_14default_configELb0EPK6__halfPSP_PKlPlN2at6native12_GLOBAL__N_18offset_tEEE10hipError_tPvRmT1_PNSt15iterator_traitsIS13_E10value_typeET2_T3_PNS14_IS19_E10value_typeET4_jRbjT5_S1F_jjP12ihipStream_tbEUljE_ZNSN_ISO_Lb0ESR_SS_SU_SV_SZ_EES10_S11_S12_S13_S17_S18_S19_S1C_S1D_jS1E_jS1F_S1F_jjS1H_bEUljE0_EEES10_S11_S12_S19_S1D_S1F_T6_T7_T9_mT8_S1H_bDpT10_ENKUlT_T0_E_clISt17integral_constantIbLb1EES1V_EEDaS1Q_S1R_EUlS1Q_E_NS1_11comp_targetILNS1_3genE0ELNS1_11target_archE4294967295ELNS1_3gpuE0ELNS1_3repE0EEENS1_30default_config_static_selectorELNS0_4arch9wavefront6targetE1EEEvS13_ ; -- Begin function _ZN7rocprim17ROCPRIM_400000_NS6detail17trampoline_kernelINS0_13select_configILj256ELj13ELNS0_17block_load_methodE3ELS4_3ELS4_3ELNS0_20block_scan_algorithmE0ELj4294967295EEENS1_25partition_config_selectorILNS1_17partition_subalgoE4EjNS0_10empty_typeEbEEZZNS1_14partition_implILS8_4ELb0ES6_15HIP_vector_typeIjLj2EENS0_17counting_iteratorIjlEEPS9_SG_NS0_5tupleIJPjSI_NS0_16reverse_iteratorISI_EEEEENSH_IJSG_SG_SG_EEES9_SI_JZNS1_25segmented_radix_sort_implINS0_14default_configELb0EPK6__halfPSP_PKlPlN2at6native12_GLOBAL__N_18offset_tEEE10hipError_tPvRmT1_PNSt15iterator_traitsIS13_E10value_typeET2_T3_PNS14_IS19_E10value_typeET4_jRbjT5_S1F_jjP12ihipStream_tbEUljE_ZNSN_ISO_Lb0ESR_SS_SU_SV_SZ_EES10_S11_S12_S13_S17_S18_S19_S1C_S1D_jS1E_jS1F_S1F_jjS1H_bEUljE0_EEES10_S11_S12_S19_S1D_S1F_T6_T7_T9_mT8_S1H_bDpT10_ENKUlT_T0_E_clISt17integral_constantIbLb1EES1V_EEDaS1Q_S1R_EUlS1Q_E_NS1_11comp_targetILNS1_3genE0ELNS1_11target_archE4294967295ELNS1_3gpuE0ELNS1_3repE0EEENS1_30default_config_static_selectorELNS0_4arch9wavefront6targetE1EEEvS13_
	.p2align	8
	.type	_ZN7rocprim17ROCPRIM_400000_NS6detail17trampoline_kernelINS0_13select_configILj256ELj13ELNS0_17block_load_methodE3ELS4_3ELS4_3ELNS0_20block_scan_algorithmE0ELj4294967295EEENS1_25partition_config_selectorILNS1_17partition_subalgoE4EjNS0_10empty_typeEbEEZZNS1_14partition_implILS8_4ELb0ES6_15HIP_vector_typeIjLj2EENS0_17counting_iteratorIjlEEPS9_SG_NS0_5tupleIJPjSI_NS0_16reverse_iteratorISI_EEEEENSH_IJSG_SG_SG_EEES9_SI_JZNS1_25segmented_radix_sort_implINS0_14default_configELb0EPK6__halfPSP_PKlPlN2at6native12_GLOBAL__N_18offset_tEEE10hipError_tPvRmT1_PNSt15iterator_traitsIS13_E10value_typeET2_T3_PNS14_IS19_E10value_typeET4_jRbjT5_S1F_jjP12ihipStream_tbEUljE_ZNSN_ISO_Lb0ESR_SS_SU_SV_SZ_EES10_S11_S12_S13_S17_S18_S19_S1C_S1D_jS1E_jS1F_S1F_jjS1H_bEUljE0_EEES10_S11_S12_S19_S1D_S1F_T6_T7_T9_mT8_S1H_bDpT10_ENKUlT_T0_E_clISt17integral_constantIbLb1EES1V_EEDaS1Q_S1R_EUlS1Q_E_NS1_11comp_targetILNS1_3genE0ELNS1_11target_archE4294967295ELNS1_3gpuE0ELNS1_3repE0EEENS1_30default_config_static_selectorELNS0_4arch9wavefront6targetE1EEEvS13_,@function
_ZN7rocprim17ROCPRIM_400000_NS6detail17trampoline_kernelINS0_13select_configILj256ELj13ELNS0_17block_load_methodE3ELS4_3ELS4_3ELNS0_20block_scan_algorithmE0ELj4294967295EEENS1_25partition_config_selectorILNS1_17partition_subalgoE4EjNS0_10empty_typeEbEEZZNS1_14partition_implILS8_4ELb0ES6_15HIP_vector_typeIjLj2EENS0_17counting_iteratorIjlEEPS9_SG_NS0_5tupleIJPjSI_NS0_16reverse_iteratorISI_EEEEENSH_IJSG_SG_SG_EEES9_SI_JZNS1_25segmented_radix_sort_implINS0_14default_configELb0EPK6__halfPSP_PKlPlN2at6native12_GLOBAL__N_18offset_tEEE10hipError_tPvRmT1_PNSt15iterator_traitsIS13_E10value_typeET2_T3_PNS14_IS19_E10value_typeET4_jRbjT5_S1F_jjP12ihipStream_tbEUljE_ZNSN_ISO_Lb0ESR_SS_SU_SV_SZ_EES10_S11_S12_S13_S17_S18_S19_S1C_S1D_jS1E_jS1F_S1F_jjS1H_bEUljE0_EEES10_S11_S12_S19_S1D_S1F_T6_T7_T9_mT8_S1H_bDpT10_ENKUlT_T0_E_clISt17integral_constantIbLb1EES1V_EEDaS1Q_S1R_EUlS1Q_E_NS1_11comp_targetILNS1_3genE0ELNS1_11target_archE4294967295ELNS1_3gpuE0ELNS1_3repE0EEENS1_30default_config_static_selectorELNS0_4arch9wavefront6targetE1EEEvS13_: ; @_ZN7rocprim17ROCPRIM_400000_NS6detail17trampoline_kernelINS0_13select_configILj256ELj13ELNS0_17block_load_methodE3ELS4_3ELS4_3ELNS0_20block_scan_algorithmE0ELj4294967295EEENS1_25partition_config_selectorILNS1_17partition_subalgoE4EjNS0_10empty_typeEbEEZZNS1_14partition_implILS8_4ELb0ES6_15HIP_vector_typeIjLj2EENS0_17counting_iteratorIjlEEPS9_SG_NS0_5tupleIJPjSI_NS0_16reverse_iteratorISI_EEEEENSH_IJSG_SG_SG_EEES9_SI_JZNS1_25segmented_radix_sort_implINS0_14default_configELb0EPK6__halfPSP_PKlPlN2at6native12_GLOBAL__N_18offset_tEEE10hipError_tPvRmT1_PNSt15iterator_traitsIS13_E10value_typeET2_T3_PNS14_IS19_E10value_typeET4_jRbjT5_S1F_jjP12ihipStream_tbEUljE_ZNSN_ISO_Lb0ESR_SS_SU_SV_SZ_EES10_S11_S12_S13_S17_S18_S19_S1C_S1D_jS1E_jS1F_S1F_jjS1H_bEUljE0_EEES10_S11_S12_S19_S1D_S1F_T6_T7_T9_mT8_S1H_bDpT10_ENKUlT_T0_E_clISt17integral_constantIbLb1EES1V_EEDaS1Q_S1R_EUlS1Q_E_NS1_11comp_targetILNS1_3genE0ELNS1_11target_archE4294967295ELNS1_3gpuE0ELNS1_3repE0EEENS1_30default_config_static_selectorELNS0_4arch9wavefront6targetE1EEEvS13_
; %bb.0:
	.section	.rodata,"a",@progbits
	.p2align	6, 0x0
	.amdhsa_kernel _ZN7rocprim17ROCPRIM_400000_NS6detail17trampoline_kernelINS0_13select_configILj256ELj13ELNS0_17block_load_methodE3ELS4_3ELS4_3ELNS0_20block_scan_algorithmE0ELj4294967295EEENS1_25partition_config_selectorILNS1_17partition_subalgoE4EjNS0_10empty_typeEbEEZZNS1_14partition_implILS8_4ELb0ES6_15HIP_vector_typeIjLj2EENS0_17counting_iteratorIjlEEPS9_SG_NS0_5tupleIJPjSI_NS0_16reverse_iteratorISI_EEEEENSH_IJSG_SG_SG_EEES9_SI_JZNS1_25segmented_radix_sort_implINS0_14default_configELb0EPK6__halfPSP_PKlPlN2at6native12_GLOBAL__N_18offset_tEEE10hipError_tPvRmT1_PNSt15iterator_traitsIS13_E10value_typeET2_T3_PNS14_IS19_E10value_typeET4_jRbjT5_S1F_jjP12ihipStream_tbEUljE_ZNSN_ISO_Lb0ESR_SS_SU_SV_SZ_EES10_S11_S12_S13_S17_S18_S19_S1C_S1D_jS1E_jS1F_S1F_jjS1H_bEUljE0_EEES10_S11_S12_S19_S1D_S1F_T6_T7_T9_mT8_S1H_bDpT10_ENKUlT_T0_E_clISt17integral_constantIbLb1EES1V_EEDaS1Q_S1R_EUlS1Q_E_NS1_11comp_targetILNS1_3genE0ELNS1_11target_archE4294967295ELNS1_3gpuE0ELNS1_3repE0EEENS1_30default_config_static_selectorELNS0_4arch9wavefront6targetE1EEEvS13_
		.amdhsa_group_segment_fixed_size 0
		.amdhsa_private_segment_fixed_size 0
		.amdhsa_kernarg_size 184
		.amdhsa_user_sgpr_count 6
		.amdhsa_user_sgpr_private_segment_buffer 1
		.amdhsa_user_sgpr_dispatch_ptr 0
		.amdhsa_user_sgpr_queue_ptr 0
		.amdhsa_user_sgpr_kernarg_segment_ptr 1
		.amdhsa_user_sgpr_dispatch_id 0
		.amdhsa_user_sgpr_flat_scratch_init 0
		.amdhsa_user_sgpr_kernarg_preload_length 0
		.amdhsa_user_sgpr_kernarg_preload_offset 0
		.amdhsa_user_sgpr_private_segment_size 0
		.amdhsa_uses_dynamic_stack 0
		.amdhsa_system_sgpr_private_segment_wavefront_offset 0
		.amdhsa_system_sgpr_workgroup_id_x 1
		.amdhsa_system_sgpr_workgroup_id_y 0
		.amdhsa_system_sgpr_workgroup_id_z 0
		.amdhsa_system_sgpr_workgroup_info 0
		.amdhsa_system_vgpr_workitem_id 0
		.amdhsa_next_free_vgpr 1
		.amdhsa_next_free_sgpr 0
		.amdhsa_accum_offset 4
		.amdhsa_reserve_vcc 0
		.amdhsa_reserve_flat_scratch 0
		.amdhsa_float_round_mode_32 0
		.amdhsa_float_round_mode_16_64 0
		.amdhsa_float_denorm_mode_32 3
		.amdhsa_float_denorm_mode_16_64 3
		.amdhsa_dx10_clamp 1
		.amdhsa_ieee_mode 1
		.amdhsa_fp16_overflow 0
		.amdhsa_tg_split 0
		.amdhsa_exception_fp_ieee_invalid_op 0
		.amdhsa_exception_fp_denorm_src 0
		.amdhsa_exception_fp_ieee_div_zero 0
		.amdhsa_exception_fp_ieee_overflow 0
		.amdhsa_exception_fp_ieee_underflow 0
		.amdhsa_exception_fp_ieee_inexact 0
		.amdhsa_exception_int_div_zero 0
	.end_amdhsa_kernel
	.section	.text._ZN7rocprim17ROCPRIM_400000_NS6detail17trampoline_kernelINS0_13select_configILj256ELj13ELNS0_17block_load_methodE3ELS4_3ELS4_3ELNS0_20block_scan_algorithmE0ELj4294967295EEENS1_25partition_config_selectorILNS1_17partition_subalgoE4EjNS0_10empty_typeEbEEZZNS1_14partition_implILS8_4ELb0ES6_15HIP_vector_typeIjLj2EENS0_17counting_iteratorIjlEEPS9_SG_NS0_5tupleIJPjSI_NS0_16reverse_iteratorISI_EEEEENSH_IJSG_SG_SG_EEES9_SI_JZNS1_25segmented_radix_sort_implINS0_14default_configELb0EPK6__halfPSP_PKlPlN2at6native12_GLOBAL__N_18offset_tEEE10hipError_tPvRmT1_PNSt15iterator_traitsIS13_E10value_typeET2_T3_PNS14_IS19_E10value_typeET4_jRbjT5_S1F_jjP12ihipStream_tbEUljE_ZNSN_ISO_Lb0ESR_SS_SU_SV_SZ_EES10_S11_S12_S13_S17_S18_S19_S1C_S1D_jS1E_jS1F_S1F_jjS1H_bEUljE0_EEES10_S11_S12_S19_S1D_S1F_T6_T7_T9_mT8_S1H_bDpT10_ENKUlT_T0_E_clISt17integral_constantIbLb1EES1V_EEDaS1Q_S1R_EUlS1Q_E_NS1_11comp_targetILNS1_3genE0ELNS1_11target_archE4294967295ELNS1_3gpuE0ELNS1_3repE0EEENS1_30default_config_static_selectorELNS0_4arch9wavefront6targetE1EEEvS13_,"axG",@progbits,_ZN7rocprim17ROCPRIM_400000_NS6detail17trampoline_kernelINS0_13select_configILj256ELj13ELNS0_17block_load_methodE3ELS4_3ELS4_3ELNS0_20block_scan_algorithmE0ELj4294967295EEENS1_25partition_config_selectorILNS1_17partition_subalgoE4EjNS0_10empty_typeEbEEZZNS1_14partition_implILS8_4ELb0ES6_15HIP_vector_typeIjLj2EENS0_17counting_iteratorIjlEEPS9_SG_NS0_5tupleIJPjSI_NS0_16reverse_iteratorISI_EEEEENSH_IJSG_SG_SG_EEES9_SI_JZNS1_25segmented_radix_sort_implINS0_14default_configELb0EPK6__halfPSP_PKlPlN2at6native12_GLOBAL__N_18offset_tEEE10hipError_tPvRmT1_PNSt15iterator_traitsIS13_E10value_typeET2_T3_PNS14_IS19_E10value_typeET4_jRbjT5_S1F_jjP12ihipStream_tbEUljE_ZNSN_ISO_Lb0ESR_SS_SU_SV_SZ_EES10_S11_S12_S13_S17_S18_S19_S1C_S1D_jS1E_jS1F_S1F_jjS1H_bEUljE0_EEES10_S11_S12_S19_S1D_S1F_T6_T7_T9_mT8_S1H_bDpT10_ENKUlT_T0_E_clISt17integral_constantIbLb1EES1V_EEDaS1Q_S1R_EUlS1Q_E_NS1_11comp_targetILNS1_3genE0ELNS1_11target_archE4294967295ELNS1_3gpuE0ELNS1_3repE0EEENS1_30default_config_static_selectorELNS0_4arch9wavefront6targetE1EEEvS13_,comdat
.Lfunc_end1784:
	.size	_ZN7rocprim17ROCPRIM_400000_NS6detail17trampoline_kernelINS0_13select_configILj256ELj13ELNS0_17block_load_methodE3ELS4_3ELS4_3ELNS0_20block_scan_algorithmE0ELj4294967295EEENS1_25partition_config_selectorILNS1_17partition_subalgoE4EjNS0_10empty_typeEbEEZZNS1_14partition_implILS8_4ELb0ES6_15HIP_vector_typeIjLj2EENS0_17counting_iteratorIjlEEPS9_SG_NS0_5tupleIJPjSI_NS0_16reverse_iteratorISI_EEEEENSH_IJSG_SG_SG_EEES9_SI_JZNS1_25segmented_radix_sort_implINS0_14default_configELb0EPK6__halfPSP_PKlPlN2at6native12_GLOBAL__N_18offset_tEEE10hipError_tPvRmT1_PNSt15iterator_traitsIS13_E10value_typeET2_T3_PNS14_IS19_E10value_typeET4_jRbjT5_S1F_jjP12ihipStream_tbEUljE_ZNSN_ISO_Lb0ESR_SS_SU_SV_SZ_EES10_S11_S12_S13_S17_S18_S19_S1C_S1D_jS1E_jS1F_S1F_jjS1H_bEUljE0_EEES10_S11_S12_S19_S1D_S1F_T6_T7_T9_mT8_S1H_bDpT10_ENKUlT_T0_E_clISt17integral_constantIbLb1EES1V_EEDaS1Q_S1R_EUlS1Q_E_NS1_11comp_targetILNS1_3genE0ELNS1_11target_archE4294967295ELNS1_3gpuE0ELNS1_3repE0EEENS1_30default_config_static_selectorELNS0_4arch9wavefront6targetE1EEEvS13_, .Lfunc_end1784-_ZN7rocprim17ROCPRIM_400000_NS6detail17trampoline_kernelINS0_13select_configILj256ELj13ELNS0_17block_load_methodE3ELS4_3ELS4_3ELNS0_20block_scan_algorithmE0ELj4294967295EEENS1_25partition_config_selectorILNS1_17partition_subalgoE4EjNS0_10empty_typeEbEEZZNS1_14partition_implILS8_4ELb0ES6_15HIP_vector_typeIjLj2EENS0_17counting_iteratorIjlEEPS9_SG_NS0_5tupleIJPjSI_NS0_16reverse_iteratorISI_EEEEENSH_IJSG_SG_SG_EEES9_SI_JZNS1_25segmented_radix_sort_implINS0_14default_configELb0EPK6__halfPSP_PKlPlN2at6native12_GLOBAL__N_18offset_tEEE10hipError_tPvRmT1_PNSt15iterator_traitsIS13_E10value_typeET2_T3_PNS14_IS19_E10value_typeET4_jRbjT5_S1F_jjP12ihipStream_tbEUljE_ZNSN_ISO_Lb0ESR_SS_SU_SV_SZ_EES10_S11_S12_S13_S17_S18_S19_S1C_S1D_jS1E_jS1F_S1F_jjS1H_bEUljE0_EEES10_S11_S12_S19_S1D_S1F_T6_T7_T9_mT8_S1H_bDpT10_ENKUlT_T0_E_clISt17integral_constantIbLb1EES1V_EEDaS1Q_S1R_EUlS1Q_E_NS1_11comp_targetILNS1_3genE0ELNS1_11target_archE4294967295ELNS1_3gpuE0ELNS1_3repE0EEENS1_30default_config_static_selectorELNS0_4arch9wavefront6targetE1EEEvS13_
                                        ; -- End function
	.section	.AMDGPU.csdata,"",@progbits
; Kernel info:
; codeLenInByte = 0
; NumSgprs: 4
; NumVgprs: 0
; NumAgprs: 0
; TotalNumVgprs: 0
; ScratchSize: 0
; MemoryBound: 0
; FloatMode: 240
; IeeeMode: 1
; LDSByteSize: 0 bytes/workgroup (compile time only)
; SGPRBlocks: 0
; VGPRBlocks: 0
; NumSGPRsForWavesPerEU: 4
; NumVGPRsForWavesPerEU: 1
; AccumOffset: 4
; Occupancy: 8
; WaveLimiterHint : 0
; COMPUTE_PGM_RSRC2:SCRATCH_EN: 0
; COMPUTE_PGM_RSRC2:USER_SGPR: 6
; COMPUTE_PGM_RSRC2:TRAP_HANDLER: 0
; COMPUTE_PGM_RSRC2:TGID_X_EN: 1
; COMPUTE_PGM_RSRC2:TGID_Y_EN: 0
; COMPUTE_PGM_RSRC2:TGID_Z_EN: 0
; COMPUTE_PGM_RSRC2:TIDIG_COMP_CNT: 0
; COMPUTE_PGM_RSRC3_GFX90A:ACCUM_OFFSET: 0
; COMPUTE_PGM_RSRC3_GFX90A:TG_SPLIT: 0
	.section	.text._ZN7rocprim17ROCPRIM_400000_NS6detail17trampoline_kernelINS0_13select_configILj256ELj13ELNS0_17block_load_methodE3ELS4_3ELS4_3ELNS0_20block_scan_algorithmE0ELj4294967295EEENS1_25partition_config_selectorILNS1_17partition_subalgoE4EjNS0_10empty_typeEbEEZZNS1_14partition_implILS8_4ELb0ES6_15HIP_vector_typeIjLj2EENS0_17counting_iteratorIjlEEPS9_SG_NS0_5tupleIJPjSI_NS0_16reverse_iteratorISI_EEEEENSH_IJSG_SG_SG_EEES9_SI_JZNS1_25segmented_radix_sort_implINS0_14default_configELb0EPK6__halfPSP_PKlPlN2at6native12_GLOBAL__N_18offset_tEEE10hipError_tPvRmT1_PNSt15iterator_traitsIS13_E10value_typeET2_T3_PNS14_IS19_E10value_typeET4_jRbjT5_S1F_jjP12ihipStream_tbEUljE_ZNSN_ISO_Lb0ESR_SS_SU_SV_SZ_EES10_S11_S12_S13_S17_S18_S19_S1C_S1D_jS1E_jS1F_S1F_jjS1H_bEUljE0_EEES10_S11_S12_S19_S1D_S1F_T6_T7_T9_mT8_S1H_bDpT10_ENKUlT_T0_E_clISt17integral_constantIbLb1EES1V_EEDaS1Q_S1R_EUlS1Q_E_NS1_11comp_targetILNS1_3genE5ELNS1_11target_archE942ELNS1_3gpuE9ELNS1_3repE0EEENS1_30default_config_static_selectorELNS0_4arch9wavefront6targetE1EEEvS13_,"axG",@progbits,_ZN7rocprim17ROCPRIM_400000_NS6detail17trampoline_kernelINS0_13select_configILj256ELj13ELNS0_17block_load_methodE3ELS4_3ELS4_3ELNS0_20block_scan_algorithmE0ELj4294967295EEENS1_25partition_config_selectorILNS1_17partition_subalgoE4EjNS0_10empty_typeEbEEZZNS1_14partition_implILS8_4ELb0ES6_15HIP_vector_typeIjLj2EENS0_17counting_iteratorIjlEEPS9_SG_NS0_5tupleIJPjSI_NS0_16reverse_iteratorISI_EEEEENSH_IJSG_SG_SG_EEES9_SI_JZNS1_25segmented_radix_sort_implINS0_14default_configELb0EPK6__halfPSP_PKlPlN2at6native12_GLOBAL__N_18offset_tEEE10hipError_tPvRmT1_PNSt15iterator_traitsIS13_E10value_typeET2_T3_PNS14_IS19_E10value_typeET4_jRbjT5_S1F_jjP12ihipStream_tbEUljE_ZNSN_ISO_Lb0ESR_SS_SU_SV_SZ_EES10_S11_S12_S13_S17_S18_S19_S1C_S1D_jS1E_jS1F_S1F_jjS1H_bEUljE0_EEES10_S11_S12_S19_S1D_S1F_T6_T7_T9_mT8_S1H_bDpT10_ENKUlT_T0_E_clISt17integral_constantIbLb1EES1V_EEDaS1Q_S1R_EUlS1Q_E_NS1_11comp_targetILNS1_3genE5ELNS1_11target_archE942ELNS1_3gpuE9ELNS1_3repE0EEENS1_30default_config_static_selectorELNS0_4arch9wavefront6targetE1EEEvS13_,comdat
	.globl	_ZN7rocprim17ROCPRIM_400000_NS6detail17trampoline_kernelINS0_13select_configILj256ELj13ELNS0_17block_load_methodE3ELS4_3ELS4_3ELNS0_20block_scan_algorithmE0ELj4294967295EEENS1_25partition_config_selectorILNS1_17partition_subalgoE4EjNS0_10empty_typeEbEEZZNS1_14partition_implILS8_4ELb0ES6_15HIP_vector_typeIjLj2EENS0_17counting_iteratorIjlEEPS9_SG_NS0_5tupleIJPjSI_NS0_16reverse_iteratorISI_EEEEENSH_IJSG_SG_SG_EEES9_SI_JZNS1_25segmented_radix_sort_implINS0_14default_configELb0EPK6__halfPSP_PKlPlN2at6native12_GLOBAL__N_18offset_tEEE10hipError_tPvRmT1_PNSt15iterator_traitsIS13_E10value_typeET2_T3_PNS14_IS19_E10value_typeET4_jRbjT5_S1F_jjP12ihipStream_tbEUljE_ZNSN_ISO_Lb0ESR_SS_SU_SV_SZ_EES10_S11_S12_S13_S17_S18_S19_S1C_S1D_jS1E_jS1F_S1F_jjS1H_bEUljE0_EEES10_S11_S12_S19_S1D_S1F_T6_T7_T9_mT8_S1H_bDpT10_ENKUlT_T0_E_clISt17integral_constantIbLb1EES1V_EEDaS1Q_S1R_EUlS1Q_E_NS1_11comp_targetILNS1_3genE5ELNS1_11target_archE942ELNS1_3gpuE9ELNS1_3repE0EEENS1_30default_config_static_selectorELNS0_4arch9wavefront6targetE1EEEvS13_ ; -- Begin function _ZN7rocprim17ROCPRIM_400000_NS6detail17trampoline_kernelINS0_13select_configILj256ELj13ELNS0_17block_load_methodE3ELS4_3ELS4_3ELNS0_20block_scan_algorithmE0ELj4294967295EEENS1_25partition_config_selectorILNS1_17partition_subalgoE4EjNS0_10empty_typeEbEEZZNS1_14partition_implILS8_4ELb0ES6_15HIP_vector_typeIjLj2EENS0_17counting_iteratorIjlEEPS9_SG_NS0_5tupleIJPjSI_NS0_16reverse_iteratorISI_EEEEENSH_IJSG_SG_SG_EEES9_SI_JZNS1_25segmented_radix_sort_implINS0_14default_configELb0EPK6__halfPSP_PKlPlN2at6native12_GLOBAL__N_18offset_tEEE10hipError_tPvRmT1_PNSt15iterator_traitsIS13_E10value_typeET2_T3_PNS14_IS19_E10value_typeET4_jRbjT5_S1F_jjP12ihipStream_tbEUljE_ZNSN_ISO_Lb0ESR_SS_SU_SV_SZ_EES10_S11_S12_S13_S17_S18_S19_S1C_S1D_jS1E_jS1F_S1F_jjS1H_bEUljE0_EEES10_S11_S12_S19_S1D_S1F_T6_T7_T9_mT8_S1H_bDpT10_ENKUlT_T0_E_clISt17integral_constantIbLb1EES1V_EEDaS1Q_S1R_EUlS1Q_E_NS1_11comp_targetILNS1_3genE5ELNS1_11target_archE942ELNS1_3gpuE9ELNS1_3repE0EEENS1_30default_config_static_selectorELNS0_4arch9wavefront6targetE1EEEvS13_
	.p2align	8
	.type	_ZN7rocprim17ROCPRIM_400000_NS6detail17trampoline_kernelINS0_13select_configILj256ELj13ELNS0_17block_load_methodE3ELS4_3ELS4_3ELNS0_20block_scan_algorithmE0ELj4294967295EEENS1_25partition_config_selectorILNS1_17partition_subalgoE4EjNS0_10empty_typeEbEEZZNS1_14partition_implILS8_4ELb0ES6_15HIP_vector_typeIjLj2EENS0_17counting_iteratorIjlEEPS9_SG_NS0_5tupleIJPjSI_NS0_16reverse_iteratorISI_EEEEENSH_IJSG_SG_SG_EEES9_SI_JZNS1_25segmented_radix_sort_implINS0_14default_configELb0EPK6__halfPSP_PKlPlN2at6native12_GLOBAL__N_18offset_tEEE10hipError_tPvRmT1_PNSt15iterator_traitsIS13_E10value_typeET2_T3_PNS14_IS19_E10value_typeET4_jRbjT5_S1F_jjP12ihipStream_tbEUljE_ZNSN_ISO_Lb0ESR_SS_SU_SV_SZ_EES10_S11_S12_S13_S17_S18_S19_S1C_S1D_jS1E_jS1F_S1F_jjS1H_bEUljE0_EEES10_S11_S12_S19_S1D_S1F_T6_T7_T9_mT8_S1H_bDpT10_ENKUlT_T0_E_clISt17integral_constantIbLb1EES1V_EEDaS1Q_S1R_EUlS1Q_E_NS1_11comp_targetILNS1_3genE5ELNS1_11target_archE942ELNS1_3gpuE9ELNS1_3repE0EEENS1_30default_config_static_selectorELNS0_4arch9wavefront6targetE1EEEvS13_,@function
_ZN7rocprim17ROCPRIM_400000_NS6detail17trampoline_kernelINS0_13select_configILj256ELj13ELNS0_17block_load_methodE3ELS4_3ELS4_3ELNS0_20block_scan_algorithmE0ELj4294967295EEENS1_25partition_config_selectorILNS1_17partition_subalgoE4EjNS0_10empty_typeEbEEZZNS1_14partition_implILS8_4ELb0ES6_15HIP_vector_typeIjLj2EENS0_17counting_iteratorIjlEEPS9_SG_NS0_5tupleIJPjSI_NS0_16reverse_iteratorISI_EEEEENSH_IJSG_SG_SG_EEES9_SI_JZNS1_25segmented_radix_sort_implINS0_14default_configELb0EPK6__halfPSP_PKlPlN2at6native12_GLOBAL__N_18offset_tEEE10hipError_tPvRmT1_PNSt15iterator_traitsIS13_E10value_typeET2_T3_PNS14_IS19_E10value_typeET4_jRbjT5_S1F_jjP12ihipStream_tbEUljE_ZNSN_ISO_Lb0ESR_SS_SU_SV_SZ_EES10_S11_S12_S13_S17_S18_S19_S1C_S1D_jS1E_jS1F_S1F_jjS1H_bEUljE0_EEES10_S11_S12_S19_S1D_S1F_T6_T7_T9_mT8_S1H_bDpT10_ENKUlT_T0_E_clISt17integral_constantIbLb1EES1V_EEDaS1Q_S1R_EUlS1Q_E_NS1_11comp_targetILNS1_3genE5ELNS1_11target_archE942ELNS1_3gpuE9ELNS1_3repE0EEENS1_30default_config_static_selectorELNS0_4arch9wavefront6targetE1EEEvS13_: ; @_ZN7rocprim17ROCPRIM_400000_NS6detail17trampoline_kernelINS0_13select_configILj256ELj13ELNS0_17block_load_methodE3ELS4_3ELS4_3ELNS0_20block_scan_algorithmE0ELj4294967295EEENS1_25partition_config_selectorILNS1_17partition_subalgoE4EjNS0_10empty_typeEbEEZZNS1_14partition_implILS8_4ELb0ES6_15HIP_vector_typeIjLj2EENS0_17counting_iteratorIjlEEPS9_SG_NS0_5tupleIJPjSI_NS0_16reverse_iteratorISI_EEEEENSH_IJSG_SG_SG_EEES9_SI_JZNS1_25segmented_radix_sort_implINS0_14default_configELb0EPK6__halfPSP_PKlPlN2at6native12_GLOBAL__N_18offset_tEEE10hipError_tPvRmT1_PNSt15iterator_traitsIS13_E10value_typeET2_T3_PNS14_IS19_E10value_typeET4_jRbjT5_S1F_jjP12ihipStream_tbEUljE_ZNSN_ISO_Lb0ESR_SS_SU_SV_SZ_EES10_S11_S12_S13_S17_S18_S19_S1C_S1D_jS1E_jS1F_S1F_jjS1H_bEUljE0_EEES10_S11_S12_S19_S1D_S1F_T6_T7_T9_mT8_S1H_bDpT10_ENKUlT_T0_E_clISt17integral_constantIbLb1EES1V_EEDaS1Q_S1R_EUlS1Q_E_NS1_11comp_targetILNS1_3genE5ELNS1_11target_archE942ELNS1_3gpuE9ELNS1_3repE0EEENS1_30default_config_static_selectorELNS0_4arch9wavefront6targetE1EEEvS13_
; %bb.0:
	.section	.rodata,"a",@progbits
	.p2align	6, 0x0
	.amdhsa_kernel _ZN7rocprim17ROCPRIM_400000_NS6detail17trampoline_kernelINS0_13select_configILj256ELj13ELNS0_17block_load_methodE3ELS4_3ELS4_3ELNS0_20block_scan_algorithmE0ELj4294967295EEENS1_25partition_config_selectorILNS1_17partition_subalgoE4EjNS0_10empty_typeEbEEZZNS1_14partition_implILS8_4ELb0ES6_15HIP_vector_typeIjLj2EENS0_17counting_iteratorIjlEEPS9_SG_NS0_5tupleIJPjSI_NS0_16reverse_iteratorISI_EEEEENSH_IJSG_SG_SG_EEES9_SI_JZNS1_25segmented_radix_sort_implINS0_14default_configELb0EPK6__halfPSP_PKlPlN2at6native12_GLOBAL__N_18offset_tEEE10hipError_tPvRmT1_PNSt15iterator_traitsIS13_E10value_typeET2_T3_PNS14_IS19_E10value_typeET4_jRbjT5_S1F_jjP12ihipStream_tbEUljE_ZNSN_ISO_Lb0ESR_SS_SU_SV_SZ_EES10_S11_S12_S13_S17_S18_S19_S1C_S1D_jS1E_jS1F_S1F_jjS1H_bEUljE0_EEES10_S11_S12_S19_S1D_S1F_T6_T7_T9_mT8_S1H_bDpT10_ENKUlT_T0_E_clISt17integral_constantIbLb1EES1V_EEDaS1Q_S1R_EUlS1Q_E_NS1_11comp_targetILNS1_3genE5ELNS1_11target_archE942ELNS1_3gpuE9ELNS1_3repE0EEENS1_30default_config_static_selectorELNS0_4arch9wavefront6targetE1EEEvS13_
		.amdhsa_group_segment_fixed_size 0
		.amdhsa_private_segment_fixed_size 0
		.amdhsa_kernarg_size 184
		.amdhsa_user_sgpr_count 6
		.amdhsa_user_sgpr_private_segment_buffer 1
		.amdhsa_user_sgpr_dispatch_ptr 0
		.amdhsa_user_sgpr_queue_ptr 0
		.amdhsa_user_sgpr_kernarg_segment_ptr 1
		.amdhsa_user_sgpr_dispatch_id 0
		.amdhsa_user_sgpr_flat_scratch_init 0
		.amdhsa_user_sgpr_kernarg_preload_length 0
		.amdhsa_user_sgpr_kernarg_preload_offset 0
		.amdhsa_user_sgpr_private_segment_size 0
		.amdhsa_uses_dynamic_stack 0
		.amdhsa_system_sgpr_private_segment_wavefront_offset 0
		.amdhsa_system_sgpr_workgroup_id_x 1
		.amdhsa_system_sgpr_workgroup_id_y 0
		.amdhsa_system_sgpr_workgroup_id_z 0
		.amdhsa_system_sgpr_workgroup_info 0
		.amdhsa_system_vgpr_workitem_id 0
		.amdhsa_next_free_vgpr 1
		.amdhsa_next_free_sgpr 0
		.amdhsa_accum_offset 4
		.amdhsa_reserve_vcc 0
		.amdhsa_reserve_flat_scratch 0
		.amdhsa_float_round_mode_32 0
		.amdhsa_float_round_mode_16_64 0
		.amdhsa_float_denorm_mode_32 3
		.amdhsa_float_denorm_mode_16_64 3
		.amdhsa_dx10_clamp 1
		.amdhsa_ieee_mode 1
		.amdhsa_fp16_overflow 0
		.amdhsa_tg_split 0
		.amdhsa_exception_fp_ieee_invalid_op 0
		.amdhsa_exception_fp_denorm_src 0
		.amdhsa_exception_fp_ieee_div_zero 0
		.amdhsa_exception_fp_ieee_overflow 0
		.amdhsa_exception_fp_ieee_underflow 0
		.amdhsa_exception_fp_ieee_inexact 0
		.amdhsa_exception_int_div_zero 0
	.end_amdhsa_kernel
	.section	.text._ZN7rocprim17ROCPRIM_400000_NS6detail17trampoline_kernelINS0_13select_configILj256ELj13ELNS0_17block_load_methodE3ELS4_3ELS4_3ELNS0_20block_scan_algorithmE0ELj4294967295EEENS1_25partition_config_selectorILNS1_17partition_subalgoE4EjNS0_10empty_typeEbEEZZNS1_14partition_implILS8_4ELb0ES6_15HIP_vector_typeIjLj2EENS0_17counting_iteratorIjlEEPS9_SG_NS0_5tupleIJPjSI_NS0_16reverse_iteratorISI_EEEEENSH_IJSG_SG_SG_EEES9_SI_JZNS1_25segmented_radix_sort_implINS0_14default_configELb0EPK6__halfPSP_PKlPlN2at6native12_GLOBAL__N_18offset_tEEE10hipError_tPvRmT1_PNSt15iterator_traitsIS13_E10value_typeET2_T3_PNS14_IS19_E10value_typeET4_jRbjT5_S1F_jjP12ihipStream_tbEUljE_ZNSN_ISO_Lb0ESR_SS_SU_SV_SZ_EES10_S11_S12_S13_S17_S18_S19_S1C_S1D_jS1E_jS1F_S1F_jjS1H_bEUljE0_EEES10_S11_S12_S19_S1D_S1F_T6_T7_T9_mT8_S1H_bDpT10_ENKUlT_T0_E_clISt17integral_constantIbLb1EES1V_EEDaS1Q_S1R_EUlS1Q_E_NS1_11comp_targetILNS1_3genE5ELNS1_11target_archE942ELNS1_3gpuE9ELNS1_3repE0EEENS1_30default_config_static_selectorELNS0_4arch9wavefront6targetE1EEEvS13_,"axG",@progbits,_ZN7rocprim17ROCPRIM_400000_NS6detail17trampoline_kernelINS0_13select_configILj256ELj13ELNS0_17block_load_methodE3ELS4_3ELS4_3ELNS0_20block_scan_algorithmE0ELj4294967295EEENS1_25partition_config_selectorILNS1_17partition_subalgoE4EjNS0_10empty_typeEbEEZZNS1_14partition_implILS8_4ELb0ES6_15HIP_vector_typeIjLj2EENS0_17counting_iteratorIjlEEPS9_SG_NS0_5tupleIJPjSI_NS0_16reverse_iteratorISI_EEEEENSH_IJSG_SG_SG_EEES9_SI_JZNS1_25segmented_radix_sort_implINS0_14default_configELb0EPK6__halfPSP_PKlPlN2at6native12_GLOBAL__N_18offset_tEEE10hipError_tPvRmT1_PNSt15iterator_traitsIS13_E10value_typeET2_T3_PNS14_IS19_E10value_typeET4_jRbjT5_S1F_jjP12ihipStream_tbEUljE_ZNSN_ISO_Lb0ESR_SS_SU_SV_SZ_EES10_S11_S12_S13_S17_S18_S19_S1C_S1D_jS1E_jS1F_S1F_jjS1H_bEUljE0_EEES10_S11_S12_S19_S1D_S1F_T6_T7_T9_mT8_S1H_bDpT10_ENKUlT_T0_E_clISt17integral_constantIbLb1EES1V_EEDaS1Q_S1R_EUlS1Q_E_NS1_11comp_targetILNS1_3genE5ELNS1_11target_archE942ELNS1_3gpuE9ELNS1_3repE0EEENS1_30default_config_static_selectorELNS0_4arch9wavefront6targetE1EEEvS13_,comdat
.Lfunc_end1785:
	.size	_ZN7rocprim17ROCPRIM_400000_NS6detail17trampoline_kernelINS0_13select_configILj256ELj13ELNS0_17block_load_methodE3ELS4_3ELS4_3ELNS0_20block_scan_algorithmE0ELj4294967295EEENS1_25partition_config_selectorILNS1_17partition_subalgoE4EjNS0_10empty_typeEbEEZZNS1_14partition_implILS8_4ELb0ES6_15HIP_vector_typeIjLj2EENS0_17counting_iteratorIjlEEPS9_SG_NS0_5tupleIJPjSI_NS0_16reverse_iteratorISI_EEEEENSH_IJSG_SG_SG_EEES9_SI_JZNS1_25segmented_radix_sort_implINS0_14default_configELb0EPK6__halfPSP_PKlPlN2at6native12_GLOBAL__N_18offset_tEEE10hipError_tPvRmT1_PNSt15iterator_traitsIS13_E10value_typeET2_T3_PNS14_IS19_E10value_typeET4_jRbjT5_S1F_jjP12ihipStream_tbEUljE_ZNSN_ISO_Lb0ESR_SS_SU_SV_SZ_EES10_S11_S12_S13_S17_S18_S19_S1C_S1D_jS1E_jS1F_S1F_jjS1H_bEUljE0_EEES10_S11_S12_S19_S1D_S1F_T6_T7_T9_mT8_S1H_bDpT10_ENKUlT_T0_E_clISt17integral_constantIbLb1EES1V_EEDaS1Q_S1R_EUlS1Q_E_NS1_11comp_targetILNS1_3genE5ELNS1_11target_archE942ELNS1_3gpuE9ELNS1_3repE0EEENS1_30default_config_static_selectorELNS0_4arch9wavefront6targetE1EEEvS13_, .Lfunc_end1785-_ZN7rocprim17ROCPRIM_400000_NS6detail17trampoline_kernelINS0_13select_configILj256ELj13ELNS0_17block_load_methodE3ELS4_3ELS4_3ELNS0_20block_scan_algorithmE0ELj4294967295EEENS1_25partition_config_selectorILNS1_17partition_subalgoE4EjNS0_10empty_typeEbEEZZNS1_14partition_implILS8_4ELb0ES6_15HIP_vector_typeIjLj2EENS0_17counting_iteratorIjlEEPS9_SG_NS0_5tupleIJPjSI_NS0_16reverse_iteratorISI_EEEEENSH_IJSG_SG_SG_EEES9_SI_JZNS1_25segmented_radix_sort_implINS0_14default_configELb0EPK6__halfPSP_PKlPlN2at6native12_GLOBAL__N_18offset_tEEE10hipError_tPvRmT1_PNSt15iterator_traitsIS13_E10value_typeET2_T3_PNS14_IS19_E10value_typeET4_jRbjT5_S1F_jjP12ihipStream_tbEUljE_ZNSN_ISO_Lb0ESR_SS_SU_SV_SZ_EES10_S11_S12_S13_S17_S18_S19_S1C_S1D_jS1E_jS1F_S1F_jjS1H_bEUljE0_EEES10_S11_S12_S19_S1D_S1F_T6_T7_T9_mT8_S1H_bDpT10_ENKUlT_T0_E_clISt17integral_constantIbLb1EES1V_EEDaS1Q_S1R_EUlS1Q_E_NS1_11comp_targetILNS1_3genE5ELNS1_11target_archE942ELNS1_3gpuE9ELNS1_3repE0EEENS1_30default_config_static_selectorELNS0_4arch9wavefront6targetE1EEEvS13_
                                        ; -- End function
	.section	.AMDGPU.csdata,"",@progbits
; Kernel info:
; codeLenInByte = 0
; NumSgprs: 4
; NumVgprs: 0
; NumAgprs: 0
; TotalNumVgprs: 0
; ScratchSize: 0
; MemoryBound: 0
; FloatMode: 240
; IeeeMode: 1
; LDSByteSize: 0 bytes/workgroup (compile time only)
; SGPRBlocks: 0
; VGPRBlocks: 0
; NumSGPRsForWavesPerEU: 4
; NumVGPRsForWavesPerEU: 1
; AccumOffset: 4
; Occupancy: 8
; WaveLimiterHint : 0
; COMPUTE_PGM_RSRC2:SCRATCH_EN: 0
; COMPUTE_PGM_RSRC2:USER_SGPR: 6
; COMPUTE_PGM_RSRC2:TRAP_HANDLER: 0
; COMPUTE_PGM_RSRC2:TGID_X_EN: 1
; COMPUTE_PGM_RSRC2:TGID_Y_EN: 0
; COMPUTE_PGM_RSRC2:TGID_Z_EN: 0
; COMPUTE_PGM_RSRC2:TIDIG_COMP_CNT: 0
; COMPUTE_PGM_RSRC3_GFX90A:ACCUM_OFFSET: 0
; COMPUTE_PGM_RSRC3_GFX90A:TG_SPLIT: 0
	.section	.text._ZN7rocprim17ROCPRIM_400000_NS6detail17trampoline_kernelINS0_13select_configILj256ELj13ELNS0_17block_load_methodE3ELS4_3ELS4_3ELNS0_20block_scan_algorithmE0ELj4294967295EEENS1_25partition_config_selectorILNS1_17partition_subalgoE4EjNS0_10empty_typeEbEEZZNS1_14partition_implILS8_4ELb0ES6_15HIP_vector_typeIjLj2EENS0_17counting_iteratorIjlEEPS9_SG_NS0_5tupleIJPjSI_NS0_16reverse_iteratorISI_EEEEENSH_IJSG_SG_SG_EEES9_SI_JZNS1_25segmented_radix_sort_implINS0_14default_configELb0EPK6__halfPSP_PKlPlN2at6native12_GLOBAL__N_18offset_tEEE10hipError_tPvRmT1_PNSt15iterator_traitsIS13_E10value_typeET2_T3_PNS14_IS19_E10value_typeET4_jRbjT5_S1F_jjP12ihipStream_tbEUljE_ZNSN_ISO_Lb0ESR_SS_SU_SV_SZ_EES10_S11_S12_S13_S17_S18_S19_S1C_S1D_jS1E_jS1F_S1F_jjS1H_bEUljE0_EEES10_S11_S12_S19_S1D_S1F_T6_T7_T9_mT8_S1H_bDpT10_ENKUlT_T0_E_clISt17integral_constantIbLb1EES1V_EEDaS1Q_S1R_EUlS1Q_E_NS1_11comp_targetILNS1_3genE4ELNS1_11target_archE910ELNS1_3gpuE8ELNS1_3repE0EEENS1_30default_config_static_selectorELNS0_4arch9wavefront6targetE1EEEvS13_,"axG",@progbits,_ZN7rocprim17ROCPRIM_400000_NS6detail17trampoline_kernelINS0_13select_configILj256ELj13ELNS0_17block_load_methodE3ELS4_3ELS4_3ELNS0_20block_scan_algorithmE0ELj4294967295EEENS1_25partition_config_selectorILNS1_17partition_subalgoE4EjNS0_10empty_typeEbEEZZNS1_14partition_implILS8_4ELb0ES6_15HIP_vector_typeIjLj2EENS0_17counting_iteratorIjlEEPS9_SG_NS0_5tupleIJPjSI_NS0_16reverse_iteratorISI_EEEEENSH_IJSG_SG_SG_EEES9_SI_JZNS1_25segmented_radix_sort_implINS0_14default_configELb0EPK6__halfPSP_PKlPlN2at6native12_GLOBAL__N_18offset_tEEE10hipError_tPvRmT1_PNSt15iterator_traitsIS13_E10value_typeET2_T3_PNS14_IS19_E10value_typeET4_jRbjT5_S1F_jjP12ihipStream_tbEUljE_ZNSN_ISO_Lb0ESR_SS_SU_SV_SZ_EES10_S11_S12_S13_S17_S18_S19_S1C_S1D_jS1E_jS1F_S1F_jjS1H_bEUljE0_EEES10_S11_S12_S19_S1D_S1F_T6_T7_T9_mT8_S1H_bDpT10_ENKUlT_T0_E_clISt17integral_constantIbLb1EES1V_EEDaS1Q_S1R_EUlS1Q_E_NS1_11comp_targetILNS1_3genE4ELNS1_11target_archE910ELNS1_3gpuE8ELNS1_3repE0EEENS1_30default_config_static_selectorELNS0_4arch9wavefront6targetE1EEEvS13_,comdat
	.globl	_ZN7rocprim17ROCPRIM_400000_NS6detail17trampoline_kernelINS0_13select_configILj256ELj13ELNS0_17block_load_methodE3ELS4_3ELS4_3ELNS0_20block_scan_algorithmE0ELj4294967295EEENS1_25partition_config_selectorILNS1_17partition_subalgoE4EjNS0_10empty_typeEbEEZZNS1_14partition_implILS8_4ELb0ES6_15HIP_vector_typeIjLj2EENS0_17counting_iteratorIjlEEPS9_SG_NS0_5tupleIJPjSI_NS0_16reverse_iteratorISI_EEEEENSH_IJSG_SG_SG_EEES9_SI_JZNS1_25segmented_radix_sort_implINS0_14default_configELb0EPK6__halfPSP_PKlPlN2at6native12_GLOBAL__N_18offset_tEEE10hipError_tPvRmT1_PNSt15iterator_traitsIS13_E10value_typeET2_T3_PNS14_IS19_E10value_typeET4_jRbjT5_S1F_jjP12ihipStream_tbEUljE_ZNSN_ISO_Lb0ESR_SS_SU_SV_SZ_EES10_S11_S12_S13_S17_S18_S19_S1C_S1D_jS1E_jS1F_S1F_jjS1H_bEUljE0_EEES10_S11_S12_S19_S1D_S1F_T6_T7_T9_mT8_S1H_bDpT10_ENKUlT_T0_E_clISt17integral_constantIbLb1EES1V_EEDaS1Q_S1R_EUlS1Q_E_NS1_11comp_targetILNS1_3genE4ELNS1_11target_archE910ELNS1_3gpuE8ELNS1_3repE0EEENS1_30default_config_static_selectorELNS0_4arch9wavefront6targetE1EEEvS13_ ; -- Begin function _ZN7rocprim17ROCPRIM_400000_NS6detail17trampoline_kernelINS0_13select_configILj256ELj13ELNS0_17block_load_methodE3ELS4_3ELS4_3ELNS0_20block_scan_algorithmE0ELj4294967295EEENS1_25partition_config_selectorILNS1_17partition_subalgoE4EjNS0_10empty_typeEbEEZZNS1_14partition_implILS8_4ELb0ES6_15HIP_vector_typeIjLj2EENS0_17counting_iteratorIjlEEPS9_SG_NS0_5tupleIJPjSI_NS0_16reverse_iteratorISI_EEEEENSH_IJSG_SG_SG_EEES9_SI_JZNS1_25segmented_radix_sort_implINS0_14default_configELb0EPK6__halfPSP_PKlPlN2at6native12_GLOBAL__N_18offset_tEEE10hipError_tPvRmT1_PNSt15iterator_traitsIS13_E10value_typeET2_T3_PNS14_IS19_E10value_typeET4_jRbjT5_S1F_jjP12ihipStream_tbEUljE_ZNSN_ISO_Lb0ESR_SS_SU_SV_SZ_EES10_S11_S12_S13_S17_S18_S19_S1C_S1D_jS1E_jS1F_S1F_jjS1H_bEUljE0_EEES10_S11_S12_S19_S1D_S1F_T6_T7_T9_mT8_S1H_bDpT10_ENKUlT_T0_E_clISt17integral_constantIbLb1EES1V_EEDaS1Q_S1R_EUlS1Q_E_NS1_11comp_targetILNS1_3genE4ELNS1_11target_archE910ELNS1_3gpuE8ELNS1_3repE0EEENS1_30default_config_static_selectorELNS0_4arch9wavefront6targetE1EEEvS13_
	.p2align	8
	.type	_ZN7rocprim17ROCPRIM_400000_NS6detail17trampoline_kernelINS0_13select_configILj256ELj13ELNS0_17block_load_methodE3ELS4_3ELS4_3ELNS0_20block_scan_algorithmE0ELj4294967295EEENS1_25partition_config_selectorILNS1_17partition_subalgoE4EjNS0_10empty_typeEbEEZZNS1_14partition_implILS8_4ELb0ES6_15HIP_vector_typeIjLj2EENS0_17counting_iteratorIjlEEPS9_SG_NS0_5tupleIJPjSI_NS0_16reverse_iteratorISI_EEEEENSH_IJSG_SG_SG_EEES9_SI_JZNS1_25segmented_radix_sort_implINS0_14default_configELb0EPK6__halfPSP_PKlPlN2at6native12_GLOBAL__N_18offset_tEEE10hipError_tPvRmT1_PNSt15iterator_traitsIS13_E10value_typeET2_T3_PNS14_IS19_E10value_typeET4_jRbjT5_S1F_jjP12ihipStream_tbEUljE_ZNSN_ISO_Lb0ESR_SS_SU_SV_SZ_EES10_S11_S12_S13_S17_S18_S19_S1C_S1D_jS1E_jS1F_S1F_jjS1H_bEUljE0_EEES10_S11_S12_S19_S1D_S1F_T6_T7_T9_mT8_S1H_bDpT10_ENKUlT_T0_E_clISt17integral_constantIbLb1EES1V_EEDaS1Q_S1R_EUlS1Q_E_NS1_11comp_targetILNS1_3genE4ELNS1_11target_archE910ELNS1_3gpuE8ELNS1_3repE0EEENS1_30default_config_static_selectorELNS0_4arch9wavefront6targetE1EEEvS13_,@function
_ZN7rocprim17ROCPRIM_400000_NS6detail17trampoline_kernelINS0_13select_configILj256ELj13ELNS0_17block_load_methodE3ELS4_3ELS4_3ELNS0_20block_scan_algorithmE0ELj4294967295EEENS1_25partition_config_selectorILNS1_17partition_subalgoE4EjNS0_10empty_typeEbEEZZNS1_14partition_implILS8_4ELb0ES6_15HIP_vector_typeIjLj2EENS0_17counting_iteratorIjlEEPS9_SG_NS0_5tupleIJPjSI_NS0_16reverse_iteratorISI_EEEEENSH_IJSG_SG_SG_EEES9_SI_JZNS1_25segmented_radix_sort_implINS0_14default_configELb0EPK6__halfPSP_PKlPlN2at6native12_GLOBAL__N_18offset_tEEE10hipError_tPvRmT1_PNSt15iterator_traitsIS13_E10value_typeET2_T3_PNS14_IS19_E10value_typeET4_jRbjT5_S1F_jjP12ihipStream_tbEUljE_ZNSN_ISO_Lb0ESR_SS_SU_SV_SZ_EES10_S11_S12_S13_S17_S18_S19_S1C_S1D_jS1E_jS1F_S1F_jjS1H_bEUljE0_EEES10_S11_S12_S19_S1D_S1F_T6_T7_T9_mT8_S1H_bDpT10_ENKUlT_T0_E_clISt17integral_constantIbLb1EES1V_EEDaS1Q_S1R_EUlS1Q_E_NS1_11comp_targetILNS1_3genE4ELNS1_11target_archE910ELNS1_3gpuE8ELNS1_3repE0EEENS1_30default_config_static_selectorELNS0_4arch9wavefront6targetE1EEEvS13_: ; @_ZN7rocprim17ROCPRIM_400000_NS6detail17trampoline_kernelINS0_13select_configILj256ELj13ELNS0_17block_load_methodE3ELS4_3ELS4_3ELNS0_20block_scan_algorithmE0ELj4294967295EEENS1_25partition_config_selectorILNS1_17partition_subalgoE4EjNS0_10empty_typeEbEEZZNS1_14partition_implILS8_4ELb0ES6_15HIP_vector_typeIjLj2EENS0_17counting_iteratorIjlEEPS9_SG_NS0_5tupleIJPjSI_NS0_16reverse_iteratorISI_EEEEENSH_IJSG_SG_SG_EEES9_SI_JZNS1_25segmented_radix_sort_implINS0_14default_configELb0EPK6__halfPSP_PKlPlN2at6native12_GLOBAL__N_18offset_tEEE10hipError_tPvRmT1_PNSt15iterator_traitsIS13_E10value_typeET2_T3_PNS14_IS19_E10value_typeET4_jRbjT5_S1F_jjP12ihipStream_tbEUljE_ZNSN_ISO_Lb0ESR_SS_SU_SV_SZ_EES10_S11_S12_S13_S17_S18_S19_S1C_S1D_jS1E_jS1F_S1F_jjS1H_bEUljE0_EEES10_S11_S12_S19_S1D_S1F_T6_T7_T9_mT8_S1H_bDpT10_ENKUlT_T0_E_clISt17integral_constantIbLb1EES1V_EEDaS1Q_S1R_EUlS1Q_E_NS1_11comp_targetILNS1_3genE4ELNS1_11target_archE910ELNS1_3gpuE8ELNS1_3repE0EEENS1_30default_config_static_selectorELNS0_4arch9wavefront6targetE1EEEvS13_
; %bb.0:
	s_load_dwordx2 s[48:49], s[4:5], 0x10
	s_load_dwordx4 s[44:47], s[4:5], 0x28
	s_load_dwordx2 s[34:35], s[4:5], 0x38
	s_load_dwordx4 s[28:31], s[4:5], 0x58
	s_load_dwordx2 s[2:3], s[4:5], 0x68
	s_load_dwordx2 s[50:51], s[4:5], 0x78
	;; [unrolled: 1-line block ×3, first 2 shown]
	s_load_dwordx8 s[36:43], s[4:5], 0x90
	v_cmp_eq_u32_e64 s[0:1], 0, v0
	s_and_saveexec_b64 s[6:7], s[0:1]
	s_cbranch_execz .LBB1786_4
; %bb.1:
	s_mov_b64 s[10:11], exec
	v_mbcnt_lo_u32_b32 v1, s10, 0
	v_mbcnt_hi_u32_b32 v1, s11, v1
	v_cmp_eq_u32_e32 vcc, 0, v1
                                        ; implicit-def: $vgpr2
	s_and_saveexec_b64 s[8:9], vcc
	s_cbranch_execz .LBB1786_3
; %bb.2:
	s_load_dwordx2 s[12:13], s[4:5], 0x88
	s_bcnt1_i32_b64 s10, s[10:11]
	v_mov_b32_e32 v2, 0
	v_mov_b32_e32 v3, s10
	s_waitcnt lgkmcnt(0)
	global_atomic_add v2, v2, v3, s[12:13] glc
.LBB1786_3:
	s_or_b64 exec, exec, s[8:9]
	s_waitcnt vmcnt(0)
	v_readfirstlane_b32 s8, v2
	v_add_u32_e32 v1, s8, v1
	v_mov_b32_e32 v2, 0
	ds_write_b32 v2, v1
.LBB1786_4:
	s_or_b64 exec, exec, s[6:7]
	v_mov_b32_e32 v1, 0
	s_load_dword s7, s[4:5], 0x8
	s_load_dword s6, s[4:5], 0x80
	s_waitcnt lgkmcnt(0)
	s_barrier
	ds_read_b32 v8, v1
	s_waitcnt lgkmcnt(0)
	s_barrier
	global_load_dwordx4 v[2:5], v1, s[30:31]
	v_mov_b32_e32 v7, s3
	s_movk_i32 s3, 0xd00
	s_add_i32 s8, s7, s48
	v_mul_lo_u32 v34, v8, s3
	s_add_i32 s7, s6, -1
	s_mul_i32 s3, s6, 0xd00
	s_add_u32 s4, s48, s3
	v_readfirstlane_b32 s33, v8
	s_addc_u32 s5, s49, 0
	s_cmp_eq_u32 s33, s7
	v_mov_b32_e32 v6, s2
	s_cselect_b64 s[30:31], -1, 0
	s_cmp_lg_u32 s33, s7
	v_cmp_lt_u64_e32 vcc, s[4:5], v[6:7]
	s_cselect_b64 s[4:5], -1, 0
	s_or_b64 s[4:5], vcc, s[4:5]
	v_add_u32_e32 v1, s8, v34
	s_mov_b64 s[6:7], -1
	s_and_b64 vcc, exec, s[4:5]
	v_add_u32_e32 v1, v1, v0
	s_cbranch_vccz .LBB1786_6
; %bb.5:
	v_add_u32_e32 v6, 0x100, v1
	v_lshlrev_b32_e32 v18, 2, v0
	v_add_u32_e32 v7, 0x200, v1
	v_add_u32_e32 v8, 0x300, v1
	;; [unrolled: 1-line block ×11, first 2 shown]
	ds_write2st64_b32 v18, v1, v6 offset1:4
	ds_write2st64_b32 v18, v7, v8 offset0:8 offset1:12
	ds_write2st64_b32 v18, v9, v10 offset0:16 offset1:20
	ds_write2st64_b32 v18, v11, v12 offset0:24 offset1:28
	ds_write2st64_b32 v18, v13, v14 offset0:32 offset1:36
	ds_write2st64_b32 v18, v15, v16 offset0:40 offset1:44
	ds_write_b32 v18, v17 offset:12288
	s_waitcnt lgkmcnt(0)
	s_barrier
	s_mov_b64 s[6:7], 0
.LBB1786_6:
	s_andn2_b64 vcc, exec, s[6:7]
	s_add_i32 s3, s3, s48
	s_cbranch_vccnz .LBB1786_8
; %bb.7:
	v_add_u32_e32 v6, 0x100, v1
	v_lshlrev_b32_e32 v18, 2, v0
	v_add_u32_e32 v7, 0x200, v1
	v_add_u32_e32 v8, 0x300, v1
	;; [unrolled: 1-line block ×11, first 2 shown]
	ds_write2st64_b32 v18, v1, v6 offset1:4
	ds_write2st64_b32 v18, v7, v8 offset0:8 offset1:12
	ds_write2st64_b32 v18, v9, v10 offset0:16 offset1:20
	;; [unrolled: 1-line block ×5, first 2 shown]
	ds_write_b32 v18, v17 offset:12288
	s_waitcnt lgkmcnt(0)
	s_barrier
.LBB1786_8:
	v_mul_u32_u24_e32 v36, 13, v0
	v_lshlrev_b32_e32 v1, 2, v36
	ds_read2_b32 v[22:23], v1 offset1:1
	ds_read2_b32 v[20:21], v1 offset0:2 offset1:3
	ds_read2_b32 v[18:19], v1 offset0:4 offset1:5
	;; [unrolled: 1-line block ×5, first 2 shown]
	ds_read_b32 v35, v1 offset:48
	v_cndmask_b32_e64 v1, 0, 1, s[4:5]
	s_sub_i32 s86, s2, s3
	v_cmp_ne_u32_e64 s[2:3], 1, v1
	s_andn2_b64 vcc, exec, s[4:5]
	s_waitcnt lgkmcnt(0)
	s_barrier
	s_cbranch_vccnz .LBB1786_36
; %bb.9:
	v_add_u32_e32 v1, s37, v22
	v_add_u32_e32 v6, s39, v22
	v_mul_lo_u32 v1, v1, s36
	v_mul_lo_u32 v6, v6, s38
	v_sub_u32_e32 v1, v1, v6
	v_cmp_lt_u32_e32 vcc, s40, v1
	v_cmp_ge_u32_e64 s[4:5], s40, v1
	s_mov_b64 s[60:61], 0
	s_mov_b64 s[58:59], 0
	s_and_saveexec_b64 s[6:7], s[4:5]
; %bb.10:
	v_add_u32_e32 v1, s42, v22
	v_add_u32_e32 v6, s56, v22
	v_mul_lo_u32 v1, v1, s41
	v_mul_lo_u32 v6, v6, s43
	v_sub_u32_e32 v1, v1, v6
	v_cmp_lt_u32_e64 s[4:5], s57, v1
	s_and_b64 s[58:59], s[4:5], exec
; %bb.11:
	s_or_b64 exec, exec, s[6:7]
	v_add_u32_e32 v1, s37, v23
	v_add_u32_e32 v6, s39, v23
	v_mul_lo_u32 v1, v1, s36
	v_mul_lo_u32 v6, v6, s38
	v_sub_u32_e32 v1, v1, v6
	v_cmp_lt_u32_e64 s[4:5], s40, v1
	v_cmp_ge_u32_e64 s[6:7], s40, v1
	s_and_saveexec_b64 s[8:9], s[6:7]
; %bb.12:
	v_add_u32_e32 v1, s42, v23
	v_add_u32_e32 v6, s56, v23
	v_mul_lo_u32 v1, v1, s41
	v_mul_lo_u32 v6, v6, s43
	v_sub_u32_e32 v1, v1, v6
	v_cmp_lt_u32_e64 s[6:7], s57, v1
	s_and_b64 s[60:61], s[6:7], exec
; %bb.13:
	s_or_b64 exec, exec, s[8:9]
	v_add_u32_e32 v1, s37, v20
	v_add_u32_e32 v6, s39, v20
	v_mul_lo_u32 v1, v1, s36
	v_mul_lo_u32 v6, v6, s38
	v_sub_u32_e32 v1, v1, v6
	v_cmp_lt_u32_e64 s[6:7], s40, v1
	v_cmp_ge_u32_e64 s[8:9], s40, v1
	s_mov_b64 s[64:65], 0
	s_mov_b64 s[62:63], 0
	s_and_saveexec_b64 s[10:11], s[8:9]
; %bb.14:
	v_add_u32_e32 v1, s42, v20
	v_add_u32_e32 v6, s56, v20
	v_mul_lo_u32 v1, v1, s41
	v_mul_lo_u32 v6, v6, s43
	v_sub_u32_e32 v1, v1, v6
	v_cmp_lt_u32_e64 s[8:9], s57, v1
	s_and_b64 s[62:63], s[8:9], exec
; %bb.15:
	s_or_b64 exec, exec, s[10:11]
	v_add_u32_e32 v1, s37, v21
	v_add_u32_e32 v6, s39, v21
	v_mul_lo_u32 v1, v1, s36
	v_mul_lo_u32 v6, v6, s38
	v_sub_u32_e32 v1, v1, v6
	v_cmp_lt_u32_e64 s[8:9], s40, v1
	v_cmp_ge_u32_e64 s[10:11], s40, v1
	s_and_saveexec_b64 s[12:13], s[10:11]
; %bb.16:
	v_add_u32_e32 v1, s42, v21
	v_add_u32_e32 v6, s56, v21
	v_mul_lo_u32 v1, v1, s41
	v_mul_lo_u32 v6, v6, s43
	v_sub_u32_e32 v1, v1, v6
	v_cmp_lt_u32_e64 s[10:11], s57, v1
	s_and_b64 s[64:65], s[10:11], exec
; %bb.17:
	s_or_b64 exec, exec, s[12:13]
	v_add_u32_e32 v1, s37, v18
	v_add_u32_e32 v6, s39, v18
	v_mul_lo_u32 v1, v1, s36
	v_mul_lo_u32 v6, v6, s38
	v_sub_u32_e32 v1, v1, v6
	v_cmp_lt_u32_e64 s[10:11], s40, v1
	;; [unrolled: 38-line block ×5, first 2 shown]
	v_cmp_ge_u32_e64 s[24:25], s40, v1
	s_mov_b64 s[80:81], 0
	s_mov_b64 s[82:83], 0
	s_and_saveexec_b64 s[26:27], s[24:25]
; %bb.30:
	v_add_u32_e32 v1, s42, v12
	v_add_u32_e32 v6, s56, v12
	v_mul_lo_u32 v1, v1, s41
	v_mul_lo_u32 v6, v6, s43
	v_sub_u32_e32 v1, v1, v6
	v_cmp_lt_u32_e64 s[24:25], s57, v1
	s_and_b64 s[82:83], s[24:25], exec
; %bb.31:
	s_or_b64 exec, exec, s[26:27]
	v_add_u32_e32 v1, s37, v13
	v_add_u32_e32 v6, s39, v13
	v_mul_lo_u32 v1, v1, s36
	v_mul_lo_u32 v6, v6, s38
	v_sub_u32_e32 v1, v1, v6
	v_cmp_lt_u32_e64 s[24:25], s40, v1
	v_cmp_ge_u32_e64 s[26:27], s40, v1
	s_and_saveexec_b64 s[52:53], s[26:27]
; %bb.32:
	v_add_u32_e32 v1, s42, v13
	v_add_u32_e32 v6, s56, v13
	v_mul_lo_u32 v1, v1, s41
	v_mul_lo_u32 v6, v6, s43
	v_sub_u32_e32 v1, v1, v6
	v_cmp_lt_u32_e64 s[26:27], s57, v1
	s_and_b64 s[80:81], s[26:27], exec
; %bb.33:
	s_or_b64 exec, exec, s[52:53]
	v_add_u32_e32 v1, s37, v35
	v_add_u32_e32 v6, s39, v35
	v_mul_lo_u32 v1, v1, s36
	v_mul_lo_u32 v6, v6, s38
	v_sub_u32_e32 v1, v1, v6
	v_cmp_ge_u32_e64 s[26:27], s40, v1
	s_mov_b64 s[52:53], -1
	s_mov_b64 s[74:75], 0
	s_mov_b64 s[54:55], 0
	s_and_saveexec_b64 s[84:85], s[26:27]
; %bb.34:
	v_add_u32_e32 v1, s42, v35
	v_add_u32_e32 v6, s56, v35
	v_mul_lo_u32 v1, v1, s41
	v_mul_lo_u32 v6, v6, s43
	v_sub_u32_e32 v1, v1, v6
	v_cmp_lt_u32_e64 s[26:27], s57, v1
	s_and_b64 s[54:55], s[26:27], exec
	s_xor_b64 s[52:53], exec, -1
; %bb.35:
	s_or_b64 exec, exec, s[84:85]
	v_cndmask_b32_e64 v57, 0, 1, s[82:83]
	v_cndmask_b32_e64 v60, 0, 1, s[24:25]
	v_cndmask_b32_e64 v55, 0, 1, s[78:79]
	v_cndmask_b32_e64 v58, 0, 1, s[22:23]
	v_cndmask_b32_e64 v53, 0, 1, s[76:77]
	v_cndmask_b32_e64 v56, 0, 1, s[20:21]
	v_cndmask_b32_e64 v51, 0, 1, s[72:73]
	v_cndmask_b32_e64 v54, 0, 1, s[18:19]
	v_cndmask_b32_e64 v49, 0, 1, s[70:71]
	v_cndmask_b32_e64 v52, 0, 1, s[16:17]
	v_cndmask_b32_e64 v47, 0, 1, s[68:69]
	v_cndmask_b32_e64 v50, 0, 1, s[14:15]
	v_cndmask_b32_e64 v45, 0, 1, s[66:67]
	v_cndmask_b32_e64 v48, 0, 1, s[12:13]
	v_cndmask_b32_e64 v43, 0, 1, s[64:65]
	v_cndmask_b32_e64 v46, 0, 1, s[10:11]
	v_cndmask_b32_e64 v42, 0, 1, s[62:63]
	v_cndmask_b32_e64 v44, 0, 1, s[8:9]
	v_cndmask_b32_e64 v40, 0, 1, s[60:61]
	v_cndmask_b32_e64 v41, 0, 1, s[6:7]
	v_cndmask_b32_e64 v38, 0, 1, s[58:59]
	v_cndmask_b32_e64 v39, 0, 1, s[4:5]
	v_cndmask_b32_e64 v37, 0, 1, vcc
	v_cndmask_b32_e64 v59, 0, 1, s[80:81]
	s_add_i32 s16, s86, 0xd00
	s_and_b64 vcc, exec, s[74:75]
	s_cbranch_vccnz .LBB1786_37
	s_branch .LBB1786_90
.LBB1786_36:
                                        ; implicit-def: $sgpr52_sgpr53
                                        ; implicit-def: $sgpr54_sgpr55
                                        ; implicit-def: $vgpr59
                                        ; implicit-def: $vgpr57
                                        ; implicit-def: $vgpr55
                                        ; implicit-def: $vgpr53
                                        ; implicit-def: $vgpr51
                                        ; implicit-def: $vgpr49
                                        ; implicit-def: $vgpr47
                                        ; implicit-def: $vgpr45
                                        ; implicit-def: $vgpr43
                                        ; implicit-def: $vgpr37
                                        ; implicit-def: $vgpr39
                                        ; implicit-def: $vgpr41
                                        ; implicit-def: $vgpr44
                                        ; implicit-def: $vgpr46
                                        ; implicit-def: $vgpr48
                                        ; implicit-def: $vgpr50
                                        ; implicit-def: $vgpr52
                                        ; implicit-def: $vgpr54
                                        ; implicit-def: $vgpr56
                                        ; implicit-def: $vgpr58
                                        ; implicit-def: $vgpr60
                                        ; implicit-def: $vgpr38
                                        ; implicit-def: $vgpr40
                                        ; implicit-def: $vgpr42
	s_add_i32 s16, s86, 0xd00
	s_cbranch_execz .LBB1786_90
.LBB1786_37:
	v_cmp_gt_u32_e32 vcc, s16, v36
	v_mov_b32_e32 v38, 0
	v_mov_b32_e32 v37, 0
	s_and_saveexec_b64 s[6:7], vcc
	s_cbranch_execz .LBB1786_41
; %bb.38:
	v_add_u32_e32 v1, s37, v22
	v_add_u32_e32 v6, s39, v22
	v_mul_lo_u32 v1, v1, s36
	v_mul_lo_u32 v6, v6, s38
	v_sub_u32_e32 v1, v1, v6
	v_cmp_lt_u32_e32 vcc, s40, v1
	v_cmp_ge_u32_e64 s[4:5], s40, v1
	s_mov_b64 s[10:11], 0
	s_and_saveexec_b64 s[8:9], s[4:5]
; %bb.39:
	v_add_u32_e32 v1, s42, v22
	v_add_u32_e32 v6, s56, v22
	v_mul_lo_u32 v1, v1, s41
	v_mul_lo_u32 v6, v6, s43
	v_sub_u32_e32 v1, v1, v6
	v_cmp_lt_u32_e64 s[4:5], s57, v1
	s_and_b64 s[10:11], s[4:5], exec
; %bb.40:
	s_or_b64 exec, exec, s[8:9]
	v_cndmask_b32_e64 v37, 0, 1, vcc
	v_cndmask_b32_e64 v38, 0, 1, s[10:11]
.LBB1786_41:
	s_or_b64 exec, exec, s[6:7]
	v_add_u32_e32 v1, 1, v36
	v_cmp_gt_u32_e32 vcc, s16, v1
	v_mov_b32_e32 v39, 0
	v_mov_b32_e32 v40, 0
	s_and_saveexec_b64 s[6:7], vcc
	s_cbranch_execz .LBB1786_45
; %bb.42:
	v_add_u32_e32 v1, s37, v23
	v_add_u32_e32 v6, s39, v23
	v_mul_lo_u32 v1, v1, s36
	v_mul_lo_u32 v6, v6, s38
	v_sub_u32_e32 v1, v1, v6
	v_cmp_lt_u32_e32 vcc, s40, v1
	v_cmp_ge_u32_e64 s[4:5], s40, v1
	s_mov_b64 s[10:11], 0
	s_and_saveexec_b64 s[8:9], s[4:5]
; %bb.43:
	v_add_u32_e32 v1, s42, v23
	v_add_u32_e32 v6, s56, v23
	v_mul_lo_u32 v1, v1, s41
	v_mul_lo_u32 v6, v6, s43
	v_sub_u32_e32 v1, v1, v6
	v_cmp_lt_u32_e64 s[4:5], s57, v1
	s_and_b64 s[10:11], s[4:5], exec
; %bb.44:
	s_or_b64 exec, exec, s[8:9]
	v_cndmask_b32_e64 v39, 0, 1, vcc
	v_cndmask_b32_e64 v40, 0, 1, s[10:11]
.LBB1786_45:
	s_or_b64 exec, exec, s[6:7]
	v_add_u32_e32 v1, 2, v36
	;; [unrolled: 30-line block ×12, first 2 shown]
	v_cmp_gt_u32_e32 vcc, s16, v1
	s_mov_b64 s[52:53], 0
	s_mov_b64 s[54:55], 0
	s_and_saveexec_b64 s[4:5], vcc
	s_cbranch_execz .LBB1786_89
; %bb.86:
	v_add_u32_e32 v1, s37, v35
	v_add_u32_e32 v6, s39, v35
	v_mul_lo_u32 v1, v1, s36
	v_mul_lo_u32 v6, v6, s38
	v_sub_u32_e32 v1, v1, v6
	v_cmp_ge_u32_e32 vcc, s40, v1
	s_mov_b64 s[8:9], -1
	s_mov_b64 s[10:11], 0
	s_and_saveexec_b64 s[6:7], vcc
; %bb.87:
	v_add_u32_e32 v1, s42, v35
	v_add_u32_e32 v6, s56, v35
	v_mul_lo_u32 v1, v1, s41
	v_mul_lo_u32 v6, v6, s43
	v_sub_u32_e32 v1, v1, v6
	v_cmp_lt_u32_e32 vcc, s57, v1
	s_and_b64 s[10:11], vcc, exec
	s_xor_b64 s[8:9], exec, -1
; %bb.88:
	s_or_b64 exec, exec, s[6:7]
	s_and_b64 s[54:55], s[10:11], exec
	s_and_b64 s[52:53], s[8:9], exec
.LBB1786_89:
	s_or_b64 exec, exec, s[4:5]
.LBB1786_90:
	v_and_b32_e32 v68, 0xff, v38
	v_and_b32_e32 v79, 0xff, v40
	;; [unrolled: 1-line block ×5, first 2 shown]
	v_add3_u32 v6, v79, v70, v68
	v_and_b32_e32 v81, 0xff, v47
	v_and_b32_e32 v74, 0xff, v49
	v_add3_u32 v6, v6, v80, v72
	v_and_b32_e32 v67, 0xff, v37
	v_and_b32_e32 v61, 0xff, v39
	;; [unrolled: 1-line block ×5, first 2 shown]
	v_add3_u32 v6, v6, v81, v74
	v_and_b32_e32 v62, 0xff, v44
	v_and_b32_e32 v71, 0xff, v46
	;; [unrolled: 1-line block ×4, first 2 shown]
	v_add3_u32 v7, v61, v69, v67
	v_add3_u32 v6, v6, v82, v76
	v_and_b32_e32 v63, 0xff, v48
	v_and_b32_e32 v73, 0xff, v50
	;; [unrolled: 1-line block ×3, first 2 shown]
	v_cndmask_b32_e64 v1, 0, 1, s[54:55]
	v_add3_u32 v7, v7, v62, v71
	v_add3_u32 v6, v6, v83, v78
	v_and_b32_e32 v64, 0xff, v52
	v_and_b32_e32 v75, 0xff, v54
	v_add3_u32 v7, v7, v63, v73
	v_add3_u32 v91, v6, v84, v1
	v_mbcnt_lo_u32_b32 v1, -1, 0
	v_and_b32_e32 v65, 0xff, v56
	v_and_b32_e32 v77, 0xff, v58
	v_add3_u32 v7, v7, v64, v75
	v_mbcnt_hi_u32_b32 v85, -1, v1
	v_and_b32_e32 v66, 0xff, v60
	v_add3_u32 v7, v7, v65, v77
	v_cndmask_b32_e64 v8, 0, 1, s[52:53]
	v_and_b32_e32 v89, 15, v85
	s_cmp_lg_u32 s33, 0
	v_add3_u32 v90, v7, v66, v8
	v_cmp_eq_u32_e64 s[6:7], 0, v89
	v_cmp_lt_u32_e64 s[4:5], 1, v89
	v_cmp_lt_u32_e64 s[10:11], 3, v89
	;; [unrolled: 1-line block ×3, first 2 shown]
	v_and_b32_e32 v88, 16, v85
	v_cmp_lt_u32_e32 vcc, 31, v85
	v_lshrrev_b32_e32 v86, 6, v0
	v_or_b32_e32 v87, 63, v0
	s_cbranch_scc0 .LBB1786_123
; %bb.91:
	v_mov_b32_dpp v1, v90 row_shr:1 row_mask:0xf bank_mask:0xf
	v_mov_b32_dpp v6, v91 row_shr:1 row_mask:0xf bank_mask:0xf
	v_add_u32_e32 v1, v1, v90
	v_add_u32_e32 v6, v6, v91
	v_cndmask_b32_e64 v6, v6, v91, s[6:7]
	v_cndmask_b32_e64 v1, v1, v90, s[6:7]
	s_nop 0
	v_mov_b32_dpp v8, v6 row_shr:2 row_mask:0xf bank_mask:0xf
	v_mov_b32_dpp v7, v1 row_shr:2 row_mask:0xf bank_mask:0xf
	v_add_u32_e32 v7, v1, v7
	v_add_u32_e32 v8, v6, v8
	v_cndmask_b32_e64 v6, v6, v8, s[4:5]
	v_cndmask_b32_e64 v1, v1, v7, s[4:5]
	s_nop 0
	;; [unrolled: 7-line block ×3, first 2 shown]
	v_mov_b32_dpp v8, v6 row_shr:8 row_mask:0xf bank_mask:0xf
	v_mov_b32_dpp v7, v1 row_shr:8 row_mask:0xf bank_mask:0xf
	v_add_u32_e32 v7, v1, v7
	v_add_u32_e32 v8, v6, v8
	v_cndmask_b32_e64 v6, v6, v8, s[8:9]
	v_cndmask_b32_e64 v1, v1, v7, s[8:9]
	v_cmp_eq_u32_e64 s[8:9], 0, v88
	v_mov_b32_dpp v8, v6 row_bcast:15 row_mask:0xf bank_mask:0xf
	v_mov_b32_dpp v7, v1 row_bcast:15 row_mask:0xf bank_mask:0xf
	v_add_u32_e32 v7, v1, v7
	v_add_u32_e32 v8, v6, v8
	v_cndmask_b32_e64 v6, v8, v6, s[8:9]
	v_cndmask_b32_e64 v1, v7, v1, s[8:9]
	s_nop 0
	v_mov_b32_dpp v8, v6 row_bcast:31 row_mask:0xf bank_mask:0xf
	v_mov_b32_dpp v7, v1 row_bcast:31 row_mask:0xf bank_mask:0xf
	v_add_u32_e32 v8, v6, v8
	v_add_u32_e32 v9, v1, v7
	v_cndmask_b32_e32 v7, v6, v8, vcc
	v_cndmask_b32_e32 v6, v1, v9, vcc
	v_cmp_eq_u32_e32 vcc, v87, v0
	s_and_saveexec_b64 s[8:9], vcc
	s_cbranch_execz .LBB1786_93
; %bb.92:
	v_lshlrev_b32_e32 v1, 3, v86
	ds_write_b64 v1, v[6:7]
.LBB1786_93:
	s_or_b64 exec, exec, s[8:9]
	v_cmp_gt_u32_e32 vcc, 4, v0
	s_waitcnt lgkmcnt(0)
	s_barrier
	s_and_saveexec_b64 s[8:9], vcc
	s_cbranch_execz .LBB1786_95
; %bb.94:
	v_lshlrev_b32_e32 v1, 3, v0
	ds_read_b64 v[8:9], v1
	v_and_b32_e32 v10, 3, v85
	v_cmp_eq_u32_e32 vcc, 0, v10
	s_waitcnt lgkmcnt(0)
	v_mov_b32_dpp v11, v8 row_shr:1 row_mask:0xf bank_mask:0xf
	v_mov_b32_dpp v24, v9 row_shr:1 row_mask:0xf bank_mask:0xf
	v_add_u32_e32 v11, v11, v8
	v_add_u32_e32 v24, v24, v9
	v_cndmask_b32_e32 v9, v24, v9, vcc
	v_cndmask_b32_e32 v8, v11, v8, vcc
	v_cmp_lt_u32_e32 vcc, 1, v10
	v_mov_b32_dpp v24, v9 row_shr:2 row_mask:0xf bank_mask:0xf
	v_mov_b32_dpp v11, v8 row_shr:2 row_mask:0xf bank_mask:0xf
	v_cndmask_b32_e32 v10, 0, v11, vcc
	v_cndmask_b32_e32 v11, 0, v24, vcc
	v_add_u32_e32 v9, v11, v9
	v_add_u32_e32 v8, v10, v8
	ds_write_b64 v1, v[8:9]
.LBB1786_95:
	s_or_b64 exec, exec, s[8:9]
	v_cmp_gt_u32_e32 vcc, 64, v0
	v_cmp_lt_u32_e64 s[8:9], 63, v0
	s_waitcnt lgkmcnt(0)
	s_barrier
	s_waitcnt lgkmcnt(0)
                                        ; implicit-def: $vgpr25
	s_and_saveexec_b64 s[10:11], s[8:9]
	s_xor_b64 s[8:9], exec, s[10:11]
	s_cbranch_execz .LBB1786_97
; %bb.96:
	v_lshl_add_u32 v1, v86, 3, -8
	ds_read_b64 v[24:25], v1
	s_waitcnt lgkmcnt(0)
	v_add_u32_e32 v7, v25, v7
	v_add_u32_e32 v6, v24, v6
.LBB1786_97:
	s_andn2_saveexec_b64 s[8:9], s[8:9]
; %bb.98:
                                        ; implicit-def: $vgpr24
; %bb.99:
	s_or_b64 exec, exec, s[8:9]
	v_add_u32_e32 v1, -1, v85
	v_and_b32_e32 v8, 64, v85
	v_cmp_lt_i32_e64 s[8:9], v1, v8
	v_cndmask_b32_e64 v1, v1, v85, s[8:9]
	v_lshlrev_b32_e32 v8, 2, v1
	ds_bpermute_b32 v1, v8, v6
	ds_bpermute_b32 v92, v8, v7
	v_cmp_eq_u32_e64 s[8:9], 0, v85
	s_and_saveexec_b64 s[10:11], vcc
	s_cbranch_execz .LBB1786_122
; %bb.100:
	v_mov_b32_e32 v11, 0
	ds_read_b64 v[26:27], v11 offset:24
	s_and_saveexec_b64 s[12:13], s[8:9]
	s_cbranch_execz .LBB1786_102
; %bb.101:
	s_add_i32 s14, s33, 64
	s_mov_b32 s15, 0
	s_lshl_b64 s[14:15], s[14:15], 4
	s_waitcnt lgkmcnt(0)
	v_and_b32_e32 v6, 0xff000000, v27
	v_and_b32_e32 v7, 0xff0000, v27
	s_add_u32 s14, s50, s14
	v_or_b32_e32 v6, v7, v6
	v_and_b32_e32 v7, 0xff00, v27
	s_addc_u32 s15, s51, s15
	v_or_b32_e32 v6, v6, v7
	v_or_b32_sdwa v9, v6, v27 dst_sel:DWORD dst_unused:UNUSED_PAD src0_sel:DWORD src1_sel:BYTE_0
	v_mov_b32_e32 v10, 1
	v_mov_b32_e32 v8, v26
	v_pk_mov_b32 v[6:7], s[14:15], s[14:15] op_sel:[0,1]
	;;#ASMSTART
	global_store_dwordx4 v[6:7], v[8:11] off	
s_waitcnt vmcnt(0)
	;;#ASMEND
.LBB1786_102:
	s_or_b64 exec, exec, s[12:13]
	v_xad_u32 v28, v85, -1, s33
	v_add_u32_e32 v10, 64, v28
	v_lshlrev_b64 v[6:7], 4, v[10:11]
	v_mov_b32_e32 v8, s51
	v_add_co_u32_e32 v30, vcc, s50, v6
	v_addc_co_u32_e32 v31, vcc, v8, v7, vcc
	;;#ASMSTART
	global_load_dwordx4 v[6:9], v[30:31] off glc	
s_waitcnt vmcnt(0)
	;;#ASMEND
	v_and_b32_e32 v9, 0xff, v7
	v_and_b32_e32 v10, 0xff00, v7
	v_or3_b32 v9, 0, v9, v10
	v_or3_b32 v6, v6, 0, 0
	v_and_b32_e32 v10, 0xff000000, v7
	v_and_b32_e32 v7, 0xff0000, v7
	v_or3_b32 v7, v9, v7, v10
	v_or3_b32 v6, v6, 0, 0
	v_cmp_eq_u16_sdwa s[14:15], v8, v11 src0_sel:BYTE_0 src1_sel:DWORD
	s_and_saveexec_b64 s[12:13], s[14:15]
	s_cbranch_execz .LBB1786_108
; %bb.103:
	s_mov_b32 s17, 1
	s_mov_b64 s[14:15], 0
	v_mov_b32_e32 v10, 0
.LBB1786_104:                           ; =>This Loop Header: Depth=1
                                        ;     Child Loop BB1786_105 Depth 2
	s_max_u32 s18, s17, 1
.LBB1786_105:                           ;   Parent Loop BB1786_104 Depth=1
                                        ; =>  This Inner Loop Header: Depth=2
	s_add_i32 s18, s18, -1
	s_cmp_eq_u32 s18, 0
	s_sleep 1
	s_cbranch_scc0 .LBB1786_105
; %bb.106:                              ;   in Loop: Header=BB1786_104 Depth=1
	s_cmp_lt_u32 s17, 32
	s_cselect_b64 s[18:19], -1, 0
	s_cmp_lg_u64 s[18:19], 0
	s_addc_u32 s17, s17, 0
	;;#ASMSTART
	global_load_dwordx4 v[6:9], v[30:31] off glc	
s_waitcnt vmcnt(0)
	;;#ASMEND
	v_cmp_ne_u16_sdwa s[18:19], v8, v10 src0_sel:BYTE_0 src1_sel:DWORD
	s_or_b64 s[14:15], s[18:19], s[14:15]
	s_andn2_b64 exec, exec, s[14:15]
	s_cbranch_execnz .LBB1786_104
; %bb.107:
	s_or_b64 exec, exec, s[14:15]
.LBB1786_108:
	s_or_b64 exec, exec, s[12:13]
	v_and_b32_e32 v94, 63, v85
	v_cmp_ne_u32_e32 vcc, 63, v94
	v_mov_b32_e32 v93, 2
	v_addc_co_u32_e32 v30, vcc, 0, v85, vcc
	v_cmp_eq_u16_sdwa s[12:13], v8, v93 src0_sel:BYTE_0 src1_sel:DWORD
	v_lshlrev_b64 v[10:11], v85, -1
	v_lshlrev_b32_e32 v95, 2, v30
	v_and_b32_e32 v9, s13, v11
	ds_bpermute_b32 v30, v95, v6
	ds_bpermute_b32 v31, v95, v7
	v_or_b32_e32 v9, 0x80000000, v9
	v_and_b32_e32 v29, s12, v10
	v_ffbl_b32_e32 v9, v9
	v_add_u32_e32 v9, 32, v9
	v_ffbl_b32_e32 v29, v29
	v_min_u32_e32 v9, v29, v9
	s_waitcnt lgkmcnt(1)
	v_add_u32_e32 v29, v30, v6
	s_waitcnt lgkmcnt(0)
	v_add_u32_e32 v30, v31, v7
	v_cmp_lt_u32_e32 vcc, v94, v9
	v_cndmask_b32_e32 v7, v7, v30, vcc
	v_cndmask_b32_e32 v6, v6, v29, vcc
	v_cmp_gt_u32_e32 vcc, 62, v94
	v_cndmask_b32_e64 v29, 0, 1, vcc
	v_lshlrev_b32_e32 v29, 1, v29
	v_add_lshl_u32 v96, v29, v85, 2
	ds_bpermute_b32 v29, v96, v6
	ds_bpermute_b32 v30, v96, v7
	v_add_u32_e32 v97, 2, v94
	v_cmp_gt_u32_e32 vcc, v97, v9
	v_add_u32_e32 v99, 4, v94
	s_waitcnt lgkmcnt(1)
	v_add_u32_e32 v29, v6, v29
	s_waitcnt lgkmcnt(0)
	v_add_u32_e32 v30, v7, v30
	v_cndmask_b32_e32 v7, v30, v7, vcc
	v_cndmask_b32_e32 v6, v29, v6, vcc
	v_cmp_gt_u32_e32 vcc, 60, v94
	v_cndmask_b32_e64 v29, 0, 1, vcc
	v_lshlrev_b32_e32 v29, 2, v29
	v_add_lshl_u32 v98, v29, v85, 2
	ds_bpermute_b32 v29, v98, v6
	ds_bpermute_b32 v30, v98, v7
	v_cmp_gt_u32_e32 vcc, v99, v9
	v_add_u32_e32 v101, 8, v94
	v_add_u32_e32 v103, 16, v94
	s_waitcnt lgkmcnt(1)
	v_add_u32_e32 v29, v6, v29
	s_waitcnt lgkmcnt(0)
	v_add_u32_e32 v30, v7, v30
	v_cndmask_b32_e32 v7, v30, v7, vcc
	v_cndmask_b32_e32 v6, v29, v6, vcc
	v_cmp_gt_u32_e32 vcc, 56, v94
	v_cndmask_b32_e64 v29, 0, 1, vcc
	v_lshlrev_b32_e32 v29, 3, v29
	v_add_lshl_u32 v100, v29, v85, 2
	ds_bpermute_b32 v29, v100, v6
	ds_bpermute_b32 v30, v100, v7
	v_cmp_gt_u32_e32 vcc, v101, v9
	v_add_u32_e32 v105, 32, v94
	s_waitcnt lgkmcnt(1)
	v_add_u32_e32 v29, v6, v29
	s_waitcnt lgkmcnt(0)
	v_add_u32_e32 v30, v7, v30
	v_cndmask_b32_e32 v7, v30, v7, vcc
	v_cndmask_b32_e32 v6, v29, v6, vcc
	v_cmp_gt_u32_e32 vcc, 48, v94
	v_cndmask_b32_e64 v29, 0, 1, vcc
	v_lshlrev_b32_e32 v29, 4, v29
	v_add_lshl_u32 v102, v29, v85, 2
	ds_bpermute_b32 v29, v102, v6
	ds_bpermute_b32 v30, v102, v7
	v_cmp_gt_u32_e32 vcc, v103, v9
	s_waitcnt lgkmcnt(1)
	v_add_u32_e32 v29, v6, v29
	s_waitcnt lgkmcnt(0)
	v_add_u32_e32 v30, v7, v30
	v_cndmask_b32_e32 v7, v30, v7, vcc
	v_cndmask_b32_e32 v6, v29, v6, vcc
	v_cmp_gt_u32_e32 vcc, 32, v94
	v_cndmask_b32_e64 v29, 0, 1, vcc
	v_lshlrev_b32_e32 v29, 5, v29
	v_add_lshl_u32 v104, v29, v85, 2
	ds_bpermute_b32 v29, v104, v6
	ds_bpermute_b32 v30, v104, v7
	v_cmp_le_u32_e32 vcc, v105, v9
	s_waitcnt lgkmcnt(1)
	v_cndmask_b32_e32 v9, 0, v29, vcc
	s_waitcnt lgkmcnt(0)
	v_cndmask_b32_e32 v29, 0, v30, vcc
	v_add_u32_e32 v7, v7, v29
	v_add_u32_e32 v6, v6, v9
	v_mov_b32_e32 v29, 0
	s_branch .LBB1786_110
.LBB1786_109:                           ;   in Loop: Header=BB1786_110 Depth=1
	s_or_b64 exec, exec, s[12:13]
	v_cmp_eq_u16_sdwa s[12:13], v8, v93 src0_sel:BYTE_0 src1_sel:DWORD
	v_and_b32_e32 v9, s13, v11
	ds_bpermute_b32 v33, v95, v6
	ds_bpermute_b32 v106, v95, v7
	v_or_b32_e32 v9, 0x80000000, v9
	v_and_b32_e32 v32, s12, v10
	v_ffbl_b32_e32 v9, v9
	v_add_u32_e32 v9, 32, v9
	v_ffbl_b32_e32 v32, v32
	v_min_u32_e32 v9, v32, v9
	s_waitcnt lgkmcnt(1)
	v_add_u32_e32 v32, v33, v6
	s_waitcnt lgkmcnt(0)
	v_add_u32_e32 v33, v106, v7
	v_cmp_lt_u32_e32 vcc, v94, v9
	v_cndmask_b32_e32 v7, v7, v33, vcc
	v_cndmask_b32_e32 v6, v6, v32, vcc
	ds_bpermute_b32 v32, v96, v6
	ds_bpermute_b32 v33, v96, v7
	v_cmp_gt_u32_e32 vcc, v97, v9
	v_subrev_u32_e32 v28, 64, v28
	s_waitcnt lgkmcnt(1)
	v_add_u32_e32 v32, v6, v32
	s_waitcnt lgkmcnt(0)
	v_add_u32_e32 v33, v7, v33
	v_cndmask_b32_e32 v7, v33, v7, vcc
	v_cndmask_b32_e32 v6, v32, v6, vcc
	ds_bpermute_b32 v32, v98, v6
	ds_bpermute_b32 v33, v98, v7
	v_cmp_gt_u32_e32 vcc, v99, v9
	s_waitcnt lgkmcnt(1)
	v_add_u32_e32 v32, v6, v32
	s_waitcnt lgkmcnt(0)
	v_add_u32_e32 v33, v7, v33
	v_cndmask_b32_e32 v7, v33, v7, vcc
	v_cndmask_b32_e32 v6, v32, v6, vcc
	ds_bpermute_b32 v32, v100, v6
	ds_bpermute_b32 v33, v100, v7
	v_cmp_gt_u32_e32 vcc, v101, v9
	;; [unrolled: 9-line block ×3, first 2 shown]
	s_waitcnt lgkmcnt(1)
	v_add_u32_e32 v32, v6, v32
	s_waitcnt lgkmcnt(0)
	v_add_u32_e32 v33, v7, v33
	v_cndmask_b32_e32 v7, v33, v7, vcc
	v_cndmask_b32_e32 v6, v32, v6, vcc
	ds_bpermute_b32 v32, v104, v6
	ds_bpermute_b32 v33, v104, v7
	v_cmp_le_u32_e32 vcc, v105, v9
	s_waitcnt lgkmcnt(1)
	v_cndmask_b32_e32 v9, 0, v32, vcc
	s_waitcnt lgkmcnt(0)
	v_cndmask_b32_e32 v32, 0, v33, vcc
	v_add3_u32 v7, v32, v31, v7
	v_add3_u32 v6, v9, v30, v6
.LBB1786_110:                           ; =>This Loop Header: Depth=1
                                        ;     Child Loop BB1786_113 Depth 2
                                        ;       Child Loop BB1786_114 Depth 3
	v_cmp_ne_u16_sdwa s[12:13], v8, v93 src0_sel:BYTE_0 src1_sel:DWORD
	v_cndmask_b32_e64 v8, 0, 1, s[12:13]
	;;#ASMSTART
	;;#ASMEND
	v_cmp_ne_u32_e32 vcc, 0, v8
	s_cmp_lg_u64 vcc, exec
	v_pk_mov_b32 v[30:31], v[6:7], v[6:7] op_sel:[0,1]
	s_cbranch_scc1 .LBB1786_117
; %bb.111:                              ;   in Loop: Header=BB1786_110 Depth=1
	v_lshlrev_b64 v[6:7], 4, v[28:29]
	v_mov_b32_e32 v8, s51
	v_add_co_u32_e32 v32, vcc, s50, v6
	v_addc_co_u32_e32 v33, vcc, v8, v7, vcc
	;;#ASMSTART
	global_load_dwordx4 v[6:9], v[32:33] off glc	
s_waitcnt vmcnt(0)
	;;#ASMEND
	v_and_b32_e32 v9, 0xff, v7
	v_and_b32_e32 v106, 0xff00, v7
	v_or3_b32 v9, 0, v9, v106
	v_or3_b32 v6, v6, 0, 0
	v_and_b32_e32 v106, 0xff000000, v7
	v_and_b32_e32 v7, 0xff0000, v7
	v_or3_b32 v7, v9, v7, v106
	v_or3_b32 v6, v6, 0, 0
	v_cmp_eq_u16_sdwa s[14:15], v8, v29 src0_sel:BYTE_0 src1_sel:DWORD
	s_and_saveexec_b64 s[12:13], s[14:15]
	s_cbranch_execz .LBB1786_109
; %bb.112:                              ;   in Loop: Header=BB1786_110 Depth=1
	s_mov_b32 s17, 1
	s_mov_b64 s[14:15], 0
.LBB1786_113:                           ;   Parent Loop BB1786_110 Depth=1
                                        ; =>  This Loop Header: Depth=2
                                        ;       Child Loop BB1786_114 Depth 3
	s_max_u32 s18, s17, 1
.LBB1786_114:                           ;   Parent Loop BB1786_110 Depth=1
                                        ;     Parent Loop BB1786_113 Depth=2
                                        ; =>    This Inner Loop Header: Depth=3
	s_add_i32 s18, s18, -1
	s_cmp_eq_u32 s18, 0
	s_sleep 1
	s_cbranch_scc0 .LBB1786_114
; %bb.115:                              ;   in Loop: Header=BB1786_113 Depth=2
	s_cmp_lt_u32 s17, 32
	s_cselect_b64 s[18:19], -1, 0
	s_cmp_lg_u64 s[18:19], 0
	s_addc_u32 s17, s17, 0
	;;#ASMSTART
	global_load_dwordx4 v[6:9], v[32:33] off glc	
s_waitcnt vmcnt(0)
	;;#ASMEND
	v_cmp_ne_u16_sdwa s[18:19], v8, v29 src0_sel:BYTE_0 src1_sel:DWORD
	s_or_b64 s[14:15], s[18:19], s[14:15]
	s_andn2_b64 exec, exec, s[14:15]
	s_cbranch_execnz .LBB1786_113
; %bb.116:                              ;   in Loop: Header=BB1786_110 Depth=1
	s_or_b64 exec, exec, s[14:15]
	s_branch .LBB1786_109
.LBB1786_117:                           ;   in Loop: Header=BB1786_110 Depth=1
                                        ; implicit-def: $vgpr8
                                        ; implicit-def: $vgpr6_vgpr7
	s_cbranch_execz .LBB1786_110
; %bb.118:
	s_and_saveexec_b64 s[12:13], s[8:9]
	s_cbranch_execz .LBB1786_120
; %bb.119:
	s_add_i32 s14, s33, 64
	s_mov_b32 s15, 0
	v_add_u32_e32 v7, v31, v27
	s_lshl_b64 s[14:15], s[14:15], 4
	s_add_u32 s14, s50, s14
	v_and_b32_e32 v8, 0xff000000, v7
	v_and_b32_e32 v10, 0xff0000, v7
	s_addc_u32 s15, s51, s15
	v_or_b32_e32 v8, v10, v8
	v_and_b32_e32 v10, 0xff00, v7
	v_and_b32_e32 v7, 0xff, v7
	v_add_u32_e32 v6, v30, v26
	v_mov_b32_e32 v9, 0
	v_or3_b32 v7, v8, v10, v7
	v_mov_b32_e32 v8, 2
	v_pk_mov_b32 v[10:11], s[14:15], s[14:15] op_sel:[0,1]
	;;#ASMSTART
	global_store_dwordx4 v[10:11], v[6:9] off	
s_waitcnt vmcnt(0)
	;;#ASMEND
	s_movk_i32 s14, 0x3400
	v_add_u32_e64 v6, s14, 0
	ds_write2_b32 v6, v26, v27 offset1:2
	ds_write2_b32 v6, v30, v31 offset0:4 offset1:6
.LBB1786_120:
	s_or_b64 exec, exec, s[12:13]
	s_and_b64 exec, exec, s[0:1]
	s_cbranch_execz .LBB1786_122
; %bb.121:
	v_mov_b32_e32 v6, 0
	ds_write_b64 v6, v[30:31] offset:24
.LBB1786_122:
	s_or_b64 exec, exec, s[10:11]
	v_mov_b32_e32 v6, 0
	s_waitcnt lgkmcnt(0)
	s_barrier
	ds_read_b64 v[10:11], v6 offset:24
	v_cndmask_b32_e64 v25, v92, v25, s[8:9]
	v_cndmask_b32_e64 v1, v1, v24, s[8:9]
	s_movk_i32 s8, 0x3400
	s_waitcnt lgkmcnt(0)
	v_add_u32_e32 v24, v10, v1
	v_add_u32_e64 v1, s8, 0
	s_barrier
	ds_read2_b32 v[6:7], v1 offset1:2
	ds_read2_b32 v[8:9], v1 offset0:4 offset1:6
	v_add_u32_e32 v1, v11, v25
	v_cndmask_b32_e64 v1, v1, v11, s[0:1]
	v_cndmask_b32_e64 v10, v24, v10, s[0:1]
	s_branch .LBB1786_133
.LBB1786_123:
                                        ; implicit-def: $vgpr1
                                        ; implicit-def: $vgpr8
                                        ; implicit-def: $vgpr6
                                        ; implicit-def: $vgpr10_vgpr11
	s_cbranch_execz .LBB1786_133
; %bb.124:
	s_nop 0
	v_mov_b32_dpp v1, v90 row_shr:1 row_mask:0xf bank_mask:0xf
	s_waitcnt lgkmcnt(1)
	v_mov_b32_dpp v6, v91 row_shr:1 row_mask:0xf bank_mask:0xf
	v_add_u32_e32 v1, v1, v90
	v_add_u32_e32 v6, v6, v91
	v_cndmask_b32_e64 v6, v6, v91, s[6:7]
	v_cndmask_b32_e64 v1, v1, v90, s[6:7]
	v_cmp_lt_u32_e32 vcc, 3, v89
	s_waitcnt lgkmcnt(0)
	v_mov_b32_dpp v8, v6 row_shr:2 row_mask:0xf bank_mask:0xf
	v_mov_b32_dpp v7, v1 row_shr:2 row_mask:0xf bank_mask:0xf
	v_add_u32_e32 v7, v1, v7
	v_add_u32_e32 v8, v6, v8
	v_cndmask_b32_e64 v6, v6, v8, s[4:5]
	v_cndmask_b32_e64 v1, v1, v7, s[4:5]
	s_nop 0
	v_mov_b32_dpp v8, v6 row_shr:4 row_mask:0xf bank_mask:0xf
	v_mov_b32_dpp v7, v1 row_shr:4 row_mask:0xf bank_mask:0xf
	v_add_u32_e32 v7, v1, v7
	v_add_u32_e32 v8, v6, v8
	v_cndmask_b32_e32 v6, v6, v8, vcc
	v_cndmask_b32_e32 v1, v1, v7, vcc
	v_cmp_lt_u32_e32 vcc, 7, v89
	v_mov_b32_dpp v8, v6 row_shr:8 row_mask:0xf bank_mask:0xf
	v_mov_b32_dpp v7, v1 row_shr:8 row_mask:0xf bank_mask:0xf
	v_add_u32_e32 v7, v1, v7
	v_add_u32_e32 v8, v6, v8
	v_cndmask_b32_e32 v6, v6, v8, vcc
	v_cndmask_b32_e32 v1, v1, v7, vcc
	v_cmp_eq_u32_e32 vcc, 0, v88
	v_mov_b32_dpp v8, v6 row_bcast:15 row_mask:0xf bank_mask:0xf
	v_mov_b32_dpp v7, v1 row_bcast:15 row_mask:0xf bank_mask:0xf
	v_add_u32_e32 v7, v1, v7
	v_add_u32_e32 v8, v6, v8
	v_cndmask_b32_e32 v6, v8, v6, vcc
	v_cndmask_b32_e32 v1, v7, v1, vcc
	v_cmp_lt_u32_e32 vcc, 31, v85
	v_mov_b32_dpp v8, v6 row_bcast:31 row_mask:0xf bank_mask:0xf
	v_mov_b32_dpp v7, v1 row_bcast:31 row_mask:0xf bank_mask:0xf
	v_add_u32_e32 v8, v6, v8
	v_add_u32_e32 v9, v1, v7
	v_cndmask_b32_e32 v7, v6, v8, vcc
	v_cndmask_b32_e32 v6, v1, v9, vcc
	v_cmp_eq_u32_e32 vcc, v87, v0
	s_and_saveexec_b64 s[4:5], vcc
	s_cbranch_execz .LBB1786_126
; %bb.125:
	v_lshlrev_b32_e32 v1, 3, v86
	ds_write_b64 v1, v[6:7]
.LBB1786_126:
	s_or_b64 exec, exec, s[4:5]
	v_cmp_gt_u32_e32 vcc, 4, v0
	s_waitcnt lgkmcnt(0)
	s_barrier
	s_and_saveexec_b64 s[4:5], vcc
	s_cbranch_execz .LBB1786_128
; %bb.127:
	v_lshlrev_b32_e32 v1, 3, v0
	ds_read_b64 v[8:9], v1
	v_and_b32_e32 v10, 3, v85
	v_cmp_eq_u32_e32 vcc, 0, v10
	s_waitcnt lgkmcnt(0)
	v_mov_b32_dpp v11, v8 row_shr:1 row_mask:0xf bank_mask:0xf
	v_mov_b32_dpp v24, v9 row_shr:1 row_mask:0xf bank_mask:0xf
	v_add_u32_e32 v11, v11, v8
	v_add_u32_e32 v24, v24, v9
	v_cndmask_b32_e32 v9, v24, v9, vcc
	v_cndmask_b32_e32 v8, v11, v8, vcc
	v_cmp_lt_u32_e32 vcc, 1, v10
	v_mov_b32_dpp v24, v9 row_shr:2 row_mask:0xf bank_mask:0xf
	v_mov_b32_dpp v11, v8 row_shr:2 row_mask:0xf bank_mask:0xf
	v_cndmask_b32_e32 v10, 0, v11, vcc
	v_cndmask_b32_e32 v11, 0, v24, vcc
	v_add_u32_e32 v9, v11, v9
	v_add_u32_e32 v8, v10, v8
	ds_write_b64 v1, v[8:9]
.LBB1786_128:
	s_or_b64 exec, exec, s[4:5]
	v_cmp_lt_u32_e32 vcc, 63, v0
	v_mov_b32_e32 v8, 0
	v_mov_b32_e32 v10, 0
	;; [unrolled: 1-line block ×3, first 2 shown]
	s_waitcnt lgkmcnt(0)
	s_barrier
	s_and_saveexec_b64 s[4:5], vcc
	s_cbranch_execz .LBB1786_130
; %bb.129:
	v_lshl_add_u32 v1, v86, 3, -8
	ds_read_b64 v[10:11], v1
.LBB1786_130:
	s_or_b64 exec, exec, s[4:5]
	s_waitcnt lgkmcnt(0)
	v_add_u32_e32 v9, v11, v7
	v_add_u32_e32 v1, v10, v6
	v_add_u32_e32 v6, -1, v85
	v_and_b32_e32 v7, 64, v85
	v_cmp_lt_i32_e32 vcc, v6, v7
	v_cndmask_b32_e32 v6, v6, v85, vcc
	v_lshlrev_b32_e32 v24, 2, v6
	ds_read_b64 v[6:7], v8 offset:24
	ds_bpermute_b32 v1, v24, v1
	ds_bpermute_b32 v24, v24, v9
	s_waitcnt lgkmcnt(2)
	v_readfirstlane_b32 s6, v7
	s_and_saveexec_b64 s[4:5], s[0:1]
	s_cbranch_execz .LBB1786_132
; %bb.131:
	s_add_u32 s8, s50, 0x400
	s_mov_b32 s10, 0
	s_addc_u32 s9, s51, 0
	s_and_b32 s11, s6, 0xff000000
	s_and_b32 s13, s6, 0xff0000
	s_mov_b32 s12, s10
	s_or_b64 s[12:13], s[12:13], s[10:11]
	s_and_b32 s11, s6, 0xff00
	s_or_b64 s[12:13], s[12:13], s[10:11]
	s_and_b32 s11, s6, 0xff
	s_or_b64 s[10:11], s[12:13], s[10:11]
	v_mov_b32_e32 v7, s11
	v_mov_b32_e32 v8, 2
	;; [unrolled: 1-line block ×3, first 2 shown]
	v_pk_mov_b32 v[26:27], s[8:9], s[8:9] op_sel:[0,1]
	;;#ASMSTART
	global_store_dwordx4 v[26:27], v[6:9] off	
s_waitcnt vmcnt(0)
	;;#ASMEND
.LBB1786_132:
	s_or_b64 exec, exec, s[4:5]
	v_cmp_eq_u32_e32 vcc, 0, v85
	s_waitcnt lgkmcnt(1)
	v_cndmask_b32_e32 v7, v1, v10, vcc
	s_waitcnt lgkmcnt(0)
	v_cndmask_b32_e32 v1, v24, v11, vcc
	v_mov_b32_e32 v8, 0
	v_cndmask_b32_e64 v1, v1, 0, s[0:1]
	v_cndmask_b32_e64 v10, v7, 0, s[0:1]
	s_barrier
	v_mov_b32_e32 v7, s6
	v_mov_b32_e32 v9, 0
.LBB1786_133:
	v_add_u32_e32 v11, v10, v67
	v_add_u32_e32 v26, v1, v68
	;; [unrolled: 1-line block ×13, first 2 shown]
	s_waitcnt vmcnt(0) lgkmcnt(0)
	v_add_co_u32_e32 v2, vcc, v2, v8
	v_add_u32_e32 v68, v62, v74
	v_add_u32_e32 v64, v67, v64
	v_addc_co_u32_e32 v3, vcc, 0, v3, vcc
	v_add_u32_e32 v69, v68, v82
	v_add_u32_e32 v70, v64, v75
	v_sub_co_u32_e32 v24, vcc, v4, v6
	v_add_u32_e32 v71, v69, v76
	v_add_u32_e32 v65, v70, v65
	v_subbrev_co_u32_e32 v25, vcc, 0, v5, vcc
	v_lshlrev_b32_e32 v76, 1, v6
	v_sub_u32_e32 v1, v1, v9
	v_add_u32_e32 v73, v65, v77
	v_add_co_u32_e32 v24, vcc, v24, v9
	v_add_u32_e32 v77, v76, v7
	v_sub_u32_e32 v10, v10, v8
	v_add_u32_e32 v1, v1, v6
	v_addc_co_u32_e32 v25, vcc, 0, v25, vcc
	v_add_u32_e32 v36, v77, v36
	v_and_b32_e32 v38, 1, v38
	v_add_u32_e32 v77, v10, v1
	v_and_b32_e32 v37, 1, v37
	v_sub_u32_e32 v77, v36, v77
	v_cmp_eq_u32_e32 vcc, 1, v38
	v_cndmask_b32_e32 v1, v77, v1, vcc
	v_cmp_eq_u32_e32 vcc, 1, v37
	v_cndmask_b32_e32 v1, v1, v10, vcc
	v_lshlrev_b32_e32 v1, 2, v1
	ds_write_b32 v1, v22
	v_sub_u32_e32 v1, v11, v8
	v_sub_u32_e32 v11, v26, v9
	v_add_u32_e32 v11, v11, v6
	v_add_u32_e32 v26, v11, v1
	v_and_b32_e32 v22, 1, v40
	v_sub_u32_e32 v26, v36, v26
	v_and_b32_e32 v10, 1, v39
	v_add_u32_e32 v26, 1, v26
	v_cmp_eq_u32_e32 vcc, 1, v22
	v_cndmask_b32_e32 v11, v26, v11, vcc
	v_cmp_eq_u32_e32 vcc, 1, v10
	v_cndmask_b32_e32 v1, v11, v1, vcc
	v_lshlrev_b32_e32 v1, 2, v1
	v_sub_u32_e32 v11, v27, v9
	ds_write_b32 v1, v23
	v_sub_u32_e32 v1, v28, v8
	v_add_u32_e32 v11, v11, v6
	v_add_u32_e32 v23, v11, v1
	v_and_b32_e32 v22, 1, v42
	v_sub_u32_e32 v23, v36, v23
	v_and_b32_e32 v10, 1, v41
	v_add_u32_e32 v23, 2, v23
	v_cmp_eq_u32_e32 vcc, 1, v22
	v_cndmask_b32_e32 v11, v23, v11, vcc
	v_cmp_eq_u32_e32 vcc, 1, v10
	v_cndmask_b32_e32 v1, v11, v1, vcc
	v_lshlrev_b32_e32 v1, 2, v1
	v_sub_u32_e32 v11, v30, v9
	ds_write_b32 v1, v20
	;; [unrolled: 14-line block ×8, first 2 shown]
	v_sub_u32_e32 v1, v70, v8
	v_add_u32_e32 v11, v11, v6
	v_add_u32_e32 v16, v1, v11
	v_and_b32_e32 v14, 1, v55
	v_sub_u32_e32 v16, v36, v16
	v_and_b32_e32 v10, 1, v56
	v_add_u32_e32 v16, 9, v16
	v_cmp_eq_u32_e32 vcc, 1, v14
	v_cndmask_b32_e32 v11, v16, v11, vcc
	v_cmp_eq_u32_e32 vcc, 1, v10
	v_add_u32_e32 v72, v71, v83
	v_cndmask_b32_e32 v1, v11, v1, vcc
	v_lshlrev_b32_e32 v1, 2, v1
	v_sub_u32_e32 v11, v72, v9
	ds_write_b32 v1, v15
	v_sub_u32_e32 v1, v65, v8
	v_add_u32_e32 v11, v11, v6
	v_add_u32_e32 v15, v1, v11
	v_and_b32_e32 v14, 1, v57
	v_sub_u32_e32 v15, v36, v15
	v_and_b32_e32 v10, 1, v58
	v_add_u32_e32 v15, 10, v15
	v_cmp_eq_u32_e32 vcc, 1, v14
	v_cndmask_b32_e32 v11, v15, v11, vcc
	v_cmp_eq_u32_e32 vcc, 1, v10
	v_add_u32_e32 v74, v72, v78
	v_cndmask_b32_e32 v1, v11, v1, vcc
	v_lshlrev_b32_e32 v1, 2, v1
	v_sub_u32_e32 v11, v74, v9
	ds_write_b32 v1, v12
	v_sub_u32_e32 v1, v73, v8
	v_add_u32_e32 v11, v11, v6
	v_add_u32_e32 v14, v1, v11
	v_and_b32_e32 v12, 1, v59
	v_sub_u32_e32 v14, v36, v14
	v_and_b32_e32 v10, 1, v60
	v_add_u32_e32 v14, 11, v14
	v_cmp_eq_u32_e32 vcc, 1, v12
	v_cndmask_b32_e32 v11, v14, v11, vcc
	v_cmp_eq_u32_e32 vcc, 1, v10
	v_cndmask_b32_e32 v1, v11, v1, vcc
	v_add_u32_e32 v75, v74, v84
	v_add_u32_e32 v66, v73, v66
	v_lshlrev_b32_e32 v1, 2, v1
	ds_write_b32 v1, v13
	v_sub_u32_e32 v1, v66, v8
	v_sub_u32_e32 v8, v75, v9
	v_add_u32_e32 v8, v8, v6
	v_add_u32_e32 v10, v1, v8
	v_sub_u32_e32 v10, v36, v10
	v_add_u32_e32 v10, 12, v10
	v_cndmask_b32_e64 v8, v10, v8, s[54:55]
	v_cndmask_b32_e64 v1, v8, v1, s[52:53]
	v_lshlrev_b32_e32 v1, 2, v1
	ds_write_b32 v1, v35
	v_mov_b32_e32 v1, s49
	v_add_co_u32_e32 v8, vcc, s48, v34
	v_addc_co_u32_e32 v10, vcc, 0, v1, vcc
	v_add_co_u32_e32 v1, vcc, v7, v76
	v_addc_co_u32_e64 v11, s[4:5], 0, 0, vcc
	v_add_co_u32_e32 v1, vcc, v1, v24
	v_addc_co_u32_e32 v11, vcc, v11, v25, vcc
	v_add_co_u32_e32 v1, vcc, v1, v2
	v_addc_co_u32_e32 v11, vcc, v11, v3, vcc
	v_sub_co_u32_e32 v1, vcc, v8, v1
	v_subb_co_u32_e32 v8, vcc, v10, v11, vcc
	v_lshlrev_b64 v[10:11], 2, v[24:25]
	v_mov_b32_e32 v12, s47
	v_add_co_u32_e32 v10, vcc, s46, v10
	v_addc_co_u32_e32 v11, vcc, v12, v11, vcc
	v_lshlrev_b64 v[12:13], 2, v[2:3]
	v_mov_b32_e32 v15, s45
	v_add_co_u32_e32 v12, vcc, s44, v12
	s_add_u32 s8, s34, -4
	v_addc_co_u32_e32 v13, vcc, v15, v13, vcc
	s_addc_u32 s9, s35, -1
	v_add_u32_e32 v14, v6, v7
	s_and_b64 vcc, exec, s[2:3]
	s_mov_b64 s[2:3], -1
	s_waitcnt lgkmcnt(0)
	s_barrier
	s_cbranch_vccz .LBB1786_137
; %bb.134:
	s_and_b64 vcc, exec, s[2:3]
	s_cbranch_vccnz .LBB1786_242
.LBB1786_135:
	s_and_b64 s[0:1], s[0:1], s[30:31]
	s_and_saveexec_b64 s[2:3], s[0:1]
	s_cbranch_execnz .LBB1786_360
.LBB1786_136:
	s_endpgm
.LBB1786_137:
	v_cmp_le_u32_e32 vcc, v6, v0
	s_and_saveexec_b64 s[2:3], vcc
	s_xor_b64 s[2:3], exec, s[2:3]
	s_cbranch_execz .LBB1786_143
; %bb.138:
	v_cmp_le_u32_e32 vcc, v14, v0
	s_and_saveexec_b64 s[4:5], vcc
	s_xor_b64 s[4:5], exec, s[4:5]
	s_cbranch_execz .LBB1786_140
; %bb.139:
	v_lshlrev_b32_e32 v15, 2, v0
	v_add_co_u32_e32 v16, vcc, v1, v0
	ds_read_b32 v15, v15
	v_addc_co_u32_e32 v17, vcc, 0, v8, vcc
	v_lshlrev_b64 v[16:17], 2, v[16:17]
	v_mov_b32_e32 v18, s35
	v_sub_co_u32_e32 v16, vcc, s34, v16
	v_subb_co_u32_e32 v17, vcc, v18, v17, vcc
	s_waitcnt lgkmcnt(0)
	global_store_dword v[16:17], v15, off offset:-4
.LBB1786_140:
	s_andn2_saveexec_b64 s[4:5], s[4:5]
	s_cbranch_execz .LBB1786_142
; %bb.141:
	v_lshlrev_b32_e32 v15, 2, v0
	ds_read_b32 v16, v15
	v_readfirstlane_b32 s6, v10
	v_readfirstlane_b32 s7, v11
	s_waitcnt lgkmcnt(0)
	s_nop 3
	global_store_dword v15, v16, s[6:7]
.LBB1786_142:
	s_or_b64 exec, exec, s[4:5]
.LBB1786_143:
	s_andn2_saveexec_b64 s[2:3], s[2:3]
	s_cbranch_execz .LBB1786_145
; %bb.144:
	v_lshlrev_b32_e32 v15, 2, v0
	ds_read_b32 v16, v15
	v_readfirstlane_b32 s4, v12
	v_readfirstlane_b32 s5, v13
	s_waitcnt lgkmcnt(0)
	s_nop 3
	global_store_dword v15, v16, s[4:5]
.LBB1786_145:
	s_or_b64 exec, exec, s[2:3]
	v_or_b32_e32 v15, 0x100, v0
	v_cmp_le_u32_e32 vcc, v6, v15
	s_and_saveexec_b64 s[2:3], vcc
	s_xor_b64 s[2:3], exec, s[2:3]
	s_cbranch_execz .LBB1786_151
; %bb.146:
	v_cmp_le_u32_e32 vcc, v14, v15
	s_and_saveexec_b64 s[4:5], vcc
	s_xor_b64 s[4:5], exec, s[4:5]
	s_cbranch_execz .LBB1786_148
; %bb.147:
	v_lshlrev_b32_e32 v15, 2, v0
	ds_read_b32 v15, v15 offset:1024
	v_add_co_u32_e32 v16, vcc, v1, v0
	v_addc_co_u32_e32 v17, vcc, 0, v8, vcc
	v_lshlrev_b64 v[16:17], 2, v[16:17]
	v_mov_b32_e32 v18, s9
	v_sub_co_u32_e32 v16, vcc, s8, v16
	v_subb_co_u32_e32 v17, vcc, v18, v17, vcc
	s_waitcnt lgkmcnt(0)
	global_store_dword v[16:17], v15, off offset:-1024
.LBB1786_148:
	s_andn2_saveexec_b64 s[4:5], s[4:5]
	s_cbranch_execz .LBB1786_150
; %bb.149:
	v_lshlrev_b32_e32 v15, 2, v0
	ds_read_b32 v16, v15 offset:1024
	v_readfirstlane_b32 s6, v10
	v_readfirstlane_b32 s7, v11
	s_waitcnt lgkmcnt(0)
	s_nop 3
	global_store_dword v15, v16, s[6:7] offset:1024
.LBB1786_150:
	s_or_b64 exec, exec, s[4:5]
.LBB1786_151:
	s_andn2_saveexec_b64 s[2:3], s[2:3]
	s_cbranch_execz .LBB1786_153
; %bb.152:
	v_lshlrev_b32_e32 v15, 2, v0
	ds_read_b32 v16, v15 offset:1024
	v_readfirstlane_b32 s4, v12
	v_readfirstlane_b32 s5, v13
	s_waitcnt lgkmcnt(0)
	s_nop 3
	global_store_dword v15, v16, s[4:5] offset:1024
.LBB1786_153:
	s_or_b64 exec, exec, s[2:3]
	v_or_b32_e32 v15, 0x200, v0
	v_cmp_le_u32_e32 vcc, v6, v15
	s_and_saveexec_b64 s[2:3], vcc
	s_xor_b64 s[2:3], exec, s[2:3]
	s_cbranch_execz .LBB1786_159
; %bb.154:
	v_cmp_le_u32_e32 vcc, v14, v15
	s_and_saveexec_b64 s[4:5], vcc
	s_xor_b64 s[4:5], exec, s[4:5]
	s_cbranch_execz .LBB1786_156
; %bb.155:
	v_lshlrev_b32_e32 v15, 2, v0
	ds_read_b32 v15, v15 offset:2048
	v_add_co_u32_e32 v16, vcc, v1, v0
	v_addc_co_u32_e32 v17, vcc, 0, v8, vcc
	v_lshlrev_b64 v[16:17], 2, v[16:17]
	v_mov_b32_e32 v18, s9
	v_sub_co_u32_e32 v16, vcc, s8, v16
	v_subb_co_u32_e32 v17, vcc, v18, v17, vcc
	s_waitcnt lgkmcnt(0)
	global_store_dword v[16:17], v15, off offset:-2048
.LBB1786_156:
	s_andn2_saveexec_b64 s[4:5], s[4:5]
	s_cbranch_execz .LBB1786_158
; %bb.157:
	v_lshlrev_b32_e32 v15, 2, v0
	ds_read_b32 v16, v15 offset:2048
	v_readfirstlane_b32 s6, v10
	v_readfirstlane_b32 s7, v11
	s_waitcnt lgkmcnt(0)
	s_nop 3
	global_store_dword v15, v16, s[6:7] offset:2048
.LBB1786_158:
	s_or_b64 exec, exec, s[4:5]
.LBB1786_159:
	s_andn2_saveexec_b64 s[2:3], s[2:3]
	s_cbranch_execz .LBB1786_161
; %bb.160:
	v_lshlrev_b32_e32 v15, 2, v0
	ds_read_b32 v16, v15 offset:2048
	v_readfirstlane_b32 s4, v12
	v_readfirstlane_b32 s5, v13
	s_waitcnt lgkmcnt(0)
	s_nop 3
	global_store_dword v15, v16, s[4:5] offset:2048
.LBB1786_161:
	;; [unrolled: 47-line block ×3, first 2 shown]
	s_or_b64 exec, exec, s[2:3]
	v_or_b32_e32 v15, 0x400, v0
	v_cmp_le_u32_e32 vcc, v6, v15
	s_and_saveexec_b64 s[2:3], vcc
	s_xor_b64 s[2:3], exec, s[2:3]
	s_cbranch_execz .LBB1786_175
; %bb.170:
	v_cmp_le_u32_e32 vcc, v14, v15
	s_and_saveexec_b64 s[4:5], vcc
	s_xor_b64 s[4:5], exec, s[4:5]
	s_cbranch_execz .LBB1786_172
; %bb.171:
	v_lshlrev_b32_e32 v15, 2, v0
	ds_read_b32 v15, v15 offset:4096
	v_add_co_u32_e32 v16, vcc, v1, v0
	v_addc_co_u32_e32 v17, vcc, 0, v8, vcc
	v_lshlrev_b64 v[16:17], 2, v[16:17]
	v_mov_b32_e32 v18, s9
	v_sub_co_u32_e32 v16, vcc, s8, v16
	v_subb_co_u32_e32 v17, vcc, v18, v17, vcc
	s_waitcnt lgkmcnt(0)
	global_store_dword v[16:17], v15, off offset:-4096
                                        ; implicit-def: $vgpr15
.LBB1786_172:
	s_andn2_saveexec_b64 s[4:5], s[4:5]
	s_cbranch_execz .LBB1786_174
; %bb.173:
	v_lshlrev_b32_e32 v16, 2, v0
	ds_read_b32 v16, v16 offset:4096
	v_lshlrev_b32_e32 v15, 2, v15
	v_readfirstlane_b32 s6, v10
	v_readfirstlane_b32 s7, v11
	s_waitcnt lgkmcnt(0)
	s_nop 3
	global_store_dword v15, v16, s[6:7]
.LBB1786_174:
	s_or_b64 exec, exec, s[4:5]
                                        ; implicit-def: $vgpr15
.LBB1786_175:
	s_andn2_saveexec_b64 s[2:3], s[2:3]
	s_cbranch_execz .LBB1786_177
; %bb.176:
	v_lshlrev_b32_e32 v16, 2, v0
	ds_read_b32 v16, v16 offset:4096
	v_lshlrev_b32_e32 v15, 2, v15
	v_readfirstlane_b32 s4, v12
	v_readfirstlane_b32 s5, v13
	s_waitcnt lgkmcnt(0)
	s_nop 3
	global_store_dword v15, v16, s[4:5]
.LBB1786_177:
	s_or_b64 exec, exec, s[2:3]
	v_or_b32_e32 v15, 0x500, v0
	v_cmp_le_u32_e32 vcc, v6, v15
	s_and_saveexec_b64 s[2:3], vcc
	s_xor_b64 s[2:3], exec, s[2:3]
	s_cbranch_execz .LBB1786_183
; %bb.178:
	v_cmp_le_u32_e32 vcc, v14, v15
	s_and_saveexec_b64 s[4:5], vcc
	s_xor_b64 s[4:5], exec, s[4:5]
	s_cbranch_execz .LBB1786_180
; %bb.179:
	v_add_co_u32_e32 v16, vcc, v1, v15
	v_lshlrev_b32_e32 v15, 2, v0
	ds_read_b32 v15, v15 offset:5120
	v_addc_co_u32_e32 v17, vcc, 0, v8, vcc
	v_lshlrev_b64 v[16:17], 2, v[16:17]
	v_mov_b32_e32 v18, s9
	v_sub_co_u32_e32 v16, vcc, s8, v16
	v_subb_co_u32_e32 v17, vcc, v18, v17, vcc
	s_waitcnt lgkmcnt(0)
	global_store_dword v[16:17], v15, off
                                        ; implicit-def: $vgpr15
.LBB1786_180:
	s_andn2_saveexec_b64 s[4:5], s[4:5]
	s_cbranch_execz .LBB1786_182
; %bb.181:
	v_lshlrev_b32_e32 v16, 2, v0
	ds_read_b32 v16, v16 offset:5120
	v_lshlrev_b32_e32 v15, 2, v15
	v_readfirstlane_b32 s6, v10
	v_readfirstlane_b32 s7, v11
	s_waitcnt lgkmcnt(0)
	s_nop 3
	global_store_dword v15, v16, s[6:7]
.LBB1786_182:
	s_or_b64 exec, exec, s[4:5]
                                        ; implicit-def: $vgpr15
.LBB1786_183:
	s_andn2_saveexec_b64 s[2:3], s[2:3]
	s_cbranch_execz .LBB1786_185
; %bb.184:
	v_lshlrev_b32_e32 v16, 2, v0
	ds_read_b32 v16, v16 offset:5120
	v_lshlrev_b32_e32 v15, 2, v15
	v_readfirstlane_b32 s4, v12
	v_readfirstlane_b32 s5, v13
	s_waitcnt lgkmcnt(0)
	s_nop 3
	global_store_dword v15, v16, s[4:5]
.LBB1786_185:
	s_or_b64 exec, exec, s[2:3]
	v_or_b32_e32 v15, 0x600, v0
	v_cmp_le_u32_e32 vcc, v6, v15
	s_and_saveexec_b64 s[2:3], vcc
	s_xor_b64 s[2:3], exec, s[2:3]
	s_cbranch_execz .LBB1786_191
; %bb.186:
	v_cmp_le_u32_e32 vcc, v14, v15
	s_and_saveexec_b64 s[4:5], vcc
	s_xor_b64 s[4:5], exec, s[4:5]
	s_cbranch_execz .LBB1786_188
; %bb.187:
	v_add_co_u32_e32 v16, vcc, v1, v15
	v_lshlrev_b32_e32 v15, 2, v0
	ds_read_b32 v15, v15 offset:6144
	v_addc_co_u32_e32 v17, vcc, 0, v8, vcc
	v_lshlrev_b64 v[16:17], 2, v[16:17]
	v_mov_b32_e32 v18, s9
	v_sub_co_u32_e32 v16, vcc, s8, v16
	v_subb_co_u32_e32 v17, vcc, v18, v17, vcc
	s_waitcnt lgkmcnt(0)
	global_store_dword v[16:17], v15, off
                                        ; implicit-def: $vgpr15
.LBB1786_188:
	s_andn2_saveexec_b64 s[4:5], s[4:5]
	s_cbranch_execz .LBB1786_190
; %bb.189:
	v_lshlrev_b32_e32 v16, 2, v0
	ds_read_b32 v16, v16 offset:6144
	v_lshlrev_b32_e32 v15, 2, v15
	v_readfirstlane_b32 s6, v10
	v_readfirstlane_b32 s7, v11
	s_waitcnt lgkmcnt(0)
	s_nop 3
	global_store_dword v15, v16, s[6:7]
.LBB1786_190:
	s_or_b64 exec, exec, s[4:5]
                                        ; implicit-def: $vgpr15
.LBB1786_191:
	;; [unrolled: 51-line block ×8, first 2 shown]
	s_andn2_saveexec_b64 s[2:3], s[2:3]
	s_cbranch_execz .LBB1786_241
; %bb.240:
	v_lshlrev_b32_e32 v16, 2, v0
	ds_read_b32 v16, v16 offset:12288
	v_lshlrev_b32_e32 v15, 2, v15
	v_readfirstlane_b32 s4, v12
	v_readfirstlane_b32 s5, v13
	s_waitcnt lgkmcnt(0)
	s_nop 3
	global_store_dword v15, v16, s[4:5]
.LBB1786_241:
	s_or_b64 exec, exec, s[2:3]
	s_branch .LBB1786_135
.LBB1786_242:
	v_cmp_gt_u32_e32 vcc, s16, v0
	s_and_saveexec_b64 s[2:3], vcc
	s_cbranch_execz .LBB1786_251
; %bb.243:
	v_cmp_le_u32_e32 vcc, v6, v0
	s_and_saveexec_b64 s[4:5], vcc
	s_xor_b64 s[4:5], exec, s[4:5]
	s_cbranch_execz .LBB1786_249
; %bb.244:
	v_cmp_le_u32_e32 vcc, v14, v0
	s_and_saveexec_b64 s[6:7], vcc
	s_xor_b64 s[6:7], exec, s[6:7]
	s_cbranch_execz .LBB1786_246
; %bb.245:
	v_lshlrev_b32_e32 v15, 2, v0
	v_add_co_u32_e32 v16, vcc, v1, v0
	ds_read_b32 v15, v15
	v_addc_co_u32_e32 v17, vcc, 0, v8, vcc
	v_lshlrev_b64 v[16:17], 2, v[16:17]
	v_mov_b32_e32 v18, s35
	v_sub_co_u32_e32 v16, vcc, s34, v16
	v_subb_co_u32_e32 v17, vcc, v18, v17, vcc
	s_waitcnt lgkmcnt(0)
	global_store_dword v[16:17], v15, off offset:-4
.LBB1786_246:
	s_andn2_saveexec_b64 s[6:7], s[6:7]
	s_cbranch_execz .LBB1786_248
; %bb.247:
	v_lshlrev_b32_e32 v15, 2, v0
	ds_read_b32 v16, v15
	v_readfirstlane_b32 s10, v10
	v_readfirstlane_b32 s11, v11
	s_waitcnt lgkmcnt(0)
	s_nop 3
	global_store_dword v15, v16, s[10:11]
.LBB1786_248:
	s_or_b64 exec, exec, s[6:7]
.LBB1786_249:
	s_andn2_saveexec_b64 s[4:5], s[4:5]
	s_cbranch_execz .LBB1786_251
; %bb.250:
	v_lshlrev_b32_e32 v15, 2, v0
	ds_read_b32 v16, v15
	v_readfirstlane_b32 s4, v12
	v_readfirstlane_b32 s5, v13
	s_waitcnt lgkmcnt(0)
	s_nop 3
	global_store_dword v15, v16, s[4:5]
.LBB1786_251:
	s_or_b64 exec, exec, s[2:3]
	v_or_b32_e32 v15, 0x100, v0
	v_cmp_gt_u32_e32 vcc, s16, v15
	s_and_saveexec_b64 s[2:3], vcc
	s_cbranch_execz .LBB1786_260
; %bb.252:
	v_cmp_le_u32_e32 vcc, v6, v15
	s_and_saveexec_b64 s[4:5], vcc
	s_xor_b64 s[4:5], exec, s[4:5]
	s_cbranch_execz .LBB1786_258
; %bb.253:
	v_cmp_le_u32_e32 vcc, v14, v15
	s_and_saveexec_b64 s[6:7], vcc
	s_xor_b64 s[6:7], exec, s[6:7]
	s_cbranch_execz .LBB1786_255
; %bb.254:
	v_lshlrev_b32_e32 v15, 2, v0
	ds_read_b32 v15, v15 offset:1024
	v_add_co_u32_e32 v16, vcc, v1, v0
	v_addc_co_u32_e32 v17, vcc, 0, v8, vcc
	v_lshlrev_b64 v[16:17], 2, v[16:17]
	v_mov_b32_e32 v18, s9
	v_sub_co_u32_e32 v16, vcc, s8, v16
	v_subb_co_u32_e32 v17, vcc, v18, v17, vcc
	s_waitcnt lgkmcnt(0)
	global_store_dword v[16:17], v15, off offset:-1024
.LBB1786_255:
	s_andn2_saveexec_b64 s[6:7], s[6:7]
	s_cbranch_execz .LBB1786_257
; %bb.256:
	v_lshlrev_b32_e32 v15, 2, v0
	ds_read_b32 v16, v15 offset:1024
	v_readfirstlane_b32 s10, v10
	v_readfirstlane_b32 s11, v11
	s_waitcnt lgkmcnt(0)
	s_nop 3
	global_store_dword v15, v16, s[10:11] offset:1024
.LBB1786_257:
	s_or_b64 exec, exec, s[6:7]
.LBB1786_258:
	s_andn2_saveexec_b64 s[4:5], s[4:5]
	s_cbranch_execz .LBB1786_260
; %bb.259:
	v_lshlrev_b32_e32 v15, 2, v0
	ds_read_b32 v16, v15 offset:1024
	v_readfirstlane_b32 s4, v12
	v_readfirstlane_b32 s5, v13
	s_waitcnt lgkmcnt(0)
	s_nop 3
	global_store_dword v15, v16, s[4:5] offset:1024
.LBB1786_260:
	s_or_b64 exec, exec, s[2:3]
	v_or_b32_e32 v15, 0x200, v0
	v_cmp_gt_u32_e32 vcc, s16, v15
	s_and_saveexec_b64 s[2:3], vcc
	s_cbranch_execz .LBB1786_269
; %bb.261:
	v_cmp_le_u32_e32 vcc, v6, v15
	s_and_saveexec_b64 s[4:5], vcc
	s_xor_b64 s[4:5], exec, s[4:5]
	s_cbranch_execz .LBB1786_267
; %bb.262:
	v_cmp_le_u32_e32 vcc, v14, v15
	s_and_saveexec_b64 s[6:7], vcc
	s_xor_b64 s[6:7], exec, s[6:7]
	s_cbranch_execz .LBB1786_264
; %bb.263:
	v_lshlrev_b32_e32 v15, 2, v0
	ds_read_b32 v15, v15 offset:2048
	v_add_co_u32_e32 v16, vcc, v1, v0
	v_addc_co_u32_e32 v17, vcc, 0, v8, vcc
	v_lshlrev_b64 v[16:17], 2, v[16:17]
	v_mov_b32_e32 v18, s9
	v_sub_co_u32_e32 v16, vcc, s8, v16
	v_subb_co_u32_e32 v17, vcc, v18, v17, vcc
	s_waitcnt lgkmcnt(0)
	global_store_dword v[16:17], v15, off offset:-2048
.LBB1786_264:
	s_andn2_saveexec_b64 s[6:7], s[6:7]
	s_cbranch_execz .LBB1786_266
; %bb.265:
	v_lshlrev_b32_e32 v15, 2, v0
	ds_read_b32 v16, v15 offset:2048
	v_readfirstlane_b32 s10, v10
	v_readfirstlane_b32 s11, v11
	s_waitcnt lgkmcnt(0)
	s_nop 3
	global_store_dword v15, v16, s[10:11] offset:2048
.LBB1786_266:
	s_or_b64 exec, exec, s[6:7]
.LBB1786_267:
	s_andn2_saveexec_b64 s[4:5], s[4:5]
	s_cbranch_execz .LBB1786_269
; %bb.268:
	v_lshlrev_b32_e32 v15, 2, v0
	ds_read_b32 v16, v15 offset:2048
	v_readfirstlane_b32 s4, v12
	v_readfirstlane_b32 s5, v13
	s_waitcnt lgkmcnt(0)
	s_nop 3
	global_store_dword v15, v16, s[4:5] offset:2048
.LBB1786_269:
	;; [unrolled: 51-line block ×3, first 2 shown]
	s_or_b64 exec, exec, s[2:3]
	v_or_b32_e32 v15, 0x400, v0
	v_cmp_gt_u32_e32 vcc, s16, v15
	s_and_saveexec_b64 s[2:3], vcc
	s_cbranch_execz .LBB1786_287
; %bb.279:
	v_cmp_le_u32_e32 vcc, v6, v15
	s_and_saveexec_b64 s[4:5], vcc
	s_xor_b64 s[4:5], exec, s[4:5]
	s_cbranch_execz .LBB1786_285
; %bb.280:
	v_cmp_le_u32_e32 vcc, v14, v15
	s_and_saveexec_b64 s[6:7], vcc
	s_xor_b64 s[6:7], exec, s[6:7]
	s_cbranch_execz .LBB1786_282
; %bb.281:
	v_lshlrev_b32_e32 v15, 2, v0
	ds_read_b32 v15, v15 offset:4096
	v_add_co_u32_e32 v16, vcc, v1, v0
	v_addc_co_u32_e32 v17, vcc, 0, v8, vcc
	v_lshlrev_b64 v[16:17], 2, v[16:17]
	v_mov_b32_e32 v18, s9
	v_sub_co_u32_e32 v16, vcc, s8, v16
	v_subb_co_u32_e32 v17, vcc, v18, v17, vcc
	s_waitcnt lgkmcnt(0)
	global_store_dword v[16:17], v15, off offset:-4096
                                        ; implicit-def: $vgpr15
.LBB1786_282:
	s_andn2_saveexec_b64 s[6:7], s[6:7]
	s_cbranch_execz .LBB1786_284
; %bb.283:
	v_lshlrev_b32_e32 v16, 2, v0
	ds_read_b32 v16, v16 offset:4096
	v_lshlrev_b32_e32 v15, 2, v15
	v_readfirstlane_b32 s10, v10
	v_readfirstlane_b32 s11, v11
	s_waitcnt lgkmcnt(0)
	s_nop 3
	global_store_dword v15, v16, s[10:11]
.LBB1786_284:
	s_or_b64 exec, exec, s[6:7]
                                        ; implicit-def: $vgpr15
.LBB1786_285:
	s_andn2_saveexec_b64 s[4:5], s[4:5]
	s_cbranch_execz .LBB1786_287
; %bb.286:
	v_lshlrev_b32_e32 v16, 2, v0
	ds_read_b32 v16, v16 offset:4096
	v_lshlrev_b32_e32 v15, 2, v15
	v_readfirstlane_b32 s4, v12
	v_readfirstlane_b32 s5, v13
	s_waitcnt lgkmcnt(0)
	s_nop 3
	global_store_dword v15, v16, s[4:5]
.LBB1786_287:
	s_or_b64 exec, exec, s[2:3]
	v_or_b32_e32 v15, 0x500, v0
	v_cmp_gt_u32_e32 vcc, s16, v15
	s_and_saveexec_b64 s[2:3], vcc
	s_cbranch_execz .LBB1786_296
; %bb.288:
	v_cmp_le_u32_e32 vcc, v6, v15
	s_and_saveexec_b64 s[4:5], vcc
	s_xor_b64 s[4:5], exec, s[4:5]
	s_cbranch_execz .LBB1786_294
; %bb.289:
	v_cmp_le_u32_e32 vcc, v14, v15
	s_and_saveexec_b64 s[6:7], vcc
	s_xor_b64 s[6:7], exec, s[6:7]
	s_cbranch_execz .LBB1786_291
; %bb.290:
	v_add_co_u32_e32 v16, vcc, v1, v15
	v_lshlrev_b32_e32 v15, 2, v0
	ds_read_b32 v15, v15 offset:5120
	v_addc_co_u32_e32 v17, vcc, 0, v8, vcc
	v_lshlrev_b64 v[16:17], 2, v[16:17]
	v_mov_b32_e32 v18, s9
	v_sub_co_u32_e32 v16, vcc, s8, v16
	v_subb_co_u32_e32 v17, vcc, v18, v17, vcc
	s_waitcnt lgkmcnt(0)
	global_store_dword v[16:17], v15, off
                                        ; implicit-def: $vgpr15
.LBB1786_291:
	s_andn2_saveexec_b64 s[6:7], s[6:7]
	s_cbranch_execz .LBB1786_293
; %bb.292:
	v_lshlrev_b32_e32 v16, 2, v0
	ds_read_b32 v16, v16 offset:5120
	v_lshlrev_b32_e32 v15, 2, v15
	v_readfirstlane_b32 s10, v10
	v_readfirstlane_b32 s11, v11
	s_waitcnt lgkmcnt(0)
	s_nop 3
	global_store_dword v15, v16, s[10:11]
.LBB1786_293:
	s_or_b64 exec, exec, s[6:7]
                                        ; implicit-def: $vgpr15
.LBB1786_294:
	s_andn2_saveexec_b64 s[4:5], s[4:5]
	s_cbranch_execz .LBB1786_296
; %bb.295:
	v_lshlrev_b32_e32 v16, 2, v0
	ds_read_b32 v16, v16 offset:5120
	v_lshlrev_b32_e32 v15, 2, v15
	v_readfirstlane_b32 s4, v12
	v_readfirstlane_b32 s5, v13
	s_waitcnt lgkmcnt(0)
	s_nop 3
	global_store_dword v15, v16, s[4:5]
.LBB1786_296:
	s_or_b64 exec, exec, s[2:3]
	v_or_b32_e32 v15, 0x600, v0
	v_cmp_gt_u32_e32 vcc, s16, v15
	s_and_saveexec_b64 s[2:3], vcc
	s_cbranch_execz .LBB1786_305
; %bb.297:
	v_cmp_le_u32_e32 vcc, v6, v15
	s_and_saveexec_b64 s[4:5], vcc
	s_xor_b64 s[4:5], exec, s[4:5]
	s_cbranch_execz .LBB1786_303
; %bb.298:
	v_cmp_le_u32_e32 vcc, v14, v15
	s_and_saveexec_b64 s[6:7], vcc
	s_xor_b64 s[6:7], exec, s[6:7]
	s_cbranch_execz .LBB1786_300
; %bb.299:
	v_add_co_u32_e32 v16, vcc, v1, v15
	v_lshlrev_b32_e32 v15, 2, v0
	ds_read_b32 v15, v15 offset:6144
	v_addc_co_u32_e32 v17, vcc, 0, v8, vcc
	v_lshlrev_b64 v[16:17], 2, v[16:17]
	v_mov_b32_e32 v18, s9
	v_sub_co_u32_e32 v16, vcc, s8, v16
	v_subb_co_u32_e32 v17, vcc, v18, v17, vcc
	s_waitcnt lgkmcnt(0)
	global_store_dword v[16:17], v15, off
                                        ; implicit-def: $vgpr15
.LBB1786_300:
	s_andn2_saveexec_b64 s[6:7], s[6:7]
	s_cbranch_execz .LBB1786_302
; %bb.301:
	v_lshlrev_b32_e32 v16, 2, v0
	ds_read_b32 v16, v16 offset:6144
	v_lshlrev_b32_e32 v15, 2, v15
	v_readfirstlane_b32 s10, v10
	v_readfirstlane_b32 s11, v11
	s_waitcnt lgkmcnt(0)
	s_nop 3
	global_store_dword v15, v16, s[10:11]
.LBB1786_302:
	s_or_b64 exec, exec, s[6:7]
                                        ; implicit-def: $vgpr15
.LBB1786_303:
	s_andn2_saveexec_b64 s[4:5], s[4:5]
	s_cbranch_execz .LBB1786_305
; %bb.304:
	v_lshlrev_b32_e32 v16, 2, v0
	ds_read_b32 v16, v16 offset:6144
	v_lshlrev_b32_e32 v15, 2, v15
	v_readfirstlane_b32 s4, v12
	v_readfirstlane_b32 s5, v13
	s_waitcnt lgkmcnt(0)
	s_nop 3
	global_store_dword v15, v16, s[4:5]
.LBB1786_305:
	;; [unrolled: 55-line block ×7, first 2 shown]
	s_or_b64 exec, exec, s[2:3]
	v_or_b32_e32 v15, 0xc00, v0
	v_cmp_gt_u32_e32 vcc, s16, v15
	s_and_saveexec_b64 s[2:3], vcc
	s_cbranch_execz .LBB1786_359
; %bb.351:
	v_cmp_le_u32_e32 vcc, v6, v15
	s_and_saveexec_b64 s[4:5], vcc
	s_xor_b64 s[4:5], exec, s[4:5]
	s_cbranch_execz .LBB1786_357
; %bb.352:
	v_cmp_le_u32_e32 vcc, v14, v15
	s_and_saveexec_b64 s[6:7], vcc
	s_xor_b64 s[6:7], exec, s[6:7]
	s_cbranch_execz .LBB1786_354
; %bb.353:
	v_add_co_u32_e32 v10, vcc, v1, v15
	v_lshlrev_b32_e32 v0, 2, v0
	v_addc_co_u32_e32 v11, vcc, 0, v8, vcc
	ds_read_b32 v8, v0 offset:12288
	v_lshlrev_b64 v[0:1], 2, v[10:11]
	v_mov_b32_e32 v10, s9
	v_sub_co_u32_e32 v0, vcc, s8, v0
	v_subb_co_u32_e32 v1, vcc, v10, v1, vcc
	s_waitcnt lgkmcnt(0)
	global_store_dword v[0:1], v8, off
                                        ; implicit-def: $vgpr0
                                        ; implicit-def: $vgpr15
                                        ; implicit-def: $vgpr10_vgpr11
.LBB1786_354:
	s_andn2_saveexec_b64 s[6:7], s[6:7]
	s_cbranch_execz .LBB1786_356
; %bb.355:
	v_lshlrev_b32_e32 v0, 2, v0
	ds_read_b32 v0, v0 offset:12288
	v_lshlrev_b32_e32 v1, 2, v15
	v_readfirstlane_b32 s8, v10
	v_readfirstlane_b32 s9, v11
	s_waitcnt lgkmcnt(0)
	s_nop 3
	global_store_dword v1, v0, s[8:9]
.LBB1786_356:
	s_or_b64 exec, exec, s[6:7]
                                        ; implicit-def: $vgpr0
                                        ; implicit-def: $vgpr15
                                        ; implicit-def: $vgpr12_vgpr13
.LBB1786_357:
	s_andn2_saveexec_b64 s[4:5], s[4:5]
	s_cbranch_execz .LBB1786_359
; %bb.358:
	v_lshlrev_b32_e32 v0, 2, v0
	ds_read_b32 v0, v0 offset:12288
	v_lshlrev_b32_e32 v1, 2, v15
	v_readfirstlane_b32 s4, v12
	v_readfirstlane_b32 s5, v13
	s_waitcnt lgkmcnt(0)
	s_nop 3
	global_store_dword v1, v0, s[4:5]
.LBB1786_359:
	s_or_b64 exec, exec, s[2:3]
	s_and_b64 s[0:1], s[0:1], s[30:31]
	s_and_saveexec_b64 s[2:3], s[0:1]
	s_cbranch_execz .LBB1786_136
.LBB1786_360:
	v_add_co_u32_e32 v0, vcc, v2, v6
	v_addc_co_u32_e32 v1, vcc, 0, v3, vcc
	v_add_co_u32_e32 v2, vcc, v4, v7
	v_addc_co_u32_e32 v3, vcc, 0, v5, vcc
	v_add_co_u32_e32 v2, vcc, v2, v9
	v_mov_b32_e32 v8, 0
	v_addc_co_u32_e32 v3, vcc, 0, v3, vcc
	global_store_dwordx4 v8, v[0:3], s[28:29]
	s_endpgm
	.section	.rodata,"a",@progbits
	.p2align	6, 0x0
	.amdhsa_kernel _ZN7rocprim17ROCPRIM_400000_NS6detail17trampoline_kernelINS0_13select_configILj256ELj13ELNS0_17block_load_methodE3ELS4_3ELS4_3ELNS0_20block_scan_algorithmE0ELj4294967295EEENS1_25partition_config_selectorILNS1_17partition_subalgoE4EjNS0_10empty_typeEbEEZZNS1_14partition_implILS8_4ELb0ES6_15HIP_vector_typeIjLj2EENS0_17counting_iteratorIjlEEPS9_SG_NS0_5tupleIJPjSI_NS0_16reverse_iteratorISI_EEEEENSH_IJSG_SG_SG_EEES9_SI_JZNS1_25segmented_radix_sort_implINS0_14default_configELb0EPK6__halfPSP_PKlPlN2at6native12_GLOBAL__N_18offset_tEEE10hipError_tPvRmT1_PNSt15iterator_traitsIS13_E10value_typeET2_T3_PNS14_IS19_E10value_typeET4_jRbjT5_S1F_jjP12ihipStream_tbEUljE_ZNSN_ISO_Lb0ESR_SS_SU_SV_SZ_EES10_S11_S12_S13_S17_S18_S19_S1C_S1D_jS1E_jS1F_S1F_jjS1H_bEUljE0_EEES10_S11_S12_S19_S1D_S1F_T6_T7_T9_mT8_S1H_bDpT10_ENKUlT_T0_E_clISt17integral_constantIbLb1EES1V_EEDaS1Q_S1R_EUlS1Q_E_NS1_11comp_targetILNS1_3genE4ELNS1_11target_archE910ELNS1_3gpuE8ELNS1_3repE0EEENS1_30default_config_static_selectorELNS0_4arch9wavefront6targetE1EEEvS13_
		.amdhsa_group_segment_fixed_size 13340
		.amdhsa_private_segment_fixed_size 0
		.amdhsa_kernarg_size 184
		.amdhsa_user_sgpr_count 6
		.amdhsa_user_sgpr_private_segment_buffer 1
		.amdhsa_user_sgpr_dispatch_ptr 0
		.amdhsa_user_sgpr_queue_ptr 0
		.amdhsa_user_sgpr_kernarg_segment_ptr 1
		.amdhsa_user_sgpr_dispatch_id 0
		.amdhsa_user_sgpr_flat_scratch_init 0
		.amdhsa_user_sgpr_kernarg_preload_length 0
		.amdhsa_user_sgpr_kernarg_preload_offset 0
		.amdhsa_user_sgpr_private_segment_size 0
		.amdhsa_uses_dynamic_stack 0
		.amdhsa_system_sgpr_private_segment_wavefront_offset 0
		.amdhsa_system_sgpr_workgroup_id_x 1
		.amdhsa_system_sgpr_workgroup_id_y 0
		.amdhsa_system_sgpr_workgroup_id_z 0
		.amdhsa_system_sgpr_workgroup_info 0
		.amdhsa_system_vgpr_workitem_id 0
		.amdhsa_next_free_vgpr 107
		.amdhsa_next_free_sgpr 87
		.amdhsa_accum_offset 108
		.amdhsa_reserve_vcc 1
		.amdhsa_reserve_flat_scratch 0
		.amdhsa_float_round_mode_32 0
		.amdhsa_float_round_mode_16_64 0
		.amdhsa_float_denorm_mode_32 3
		.amdhsa_float_denorm_mode_16_64 3
		.amdhsa_dx10_clamp 1
		.amdhsa_ieee_mode 1
		.amdhsa_fp16_overflow 0
		.amdhsa_tg_split 0
		.amdhsa_exception_fp_ieee_invalid_op 0
		.amdhsa_exception_fp_denorm_src 0
		.amdhsa_exception_fp_ieee_div_zero 0
		.amdhsa_exception_fp_ieee_overflow 0
		.amdhsa_exception_fp_ieee_underflow 0
		.amdhsa_exception_fp_ieee_inexact 0
		.amdhsa_exception_int_div_zero 0
	.end_amdhsa_kernel
	.section	.text._ZN7rocprim17ROCPRIM_400000_NS6detail17trampoline_kernelINS0_13select_configILj256ELj13ELNS0_17block_load_methodE3ELS4_3ELS4_3ELNS0_20block_scan_algorithmE0ELj4294967295EEENS1_25partition_config_selectorILNS1_17partition_subalgoE4EjNS0_10empty_typeEbEEZZNS1_14partition_implILS8_4ELb0ES6_15HIP_vector_typeIjLj2EENS0_17counting_iteratorIjlEEPS9_SG_NS0_5tupleIJPjSI_NS0_16reverse_iteratorISI_EEEEENSH_IJSG_SG_SG_EEES9_SI_JZNS1_25segmented_radix_sort_implINS0_14default_configELb0EPK6__halfPSP_PKlPlN2at6native12_GLOBAL__N_18offset_tEEE10hipError_tPvRmT1_PNSt15iterator_traitsIS13_E10value_typeET2_T3_PNS14_IS19_E10value_typeET4_jRbjT5_S1F_jjP12ihipStream_tbEUljE_ZNSN_ISO_Lb0ESR_SS_SU_SV_SZ_EES10_S11_S12_S13_S17_S18_S19_S1C_S1D_jS1E_jS1F_S1F_jjS1H_bEUljE0_EEES10_S11_S12_S19_S1D_S1F_T6_T7_T9_mT8_S1H_bDpT10_ENKUlT_T0_E_clISt17integral_constantIbLb1EES1V_EEDaS1Q_S1R_EUlS1Q_E_NS1_11comp_targetILNS1_3genE4ELNS1_11target_archE910ELNS1_3gpuE8ELNS1_3repE0EEENS1_30default_config_static_selectorELNS0_4arch9wavefront6targetE1EEEvS13_,"axG",@progbits,_ZN7rocprim17ROCPRIM_400000_NS6detail17trampoline_kernelINS0_13select_configILj256ELj13ELNS0_17block_load_methodE3ELS4_3ELS4_3ELNS0_20block_scan_algorithmE0ELj4294967295EEENS1_25partition_config_selectorILNS1_17partition_subalgoE4EjNS0_10empty_typeEbEEZZNS1_14partition_implILS8_4ELb0ES6_15HIP_vector_typeIjLj2EENS0_17counting_iteratorIjlEEPS9_SG_NS0_5tupleIJPjSI_NS0_16reverse_iteratorISI_EEEEENSH_IJSG_SG_SG_EEES9_SI_JZNS1_25segmented_radix_sort_implINS0_14default_configELb0EPK6__halfPSP_PKlPlN2at6native12_GLOBAL__N_18offset_tEEE10hipError_tPvRmT1_PNSt15iterator_traitsIS13_E10value_typeET2_T3_PNS14_IS19_E10value_typeET4_jRbjT5_S1F_jjP12ihipStream_tbEUljE_ZNSN_ISO_Lb0ESR_SS_SU_SV_SZ_EES10_S11_S12_S13_S17_S18_S19_S1C_S1D_jS1E_jS1F_S1F_jjS1H_bEUljE0_EEES10_S11_S12_S19_S1D_S1F_T6_T7_T9_mT8_S1H_bDpT10_ENKUlT_T0_E_clISt17integral_constantIbLb1EES1V_EEDaS1Q_S1R_EUlS1Q_E_NS1_11comp_targetILNS1_3genE4ELNS1_11target_archE910ELNS1_3gpuE8ELNS1_3repE0EEENS1_30default_config_static_selectorELNS0_4arch9wavefront6targetE1EEEvS13_,comdat
.Lfunc_end1786:
	.size	_ZN7rocprim17ROCPRIM_400000_NS6detail17trampoline_kernelINS0_13select_configILj256ELj13ELNS0_17block_load_methodE3ELS4_3ELS4_3ELNS0_20block_scan_algorithmE0ELj4294967295EEENS1_25partition_config_selectorILNS1_17partition_subalgoE4EjNS0_10empty_typeEbEEZZNS1_14partition_implILS8_4ELb0ES6_15HIP_vector_typeIjLj2EENS0_17counting_iteratorIjlEEPS9_SG_NS0_5tupleIJPjSI_NS0_16reverse_iteratorISI_EEEEENSH_IJSG_SG_SG_EEES9_SI_JZNS1_25segmented_radix_sort_implINS0_14default_configELb0EPK6__halfPSP_PKlPlN2at6native12_GLOBAL__N_18offset_tEEE10hipError_tPvRmT1_PNSt15iterator_traitsIS13_E10value_typeET2_T3_PNS14_IS19_E10value_typeET4_jRbjT5_S1F_jjP12ihipStream_tbEUljE_ZNSN_ISO_Lb0ESR_SS_SU_SV_SZ_EES10_S11_S12_S13_S17_S18_S19_S1C_S1D_jS1E_jS1F_S1F_jjS1H_bEUljE0_EEES10_S11_S12_S19_S1D_S1F_T6_T7_T9_mT8_S1H_bDpT10_ENKUlT_T0_E_clISt17integral_constantIbLb1EES1V_EEDaS1Q_S1R_EUlS1Q_E_NS1_11comp_targetILNS1_3genE4ELNS1_11target_archE910ELNS1_3gpuE8ELNS1_3repE0EEENS1_30default_config_static_selectorELNS0_4arch9wavefront6targetE1EEEvS13_, .Lfunc_end1786-_ZN7rocprim17ROCPRIM_400000_NS6detail17trampoline_kernelINS0_13select_configILj256ELj13ELNS0_17block_load_methodE3ELS4_3ELS4_3ELNS0_20block_scan_algorithmE0ELj4294967295EEENS1_25partition_config_selectorILNS1_17partition_subalgoE4EjNS0_10empty_typeEbEEZZNS1_14partition_implILS8_4ELb0ES6_15HIP_vector_typeIjLj2EENS0_17counting_iteratorIjlEEPS9_SG_NS0_5tupleIJPjSI_NS0_16reverse_iteratorISI_EEEEENSH_IJSG_SG_SG_EEES9_SI_JZNS1_25segmented_radix_sort_implINS0_14default_configELb0EPK6__halfPSP_PKlPlN2at6native12_GLOBAL__N_18offset_tEEE10hipError_tPvRmT1_PNSt15iterator_traitsIS13_E10value_typeET2_T3_PNS14_IS19_E10value_typeET4_jRbjT5_S1F_jjP12ihipStream_tbEUljE_ZNSN_ISO_Lb0ESR_SS_SU_SV_SZ_EES10_S11_S12_S13_S17_S18_S19_S1C_S1D_jS1E_jS1F_S1F_jjS1H_bEUljE0_EEES10_S11_S12_S19_S1D_S1F_T6_T7_T9_mT8_S1H_bDpT10_ENKUlT_T0_E_clISt17integral_constantIbLb1EES1V_EEDaS1Q_S1R_EUlS1Q_E_NS1_11comp_targetILNS1_3genE4ELNS1_11target_archE910ELNS1_3gpuE8ELNS1_3repE0EEENS1_30default_config_static_selectorELNS0_4arch9wavefront6targetE1EEEvS13_
                                        ; -- End function
	.section	.AMDGPU.csdata,"",@progbits
; Kernel info:
; codeLenInByte = 13512
; NumSgprs: 91
; NumVgprs: 107
; NumAgprs: 0
; TotalNumVgprs: 107
; ScratchSize: 0
; MemoryBound: 0
; FloatMode: 240
; IeeeMode: 1
; LDSByteSize: 13340 bytes/workgroup (compile time only)
; SGPRBlocks: 11
; VGPRBlocks: 13
; NumSGPRsForWavesPerEU: 91
; NumVGPRsForWavesPerEU: 107
; AccumOffset: 108
; Occupancy: 4
; WaveLimiterHint : 1
; COMPUTE_PGM_RSRC2:SCRATCH_EN: 0
; COMPUTE_PGM_RSRC2:USER_SGPR: 6
; COMPUTE_PGM_RSRC2:TRAP_HANDLER: 0
; COMPUTE_PGM_RSRC2:TGID_X_EN: 1
; COMPUTE_PGM_RSRC2:TGID_Y_EN: 0
; COMPUTE_PGM_RSRC2:TGID_Z_EN: 0
; COMPUTE_PGM_RSRC2:TIDIG_COMP_CNT: 0
; COMPUTE_PGM_RSRC3_GFX90A:ACCUM_OFFSET: 26
; COMPUTE_PGM_RSRC3_GFX90A:TG_SPLIT: 0
	.section	.text._ZN7rocprim17ROCPRIM_400000_NS6detail17trampoline_kernelINS0_13select_configILj256ELj13ELNS0_17block_load_methodE3ELS4_3ELS4_3ELNS0_20block_scan_algorithmE0ELj4294967295EEENS1_25partition_config_selectorILNS1_17partition_subalgoE4EjNS0_10empty_typeEbEEZZNS1_14partition_implILS8_4ELb0ES6_15HIP_vector_typeIjLj2EENS0_17counting_iteratorIjlEEPS9_SG_NS0_5tupleIJPjSI_NS0_16reverse_iteratorISI_EEEEENSH_IJSG_SG_SG_EEES9_SI_JZNS1_25segmented_radix_sort_implINS0_14default_configELb0EPK6__halfPSP_PKlPlN2at6native12_GLOBAL__N_18offset_tEEE10hipError_tPvRmT1_PNSt15iterator_traitsIS13_E10value_typeET2_T3_PNS14_IS19_E10value_typeET4_jRbjT5_S1F_jjP12ihipStream_tbEUljE_ZNSN_ISO_Lb0ESR_SS_SU_SV_SZ_EES10_S11_S12_S13_S17_S18_S19_S1C_S1D_jS1E_jS1F_S1F_jjS1H_bEUljE0_EEES10_S11_S12_S19_S1D_S1F_T6_T7_T9_mT8_S1H_bDpT10_ENKUlT_T0_E_clISt17integral_constantIbLb1EES1V_EEDaS1Q_S1R_EUlS1Q_E_NS1_11comp_targetILNS1_3genE3ELNS1_11target_archE908ELNS1_3gpuE7ELNS1_3repE0EEENS1_30default_config_static_selectorELNS0_4arch9wavefront6targetE1EEEvS13_,"axG",@progbits,_ZN7rocprim17ROCPRIM_400000_NS6detail17trampoline_kernelINS0_13select_configILj256ELj13ELNS0_17block_load_methodE3ELS4_3ELS4_3ELNS0_20block_scan_algorithmE0ELj4294967295EEENS1_25partition_config_selectorILNS1_17partition_subalgoE4EjNS0_10empty_typeEbEEZZNS1_14partition_implILS8_4ELb0ES6_15HIP_vector_typeIjLj2EENS0_17counting_iteratorIjlEEPS9_SG_NS0_5tupleIJPjSI_NS0_16reverse_iteratorISI_EEEEENSH_IJSG_SG_SG_EEES9_SI_JZNS1_25segmented_radix_sort_implINS0_14default_configELb0EPK6__halfPSP_PKlPlN2at6native12_GLOBAL__N_18offset_tEEE10hipError_tPvRmT1_PNSt15iterator_traitsIS13_E10value_typeET2_T3_PNS14_IS19_E10value_typeET4_jRbjT5_S1F_jjP12ihipStream_tbEUljE_ZNSN_ISO_Lb0ESR_SS_SU_SV_SZ_EES10_S11_S12_S13_S17_S18_S19_S1C_S1D_jS1E_jS1F_S1F_jjS1H_bEUljE0_EEES10_S11_S12_S19_S1D_S1F_T6_T7_T9_mT8_S1H_bDpT10_ENKUlT_T0_E_clISt17integral_constantIbLb1EES1V_EEDaS1Q_S1R_EUlS1Q_E_NS1_11comp_targetILNS1_3genE3ELNS1_11target_archE908ELNS1_3gpuE7ELNS1_3repE0EEENS1_30default_config_static_selectorELNS0_4arch9wavefront6targetE1EEEvS13_,comdat
	.globl	_ZN7rocprim17ROCPRIM_400000_NS6detail17trampoline_kernelINS0_13select_configILj256ELj13ELNS0_17block_load_methodE3ELS4_3ELS4_3ELNS0_20block_scan_algorithmE0ELj4294967295EEENS1_25partition_config_selectorILNS1_17partition_subalgoE4EjNS0_10empty_typeEbEEZZNS1_14partition_implILS8_4ELb0ES6_15HIP_vector_typeIjLj2EENS0_17counting_iteratorIjlEEPS9_SG_NS0_5tupleIJPjSI_NS0_16reverse_iteratorISI_EEEEENSH_IJSG_SG_SG_EEES9_SI_JZNS1_25segmented_radix_sort_implINS0_14default_configELb0EPK6__halfPSP_PKlPlN2at6native12_GLOBAL__N_18offset_tEEE10hipError_tPvRmT1_PNSt15iterator_traitsIS13_E10value_typeET2_T3_PNS14_IS19_E10value_typeET4_jRbjT5_S1F_jjP12ihipStream_tbEUljE_ZNSN_ISO_Lb0ESR_SS_SU_SV_SZ_EES10_S11_S12_S13_S17_S18_S19_S1C_S1D_jS1E_jS1F_S1F_jjS1H_bEUljE0_EEES10_S11_S12_S19_S1D_S1F_T6_T7_T9_mT8_S1H_bDpT10_ENKUlT_T0_E_clISt17integral_constantIbLb1EES1V_EEDaS1Q_S1R_EUlS1Q_E_NS1_11comp_targetILNS1_3genE3ELNS1_11target_archE908ELNS1_3gpuE7ELNS1_3repE0EEENS1_30default_config_static_selectorELNS0_4arch9wavefront6targetE1EEEvS13_ ; -- Begin function _ZN7rocprim17ROCPRIM_400000_NS6detail17trampoline_kernelINS0_13select_configILj256ELj13ELNS0_17block_load_methodE3ELS4_3ELS4_3ELNS0_20block_scan_algorithmE0ELj4294967295EEENS1_25partition_config_selectorILNS1_17partition_subalgoE4EjNS0_10empty_typeEbEEZZNS1_14partition_implILS8_4ELb0ES6_15HIP_vector_typeIjLj2EENS0_17counting_iteratorIjlEEPS9_SG_NS0_5tupleIJPjSI_NS0_16reverse_iteratorISI_EEEEENSH_IJSG_SG_SG_EEES9_SI_JZNS1_25segmented_radix_sort_implINS0_14default_configELb0EPK6__halfPSP_PKlPlN2at6native12_GLOBAL__N_18offset_tEEE10hipError_tPvRmT1_PNSt15iterator_traitsIS13_E10value_typeET2_T3_PNS14_IS19_E10value_typeET4_jRbjT5_S1F_jjP12ihipStream_tbEUljE_ZNSN_ISO_Lb0ESR_SS_SU_SV_SZ_EES10_S11_S12_S13_S17_S18_S19_S1C_S1D_jS1E_jS1F_S1F_jjS1H_bEUljE0_EEES10_S11_S12_S19_S1D_S1F_T6_T7_T9_mT8_S1H_bDpT10_ENKUlT_T0_E_clISt17integral_constantIbLb1EES1V_EEDaS1Q_S1R_EUlS1Q_E_NS1_11comp_targetILNS1_3genE3ELNS1_11target_archE908ELNS1_3gpuE7ELNS1_3repE0EEENS1_30default_config_static_selectorELNS0_4arch9wavefront6targetE1EEEvS13_
	.p2align	8
	.type	_ZN7rocprim17ROCPRIM_400000_NS6detail17trampoline_kernelINS0_13select_configILj256ELj13ELNS0_17block_load_methodE3ELS4_3ELS4_3ELNS0_20block_scan_algorithmE0ELj4294967295EEENS1_25partition_config_selectorILNS1_17partition_subalgoE4EjNS0_10empty_typeEbEEZZNS1_14partition_implILS8_4ELb0ES6_15HIP_vector_typeIjLj2EENS0_17counting_iteratorIjlEEPS9_SG_NS0_5tupleIJPjSI_NS0_16reverse_iteratorISI_EEEEENSH_IJSG_SG_SG_EEES9_SI_JZNS1_25segmented_radix_sort_implINS0_14default_configELb0EPK6__halfPSP_PKlPlN2at6native12_GLOBAL__N_18offset_tEEE10hipError_tPvRmT1_PNSt15iterator_traitsIS13_E10value_typeET2_T3_PNS14_IS19_E10value_typeET4_jRbjT5_S1F_jjP12ihipStream_tbEUljE_ZNSN_ISO_Lb0ESR_SS_SU_SV_SZ_EES10_S11_S12_S13_S17_S18_S19_S1C_S1D_jS1E_jS1F_S1F_jjS1H_bEUljE0_EEES10_S11_S12_S19_S1D_S1F_T6_T7_T9_mT8_S1H_bDpT10_ENKUlT_T0_E_clISt17integral_constantIbLb1EES1V_EEDaS1Q_S1R_EUlS1Q_E_NS1_11comp_targetILNS1_3genE3ELNS1_11target_archE908ELNS1_3gpuE7ELNS1_3repE0EEENS1_30default_config_static_selectorELNS0_4arch9wavefront6targetE1EEEvS13_,@function
_ZN7rocprim17ROCPRIM_400000_NS6detail17trampoline_kernelINS0_13select_configILj256ELj13ELNS0_17block_load_methodE3ELS4_3ELS4_3ELNS0_20block_scan_algorithmE0ELj4294967295EEENS1_25partition_config_selectorILNS1_17partition_subalgoE4EjNS0_10empty_typeEbEEZZNS1_14partition_implILS8_4ELb0ES6_15HIP_vector_typeIjLj2EENS0_17counting_iteratorIjlEEPS9_SG_NS0_5tupleIJPjSI_NS0_16reverse_iteratorISI_EEEEENSH_IJSG_SG_SG_EEES9_SI_JZNS1_25segmented_radix_sort_implINS0_14default_configELb0EPK6__halfPSP_PKlPlN2at6native12_GLOBAL__N_18offset_tEEE10hipError_tPvRmT1_PNSt15iterator_traitsIS13_E10value_typeET2_T3_PNS14_IS19_E10value_typeET4_jRbjT5_S1F_jjP12ihipStream_tbEUljE_ZNSN_ISO_Lb0ESR_SS_SU_SV_SZ_EES10_S11_S12_S13_S17_S18_S19_S1C_S1D_jS1E_jS1F_S1F_jjS1H_bEUljE0_EEES10_S11_S12_S19_S1D_S1F_T6_T7_T9_mT8_S1H_bDpT10_ENKUlT_T0_E_clISt17integral_constantIbLb1EES1V_EEDaS1Q_S1R_EUlS1Q_E_NS1_11comp_targetILNS1_3genE3ELNS1_11target_archE908ELNS1_3gpuE7ELNS1_3repE0EEENS1_30default_config_static_selectorELNS0_4arch9wavefront6targetE1EEEvS13_: ; @_ZN7rocprim17ROCPRIM_400000_NS6detail17trampoline_kernelINS0_13select_configILj256ELj13ELNS0_17block_load_methodE3ELS4_3ELS4_3ELNS0_20block_scan_algorithmE0ELj4294967295EEENS1_25partition_config_selectorILNS1_17partition_subalgoE4EjNS0_10empty_typeEbEEZZNS1_14partition_implILS8_4ELb0ES6_15HIP_vector_typeIjLj2EENS0_17counting_iteratorIjlEEPS9_SG_NS0_5tupleIJPjSI_NS0_16reverse_iteratorISI_EEEEENSH_IJSG_SG_SG_EEES9_SI_JZNS1_25segmented_radix_sort_implINS0_14default_configELb0EPK6__halfPSP_PKlPlN2at6native12_GLOBAL__N_18offset_tEEE10hipError_tPvRmT1_PNSt15iterator_traitsIS13_E10value_typeET2_T3_PNS14_IS19_E10value_typeET4_jRbjT5_S1F_jjP12ihipStream_tbEUljE_ZNSN_ISO_Lb0ESR_SS_SU_SV_SZ_EES10_S11_S12_S13_S17_S18_S19_S1C_S1D_jS1E_jS1F_S1F_jjS1H_bEUljE0_EEES10_S11_S12_S19_S1D_S1F_T6_T7_T9_mT8_S1H_bDpT10_ENKUlT_T0_E_clISt17integral_constantIbLb1EES1V_EEDaS1Q_S1R_EUlS1Q_E_NS1_11comp_targetILNS1_3genE3ELNS1_11target_archE908ELNS1_3gpuE7ELNS1_3repE0EEENS1_30default_config_static_selectorELNS0_4arch9wavefront6targetE1EEEvS13_
; %bb.0:
	.section	.rodata,"a",@progbits
	.p2align	6, 0x0
	.amdhsa_kernel _ZN7rocprim17ROCPRIM_400000_NS6detail17trampoline_kernelINS0_13select_configILj256ELj13ELNS0_17block_load_methodE3ELS4_3ELS4_3ELNS0_20block_scan_algorithmE0ELj4294967295EEENS1_25partition_config_selectorILNS1_17partition_subalgoE4EjNS0_10empty_typeEbEEZZNS1_14partition_implILS8_4ELb0ES6_15HIP_vector_typeIjLj2EENS0_17counting_iteratorIjlEEPS9_SG_NS0_5tupleIJPjSI_NS0_16reverse_iteratorISI_EEEEENSH_IJSG_SG_SG_EEES9_SI_JZNS1_25segmented_radix_sort_implINS0_14default_configELb0EPK6__halfPSP_PKlPlN2at6native12_GLOBAL__N_18offset_tEEE10hipError_tPvRmT1_PNSt15iterator_traitsIS13_E10value_typeET2_T3_PNS14_IS19_E10value_typeET4_jRbjT5_S1F_jjP12ihipStream_tbEUljE_ZNSN_ISO_Lb0ESR_SS_SU_SV_SZ_EES10_S11_S12_S13_S17_S18_S19_S1C_S1D_jS1E_jS1F_S1F_jjS1H_bEUljE0_EEES10_S11_S12_S19_S1D_S1F_T6_T7_T9_mT8_S1H_bDpT10_ENKUlT_T0_E_clISt17integral_constantIbLb1EES1V_EEDaS1Q_S1R_EUlS1Q_E_NS1_11comp_targetILNS1_3genE3ELNS1_11target_archE908ELNS1_3gpuE7ELNS1_3repE0EEENS1_30default_config_static_selectorELNS0_4arch9wavefront6targetE1EEEvS13_
		.amdhsa_group_segment_fixed_size 0
		.amdhsa_private_segment_fixed_size 0
		.amdhsa_kernarg_size 184
		.amdhsa_user_sgpr_count 6
		.amdhsa_user_sgpr_private_segment_buffer 1
		.amdhsa_user_sgpr_dispatch_ptr 0
		.amdhsa_user_sgpr_queue_ptr 0
		.amdhsa_user_sgpr_kernarg_segment_ptr 1
		.amdhsa_user_sgpr_dispatch_id 0
		.amdhsa_user_sgpr_flat_scratch_init 0
		.amdhsa_user_sgpr_kernarg_preload_length 0
		.amdhsa_user_sgpr_kernarg_preload_offset 0
		.amdhsa_user_sgpr_private_segment_size 0
		.amdhsa_uses_dynamic_stack 0
		.amdhsa_system_sgpr_private_segment_wavefront_offset 0
		.amdhsa_system_sgpr_workgroup_id_x 1
		.amdhsa_system_sgpr_workgroup_id_y 0
		.amdhsa_system_sgpr_workgroup_id_z 0
		.amdhsa_system_sgpr_workgroup_info 0
		.amdhsa_system_vgpr_workitem_id 0
		.amdhsa_next_free_vgpr 1
		.amdhsa_next_free_sgpr 0
		.amdhsa_accum_offset 4
		.amdhsa_reserve_vcc 0
		.amdhsa_reserve_flat_scratch 0
		.amdhsa_float_round_mode_32 0
		.amdhsa_float_round_mode_16_64 0
		.amdhsa_float_denorm_mode_32 3
		.amdhsa_float_denorm_mode_16_64 3
		.amdhsa_dx10_clamp 1
		.amdhsa_ieee_mode 1
		.amdhsa_fp16_overflow 0
		.amdhsa_tg_split 0
		.amdhsa_exception_fp_ieee_invalid_op 0
		.amdhsa_exception_fp_denorm_src 0
		.amdhsa_exception_fp_ieee_div_zero 0
		.amdhsa_exception_fp_ieee_overflow 0
		.amdhsa_exception_fp_ieee_underflow 0
		.amdhsa_exception_fp_ieee_inexact 0
		.amdhsa_exception_int_div_zero 0
	.end_amdhsa_kernel
	.section	.text._ZN7rocprim17ROCPRIM_400000_NS6detail17trampoline_kernelINS0_13select_configILj256ELj13ELNS0_17block_load_methodE3ELS4_3ELS4_3ELNS0_20block_scan_algorithmE0ELj4294967295EEENS1_25partition_config_selectorILNS1_17partition_subalgoE4EjNS0_10empty_typeEbEEZZNS1_14partition_implILS8_4ELb0ES6_15HIP_vector_typeIjLj2EENS0_17counting_iteratorIjlEEPS9_SG_NS0_5tupleIJPjSI_NS0_16reverse_iteratorISI_EEEEENSH_IJSG_SG_SG_EEES9_SI_JZNS1_25segmented_radix_sort_implINS0_14default_configELb0EPK6__halfPSP_PKlPlN2at6native12_GLOBAL__N_18offset_tEEE10hipError_tPvRmT1_PNSt15iterator_traitsIS13_E10value_typeET2_T3_PNS14_IS19_E10value_typeET4_jRbjT5_S1F_jjP12ihipStream_tbEUljE_ZNSN_ISO_Lb0ESR_SS_SU_SV_SZ_EES10_S11_S12_S13_S17_S18_S19_S1C_S1D_jS1E_jS1F_S1F_jjS1H_bEUljE0_EEES10_S11_S12_S19_S1D_S1F_T6_T7_T9_mT8_S1H_bDpT10_ENKUlT_T0_E_clISt17integral_constantIbLb1EES1V_EEDaS1Q_S1R_EUlS1Q_E_NS1_11comp_targetILNS1_3genE3ELNS1_11target_archE908ELNS1_3gpuE7ELNS1_3repE0EEENS1_30default_config_static_selectorELNS0_4arch9wavefront6targetE1EEEvS13_,"axG",@progbits,_ZN7rocprim17ROCPRIM_400000_NS6detail17trampoline_kernelINS0_13select_configILj256ELj13ELNS0_17block_load_methodE3ELS4_3ELS4_3ELNS0_20block_scan_algorithmE0ELj4294967295EEENS1_25partition_config_selectorILNS1_17partition_subalgoE4EjNS0_10empty_typeEbEEZZNS1_14partition_implILS8_4ELb0ES6_15HIP_vector_typeIjLj2EENS0_17counting_iteratorIjlEEPS9_SG_NS0_5tupleIJPjSI_NS0_16reverse_iteratorISI_EEEEENSH_IJSG_SG_SG_EEES9_SI_JZNS1_25segmented_radix_sort_implINS0_14default_configELb0EPK6__halfPSP_PKlPlN2at6native12_GLOBAL__N_18offset_tEEE10hipError_tPvRmT1_PNSt15iterator_traitsIS13_E10value_typeET2_T3_PNS14_IS19_E10value_typeET4_jRbjT5_S1F_jjP12ihipStream_tbEUljE_ZNSN_ISO_Lb0ESR_SS_SU_SV_SZ_EES10_S11_S12_S13_S17_S18_S19_S1C_S1D_jS1E_jS1F_S1F_jjS1H_bEUljE0_EEES10_S11_S12_S19_S1D_S1F_T6_T7_T9_mT8_S1H_bDpT10_ENKUlT_T0_E_clISt17integral_constantIbLb1EES1V_EEDaS1Q_S1R_EUlS1Q_E_NS1_11comp_targetILNS1_3genE3ELNS1_11target_archE908ELNS1_3gpuE7ELNS1_3repE0EEENS1_30default_config_static_selectorELNS0_4arch9wavefront6targetE1EEEvS13_,comdat
.Lfunc_end1787:
	.size	_ZN7rocprim17ROCPRIM_400000_NS6detail17trampoline_kernelINS0_13select_configILj256ELj13ELNS0_17block_load_methodE3ELS4_3ELS4_3ELNS0_20block_scan_algorithmE0ELj4294967295EEENS1_25partition_config_selectorILNS1_17partition_subalgoE4EjNS0_10empty_typeEbEEZZNS1_14partition_implILS8_4ELb0ES6_15HIP_vector_typeIjLj2EENS0_17counting_iteratorIjlEEPS9_SG_NS0_5tupleIJPjSI_NS0_16reverse_iteratorISI_EEEEENSH_IJSG_SG_SG_EEES9_SI_JZNS1_25segmented_radix_sort_implINS0_14default_configELb0EPK6__halfPSP_PKlPlN2at6native12_GLOBAL__N_18offset_tEEE10hipError_tPvRmT1_PNSt15iterator_traitsIS13_E10value_typeET2_T3_PNS14_IS19_E10value_typeET4_jRbjT5_S1F_jjP12ihipStream_tbEUljE_ZNSN_ISO_Lb0ESR_SS_SU_SV_SZ_EES10_S11_S12_S13_S17_S18_S19_S1C_S1D_jS1E_jS1F_S1F_jjS1H_bEUljE0_EEES10_S11_S12_S19_S1D_S1F_T6_T7_T9_mT8_S1H_bDpT10_ENKUlT_T0_E_clISt17integral_constantIbLb1EES1V_EEDaS1Q_S1R_EUlS1Q_E_NS1_11comp_targetILNS1_3genE3ELNS1_11target_archE908ELNS1_3gpuE7ELNS1_3repE0EEENS1_30default_config_static_selectorELNS0_4arch9wavefront6targetE1EEEvS13_, .Lfunc_end1787-_ZN7rocprim17ROCPRIM_400000_NS6detail17trampoline_kernelINS0_13select_configILj256ELj13ELNS0_17block_load_methodE3ELS4_3ELS4_3ELNS0_20block_scan_algorithmE0ELj4294967295EEENS1_25partition_config_selectorILNS1_17partition_subalgoE4EjNS0_10empty_typeEbEEZZNS1_14partition_implILS8_4ELb0ES6_15HIP_vector_typeIjLj2EENS0_17counting_iteratorIjlEEPS9_SG_NS0_5tupleIJPjSI_NS0_16reverse_iteratorISI_EEEEENSH_IJSG_SG_SG_EEES9_SI_JZNS1_25segmented_radix_sort_implINS0_14default_configELb0EPK6__halfPSP_PKlPlN2at6native12_GLOBAL__N_18offset_tEEE10hipError_tPvRmT1_PNSt15iterator_traitsIS13_E10value_typeET2_T3_PNS14_IS19_E10value_typeET4_jRbjT5_S1F_jjP12ihipStream_tbEUljE_ZNSN_ISO_Lb0ESR_SS_SU_SV_SZ_EES10_S11_S12_S13_S17_S18_S19_S1C_S1D_jS1E_jS1F_S1F_jjS1H_bEUljE0_EEES10_S11_S12_S19_S1D_S1F_T6_T7_T9_mT8_S1H_bDpT10_ENKUlT_T0_E_clISt17integral_constantIbLb1EES1V_EEDaS1Q_S1R_EUlS1Q_E_NS1_11comp_targetILNS1_3genE3ELNS1_11target_archE908ELNS1_3gpuE7ELNS1_3repE0EEENS1_30default_config_static_selectorELNS0_4arch9wavefront6targetE1EEEvS13_
                                        ; -- End function
	.section	.AMDGPU.csdata,"",@progbits
; Kernel info:
; codeLenInByte = 0
; NumSgprs: 4
; NumVgprs: 0
; NumAgprs: 0
; TotalNumVgprs: 0
; ScratchSize: 0
; MemoryBound: 0
; FloatMode: 240
; IeeeMode: 1
; LDSByteSize: 0 bytes/workgroup (compile time only)
; SGPRBlocks: 0
; VGPRBlocks: 0
; NumSGPRsForWavesPerEU: 4
; NumVGPRsForWavesPerEU: 1
; AccumOffset: 4
; Occupancy: 8
; WaveLimiterHint : 0
; COMPUTE_PGM_RSRC2:SCRATCH_EN: 0
; COMPUTE_PGM_RSRC2:USER_SGPR: 6
; COMPUTE_PGM_RSRC2:TRAP_HANDLER: 0
; COMPUTE_PGM_RSRC2:TGID_X_EN: 1
; COMPUTE_PGM_RSRC2:TGID_Y_EN: 0
; COMPUTE_PGM_RSRC2:TGID_Z_EN: 0
; COMPUTE_PGM_RSRC2:TIDIG_COMP_CNT: 0
; COMPUTE_PGM_RSRC3_GFX90A:ACCUM_OFFSET: 0
; COMPUTE_PGM_RSRC3_GFX90A:TG_SPLIT: 0
	.section	.text._ZN7rocprim17ROCPRIM_400000_NS6detail17trampoline_kernelINS0_13select_configILj256ELj13ELNS0_17block_load_methodE3ELS4_3ELS4_3ELNS0_20block_scan_algorithmE0ELj4294967295EEENS1_25partition_config_selectorILNS1_17partition_subalgoE4EjNS0_10empty_typeEbEEZZNS1_14partition_implILS8_4ELb0ES6_15HIP_vector_typeIjLj2EENS0_17counting_iteratorIjlEEPS9_SG_NS0_5tupleIJPjSI_NS0_16reverse_iteratorISI_EEEEENSH_IJSG_SG_SG_EEES9_SI_JZNS1_25segmented_radix_sort_implINS0_14default_configELb0EPK6__halfPSP_PKlPlN2at6native12_GLOBAL__N_18offset_tEEE10hipError_tPvRmT1_PNSt15iterator_traitsIS13_E10value_typeET2_T3_PNS14_IS19_E10value_typeET4_jRbjT5_S1F_jjP12ihipStream_tbEUljE_ZNSN_ISO_Lb0ESR_SS_SU_SV_SZ_EES10_S11_S12_S13_S17_S18_S19_S1C_S1D_jS1E_jS1F_S1F_jjS1H_bEUljE0_EEES10_S11_S12_S19_S1D_S1F_T6_T7_T9_mT8_S1H_bDpT10_ENKUlT_T0_E_clISt17integral_constantIbLb1EES1V_EEDaS1Q_S1R_EUlS1Q_E_NS1_11comp_targetILNS1_3genE2ELNS1_11target_archE906ELNS1_3gpuE6ELNS1_3repE0EEENS1_30default_config_static_selectorELNS0_4arch9wavefront6targetE1EEEvS13_,"axG",@progbits,_ZN7rocprim17ROCPRIM_400000_NS6detail17trampoline_kernelINS0_13select_configILj256ELj13ELNS0_17block_load_methodE3ELS4_3ELS4_3ELNS0_20block_scan_algorithmE0ELj4294967295EEENS1_25partition_config_selectorILNS1_17partition_subalgoE4EjNS0_10empty_typeEbEEZZNS1_14partition_implILS8_4ELb0ES6_15HIP_vector_typeIjLj2EENS0_17counting_iteratorIjlEEPS9_SG_NS0_5tupleIJPjSI_NS0_16reverse_iteratorISI_EEEEENSH_IJSG_SG_SG_EEES9_SI_JZNS1_25segmented_radix_sort_implINS0_14default_configELb0EPK6__halfPSP_PKlPlN2at6native12_GLOBAL__N_18offset_tEEE10hipError_tPvRmT1_PNSt15iterator_traitsIS13_E10value_typeET2_T3_PNS14_IS19_E10value_typeET4_jRbjT5_S1F_jjP12ihipStream_tbEUljE_ZNSN_ISO_Lb0ESR_SS_SU_SV_SZ_EES10_S11_S12_S13_S17_S18_S19_S1C_S1D_jS1E_jS1F_S1F_jjS1H_bEUljE0_EEES10_S11_S12_S19_S1D_S1F_T6_T7_T9_mT8_S1H_bDpT10_ENKUlT_T0_E_clISt17integral_constantIbLb1EES1V_EEDaS1Q_S1R_EUlS1Q_E_NS1_11comp_targetILNS1_3genE2ELNS1_11target_archE906ELNS1_3gpuE6ELNS1_3repE0EEENS1_30default_config_static_selectorELNS0_4arch9wavefront6targetE1EEEvS13_,comdat
	.globl	_ZN7rocprim17ROCPRIM_400000_NS6detail17trampoline_kernelINS0_13select_configILj256ELj13ELNS0_17block_load_methodE3ELS4_3ELS4_3ELNS0_20block_scan_algorithmE0ELj4294967295EEENS1_25partition_config_selectorILNS1_17partition_subalgoE4EjNS0_10empty_typeEbEEZZNS1_14partition_implILS8_4ELb0ES6_15HIP_vector_typeIjLj2EENS0_17counting_iteratorIjlEEPS9_SG_NS0_5tupleIJPjSI_NS0_16reverse_iteratorISI_EEEEENSH_IJSG_SG_SG_EEES9_SI_JZNS1_25segmented_radix_sort_implINS0_14default_configELb0EPK6__halfPSP_PKlPlN2at6native12_GLOBAL__N_18offset_tEEE10hipError_tPvRmT1_PNSt15iterator_traitsIS13_E10value_typeET2_T3_PNS14_IS19_E10value_typeET4_jRbjT5_S1F_jjP12ihipStream_tbEUljE_ZNSN_ISO_Lb0ESR_SS_SU_SV_SZ_EES10_S11_S12_S13_S17_S18_S19_S1C_S1D_jS1E_jS1F_S1F_jjS1H_bEUljE0_EEES10_S11_S12_S19_S1D_S1F_T6_T7_T9_mT8_S1H_bDpT10_ENKUlT_T0_E_clISt17integral_constantIbLb1EES1V_EEDaS1Q_S1R_EUlS1Q_E_NS1_11comp_targetILNS1_3genE2ELNS1_11target_archE906ELNS1_3gpuE6ELNS1_3repE0EEENS1_30default_config_static_selectorELNS0_4arch9wavefront6targetE1EEEvS13_ ; -- Begin function _ZN7rocprim17ROCPRIM_400000_NS6detail17trampoline_kernelINS0_13select_configILj256ELj13ELNS0_17block_load_methodE3ELS4_3ELS4_3ELNS0_20block_scan_algorithmE0ELj4294967295EEENS1_25partition_config_selectorILNS1_17partition_subalgoE4EjNS0_10empty_typeEbEEZZNS1_14partition_implILS8_4ELb0ES6_15HIP_vector_typeIjLj2EENS0_17counting_iteratorIjlEEPS9_SG_NS0_5tupleIJPjSI_NS0_16reverse_iteratorISI_EEEEENSH_IJSG_SG_SG_EEES9_SI_JZNS1_25segmented_radix_sort_implINS0_14default_configELb0EPK6__halfPSP_PKlPlN2at6native12_GLOBAL__N_18offset_tEEE10hipError_tPvRmT1_PNSt15iterator_traitsIS13_E10value_typeET2_T3_PNS14_IS19_E10value_typeET4_jRbjT5_S1F_jjP12ihipStream_tbEUljE_ZNSN_ISO_Lb0ESR_SS_SU_SV_SZ_EES10_S11_S12_S13_S17_S18_S19_S1C_S1D_jS1E_jS1F_S1F_jjS1H_bEUljE0_EEES10_S11_S12_S19_S1D_S1F_T6_T7_T9_mT8_S1H_bDpT10_ENKUlT_T0_E_clISt17integral_constantIbLb1EES1V_EEDaS1Q_S1R_EUlS1Q_E_NS1_11comp_targetILNS1_3genE2ELNS1_11target_archE906ELNS1_3gpuE6ELNS1_3repE0EEENS1_30default_config_static_selectorELNS0_4arch9wavefront6targetE1EEEvS13_
	.p2align	8
	.type	_ZN7rocprim17ROCPRIM_400000_NS6detail17trampoline_kernelINS0_13select_configILj256ELj13ELNS0_17block_load_methodE3ELS4_3ELS4_3ELNS0_20block_scan_algorithmE0ELj4294967295EEENS1_25partition_config_selectorILNS1_17partition_subalgoE4EjNS0_10empty_typeEbEEZZNS1_14partition_implILS8_4ELb0ES6_15HIP_vector_typeIjLj2EENS0_17counting_iteratorIjlEEPS9_SG_NS0_5tupleIJPjSI_NS0_16reverse_iteratorISI_EEEEENSH_IJSG_SG_SG_EEES9_SI_JZNS1_25segmented_radix_sort_implINS0_14default_configELb0EPK6__halfPSP_PKlPlN2at6native12_GLOBAL__N_18offset_tEEE10hipError_tPvRmT1_PNSt15iterator_traitsIS13_E10value_typeET2_T3_PNS14_IS19_E10value_typeET4_jRbjT5_S1F_jjP12ihipStream_tbEUljE_ZNSN_ISO_Lb0ESR_SS_SU_SV_SZ_EES10_S11_S12_S13_S17_S18_S19_S1C_S1D_jS1E_jS1F_S1F_jjS1H_bEUljE0_EEES10_S11_S12_S19_S1D_S1F_T6_T7_T9_mT8_S1H_bDpT10_ENKUlT_T0_E_clISt17integral_constantIbLb1EES1V_EEDaS1Q_S1R_EUlS1Q_E_NS1_11comp_targetILNS1_3genE2ELNS1_11target_archE906ELNS1_3gpuE6ELNS1_3repE0EEENS1_30default_config_static_selectorELNS0_4arch9wavefront6targetE1EEEvS13_,@function
_ZN7rocprim17ROCPRIM_400000_NS6detail17trampoline_kernelINS0_13select_configILj256ELj13ELNS0_17block_load_methodE3ELS4_3ELS4_3ELNS0_20block_scan_algorithmE0ELj4294967295EEENS1_25partition_config_selectorILNS1_17partition_subalgoE4EjNS0_10empty_typeEbEEZZNS1_14partition_implILS8_4ELb0ES6_15HIP_vector_typeIjLj2EENS0_17counting_iteratorIjlEEPS9_SG_NS0_5tupleIJPjSI_NS0_16reverse_iteratorISI_EEEEENSH_IJSG_SG_SG_EEES9_SI_JZNS1_25segmented_radix_sort_implINS0_14default_configELb0EPK6__halfPSP_PKlPlN2at6native12_GLOBAL__N_18offset_tEEE10hipError_tPvRmT1_PNSt15iterator_traitsIS13_E10value_typeET2_T3_PNS14_IS19_E10value_typeET4_jRbjT5_S1F_jjP12ihipStream_tbEUljE_ZNSN_ISO_Lb0ESR_SS_SU_SV_SZ_EES10_S11_S12_S13_S17_S18_S19_S1C_S1D_jS1E_jS1F_S1F_jjS1H_bEUljE0_EEES10_S11_S12_S19_S1D_S1F_T6_T7_T9_mT8_S1H_bDpT10_ENKUlT_T0_E_clISt17integral_constantIbLb1EES1V_EEDaS1Q_S1R_EUlS1Q_E_NS1_11comp_targetILNS1_3genE2ELNS1_11target_archE906ELNS1_3gpuE6ELNS1_3repE0EEENS1_30default_config_static_selectorELNS0_4arch9wavefront6targetE1EEEvS13_: ; @_ZN7rocprim17ROCPRIM_400000_NS6detail17trampoline_kernelINS0_13select_configILj256ELj13ELNS0_17block_load_methodE3ELS4_3ELS4_3ELNS0_20block_scan_algorithmE0ELj4294967295EEENS1_25partition_config_selectorILNS1_17partition_subalgoE4EjNS0_10empty_typeEbEEZZNS1_14partition_implILS8_4ELb0ES6_15HIP_vector_typeIjLj2EENS0_17counting_iteratorIjlEEPS9_SG_NS0_5tupleIJPjSI_NS0_16reverse_iteratorISI_EEEEENSH_IJSG_SG_SG_EEES9_SI_JZNS1_25segmented_radix_sort_implINS0_14default_configELb0EPK6__halfPSP_PKlPlN2at6native12_GLOBAL__N_18offset_tEEE10hipError_tPvRmT1_PNSt15iterator_traitsIS13_E10value_typeET2_T3_PNS14_IS19_E10value_typeET4_jRbjT5_S1F_jjP12ihipStream_tbEUljE_ZNSN_ISO_Lb0ESR_SS_SU_SV_SZ_EES10_S11_S12_S13_S17_S18_S19_S1C_S1D_jS1E_jS1F_S1F_jjS1H_bEUljE0_EEES10_S11_S12_S19_S1D_S1F_T6_T7_T9_mT8_S1H_bDpT10_ENKUlT_T0_E_clISt17integral_constantIbLb1EES1V_EEDaS1Q_S1R_EUlS1Q_E_NS1_11comp_targetILNS1_3genE2ELNS1_11target_archE906ELNS1_3gpuE6ELNS1_3repE0EEENS1_30default_config_static_selectorELNS0_4arch9wavefront6targetE1EEEvS13_
; %bb.0:
	.section	.rodata,"a",@progbits
	.p2align	6, 0x0
	.amdhsa_kernel _ZN7rocprim17ROCPRIM_400000_NS6detail17trampoline_kernelINS0_13select_configILj256ELj13ELNS0_17block_load_methodE3ELS4_3ELS4_3ELNS0_20block_scan_algorithmE0ELj4294967295EEENS1_25partition_config_selectorILNS1_17partition_subalgoE4EjNS0_10empty_typeEbEEZZNS1_14partition_implILS8_4ELb0ES6_15HIP_vector_typeIjLj2EENS0_17counting_iteratorIjlEEPS9_SG_NS0_5tupleIJPjSI_NS0_16reverse_iteratorISI_EEEEENSH_IJSG_SG_SG_EEES9_SI_JZNS1_25segmented_radix_sort_implINS0_14default_configELb0EPK6__halfPSP_PKlPlN2at6native12_GLOBAL__N_18offset_tEEE10hipError_tPvRmT1_PNSt15iterator_traitsIS13_E10value_typeET2_T3_PNS14_IS19_E10value_typeET4_jRbjT5_S1F_jjP12ihipStream_tbEUljE_ZNSN_ISO_Lb0ESR_SS_SU_SV_SZ_EES10_S11_S12_S13_S17_S18_S19_S1C_S1D_jS1E_jS1F_S1F_jjS1H_bEUljE0_EEES10_S11_S12_S19_S1D_S1F_T6_T7_T9_mT8_S1H_bDpT10_ENKUlT_T0_E_clISt17integral_constantIbLb1EES1V_EEDaS1Q_S1R_EUlS1Q_E_NS1_11comp_targetILNS1_3genE2ELNS1_11target_archE906ELNS1_3gpuE6ELNS1_3repE0EEENS1_30default_config_static_selectorELNS0_4arch9wavefront6targetE1EEEvS13_
		.amdhsa_group_segment_fixed_size 0
		.amdhsa_private_segment_fixed_size 0
		.amdhsa_kernarg_size 184
		.amdhsa_user_sgpr_count 6
		.amdhsa_user_sgpr_private_segment_buffer 1
		.amdhsa_user_sgpr_dispatch_ptr 0
		.amdhsa_user_sgpr_queue_ptr 0
		.amdhsa_user_sgpr_kernarg_segment_ptr 1
		.amdhsa_user_sgpr_dispatch_id 0
		.amdhsa_user_sgpr_flat_scratch_init 0
		.amdhsa_user_sgpr_kernarg_preload_length 0
		.amdhsa_user_sgpr_kernarg_preload_offset 0
		.amdhsa_user_sgpr_private_segment_size 0
		.amdhsa_uses_dynamic_stack 0
		.amdhsa_system_sgpr_private_segment_wavefront_offset 0
		.amdhsa_system_sgpr_workgroup_id_x 1
		.amdhsa_system_sgpr_workgroup_id_y 0
		.amdhsa_system_sgpr_workgroup_id_z 0
		.amdhsa_system_sgpr_workgroup_info 0
		.amdhsa_system_vgpr_workitem_id 0
		.amdhsa_next_free_vgpr 1
		.amdhsa_next_free_sgpr 0
		.amdhsa_accum_offset 4
		.amdhsa_reserve_vcc 0
		.amdhsa_reserve_flat_scratch 0
		.amdhsa_float_round_mode_32 0
		.amdhsa_float_round_mode_16_64 0
		.amdhsa_float_denorm_mode_32 3
		.amdhsa_float_denorm_mode_16_64 3
		.amdhsa_dx10_clamp 1
		.amdhsa_ieee_mode 1
		.amdhsa_fp16_overflow 0
		.amdhsa_tg_split 0
		.amdhsa_exception_fp_ieee_invalid_op 0
		.amdhsa_exception_fp_denorm_src 0
		.amdhsa_exception_fp_ieee_div_zero 0
		.amdhsa_exception_fp_ieee_overflow 0
		.amdhsa_exception_fp_ieee_underflow 0
		.amdhsa_exception_fp_ieee_inexact 0
		.amdhsa_exception_int_div_zero 0
	.end_amdhsa_kernel
	.section	.text._ZN7rocprim17ROCPRIM_400000_NS6detail17trampoline_kernelINS0_13select_configILj256ELj13ELNS0_17block_load_methodE3ELS4_3ELS4_3ELNS0_20block_scan_algorithmE0ELj4294967295EEENS1_25partition_config_selectorILNS1_17partition_subalgoE4EjNS0_10empty_typeEbEEZZNS1_14partition_implILS8_4ELb0ES6_15HIP_vector_typeIjLj2EENS0_17counting_iteratorIjlEEPS9_SG_NS0_5tupleIJPjSI_NS0_16reverse_iteratorISI_EEEEENSH_IJSG_SG_SG_EEES9_SI_JZNS1_25segmented_radix_sort_implINS0_14default_configELb0EPK6__halfPSP_PKlPlN2at6native12_GLOBAL__N_18offset_tEEE10hipError_tPvRmT1_PNSt15iterator_traitsIS13_E10value_typeET2_T3_PNS14_IS19_E10value_typeET4_jRbjT5_S1F_jjP12ihipStream_tbEUljE_ZNSN_ISO_Lb0ESR_SS_SU_SV_SZ_EES10_S11_S12_S13_S17_S18_S19_S1C_S1D_jS1E_jS1F_S1F_jjS1H_bEUljE0_EEES10_S11_S12_S19_S1D_S1F_T6_T7_T9_mT8_S1H_bDpT10_ENKUlT_T0_E_clISt17integral_constantIbLb1EES1V_EEDaS1Q_S1R_EUlS1Q_E_NS1_11comp_targetILNS1_3genE2ELNS1_11target_archE906ELNS1_3gpuE6ELNS1_3repE0EEENS1_30default_config_static_selectorELNS0_4arch9wavefront6targetE1EEEvS13_,"axG",@progbits,_ZN7rocprim17ROCPRIM_400000_NS6detail17trampoline_kernelINS0_13select_configILj256ELj13ELNS0_17block_load_methodE3ELS4_3ELS4_3ELNS0_20block_scan_algorithmE0ELj4294967295EEENS1_25partition_config_selectorILNS1_17partition_subalgoE4EjNS0_10empty_typeEbEEZZNS1_14partition_implILS8_4ELb0ES6_15HIP_vector_typeIjLj2EENS0_17counting_iteratorIjlEEPS9_SG_NS0_5tupleIJPjSI_NS0_16reverse_iteratorISI_EEEEENSH_IJSG_SG_SG_EEES9_SI_JZNS1_25segmented_radix_sort_implINS0_14default_configELb0EPK6__halfPSP_PKlPlN2at6native12_GLOBAL__N_18offset_tEEE10hipError_tPvRmT1_PNSt15iterator_traitsIS13_E10value_typeET2_T3_PNS14_IS19_E10value_typeET4_jRbjT5_S1F_jjP12ihipStream_tbEUljE_ZNSN_ISO_Lb0ESR_SS_SU_SV_SZ_EES10_S11_S12_S13_S17_S18_S19_S1C_S1D_jS1E_jS1F_S1F_jjS1H_bEUljE0_EEES10_S11_S12_S19_S1D_S1F_T6_T7_T9_mT8_S1H_bDpT10_ENKUlT_T0_E_clISt17integral_constantIbLb1EES1V_EEDaS1Q_S1R_EUlS1Q_E_NS1_11comp_targetILNS1_3genE2ELNS1_11target_archE906ELNS1_3gpuE6ELNS1_3repE0EEENS1_30default_config_static_selectorELNS0_4arch9wavefront6targetE1EEEvS13_,comdat
.Lfunc_end1788:
	.size	_ZN7rocprim17ROCPRIM_400000_NS6detail17trampoline_kernelINS0_13select_configILj256ELj13ELNS0_17block_load_methodE3ELS4_3ELS4_3ELNS0_20block_scan_algorithmE0ELj4294967295EEENS1_25partition_config_selectorILNS1_17partition_subalgoE4EjNS0_10empty_typeEbEEZZNS1_14partition_implILS8_4ELb0ES6_15HIP_vector_typeIjLj2EENS0_17counting_iteratorIjlEEPS9_SG_NS0_5tupleIJPjSI_NS0_16reverse_iteratorISI_EEEEENSH_IJSG_SG_SG_EEES9_SI_JZNS1_25segmented_radix_sort_implINS0_14default_configELb0EPK6__halfPSP_PKlPlN2at6native12_GLOBAL__N_18offset_tEEE10hipError_tPvRmT1_PNSt15iterator_traitsIS13_E10value_typeET2_T3_PNS14_IS19_E10value_typeET4_jRbjT5_S1F_jjP12ihipStream_tbEUljE_ZNSN_ISO_Lb0ESR_SS_SU_SV_SZ_EES10_S11_S12_S13_S17_S18_S19_S1C_S1D_jS1E_jS1F_S1F_jjS1H_bEUljE0_EEES10_S11_S12_S19_S1D_S1F_T6_T7_T9_mT8_S1H_bDpT10_ENKUlT_T0_E_clISt17integral_constantIbLb1EES1V_EEDaS1Q_S1R_EUlS1Q_E_NS1_11comp_targetILNS1_3genE2ELNS1_11target_archE906ELNS1_3gpuE6ELNS1_3repE0EEENS1_30default_config_static_selectorELNS0_4arch9wavefront6targetE1EEEvS13_, .Lfunc_end1788-_ZN7rocprim17ROCPRIM_400000_NS6detail17trampoline_kernelINS0_13select_configILj256ELj13ELNS0_17block_load_methodE3ELS4_3ELS4_3ELNS0_20block_scan_algorithmE0ELj4294967295EEENS1_25partition_config_selectorILNS1_17partition_subalgoE4EjNS0_10empty_typeEbEEZZNS1_14partition_implILS8_4ELb0ES6_15HIP_vector_typeIjLj2EENS0_17counting_iteratorIjlEEPS9_SG_NS0_5tupleIJPjSI_NS0_16reverse_iteratorISI_EEEEENSH_IJSG_SG_SG_EEES9_SI_JZNS1_25segmented_radix_sort_implINS0_14default_configELb0EPK6__halfPSP_PKlPlN2at6native12_GLOBAL__N_18offset_tEEE10hipError_tPvRmT1_PNSt15iterator_traitsIS13_E10value_typeET2_T3_PNS14_IS19_E10value_typeET4_jRbjT5_S1F_jjP12ihipStream_tbEUljE_ZNSN_ISO_Lb0ESR_SS_SU_SV_SZ_EES10_S11_S12_S13_S17_S18_S19_S1C_S1D_jS1E_jS1F_S1F_jjS1H_bEUljE0_EEES10_S11_S12_S19_S1D_S1F_T6_T7_T9_mT8_S1H_bDpT10_ENKUlT_T0_E_clISt17integral_constantIbLb1EES1V_EEDaS1Q_S1R_EUlS1Q_E_NS1_11comp_targetILNS1_3genE2ELNS1_11target_archE906ELNS1_3gpuE6ELNS1_3repE0EEENS1_30default_config_static_selectorELNS0_4arch9wavefront6targetE1EEEvS13_
                                        ; -- End function
	.section	.AMDGPU.csdata,"",@progbits
; Kernel info:
; codeLenInByte = 0
; NumSgprs: 4
; NumVgprs: 0
; NumAgprs: 0
; TotalNumVgprs: 0
; ScratchSize: 0
; MemoryBound: 0
; FloatMode: 240
; IeeeMode: 1
; LDSByteSize: 0 bytes/workgroup (compile time only)
; SGPRBlocks: 0
; VGPRBlocks: 0
; NumSGPRsForWavesPerEU: 4
; NumVGPRsForWavesPerEU: 1
; AccumOffset: 4
; Occupancy: 8
; WaveLimiterHint : 0
; COMPUTE_PGM_RSRC2:SCRATCH_EN: 0
; COMPUTE_PGM_RSRC2:USER_SGPR: 6
; COMPUTE_PGM_RSRC2:TRAP_HANDLER: 0
; COMPUTE_PGM_RSRC2:TGID_X_EN: 1
; COMPUTE_PGM_RSRC2:TGID_Y_EN: 0
; COMPUTE_PGM_RSRC2:TGID_Z_EN: 0
; COMPUTE_PGM_RSRC2:TIDIG_COMP_CNT: 0
; COMPUTE_PGM_RSRC3_GFX90A:ACCUM_OFFSET: 0
; COMPUTE_PGM_RSRC3_GFX90A:TG_SPLIT: 0
	.section	.text._ZN7rocprim17ROCPRIM_400000_NS6detail17trampoline_kernelINS0_13select_configILj256ELj13ELNS0_17block_load_methodE3ELS4_3ELS4_3ELNS0_20block_scan_algorithmE0ELj4294967295EEENS1_25partition_config_selectorILNS1_17partition_subalgoE4EjNS0_10empty_typeEbEEZZNS1_14partition_implILS8_4ELb0ES6_15HIP_vector_typeIjLj2EENS0_17counting_iteratorIjlEEPS9_SG_NS0_5tupleIJPjSI_NS0_16reverse_iteratorISI_EEEEENSH_IJSG_SG_SG_EEES9_SI_JZNS1_25segmented_radix_sort_implINS0_14default_configELb0EPK6__halfPSP_PKlPlN2at6native12_GLOBAL__N_18offset_tEEE10hipError_tPvRmT1_PNSt15iterator_traitsIS13_E10value_typeET2_T3_PNS14_IS19_E10value_typeET4_jRbjT5_S1F_jjP12ihipStream_tbEUljE_ZNSN_ISO_Lb0ESR_SS_SU_SV_SZ_EES10_S11_S12_S13_S17_S18_S19_S1C_S1D_jS1E_jS1F_S1F_jjS1H_bEUljE0_EEES10_S11_S12_S19_S1D_S1F_T6_T7_T9_mT8_S1H_bDpT10_ENKUlT_T0_E_clISt17integral_constantIbLb1EES1V_EEDaS1Q_S1R_EUlS1Q_E_NS1_11comp_targetILNS1_3genE10ELNS1_11target_archE1200ELNS1_3gpuE4ELNS1_3repE0EEENS1_30default_config_static_selectorELNS0_4arch9wavefront6targetE1EEEvS13_,"axG",@progbits,_ZN7rocprim17ROCPRIM_400000_NS6detail17trampoline_kernelINS0_13select_configILj256ELj13ELNS0_17block_load_methodE3ELS4_3ELS4_3ELNS0_20block_scan_algorithmE0ELj4294967295EEENS1_25partition_config_selectorILNS1_17partition_subalgoE4EjNS0_10empty_typeEbEEZZNS1_14partition_implILS8_4ELb0ES6_15HIP_vector_typeIjLj2EENS0_17counting_iteratorIjlEEPS9_SG_NS0_5tupleIJPjSI_NS0_16reverse_iteratorISI_EEEEENSH_IJSG_SG_SG_EEES9_SI_JZNS1_25segmented_radix_sort_implINS0_14default_configELb0EPK6__halfPSP_PKlPlN2at6native12_GLOBAL__N_18offset_tEEE10hipError_tPvRmT1_PNSt15iterator_traitsIS13_E10value_typeET2_T3_PNS14_IS19_E10value_typeET4_jRbjT5_S1F_jjP12ihipStream_tbEUljE_ZNSN_ISO_Lb0ESR_SS_SU_SV_SZ_EES10_S11_S12_S13_S17_S18_S19_S1C_S1D_jS1E_jS1F_S1F_jjS1H_bEUljE0_EEES10_S11_S12_S19_S1D_S1F_T6_T7_T9_mT8_S1H_bDpT10_ENKUlT_T0_E_clISt17integral_constantIbLb1EES1V_EEDaS1Q_S1R_EUlS1Q_E_NS1_11comp_targetILNS1_3genE10ELNS1_11target_archE1200ELNS1_3gpuE4ELNS1_3repE0EEENS1_30default_config_static_selectorELNS0_4arch9wavefront6targetE1EEEvS13_,comdat
	.globl	_ZN7rocprim17ROCPRIM_400000_NS6detail17trampoline_kernelINS0_13select_configILj256ELj13ELNS0_17block_load_methodE3ELS4_3ELS4_3ELNS0_20block_scan_algorithmE0ELj4294967295EEENS1_25partition_config_selectorILNS1_17partition_subalgoE4EjNS0_10empty_typeEbEEZZNS1_14partition_implILS8_4ELb0ES6_15HIP_vector_typeIjLj2EENS0_17counting_iteratorIjlEEPS9_SG_NS0_5tupleIJPjSI_NS0_16reverse_iteratorISI_EEEEENSH_IJSG_SG_SG_EEES9_SI_JZNS1_25segmented_radix_sort_implINS0_14default_configELb0EPK6__halfPSP_PKlPlN2at6native12_GLOBAL__N_18offset_tEEE10hipError_tPvRmT1_PNSt15iterator_traitsIS13_E10value_typeET2_T3_PNS14_IS19_E10value_typeET4_jRbjT5_S1F_jjP12ihipStream_tbEUljE_ZNSN_ISO_Lb0ESR_SS_SU_SV_SZ_EES10_S11_S12_S13_S17_S18_S19_S1C_S1D_jS1E_jS1F_S1F_jjS1H_bEUljE0_EEES10_S11_S12_S19_S1D_S1F_T6_T7_T9_mT8_S1H_bDpT10_ENKUlT_T0_E_clISt17integral_constantIbLb1EES1V_EEDaS1Q_S1R_EUlS1Q_E_NS1_11comp_targetILNS1_3genE10ELNS1_11target_archE1200ELNS1_3gpuE4ELNS1_3repE0EEENS1_30default_config_static_selectorELNS0_4arch9wavefront6targetE1EEEvS13_ ; -- Begin function _ZN7rocprim17ROCPRIM_400000_NS6detail17trampoline_kernelINS0_13select_configILj256ELj13ELNS0_17block_load_methodE3ELS4_3ELS4_3ELNS0_20block_scan_algorithmE0ELj4294967295EEENS1_25partition_config_selectorILNS1_17partition_subalgoE4EjNS0_10empty_typeEbEEZZNS1_14partition_implILS8_4ELb0ES6_15HIP_vector_typeIjLj2EENS0_17counting_iteratorIjlEEPS9_SG_NS0_5tupleIJPjSI_NS0_16reverse_iteratorISI_EEEEENSH_IJSG_SG_SG_EEES9_SI_JZNS1_25segmented_radix_sort_implINS0_14default_configELb0EPK6__halfPSP_PKlPlN2at6native12_GLOBAL__N_18offset_tEEE10hipError_tPvRmT1_PNSt15iterator_traitsIS13_E10value_typeET2_T3_PNS14_IS19_E10value_typeET4_jRbjT5_S1F_jjP12ihipStream_tbEUljE_ZNSN_ISO_Lb0ESR_SS_SU_SV_SZ_EES10_S11_S12_S13_S17_S18_S19_S1C_S1D_jS1E_jS1F_S1F_jjS1H_bEUljE0_EEES10_S11_S12_S19_S1D_S1F_T6_T7_T9_mT8_S1H_bDpT10_ENKUlT_T0_E_clISt17integral_constantIbLb1EES1V_EEDaS1Q_S1R_EUlS1Q_E_NS1_11comp_targetILNS1_3genE10ELNS1_11target_archE1200ELNS1_3gpuE4ELNS1_3repE0EEENS1_30default_config_static_selectorELNS0_4arch9wavefront6targetE1EEEvS13_
	.p2align	8
	.type	_ZN7rocprim17ROCPRIM_400000_NS6detail17trampoline_kernelINS0_13select_configILj256ELj13ELNS0_17block_load_methodE3ELS4_3ELS4_3ELNS0_20block_scan_algorithmE0ELj4294967295EEENS1_25partition_config_selectorILNS1_17partition_subalgoE4EjNS0_10empty_typeEbEEZZNS1_14partition_implILS8_4ELb0ES6_15HIP_vector_typeIjLj2EENS0_17counting_iteratorIjlEEPS9_SG_NS0_5tupleIJPjSI_NS0_16reverse_iteratorISI_EEEEENSH_IJSG_SG_SG_EEES9_SI_JZNS1_25segmented_radix_sort_implINS0_14default_configELb0EPK6__halfPSP_PKlPlN2at6native12_GLOBAL__N_18offset_tEEE10hipError_tPvRmT1_PNSt15iterator_traitsIS13_E10value_typeET2_T3_PNS14_IS19_E10value_typeET4_jRbjT5_S1F_jjP12ihipStream_tbEUljE_ZNSN_ISO_Lb0ESR_SS_SU_SV_SZ_EES10_S11_S12_S13_S17_S18_S19_S1C_S1D_jS1E_jS1F_S1F_jjS1H_bEUljE0_EEES10_S11_S12_S19_S1D_S1F_T6_T7_T9_mT8_S1H_bDpT10_ENKUlT_T0_E_clISt17integral_constantIbLb1EES1V_EEDaS1Q_S1R_EUlS1Q_E_NS1_11comp_targetILNS1_3genE10ELNS1_11target_archE1200ELNS1_3gpuE4ELNS1_3repE0EEENS1_30default_config_static_selectorELNS0_4arch9wavefront6targetE1EEEvS13_,@function
_ZN7rocprim17ROCPRIM_400000_NS6detail17trampoline_kernelINS0_13select_configILj256ELj13ELNS0_17block_load_methodE3ELS4_3ELS4_3ELNS0_20block_scan_algorithmE0ELj4294967295EEENS1_25partition_config_selectorILNS1_17partition_subalgoE4EjNS0_10empty_typeEbEEZZNS1_14partition_implILS8_4ELb0ES6_15HIP_vector_typeIjLj2EENS0_17counting_iteratorIjlEEPS9_SG_NS0_5tupleIJPjSI_NS0_16reverse_iteratorISI_EEEEENSH_IJSG_SG_SG_EEES9_SI_JZNS1_25segmented_radix_sort_implINS0_14default_configELb0EPK6__halfPSP_PKlPlN2at6native12_GLOBAL__N_18offset_tEEE10hipError_tPvRmT1_PNSt15iterator_traitsIS13_E10value_typeET2_T3_PNS14_IS19_E10value_typeET4_jRbjT5_S1F_jjP12ihipStream_tbEUljE_ZNSN_ISO_Lb0ESR_SS_SU_SV_SZ_EES10_S11_S12_S13_S17_S18_S19_S1C_S1D_jS1E_jS1F_S1F_jjS1H_bEUljE0_EEES10_S11_S12_S19_S1D_S1F_T6_T7_T9_mT8_S1H_bDpT10_ENKUlT_T0_E_clISt17integral_constantIbLb1EES1V_EEDaS1Q_S1R_EUlS1Q_E_NS1_11comp_targetILNS1_3genE10ELNS1_11target_archE1200ELNS1_3gpuE4ELNS1_3repE0EEENS1_30default_config_static_selectorELNS0_4arch9wavefront6targetE1EEEvS13_: ; @_ZN7rocprim17ROCPRIM_400000_NS6detail17trampoline_kernelINS0_13select_configILj256ELj13ELNS0_17block_load_methodE3ELS4_3ELS4_3ELNS0_20block_scan_algorithmE0ELj4294967295EEENS1_25partition_config_selectorILNS1_17partition_subalgoE4EjNS0_10empty_typeEbEEZZNS1_14partition_implILS8_4ELb0ES6_15HIP_vector_typeIjLj2EENS0_17counting_iteratorIjlEEPS9_SG_NS0_5tupleIJPjSI_NS0_16reverse_iteratorISI_EEEEENSH_IJSG_SG_SG_EEES9_SI_JZNS1_25segmented_radix_sort_implINS0_14default_configELb0EPK6__halfPSP_PKlPlN2at6native12_GLOBAL__N_18offset_tEEE10hipError_tPvRmT1_PNSt15iterator_traitsIS13_E10value_typeET2_T3_PNS14_IS19_E10value_typeET4_jRbjT5_S1F_jjP12ihipStream_tbEUljE_ZNSN_ISO_Lb0ESR_SS_SU_SV_SZ_EES10_S11_S12_S13_S17_S18_S19_S1C_S1D_jS1E_jS1F_S1F_jjS1H_bEUljE0_EEES10_S11_S12_S19_S1D_S1F_T6_T7_T9_mT8_S1H_bDpT10_ENKUlT_T0_E_clISt17integral_constantIbLb1EES1V_EEDaS1Q_S1R_EUlS1Q_E_NS1_11comp_targetILNS1_3genE10ELNS1_11target_archE1200ELNS1_3gpuE4ELNS1_3repE0EEENS1_30default_config_static_selectorELNS0_4arch9wavefront6targetE1EEEvS13_
; %bb.0:
	.section	.rodata,"a",@progbits
	.p2align	6, 0x0
	.amdhsa_kernel _ZN7rocprim17ROCPRIM_400000_NS6detail17trampoline_kernelINS0_13select_configILj256ELj13ELNS0_17block_load_methodE3ELS4_3ELS4_3ELNS0_20block_scan_algorithmE0ELj4294967295EEENS1_25partition_config_selectorILNS1_17partition_subalgoE4EjNS0_10empty_typeEbEEZZNS1_14partition_implILS8_4ELb0ES6_15HIP_vector_typeIjLj2EENS0_17counting_iteratorIjlEEPS9_SG_NS0_5tupleIJPjSI_NS0_16reverse_iteratorISI_EEEEENSH_IJSG_SG_SG_EEES9_SI_JZNS1_25segmented_radix_sort_implINS0_14default_configELb0EPK6__halfPSP_PKlPlN2at6native12_GLOBAL__N_18offset_tEEE10hipError_tPvRmT1_PNSt15iterator_traitsIS13_E10value_typeET2_T3_PNS14_IS19_E10value_typeET4_jRbjT5_S1F_jjP12ihipStream_tbEUljE_ZNSN_ISO_Lb0ESR_SS_SU_SV_SZ_EES10_S11_S12_S13_S17_S18_S19_S1C_S1D_jS1E_jS1F_S1F_jjS1H_bEUljE0_EEES10_S11_S12_S19_S1D_S1F_T6_T7_T9_mT8_S1H_bDpT10_ENKUlT_T0_E_clISt17integral_constantIbLb1EES1V_EEDaS1Q_S1R_EUlS1Q_E_NS1_11comp_targetILNS1_3genE10ELNS1_11target_archE1200ELNS1_3gpuE4ELNS1_3repE0EEENS1_30default_config_static_selectorELNS0_4arch9wavefront6targetE1EEEvS13_
		.amdhsa_group_segment_fixed_size 0
		.amdhsa_private_segment_fixed_size 0
		.amdhsa_kernarg_size 184
		.amdhsa_user_sgpr_count 6
		.amdhsa_user_sgpr_private_segment_buffer 1
		.amdhsa_user_sgpr_dispatch_ptr 0
		.amdhsa_user_sgpr_queue_ptr 0
		.amdhsa_user_sgpr_kernarg_segment_ptr 1
		.amdhsa_user_sgpr_dispatch_id 0
		.amdhsa_user_sgpr_flat_scratch_init 0
		.amdhsa_user_sgpr_kernarg_preload_length 0
		.amdhsa_user_sgpr_kernarg_preload_offset 0
		.amdhsa_user_sgpr_private_segment_size 0
		.amdhsa_uses_dynamic_stack 0
		.amdhsa_system_sgpr_private_segment_wavefront_offset 0
		.amdhsa_system_sgpr_workgroup_id_x 1
		.amdhsa_system_sgpr_workgroup_id_y 0
		.amdhsa_system_sgpr_workgroup_id_z 0
		.amdhsa_system_sgpr_workgroup_info 0
		.amdhsa_system_vgpr_workitem_id 0
		.amdhsa_next_free_vgpr 1
		.amdhsa_next_free_sgpr 0
		.amdhsa_accum_offset 4
		.amdhsa_reserve_vcc 0
		.amdhsa_reserve_flat_scratch 0
		.amdhsa_float_round_mode_32 0
		.amdhsa_float_round_mode_16_64 0
		.amdhsa_float_denorm_mode_32 3
		.amdhsa_float_denorm_mode_16_64 3
		.amdhsa_dx10_clamp 1
		.amdhsa_ieee_mode 1
		.amdhsa_fp16_overflow 0
		.amdhsa_tg_split 0
		.amdhsa_exception_fp_ieee_invalid_op 0
		.amdhsa_exception_fp_denorm_src 0
		.amdhsa_exception_fp_ieee_div_zero 0
		.amdhsa_exception_fp_ieee_overflow 0
		.amdhsa_exception_fp_ieee_underflow 0
		.amdhsa_exception_fp_ieee_inexact 0
		.amdhsa_exception_int_div_zero 0
	.end_amdhsa_kernel
	.section	.text._ZN7rocprim17ROCPRIM_400000_NS6detail17trampoline_kernelINS0_13select_configILj256ELj13ELNS0_17block_load_methodE3ELS4_3ELS4_3ELNS0_20block_scan_algorithmE0ELj4294967295EEENS1_25partition_config_selectorILNS1_17partition_subalgoE4EjNS0_10empty_typeEbEEZZNS1_14partition_implILS8_4ELb0ES6_15HIP_vector_typeIjLj2EENS0_17counting_iteratorIjlEEPS9_SG_NS0_5tupleIJPjSI_NS0_16reverse_iteratorISI_EEEEENSH_IJSG_SG_SG_EEES9_SI_JZNS1_25segmented_radix_sort_implINS0_14default_configELb0EPK6__halfPSP_PKlPlN2at6native12_GLOBAL__N_18offset_tEEE10hipError_tPvRmT1_PNSt15iterator_traitsIS13_E10value_typeET2_T3_PNS14_IS19_E10value_typeET4_jRbjT5_S1F_jjP12ihipStream_tbEUljE_ZNSN_ISO_Lb0ESR_SS_SU_SV_SZ_EES10_S11_S12_S13_S17_S18_S19_S1C_S1D_jS1E_jS1F_S1F_jjS1H_bEUljE0_EEES10_S11_S12_S19_S1D_S1F_T6_T7_T9_mT8_S1H_bDpT10_ENKUlT_T0_E_clISt17integral_constantIbLb1EES1V_EEDaS1Q_S1R_EUlS1Q_E_NS1_11comp_targetILNS1_3genE10ELNS1_11target_archE1200ELNS1_3gpuE4ELNS1_3repE0EEENS1_30default_config_static_selectorELNS0_4arch9wavefront6targetE1EEEvS13_,"axG",@progbits,_ZN7rocprim17ROCPRIM_400000_NS6detail17trampoline_kernelINS0_13select_configILj256ELj13ELNS0_17block_load_methodE3ELS4_3ELS4_3ELNS0_20block_scan_algorithmE0ELj4294967295EEENS1_25partition_config_selectorILNS1_17partition_subalgoE4EjNS0_10empty_typeEbEEZZNS1_14partition_implILS8_4ELb0ES6_15HIP_vector_typeIjLj2EENS0_17counting_iteratorIjlEEPS9_SG_NS0_5tupleIJPjSI_NS0_16reverse_iteratorISI_EEEEENSH_IJSG_SG_SG_EEES9_SI_JZNS1_25segmented_radix_sort_implINS0_14default_configELb0EPK6__halfPSP_PKlPlN2at6native12_GLOBAL__N_18offset_tEEE10hipError_tPvRmT1_PNSt15iterator_traitsIS13_E10value_typeET2_T3_PNS14_IS19_E10value_typeET4_jRbjT5_S1F_jjP12ihipStream_tbEUljE_ZNSN_ISO_Lb0ESR_SS_SU_SV_SZ_EES10_S11_S12_S13_S17_S18_S19_S1C_S1D_jS1E_jS1F_S1F_jjS1H_bEUljE0_EEES10_S11_S12_S19_S1D_S1F_T6_T7_T9_mT8_S1H_bDpT10_ENKUlT_T0_E_clISt17integral_constantIbLb1EES1V_EEDaS1Q_S1R_EUlS1Q_E_NS1_11comp_targetILNS1_3genE10ELNS1_11target_archE1200ELNS1_3gpuE4ELNS1_3repE0EEENS1_30default_config_static_selectorELNS0_4arch9wavefront6targetE1EEEvS13_,comdat
.Lfunc_end1789:
	.size	_ZN7rocprim17ROCPRIM_400000_NS6detail17trampoline_kernelINS0_13select_configILj256ELj13ELNS0_17block_load_methodE3ELS4_3ELS4_3ELNS0_20block_scan_algorithmE0ELj4294967295EEENS1_25partition_config_selectorILNS1_17partition_subalgoE4EjNS0_10empty_typeEbEEZZNS1_14partition_implILS8_4ELb0ES6_15HIP_vector_typeIjLj2EENS0_17counting_iteratorIjlEEPS9_SG_NS0_5tupleIJPjSI_NS0_16reverse_iteratorISI_EEEEENSH_IJSG_SG_SG_EEES9_SI_JZNS1_25segmented_radix_sort_implINS0_14default_configELb0EPK6__halfPSP_PKlPlN2at6native12_GLOBAL__N_18offset_tEEE10hipError_tPvRmT1_PNSt15iterator_traitsIS13_E10value_typeET2_T3_PNS14_IS19_E10value_typeET4_jRbjT5_S1F_jjP12ihipStream_tbEUljE_ZNSN_ISO_Lb0ESR_SS_SU_SV_SZ_EES10_S11_S12_S13_S17_S18_S19_S1C_S1D_jS1E_jS1F_S1F_jjS1H_bEUljE0_EEES10_S11_S12_S19_S1D_S1F_T6_T7_T9_mT8_S1H_bDpT10_ENKUlT_T0_E_clISt17integral_constantIbLb1EES1V_EEDaS1Q_S1R_EUlS1Q_E_NS1_11comp_targetILNS1_3genE10ELNS1_11target_archE1200ELNS1_3gpuE4ELNS1_3repE0EEENS1_30default_config_static_selectorELNS0_4arch9wavefront6targetE1EEEvS13_, .Lfunc_end1789-_ZN7rocprim17ROCPRIM_400000_NS6detail17trampoline_kernelINS0_13select_configILj256ELj13ELNS0_17block_load_methodE3ELS4_3ELS4_3ELNS0_20block_scan_algorithmE0ELj4294967295EEENS1_25partition_config_selectorILNS1_17partition_subalgoE4EjNS0_10empty_typeEbEEZZNS1_14partition_implILS8_4ELb0ES6_15HIP_vector_typeIjLj2EENS0_17counting_iteratorIjlEEPS9_SG_NS0_5tupleIJPjSI_NS0_16reverse_iteratorISI_EEEEENSH_IJSG_SG_SG_EEES9_SI_JZNS1_25segmented_radix_sort_implINS0_14default_configELb0EPK6__halfPSP_PKlPlN2at6native12_GLOBAL__N_18offset_tEEE10hipError_tPvRmT1_PNSt15iterator_traitsIS13_E10value_typeET2_T3_PNS14_IS19_E10value_typeET4_jRbjT5_S1F_jjP12ihipStream_tbEUljE_ZNSN_ISO_Lb0ESR_SS_SU_SV_SZ_EES10_S11_S12_S13_S17_S18_S19_S1C_S1D_jS1E_jS1F_S1F_jjS1H_bEUljE0_EEES10_S11_S12_S19_S1D_S1F_T6_T7_T9_mT8_S1H_bDpT10_ENKUlT_T0_E_clISt17integral_constantIbLb1EES1V_EEDaS1Q_S1R_EUlS1Q_E_NS1_11comp_targetILNS1_3genE10ELNS1_11target_archE1200ELNS1_3gpuE4ELNS1_3repE0EEENS1_30default_config_static_selectorELNS0_4arch9wavefront6targetE1EEEvS13_
                                        ; -- End function
	.section	.AMDGPU.csdata,"",@progbits
; Kernel info:
; codeLenInByte = 0
; NumSgprs: 4
; NumVgprs: 0
; NumAgprs: 0
; TotalNumVgprs: 0
; ScratchSize: 0
; MemoryBound: 0
; FloatMode: 240
; IeeeMode: 1
; LDSByteSize: 0 bytes/workgroup (compile time only)
; SGPRBlocks: 0
; VGPRBlocks: 0
; NumSGPRsForWavesPerEU: 4
; NumVGPRsForWavesPerEU: 1
; AccumOffset: 4
; Occupancy: 8
; WaveLimiterHint : 0
; COMPUTE_PGM_RSRC2:SCRATCH_EN: 0
; COMPUTE_PGM_RSRC2:USER_SGPR: 6
; COMPUTE_PGM_RSRC2:TRAP_HANDLER: 0
; COMPUTE_PGM_RSRC2:TGID_X_EN: 1
; COMPUTE_PGM_RSRC2:TGID_Y_EN: 0
; COMPUTE_PGM_RSRC2:TGID_Z_EN: 0
; COMPUTE_PGM_RSRC2:TIDIG_COMP_CNT: 0
; COMPUTE_PGM_RSRC3_GFX90A:ACCUM_OFFSET: 0
; COMPUTE_PGM_RSRC3_GFX90A:TG_SPLIT: 0
	.section	.text._ZN7rocprim17ROCPRIM_400000_NS6detail17trampoline_kernelINS0_13select_configILj256ELj13ELNS0_17block_load_methodE3ELS4_3ELS4_3ELNS0_20block_scan_algorithmE0ELj4294967295EEENS1_25partition_config_selectorILNS1_17partition_subalgoE4EjNS0_10empty_typeEbEEZZNS1_14partition_implILS8_4ELb0ES6_15HIP_vector_typeIjLj2EENS0_17counting_iteratorIjlEEPS9_SG_NS0_5tupleIJPjSI_NS0_16reverse_iteratorISI_EEEEENSH_IJSG_SG_SG_EEES9_SI_JZNS1_25segmented_radix_sort_implINS0_14default_configELb0EPK6__halfPSP_PKlPlN2at6native12_GLOBAL__N_18offset_tEEE10hipError_tPvRmT1_PNSt15iterator_traitsIS13_E10value_typeET2_T3_PNS14_IS19_E10value_typeET4_jRbjT5_S1F_jjP12ihipStream_tbEUljE_ZNSN_ISO_Lb0ESR_SS_SU_SV_SZ_EES10_S11_S12_S13_S17_S18_S19_S1C_S1D_jS1E_jS1F_S1F_jjS1H_bEUljE0_EEES10_S11_S12_S19_S1D_S1F_T6_T7_T9_mT8_S1H_bDpT10_ENKUlT_T0_E_clISt17integral_constantIbLb1EES1V_EEDaS1Q_S1R_EUlS1Q_E_NS1_11comp_targetILNS1_3genE9ELNS1_11target_archE1100ELNS1_3gpuE3ELNS1_3repE0EEENS1_30default_config_static_selectorELNS0_4arch9wavefront6targetE1EEEvS13_,"axG",@progbits,_ZN7rocprim17ROCPRIM_400000_NS6detail17trampoline_kernelINS0_13select_configILj256ELj13ELNS0_17block_load_methodE3ELS4_3ELS4_3ELNS0_20block_scan_algorithmE0ELj4294967295EEENS1_25partition_config_selectorILNS1_17partition_subalgoE4EjNS0_10empty_typeEbEEZZNS1_14partition_implILS8_4ELb0ES6_15HIP_vector_typeIjLj2EENS0_17counting_iteratorIjlEEPS9_SG_NS0_5tupleIJPjSI_NS0_16reverse_iteratorISI_EEEEENSH_IJSG_SG_SG_EEES9_SI_JZNS1_25segmented_radix_sort_implINS0_14default_configELb0EPK6__halfPSP_PKlPlN2at6native12_GLOBAL__N_18offset_tEEE10hipError_tPvRmT1_PNSt15iterator_traitsIS13_E10value_typeET2_T3_PNS14_IS19_E10value_typeET4_jRbjT5_S1F_jjP12ihipStream_tbEUljE_ZNSN_ISO_Lb0ESR_SS_SU_SV_SZ_EES10_S11_S12_S13_S17_S18_S19_S1C_S1D_jS1E_jS1F_S1F_jjS1H_bEUljE0_EEES10_S11_S12_S19_S1D_S1F_T6_T7_T9_mT8_S1H_bDpT10_ENKUlT_T0_E_clISt17integral_constantIbLb1EES1V_EEDaS1Q_S1R_EUlS1Q_E_NS1_11comp_targetILNS1_3genE9ELNS1_11target_archE1100ELNS1_3gpuE3ELNS1_3repE0EEENS1_30default_config_static_selectorELNS0_4arch9wavefront6targetE1EEEvS13_,comdat
	.globl	_ZN7rocprim17ROCPRIM_400000_NS6detail17trampoline_kernelINS0_13select_configILj256ELj13ELNS0_17block_load_methodE3ELS4_3ELS4_3ELNS0_20block_scan_algorithmE0ELj4294967295EEENS1_25partition_config_selectorILNS1_17partition_subalgoE4EjNS0_10empty_typeEbEEZZNS1_14partition_implILS8_4ELb0ES6_15HIP_vector_typeIjLj2EENS0_17counting_iteratorIjlEEPS9_SG_NS0_5tupleIJPjSI_NS0_16reverse_iteratorISI_EEEEENSH_IJSG_SG_SG_EEES9_SI_JZNS1_25segmented_radix_sort_implINS0_14default_configELb0EPK6__halfPSP_PKlPlN2at6native12_GLOBAL__N_18offset_tEEE10hipError_tPvRmT1_PNSt15iterator_traitsIS13_E10value_typeET2_T3_PNS14_IS19_E10value_typeET4_jRbjT5_S1F_jjP12ihipStream_tbEUljE_ZNSN_ISO_Lb0ESR_SS_SU_SV_SZ_EES10_S11_S12_S13_S17_S18_S19_S1C_S1D_jS1E_jS1F_S1F_jjS1H_bEUljE0_EEES10_S11_S12_S19_S1D_S1F_T6_T7_T9_mT8_S1H_bDpT10_ENKUlT_T0_E_clISt17integral_constantIbLb1EES1V_EEDaS1Q_S1R_EUlS1Q_E_NS1_11comp_targetILNS1_3genE9ELNS1_11target_archE1100ELNS1_3gpuE3ELNS1_3repE0EEENS1_30default_config_static_selectorELNS0_4arch9wavefront6targetE1EEEvS13_ ; -- Begin function _ZN7rocprim17ROCPRIM_400000_NS6detail17trampoline_kernelINS0_13select_configILj256ELj13ELNS0_17block_load_methodE3ELS4_3ELS4_3ELNS0_20block_scan_algorithmE0ELj4294967295EEENS1_25partition_config_selectorILNS1_17partition_subalgoE4EjNS0_10empty_typeEbEEZZNS1_14partition_implILS8_4ELb0ES6_15HIP_vector_typeIjLj2EENS0_17counting_iteratorIjlEEPS9_SG_NS0_5tupleIJPjSI_NS0_16reverse_iteratorISI_EEEEENSH_IJSG_SG_SG_EEES9_SI_JZNS1_25segmented_radix_sort_implINS0_14default_configELb0EPK6__halfPSP_PKlPlN2at6native12_GLOBAL__N_18offset_tEEE10hipError_tPvRmT1_PNSt15iterator_traitsIS13_E10value_typeET2_T3_PNS14_IS19_E10value_typeET4_jRbjT5_S1F_jjP12ihipStream_tbEUljE_ZNSN_ISO_Lb0ESR_SS_SU_SV_SZ_EES10_S11_S12_S13_S17_S18_S19_S1C_S1D_jS1E_jS1F_S1F_jjS1H_bEUljE0_EEES10_S11_S12_S19_S1D_S1F_T6_T7_T9_mT8_S1H_bDpT10_ENKUlT_T0_E_clISt17integral_constantIbLb1EES1V_EEDaS1Q_S1R_EUlS1Q_E_NS1_11comp_targetILNS1_3genE9ELNS1_11target_archE1100ELNS1_3gpuE3ELNS1_3repE0EEENS1_30default_config_static_selectorELNS0_4arch9wavefront6targetE1EEEvS13_
	.p2align	8
	.type	_ZN7rocprim17ROCPRIM_400000_NS6detail17trampoline_kernelINS0_13select_configILj256ELj13ELNS0_17block_load_methodE3ELS4_3ELS4_3ELNS0_20block_scan_algorithmE0ELj4294967295EEENS1_25partition_config_selectorILNS1_17partition_subalgoE4EjNS0_10empty_typeEbEEZZNS1_14partition_implILS8_4ELb0ES6_15HIP_vector_typeIjLj2EENS0_17counting_iteratorIjlEEPS9_SG_NS0_5tupleIJPjSI_NS0_16reverse_iteratorISI_EEEEENSH_IJSG_SG_SG_EEES9_SI_JZNS1_25segmented_radix_sort_implINS0_14default_configELb0EPK6__halfPSP_PKlPlN2at6native12_GLOBAL__N_18offset_tEEE10hipError_tPvRmT1_PNSt15iterator_traitsIS13_E10value_typeET2_T3_PNS14_IS19_E10value_typeET4_jRbjT5_S1F_jjP12ihipStream_tbEUljE_ZNSN_ISO_Lb0ESR_SS_SU_SV_SZ_EES10_S11_S12_S13_S17_S18_S19_S1C_S1D_jS1E_jS1F_S1F_jjS1H_bEUljE0_EEES10_S11_S12_S19_S1D_S1F_T6_T7_T9_mT8_S1H_bDpT10_ENKUlT_T0_E_clISt17integral_constantIbLb1EES1V_EEDaS1Q_S1R_EUlS1Q_E_NS1_11comp_targetILNS1_3genE9ELNS1_11target_archE1100ELNS1_3gpuE3ELNS1_3repE0EEENS1_30default_config_static_selectorELNS0_4arch9wavefront6targetE1EEEvS13_,@function
_ZN7rocprim17ROCPRIM_400000_NS6detail17trampoline_kernelINS0_13select_configILj256ELj13ELNS0_17block_load_methodE3ELS4_3ELS4_3ELNS0_20block_scan_algorithmE0ELj4294967295EEENS1_25partition_config_selectorILNS1_17partition_subalgoE4EjNS0_10empty_typeEbEEZZNS1_14partition_implILS8_4ELb0ES6_15HIP_vector_typeIjLj2EENS0_17counting_iteratorIjlEEPS9_SG_NS0_5tupleIJPjSI_NS0_16reverse_iteratorISI_EEEEENSH_IJSG_SG_SG_EEES9_SI_JZNS1_25segmented_radix_sort_implINS0_14default_configELb0EPK6__halfPSP_PKlPlN2at6native12_GLOBAL__N_18offset_tEEE10hipError_tPvRmT1_PNSt15iterator_traitsIS13_E10value_typeET2_T3_PNS14_IS19_E10value_typeET4_jRbjT5_S1F_jjP12ihipStream_tbEUljE_ZNSN_ISO_Lb0ESR_SS_SU_SV_SZ_EES10_S11_S12_S13_S17_S18_S19_S1C_S1D_jS1E_jS1F_S1F_jjS1H_bEUljE0_EEES10_S11_S12_S19_S1D_S1F_T6_T7_T9_mT8_S1H_bDpT10_ENKUlT_T0_E_clISt17integral_constantIbLb1EES1V_EEDaS1Q_S1R_EUlS1Q_E_NS1_11comp_targetILNS1_3genE9ELNS1_11target_archE1100ELNS1_3gpuE3ELNS1_3repE0EEENS1_30default_config_static_selectorELNS0_4arch9wavefront6targetE1EEEvS13_: ; @_ZN7rocprim17ROCPRIM_400000_NS6detail17trampoline_kernelINS0_13select_configILj256ELj13ELNS0_17block_load_methodE3ELS4_3ELS4_3ELNS0_20block_scan_algorithmE0ELj4294967295EEENS1_25partition_config_selectorILNS1_17partition_subalgoE4EjNS0_10empty_typeEbEEZZNS1_14partition_implILS8_4ELb0ES6_15HIP_vector_typeIjLj2EENS0_17counting_iteratorIjlEEPS9_SG_NS0_5tupleIJPjSI_NS0_16reverse_iteratorISI_EEEEENSH_IJSG_SG_SG_EEES9_SI_JZNS1_25segmented_radix_sort_implINS0_14default_configELb0EPK6__halfPSP_PKlPlN2at6native12_GLOBAL__N_18offset_tEEE10hipError_tPvRmT1_PNSt15iterator_traitsIS13_E10value_typeET2_T3_PNS14_IS19_E10value_typeET4_jRbjT5_S1F_jjP12ihipStream_tbEUljE_ZNSN_ISO_Lb0ESR_SS_SU_SV_SZ_EES10_S11_S12_S13_S17_S18_S19_S1C_S1D_jS1E_jS1F_S1F_jjS1H_bEUljE0_EEES10_S11_S12_S19_S1D_S1F_T6_T7_T9_mT8_S1H_bDpT10_ENKUlT_T0_E_clISt17integral_constantIbLb1EES1V_EEDaS1Q_S1R_EUlS1Q_E_NS1_11comp_targetILNS1_3genE9ELNS1_11target_archE1100ELNS1_3gpuE3ELNS1_3repE0EEENS1_30default_config_static_selectorELNS0_4arch9wavefront6targetE1EEEvS13_
; %bb.0:
	.section	.rodata,"a",@progbits
	.p2align	6, 0x0
	.amdhsa_kernel _ZN7rocprim17ROCPRIM_400000_NS6detail17trampoline_kernelINS0_13select_configILj256ELj13ELNS0_17block_load_methodE3ELS4_3ELS4_3ELNS0_20block_scan_algorithmE0ELj4294967295EEENS1_25partition_config_selectorILNS1_17partition_subalgoE4EjNS0_10empty_typeEbEEZZNS1_14partition_implILS8_4ELb0ES6_15HIP_vector_typeIjLj2EENS0_17counting_iteratorIjlEEPS9_SG_NS0_5tupleIJPjSI_NS0_16reverse_iteratorISI_EEEEENSH_IJSG_SG_SG_EEES9_SI_JZNS1_25segmented_radix_sort_implINS0_14default_configELb0EPK6__halfPSP_PKlPlN2at6native12_GLOBAL__N_18offset_tEEE10hipError_tPvRmT1_PNSt15iterator_traitsIS13_E10value_typeET2_T3_PNS14_IS19_E10value_typeET4_jRbjT5_S1F_jjP12ihipStream_tbEUljE_ZNSN_ISO_Lb0ESR_SS_SU_SV_SZ_EES10_S11_S12_S13_S17_S18_S19_S1C_S1D_jS1E_jS1F_S1F_jjS1H_bEUljE0_EEES10_S11_S12_S19_S1D_S1F_T6_T7_T9_mT8_S1H_bDpT10_ENKUlT_T0_E_clISt17integral_constantIbLb1EES1V_EEDaS1Q_S1R_EUlS1Q_E_NS1_11comp_targetILNS1_3genE9ELNS1_11target_archE1100ELNS1_3gpuE3ELNS1_3repE0EEENS1_30default_config_static_selectorELNS0_4arch9wavefront6targetE1EEEvS13_
		.amdhsa_group_segment_fixed_size 0
		.amdhsa_private_segment_fixed_size 0
		.amdhsa_kernarg_size 184
		.amdhsa_user_sgpr_count 6
		.amdhsa_user_sgpr_private_segment_buffer 1
		.amdhsa_user_sgpr_dispatch_ptr 0
		.amdhsa_user_sgpr_queue_ptr 0
		.amdhsa_user_sgpr_kernarg_segment_ptr 1
		.amdhsa_user_sgpr_dispatch_id 0
		.amdhsa_user_sgpr_flat_scratch_init 0
		.amdhsa_user_sgpr_kernarg_preload_length 0
		.amdhsa_user_sgpr_kernarg_preload_offset 0
		.amdhsa_user_sgpr_private_segment_size 0
		.amdhsa_uses_dynamic_stack 0
		.amdhsa_system_sgpr_private_segment_wavefront_offset 0
		.amdhsa_system_sgpr_workgroup_id_x 1
		.amdhsa_system_sgpr_workgroup_id_y 0
		.amdhsa_system_sgpr_workgroup_id_z 0
		.amdhsa_system_sgpr_workgroup_info 0
		.amdhsa_system_vgpr_workitem_id 0
		.amdhsa_next_free_vgpr 1
		.amdhsa_next_free_sgpr 0
		.amdhsa_accum_offset 4
		.amdhsa_reserve_vcc 0
		.amdhsa_reserve_flat_scratch 0
		.amdhsa_float_round_mode_32 0
		.amdhsa_float_round_mode_16_64 0
		.amdhsa_float_denorm_mode_32 3
		.amdhsa_float_denorm_mode_16_64 3
		.amdhsa_dx10_clamp 1
		.amdhsa_ieee_mode 1
		.amdhsa_fp16_overflow 0
		.amdhsa_tg_split 0
		.amdhsa_exception_fp_ieee_invalid_op 0
		.amdhsa_exception_fp_denorm_src 0
		.amdhsa_exception_fp_ieee_div_zero 0
		.amdhsa_exception_fp_ieee_overflow 0
		.amdhsa_exception_fp_ieee_underflow 0
		.amdhsa_exception_fp_ieee_inexact 0
		.amdhsa_exception_int_div_zero 0
	.end_amdhsa_kernel
	.section	.text._ZN7rocprim17ROCPRIM_400000_NS6detail17trampoline_kernelINS0_13select_configILj256ELj13ELNS0_17block_load_methodE3ELS4_3ELS4_3ELNS0_20block_scan_algorithmE0ELj4294967295EEENS1_25partition_config_selectorILNS1_17partition_subalgoE4EjNS0_10empty_typeEbEEZZNS1_14partition_implILS8_4ELb0ES6_15HIP_vector_typeIjLj2EENS0_17counting_iteratorIjlEEPS9_SG_NS0_5tupleIJPjSI_NS0_16reverse_iteratorISI_EEEEENSH_IJSG_SG_SG_EEES9_SI_JZNS1_25segmented_radix_sort_implINS0_14default_configELb0EPK6__halfPSP_PKlPlN2at6native12_GLOBAL__N_18offset_tEEE10hipError_tPvRmT1_PNSt15iterator_traitsIS13_E10value_typeET2_T3_PNS14_IS19_E10value_typeET4_jRbjT5_S1F_jjP12ihipStream_tbEUljE_ZNSN_ISO_Lb0ESR_SS_SU_SV_SZ_EES10_S11_S12_S13_S17_S18_S19_S1C_S1D_jS1E_jS1F_S1F_jjS1H_bEUljE0_EEES10_S11_S12_S19_S1D_S1F_T6_T7_T9_mT8_S1H_bDpT10_ENKUlT_T0_E_clISt17integral_constantIbLb1EES1V_EEDaS1Q_S1R_EUlS1Q_E_NS1_11comp_targetILNS1_3genE9ELNS1_11target_archE1100ELNS1_3gpuE3ELNS1_3repE0EEENS1_30default_config_static_selectorELNS0_4arch9wavefront6targetE1EEEvS13_,"axG",@progbits,_ZN7rocprim17ROCPRIM_400000_NS6detail17trampoline_kernelINS0_13select_configILj256ELj13ELNS0_17block_load_methodE3ELS4_3ELS4_3ELNS0_20block_scan_algorithmE0ELj4294967295EEENS1_25partition_config_selectorILNS1_17partition_subalgoE4EjNS0_10empty_typeEbEEZZNS1_14partition_implILS8_4ELb0ES6_15HIP_vector_typeIjLj2EENS0_17counting_iteratorIjlEEPS9_SG_NS0_5tupleIJPjSI_NS0_16reverse_iteratorISI_EEEEENSH_IJSG_SG_SG_EEES9_SI_JZNS1_25segmented_radix_sort_implINS0_14default_configELb0EPK6__halfPSP_PKlPlN2at6native12_GLOBAL__N_18offset_tEEE10hipError_tPvRmT1_PNSt15iterator_traitsIS13_E10value_typeET2_T3_PNS14_IS19_E10value_typeET4_jRbjT5_S1F_jjP12ihipStream_tbEUljE_ZNSN_ISO_Lb0ESR_SS_SU_SV_SZ_EES10_S11_S12_S13_S17_S18_S19_S1C_S1D_jS1E_jS1F_S1F_jjS1H_bEUljE0_EEES10_S11_S12_S19_S1D_S1F_T6_T7_T9_mT8_S1H_bDpT10_ENKUlT_T0_E_clISt17integral_constantIbLb1EES1V_EEDaS1Q_S1R_EUlS1Q_E_NS1_11comp_targetILNS1_3genE9ELNS1_11target_archE1100ELNS1_3gpuE3ELNS1_3repE0EEENS1_30default_config_static_selectorELNS0_4arch9wavefront6targetE1EEEvS13_,comdat
.Lfunc_end1790:
	.size	_ZN7rocprim17ROCPRIM_400000_NS6detail17trampoline_kernelINS0_13select_configILj256ELj13ELNS0_17block_load_methodE3ELS4_3ELS4_3ELNS0_20block_scan_algorithmE0ELj4294967295EEENS1_25partition_config_selectorILNS1_17partition_subalgoE4EjNS0_10empty_typeEbEEZZNS1_14partition_implILS8_4ELb0ES6_15HIP_vector_typeIjLj2EENS0_17counting_iteratorIjlEEPS9_SG_NS0_5tupleIJPjSI_NS0_16reverse_iteratorISI_EEEEENSH_IJSG_SG_SG_EEES9_SI_JZNS1_25segmented_radix_sort_implINS0_14default_configELb0EPK6__halfPSP_PKlPlN2at6native12_GLOBAL__N_18offset_tEEE10hipError_tPvRmT1_PNSt15iterator_traitsIS13_E10value_typeET2_T3_PNS14_IS19_E10value_typeET4_jRbjT5_S1F_jjP12ihipStream_tbEUljE_ZNSN_ISO_Lb0ESR_SS_SU_SV_SZ_EES10_S11_S12_S13_S17_S18_S19_S1C_S1D_jS1E_jS1F_S1F_jjS1H_bEUljE0_EEES10_S11_S12_S19_S1D_S1F_T6_T7_T9_mT8_S1H_bDpT10_ENKUlT_T0_E_clISt17integral_constantIbLb1EES1V_EEDaS1Q_S1R_EUlS1Q_E_NS1_11comp_targetILNS1_3genE9ELNS1_11target_archE1100ELNS1_3gpuE3ELNS1_3repE0EEENS1_30default_config_static_selectorELNS0_4arch9wavefront6targetE1EEEvS13_, .Lfunc_end1790-_ZN7rocprim17ROCPRIM_400000_NS6detail17trampoline_kernelINS0_13select_configILj256ELj13ELNS0_17block_load_methodE3ELS4_3ELS4_3ELNS0_20block_scan_algorithmE0ELj4294967295EEENS1_25partition_config_selectorILNS1_17partition_subalgoE4EjNS0_10empty_typeEbEEZZNS1_14partition_implILS8_4ELb0ES6_15HIP_vector_typeIjLj2EENS0_17counting_iteratorIjlEEPS9_SG_NS0_5tupleIJPjSI_NS0_16reverse_iteratorISI_EEEEENSH_IJSG_SG_SG_EEES9_SI_JZNS1_25segmented_radix_sort_implINS0_14default_configELb0EPK6__halfPSP_PKlPlN2at6native12_GLOBAL__N_18offset_tEEE10hipError_tPvRmT1_PNSt15iterator_traitsIS13_E10value_typeET2_T3_PNS14_IS19_E10value_typeET4_jRbjT5_S1F_jjP12ihipStream_tbEUljE_ZNSN_ISO_Lb0ESR_SS_SU_SV_SZ_EES10_S11_S12_S13_S17_S18_S19_S1C_S1D_jS1E_jS1F_S1F_jjS1H_bEUljE0_EEES10_S11_S12_S19_S1D_S1F_T6_T7_T9_mT8_S1H_bDpT10_ENKUlT_T0_E_clISt17integral_constantIbLb1EES1V_EEDaS1Q_S1R_EUlS1Q_E_NS1_11comp_targetILNS1_3genE9ELNS1_11target_archE1100ELNS1_3gpuE3ELNS1_3repE0EEENS1_30default_config_static_selectorELNS0_4arch9wavefront6targetE1EEEvS13_
                                        ; -- End function
	.section	.AMDGPU.csdata,"",@progbits
; Kernel info:
; codeLenInByte = 0
; NumSgprs: 4
; NumVgprs: 0
; NumAgprs: 0
; TotalNumVgprs: 0
; ScratchSize: 0
; MemoryBound: 0
; FloatMode: 240
; IeeeMode: 1
; LDSByteSize: 0 bytes/workgroup (compile time only)
; SGPRBlocks: 0
; VGPRBlocks: 0
; NumSGPRsForWavesPerEU: 4
; NumVGPRsForWavesPerEU: 1
; AccumOffset: 4
; Occupancy: 8
; WaveLimiterHint : 0
; COMPUTE_PGM_RSRC2:SCRATCH_EN: 0
; COMPUTE_PGM_RSRC2:USER_SGPR: 6
; COMPUTE_PGM_RSRC2:TRAP_HANDLER: 0
; COMPUTE_PGM_RSRC2:TGID_X_EN: 1
; COMPUTE_PGM_RSRC2:TGID_Y_EN: 0
; COMPUTE_PGM_RSRC2:TGID_Z_EN: 0
; COMPUTE_PGM_RSRC2:TIDIG_COMP_CNT: 0
; COMPUTE_PGM_RSRC3_GFX90A:ACCUM_OFFSET: 0
; COMPUTE_PGM_RSRC3_GFX90A:TG_SPLIT: 0
	.section	.text._ZN7rocprim17ROCPRIM_400000_NS6detail17trampoline_kernelINS0_13select_configILj256ELj13ELNS0_17block_load_methodE3ELS4_3ELS4_3ELNS0_20block_scan_algorithmE0ELj4294967295EEENS1_25partition_config_selectorILNS1_17partition_subalgoE4EjNS0_10empty_typeEbEEZZNS1_14partition_implILS8_4ELb0ES6_15HIP_vector_typeIjLj2EENS0_17counting_iteratorIjlEEPS9_SG_NS0_5tupleIJPjSI_NS0_16reverse_iteratorISI_EEEEENSH_IJSG_SG_SG_EEES9_SI_JZNS1_25segmented_radix_sort_implINS0_14default_configELb0EPK6__halfPSP_PKlPlN2at6native12_GLOBAL__N_18offset_tEEE10hipError_tPvRmT1_PNSt15iterator_traitsIS13_E10value_typeET2_T3_PNS14_IS19_E10value_typeET4_jRbjT5_S1F_jjP12ihipStream_tbEUljE_ZNSN_ISO_Lb0ESR_SS_SU_SV_SZ_EES10_S11_S12_S13_S17_S18_S19_S1C_S1D_jS1E_jS1F_S1F_jjS1H_bEUljE0_EEES10_S11_S12_S19_S1D_S1F_T6_T7_T9_mT8_S1H_bDpT10_ENKUlT_T0_E_clISt17integral_constantIbLb1EES1V_EEDaS1Q_S1R_EUlS1Q_E_NS1_11comp_targetILNS1_3genE8ELNS1_11target_archE1030ELNS1_3gpuE2ELNS1_3repE0EEENS1_30default_config_static_selectorELNS0_4arch9wavefront6targetE1EEEvS13_,"axG",@progbits,_ZN7rocprim17ROCPRIM_400000_NS6detail17trampoline_kernelINS0_13select_configILj256ELj13ELNS0_17block_load_methodE3ELS4_3ELS4_3ELNS0_20block_scan_algorithmE0ELj4294967295EEENS1_25partition_config_selectorILNS1_17partition_subalgoE4EjNS0_10empty_typeEbEEZZNS1_14partition_implILS8_4ELb0ES6_15HIP_vector_typeIjLj2EENS0_17counting_iteratorIjlEEPS9_SG_NS0_5tupleIJPjSI_NS0_16reverse_iteratorISI_EEEEENSH_IJSG_SG_SG_EEES9_SI_JZNS1_25segmented_radix_sort_implINS0_14default_configELb0EPK6__halfPSP_PKlPlN2at6native12_GLOBAL__N_18offset_tEEE10hipError_tPvRmT1_PNSt15iterator_traitsIS13_E10value_typeET2_T3_PNS14_IS19_E10value_typeET4_jRbjT5_S1F_jjP12ihipStream_tbEUljE_ZNSN_ISO_Lb0ESR_SS_SU_SV_SZ_EES10_S11_S12_S13_S17_S18_S19_S1C_S1D_jS1E_jS1F_S1F_jjS1H_bEUljE0_EEES10_S11_S12_S19_S1D_S1F_T6_T7_T9_mT8_S1H_bDpT10_ENKUlT_T0_E_clISt17integral_constantIbLb1EES1V_EEDaS1Q_S1R_EUlS1Q_E_NS1_11comp_targetILNS1_3genE8ELNS1_11target_archE1030ELNS1_3gpuE2ELNS1_3repE0EEENS1_30default_config_static_selectorELNS0_4arch9wavefront6targetE1EEEvS13_,comdat
	.globl	_ZN7rocprim17ROCPRIM_400000_NS6detail17trampoline_kernelINS0_13select_configILj256ELj13ELNS0_17block_load_methodE3ELS4_3ELS4_3ELNS0_20block_scan_algorithmE0ELj4294967295EEENS1_25partition_config_selectorILNS1_17partition_subalgoE4EjNS0_10empty_typeEbEEZZNS1_14partition_implILS8_4ELb0ES6_15HIP_vector_typeIjLj2EENS0_17counting_iteratorIjlEEPS9_SG_NS0_5tupleIJPjSI_NS0_16reverse_iteratorISI_EEEEENSH_IJSG_SG_SG_EEES9_SI_JZNS1_25segmented_radix_sort_implINS0_14default_configELb0EPK6__halfPSP_PKlPlN2at6native12_GLOBAL__N_18offset_tEEE10hipError_tPvRmT1_PNSt15iterator_traitsIS13_E10value_typeET2_T3_PNS14_IS19_E10value_typeET4_jRbjT5_S1F_jjP12ihipStream_tbEUljE_ZNSN_ISO_Lb0ESR_SS_SU_SV_SZ_EES10_S11_S12_S13_S17_S18_S19_S1C_S1D_jS1E_jS1F_S1F_jjS1H_bEUljE0_EEES10_S11_S12_S19_S1D_S1F_T6_T7_T9_mT8_S1H_bDpT10_ENKUlT_T0_E_clISt17integral_constantIbLb1EES1V_EEDaS1Q_S1R_EUlS1Q_E_NS1_11comp_targetILNS1_3genE8ELNS1_11target_archE1030ELNS1_3gpuE2ELNS1_3repE0EEENS1_30default_config_static_selectorELNS0_4arch9wavefront6targetE1EEEvS13_ ; -- Begin function _ZN7rocprim17ROCPRIM_400000_NS6detail17trampoline_kernelINS0_13select_configILj256ELj13ELNS0_17block_load_methodE3ELS4_3ELS4_3ELNS0_20block_scan_algorithmE0ELj4294967295EEENS1_25partition_config_selectorILNS1_17partition_subalgoE4EjNS0_10empty_typeEbEEZZNS1_14partition_implILS8_4ELb0ES6_15HIP_vector_typeIjLj2EENS0_17counting_iteratorIjlEEPS9_SG_NS0_5tupleIJPjSI_NS0_16reverse_iteratorISI_EEEEENSH_IJSG_SG_SG_EEES9_SI_JZNS1_25segmented_radix_sort_implINS0_14default_configELb0EPK6__halfPSP_PKlPlN2at6native12_GLOBAL__N_18offset_tEEE10hipError_tPvRmT1_PNSt15iterator_traitsIS13_E10value_typeET2_T3_PNS14_IS19_E10value_typeET4_jRbjT5_S1F_jjP12ihipStream_tbEUljE_ZNSN_ISO_Lb0ESR_SS_SU_SV_SZ_EES10_S11_S12_S13_S17_S18_S19_S1C_S1D_jS1E_jS1F_S1F_jjS1H_bEUljE0_EEES10_S11_S12_S19_S1D_S1F_T6_T7_T9_mT8_S1H_bDpT10_ENKUlT_T0_E_clISt17integral_constantIbLb1EES1V_EEDaS1Q_S1R_EUlS1Q_E_NS1_11comp_targetILNS1_3genE8ELNS1_11target_archE1030ELNS1_3gpuE2ELNS1_3repE0EEENS1_30default_config_static_selectorELNS0_4arch9wavefront6targetE1EEEvS13_
	.p2align	8
	.type	_ZN7rocprim17ROCPRIM_400000_NS6detail17trampoline_kernelINS0_13select_configILj256ELj13ELNS0_17block_load_methodE3ELS4_3ELS4_3ELNS0_20block_scan_algorithmE0ELj4294967295EEENS1_25partition_config_selectorILNS1_17partition_subalgoE4EjNS0_10empty_typeEbEEZZNS1_14partition_implILS8_4ELb0ES6_15HIP_vector_typeIjLj2EENS0_17counting_iteratorIjlEEPS9_SG_NS0_5tupleIJPjSI_NS0_16reverse_iteratorISI_EEEEENSH_IJSG_SG_SG_EEES9_SI_JZNS1_25segmented_radix_sort_implINS0_14default_configELb0EPK6__halfPSP_PKlPlN2at6native12_GLOBAL__N_18offset_tEEE10hipError_tPvRmT1_PNSt15iterator_traitsIS13_E10value_typeET2_T3_PNS14_IS19_E10value_typeET4_jRbjT5_S1F_jjP12ihipStream_tbEUljE_ZNSN_ISO_Lb0ESR_SS_SU_SV_SZ_EES10_S11_S12_S13_S17_S18_S19_S1C_S1D_jS1E_jS1F_S1F_jjS1H_bEUljE0_EEES10_S11_S12_S19_S1D_S1F_T6_T7_T9_mT8_S1H_bDpT10_ENKUlT_T0_E_clISt17integral_constantIbLb1EES1V_EEDaS1Q_S1R_EUlS1Q_E_NS1_11comp_targetILNS1_3genE8ELNS1_11target_archE1030ELNS1_3gpuE2ELNS1_3repE0EEENS1_30default_config_static_selectorELNS0_4arch9wavefront6targetE1EEEvS13_,@function
_ZN7rocprim17ROCPRIM_400000_NS6detail17trampoline_kernelINS0_13select_configILj256ELj13ELNS0_17block_load_methodE3ELS4_3ELS4_3ELNS0_20block_scan_algorithmE0ELj4294967295EEENS1_25partition_config_selectorILNS1_17partition_subalgoE4EjNS0_10empty_typeEbEEZZNS1_14partition_implILS8_4ELb0ES6_15HIP_vector_typeIjLj2EENS0_17counting_iteratorIjlEEPS9_SG_NS0_5tupleIJPjSI_NS0_16reverse_iteratorISI_EEEEENSH_IJSG_SG_SG_EEES9_SI_JZNS1_25segmented_radix_sort_implINS0_14default_configELb0EPK6__halfPSP_PKlPlN2at6native12_GLOBAL__N_18offset_tEEE10hipError_tPvRmT1_PNSt15iterator_traitsIS13_E10value_typeET2_T3_PNS14_IS19_E10value_typeET4_jRbjT5_S1F_jjP12ihipStream_tbEUljE_ZNSN_ISO_Lb0ESR_SS_SU_SV_SZ_EES10_S11_S12_S13_S17_S18_S19_S1C_S1D_jS1E_jS1F_S1F_jjS1H_bEUljE0_EEES10_S11_S12_S19_S1D_S1F_T6_T7_T9_mT8_S1H_bDpT10_ENKUlT_T0_E_clISt17integral_constantIbLb1EES1V_EEDaS1Q_S1R_EUlS1Q_E_NS1_11comp_targetILNS1_3genE8ELNS1_11target_archE1030ELNS1_3gpuE2ELNS1_3repE0EEENS1_30default_config_static_selectorELNS0_4arch9wavefront6targetE1EEEvS13_: ; @_ZN7rocprim17ROCPRIM_400000_NS6detail17trampoline_kernelINS0_13select_configILj256ELj13ELNS0_17block_load_methodE3ELS4_3ELS4_3ELNS0_20block_scan_algorithmE0ELj4294967295EEENS1_25partition_config_selectorILNS1_17partition_subalgoE4EjNS0_10empty_typeEbEEZZNS1_14partition_implILS8_4ELb0ES6_15HIP_vector_typeIjLj2EENS0_17counting_iteratorIjlEEPS9_SG_NS0_5tupleIJPjSI_NS0_16reverse_iteratorISI_EEEEENSH_IJSG_SG_SG_EEES9_SI_JZNS1_25segmented_radix_sort_implINS0_14default_configELb0EPK6__halfPSP_PKlPlN2at6native12_GLOBAL__N_18offset_tEEE10hipError_tPvRmT1_PNSt15iterator_traitsIS13_E10value_typeET2_T3_PNS14_IS19_E10value_typeET4_jRbjT5_S1F_jjP12ihipStream_tbEUljE_ZNSN_ISO_Lb0ESR_SS_SU_SV_SZ_EES10_S11_S12_S13_S17_S18_S19_S1C_S1D_jS1E_jS1F_S1F_jjS1H_bEUljE0_EEES10_S11_S12_S19_S1D_S1F_T6_T7_T9_mT8_S1H_bDpT10_ENKUlT_T0_E_clISt17integral_constantIbLb1EES1V_EEDaS1Q_S1R_EUlS1Q_E_NS1_11comp_targetILNS1_3genE8ELNS1_11target_archE1030ELNS1_3gpuE2ELNS1_3repE0EEENS1_30default_config_static_selectorELNS0_4arch9wavefront6targetE1EEEvS13_
; %bb.0:
	.section	.rodata,"a",@progbits
	.p2align	6, 0x0
	.amdhsa_kernel _ZN7rocprim17ROCPRIM_400000_NS6detail17trampoline_kernelINS0_13select_configILj256ELj13ELNS0_17block_load_methodE3ELS4_3ELS4_3ELNS0_20block_scan_algorithmE0ELj4294967295EEENS1_25partition_config_selectorILNS1_17partition_subalgoE4EjNS0_10empty_typeEbEEZZNS1_14partition_implILS8_4ELb0ES6_15HIP_vector_typeIjLj2EENS0_17counting_iteratorIjlEEPS9_SG_NS0_5tupleIJPjSI_NS0_16reverse_iteratorISI_EEEEENSH_IJSG_SG_SG_EEES9_SI_JZNS1_25segmented_radix_sort_implINS0_14default_configELb0EPK6__halfPSP_PKlPlN2at6native12_GLOBAL__N_18offset_tEEE10hipError_tPvRmT1_PNSt15iterator_traitsIS13_E10value_typeET2_T3_PNS14_IS19_E10value_typeET4_jRbjT5_S1F_jjP12ihipStream_tbEUljE_ZNSN_ISO_Lb0ESR_SS_SU_SV_SZ_EES10_S11_S12_S13_S17_S18_S19_S1C_S1D_jS1E_jS1F_S1F_jjS1H_bEUljE0_EEES10_S11_S12_S19_S1D_S1F_T6_T7_T9_mT8_S1H_bDpT10_ENKUlT_T0_E_clISt17integral_constantIbLb1EES1V_EEDaS1Q_S1R_EUlS1Q_E_NS1_11comp_targetILNS1_3genE8ELNS1_11target_archE1030ELNS1_3gpuE2ELNS1_3repE0EEENS1_30default_config_static_selectorELNS0_4arch9wavefront6targetE1EEEvS13_
		.amdhsa_group_segment_fixed_size 0
		.amdhsa_private_segment_fixed_size 0
		.amdhsa_kernarg_size 184
		.amdhsa_user_sgpr_count 6
		.amdhsa_user_sgpr_private_segment_buffer 1
		.amdhsa_user_sgpr_dispatch_ptr 0
		.amdhsa_user_sgpr_queue_ptr 0
		.amdhsa_user_sgpr_kernarg_segment_ptr 1
		.amdhsa_user_sgpr_dispatch_id 0
		.amdhsa_user_sgpr_flat_scratch_init 0
		.amdhsa_user_sgpr_kernarg_preload_length 0
		.amdhsa_user_sgpr_kernarg_preload_offset 0
		.amdhsa_user_sgpr_private_segment_size 0
		.amdhsa_uses_dynamic_stack 0
		.amdhsa_system_sgpr_private_segment_wavefront_offset 0
		.amdhsa_system_sgpr_workgroup_id_x 1
		.amdhsa_system_sgpr_workgroup_id_y 0
		.amdhsa_system_sgpr_workgroup_id_z 0
		.amdhsa_system_sgpr_workgroup_info 0
		.amdhsa_system_vgpr_workitem_id 0
		.amdhsa_next_free_vgpr 1
		.amdhsa_next_free_sgpr 0
		.amdhsa_accum_offset 4
		.amdhsa_reserve_vcc 0
		.amdhsa_reserve_flat_scratch 0
		.amdhsa_float_round_mode_32 0
		.amdhsa_float_round_mode_16_64 0
		.amdhsa_float_denorm_mode_32 3
		.amdhsa_float_denorm_mode_16_64 3
		.amdhsa_dx10_clamp 1
		.amdhsa_ieee_mode 1
		.amdhsa_fp16_overflow 0
		.amdhsa_tg_split 0
		.amdhsa_exception_fp_ieee_invalid_op 0
		.amdhsa_exception_fp_denorm_src 0
		.amdhsa_exception_fp_ieee_div_zero 0
		.amdhsa_exception_fp_ieee_overflow 0
		.amdhsa_exception_fp_ieee_underflow 0
		.amdhsa_exception_fp_ieee_inexact 0
		.amdhsa_exception_int_div_zero 0
	.end_amdhsa_kernel
	.section	.text._ZN7rocprim17ROCPRIM_400000_NS6detail17trampoline_kernelINS0_13select_configILj256ELj13ELNS0_17block_load_methodE3ELS4_3ELS4_3ELNS0_20block_scan_algorithmE0ELj4294967295EEENS1_25partition_config_selectorILNS1_17partition_subalgoE4EjNS0_10empty_typeEbEEZZNS1_14partition_implILS8_4ELb0ES6_15HIP_vector_typeIjLj2EENS0_17counting_iteratorIjlEEPS9_SG_NS0_5tupleIJPjSI_NS0_16reverse_iteratorISI_EEEEENSH_IJSG_SG_SG_EEES9_SI_JZNS1_25segmented_radix_sort_implINS0_14default_configELb0EPK6__halfPSP_PKlPlN2at6native12_GLOBAL__N_18offset_tEEE10hipError_tPvRmT1_PNSt15iterator_traitsIS13_E10value_typeET2_T3_PNS14_IS19_E10value_typeET4_jRbjT5_S1F_jjP12ihipStream_tbEUljE_ZNSN_ISO_Lb0ESR_SS_SU_SV_SZ_EES10_S11_S12_S13_S17_S18_S19_S1C_S1D_jS1E_jS1F_S1F_jjS1H_bEUljE0_EEES10_S11_S12_S19_S1D_S1F_T6_T7_T9_mT8_S1H_bDpT10_ENKUlT_T0_E_clISt17integral_constantIbLb1EES1V_EEDaS1Q_S1R_EUlS1Q_E_NS1_11comp_targetILNS1_3genE8ELNS1_11target_archE1030ELNS1_3gpuE2ELNS1_3repE0EEENS1_30default_config_static_selectorELNS0_4arch9wavefront6targetE1EEEvS13_,"axG",@progbits,_ZN7rocprim17ROCPRIM_400000_NS6detail17trampoline_kernelINS0_13select_configILj256ELj13ELNS0_17block_load_methodE3ELS4_3ELS4_3ELNS0_20block_scan_algorithmE0ELj4294967295EEENS1_25partition_config_selectorILNS1_17partition_subalgoE4EjNS0_10empty_typeEbEEZZNS1_14partition_implILS8_4ELb0ES6_15HIP_vector_typeIjLj2EENS0_17counting_iteratorIjlEEPS9_SG_NS0_5tupleIJPjSI_NS0_16reverse_iteratorISI_EEEEENSH_IJSG_SG_SG_EEES9_SI_JZNS1_25segmented_radix_sort_implINS0_14default_configELb0EPK6__halfPSP_PKlPlN2at6native12_GLOBAL__N_18offset_tEEE10hipError_tPvRmT1_PNSt15iterator_traitsIS13_E10value_typeET2_T3_PNS14_IS19_E10value_typeET4_jRbjT5_S1F_jjP12ihipStream_tbEUljE_ZNSN_ISO_Lb0ESR_SS_SU_SV_SZ_EES10_S11_S12_S13_S17_S18_S19_S1C_S1D_jS1E_jS1F_S1F_jjS1H_bEUljE0_EEES10_S11_S12_S19_S1D_S1F_T6_T7_T9_mT8_S1H_bDpT10_ENKUlT_T0_E_clISt17integral_constantIbLb1EES1V_EEDaS1Q_S1R_EUlS1Q_E_NS1_11comp_targetILNS1_3genE8ELNS1_11target_archE1030ELNS1_3gpuE2ELNS1_3repE0EEENS1_30default_config_static_selectorELNS0_4arch9wavefront6targetE1EEEvS13_,comdat
.Lfunc_end1791:
	.size	_ZN7rocprim17ROCPRIM_400000_NS6detail17trampoline_kernelINS0_13select_configILj256ELj13ELNS0_17block_load_methodE3ELS4_3ELS4_3ELNS0_20block_scan_algorithmE0ELj4294967295EEENS1_25partition_config_selectorILNS1_17partition_subalgoE4EjNS0_10empty_typeEbEEZZNS1_14partition_implILS8_4ELb0ES6_15HIP_vector_typeIjLj2EENS0_17counting_iteratorIjlEEPS9_SG_NS0_5tupleIJPjSI_NS0_16reverse_iteratorISI_EEEEENSH_IJSG_SG_SG_EEES9_SI_JZNS1_25segmented_radix_sort_implINS0_14default_configELb0EPK6__halfPSP_PKlPlN2at6native12_GLOBAL__N_18offset_tEEE10hipError_tPvRmT1_PNSt15iterator_traitsIS13_E10value_typeET2_T3_PNS14_IS19_E10value_typeET4_jRbjT5_S1F_jjP12ihipStream_tbEUljE_ZNSN_ISO_Lb0ESR_SS_SU_SV_SZ_EES10_S11_S12_S13_S17_S18_S19_S1C_S1D_jS1E_jS1F_S1F_jjS1H_bEUljE0_EEES10_S11_S12_S19_S1D_S1F_T6_T7_T9_mT8_S1H_bDpT10_ENKUlT_T0_E_clISt17integral_constantIbLb1EES1V_EEDaS1Q_S1R_EUlS1Q_E_NS1_11comp_targetILNS1_3genE8ELNS1_11target_archE1030ELNS1_3gpuE2ELNS1_3repE0EEENS1_30default_config_static_selectorELNS0_4arch9wavefront6targetE1EEEvS13_, .Lfunc_end1791-_ZN7rocprim17ROCPRIM_400000_NS6detail17trampoline_kernelINS0_13select_configILj256ELj13ELNS0_17block_load_methodE3ELS4_3ELS4_3ELNS0_20block_scan_algorithmE0ELj4294967295EEENS1_25partition_config_selectorILNS1_17partition_subalgoE4EjNS0_10empty_typeEbEEZZNS1_14partition_implILS8_4ELb0ES6_15HIP_vector_typeIjLj2EENS0_17counting_iteratorIjlEEPS9_SG_NS0_5tupleIJPjSI_NS0_16reverse_iteratorISI_EEEEENSH_IJSG_SG_SG_EEES9_SI_JZNS1_25segmented_radix_sort_implINS0_14default_configELb0EPK6__halfPSP_PKlPlN2at6native12_GLOBAL__N_18offset_tEEE10hipError_tPvRmT1_PNSt15iterator_traitsIS13_E10value_typeET2_T3_PNS14_IS19_E10value_typeET4_jRbjT5_S1F_jjP12ihipStream_tbEUljE_ZNSN_ISO_Lb0ESR_SS_SU_SV_SZ_EES10_S11_S12_S13_S17_S18_S19_S1C_S1D_jS1E_jS1F_S1F_jjS1H_bEUljE0_EEES10_S11_S12_S19_S1D_S1F_T6_T7_T9_mT8_S1H_bDpT10_ENKUlT_T0_E_clISt17integral_constantIbLb1EES1V_EEDaS1Q_S1R_EUlS1Q_E_NS1_11comp_targetILNS1_3genE8ELNS1_11target_archE1030ELNS1_3gpuE2ELNS1_3repE0EEENS1_30default_config_static_selectorELNS0_4arch9wavefront6targetE1EEEvS13_
                                        ; -- End function
	.section	.AMDGPU.csdata,"",@progbits
; Kernel info:
; codeLenInByte = 0
; NumSgprs: 4
; NumVgprs: 0
; NumAgprs: 0
; TotalNumVgprs: 0
; ScratchSize: 0
; MemoryBound: 0
; FloatMode: 240
; IeeeMode: 1
; LDSByteSize: 0 bytes/workgroup (compile time only)
; SGPRBlocks: 0
; VGPRBlocks: 0
; NumSGPRsForWavesPerEU: 4
; NumVGPRsForWavesPerEU: 1
; AccumOffset: 4
; Occupancy: 8
; WaveLimiterHint : 0
; COMPUTE_PGM_RSRC2:SCRATCH_EN: 0
; COMPUTE_PGM_RSRC2:USER_SGPR: 6
; COMPUTE_PGM_RSRC2:TRAP_HANDLER: 0
; COMPUTE_PGM_RSRC2:TGID_X_EN: 1
; COMPUTE_PGM_RSRC2:TGID_Y_EN: 0
; COMPUTE_PGM_RSRC2:TGID_Z_EN: 0
; COMPUTE_PGM_RSRC2:TIDIG_COMP_CNT: 0
; COMPUTE_PGM_RSRC3_GFX90A:ACCUM_OFFSET: 0
; COMPUTE_PGM_RSRC3_GFX90A:TG_SPLIT: 0
	.section	.text._ZN7rocprim17ROCPRIM_400000_NS6detail17trampoline_kernelINS0_13select_configILj256ELj13ELNS0_17block_load_methodE3ELS4_3ELS4_3ELNS0_20block_scan_algorithmE0ELj4294967295EEENS1_25partition_config_selectorILNS1_17partition_subalgoE4EjNS0_10empty_typeEbEEZZNS1_14partition_implILS8_4ELb0ES6_15HIP_vector_typeIjLj2EENS0_17counting_iteratorIjlEEPS9_SG_NS0_5tupleIJPjSI_NS0_16reverse_iteratorISI_EEEEENSH_IJSG_SG_SG_EEES9_SI_JZNS1_25segmented_radix_sort_implINS0_14default_configELb0EPK6__halfPSP_PKlPlN2at6native12_GLOBAL__N_18offset_tEEE10hipError_tPvRmT1_PNSt15iterator_traitsIS13_E10value_typeET2_T3_PNS14_IS19_E10value_typeET4_jRbjT5_S1F_jjP12ihipStream_tbEUljE_ZNSN_ISO_Lb0ESR_SS_SU_SV_SZ_EES10_S11_S12_S13_S17_S18_S19_S1C_S1D_jS1E_jS1F_S1F_jjS1H_bEUljE0_EEES10_S11_S12_S19_S1D_S1F_T6_T7_T9_mT8_S1H_bDpT10_ENKUlT_T0_E_clISt17integral_constantIbLb1EES1U_IbLb0EEEEDaS1Q_S1R_EUlS1Q_E_NS1_11comp_targetILNS1_3genE0ELNS1_11target_archE4294967295ELNS1_3gpuE0ELNS1_3repE0EEENS1_30default_config_static_selectorELNS0_4arch9wavefront6targetE1EEEvS13_,"axG",@progbits,_ZN7rocprim17ROCPRIM_400000_NS6detail17trampoline_kernelINS0_13select_configILj256ELj13ELNS0_17block_load_methodE3ELS4_3ELS4_3ELNS0_20block_scan_algorithmE0ELj4294967295EEENS1_25partition_config_selectorILNS1_17partition_subalgoE4EjNS0_10empty_typeEbEEZZNS1_14partition_implILS8_4ELb0ES6_15HIP_vector_typeIjLj2EENS0_17counting_iteratorIjlEEPS9_SG_NS0_5tupleIJPjSI_NS0_16reverse_iteratorISI_EEEEENSH_IJSG_SG_SG_EEES9_SI_JZNS1_25segmented_radix_sort_implINS0_14default_configELb0EPK6__halfPSP_PKlPlN2at6native12_GLOBAL__N_18offset_tEEE10hipError_tPvRmT1_PNSt15iterator_traitsIS13_E10value_typeET2_T3_PNS14_IS19_E10value_typeET4_jRbjT5_S1F_jjP12ihipStream_tbEUljE_ZNSN_ISO_Lb0ESR_SS_SU_SV_SZ_EES10_S11_S12_S13_S17_S18_S19_S1C_S1D_jS1E_jS1F_S1F_jjS1H_bEUljE0_EEES10_S11_S12_S19_S1D_S1F_T6_T7_T9_mT8_S1H_bDpT10_ENKUlT_T0_E_clISt17integral_constantIbLb1EES1U_IbLb0EEEEDaS1Q_S1R_EUlS1Q_E_NS1_11comp_targetILNS1_3genE0ELNS1_11target_archE4294967295ELNS1_3gpuE0ELNS1_3repE0EEENS1_30default_config_static_selectorELNS0_4arch9wavefront6targetE1EEEvS13_,comdat
	.globl	_ZN7rocprim17ROCPRIM_400000_NS6detail17trampoline_kernelINS0_13select_configILj256ELj13ELNS0_17block_load_methodE3ELS4_3ELS4_3ELNS0_20block_scan_algorithmE0ELj4294967295EEENS1_25partition_config_selectorILNS1_17partition_subalgoE4EjNS0_10empty_typeEbEEZZNS1_14partition_implILS8_4ELb0ES6_15HIP_vector_typeIjLj2EENS0_17counting_iteratorIjlEEPS9_SG_NS0_5tupleIJPjSI_NS0_16reverse_iteratorISI_EEEEENSH_IJSG_SG_SG_EEES9_SI_JZNS1_25segmented_radix_sort_implINS0_14default_configELb0EPK6__halfPSP_PKlPlN2at6native12_GLOBAL__N_18offset_tEEE10hipError_tPvRmT1_PNSt15iterator_traitsIS13_E10value_typeET2_T3_PNS14_IS19_E10value_typeET4_jRbjT5_S1F_jjP12ihipStream_tbEUljE_ZNSN_ISO_Lb0ESR_SS_SU_SV_SZ_EES10_S11_S12_S13_S17_S18_S19_S1C_S1D_jS1E_jS1F_S1F_jjS1H_bEUljE0_EEES10_S11_S12_S19_S1D_S1F_T6_T7_T9_mT8_S1H_bDpT10_ENKUlT_T0_E_clISt17integral_constantIbLb1EES1U_IbLb0EEEEDaS1Q_S1R_EUlS1Q_E_NS1_11comp_targetILNS1_3genE0ELNS1_11target_archE4294967295ELNS1_3gpuE0ELNS1_3repE0EEENS1_30default_config_static_selectorELNS0_4arch9wavefront6targetE1EEEvS13_ ; -- Begin function _ZN7rocprim17ROCPRIM_400000_NS6detail17trampoline_kernelINS0_13select_configILj256ELj13ELNS0_17block_load_methodE3ELS4_3ELS4_3ELNS0_20block_scan_algorithmE0ELj4294967295EEENS1_25partition_config_selectorILNS1_17partition_subalgoE4EjNS0_10empty_typeEbEEZZNS1_14partition_implILS8_4ELb0ES6_15HIP_vector_typeIjLj2EENS0_17counting_iteratorIjlEEPS9_SG_NS0_5tupleIJPjSI_NS0_16reverse_iteratorISI_EEEEENSH_IJSG_SG_SG_EEES9_SI_JZNS1_25segmented_radix_sort_implINS0_14default_configELb0EPK6__halfPSP_PKlPlN2at6native12_GLOBAL__N_18offset_tEEE10hipError_tPvRmT1_PNSt15iterator_traitsIS13_E10value_typeET2_T3_PNS14_IS19_E10value_typeET4_jRbjT5_S1F_jjP12ihipStream_tbEUljE_ZNSN_ISO_Lb0ESR_SS_SU_SV_SZ_EES10_S11_S12_S13_S17_S18_S19_S1C_S1D_jS1E_jS1F_S1F_jjS1H_bEUljE0_EEES10_S11_S12_S19_S1D_S1F_T6_T7_T9_mT8_S1H_bDpT10_ENKUlT_T0_E_clISt17integral_constantIbLb1EES1U_IbLb0EEEEDaS1Q_S1R_EUlS1Q_E_NS1_11comp_targetILNS1_3genE0ELNS1_11target_archE4294967295ELNS1_3gpuE0ELNS1_3repE0EEENS1_30default_config_static_selectorELNS0_4arch9wavefront6targetE1EEEvS13_
	.p2align	8
	.type	_ZN7rocprim17ROCPRIM_400000_NS6detail17trampoline_kernelINS0_13select_configILj256ELj13ELNS0_17block_load_methodE3ELS4_3ELS4_3ELNS0_20block_scan_algorithmE0ELj4294967295EEENS1_25partition_config_selectorILNS1_17partition_subalgoE4EjNS0_10empty_typeEbEEZZNS1_14partition_implILS8_4ELb0ES6_15HIP_vector_typeIjLj2EENS0_17counting_iteratorIjlEEPS9_SG_NS0_5tupleIJPjSI_NS0_16reverse_iteratorISI_EEEEENSH_IJSG_SG_SG_EEES9_SI_JZNS1_25segmented_radix_sort_implINS0_14default_configELb0EPK6__halfPSP_PKlPlN2at6native12_GLOBAL__N_18offset_tEEE10hipError_tPvRmT1_PNSt15iterator_traitsIS13_E10value_typeET2_T3_PNS14_IS19_E10value_typeET4_jRbjT5_S1F_jjP12ihipStream_tbEUljE_ZNSN_ISO_Lb0ESR_SS_SU_SV_SZ_EES10_S11_S12_S13_S17_S18_S19_S1C_S1D_jS1E_jS1F_S1F_jjS1H_bEUljE0_EEES10_S11_S12_S19_S1D_S1F_T6_T7_T9_mT8_S1H_bDpT10_ENKUlT_T0_E_clISt17integral_constantIbLb1EES1U_IbLb0EEEEDaS1Q_S1R_EUlS1Q_E_NS1_11comp_targetILNS1_3genE0ELNS1_11target_archE4294967295ELNS1_3gpuE0ELNS1_3repE0EEENS1_30default_config_static_selectorELNS0_4arch9wavefront6targetE1EEEvS13_,@function
_ZN7rocprim17ROCPRIM_400000_NS6detail17trampoline_kernelINS0_13select_configILj256ELj13ELNS0_17block_load_methodE3ELS4_3ELS4_3ELNS0_20block_scan_algorithmE0ELj4294967295EEENS1_25partition_config_selectorILNS1_17partition_subalgoE4EjNS0_10empty_typeEbEEZZNS1_14partition_implILS8_4ELb0ES6_15HIP_vector_typeIjLj2EENS0_17counting_iteratorIjlEEPS9_SG_NS0_5tupleIJPjSI_NS0_16reverse_iteratorISI_EEEEENSH_IJSG_SG_SG_EEES9_SI_JZNS1_25segmented_radix_sort_implINS0_14default_configELb0EPK6__halfPSP_PKlPlN2at6native12_GLOBAL__N_18offset_tEEE10hipError_tPvRmT1_PNSt15iterator_traitsIS13_E10value_typeET2_T3_PNS14_IS19_E10value_typeET4_jRbjT5_S1F_jjP12ihipStream_tbEUljE_ZNSN_ISO_Lb0ESR_SS_SU_SV_SZ_EES10_S11_S12_S13_S17_S18_S19_S1C_S1D_jS1E_jS1F_S1F_jjS1H_bEUljE0_EEES10_S11_S12_S19_S1D_S1F_T6_T7_T9_mT8_S1H_bDpT10_ENKUlT_T0_E_clISt17integral_constantIbLb1EES1U_IbLb0EEEEDaS1Q_S1R_EUlS1Q_E_NS1_11comp_targetILNS1_3genE0ELNS1_11target_archE4294967295ELNS1_3gpuE0ELNS1_3repE0EEENS1_30default_config_static_selectorELNS0_4arch9wavefront6targetE1EEEvS13_: ; @_ZN7rocprim17ROCPRIM_400000_NS6detail17trampoline_kernelINS0_13select_configILj256ELj13ELNS0_17block_load_methodE3ELS4_3ELS4_3ELNS0_20block_scan_algorithmE0ELj4294967295EEENS1_25partition_config_selectorILNS1_17partition_subalgoE4EjNS0_10empty_typeEbEEZZNS1_14partition_implILS8_4ELb0ES6_15HIP_vector_typeIjLj2EENS0_17counting_iteratorIjlEEPS9_SG_NS0_5tupleIJPjSI_NS0_16reverse_iteratorISI_EEEEENSH_IJSG_SG_SG_EEES9_SI_JZNS1_25segmented_radix_sort_implINS0_14default_configELb0EPK6__halfPSP_PKlPlN2at6native12_GLOBAL__N_18offset_tEEE10hipError_tPvRmT1_PNSt15iterator_traitsIS13_E10value_typeET2_T3_PNS14_IS19_E10value_typeET4_jRbjT5_S1F_jjP12ihipStream_tbEUljE_ZNSN_ISO_Lb0ESR_SS_SU_SV_SZ_EES10_S11_S12_S13_S17_S18_S19_S1C_S1D_jS1E_jS1F_S1F_jjS1H_bEUljE0_EEES10_S11_S12_S19_S1D_S1F_T6_T7_T9_mT8_S1H_bDpT10_ENKUlT_T0_E_clISt17integral_constantIbLb1EES1U_IbLb0EEEEDaS1Q_S1R_EUlS1Q_E_NS1_11comp_targetILNS1_3genE0ELNS1_11target_archE4294967295ELNS1_3gpuE0ELNS1_3repE0EEENS1_30default_config_static_selectorELNS0_4arch9wavefront6targetE1EEEvS13_
; %bb.0:
	.section	.rodata,"a",@progbits
	.p2align	6, 0x0
	.amdhsa_kernel _ZN7rocprim17ROCPRIM_400000_NS6detail17trampoline_kernelINS0_13select_configILj256ELj13ELNS0_17block_load_methodE3ELS4_3ELS4_3ELNS0_20block_scan_algorithmE0ELj4294967295EEENS1_25partition_config_selectorILNS1_17partition_subalgoE4EjNS0_10empty_typeEbEEZZNS1_14partition_implILS8_4ELb0ES6_15HIP_vector_typeIjLj2EENS0_17counting_iteratorIjlEEPS9_SG_NS0_5tupleIJPjSI_NS0_16reverse_iteratorISI_EEEEENSH_IJSG_SG_SG_EEES9_SI_JZNS1_25segmented_radix_sort_implINS0_14default_configELb0EPK6__halfPSP_PKlPlN2at6native12_GLOBAL__N_18offset_tEEE10hipError_tPvRmT1_PNSt15iterator_traitsIS13_E10value_typeET2_T3_PNS14_IS19_E10value_typeET4_jRbjT5_S1F_jjP12ihipStream_tbEUljE_ZNSN_ISO_Lb0ESR_SS_SU_SV_SZ_EES10_S11_S12_S13_S17_S18_S19_S1C_S1D_jS1E_jS1F_S1F_jjS1H_bEUljE0_EEES10_S11_S12_S19_S1D_S1F_T6_T7_T9_mT8_S1H_bDpT10_ENKUlT_T0_E_clISt17integral_constantIbLb1EES1U_IbLb0EEEEDaS1Q_S1R_EUlS1Q_E_NS1_11comp_targetILNS1_3genE0ELNS1_11target_archE4294967295ELNS1_3gpuE0ELNS1_3repE0EEENS1_30default_config_static_selectorELNS0_4arch9wavefront6targetE1EEEvS13_
		.amdhsa_group_segment_fixed_size 0
		.amdhsa_private_segment_fixed_size 0
		.amdhsa_kernarg_size 176
		.amdhsa_user_sgpr_count 6
		.amdhsa_user_sgpr_private_segment_buffer 1
		.amdhsa_user_sgpr_dispatch_ptr 0
		.amdhsa_user_sgpr_queue_ptr 0
		.amdhsa_user_sgpr_kernarg_segment_ptr 1
		.amdhsa_user_sgpr_dispatch_id 0
		.amdhsa_user_sgpr_flat_scratch_init 0
		.amdhsa_user_sgpr_kernarg_preload_length 0
		.amdhsa_user_sgpr_kernarg_preload_offset 0
		.amdhsa_user_sgpr_private_segment_size 0
		.amdhsa_uses_dynamic_stack 0
		.amdhsa_system_sgpr_private_segment_wavefront_offset 0
		.amdhsa_system_sgpr_workgroup_id_x 1
		.amdhsa_system_sgpr_workgroup_id_y 0
		.amdhsa_system_sgpr_workgroup_id_z 0
		.amdhsa_system_sgpr_workgroup_info 0
		.amdhsa_system_vgpr_workitem_id 0
		.amdhsa_next_free_vgpr 1
		.amdhsa_next_free_sgpr 0
		.amdhsa_accum_offset 4
		.amdhsa_reserve_vcc 0
		.amdhsa_reserve_flat_scratch 0
		.amdhsa_float_round_mode_32 0
		.amdhsa_float_round_mode_16_64 0
		.amdhsa_float_denorm_mode_32 3
		.amdhsa_float_denorm_mode_16_64 3
		.amdhsa_dx10_clamp 1
		.amdhsa_ieee_mode 1
		.amdhsa_fp16_overflow 0
		.amdhsa_tg_split 0
		.amdhsa_exception_fp_ieee_invalid_op 0
		.amdhsa_exception_fp_denorm_src 0
		.amdhsa_exception_fp_ieee_div_zero 0
		.amdhsa_exception_fp_ieee_overflow 0
		.amdhsa_exception_fp_ieee_underflow 0
		.amdhsa_exception_fp_ieee_inexact 0
		.amdhsa_exception_int_div_zero 0
	.end_amdhsa_kernel
	.section	.text._ZN7rocprim17ROCPRIM_400000_NS6detail17trampoline_kernelINS0_13select_configILj256ELj13ELNS0_17block_load_methodE3ELS4_3ELS4_3ELNS0_20block_scan_algorithmE0ELj4294967295EEENS1_25partition_config_selectorILNS1_17partition_subalgoE4EjNS0_10empty_typeEbEEZZNS1_14partition_implILS8_4ELb0ES6_15HIP_vector_typeIjLj2EENS0_17counting_iteratorIjlEEPS9_SG_NS0_5tupleIJPjSI_NS0_16reverse_iteratorISI_EEEEENSH_IJSG_SG_SG_EEES9_SI_JZNS1_25segmented_radix_sort_implINS0_14default_configELb0EPK6__halfPSP_PKlPlN2at6native12_GLOBAL__N_18offset_tEEE10hipError_tPvRmT1_PNSt15iterator_traitsIS13_E10value_typeET2_T3_PNS14_IS19_E10value_typeET4_jRbjT5_S1F_jjP12ihipStream_tbEUljE_ZNSN_ISO_Lb0ESR_SS_SU_SV_SZ_EES10_S11_S12_S13_S17_S18_S19_S1C_S1D_jS1E_jS1F_S1F_jjS1H_bEUljE0_EEES10_S11_S12_S19_S1D_S1F_T6_T7_T9_mT8_S1H_bDpT10_ENKUlT_T0_E_clISt17integral_constantIbLb1EES1U_IbLb0EEEEDaS1Q_S1R_EUlS1Q_E_NS1_11comp_targetILNS1_3genE0ELNS1_11target_archE4294967295ELNS1_3gpuE0ELNS1_3repE0EEENS1_30default_config_static_selectorELNS0_4arch9wavefront6targetE1EEEvS13_,"axG",@progbits,_ZN7rocprim17ROCPRIM_400000_NS6detail17trampoline_kernelINS0_13select_configILj256ELj13ELNS0_17block_load_methodE3ELS4_3ELS4_3ELNS0_20block_scan_algorithmE0ELj4294967295EEENS1_25partition_config_selectorILNS1_17partition_subalgoE4EjNS0_10empty_typeEbEEZZNS1_14partition_implILS8_4ELb0ES6_15HIP_vector_typeIjLj2EENS0_17counting_iteratorIjlEEPS9_SG_NS0_5tupleIJPjSI_NS0_16reverse_iteratorISI_EEEEENSH_IJSG_SG_SG_EEES9_SI_JZNS1_25segmented_radix_sort_implINS0_14default_configELb0EPK6__halfPSP_PKlPlN2at6native12_GLOBAL__N_18offset_tEEE10hipError_tPvRmT1_PNSt15iterator_traitsIS13_E10value_typeET2_T3_PNS14_IS19_E10value_typeET4_jRbjT5_S1F_jjP12ihipStream_tbEUljE_ZNSN_ISO_Lb0ESR_SS_SU_SV_SZ_EES10_S11_S12_S13_S17_S18_S19_S1C_S1D_jS1E_jS1F_S1F_jjS1H_bEUljE0_EEES10_S11_S12_S19_S1D_S1F_T6_T7_T9_mT8_S1H_bDpT10_ENKUlT_T0_E_clISt17integral_constantIbLb1EES1U_IbLb0EEEEDaS1Q_S1R_EUlS1Q_E_NS1_11comp_targetILNS1_3genE0ELNS1_11target_archE4294967295ELNS1_3gpuE0ELNS1_3repE0EEENS1_30default_config_static_selectorELNS0_4arch9wavefront6targetE1EEEvS13_,comdat
.Lfunc_end1792:
	.size	_ZN7rocprim17ROCPRIM_400000_NS6detail17trampoline_kernelINS0_13select_configILj256ELj13ELNS0_17block_load_methodE3ELS4_3ELS4_3ELNS0_20block_scan_algorithmE0ELj4294967295EEENS1_25partition_config_selectorILNS1_17partition_subalgoE4EjNS0_10empty_typeEbEEZZNS1_14partition_implILS8_4ELb0ES6_15HIP_vector_typeIjLj2EENS0_17counting_iteratorIjlEEPS9_SG_NS0_5tupleIJPjSI_NS0_16reverse_iteratorISI_EEEEENSH_IJSG_SG_SG_EEES9_SI_JZNS1_25segmented_radix_sort_implINS0_14default_configELb0EPK6__halfPSP_PKlPlN2at6native12_GLOBAL__N_18offset_tEEE10hipError_tPvRmT1_PNSt15iterator_traitsIS13_E10value_typeET2_T3_PNS14_IS19_E10value_typeET4_jRbjT5_S1F_jjP12ihipStream_tbEUljE_ZNSN_ISO_Lb0ESR_SS_SU_SV_SZ_EES10_S11_S12_S13_S17_S18_S19_S1C_S1D_jS1E_jS1F_S1F_jjS1H_bEUljE0_EEES10_S11_S12_S19_S1D_S1F_T6_T7_T9_mT8_S1H_bDpT10_ENKUlT_T0_E_clISt17integral_constantIbLb1EES1U_IbLb0EEEEDaS1Q_S1R_EUlS1Q_E_NS1_11comp_targetILNS1_3genE0ELNS1_11target_archE4294967295ELNS1_3gpuE0ELNS1_3repE0EEENS1_30default_config_static_selectorELNS0_4arch9wavefront6targetE1EEEvS13_, .Lfunc_end1792-_ZN7rocprim17ROCPRIM_400000_NS6detail17trampoline_kernelINS0_13select_configILj256ELj13ELNS0_17block_load_methodE3ELS4_3ELS4_3ELNS0_20block_scan_algorithmE0ELj4294967295EEENS1_25partition_config_selectorILNS1_17partition_subalgoE4EjNS0_10empty_typeEbEEZZNS1_14partition_implILS8_4ELb0ES6_15HIP_vector_typeIjLj2EENS0_17counting_iteratorIjlEEPS9_SG_NS0_5tupleIJPjSI_NS0_16reverse_iteratorISI_EEEEENSH_IJSG_SG_SG_EEES9_SI_JZNS1_25segmented_radix_sort_implINS0_14default_configELb0EPK6__halfPSP_PKlPlN2at6native12_GLOBAL__N_18offset_tEEE10hipError_tPvRmT1_PNSt15iterator_traitsIS13_E10value_typeET2_T3_PNS14_IS19_E10value_typeET4_jRbjT5_S1F_jjP12ihipStream_tbEUljE_ZNSN_ISO_Lb0ESR_SS_SU_SV_SZ_EES10_S11_S12_S13_S17_S18_S19_S1C_S1D_jS1E_jS1F_S1F_jjS1H_bEUljE0_EEES10_S11_S12_S19_S1D_S1F_T6_T7_T9_mT8_S1H_bDpT10_ENKUlT_T0_E_clISt17integral_constantIbLb1EES1U_IbLb0EEEEDaS1Q_S1R_EUlS1Q_E_NS1_11comp_targetILNS1_3genE0ELNS1_11target_archE4294967295ELNS1_3gpuE0ELNS1_3repE0EEENS1_30default_config_static_selectorELNS0_4arch9wavefront6targetE1EEEvS13_
                                        ; -- End function
	.section	.AMDGPU.csdata,"",@progbits
; Kernel info:
; codeLenInByte = 0
; NumSgprs: 4
; NumVgprs: 0
; NumAgprs: 0
; TotalNumVgprs: 0
; ScratchSize: 0
; MemoryBound: 0
; FloatMode: 240
; IeeeMode: 1
; LDSByteSize: 0 bytes/workgroup (compile time only)
; SGPRBlocks: 0
; VGPRBlocks: 0
; NumSGPRsForWavesPerEU: 4
; NumVGPRsForWavesPerEU: 1
; AccumOffset: 4
; Occupancy: 8
; WaveLimiterHint : 0
; COMPUTE_PGM_RSRC2:SCRATCH_EN: 0
; COMPUTE_PGM_RSRC2:USER_SGPR: 6
; COMPUTE_PGM_RSRC2:TRAP_HANDLER: 0
; COMPUTE_PGM_RSRC2:TGID_X_EN: 1
; COMPUTE_PGM_RSRC2:TGID_Y_EN: 0
; COMPUTE_PGM_RSRC2:TGID_Z_EN: 0
; COMPUTE_PGM_RSRC2:TIDIG_COMP_CNT: 0
; COMPUTE_PGM_RSRC3_GFX90A:ACCUM_OFFSET: 0
; COMPUTE_PGM_RSRC3_GFX90A:TG_SPLIT: 0
	.section	.text._ZN7rocprim17ROCPRIM_400000_NS6detail17trampoline_kernelINS0_13select_configILj256ELj13ELNS0_17block_load_methodE3ELS4_3ELS4_3ELNS0_20block_scan_algorithmE0ELj4294967295EEENS1_25partition_config_selectorILNS1_17partition_subalgoE4EjNS0_10empty_typeEbEEZZNS1_14partition_implILS8_4ELb0ES6_15HIP_vector_typeIjLj2EENS0_17counting_iteratorIjlEEPS9_SG_NS0_5tupleIJPjSI_NS0_16reverse_iteratorISI_EEEEENSH_IJSG_SG_SG_EEES9_SI_JZNS1_25segmented_radix_sort_implINS0_14default_configELb0EPK6__halfPSP_PKlPlN2at6native12_GLOBAL__N_18offset_tEEE10hipError_tPvRmT1_PNSt15iterator_traitsIS13_E10value_typeET2_T3_PNS14_IS19_E10value_typeET4_jRbjT5_S1F_jjP12ihipStream_tbEUljE_ZNSN_ISO_Lb0ESR_SS_SU_SV_SZ_EES10_S11_S12_S13_S17_S18_S19_S1C_S1D_jS1E_jS1F_S1F_jjS1H_bEUljE0_EEES10_S11_S12_S19_S1D_S1F_T6_T7_T9_mT8_S1H_bDpT10_ENKUlT_T0_E_clISt17integral_constantIbLb1EES1U_IbLb0EEEEDaS1Q_S1R_EUlS1Q_E_NS1_11comp_targetILNS1_3genE5ELNS1_11target_archE942ELNS1_3gpuE9ELNS1_3repE0EEENS1_30default_config_static_selectorELNS0_4arch9wavefront6targetE1EEEvS13_,"axG",@progbits,_ZN7rocprim17ROCPRIM_400000_NS6detail17trampoline_kernelINS0_13select_configILj256ELj13ELNS0_17block_load_methodE3ELS4_3ELS4_3ELNS0_20block_scan_algorithmE0ELj4294967295EEENS1_25partition_config_selectorILNS1_17partition_subalgoE4EjNS0_10empty_typeEbEEZZNS1_14partition_implILS8_4ELb0ES6_15HIP_vector_typeIjLj2EENS0_17counting_iteratorIjlEEPS9_SG_NS0_5tupleIJPjSI_NS0_16reverse_iteratorISI_EEEEENSH_IJSG_SG_SG_EEES9_SI_JZNS1_25segmented_radix_sort_implINS0_14default_configELb0EPK6__halfPSP_PKlPlN2at6native12_GLOBAL__N_18offset_tEEE10hipError_tPvRmT1_PNSt15iterator_traitsIS13_E10value_typeET2_T3_PNS14_IS19_E10value_typeET4_jRbjT5_S1F_jjP12ihipStream_tbEUljE_ZNSN_ISO_Lb0ESR_SS_SU_SV_SZ_EES10_S11_S12_S13_S17_S18_S19_S1C_S1D_jS1E_jS1F_S1F_jjS1H_bEUljE0_EEES10_S11_S12_S19_S1D_S1F_T6_T7_T9_mT8_S1H_bDpT10_ENKUlT_T0_E_clISt17integral_constantIbLb1EES1U_IbLb0EEEEDaS1Q_S1R_EUlS1Q_E_NS1_11comp_targetILNS1_3genE5ELNS1_11target_archE942ELNS1_3gpuE9ELNS1_3repE0EEENS1_30default_config_static_selectorELNS0_4arch9wavefront6targetE1EEEvS13_,comdat
	.globl	_ZN7rocprim17ROCPRIM_400000_NS6detail17trampoline_kernelINS0_13select_configILj256ELj13ELNS0_17block_load_methodE3ELS4_3ELS4_3ELNS0_20block_scan_algorithmE0ELj4294967295EEENS1_25partition_config_selectorILNS1_17partition_subalgoE4EjNS0_10empty_typeEbEEZZNS1_14partition_implILS8_4ELb0ES6_15HIP_vector_typeIjLj2EENS0_17counting_iteratorIjlEEPS9_SG_NS0_5tupleIJPjSI_NS0_16reverse_iteratorISI_EEEEENSH_IJSG_SG_SG_EEES9_SI_JZNS1_25segmented_radix_sort_implINS0_14default_configELb0EPK6__halfPSP_PKlPlN2at6native12_GLOBAL__N_18offset_tEEE10hipError_tPvRmT1_PNSt15iterator_traitsIS13_E10value_typeET2_T3_PNS14_IS19_E10value_typeET4_jRbjT5_S1F_jjP12ihipStream_tbEUljE_ZNSN_ISO_Lb0ESR_SS_SU_SV_SZ_EES10_S11_S12_S13_S17_S18_S19_S1C_S1D_jS1E_jS1F_S1F_jjS1H_bEUljE0_EEES10_S11_S12_S19_S1D_S1F_T6_T7_T9_mT8_S1H_bDpT10_ENKUlT_T0_E_clISt17integral_constantIbLb1EES1U_IbLb0EEEEDaS1Q_S1R_EUlS1Q_E_NS1_11comp_targetILNS1_3genE5ELNS1_11target_archE942ELNS1_3gpuE9ELNS1_3repE0EEENS1_30default_config_static_selectorELNS0_4arch9wavefront6targetE1EEEvS13_ ; -- Begin function _ZN7rocprim17ROCPRIM_400000_NS6detail17trampoline_kernelINS0_13select_configILj256ELj13ELNS0_17block_load_methodE3ELS4_3ELS4_3ELNS0_20block_scan_algorithmE0ELj4294967295EEENS1_25partition_config_selectorILNS1_17partition_subalgoE4EjNS0_10empty_typeEbEEZZNS1_14partition_implILS8_4ELb0ES6_15HIP_vector_typeIjLj2EENS0_17counting_iteratorIjlEEPS9_SG_NS0_5tupleIJPjSI_NS0_16reverse_iteratorISI_EEEEENSH_IJSG_SG_SG_EEES9_SI_JZNS1_25segmented_radix_sort_implINS0_14default_configELb0EPK6__halfPSP_PKlPlN2at6native12_GLOBAL__N_18offset_tEEE10hipError_tPvRmT1_PNSt15iterator_traitsIS13_E10value_typeET2_T3_PNS14_IS19_E10value_typeET4_jRbjT5_S1F_jjP12ihipStream_tbEUljE_ZNSN_ISO_Lb0ESR_SS_SU_SV_SZ_EES10_S11_S12_S13_S17_S18_S19_S1C_S1D_jS1E_jS1F_S1F_jjS1H_bEUljE0_EEES10_S11_S12_S19_S1D_S1F_T6_T7_T9_mT8_S1H_bDpT10_ENKUlT_T0_E_clISt17integral_constantIbLb1EES1U_IbLb0EEEEDaS1Q_S1R_EUlS1Q_E_NS1_11comp_targetILNS1_3genE5ELNS1_11target_archE942ELNS1_3gpuE9ELNS1_3repE0EEENS1_30default_config_static_selectorELNS0_4arch9wavefront6targetE1EEEvS13_
	.p2align	8
	.type	_ZN7rocprim17ROCPRIM_400000_NS6detail17trampoline_kernelINS0_13select_configILj256ELj13ELNS0_17block_load_methodE3ELS4_3ELS4_3ELNS0_20block_scan_algorithmE0ELj4294967295EEENS1_25partition_config_selectorILNS1_17partition_subalgoE4EjNS0_10empty_typeEbEEZZNS1_14partition_implILS8_4ELb0ES6_15HIP_vector_typeIjLj2EENS0_17counting_iteratorIjlEEPS9_SG_NS0_5tupleIJPjSI_NS0_16reverse_iteratorISI_EEEEENSH_IJSG_SG_SG_EEES9_SI_JZNS1_25segmented_radix_sort_implINS0_14default_configELb0EPK6__halfPSP_PKlPlN2at6native12_GLOBAL__N_18offset_tEEE10hipError_tPvRmT1_PNSt15iterator_traitsIS13_E10value_typeET2_T3_PNS14_IS19_E10value_typeET4_jRbjT5_S1F_jjP12ihipStream_tbEUljE_ZNSN_ISO_Lb0ESR_SS_SU_SV_SZ_EES10_S11_S12_S13_S17_S18_S19_S1C_S1D_jS1E_jS1F_S1F_jjS1H_bEUljE0_EEES10_S11_S12_S19_S1D_S1F_T6_T7_T9_mT8_S1H_bDpT10_ENKUlT_T0_E_clISt17integral_constantIbLb1EES1U_IbLb0EEEEDaS1Q_S1R_EUlS1Q_E_NS1_11comp_targetILNS1_3genE5ELNS1_11target_archE942ELNS1_3gpuE9ELNS1_3repE0EEENS1_30default_config_static_selectorELNS0_4arch9wavefront6targetE1EEEvS13_,@function
_ZN7rocprim17ROCPRIM_400000_NS6detail17trampoline_kernelINS0_13select_configILj256ELj13ELNS0_17block_load_methodE3ELS4_3ELS4_3ELNS0_20block_scan_algorithmE0ELj4294967295EEENS1_25partition_config_selectorILNS1_17partition_subalgoE4EjNS0_10empty_typeEbEEZZNS1_14partition_implILS8_4ELb0ES6_15HIP_vector_typeIjLj2EENS0_17counting_iteratorIjlEEPS9_SG_NS0_5tupleIJPjSI_NS0_16reverse_iteratorISI_EEEEENSH_IJSG_SG_SG_EEES9_SI_JZNS1_25segmented_radix_sort_implINS0_14default_configELb0EPK6__halfPSP_PKlPlN2at6native12_GLOBAL__N_18offset_tEEE10hipError_tPvRmT1_PNSt15iterator_traitsIS13_E10value_typeET2_T3_PNS14_IS19_E10value_typeET4_jRbjT5_S1F_jjP12ihipStream_tbEUljE_ZNSN_ISO_Lb0ESR_SS_SU_SV_SZ_EES10_S11_S12_S13_S17_S18_S19_S1C_S1D_jS1E_jS1F_S1F_jjS1H_bEUljE0_EEES10_S11_S12_S19_S1D_S1F_T6_T7_T9_mT8_S1H_bDpT10_ENKUlT_T0_E_clISt17integral_constantIbLb1EES1U_IbLb0EEEEDaS1Q_S1R_EUlS1Q_E_NS1_11comp_targetILNS1_3genE5ELNS1_11target_archE942ELNS1_3gpuE9ELNS1_3repE0EEENS1_30default_config_static_selectorELNS0_4arch9wavefront6targetE1EEEvS13_: ; @_ZN7rocprim17ROCPRIM_400000_NS6detail17trampoline_kernelINS0_13select_configILj256ELj13ELNS0_17block_load_methodE3ELS4_3ELS4_3ELNS0_20block_scan_algorithmE0ELj4294967295EEENS1_25partition_config_selectorILNS1_17partition_subalgoE4EjNS0_10empty_typeEbEEZZNS1_14partition_implILS8_4ELb0ES6_15HIP_vector_typeIjLj2EENS0_17counting_iteratorIjlEEPS9_SG_NS0_5tupleIJPjSI_NS0_16reverse_iteratorISI_EEEEENSH_IJSG_SG_SG_EEES9_SI_JZNS1_25segmented_radix_sort_implINS0_14default_configELb0EPK6__halfPSP_PKlPlN2at6native12_GLOBAL__N_18offset_tEEE10hipError_tPvRmT1_PNSt15iterator_traitsIS13_E10value_typeET2_T3_PNS14_IS19_E10value_typeET4_jRbjT5_S1F_jjP12ihipStream_tbEUljE_ZNSN_ISO_Lb0ESR_SS_SU_SV_SZ_EES10_S11_S12_S13_S17_S18_S19_S1C_S1D_jS1E_jS1F_S1F_jjS1H_bEUljE0_EEES10_S11_S12_S19_S1D_S1F_T6_T7_T9_mT8_S1H_bDpT10_ENKUlT_T0_E_clISt17integral_constantIbLb1EES1U_IbLb0EEEEDaS1Q_S1R_EUlS1Q_E_NS1_11comp_targetILNS1_3genE5ELNS1_11target_archE942ELNS1_3gpuE9ELNS1_3repE0EEENS1_30default_config_static_selectorELNS0_4arch9wavefront6targetE1EEEvS13_
; %bb.0:
	.section	.rodata,"a",@progbits
	.p2align	6, 0x0
	.amdhsa_kernel _ZN7rocprim17ROCPRIM_400000_NS6detail17trampoline_kernelINS0_13select_configILj256ELj13ELNS0_17block_load_methodE3ELS4_3ELS4_3ELNS0_20block_scan_algorithmE0ELj4294967295EEENS1_25partition_config_selectorILNS1_17partition_subalgoE4EjNS0_10empty_typeEbEEZZNS1_14partition_implILS8_4ELb0ES6_15HIP_vector_typeIjLj2EENS0_17counting_iteratorIjlEEPS9_SG_NS0_5tupleIJPjSI_NS0_16reverse_iteratorISI_EEEEENSH_IJSG_SG_SG_EEES9_SI_JZNS1_25segmented_radix_sort_implINS0_14default_configELb0EPK6__halfPSP_PKlPlN2at6native12_GLOBAL__N_18offset_tEEE10hipError_tPvRmT1_PNSt15iterator_traitsIS13_E10value_typeET2_T3_PNS14_IS19_E10value_typeET4_jRbjT5_S1F_jjP12ihipStream_tbEUljE_ZNSN_ISO_Lb0ESR_SS_SU_SV_SZ_EES10_S11_S12_S13_S17_S18_S19_S1C_S1D_jS1E_jS1F_S1F_jjS1H_bEUljE0_EEES10_S11_S12_S19_S1D_S1F_T6_T7_T9_mT8_S1H_bDpT10_ENKUlT_T0_E_clISt17integral_constantIbLb1EES1U_IbLb0EEEEDaS1Q_S1R_EUlS1Q_E_NS1_11comp_targetILNS1_3genE5ELNS1_11target_archE942ELNS1_3gpuE9ELNS1_3repE0EEENS1_30default_config_static_selectorELNS0_4arch9wavefront6targetE1EEEvS13_
		.amdhsa_group_segment_fixed_size 0
		.amdhsa_private_segment_fixed_size 0
		.amdhsa_kernarg_size 176
		.amdhsa_user_sgpr_count 6
		.amdhsa_user_sgpr_private_segment_buffer 1
		.amdhsa_user_sgpr_dispatch_ptr 0
		.amdhsa_user_sgpr_queue_ptr 0
		.amdhsa_user_sgpr_kernarg_segment_ptr 1
		.amdhsa_user_sgpr_dispatch_id 0
		.amdhsa_user_sgpr_flat_scratch_init 0
		.amdhsa_user_sgpr_kernarg_preload_length 0
		.amdhsa_user_sgpr_kernarg_preload_offset 0
		.amdhsa_user_sgpr_private_segment_size 0
		.amdhsa_uses_dynamic_stack 0
		.amdhsa_system_sgpr_private_segment_wavefront_offset 0
		.amdhsa_system_sgpr_workgroup_id_x 1
		.amdhsa_system_sgpr_workgroup_id_y 0
		.amdhsa_system_sgpr_workgroup_id_z 0
		.amdhsa_system_sgpr_workgroup_info 0
		.amdhsa_system_vgpr_workitem_id 0
		.amdhsa_next_free_vgpr 1
		.amdhsa_next_free_sgpr 0
		.amdhsa_accum_offset 4
		.amdhsa_reserve_vcc 0
		.amdhsa_reserve_flat_scratch 0
		.amdhsa_float_round_mode_32 0
		.amdhsa_float_round_mode_16_64 0
		.amdhsa_float_denorm_mode_32 3
		.amdhsa_float_denorm_mode_16_64 3
		.amdhsa_dx10_clamp 1
		.amdhsa_ieee_mode 1
		.amdhsa_fp16_overflow 0
		.amdhsa_tg_split 0
		.amdhsa_exception_fp_ieee_invalid_op 0
		.amdhsa_exception_fp_denorm_src 0
		.amdhsa_exception_fp_ieee_div_zero 0
		.amdhsa_exception_fp_ieee_overflow 0
		.amdhsa_exception_fp_ieee_underflow 0
		.amdhsa_exception_fp_ieee_inexact 0
		.amdhsa_exception_int_div_zero 0
	.end_amdhsa_kernel
	.section	.text._ZN7rocprim17ROCPRIM_400000_NS6detail17trampoline_kernelINS0_13select_configILj256ELj13ELNS0_17block_load_methodE3ELS4_3ELS4_3ELNS0_20block_scan_algorithmE0ELj4294967295EEENS1_25partition_config_selectorILNS1_17partition_subalgoE4EjNS0_10empty_typeEbEEZZNS1_14partition_implILS8_4ELb0ES6_15HIP_vector_typeIjLj2EENS0_17counting_iteratorIjlEEPS9_SG_NS0_5tupleIJPjSI_NS0_16reverse_iteratorISI_EEEEENSH_IJSG_SG_SG_EEES9_SI_JZNS1_25segmented_radix_sort_implINS0_14default_configELb0EPK6__halfPSP_PKlPlN2at6native12_GLOBAL__N_18offset_tEEE10hipError_tPvRmT1_PNSt15iterator_traitsIS13_E10value_typeET2_T3_PNS14_IS19_E10value_typeET4_jRbjT5_S1F_jjP12ihipStream_tbEUljE_ZNSN_ISO_Lb0ESR_SS_SU_SV_SZ_EES10_S11_S12_S13_S17_S18_S19_S1C_S1D_jS1E_jS1F_S1F_jjS1H_bEUljE0_EEES10_S11_S12_S19_S1D_S1F_T6_T7_T9_mT8_S1H_bDpT10_ENKUlT_T0_E_clISt17integral_constantIbLb1EES1U_IbLb0EEEEDaS1Q_S1R_EUlS1Q_E_NS1_11comp_targetILNS1_3genE5ELNS1_11target_archE942ELNS1_3gpuE9ELNS1_3repE0EEENS1_30default_config_static_selectorELNS0_4arch9wavefront6targetE1EEEvS13_,"axG",@progbits,_ZN7rocprim17ROCPRIM_400000_NS6detail17trampoline_kernelINS0_13select_configILj256ELj13ELNS0_17block_load_methodE3ELS4_3ELS4_3ELNS0_20block_scan_algorithmE0ELj4294967295EEENS1_25partition_config_selectorILNS1_17partition_subalgoE4EjNS0_10empty_typeEbEEZZNS1_14partition_implILS8_4ELb0ES6_15HIP_vector_typeIjLj2EENS0_17counting_iteratorIjlEEPS9_SG_NS0_5tupleIJPjSI_NS0_16reverse_iteratorISI_EEEEENSH_IJSG_SG_SG_EEES9_SI_JZNS1_25segmented_radix_sort_implINS0_14default_configELb0EPK6__halfPSP_PKlPlN2at6native12_GLOBAL__N_18offset_tEEE10hipError_tPvRmT1_PNSt15iterator_traitsIS13_E10value_typeET2_T3_PNS14_IS19_E10value_typeET4_jRbjT5_S1F_jjP12ihipStream_tbEUljE_ZNSN_ISO_Lb0ESR_SS_SU_SV_SZ_EES10_S11_S12_S13_S17_S18_S19_S1C_S1D_jS1E_jS1F_S1F_jjS1H_bEUljE0_EEES10_S11_S12_S19_S1D_S1F_T6_T7_T9_mT8_S1H_bDpT10_ENKUlT_T0_E_clISt17integral_constantIbLb1EES1U_IbLb0EEEEDaS1Q_S1R_EUlS1Q_E_NS1_11comp_targetILNS1_3genE5ELNS1_11target_archE942ELNS1_3gpuE9ELNS1_3repE0EEENS1_30default_config_static_selectorELNS0_4arch9wavefront6targetE1EEEvS13_,comdat
.Lfunc_end1793:
	.size	_ZN7rocprim17ROCPRIM_400000_NS6detail17trampoline_kernelINS0_13select_configILj256ELj13ELNS0_17block_load_methodE3ELS4_3ELS4_3ELNS0_20block_scan_algorithmE0ELj4294967295EEENS1_25partition_config_selectorILNS1_17partition_subalgoE4EjNS0_10empty_typeEbEEZZNS1_14partition_implILS8_4ELb0ES6_15HIP_vector_typeIjLj2EENS0_17counting_iteratorIjlEEPS9_SG_NS0_5tupleIJPjSI_NS0_16reverse_iteratorISI_EEEEENSH_IJSG_SG_SG_EEES9_SI_JZNS1_25segmented_radix_sort_implINS0_14default_configELb0EPK6__halfPSP_PKlPlN2at6native12_GLOBAL__N_18offset_tEEE10hipError_tPvRmT1_PNSt15iterator_traitsIS13_E10value_typeET2_T3_PNS14_IS19_E10value_typeET4_jRbjT5_S1F_jjP12ihipStream_tbEUljE_ZNSN_ISO_Lb0ESR_SS_SU_SV_SZ_EES10_S11_S12_S13_S17_S18_S19_S1C_S1D_jS1E_jS1F_S1F_jjS1H_bEUljE0_EEES10_S11_S12_S19_S1D_S1F_T6_T7_T9_mT8_S1H_bDpT10_ENKUlT_T0_E_clISt17integral_constantIbLb1EES1U_IbLb0EEEEDaS1Q_S1R_EUlS1Q_E_NS1_11comp_targetILNS1_3genE5ELNS1_11target_archE942ELNS1_3gpuE9ELNS1_3repE0EEENS1_30default_config_static_selectorELNS0_4arch9wavefront6targetE1EEEvS13_, .Lfunc_end1793-_ZN7rocprim17ROCPRIM_400000_NS6detail17trampoline_kernelINS0_13select_configILj256ELj13ELNS0_17block_load_methodE3ELS4_3ELS4_3ELNS0_20block_scan_algorithmE0ELj4294967295EEENS1_25partition_config_selectorILNS1_17partition_subalgoE4EjNS0_10empty_typeEbEEZZNS1_14partition_implILS8_4ELb0ES6_15HIP_vector_typeIjLj2EENS0_17counting_iteratorIjlEEPS9_SG_NS0_5tupleIJPjSI_NS0_16reverse_iteratorISI_EEEEENSH_IJSG_SG_SG_EEES9_SI_JZNS1_25segmented_radix_sort_implINS0_14default_configELb0EPK6__halfPSP_PKlPlN2at6native12_GLOBAL__N_18offset_tEEE10hipError_tPvRmT1_PNSt15iterator_traitsIS13_E10value_typeET2_T3_PNS14_IS19_E10value_typeET4_jRbjT5_S1F_jjP12ihipStream_tbEUljE_ZNSN_ISO_Lb0ESR_SS_SU_SV_SZ_EES10_S11_S12_S13_S17_S18_S19_S1C_S1D_jS1E_jS1F_S1F_jjS1H_bEUljE0_EEES10_S11_S12_S19_S1D_S1F_T6_T7_T9_mT8_S1H_bDpT10_ENKUlT_T0_E_clISt17integral_constantIbLb1EES1U_IbLb0EEEEDaS1Q_S1R_EUlS1Q_E_NS1_11comp_targetILNS1_3genE5ELNS1_11target_archE942ELNS1_3gpuE9ELNS1_3repE0EEENS1_30default_config_static_selectorELNS0_4arch9wavefront6targetE1EEEvS13_
                                        ; -- End function
	.section	.AMDGPU.csdata,"",@progbits
; Kernel info:
; codeLenInByte = 0
; NumSgprs: 4
; NumVgprs: 0
; NumAgprs: 0
; TotalNumVgprs: 0
; ScratchSize: 0
; MemoryBound: 0
; FloatMode: 240
; IeeeMode: 1
; LDSByteSize: 0 bytes/workgroup (compile time only)
; SGPRBlocks: 0
; VGPRBlocks: 0
; NumSGPRsForWavesPerEU: 4
; NumVGPRsForWavesPerEU: 1
; AccumOffset: 4
; Occupancy: 8
; WaveLimiterHint : 0
; COMPUTE_PGM_RSRC2:SCRATCH_EN: 0
; COMPUTE_PGM_RSRC2:USER_SGPR: 6
; COMPUTE_PGM_RSRC2:TRAP_HANDLER: 0
; COMPUTE_PGM_RSRC2:TGID_X_EN: 1
; COMPUTE_PGM_RSRC2:TGID_Y_EN: 0
; COMPUTE_PGM_RSRC2:TGID_Z_EN: 0
; COMPUTE_PGM_RSRC2:TIDIG_COMP_CNT: 0
; COMPUTE_PGM_RSRC3_GFX90A:ACCUM_OFFSET: 0
; COMPUTE_PGM_RSRC3_GFX90A:TG_SPLIT: 0
	.section	.text._ZN7rocprim17ROCPRIM_400000_NS6detail17trampoline_kernelINS0_13select_configILj256ELj13ELNS0_17block_load_methodE3ELS4_3ELS4_3ELNS0_20block_scan_algorithmE0ELj4294967295EEENS1_25partition_config_selectorILNS1_17partition_subalgoE4EjNS0_10empty_typeEbEEZZNS1_14partition_implILS8_4ELb0ES6_15HIP_vector_typeIjLj2EENS0_17counting_iteratorIjlEEPS9_SG_NS0_5tupleIJPjSI_NS0_16reverse_iteratorISI_EEEEENSH_IJSG_SG_SG_EEES9_SI_JZNS1_25segmented_radix_sort_implINS0_14default_configELb0EPK6__halfPSP_PKlPlN2at6native12_GLOBAL__N_18offset_tEEE10hipError_tPvRmT1_PNSt15iterator_traitsIS13_E10value_typeET2_T3_PNS14_IS19_E10value_typeET4_jRbjT5_S1F_jjP12ihipStream_tbEUljE_ZNSN_ISO_Lb0ESR_SS_SU_SV_SZ_EES10_S11_S12_S13_S17_S18_S19_S1C_S1D_jS1E_jS1F_S1F_jjS1H_bEUljE0_EEES10_S11_S12_S19_S1D_S1F_T6_T7_T9_mT8_S1H_bDpT10_ENKUlT_T0_E_clISt17integral_constantIbLb1EES1U_IbLb0EEEEDaS1Q_S1R_EUlS1Q_E_NS1_11comp_targetILNS1_3genE4ELNS1_11target_archE910ELNS1_3gpuE8ELNS1_3repE0EEENS1_30default_config_static_selectorELNS0_4arch9wavefront6targetE1EEEvS13_,"axG",@progbits,_ZN7rocprim17ROCPRIM_400000_NS6detail17trampoline_kernelINS0_13select_configILj256ELj13ELNS0_17block_load_methodE3ELS4_3ELS4_3ELNS0_20block_scan_algorithmE0ELj4294967295EEENS1_25partition_config_selectorILNS1_17partition_subalgoE4EjNS0_10empty_typeEbEEZZNS1_14partition_implILS8_4ELb0ES6_15HIP_vector_typeIjLj2EENS0_17counting_iteratorIjlEEPS9_SG_NS0_5tupleIJPjSI_NS0_16reverse_iteratorISI_EEEEENSH_IJSG_SG_SG_EEES9_SI_JZNS1_25segmented_radix_sort_implINS0_14default_configELb0EPK6__halfPSP_PKlPlN2at6native12_GLOBAL__N_18offset_tEEE10hipError_tPvRmT1_PNSt15iterator_traitsIS13_E10value_typeET2_T3_PNS14_IS19_E10value_typeET4_jRbjT5_S1F_jjP12ihipStream_tbEUljE_ZNSN_ISO_Lb0ESR_SS_SU_SV_SZ_EES10_S11_S12_S13_S17_S18_S19_S1C_S1D_jS1E_jS1F_S1F_jjS1H_bEUljE0_EEES10_S11_S12_S19_S1D_S1F_T6_T7_T9_mT8_S1H_bDpT10_ENKUlT_T0_E_clISt17integral_constantIbLb1EES1U_IbLb0EEEEDaS1Q_S1R_EUlS1Q_E_NS1_11comp_targetILNS1_3genE4ELNS1_11target_archE910ELNS1_3gpuE8ELNS1_3repE0EEENS1_30default_config_static_selectorELNS0_4arch9wavefront6targetE1EEEvS13_,comdat
	.globl	_ZN7rocprim17ROCPRIM_400000_NS6detail17trampoline_kernelINS0_13select_configILj256ELj13ELNS0_17block_load_methodE3ELS4_3ELS4_3ELNS0_20block_scan_algorithmE0ELj4294967295EEENS1_25partition_config_selectorILNS1_17partition_subalgoE4EjNS0_10empty_typeEbEEZZNS1_14partition_implILS8_4ELb0ES6_15HIP_vector_typeIjLj2EENS0_17counting_iteratorIjlEEPS9_SG_NS0_5tupleIJPjSI_NS0_16reverse_iteratorISI_EEEEENSH_IJSG_SG_SG_EEES9_SI_JZNS1_25segmented_radix_sort_implINS0_14default_configELb0EPK6__halfPSP_PKlPlN2at6native12_GLOBAL__N_18offset_tEEE10hipError_tPvRmT1_PNSt15iterator_traitsIS13_E10value_typeET2_T3_PNS14_IS19_E10value_typeET4_jRbjT5_S1F_jjP12ihipStream_tbEUljE_ZNSN_ISO_Lb0ESR_SS_SU_SV_SZ_EES10_S11_S12_S13_S17_S18_S19_S1C_S1D_jS1E_jS1F_S1F_jjS1H_bEUljE0_EEES10_S11_S12_S19_S1D_S1F_T6_T7_T9_mT8_S1H_bDpT10_ENKUlT_T0_E_clISt17integral_constantIbLb1EES1U_IbLb0EEEEDaS1Q_S1R_EUlS1Q_E_NS1_11comp_targetILNS1_3genE4ELNS1_11target_archE910ELNS1_3gpuE8ELNS1_3repE0EEENS1_30default_config_static_selectorELNS0_4arch9wavefront6targetE1EEEvS13_ ; -- Begin function _ZN7rocprim17ROCPRIM_400000_NS6detail17trampoline_kernelINS0_13select_configILj256ELj13ELNS0_17block_load_methodE3ELS4_3ELS4_3ELNS0_20block_scan_algorithmE0ELj4294967295EEENS1_25partition_config_selectorILNS1_17partition_subalgoE4EjNS0_10empty_typeEbEEZZNS1_14partition_implILS8_4ELb0ES6_15HIP_vector_typeIjLj2EENS0_17counting_iteratorIjlEEPS9_SG_NS0_5tupleIJPjSI_NS0_16reverse_iteratorISI_EEEEENSH_IJSG_SG_SG_EEES9_SI_JZNS1_25segmented_radix_sort_implINS0_14default_configELb0EPK6__halfPSP_PKlPlN2at6native12_GLOBAL__N_18offset_tEEE10hipError_tPvRmT1_PNSt15iterator_traitsIS13_E10value_typeET2_T3_PNS14_IS19_E10value_typeET4_jRbjT5_S1F_jjP12ihipStream_tbEUljE_ZNSN_ISO_Lb0ESR_SS_SU_SV_SZ_EES10_S11_S12_S13_S17_S18_S19_S1C_S1D_jS1E_jS1F_S1F_jjS1H_bEUljE0_EEES10_S11_S12_S19_S1D_S1F_T6_T7_T9_mT8_S1H_bDpT10_ENKUlT_T0_E_clISt17integral_constantIbLb1EES1U_IbLb0EEEEDaS1Q_S1R_EUlS1Q_E_NS1_11comp_targetILNS1_3genE4ELNS1_11target_archE910ELNS1_3gpuE8ELNS1_3repE0EEENS1_30default_config_static_selectorELNS0_4arch9wavefront6targetE1EEEvS13_
	.p2align	8
	.type	_ZN7rocprim17ROCPRIM_400000_NS6detail17trampoline_kernelINS0_13select_configILj256ELj13ELNS0_17block_load_methodE3ELS4_3ELS4_3ELNS0_20block_scan_algorithmE0ELj4294967295EEENS1_25partition_config_selectorILNS1_17partition_subalgoE4EjNS0_10empty_typeEbEEZZNS1_14partition_implILS8_4ELb0ES6_15HIP_vector_typeIjLj2EENS0_17counting_iteratorIjlEEPS9_SG_NS0_5tupleIJPjSI_NS0_16reverse_iteratorISI_EEEEENSH_IJSG_SG_SG_EEES9_SI_JZNS1_25segmented_radix_sort_implINS0_14default_configELb0EPK6__halfPSP_PKlPlN2at6native12_GLOBAL__N_18offset_tEEE10hipError_tPvRmT1_PNSt15iterator_traitsIS13_E10value_typeET2_T3_PNS14_IS19_E10value_typeET4_jRbjT5_S1F_jjP12ihipStream_tbEUljE_ZNSN_ISO_Lb0ESR_SS_SU_SV_SZ_EES10_S11_S12_S13_S17_S18_S19_S1C_S1D_jS1E_jS1F_S1F_jjS1H_bEUljE0_EEES10_S11_S12_S19_S1D_S1F_T6_T7_T9_mT8_S1H_bDpT10_ENKUlT_T0_E_clISt17integral_constantIbLb1EES1U_IbLb0EEEEDaS1Q_S1R_EUlS1Q_E_NS1_11comp_targetILNS1_3genE4ELNS1_11target_archE910ELNS1_3gpuE8ELNS1_3repE0EEENS1_30default_config_static_selectorELNS0_4arch9wavefront6targetE1EEEvS13_,@function
_ZN7rocprim17ROCPRIM_400000_NS6detail17trampoline_kernelINS0_13select_configILj256ELj13ELNS0_17block_load_methodE3ELS4_3ELS4_3ELNS0_20block_scan_algorithmE0ELj4294967295EEENS1_25partition_config_selectorILNS1_17partition_subalgoE4EjNS0_10empty_typeEbEEZZNS1_14partition_implILS8_4ELb0ES6_15HIP_vector_typeIjLj2EENS0_17counting_iteratorIjlEEPS9_SG_NS0_5tupleIJPjSI_NS0_16reverse_iteratorISI_EEEEENSH_IJSG_SG_SG_EEES9_SI_JZNS1_25segmented_radix_sort_implINS0_14default_configELb0EPK6__halfPSP_PKlPlN2at6native12_GLOBAL__N_18offset_tEEE10hipError_tPvRmT1_PNSt15iterator_traitsIS13_E10value_typeET2_T3_PNS14_IS19_E10value_typeET4_jRbjT5_S1F_jjP12ihipStream_tbEUljE_ZNSN_ISO_Lb0ESR_SS_SU_SV_SZ_EES10_S11_S12_S13_S17_S18_S19_S1C_S1D_jS1E_jS1F_S1F_jjS1H_bEUljE0_EEES10_S11_S12_S19_S1D_S1F_T6_T7_T9_mT8_S1H_bDpT10_ENKUlT_T0_E_clISt17integral_constantIbLb1EES1U_IbLb0EEEEDaS1Q_S1R_EUlS1Q_E_NS1_11comp_targetILNS1_3genE4ELNS1_11target_archE910ELNS1_3gpuE8ELNS1_3repE0EEENS1_30default_config_static_selectorELNS0_4arch9wavefront6targetE1EEEvS13_: ; @_ZN7rocprim17ROCPRIM_400000_NS6detail17trampoline_kernelINS0_13select_configILj256ELj13ELNS0_17block_load_methodE3ELS4_3ELS4_3ELNS0_20block_scan_algorithmE0ELj4294967295EEENS1_25partition_config_selectorILNS1_17partition_subalgoE4EjNS0_10empty_typeEbEEZZNS1_14partition_implILS8_4ELb0ES6_15HIP_vector_typeIjLj2EENS0_17counting_iteratorIjlEEPS9_SG_NS0_5tupleIJPjSI_NS0_16reverse_iteratorISI_EEEEENSH_IJSG_SG_SG_EEES9_SI_JZNS1_25segmented_radix_sort_implINS0_14default_configELb0EPK6__halfPSP_PKlPlN2at6native12_GLOBAL__N_18offset_tEEE10hipError_tPvRmT1_PNSt15iterator_traitsIS13_E10value_typeET2_T3_PNS14_IS19_E10value_typeET4_jRbjT5_S1F_jjP12ihipStream_tbEUljE_ZNSN_ISO_Lb0ESR_SS_SU_SV_SZ_EES10_S11_S12_S13_S17_S18_S19_S1C_S1D_jS1E_jS1F_S1F_jjS1H_bEUljE0_EEES10_S11_S12_S19_S1D_S1F_T6_T7_T9_mT8_S1H_bDpT10_ENKUlT_T0_E_clISt17integral_constantIbLb1EES1U_IbLb0EEEEDaS1Q_S1R_EUlS1Q_E_NS1_11comp_targetILNS1_3genE4ELNS1_11target_archE910ELNS1_3gpuE8ELNS1_3repE0EEENS1_30default_config_static_selectorELNS0_4arch9wavefront6targetE1EEEvS13_
; %bb.0:
	s_load_dwordx2 s[0:1], s[4:5], 0x68
	s_load_dword s7, s[4:5], 0x8
	s_load_dwordx2 s[56:57], s[4:5], 0x10
	s_load_dwordx4 s[44:47], s[4:5], 0x58
	s_mul_i32 s33, s6, 0xd00
	s_waitcnt lgkmcnt(0)
	v_mov_b32_e32 v3, s1
	v_mov_b32_e32 v2, s0
	s_load_dword s1, s[4:5], 0x80
	s_load_dwordx2 s[60:61], s[4:5], 0xa8
	s_load_dwordx8 s[36:43], s[4:5], 0x88
	s_load_dwordx4 s[48:51], s[46:47], 0x0
	s_waitcnt lgkmcnt(0)
	s_add_i32 s8, s1, -1
	s_mulk_i32 s1, 0xd00
	s_add_u32 s2, s56, s1
	s_addc_u32 s3, s57, 0
	s_cmp_eq_u32 s6, s8
	s_cselect_b64 s[30:31], -1, 0
	s_cmp_lg_u32 s6, s8
	v_cmp_lt_u64_e32 vcc, s[2:3], v[2:3]
	s_cselect_b64 s[2:3], -1, 0
	s_add_i32 s7, s7, s33
	s_or_b64 s[2:3], s[2:3], vcc
	s_add_i32 s7, s7, s56
	v_add_u32_e32 v1, s7, v0
	s_mov_b64 s[8:9], -1
	s_and_b64 vcc, exec, s[2:3]
	s_cbranch_vccz .LBB1794_2
; %bb.1:
	v_add_u32_e32 v2, 0x100, v1
	v_lshlrev_b32_e32 v14, 2, v0
	v_add_u32_e32 v3, 0x200, v1
	v_add_u32_e32 v4, 0x300, v1
	;; [unrolled: 1-line block ×11, first 2 shown]
	ds_write2st64_b32 v14, v1, v2 offset1:4
	ds_write2st64_b32 v14, v3, v4 offset0:8 offset1:12
	ds_write2st64_b32 v14, v5, v6 offset0:16 offset1:20
	;; [unrolled: 1-line block ×5, first 2 shown]
	ds_write_b32 v14, v13 offset:12288
	s_waitcnt lgkmcnt(0)
	s_barrier
	s_mov_b64 s[8:9], 0
.LBB1794_2:
	s_andn2_b64 vcc, exec, s[8:9]
	s_add_i32 s1, s1, s56
	s_cbranch_vccnz .LBB1794_4
; %bb.3:
	v_add_u32_e32 v2, 0x100, v1
	v_lshlrev_b32_e32 v14, 2, v0
	v_add_u32_e32 v3, 0x200, v1
	v_add_u32_e32 v4, 0x300, v1
	;; [unrolled: 1-line block ×11, first 2 shown]
	ds_write2st64_b32 v14, v1, v2 offset1:4
	ds_write2st64_b32 v14, v3, v4 offset0:8 offset1:12
	ds_write2st64_b32 v14, v5, v6 offset0:16 offset1:20
	;; [unrolled: 1-line block ×5, first 2 shown]
	ds_write_b32 v14, v13 offset:12288
	s_waitcnt lgkmcnt(0)
	s_barrier
.LBB1794_4:
	v_mul_u32_u24_e32 v31, 13, v0
	v_lshlrev_b32_e32 v1, 2, v31
	s_load_dwordx4 s[52:55], s[4:5], 0x28
	s_load_dwordx2 s[34:35], s[4:5], 0x38
	s_waitcnt lgkmcnt(0)
	ds_read2_b32 v[18:19], v1 offset1:1
	ds_read2_b32 v[16:17], v1 offset0:2 offset1:3
	ds_read2_b32 v[14:15], v1 offset0:4 offset1:5
	;; [unrolled: 1-line block ×5, first 2 shown]
	ds_read_b32 v30, v1 offset:48
	v_cndmask_b32_e64 v1, 0, 1, s[2:3]
	s_sub_i32 s7, s0, s1
	v_cmp_ne_u32_e64 s[0:1], 1, v1
	s_andn2_b64 vcc, exec, s[2:3]
	s_waitcnt lgkmcnt(0)
	s_barrier
	s_cbranch_vccnz .LBB1794_32
; %bb.5:
	v_add_u32_e32 v1, s37, v18
	v_add_u32_e32 v2, s39, v18
	v_mul_lo_u32 v1, v1, s36
	v_mul_lo_u32 v2, v2, s38
	v_sub_u32_e32 v1, v1, v2
	v_cmp_lt_u32_e32 vcc, s40, v1
	v_cmp_ge_u32_e64 s[2:3], s40, v1
	s_mov_b64 s[64:65], 0
	s_mov_b64 s[62:63], 0
	s_and_saveexec_b64 s[8:9], s[2:3]
; %bb.6:
	v_add_u32_e32 v1, s42, v18
	v_add_u32_e32 v2, s60, v18
	v_mul_lo_u32 v1, v1, s41
	v_mul_lo_u32 v2, v2, s43
	v_sub_u32_e32 v1, v1, v2
	v_cmp_lt_u32_e64 s[2:3], s61, v1
	s_and_b64 s[62:63], s[2:3], exec
; %bb.7:
	s_or_b64 exec, exec, s[8:9]
	v_add_u32_e32 v1, s37, v19
	v_add_u32_e32 v2, s39, v19
	v_mul_lo_u32 v1, v1, s36
	v_mul_lo_u32 v2, v2, s38
	v_sub_u32_e32 v1, v1, v2
	v_cmp_lt_u32_e64 s[2:3], s40, v1
	v_cmp_ge_u32_e64 s[8:9], s40, v1
	s_and_saveexec_b64 s[10:11], s[8:9]
; %bb.8:
	v_add_u32_e32 v1, s42, v19
	v_add_u32_e32 v2, s60, v19
	v_mul_lo_u32 v1, v1, s41
	v_mul_lo_u32 v2, v2, s43
	v_sub_u32_e32 v1, v1, v2
	v_cmp_lt_u32_e64 s[8:9], s61, v1
	s_and_b64 s[64:65], s[8:9], exec
; %bb.9:
	s_or_b64 exec, exec, s[10:11]
	v_add_u32_e32 v1, s37, v16
	v_add_u32_e32 v2, s39, v16
	v_mul_lo_u32 v1, v1, s36
	v_mul_lo_u32 v2, v2, s38
	v_sub_u32_e32 v1, v1, v2
	v_cmp_lt_u32_e64 s[26:27], s40, v1
	v_cmp_ge_u32_e64 s[8:9], s40, v1
	s_mov_b64 s[68:69], 0
	s_mov_b64 s[66:67], 0
	s_and_saveexec_b64 s[10:11], s[8:9]
; %bb.10:
	v_add_u32_e32 v1, s42, v16
	v_add_u32_e32 v2, s60, v16
	v_mul_lo_u32 v1, v1, s41
	v_mul_lo_u32 v2, v2, s43
	v_sub_u32_e32 v1, v1, v2
	v_cmp_lt_u32_e64 s[8:9], s61, v1
	s_and_b64 s[66:67], s[8:9], exec
; %bb.11:
	s_or_b64 exec, exec, s[10:11]
	v_add_u32_e32 v1, s37, v17
	v_add_u32_e32 v2, s39, v17
	v_mul_lo_u32 v1, v1, s36
	v_mul_lo_u32 v2, v2, s38
	v_sub_u32_e32 v1, v1, v2
	v_cmp_lt_u32_e64 s[8:9], s40, v1
	v_cmp_ge_u32_e64 s[10:11], s40, v1
	s_and_saveexec_b64 s[12:13], s[10:11]
; %bb.12:
	v_add_u32_e32 v1, s42, v17
	v_add_u32_e32 v2, s60, v17
	v_mul_lo_u32 v1, v1, s41
	v_mul_lo_u32 v2, v2, s43
	v_sub_u32_e32 v1, v1, v2
	v_cmp_lt_u32_e64 s[10:11], s61, v1
	s_and_b64 s[68:69], s[10:11], exec
; %bb.13:
	s_or_b64 exec, exec, s[12:13]
	v_add_u32_e32 v1, s37, v14
	v_add_u32_e32 v2, s39, v14
	v_mul_lo_u32 v1, v1, s36
	v_mul_lo_u32 v2, v2, s38
	v_sub_u32_e32 v1, v1, v2
	v_cmp_lt_u32_e64 s[10:11], s40, v1
	v_cmp_ge_u32_e64 s[12:13], s40, v1
	s_mov_b64 s[72:73], 0
	s_mov_b64 s[70:71], 0
	s_and_saveexec_b64 s[14:15], s[12:13]
; %bb.14:
	v_add_u32_e32 v1, s42, v14
	v_add_u32_e32 v2, s60, v14
	v_mul_lo_u32 v1, v1, s41
	v_mul_lo_u32 v2, v2, s43
	v_sub_u32_e32 v1, v1, v2
	v_cmp_lt_u32_e64 s[12:13], s61, v1
	s_and_b64 s[70:71], s[12:13], exec
; %bb.15:
	s_or_b64 exec, exec, s[14:15]
	v_add_u32_e32 v1, s37, v15
	v_add_u32_e32 v2, s39, v15
	v_mul_lo_u32 v1, v1, s36
	v_mul_lo_u32 v2, v2, s38
	v_sub_u32_e32 v1, v1, v2
	v_cmp_lt_u32_e64 s[12:13], s40, v1
	v_cmp_ge_u32_e64 s[14:15], s40, v1
	s_and_saveexec_b64 s[16:17], s[14:15]
; %bb.16:
	v_add_u32_e32 v1, s42, v15
	v_add_u32_e32 v2, s60, v15
	v_mul_lo_u32 v1, v1, s41
	v_mul_lo_u32 v2, v2, s43
	v_sub_u32_e32 v1, v1, v2
	v_cmp_lt_u32_e64 s[14:15], s61, v1
	s_and_b64 s[72:73], s[14:15], exec
; %bb.17:
	s_or_b64 exec, exec, s[16:17]
	v_add_u32_e32 v1, s37, v12
	v_add_u32_e32 v2, s39, v12
	v_mul_lo_u32 v1, v1, s36
	v_mul_lo_u32 v2, v2, s38
	v_sub_u32_e32 v1, v1, v2
	v_cmp_lt_u32_e64 s[14:15], s40, v1
	v_cmp_ge_u32_e64 s[16:17], s40, v1
	s_mov_b64 s[76:77], 0
	s_mov_b64 s[74:75], 0
	s_and_saveexec_b64 s[18:19], s[16:17]
; %bb.18:
	v_add_u32_e32 v1, s42, v12
	v_add_u32_e32 v2, s60, v12
	v_mul_lo_u32 v1, v1, s41
	v_mul_lo_u32 v2, v2, s43
	v_sub_u32_e32 v1, v1, v2
	v_cmp_lt_u32_e64 s[16:17], s61, v1
	s_and_b64 s[74:75], s[16:17], exec
; %bb.19:
	s_or_b64 exec, exec, s[18:19]
	v_add_u32_e32 v1, s37, v13
	v_add_u32_e32 v2, s39, v13
	v_mul_lo_u32 v1, v1, s36
	v_mul_lo_u32 v2, v2, s38
	v_sub_u32_e32 v1, v1, v2
	v_cmp_lt_u32_e64 s[16:17], s40, v1
	v_cmp_ge_u32_e64 s[18:19], s40, v1
	s_and_saveexec_b64 s[20:21], s[18:19]
; %bb.20:
	v_add_u32_e32 v1, s42, v13
	v_add_u32_e32 v2, s60, v13
	v_mul_lo_u32 v1, v1, s41
	v_mul_lo_u32 v2, v2, s43
	v_sub_u32_e32 v1, v1, v2
	v_cmp_lt_u32_e64 s[18:19], s61, v1
	s_and_b64 s[76:77], s[18:19], exec
; %bb.21:
	s_or_b64 exec, exec, s[20:21]
	v_add_u32_e32 v1, s37, v10
	v_add_u32_e32 v2, s39, v10
	v_mul_lo_u32 v1, v1, s36
	v_mul_lo_u32 v2, v2, s38
	v_sub_u32_e32 v1, v1, v2
	v_cmp_lt_u32_e64 s[18:19], s40, v1
	v_cmp_ge_u32_e64 s[20:21], s40, v1
	s_mov_b64 s[82:83], 0
	s_mov_b64 s[80:81], 0
	s_and_saveexec_b64 s[22:23], s[20:21]
; %bb.22:
	v_add_u32_e32 v1, s42, v10
	v_add_u32_e32 v2, s60, v10
	v_mul_lo_u32 v1, v1, s41
	v_mul_lo_u32 v2, v2, s43
	v_sub_u32_e32 v1, v1, v2
	v_cmp_lt_u32_e64 s[20:21], s61, v1
	s_and_b64 s[80:81], s[20:21], exec
; %bb.23:
	s_or_b64 exec, exec, s[22:23]
	v_add_u32_e32 v1, s37, v11
	v_add_u32_e32 v2, s39, v11
	v_mul_lo_u32 v1, v1, s36
	v_mul_lo_u32 v2, v2, s38
	v_sub_u32_e32 v1, v1, v2
	v_cmp_lt_u32_e64 s[20:21], s40, v1
	v_cmp_ge_u32_e64 s[22:23], s40, v1
	s_and_saveexec_b64 s[24:25], s[22:23]
; %bb.24:
	v_add_u32_e32 v1, s42, v11
	v_add_u32_e32 v2, s60, v11
	v_mul_lo_u32 v1, v1, s41
	v_mul_lo_u32 v2, v2, s43
	v_sub_u32_e32 v1, v1, v2
	v_cmp_lt_u32_e64 s[22:23], s61, v1
	s_and_b64 s[82:83], s[22:23], exec
; %bb.25:
	s_or_b64 exec, exec, s[24:25]
	v_add_u32_e32 v1, s37, v8
	v_add_u32_e32 v2, s39, v8
	v_mul_lo_u32 v1, v1, s36
	v_mul_lo_u32 v2, v2, s38
	v_sub_u32_e32 v1, v1, v2
	v_cmp_lt_u32_e64 s[22:23], s40, v1
	v_cmp_ge_u32_e64 s[24:25], s40, v1
	s_mov_b64 s[84:85], 0
	s_mov_b64 s[86:87], 0
	s_and_saveexec_b64 s[28:29], s[24:25]
; %bb.26:
	v_add_u32_e32 v1, s42, v8
	v_add_u32_e32 v2, s60, v8
	v_mul_lo_u32 v1, v1, s41
	v_mul_lo_u32 v2, v2, s43
	v_sub_u32_e32 v1, v1, v2
	v_cmp_lt_u32_e64 s[24:25], s61, v1
	s_and_b64 s[86:87], s[24:25], exec
; %bb.27:
	s_or_b64 exec, exec, s[28:29]
	v_add_u32_e32 v1, s37, v9
	v_add_u32_e32 v2, s39, v9
	v_mul_lo_u32 v1, v1, s36
	v_mul_lo_u32 v2, v2, s38
	v_sub_u32_e32 v1, v1, v2
	v_cmp_lt_u32_e64 s[24:25], s40, v1
	v_cmp_ge_u32_e64 s[28:29], s40, v1
	s_and_saveexec_b64 s[46:47], s[28:29]
; %bb.28:
	v_add_u32_e32 v1, s42, v9
	v_add_u32_e32 v2, s60, v9
	v_mul_lo_u32 v1, v1, s41
	v_mul_lo_u32 v2, v2, s43
	v_sub_u32_e32 v1, v1, v2
	v_cmp_lt_u32_e64 s[28:29], s61, v1
	s_and_b64 s[84:85], s[28:29], exec
; %bb.29:
	s_or_b64 exec, exec, s[46:47]
	v_add_u32_e32 v1, s37, v30
	v_add_u32_e32 v2, s39, v30
	v_mul_lo_u32 v1, v1, s36
	v_mul_lo_u32 v2, v2, s38
	v_sub_u32_e32 v1, v1, v2
	v_cmp_ge_u32_e64 s[28:29], s40, v1
	s_mov_b64 s[46:47], -1
	s_mov_b64 s[78:79], 0
	s_mov_b64 s[58:59], 0
	s_and_saveexec_b64 s[88:89], s[28:29]
; %bb.30:
	v_add_u32_e32 v1, s42, v30
	v_add_u32_e32 v2, s60, v30
	v_mul_lo_u32 v1, v1, s41
	v_mul_lo_u32 v2, v2, s43
	v_sub_u32_e32 v1, v1, v2
	v_cmp_lt_u32_e64 s[28:29], s61, v1
	s_and_b64 s[58:59], s[28:29], exec
	s_xor_b64 s[46:47], exec, -1
; %bb.31:
	s_or_b64 exec, exec, s[88:89]
	v_cndmask_b32_e64 v52, 0, 1, s[86:87]
	v_cndmask_b32_e64 v55, 0, 1, s[24:25]
	;; [unrolled: 1-line block ×22, first 2 shown]
	v_cndmask_b32_e64 v32, 0, 1, vcc
	v_cndmask_b32_e64 v54, 0, 1, s[84:85]
	s_load_dwordx2 s[12:13], s[4:5], 0x78
	s_add_i32 s18, s7, 0xd00
	s_and_b64 vcc, exec, s[78:79]
	s_cbranch_vccnz .LBB1794_33
	s_branch .LBB1794_86
.LBB1794_32:
                                        ; implicit-def: $sgpr46_sgpr47
                                        ; implicit-def: $sgpr58_sgpr59
                                        ; implicit-def: $vgpr54
                                        ; implicit-def: $vgpr52
                                        ; implicit-def: $vgpr50
                                        ; implicit-def: $vgpr48
                                        ; implicit-def: $vgpr46
                                        ; implicit-def: $vgpr44
                                        ; implicit-def: $vgpr42
                                        ; implicit-def: $vgpr40
                                        ; implicit-def: $vgpr38
                                        ; implicit-def: $vgpr32
                                        ; implicit-def: $vgpr34
                                        ; implicit-def: $vgpr36
                                        ; implicit-def: $vgpr39
                                        ; implicit-def: $vgpr41
                                        ; implicit-def: $vgpr43
                                        ; implicit-def: $vgpr45
                                        ; implicit-def: $vgpr47
                                        ; implicit-def: $vgpr49
                                        ; implicit-def: $vgpr51
                                        ; implicit-def: $vgpr53
                                        ; implicit-def: $vgpr55
                                        ; implicit-def: $vgpr33
                                        ; implicit-def: $vgpr35
                                        ; implicit-def: $vgpr37
	s_load_dwordx2 s[12:13], s[4:5], 0x78
	s_add_i32 s18, s7, 0xd00
	s_cbranch_execz .LBB1794_86
.LBB1794_33:
	v_cmp_gt_u32_e32 vcc, s18, v31
	v_mov_b32_e32 v33, 0
	v_mov_b32_e32 v32, 0
	s_and_saveexec_b64 s[4:5], vcc
	s_cbranch_execz .LBB1794_37
; %bb.34:
	v_add_u32_e32 v1, s37, v18
	v_add_u32_e32 v2, s39, v18
	v_mul_lo_u32 v1, v1, s36
	v_mul_lo_u32 v2, v2, s38
	v_sub_u32_e32 v1, v1, v2
	v_cmp_lt_u32_e32 vcc, s40, v1
	v_cmp_ge_u32_e64 s[2:3], s40, v1
	s_mov_b64 s[10:11], 0
	s_and_saveexec_b64 s[8:9], s[2:3]
; %bb.35:
	v_add_u32_e32 v1, s42, v18
	v_add_u32_e32 v2, s60, v18
	v_mul_lo_u32 v1, v1, s41
	v_mul_lo_u32 v2, v2, s43
	v_sub_u32_e32 v1, v1, v2
	v_cmp_lt_u32_e64 s[2:3], s61, v1
	s_and_b64 s[10:11], s[2:3], exec
; %bb.36:
	s_or_b64 exec, exec, s[8:9]
	v_cndmask_b32_e64 v32, 0, 1, vcc
	v_cndmask_b32_e64 v33, 0, 1, s[10:11]
.LBB1794_37:
	s_or_b64 exec, exec, s[4:5]
	v_add_u32_e32 v1, 1, v31
	v_cmp_gt_u32_e32 vcc, s18, v1
	v_mov_b32_e32 v34, 0
	v_mov_b32_e32 v35, 0
	s_and_saveexec_b64 s[4:5], vcc
	s_cbranch_execz .LBB1794_41
; %bb.38:
	v_add_u32_e32 v1, s37, v19
	v_add_u32_e32 v2, s39, v19
	v_mul_lo_u32 v1, v1, s36
	v_mul_lo_u32 v2, v2, s38
	v_sub_u32_e32 v1, v1, v2
	v_cmp_lt_u32_e32 vcc, s40, v1
	v_cmp_ge_u32_e64 s[2:3], s40, v1
	s_mov_b64 s[10:11], 0
	s_and_saveexec_b64 s[8:9], s[2:3]
; %bb.39:
	v_add_u32_e32 v1, s42, v19
	v_add_u32_e32 v2, s60, v19
	v_mul_lo_u32 v1, v1, s41
	v_mul_lo_u32 v2, v2, s43
	v_sub_u32_e32 v1, v1, v2
	v_cmp_lt_u32_e64 s[2:3], s61, v1
	s_and_b64 s[10:11], s[2:3], exec
; %bb.40:
	s_or_b64 exec, exec, s[8:9]
	v_cndmask_b32_e64 v34, 0, 1, vcc
	v_cndmask_b32_e64 v35, 0, 1, s[10:11]
.LBB1794_41:
	s_or_b64 exec, exec, s[4:5]
	v_add_u32_e32 v1, 2, v31
	;; [unrolled: 30-line block ×12, first 2 shown]
	v_cmp_gt_u32_e32 vcc, s18, v1
	s_mov_b64 s[46:47], 0
	s_mov_b64 s[58:59], 0
	s_and_saveexec_b64 s[2:3], vcc
	s_cbranch_execz .LBB1794_85
; %bb.82:
	v_add_u32_e32 v1, s37, v30
	v_add_u32_e32 v2, s39, v30
	v_mul_lo_u32 v1, v1, s36
	v_mul_lo_u32 v2, v2, s38
	v_sub_u32_e32 v1, v1, v2
	v_cmp_ge_u32_e32 vcc, s40, v1
	s_mov_b64 s[8:9], -1
	s_mov_b64 s[10:11], 0
	s_and_saveexec_b64 s[4:5], vcc
; %bb.83:
	v_add_u32_e32 v1, s42, v30
	v_add_u32_e32 v2, s60, v30
	v_mul_lo_u32 v1, v1, s41
	v_mul_lo_u32 v2, v2, s43
	v_sub_u32_e32 v1, v1, v2
	v_cmp_lt_u32_e32 vcc, s61, v1
	s_and_b64 s[10:11], vcc, exec
	s_xor_b64 s[8:9], exec, -1
; %bb.84:
	s_or_b64 exec, exec, s[4:5]
	s_and_b64 s[58:59], s[10:11], exec
	s_and_b64 s[46:47], s[8:9], exec
.LBB1794_85:
	s_or_b64 exec, exec, s[2:3]
.LBB1794_86:
	v_and_b32_e32 v63, 0xff, v33
	v_and_b32_e32 v74, 0xff, v35
	;; [unrolled: 1-line block ×5, first 2 shown]
	v_add3_u32 v2, v74, v65, v63
	v_and_b32_e32 v76, 0xff, v42
	v_and_b32_e32 v69, 0xff, v44
	v_add3_u32 v2, v2, v75, v67
	v_and_b32_e32 v62, 0xff, v32
	v_and_b32_e32 v56, 0xff, v34
	;; [unrolled: 1-line block ×5, first 2 shown]
	v_add3_u32 v2, v2, v76, v69
	v_and_b32_e32 v57, 0xff, v39
	v_and_b32_e32 v66, 0xff, v41
	;; [unrolled: 1-line block ×4, first 2 shown]
	v_add3_u32 v3, v56, v64, v62
	v_add3_u32 v2, v2, v77, v71
	v_and_b32_e32 v58, 0xff, v43
	v_and_b32_e32 v68, 0xff, v45
	;; [unrolled: 1-line block ×3, first 2 shown]
	v_cndmask_b32_e64 v1, 0, 1, s[58:59]
	v_add3_u32 v3, v3, v57, v66
	v_add3_u32 v2, v2, v78, v73
	v_and_b32_e32 v59, 0xff, v47
	v_and_b32_e32 v70, 0xff, v49
	v_add3_u32 v3, v3, v58, v68
	v_add3_u32 v86, v2, v79, v1
	v_mbcnt_lo_u32_b32 v1, -1, 0
	v_and_b32_e32 v60, 0xff, v51
	v_and_b32_e32 v72, 0xff, v53
	v_add3_u32 v3, v3, v59, v70
	v_mbcnt_hi_u32_b32 v80, -1, v1
	v_and_b32_e32 v61, 0xff, v55
	v_add3_u32 v3, v3, v60, v72
	v_cndmask_b32_e64 v4, 0, 1, s[46:47]
	v_and_b32_e32 v84, 15, v80
	s_cmp_lg_u32 s6, 0
	v_add3_u32 v85, v3, v61, v4
	v_cmp_eq_u32_e64 s[4:5], 0, v84
	v_cmp_lt_u32_e64 s[2:3], 1, v84
	v_cmp_lt_u32_e64 s[8:9], 3, v84
	;; [unrolled: 1-line block ×3, first 2 shown]
	v_and_b32_e32 v83, 16, v80
	v_cmp_lt_u32_e32 vcc, 31, v80
	v_lshrrev_b32_e32 v81, 6, v0
	v_or_b32_e32 v82, 63, v0
	s_cbranch_scc0 .LBB1794_119
; %bb.87:
	v_mov_b32_dpp v1, v85 row_shr:1 row_mask:0xf bank_mask:0xf
	v_mov_b32_dpp v2, v86 row_shr:1 row_mask:0xf bank_mask:0xf
	v_add_u32_e32 v1, v1, v85
	v_add_u32_e32 v2, v2, v86
	v_cndmask_b32_e64 v2, v2, v86, s[4:5]
	v_cndmask_b32_e64 v1, v1, v85, s[4:5]
	s_nop 0
	v_mov_b32_dpp v4, v2 row_shr:2 row_mask:0xf bank_mask:0xf
	v_mov_b32_dpp v3, v1 row_shr:2 row_mask:0xf bank_mask:0xf
	v_add_u32_e32 v3, v1, v3
	v_add_u32_e32 v4, v2, v4
	v_cndmask_b32_e64 v2, v2, v4, s[2:3]
	v_cndmask_b32_e64 v1, v1, v3, s[2:3]
	s_nop 0
	v_mov_b32_dpp v4, v2 row_shr:4 row_mask:0xf bank_mask:0xf
	v_mov_b32_dpp v3, v1 row_shr:4 row_mask:0xf bank_mask:0xf
	v_add_u32_e32 v3, v1, v3
	v_add_u32_e32 v4, v2, v4
	v_cndmask_b32_e64 v2, v2, v4, s[8:9]
	v_cndmask_b32_e64 v1, v1, v3, s[8:9]
	v_cmp_eq_u32_e64 s[8:9], 0, v83
	v_mov_b32_dpp v4, v2 row_shr:8 row_mask:0xf bank_mask:0xf
	v_mov_b32_dpp v3, v1 row_shr:8 row_mask:0xf bank_mask:0xf
	v_add_u32_e32 v3, v1, v3
	v_add_u32_e32 v4, v2, v4
	v_cndmask_b32_e64 v2, v2, v4, s[10:11]
	v_cndmask_b32_e64 v1, v1, v3, s[10:11]
	s_nop 0
	v_mov_b32_dpp v4, v2 row_bcast:15 row_mask:0xf bank_mask:0xf
	v_mov_b32_dpp v3, v1 row_bcast:15 row_mask:0xf bank_mask:0xf
	v_add_u32_e32 v3, v1, v3
	v_add_u32_e32 v4, v2, v4
	v_cndmask_b32_e64 v2, v4, v2, s[8:9]
	v_cndmask_b32_e64 v1, v3, v1, s[8:9]
	s_nop 0
	v_mov_b32_dpp v4, v2 row_bcast:31 row_mask:0xf bank_mask:0xf
	v_mov_b32_dpp v3, v1 row_bcast:31 row_mask:0xf bank_mask:0xf
	v_add_u32_e32 v4, v2, v4
	v_add_u32_e32 v5, v1, v3
	v_cndmask_b32_e32 v3, v2, v4, vcc
	v_cndmask_b32_e32 v2, v1, v5, vcc
	v_cmp_eq_u32_e32 vcc, v82, v0
	s_and_saveexec_b64 s[8:9], vcc
	s_cbranch_execz .LBB1794_89
; %bb.88:
	v_lshlrev_b32_e32 v1, 3, v81
	ds_write_b64 v1, v[2:3]
.LBB1794_89:
	s_or_b64 exec, exec, s[8:9]
	v_cmp_gt_u32_e32 vcc, 4, v0
	s_waitcnt lgkmcnt(0)
	s_barrier
	s_and_saveexec_b64 s[8:9], vcc
	s_cbranch_execz .LBB1794_91
; %bb.90:
	v_lshlrev_b32_e32 v1, 3, v0
	ds_read_b64 v[4:5], v1
	v_and_b32_e32 v6, 3, v80
	v_cmp_eq_u32_e32 vcc, 0, v6
	s_waitcnt lgkmcnt(0)
	v_mov_b32_dpp v7, v4 row_shr:1 row_mask:0xf bank_mask:0xf
	v_mov_b32_dpp v20, v5 row_shr:1 row_mask:0xf bank_mask:0xf
	v_add_u32_e32 v7, v7, v4
	v_add_u32_e32 v20, v20, v5
	v_cndmask_b32_e32 v5, v20, v5, vcc
	v_cndmask_b32_e32 v4, v7, v4, vcc
	v_cmp_lt_u32_e32 vcc, 1, v6
	v_mov_b32_dpp v20, v5 row_shr:2 row_mask:0xf bank_mask:0xf
	v_mov_b32_dpp v7, v4 row_shr:2 row_mask:0xf bank_mask:0xf
	v_cndmask_b32_e32 v6, 0, v7, vcc
	v_cndmask_b32_e32 v7, 0, v20, vcc
	v_add_u32_e32 v5, v7, v5
	v_add_u32_e32 v4, v6, v4
	ds_write_b64 v1, v[4:5]
.LBB1794_91:
	s_or_b64 exec, exec, s[8:9]
	v_cmp_gt_u32_e32 vcc, 64, v0
	v_cmp_lt_u32_e64 s[8:9], 63, v0
	s_waitcnt lgkmcnt(0)
	s_barrier
	s_waitcnt lgkmcnt(0)
                                        ; implicit-def: $vgpr21
	s_and_saveexec_b64 s[10:11], s[8:9]
	s_xor_b64 s[8:9], exec, s[10:11]
	s_cbranch_execz .LBB1794_93
; %bb.92:
	v_lshl_add_u32 v1, v81, 3, -8
	ds_read_b64 v[20:21], v1
	s_waitcnt lgkmcnt(0)
	v_add_u32_e32 v3, v21, v3
	v_add_u32_e32 v2, v20, v2
.LBB1794_93:
	s_andn2_saveexec_b64 s[8:9], s[8:9]
; %bb.94:
                                        ; implicit-def: $vgpr20
; %bb.95:
	s_or_b64 exec, exec, s[8:9]
	v_add_u32_e32 v1, -1, v80
	v_and_b32_e32 v4, 64, v80
	v_cmp_lt_i32_e64 s[8:9], v1, v4
	v_cndmask_b32_e64 v1, v1, v80, s[8:9]
	v_lshlrev_b32_e32 v4, 2, v1
	ds_bpermute_b32 v1, v4, v2
	ds_bpermute_b32 v87, v4, v3
	v_cmp_eq_u32_e64 s[8:9], 0, v80
	s_and_saveexec_b64 s[10:11], vcc
	s_cbranch_execz .LBB1794_118
; %bb.96:
	v_mov_b32_e32 v7, 0
	ds_read_b64 v[22:23], v7 offset:24
	s_and_saveexec_b64 s[14:15], s[8:9]
	s_cbranch_execz .LBB1794_98
; %bb.97:
	s_add_i32 s16, s6, 64
	s_mov_b32 s17, 0
	s_lshl_b64 s[16:17], s[16:17], 4
	s_waitcnt lgkmcnt(0)
	v_and_b32_e32 v2, 0xff000000, v23
	v_and_b32_e32 v3, 0xff0000, v23
	s_add_u32 s16, s12, s16
	v_or_b32_e32 v2, v3, v2
	v_and_b32_e32 v3, 0xff00, v23
	s_addc_u32 s17, s13, s17
	v_or_b32_e32 v2, v2, v3
	v_or_b32_sdwa v5, v2, v23 dst_sel:DWORD dst_unused:UNUSED_PAD src0_sel:DWORD src1_sel:BYTE_0
	v_mov_b32_e32 v6, 1
	v_mov_b32_e32 v4, v22
	v_pk_mov_b32 v[2:3], s[16:17], s[16:17] op_sel:[0,1]
	;;#ASMSTART
	global_store_dwordx4 v[2:3], v[4:7] off	
s_waitcnt vmcnt(0)
	;;#ASMEND
.LBB1794_98:
	s_or_b64 exec, exec, s[14:15]
	v_xad_u32 v24, v80, -1, s6
	v_add_u32_e32 v6, 64, v24
	v_lshlrev_b64 v[2:3], 4, v[6:7]
	v_mov_b32_e32 v4, s13
	v_add_co_u32_e32 v26, vcc, s12, v2
	v_addc_co_u32_e32 v27, vcc, v4, v3, vcc
	;;#ASMSTART
	global_load_dwordx4 v[2:5], v[26:27] off glc	
s_waitcnt vmcnt(0)
	;;#ASMEND
	v_and_b32_e32 v5, 0xff, v3
	v_and_b32_e32 v6, 0xff00, v3
	v_or3_b32 v5, 0, v5, v6
	v_or3_b32 v2, v2, 0, 0
	v_and_b32_e32 v6, 0xff000000, v3
	v_and_b32_e32 v3, 0xff0000, v3
	v_or3_b32 v3, v5, v3, v6
	v_or3_b32 v2, v2, 0, 0
	v_cmp_eq_u16_sdwa s[16:17], v4, v7 src0_sel:BYTE_0 src1_sel:DWORD
	s_and_saveexec_b64 s[14:15], s[16:17]
	s_cbranch_execz .LBB1794_104
; %bb.99:
	s_mov_b32 s7, 1
	s_mov_b64 s[16:17], 0
	v_mov_b32_e32 v6, 0
.LBB1794_100:                           ; =>This Loop Header: Depth=1
                                        ;     Child Loop BB1794_101 Depth 2
	s_max_u32 s19, s7, 1
.LBB1794_101:                           ;   Parent Loop BB1794_100 Depth=1
                                        ; =>  This Inner Loop Header: Depth=2
	s_add_i32 s19, s19, -1
	s_cmp_eq_u32 s19, 0
	s_sleep 1
	s_cbranch_scc0 .LBB1794_101
; %bb.102:                              ;   in Loop: Header=BB1794_100 Depth=1
	s_cmp_lt_u32 s7, 32
	s_cselect_b64 s[20:21], -1, 0
	s_cmp_lg_u64 s[20:21], 0
	s_addc_u32 s7, s7, 0
	;;#ASMSTART
	global_load_dwordx4 v[2:5], v[26:27] off glc	
s_waitcnt vmcnt(0)
	;;#ASMEND
	v_cmp_ne_u16_sdwa s[20:21], v4, v6 src0_sel:BYTE_0 src1_sel:DWORD
	s_or_b64 s[16:17], s[20:21], s[16:17]
	s_andn2_b64 exec, exec, s[16:17]
	s_cbranch_execnz .LBB1794_100
; %bb.103:
	s_or_b64 exec, exec, s[16:17]
.LBB1794_104:
	s_or_b64 exec, exec, s[14:15]
	v_and_b32_e32 v89, 63, v80
	v_cmp_ne_u32_e32 vcc, 63, v89
	v_mov_b32_e32 v88, 2
	v_addc_co_u32_e32 v26, vcc, 0, v80, vcc
	v_cmp_eq_u16_sdwa s[14:15], v4, v88 src0_sel:BYTE_0 src1_sel:DWORD
	v_lshlrev_b64 v[6:7], v80, -1
	v_lshlrev_b32_e32 v90, 2, v26
	v_and_b32_e32 v5, s15, v7
	ds_bpermute_b32 v26, v90, v2
	ds_bpermute_b32 v27, v90, v3
	v_or_b32_e32 v5, 0x80000000, v5
	v_and_b32_e32 v25, s14, v6
	v_ffbl_b32_e32 v5, v5
	v_add_u32_e32 v5, 32, v5
	v_ffbl_b32_e32 v25, v25
	v_min_u32_e32 v5, v25, v5
	s_waitcnt lgkmcnt(1)
	v_add_u32_e32 v25, v26, v2
	s_waitcnt lgkmcnt(0)
	v_add_u32_e32 v26, v27, v3
	v_cmp_lt_u32_e32 vcc, v89, v5
	v_cndmask_b32_e32 v3, v3, v26, vcc
	v_cndmask_b32_e32 v2, v2, v25, vcc
	v_cmp_gt_u32_e32 vcc, 62, v89
	v_cndmask_b32_e64 v25, 0, 1, vcc
	v_lshlrev_b32_e32 v25, 1, v25
	v_add_lshl_u32 v91, v25, v80, 2
	ds_bpermute_b32 v25, v91, v2
	ds_bpermute_b32 v26, v91, v3
	v_add_u32_e32 v92, 2, v89
	v_cmp_gt_u32_e32 vcc, v92, v5
	v_add_u32_e32 v94, 4, v89
	s_waitcnt lgkmcnt(1)
	v_add_u32_e32 v25, v2, v25
	s_waitcnt lgkmcnt(0)
	v_add_u32_e32 v26, v3, v26
	v_cndmask_b32_e32 v3, v26, v3, vcc
	v_cndmask_b32_e32 v2, v25, v2, vcc
	v_cmp_gt_u32_e32 vcc, 60, v89
	v_cndmask_b32_e64 v25, 0, 1, vcc
	v_lshlrev_b32_e32 v25, 2, v25
	v_add_lshl_u32 v93, v25, v80, 2
	ds_bpermute_b32 v25, v93, v2
	ds_bpermute_b32 v26, v93, v3
	v_cmp_gt_u32_e32 vcc, v94, v5
	v_add_u32_e32 v96, 8, v89
	v_add_u32_e32 v98, 16, v89
	s_waitcnt lgkmcnt(1)
	v_add_u32_e32 v25, v2, v25
	s_waitcnt lgkmcnt(0)
	v_add_u32_e32 v26, v3, v26
	v_cndmask_b32_e32 v3, v26, v3, vcc
	v_cndmask_b32_e32 v2, v25, v2, vcc
	v_cmp_gt_u32_e32 vcc, 56, v89
	v_cndmask_b32_e64 v25, 0, 1, vcc
	v_lshlrev_b32_e32 v25, 3, v25
	v_add_lshl_u32 v95, v25, v80, 2
	ds_bpermute_b32 v25, v95, v2
	ds_bpermute_b32 v26, v95, v3
	v_cmp_gt_u32_e32 vcc, v96, v5
	v_add_u32_e32 v100, 32, v89
	s_waitcnt lgkmcnt(1)
	v_add_u32_e32 v25, v2, v25
	s_waitcnt lgkmcnt(0)
	v_add_u32_e32 v26, v3, v26
	v_cndmask_b32_e32 v3, v26, v3, vcc
	v_cndmask_b32_e32 v2, v25, v2, vcc
	v_cmp_gt_u32_e32 vcc, 48, v89
	v_cndmask_b32_e64 v25, 0, 1, vcc
	v_lshlrev_b32_e32 v25, 4, v25
	v_add_lshl_u32 v97, v25, v80, 2
	ds_bpermute_b32 v25, v97, v2
	ds_bpermute_b32 v26, v97, v3
	v_cmp_gt_u32_e32 vcc, v98, v5
	s_waitcnt lgkmcnt(1)
	v_add_u32_e32 v25, v2, v25
	s_waitcnt lgkmcnt(0)
	v_add_u32_e32 v26, v3, v26
	v_cndmask_b32_e32 v3, v26, v3, vcc
	v_cndmask_b32_e32 v2, v25, v2, vcc
	v_cmp_gt_u32_e32 vcc, 32, v89
	v_cndmask_b32_e64 v25, 0, 1, vcc
	v_lshlrev_b32_e32 v25, 5, v25
	v_add_lshl_u32 v99, v25, v80, 2
	ds_bpermute_b32 v25, v99, v2
	ds_bpermute_b32 v26, v99, v3
	v_cmp_le_u32_e32 vcc, v100, v5
	s_waitcnt lgkmcnt(1)
	v_cndmask_b32_e32 v5, 0, v25, vcc
	s_waitcnt lgkmcnt(0)
	v_cndmask_b32_e32 v25, 0, v26, vcc
	v_add_u32_e32 v3, v3, v25
	v_add_u32_e32 v2, v2, v5
	v_mov_b32_e32 v25, 0
	s_branch .LBB1794_106
.LBB1794_105:                           ;   in Loop: Header=BB1794_106 Depth=1
	s_or_b64 exec, exec, s[14:15]
	v_cmp_eq_u16_sdwa s[14:15], v4, v88 src0_sel:BYTE_0 src1_sel:DWORD
	v_and_b32_e32 v5, s15, v7
	ds_bpermute_b32 v29, v90, v2
	ds_bpermute_b32 v101, v90, v3
	v_or_b32_e32 v5, 0x80000000, v5
	v_and_b32_e32 v28, s14, v6
	v_ffbl_b32_e32 v5, v5
	v_add_u32_e32 v5, 32, v5
	v_ffbl_b32_e32 v28, v28
	v_min_u32_e32 v5, v28, v5
	s_waitcnt lgkmcnt(1)
	v_add_u32_e32 v28, v29, v2
	s_waitcnt lgkmcnt(0)
	v_add_u32_e32 v29, v101, v3
	v_cmp_lt_u32_e32 vcc, v89, v5
	v_cndmask_b32_e32 v3, v3, v29, vcc
	v_cndmask_b32_e32 v2, v2, v28, vcc
	ds_bpermute_b32 v28, v91, v2
	ds_bpermute_b32 v29, v91, v3
	v_cmp_gt_u32_e32 vcc, v92, v5
	v_subrev_u32_e32 v24, 64, v24
	s_waitcnt lgkmcnt(1)
	v_add_u32_e32 v28, v2, v28
	s_waitcnt lgkmcnt(0)
	v_add_u32_e32 v29, v3, v29
	v_cndmask_b32_e32 v3, v29, v3, vcc
	v_cndmask_b32_e32 v2, v28, v2, vcc
	ds_bpermute_b32 v28, v93, v2
	ds_bpermute_b32 v29, v93, v3
	v_cmp_gt_u32_e32 vcc, v94, v5
	s_waitcnt lgkmcnt(1)
	v_add_u32_e32 v28, v2, v28
	s_waitcnt lgkmcnt(0)
	v_add_u32_e32 v29, v3, v29
	v_cndmask_b32_e32 v3, v29, v3, vcc
	v_cndmask_b32_e32 v2, v28, v2, vcc
	ds_bpermute_b32 v28, v95, v2
	ds_bpermute_b32 v29, v95, v3
	v_cmp_gt_u32_e32 vcc, v96, v5
	s_waitcnt lgkmcnt(1)
	v_add_u32_e32 v28, v2, v28
	s_waitcnt lgkmcnt(0)
	v_add_u32_e32 v29, v3, v29
	v_cndmask_b32_e32 v3, v29, v3, vcc
	v_cndmask_b32_e32 v2, v28, v2, vcc
	ds_bpermute_b32 v28, v97, v2
	ds_bpermute_b32 v29, v97, v3
	v_cmp_gt_u32_e32 vcc, v98, v5
	s_waitcnt lgkmcnt(1)
	v_add_u32_e32 v28, v2, v28
	s_waitcnt lgkmcnt(0)
	v_add_u32_e32 v29, v3, v29
	v_cndmask_b32_e32 v3, v29, v3, vcc
	v_cndmask_b32_e32 v2, v28, v2, vcc
	ds_bpermute_b32 v28, v99, v2
	ds_bpermute_b32 v29, v99, v3
	v_cmp_le_u32_e32 vcc, v100, v5
	s_waitcnt lgkmcnt(1)
	v_cndmask_b32_e32 v5, 0, v28, vcc
	s_waitcnt lgkmcnt(0)
	v_cndmask_b32_e32 v28, 0, v29, vcc
	v_add3_u32 v3, v28, v27, v3
	v_add3_u32 v2, v5, v26, v2
.LBB1794_106:                           ; =>This Loop Header: Depth=1
                                        ;     Child Loop BB1794_109 Depth 2
                                        ;       Child Loop BB1794_110 Depth 3
	v_cmp_ne_u16_sdwa s[14:15], v4, v88 src0_sel:BYTE_0 src1_sel:DWORD
	v_cndmask_b32_e64 v4, 0, 1, s[14:15]
	;;#ASMSTART
	;;#ASMEND
	v_cmp_ne_u32_e32 vcc, 0, v4
	s_cmp_lg_u64 vcc, exec
	v_pk_mov_b32 v[26:27], v[2:3], v[2:3] op_sel:[0,1]
	s_cbranch_scc1 .LBB1794_113
; %bb.107:                              ;   in Loop: Header=BB1794_106 Depth=1
	v_lshlrev_b64 v[2:3], 4, v[24:25]
	v_mov_b32_e32 v4, s13
	v_add_co_u32_e32 v28, vcc, s12, v2
	v_addc_co_u32_e32 v29, vcc, v4, v3, vcc
	;;#ASMSTART
	global_load_dwordx4 v[2:5], v[28:29] off glc	
s_waitcnt vmcnt(0)
	;;#ASMEND
	v_and_b32_e32 v5, 0xff, v3
	v_and_b32_e32 v101, 0xff00, v3
	v_or3_b32 v5, 0, v5, v101
	v_or3_b32 v2, v2, 0, 0
	v_and_b32_e32 v101, 0xff000000, v3
	v_and_b32_e32 v3, 0xff0000, v3
	v_or3_b32 v3, v5, v3, v101
	v_or3_b32 v2, v2, 0, 0
	v_cmp_eq_u16_sdwa s[16:17], v4, v25 src0_sel:BYTE_0 src1_sel:DWORD
	s_and_saveexec_b64 s[14:15], s[16:17]
	s_cbranch_execz .LBB1794_105
; %bb.108:                              ;   in Loop: Header=BB1794_106 Depth=1
	s_mov_b32 s7, 1
	s_mov_b64 s[16:17], 0
.LBB1794_109:                           ;   Parent Loop BB1794_106 Depth=1
                                        ; =>  This Loop Header: Depth=2
                                        ;       Child Loop BB1794_110 Depth 3
	s_max_u32 s19, s7, 1
.LBB1794_110:                           ;   Parent Loop BB1794_106 Depth=1
                                        ;     Parent Loop BB1794_109 Depth=2
                                        ; =>    This Inner Loop Header: Depth=3
	s_add_i32 s19, s19, -1
	s_cmp_eq_u32 s19, 0
	s_sleep 1
	s_cbranch_scc0 .LBB1794_110
; %bb.111:                              ;   in Loop: Header=BB1794_109 Depth=2
	s_cmp_lt_u32 s7, 32
	s_cselect_b64 s[20:21], -1, 0
	s_cmp_lg_u64 s[20:21], 0
	s_addc_u32 s7, s7, 0
	;;#ASMSTART
	global_load_dwordx4 v[2:5], v[28:29] off glc	
s_waitcnt vmcnt(0)
	;;#ASMEND
	v_cmp_ne_u16_sdwa s[20:21], v4, v25 src0_sel:BYTE_0 src1_sel:DWORD
	s_or_b64 s[16:17], s[20:21], s[16:17]
	s_andn2_b64 exec, exec, s[16:17]
	s_cbranch_execnz .LBB1794_109
; %bb.112:                              ;   in Loop: Header=BB1794_106 Depth=1
	s_or_b64 exec, exec, s[16:17]
	s_branch .LBB1794_105
.LBB1794_113:                           ;   in Loop: Header=BB1794_106 Depth=1
                                        ; implicit-def: $vgpr4
                                        ; implicit-def: $vgpr2_vgpr3
	s_cbranch_execz .LBB1794_106
; %bb.114:
	s_and_saveexec_b64 s[14:15], s[8:9]
	s_cbranch_execz .LBB1794_116
; %bb.115:
	s_add_i32 s6, s6, 64
	s_mov_b32 s7, 0
	v_add_u32_e32 v3, v27, v23
	s_lshl_b64 s[6:7], s[6:7], 4
	s_add_u32 s6, s12, s6
	v_and_b32_e32 v4, 0xff000000, v3
	v_and_b32_e32 v6, 0xff0000, v3
	s_addc_u32 s7, s13, s7
	v_or_b32_e32 v4, v6, v4
	v_and_b32_e32 v6, 0xff00, v3
	v_and_b32_e32 v3, 0xff, v3
	v_add_u32_e32 v2, v26, v22
	v_mov_b32_e32 v5, 0
	v_or3_b32 v3, v4, v6, v3
	v_mov_b32_e32 v4, 2
	v_pk_mov_b32 v[6:7], s[6:7], s[6:7] op_sel:[0,1]
	;;#ASMSTART
	global_store_dwordx4 v[6:7], v[2:5] off	
s_waitcnt vmcnt(0)
	;;#ASMEND
	s_movk_i32 s6, 0x3400
	v_add_u32_e64 v2, s6, 0
	ds_write2_b32 v2, v22, v23 offset1:2
	ds_write2_b32 v2, v26, v27 offset0:4 offset1:6
.LBB1794_116:
	s_or_b64 exec, exec, s[14:15]
	v_cmp_eq_u32_e32 vcc, 0, v0
	s_and_b64 exec, exec, vcc
	s_cbranch_execz .LBB1794_118
; %bb.117:
	v_mov_b32_e32 v2, 0
	ds_write_b64 v2, v[26:27] offset:24
.LBB1794_118:
	s_or_b64 exec, exec, s[10:11]
	v_mov_b32_e32 v2, 0
	s_waitcnt lgkmcnt(0)
	s_barrier
	ds_read_b64 v[6:7], v2 offset:24
	s_movk_i32 s6, 0x3400
	v_cndmask_b32_e64 v2, v87, v21, s[8:9]
	v_cndmask_b32_e64 v1, v1, v20, s[8:9]
	v_add_u32_e64 v4, s6, 0
	s_waitcnt lgkmcnt(0)
	v_add_u32_e32 v20, v6, v1
	v_add_u32_e32 v1, v7, v2
	s_barrier
	ds_read2_b32 v[2:3], v4 offset1:2
	ds_read2_b32 v[4:5], v4 offset0:4 offset1:6
	v_cmp_eq_u32_e32 vcc, 0, v0
	v_cndmask_b32_e32 v1, v1, v7, vcc
	v_cndmask_b32_e32 v20, v20, v6, vcc
	s_branch .LBB1794_129
.LBB1794_119:
                                        ; implicit-def: $vgpr1
                                        ; implicit-def: $vgpr4
                                        ; implicit-def: $vgpr2
                                        ; implicit-def: $vgpr20_vgpr21
	s_cbranch_execz .LBB1794_129
; %bb.120:
	s_nop 0
	v_mov_b32_dpp v1, v85 row_shr:1 row_mask:0xf bank_mask:0xf
	s_waitcnt lgkmcnt(0)
	v_mov_b32_dpp v2, v86 row_shr:1 row_mask:0xf bank_mask:0xf
	v_add_u32_e32 v1, v1, v85
	v_add_u32_e32 v2, v2, v86
	v_cndmask_b32_e64 v2, v2, v86, s[4:5]
	v_cndmask_b32_e64 v1, v1, v85, s[4:5]
	v_cmp_lt_u32_e32 vcc, 3, v84
	v_mov_b32_dpp v4, v2 row_shr:2 row_mask:0xf bank_mask:0xf
	v_mov_b32_dpp v3, v1 row_shr:2 row_mask:0xf bank_mask:0xf
	v_add_u32_e32 v3, v1, v3
	v_add_u32_e32 v4, v2, v4
	v_cndmask_b32_e64 v2, v2, v4, s[2:3]
	v_cndmask_b32_e64 v1, v1, v3, s[2:3]
	s_nop 0
	v_mov_b32_dpp v4, v2 row_shr:4 row_mask:0xf bank_mask:0xf
	v_mov_b32_dpp v3, v1 row_shr:4 row_mask:0xf bank_mask:0xf
	v_add_u32_e32 v3, v1, v3
	v_add_u32_e32 v4, v2, v4
	v_cndmask_b32_e32 v2, v2, v4, vcc
	v_cndmask_b32_e32 v1, v1, v3, vcc
	v_cmp_lt_u32_e32 vcc, 7, v84
	v_mov_b32_dpp v4, v2 row_shr:8 row_mask:0xf bank_mask:0xf
	v_mov_b32_dpp v3, v1 row_shr:8 row_mask:0xf bank_mask:0xf
	v_add_u32_e32 v3, v1, v3
	v_add_u32_e32 v4, v2, v4
	v_cndmask_b32_e32 v2, v2, v4, vcc
	v_cndmask_b32_e32 v1, v1, v3, vcc
	v_cmp_eq_u32_e32 vcc, 0, v83
	v_mov_b32_dpp v4, v2 row_bcast:15 row_mask:0xf bank_mask:0xf
	v_mov_b32_dpp v3, v1 row_bcast:15 row_mask:0xf bank_mask:0xf
	v_add_u32_e32 v3, v1, v3
	v_add_u32_e32 v4, v2, v4
	v_cndmask_b32_e32 v2, v4, v2, vcc
	v_cndmask_b32_e32 v1, v3, v1, vcc
	v_cmp_lt_u32_e32 vcc, 31, v80
	v_mov_b32_dpp v4, v2 row_bcast:31 row_mask:0xf bank_mask:0xf
	v_mov_b32_dpp v3, v1 row_bcast:31 row_mask:0xf bank_mask:0xf
	v_add_u32_e32 v4, v2, v4
	v_add_u32_e32 v5, v1, v3
	v_cndmask_b32_e32 v3, v2, v4, vcc
	v_cndmask_b32_e32 v2, v1, v5, vcc
	v_cmp_eq_u32_e32 vcc, v82, v0
	s_and_saveexec_b64 s[2:3], vcc
	s_cbranch_execz .LBB1794_122
; %bb.121:
	v_lshlrev_b32_e32 v1, 3, v81
	ds_write_b64 v1, v[2:3]
.LBB1794_122:
	s_or_b64 exec, exec, s[2:3]
	v_cmp_gt_u32_e32 vcc, 4, v0
	s_waitcnt lgkmcnt(0)
	s_barrier
	s_and_saveexec_b64 s[2:3], vcc
	s_cbranch_execz .LBB1794_124
; %bb.123:
	v_lshlrev_b32_e32 v1, 3, v0
	ds_read_b64 v[4:5], v1
	v_and_b32_e32 v6, 3, v80
	v_cmp_eq_u32_e32 vcc, 0, v6
	s_waitcnt lgkmcnt(0)
	v_mov_b32_dpp v7, v4 row_shr:1 row_mask:0xf bank_mask:0xf
	v_mov_b32_dpp v20, v5 row_shr:1 row_mask:0xf bank_mask:0xf
	v_add_u32_e32 v7, v7, v4
	v_add_u32_e32 v20, v20, v5
	v_cndmask_b32_e32 v5, v20, v5, vcc
	v_cndmask_b32_e32 v4, v7, v4, vcc
	v_cmp_lt_u32_e32 vcc, 1, v6
	v_mov_b32_dpp v20, v5 row_shr:2 row_mask:0xf bank_mask:0xf
	v_mov_b32_dpp v7, v4 row_shr:2 row_mask:0xf bank_mask:0xf
	v_cndmask_b32_e32 v6, 0, v7, vcc
	v_cndmask_b32_e32 v7, 0, v20, vcc
	v_add_u32_e32 v5, v7, v5
	v_add_u32_e32 v4, v6, v4
	ds_write_b64 v1, v[4:5]
.LBB1794_124:
	s_or_b64 exec, exec, s[2:3]
	v_cmp_lt_u32_e32 vcc, 63, v0
	v_mov_b32_e32 v4, 0
	v_mov_b32_e32 v6, 0
	;; [unrolled: 1-line block ×3, first 2 shown]
	s_waitcnt lgkmcnt(0)
	s_barrier
	s_and_saveexec_b64 s[2:3], vcc
	s_cbranch_execz .LBB1794_126
; %bb.125:
	v_lshl_add_u32 v1, v81, 3, -8
	ds_read_b64 v[6:7], v1
.LBB1794_126:
	s_or_b64 exec, exec, s[2:3]
	s_waitcnt lgkmcnt(0)
	v_add_u32_e32 v5, v7, v3
	v_add_u32_e32 v1, v6, v2
	v_add_u32_e32 v2, -1, v80
	v_and_b32_e32 v3, 64, v80
	v_cmp_lt_i32_e32 vcc, v2, v3
	v_cndmask_b32_e32 v2, v2, v80, vcc
	v_lshlrev_b32_e32 v20, 2, v2
	ds_read_b64 v[2:3], v4 offset:24
	ds_bpermute_b32 v1, v20, v1
	ds_bpermute_b32 v20, v20, v5
	v_cmp_eq_u32_e32 vcc, 0, v0
	s_waitcnt lgkmcnt(2)
	v_readfirstlane_b32 s4, v3
	s_and_saveexec_b64 s[2:3], vcc
	s_cbranch_execz .LBB1794_128
; %bb.127:
	s_add_u32 s6, s12, 0x400
	s_mov_b32 s8, 0
	s_addc_u32 s7, s13, 0
	s_and_b32 s9, s4, 0xff000000
	s_and_b32 s11, s4, 0xff0000
	s_mov_b32 s10, s8
	s_or_b64 s[10:11], s[10:11], s[8:9]
	s_and_b32 s9, s4, 0xff00
	s_or_b64 s[10:11], s[10:11], s[8:9]
	s_and_b32 s9, s4, 0xff
	s_or_b64 s[8:9], s[10:11], s[8:9]
	v_mov_b32_e32 v3, s9
	v_mov_b32_e32 v4, 2
	;; [unrolled: 1-line block ×3, first 2 shown]
	v_pk_mov_b32 v[22:23], s[6:7], s[6:7] op_sel:[0,1]
	;;#ASMSTART
	global_store_dwordx4 v[22:23], v[2:5] off	
s_waitcnt vmcnt(0)
	;;#ASMEND
.LBB1794_128:
	s_or_b64 exec, exec, s[2:3]
	v_cmp_eq_u32_e64 s[2:3], 0, v80
	s_waitcnt lgkmcnt(1)
	v_cndmask_b32_e64 v3, v1, v6, s[2:3]
	s_waitcnt lgkmcnt(0)
	v_cndmask_b32_e64 v1, v20, v7, s[2:3]
	v_mov_b32_e32 v4, 0
	v_cndmask_b32_e64 v1, v1, 0, vcc
	v_cndmask_b32_e64 v20, v3, 0, vcc
	s_barrier
	v_mov_b32_e32 v3, s4
	v_mov_b32_e32 v5, 0
.LBB1794_129:
	v_add_u32_e32 v24, v1, v63
	v_add_u32_e32 v25, v24, v74
	v_add_u32_e32 v21, v20, v62
	v_add_u32_e32 v28, v25, v65
	v_add_u32_e32 v26, v21, v56
	v_add_u32_e32 v29, v28, v75
	v_add_u32_e32 v27, v26, v64
	v_add_u32_e32 v62, v29, v67
	v_add_u32_e32 v56, v27, v57
	v_add_u32_e32 v63, v62, v76
	v_add_u32_e32 v57, v56, v66
	v_add_u32_e32 v65, v63, v69
	v_add_u32_e32 v58, v57, v58
	v_add_u32_e32 v66, v65, v77
	v_mov_b32_e32 v7, s49
	s_waitcnt lgkmcnt(0)
	v_add_co_u32_e32 v6, vcc, s48, v4
	v_add_u32_e32 v64, v58, v68
	v_add_u32_e32 v68, v66, v71
	v_addc_co_u32_e32 v7, vcc, 0, v7, vcc
	v_add_u32_e32 v69, v68, v78
	v_mov_b32_e32 v22, s51
	v_sub_co_u32_e32 v23, vcc, s50, v2
	v_add_u32_e32 v71, v69, v73
	v_subbrev_co_u32_e32 v73, vcc, 0, v22, vcc
	v_add_co_u32_e32 v22, vcc, v23, v5
	v_addc_co_u32_e32 v23, vcc, 0, v73, vcc
	v_lshlrev_b32_e32 v73, 1, v2
	v_sub_u32_e32 v1, v1, v5
	v_add_u32_e32 v74, v73, v3
	v_sub_u32_e32 v20, v20, v4
	v_add_u32_e32 v1, v1, v2
	v_add_u32_e32 v31, v74, v31
	v_and_b32_e32 v33, 1, v33
	v_add_u32_e32 v74, v20, v1
	v_and_b32_e32 v32, 1, v32
	v_sub_u32_e32 v74, v31, v74
	v_cmp_eq_u32_e32 vcc, 1, v33
	v_cndmask_b32_e32 v1, v74, v1, vcc
	v_cmp_eq_u32_e32 vcc, 1, v32
	v_cndmask_b32_e32 v1, v1, v20, vcc
	v_lshlrev_b32_e32 v1, 2, v1
	v_sub_u32_e32 v20, v24, v5
	ds_write_b32 v1, v18
	v_sub_u32_e32 v1, v21, v4
	v_add_u32_e32 v20, v20, v2
	v_add_u32_e32 v24, v20, v1
	v_and_b32_e32 v21, 1, v35
	v_sub_u32_e32 v24, v31, v24
	v_and_b32_e32 v18, 1, v34
	v_add_u32_e32 v24, 1, v24
	v_cmp_eq_u32_e32 vcc, 1, v21
	v_cndmask_b32_e32 v20, v24, v20, vcc
	v_cmp_eq_u32_e32 vcc, 1, v18
	v_cndmask_b32_e32 v1, v20, v1, vcc
	v_lshlrev_b32_e32 v1, 2, v1
	ds_write_b32 v1, v19
	v_sub_u32_e32 v19, v25, v5
	v_sub_u32_e32 v1, v26, v4
	v_add_u32_e32 v19, v19, v2
	v_add_u32_e32 v21, v19, v1
	v_and_b32_e32 v20, 1, v37
	v_sub_u32_e32 v21, v31, v21
	v_and_b32_e32 v18, 1, v36
	v_add_u32_e32 v21, 2, v21
	v_cmp_eq_u32_e32 vcc, 1, v20
	v_cndmask_b32_e32 v19, v21, v19, vcc
	v_cmp_eq_u32_e32 vcc, 1, v18
	v_cndmask_b32_e32 v1, v19, v1, vcc
	v_lshlrev_b32_e32 v1, 2, v1
	v_sub_u32_e32 v18, v28, v5
	ds_write_b32 v1, v16
	v_sub_u32_e32 v1, v27, v4
	v_add_u32_e32 v18, v18, v2
	v_add_u32_e32 v20, v1, v18
	v_and_b32_e32 v19, 1, v38
	v_sub_u32_e32 v20, v31, v20
	v_and_b32_e32 v16, 1, v39
	v_add_u32_e32 v20, 3, v20
	v_cmp_eq_u32_e32 vcc, 1, v19
	v_cndmask_b32_e32 v18, v20, v18, vcc
	v_cmp_eq_u32_e32 vcc, 1, v16
	v_cndmask_b32_e32 v1, v18, v1, vcc
	v_lshlrev_b32_e32 v1, 2, v1
	ds_write_b32 v1, v17
	v_sub_u32_e32 v17, v29, v5
	v_sub_u32_e32 v1, v56, v4
	v_add_u32_e32 v17, v17, v2
	v_add_u32_e32 v19, v1, v17
	v_and_b32_e32 v18, 1, v40
	v_sub_u32_e32 v19, v31, v19
	v_and_b32_e32 v16, 1, v41
	v_add_u32_e32 v19, 4, v19
	;; [unrolled: 28-line block ×3, first 2 shown]
	v_cmp_eq_u32_e32 vcc, 1, v16
	v_cndmask_b32_e32 v15, v17, v15, vcc
	v_cmp_eq_u32_e32 vcc, 1, v14
	v_cndmask_b32_e32 v1, v15, v1, vcc
	v_lshlrev_b32_e32 v1, 2, v1
	v_sub_u32_e32 v14, v65, v5
	ds_write_b32 v1, v12
	v_sub_u32_e32 v1, v64, v4
	v_add_u32_e32 v14, v14, v2
	v_add_u32_e32 v16, v1, v14
	v_and_b32_e32 v15, 1, v46
	v_sub_u32_e32 v16, v31, v16
	v_and_b32_e32 v12, 1, v47
	v_add_u32_e32 v16, 7, v16
	v_cmp_eq_u32_e32 vcc, 1, v15
	v_cndmask_b32_e32 v14, v16, v14, vcc
	v_cmp_eq_u32_e32 vcc, 1, v12
	v_cndmask_b32_e32 v1, v14, v1, vcc
	v_lshlrev_b32_e32 v1, 2, v1
	v_add_u32_e32 v59, v64, v59
	ds_write_b32 v1, v13
	v_sub_u32_e32 v13, v66, v5
	v_sub_u32_e32 v1, v59, v4
	v_add_u32_e32 v13, v13, v2
	v_add_u32_e32 v15, v1, v13
	v_and_b32_e32 v14, 1, v48
	v_sub_u32_e32 v15, v31, v15
	v_and_b32_e32 v12, 1, v49
	v_add_u32_e32 v15, 8, v15
	v_cmp_eq_u32_e32 vcc, 1, v14
	v_cndmask_b32_e32 v13, v15, v13, vcc
	v_cmp_eq_u32_e32 vcc, 1, v12
	v_cndmask_b32_e32 v1, v13, v1, vcc
	v_add_u32_e32 v67, v59, v70
	v_lshlrev_b32_e32 v1, 2, v1
	v_sub_u32_e32 v12, v68, v5
	ds_write_b32 v1, v10
	v_sub_u32_e32 v1, v67, v4
	v_add_u32_e32 v12, v12, v2
	v_add_u32_e32 v14, v1, v12
	v_and_b32_e32 v13, 1, v50
	v_sub_u32_e32 v14, v31, v14
	v_and_b32_e32 v10, 1, v51
	v_add_u32_e32 v14, 9, v14
	v_cmp_eq_u32_e32 vcc, 1, v13
	v_cndmask_b32_e32 v12, v14, v12, vcc
	v_cmp_eq_u32_e32 vcc, 1, v10
	v_cndmask_b32_e32 v1, v12, v1, vcc
	v_lshlrev_b32_e32 v1, 2, v1
	v_add_u32_e32 v60, v67, v60
	ds_write_b32 v1, v11
	v_sub_u32_e32 v11, v69, v5
	v_sub_u32_e32 v1, v60, v4
	v_add_u32_e32 v11, v11, v2
	v_add_u32_e32 v13, v1, v11
	v_and_b32_e32 v12, 1, v52
	v_sub_u32_e32 v13, v31, v13
	v_and_b32_e32 v10, 1, v53
	v_add_u32_e32 v13, 10, v13
	v_cmp_eq_u32_e32 vcc, 1, v12
	v_cndmask_b32_e32 v11, v13, v11, vcc
	v_cmp_eq_u32_e32 vcc, 1, v10
	v_cndmask_b32_e32 v1, v11, v1, vcc
	v_add_u32_e32 v70, v60, v72
	v_lshlrev_b32_e32 v1, 2, v1
	v_sub_u32_e32 v10, v71, v5
	ds_write_b32 v1, v8
	v_sub_u32_e32 v1, v70, v4
	v_add_u32_e32 v10, v10, v2
	v_add_u32_e32 v12, v1, v10
	v_and_b32_e32 v11, 1, v54
	v_sub_u32_e32 v12, v31, v12
	v_and_b32_e32 v8, 1, v55
	v_add_u32_e32 v12, 11, v12
	v_cmp_eq_u32_e32 vcc, 1, v11
	v_cndmask_b32_e32 v10, v12, v10, vcc
	v_cmp_eq_u32_e32 vcc, 1, v8
	v_cndmask_b32_e32 v1, v10, v1, vcc
	v_add_u32_e32 v72, v71, v79
	v_add_u32_e32 v61, v70, v61
	v_lshlrev_b32_e32 v1, 2, v1
	ds_write_b32 v1, v9
	v_sub_u32_e32 v1, v61, v4
	v_sub_u32_e32 v4, v72, v5
	v_add_u32_e32 v4, v4, v2
	v_add_u32_e32 v8, v1, v4
	v_sub_u32_e32 v8, v31, v8
	v_add_u32_e32 v8, 12, v8
	v_cndmask_b32_e64 v4, v8, v4, s[58:59]
	v_cndmask_b32_e64 v1, v4, v1, s[46:47]
	v_lshlrev_b32_e32 v1, 2, v1
	ds_write_b32 v1, v30
	v_add_co_u32_e32 v1, vcc, v3, v73
	v_addc_co_u32_e64 v4, s[2:3], 0, 0, vcc
	v_add_co_u32_e32 v1, vcc, v1, v22
	v_addc_co_u32_e32 v4, vcc, v4, v23, vcc
	s_add_u32 s4, s56, s33
	v_add_co_u32_e32 v1, vcc, v1, v6
	s_addc_u32 s5, s57, 0
	v_addc_co_u32_e32 v4, vcc, v4, v7, vcc
	v_mov_b32_e32 v8, s5
	v_sub_co_u32_e32 v1, vcc, s4, v1
	v_subb_co_u32_e32 v4, vcc, v8, v4, vcc
	v_lshlrev_b64 v[8:9], 2, v[22:23]
	v_mov_b32_e32 v10, s55
	v_add_co_u32_e32 v8, vcc, s54, v8
	v_addc_co_u32_e32 v9, vcc, v10, v9, vcc
	v_lshlrev_b64 v[10:11], 2, v[6:7]
	v_mov_b32_e32 v13, s53
	v_add_co_u32_e32 v10, vcc, s52, v10
	s_add_u32 s6, s34, -4
	v_addc_co_u32_e32 v11, vcc, v13, v11, vcc
	s_addc_u32 s7, s35, -1
	v_add_u32_e32 v12, v2, v3
	s_and_b64 vcc, exec, s[0:1]
	s_mov_b64 s[0:1], -1
	s_waitcnt lgkmcnt(0)
	s_barrier
	s_cbranch_vccz .LBB1794_133
; %bb.130:
	s_and_b64 vcc, exec, s[0:1]
	s_cbranch_vccnz .LBB1794_238
.LBB1794_131:
	v_cmp_eq_u32_e32 vcc, 0, v0
	s_and_b64 s[0:1], vcc, s[30:31]
	s_and_saveexec_b64 s[2:3], s[0:1]
	s_cbranch_execnz .LBB1794_356
.LBB1794_132:
	s_endpgm
.LBB1794_133:
	v_cmp_le_u32_e32 vcc, v2, v0
	s_and_saveexec_b64 s[0:1], vcc
	s_xor_b64 s[0:1], exec, s[0:1]
	s_cbranch_execz .LBB1794_139
; %bb.134:
	v_cmp_le_u32_e32 vcc, v12, v0
	s_and_saveexec_b64 s[2:3], vcc
	s_xor_b64 s[2:3], exec, s[2:3]
	s_cbranch_execz .LBB1794_136
; %bb.135:
	v_lshlrev_b32_e32 v13, 2, v0
	v_add_co_u32_e32 v14, vcc, v1, v0
	ds_read_b32 v13, v13
	v_addc_co_u32_e32 v15, vcc, 0, v4, vcc
	v_lshlrev_b64 v[14:15], 2, v[14:15]
	v_mov_b32_e32 v16, s35
	v_sub_co_u32_e32 v14, vcc, s34, v14
	v_subb_co_u32_e32 v15, vcc, v16, v15, vcc
	s_waitcnt lgkmcnt(0)
	global_store_dword v[14:15], v13, off offset:-4
.LBB1794_136:
	s_andn2_saveexec_b64 s[2:3], s[2:3]
	s_cbranch_execz .LBB1794_138
; %bb.137:
	v_lshlrev_b32_e32 v13, 2, v0
	ds_read_b32 v14, v13
	v_readfirstlane_b32 s4, v8
	v_readfirstlane_b32 s5, v9
	s_waitcnt lgkmcnt(0)
	s_nop 3
	global_store_dword v13, v14, s[4:5]
.LBB1794_138:
	s_or_b64 exec, exec, s[2:3]
.LBB1794_139:
	s_andn2_saveexec_b64 s[0:1], s[0:1]
	s_cbranch_execz .LBB1794_141
; %bb.140:
	v_lshlrev_b32_e32 v13, 2, v0
	ds_read_b32 v14, v13
	v_readfirstlane_b32 s2, v10
	v_readfirstlane_b32 s3, v11
	s_waitcnt lgkmcnt(0)
	s_nop 3
	global_store_dword v13, v14, s[2:3]
.LBB1794_141:
	s_or_b64 exec, exec, s[0:1]
	v_or_b32_e32 v13, 0x100, v0
	v_cmp_le_u32_e32 vcc, v2, v13
	s_and_saveexec_b64 s[0:1], vcc
	s_xor_b64 s[0:1], exec, s[0:1]
	s_cbranch_execz .LBB1794_147
; %bb.142:
	v_cmp_le_u32_e32 vcc, v12, v13
	s_and_saveexec_b64 s[2:3], vcc
	s_xor_b64 s[2:3], exec, s[2:3]
	s_cbranch_execz .LBB1794_144
; %bb.143:
	v_lshlrev_b32_e32 v13, 2, v0
	ds_read_b32 v13, v13 offset:1024
	v_add_co_u32_e32 v14, vcc, v1, v0
	v_addc_co_u32_e32 v15, vcc, 0, v4, vcc
	v_lshlrev_b64 v[14:15], 2, v[14:15]
	v_mov_b32_e32 v16, s7
	v_sub_co_u32_e32 v14, vcc, s6, v14
	v_subb_co_u32_e32 v15, vcc, v16, v15, vcc
	s_waitcnt lgkmcnt(0)
	global_store_dword v[14:15], v13, off offset:-1024
.LBB1794_144:
	s_andn2_saveexec_b64 s[2:3], s[2:3]
	s_cbranch_execz .LBB1794_146
; %bb.145:
	v_lshlrev_b32_e32 v13, 2, v0
	ds_read_b32 v14, v13 offset:1024
	v_readfirstlane_b32 s4, v8
	v_readfirstlane_b32 s5, v9
	s_waitcnt lgkmcnt(0)
	s_nop 3
	global_store_dword v13, v14, s[4:5] offset:1024
.LBB1794_146:
	s_or_b64 exec, exec, s[2:3]
.LBB1794_147:
	s_andn2_saveexec_b64 s[0:1], s[0:1]
	s_cbranch_execz .LBB1794_149
; %bb.148:
	v_lshlrev_b32_e32 v13, 2, v0
	ds_read_b32 v14, v13 offset:1024
	v_readfirstlane_b32 s2, v10
	v_readfirstlane_b32 s3, v11
	s_waitcnt lgkmcnt(0)
	s_nop 3
	global_store_dword v13, v14, s[2:3] offset:1024
.LBB1794_149:
	s_or_b64 exec, exec, s[0:1]
	v_or_b32_e32 v13, 0x200, v0
	v_cmp_le_u32_e32 vcc, v2, v13
	s_and_saveexec_b64 s[0:1], vcc
	s_xor_b64 s[0:1], exec, s[0:1]
	s_cbranch_execz .LBB1794_155
; %bb.150:
	v_cmp_le_u32_e32 vcc, v12, v13
	s_and_saveexec_b64 s[2:3], vcc
	s_xor_b64 s[2:3], exec, s[2:3]
	s_cbranch_execz .LBB1794_152
; %bb.151:
	v_lshlrev_b32_e32 v13, 2, v0
	ds_read_b32 v13, v13 offset:2048
	v_add_co_u32_e32 v14, vcc, v1, v0
	v_addc_co_u32_e32 v15, vcc, 0, v4, vcc
	v_lshlrev_b64 v[14:15], 2, v[14:15]
	v_mov_b32_e32 v16, s7
	v_sub_co_u32_e32 v14, vcc, s6, v14
	v_subb_co_u32_e32 v15, vcc, v16, v15, vcc
	s_waitcnt lgkmcnt(0)
	global_store_dword v[14:15], v13, off offset:-2048
.LBB1794_152:
	s_andn2_saveexec_b64 s[2:3], s[2:3]
	s_cbranch_execz .LBB1794_154
; %bb.153:
	v_lshlrev_b32_e32 v13, 2, v0
	ds_read_b32 v14, v13 offset:2048
	v_readfirstlane_b32 s4, v8
	v_readfirstlane_b32 s5, v9
	s_waitcnt lgkmcnt(0)
	s_nop 3
	global_store_dword v13, v14, s[4:5] offset:2048
.LBB1794_154:
	s_or_b64 exec, exec, s[2:3]
.LBB1794_155:
	s_andn2_saveexec_b64 s[0:1], s[0:1]
	s_cbranch_execz .LBB1794_157
; %bb.156:
	v_lshlrev_b32_e32 v13, 2, v0
	ds_read_b32 v14, v13 offset:2048
	v_readfirstlane_b32 s2, v10
	v_readfirstlane_b32 s3, v11
	s_waitcnt lgkmcnt(0)
	s_nop 3
	global_store_dword v13, v14, s[2:3] offset:2048
.LBB1794_157:
	;; [unrolled: 47-line block ×3, first 2 shown]
	s_or_b64 exec, exec, s[0:1]
	v_or_b32_e32 v13, 0x400, v0
	v_cmp_le_u32_e32 vcc, v2, v13
	s_and_saveexec_b64 s[0:1], vcc
	s_xor_b64 s[0:1], exec, s[0:1]
	s_cbranch_execz .LBB1794_171
; %bb.166:
	v_cmp_le_u32_e32 vcc, v12, v13
	s_and_saveexec_b64 s[2:3], vcc
	s_xor_b64 s[2:3], exec, s[2:3]
	s_cbranch_execz .LBB1794_168
; %bb.167:
	v_lshlrev_b32_e32 v13, 2, v0
	ds_read_b32 v13, v13 offset:4096
	v_add_co_u32_e32 v14, vcc, v1, v0
	v_addc_co_u32_e32 v15, vcc, 0, v4, vcc
	v_lshlrev_b64 v[14:15], 2, v[14:15]
	v_mov_b32_e32 v16, s7
	v_sub_co_u32_e32 v14, vcc, s6, v14
	v_subb_co_u32_e32 v15, vcc, v16, v15, vcc
	s_waitcnt lgkmcnt(0)
	global_store_dword v[14:15], v13, off offset:-4096
                                        ; implicit-def: $vgpr13
.LBB1794_168:
	s_andn2_saveexec_b64 s[2:3], s[2:3]
	s_cbranch_execz .LBB1794_170
; %bb.169:
	v_lshlrev_b32_e32 v14, 2, v0
	ds_read_b32 v14, v14 offset:4096
	v_lshlrev_b32_e32 v13, 2, v13
	v_readfirstlane_b32 s4, v8
	v_readfirstlane_b32 s5, v9
	s_waitcnt lgkmcnt(0)
	s_nop 3
	global_store_dword v13, v14, s[4:5]
.LBB1794_170:
	s_or_b64 exec, exec, s[2:3]
                                        ; implicit-def: $vgpr13
.LBB1794_171:
	s_andn2_saveexec_b64 s[0:1], s[0:1]
	s_cbranch_execz .LBB1794_173
; %bb.172:
	v_lshlrev_b32_e32 v14, 2, v0
	ds_read_b32 v14, v14 offset:4096
	v_lshlrev_b32_e32 v13, 2, v13
	v_readfirstlane_b32 s2, v10
	v_readfirstlane_b32 s3, v11
	s_waitcnt lgkmcnt(0)
	s_nop 3
	global_store_dword v13, v14, s[2:3]
.LBB1794_173:
	s_or_b64 exec, exec, s[0:1]
	v_or_b32_e32 v13, 0x500, v0
	v_cmp_le_u32_e32 vcc, v2, v13
	s_and_saveexec_b64 s[0:1], vcc
	s_xor_b64 s[0:1], exec, s[0:1]
	s_cbranch_execz .LBB1794_179
; %bb.174:
	v_cmp_le_u32_e32 vcc, v12, v13
	s_and_saveexec_b64 s[2:3], vcc
	s_xor_b64 s[2:3], exec, s[2:3]
	s_cbranch_execz .LBB1794_176
; %bb.175:
	v_add_co_u32_e32 v14, vcc, v1, v13
	v_lshlrev_b32_e32 v13, 2, v0
	ds_read_b32 v13, v13 offset:5120
	v_addc_co_u32_e32 v15, vcc, 0, v4, vcc
	v_lshlrev_b64 v[14:15], 2, v[14:15]
	v_mov_b32_e32 v16, s7
	v_sub_co_u32_e32 v14, vcc, s6, v14
	v_subb_co_u32_e32 v15, vcc, v16, v15, vcc
	s_waitcnt lgkmcnt(0)
	global_store_dword v[14:15], v13, off
                                        ; implicit-def: $vgpr13
.LBB1794_176:
	s_andn2_saveexec_b64 s[2:3], s[2:3]
	s_cbranch_execz .LBB1794_178
; %bb.177:
	v_lshlrev_b32_e32 v14, 2, v0
	ds_read_b32 v14, v14 offset:5120
	v_lshlrev_b32_e32 v13, 2, v13
	v_readfirstlane_b32 s4, v8
	v_readfirstlane_b32 s5, v9
	s_waitcnt lgkmcnt(0)
	s_nop 3
	global_store_dword v13, v14, s[4:5]
.LBB1794_178:
	s_or_b64 exec, exec, s[2:3]
                                        ; implicit-def: $vgpr13
.LBB1794_179:
	s_andn2_saveexec_b64 s[0:1], s[0:1]
	s_cbranch_execz .LBB1794_181
; %bb.180:
	v_lshlrev_b32_e32 v14, 2, v0
	ds_read_b32 v14, v14 offset:5120
	v_lshlrev_b32_e32 v13, 2, v13
	v_readfirstlane_b32 s2, v10
	v_readfirstlane_b32 s3, v11
	s_waitcnt lgkmcnt(0)
	s_nop 3
	global_store_dword v13, v14, s[2:3]
.LBB1794_181:
	s_or_b64 exec, exec, s[0:1]
	v_or_b32_e32 v13, 0x600, v0
	v_cmp_le_u32_e32 vcc, v2, v13
	s_and_saveexec_b64 s[0:1], vcc
	s_xor_b64 s[0:1], exec, s[0:1]
	s_cbranch_execz .LBB1794_187
; %bb.182:
	v_cmp_le_u32_e32 vcc, v12, v13
	s_and_saveexec_b64 s[2:3], vcc
	s_xor_b64 s[2:3], exec, s[2:3]
	s_cbranch_execz .LBB1794_184
; %bb.183:
	v_add_co_u32_e32 v14, vcc, v1, v13
	v_lshlrev_b32_e32 v13, 2, v0
	ds_read_b32 v13, v13 offset:6144
	v_addc_co_u32_e32 v15, vcc, 0, v4, vcc
	v_lshlrev_b64 v[14:15], 2, v[14:15]
	v_mov_b32_e32 v16, s7
	v_sub_co_u32_e32 v14, vcc, s6, v14
	v_subb_co_u32_e32 v15, vcc, v16, v15, vcc
	s_waitcnt lgkmcnt(0)
	global_store_dword v[14:15], v13, off
                                        ; implicit-def: $vgpr13
.LBB1794_184:
	s_andn2_saveexec_b64 s[2:3], s[2:3]
	s_cbranch_execz .LBB1794_186
; %bb.185:
	v_lshlrev_b32_e32 v14, 2, v0
	ds_read_b32 v14, v14 offset:6144
	v_lshlrev_b32_e32 v13, 2, v13
	v_readfirstlane_b32 s4, v8
	v_readfirstlane_b32 s5, v9
	s_waitcnt lgkmcnt(0)
	s_nop 3
	global_store_dword v13, v14, s[4:5]
.LBB1794_186:
	s_or_b64 exec, exec, s[2:3]
                                        ; implicit-def: $vgpr13
.LBB1794_187:
	;; [unrolled: 51-line block ×8, first 2 shown]
	s_andn2_saveexec_b64 s[0:1], s[0:1]
	s_cbranch_execz .LBB1794_237
; %bb.236:
	v_lshlrev_b32_e32 v14, 2, v0
	ds_read_b32 v14, v14 offset:12288
	v_lshlrev_b32_e32 v13, 2, v13
	v_readfirstlane_b32 s2, v10
	v_readfirstlane_b32 s3, v11
	s_waitcnt lgkmcnt(0)
	s_nop 3
	global_store_dword v13, v14, s[2:3]
.LBB1794_237:
	s_or_b64 exec, exec, s[0:1]
	s_branch .LBB1794_131
.LBB1794_238:
	v_cmp_gt_u32_e32 vcc, s18, v0
	s_and_saveexec_b64 s[0:1], vcc
	s_cbranch_execz .LBB1794_247
; %bb.239:
	v_cmp_le_u32_e32 vcc, v2, v0
	s_and_saveexec_b64 s[2:3], vcc
	s_xor_b64 s[2:3], exec, s[2:3]
	s_cbranch_execz .LBB1794_245
; %bb.240:
	v_cmp_le_u32_e32 vcc, v12, v0
	s_and_saveexec_b64 s[4:5], vcc
	s_xor_b64 s[4:5], exec, s[4:5]
	s_cbranch_execz .LBB1794_242
; %bb.241:
	v_lshlrev_b32_e32 v13, 2, v0
	v_add_co_u32_e32 v14, vcc, v1, v0
	ds_read_b32 v13, v13
	v_addc_co_u32_e32 v15, vcc, 0, v4, vcc
	v_lshlrev_b64 v[14:15], 2, v[14:15]
	v_mov_b32_e32 v16, s35
	v_sub_co_u32_e32 v14, vcc, s34, v14
	v_subb_co_u32_e32 v15, vcc, v16, v15, vcc
	s_waitcnt lgkmcnt(0)
	global_store_dword v[14:15], v13, off offset:-4
.LBB1794_242:
	s_andn2_saveexec_b64 s[4:5], s[4:5]
	s_cbranch_execz .LBB1794_244
; %bb.243:
	v_lshlrev_b32_e32 v13, 2, v0
	ds_read_b32 v14, v13
	v_readfirstlane_b32 s8, v8
	v_readfirstlane_b32 s9, v9
	s_waitcnt lgkmcnt(0)
	s_nop 3
	global_store_dword v13, v14, s[8:9]
.LBB1794_244:
	s_or_b64 exec, exec, s[4:5]
.LBB1794_245:
	s_andn2_saveexec_b64 s[2:3], s[2:3]
	s_cbranch_execz .LBB1794_247
; %bb.246:
	v_lshlrev_b32_e32 v13, 2, v0
	ds_read_b32 v14, v13
	v_readfirstlane_b32 s2, v10
	v_readfirstlane_b32 s3, v11
	s_waitcnt lgkmcnt(0)
	s_nop 3
	global_store_dword v13, v14, s[2:3]
.LBB1794_247:
	s_or_b64 exec, exec, s[0:1]
	v_or_b32_e32 v13, 0x100, v0
	v_cmp_gt_u32_e32 vcc, s18, v13
	s_and_saveexec_b64 s[0:1], vcc
	s_cbranch_execz .LBB1794_256
; %bb.248:
	v_cmp_le_u32_e32 vcc, v2, v13
	s_and_saveexec_b64 s[2:3], vcc
	s_xor_b64 s[2:3], exec, s[2:3]
	s_cbranch_execz .LBB1794_254
; %bb.249:
	v_cmp_le_u32_e32 vcc, v12, v13
	s_and_saveexec_b64 s[4:5], vcc
	s_xor_b64 s[4:5], exec, s[4:5]
	s_cbranch_execz .LBB1794_251
; %bb.250:
	v_lshlrev_b32_e32 v13, 2, v0
	ds_read_b32 v13, v13 offset:1024
	v_add_co_u32_e32 v14, vcc, v1, v0
	v_addc_co_u32_e32 v15, vcc, 0, v4, vcc
	v_lshlrev_b64 v[14:15], 2, v[14:15]
	v_mov_b32_e32 v16, s7
	v_sub_co_u32_e32 v14, vcc, s6, v14
	v_subb_co_u32_e32 v15, vcc, v16, v15, vcc
	s_waitcnt lgkmcnt(0)
	global_store_dword v[14:15], v13, off offset:-1024
.LBB1794_251:
	s_andn2_saveexec_b64 s[4:5], s[4:5]
	s_cbranch_execz .LBB1794_253
; %bb.252:
	v_lshlrev_b32_e32 v13, 2, v0
	ds_read_b32 v14, v13 offset:1024
	v_readfirstlane_b32 s8, v8
	v_readfirstlane_b32 s9, v9
	s_waitcnt lgkmcnt(0)
	s_nop 3
	global_store_dword v13, v14, s[8:9] offset:1024
.LBB1794_253:
	s_or_b64 exec, exec, s[4:5]
.LBB1794_254:
	s_andn2_saveexec_b64 s[2:3], s[2:3]
	s_cbranch_execz .LBB1794_256
; %bb.255:
	v_lshlrev_b32_e32 v13, 2, v0
	ds_read_b32 v14, v13 offset:1024
	v_readfirstlane_b32 s2, v10
	v_readfirstlane_b32 s3, v11
	s_waitcnt lgkmcnt(0)
	s_nop 3
	global_store_dword v13, v14, s[2:3] offset:1024
.LBB1794_256:
	s_or_b64 exec, exec, s[0:1]
	v_or_b32_e32 v13, 0x200, v0
	v_cmp_gt_u32_e32 vcc, s18, v13
	s_and_saveexec_b64 s[0:1], vcc
	s_cbranch_execz .LBB1794_265
; %bb.257:
	v_cmp_le_u32_e32 vcc, v2, v13
	s_and_saveexec_b64 s[2:3], vcc
	s_xor_b64 s[2:3], exec, s[2:3]
	s_cbranch_execz .LBB1794_263
; %bb.258:
	v_cmp_le_u32_e32 vcc, v12, v13
	s_and_saveexec_b64 s[4:5], vcc
	s_xor_b64 s[4:5], exec, s[4:5]
	s_cbranch_execz .LBB1794_260
; %bb.259:
	v_lshlrev_b32_e32 v13, 2, v0
	ds_read_b32 v13, v13 offset:2048
	v_add_co_u32_e32 v14, vcc, v1, v0
	v_addc_co_u32_e32 v15, vcc, 0, v4, vcc
	v_lshlrev_b64 v[14:15], 2, v[14:15]
	v_mov_b32_e32 v16, s7
	v_sub_co_u32_e32 v14, vcc, s6, v14
	v_subb_co_u32_e32 v15, vcc, v16, v15, vcc
	s_waitcnt lgkmcnt(0)
	global_store_dword v[14:15], v13, off offset:-2048
.LBB1794_260:
	s_andn2_saveexec_b64 s[4:5], s[4:5]
	s_cbranch_execz .LBB1794_262
; %bb.261:
	v_lshlrev_b32_e32 v13, 2, v0
	ds_read_b32 v14, v13 offset:2048
	v_readfirstlane_b32 s8, v8
	v_readfirstlane_b32 s9, v9
	s_waitcnt lgkmcnt(0)
	s_nop 3
	global_store_dword v13, v14, s[8:9] offset:2048
.LBB1794_262:
	s_or_b64 exec, exec, s[4:5]
.LBB1794_263:
	s_andn2_saveexec_b64 s[2:3], s[2:3]
	s_cbranch_execz .LBB1794_265
; %bb.264:
	v_lshlrev_b32_e32 v13, 2, v0
	ds_read_b32 v14, v13 offset:2048
	v_readfirstlane_b32 s2, v10
	v_readfirstlane_b32 s3, v11
	s_waitcnt lgkmcnt(0)
	s_nop 3
	global_store_dword v13, v14, s[2:3] offset:2048
.LBB1794_265:
	;; [unrolled: 51-line block ×3, first 2 shown]
	s_or_b64 exec, exec, s[0:1]
	v_or_b32_e32 v13, 0x400, v0
	v_cmp_gt_u32_e32 vcc, s18, v13
	s_and_saveexec_b64 s[0:1], vcc
	s_cbranch_execz .LBB1794_283
; %bb.275:
	v_cmp_le_u32_e32 vcc, v2, v13
	s_and_saveexec_b64 s[2:3], vcc
	s_xor_b64 s[2:3], exec, s[2:3]
	s_cbranch_execz .LBB1794_281
; %bb.276:
	v_cmp_le_u32_e32 vcc, v12, v13
	s_and_saveexec_b64 s[4:5], vcc
	s_xor_b64 s[4:5], exec, s[4:5]
	s_cbranch_execz .LBB1794_278
; %bb.277:
	v_lshlrev_b32_e32 v13, 2, v0
	ds_read_b32 v13, v13 offset:4096
	v_add_co_u32_e32 v14, vcc, v1, v0
	v_addc_co_u32_e32 v15, vcc, 0, v4, vcc
	v_lshlrev_b64 v[14:15], 2, v[14:15]
	v_mov_b32_e32 v16, s7
	v_sub_co_u32_e32 v14, vcc, s6, v14
	v_subb_co_u32_e32 v15, vcc, v16, v15, vcc
	s_waitcnt lgkmcnt(0)
	global_store_dword v[14:15], v13, off offset:-4096
                                        ; implicit-def: $vgpr13
.LBB1794_278:
	s_andn2_saveexec_b64 s[4:5], s[4:5]
	s_cbranch_execz .LBB1794_280
; %bb.279:
	v_lshlrev_b32_e32 v14, 2, v0
	ds_read_b32 v14, v14 offset:4096
	v_lshlrev_b32_e32 v13, 2, v13
	v_readfirstlane_b32 s8, v8
	v_readfirstlane_b32 s9, v9
	s_waitcnt lgkmcnt(0)
	s_nop 3
	global_store_dword v13, v14, s[8:9]
.LBB1794_280:
	s_or_b64 exec, exec, s[4:5]
                                        ; implicit-def: $vgpr13
.LBB1794_281:
	s_andn2_saveexec_b64 s[2:3], s[2:3]
	s_cbranch_execz .LBB1794_283
; %bb.282:
	v_lshlrev_b32_e32 v14, 2, v0
	ds_read_b32 v14, v14 offset:4096
	v_lshlrev_b32_e32 v13, 2, v13
	v_readfirstlane_b32 s2, v10
	v_readfirstlane_b32 s3, v11
	s_waitcnt lgkmcnt(0)
	s_nop 3
	global_store_dword v13, v14, s[2:3]
.LBB1794_283:
	s_or_b64 exec, exec, s[0:1]
	v_or_b32_e32 v13, 0x500, v0
	v_cmp_gt_u32_e32 vcc, s18, v13
	s_and_saveexec_b64 s[0:1], vcc
	s_cbranch_execz .LBB1794_292
; %bb.284:
	v_cmp_le_u32_e32 vcc, v2, v13
	s_and_saveexec_b64 s[2:3], vcc
	s_xor_b64 s[2:3], exec, s[2:3]
	s_cbranch_execz .LBB1794_290
; %bb.285:
	v_cmp_le_u32_e32 vcc, v12, v13
	s_and_saveexec_b64 s[4:5], vcc
	s_xor_b64 s[4:5], exec, s[4:5]
	s_cbranch_execz .LBB1794_287
; %bb.286:
	v_add_co_u32_e32 v14, vcc, v1, v13
	v_lshlrev_b32_e32 v13, 2, v0
	ds_read_b32 v13, v13 offset:5120
	v_addc_co_u32_e32 v15, vcc, 0, v4, vcc
	v_lshlrev_b64 v[14:15], 2, v[14:15]
	v_mov_b32_e32 v16, s7
	v_sub_co_u32_e32 v14, vcc, s6, v14
	v_subb_co_u32_e32 v15, vcc, v16, v15, vcc
	s_waitcnt lgkmcnt(0)
	global_store_dword v[14:15], v13, off
                                        ; implicit-def: $vgpr13
.LBB1794_287:
	s_andn2_saveexec_b64 s[4:5], s[4:5]
	s_cbranch_execz .LBB1794_289
; %bb.288:
	v_lshlrev_b32_e32 v14, 2, v0
	ds_read_b32 v14, v14 offset:5120
	v_lshlrev_b32_e32 v13, 2, v13
	v_readfirstlane_b32 s8, v8
	v_readfirstlane_b32 s9, v9
	s_waitcnt lgkmcnt(0)
	s_nop 3
	global_store_dword v13, v14, s[8:9]
.LBB1794_289:
	s_or_b64 exec, exec, s[4:5]
                                        ; implicit-def: $vgpr13
.LBB1794_290:
	s_andn2_saveexec_b64 s[2:3], s[2:3]
	s_cbranch_execz .LBB1794_292
; %bb.291:
	v_lshlrev_b32_e32 v14, 2, v0
	ds_read_b32 v14, v14 offset:5120
	v_lshlrev_b32_e32 v13, 2, v13
	v_readfirstlane_b32 s2, v10
	v_readfirstlane_b32 s3, v11
	s_waitcnt lgkmcnt(0)
	s_nop 3
	global_store_dword v13, v14, s[2:3]
.LBB1794_292:
	s_or_b64 exec, exec, s[0:1]
	v_or_b32_e32 v13, 0x600, v0
	v_cmp_gt_u32_e32 vcc, s18, v13
	s_and_saveexec_b64 s[0:1], vcc
	s_cbranch_execz .LBB1794_301
; %bb.293:
	v_cmp_le_u32_e32 vcc, v2, v13
	s_and_saveexec_b64 s[2:3], vcc
	s_xor_b64 s[2:3], exec, s[2:3]
	s_cbranch_execz .LBB1794_299
; %bb.294:
	v_cmp_le_u32_e32 vcc, v12, v13
	s_and_saveexec_b64 s[4:5], vcc
	s_xor_b64 s[4:5], exec, s[4:5]
	s_cbranch_execz .LBB1794_296
; %bb.295:
	v_add_co_u32_e32 v14, vcc, v1, v13
	v_lshlrev_b32_e32 v13, 2, v0
	ds_read_b32 v13, v13 offset:6144
	v_addc_co_u32_e32 v15, vcc, 0, v4, vcc
	v_lshlrev_b64 v[14:15], 2, v[14:15]
	v_mov_b32_e32 v16, s7
	v_sub_co_u32_e32 v14, vcc, s6, v14
	v_subb_co_u32_e32 v15, vcc, v16, v15, vcc
	s_waitcnt lgkmcnt(0)
	global_store_dword v[14:15], v13, off
                                        ; implicit-def: $vgpr13
.LBB1794_296:
	s_andn2_saveexec_b64 s[4:5], s[4:5]
	s_cbranch_execz .LBB1794_298
; %bb.297:
	v_lshlrev_b32_e32 v14, 2, v0
	ds_read_b32 v14, v14 offset:6144
	v_lshlrev_b32_e32 v13, 2, v13
	v_readfirstlane_b32 s8, v8
	v_readfirstlane_b32 s9, v9
	s_waitcnt lgkmcnt(0)
	s_nop 3
	global_store_dword v13, v14, s[8:9]
.LBB1794_298:
	s_or_b64 exec, exec, s[4:5]
                                        ; implicit-def: $vgpr13
.LBB1794_299:
	s_andn2_saveexec_b64 s[2:3], s[2:3]
	s_cbranch_execz .LBB1794_301
; %bb.300:
	v_lshlrev_b32_e32 v14, 2, v0
	ds_read_b32 v14, v14 offset:6144
	v_lshlrev_b32_e32 v13, 2, v13
	v_readfirstlane_b32 s2, v10
	v_readfirstlane_b32 s3, v11
	s_waitcnt lgkmcnt(0)
	s_nop 3
	global_store_dword v13, v14, s[2:3]
.LBB1794_301:
	;; [unrolled: 55-line block ×7, first 2 shown]
	s_or_b64 exec, exec, s[0:1]
	v_or_b32_e32 v13, 0xc00, v0
	v_cmp_gt_u32_e32 vcc, s18, v13
	s_and_saveexec_b64 s[0:1], vcc
	s_cbranch_execz .LBB1794_355
; %bb.347:
	v_cmp_le_u32_e32 vcc, v2, v13
	s_and_saveexec_b64 s[2:3], vcc
	s_xor_b64 s[2:3], exec, s[2:3]
	s_cbranch_execz .LBB1794_353
; %bb.348:
	v_cmp_le_u32_e32 vcc, v12, v13
	s_and_saveexec_b64 s[4:5], vcc
	s_xor_b64 s[4:5], exec, s[4:5]
	s_cbranch_execz .LBB1794_350
; %bb.349:
	v_add_co_u32_e32 v8, vcc, v1, v13
	v_lshlrev_b32_e32 v1, 2, v0
	ds_read_b32 v1, v1 offset:12288
	v_addc_co_u32_e32 v9, vcc, 0, v4, vcc
	v_lshlrev_b64 v[8:9], 2, v[8:9]
	v_mov_b32_e32 v4, s7
	v_sub_co_u32_e32 v8, vcc, s6, v8
	v_subb_co_u32_e32 v9, vcc, v4, v9, vcc
	s_waitcnt lgkmcnt(0)
	global_store_dword v[8:9], v1, off
                                        ; implicit-def: $vgpr13
                                        ; implicit-def: $vgpr8_vgpr9
.LBB1794_350:
	s_andn2_saveexec_b64 s[4:5], s[4:5]
	s_cbranch_execz .LBB1794_352
; %bb.351:
	v_lshlrev_b32_e32 v1, 2, v0
	ds_read_b32 v1, v1 offset:12288
	v_lshlrev_b32_e32 v4, 2, v13
	v_readfirstlane_b32 s6, v8
	v_readfirstlane_b32 s7, v9
	s_waitcnt lgkmcnt(0)
	s_nop 3
	global_store_dword v4, v1, s[6:7]
.LBB1794_352:
	s_or_b64 exec, exec, s[4:5]
                                        ; implicit-def: $vgpr13
                                        ; implicit-def: $vgpr10_vgpr11
.LBB1794_353:
	s_andn2_saveexec_b64 s[2:3], s[2:3]
	s_cbranch_execz .LBB1794_355
; %bb.354:
	v_lshlrev_b32_e32 v1, 2, v0
	ds_read_b32 v1, v1 offset:12288
	v_lshlrev_b32_e32 v4, 2, v13
	v_readfirstlane_b32 s2, v10
	v_readfirstlane_b32 s3, v11
	s_waitcnt lgkmcnt(0)
	s_nop 3
	global_store_dword v4, v1, s[2:3]
.LBB1794_355:
	s_or_b64 exec, exec, s[0:1]
	v_cmp_eq_u32_e32 vcc, 0, v0
	s_and_b64 s[0:1], vcc, s[30:31]
	s_and_saveexec_b64 s[2:3], s[0:1]
	s_cbranch_execz .LBB1794_132
.LBB1794_356:
	v_add_co_u32_e32 v0, vcc, v6, v2
	v_addc_co_u32_e32 v1, vcc, 0, v7, vcc
	v_mov_b32_e32 v2, s51
	v_add_co_u32_e32 v3, vcc, s50, v3
	v_addc_co_u32_e32 v6, vcc, 0, v2, vcc
	v_add_co_u32_e32 v2, vcc, v3, v5
	v_mov_b32_e32 v4, 0
	v_addc_co_u32_e32 v3, vcc, 0, v6, vcc
	global_store_dwordx4 v4, v[0:3], s[44:45]
	s_endpgm
	.section	.rodata,"a",@progbits
	.p2align	6, 0x0
	.amdhsa_kernel _ZN7rocprim17ROCPRIM_400000_NS6detail17trampoline_kernelINS0_13select_configILj256ELj13ELNS0_17block_load_methodE3ELS4_3ELS4_3ELNS0_20block_scan_algorithmE0ELj4294967295EEENS1_25partition_config_selectorILNS1_17partition_subalgoE4EjNS0_10empty_typeEbEEZZNS1_14partition_implILS8_4ELb0ES6_15HIP_vector_typeIjLj2EENS0_17counting_iteratorIjlEEPS9_SG_NS0_5tupleIJPjSI_NS0_16reverse_iteratorISI_EEEEENSH_IJSG_SG_SG_EEES9_SI_JZNS1_25segmented_radix_sort_implINS0_14default_configELb0EPK6__halfPSP_PKlPlN2at6native12_GLOBAL__N_18offset_tEEE10hipError_tPvRmT1_PNSt15iterator_traitsIS13_E10value_typeET2_T3_PNS14_IS19_E10value_typeET4_jRbjT5_S1F_jjP12ihipStream_tbEUljE_ZNSN_ISO_Lb0ESR_SS_SU_SV_SZ_EES10_S11_S12_S13_S17_S18_S19_S1C_S1D_jS1E_jS1F_S1F_jjS1H_bEUljE0_EEES10_S11_S12_S19_S1D_S1F_T6_T7_T9_mT8_S1H_bDpT10_ENKUlT_T0_E_clISt17integral_constantIbLb1EES1U_IbLb0EEEEDaS1Q_S1R_EUlS1Q_E_NS1_11comp_targetILNS1_3genE4ELNS1_11target_archE910ELNS1_3gpuE8ELNS1_3repE0EEENS1_30default_config_static_selectorELNS0_4arch9wavefront6targetE1EEEvS13_
		.amdhsa_group_segment_fixed_size 13340
		.amdhsa_private_segment_fixed_size 0
		.amdhsa_kernarg_size 176
		.amdhsa_user_sgpr_count 6
		.amdhsa_user_sgpr_private_segment_buffer 1
		.amdhsa_user_sgpr_dispatch_ptr 0
		.amdhsa_user_sgpr_queue_ptr 0
		.amdhsa_user_sgpr_kernarg_segment_ptr 1
		.amdhsa_user_sgpr_dispatch_id 0
		.amdhsa_user_sgpr_flat_scratch_init 0
		.amdhsa_user_sgpr_kernarg_preload_length 0
		.amdhsa_user_sgpr_kernarg_preload_offset 0
		.amdhsa_user_sgpr_private_segment_size 0
		.amdhsa_uses_dynamic_stack 0
		.amdhsa_system_sgpr_private_segment_wavefront_offset 0
		.amdhsa_system_sgpr_workgroup_id_x 1
		.amdhsa_system_sgpr_workgroup_id_y 0
		.amdhsa_system_sgpr_workgroup_id_z 0
		.amdhsa_system_sgpr_workgroup_info 0
		.amdhsa_system_vgpr_workitem_id 0
		.amdhsa_next_free_vgpr 102
		.amdhsa_next_free_sgpr 90
		.amdhsa_accum_offset 104
		.amdhsa_reserve_vcc 1
		.amdhsa_reserve_flat_scratch 0
		.amdhsa_float_round_mode_32 0
		.amdhsa_float_round_mode_16_64 0
		.amdhsa_float_denorm_mode_32 3
		.amdhsa_float_denorm_mode_16_64 3
		.amdhsa_dx10_clamp 1
		.amdhsa_ieee_mode 1
		.amdhsa_fp16_overflow 0
		.amdhsa_tg_split 0
		.amdhsa_exception_fp_ieee_invalid_op 0
		.amdhsa_exception_fp_denorm_src 0
		.amdhsa_exception_fp_ieee_div_zero 0
		.amdhsa_exception_fp_ieee_overflow 0
		.amdhsa_exception_fp_ieee_underflow 0
		.amdhsa_exception_fp_ieee_inexact 0
		.amdhsa_exception_int_div_zero 0
	.end_amdhsa_kernel
	.section	.text._ZN7rocprim17ROCPRIM_400000_NS6detail17trampoline_kernelINS0_13select_configILj256ELj13ELNS0_17block_load_methodE3ELS4_3ELS4_3ELNS0_20block_scan_algorithmE0ELj4294967295EEENS1_25partition_config_selectorILNS1_17partition_subalgoE4EjNS0_10empty_typeEbEEZZNS1_14partition_implILS8_4ELb0ES6_15HIP_vector_typeIjLj2EENS0_17counting_iteratorIjlEEPS9_SG_NS0_5tupleIJPjSI_NS0_16reverse_iteratorISI_EEEEENSH_IJSG_SG_SG_EEES9_SI_JZNS1_25segmented_radix_sort_implINS0_14default_configELb0EPK6__halfPSP_PKlPlN2at6native12_GLOBAL__N_18offset_tEEE10hipError_tPvRmT1_PNSt15iterator_traitsIS13_E10value_typeET2_T3_PNS14_IS19_E10value_typeET4_jRbjT5_S1F_jjP12ihipStream_tbEUljE_ZNSN_ISO_Lb0ESR_SS_SU_SV_SZ_EES10_S11_S12_S13_S17_S18_S19_S1C_S1D_jS1E_jS1F_S1F_jjS1H_bEUljE0_EEES10_S11_S12_S19_S1D_S1F_T6_T7_T9_mT8_S1H_bDpT10_ENKUlT_T0_E_clISt17integral_constantIbLb1EES1U_IbLb0EEEEDaS1Q_S1R_EUlS1Q_E_NS1_11comp_targetILNS1_3genE4ELNS1_11target_archE910ELNS1_3gpuE8ELNS1_3repE0EEENS1_30default_config_static_selectorELNS0_4arch9wavefront6targetE1EEEvS13_,"axG",@progbits,_ZN7rocprim17ROCPRIM_400000_NS6detail17trampoline_kernelINS0_13select_configILj256ELj13ELNS0_17block_load_methodE3ELS4_3ELS4_3ELNS0_20block_scan_algorithmE0ELj4294967295EEENS1_25partition_config_selectorILNS1_17partition_subalgoE4EjNS0_10empty_typeEbEEZZNS1_14partition_implILS8_4ELb0ES6_15HIP_vector_typeIjLj2EENS0_17counting_iteratorIjlEEPS9_SG_NS0_5tupleIJPjSI_NS0_16reverse_iteratorISI_EEEEENSH_IJSG_SG_SG_EEES9_SI_JZNS1_25segmented_radix_sort_implINS0_14default_configELb0EPK6__halfPSP_PKlPlN2at6native12_GLOBAL__N_18offset_tEEE10hipError_tPvRmT1_PNSt15iterator_traitsIS13_E10value_typeET2_T3_PNS14_IS19_E10value_typeET4_jRbjT5_S1F_jjP12ihipStream_tbEUljE_ZNSN_ISO_Lb0ESR_SS_SU_SV_SZ_EES10_S11_S12_S13_S17_S18_S19_S1C_S1D_jS1E_jS1F_S1F_jjS1H_bEUljE0_EEES10_S11_S12_S19_S1D_S1F_T6_T7_T9_mT8_S1H_bDpT10_ENKUlT_T0_E_clISt17integral_constantIbLb1EES1U_IbLb0EEEEDaS1Q_S1R_EUlS1Q_E_NS1_11comp_targetILNS1_3genE4ELNS1_11target_archE910ELNS1_3gpuE8ELNS1_3repE0EEENS1_30default_config_static_selectorELNS0_4arch9wavefront6targetE1EEEvS13_,comdat
.Lfunc_end1794:
	.size	_ZN7rocprim17ROCPRIM_400000_NS6detail17trampoline_kernelINS0_13select_configILj256ELj13ELNS0_17block_load_methodE3ELS4_3ELS4_3ELNS0_20block_scan_algorithmE0ELj4294967295EEENS1_25partition_config_selectorILNS1_17partition_subalgoE4EjNS0_10empty_typeEbEEZZNS1_14partition_implILS8_4ELb0ES6_15HIP_vector_typeIjLj2EENS0_17counting_iteratorIjlEEPS9_SG_NS0_5tupleIJPjSI_NS0_16reverse_iteratorISI_EEEEENSH_IJSG_SG_SG_EEES9_SI_JZNS1_25segmented_radix_sort_implINS0_14default_configELb0EPK6__halfPSP_PKlPlN2at6native12_GLOBAL__N_18offset_tEEE10hipError_tPvRmT1_PNSt15iterator_traitsIS13_E10value_typeET2_T3_PNS14_IS19_E10value_typeET4_jRbjT5_S1F_jjP12ihipStream_tbEUljE_ZNSN_ISO_Lb0ESR_SS_SU_SV_SZ_EES10_S11_S12_S13_S17_S18_S19_S1C_S1D_jS1E_jS1F_S1F_jjS1H_bEUljE0_EEES10_S11_S12_S19_S1D_S1F_T6_T7_T9_mT8_S1H_bDpT10_ENKUlT_T0_E_clISt17integral_constantIbLb1EES1U_IbLb0EEEEDaS1Q_S1R_EUlS1Q_E_NS1_11comp_targetILNS1_3genE4ELNS1_11target_archE910ELNS1_3gpuE8ELNS1_3repE0EEENS1_30default_config_static_selectorELNS0_4arch9wavefront6targetE1EEEvS13_, .Lfunc_end1794-_ZN7rocprim17ROCPRIM_400000_NS6detail17trampoline_kernelINS0_13select_configILj256ELj13ELNS0_17block_load_methodE3ELS4_3ELS4_3ELNS0_20block_scan_algorithmE0ELj4294967295EEENS1_25partition_config_selectorILNS1_17partition_subalgoE4EjNS0_10empty_typeEbEEZZNS1_14partition_implILS8_4ELb0ES6_15HIP_vector_typeIjLj2EENS0_17counting_iteratorIjlEEPS9_SG_NS0_5tupleIJPjSI_NS0_16reverse_iteratorISI_EEEEENSH_IJSG_SG_SG_EEES9_SI_JZNS1_25segmented_radix_sort_implINS0_14default_configELb0EPK6__halfPSP_PKlPlN2at6native12_GLOBAL__N_18offset_tEEE10hipError_tPvRmT1_PNSt15iterator_traitsIS13_E10value_typeET2_T3_PNS14_IS19_E10value_typeET4_jRbjT5_S1F_jjP12ihipStream_tbEUljE_ZNSN_ISO_Lb0ESR_SS_SU_SV_SZ_EES10_S11_S12_S13_S17_S18_S19_S1C_S1D_jS1E_jS1F_S1F_jjS1H_bEUljE0_EEES10_S11_S12_S19_S1D_S1F_T6_T7_T9_mT8_S1H_bDpT10_ENKUlT_T0_E_clISt17integral_constantIbLb1EES1U_IbLb0EEEEDaS1Q_S1R_EUlS1Q_E_NS1_11comp_targetILNS1_3genE4ELNS1_11target_archE910ELNS1_3gpuE8ELNS1_3repE0EEENS1_30default_config_static_selectorELNS0_4arch9wavefront6targetE1EEEvS13_
                                        ; -- End function
	.section	.AMDGPU.csdata,"",@progbits
; Kernel info:
; codeLenInByte = 13412
; NumSgprs: 94
; NumVgprs: 102
; NumAgprs: 0
; TotalNumVgprs: 102
; ScratchSize: 0
; MemoryBound: 0
; FloatMode: 240
; IeeeMode: 1
; LDSByteSize: 13340 bytes/workgroup (compile time only)
; SGPRBlocks: 11
; VGPRBlocks: 12
; NumSGPRsForWavesPerEU: 94
; NumVGPRsForWavesPerEU: 102
; AccumOffset: 104
; Occupancy: 4
; WaveLimiterHint : 1
; COMPUTE_PGM_RSRC2:SCRATCH_EN: 0
; COMPUTE_PGM_RSRC2:USER_SGPR: 6
; COMPUTE_PGM_RSRC2:TRAP_HANDLER: 0
; COMPUTE_PGM_RSRC2:TGID_X_EN: 1
; COMPUTE_PGM_RSRC2:TGID_Y_EN: 0
; COMPUTE_PGM_RSRC2:TGID_Z_EN: 0
; COMPUTE_PGM_RSRC2:TIDIG_COMP_CNT: 0
; COMPUTE_PGM_RSRC3_GFX90A:ACCUM_OFFSET: 25
; COMPUTE_PGM_RSRC3_GFX90A:TG_SPLIT: 0
	.section	.text._ZN7rocprim17ROCPRIM_400000_NS6detail17trampoline_kernelINS0_13select_configILj256ELj13ELNS0_17block_load_methodE3ELS4_3ELS4_3ELNS0_20block_scan_algorithmE0ELj4294967295EEENS1_25partition_config_selectorILNS1_17partition_subalgoE4EjNS0_10empty_typeEbEEZZNS1_14partition_implILS8_4ELb0ES6_15HIP_vector_typeIjLj2EENS0_17counting_iteratorIjlEEPS9_SG_NS0_5tupleIJPjSI_NS0_16reverse_iteratorISI_EEEEENSH_IJSG_SG_SG_EEES9_SI_JZNS1_25segmented_radix_sort_implINS0_14default_configELb0EPK6__halfPSP_PKlPlN2at6native12_GLOBAL__N_18offset_tEEE10hipError_tPvRmT1_PNSt15iterator_traitsIS13_E10value_typeET2_T3_PNS14_IS19_E10value_typeET4_jRbjT5_S1F_jjP12ihipStream_tbEUljE_ZNSN_ISO_Lb0ESR_SS_SU_SV_SZ_EES10_S11_S12_S13_S17_S18_S19_S1C_S1D_jS1E_jS1F_S1F_jjS1H_bEUljE0_EEES10_S11_S12_S19_S1D_S1F_T6_T7_T9_mT8_S1H_bDpT10_ENKUlT_T0_E_clISt17integral_constantIbLb1EES1U_IbLb0EEEEDaS1Q_S1R_EUlS1Q_E_NS1_11comp_targetILNS1_3genE3ELNS1_11target_archE908ELNS1_3gpuE7ELNS1_3repE0EEENS1_30default_config_static_selectorELNS0_4arch9wavefront6targetE1EEEvS13_,"axG",@progbits,_ZN7rocprim17ROCPRIM_400000_NS6detail17trampoline_kernelINS0_13select_configILj256ELj13ELNS0_17block_load_methodE3ELS4_3ELS4_3ELNS0_20block_scan_algorithmE0ELj4294967295EEENS1_25partition_config_selectorILNS1_17partition_subalgoE4EjNS0_10empty_typeEbEEZZNS1_14partition_implILS8_4ELb0ES6_15HIP_vector_typeIjLj2EENS0_17counting_iteratorIjlEEPS9_SG_NS0_5tupleIJPjSI_NS0_16reverse_iteratorISI_EEEEENSH_IJSG_SG_SG_EEES9_SI_JZNS1_25segmented_radix_sort_implINS0_14default_configELb0EPK6__halfPSP_PKlPlN2at6native12_GLOBAL__N_18offset_tEEE10hipError_tPvRmT1_PNSt15iterator_traitsIS13_E10value_typeET2_T3_PNS14_IS19_E10value_typeET4_jRbjT5_S1F_jjP12ihipStream_tbEUljE_ZNSN_ISO_Lb0ESR_SS_SU_SV_SZ_EES10_S11_S12_S13_S17_S18_S19_S1C_S1D_jS1E_jS1F_S1F_jjS1H_bEUljE0_EEES10_S11_S12_S19_S1D_S1F_T6_T7_T9_mT8_S1H_bDpT10_ENKUlT_T0_E_clISt17integral_constantIbLb1EES1U_IbLb0EEEEDaS1Q_S1R_EUlS1Q_E_NS1_11comp_targetILNS1_3genE3ELNS1_11target_archE908ELNS1_3gpuE7ELNS1_3repE0EEENS1_30default_config_static_selectorELNS0_4arch9wavefront6targetE1EEEvS13_,comdat
	.globl	_ZN7rocprim17ROCPRIM_400000_NS6detail17trampoline_kernelINS0_13select_configILj256ELj13ELNS0_17block_load_methodE3ELS4_3ELS4_3ELNS0_20block_scan_algorithmE0ELj4294967295EEENS1_25partition_config_selectorILNS1_17partition_subalgoE4EjNS0_10empty_typeEbEEZZNS1_14partition_implILS8_4ELb0ES6_15HIP_vector_typeIjLj2EENS0_17counting_iteratorIjlEEPS9_SG_NS0_5tupleIJPjSI_NS0_16reverse_iteratorISI_EEEEENSH_IJSG_SG_SG_EEES9_SI_JZNS1_25segmented_radix_sort_implINS0_14default_configELb0EPK6__halfPSP_PKlPlN2at6native12_GLOBAL__N_18offset_tEEE10hipError_tPvRmT1_PNSt15iterator_traitsIS13_E10value_typeET2_T3_PNS14_IS19_E10value_typeET4_jRbjT5_S1F_jjP12ihipStream_tbEUljE_ZNSN_ISO_Lb0ESR_SS_SU_SV_SZ_EES10_S11_S12_S13_S17_S18_S19_S1C_S1D_jS1E_jS1F_S1F_jjS1H_bEUljE0_EEES10_S11_S12_S19_S1D_S1F_T6_T7_T9_mT8_S1H_bDpT10_ENKUlT_T0_E_clISt17integral_constantIbLb1EES1U_IbLb0EEEEDaS1Q_S1R_EUlS1Q_E_NS1_11comp_targetILNS1_3genE3ELNS1_11target_archE908ELNS1_3gpuE7ELNS1_3repE0EEENS1_30default_config_static_selectorELNS0_4arch9wavefront6targetE1EEEvS13_ ; -- Begin function _ZN7rocprim17ROCPRIM_400000_NS6detail17trampoline_kernelINS0_13select_configILj256ELj13ELNS0_17block_load_methodE3ELS4_3ELS4_3ELNS0_20block_scan_algorithmE0ELj4294967295EEENS1_25partition_config_selectorILNS1_17partition_subalgoE4EjNS0_10empty_typeEbEEZZNS1_14partition_implILS8_4ELb0ES6_15HIP_vector_typeIjLj2EENS0_17counting_iteratorIjlEEPS9_SG_NS0_5tupleIJPjSI_NS0_16reverse_iteratorISI_EEEEENSH_IJSG_SG_SG_EEES9_SI_JZNS1_25segmented_radix_sort_implINS0_14default_configELb0EPK6__halfPSP_PKlPlN2at6native12_GLOBAL__N_18offset_tEEE10hipError_tPvRmT1_PNSt15iterator_traitsIS13_E10value_typeET2_T3_PNS14_IS19_E10value_typeET4_jRbjT5_S1F_jjP12ihipStream_tbEUljE_ZNSN_ISO_Lb0ESR_SS_SU_SV_SZ_EES10_S11_S12_S13_S17_S18_S19_S1C_S1D_jS1E_jS1F_S1F_jjS1H_bEUljE0_EEES10_S11_S12_S19_S1D_S1F_T6_T7_T9_mT8_S1H_bDpT10_ENKUlT_T0_E_clISt17integral_constantIbLb1EES1U_IbLb0EEEEDaS1Q_S1R_EUlS1Q_E_NS1_11comp_targetILNS1_3genE3ELNS1_11target_archE908ELNS1_3gpuE7ELNS1_3repE0EEENS1_30default_config_static_selectorELNS0_4arch9wavefront6targetE1EEEvS13_
	.p2align	8
	.type	_ZN7rocprim17ROCPRIM_400000_NS6detail17trampoline_kernelINS0_13select_configILj256ELj13ELNS0_17block_load_methodE3ELS4_3ELS4_3ELNS0_20block_scan_algorithmE0ELj4294967295EEENS1_25partition_config_selectorILNS1_17partition_subalgoE4EjNS0_10empty_typeEbEEZZNS1_14partition_implILS8_4ELb0ES6_15HIP_vector_typeIjLj2EENS0_17counting_iteratorIjlEEPS9_SG_NS0_5tupleIJPjSI_NS0_16reverse_iteratorISI_EEEEENSH_IJSG_SG_SG_EEES9_SI_JZNS1_25segmented_radix_sort_implINS0_14default_configELb0EPK6__halfPSP_PKlPlN2at6native12_GLOBAL__N_18offset_tEEE10hipError_tPvRmT1_PNSt15iterator_traitsIS13_E10value_typeET2_T3_PNS14_IS19_E10value_typeET4_jRbjT5_S1F_jjP12ihipStream_tbEUljE_ZNSN_ISO_Lb0ESR_SS_SU_SV_SZ_EES10_S11_S12_S13_S17_S18_S19_S1C_S1D_jS1E_jS1F_S1F_jjS1H_bEUljE0_EEES10_S11_S12_S19_S1D_S1F_T6_T7_T9_mT8_S1H_bDpT10_ENKUlT_T0_E_clISt17integral_constantIbLb1EES1U_IbLb0EEEEDaS1Q_S1R_EUlS1Q_E_NS1_11comp_targetILNS1_3genE3ELNS1_11target_archE908ELNS1_3gpuE7ELNS1_3repE0EEENS1_30default_config_static_selectorELNS0_4arch9wavefront6targetE1EEEvS13_,@function
_ZN7rocprim17ROCPRIM_400000_NS6detail17trampoline_kernelINS0_13select_configILj256ELj13ELNS0_17block_load_methodE3ELS4_3ELS4_3ELNS0_20block_scan_algorithmE0ELj4294967295EEENS1_25partition_config_selectorILNS1_17partition_subalgoE4EjNS0_10empty_typeEbEEZZNS1_14partition_implILS8_4ELb0ES6_15HIP_vector_typeIjLj2EENS0_17counting_iteratorIjlEEPS9_SG_NS0_5tupleIJPjSI_NS0_16reverse_iteratorISI_EEEEENSH_IJSG_SG_SG_EEES9_SI_JZNS1_25segmented_radix_sort_implINS0_14default_configELb0EPK6__halfPSP_PKlPlN2at6native12_GLOBAL__N_18offset_tEEE10hipError_tPvRmT1_PNSt15iterator_traitsIS13_E10value_typeET2_T3_PNS14_IS19_E10value_typeET4_jRbjT5_S1F_jjP12ihipStream_tbEUljE_ZNSN_ISO_Lb0ESR_SS_SU_SV_SZ_EES10_S11_S12_S13_S17_S18_S19_S1C_S1D_jS1E_jS1F_S1F_jjS1H_bEUljE0_EEES10_S11_S12_S19_S1D_S1F_T6_T7_T9_mT8_S1H_bDpT10_ENKUlT_T0_E_clISt17integral_constantIbLb1EES1U_IbLb0EEEEDaS1Q_S1R_EUlS1Q_E_NS1_11comp_targetILNS1_3genE3ELNS1_11target_archE908ELNS1_3gpuE7ELNS1_3repE0EEENS1_30default_config_static_selectorELNS0_4arch9wavefront6targetE1EEEvS13_: ; @_ZN7rocprim17ROCPRIM_400000_NS6detail17trampoline_kernelINS0_13select_configILj256ELj13ELNS0_17block_load_methodE3ELS4_3ELS4_3ELNS0_20block_scan_algorithmE0ELj4294967295EEENS1_25partition_config_selectorILNS1_17partition_subalgoE4EjNS0_10empty_typeEbEEZZNS1_14partition_implILS8_4ELb0ES6_15HIP_vector_typeIjLj2EENS0_17counting_iteratorIjlEEPS9_SG_NS0_5tupleIJPjSI_NS0_16reverse_iteratorISI_EEEEENSH_IJSG_SG_SG_EEES9_SI_JZNS1_25segmented_radix_sort_implINS0_14default_configELb0EPK6__halfPSP_PKlPlN2at6native12_GLOBAL__N_18offset_tEEE10hipError_tPvRmT1_PNSt15iterator_traitsIS13_E10value_typeET2_T3_PNS14_IS19_E10value_typeET4_jRbjT5_S1F_jjP12ihipStream_tbEUljE_ZNSN_ISO_Lb0ESR_SS_SU_SV_SZ_EES10_S11_S12_S13_S17_S18_S19_S1C_S1D_jS1E_jS1F_S1F_jjS1H_bEUljE0_EEES10_S11_S12_S19_S1D_S1F_T6_T7_T9_mT8_S1H_bDpT10_ENKUlT_T0_E_clISt17integral_constantIbLb1EES1U_IbLb0EEEEDaS1Q_S1R_EUlS1Q_E_NS1_11comp_targetILNS1_3genE3ELNS1_11target_archE908ELNS1_3gpuE7ELNS1_3repE0EEENS1_30default_config_static_selectorELNS0_4arch9wavefront6targetE1EEEvS13_
; %bb.0:
	.section	.rodata,"a",@progbits
	.p2align	6, 0x0
	.amdhsa_kernel _ZN7rocprim17ROCPRIM_400000_NS6detail17trampoline_kernelINS0_13select_configILj256ELj13ELNS0_17block_load_methodE3ELS4_3ELS4_3ELNS0_20block_scan_algorithmE0ELj4294967295EEENS1_25partition_config_selectorILNS1_17partition_subalgoE4EjNS0_10empty_typeEbEEZZNS1_14partition_implILS8_4ELb0ES6_15HIP_vector_typeIjLj2EENS0_17counting_iteratorIjlEEPS9_SG_NS0_5tupleIJPjSI_NS0_16reverse_iteratorISI_EEEEENSH_IJSG_SG_SG_EEES9_SI_JZNS1_25segmented_radix_sort_implINS0_14default_configELb0EPK6__halfPSP_PKlPlN2at6native12_GLOBAL__N_18offset_tEEE10hipError_tPvRmT1_PNSt15iterator_traitsIS13_E10value_typeET2_T3_PNS14_IS19_E10value_typeET4_jRbjT5_S1F_jjP12ihipStream_tbEUljE_ZNSN_ISO_Lb0ESR_SS_SU_SV_SZ_EES10_S11_S12_S13_S17_S18_S19_S1C_S1D_jS1E_jS1F_S1F_jjS1H_bEUljE0_EEES10_S11_S12_S19_S1D_S1F_T6_T7_T9_mT8_S1H_bDpT10_ENKUlT_T0_E_clISt17integral_constantIbLb1EES1U_IbLb0EEEEDaS1Q_S1R_EUlS1Q_E_NS1_11comp_targetILNS1_3genE3ELNS1_11target_archE908ELNS1_3gpuE7ELNS1_3repE0EEENS1_30default_config_static_selectorELNS0_4arch9wavefront6targetE1EEEvS13_
		.amdhsa_group_segment_fixed_size 0
		.amdhsa_private_segment_fixed_size 0
		.amdhsa_kernarg_size 176
		.amdhsa_user_sgpr_count 6
		.amdhsa_user_sgpr_private_segment_buffer 1
		.amdhsa_user_sgpr_dispatch_ptr 0
		.amdhsa_user_sgpr_queue_ptr 0
		.amdhsa_user_sgpr_kernarg_segment_ptr 1
		.amdhsa_user_sgpr_dispatch_id 0
		.amdhsa_user_sgpr_flat_scratch_init 0
		.amdhsa_user_sgpr_kernarg_preload_length 0
		.amdhsa_user_sgpr_kernarg_preload_offset 0
		.amdhsa_user_sgpr_private_segment_size 0
		.amdhsa_uses_dynamic_stack 0
		.amdhsa_system_sgpr_private_segment_wavefront_offset 0
		.amdhsa_system_sgpr_workgroup_id_x 1
		.amdhsa_system_sgpr_workgroup_id_y 0
		.amdhsa_system_sgpr_workgroup_id_z 0
		.amdhsa_system_sgpr_workgroup_info 0
		.amdhsa_system_vgpr_workitem_id 0
		.amdhsa_next_free_vgpr 1
		.amdhsa_next_free_sgpr 0
		.amdhsa_accum_offset 4
		.amdhsa_reserve_vcc 0
		.amdhsa_reserve_flat_scratch 0
		.amdhsa_float_round_mode_32 0
		.amdhsa_float_round_mode_16_64 0
		.amdhsa_float_denorm_mode_32 3
		.amdhsa_float_denorm_mode_16_64 3
		.amdhsa_dx10_clamp 1
		.amdhsa_ieee_mode 1
		.amdhsa_fp16_overflow 0
		.amdhsa_tg_split 0
		.amdhsa_exception_fp_ieee_invalid_op 0
		.amdhsa_exception_fp_denorm_src 0
		.amdhsa_exception_fp_ieee_div_zero 0
		.amdhsa_exception_fp_ieee_overflow 0
		.amdhsa_exception_fp_ieee_underflow 0
		.amdhsa_exception_fp_ieee_inexact 0
		.amdhsa_exception_int_div_zero 0
	.end_amdhsa_kernel
	.section	.text._ZN7rocprim17ROCPRIM_400000_NS6detail17trampoline_kernelINS0_13select_configILj256ELj13ELNS0_17block_load_methodE3ELS4_3ELS4_3ELNS0_20block_scan_algorithmE0ELj4294967295EEENS1_25partition_config_selectorILNS1_17partition_subalgoE4EjNS0_10empty_typeEbEEZZNS1_14partition_implILS8_4ELb0ES6_15HIP_vector_typeIjLj2EENS0_17counting_iteratorIjlEEPS9_SG_NS0_5tupleIJPjSI_NS0_16reverse_iteratorISI_EEEEENSH_IJSG_SG_SG_EEES9_SI_JZNS1_25segmented_radix_sort_implINS0_14default_configELb0EPK6__halfPSP_PKlPlN2at6native12_GLOBAL__N_18offset_tEEE10hipError_tPvRmT1_PNSt15iterator_traitsIS13_E10value_typeET2_T3_PNS14_IS19_E10value_typeET4_jRbjT5_S1F_jjP12ihipStream_tbEUljE_ZNSN_ISO_Lb0ESR_SS_SU_SV_SZ_EES10_S11_S12_S13_S17_S18_S19_S1C_S1D_jS1E_jS1F_S1F_jjS1H_bEUljE0_EEES10_S11_S12_S19_S1D_S1F_T6_T7_T9_mT8_S1H_bDpT10_ENKUlT_T0_E_clISt17integral_constantIbLb1EES1U_IbLb0EEEEDaS1Q_S1R_EUlS1Q_E_NS1_11comp_targetILNS1_3genE3ELNS1_11target_archE908ELNS1_3gpuE7ELNS1_3repE0EEENS1_30default_config_static_selectorELNS0_4arch9wavefront6targetE1EEEvS13_,"axG",@progbits,_ZN7rocprim17ROCPRIM_400000_NS6detail17trampoline_kernelINS0_13select_configILj256ELj13ELNS0_17block_load_methodE3ELS4_3ELS4_3ELNS0_20block_scan_algorithmE0ELj4294967295EEENS1_25partition_config_selectorILNS1_17partition_subalgoE4EjNS0_10empty_typeEbEEZZNS1_14partition_implILS8_4ELb0ES6_15HIP_vector_typeIjLj2EENS0_17counting_iteratorIjlEEPS9_SG_NS0_5tupleIJPjSI_NS0_16reverse_iteratorISI_EEEEENSH_IJSG_SG_SG_EEES9_SI_JZNS1_25segmented_radix_sort_implINS0_14default_configELb0EPK6__halfPSP_PKlPlN2at6native12_GLOBAL__N_18offset_tEEE10hipError_tPvRmT1_PNSt15iterator_traitsIS13_E10value_typeET2_T3_PNS14_IS19_E10value_typeET4_jRbjT5_S1F_jjP12ihipStream_tbEUljE_ZNSN_ISO_Lb0ESR_SS_SU_SV_SZ_EES10_S11_S12_S13_S17_S18_S19_S1C_S1D_jS1E_jS1F_S1F_jjS1H_bEUljE0_EEES10_S11_S12_S19_S1D_S1F_T6_T7_T9_mT8_S1H_bDpT10_ENKUlT_T0_E_clISt17integral_constantIbLb1EES1U_IbLb0EEEEDaS1Q_S1R_EUlS1Q_E_NS1_11comp_targetILNS1_3genE3ELNS1_11target_archE908ELNS1_3gpuE7ELNS1_3repE0EEENS1_30default_config_static_selectorELNS0_4arch9wavefront6targetE1EEEvS13_,comdat
.Lfunc_end1795:
	.size	_ZN7rocprim17ROCPRIM_400000_NS6detail17trampoline_kernelINS0_13select_configILj256ELj13ELNS0_17block_load_methodE3ELS4_3ELS4_3ELNS0_20block_scan_algorithmE0ELj4294967295EEENS1_25partition_config_selectorILNS1_17partition_subalgoE4EjNS0_10empty_typeEbEEZZNS1_14partition_implILS8_4ELb0ES6_15HIP_vector_typeIjLj2EENS0_17counting_iteratorIjlEEPS9_SG_NS0_5tupleIJPjSI_NS0_16reverse_iteratorISI_EEEEENSH_IJSG_SG_SG_EEES9_SI_JZNS1_25segmented_radix_sort_implINS0_14default_configELb0EPK6__halfPSP_PKlPlN2at6native12_GLOBAL__N_18offset_tEEE10hipError_tPvRmT1_PNSt15iterator_traitsIS13_E10value_typeET2_T3_PNS14_IS19_E10value_typeET4_jRbjT5_S1F_jjP12ihipStream_tbEUljE_ZNSN_ISO_Lb0ESR_SS_SU_SV_SZ_EES10_S11_S12_S13_S17_S18_S19_S1C_S1D_jS1E_jS1F_S1F_jjS1H_bEUljE0_EEES10_S11_S12_S19_S1D_S1F_T6_T7_T9_mT8_S1H_bDpT10_ENKUlT_T0_E_clISt17integral_constantIbLb1EES1U_IbLb0EEEEDaS1Q_S1R_EUlS1Q_E_NS1_11comp_targetILNS1_3genE3ELNS1_11target_archE908ELNS1_3gpuE7ELNS1_3repE0EEENS1_30default_config_static_selectorELNS0_4arch9wavefront6targetE1EEEvS13_, .Lfunc_end1795-_ZN7rocprim17ROCPRIM_400000_NS6detail17trampoline_kernelINS0_13select_configILj256ELj13ELNS0_17block_load_methodE3ELS4_3ELS4_3ELNS0_20block_scan_algorithmE0ELj4294967295EEENS1_25partition_config_selectorILNS1_17partition_subalgoE4EjNS0_10empty_typeEbEEZZNS1_14partition_implILS8_4ELb0ES6_15HIP_vector_typeIjLj2EENS0_17counting_iteratorIjlEEPS9_SG_NS0_5tupleIJPjSI_NS0_16reverse_iteratorISI_EEEEENSH_IJSG_SG_SG_EEES9_SI_JZNS1_25segmented_radix_sort_implINS0_14default_configELb0EPK6__halfPSP_PKlPlN2at6native12_GLOBAL__N_18offset_tEEE10hipError_tPvRmT1_PNSt15iterator_traitsIS13_E10value_typeET2_T3_PNS14_IS19_E10value_typeET4_jRbjT5_S1F_jjP12ihipStream_tbEUljE_ZNSN_ISO_Lb0ESR_SS_SU_SV_SZ_EES10_S11_S12_S13_S17_S18_S19_S1C_S1D_jS1E_jS1F_S1F_jjS1H_bEUljE0_EEES10_S11_S12_S19_S1D_S1F_T6_T7_T9_mT8_S1H_bDpT10_ENKUlT_T0_E_clISt17integral_constantIbLb1EES1U_IbLb0EEEEDaS1Q_S1R_EUlS1Q_E_NS1_11comp_targetILNS1_3genE3ELNS1_11target_archE908ELNS1_3gpuE7ELNS1_3repE0EEENS1_30default_config_static_selectorELNS0_4arch9wavefront6targetE1EEEvS13_
                                        ; -- End function
	.section	.AMDGPU.csdata,"",@progbits
; Kernel info:
; codeLenInByte = 0
; NumSgprs: 4
; NumVgprs: 0
; NumAgprs: 0
; TotalNumVgprs: 0
; ScratchSize: 0
; MemoryBound: 0
; FloatMode: 240
; IeeeMode: 1
; LDSByteSize: 0 bytes/workgroup (compile time only)
; SGPRBlocks: 0
; VGPRBlocks: 0
; NumSGPRsForWavesPerEU: 4
; NumVGPRsForWavesPerEU: 1
; AccumOffset: 4
; Occupancy: 8
; WaveLimiterHint : 0
; COMPUTE_PGM_RSRC2:SCRATCH_EN: 0
; COMPUTE_PGM_RSRC2:USER_SGPR: 6
; COMPUTE_PGM_RSRC2:TRAP_HANDLER: 0
; COMPUTE_PGM_RSRC2:TGID_X_EN: 1
; COMPUTE_PGM_RSRC2:TGID_Y_EN: 0
; COMPUTE_PGM_RSRC2:TGID_Z_EN: 0
; COMPUTE_PGM_RSRC2:TIDIG_COMP_CNT: 0
; COMPUTE_PGM_RSRC3_GFX90A:ACCUM_OFFSET: 0
; COMPUTE_PGM_RSRC3_GFX90A:TG_SPLIT: 0
	.section	.text._ZN7rocprim17ROCPRIM_400000_NS6detail17trampoline_kernelINS0_13select_configILj256ELj13ELNS0_17block_load_methodE3ELS4_3ELS4_3ELNS0_20block_scan_algorithmE0ELj4294967295EEENS1_25partition_config_selectorILNS1_17partition_subalgoE4EjNS0_10empty_typeEbEEZZNS1_14partition_implILS8_4ELb0ES6_15HIP_vector_typeIjLj2EENS0_17counting_iteratorIjlEEPS9_SG_NS0_5tupleIJPjSI_NS0_16reverse_iteratorISI_EEEEENSH_IJSG_SG_SG_EEES9_SI_JZNS1_25segmented_radix_sort_implINS0_14default_configELb0EPK6__halfPSP_PKlPlN2at6native12_GLOBAL__N_18offset_tEEE10hipError_tPvRmT1_PNSt15iterator_traitsIS13_E10value_typeET2_T3_PNS14_IS19_E10value_typeET4_jRbjT5_S1F_jjP12ihipStream_tbEUljE_ZNSN_ISO_Lb0ESR_SS_SU_SV_SZ_EES10_S11_S12_S13_S17_S18_S19_S1C_S1D_jS1E_jS1F_S1F_jjS1H_bEUljE0_EEES10_S11_S12_S19_S1D_S1F_T6_T7_T9_mT8_S1H_bDpT10_ENKUlT_T0_E_clISt17integral_constantIbLb1EES1U_IbLb0EEEEDaS1Q_S1R_EUlS1Q_E_NS1_11comp_targetILNS1_3genE2ELNS1_11target_archE906ELNS1_3gpuE6ELNS1_3repE0EEENS1_30default_config_static_selectorELNS0_4arch9wavefront6targetE1EEEvS13_,"axG",@progbits,_ZN7rocprim17ROCPRIM_400000_NS6detail17trampoline_kernelINS0_13select_configILj256ELj13ELNS0_17block_load_methodE3ELS4_3ELS4_3ELNS0_20block_scan_algorithmE0ELj4294967295EEENS1_25partition_config_selectorILNS1_17partition_subalgoE4EjNS0_10empty_typeEbEEZZNS1_14partition_implILS8_4ELb0ES6_15HIP_vector_typeIjLj2EENS0_17counting_iteratorIjlEEPS9_SG_NS0_5tupleIJPjSI_NS0_16reverse_iteratorISI_EEEEENSH_IJSG_SG_SG_EEES9_SI_JZNS1_25segmented_radix_sort_implINS0_14default_configELb0EPK6__halfPSP_PKlPlN2at6native12_GLOBAL__N_18offset_tEEE10hipError_tPvRmT1_PNSt15iterator_traitsIS13_E10value_typeET2_T3_PNS14_IS19_E10value_typeET4_jRbjT5_S1F_jjP12ihipStream_tbEUljE_ZNSN_ISO_Lb0ESR_SS_SU_SV_SZ_EES10_S11_S12_S13_S17_S18_S19_S1C_S1D_jS1E_jS1F_S1F_jjS1H_bEUljE0_EEES10_S11_S12_S19_S1D_S1F_T6_T7_T9_mT8_S1H_bDpT10_ENKUlT_T0_E_clISt17integral_constantIbLb1EES1U_IbLb0EEEEDaS1Q_S1R_EUlS1Q_E_NS1_11comp_targetILNS1_3genE2ELNS1_11target_archE906ELNS1_3gpuE6ELNS1_3repE0EEENS1_30default_config_static_selectorELNS0_4arch9wavefront6targetE1EEEvS13_,comdat
	.globl	_ZN7rocprim17ROCPRIM_400000_NS6detail17trampoline_kernelINS0_13select_configILj256ELj13ELNS0_17block_load_methodE3ELS4_3ELS4_3ELNS0_20block_scan_algorithmE0ELj4294967295EEENS1_25partition_config_selectorILNS1_17partition_subalgoE4EjNS0_10empty_typeEbEEZZNS1_14partition_implILS8_4ELb0ES6_15HIP_vector_typeIjLj2EENS0_17counting_iteratorIjlEEPS9_SG_NS0_5tupleIJPjSI_NS0_16reverse_iteratorISI_EEEEENSH_IJSG_SG_SG_EEES9_SI_JZNS1_25segmented_radix_sort_implINS0_14default_configELb0EPK6__halfPSP_PKlPlN2at6native12_GLOBAL__N_18offset_tEEE10hipError_tPvRmT1_PNSt15iterator_traitsIS13_E10value_typeET2_T3_PNS14_IS19_E10value_typeET4_jRbjT5_S1F_jjP12ihipStream_tbEUljE_ZNSN_ISO_Lb0ESR_SS_SU_SV_SZ_EES10_S11_S12_S13_S17_S18_S19_S1C_S1D_jS1E_jS1F_S1F_jjS1H_bEUljE0_EEES10_S11_S12_S19_S1D_S1F_T6_T7_T9_mT8_S1H_bDpT10_ENKUlT_T0_E_clISt17integral_constantIbLb1EES1U_IbLb0EEEEDaS1Q_S1R_EUlS1Q_E_NS1_11comp_targetILNS1_3genE2ELNS1_11target_archE906ELNS1_3gpuE6ELNS1_3repE0EEENS1_30default_config_static_selectorELNS0_4arch9wavefront6targetE1EEEvS13_ ; -- Begin function _ZN7rocprim17ROCPRIM_400000_NS6detail17trampoline_kernelINS0_13select_configILj256ELj13ELNS0_17block_load_methodE3ELS4_3ELS4_3ELNS0_20block_scan_algorithmE0ELj4294967295EEENS1_25partition_config_selectorILNS1_17partition_subalgoE4EjNS0_10empty_typeEbEEZZNS1_14partition_implILS8_4ELb0ES6_15HIP_vector_typeIjLj2EENS0_17counting_iteratorIjlEEPS9_SG_NS0_5tupleIJPjSI_NS0_16reverse_iteratorISI_EEEEENSH_IJSG_SG_SG_EEES9_SI_JZNS1_25segmented_radix_sort_implINS0_14default_configELb0EPK6__halfPSP_PKlPlN2at6native12_GLOBAL__N_18offset_tEEE10hipError_tPvRmT1_PNSt15iterator_traitsIS13_E10value_typeET2_T3_PNS14_IS19_E10value_typeET4_jRbjT5_S1F_jjP12ihipStream_tbEUljE_ZNSN_ISO_Lb0ESR_SS_SU_SV_SZ_EES10_S11_S12_S13_S17_S18_S19_S1C_S1D_jS1E_jS1F_S1F_jjS1H_bEUljE0_EEES10_S11_S12_S19_S1D_S1F_T6_T7_T9_mT8_S1H_bDpT10_ENKUlT_T0_E_clISt17integral_constantIbLb1EES1U_IbLb0EEEEDaS1Q_S1R_EUlS1Q_E_NS1_11comp_targetILNS1_3genE2ELNS1_11target_archE906ELNS1_3gpuE6ELNS1_3repE0EEENS1_30default_config_static_selectorELNS0_4arch9wavefront6targetE1EEEvS13_
	.p2align	8
	.type	_ZN7rocprim17ROCPRIM_400000_NS6detail17trampoline_kernelINS0_13select_configILj256ELj13ELNS0_17block_load_methodE3ELS4_3ELS4_3ELNS0_20block_scan_algorithmE0ELj4294967295EEENS1_25partition_config_selectorILNS1_17partition_subalgoE4EjNS0_10empty_typeEbEEZZNS1_14partition_implILS8_4ELb0ES6_15HIP_vector_typeIjLj2EENS0_17counting_iteratorIjlEEPS9_SG_NS0_5tupleIJPjSI_NS0_16reverse_iteratorISI_EEEEENSH_IJSG_SG_SG_EEES9_SI_JZNS1_25segmented_radix_sort_implINS0_14default_configELb0EPK6__halfPSP_PKlPlN2at6native12_GLOBAL__N_18offset_tEEE10hipError_tPvRmT1_PNSt15iterator_traitsIS13_E10value_typeET2_T3_PNS14_IS19_E10value_typeET4_jRbjT5_S1F_jjP12ihipStream_tbEUljE_ZNSN_ISO_Lb0ESR_SS_SU_SV_SZ_EES10_S11_S12_S13_S17_S18_S19_S1C_S1D_jS1E_jS1F_S1F_jjS1H_bEUljE0_EEES10_S11_S12_S19_S1D_S1F_T6_T7_T9_mT8_S1H_bDpT10_ENKUlT_T0_E_clISt17integral_constantIbLb1EES1U_IbLb0EEEEDaS1Q_S1R_EUlS1Q_E_NS1_11comp_targetILNS1_3genE2ELNS1_11target_archE906ELNS1_3gpuE6ELNS1_3repE0EEENS1_30default_config_static_selectorELNS0_4arch9wavefront6targetE1EEEvS13_,@function
_ZN7rocprim17ROCPRIM_400000_NS6detail17trampoline_kernelINS0_13select_configILj256ELj13ELNS0_17block_load_methodE3ELS4_3ELS4_3ELNS0_20block_scan_algorithmE0ELj4294967295EEENS1_25partition_config_selectorILNS1_17partition_subalgoE4EjNS0_10empty_typeEbEEZZNS1_14partition_implILS8_4ELb0ES6_15HIP_vector_typeIjLj2EENS0_17counting_iteratorIjlEEPS9_SG_NS0_5tupleIJPjSI_NS0_16reverse_iteratorISI_EEEEENSH_IJSG_SG_SG_EEES9_SI_JZNS1_25segmented_radix_sort_implINS0_14default_configELb0EPK6__halfPSP_PKlPlN2at6native12_GLOBAL__N_18offset_tEEE10hipError_tPvRmT1_PNSt15iterator_traitsIS13_E10value_typeET2_T3_PNS14_IS19_E10value_typeET4_jRbjT5_S1F_jjP12ihipStream_tbEUljE_ZNSN_ISO_Lb0ESR_SS_SU_SV_SZ_EES10_S11_S12_S13_S17_S18_S19_S1C_S1D_jS1E_jS1F_S1F_jjS1H_bEUljE0_EEES10_S11_S12_S19_S1D_S1F_T6_T7_T9_mT8_S1H_bDpT10_ENKUlT_T0_E_clISt17integral_constantIbLb1EES1U_IbLb0EEEEDaS1Q_S1R_EUlS1Q_E_NS1_11comp_targetILNS1_3genE2ELNS1_11target_archE906ELNS1_3gpuE6ELNS1_3repE0EEENS1_30default_config_static_selectorELNS0_4arch9wavefront6targetE1EEEvS13_: ; @_ZN7rocprim17ROCPRIM_400000_NS6detail17trampoline_kernelINS0_13select_configILj256ELj13ELNS0_17block_load_methodE3ELS4_3ELS4_3ELNS0_20block_scan_algorithmE0ELj4294967295EEENS1_25partition_config_selectorILNS1_17partition_subalgoE4EjNS0_10empty_typeEbEEZZNS1_14partition_implILS8_4ELb0ES6_15HIP_vector_typeIjLj2EENS0_17counting_iteratorIjlEEPS9_SG_NS0_5tupleIJPjSI_NS0_16reverse_iteratorISI_EEEEENSH_IJSG_SG_SG_EEES9_SI_JZNS1_25segmented_radix_sort_implINS0_14default_configELb0EPK6__halfPSP_PKlPlN2at6native12_GLOBAL__N_18offset_tEEE10hipError_tPvRmT1_PNSt15iterator_traitsIS13_E10value_typeET2_T3_PNS14_IS19_E10value_typeET4_jRbjT5_S1F_jjP12ihipStream_tbEUljE_ZNSN_ISO_Lb0ESR_SS_SU_SV_SZ_EES10_S11_S12_S13_S17_S18_S19_S1C_S1D_jS1E_jS1F_S1F_jjS1H_bEUljE0_EEES10_S11_S12_S19_S1D_S1F_T6_T7_T9_mT8_S1H_bDpT10_ENKUlT_T0_E_clISt17integral_constantIbLb1EES1U_IbLb0EEEEDaS1Q_S1R_EUlS1Q_E_NS1_11comp_targetILNS1_3genE2ELNS1_11target_archE906ELNS1_3gpuE6ELNS1_3repE0EEENS1_30default_config_static_selectorELNS0_4arch9wavefront6targetE1EEEvS13_
; %bb.0:
	.section	.rodata,"a",@progbits
	.p2align	6, 0x0
	.amdhsa_kernel _ZN7rocprim17ROCPRIM_400000_NS6detail17trampoline_kernelINS0_13select_configILj256ELj13ELNS0_17block_load_methodE3ELS4_3ELS4_3ELNS0_20block_scan_algorithmE0ELj4294967295EEENS1_25partition_config_selectorILNS1_17partition_subalgoE4EjNS0_10empty_typeEbEEZZNS1_14partition_implILS8_4ELb0ES6_15HIP_vector_typeIjLj2EENS0_17counting_iteratorIjlEEPS9_SG_NS0_5tupleIJPjSI_NS0_16reverse_iteratorISI_EEEEENSH_IJSG_SG_SG_EEES9_SI_JZNS1_25segmented_radix_sort_implINS0_14default_configELb0EPK6__halfPSP_PKlPlN2at6native12_GLOBAL__N_18offset_tEEE10hipError_tPvRmT1_PNSt15iterator_traitsIS13_E10value_typeET2_T3_PNS14_IS19_E10value_typeET4_jRbjT5_S1F_jjP12ihipStream_tbEUljE_ZNSN_ISO_Lb0ESR_SS_SU_SV_SZ_EES10_S11_S12_S13_S17_S18_S19_S1C_S1D_jS1E_jS1F_S1F_jjS1H_bEUljE0_EEES10_S11_S12_S19_S1D_S1F_T6_T7_T9_mT8_S1H_bDpT10_ENKUlT_T0_E_clISt17integral_constantIbLb1EES1U_IbLb0EEEEDaS1Q_S1R_EUlS1Q_E_NS1_11comp_targetILNS1_3genE2ELNS1_11target_archE906ELNS1_3gpuE6ELNS1_3repE0EEENS1_30default_config_static_selectorELNS0_4arch9wavefront6targetE1EEEvS13_
		.amdhsa_group_segment_fixed_size 0
		.amdhsa_private_segment_fixed_size 0
		.amdhsa_kernarg_size 176
		.amdhsa_user_sgpr_count 6
		.amdhsa_user_sgpr_private_segment_buffer 1
		.amdhsa_user_sgpr_dispatch_ptr 0
		.amdhsa_user_sgpr_queue_ptr 0
		.amdhsa_user_sgpr_kernarg_segment_ptr 1
		.amdhsa_user_sgpr_dispatch_id 0
		.amdhsa_user_sgpr_flat_scratch_init 0
		.amdhsa_user_sgpr_kernarg_preload_length 0
		.amdhsa_user_sgpr_kernarg_preload_offset 0
		.amdhsa_user_sgpr_private_segment_size 0
		.amdhsa_uses_dynamic_stack 0
		.amdhsa_system_sgpr_private_segment_wavefront_offset 0
		.amdhsa_system_sgpr_workgroup_id_x 1
		.amdhsa_system_sgpr_workgroup_id_y 0
		.amdhsa_system_sgpr_workgroup_id_z 0
		.amdhsa_system_sgpr_workgroup_info 0
		.amdhsa_system_vgpr_workitem_id 0
		.amdhsa_next_free_vgpr 1
		.amdhsa_next_free_sgpr 0
		.amdhsa_accum_offset 4
		.amdhsa_reserve_vcc 0
		.amdhsa_reserve_flat_scratch 0
		.amdhsa_float_round_mode_32 0
		.amdhsa_float_round_mode_16_64 0
		.amdhsa_float_denorm_mode_32 3
		.amdhsa_float_denorm_mode_16_64 3
		.amdhsa_dx10_clamp 1
		.amdhsa_ieee_mode 1
		.amdhsa_fp16_overflow 0
		.amdhsa_tg_split 0
		.amdhsa_exception_fp_ieee_invalid_op 0
		.amdhsa_exception_fp_denorm_src 0
		.amdhsa_exception_fp_ieee_div_zero 0
		.amdhsa_exception_fp_ieee_overflow 0
		.amdhsa_exception_fp_ieee_underflow 0
		.amdhsa_exception_fp_ieee_inexact 0
		.amdhsa_exception_int_div_zero 0
	.end_amdhsa_kernel
	.section	.text._ZN7rocprim17ROCPRIM_400000_NS6detail17trampoline_kernelINS0_13select_configILj256ELj13ELNS0_17block_load_methodE3ELS4_3ELS4_3ELNS0_20block_scan_algorithmE0ELj4294967295EEENS1_25partition_config_selectorILNS1_17partition_subalgoE4EjNS0_10empty_typeEbEEZZNS1_14partition_implILS8_4ELb0ES6_15HIP_vector_typeIjLj2EENS0_17counting_iteratorIjlEEPS9_SG_NS0_5tupleIJPjSI_NS0_16reverse_iteratorISI_EEEEENSH_IJSG_SG_SG_EEES9_SI_JZNS1_25segmented_radix_sort_implINS0_14default_configELb0EPK6__halfPSP_PKlPlN2at6native12_GLOBAL__N_18offset_tEEE10hipError_tPvRmT1_PNSt15iterator_traitsIS13_E10value_typeET2_T3_PNS14_IS19_E10value_typeET4_jRbjT5_S1F_jjP12ihipStream_tbEUljE_ZNSN_ISO_Lb0ESR_SS_SU_SV_SZ_EES10_S11_S12_S13_S17_S18_S19_S1C_S1D_jS1E_jS1F_S1F_jjS1H_bEUljE0_EEES10_S11_S12_S19_S1D_S1F_T6_T7_T9_mT8_S1H_bDpT10_ENKUlT_T0_E_clISt17integral_constantIbLb1EES1U_IbLb0EEEEDaS1Q_S1R_EUlS1Q_E_NS1_11comp_targetILNS1_3genE2ELNS1_11target_archE906ELNS1_3gpuE6ELNS1_3repE0EEENS1_30default_config_static_selectorELNS0_4arch9wavefront6targetE1EEEvS13_,"axG",@progbits,_ZN7rocprim17ROCPRIM_400000_NS6detail17trampoline_kernelINS0_13select_configILj256ELj13ELNS0_17block_load_methodE3ELS4_3ELS4_3ELNS0_20block_scan_algorithmE0ELj4294967295EEENS1_25partition_config_selectorILNS1_17partition_subalgoE4EjNS0_10empty_typeEbEEZZNS1_14partition_implILS8_4ELb0ES6_15HIP_vector_typeIjLj2EENS0_17counting_iteratorIjlEEPS9_SG_NS0_5tupleIJPjSI_NS0_16reverse_iteratorISI_EEEEENSH_IJSG_SG_SG_EEES9_SI_JZNS1_25segmented_radix_sort_implINS0_14default_configELb0EPK6__halfPSP_PKlPlN2at6native12_GLOBAL__N_18offset_tEEE10hipError_tPvRmT1_PNSt15iterator_traitsIS13_E10value_typeET2_T3_PNS14_IS19_E10value_typeET4_jRbjT5_S1F_jjP12ihipStream_tbEUljE_ZNSN_ISO_Lb0ESR_SS_SU_SV_SZ_EES10_S11_S12_S13_S17_S18_S19_S1C_S1D_jS1E_jS1F_S1F_jjS1H_bEUljE0_EEES10_S11_S12_S19_S1D_S1F_T6_T7_T9_mT8_S1H_bDpT10_ENKUlT_T0_E_clISt17integral_constantIbLb1EES1U_IbLb0EEEEDaS1Q_S1R_EUlS1Q_E_NS1_11comp_targetILNS1_3genE2ELNS1_11target_archE906ELNS1_3gpuE6ELNS1_3repE0EEENS1_30default_config_static_selectorELNS0_4arch9wavefront6targetE1EEEvS13_,comdat
.Lfunc_end1796:
	.size	_ZN7rocprim17ROCPRIM_400000_NS6detail17trampoline_kernelINS0_13select_configILj256ELj13ELNS0_17block_load_methodE3ELS4_3ELS4_3ELNS0_20block_scan_algorithmE0ELj4294967295EEENS1_25partition_config_selectorILNS1_17partition_subalgoE4EjNS0_10empty_typeEbEEZZNS1_14partition_implILS8_4ELb0ES6_15HIP_vector_typeIjLj2EENS0_17counting_iteratorIjlEEPS9_SG_NS0_5tupleIJPjSI_NS0_16reverse_iteratorISI_EEEEENSH_IJSG_SG_SG_EEES9_SI_JZNS1_25segmented_radix_sort_implINS0_14default_configELb0EPK6__halfPSP_PKlPlN2at6native12_GLOBAL__N_18offset_tEEE10hipError_tPvRmT1_PNSt15iterator_traitsIS13_E10value_typeET2_T3_PNS14_IS19_E10value_typeET4_jRbjT5_S1F_jjP12ihipStream_tbEUljE_ZNSN_ISO_Lb0ESR_SS_SU_SV_SZ_EES10_S11_S12_S13_S17_S18_S19_S1C_S1D_jS1E_jS1F_S1F_jjS1H_bEUljE0_EEES10_S11_S12_S19_S1D_S1F_T6_T7_T9_mT8_S1H_bDpT10_ENKUlT_T0_E_clISt17integral_constantIbLb1EES1U_IbLb0EEEEDaS1Q_S1R_EUlS1Q_E_NS1_11comp_targetILNS1_3genE2ELNS1_11target_archE906ELNS1_3gpuE6ELNS1_3repE0EEENS1_30default_config_static_selectorELNS0_4arch9wavefront6targetE1EEEvS13_, .Lfunc_end1796-_ZN7rocprim17ROCPRIM_400000_NS6detail17trampoline_kernelINS0_13select_configILj256ELj13ELNS0_17block_load_methodE3ELS4_3ELS4_3ELNS0_20block_scan_algorithmE0ELj4294967295EEENS1_25partition_config_selectorILNS1_17partition_subalgoE4EjNS0_10empty_typeEbEEZZNS1_14partition_implILS8_4ELb0ES6_15HIP_vector_typeIjLj2EENS0_17counting_iteratorIjlEEPS9_SG_NS0_5tupleIJPjSI_NS0_16reverse_iteratorISI_EEEEENSH_IJSG_SG_SG_EEES9_SI_JZNS1_25segmented_radix_sort_implINS0_14default_configELb0EPK6__halfPSP_PKlPlN2at6native12_GLOBAL__N_18offset_tEEE10hipError_tPvRmT1_PNSt15iterator_traitsIS13_E10value_typeET2_T3_PNS14_IS19_E10value_typeET4_jRbjT5_S1F_jjP12ihipStream_tbEUljE_ZNSN_ISO_Lb0ESR_SS_SU_SV_SZ_EES10_S11_S12_S13_S17_S18_S19_S1C_S1D_jS1E_jS1F_S1F_jjS1H_bEUljE0_EEES10_S11_S12_S19_S1D_S1F_T6_T7_T9_mT8_S1H_bDpT10_ENKUlT_T0_E_clISt17integral_constantIbLb1EES1U_IbLb0EEEEDaS1Q_S1R_EUlS1Q_E_NS1_11comp_targetILNS1_3genE2ELNS1_11target_archE906ELNS1_3gpuE6ELNS1_3repE0EEENS1_30default_config_static_selectorELNS0_4arch9wavefront6targetE1EEEvS13_
                                        ; -- End function
	.section	.AMDGPU.csdata,"",@progbits
; Kernel info:
; codeLenInByte = 0
; NumSgprs: 4
; NumVgprs: 0
; NumAgprs: 0
; TotalNumVgprs: 0
; ScratchSize: 0
; MemoryBound: 0
; FloatMode: 240
; IeeeMode: 1
; LDSByteSize: 0 bytes/workgroup (compile time only)
; SGPRBlocks: 0
; VGPRBlocks: 0
; NumSGPRsForWavesPerEU: 4
; NumVGPRsForWavesPerEU: 1
; AccumOffset: 4
; Occupancy: 8
; WaveLimiterHint : 0
; COMPUTE_PGM_RSRC2:SCRATCH_EN: 0
; COMPUTE_PGM_RSRC2:USER_SGPR: 6
; COMPUTE_PGM_RSRC2:TRAP_HANDLER: 0
; COMPUTE_PGM_RSRC2:TGID_X_EN: 1
; COMPUTE_PGM_RSRC2:TGID_Y_EN: 0
; COMPUTE_PGM_RSRC2:TGID_Z_EN: 0
; COMPUTE_PGM_RSRC2:TIDIG_COMP_CNT: 0
; COMPUTE_PGM_RSRC3_GFX90A:ACCUM_OFFSET: 0
; COMPUTE_PGM_RSRC3_GFX90A:TG_SPLIT: 0
	.section	.text._ZN7rocprim17ROCPRIM_400000_NS6detail17trampoline_kernelINS0_13select_configILj256ELj13ELNS0_17block_load_methodE3ELS4_3ELS4_3ELNS0_20block_scan_algorithmE0ELj4294967295EEENS1_25partition_config_selectorILNS1_17partition_subalgoE4EjNS0_10empty_typeEbEEZZNS1_14partition_implILS8_4ELb0ES6_15HIP_vector_typeIjLj2EENS0_17counting_iteratorIjlEEPS9_SG_NS0_5tupleIJPjSI_NS0_16reverse_iteratorISI_EEEEENSH_IJSG_SG_SG_EEES9_SI_JZNS1_25segmented_radix_sort_implINS0_14default_configELb0EPK6__halfPSP_PKlPlN2at6native12_GLOBAL__N_18offset_tEEE10hipError_tPvRmT1_PNSt15iterator_traitsIS13_E10value_typeET2_T3_PNS14_IS19_E10value_typeET4_jRbjT5_S1F_jjP12ihipStream_tbEUljE_ZNSN_ISO_Lb0ESR_SS_SU_SV_SZ_EES10_S11_S12_S13_S17_S18_S19_S1C_S1D_jS1E_jS1F_S1F_jjS1H_bEUljE0_EEES10_S11_S12_S19_S1D_S1F_T6_T7_T9_mT8_S1H_bDpT10_ENKUlT_T0_E_clISt17integral_constantIbLb1EES1U_IbLb0EEEEDaS1Q_S1R_EUlS1Q_E_NS1_11comp_targetILNS1_3genE10ELNS1_11target_archE1200ELNS1_3gpuE4ELNS1_3repE0EEENS1_30default_config_static_selectorELNS0_4arch9wavefront6targetE1EEEvS13_,"axG",@progbits,_ZN7rocprim17ROCPRIM_400000_NS6detail17trampoline_kernelINS0_13select_configILj256ELj13ELNS0_17block_load_methodE3ELS4_3ELS4_3ELNS0_20block_scan_algorithmE0ELj4294967295EEENS1_25partition_config_selectorILNS1_17partition_subalgoE4EjNS0_10empty_typeEbEEZZNS1_14partition_implILS8_4ELb0ES6_15HIP_vector_typeIjLj2EENS0_17counting_iteratorIjlEEPS9_SG_NS0_5tupleIJPjSI_NS0_16reverse_iteratorISI_EEEEENSH_IJSG_SG_SG_EEES9_SI_JZNS1_25segmented_radix_sort_implINS0_14default_configELb0EPK6__halfPSP_PKlPlN2at6native12_GLOBAL__N_18offset_tEEE10hipError_tPvRmT1_PNSt15iterator_traitsIS13_E10value_typeET2_T3_PNS14_IS19_E10value_typeET4_jRbjT5_S1F_jjP12ihipStream_tbEUljE_ZNSN_ISO_Lb0ESR_SS_SU_SV_SZ_EES10_S11_S12_S13_S17_S18_S19_S1C_S1D_jS1E_jS1F_S1F_jjS1H_bEUljE0_EEES10_S11_S12_S19_S1D_S1F_T6_T7_T9_mT8_S1H_bDpT10_ENKUlT_T0_E_clISt17integral_constantIbLb1EES1U_IbLb0EEEEDaS1Q_S1R_EUlS1Q_E_NS1_11comp_targetILNS1_3genE10ELNS1_11target_archE1200ELNS1_3gpuE4ELNS1_3repE0EEENS1_30default_config_static_selectorELNS0_4arch9wavefront6targetE1EEEvS13_,comdat
	.globl	_ZN7rocprim17ROCPRIM_400000_NS6detail17trampoline_kernelINS0_13select_configILj256ELj13ELNS0_17block_load_methodE3ELS4_3ELS4_3ELNS0_20block_scan_algorithmE0ELj4294967295EEENS1_25partition_config_selectorILNS1_17partition_subalgoE4EjNS0_10empty_typeEbEEZZNS1_14partition_implILS8_4ELb0ES6_15HIP_vector_typeIjLj2EENS0_17counting_iteratorIjlEEPS9_SG_NS0_5tupleIJPjSI_NS0_16reverse_iteratorISI_EEEEENSH_IJSG_SG_SG_EEES9_SI_JZNS1_25segmented_radix_sort_implINS0_14default_configELb0EPK6__halfPSP_PKlPlN2at6native12_GLOBAL__N_18offset_tEEE10hipError_tPvRmT1_PNSt15iterator_traitsIS13_E10value_typeET2_T3_PNS14_IS19_E10value_typeET4_jRbjT5_S1F_jjP12ihipStream_tbEUljE_ZNSN_ISO_Lb0ESR_SS_SU_SV_SZ_EES10_S11_S12_S13_S17_S18_S19_S1C_S1D_jS1E_jS1F_S1F_jjS1H_bEUljE0_EEES10_S11_S12_S19_S1D_S1F_T6_T7_T9_mT8_S1H_bDpT10_ENKUlT_T0_E_clISt17integral_constantIbLb1EES1U_IbLb0EEEEDaS1Q_S1R_EUlS1Q_E_NS1_11comp_targetILNS1_3genE10ELNS1_11target_archE1200ELNS1_3gpuE4ELNS1_3repE0EEENS1_30default_config_static_selectorELNS0_4arch9wavefront6targetE1EEEvS13_ ; -- Begin function _ZN7rocprim17ROCPRIM_400000_NS6detail17trampoline_kernelINS0_13select_configILj256ELj13ELNS0_17block_load_methodE3ELS4_3ELS4_3ELNS0_20block_scan_algorithmE0ELj4294967295EEENS1_25partition_config_selectorILNS1_17partition_subalgoE4EjNS0_10empty_typeEbEEZZNS1_14partition_implILS8_4ELb0ES6_15HIP_vector_typeIjLj2EENS0_17counting_iteratorIjlEEPS9_SG_NS0_5tupleIJPjSI_NS0_16reverse_iteratorISI_EEEEENSH_IJSG_SG_SG_EEES9_SI_JZNS1_25segmented_radix_sort_implINS0_14default_configELb0EPK6__halfPSP_PKlPlN2at6native12_GLOBAL__N_18offset_tEEE10hipError_tPvRmT1_PNSt15iterator_traitsIS13_E10value_typeET2_T3_PNS14_IS19_E10value_typeET4_jRbjT5_S1F_jjP12ihipStream_tbEUljE_ZNSN_ISO_Lb0ESR_SS_SU_SV_SZ_EES10_S11_S12_S13_S17_S18_S19_S1C_S1D_jS1E_jS1F_S1F_jjS1H_bEUljE0_EEES10_S11_S12_S19_S1D_S1F_T6_T7_T9_mT8_S1H_bDpT10_ENKUlT_T0_E_clISt17integral_constantIbLb1EES1U_IbLb0EEEEDaS1Q_S1R_EUlS1Q_E_NS1_11comp_targetILNS1_3genE10ELNS1_11target_archE1200ELNS1_3gpuE4ELNS1_3repE0EEENS1_30default_config_static_selectorELNS0_4arch9wavefront6targetE1EEEvS13_
	.p2align	8
	.type	_ZN7rocprim17ROCPRIM_400000_NS6detail17trampoline_kernelINS0_13select_configILj256ELj13ELNS0_17block_load_methodE3ELS4_3ELS4_3ELNS0_20block_scan_algorithmE0ELj4294967295EEENS1_25partition_config_selectorILNS1_17partition_subalgoE4EjNS0_10empty_typeEbEEZZNS1_14partition_implILS8_4ELb0ES6_15HIP_vector_typeIjLj2EENS0_17counting_iteratorIjlEEPS9_SG_NS0_5tupleIJPjSI_NS0_16reverse_iteratorISI_EEEEENSH_IJSG_SG_SG_EEES9_SI_JZNS1_25segmented_radix_sort_implINS0_14default_configELb0EPK6__halfPSP_PKlPlN2at6native12_GLOBAL__N_18offset_tEEE10hipError_tPvRmT1_PNSt15iterator_traitsIS13_E10value_typeET2_T3_PNS14_IS19_E10value_typeET4_jRbjT5_S1F_jjP12ihipStream_tbEUljE_ZNSN_ISO_Lb0ESR_SS_SU_SV_SZ_EES10_S11_S12_S13_S17_S18_S19_S1C_S1D_jS1E_jS1F_S1F_jjS1H_bEUljE0_EEES10_S11_S12_S19_S1D_S1F_T6_T7_T9_mT8_S1H_bDpT10_ENKUlT_T0_E_clISt17integral_constantIbLb1EES1U_IbLb0EEEEDaS1Q_S1R_EUlS1Q_E_NS1_11comp_targetILNS1_3genE10ELNS1_11target_archE1200ELNS1_3gpuE4ELNS1_3repE0EEENS1_30default_config_static_selectorELNS0_4arch9wavefront6targetE1EEEvS13_,@function
_ZN7rocprim17ROCPRIM_400000_NS6detail17trampoline_kernelINS0_13select_configILj256ELj13ELNS0_17block_load_methodE3ELS4_3ELS4_3ELNS0_20block_scan_algorithmE0ELj4294967295EEENS1_25partition_config_selectorILNS1_17partition_subalgoE4EjNS0_10empty_typeEbEEZZNS1_14partition_implILS8_4ELb0ES6_15HIP_vector_typeIjLj2EENS0_17counting_iteratorIjlEEPS9_SG_NS0_5tupleIJPjSI_NS0_16reverse_iteratorISI_EEEEENSH_IJSG_SG_SG_EEES9_SI_JZNS1_25segmented_radix_sort_implINS0_14default_configELb0EPK6__halfPSP_PKlPlN2at6native12_GLOBAL__N_18offset_tEEE10hipError_tPvRmT1_PNSt15iterator_traitsIS13_E10value_typeET2_T3_PNS14_IS19_E10value_typeET4_jRbjT5_S1F_jjP12ihipStream_tbEUljE_ZNSN_ISO_Lb0ESR_SS_SU_SV_SZ_EES10_S11_S12_S13_S17_S18_S19_S1C_S1D_jS1E_jS1F_S1F_jjS1H_bEUljE0_EEES10_S11_S12_S19_S1D_S1F_T6_T7_T9_mT8_S1H_bDpT10_ENKUlT_T0_E_clISt17integral_constantIbLb1EES1U_IbLb0EEEEDaS1Q_S1R_EUlS1Q_E_NS1_11comp_targetILNS1_3genE10ELNS1_11target_archE1200ELNS1_3gpuE4ELNS1_3repE0EEENS1_30default_config_static_selectorELNS0_4arch9wavefront6targetE1EEEvS13_: ; @_ZN7rocprim17ROCPRIM_400000_NS6detail17trampoline_kernelINS0_13select_configILj256ELj13ELNS0_17block_load_methodE3ELS4_3ELS4_3ELNS0_20block_scan_algorithmE0ELj4294967295EEENS1_25partition_config_selectorILNS1_17partition_subalgoE4EjNS0_10empty_typeEbEEZZNS1_14partition_implILS8_4ELb0ES6_15HIP_vector_typeIjLj2EENS0_17counting_iteratorIjlEEPS9_SG_NS0_5tupleIJPjSI_NS0_16reverse_iteratorISI_EEEEENSH_IJSG_SG_SG_EEES9_SI_JZNS1_25segmented_radix_sort_implINS0_14default_configELb0EPK6__halfPSP_PKlPlN2at6native12_GLOBAL__N_18offset_tEEE10hipError_tPvRmT1_PNSt15iterator_traitsIS13_E10value_typeET2_T3_PNS14_IS19_E10value_typeET4_jRbjT5_S1F_jjP12ihipStream_tbEUljE_ZNSN_ISO_Lb0ESR_SS_SU_SV_SZ_EES10_S11_S12_S13_S17_S18_S19_S1C_S1D_jS1E_jS1F_S1F_jjS1H_bEUljE0_EEES10_S11_S12_S19_S1D_S1F_T6_T7_T9_mT8_S1H_bDpT10_ENKUlT_T0_E_clISt17integral_constantIbLb1EES1U_IbLb0EEEEDaS1Q_S1R_EUlS1Q_E_NS1_11comp_targetILNS1_3genE10ELNS1_11target_archE1200ELNS1_3gpuE4ELNS1_3repE0EEENS1_30default_config_static_selectorELNS0_4arch9wavefront6targetE1EEEvS13_
; %bb.0:
	.section	.rodata,"a",@progbits
	.p2align	6, 0x0
	.amdhsa_kernel _ZN7rocprim17ROCPRIM_400000_NS6detail17trampoline_kernelINS0_13select_configILj256ELj13ELNS0_17block_load_methodE3ELS4_3ELS4_3ELNS0_20block_scan_algorithmE0ELj4294967295EEENS1_25partition_config_selectorILNS1_17partition_subalgoE4EjNS0_10empty_typeEbEEZZNS1_14partition_implILS8_4ELb0ES6_15HIP_vector_typeIjLj2EENS0_17counting_iteratorIjlEEPS9_SG_NS0_5tupleIJPjSI_NS0_16reverse_iteratorISI_EEEEENSH_IJSG_SG_SG_EEES9_SI_JZNS1_25segmented_radix_sort_implINS0_14default_configELb0EPK6__halfPSP_PKlPlN2at6native12_GLOBAL__N_18offset_tEEE10hipError_tPvRmT1_PNSt15iterator_traitsIS13_E10value_typeET2_T3_PNS14_IS19_E10value_typeET4_jRbjT5_S1F_jjP12ihipStream_tbEUljE_ZNSN_ISO_Lb0ESR_SS_SU_SV_SZ_EES10_S11_S12_S13_S17_S18_S19_S1C_S1D_jS1E_jS1F_S1F_jjS1H_bEUljE0_EEES10_S11_S12_S19_S1D_S1F_T6_T7_T9_mT8_S1H_bDpT10_ENKUlT_T0_E_clISt17integral_constantIbLb1EES1U_IbLb0EEEEDaS1Q_S1R_EUlS1Q_E_NS1_11comp_targetILNS1_3genE10ELNS1_11target_archE1200ELNS1_3gpuE4ELNS1_3repE0EEENS1_30default_config_static_selectorELNS0_4arch9wavefront6targetE1EEEvS13_
		.amdhsa_group_segment_fixed_size 0
		.amdhsa_private_segment_fixed_size 0
		.amdhsa_kernarg_size 176
		.amdhsa_user_sgpr_count 6
		.amdhsa_user_sgpr_private_segment_buffer 1
		.amdhsa_user_sgpr_dispatch_ptr 0
		.amdhsa_user_sgpr_queue_ptr 0
		.amdhsa_user_sgpr_kernarg_segment_ptr 1
		.amdhsa_user_sgpr_dispatch_id 0
		.amdhsa_user_sgpr_flat_scratch_init 0
		.amdhsa_user_sgpr_kernarg_preload_length 0
		.amdhsa_user_sgpr_kernarg_preload_offset 0
		.amdhsa_user_sgpr_private_segment_size 0
		.amdhsa_uses_dynamic_stack 0
		.amdhsa_system_sgpr_private_segment_wavefront_offset 0
		.amdhsa_system_sgpr_workgroup_id_x 1
		.amdhsa_system_sgpr_workgroup_id_y 0
		.amdhsa_system_sgpr_workgroup_id_z 0
		.amdhsa_system_sgpr_workgroup_info 0
		.amdhsa_system_vgpr_workitem_id 0
		.amdhsa_next_free_vgpr 1
		.amdhsa_next_free_sgpr 0
		.amdhsa_accum_offset 4
		.amdhsa_reserve_vcc 0
		.amdhsa_reserve_flat_scratch 0
		.amdhsa_float_round_mode_32 0
		.amdhsa_float_round_mode_16_64 0
		.amdhsa_float_denorm_mode_32 3
		.amdhsa_float_denorm_mode_16_64 3
		.amdhsa_dx10_clamp 1
		.amdhsa_ieee_mode 1
		.amdhsa_fp16_overflow 0
		.amdhsa_tg_split 0
		.amdhsa_exception_fp_ieee_invalid_op 0
		.amdhsa_exception_fp_denorm_src 0
		.amdhsa_exception_fp_ieee_div_zero 0
		.amdhsa_exception_fp_ieee_overflow 0
		.amdhsa_exception_fp_ieee_underflow 0
		.amdhsa_exception_fp_ieee_inexact 0
		.amdhsa_exception_int_div_zero 0
	.end_amdhsa_kernel
	.section	.text._ZN7rocprim17ROCPRIM_400000_NS6detail17trampoline_kernelINS0_13select_configILj256ELj13ELNS0_17block_load_methodE3ELS4_3ELS4_3ELNS0_20block_scan_algorithmE0ELj4294967295EEENS1_25partition_config_selectorILNS1_17partition_subalgoE4EjNS0_10empty_typeEbEEZZNS1_14partition_implILS8_4ELb0ES6_15HIP_vector_typeIjLj2EENS0_17counting_iteratorIjlEEPS9_SG_NS0_5tupleIJPjSI_NS0_16reverse_iteratorISI_EEEEENSH_IJSG_SG_SG_EEES9_SI_JZNS1_25segmented_radix_sort_implINS0_14default_configELb0EPK6__halfPSP_PKlPlN2at6native12_GLOBAL__N_18offset_tEEE10hipError_tPvRmT1_PNSt15iterator_traitsIS13_E10value_typeET2_T3_PNS14_IS19_E10value_typeET4_jRbjT5_S1F_jjP12ihipStream_tbEUljE_ZNSN_ISO_Lb0ESR_SS_SU_SV_SZ_EES10_S11_S12_S13_S17_S18_S19_S1C_S1D_jS1E_jS1F_S1F_jjS1H_bEUljE0_EEES10_S11_S12_S19_S1D_S1F_T6_T7_T9_mT8_S1H_bDpT10_ENKUlT_T0_E_clISt17integral_constantIbLb1EES1U_IbLb0EEEEDaS1Q_S1R_EUlS1Q_E_NS1_11comp_targetILNS1_3genE10ELNS1_11target_archE1200ELNS1_3gpuE4ELNS1_3repE0EEENS1_30default_config_static_selectorELNS0_4arch9wavefront6targetE1EEEvS13_,"axG",@progbits,_ZN7rocprim17ROCPRIM_400000_NS6detail17trampoline_kernelINS0_13select_configILj256ELj13ELNS0_17block_load_methodE3ELS4_3ELS4_3ELNS0_20block_scan_algorithmE0ELj4294967295EEENS1_25partition_config_selectorILNS1_17partition_subalgoE4EjNS0_10empty_typeEbEEZZNS1_14partition_implILS8_4ELb0ES6_15HIP_vector_typeIjLj2EENS0_17counting_iteratorIjlEEPS9_SG_NS0_5tupleIJPjSI_NS0_16reverse_iteratorISI_EEEEENSH_IJSG_SG_SG_EEES9_SI_JZNS1_25segmented_radix_sort_implINS0_14default_configELb0EPK6__halfPSP_PKlPlN2at6native12_GLOBAL__N_18offset_tEEE10hipError_tPvRmT1_PNSt15iterator_traitsIS13_E10value_typeET2_T3_PNS14_IS19_E10value_typeET4_jRbjT5_S1F_jjP12ihipStream_tbEUljE_ZNSN_ISO_Lb0ESR_SS_SU_SV_SZ_EES10_S11_S12_S13_S17_S18_S19_S1C_S1D_jS1E_jS1F_S1F_jjS1H_bEUljE0_EEES10_S11_S12_S19_S1D_S1F_T6_T7_T9_mT8_S1H_bDpT10_ENKUlT_T0_E_clISt17integral_constantIbLb1EES1U_IbLb0EEEEDaS1Q_S1R_EUlS1Q_E_NS1_11comp_targetILNS1_3genE10ELNS1_11target_archE1200ELNS1_3gpuE4ELNS1_3repE0EEENS1_30default_config_static_selectorELNS0_4arch9wavefront6targetE1EEEvS13_,comdat
.Lfunc_end1797:
	.size	_ZN7rocprim17ROCPRIM_400000_NS6detail17trampoline_kernelINS0_13select_configILj256ELj13ELNS0_17block_load_methodE3ELS4_3ELS4_3ELNS0_20block_scan_algorithmE0ELj4294967295EEENS1_25partition_config_selectorILNS1_17partition_subalgoE4EjNS0_10empty_typeEbEEZZNS1_14partition_implILS8_4ELb0ES6_15HIP_vector_typeIjLj2EENS0_17counting_iteratorIjlEEPS9_SG_NS0_5tupleIJPjSI_NS0_16reverse_iteratorISI_EEEEENSH_IJSG_SG_SG_EEES9_SI_JZNS1_25segmented_radix_sort_implINS0_14default_configELb0EPK6__halfPSP_PKlPlN2at6native12_GLOBAL__N_18offset_tEEE10hipError_tPvRmT1_PNSt15iterator_traitsIS13_E10value_typeET2_T3_PNS14_IS19_E10value_typeET4_jRbjT5_S1F_jjP12ihipStream_tbEUljE_ZNSN_ISO_Lb0ESR_SS_SU_SV_SZ_EES10_S11_S12_S13_S17_S18_S19_S1C_S1D_jS1E_jS1F_S1F_jjS1H_bEUljE0_EEES10_S11_S12_S19_S1D_S1F_T6_T7_T9_mT8_S1H_bDpT10_ENKUlT_T0_E_clISt17integral_constantIbLb1EES1U_IbLb0EEEEDaS1Q_S1R_EUlS1Q_E_NS1_11comp_targetILNS1_3genE10ELNS1_11target_archE1200ELNS1_3gpuE4ELNS1_3repE0EEENS1_30default_config_static_selectorELNS0_4arch9wavefront6targetE1EEEvS13_, .Lfunc_end1797-_ZN7rocprim17ROCPRIM_400000_NS6detail17trampoline_kernelINS0_13select_configILj256ELj13ELNS0_17block_load_methodE3ELS4_3ELS4_3ELNS0_20block_scan_algorithmE0ELj4294967295EEENS1_25partition_config_selectorILNS1_17partition_subalgoE4EjNS0_10empty_typeEbEEZZNS1_14partition_implILS8_4ELb0ES6_15HIP_vector_typeIjLj2EENS0_17counting_iteratorIjlEEPS9_SG_NS0_5tupleIJPjSI_NS0_16reverse_iteratorISI_EEEEENSH_IJSG_SG_SG_EEES9_SI_JZNS1_25segmented_radix_sort_implINS0_14default_configELb0EPK6__halfPSP_PKlPlN2at6native12_GLOBAL__N_18offset_tEEE10hipError_tPvRmT1_PNSt15iterator_traitsIS13_E10value_typeET2_T3_PNS14_IS19_E10value_typeET4_jRbjT5_S1F_jjP12ihipStream_tbEUljE_ZNSN_ISO_Lb0ESR_SS_SU_SV_SZ_EES10_S11_S12_S13_S17_S18_S19_S1C_S1D_jS1E_jS1F_S1F_jjS1H_bEUljE0_EEES10_S11_S12_S19_S1D_S1F_T6_T7_T9_mT8_S1H_bDpT10_ENKUlT_T0_E_clISt17integral_constantIbLb1EES1U_IbLb0EEEEDaS1Q_S1R_EUlS1Q_E_NS1_11comp_targetILNS1_3genE10ELNS1_11target_archE1200ELNS1_3gpuE4ELNS1_3repE0EEENS1_30default_config_static_selectorELNS0_4arch9wavefront6targetE1EEEvS13_
                                        ; -- End function
	.section	.AMDGPU.csdata,"",@progbits
; Kernel info:
; codeLenInByte = 0
; NumSgprs: 4
; NumVgprs: 0
; NumAgprs: 0
; TotalNumVgprs: 0
; ScratchSize: 0
; MemoryBound: 0
; FloatMode: 240
; IeeeMode: 1
; LDSByteSize: 0 bytes/workgroup (compile time only)
; SGPRBlocks: 0
; VGPRBlocks: 0
; NumSGPRsForWavesPerEU: 4
; NumVGPRsForWavesPerEU: 1
; AccumOffset: 4
; Occupancy: 8
; WaveLimiterHint : 0
; COMPUTE_PGM_RSRC2:SCRATCH_EN: 0
; COMPUTE_PGM_RSRC2:USER_SGPR: 6
; COMPUTE_PGM_RSRC2:TRAP_HANDLER: 0
; COMPUTE_PGM_RSRC2:TGID_X_EN: 1
; COMPUTE_PGM_RSRC2:TGID_Y_EN: 0
; COMPUTE_PGM_RSRC2:TGID_Z_EN: 0
; COMPUTE_PGM_RSRC2:TIDIG_COMP_CNT: 0
; COMPUTE_PGM_RSRC3_GFX90A:ACCUM_OFFSET: 0
; COMPUTE_PGM_RSRC3_GFX90A:TG_SPLIT: 0
	.section	.text._ZN7rocprim17ROCPRIM_400000_NS6detail17trampoline_kernelINS0_13select_configILj256ELj13ELNS0_17block_load_methodE3ELS4_3ELS4_3ELNS0_20block_scan_algorithmE0ELj4294967295EEENS1_25partition_config_selectorILNS1_17partition_subalgoE4EjNS0_10empty_typeEbEEZZNS1_14partition_implILS8_4ELb0ES6_15HIP_vector_typeIjLj2EENS0_17counting_iteratorIjlEEPS9_SG_NS0_5tupleIJPjSI_NS0_16reverse_iteratorISI_EEEEENSH_IJSG_SG_SG_EEES9_SI_JZNS1_25segmented_radix_sort_implINS0_14default_configELb0EPK6__halfPSP_PKlPlN2at6native12_GLOBAL__N_18offset_tEEE10hipError_tPvRmT1_PNSt15iterator_traitsIS13_E10value_typeET2_T3_PNS14_IS19_E10value_typeET4_jRbjT5_S1F_jjP12ihipStream_tbEUljE_ZNSN_ISO_Lb0ESR_SS_SU_SV_SZ_EES10_S11_S12_S13_S17_S18_S19_S1C_S1D_jS1E_jS1F_S1F_jjS1H_bEUljE0_EEES10_S11_S12_S19_S1D_S1F_T6_T7_T9_mT8_S1H_bDpT10_ENKUlT_T0_E_clISt17integral_constantIbLb1EES1U_IbLb0EEEEDaS1Q_S1R_EUlS1Q_E_NS1_11comp_targetILNS1_3genE9ELNS1_11target_archE1100ELNS1_3gpuE3ELNS1_3repE0EEENS1_30default_config_static_selectorELNS0_4arch9wavefront6targetE1EEEvS13_,"axG",@progbits,_ZN7rocprim17ROCPRIM_400000_NS6detail17trampoline_kernelINS0_13select_configILj256ELj13ELNS0_17block_load_methodE3ELS4_3ELS4_3ELNS0_20block_scan_algorithmE0ELj4294967295EEENS1_25partition_config_selectorILNS1_17partition_subalgoE4EjNS0_10empty_typeEbEEZZNS1_14partition_implILS8_4ELb0ES6_15HIP_vector_typeIjLj2EENS0_17counting_iteratorIjlEEPS9_SG_NS0_5tupleIJPjSI_NS0_16reverse_iteratorISI_EEEEENSH_IJSG_SG_SG_EEES9_SI_JZNS1_25segmented_radix_sort_implINS0_14default_configELb0EPK6__halfPSP_PKlPlN2at6native12_GLOBAL__N_18offset_tEEE10hipError_tPvRmT1_PNSt15iterator_traitsIS13_E10value_typeET2_T3_PNS14_IS19_E10value_typeET4_jRbjT5_S1F_jjP12ihipStream_tbEUljE_ZNSN_ISO_Lb0ESR_SS_SU_SV_SZ_EES10_S11_S12_S13_S17_S18_S19_S1C_S1D_jS1E_jS1F_S1F_jjS1H_bEUljE0_EEES10_S11_S12_S19_S1D_S1F_T6_T7_T9_mT8_S1H_bDpT10_ENKUlT_T0_E_clISt17integral_constantIbLb1EES1U_IbLb0EEEEDaS1Q_S1R_EUlS1Q_E_NS1_11comp_targetILNS1_3genE9ELNS1_11target_archE1100ELNS1_3gpuE3ELNS1_3repE0EEENS1_30default_config_static_selectorELNS0_4arch9wavefront6targetE1EEEvS13_,comdat
	.globl	_ZN7rocprim17ROCPRIM_400000_NS6detail17trampoline_kernelINS0_13select_configILj256ELj13ELNS0_17block_load_methodE3ELS4_3ELS4_3ELNS0_20block_scan_algorithmE0ELj4294967295EEENS1_25partition_config_selectorILNS1_17partition_subalgoE4EjNS0_10empty_typeEbEEZZNS1_14partition_implILS8_4ELb0ES6_15HIP_vector_typeIjLj2EENS0_17counting_iteratorIjlEEPS9_SG_NS0_5tupleIJPjSI_NS0_16reverse_iteratorISI_EEEEENSH_IJSG_SG_SG_EEES9_SI_JZNS1_25segmented_radix_sort_implINS0_14default_configELb0EPK6__halfPSP_PKlPlN2at6native12_GLOBAL__N_18offset_tEEE10hipError_tPvRmT1_PNSt15iterator_traitsIS13_E10value_typeET2_T3_PNS14_IS19_E10value_typeET4_jRbjT5_S1F_jjP12ihipStream_tbEUljE_ZNSN_ISO_Lb0ESR_SS_SU_SV_SZ_EES10_S11_S12_S13_S17_S18_S19_S1C_S1D_jS1E_jS1F_S1F_jjS1H_bEUljE0_EEES10_S11_S12_S19_S1D_S1F_T6_T7_T9_mT8_S1H_bDpT10_ENKUlT_T0_E_clISt17integral_constantIbLb1EES1U_IbLb0EEEEDaS1Q_S1R_EUlS1Q_E_NS1_11comp_targetILNS1_3genE9ELNS1_11target_archE1100ELNS1_3gpuE3ELNS1_3repE0EEENS1_30default_config_static_selectorELNS0_4arch9wavefront6targetE1EEEvS13_ ; -- Begin function _ZN7rocprim17ROCPRIM_400000_NS6detail17trampoline_kernelINS0_13select_configILj256ELj13ELNS0_17block_load_methodE3ELS4_3ELS4_3ELNS0_20block_scan_algorithmE0ELj4294967295EEENS1_25partition_config_selectorILNS1_17partition_subalgoE4EjNS0_10empty_typeEbEEZZNS1_14partition_implILS8_4ELb0ES6_15HIP_vector_typeIjLj2EENS0_17counting_iteratorIjlEEPS9_SG_NS0_5tupleIJPjSI_NS0_16reverse_iteratorISI_EEEEENSH_IJSG_SG_SG_EEES9_SI_JZNS1_25segmented_radix_sort_implINS0_14default_configELb0EPK6__halfPSP_PKlPlN2at6native12_GLOBAL__N_18offset_tEEE10hipError_tPvRmT1_PNSt15iterator_traitsIS13_E10value_typeET2_T3_PNS14_IS19_E10value_typeET4_jRbjT5_S1F_jjP12ihipStream_tbEUljE_ZNSN_ISO_Lb0ESR_SS_SU_SV_SZ_EES10_S11_S12_S13_S17_S18_S19_S1C_S1D_jS1E_jS1F_S1F_jjS1H_bEUljE0_EEES10_S11_S12_S19_S1D_S1F_T6_T7_T9_mT8_S1H_bDpT10_ENKUlT_T0_E_clISt17integral_constantIbLb1EES1U_IbLb0EEEEDaS1Q_S1R_EUlS1Q_E_NS1_11comp_targetILNS1_3genE9ELNS1_11target_archE1100ELNS1_3gpuE3ELNS1_3repE0EEENS1_30default_config_static_selectorELNS0_4arch9wavefront6targetE1EEEvS13_
	.p2align	8
	.type	_ZN7rocprim17ROCPRIM_400000_NS6detail17trampoline_kernelINS0_13select_configILj256ELj13ELNS0_17block_load_methodE3ELS4_3ELS4_3ELNS0_20block_scan_algorithmE0ELj4294967295EEENS1_25partition_config_selectorILNS1_17partition_subalgoE4EjNS0_10empty_typeEbEEZZNS1_14partition_implILS8_4ELb0ES6_15HIP_vector_typeIjLj2EENS0_17counting_iteratorIjlEEPS9_SG_NS0_5tupleIJPjSI_NS0_16reverse_iteratorISI_EEEEENSH_IJSG_SG_SG_EEES9_SI_JZNS1_25segmented_radix_sort_implINS0_14default_configELb0EPK6__halfPSP_PKlPlN2at6native12_GLOBAL__N_18offset_tEEE10hipError_tPvRmT1_PNSt15iterator_traitsIS13_E10value_typeET2_T3_PNS14_IS19_E10value_typeET4_jRbjT5_S1F_jjP12ihipStream_tbEUljE_ZNSN_ISO_Lb0ESR_SS_SU_SV_SZ_EES10_S11_S12_S13_S17_S18_S19_S1C_S1D_jS1E_jS1F_S1F_jjS1H_bEUljE0_EEES10_S11_S12_S19_S1D_S1F_T6_T7_T9_mT8_S1H_bDpT10_ENKUlT_T0_E_clISt17integral_constantIbLb1EES1U_IbLb0EEEEDaS1Q_S1R_EUlS1Q_E_NS1_11comp_targetILNS1_3genE9ELNS1_11target_archE1100ELNS1_3gpuE3ELNS1_3repE0EEENS1_30default_config_static_selectorELNS0_4arch9wavefront6targetE1EEEvS13_,@function
_ZN7rocprim17ROCPRIM_400000_NS6detail17trampoline_kernelINS0_13select_configILj256ELj13ELNS0_17block_load_methodE3ELS4_3ELS4_3ELNS0_20block_scan_algorithmE0ELj4294967295EEENS1_25partition_config_selectorILNS1_17partition_subalgoE4EjNS0_10empty_typeEbEEZZNS1_14partition_implILS8_4ELb0ES6_15HIP_vector_typeIjLj2EENS0_17counting_iteratorIjlEEPS9_SG_NS0_5tupleIJPjSI_NS0_16reverse_iteratorISI_EEEEENSH_IJSG_SG_SG_EEES9_SI_JZNS1_25segmented_radix_sort_implINS0_14default_configELb0EPK6__halfPSP_PKlPlN2at6native12_GLOBAL__N_18offset_tEEE10hipError_tPvRmT1_PNSt15iterator_traitsIS13_E10value_typeET2_T3_PNS14_IS19_E10value_typeET4_jRbjT5_S1F_jjP12ihipStream_tbEUljE_ZNSN_ISO_Lb0ESR_SS_SU_SV_SZ_EES10_S11_S12_S13_S17_S18_S19_S1C_S1D_jS1E_jS1F_S1F_jjS1H_bEUljE0_EEES10_S11_S12_S19_S1D_S1F_T6_T7_T9_mT8_S1H_bDpT10_ENKUlT_T0_E_clISt17integral_constantIbLb1EES1U_IbLb0EEEEDaS1Q_S1R_EUlS1Q_E_NS1_11comp_targetILNS1_3genE9ELNS1_11target_archE1100ELNS1_3gpuE3ELNS1_3repE0EEENS1_30default_config_static_selectorELNS0_4arch9wavefront6targetE1EEEvS13_: ; @_ZN7rocprim17ROCPRIM_400000_NS6detail17trampoline_kernelINS0_13select_configILj256ELj13ELNS0_17block_load_methodE3ELS4_3ELS4_3ELNS0_20block_scan_algorithmE0ELj4294967295EEENS1_25partition_config_selectorILNS1_17partition_subalgoE4EjNS0_10empty_typeEbEEZZNS1_14partition_implILS8_4ELb0ES6_15HIP_vector_typeIjLj2EENS0_17counting_iteratorIjlEEPS9_SG_NS0_5tupleIJPjSI_NS0_16reverse_iteratorISI_EEEEENSH_IJSG_SG_SG_EEES9_SI_JZNS1_25segmented_radix_sort_implINS0_14default_configELb0EPK6__halfPSP_PKlPlN2at6native12_GLOBAL__N_18offset_tEEE10hipError_tPvRmT1_PNSt15iterator_traitsIS13_E10value_typeET2_T3_PNS14_IS19_E10value_typeET4_jRbjT5_S1F_jjP12ihipStream_tbEUljE_ZNSN_ISO_Lb0ESR_SS_SU_SV_SZ_EES10_S11_S12_S13_S17_S18_S19_S1C_S1D_jS1E_jS1F_S1F_jjS1H_bEUljE0_EEES10_S11_S12_S19_S1D_S1F_T6_T7_T9_mT8_S1H_bDpT10_ENKUlT_T0_E_clISt17integral_constantIbLb1EES1U_IbLb0EEEEDaS1Q_S1R_EUlS1Q_E_NS1_11comp_targetILNS1_3genE9ELNS1_11target_archE1100ELNS1_3gpuE3ELNS1_3repE0EEENS1_30default_config_static_selectorELNS0_4arch9wavefront6targetE1EEEvS13_
; %bb.0:
	.section	.rodata,"a",@progbits
	.p2align	6, 0x0
	.amdhsa_kernel _ZN7rocprim17ROCPRIM_400000_NS6detail17trampoline_kernelINS0_13select_configILj256ELj13ELNS0_17block_load_methodE3ELS4_3ELS4_3ELNS0_20block_scan_algorithmE0ELj4294967295EEENS1_25partition_config_selectorILNS1_17partition_subalgoE4EjNS0_10empty_typeEbEEZZNS1_14partition_implILS8_4ELb0ES6_15HIP_vector_typeIjLj2EENS0_17counting_iteratorIjlEEPS9_SG_NS0_5tupleIJPjSI_NS0_16reverse_iteratorISI_EEEEENSH_IJSG_SG_SG_EEES9_SI_JZNS1_25segmented_radix_sort_implINS0_14default_configELb0EPK6__halfPSP_PKlPlN2at6native12_GLOBAL__N_18offset_tEEE10hipError_tPvRmT1_PNSt15iterator_traitsIS13_E10value_typeET2_T3_PNS14_IS19_E10value_typeET4_jRbjT5_S1F_jjP12ihipStream_tbEUljE_ZNSN_ISO_Lb0ESR_SS_SU_SV_SZ_EES10_S11_S12_S13_S17_S18_S19_S1C_S1D_jS1E_jS1F_S1F_jjS1H_bEUljE0_EEES10_S11_S12_S19_S1D_S1F_T6_T7_T9_mT8_S1H_bDpT10_ENKUlT_T0_E_clISt17integral_constantIbLb1EES1U_IbLb0EEEEDaS1Q_S1R_EUlS1Q_E_NS1_11comp_targetILNS1_3genE9ELNS1_11target_archE1100ELNS1_3gpuE3ELNS1_3repE0EEENS1_30default_config_static_selectorELNS0_4arch9wavefront6targetE1EEEvS13_
		.amdhsa_group_segment_fixed_size 0
		.amdhsa_private_segment_fixed_size 0
		.amdhsa_kernarg_size 176
		.amdhsa_user_sgpr_count 6
		.amdhsa_user_sgpr_private_segment_buffer 1
		.amdhsa_user_sgpr_dispatch_ptr 0
		.amdhsa_user_sgpr_queue_ptr 0
		.amdhsa_user_sgpr_kernarg_segment_ptr 1
		.amdhsa_user_sgpr_dispatch_id 0
		.amdhsa_user_sgpr_flat_scratch_init 0
		.amdhsa_user_sgpr_kernarg_preload_length 0
		.amdhsa_user_sgpr_kernarg_preload_offset 0
		.amdhsa_user_sgpr_private_segment_size 0
		.amdhsa_uses_dynamic_stack 0
		.amdhsa_system_sgpr_private_segment_wavefront_offset 0
		.amdhsa_system_sgpr_workgroup_id_x 1
		.amdhsa_system_sgpr_workgroup_id_y 0
		.amdhsa_system_sgpr_workgroup_id_z 0
		.amdhsa_system_sgpr_workgroup_info 0
		.amdhsa_system_vgpr_workitem_id 0
		.amdhsa_next_free_vgpr 1
		.amdhsa_next_free_sgpr 0
		.amdhsa_accum_offset 4
		.amdhsa_reserve_vcc 0
		.amdhsa_reserve_flat_scratch 0
		.amdhsa_float_round_mode_32 0
		.amdhsa_float_round_mode_16_64 0
		.amdhsa_float_denorm_mode_32 3
		.amdhsa_float_denorm_mode_16_64 3
		.amdhsa_dx10_clamp 1
		.amdhsa_ieee_mode 1
		.amdhsa_fp16_overflow 0
		.amdhsa_tg_split 0
		.amdhsa_exception_fp_ieee_invalid_op 0
		.amdhsa_exception_fp_denorm_src 0
		.amdhsa_exception_fp_ieee_div_zero 0
		.amdhsa_exception_fp_ieee_overflow 0
		.amdhsa_exception_fp_ieee_underflow 0
		.amdhsa_exception_fp_ieee_inexact 0
		.amdhsa_exception_int_div_zero 0
	.end_amdhsa_kernel
	.section	.text._ZN7rocprim17ROCPRIM_400000_NS6detail17trampoline_kernelINS0_13select_configILj256ELj13ELNS0_17block_load_methodE3ELS4_3ELS4_3ELNS0_20block_scan_algorithmE0ELj4294967295EEENS1_25partition_config_selectorILNS1_17partition_subalgoE4EjNS0_10empty_typeEbEEZZNS1_14partition_implILS8_4ELb0ES6_15HIP_vector_typeIjLj2EENS0_17counting_iteratorIjlEEPS9_SG_NS0_5tupleIJPjSI_NS0_16reverse_iteratorISI_EEEEENSH_IJSG_SG_SG_EEES9_SI_JZNS1_25segmented_radix_sort_implINS0_14default_configELb0EPK6__halfPSP_PKlPlN2at6native12_GLOBAL__N_18offset_tEEE10hipError_tPvRmT1_PNSt15iterator_traitsIS13_E10value_typeET2_T3_PNS14_IS19_E10value_typeET4_jRbjT5_S1F_jjP12ihipStream_tbEUljE_ZNSN_ISO_Lb0ESR_SS_SU_SV_SZ_EES10_S11_S12_S13_S17_S18_S19_S1C_S1D_jS1E_jS1F_S1F_jjS1H_bEUljE0_EEES10_S11_S12_S19_S1D_S1F_T6_T7_T9_mT8_S1H_bDpT10_ENKUlT_T0_E_clISt17integral_constantIbLb1EES1U_IbLb0EEEEDaS1Q_S1R_EUlS1Q_E_NS1_11comp_targetILNS1_3genE9ELNS1_11target_archE1100ELNS1_3gpuE3ELNS1_3repE0EEENS1_30default_config_static_selectorELNS0_4arch9wavefront6targetE1EEEvS13_,"axG",@progbits,_ZN7rocprim17ROCPRIM_400000_NS6detail17trampoline_kernelINS0_13select_configILj256ELj13ELNS0_17block_load_methodE3ELS4_3ELS4_3ELNS0_20block_scan_algorithmE0ELj4294967295EEENS1_25partition_config_selectorILNS1_17partition_subalgoE4EjNS0_10empty_typeEbEEZZNS1_14partition_implILS8_4ELb0ES6_15HIP_vector_typeIjLj2EENS0_17counting_iteratorIjlEEPS9_SG_NS0_5tupleIJPjSI_NS0_16reverse_iteratorISI_EEEEENSH_IJSG_SG_SG_EEES9_SI_JZNS1_25segmented_radix_sort_implINS0_14default_configELb0EPK6__halfPSP_PKlPlN2at6native12_GLOBAL__N_18offset_tEEE10hipError_tPvRmT1_PNSt15iterator_traitsIS13_E10value_typeET2_T3_PNS14_IS19_E10value_typeET4_jRbjT5_S1F_jjP12ihipStream_tbEUljE_ZNSN_ISO_Lb0ESR_SS_SU_SV_SZ_EES10_S11_S12_S13_S17_S18_S19_S1C_S1D_jS1E_jS1F_S1F_jjS1H_bEUljE0_EEES10_S11_S12_S19_S1D_S1F_T6_T7_T9_mT8_S1H_bDpT10_ENKUlT_T0_E_clISt17integral_constantIbLb1EES1U_IbLb0EEEEDaS1Q_S1R_EUlS1Q_E_NS1_11comp_targetILNS1_3genE9ELNS1_11target_archE1100ELNS1_3gpuE3ELNS1_3repE0EEENS1_30default_config_static_selectorELNS0_4arch9wavefront6targetE1EEEvS13_,comdat
.Lfunc_end1798:
	.size	_ZN7rocprim17ROCPRIM_400000_NS6detail17trampoline_kernelINS0_13select_configILj256ELj13ELNS0_17block_load_methodE3ELS4_3ELS4_3ELNS0_20block_scan_algorithmE0ELj4294967295EEENS1_25partition_config_selectorILNS1_17partition_subalgoE4EjNS0_10empty_typeEbEEZZNS1_14partition_implILS8_4ELb0ES6_15HIP_vector_typeIjLj2EENS0_17counting_iteratorIjlEEPS9_SG_NS0_5tupleIJPjSI_NS0_16reverse_iteratorISI_EEEEENSH_IJSG_SG_SG_EEES9_SI_JZNS1_25segmented_radix_sort_implINS0_14default_configELb0EPK6__halfPSP_PKlPlN2at6native12_GLOBAL__N_18offset_tEEE10hipError_tPvRmT1_PNSt15iterator_traitsIS13_E10value_typeET2_T3_PNS14_IS19_E10value_typeET4_jRbjT5_S1F_jjP12ihipStream_tbEUljE_ZNSN_ISO_Lb0ESR_SS_SU_SV_SZ_EES10_S11_S12_S13_S17_S18_S19_S1C_S1D_jS1E_jS1F_S1F_jjS1H_bEUljE0_EEES10_S11_S12_S19_S1D_S1F_T6_T7_T9_mT8_S1H_bDpT10_ENKUlT_T0_E_clISt17integral_constantIbLb1EES1U_IbLb0EEEEDaS1Q_S1R_EUlS1Q_E_NS1_11comp_targetILNS1_3genE9ELNS1_11target_archE1100ELNS1_3gpuE3ELNS1_3repE0EEENS1_30default_config_static_selectorELNS0_4arch9wavefront6targetE1EEEvS13_, .Lfunc_end1798-_ZN7rocprim17ROCPRIM_400000_NS6detail17trampoline_kernelINS0_13select_configILj256ELj13ELNS0_17block_load_methodE3ELS4_3ELS4_3ELNS0_20block_scan_algorithmE0ELj4294967295EEENS1_25partition_config_selectorILNS1_17partition_subalgoE4EjNS0_10empty_typeEbEEZZNS1_14partition_implILS8_4ELb0ES6_15HIP_vector_typeIjLj2EENS0_17counting_iteratorIjlEEPS9_SG_NS0_5tupleIJPjSI_NS0_16reverse_iteratorISI_EEEEENSH_IJSG_SG_SG_EEES9_SI_JZNS1_25segmented_radix_sort_implINS0_14default_configELb0EPK6__halfPSP_PKlPlN2at6native12_GLOBAL__N_18offset_tEEE10hipError_tPvRmT1_PNSt15iterator_traitsIS13_E10value_typeET2_T3_PNS14_IS19_E10value_typeET4_jRbjT5_S1F_jjP12ihipStream_tbEUljE_ZNSN_ISO_Lb0ESR_SS_SU_SV_SZ_EES10_S11_S12_S13_S17_S18_S19_S1C_S1D_jS1E_jS1F_S1F_jjS1H_bEUljE0_EEES10_S11_S12_S19_S1D_S1F_T6_T7_T9_mT8_S1H_bDpT10_ENKUlT_T0_E_clISt17integral_constantIbLb1EES1U_IbLb0EEEEDaS1Q_S1R_EUlS1Q_E_NS1_11comp_targetILNS1_3genE9ELNS1_11target_archE1100ELNS1_3gpuE3ELNS1_3repE0EEENS1_30default_config_static_selectorELNS0_4arch9wavefront6targetE1EEEvS13_
                                        ; -- End function
	.section	.AMDGPU.csdata,"",@progbits
; Kernel info:
; codeLenInByte = 0
; NumSgprs: 4
; NumVgprs: 0
; NumAgprs: 0
; TotalNumVgprs: 0
; ScratchSize: 0
; MemoryBound: 0
; FloatMode: 240
; IeeeMode: 1
; LDSByteSize: 0 bytes/workgroup (compile time only)
; SGPRBlocks: 0
; VGPRBlocks: 0
; NumSGPRsForWavesPerEU: 4
; NumVGPRsForWavesPerEU: 1
; AccumOffset: 4
; Occupancy: 8
; WaveLimiterHint : 0
; COMPUTE_PGM_RSRC2:SCRATCH_EN: 0
; COMPUTE_PGM_RSRC2:USER_SGPR: 6
; COMPUTE_PGM_RSRC2:TRAP_HANDLER: 0
; COMPUTE_PGM_RSRC2:TGID_X_EN: 1
; COMPUTE_PGM_RSRC2:TGID_Y_EN: 0
; COMPUTE_PGM_RSRC2:TGID_Z_EN: 0
; COMPUTE_PGM_RSRC2:TIDIG_COMP_CNT: 0
; COMPUTE_PGM_RSRC3_GFX90A:ACCUM_OFFSET: 0
; COMPUTE_PGM_RSRC3_GFX90A:TG_SPLIT: 0
	.section	.text._ZN7rocprim17ROCPRIM_400000_NS6detail17trampoline_kernelINS0_13select_configILj256ELj13ELNS0_17block_load_methodE3ELS4_3ELS4_3ELNS0_20block_scan_algorithmE0ELj4294967295EEENS1_25partition_config_selectorILNS1_17partition_subalgoE4EjNS0_10empty_typeEbEEZZNS1_14partition_implILS8_4ELb0ES6_15HIP_vector_typeIjLj2EENS0_17counting_iteratorIjlEEPS9_SG_NS0_5tupleIJPjSI_NS0_16reverse_iteratorISI_EEEEENSH_IJSG_SG_SG_EEES9_SI_JZNS1_25segmented_radix_sort_implINS0_14default_configELb0EPK6__halfPSP_PKlPlN2at6native12_GLOBAL__N_18offset_tEEE10hipError_tPvRmT1_PNSt15iterator_traitsIS13_E10value_typeET2_T3_PNS14_IS19_E10value_typeET4_jRbjT5_S1F_jjP12ihipStream_tbEUljE_ZNSN_ISO_Lb0ESR_SS_SU_SV_SZ_EES10_S11_S12_S13_S17_S18_S19_S1C_S1D_jS1E_jS1F_S1F_jjS1H_bEUljE0_EEES10_S11_S12_S19_S1D_S1F_T6_T7_T9_mT8_S1H_bDpT10_ENKUlT_T0_E_clISt17integral_constantIbLb1EES1U_IbLb0EEEEDaS1Q_S1R_EUlS1Q_E_NS1_11comp_targetILNS1_3genE8ELNS1_11target_archE1030ELNS1_3gpuE2ELNS1_3repE0EEENS1_30default_config_static_selectorELNS0_4arch9wavefront6targetE1EEEvS13_,"axG",@progbits,_ZN7rocprim17ROCPRIM_400000_NS6detail17trampoline_kernelINS0_13select_configILj256ELj13ELNS0_17block_load_methodE3ELS4_3ELS4_3ELNS0_20block_scan_algorithmE0ELj4294967295EEENS1_25partition_config_selectorILNS1_17partition_subalgoE4EjNS0_10empty_typeEbEEZZNS1_14partition_implILS8_4ELb0ES6_15HIP_vector_typeIjLj2EENS0_17counting_iteratorIjlEEPS9_SG_NS0_5tupleIJPjSI_NS0_16reverse_iteratorISI_EEEEENSH_IJSG_SG_SG_EEES9_SI_JZNS1_25segmented_radix_sort_implINS0_14default_configELb0EPK6__halfPSP_PKlPlN2at6native12_GLOBAL__N_18offset_tEEE10hipError_tPvRmT1_PNSt15iterator_traitsIS13_E10value_typeET2_T3_PNS14_IS19_E10value_typeET4_jRbjT5_S1F_jjP12ihipStream_tbEUljE_ZNSN_ISO_Lb0ESR_SS_SU_SV_SZ_EES10_S11_S12_S13_S17_S18_S19_S1C_S1D_jS1E_jS1F_S1F_jjS1H_bEUljE0_EEES10_S11_S12_S19_S1D_S1F_T6_T7_T9_mT8_S1H_bDpT10_ENKUlT_T0_E_clISt17integral_constantIbLb1EES1U_IbLb0EEEEDaS1Q_S1R_EUlS1Q_E_NS1_11comp_targetILNS1_3genE8ELNS1_11target_archE1030ELNS1_3gpuE2ELNS1_3repE0EEENS1_30default_config_static_selectorELNS0_4arch9wavefront6targetE1EEEvS13_,comdat
	.globl	_ZN7rocprim17ROCPRIM_400000_NS6detail17trampoline_kernelINS0_13select_configILj256ELj13ELNS0_17block_load_methodE3ELS4_3ELS4_3ELNS0_20block_scan_algorithmE0ELj4294967295EEENS1_25partition_config_selectorILNS1_17partition_subalgoE4EjNS0_10empty_typeEbEEZZNS1_14partition_implILS8_4ELb0ES6_15HIP_vector_typeIjLj2EENS0_17counting_iteratorIjlEEPS9_SG_NS0_5tupleIJPjSI_NS0_16reverse_iteratorISI_EEEEENSH_IJSG_SG_SG_EEES9_SI_JZNS1_25segmented_radix_sort_implINS0_14default_configELb0EPK6__halfPSP_PKlPlN2at6native12_GLOBAL__N_18offset_tEEE10hipError_tPvRmT1_PNSt15iterator_traitsIS13_E10value_typeET2_T3_PNS14_IS19_E10value_typeET4_jRbjT5_S1F_jjP12ihipStream_tbEUljE_ZNSN_ISO_Lb0ESR_SS_SU_SV_SZ_EES10_S11_S12_S13_S17_S18_S19_S1C_S1D_jS1E_jS1F_S1F_jjS1H_bEUljE0_EEES10_S11_S12_S19_S1D_S1F_T6_T7_T9_mT8_S1H_bDpT10_ENKUlT_T0_E_clISt17integral_constantIbLb1EES1U_IbLb0EEEEDaS1Q_S1R_EUlS1Q_E_NS1_11comp_targetILNS1_3genE8ELNS1_11target_archE1030ELNS1_3gpuE2ELNS1_3repE0EEENS1_30default_config_static_selectorELNS0_4arch9wavefront6targetE1EEEvS13_ ; -- Begin function _ZN7rocprim17ROCPRIM_400000_NS6detail17trampoline_kernelINS0_13select_configILj256ELj13ELNS0_17block_load_methodE3ELS4_3ELS4_3ELNS0_20block_scan_algorithmE0ELj4294967295EEENS1_25partition_config_selectorILNS1_17partition_subalgoE4EjNS0_10empty_typeEbEEZZNS1_14partition_implILS8_4ELb0ES6_15HIP_vector_typeIjLj2EENS0_17counting_iteratorIjlEEPS9_SG_NS0_5tupleIJPjSI_NS0_16reverse_iteratorISI_EEEEENSH_IJSG_SG_SG_EEES9_SI_JZNS1_25segmented_radix_sort_implINS0_14default_configELb0EPK6__halfPSP_PKlPlN2at6native12_GLOBAL__N_18offset_tEEE10hipError_tPvRmT1_PNSt15iterator_traitsIS13_E10value_typeET2_T3_PNS14_IS19_E10value_typeET4_jRbjT5_S1F_jjP12ihipStream_tbEUljE_ZNSN_ISO_Lb0ESR_SS_SU_SV_SZ_EES10_S11_S12_S13_S17_S18_S19_S1C_S1D_jS1E_jS1F_S1F_jjS1H_bEUljE0_EEES10_S11_S12_S19_S1D_S1F_T6_T7_T9_mT8_S1H_bDpT10_ENKUlT_T0_E_clISt17integral_constantIbLb1EES1U_IbLb0EEEEDaS1Q_S1R_EUlS1Q_E_NS1_11comp_targetILNS1_3genE8ELNS1_11target_archE1030ELNS1_3gpuE2ELNS1_3repE0EEENS1_30default_config_static_selectorELNS0_4arch9wavefront6targetE1EEEvS13_
	.p2align	8
	.type	_ZN7rocprim17ROCPRIM_400000_NS6detail17trampoline_kernelINS0_13select_configILj256ELj13ELNS0_17block_load_methodE3ELS4_3ELS4_3ELNS0_20block_scan_algorithmE0ELj4294967295EEENS1_25partition_config_selectorILNS1_17partition_subalgoE4EjNS0_10empty_typeEbEEZZNS1_14partition_implILS8_4ELb0ES6_15HIP_vector_typeIjLj2EENS0_17counting_iteratorIjlEEPS9_SG_NS0_5tupleIJPjSI_NS0_16reverse_iteratorISI_EEEEENSH_IJSG_SG_SG_EEES9_SI_JZNS1_25segmented_radix_sort_implINS0_14default_configELb0EPK6__halfPSP_PKlPlN2at6native12_GLOBAL__N_18offset_tEEE10hipError_tPvRmT1_PNSt15iterator_traitsIS13_E10value_typeET2_T3_PNS14_IS19_E10value_typeET4_jRbjT5_S1F_jjP12ihipStream_tbEUljE_ZNSN_ISO_Lb0ESR_SS_SU_SV_SZ_EES10_S11_S12_S13_S17_S18_S19_S1C_S1D_jS1E_jS1F_S1F_jjS1H_bEUljE0_EEES10_S11_S12_S19_S1D_S1F_T6_T7_T9_mT8_S1H_bDpT10_ENKUlT_T0_E_clISt17integral_constantIbLb1EES1U_IbLb0EEEEDaS1Q_S1R_EUlS1Q_E_NS1_11comp_targetILNS1_3genE8ELNS1_11target_archE1030ELNS1_3gpuE2ELNS1_3repE0EEENS1_30default_config_static_selectorELNS0_4arch9wavefront6targetE1EEEvS13_,@function
_ZN7rocprim17ROCPRIM_400000_NS6detail17trampoline_kernelINS0_13select_configILj256ELj13ELNS0_17block_load_methodE3ELS4_3ELS4_3ELNS0_20block_scan_algorithmE0ELj4294967295EEENS1_25partition_config_selectorILNS1_17partition_subalgoE4EjNS0_10empty_typeEbEEZZNS1_14partition_implILS8_4ELb0ES6_15HIP_vector_typeIjLj2EENS0_17counting_iteratorIjlEEPS9_SG_NS0_5tupleIJPjSI_NS0_16reverse_iteratorISI_EEEEENSH_IJSG_SG_SG_EEES9_SI_JZNS1_25segmented_radix_sort_implINS0_14default_configELb0EPK6__halfPSP_PKlPlN2at6native12_GLOBAL__N_18offset_tEEE10hipError_tPvRmT1_PNSt15iterator_traitsIS13_E10value_typeET2_T3_PNS14_IS19_E10value_typeET4_jRbjT5_S1F_jjP12ihipStream_tbEUljE_ZNSN_ISO_Lb0ESR_SS_SU_SV_SZ_EES10_S11_S12_S13_S17_S18_S19_S1C_S1D_jS1E_jS1F_S1F_jjS1H_bEUljE0_EEES10_S11_S12_S19_S1D_S1F_T6_T7_T9_mT8_S1H_bDpT10_ENKUlT_T0_E_clISt17integral_constantIbLb1EES1U_IbLb0EEEEDaS1Q_S1R_EUlS1Q_E_NS1_11comp_targetILNS1_3genE8ELNS1_11target_archE1030ELNS1_3gpuE2ELNS1_3repE0EEENS1_30default_config_static_selectorELNS0_4arch9wavefront6targetE1EEEvS13_: ; @_ZN7rocprim17ROCPRIM_400000_NS6detail17trampoline_kernelINS0_13select_configILj256ELj13ELNS0_17block_load_methodE3ELS4_3ELS4_3ELNS0_20block_scan_algorithmE0ELj4294967295EEENS1_25partition_config_selectorILNS1_17partition_subalgoE4EjNS0_10empty_typeEbEEZZNS1_14partition_implILS8_4ELb0ES6_15HIP_vector_typeIjLj2EENS0_17counting_iteratorIjlEEPS9_SG_NS0_5tupleIJPjSI_NS0_16reverse_iteratorISI_EEEEENSH_IJSG_SG_SG_EEES9_SI_JZNS1_25segmented_radix_sort_implINS0_14default_configELb0EPK6__halfPSP_PKlPlN2at6native12_GLOBAL__N_18offset_tEEE10hipError_tPvRmT1_PNSt15iterator_traitsIS13_E10value_typeET2_T3_PNS14_IS19_E10value_typeET4_jRbjT5_S1F_jjP12ihipStream_tbEUljE_ZNSN_ISO_Lb0ESR_SS_SU_SV_SZ_EES10_S11_S12_S13_S17_S18_S19_S1C_S1D_jS1E_jS1F_S1F_jjS1H_bEUljE0_EEES10_S11_S12_S19_S1D_S1F_T6_T7_T9_mT8_S1H_bDpT10_ENKUlT_T0_E_clISt17integral_constantIbLb1EES1U_IbLb0EEEEDaS1Q_S1R_EUlS1Q_E_NS1_11comp_targetILNS1_3genE8ELNS1_11target_archE1030ELNS1_3gpuE2ELNS1_3repE0EEENS1_30default_config_static_selectorELNS0_4arch9wavefront6targetE1EEEvS13_
; %bb.0:
	.section	.rodata,"a",@progbits
	.p2align	6, 0x0
	.amdhsa_kernel _ZN7rocprim17ROCPRIM_400000_NS6detail17trampoline_kernelINS0_13select_configILj256ELj13ELNS0_17block_load_methodE3ELS4_3ELS4_3ELNS0_20block_scan_algorithmE0ELj4294967295EEENS1_25partition_config_selectorILNS1_17partition_subalgoE4EjNS0_10empty_typeEbEEZZNS1_14partition_implILS8_4ELb0ES6_15HIP_vector_typeIjLj2EENS0_17counting_iteratorIjlEEPS9_SG_NS0_5tupleIJPjSI_NS0_16reverse_iteratorISI_EEEEENSH_IJSG_SG_SG_EEES9_SI_JZNS1_25segmented_radix_sort_implINS0_14default_configELb0EPK6__halfPSP_PKlPlN2at6native12_GLOBAL__N_18offset_tEEE10hipError_tPvRmT1_PNSt15iterator_traitsIS13_E10value_typeET2_T3_PNS14_IS19_E10value_typeET4_jRbjT5_S1F_jjP12ihipStream_tbEUljE_ZNSN_ISO_Lb0ESR_SS_SU_SV_SZ_EES10_S11_S12_S13_S17_S18_S19_S1C_S1D_jS1E_jS1F_S1F_jjS1H_bEUljE0_EEES10_S11_S12_S19_S1D_S1F_T6_T7_T9_mT8_S1H_bDpT10_ENKUlT_T0_E_clISt17integral_constantIbLb1EES1U_IbLb0EEEEDaS1Q_S1R_EUlS1Q_E_NS1_11comp_targetILNS1_3genE8ELNS1_11target_archE1030ELNS1_3gpuE2ELNS1_3repE0EEENS1_30default_config_static_selectorELNS0_4arch9wavefront6targetE1EEEvS13_
		.amdhsa_group_segment_fixed_size 0
		.amdhsa_private_segment_fixed_size 0
		.amdhsa_kernarg_size 176
		.amdhsa_user_sgpr_count 6
		.amdhsa_user_sgpr_private_segment_buffer 1
		.amdhsa_user_sgpr_dispatch_ptr 0
		.amdhsa_user_sgpr_queue_ptr 0
		.amdhsa_user_sgpr_kernarg_segment_ptr 1
		.amdhsa_user_sgpr_dispatch_id 0
		.amdhsa_user_sgpr_flat_scratch_init 0
		.amdhsa_user_sgpr_kernarg_preload_length 0
		.amdhsa_user_sgpr_kernarg_preload_offset 0
		.amdhsa_user_sgpr_private_segment_size 0
		.amdhsa_uses_dynamic_stack 0
		.amdhsa_system_sgpr_private_segment_wavefront_offset 0
		.amdhsa_system_sgpr_workgroup_id_x 1
		.amdhsa_system_sgpr_workgroup_id_y 0
		.amdhsa_system_sgpr_workgroup_id_z 0
		.amdhsa_system_sgpr_workgroup_info 0
		.amdhsa_system_vgpr_workitem_id 0
		.amdhsa_next_free_vgpr 1
		.amdhsa_next_free_sgpr 0
		.amdhsa_accum_offset 4
		.amdhsa_reserve_vcc 0
		.amdhsa_reserve_flat_scratch 0
		.amdhsa_float_round_mode_32 0
		.amdhsa_float_round_mode_16_64 0
		.amdhsa_float_denorm_mode_32 3
		.amdhsa_float_denorm_mode_16_64 3
		.amdhsa_dx10_clamp 1
		.amdhsa_ieee_mode 1
		.amdhsa_fp16_overflow 0
		.amdhsa_tg_split 0
		.amdhsa_exception_fp_ieee_invalid_op 0
		.amdhsa_exception_fp_denorm_src 0
		.amdhsa_exception_fp_ieee_div_zero 0
		.amdhsa_exception_fp_ieee_overflow 0
		.amdhsa_exception_fp_ieee_underflow 0
		.amdhsa_exception_fp_ieee_inexact 0
		.amdhsa_exception_int_div_zero 0
	.end_amdhsa_kernel
	.section	.text._ZN7rocprim17ROCPRIM_400000_NS6detail17trampoline_kernelINS0_13select_configILj256ELj13ELNS0_17block_load_methodE3ELS4_3ELS4_3ELNS0_20block_scan_algorithmE0ELj4294967295EEENS1_25partition_config_selectorILNS1_17partition_subalgoE4EjNS0_10empty_typeEbEEZZNS1_14partition_implILS8_4ELb0ES6_15HIP_vector_typeIjLj2EENS0_17counting_iteratorIjlEEPS9_SG_NS0_5tupleIJPjSI_NS0_16reverse_iteratorISI_EEEEENSH_IJSG_SG_SG_EEES9_SI_JZNS1_25segmented_radix_sort_implINS0_14default_configELb0EPK6__halfPSP_PKlPlN2at6native12_GLOBAL__N_18offset_tEEE10hipError_tPvRmT1_PNSt15iterator_traitsIS13_E10value_typeET2_T3_PNS14_IS19_E10value_typeET4_jRbjT5_S1F_jjP12ihipStream_tbEUljE_ZNSN_ISO_Lb0ESR_SS_SU_SV_SZ_EES10_S11_S12_S13_S17_S18_S19_S1C_S1D_jS1E_jS1F_S1F_jjS1H_bEUljE0_EEES10_S11_S12_S19_S1D_S1F_T6_T7_T9_mT8_S1H_bDpT10_ENKUlT_T0_E_clISt17integral_constantIbLb1EES1U_IbLb0EEEEDaS1Q_S1R_EUlS1Q_E_NS1_11comp_targetILNS1_3genE8ELNS1_11target_archE1030ELNS1_3gpuE2ELNS1_3repE0EEENS1_30default_config_static_selectorELNS0_4arch9wavefront6targetE1EEEvS13_,"axG",@progbits,_ZN7rocprim17ROCPRIM_400000_NS6detail17trampoline_kernelINS0_13select_configILj256ELj13ELNS0_17block_load_methodE3ELS4_3ELS4_3ELNS0_20block_scan_algorithmE0ELj4294967295EEENS1_25partition_config_selectorILNS1_17partition_subalgoE4EjNS0_10empty_typeEbEEZZNS1_14partition_implILS8_4ELb0ES6_15HIP_vector_typeIjLj2EENS0_17counting_iteratorIjlEEPS9_SG_NS0_5tupleIJPjSI_NS0_16reverse_iteratorISI_EEEEENSH_IJSG_SG_SG_EEES9_SI_JZNS1_25segmented_radix_sort_implINS0_14default_configELb0EPK6__halfPSP_PKlPlN2at6native12_GLOBAL__N_18offset_tEEE10hipError_tPvRmT1_PNSt15iterator_traitsIS13_E10value_typeET2_T3_PNS14_IS19_E10value_typeET4_jRbjT5_S1F_jjP12ihipStream_tbEUljE_ZNSN_ISO_Lb0ESR_SS_SU_SV_SZ_EES10_S11_S12_S13_S17_S18_S19_S1C_S1D_jS1E_jS1F_S1F_jjS1H_bEUljE0_EEES10_S11_S12_S19_S1D_S1F_T6_T7_T9_mT8_S1H_bDpT10_ENKUlT_T0_E_clISt17integral_constantIbLb1EES1U_IbLb0EEEEDaS1Q_S1R_EUlS1Q_E_NS1_11comp_targetILNS1_3genE8ELNS1_11target_archE1030ELNS1_3gpuE2ELNS1_3repE0EEENS1_30default_config_static_selectorELNS0_4arch9wavefront6targetE1EEEvS13_,comdat
.Lfunc_end1799:
	.size	_ZN7rocprim17ROCPRIM_400000_NS6detail17trampoline_kernelINS0_13select_configILj256ELj13ELNS0_17block_load_methodE3ELS4_3ELS4_3ELNS0_20block_scan_algorithmE0ELj4294967295EEENS1_25partition_config_selectorILNS1_17partition_subalgoE4EjNS0_10empty_typeEbEEZZNS1_14partition_implILS8_4ELb0ES6_15HIP_vector_typeIjLj2EENS0_17counting_iteratorIjlEEPS9_SG_NS0_5tupleIJPjSI_NS0_16reverse_iteratorISI_EEEEENSH_IJSG_SG_SG_EEES9_SI_JZNS1_25segmented_radix_sort_implINS0_14default_configELb0EPK6__halfPSP_PKlPlN2at6native12_GLOBAL__N_18offset_tEEE10hipError_tPvRmT1_PNSt15iterator_traitsIS13_E10value_typeET2_T3_PNS14_IS19_E10value_typeET4_jRbjT5_S1F_jjP12ihipStream_tbEUljE_ZNSN_ISO_Lb0ESR_SS_SU_SV_SZ_EES10_S11_S12_S13_S17_S18_S19_S1C_S1D_jS1E_jS1F_S1F_jjS1H_bEUljE0_EEES10_S11_S12_S19_S1D_S1F_T6_T7_T9_mT8_S1H_bDpT10_ENKUlT_T0_E_clISt17integral_constantIbLb1EES1U_IbLb0EEEEDaS1Q_S1R_EUlS1Q_E_NS1_11comp_targetILNS1_3genE8ELNS1_11target_archE1030ELNS1_3gpuE2ELNS1_3repE0EEENS1_30default_config_static_selectorELNS0_4arch9wavefront6targetE1EEEvS13_, .Lfunc_end1799-_ZN7rocprim17ROCPRIM_400000_NS6detail17trampoline_kernelINS0_13select_configILj256ELj13ELNS0_17block_load_methodE3ELS4_3ELS4_3ELNS0_20block_scan_algorithmE0ELj4294967295EEENS1_25partition_config_selectorILNS1_17partition_subalgoE4EjNS0_10empty_typeEbEEZZNS1_14partition_implILS8_4ELb0ES6_15HIP_vector_typeIjLj2EENS0_17counting_iteratorIjlEEPS9_SG_NS0_5tupleIJPjSI_NS0_16reverse_iteratorISI_EEEEENSH_IJSG_SG_SG_EEES9_SI_JZNS1_25segmented_radix_sort_implINS0_14default_configELb0EPK6__halfPSP_PKlPlN2at6native12_GLOBAL__N_18offset_tEEE10hipError_tPvRmT1_PNSt15iterator_traitsIS13_E10value_typeET2_T3_PNS14_IS19_E10value_typeET4_jRbjT5_S1F_jjP12ihipStream_tbEUljE_ZNSN_ISO_Lb0ESR_SS_SU_SV_SZ_EES10_S11_S12_S13_S17_S18_S19_S1C_S1D_jS1E_jS1F_S1F_jjS1H_bEUljE0_EEES10_S11_S12_S19_S1D_S1F_T6_T7_T9_mT8_S1H_bDpT10_ENKUlT_T0_E_clISt17integral_constantIbLb1EES1U_IbLb0EEEEDaS1Q_S1R_EUlS1Q_E_NS1_11comp_targetILNS1_3genE8ELNS1_11target_archE1030ELNS1_3gpuE2ELNS1_3repE0EEENS1_30default_config_static_selectorELNS0_4arch9wavefront6targetE1EEEvS13_
                                        ; -- End function
	.section	.AMDGPU.csdata,"",@progbits
; Kernel info:
; codeLenInByte = 0
; NumSgprs: 4
; NumVgprs: 0
; NumAgprs: 0
; TotalNumVgprs: 0
; ScratchSize: 0
; MemoryBound: 0
; FloatMode: 240
; IeeeMode: 1
; LDSByteSize: 0 bytes/workgroup (compile time only)
; SGPRBlocks: 0
; VGPRBlocks: 0
; NumSGPRsForWavesPerEU: 4
; NumVGPRsForWavesPerEU: 1
; AccumOffset: 4
; Occupancy: 8
; WaveLimiterHint : 0
; COMPUTE_PGM_RSRC2:SCRATCH_EN: 0
; COMPUTE_PGM_RSRC2:USER_SGPR: 6
; COMPUTE_PGM_RSRC2:TRAP_HANDLER: 0
; COMPUTE_PGM_RSRC2:TGID_X_EN: 1
; COMPUTE_PGM_RSRC2:TGID_Y_EN: 0
; COMPUTE_PGM_RSRC2:TGID_Z_EN: 0
; COMPUTE_PGM_RSRC2:TIDIG_COMP_CNT: 0
; COMPUTE_PGM_RSRC3_GFX90A:ACCUM_OFFSET: 0
; COMPUTE_PGM_RSRC3_GFX90A:TG_SPLIT: 0
	.section	.text._ZN7rocprim17ROCPRIM_400000_NS6detail17trampoline_kernelINS0_13select_configILj256ELj13ELNS0_17block_load_methodE3ELS4_3ELS4_3ELNS0_20block_scan_algorithmE0ELj4294967295EEENS1_25partition_config_selectorILNS1_17partition_subalgoE4EjNS0_10empty_typeEbEEZZNS1_14partition_implILS8_4ELb0ES6_15HIP_vector_typeIjLj2EENS0_17counting_iteratorIjlEEPS9_SG_NS0_5tupleIJPjSI_NS0_16reverse_iteratorISI_EEEEENSH_IJSG_SG_SG_EEES9_SI_JZNS1_25segmented_radix_sort_implINS0_14default_configELb0EPK6__halfPSP_PKlPlN2at6native12_GLOBAL__N_18offset_tEEE10hipError_tPvRmT1_PNSt15iterator_traitsIS13_E10value_typeET2_T3_PNS14_IS19_E10value_typeET4_jRbjT5_S1F_jjP12ihipStream_tbEUljE_ZNSN_ISO_Lb0ESR_SS_SU_SV_SZ_EES10_S11_S12_S13_S17_S18_S19_S1C_S1D_jS1E_jS1F_S1F_jjS1H_bEUljE0_EEES10_S11_S12_S19_S1D_S1F_T6_T7_T9_mT8_S1H_bDpT10_ENKUlT_T0_E_clISt17integral_constantIbLb0EES1U_IbLb1EEEEDaS1Q_S1R_EUlS1Q_E_NS1_11comp_targetILNS1_3genE0ELNS1_11target_archE4294967295ELNS1_3gpuE0ELNS1_3repE0EEENS1_30default_config_static_selectorELNS0_4arch9wavefront6targetE1EEEvS13_,"axG",@progbits,_ZN7rocprim17ROCPRIM_400000_NS6detail17trampoline_kernelINS0_13select_configILj256ELj13ELNS0_17block_load_methodE3ELS4_3ELS4_3ELNS0_20block_scan_algorithmE0ELj4294967295EEENS1_25partition_config_selectorILNS1_17partition_subalgoE4EjNS0_10empty_typeEbEEZZNS1_14partition_implILS8_4ELb0ES6_15HIP_vector_typeIjLj2EENS0_17counting_iteratorIjlEEPS9_SG_NS0_5tupleIJPjSI_NS0_16reverse_iteratorISI_EEEEENSH_IJSG_SG_SG_EEES9_SI_JZNS1_25segmented_radix_sort_implINS0_14default_configELb0EPK6__halfPSP_PKlPlN2at6native12_GLOBAL__N_18offset_tEEE10hipError_tPvRmT1_PNSt15iterator_traitsIS13_E10value_typeET2_T3_PNS14_IS19_E10value_typeET4_jRbjT5_S1F_jjP12ihipStream_tbEUljE_ZNSN_ISO_Lb0ESR_SS_SU_SV_SZ_EES10_S11_S12_S13_S17_S18_S19_S1C_S1D_jS1E_jS1F_S1F_jjS1H_bEUljE0_EEES10_S11_S12_S19_S1D_S1F_T6_T7_T9_mT8_S1H_bDpT10_ENKUlT_T0_E_clISt17integral_constantIbLb0EES1U_IbLb1EEEEDaS1Q_S1R_EUlS1Q_E_NS1_11comp_targetILNS1_3genE0ELNS1_11target_archE4294967295ELNS1_3gpuE0ELNS1_3repE0EEENS1_30default_config_static_selectorELNS0_4arch9wavefront6targetE1EEEvS13_,comdat
	.globl	_ZN7rocprim17ROCPRIM_400000_NS6detail17trampoline_kernelINS0_13select_configILj256ELj13ELNS0_17block_load_methodE3ELS4_3ELS4_3ELNS0_20block_scan_algorithmE0ELj4294967295EEENS1_25partition_config_selectorILNS1_17partition_subalgoE4EjNS0_10empty_typeEbEEZZNS1_14partition_implILS8_4ELb0ES6_15HIP_vector_typeIjLj2EENS0_17counting_iteratorIjlEEPS9_SG_NS0_5tupleIJPjSI_NS0_16reverse_iteratorISI_EEEEENSH_IJSG_SG_SG_EEES9_SI_JZNS1_25segmented_radix_sort_implINS0_14default_configELb0EPK6__halfPSP_PKlPlN2at6native12_GLOBAL__N_18offset_tEEE10hipError_tPvRmT1_PNSt15iterator_traitsIS13_E10value_typeET2_T3_PNS14_IS19_E10value_typeET4_jRbjT5_S1F_jjP12ihipStream_tbEUljE_ZNSN_ISO_Lb0ESR_SS_SU_SV_SZ_EES10_S11_S12_S13_S17_S18_S19_S1C_S1D_jS1E_jS1F_S1F_jjS1H_bEUljE0_EEES10_S11_S12_S19_S1D_S1F_T6_T7_T9_mT8_S1H_bDpT10_ENKUlT_T0_E_clISt17integral_constantIbLb0EES1U_IbLb1EEEEDaS1Q_S1R_EUlS1Q_E_NS1_11comp_targetILNS1_3genE0ELNS1_11target_archE4294967295ELNS1_3gpuE0ELNS1_3repE0EEENS1_30default_config_static_selectorELNS0_4arch9wavefront6targetE1EEEvS13_ ; -- Begin function _ZN7rocprim17ROCPRIM_400000_NS6detail17trampoline_kernelINS0_13select_configILj256ELj13ELNS0_17block_load_methodE3ELS4_3ELS4_3ELNS0_20block_scan_algorithmE0ELj4294967295EEENS1_25partition_config_selectorILNS1_17partition_subalgoE4EjNS0_10empty_typeEbEEZZNS1_14partition_implILS8_4ELb0ES6_15HIP_vector_typeIjLj2EENS0_17counting_iteratorIjlEEPS9_SG_NS0_5tupleIJPjSI_NS0_16reverse_iteratorISI_EEEEENSH_IJSG_SG_SG_EEES9_SI_JZNS1_25segmented_radix_sort_implINS0_14default_configELb0EPK6__halfPSP_PKlPlN2at6native12_GLOBAL__N_18offset_tEEE10hipError_tPvRmT1_PNSt15iterator_traitsIS13_E10value_typeET2_T3_PNS14_IS19_E10value_typeET4_jRbjT5_S1F_jjP12ihipStream_tbEUljE_ZNSN_ISO_Lb0ESR_SS_SU_SV_SZ_EES10_S11_S12_S13_S17_S18_S19_S1C_S1D_jS1E_jS1F_S1F_jjS1H_bEUljE0_EEES10_S11_S12_S19_S1D_S1F_T6_T7_T9_mT8_S1H_bDpT10_ENKUlT_T0_E_clISt17integral_constantIbLb0EES1U_IbLb1EEEEDaS1Q_S1R_EUlS1Q_E_NS1_11comp_targetILNS1_3genE0ELNS1_11target_archE4294967295ELNS1_3gpuE0ELNS1_3repE0EEENS1_30default_config_static_selectorELNS0_4arch9wavefront6targetE1EEEvS13_
	.p2align	8
	.type	_ZN7rocprim17ROCPRIM_400000_NS6detail17trampoline_kernelINS0_13select_configILj256ELj13ELNS0_17block_load_methodE3ELS4_3ELS4_3ELNS0_20block_scan_algorithmE0ELj4294967295EEENS1_25partition_config_selectorILNS1_17partition_subalgoE4EjNS0_10empty_typeEbEEZZNS1_14partition_implILS8_4ELb0ES6_15HIP_vector_typeIjLj2EENS0_17counting_iteratorIjlEEPS9_SG_NS0_5tupleIJPjSI_NS0_16reverse_iteratorISI_EEEEENSH_IJSG_SG_SG_EEES9_SI_JZNS1_25segmented_radix_sort_implINS0_14default_configELb0EPK6__halfPSP_PKlPlN2at6native12_GLOBAL__N_18offset_tEEE10hipError_tPvRmT1_PNSt15iterator_traitsIS13_E10value_typeET2_T3_PNS14_IS19_E10value_typeET4_jRbjT5_S1F_jjP12ihipStream_tbEUljE_ZNSN_ISO_Lb0ESR_SS_SU_SV_SZ_EES10_S11_S12_S13_S17_S18_S19_S1C_S1D_jS1E_jS1F_S1F_jjS1H_bEUljE0_EEES10_S11_S12_S19_S1D_S1F_T6_T7_T9_mT8_S1H_bDpT10_ENKUlT_T0_E_clISt17integral_constantIbLb0EES1U_IbLb1EEEEDaS1Q_S1R_EUlS1Q_E_NS1_11comp_targetILNS1_3genE0ELNS1_11target_archE4294967295ELNS1_3gpuE0ELNS1_3repE0EEENS1_30default_config_static_selectorELNS0_4arch9wavefront6targetE1EEEvS13_,@function
_ZN7rocprim17ROCPRIM_400000_NS6detail17trampoline_kernelINS0_13select_configILj256ELj13ELNS0_17block_load_methodE3ELS4_3ELS4_3ELNS0_20block_scan_algorithmE0ELj4294967295EEENS1_25partition_config_selectorILNS1_17partition_subalgoE4EjNS0_10empty_typeEbEEZZNS1_14partition_implILS8_4ELb0ES6_15HIP_vector_typeIjLj2EENS0_17counting_iteratorIjlEEPS9_SG_NS0_5tupleIJPjSI_NS0_16reverse_iteratorISI_EEEEENSH_IJSG_SG_SG_EEES9_SI_JZNS1_25segmented_radix_sort_implINS0_14default_configELb0EPK6__halfPSP_PKlPlN2at6native12_GLOBAL__N_18offset_tEEE10hipError_tPvRmT1_PNSt15iterator_traitsIS13_E10value_typeET2_T3_PNS14_IS19_E10value_typeET4_jRbjT5_S1F_jjP12ihipStream_tbEUljE_ZNSN_ISO_Lb0ESR_SS_SU_SV_SZ_EES10_S11_S12_S13_S17_S18_S19_S1C_S1D_jS1E_jS1F_S1F_jjS1H_bEUljE0_EEES10_S11_S12_S19_S1D_S1F_T6_T7_T9_mT8_S1H_bDpT10_ENKUlT_T0_E_clISt17integral_constantIbLb0EES1U_IbLb1EEEEDaS1Q_S1R_EUlS1Q_E_NS1_11comp_targetILNS1_3genE0ELNS1_11target_archE4294967295ELNS1_3gpuE0ELNS1_3repE0EEENS1_30default_config_static_selectorELNS0_4arch9wavefront6targetE1EEEvS13_: ; @_ZN7rocprim17ROCPRIM_400000_NS6detail17trampoline_kernelINS0_13select_configILj256ELj13ELNS0_17block_load_methodE3ELS4_3ELS4_3ELNS0_20block_scan_algorithmE0ELj4294967295EEENS1_25partition_config_selectorILNS1_17partition_subalgoE4EjNS0_10empty_typeEbEEZZNS1_14partition_implILS8_4ELb0ES6_15HIP_vector_typeIjLj2EENS0_17counting_iteratorIjlEEPS9_SG_NS0_5tupleIJPjSI_NS0_16reverse_iteratorISI_EEEEENSH_IJSG_SG_SG_EEES9_SI_JZNS1_25segmented_radix_sort_implINS0_14default_configELb0EPK6__halfPSP_PKlPlN2at6native12_GLOBAL__N_18offset_tEEE10hipError_tPvRmT1_PNSt15iterator_traitsIS13_E10value_typeET2_T3_PNS14_IS19_E10value_typeET4_jRbjT5_S1F_jjP12ihipStream_tbEUljE_ZNSN_ISO_Lb0ESR_SS_SU_SV_SZ_EES10_S11_S12_S13_S17_S18_S19_S1C_S1D_jS1E_jS1F_S1F_jjS1H_bEUljE0_EEES10_S11_S12_S19_S1D_S1F_T6_T7_T9_mT8_S1H_bDpT10_ENKUlT_T0_E_clISt17integral_constantIbLb0EES1U_IbLb1EEEEDaS1Q_S1R_EUlS1Q_E_NS1_11comp_targetILNS1_3genE0ELNS1_11target_archE4294967295ELNS1_3gpuE0ELNS1_3repE0EEENS1_30default_config_static_selectorELNS0_4arch9wavefront6targetE1EEEvS13_
; %bb.0:
	.section	.rodata,"a",@progbits
	.p2align	6, 0x0
	.amdhsa_kernel _ZN7rocprim17ROCPRIM_400000_NS6detail17trampoline_kernelINS0_13select_configILj256ELj13ELNS0_17block_load_methodE3ELS4_3ELS4_3ELNS0_20block_scan_algorithmE0ELj4294967295EEENS1_25partition_config_selectorILNS1_17partition_subalgoE4EjNS0_10empty_typeEbEEZZNS1_14partition_implILS8_4ELb0ES6_15HIP_vector_typeIjLj2EENS0_17counting_iteratorIjlEEPS9_SG_NS0_5tupleIJPjSI_NS0_16reverse_iteratorISI_EEEEENSH_IJSG_SG_SG_EEES9_SI_JZNS1_25segmented_radix_sort_implINS0_14default_configELb0EPK6__halfPSP_PKlPlN2at6native12_GLOBAL__N_18offset_tEEE10hipError_tPvRmT1_PNSt15iterator_traitsIS13_E10value_typeET2_T3_PNS14_IS19_E10value_typeET4_jRbjT5_S1F_jjP12ihipStream_tbEUljE_ZNSN_ISO_Lb0ESR_SS_SU_SV_SZ_EES10_S11_S12_S13_S17_S18_S19_S1C_S1D_jS1E_jS1F_S1F_jjS1H_bEUljE0_EEES10_S11_S12_S19_S1D_S1F_T6_T7_T9_mT8_S1H_bDpT10_ENKUlT_T0_E_clISt17integral_constantIbLb0EES1U_IbLb1EEEEDaS1Q_S1R_EUlS1Q_E_NS1_11comp_targetILNS1_3genE0ELNS1_11target_archE4294967295ELNS1_3gpuE0ELNS1_3repE0EEENS1_30default_config_static_selectorELNS0_4arch9wavefront6targetE1EEEvS13_
		.amdhsa_group_segment_fixed_size 0
		.amdhsa_private_segment_fixed_size 0
		.amdhsa_kernarg_size 184
		.amdhsa_user_sgpr_count 6
		.amdhsa_user_sgpr_private_segment_buffer 1
		.amdhsa_user_sgpr_dispatch_ptr 0
		.amdhsa_user_sgpr_queue_ptr 0
		.amdhsa_user_sgpr_kernarg_segment_ptr 1
		.amdhsa_user_sgpr_dispatch_id 0
		.amdhsa_user_sgpr_flat_scratch_init 0
		.amdhsa_user_sgpr_kernarg_preload_length 0
		.amdhsa_user_sgpr_kernarg_preload_offset 0
		.amdhsa_user_sgpr_private_segment_size 0
		.amdhsa_uses_dynamic_stack 0
		.amdhsa_system_sgpr_private_segment_wavefront_offset 0
		.amdhsa_system_sgpr_workgroup_id_x 1
		.amdhsa_system_sgpr_workgroup_id_y 0
		.amdhsa_system_sgpr_workgroup_id_z 0
		.amdhsa_system_sgpr_workgroup_info 0
		.amdhsa_system_vgpr_workitem_id 0
		.amdhsa_next_free_vgpr 1
		.amdhsa_next_free_sgpr 0
		.amdhsa_accum_offset 4
		.amdhsa_reserve_vcc 0
		.amdhsa_reserve_flat_scratch 0
		.amdhsa_float_round_mode_32 0
		.amdhsa_float_round_mode_16_64 0
		.amdhsa_float_denorm_mode_32 3
		.amdhsa_float_denorm_mode_16_64 3
		.amdhsa_dx10_clamp 1
		.amdhsa_ieee_mode 1
		.amdhsa_fp16_overflow 0
		.amdhsa_tg_split 0
		.amdhsa_exception_fp_ieee_invalid_op 0
		.amdhsa_exception_fp_denorm_src 0
		.amdhsa_exception_fp_ieee_div_zero 0
		.amdhsa_exception_fp_ieee_overflow 0
		.amdhsa_exception_fp_ieee_underflow 0
		.amdhsa_exception_fp_ieee_inexact 0
		.amdhsa_exception_int_div_zero 0
	.end_amdhsa_kernel
	.section	.text._ZN7rocprim17ROCPRIM_400000_NS6detail17trampoline_kernelINS0_13select_configILj256ELj13ELNS0_17block_load_methodE3ELS4_3ELS4_3ELNS0_20block_scan_algorithmE0ELj4294967295EEENS1_25partition_config_selectorILNS1_17partition_subalgoE4EjNS0_10empty_typeEbEEZZNS1_14partition_implILS8_4ELb0ES6_15HIP_vector_typeIjLj2EENS0_17counting_iteratorIjlEEPS9_SG_NS0_5tupleIJPjSI_NS0_16reverse_iteratorISI_EEEEENSH_IJSG_SG_SG_EEES9_SI_JZNS1_25segmented_radix_sort_implINS0_14default_configELb0EPK6__halfPSP_PKlPlN2at6native12_GLOBAL__N_18offset_tEEE10hipError_tPvRmT1_PNSt15iterator_traitsIS13_E10value_typeET2_T3_PNS14_IS19_E10value_typeET4_jRbjT5_S1F_jjP12ihipStream_tbEUljE_ZNSN_ISO_Lb0ESR_SS_SU_SV_SZ_EES10_S11_S12_S13_S17_S18_S19_S1C_S1D_jS1E_jS1F_S1F_jjS1H_bEUljE0_EEES10_S11_S12_S19_S1D_S1F_T6_T7_T9_mT8_S1H_bDpT10_ENKUlT_T0_E_clISt17integral_constantIbLb0EES1U_IbLb1EEEEDaS1Q_S1R_EUlS1Q_E_NS1_11comp_targetILNS1_3genE0ELNS1_11target_archE4294967295ELNS1_3gpuE0ELNS1_3repE0EEENS1_30default_config_static_selectorELNS0_4arch9wavefront6targetE1EEEvS13_,"axG",@progbits,_ZN7rocprim17ROCPRIM_400000_NS6detail17trampoline_kernelINS0_13select_configILj256ELj13ELNS0_17block_load_methodE3ELS4_3ELS4_3ELNS0_20block_scan_algorithmE0ELj4294967295EEENS1_25partition_config_selectorILNS1_17partition_subalgoE4EjNS0_10empty_typeEbEEZZNS1_14partition_implILS8_4ELb0ES6_15HIP_vector_typeIjLj2EENS0_17counting_iteratorIjlEEPS9_SG_NS0_5tupleIJPjSI_NS0_16reverse_iteratorISI_EEEEENSH_IJSG_SG_SG_EEES9_SI_JZNS1_25segmented_radix_sort_implINS0_14default_configELb0EPK6__halfPSP_PKlPlN2at6native12_GLOBAL__N_18offset_tEEE10hipError_tPvRmT1_PNSt15iterator_traitsIS13_E10value_typeET2_T3_PNS14_IS19_E10value_typeET4_jRbjT5_S1F_jjP12ihipStream_tbEUljE_ZNSN_ISO_Lb0ESR_SS_SU_SV_SZ_EES10_S11_S12_S13_S17_S18_S19_S1C_S1D_jS1E_jS1F_S1F_jjS1H_bEUljE0_EEES10_S11_S12_S19_S1D_S1F_T6_T7_T9_mT8_S1H_bDpT10_ENKUlT_T0_E_clISt17integral_constantIbLb0EES1U_IbLb1EEEEDaS1Q_S1R_EUlS1Q_E_NS1_11comp_targetILNS1_3genE0ELNS1_11target_archE4294967295ELNS1_3gpuE0ELNS1_3repE0EEENS1_30default_config_static_selectorELNS0_4arch9wavefront6targetE1EEEvS13_,comdat
.Lfunc_end1800:
	.size	_ZN7rocprim17ROCPRIM_400000_NS6detail17trampoline_kernelINS0_13select_configILj256ELj13ELNS0_17block_load_methodE3ELS4_3ELS4_3ELNS0_20block_scan_algorithmE0ELj4294967295EEENS1_25partition_config_selectorILNS1_17partition_subalgoE4EjNS0_10empty_typeEbEEZZNS1_14partition_implILS8_4ELb0ES6_15HIP_vector_typeIjLj2EENS0_17counting_iteratorIjlEEPS9_SG_NS0_5tupleIJPjSI_NS0_16reverse_iteratorISI_EEEEENSH_IJSG_SG_SG_EEES9_SI_JZNS1_25segmented_radix_sort_implINS0_14default_configELb0EPK6__halfPSP_PKlPlN2at6native12_GLOBAL__N_18offset_tEEE10hipError_tPvRmT1_PNSt15iterator_traitsIS13_E10value_typeET2_T3_PNS14_IS19_E10value_typeET4_jRbjT5_S1F_jjP12ihipStream_tbEUljE_ZNSN_ISO_Lb0ESR_SS_SU_SV_SZ_EES10_S11_S12_S13_S17_S18_S19_S1C_S1D_jS1E_jS1F_S1F_jjS1H_bEUljE0_EEES10_S11_S12_S19_S1D_S1F_T6_T7_T9_mT8_S1H_bDpT10_ENKUlT_T0_E_clISt17integral_constantIbLb0EES1U_IbLb1EEEEDaS1Q_S1R_EUlS1Q_E_NS1_11comp_targetILNS1_3genE0ELNS1_11target_archE4294967295ELNS1_3gpuE0ELNS1_3repE0EEENS1_30default_config_static_selectorELNS0_4arch9wavefront6targetE1EEEvS13_, .Lfunc_end1800-_ZN7rocprim17ROCPRIM_400000_NS6detail17trampoline_kernelINS0_13select_configILj256ELj13ELNS0_17block_load_methodE3ELS4_3ELS4_3ELNS0_20block_scan_algorithmE0ELj4294967295EEENS1_25partition_config_selectorILNS1_17partition_subalgoE4EjNS0_10empty_typeEbEEZZNS1_14partition_implILS8_4ELb0ES6_15HIP_vector_typeIjLj2EENS0_17counting_iteratorIjlEEPS9_SG_NS0_5tupleIJPjSI_NS0_16reverse_iteratorISI_EEEEENSH_IJSG_SG_SG_EEES9_SI_JZNS1_25segmented_radix_sort_implINS0_14default_configELb0EPK6__halfPSP_PKlPlN2at6native12_GLOBAL__N_18offset_tEEE10hipError_tPvRmT1_PNSt15iterator_traitsIS13_E10value_typeET2_T3_PNS14_IS19_E10value_typeET4_jRbjT5_S1F_jjP12ihipStream_tbEUljE_ZNSN_ISO_Lb0ESR_SS_SU_SV_SZ_EES10_S11_S12_S13_S17_S18_S19_S1C_S1D_jS1E_jS1F_S1F_jjS1H_bEUljE0_EEES10_S11_S12_S19_S1D_S1F_T6_T7_T9_mT8_S1H_bDpT10_ENKUlT_T0_E_clISt17integral_constantIbLb0EES1U_IbLb1EEEEDaS1Q_S1R_EUlS1Q_E_NS1_11comp_targetILNS1_3genE0ELNS1_11target_archE4294967295ELNS1_3gpuE0ELNS1_3repE0EEENS1_30default_config_static_selectorELNS0_4arch9wavefront6targetE1EEEvS13_
                                        ; -- End function
	.section	.AMDGPU.csdata,"",@progbits
; Kernel info:
; codeLenInByte = 0
; NumSgprs: 4
; NumVgprs: 0
; NumAgprs: 0
; TotalNumVgprs: 0
; ScratchSize: 0
; MemoryBound: 0
; FloatMode: 240
; IeeeMode: 1
; LDSByteSize: 0 bytes/workgroup (compile time only)
; SGPRBlocks: 0
; VGPRBlocks: 0
; NumSGPRsForWavesPerEU: 4
; NumVGPRsForWavesPerEU: 1
; AccumOffset: 4
; Occupancy: 8
; WaveLimiterHint : 0
; COMPUTE_PGM_RSRC2:SCRATCH_EN: 0
; COMPUTE_PGM_RSRC2:USER_SGPR: 6
; COMPUTE_PGM_RSRC2:TRAP_HANDLER: 0
; COMPUTE_PGM_RSRC2:TGID_X_EN: 1
; COMPUTE_PGM_RSRC2:TGID_Y_EN: 0
; COMPUTE_PGM_RSRC2:TGID_Z_EN: 0
; COMPUTE_PGM_RSRC2:TIDIG_COMP_CNT: 0
; COMPUTE_PGM_RSRC3_GFX90A:ACCUM_OFFSET: 0
; COMPUTE_PGM_RSRC3_GFX90A:TG_SPLIT: 0
	.section	.text._ZN7rocprim17ROCPRIM_400000_NS6detail17trampoline_kernelINS0_13select_configILj256ELj13ELNS0_17block_load_methodE3ELS4_3ELS4_3ELNS0_20block_scan_algorithmE0ELj4294967295EEENS1_25partition_config_selectorILNS1_17partition_subalgoE4EjNS0_10empty_typeEbEEZZNS1_14partition_implILS8_4ELb0ES6_15HIP_vector_typeIjLj2EENS0_17counting_iteratorIjlEEPS9_SG_NS0_5tupleIJPjSI_NS0_16reverse_iteratorISI_EEEEENSH_IJSG_SG_SG_EEES9_SI_JZNS1_25segmented_radix_sort_implINS0_14default_configELb0EPK6__halfPSP_PKlPlN2at6native12_GLOBAL__N_18offset_tEEE10hipError_tPvRmT1_PNSt15iterator_traitsIS13_E10value_typeET2_T3_PNS14_IS19_E10value_typeET4_jRbjT5_S1F_jjP12ihipStream_tbEUljE_ZNSN_ISO_Lb0ESR_SS_SU_SV_SZ_EES10_S11_S12_S13_S17_S18_S19_S1C_S1D_jS1E_jS1F_S1F_jjS1H_bEUljE0_EEES10_S11_S12_S19_S1D_S1F_T6_T7_T9_mT8_S1H_bDpT10_ENKUlT_T0_E_clISt17integral_constantIbLb0EES1U_IbLb1EEEEDaS1Q_S1R_EUlS1Q_E_NS1_11comp_targetILNS1_3genE5ELNS1_11target_archE942ELNS1_3gpuE9ELNS1_3repE0EEENS1_30default_config_static_selectorELNS0_4arch9wavefront6targetE1EEEvS13_,"axG",@progbits,_ZN7rocprim17ROCPRIM_400000_NS6detail17trampoline_kernelINS0_13select_configILj256ELj13ELNS0_17block_load_methodE3ELS4_3ELS4_3ELNS0_20block_scan_algorithmE0ELj4294967295EEENS1_25partition_config_selectorILNS1_17partition_subalgoE4EjNS0_10empty_typeEbEEZZNS1_14partition_implILS8_4ELb0ES6_15HIP_vector_typeIjLj2EENS0_17counting_iteratorIjlEEPS9_SG_NS0_5tupleIJPjSI_NS0_16reverse_iteratorISI_EEEEENSH_IJSG_SG_SG_EEES9_SI_JZNS1_25segmented_radix_sort_implINS0_14default_configELb0EPK6__halfPSP_PKlPlN2at6native12_GLOBAL__N_18offset_tEEE10hipError_tPvRmT1_PNSt15iterator_traitsIS13_E10value_typeET2_T3_PNS14_IS19_E10value_typeET4_jRbjT5_S1F_jjP12ihipStream_tbEUljE_ZNSN_ISO_Lb0ESR_SS_SU_SV_SZ_EES10_S11_S12_S13_S17_S18_S19_S1C_S1D_jS1E_jS1F_S1F_jjS1H_bEUljE0_EEES10_S11_S12_S19_S1D_S1F_T6_T7_T9_mT8_S1H_bDpT10_ENKUlT_T0_E_clISt17integral_constantIbLb0EES1U_IbLb1EEEEDaS1Q_S1R_EUlS1Q_E_NS1_11comp_targetILNS1_3genE5ELNS1_11target_archE942ELNS1_3gpuE9ELNS1_3repE0EEENS1_30default_config_static_selectorELNS0_4arch9wavefront6targetE1EEEvS13_,comdat
	.globl	_ZN7rocprim17ROCPRIM_400000_NS6detail17trampoline_kernelINS0_13select_configILj256ELj13ELNS0_17block_load_methodE3ELS4_3ELS4_3ELNS0_20block_scan_algorithmE0ELj4294967295EEENS1_25partition_config_selectorILNS1_17partition_subalgoE4EjNS0_10empty_typeEbEEZZNS1_14partition_implILS8_4ELb0ES6_15HIP_vector_typeIjLj2EENS0_17counting_iteratorIjlEEPS9_SG_NS0_5tupleIJPjSI_NS0_16reverse_iteratorISI_EEEEENSH_IJSG_SG_SG_EEES9_SI_JZNS1_25segmented_radix_sort_implINS0_14default_configELb0EPK6__halfPSP_PKlPlN2at6native12_GLOBAL__N_18offset_tEEE10hipError_tPvRmT1_PNSt15iterator_traitsIS13_E10value_typeET2_T3_PNS14_IS19_E10value_typeET4_jRbjT5_S1F_jjP12ihipStream_tbEUljE_ZNSN_ISO_Lb0ESR_SS_SU_SV_SZ_EES10_S11_S12_S13_S17_S18_S19_S1C_S1D_jS1E_jS1F_S1F_jjS1H_bEUljE0_EEES10_S11_S12_S19_S1D_S1F_T6_T7_T9_mT8_S1H_bDpT10_ENKUlT_T0_E_clISt17integral_constantIbLb0EES1U_IbLb1EEEEDaS1Q_S1R_EUlS1Q_E_NS1_11comp_targetILNS1_3genE5ELNS1_11target_archE942ELNS1_3gpuE9ELNS1_3repE0EEENS1_30default_config_static_selectorELNS0_4arch9wavefront6targetE1EEEvS13_ ; -- Begin function _ZN7rocprim17ROCPRIM_400000_NS6detail17trampoline_kernelINS0_13select_configILj256ELj13ELNS0_17block_load_methodE3ELS4_3ELS4_3ELNS0_20block_scan_algorithmE0ELj4294967295EEENS1_25partition_config_selectorILNS1_17partition_subalgoE4EjNS0_10empty_typeEbEEZZNS1_14partition_implILS8_4ELb0ES6_15HIP_vector_typeIjLj2EENS0_17counting_iteratorIjlEEPS9_SG_NS0_5tupleIJPjSI_NS0_16reverse_iteratorISI_EEEEENSH_IJSG_SG_SG_EEES9_SI_JZNS1_25segmented_radix_sort_implINS0_14default_configELb0EPK6__halfPSP_PKlPlN2at6native12_GLOBAL__N_18offset_tEEE10hipError_tPvRmT1_PNSt15iterator_traitsIS13_E10value_typeET2_T3_PNS14_IS19_E10value_typeET4_jRbjT5_S1F_jjP12ihipStream_tbEUljE_ZNSN_ISO_Lb0ESR_SS_SU_SV_SZ_EES10_S11_S12_S13_S17_S18_S19_S1C_S1D_jS1E_jS1F_S1F_jjS1H_bEUljE0_EEES10_S11_S12_S19_S1D_S1F_T6_T7_T9_mT8_S1H_bDpT10_ENKUlT_T0_E_clISt17integral_constantIbLb0EES1U_IbLb1EEEEDaS1Q_S1R_EUlS1Q_E_NS1_11comp_targetILNS1_3genE5ELNS1_11target_archE942ELNS1_3gpuE9ELNS1_3repE0EEENS1_30default_config_static_selectorELNS0_4arch9wavefront6targetE1EEEvS13_
	.p2align	8
	.type	_ZN7rocprim17ROCPRIM_400000_NS6detail17trampoline_kernelINS0_13select_configILj256ELj13ELNS0_17block_load_methodE3ELS4_3ELS4_3ELNS0_20block_scan_algorithmE0ELj4294967295EEENS1_25partition_config_selectorILNS1_17partition_subalgoE4EjNS0_10empty_typeEbEEZZNS1_14partition_implILS8_4ELb0ES6_15HIP_vector_typeIjLj2EENS0_17counting_iteratorIjlEEPS9_SG_NS0_5tupleIJPjSI_NS0_16reverse_iteratorISI_EEEEENSH_IJSG_SG_SG_EEES9_SI_JZNS1_25segmented_radix_sort_implINS0_14default_configELb0EPK6__halfPSP_PKlPlN2at6native12_GLOBAL__N_18offset_tEEE10hipError_tPvRmT1_PNSt15iterator_traitsIS13_E10value_typeET2_T3_PNS14_IS19_E10value_typeET4_jRbjT5_S1F_jjP12ihipStream_tbEUljE_ZNSN_ISO_Lb0ESR_SS_SU_SV_SZ_EES10_S11_S12_S13_S17_S18_S19_S1C_S1D_jS1E_jS1F_S1F_jjS1H_bEUljE0_EEES10_S11_S12_S19_S1D_S1F_T6_T7_T9_mT8_S1H_bDpT10_ENKUlT_T0_E_clISt17integral_constantIbLb0EES1U_IbLb1EEEEDaS1Q_S1R_EUlS1Q_E_NS1_11comp_targetILNS1_3genE5ELNS1_11target_archE942ELNS1_3gpuE9ELNS1_3repE0EEENS1_30default_config_static_selectorELNS0_4arch9wavefront6targetE1EEEvS13_,@function
_ZN7rocprim17ROCPRIM_400000_NS6detail17trampoline_kernelINS0_13select_configILj256ELj13ELNS0_17block_load_methodE3ELS4_3ELS4_3ELNS0_20block_scan_algorithmE0ELj4294967295EEENS1_25partition_config_selectorILNS1_17partition_subalgoE4EjNS0_10empty_typeEbEEZZNS1_14partition_implILS8_4ELb0ES6_15HIP_vector_typeIjLj2EENS0_17counting_iteratorIjlEEPS9_SG_NS0_5tupleIJPjSI_NS0_16reverse_iteratorISI_EEEEENSH_IJSG_SG_SG_EEES9_SI_JZNS1_25segmented_radix_sort_implINS0_14default_configELb0EPK6__halfPSP_PKlPlN2at6native12_GLOBAL__N_18offset_tEEE10hipError_tPvRmT1_PNSt15iterator_traitsIS13_E10value_typeET2_T3_PNS14_IS19_E10value_typeET4_jRbjT5_S1F_jjP12ihipStream_tbEUljE_ZNSN_ISO_Lb0ESR_SS_SU_SV_SZ_EES10_S11_S12_S13_S17_S18_S19_S1C_S1D_jS1E_jS1F_S1F_jjS1H_bEUljE0_EEES10_S11_S12_S19_S1D_S1F_T6_T7_T9_mT8_S1H_bDpT10_ENKUlT_T0_E_clISt17integral_constantIbLb0EES1U_IbLb1EEEEDaS1Q_S1R_EUlS1Q_E_NS1_11comp_targetILNS1_3genE5ELNS1_11target_archE942ELNS1_3gpuE9ELNS1_3repE0EEENS1_30default_config_static_selectorELNS0_4arch9wavefront6targetE1EEEvS13_: ; @_ZN7rocprim17ROCPRIM_400000_NS6detail17trampoline_kernelINS0_13select_configILj256ELj13ELNS0_17block_load_methodE3ELS4_3ELS4_3ELNS0_20block_scan_algorithmE0ELj4294967295EEENS1_25partition_config_selectorILNS1_17partition_subalgoE4EjNS0_10empty_typeEbEEZZNS1_14partition_implILS8_4ELb0ES6_15HIP_vector_typeIjLj2EENS0_17counting_iteratorIjlEEPS9_SG_NS0_5tupleIJPjSI_NS0_16reverse_iteratorISI_EEEEENSH_IJSG_SG_SG_EEES9_SI_JZNS1_25segmented_radix_sort_implINS0_14default_configELb0EPK6__halfPSP_PKlPlN2at6native12_GLOBAL__N_18offset_tEEE10hipError_tPvRmT1_PNSt15iterator_traitsIS13_E10value_typeET2_T3_PNS14_IS19_E10value_typeET4_jRbjT5_S1F_jjP12ihipStream_tbEUljE_ZNSN_ISO_Lb0ESR_SS_SU_SV_SZ_EES10_S11_S12_S13_S17_S18_S19_S1C_S1D_jS1E_jS1F_S1F_jjS1H_bEUljE0_EEES10_S11_S12_S19_S1D_S1F_T6_T7_T9_mT8_S1H_bDpT10_ENKUlT_T0_E_clISt17integral_constantIbLb0EES1U_IbLb1EEEEDaS1Q_S1R_EUlS1Q_E_NS1_11comp_targetILNS1_3genE5ELNS1_11target_archE942ELNS1_3gpuE9ELNS1_3repE0EEENS1_30default_config_static_selectorELNS0_4arch9wavefront6targetE1EEEvS13_
; %bb.0:
	.section	.rodata,"a",@progbits
	.p2align	6, 0x0
	.amdhsa_kernel _ZN7rocprim17ROCPRIM_400000_NS6detail17trampoline_kernelINS0_13select_configILj256ELj13ELNS0_17block_load_methodE3ELS4_3ELS4_3ELNS0_20block_scan_algorithmE0ELj4294967295EEENS1_25partition_config_selectorILNS1_17partition_subalgoE4EjNS0_10empty_typeEbEEZZNS1_14partition_implILS8_4ELb0ES6_15HIP_vector_typeIjLj2EENS0_17counting_iteratorIjlEEPS9_SG_NS0_5tupleIJPjSI_NS0_16reverse_iteratorISI_EEEEENSH_IJSG_SG_SG_EEES9_SI_JZNS1_25segmented_radix_sort_implINS0_14default_configELb0EPK6__halfPSP_PKlPlN2at6native12_GLOBAL__N_18offset_tEEE10hipError_tPvRmT1_PNSt15iterator_traitsIS13_E10value_typeET2_T3_PNS14_IS19_E10value_typeET4_jRbjT5_S1F_jjP12ihipStream_tbEUljE_ZNSN_ISO_Lb0ESR_SS_SU_SV_SZ_EES10_S11_S12_S13_S17_S18_S19_S1C_S1D_jS1E_jS1F_S1F_jjS1H_bEUljE0_EEES10_S11_S12_S19_S1D_S1F_T6_T7_T9_mT8_S1H_bDpT10_ENKUlT_T0_E_clISt17integral_constantIbLb0EES1U_IbLb1EEEEDaS1Q_S1R_EUlS1Q_E_NS1_11comp_targetILNS1_3genE5ELNS1_11target_archE942ELNS1_3gpuE9ELNS1_3repE0EEENS1_30default_config_static_selectorELNS0_4arch9wavefront6targetE1EEEvS13_
		.amdhsa_group_segment_fixed_size 0
		.amdhsa_private_segment_fixed_size 0
		.amdhsa_kernarg_size 184
		.amdhsa_user_sgpr_count 6
		.amdhsa_user_sgpr_private_segment_buffer 1
		.amdhsa_user_sgpr_dispatch_ptr 0
		.amdhsa_user_sgpr_queue_ptr 0
		.amdhsa_user_sgpr_kernarg_segment_ptr 1
		.amdhsa_user_sgpr_dispatch_id 0
		.amdhsa_user_sgpr_flat_scratch_init 0
		.amdhsa_user_sgpr_kernarg_preload_length 0
		.amdhsa_user_sgpr_kernarg_preload_offset 0
		.amdhsa_user_sgpr_private_segment_size 0
		.amdhsa_uses_dynamic_stack 0
		.amdhsa_system_sgpr_private_segment_wavefront_offset 0
		.amdhsa_system_sgpr_workgroup_id_x 1
		.amdhsa_system_sgpr_workgroup_id_y 0
		.amdhsa_system_sgpr_workgroup_id_z 0
		.amdhsa_system_sgpr_workgroup_info 0
		.amdhsa_system_vgpr_workitem_id 0
		.amdhsa_next_free_vgpr 1
		.amdhsa_next_free_sgpr 0
		.amdhsa_accum_offset 4
		.amdhsa_reserve_vcc 0
		.amdhsa_reserve_flat_scratch 0
		.amdhsa_float_round_mode_32 0
		.amdhsa_float_round_mode_16_64 0
		.amdhsa_float_denorm_mode_32 3
		.amdhsa_float_denorm_mode_16_64 3
		.amdhsa_dx10_clamp 1
		.amdhsa_ieee_mode 1
		.amdhsa_fp16_overflow 0
		.amdhsa_tg_split 0
		.amdhsa_exception_fp_ieee_invalid_op 0
		.amdhsa_exception_fp_denorm_src 0
		.amdhsa_exception_fp_ieee_div_zero 0
		.amdhsa_exception_fp_ieee_overflow 0
		.amdhsa_exception_fp_ieee_underflow 0
		.amdhsa_exception_fp_ieee_inexact 0
		.amdhsa_exception_int_div_zero 0
	.end_amdhsa_kernel
	.section	.text._ZN7rocprim17ROCPRIM_400000_NS6detail17trampoline_kernelINS0_13select_configILj256ELj13ELNS0_17block_load_methodE3ELS4_3ELS4_3ELNS0_20block_scan_algorithmE0ELj4294967295EEENS1_25partition_config_selectorILNS1_17partition_subalgoE4EjNS0_10empty_typeEbEEZZNS1_14partition_implILS8_4ELb0ES6_15HIP_vector_typeIjLj2EENS0_17counting_iteratorIjlEEPS9_SG_NS0_5tupleIJPjSI_NS0_16reverse_iteratorISI_EEEEENSH_IJSG_SG_SG_EEES9_SI_JZNS1_25segmented_radix_sort_implINS0_14default_configELb0EPK6__halfPSP_PKlPlN2at6native12_GLOBAL__N_18offset_tEEE10hipError_tPvRmT1_PNSt15iterator_traitsIS13_E10value_typeET2_T3_PNS14_IS19_E10value_typeET4_jRbjT5_S1F_jjP12ihipStream_tbEUljE_ZNSN_ISO_Lb0ESR_SS_SU_SV_SZ_EES10_S11_S12_S13_S17_S18_S19_S1C_S1D_jS1E_jS1F_S1F_jjS1H_bEUljE0_EEES10_S11_S12_S19_S1D_S1F_T6_T7_T9_mT8_S1H_bDpT10_ENKUlT_T0_E_clISt17integral_constantIbLb0EES1U_IbLb1EEEEDaS1Q_S1R_EUlS1Q_E_NS1_11comp_targetILNS1_3genE5ELNS1_11target_archE942ELNS1_3gpuE9ELNS1_3repE0EEENS1_30default_config_static_selectorELNS0_4arch9wavefront6targetE1EEEvS13_,"axG",@progbits,_ZN7rocprim17ROCPRIM_400000_NS6detail17trampoline_kernelINS0_13select_configILj256ELj13ELNS0_17block_load_methodE3ELS4_3ELS4_3ELNS0_20block_scan_algorithmE0ELj4294967295EEENS1_25partition_config_selectorILNS1_17partition_subalgoE4EjNS0_10empty_typeEbEEZZNS1_14partition_implILS8_4ELb0ES6_15HIP_vector_typeIjLj2EENS0_17counting_iteratorIjlEEPS9_SG_NS0_5tupleIJPjSI_NS0_16reverse_iteratorISI_EEEEENSH_IJSG_SG_SG_EEES9_SI_JZNS1_25segmented_radix_sort_implINS0_14default_configELb0EPK6__halfPSP_PKlPlN2at6native12_GLOBAL__N_18offset_tEEE10hipError_tPvRmT1_PNSt15iterator_traitsIS13_E10value_typeET2_T3_PNS14_IS19_E10value_typeET4_jRbjT5_S1F_jjP12ihipStream_tbEUljE_ZNSN_ISO_Lb0ESR_SS_SU_SV_SZ_EES10_S11_S12_S13_S17_S18_S19_S1C_S1D_jS1E_jS1F_S1F_jjS1H_bEUljE0_EEES10_S11_S12_S19_S1D_S1F_T6_T7_T9_mT8_S1H_bDpT10_ENKUlT_T0_E_clISt17integral_constantIbLb0EES1U_IbLb1EEEEDaS1Q_S1R_EUlS1Q_E_NS1_11comp_targetILNS1_3genE5ELNS1_11target_archE942ELNS1_3gpuE9ELNS1_3repE0EEENS1_30default_config_static_selectorELNS0_4arch9wavefront6targetE1EEEvS13_,comdat
.Lfunc_end1801:
	.size	_ZN7rocprim17ROCPRIM_400000_NS6detail17trampoline_kernelINS0_13select_configILj256ELj13ELNS0_17block_load_methodE3ELS4_3ELS4_3ELNS0_20block_scan_algorithmE0ELj4294967295EEENS1_25partition_config_selectorILNS1_17partition_subalgoE4EjNS0_10empty_typeEbEEZZNS1_14partition_implILS8_4ELb0ES6_15HIP_vector_typeIjLj2EENS0_17counting_iteratorIjlEEPS9_SG_NS0_5tupleIJPjSI_NS0_16reverse_iteratorISI_EEEEENSH_IJSG_SG_SG_EEES9_SI_JZNS1_25segmented_radix_sort_implINS0_14default_configELb0EPK6__halfPSP_PKlPlN2at6native12_GLOBAL__N_18offset_tEEE10hipError_tPvRmT1_PNSt15iterator_traitsIS13_E10value_typeET2_T3_PNS14_IS19_E10value_typeET4_jRbjT5_S1F_jjP12ihipStream_tbEUljE_ZNSN_ISO_Lb0ESR_SS_SU_SV_SZ_EES10_S11_S12_S13_S17_S18_S19_S1C_S1D_jS1E_jS1F_S1F_jjS1H_bEUljE0_EEES10_S11_S12_S19_S1D_S1F_T6_T7_T9_mT8_S1H_bDpT10_ENKUlT_T0_E_clISt17integral_constantIbLb0EES1U_IbLb1EEEEDaS1Q_S1R_EUlS1Q_E_NS1_11comp_targetILNS1_3genE5ELNS1_11target_archE942ELNS1_3gpuE9ELNS1_3repE0EEENS1_30default_config_static_selectorELNS0_4arch9wavefront6targetE1EEEvS13_, .Lfunc_end1801-_ZN7rocprim17ROCPRIM_400000_NS6detail17trampoline_kernelINS0_13select_configILj256ELj13ELNS0_17block_load_methodE3ELS4_3ELS4_3ELNS0_20block_scan_algorithmE0ELj4294967295EEENS1_25partition_config_selectorILNS1_17partition_subalgoE4EjNS0_10empty_typeEbEEZZNS1_14partition_implILS8_4ELb0ES6_15HIP_vector_typeIjLj2EENS0_17counting_iteratorIjlEEPS9_SG_NS0_5tupleIJPjSI_NS0_16reverse_iteratorISI_EEEEENSH_IJSG_SG_SG_EEES9_SI_JZNS1_25segmented_radix_sort_implINS0_14default_configELb0EPK6__halfPSP_PKlPlN2at6native12_GLOBAL__N_18offset_tEEE10hipError_tPvRmT1_PNSt15iterator_traitsIS13_E10value_typeET2_T3_PNS14_IS19_E10value_typeET4_jRbjT5_S1F_jjP12ihipStream_tbEUljE_ZNSN_ISO_Lb0ESR_SS_SU_SV_SZ_EES10_S11_S12_S13_S17_S18_S19_S1C_S1D_jS1E_jS1F_S1F_jjS1H_bEUljE0_EEES10_S11_S12_S19_S1D_S1F_T6_T7_T9_mT8_S1H_bDpT10_ENKUlT_T0_E_clISt17integral_constantIbLb0EES1U_IbLb1EEEEDaS1Q_S1R_EUlS1Q_E_NS1_11comp_targetILNS1_3genE5ELNS1_11target_archE942ELNS1_3gpuE9ELNS1_3repE0EEENS1_30default_config_static_selectorELNS0_4arch9wavefront6targetE1EEEvS13_
                                        ; -- End function
	.section	.AMDGPU.csdata,"",@progbits
; Kernel info:
; codeLenInByte = 0
; NumSgprs: 4
; NumVgprs: 0
; NumAgprs: 0
; TotalNumVgprs: 0
; ScratchSize: 0
; MemoryBound: 0
; FloatMode: 240
; IeeeMode: 1
; LDSByteSize: 0 bytes/workgroup (compile time only)
; SGPRBlocks: 0
; VGPRBlocks: 0
; NumSGPRsForWavesPerEU: 4
; NumVGPRsForWavesPerEU: 1
; AccumOffset: 4
; Occupancy: 8
; WaveLimiterHint : 0
; COMPUTE_PGM_RSRC2:SCRATCH_EN: 0
; COMPUTE_PGM_RSRC2:USER_SGPR: 6
; COMPUTE_PGM_RSRC2:TRAP_HANDLER: 0
; COMPUTE_PGM_RSRC2:TGID_X_EN: 1
; COMPUTE_PGM_RSRC2:TGID_Y_EN: 0
; COMPUTE_PGM_RSRC2:TGID_Z_EN: 0
; COMPUTE_PGM_RSRC2:TIDIG_COMP_CNT: 0
; COMPUTE_PGM_RSRC3_GFX90A:ACCUM_OFFSET: 0
; COMPUTE_PGM_RSRC3_GFX90A:TG_SPLIT: 0
	.section	.text._ZN7rocprim17ROCPRIM_400000_NS6detail17trampoline_kernelINS0_13select_configILj256ELj13ELNS0_17block_load_methodE3ELS4_3ELS4_3ELNS0_20block_scan_algorithmE0ELj4294967295EEENS1_25partition_config_selectorILNS1_17partition_subalgoE4EjNS0_10empty_typeEbEEZZNS1_14partition_implILS8_4ELb0ES6_15HIP_vector_typeIjLj2EENS0_17counting_iteratorIjlEEPS9_SG_NS0_5tupleIJPjSI_NS0_16reverse_iteratorISI_EEEEENSH_IJSG_SG_SG_EEES9_SI_JZNS1_25segmented_radix_sort_implINS0_14default_configELb0EPK6__halfPSP_PKlPlN2at6native12_GLOBAL__N_18offset_tEEE10hipError_tPvRmT1_PNSt15iterator_traitsIS13_E10value_typeET2_T3_PNS14_IS19_E10value_typeET4_jRbjT5_S1F_jjP12ihipStream_tbEUljE_ZNSN_ISO_Lb0ESR_SS_SU_SV_SZ_EES10_S11_S12_S13_S17_S18_S19_S1C_S1D_jS1E_jS1F_S1F_jjS1H_bEUljE0_EEES10_S11_S12_S19_S1D_S1F_T6_T7_T9_mT8_S1H_bDpT10_ENKUlT_T0_E_clISt17integral_constantIbLb0EES1U_IbLb1EEEEDaS1Q_S1R_EUlS1Q_E_NS1_11comp_targetILNS1_3genE4ELNS1_11target_archE910ELNS1_3gpuE8ELNS1_3repE0EEENS1_30default_config_static_selectorELNS0_4arch9wavefront6targetE1EEEvS13_,"axG",@progbits,_ZN7rocprim17ROCPRIM_400000_NS6detail17trampoline_kernelINS0_13select_configILj256ELj13ELNS0_17block_load_methodE3ELS4_3ELS4_3ELNS0_20block_scan_algorithmE0ELj4294967295EEENS1_25partition_config_selectorILNS1_17partition_subalgoE4EjNS0_10empty_typeEbEEZZNS1_14partition_implILS8_4ELb0ES6_15HIP_vector_typeIjLj2EENS0_17counting_iteratorIjlEEPS9_SG_NS0_5tupleIJPjSI_NS0_16reverse_iteratorISI_EEEEENSH_IJSG_SG_SG_EEES9_SI_JZNS1_25segmented_radix_sort_implINS0_14default_configELb0EPK6__halfPSP_PKlPlN2at6native12_GLOBAL__N_18offset_tEEE10hipError_tPvRmT1_PNSt15iterator_traitsIS13_E10value_typeET2_T3_PNS14_IS19_E10value_typeET4_jRbjT5_S1F_jjP12ihipStream_tbEUljE_ZNSN_ISO_Lb0ESR_SS_SU_SV_SZ_EES10_S11_S12_S13_S17_S18_S19_S1C_S1D_jS1E_jS1F_S1F_jjS1H_bEUljE0_EEES10_S11_S12_S19_S1D_S1F_T6_T7_T9_mT8_S1H_bDpT10_ENKUlT_T0_E_clISt17integral_constantIbLb0EES1U_IbLb1EEEEDaS1Q_S1R_EUlS1Q_E_NS1_11comp_targetILNS1_3genE4ELNS1_11target_archE910ELNS1_3gpuE8ELNS1_3repE0EEENS1_30default_config_static_selectorELNS0_4arch9wavefront6targetE1EEEvS13_,comdat
	.globl	_ZN7rocprim17ROCPRIM_400000_NS6detail17trampoline_kernelINS0_13select_configILj256ELj13ELNS0_17block_load_methodE3ELS4_3ELS4_3ELNS0_20block_scan_algorithmE0ELj4294967295EEENS1_25partition_config_selectorILNS1_17partition_subalgoE4EjNS0_10empty_typeEbEEZZNS1_14partition_implILS8_4ELb0ES6_15HIP_vector_typeIjLj2EENS0_17counting_iteratorIjlEEPS9_SG_NS0_5tupleIJPjSI_NS0_16reverse_iteratorISI_EEEEENSH_IJSG_SG_SG_EEES9_SI_JZNS1_25segmented_radix_sort_implINS0_14default_configELb0EPK6__halfPSP_PKlPlN2at6native12_GLOBAL__N_18offset_tEEE10hipError_tPvRmT1_PNSt15iterator_traitsIS13_E10value_typeET2_T3_PNS14_IS19_E10value_typeET4_jRbjT5_S1F_jjP12ihipStream_tbEUljE_ZNSN_ISO_Lb0ESR_SS_SU_SV_SZ_EES10_S11_S12_S13_S17_S18_S19_S1C_S1D_jS1E_jS1F_S1F_jjS1H_bEUljE0_EEES10_S11_S12_S19_S1D_S1F_T6_T7_T9_mT8_S1H_bDpT10_ENKUlT_T0_E_clISt17integral_constantIbLb0EES1U_IbLb1EEEEDaS1Q_S1R_EUlS1Q_E_NS1_11comp_targetILNS1_3genE4ELNS1_11target_archE910ELNS1_3gpuE8ELNS1_3repE0EEENS1_30default_config_static_selectorELNS0_4arch9wavefront6targetE1EEEvS13_ ; -- Begin function _ZN7rocprim17ROCPRIM_400000_NS6detail17trampoline_kernelINS0_13select_configILj256ELj13ELNS0_17block_load_methodE3ELS4_3ELS4_3ELNS0_20block_scan_algorithmE0ELj4294967295EEENS1_25partition_config_selectorILNS1_17partition_subalgoE4EjNS0_10empty_typeEbEEZZNS1_14partition_implILS8_4ELb0ES6_15HIP_vector_typeIjLj2EENS0_17counting_iteratorIjlEEPS9_SG_NS0_5tupleIJPjSI_NS0_16reverse_iteratorISI_EEEEENSH_IJSG_SG_SG_EEES9_SI_JZNS1_25segmented_radix_sort_implINS0_14default_configELb0EPK6__halfPSP_PKlPlN2at6native12_GLOBAL__N_18offset_tEEE10hipError_tPvRmT1_PNSt15iterator_traitsIS13_E10value_typeET2_T3_PNS14_IS19_E10value_typeET4_jRbjT5_S1F_jjP12ihipStream_tbEUljE_ZNSN_ISO_Lb0ESR_SS_SU_SV_SZ_EES10_S11_S12_S13_S17_S18_S19_S1C_S1D_jS1E_jS1F_S1F_jjS1H_bEUljE0_EEES10_S11_S12_S19_S1D_S1F_T6_T7_T9_mT8_S1H_bDpT10_ENKUlT_T0_E_clISt17integral_constantIbLb0EES1U_IbLb1EEEEDaS1Q_S1R_EUlS1Q_E_NS1_11comp_targetILNS1_3genE4ELNS1_11target_archE910ELNS1_3gpuE8ELNS1_3repE0EEENS1_30default_config_static_selectorELNS0_4arch9wavefront6targetE1EEEvS13_
	.p2align	8
	.type	_ZN7rocprim17ROCPRIM_400000_NS6detail17trampoline_kernelINS0_13select_configILj256ELj13ELNS0_17block_load_methodE3ELS4_3ELS4_3ELNS0_20block_scan_algorithmE0ELj4294967295EEENS1_25partition_config_selectorILNS1_17partition_subalgoE4EjNS0_10empty_typeEbEEZZNS1_14partition_implILS8_4ELb0ES6_15HIP_vector_typeIjLj2EENS0_17counting_iteratorIjlEEPS9_SG_NS0_5tupleIJPjSI_NS0_16reverse_iteratorISI_EEEEENSH_IJSG_SG_SG_EEES9_SI_JZNS1_25segmented_radix_sort_implINS0_14default_configELb0EPK6__halfPSP_PKlPlN2at6native12_GLOBAL__N_18offset_tEEE10hipError_tPvRmT1_PNSt15iterator_traitsIS13_E10value_typeET2_T3_PNS14_IS19_E10value_typeET4_jRbjT5_S1F_jjP12ihipStream_tbEUljE_ZNSN_ISO_Lb0ESR_SS_SU_SV_SZ_EES10_S11_S12_S13_S17_S18_S19_S1C_S1D_jS1E_jS1F_S1F_jjS1H_bEUljE0_EEES10_S11_S12_S19_S1D_S1F_T6_T7_T9_mT8_S1H_bDpT10_ENKUlT_T0_E_clISt17integral_constantIbLb0EES1U_IbLb1EEEEDaS1Q_S1R_EUlS1Q_E_NS1_11comp_targetILNS1_3genE4ELNS1_11target_archE910ELNS1_3gpuE8ELNS1_3repE0EEENS1_30default_config_static_selectorELNS0_4arch9wavefront6targetE1EEEvS13_,@function
_ZN7rocprim17ROCPRIM_400000_NS6detail17trampoline_kernelINS0_13select_configILj256ELj13ELNS0_17block_load_methodE3ELS4_3ELS4_3ELNS0_20block_scan_algorithmE0ELj4294967295EEENS1_25partition_config_selectorILNS1_17partition_subalgoE4EjNS0_10empty_typeEbEEZZNS1_14partition_implILS8_4ELb0ES6_15HIP_vector_typeIjLj2EENS0_17counting_iteratorIjlEEPS9_SG_NS0_5tupleIJPjSI_NS0_16reverse_iteratorISI_EEEEENSH_IJSG_SG_SG_EEES9_SI_JZNS1_25segmented_radix_sort_implINS0_14default_configELb0EPK6__halfPSP_PKlPlN2at6native12_GLOBAL__N_18offset_tEEE10hipError_tPvRmT1_PNSt15iterator_traitsIS13_E10value_typeET2_T3_PNS14_IS19_E10value_typeET4_jRbjT5_S1F_jjP12ihipStream_tbEUljE_ZNSN_ISO_Lb0ESR_SS_SU_SV_SZ_EES10_S11_S12_S13_S17_S18_S19_S1C_S1D_jS1E_jS1F_S1F_jjS1H_bEUljE0_EEES10_S11_S12_S19_S1D_S1F_T6_T7_T9_mT8_S1H_bDpT10_ENKUlT_T0_E_clISt17integral_constantIbLb0EES1U_IbLb1EEEEDaS1Q_S1R_EUlS1Q_E_NS1_11comp_targetILNS1_3genE4ELNS1_11target_archE910ELNS1_3gpuE8ELNS1_3repE0EEENS1_30default_config_static_selectorELNS0_4arch9wavefront6targetE1EEEvS13_: ; @_ZN7rocprim17ROCPRIM_400000_NS6detail17trampoline_kernelINS0_13select_configILj256ELj13ELNS0_17block_load_methodE3ELS4_3ELS4_3ELNS0_20block_scan_algorithmE0ELj4294967295EEENS1_25partition_config_selectorILNS1_17partition_subalgoE4EjNS0_10empty_typeEbEEZZNS1_14partition_implILS8_4ELb0ES6_15HIP_vector_typeIjLj2EENS0_17counting_iteratorIjlEEPS9_SG_NS0_5tupleIJPjSI_NS0_16reverse_iteratorISI_EEEEENSH_IJSG_SG_SG_EEES9_SI_JZNS1_25segmented_radix_sort_implINS0_14default_configELb0EPK6__halfPSP_PKlPlN2at6native12_GLOBAL__N_18offset_tEEE10hipError_tPvRmT1_PNSt15iterator_traitsIS13_E10value_typeET2_T3_PNS14_IS19_E10value_typeET4_jRbjT5_S1F_jjP12ihipStream_tbEUljE_ZNSN_ISO_Lb0ESR_SS_SU_SV_SZ_EES10_S11_S12_S13_S17_S18_S19_S1C_S1D_jS1E_jS1F_S1F_jjS1H_bEUljE0_EEES10_S11_S12_S19_S1D_S1F_T6_T7_T9_mT8_S1H_bDpT10_ENKUlT_T0_E_clISt17integral_constantIbLb0EES1U_IbLb1EEEEDaS1Q_S1R_EUlS1Q_E_NS1_11comp_targetILNS1_3genE4ELNS1_11target_archE910ELNS1_3gpuE8ELNS1_3repE0EEENS1_30default_config_static_selectorELNS0_4arch9wavefront6targetE1EEEvS13_
; %bb.0:
	s_load_dwordx2 s[48:49], s[4:5], 0x10
	s_load_dwordx4 s[44:47], s[4:5], 0x28
	s_load_dwordx2 s[34:35], s[4:5], 0x38
	s_load_dwordx4 s[28:31], s[4:5], 0x58
	s_load_dwordx2 s[2:3], s[4:5], 0x68
	s_load_dwordx2 s[50:51], s[4:5], 0x78
	;; [unrolled: 1-line block ×3, first 2 shown]
	s_load_dwordx8 s[36:43], s[4:5], 0x90
	v_cmp_eq_u32_e64 s[0:1], 0, v0
	s_and_saveexec_b64 s[6:7], s[0:1]
	s_cbranch_execz .LBB1802_4
; %bb.1:
	s_mov_b64 s[10:11], exec
	v_mbcnt_lo_u32_b32 v1, s10, 0
	v_mbcnt_hi_u32_b32 v1, s11, v1
	v_cmp_eq_u32_e32 vcc, 0, v1
                                        ; implicit-def: $vgpr2
	s_and_saveexec_b64 s[8:9], vcc
	s_cbranch_execz .LBB1802_3
; %bb.2:
	s_load_dwordx2 s[12:13], s[4:5], 0x88
	s_bcnt1_i32_b64 s10, s[10:11]
	v_mov_b32_e32 v2, 0
	v_mov_b32_e32 v3, s10
	s_waitcnt lgkmcnt(0)
	global_atomic_add v2, v2, v3, s[12:13] glc
.LBB1802_3:
	s_or_b64 exec, exec, s[8:9]
	s_waitcnt vmcnt(0)
	v_readfirstlane_b32 s8, v2
	v_add_u32_e32 v1, s8, v1
	v_mov_b32_e32 v2, 0
	ds_write_b32 v2, v1
.LBB1802_4:
	s_or_b64 exec, exec, s[6:7]
	v_mov_b32_e32 v1, 0
	s_load_dword s7, s[4:5], 0x8
	s_load_dword s6, s[4:5], 0x80
	s_waitcnt lgkmcnt(0)
	s_barrier
	ds_read_b32 v8, v1
	s_waitcnt lgkmcnt(0)
	s_barrier
	global_load_dwordx4 v[2:5], v1, s[30:31]
	v_mov_b32_e32 v7, s3
	s_movk_i32 s3, 0xd00
	s_add_i32 s8, s7, s48
	v_mul_lo_u32 v34, v8, s3
	s_add_i32 s7, s6, -1
	s_mul_i32 s3, s6, 0xd00
	s_add_u32 s4, s48, s3
	v_readfirstlane_b32 s33, v8
	s_addc_u32 s5, s49, 0
	s_cmp_eq_u32 s33, s7
	v_mov_b32_e32 v6, s2
	s_cselect_b64 s[30:31], -1, 0
	s_cmp_lg_u32 s33, s7
	v_cmp_lt_u64_e32 vcc, s[4:5], v[6:7]
	s_cselect_b64 s[4:5], -1, 0
	s_or_b64 s[4:5], vcc, s[4:5]
	v_add_u32_e32 v1, s8, v34
	s_mov_b64 s[6:7], -1
	s_and_b64 vcc, exec, s[4:5]
	v_add_u32_e32 v1, v1, v0
	s_cbranch_vccz .LBB1802_6
; %bb.5:
	v_add_u32_e32 v6, 0x100, v1
	v_lshlrev_b32_e32 v18, 2, v0
	v_add_u32_e32 v7, 0x200, v1
	v_add_u32_e32 v8, 0x300, v1
	v_add_u32_e32 v9, 0x400, v1
	v_add_u32_e32 v10, 0x500, v1
	v_add_u32_e32 v11, 0x600, v1
	v_add_u32_e32 v12, 0x700, v1
	v_add_u32_e32 v13, 0x800, v1
	v_add_u32_e32 v14, 0x900, v1
	v_add_u32_e32 v15, 0xa00, v1
	v_add_u32_e32 v16, 0xb00, v1
	v_add_u32_e32 v17, 0xc00, v1
	ds_write2st64_b32 v18, v1, v6 offset1:4
	ds_write2st64_b32 v18, v7, v8 offset0:8 offset1:12
	ds_write2st64_b32 v18, v9, v10 offset0:16 offset1:20
	;; [unrolled: 1-line block ×5, first 2 shown]
	ds_write_b32 v18, v17 offset:12288
	s_waitcnt lgkmcnt(0)
	s_barrier
	s_mov_b64 s[6:7], 0
.LBB1802_6:
	s_andn2_b64 vcc, exec, s[6:7]
	s_add_i32 s3, s3, s48
	s_cbranch_vccnz .LBB1802_8
; %bb.7:
	v_add_u32_e32 v6, 0x100, v1
	v_lshlrev_b32_e32 v18, 2, v0
	v_add_u32_e32 v7, 0x200, v1
	v_add_u32_e32 v8, 0x300, v1
	;; [unrolled: 1-line block ×11, first 2 shown]
	ds_write2st64_b32 v18, v1, v6 offset1:4
	ds_write2st64_b32 v18, v7, v8 offset0:8 offset1:12
	ds_write2st64_b32 v18, v9, v10 offset0:16 offset1:20
	;; [unrolled: 1-line block ×5, first 2 shown]
	ds_write_b32 v18, v17 offset:12288
	s_waitcnt lgkmcnt(0)
	s_barrier
.LBB1802_8:
	v_mul_u32_u24_e32 v36, 13, v0
	v_lshlrev_b32_e32 v1, 2, v36
	ds_read2_b32 v[22:23], v1 offset1:1
	ds_read2_b32 v[20:21], v1 offset0:2 offset1:3
	ds_read2_b32 v[18:19], v1 offset0:4 offset1:5
	;; [unrolled: 1-line block ×5, first 2 shown]
	ds_read_b32 v35, v1 offset:48
	v_cndmask_b32_e64 v1, 0, 1, s[4:5]
	s_sub_i32 s86, s2, s3
	v_cmp_ne_u32_e64 s[2:3], 1, v1
	s_andn2_b64 vcc, exec, s[4:5]
	s_waitcnt lgkmcnt(0)
	s_barrier
	s_cbranch_vccnz .LBB1802_36
; %bb.9:
	v_add_u32_e32 v1, s37, v22
	v_add_u32_e32 v6, s39, v22
	v_mul_lo_u32 v1, v1, s36
	v_mul_lo_u32 v6, v6, s38
	v_sub_u32_e32 v1, v1, v6
	v_cmp_lt_u32_e32 vcc, s40, v1
	v_cmp_ge_u32_e64 s[4:5], s40, v1
	s_mov_b64 s[60:61], 0
	s_mov_b64 s[58:59], 0
	s_and_saveexec_b64 s[6:7], s[4:5]
; %bb.10:
	v_add_u32_e32 v1, s42, v22
	v_add_u32_e32 v6, s56, v22
	v_mul_lo_u32 v1, v1, s41
	v_mul_lo_u32 v6, v6, s43
	v_sub_u32_e32 v1, v1, v6
	v_cmp_lt_u32_e64 s[4:5], s57, v1
	s_and_b64 s[58:59], s[4:5], exec
; %bb.11:
	s_or_b64 exec, exec, s[6:7]
	v_add_u32_e32 v1, s37, v23
	v_add_u32_e32 v6, s39, v23
	v_mul_lo_u32 v1, v1, s36
	v_mul_lo_u32 v6, v6, s38
	v_sub_u32_e32 v1, v1, v6
	v_cmp_lt_u32_e64 s[4:5], s40, v1
	v_cmp_ge_u32_e64 s[6:7], s40, v1
	s_and_saveexec_b64 s[8:9], s[6:7]
; %bb.12:
	v_add_u32_e32 v1, s42, v23
	v_add_u32_e32 v6, s56, v23
	v_mul_lo_u32 v1, v1, s41
	v_mul_lo_u32 v6, v6, s43
	v_sub_u32_e32 v1, v1, v6
	v_cmp_lt_u32_e64 s[6:7], s57, v1
	s_and_b64 s[60:61], s[6:7], exec
; %bb.13:
	s_or_b64 exec, exec, s[8:9]
	v_add_u32_e32 v1, s37, v20
	v_add_u32_e32 v6, s39, v20
	v_mul_lo_u32 v1, v1, s36
	v_mul_lo_u32 v6, v6, s38
	v_sub_u32_e32 v1, v1, v6
	v_cmp_lt_u32_e64 s[6:7], s40, v1
	v_cmp_ge_u32_e64 s[8:9], s40, v1
	s_mov_b64 s[64:65], 0
	s_mov_b64 s[62:63], 0
	s_and_saveexec_b64 s[10:11], s[8:9]
; %bb.14:
	v_add_u32_e32 v1, s42, v20
	v_add_u32_e32 v6, s56, v20
	v_mul_lo_u32 v1, v1, s41
	v_mul_lo_u32 v6, v6, s43
	v_sub_u32_e32 v1, v1, v6
	v_cmp_lt_u32_e64 s[8:9], s57, v1
	s_and_b64 s[62:63], s[8:9], exec
; %bb.15:
	s_or_b64 exec, exec, s[10:11]
	v_add_u32_e32 v1, s37, v21
	v_add_u32_e32 v6, s39, v21
	v_mul_lo_u32 v1, v1, s36
	v_mul_lo_u32 v6, v6, s38
	v_sub_u32_e32 v1, v1, v6
	v_cmp_lt_u32_e64 s[8:9], s40, v1
	v_cmp_ge_u32_e64 s[10:11], s40, v1
	s_and_saveexec_b64 s[12:13], s[10:11]
; %bb.16:
	v_add_u32_e32 v1, s42, v21
	v_add_u32_e32 v6, s56, v21
	v_mul_lo_u32 v1, v1, s41
	v_mul_lo_u32 v6, v6, s43
	v_sub_u32_e32 v1, v1, v6
	v_cmp_lt_u32_e64 s[10:11], s57, v1
	s_and_b64 s[64:65], s[10:11], exec
; %bb.17:
	s_or_b64 exec, exec, s[12:13]
	v_add_u32_e32 v1, s37, v18
	v_add_u32_e32 v6, s39, v18
	v_mul_lo_u32 v1, v1, s36
	v_mul_lo_u32 v6, v6, s38
	v_sub_u32_e32 v1, v1, v6
	v_cmp_lt_u32_e64 s[10:11], s40, v1
	;; [unrolled: 38-line block ×5, first 2 shown]
	v_cmp_ge_u32_e64 s[24:25], s40, v1
	s_mov_b64 s[80:81], 0
	s_mov_b64 s[82:83], 0
	s_and_saveexec_b64 s[26:27], s[24:25]
; %bb.30:
	v_add_u32_e32 v1, s42, v12
	v_add_u32_e32 v6, s56, v12
	v_mul_lo_u32 v1, v1, s41
	v_mul_lo_u32 v6, v6, s43
	v_sub_u32_e32 v1, v1, v6
	v_cmp_lt_u32_e64 s[24:25], s57, v1
	s_and_b64 s[82:83], s[24:25], exec
; %bb.31:
	s_or_b64 exec, exec, s[26:27]
	v_add_u32_e32 v1, s37, v13
	v_add_u32_e32 v6, s39, v13
	v_mul_lo_u32 v1, v1, s36
	v_mul_lo_u32 v6, v6, s38
	v_sub_u32_e32 v1, v1, v6
	v_cmp_lt_u32_e64 s[24:25], s40, v1
	v_cmp_ge_u32_e64 s[26:27], s40, v1
	s_and_saveexec_b64 s[52:53], s[26:27]
; %bb.32:
	v_add_u32_e32 v1, s42, v13
	v_add_u32_e32 v6, s56, v13
	v_mul_lo_u32 v1, v1, s41
	v_mul_lo_u32 v6, v6, s43
	v_sub_u32_e32 v1, v1, v6
	v_cmp_lt_u32_e64 s[26:27], s57, v1
	s_and_b64 s[80:81], s[26:27], exec
; %bb.33:
	s_or_b64 exec, exec, s[52:53]
	v_add_u32_e32 v1, s37, v35
	v_add_u32_e32 v6, s39, v35
	v_mul_lo_u32 v1, v1, s36
	v_mul_lo_u32 v6, v6, s38
	v_sub_u32_e32 v1, v1, v6
	v_cmp_ge_u32_e64 s[26:27], s40, v1
	s_mov_b64 s[52:53], -1
	s_mov_b64 s[74:75], 0
	s_mov_b64 s[54:55], 0
	s_and_saveexec_b64 s[84:85], s[26:27]
; %bb.34:
	v_add_u32_e32 v1, s42, v35
	v_add_u32_e32 v6, s56, v35
	v_mul_lo_u32 v1, v1, s41
	v_mul_lo_u32 v6, v6, s43
	v_sub_u32_e32 v1, v1, v6
	v_cmp_lt_u32_e64 s[26:27], s57, v1
	s_and_b64 s[54:55], s[26:27], exec
	s_xor_b64 s[52:53], exec, -1
; %bb.35:
	s_or_b64 exec, exec, s[84:85]
	v_cndmask_b32_e64 v57, 0, 1, s[82:83]
	v_cndmask_b32_e64 v60, 0, 1, s[24:25]
	;; [unrolled: 1-line block ×22, first 2 shown]
	v_cndmask_b32_e64 v37, 0, 1, vcc
	v_cndmask_b32_e64 v59, 0, 1, s[80:81]
	s_add_i32 s16, s86, 0xd00
	s_and_b64 vcc, exec, s[74:75]
	s_cbranch_vccnz .LBB1802_37
	s_branch .LBB1802_90
.LBB1802_36:
                                        ; implicit-def: $sgpr52_sgpr53
                                        ; implicit-def: $sgpr54_sgpr55
                                        ; implicit-def: $vgpr59
                                        ; implicit-def: $vgpr57
                                        ; implicit-def: $vgpr55
                                        ; implicit-def: $vgpr53
                                        ; implicit-def: $vgpr51
                                        ; implicit-def: $vgpr49
                                        ; implicit-def: $vgpr47
                                        ; implicit-def: $vgpr45
                                        ; implicit-def: $vgpr43
                                        ; implicit-def: $vgpr37
                                        ; implicit-def: $vgpr39
                                        ; implicit-def: $vgpr41
                                        ; implicit-def: $vgpr44
                                        ; implicit-def: $vgpr46
                                        ; implicit-def: $vgpr48
                                        ; implicit-def: $vgpr50
                                        ; implicit-def: $vgpr52
                                        ; implicit-def: $vgpr54
                                        ; implicit-def: $vgpr56
                                        ; implicit-def: $vgpr58
                                        ; implicit-def: $vgpr60
                                        ; implicit-def: $vgpr38
                                        ; implicit-def: $vgpr40
                                        ; implicit-def: $vgpr42
	s_add_i32 s16, s86, 0xd00
	s_cbranch_execz .LBB1802_90
.LBB1802_37:
	v_cmp_gt_u32_e32 vcc, s16, v36
	v_mov_b32_e32 v38, 0
	v_mov_b32_e32 v37, 0
	s_and_saveexec_b64 s[6:7], vcc
	s_cbranch_execz .LBB1802_41
; %bb.38:
	v_add_u32_e32 v1, s37, v22
	v_add_u32_e32 v6, s39, v22
	v_mul_lo_u32 v1, v1, s36
	v_mul_lo_u32 v6, v6, s38
	v_sub_u32_e32 v1, v1, v6
	v_cmp_lt_u32_e32 vcc, s40, v1
	v_cmp_ge_u32_e64 s[4:5], s40, v1
	s_mov_b64 s[10:11], 0
	s_and_saveexec_b64 s[8:9], s[4:5]
; %bb.39:
	v_add_u32_e32 v1, s42, v22
	v_add_u32_e32 v6, s56, v22
	v_mul_lo_u32 v1, v1, s41
	v_mul_lo_u32 v6, v6, s43
	v_sub_u32_e32 v1, v1, v6
	v_cmp_lt_u32_e64 s[4:5], s57, v1
	s_and_b64 s[10:11], s[4:5], exec
; %bb.40:
	s_or_b64 exec, exec, s[8:9]
	v_cndmask_b32_e64 v37, 0, 1, vcc
	v_cndmask_b32_e64 v38, 0, 1, s[10:11]
.LBB1802_41:
	s_or_b64 exec, exec, s[6:7]
	v_add_u32_e32 v1, 1, v36
	v_cmp_gt_u32_e32 vcc, s16, v1
	v_mov_b32_e32 v39, 0
	v_mov_b32_e32 v40, 0
	s_and_saveexec_b64 s[6:7], vcc
	s_cbranch_execz .LBB1802_45
; %bb.42:
	v_add_u32_e32 v1, s37, v23
	v_add_u32_e32 v6, s39, v23
	v_mul_lo_u32 v1, v1, s36
	v_mul_lo_u32 v6, v6, s38
	v_sub_u32_e32 v1, v1, v6
	v_cmp_lt_u32_e32 vcc, s40, v1
	v_cmp_ge_u32_e64 s[4:5], s40, v1
	s_mov_b64 s[10:11], 0
	s_and_saveexec_b64 s[8:9], s[4:5]
; %bb.43:
	v_add_u32_e32 v1, s42, v23
	v_add_u32_e32 v6, s56, v23
	v_mul_lo_u32 v1, v1, s41
	v_mul_lo_u32 v6, v6, s43
	v_sub_u32_e32 v1, v1, v6
	v_cmp_lt_u32_e64 s[4:5], s57, v1
	s_and_b64 s[10:11], s[4:5], exec
; %bb.44:
	s_or_b64 exec, exec, s[8:9]
	v_cndmask_b32_e64 v39, 0, 1, vcc
	v_cndmask_b32_e64 v40, 0, 1, s[10:11]
.LBB1802_45:
	s_or_b64 exec, exec, s[6:7]
	v_add_u32_e32 v1, 2, v36
	;; [unrolled: 30-line block ×12, first 2 shown]
	v_cmp_gt_u32_e32 vcc, s16, v1
	s_mov_b64 s[52:53], 0
	s_mov_b64 s[54:55], 0
	s_and_saveexec_b64 s[4:5], vcc
	s_cbranch_execz .LBB1802_89
; %bb.86:
	v_add_u32_e32 v1, s37, v35
	v_add_u32_e32 v6, s39, v35
	v_mul_lo_u32 v1, v1, s36
	v_mul_lo_u32 v6, v6, s38
	v_sub_u32_e32 v1, v1, v6
	v_cmp_ge_u32_e32 vcc, s40, v1
	s_mov_b64 s[8:9], -1
	s_mov_b64 s[10:11], 0
	s_and_saveexec_b64 s[6:7], vcc
; %bb.87:
	v_add_u32_e32 v1, s42, v35
	v_add_u32_e32 v6, s56, v35
	v_mul_lo_u32 v1, v1, s41
	v_mul_lo_u32 v6, v6, s43
	v_sub_u32_e32 v1, v1, v6
	v_cmp_lt_u32_e32 vcc, s57, v1
	s_and_b64 s[10:11], vcc, exec
	s_xor_b64 s[8:9], exec, -1
; %bb.88:
	s_or_b64 exec, exec, s[6:7]
	s_and_b64 s[54:55], s[10:11], exec
	s_and_b64 s[52:53], s[8:9], exec
.LBB1802_89:
	s_or_b64 exec, exec, s[4:5]
.LBB1802_90:
	v_and_b32_e32 v68, 0xff, v38
	v_and_b32_e32 v79, 0xff, v40
	;; [unrolled: 1-line block ×5, first 2 shown]
	v_add3_u32 v6, v79, v70, v68
	v_and_b32_e32 v81, 0xff, v47
	v_and_b32_e32 v74, 0xff, v49
	v_add3_u32 v6, v6, v80, v72
	v_and_b32_e32 v67, 0xff, v37
	v_and_b32_e32 v61, 0xff, v39
	;; [unrolled: 1-line block ×5, first 2 shown]
	v_add3_u32 v6, v6, v81, v74
	v_and_b32_e32 v62, 0xff, v44
	v_and_b32_e32 v71, 0xff, v46
	v_and_b32_e32 v83, 0xff, v55
	v_and_b32_e32 v78, 0xff, v57
	v_add3_u32 v7, v61, v69, v67
	v_add3_u32 v6, v6, v82, v76
	v_and_b32_e32 v63, 0xff, v48
	v_and_b32_e32 v73, 0xff, v50
	;; [unrolled: 1-line block ×3, first 2 shown]
	v_cndmask_b32_e64 v1, 0, 1, s[54:55]
	v_add3_u32 v7, v7, v62, v71
	v_add3_u32 v6, v6, v83, v78
	v_and_b32_e32 v64, 0xff, v52
	v_and_b32_e32 v75, 0xff, v54
	v_add3_u32 v7, v7, v63, v73
	v_add3_u32 v91, v6, v84, v1
	v_mbcnt_lo_u32_b32 v1, -1, 0
	v_and_b32_e32 v65, 0xff, v56
	v_and_b32_e32 v77, 0xff, v58
	v_add3_u32 v7, v7, v64, v75
	v_mbcnt_hi_u32_b32 v85, -1, v1
	v_and_b32_e32 v66, 0xff, v60
	v_add3_u32 v7, v7, v65, v77
	v_cndmask_b32_e64 v8, 0, 1, s[52:53]
	v_and_b32_e32 v89, 15, v85
	s_cmp_lg_u32 s33, 0
	v_add3_u32 v90, v7, v66, v8
	v_cmp_eq_u32_e64 s[6:7], 0, v89
	v_cmp_lt_u32_e64 s[4:5], 1, v89
	v_cmp_lt_u32_e64 s[10:11], 3, v89
	;; [unrolled: 1-line block ×3, first 2 shown]
	v_and_b32_e32 v88, 16, v85
	v_cmp_lt_u32_e32 vcc, 31, v85
	v_lshrrev_b32_e32 v86, 6, v0
	v_or_b32_e32 v87, 63, v0
	s_cbranch_scc0 .LBB1802_119
; %bb.91:
	v_mov_b32_dpp v1, v90 row_shr:1 row_mask:0xf bank_mask:0xf
	v_mov_b32_dpp v6, v91 row_shr:1 row_mask:0xf bank_mask:0xf
	v_add_u32_e32 v1, v1, v90
	v_add_u32_e32 v6, v6, v91
	v_cndmask_b32_e64 v6, v6, v91, s[6:7]
	v_cndmask_b32_e64 v1, v1, v90, s[6:7]
	s_nop 0
	v_mov_b32_dpp v8, v6 row_shr:2 row_mask:0xf bank_mask:0xf
	v_mov_b32_dpp v7, v1 row_shr:2 row_mask:0xf bank_mask:0xf
	v_add_u32_e32 v7, v1, v7
	v_add_u32_e32 v8, v6, v8
	v_cndmask_b32_e64 v6, v6, v8, s[4:5]
	v_cndmask_b32_e64 v1, v1, v7, s[4:5]
	s_nop 0
	;; [unrolled: 7-line block ×3, first 2 shown]
	v_mov_b32_dpp v8, v6 row_shr:8 row_mask:0xf bank_mask:0xf
	v_mov_b32_dpp v7, v1 row_shr:8 row_mask:0xf bank_mask:0xf
	v_add_u32_e32 v7, v1, v7
	v_add_u32_e32 v8, v6, v8
	v_cndmask_b32_e64 v6, v6, v8, s[8:9]
	v_cndmask_b32_e64 v1, v1, v7, s[8:9]
	v_cmp_eq_u32_e64 s[8:9], 0, v88
	v_mov_b32_dpp v8, v6 row_bcast:15 row_mask:0xf bank_mask:0xf
	v_mov_b32_dpp v7, v1 row_bcast:15 row_mask:0xf bank_mask:0xf
	v_add_u32_e32 v7, v1, v7
	v_add_u32_e32 v8, v6, v8
	v_cndmask_b32_e64 v6, v8, v6, s[8:9]
	v_cndmask_b32_e64 v1, v7, v1, s[8:9]
	s_nop 0
	v_mov_b32_dpp v8, v6 row_bcast:31 row_mask:0xf bank_mask:0xf
	v_mov_b32_dpp v7, v1 row_bcast:31 row_mask:0xf bank_mask:0xf
	v_add_u32_e32 v8, v6, v8
	v_add_u32_e32 v9, v1, v7
	v_cndmask_b32_e32 v7, v6, v8, vcc
	v_cndmask_b32_e32 v6, v1, v9, vcc
	v_cmp_eq_u32_e32 vcc, v87, v0
	s_and_saveexec_b64 s[8:9], vcc
	s_cbranch_execz .LBB1802_93
; %bb.92:
	v_lshlrev_b32_e32 v1, 3, v86
	ds_write_b64 v1, v[6:7]
.LBB1802_93:
	s_or_b64 exec, exec, s[8:9]
	v_cmp_gt_u32_e32 vcc, 4, v0
	s_waitcnt lgkmcnt(0)
	s_barrier
	s_and_saveexec_b64 s[8:9], vcc
	s_cbranch_execz .LBB1802_95
; %bb.94:
	v_lshlrev_b32_e32 v1, 3, v0
	ds_read_b64 v[8:9], v1
	v_and_b32_e32 v10, 3, v85
	v_cmp_eq_u32_e32 vcc, 0, v10
	s_waitcnt lgkmcnt(0)
	v_mov_b32_dpp v11, v8 row_shr:1 row_mask:0xf bank_mask:0xf
	v_mov_b32_dpp v24, v9 row_shr:1 row_mask:0xf bank_mask:0xf
	v_add_u32_e32 v11, v11, v8
	v_add_u32_e32 v24, v24, v9
	v_cndmask_b32_e32 v9, v24, v9, vcc
	v_cndmask_b32_e32 v8, v11, v8, vcc
	v_cmp_lt_u32_e32 vcc, 1, v10
	v_mov_b32_dpp v24, v9 row_shr:2 row_mask:0xf bank_mask:0xf
	v_mov_b32_dpp v11, v8 row_shr:2 row_mask:0xf bank_mask:0xf
	v_cndmask_b32_e32 v10, 0, v11, vcc
	v_cndmask_b32_e32 v11, 0, v24, vcc
	v_add_u32_e32 v9, v11, v9
	v_add_u32_e32 v8, v10, v8
	ds_write_b64 v1, v[8:9]
.LBB1802_95:
	s_or_b64 exec, exec, s[8:9]
	v_cmp_gt_u32_e32 vcc, 64, v0
	v_cmp_lt_u32_e64 s[8:9], 63, v0
	s_waitcnt lgkmcnt(0)
	s_barrier
	s_waitcnt lgkmcnt(0)
                                        ; implicit-def: $vgpr25
	s_and_saveexec_b64 s[10:11], s[8:9]
	s_xor_b64 s[8:9], exec, s[10:11]
	s_cbranch_execz .LBB1802_97
; %bb.96:
	v_lshl_add_u32 v1, v86, 3, -8
	ds_read_b64 v[24:25], v1
	s_waitcnt lgkmcnt(0)
	v_add_u32_e32 v7, v25, v7
	v_add_u32_e32 v6, v24, v6
.LBB1802_97:
	s_andn2_saveexec_b64 s[8:9], s[8:9]
; %bb.98:
                                        ; implicit-def: $vgpr24
; %bb.99:
	s_or_b64 exec, exec, s[8:9]
	v_add_u32_e32 v1, -1, v85
	v_and_b32_e32 v8, 64, v85
	v_cmp_lt_i32_e64 s[8:9], v1, v8
	v_cndmask_b32_e64 v1, v1, v85, s[8:9]
	v_lshlrev_b32_e32 v8, 2, v1
	ds_bpermute_b32 v1, v8, v6
	ds_bpermute_b32 v92, v8, v7
	v_cmp_eq_u32_e64 s[8:9], 0, v85
	s_and_saveexec_b64 s[10:11], vcc
	s_cbranch_execz .LBB1802_118
; %bb.100:
	v_mov_b32_e32 v11, 0
	ds_read_b64 v[26:27], v11 offset:24
	s_and_saveexec_b64 s[12:13], s[8:9]
	s_cbranch_execz .LBB1802_102
; %bb.101:
	s_add_i32 s14, s33, 64
	s_mov_b32 s15, 0
	s_lshl_b64 s[14:15], s[14:15], 4
	s_waitcnt lgkmcnt(0)
	v_and_b32_e32 v6, 0xff000000, v27
	v_and_b32_e32 v7, 0xff0000, v27
	s_add_u32 s14, s50, s14
	v_or_b32_e32 v6, v7, v6
	v_and_b32_e32 v7, 0xff00, v27
	s_addc_u32 s15, s51, s15
	v_or_b32_e32 v6, v6, v7
	v_or_b32_sdwa v9, v6, v27 dst_sel:DWORD dst_unused:UNUSED_PAD src0_sel:DWORD src1_sel:BYTE_0
	v_mov_b32_e32 v10, 1
	v_mov_b32_e32 v8, v26
	v_pk_mov_b32 v[6:7], s[14:15], s[14:15] op_sel:[0,1]
	;;#ASMSTART
	global_store_dwordx4 v[6:7], v[8:11] off	
s_waitcnt vmcnt(0)
	;;#ASMEND
.LBB1802_102:
	s_or_b64 exec, exec, s[12:13]
	v_xad_u32 v28, v85, -1, s33
	v_add_u32_e32 v10, 64, v28
	v_lshlrev_b64 v[6:7], 4, v[10:11]
	v_mov_b32_e32 v8, s51
	v_add_co_u32_e32 v30, vcc, s50, v6
	v_addc_co_u32_e32 v31, vcc, v8, v7, vcc
	;;#ASMSTART
	global_load_dwordx4 v[6:9], v[30:31] off glc	
s_waitcnt vmcnt(0)
	;;#ASMEND
	v_and_b32_e32 v9, 0xff, v7
	v_and_b32_e32 v10, 0xff00, v7
	v_or3_b32 v9, 0, v9, v10
	v_or3_b32 v6, v6, 0, 0
	v_and_b32_e32 v10, 0xff000000, v7
	v_and_b32_e32 v7, 0xff0000, v7
	v_or3_b32 v7, v9, v7, v10
	v_or3_b32 v6, v6, 0, 0
	v_cmp_eq_u16_sdwa s[14:15], v8, v11 src0_sel:BYTE_0 src1_sel:DWORD
	s_and_saveexec_b64 s[12:13], s[14:15]
	s_cbranch_execz .LBB1802_106
; %bb.103:
	s_mov_b64 s[14:15], 0
	v_mov_b32_e32 v10, 0
.LBB1802_104:                           ; =>This Inner Loop Header: Depth=1
	;;#ASMSTART
	global_load_dwordx4 v[6:9], v[30:31] off glc	
s_waitcnt vmcnt(0)
	;;#ASMEND
	v_cmp_ne_u16_sdwa s[18:19], v8, v10 src0_sel:BYTE_0 src1_sel:DWORD
	s_or_b64 s[14:15], s[18:19], s[14:15]
	s_andn2_b64 exec, exec, s[14:15]
	s_cbranch_execnz .LBB1802_104
; %bb.105:
	s_or_b64 exec, exec, s[14:15]
.LBB1802_106:
	s_or_b64 exec, exec, s[12:13]
	v_and_b32_e32 v94, 63, v85
	v_cmp_ne_u32_e32 vcc, 63, v94
	v_mov_b32_e32 v93, 2
	v_addc_co_u32_e32 v30, vcc, 0, v85, vcc
	v_cmp_eq_u16_sdwa s[12:13], v8, v93 src0_sel:BYTE_0 src1_sel:DWORD
	v_lshlrev_b64 v[10:11], v85, -1
	v_lshlrev_b32_e32 v95, 2, v30
	v_and_b32_e32 v9, s13, v11
	ds_bpermute_b32 v30, v95, v6
	ds_bpermute_b32 v31, v95, v7
	v_or_b32_e32 v9, 0x80000000, v9
	v_and_b32_e32 v29, s12, v10
	v_ffbl_b32_e32 v9, v9
	v_add_u32_e32 v9, 32, v9
	v_ffbl_b32_e32 v29, v29
	v_min_u32_e32 v9, v29, v9
	s_waitcnt lgkmcnt(1)
	v_add_u32_e32 v29, v30, v6
	s_waitcnt lgkmcnt(0)
	v_add_u32_e32 v30, v31, v7
	v_cmp_lt_u32_e32 vcc, v94, v9
	v_cndmask_b32_e32 v7, v7, v30, vcc
	v_cndmask_b32_e32 v6, v6, v29, vcc
	v_cmp_gt_u32_e32 vcc, 62, v94
	v_cndmask_b32_e64 v29, 0, 1, vcc
	v_lshlrev_b32_e32 v29, 1, v29
	v_add_lshl_u32 v96, v29, v85, 2
	ds_bpermute_b32 v29, v96, v6
	ds_bpermute_b32 v30, v96, v7
	v_add_u32_e32 v97, 2, v94
	v_cmp_gt_u32_e32 vcc, v97, v9
	v_add_u32_e32 v99, 4, v94
	s_waitcnt lgkmcnt(1)
	v_add_u32_e32 v29, v6, v29
	s_waitcnt lgkmcnt(0)
	v_add_u32_e32 v30, v7, v30
	v_cndmask_b32_e32 v7, v30, v7, vcc
	v_cndmask_b32_e32 v6, v29, v6, vcc
	v_cmp_gt_u32_e32 vcc, 60, v94
	v_cndmask_b32_e64 v29, 0, 1, vcc
	v_lshlrev_b32_e32 v29, 2, v29
	v_add_lshl_u32 v98, v29, v85, 2
	ds_bpermute_b32 v29, v98, v6
	ds_bpermute_b32 v30, v98, v7
	v_cmp_gt_u32_e32 vcc, v99, v9
	v_add_u32_e32 v101, 8, v94
	v_add_u32_e32 v103, 16, v94
	s_waitcnt lgkmcnt(1)
	v_add_u32_e32 v29, v6, v29
	s_waitcnt lgkmcnt(0)
	v_add_u32_e32 v30, v7, v30
	v_cndmask_b32_e32 v7, v30, v7, vcc
	v_cndmask_b32_e32 v6, v29, v6, vcc
	v_cmp_gt_u32_e32 vcc, 56, v94
	v_cndmask_b32_e64 v29, 0, 1, vcc
	v_lshlrev_b32_e32 v29, 3, v29
	v_add_lshl_u32 v100, v29, v85, 2
	ds_bpermute_b32 v29, v100, v6
	ds_bpermute_b32 v30, v100, v7
	v_cmp_gt_u32_e32 vcc, v101, v9
	v_add_u32_e32 v105, 32, v94
	s_waitcnt lgkmcnt(1)
	v_add_u32_e32 v29, v6, v29
	s_waitcnt lgkmcnt(0)
	v_add_u32_e32 v30, v7, v30
	v_cndmask_b32_e32 v7, v30, v7, vcc
	v_cndmask_b32_e32 v6, v29, v6, vcc
	v_cmp_gt_u32_e32 vcc, 48, v94
	v_cndmask_b32_e64 v29, 0, 1, vcc
	v_lshlrev_b32_e32 v29, 4, v29
	v_add_lshl_u32 v102, v29, v85, 2
	ds_bpermute_b32 v29, v102, v6
	ds_bpermute_b32 v30, v102, v7
	v_cmp_gt_u32_e32 vcc, v103, v9
	s_waitcnt lgkmcnt(1)
	v_add_u32_e32 v29, v6, v29
	s_waitcnt lgkmcnt(0)
	v_add_u32_e32 v30, v7, v30
	v_cndmask_b32_e32 v7, v30, v7, vcc
	v_cndmask_b32_e32 v6, v29, v6, vcc
	v_cmp_gt_u32_e32 vcc, 32, v94
	v_cndmask_b32_e64 v29, 0, 1, vcc
	v_lshlrev_b32_e32 v29, 5, v29
	v_add_lshl_u32 v104, v29, v85, 2
	ds_bpermute_b32 v29, v104, v6
	ds_bpermute_b32 v30, v104, v7
	v_cmp_le_u32_e32 vcc, v105, v9
	s_waitcnt lgkmcnt(1)
	v_cndmask_b32_e32 v9, 0, v29, vcc
	s_waitcnt lgkmcnt(0)
	v_cndmask_b32_e32 v29, 0, v30, vcc
	v_add_u32_e32 v7, v7, v29
	v_add_u32_e32 v6, v6, v9
	v_mov_b32_e32 v29, 0
	s_branch .LBB1802_108
.LBB1802_107:                           ;   in Loop: Header=BB1802_108 Depth=1
	s_or_b64 exec, exec, s[12:13]
	v_cmp_eq_u16_sdwa s[12:13], v8, v93 src0_sel:BYTE_0 src1_sel:DWORD
	v_and_b32_e32 v9, s13, v11
	ds_bpermute_b32 v33, v95, v6
	ds_bpermute_b32 v106, v95, v7
	v_or_b32_e32 v9, 0x80000000, v9
	v_and_b32_e32 v32, s12, v10
	v_ffbl_b32_e32 v9, v9
	v_add_u32_e32 v9, 32, v9
	v_ffbl_b32_e32 v32, v32
	v_min_u32_e32 v9, v32, v9
	s_waitcnt lgkmcnt(1)
	v_add_u32_e32 v32, v33, v6
	s_waitcnt lgkmcnt(0)
	v_add_u32_e32 v33, v106, v7
	v_cmp_lt_u32_e32 vcc, v94, v9
	v_cndmask_b32_e32 v7, v7, v33, vcc
	v_cndmask_b32_e32 v6, v6, v32, vcc
	ds_bpermute_b32 v32, v96, v6
	ds_bpermute_b32 v33, v96, v7
	v_cmp_gt_u32_e32 vcc, v97, v9
	v_subrev_u32_e32 v28, 64, v28
	s_waitcnt lgkmcnt(1)
	v_add_u32_e32 v32, v6, v32
	s_waitcnt lgkmcnt(0)
	v_add_u32_e32 v33, v7, v33
	v_cndmask_b32_e32 v7, v33, v7, vcc
	v_cndmask_b32_e32 v6, v32, v6, vcc
	ds_bpermute_b32 v32, v98, v6
	ds_bpermute_b32 v33, v98, v7
	v_cmp_gt_u32_e32 vcc, v99, v9
	s_waitcnt lgkmcnt(1)
	v_add_u32_e32 v32, v6, v32
	s_waitcnt lgkmcnt(0)
	v_add_u32_e32 v33, v7, v33
	v_cndmask_b32_e32 v7, v33, v7, vcc
	v_cndmask_b32_e32 v6, v32, v6, vcc
	ds_bpermute_b32 v32, v100, v6
	ds_bpermute_b32 v33, v100, v7
	v_cmp_gt_u32_e32 vcc, v101, v9
	;; [unrolled: 9-line block ×3, first 2 shown]
	s_waitcnt lgkmcnt(1)
	v_add_u32_e32 v32, v6, v32
	s_waitcnt lgkmcnt(0)
	v_add_u32_e32 v33, v7, v33
	v_cndmask_b32_e32 v7, v33, v7, vcc
	v_cndmask_b32_e32 v6, v32, v6, vcc
	ds_bpermute_b32 v32, v104, v6
	ds_bpermute_b32 v33, v104, v7
	v_cmp_le_u32_e32 vcc, v105, v9
	s_waitcnt lgkmcnt(1)
	v_cndmask_b32_e32 v9, 0, v32, vcc
	s_waitcnt lgkmcnt(0)
	v_cndmask_b32_e32 v32, 0, v33, vcc
	v_add3_u32 v7, v32, v31, v7
	v_add3_u32 v6, v9, v30, v6
.LBB1802_108:                           ; =>This Loop Header: Depth=1
                                        ;     Child Loop BB1802_111 Depth 2
	v_cmp_ne_u16_sdwa s[12:13], v8, v93 src0_sel:BYTE_0 src1_sel:DWORD
	v_cndmask_b32_e64 v8, 0, 1, s[12:13]
	;;#ASMSTART
	;;#ASMEND
	v_cmp_ne_u32_e32 vcc, 0, v8
	s_cmp_lg_u64 vcc, exec
	v_pk_mov_b32 v[30:31], v[6:7], v[6:7] op_sel:[0,1]
	s_cbranch_scc1 .LBB1802_113
; %bb.109:                              ;   in Loop: Header=BB1802_108 Depth=1
	v_lshlrev_b64 v[6:7], 4, v[28:29]
	v_mov_b32_e32 v8, s51
	v_add_co_u32_e32 v32, vcc, s50, v6
	v_addc_co_u32_e32 v33, vcc, v8, v7, vcc
	;;#ASMSTART
	global_load_dwordx4 v[6:9], v[32:33] off glc	
s_waitcnt vmcnt(0)
	;;#ASMEND
	v_and_b32_e32 v9, 0xff, v7
	v_and_b32_e32 v106, 0xff00, v7
	v_or3_b32 v9, 0, v9, v106
	v_or3_b32 v6, v6, 0, 0
	v_and_b32_e32 v106, 0xff000000, v7
	v_and_b32_e32 v7, 0xff0000, v7
	v_or3_b32 v7, v9, v7, v106
	v_or3_b32 v6, v6, 0, 0
	v_cmp_eq_u16_sdwa s[14:15], v8, v29 src0_sel:BYTE_0 src1_sel:DWORD
	s_and_saveexec_b64 s[12:13], s[14:15]
	s_cbranch_execz .LBB1802_107
; %bb.110:                              ;   in Loop: Header=BB1802_108 Depth=1
	s_mov_b64 s[14:15], 0
.LBB1802_111:                           ;   Parent Loop BB1802_108 Depth=1
                                        ; =>  This Inner Loop Header: Depth=2
	;;#ASMSTART
	global_load_dwordx4 v[6:9], v[32:33] off glc	
s_waitcnt vmcnt(0)
	;;#ASMEND
	v_cmp_ne_u16_sdwa s[18:19], v8, v29 src0_sel:BYTE_0 src1_sel:DWORD
	s_or_b64 s[14:15], s[18:19], s[14:15]
	s_andn2_b64 exec, exec, s[14:15]
	s_cbranch_execnz .LBB1802_111
; %bb.112:                              ;   in Loop: Header=BB1802_108 Depth=1
	s_or_b64 exec, exec, s[14:15]
	s_branch .LBB1802_107
.LBB1802_113:                           ;   in Loop: Header=BB1802_108 Depth=1
                                        ; implicit-def: $vgpr8
                                        ; implicit-def: $vgpr6_vgpr7
	s_cbranch_execz .LBB1802_108
; %bb.114:
	s_and_saveexec_b64 s[12:13], s[8:9]
	s_cbranch_execz .LBB1802_116
; %bb.115:
	s_add_i32 s14, s33, 64
	s_mov_b32 s15, 0
	v_add_u32_e32 v7, v31, v27
	s_lshl_b64 s[14:15], s[14:15], 4
	s_add_u32 s14, s50, s14
	v_and_b32_e32 v8, 0xff000000, v7
	v_and_b32_e32 v10, 0xff0000, v7
	s_addc_u32 s15, s51, s15
	v_or_b32_e32 v8, v10, v8
	v_and_b32_e32 v10, 0xff00, v7
	v_and_b32_e32 v7, 0xff, v7
	v_add_u32_e32 v6, v30, v26
	v_mov_b32_e32 v9, 0
	v_or3_b32 v7, v8, v10, v7
	v_mov_b32_e32 v8, 2
	v_pk_mov_b32 v[10:11], s[14:15], s[14:15] op_sel:[0,1]
	;;#ASMSTART
	global_store_dwordx4 v[10:11], v[6:9] off	
s_waitcnt vmcnt(0)
	;;#ASMEND
	s_movk_i32 s14, 0x3400
	v_add_u32_e64 v6, s14, 0
	ds_write2_b32 v6, v26, v27 offset1:2
	ds_write2_b32 v6, v30, v31 offset0:4 offset1:6
.LBB1802_116:
	s_or_b64 exec, exec, s[12:13]
	s_and_b64 exec, exec, s[0:1]
	s_cbranch_execz .LBB1802_118
; %bb.117:
	v_mov_b32_e32 v6, 0
	ds_write_b64 v6, v[30:31] offset:24
.LBB1802_118:
	s_or_b64 exec, exec, s[10:11]
	v_mov_b32_e32 v6, 0
	s_waitcnt lgkmcnt(0)
	s_barrier
	ds_read_b64 v[10:11], v6 offset:24
	v_cndmask_b32_e64 v25, v92, v25, s[8:9]
	v_cndmask_b32_e64 v1, v1, v24, s[8:9]
	s_movk_i32 s8, 0x3400
	s_waitcnt lgkmcnt(0)
	v_add_u32_e32 v24, v10, v1
	v_add_u32_e64 v1, s8, 0
	s_barrier
	ds_read2_b32 v[6:7], v1 offset1:2
	ds_read2_b32 v[8:9], v1 offset0:4 offset1:6
	v_add_u32_e32 v1, v11, v25
	v_cndmask_b32_e64 v1, v1, v11, s[0:1]
	v_cndmask_b32_e64 v10, v24, v10, s[0:1]
	s_branch .LBB1802_129
.LBB1802_119:
                                        ; implicit-def: $vgpr1
                                        ; implicit-def: $vgpr8
                                        ; implicit-def: $vgpr6
                                        ; implicit-def: $vgpr10_vgpr11
	s_cbranch_execz .LBB1802_129
; %bb.120:
	s_nop 0
	v_mov_b32_dpp v1, v90 row_shr:1 row_mask:0xf bank_mask:0xf
	s_waitcnt lgkmcnt(1)
	v_mov_b32_dpp v6, v91 row_shr:1 row_mask:0xf bank_mask:0xf
	v_add_u32_e32 v1, v1, v90
	v_add_u32_e32 v6, v6, v91
	v_cndmask_b32_e64 v6, v6, v91, s[6:7]
	v_cndmask_b32_e64 v1, v1, v90, s[6:7]
	v_cmp_lt_u32_e32 vcc, 3, v89
	s_waitcnt lgkmcnt(0)
	v_mov_b32_dpp v8, v6 row_shr:2 row_mask:0xf bank_mask:0xf
	v_mov_b32_dpp v7, v1 row_shr:2 row_mask:0xf bank_mask:0xf
	v_add_u32_e32 v7, v1, v7
	v_add_u32_e32 v8, v6, v8
	v_cndmask_b32_e64 v6, v6, v8, s[4:5]
	v_cndmask_b32_e64 v1, v1, v7, s[4:5]
	s_nop 0
	v_mov_b32_dpp v8, v6 row_shr:4 row_mask:0xf bank_mask:0xf
	v_mov_b32_dpp v7, v1 row_shr:4 row_mask:0xf bank_mask:0xf
	v_add_u32_e32 v7, v1, v7
	v_add_u32_e32 v8, v6, v8
	v_cndmask_b32_e32 v6, v6, v8, vcc
	v_cndmask_b32_e32 v1, v1, v7, vcc
	v_cmp_lt_u32_e32 vcc, 7, v89
	v_mov_b32_dpp v8, v6 row_shr:8 row_mask:0xf bank_mask:0xf
	v_mov_b32_dpp v7, v1 row_shr:8 row_mask:0xf bank_mask:0xf
	v_add_u32_e32 v7, v1, v7
	v_add_u32_e32 v8, v6, v8
	v_cndmask_b32_e32 v6, v6, v8, vcc
	v_cndmask_b32_e32 v1, v1, v7, vcc
	v_cmp_eq_u32_e32 vcc, 0, v88
	v_mov_b32_dpp v8, v6 row_bcast:15 row_mask:0xf bank_mask:0xf
	v_mov_b32_dpp v7, v1 row_bcast:15 row_mask:0xf bank_mask:0xf
	v_add_u32_e32 v7, v1, v7
	v_add_u32_e32 v8, v6, v8
	v_cndmask_b32_e32 v6, v8, v6, vcc
	v_cndmask_b32_e32 v1, v7, v1, vcc
	v_cmp_lt_u32_e32 vcc, 31, v85
	v_mov_b32_dpp v8, v6 row_bcast:31 row_mask:0xf bank_mask:0xf
	v_mov_b32_dpp v7, v1 row_bcast:31 row_mask:0xf bank_mask:0xf
	v_add_u32_e32 v8, v6, v8
	v_add_u32_e32 v9, v1, v7
	v_cndmask_b32_e32 v7, v6, v8, vcc
	v_cndmask_b32_e32 v6, v1, v9, vcc
	v_cmp_eq_u32_e32 vcc, v87, v0
	s_and_saveexec_b64 s[4:5], vcc
	s_cbranch_execz .LBB1802_122
; %bb.121:
	v_lshlrev_b32_e32 v1, 3, v86
	ds_write_b64 v1, v[6:7]
.LBB1802_122:
	s_or_b64 exec, exec, s[4:5]
	v_cmp_gt_u32_e32 vcc, 4, v0
	s_waitcnt lgkmcnt(0)
	s_barrier
	s_and_saveexec_b64 s[4:5], vcc
	s_cbranch_execz .LBB1802_124
; %bb.123:
	v_lshlrev_b32_e32 v1, 3, v0
	ds_read_b64 v[8:9], v1
	v_and_b32_e32 v10, 3, v85
	v_cmp_eq_u32_e32 vcc, 0, v10
	s_waitcnt lgkmcnt(0)
	v_mov_b32_dpp v11, v8 row_shr:1 row_mask:0xf bank_mask:0xf
	v_mov_b32_dpp v24, v9 row_shr:1 row_mask:0xf bank_mask:0xf
	v_add_u32_e32 v11, v11, v8
	v_add_u32_e32 v24, v24, v9
	v_cndmask_b32_e32 v9, v24, v9, vcc
	v_cndmask_b32_e32 v8, v11, v8, vcc
	v_cmp_lt_u32_e32 vcc, 1, v10
	v_mov_b32_dpp v24, v9 row_shr:2 row_mask:0xf bank_mask:0xf
	v_mov_b32_dpp v11, v8 row_shr:2 row_mask:0xf bank_mask:0xf
	v_cndmask_b32_e32 v10, 0, v11, vcc
	v_cndmask_b32_e32 v11, 0, v24, vcc
	v_add_u32_e32 v9, v11, v9
	v_add_u32_e32 v8, v10, v8
	ds_write_b64 v1, v[8:9]
.LBB1802_124:
	s_or_b64 exec, exec, s[4:5]
	v_cmp_lt_u32_e32 vcc, 63, v0
	v_mov_b32_e32 v8, 0
	v_mov_b32_e32 v10, 0
	;; [unrolled: 1-line block ×3, first 2 shown]
	s_waitcnt lgkmcnt(0)
	s_barrier
	s_and_saveexec_b64 s[4:5], vcc
	s_cbranch_execz .LBB1802_126
; %bb.125:
	v_lshl_add_u32 v1, v86, 3, -8
	ds_read_b64 v[10:11], v1
.LBB1802_126:
	s_or_b64 exec, exec, s[4:5]
	s_waitcnt lgkmcnt(0)
	v_add_u32_e32 v9, v11, v7
	v_add_u32_e32 v1, v10, v6
	v_add_u32_e32 v6, -1, v85
	v_and_b32_e32 v7, 64, v85
	v_cmp_lt_i32_e32 vcc, v6, v7
	v_cndmask_b32_e32 v6, v6, v85, vcc
	v_lshlrev_b32_e32 v24, 2, v6
	ds_read_b64 v[6:7], v8 offset:24
	ds_bpermute_b32 v1, v24, v1
	ds_bpermute_b32 v24, v24, v9
	s_waitcnt lgkmcnt(2)
	v_readfirstlane_b32 s6, v7
	s_and_saveexec_b64 s[4:5], s[0:1]
	s_cbranch_execz .LBB1802_128
; %bb.127:
	s_add_u32 s8, s50, 0x400
	s_mov_b32 s10, 0
	s_addc_u32 s9, s51, 0
	s_and_b32 s11, s6, 0xff000000
	s_and_b32 s13, s6, 0xff0000
	s_mov_b32 s12, s10
	s_or_b64 s[12:13], s[12:13], s[10:11]
	s_and_b32 s11, s6, 0xff00
	s_or_b64 s[12:13], s[12:13], s[10:11]
	s_and_b32 s11, s6, 0xff
	s_or_b64 s[10:11], s[12:13], s[10:11]
	v_mov_b32_e32 v7, s11
	v_mov_b32_e32 v8, 2
	v_mov_b32_e32 v9, 0
	v_pk_mov_b32 v[26:27], s[8:9], s[8:9] op_sel:[0,1]
	;;#ASMSTART
	global_store_dwordx4 v[26:27], v[6:9] off	
s_waitcnt vmcnt(0)
	;;#ASMEND
.LBB1802_128:
	s_or_b64 exec, exec, s[4:5]
	v_cmp_eq_u32_e32 vcc, 0, v85
	s_waitcnt lgkmcnt(1)
	v_cndmask_b32_e32 v7, v1, v10, vcc
	s_waitcnt lgkmcnt(0)
	v_cndmask_b32_e32 v1, v24, v11, vcc
	v_mov_b32_e32 v8, 0
	v_cndmask_b32_e64 v1, v1, 0, s[0:1]
	v_cndmask_b32_e64 v10, v7, 0, s[0:1]
	s_barrier
	v_mov_b32_e32 v7, s6
	v_mov_b32_e32 v9, 0
.LBB1802_129:
	v_add_u32_e32 v11, v10, v67
	v_add_u32_e32 v26, v1, v68
	;; [unrolled: 1-line block ×13, first 2 shown]
	s_waitcnt vmcnt(0) lgkmcnt(0)
	v_add_co_u32_e32 v2, vcc, v2, v8
	v_add_u32_e32 v68, v62, v74
	v_add_u32_e32 v64, v67, v64
	v_addc_co_u32_e32 v3, vcc, 0, v3, vcc
	v_add_u32_e32 v69, v68, v82
	v_add_u32_e32 v70, v64, v75
	v_sub_co_u32_e32 v24, vcc, v4, v6
	v_add_u32_e32 v71, v69, v76
	v_add_u32_e32 v65, v70, v65
	v_subbrev_co_u32_e32 v25, vcc, 0, v5, vcc
	v_lshlrev_b32_e32 v76, 1, v6
	v_sub_u32_e32 v1, v1, v9
	v_add_u32_e32 v73, v65, v77
	v_add_co_u32_e32 v24, vcc, v24, v9
	v_add_u32_e32 v77, v76, v7
	v_sub_u32_e32 v10, v10, v8
	v_add_u32_e32 v1, v1, v6
	v_addc_co_u32_e32 v25, vcc, 0, v25, vcc
	v_add_u32_e32 v36, v77, v36
	v_and_b32_e32 v38, 1, v38
	v_add_u32_e32 v77, v10, v1
	v_and_b32_e32 v37, 1, v37
	v_sub_u32_e32 v77, v36, v77
	v_cmp_eq_u32_e32 vcc, 1, v38
	v_cndmask_b32_e32 v1, v77, v1, vcc
	v_cmp_eq_u32_e32 vcc, 1, v37
	v_cndmask_b32_e32 v1, v1, v10, vcc
	v_lshlrev_b32_e32 v1, 2, v1
	ds_write_b32 v1, v22
	v_sub_u32_e32 v1, v11, v8
	v_sub_u32_e32 v11, v26, v9
	v_add_u32_e32 v11, v11, v6
	v_add_u32_e32 v26, v11, v1
	v_and_b32_e32 v22, 1, v40
	v_sub_u32_e32 v26, v36, v26
	v_and_b32_e32 v10, 1, v39
	v_add_u32_e32 v26, 1, v26
	v_cmp_eq_u32_e32 vcc, 1, v22
	v_cndmask_b32_e32 v11, v26, v11, vcc
	v_cmp_eq_u32_e32 vcc, 1, v10
	v_cndmask_b32_e32 v1, v11, v1, vcc
	v_lshlrev_b32_e32 v1, 2, v1
	v_sub_u32_e32 v11, v27, v9
	ds_write_b32 v1, v23
	v_sub_u32_e32 v1, v28, v8
	v_add_u32_e32 v11, v11, v6
	v_add_u32_e32 v23, v11, v1
	v_and_b32_e32 v22, 1, v42
	v_sub_u32_e32 v23, v36, v23
	v_and_b32_e32 v10, 1, v41
	v_add_u32_e32 v23, 2, v23
	v_cmp_eq_u32_e32 vcc, 1, v22
	v_cndmask_b32_e32 v11, v23, v11, vcc
	v_cmp_eq_u32_e32 vcc, 1, v10
	v_cndmask_b32_e32 v1, v11, v1, vcc
	v_lshlrev_b32_e32 v1, 2, v1
	v_sub_u32_e32 v11, v30, v9
	ds_write_b32 v1, v20
	;; [unrolled: 14-line block ×8, first 2 shown]
	v_sub_u32_e32 v1, v70, v8
	v_add_u32_e32 v11, v11, v6
	v_add_u32_e32 v16, v1, v11
	v_and_b32_e32 v14, 1, v55
	v_sub_u32_e32 v16, v36, v16
	v_and_b32_e32 v10, 1, v56
	v_add_u32_e32 v16, 9, v16
	v_cmp_eq_u32_e32 vcc, 1, v14
	v_cndmask_b32_e32 v11, v16, v11, vcc
	v_cmp_eq_u32_e32 vcc, 1, v10
	v_add_u32_e32 v72, v71, v83
	v_cndmask_b32_e32 v1, v11, v1, vcc
	v_lshlrev_b32_e32 v1, 2, v1
	v_sub_u32_e32 v11, v72, v9
	ds_write_b32 v1, v15
	v_sub_u32_e32 v1, v65, v8
	v_add_u32_e32 v11, v11, v6
	v_add_u32_e32 v15, v1, v11
	v_and_b32_e32 v14, 1, v57
	v_sub_u32_e32 v15, v36, v15
	v_and_b32_e32 v10, 1, v58
	v_add_u32_e32 v15, 10, v15
	v_cmp_eq_u32_e32 vcc, 1, v14
	v_cndmask_b32_e32 v11, v15, v11, vcc
	v_cmp_eq_u32_e32 vcc, 1, v10
	v_add_u32_e32 v74, v72, v78
	v_cndmask_b32_e32 v1, v11, v1, vcc
	v_lshlrev_b32_e32 v1, 2, v1
	v_sub_u32_e32 v11, v74, v9
	ds_write_b32 v1, v12
	v_sub_u32_e32 v1, v73, v8
	v_add_u32_e32 v11, v11, v6
	v_add_u32_e32 v14, v1, v11
	v_and_b32_e32 v12, 1, v59
	v_sub_u32_e32 v14, v36, v14
	v_and_b32_e32 v10, 1, v60
	v_add_u32_e32 v14, 11, v14
	v_cmp_eq_u32_e32 vcc, 1, v12
	v_cndmask_b32_e32 v11, v14, v11, vcc
	v_cmp_eq_u32_e32 vcc, 1, v10
	v_cndmask_b32_e32 v1, v11, v1, vcc
	v_add_u32_e32 v75, v74, v84
	v_add_u32_e32 v66, v73, v66
	v_lshlrev_b32_e32 v1, 2, v1
	ds_write_b32 v1, v13
	v_sub_u32_e32 v1, v66, v8
	v_sub_u32_e32 v8, v75, v9
	v_add_u32_e32 v8, v8, v6
	v_add_u32_e32 v10, v1, v8
	v_sub_u32_e32 v10, v36, v10
	v_add_u32_e32 v10, 12, v10
	v_cndmask_b32_e64 v8, v10, v8, s[54:55]
	v_cndmask_b32_e64 v1, v8, v1, s[52:53]
	v_lshlrev_b32_e32 v1, 2, v1
	ds_write_b32 v1, v35
	v_mov_b32_e32 v1, s49
	v_add_co_u32_e32 v8, vcc, s48, v34
	v_addc_co_u32_e32 v10, vcc, 0, v1, vcc
	v_add_co_u32_e32 v1, vcc, v7, v76
	v_addc_co_u32_e64 v11, s[4:5], 0, 0, vcc
	v_add_co_u32_e32 v1, vcc, v1, v24
	v_addc_co_u32_e32 v11, vcc, v11, v25, vcc
	v_add_co_u32_e32 v1, vcc, v1, v2
	v_addc_co_u32_e32 v11, vcc, v11, v3, vcc
	v_sub_co_u32_e32 v1, vcc, v8, v1
	v_subb_co_u32_e32 v8, vcc, v10, v11, vcc
	v_lshlrev_b64 v[10:11], 2, v[24:25]
	v_mov_b32_e32 v12, s47
	v_add_co_u32_e32 v10, vcc, s46, v10
	v_addc_co_u32_e32 v11, vcc, v12, v11, vcc
	v_lshlrev_b64 v[12:13], 2, v[2:3]
	v_mov_b32_e32 v15, s45
	v_add_co_u32_e32 v12, vcc, s44, v12
	s_add_u32 s8, s34, -4
	v_addc_co_u32_e32 v13, vcc, v15, v13, vcc
	s_addc_u32 s9, s35, -1
	v_add_u32_e32 v14, v6, v7
	s_and_b64 vcc, exec, s[2:3]
	s_mov_b64 s[2:3], -1
	s_waitcnt lgkmcnt(0)
	s_barrier
	s_cbranch_vccz .LBB1802_133
; %bb.130:
	s_and_b64 vcc, exec, s[2:3]
	s_cbranch_vccnz .LBB1802_238
.LBB1802_131:
	s_and_b64 s[0:1], s[0:1], s[30:31]
	s_and_saveexec_b64 s[2:3], s[0:1]
	s_cbranch_execnz .LBB1802_356
.LBB1802_132:
	s_endpgm
.LBB1802_133:
	v_cmp_le_u32_e32 vcc, v6, v0
	s_and_saveexec_b64 s[2:3], vcc
	s_xor_b64 s[2:3], exec, s[2:3]
	s_cbranch_execz .LBB1802_139
; %bb.134:
	v_cmp_le_u32_e32 vcc, v14, v0
	s_and_saveexec_b64 s[4:5], vcc
	s_xor_b64 s[4:5], exec, s[4:5]
	s_cbranch_execz .LBB1802_136
; %bb.135:
	v_lshlrev_b32_e32 v15, 2, v0
	v_add_co_u32_e32 v16, vcc, v1, v0
	ds_read_b32 v15, v15
	v_addc_co_u32_e32 v17, vcc, 0, v8, vcc
	v_lshlrev_b64 v[16:17], 2, v[16:17]
	v_mov_b32_e32 v18, s35
	v_sub_co_u32_e32 v16, vcc, s34, v16
	v_subb_co_u32_e32 v17, vcc, v18, v17, vcc
	s_waitcnt lgkmcnt(0)
	global_store_dword v[16:17], v15, off offset:-4
.LBB1802_136:
	s_andn2_saveexec_b64 s[4:5], s[4:5]
	s_cbranch_execz .LBB1802_138
; %bb.137:
	v_lshlrev_b32_e32 v15, 2, v0
	ds_read_b32 v16, v15
	v_readfirstlane_b32 s6, v10
	v_readfirstlane_b32 s7, v11
	s_waitcnt lgkmcnt(0)
	s_nop 3
	global_store_dword v15, v16, s[6:7]
.LBB1802_138:
	s_or_b64 exec, exec, s[4:5]
.LBB1802_139:
	s_andn2_saveexec_b64 s[2:3], s[2:3]
	s_cbranch_execz .LBB1802_141
; %bb.140:
	v_lshlrev_b32_e32 v15, 2, v0
	ds_read_b32 v16, v15
	v_readfirstlane_b32 s4, v12
	v_readfirstlane_b32 s5, v13
	s_waitcnt lgkmcnt(0)
	s_nop 3
	global_store_dword v15, v16, s[4:5]
.LBB1802_141:
	s_or_b64 exec, exec, s[2:3]
	v_or_b32_e32 v15, 0x100, v0
	v_cmp_le_u32_e32 vcc, v6, v15
	s_and_saveexec_b64 s[2:3], vcc
	s_xor_b64 s[2:3], exec, s[2:3]
	s_cbranch_execz .LBB1802_147
; %bb.142:
	v_cmp_le_u32_e32 vcc, v14, v15
	s_and_saveexec_b64 s[4:5], vcc
	s_xor_b64 s[4:5], exec, s[4:5]
	s_cbranch_execz .LBB1802_144
; %bb.143:
	v_lshlrev_b32_e32 v15, 2, v0
	ds_read_b32 v15, v15 offset:1024
	v_add_co_u32_e32 v16, vcc, v1, v0
	v_addc_co_u32_e32 v17, vcc, 0, v8, vcc
	v_lshlrev_b64 v[16:17], 2, v[16:17]
	v_mov_b32_e32 v18, s9
	v_sub_co_u32_e32 v16, vcc, s8, v16
	v_subb_co_u32_e32 v17, vcc, v18, v17, vcc
	s_waitcnt lgkmcnt(0)
	global_store_dword v[16:17], v15, off offset:-1024
.LBB1802_144:
	s_andn2_saveexec_b64 s[4:5], s[4:5]
	s_cbranch_execz .LBB1802_146
; %bb.145:
	v_lshlrev_b32_e32 v15, 2, v0
	ds_read_b32 v16, v15 offset:1024
	v_readfirstlane_b32 s6, v10
	v_readfirstlane_b32 s7, v11
	s_waitcnt lgkmcnt(0)
	s_nop 3
	global_store_dword v15, v16, s[6:7] offset:1024
.LBB1802_146:
	s_or_b64 exec, exec, s[4:5]
.LBB1802_147:
	s_andn2_saveexec_b64 s[2:3], s[2:3]
	s_cbranch_execz .LBB1802_149
; %bb.148:
	v_lshlrev_b32_e32 v15, 2, v0
	ds_read_b32 v16, v15 offset:1024
	v_readfirstlane_b32 s4, v12
	v_readfirstlane_b32 s5, v13
	s_waitcnt lgkmcnt(0)
	s_nop 3
	global_store_dword v15, v16, s[4:5] offset:1024
.LBB1802_149:
	s_or_b64 exec, exec, s[2:3]
	v_or_b32_e32 v15, 0x200, v0
	v_cmp_le_u32_e32 vcc, v6, v15
	s_and_saveexec_b64 s[2:3], vcc
	s_xor_b64 s[2:3], exec, s[2:3]
	s_cbranch_execz .LBB1802_155
; %bb.150:
	v_cmp_le_u32_e32 vcc, v14, v15
	s_and_saveexec_b64 s[4:5], vcc
	s_xor_b64 s[4:5], exec, s[4:5]
	s_cbranch_execz .LBB1802_152
; %bb.151:
	v_lshlrev_b32_e32 v15, 2, v0
	ds_read_b32 v15, v15 offset:2048
	v_add_co_u32_e32 v16, vcc, v1, v0
	v_addc_co_u32_e32 v17, vcc, 0, v8, vcc
	v_lshlrev_b64 v[16:17], 2, v[16:17]
	v_mov_b32_e32 v18, s9
	v_sub_co_u32_e32 v16, vcc, s8, v16
	v_subb_co_u32_e32 v17, vcc, v18, v17, vcc
	s_waitcnt lgkmcnt(0)
	global_store_dword v[16:17], v15, off offset:-2048
.LBB1802_152:
	s_andn2_saveexec_b64 s[4:5], s[4:5]
	s_cbranch_execz .LBB1802_154
; %bb.153:
	v_lshlrev_b32_e32 v15, 2, v0
	ds_read_b32 v16, v15 offset:2048
	v_readfirstlane_b32 s6, v10
	v_readfirstlane_b32 s7, v11
	s_waitcnt lgkmcnt(0)
	s_nop 3
	global_store_dword v15, v16, s[6:7] offset:2048
.LBB1802_154:
	s_or_b64 exec, exec, s[4:5]
.LBB1802_155:
	s_andn2_saveexec_b64 s[2:3], s[2:3]
	s_cbranch_execz .LBB1802_157
; %bb.156:
	v_lshlrev_b32_e32 v15, 2, v0
	ds_read_b32 v16, v15 offset:2048
	v_readfirstlane_b32 s4, v12
	v_readfirstlane_b32 s5, v13
	s_waitcnt lgkmcnt(0)
	s_nop 3
	global_store_dword v15, v16, s[4:5] offset:2048
.LBB1802_157:
	;; [unrolled: 47-line block ×3, first 2 shown]
	s_or_b64 exec, exec, s[2:3]
	v_or_b32_e32 v15, 0x400, v0
	v_cmp_le_u32_e32 vcc, v6, v15
	s_and_saveexec_b64 s[2:3], vcc
	s_xor_b64 s[2:3], exec, s[2:3]
	s_cbranch_execz .LBB1802_171
; %bb.166:
	v_cmp_le_u32_e32 vcc, v14, v15
	s_and_saveexec_b64 s[4:5], vcc
	s_xor_b64 s[4:5], exec, s[4:5]
	s_cbranch_execz .LBB1802_168
; %bb.167:
	v_lshlrev_b32_e32 v15, 2, v0
	ds_read_b32 v15, v15 offset:4096
	v_add_co_u32_e32 v16, vcc, v1, v0
	v_addc_co_u32_e32 v17, vcc, 0, v8, vcc
	v_lshlrev_b64 v[16:17], 2, v[16:17]
	v_mov_b32_e32 v18, s9
	v_sub_co_u32_e32 v16, vcc, s8, v16
	v_subb_co_u32_e32 v17, vcc, v18, v17, vcc
	s_waitcnt lgkmcnt(0)
	global_store_dword v[16:17], v15, off offset:-4096
                                        ; implicit-def: $vgpr15
.LBB1802_168:
	s_andn2_saveexec_b64 s[4:5], s[4:5]
	s_cbranch_execz .LBB1802_170
; %bb.169:
	v_lshlrev_b32_e32 v16, 2, v0
	ds_read_b32 v16, v16 offset:4096
	v_lshlrev_b32_e32 v15, 2, v15
	v_readfirstlane_b32 s6, v10
	v_readfirstlane_b32 s7, v11
	s_waitcnt lgkmcnt(0)
	s_nop 3
	global_store_dword v15, v16, s[6:7]
.LBB1802_170:
	s_or_b64 exec, exec, s[4:5]
                                        ; implicit-def: $vgpr15
.LBB1802_171:
	s_andn2_saveexec_b64 s[2:3], s[2:3]
	s_cbranch_execz .LBB1802_173
; %bb.172:
	v_lshlrev_b32_e32 v16, 2, v0
	ds_read_b32 v16, v16 offset:4096
	v_lshlrev_b32_e32 v15, 2, v15
	v_readfirstlane_b32 s4, v12
	v_readfirstlane_b32 s5, v13
	s_waitcnt lgkmcnt(0)
	s_nop 3
	global_store_dword v15, v16, s[4:5]
.LBB1802_173:
	s_or_b64 exec, exec, s[2:3]
	v_or_b32_e32 v15, 0x500, v0
	v_cmp_le_u32_e32 vcc, v6, v15
	s_and_saveexec_b64 s[2:3], vcc
	s_xor_b64 s[2:3], exec, s[2:3]
	s_cbranch_execz .LBB1802_179
; %bb.174:
	v_cmp_le_u32_e32 vcc, v14, v15
	s_and_saveexec_b64 s[4:5], vcc
	s_xor_b64 s[4:5], exec, s[4:5]
	s_cbranch_execz .LBB1802_176
; %bb.175:
	v_add_co_u32_e32 v16, vcc, v1, v15
	v_lshlrev_b32_e32 v15, 2, v0
	ds_read_b32 v15, v15 offset:5120
	v_addc_co_u32_e32 v17, vcc, 0, v8, vcc
	v_lshlrev_b64 v[16:17], 2, v[16:17]
	v_mov_b32_e32 v18, s9
	v_sub_co_u32_e32 v16, vcc, s8, v16
	v_subb_co_u32_e32 v17, vcc, v18, v17, vcc
	s_waitcnt lgkmcnt(0)
	global_store_dword v[16:17], v15, off
                                        ; implicit-def: $vgpr15
.LBB1802_176:
	s_andn2_saveexec_b64 s[4:5], s[4:5]
	s_cbranch_execz .LBB1802_178
; %bb.177:
	v_lshlrev_b32_e32 v16, 2, v0
	ds_read_b32 v16, v16 offset:5120
	v_lshlrev_b32_e32 v15, 2, v15
	v_readfirstlane_b32 s6, v10
	v_readfirstlane_b32 s7, v11
	s_waitcnt lgkmcnt(0)
	s_nop 3
	global_store_dword v15, v16, s[6:7]
.LBB1802_178:
	s_or_b64 exec, exec, s[4:5]
                                        ; implicit-def: $vgpr15
.LBB1802_179:
	s_andn2_saveexec_b64 s[2:3], s[2:3]
	s_cbranch_execz .LBB1802_181
; %bb.180:
	v_lshlrev_b32_e32 v16, 2, v0
	ds_read_b32 v16, v16 offset:5120
	v_lshlrev_b32_e32 v15, 2, v15
	v_readfirstlane_b32 s4, v12
	v_readfirstlane_b32 s5, v13
	s_waitcnt lgkmcnt(0)
	s_nop 3
	global_store_dword v15, v16, s[4:5]
.LBB1802_181:
	s_or_b64 exec, exec, s[2:3]
	v_or_b32_e32 v15, 0x600, v0
	v_cmp_le_u32_e32 vcc, v6, v15
	s_and_saveexec_b64 s[2:3], vcc
	s_xor_b64 s[2:3], exec, s[2:3]
	s_cbranch_execz .LBB1802_187
; %bb.182:
	v_cmp_le_u32_e32 vcc, v14, v15
	s_and_saveexec_b64 s[4:5], vcc
	s_xor_b64 s[4:5], exec, s[4:5]
	s_cbranch_execz .LBB1802_184
; %bb.183:
	v_add_co_u32_e32 v16, vcc, v1, v15
	v_lshlrev_b32_e32 v15, 2, v0
	ds_read_b32 v15, v15 offset:6144
	v_addc_co_u32_e32 v17, vcc, 0, v8, vcc
	v_lshlrev_b64 v[16:17], 2, v[16:17]
	v_mov_b32_e32 v18, s9
	v_sub_co_u32_e32 v16, vcc, s8, v16
	v_subb_co_u32_e32 v17, vcc, v18, v17, vcc
	s_waitcnt lgkmcnt(0)
	global_store_dword v[16:17], v15, off
                                        ; implicit-def: $vgpr15
.LBB1802_184:
	s_andn2_saveexec_b64 s[4:5], s[4:5]
	s_cbranch_execz .LBB1802_186
; %bb.185:
	v_lshlrev_b32_e32 v16, 2, v0
	ds_read_b32 v16, v16 offset:6144
	v_lshlrev_b32_e32 v15, 2, v15
	v_readfirstlane_b32 s6, v10
	v_readfirstlane_b32 s7, v11
	s_waitcnt lgkmcnt(0)
	s_nop 3
	global_store_dword v15, v16, s[6:7]
.LBB1802_186:
	s_or_b64 exec, exec, s[4:5]
                                        ; implicit-def: $vgpr15
.LBB1802_187:
	;; [unrolled: 51-line block ×8, first 2 shown]
	s_andn2_saveexec_b64 s[2:3], s[2:3]
	s_cbranch_execz .LBB1802_237
; %bb.236:
	v_lshlrev_b32_e32 v16, 2, v0
	ds_read_b32 v16, v16 offset:12288
	v_lshlrev_b32_e32 v15, 2, v15
	v_readfirstlane_b32 s4, v12
	v_readfirstlane_b32 s5, v13
	s_waitcnt lgkmcnt(0)
	s_nop 3
	global_store_dword v15, v16, s[4:5]
.LBB1802_237:
	s_or_b64 exec, exec, s[2:3]
	s_branch .LBB1802_131
.LBB1802_238:
	v_cmp_gt_u32_e32 vcc, s16, v0
	s_and_saveexec_b64 s[2:3], vcc
	s_cbranch_execz .LBB1802_247
; %bb.239:
	v_cmp_le_u32_e32 vcc, v6, v0
	s_and_saveexec_b64 s[4:5], vcc
	s_xor_b64 s[4:5], exec, s[4:5]
	s_cbranch_execz .LBB1802_245
; %bb.240:
	v_cmp_le_u32_e32 vcc, v14, v0
	s_and_saveexec_b64 s[6:7], vcc
	s_xor_b64 s[6:7], exec, s[6:7]
	s_cbranch_execz .LBB1802_242
; %bb.241:
	v_lshlrev_b32_e32 v15, 2, v0
	v_add_co_u32_e32 v16, vcc, v1, v0
	ds_read_b32 v15, v15
	v_addc_co_u32_e32 v17, vcc, 0, v8, vcc
	v_lshlrev_b64 v[16:17], 2, v[16:17]
	v_mov_b32_e32 v18, s35
	v_sub_co_u32_e32 v16, vcc, s34, v16
	v_subb_co_u32_e32 v17, vcc, v18, v17, vcc
	s_waitcnt lgkmcnt(0)
	global_store_dword v[16:17], v15, off offset:-4
.LBB1802_242:
	s_andn2_saveexec_b64 s[6:7], s[6:7]
	s_cbranch_execz .LBB1802_244
; %bb.243:
	v_lshlrev_b32_e32 v15, 2, v0
	ds_read_b32 v16, v15
	v_readfirstlane_b32 s10, v10
	v_readfirstlane_b32 s11, v11
	s_waitcnt lgkmcnt(0)
	s_nop 3
	global_store_dword v15, v16, s[10:11]
.LBB1802_244:
	s_or_b64 exec, exec, s[6:7]
.LBB1802_245:
	s_andn2_saveexec_b64 s[4:5], s[4:5]
	s_cbranch_execz .LBB1802_247
; %bb.246:
	v_lshlrev_b32_e32 v15, 2, v0
	ds_read_b32 v16, v15
	v_readfirstlane_b32 s4, v12
	v_readfirstlane_b32 s5, v13
	s_waitcnt lgkmcnt(0)
	s_nop 3
	global_store_dword v15, v16, s[4:5]
.LBB1802_247:
	s_or_b64 exec, exec, s[2:3]
	v_or_b32_e32 v15, 0x100, v0
	v_cmp_gt_u32_e32 vcc, s16, v15
	s_and_saveexec_b64 s[2:3], vcc
	s_cbranch_execz .LBB1802_256
; %bb.248:
	v_cmp_le_u32_e32 vcc, v6, v15
	s_and_saveexec_b64 s[4:5], vcc
	s_xor_b64 s[4:5], exec, s[4:5]
	s_cbranch_execz .LBB1802_254
; %bb.249:
	v_cmp_le_u32_e32 vcc, v14, v15
	s_and_saveexec_b64 s[6:7], vcc
	s_xor_b64 s[6:7], exec, s[6:7]
	s_cbranch_execz .LBB1802_251
; %bb.250:
	v_lshlrev_b32_e32 v15, 2, v0
	ds_read_b32 v15, v15 offset:1024
	v_add_co_u32_e32 v16, vcc, v1, v0
	v_addc_co_u32_e32 v17, vcc, 0, v8, vcc
	v_lshlrev_b64 v[16:17], 2, v[16:17]
	v_mov_b32_e32 v18, s9
	v_sub_co_u32_e32 v16, vcc, s8, v16
	v_subb_co_u32_e32 v17, vcc, v18, v17, vcc
	s_waitcnt lgkmcnt(0)
	global_store_dword v[16:17], v15, off offset:-1024
.LBB1802_251:
	s_andn2_saveexec_b64 s[6:7], s[6:7]
	s_cbranch_execz .LBB1802_253
; %bb.252:
	v_lshlrev_b32_e32 v15, 2, v0
	ds_read_b32 v16, v15 offset:1024
	v_readfirstlane_b32 s10, v10
	v_readfirstlane_b32 s11, v11
	s_waitcnt lgkmcnt(0)
	s_nop 3
	global_store_dword v15, v16, s[10:11] offset:1024
.LBB1802_253:
	s_or_b64 exec, exec, s[6:7]
.LBB1802_254:
	s_andn2_saveexec_b64 s[4:5], s[4:5]
	s_cbranch_execz .LBB1802_256
; %bb.255:
	v_lshlrev_b32_e32 v15, 2, v0
	ds_read_b32 v16, v15 offset:1024
	v_readfirstlane_b32 s4, v12
	v_readfirstlane_b32 s5, v13
	s_waitcnt lgkmcnt(0)
	s_nop 3
	global_store_dword v15, v16, s[4:5] offset:1024
.LBB1802_256:
	s_or_b64 exec, exec, s[2:3]
	v_or_b32_e32 v15, 0x200, v0
	v_cmp_gt_u32_e32 vcc, s16, v15
	s_and_saveexec_b64 s[2:3], vcc
	s_cbranch_execz .LBB1802_265
; %bb.257:
	v_cmp_le_u32_e32 vcc, v6, v15
	s_and_saveexec_b64 s[4:5], vcc
	s_xor_b64 s[4:5], exec, s[4:5]
	s_cbranch_execz .LBB1802_263
; %bb.258:
	v_cmp_le_u32_e32 vcc, v14, v15
	s_and_saveexec_b64 s[6:7], vcc
	s_xor_b64 s[6:7], exec, s[6:7]
	s_cbranch_execz .LBB1802_260
; %bb.259:
	v_lshlrev_b32_e32 v15, 2, v0
	ds_read_b32 v15, v15 offset:2048
	v_add_co_u32_e32 v16, vcc, v1, v0
	v_addc_co_u32_e32 v17, vcc, 0, v8, vcc
	v_lshlrev_b64 v[16:17], 2, v[16:17]
	v_mov_b32_e32 v18, s9
	v_sub_co_u32_e32 v16, vcc, s8, v16
	v_subb_co_u32_e32 v17, vcc, v18, v17, vcc
	s_waitcnt lgkmcnt(0)
	global_store_dword v[16:17], v15, off offset:-2048
.LBB1802_260:
	s_andn2_saveexec_b64 s[6:7], s[6:7]
	s_cbranch_execz .LBB1802_262
; %bb.261:
	v_lshlrev_b32_e32 v15, 2, v0
	ds_read_b32 v16, v15 offset:2048
	v_readfirstlane_b32 s10, v10
	v_readfirstlane_b32 s11, v11
	s_waitcnt lgkmcnt(0)
	s_nop 3
	global_store_dword v15, v16, s[10:11] offset:2048
.LBB1802_262:
	s_or_b64 exec, exec, s[6:7]
.LBB1802_263:
	s_andn2_saveexec_b64 s[4:5], s[4:5]
	s_cbranch_execz .LBB1802_265
; %bb.264:
	v_lshlrev_b32_e32 v15, 2, v0
	ds_read_b32 v16, v15 offset:2048
	v_readfirstlane_b32 s4, v12
	v_readfirstlane_b32 s5, v13
	s_waitcnt lgkmcnt(0)
	s_nop 3
	global_store_dword v15, v16, s[4:5] offset:2048
.LBB1802_265:
	;; [unrolled: 51-line block ×3, first 2 shown]
	s_or_b64 exec, exec, s[2:3]
	v_or_b32_e32 v15, 0x400, v0
	v_cmp_gt_u32_e32 vcc, s16, v15
	s_and_saveexec_b64 s[2:3], vcc
	s_cbranch_execz .LBB1802_283
; %bb.275:
	v_cmp_le_u32_e32 vcc, v6, v15
	s_and_saveexec_b64 s[4:5], vcc
	s_xor_b64 s[4:5], exec, s[4:5]
	s_cbranch_execz .LBB1802_281
; %bb.276:
	v_cmp_le_u32_e32 vcc, v14, v15
	s_and_saveexec_b64 s[6:7], vcc
	s_xor_b64 s[6:7], exec, s[6:7]
	s_cbranch_execz .LBB1802_278
; %bb.277:
	v_lshlrev_b32_e32 v15, 2, v0
	ds_read_b32 v15, v15 offset:4096
	v_add_co_u32_e32 v16, vcc, v1, v0
	v_addc_co_u32_e32 v17, vcc, 0, v8, vcc
	v_lshlrev_b64 v[16:17], 2, v[16:17]
	v_mov_b32_e32 v18, s9
	v_sub_co_u32_e32 v16, vcc, s8, v16
	v_subb_co_u32_e32 v17, vcc, v18, v17, vcc
	s_waitcnt lgkmcnt(0)
	global_store_dword v[16:17], v15, off offset:-4096
                                        ; implicit-def: $vgpr15
.LBB1802_278:
	s_andn2_saveexec_b64 s[6:7], s[6:7]
	s_cbranch_execz .LBB1802_280
; %bb.279:
	v_lshlrev_b32_e32 v16, 2, v0
	ds_read_b32 v16, v16 offset:4096
	v_lshlrev_b32_e32 v15, 2, v15
	v_readfirstlane_b32 s10, v10
	v_readfirstlane_b32 s11, v11
	s_waitcnt lgkmcnt(0)
	s_nop 3
	global_store_dword v15, v16, s[10:11]
.LBB1802_280:
	s_or_b64 exec, exec, s[6:7]
                                        ; implicit-def: $vgpr15
.LBB1802_281:
	s_andn2_saveexec_b64 s[4:5], s[4:5]
	s_cbranch_execz .LBB1802_283
; %bb.282:
	v_lshlrev_b32_e32 v16, 2, v0
	ds_read_b32 v16, v16 offset:4096
	v_lshlrev_b32_e32 v15, 2, v15
	v_readfirstlane_b32 s4, v12
	v_readfirstlane_b32 s5, v13
	s_waitcnt lgkmcnt(0)
	s_nop 3
	global_store_dword v15, v16, s[4:5]
.LBB1802_283:
	s_or_b64 exec, exec, s[2:3]
	v_or_b32_e32 v15, 0x500, v0
	v_cmp_gt_u32_e32 vcc, s16, v15
	s_and_saveexec_b64 s[2:3], vcc
	s_cbranch_execz .LBB1802_292
; %bb.284:
	v_cmp_le_u32_e32 vcc, v6, v15
	s_and_saveexec_b64 s[4:5], vcc
	s_xor_b64 s[4:5], exec, s[4:5]
	s_cbranch_execz .LBB1802_290
; %bb.285:
	v_cmp_le_u32_e32 vcc, v14, v15
	s_and_saveexec_b64 s[6:7], vcc
	s_xor_b64 s[6:7], exec, s[6:7]
	s_cbranch_execz .LBB1802_287
; %bb.286:
	v_add_co_u32_e32 v16, vcc, v1, v15
	v_lshlrev_b32_e32 v15, 2, v0
	ds_read_b32 v15, v15 offset:5120
	v_addc_co_u32_e32 v17, vcc, 0, v8, vcc
	v_lshlrev_b64 v[16:17], 2, v[16:17]
	v_mov_b32_e32 v18, s9
	v_sub_co_u32_e32 v16, vcc, s8, v16
	v_subb_co_u32_e32 v17, vcc, v18, v17, vcc
	s_waitcnt lgkmcnt(0)
	global_store_dword v[16:17], v15, off
                                        ; implicit-def: $vgpr15
.LBB1802_287:
	s_andn2_saveexec_b64 s[6:7], s[6:7]
	s_cbranch_execz .LBB1802_289
; %bb.288:
	v_lshlrev_b32_e32 v16, 2, v0
	ds_read_b32 v16, v16 offset:5120
	v_lshlrev_b32_e32 v15, 2, v15
	v_readfirstlane_b32 s10, v10
	v_readfirstlane_b32 s11, v11
	s_waitcnt lgkmcnt(0)
	s_nop 3
	global_store_dword v15, v16, s[10:11]
.LBB1802_289:
	s_or_b64 exec, exec, s[6:7]
                                        ; implicit-def: $vgpr15
.LBB1802_290:
	s_andn2_saveexec_b64 s[4:5], s[4:5]
	s_cbranch_execz .LBB1802_292
; %bb.291:
	v_lshlrev_b32_e32 v16, 2, v0
	ds_read_b32 v16, v16 offset:5120
	v_lshlrev_b32_e32 v15, 2, v15
	v_readfirstlane_b32 s4, v12
	v_readfirstlane_b32 s5, v13
	s_waitcnt lgkmcnt(0)
	s_nop 3
	global_store_dword v15, v16, s[4:5]
.LBB1802_292:
	s_or_b64 exec, exec, s[2:3]
	v_or_b32_e32 v15, 0x600, v0
	v_cmp_gt_u32_e32 vcc, s16, v15
	s_and_saveexec_b64 s[2:3], vcc
	s_cbranch_execz .LBB1802_301
; %bb.293:
	v_cmp_le_u32_e32 vcc, v6, v15
	s_and_saveexec_b64 s[4:5], vcc
	s_xor_b64 s[4:5], exec, s[4:5]
	s_cbranch_execz .LBB1802_299
; %bb.294:
	v_cmp_le_u32_e32 vcc, v14, v15
	s_and_saveexec_b64 s[6:7], vcc
	s_xor_b64 s[6:7], exec, s[6:7]
	s_cbranch_execz .LBB1802_296
; %bb.295:
	v_add_co_u32_e32 v16, vcc, v1, v15
	v_lshlrev_b32_e32 v15, 2, v0
	ds_read_b32 v15, v15 offset:6144
	v_addc_co_u32_e32 v17, vcc, 0, v8, vcc
	v_lshlrev_b64 v[16:17], 2, v[16:17]
	v_mov_b32_e32 v18, s9
	v_sub_co_u32_e32 v16, vcc, s8, v16
	v_subb_co_u32_e32 v17, vcc, v18, v17, vcc
	s_waitcnt lgkmcnt(0)
	global_store_dword v[16:17], v15, off
                                        ; implicit-def: $vgpr15
.LBB1802_296:
	s_andn2_saveexec_b64 s[6:7], s[6:7]
	s_cbranch_execz .LBB1802_298
; %bb.297:
	v_lshlrev_b32_e32 v16, 2, v0
	ds_read_b32 v16, v16 offset:6144
	v_lshlrev_b32_e32 v15, 2, v15
	v_readfirstlane_b32 s10, v10
	v_readfirstlane_b32 s11, v11
	s_waitcnt lgkmcnt(0)
	s_nop 3
	global_store_dword v15, v16, s[10:11]
.LBB1802_298:
	s_or_b64 exec, exec, s[6:7]
                                        ; implicit-def: $vgpr15
.LBB1802_299:
	s_andn2_saveexec_b64 s[4:5], s[4:5]
	s_cbranch_execz .LBB1802_301
; %bb.300:
	v_lshlrev_b32_e32 v16, 2, v0
	ds_read_b32 v16, v16 offset:6144
	v_lshlrev_b32_e32 v15, 2, v15
	v_readfirstlane_b32 s4, v12
	v_readfirstlane_b32 s5, v13
	s_waitcnt lgkmcnt(0)
	s_nop 3
	global_store_dword v15, v16, s[4:5]
.LBB1802_301:
	;; [unrolled: 55-line block ×7, first 2 shown]
	s_or_b64 exec, exec, s[2:3]
	v_or_b32_e32 v15, 0xc00, v0
	v_cmp_gt_u32_e32 vcc, s16, v15
	s_and_saveexec_b64 s[2:3], vcc
	s_cbranch_execz .LBB1802_355
; %bb.347:
	v_cmp_le_u32_e32 vcc, v6, v15
	s_and_saveexec_b64 s[4:5], vcc
	s_xor_b64 s[4:5], exec, s[4:5]
	s_cbranch_execz .LBB1802_353
; %bb.348:
	v_cmp_le_u32_e32 vcc, v14, v15
	s_and_saveexec_b64 s[6:7], vcc
	s_xor_b64 s[6:7], exec, s[6:7]
	s_cbranch_execz .LBB1802_350
; %bb.349:
	v_add_co_u32_e32 v10, vcc, v1, v15
	v_lshlrev_b32_e32 v0, 2, v0
	v_addc_co_u32_e32 v11, vcc, 0, v8, vcc
	ds_read_b32 v8, v0 offset:12288
	v_lshlrev_b64 v[0:1], 2, v[10:11]
	v_mov_b32_e32 v10, s9
	v_sub_co_u32_e32 v0, vcc, s8, v0
	v_subb_co_u32_e32 v1, vcc, v10, v1, vcc
	s_waitcnt lgkmcnt(0)
	global_store_dword v[0:1], v8, off
                                        ; implicit-def: $vgpr0
                                        ; implicit-def: $vgpr15
                                        ; implicit-def: $vgpr10_vgpr11
.LBB1802_350:
	s_andn2_saveexec_b64 s[6:7], s[6:7]
	s_cbranch_execz .LBB1802_352
; %bb.351:
	v_lshlrev_b32_e32 v0, 2, v0
	ds_read_b32 v0, v0 offset:12288
	v_lshlrev_b32_e32 v1, 2, v15
	v_readfirstlane_b32 s8, v10
	v_readfirstlane_b32 s9, v11
	s_waitcnt lgkmcnt(0)
	s_nop 3
	global_store_dword v1, v0, s[8:9]
.LBB1802_352:
	s_or_b64 exec, exec, s[6:7]
                                        ; implicit-def: $vgpr0
                                        ; implicit-def: $vgpr15
                                        ; implicit-def: $vgpr12_vgpr13
.LBB1802_353:
	s_andn2_saveexec_b64 s[4:5], s[4:5]
	s_cbranch_execz .LBB1802_355
; %bb.354:
	v_lshlrev_b32_e32 v0, 2, v0
	ds_read_b32 v0, v0 offset:12288
	v_lshlrev_b32_e32 v1, 2, v15
	v_readfirstlane_b32 s4, v12
	v_readfirstlane_b32 s5, v13
	s_waitcnt lgkmcnt(0)
	s_nop 3
	global_store_dword v1, v0, s[4:5]
.LBB1802_355:
	s_or_b64 exec, exec, s[2:3]
	s_and_b64 s[0:1], s[0:1], s[30:31]
	s_and_saveexec_b64 s[2:3], s[0:1]
	s_cbranch_execz .LBB1802_132
.LBB1802_356:
	v_add_co_u32_e32 v0, vcc, v2, v6
	v_addc_co_u32_e32 v1, vcc, 0, v3, vcc
	v_add_co_u32_e32 v2, vcc, v4, v7
	v_addc_co_u32_e32 v3, vcc, 0, v5, vcc
	v_add_co_u32_e32 v2, vcc, v2, v9
	v_mov_b32_e32 v8, 0
	v_addc_co_u32_e32 v3, vcc, 0, v3, vcc
	global_store_dwordx4 v8, v[0:3], s[28:29]
	s_endpgm
	.section	.rodata,"a",@progbits
	.p2align	6, 0x0
	.amdhsa_kernel _ZN7rocprim17ROCPRIM_400000_NS6detail17trampoline_kernelINS0_13select_configILj256ELj13ELNS0_17block_load_methodE3ELS4_3ELS4_3ELNS0_20block_scan_algorithmE0ELj4294967295EEENS1_25partition_config_selectorILNS1_17partition_subalgoE4EjNS0_10empty_typeEbEEZZNS1_14partition_implILS8_4ELb0ES6_15HIP_vector_typeIjLj2EENS0_17counting_iteratorIjlEEPS9_SG_NS0_5tupleIJPjSI_NS0_16reverse_iteratorISI_EEEEENSH_IJSG_SG_SG_EEES9_SI_JZNS1_25segmented_radix_sort_implINS0_14default_configELb0EPK6__halfPSP_PKlPlN2at6native12_GLOBAL__N_18offset_tEEE10hipError_tPvRmT1_PNSt15iterator_traitsIS13_E10value_typeET2_T3_PNS14_IS19_E10value_typeET4_jRbjT5_S1F_jjP12ihipStream_tbEUljE_ZNSN_ISO_Lb0ESR_SS_SU_SV_SZ_EES10_S11_S12_S13_S17_S18_S19_S1C_S1D_jS1E_jS1F_S1F_jjS1H_bEUljE0_EEES10_S11_S12_S19_S1D_S1F_T6_T7_T9_mT8_S1H_bDpT10_ENKUlT_T0_E_clISt17integral_constantIbLb0EES1U_IbLb1EEEEDaS1Q_S1R_EUlS1Q_E_NS1_11comp_targetILNS1_3genE4ELNS1_11target_archE910ELNS1_3gpuE8ELNS1_3repE0EEENS1_30default_config_static_selectorELNS0_4arch9wavefront6targetE1EEEvS13_
		.amdhsa_group_segment_fixed_size 13340
		.amdhsa_private_segment_fixed_size 0
		.amdhsa_kernarg_size 184
		.amdhsa_user_sgpr_count 6
		.amdhsa_user_sgpr_private_segment_buffer 1
		.amdhsa_user_sgpr_dispatch_ptr 0
		.amdhsa_user_sgpr_queue_ptr 0
		.amdhsa_user_sgpr_kernarg_segment_ptr 1
		.amdhsa_user_sgpr_dispatch_id 0
		.amdhsa_user_sgpr_flat_scratch_init 0
		.amdhsa_user_sgpr_kernarg_preload_length 0
		.amdhsa_user_sgpr_kernarg_preload_offset 0
		.amdhsa_user_sgpr_private_segment_size 0
		.amdhsa_uses_dynamic_stack 0
		.amdhsa_system_sgpr_private_segment_wavefront_offset 0
		.amdhsa_system_sgpr_workgroup_id_x 1
		.amdhsa_system_sgpr_workgroup_id_y 0
		.amdhsa_system_sgpr_workgroup_id_z 0
		.amdhsa_system_sgpr_workgroup_info 0
		.amdhsa_system_vgpr_workitem_id 0
		.amdhsa_next_free_vgpr 107
		.amdhsa_next_free_sgpr 87
		.amdhsa_accum_offset 108
		.amdhsa_reserve_vcc 1
		.amdhsa_reserve_flat_scratch 0
		.amdhsa_float_round_mode_32 0
		.amdhsa_float_round_mode_16_64 0
		.amdhsa_float_denorm_mode_32 3
		.amdhsa_float_denorm_mode_16_64 3
		.amdhsa_dx10_clamp 1
		.amdhsa_ieee_mode 1
		.amdhsa_fp16_overflow 0
		.amdhsa_tg_split 0
		.amdhsa_exception_fp_ieee_invalid_op 0
		.amdhsa_exception_fp_denorm_src 0
		.amdhsa_exception_fp_ieee_div_zero 0
		.amdhsa_exception_fp_ieee_overflow 0
		.amdhsa_exception_fp_ieee_underflow 0
		.amdhsa_exception_fp_ieee_inexact 0
		.amdhsa_exception_int_div_zero 0
	.end_amdhsa_kernel
	.section	.text._ZN7rocprim17ROCPRIM_400000_NS6detail17trampoline_kernelINS0_13select_configILj256ELj13ELNS0_17block_load_methodE3ELS4_3ELS4_3ELNS0_20block_scan_algorithmE0ELj4294967295EEENS1_25partition_config_selectorILNS1_17partition_subalgoE4EjNS0_10empty_typeEbEEZZNS1_14partition_implILS8_4ELb0ES6_15HIP_vector_typeIjLj2EENS0_17counting_iteratorIjlEEPS9_SG_NS0_5tupleIJPjSI_NS0_16reverse_iteratorISI_EEEEENSH_IJSG_SG_SG_EEES9_SI_JZNS1_25segmented_radix_sort_implINS0_14default_configELb0EPK6__halfPSP_PKlPlN2at6native12_GLOBAL__N_18offset_tEEE10hipError_tPvRmT1_PNSt15iterator_traitsIS13_E10value_typeET2_T3_PNS14_IS19_E10value_typeET4_jRbjT5_S1F_jjP12ihipStream_tbEUljE_ZNSN_ISO_Lb0ESR_SS_SU_SV_SZ_EES10_S11_S12_S13_S17_S18_S19_S1C_S1D_jS1E_jS1F_S1F_jjS1H_bEUljE0_EEES10_S11_S12_S19_S1D_S1F_T6_T7_T9_mT8_S1H_bDpT10_ENKUlT_T0_E_clISt17integral_constantIbLb0EES1U_IbLb1EEEEDaS1Q_S1R_EUlS1Q_E_NS1_11comp_targetILNS1_3genE4ELNS1_11target_archE910ELNS1_3gpuE8ELNS1_3repE0EEENS1_30default_config_static_selectorELNS0_4arch9wavefront6targetE1EEEvS13_,"axG",@progbits,_ZN7rocprim17ROCPRIM_400000_NS6detail17trampoline_kernelINS0_13select_configILj256ELj13ELNS0_17block_load_methodE3ELS4_3ELS4_3ELNS0_20block_scan_algorithmE0ELj4294967295EEENS1_25partition_config_selectorILNS1_17partition_subalgoE4EjNS0_10empty_typeEbEEZZNS1_14partition_implILS8_4ELb0ES6_15HIP_vector_typeIjLj2EENS0_17counting_iteratorIjlEEPS9_SG_NS0_5tupleIJPjSI_NS0_16reverse_iteratorISI_EEEEENSH_IJSG_SG_SG_EEES9_SI_JZNS1_25segmented_radix_sort_implINS0_14default_configELb0EPK6__halfPSP_PKlPlN2at6native12_GLOBAL__N_18offset_tEEE10hipError_tPvRmT1_PNSt15iterator_traitsIS13_E10value_typeET2_T3_PNS14_IS19_E10value_typeET4_jRbjT5_S1F_jjP12ihipStream_tbEUljE_ZNSN_ISO_Lb0ESR_SS_SU_SV_SZ_EES10_S11_S12_S13_S17_S18_S19_S1C_S1D_jS1E_jS1F_S1F_jjS1H_bEUljE0_EEES10_S11_S12_S19_S1D_S1F_T6_T7_T9_mT8_S1H_bDpT10_ENKUlT_T0_E_clISt17integral_constantIbLb0EES1U_IbLb1EEEEDaS1Q_S1R_EUlS1Q_E_NS1_11comp_targetILNS1_3genE4ELNS1_11target_archE910ELNS1_3gpuE8ELNS1_3repE0EEENS1_30default_config_static_selectorELNS0_4arch9wavefront6targetE1EEEvS13_,comdat
.Lfunc_end1802:
	.size	_ZN7rocprim17ROCPRIM_400000_NS6detail17trampoline_kernelINS0_13select_configILj256ELj13ELNS0_17block_load_methodE3ELS4_3ELS4_3ELNS0_20block_scan_algorithmE0ELj4294967295EEENS1_25partition_config_selectorILNS1_17partition_subalgoE4EjNS0_10empty_typeEbEEZZNS1_14partition_implILS8_4ELb0ES6_15HIP_vector_typeIjLj2EENS0_17counting_iteratorIjlEEPS9_SG_NS0_5tupleIJPjSI_NS0_16reverse_iteratorISI_EEEEENSH_IJSG_SG_SG_EEES9_SI_JZNS1_25segmented_radix_sort_implINS0_14default_configELb0EPK6__halfPSP_PKlPlN2at6native12_GLOBAL__N_18offset_tEEE10hipError_tPvRmT1_PNSt15iterator_traitsIS13_E10value_typeET2_T3_PNS14_IS19_E10value_typeET4_jRbjT5_S1F_jjP12ihipStream_tbEUljE_ZNSN_ISO_Lb0ESR_SS_SU_SV_SZ_EES10_S11_S12_S13_S17_S18_S19_S1C_S1D_jS1E_jS1F_S1F_jjS1H_bEUljE0_EEES10_S11_S12_S19_S1D_S1F_T6_T7_T9_mT8_S1H_bDpT10_ENKUlT_T0_E_clISt17integral_constantIbLb0EES1U_IbLb1EEEEDaS1Q_S1R_EUlS1Q_E_NS1_11comp_targetILNS1_3genE4ELNS1_11target_archE910ELNS1_3gpuE8ELNS1_3repE0EEENS1_30default_config_static_selectorELNS0_4arch9wavefront6targetE1EEEvS13_, .Lfunc_end1802-_ZN7rocprim17ROCPRIM_400000_NS6detail17trampoline_kernelINS0_13select_configILj256ELj13ELNS0_17block_load_methodE3ELS4_3ELS4_3ELNS0_20block_scan_algorithmE0ELj4294967295EEENS1_25partition_config_selectorILNS1_17partition_subalgoE4EjNS0_10empty_typeEbEEZZNS1_14partition_implILS8_4ELb0ES6_15HIP_vector_typeIjLj2EENS0_17counting_iteratorIjlEEPS9_SG_NS0_5tupleIJPjSI_NS0_16reverse_iteratorISI_EEEEENSH_IJSG_SG_SG_EEES9_SI_JZNS1_25segmented_radix_sort_implINS0_14default_configELb0EPK6__halfPSP_PKlPlN2at6native12_GLOBAL__N_18offset_tEEE10hipError_tPvRmT1_PNSt15iterator_traitsIS13_E10value_typeET2_T3_PNS14_IS19_E10value_typeET4_jRbjT5_S1F_jjP12ihipStream_tbEUljE_ZNSN_ISO_Lb0ESR_SS_SU_SV_SZ_EES10_S11_S12_S13_S17_S18_S19_S1C_S1D_jS1E_jS1F_S1F_jjS1H_bEUljE0_EEES10_S11_S12_S19_S1D_S1F_T6_T7_T9_mT8_S1H_bDpT10_ENKUlT_T0_E_clISt17integral_constantIbLb0EES1U_IbLb1EEEEDaS1Q_S1R_EUlS1Q_E_NS1_11comp_targetILNS1_3genE4ELNS1_11target_archE910ELNS1_3gpuE8ELNS1_3repE0EEENS1_30default_config_static_selectorELNS0_4arch9wavefront6targetE1EEEvS13_
                                        ; -- End function
	.section	.AMDGPU.csdata,"",@progbits
; Kernel info:
; codeLenInByte = 13432
; NumSgprs: 91
; NumVgprs: 107
; NumAgprs: 0
; TotalNumVgprs: 107
; ScratchSize: 0
; MemoryBound: 0
; FloatMode: 240
; IeeeMode: 1
; LDSByteSize: 13340 bytes/workgroup (compile time only)
; SGPRBlocks: 11
; VGPRBlocks: 13
; NumSGPRsForWavesPerEU: 91
; NumVGPRsForWavesPerEU: 107
; AccumOffset: 108
; Occupancy: 4
; WaveLimiterHint : 1
; COMPUTE_PGM_RSRC2:SCRATCH_EN: 0
; COMPUTE_PGM_RSRC2:USER_SGPR: 6
; COMPUTE_PGM_RSRC2:TRAP_HANDLER: 0
; COMPUTE_PGM_RSRC2:TGID_X_EN: 1
; COMPUTE_PGM_RSRC2:TGID_Y_EN: 0
; COMPUTE_PGM_RSRC2:TGID_Z_EN: 0
; COMPUTE_PGM_RSRC2:TIDIG_COMP_CNT: 0
; COMPUTE_PGM_RSRC3_GFX90A:ACCUM_OFFSET: 26
; COMPUTE_PGM_RSRC3_GFX90A:TG_SPLIT: 0
	.section	.text._ZN7rocprim17ROCPRIM_400000_NS6detail17trampoline_kernelINS0_13select_configILj256ELj13ELNS0_17block_load_methodE3ELS4_3ELS4_3ELNS0_20block_scan_algorithmE0ELj4294967295EEENS1_25partition_config_selectorILNS1_17partition_subalgoE4EjNS0_10empty_typeEbEEZZNS1_14partition_implILS8_4ELb0ES6_15HIP_vector_typeIjLj2EENS0_17counting_iteratorIjlEEPS9_SG_NS0_5tupleIJPjSI_NS0_16reverse_iteratorISI_EEEEENSH_IJSG_SG_SG_EEES9_SI_JZNS1_25segmented_radix_sort_implINS0_14default_configELb0EPK6__halfPSP_PKlPlN2at6native12_GLOBAL__N_18offset_tEEE10hipError_tPvRmT1_PNSt15iterator_traitsIS13_E10value_typeET2_T3_PNS14_IS19_E10value_typeET4_jRbjT5_S1F_jjP12ihipStream_tbEUljE_ZNSN_ISO_Lb0ESR_SS_SU_SV_SZ_EES10_S11_S12_S13_S17_S18_S19_S1C_S1D_jS1E_jS1F_S1F_jjS1H_bEUljE0_EEES10_S11_S12_S19_S1D_S1F_T6_T7_T9_mT8_S1H_bDpT10_ENKUlT_T0_E_clISt17integral_constantIbLb0EES1U_IbLb1EEEEDaS1Q_S1R_EUlS1Q_E_NS1_11comp_targetILNS1_3genE3ELNS1_11target_archE908ELNS1_3gpuE7ELNS1_3repE0EEENS1_30default_config_static_selectorELNS0_4arch9wavefront6targetE1EEEvS13_,"axG",@progbits,_ZN7rocprim17ROCPRIM_400000_NS6detail17trampoline_kernelINS0_13select_configILj256ELj13ELNS0_17block_load_methodE3ELS4_3ELS4_3ELNS0_20block_scan_algorithmE0ELj4294967295EEENS1_25partition_config_selectorILNS1_17partition_subalgoE4EjNS0_10empty_typeEbEEZZNS1_14partition_implILS8_4ELb0ES6_15HIP_vector_typeIjLj2EENS0_17counting_iteratorIjlEEPS9_SG_NS0_5tupleIJPjSI_NS0_16reverse_iteratorISI_EEEEENSH_IJSG_SG_SG_EEES9_SI_JZNS1_25segmented_radix_sort_implINS0_14default_configELb0EPK6__halfPSP_PKlPlN2at6native12_GLOBAL__N_18offset_tEEE10hipError_tPvRmT1_PNSt15iterator_traitsIS13_E10value_typeET2_T3_PNS14_IS19_E10value_typeET4_jRbjT5_S1F_jjP12ihipStream_tbEUljE_ZNSN_ISO_Lb0ESR_SS_SU_SV_SZ_EES10_S11_S12_S13_S17_S18_S19_S1C_S1D_jS1E_jS1F_S1F_jjS1H_bEUljE0_EEES10_S11_S12_S19_S1D_S1F_T6_T7_T9_mT8_S1H_bDpT10_ENKUlT_T0_E_clISt17integral_constantIbLb0EES1U_IbLb1EEEEDaS1Q_S1R_EUlS1Q_E_NS1_11comp_targetILNS1_3genE3ELNS1_11target_archE908ELNS1_3gpuE7ELNS1_3repE0EEENS1_30default_config_static_selectorELNS0_4arch9wavefront6targetE1EEEvS13_,comdat
	.globl	_ZN7rocprim17ROCPRIM_400000_NS6detail17trampoline_kernelINS0_13select_configILj256ELj13ELNS0_17block_load_methodE3ELS4_3ELS4_3ELNS0_20block_scan_algorithmE0ELj4294967295EEENS1_25partition_config_selectorILNS1_17partition_subalgoE4EjNS0_10empty_typeEbEEZZNS1_14partition_implILS8_4ELb0ES6_15HIP_vector_typeIjLj2EENS0_17counting_iteratorIjlEEPS9_SG_NS0_5tupleIJPjSI_NS0_16reverse_iteratorISI_EEEEENSH_IJSG_SG_SG_EEES9_SI_JZNS1_25segmented_radix_sort_implINS0_14default_configELb0EPK6__halfPSP_PKlPlN2at6native12_GLOBAL__N_18offset_tEEE10hipError_tPvRmT1_PNSt15iterator_traitsIS13_E10value_typeET2_T3_PNS14_IS19_E10value_typeET4_jRbjT5_S1F_jjP12ihipStream_tbEUljE_ZNSN_ISO_Lb0ESR_SS_SU_SV_SZ_EES10_S11_S12_S13_S17_S18_S19_S1C_S1D_jS1E_jS1F_S1F_jjS1H_bEUljE0_EEES10_S11_S12_S19_S1D_S1F_T6_T7_T9_mT8_S1H_bDpT10_ENKUlT_T0_E_clISt17integral_constantIbLb0EES1U_IbLb1EEEEDaS1Q_S1R_EUlS1Q_E_NS1_11comp_targetILNS1_3genE3ELNS1_11target_archE908ELNS1_3gpuE7ELNS1_3repE0EEENS1_30default_config_static_selectorELNS0_4arch9wavefront6targetE1EEEvS13_ ; -- Begin function _ZN7rocprim17ROCPRIM_400000_NS6detail17trampoline_kernelINS0_13select_configILj256ELj13ELNS0_17block_load_methodE3ELS4_3ELS4_3ELNS0_20block_scan_algorithmE0ELj4294967295EEENS1_25partition_config_selectorILNS1_17partition_subalgoE4EjNS0_10empty_typeEbEEZZNS1_14partition_implILS8_4ELb0ES6_15HIP_vector_typeIjLj2EENS0_17counting_iteratorIjlEEPS9_SG_NS0_5tupleIJPjSI_NS0_16reverse_iteratorISI_EEEEENSH_IJSG_SG_SG_EEES9_SI_JZNS1_25segmented_radix_sort_implINS0_14default_configELb0EPK6__halfPSP_PKlPlN2at6native12_GLOBAL__N_18offset_tEEE10hipError_tPvRmT1_PNSt15iterator_traitsIS13_E10value_typeET2_T3_PNS14_IS19_E10value_typeET4_jRbjT5_S1F_jjP12ihipStream_tbEUljE_ZNSN_ISO_Lb0ESR_SS_SU_SV_SZ_EES10_S11_S12_S13_S17_S18_S19_S1C_S1D_jS1E_jS1F_S1F_jjS1H_bEUljE0_EEES10_S11_S12_S19_S1D_S1F_T6_T7_T9_mT8_S1H_bDpT10_ENKUlT_T0_E_clISt17integral_constantIbLb0EES1U_IbLb1EEEEDaS1Q_S1R_EUlS1Q_E_NS1_11comp_targetILNS1_3genE3ELNS1_11target_archE908ELNS1_3gpuE7ELNS1_3repE0EEENS1_30default_config_static_selectorELNS0_4arch9wavefront6targetE1EEEvS13_
	.p2align	8
	.type	_ZN7rocprim17ROCPRIM_400000_NS6detail17trampoline_kernelINS0_13select_configILj256ELj13ELNS0_17block_load_methodE3ELS4_3ELS4_3ELNS0_20block_scan_algorithmE0ELj4294967295EEENS1_25partition_config_selectorILNS1_17partition_subalgoE4EjNS0_10empty_typeEbEEZZNS1_14partition_implILS8_4ELb0ES6_15HIP_vector_typeIjLj2EENS0_17counting_iteratorIjlEEPS9_SG_NS0_5tupleIJPjSI_NS0_16reverse_iteratorISI_EEEEENSH_IJSG_SG_SG_EEES9_SI_JZNS1_25segmented_radix_sort_implINS0_14default_configELb0EPK6__halfPSP_PKlPlN2at6native12_GLOBAL__N_18offset_tEEE10hipError_tPvRmT1_PNSt15iterator_traitsIS13_E10value_typeET2_T3_PNS14_IS19_E10value_typeET4_jRbjT5_S1F_jjP12ihipStream_tbEUljE_ZNSN_ISO_Lb0ESR_SS_SU_SV_SZ_EES10_S11_S12_S13_S17_S18_S19_S1C_S1D_jS1E_jS1F_S1F_jjS1H_bEUljE0_EEES10_S11_S12_S19_S1D_S1F_T6_T7_T9_mT8_S1H_bDpT10_ENKUlT_T0_E_clISt17integral_constantIbLb0EES1U_IbLb1EEEEDaS1Q_S1R_EUlS1Q_E_NS1_11comp_targetILNS1_3genE3ELNS1_11target_archE908ELNS1_3gpuE7ELNS1_3repE0EEENS1_30default_config_static_selectorELNS0_4arch9wavefront6targetE1EEEvS13_,@function
_ZN7rocprim17ROCPRIM_400000_NS6detail17trampoline_kernelINS0_13select_configILj256ELj13ELNS0_17block_load_methodE3ELS4_3ELS4_3ELNS0_20block_scan_algorithmE0ELj4294967295EEENS1_25partition_config_selectorILNS1_17partition_subalgoE4EjNS0_10empty_typeEbEEZZNS1_14partition_implILS8_4ELb0ES6_15HIP_vector_typeIjLj2EENS0_17counting_iteratorIjlEEPS9_SG_NS0_5tupleIJPjSI_NS0_16reverse_iteratorISI_EEEEENSH_IJSG_SG_SG_EEES9_SI_JZNS1_25segmented_radix_sort_implINS0_14default_configELb0EPK6__halfPSP_PKlPlN2at6native12_GLOBAL__N_18offset_tEEE10hipError_tPvRmT1_PNSt15iterator_traitsIS13_E10value_typeET2_T3_PNS14_IS19_E10value_typeET4_jRbjT5_S1F_jjP12ihipStream_tbEUljE_ZNSN_ISO_Lb0ESR_SS_SU_SV_SZ_EES10_S11_S12_S13_S17_S18_S19_S1C_S1D_jS1E_jS1F_S1F_jjS1H_bEUljE0_EEES10_S11_S12_S19_S1D_S1F_T6_T7_T9_mT8_S1H_bDpT10_ENKUlT_T0_E_clISt17integral_constantIbLb0EES1U_IbLb1EEEEDaS1Q_S1R_EUlS1Q_E_NS1_11comp_targetILNS1_3genE3ELNS1_11target_archE908ELNS1_3gpuE7ELNS1_3repE0EEENS1_30default_config_static_selectorELNS0_4arch9wavefront6targetE1EEEvS13_: ; @_ZN7rocprim17ROCPRIM_400000_NS6detail17trampoline_kernelINS0_13select_configILj256ELj13ELNS0_17block_load_methodE3ELS4_3ELS4_3ELNS0_20block_scan_algorithmE0ELj4294967295EEENS1_25partition_config_selectorILNS1_17partition_subalgoE4EjNS0_10empty_typeEbEEZZNS1_14partition_implILS8_4ELb0ES6_15HIP_vector_typeIjLj2EENS0_17counting_iteratorIjlEEPS9_SG_NS0_5tupleIJPjSI_NS0_16reverse_iteratorISI_EEEEENSH_IJSG_SG_SG_EEES9_SI_JZNS1_25segmented_radix_sort_implINS0_14default_configELb0EPK6__halfPSP_PKlPlN2at6native12_GLOBAL__N_18offset_tEEE10hipError_tPvRmT1_PNSt15iterator_traitsIS13_E10value_typeET2_T3_PNS14_IS19_E10value_typeET4_jRbjT5_S1F_jjP12ihipStream_tbEUljE_ZNSN_ISO_Lb0ESR_SS_SU_SV_SZ_EES10_S11_S12_S13_S17_S18_S19_S1C_S1D_jS1E_jS1F_S1F_jjS1H_bEUljE0_EEES10_S11_S12_S19_S1D_S1F_T6_T7_T9_mT8_S1H_bDpT10_ENKUlT_T0_E_clISt17integral_constantIbLb0EES1U_IbLb1EEEEDaS1Q_S1R_EUlS1Q_E_NS1_11comp_targetILNS1_3genE3ELNS1_11target_archE908ELNS1_3gpuE7ELNS1_3repE0EEENS1_30default_config_static_selectorELNS0_4arch9wavefront6targetE1EEEvS13_
; %bb.0:
	.section	.rodata,"a",@progbits
	.p2align	6, 0x0
	.amdhsa_kernel _ZN7rocprim17ROCPRIM_400000_NS6detail17trampoline_kernelINS0_13select_configILj256ELj13ELNS0_17block_load_methodE3ELS4_3ELS4_3ELNS0_20block_scan_algorithmE0ELj4294967295EEENS1_25partition_config_selectorILNS1_17partition_subalgoE4EjNS0_10empty_typeEbEEZZNS1_14partition_implILS8_4ELb0ES6_15HIP_vector_typeIjLj2EENS0_17counting_iteratorIjlEEPS9_SG_NS0_5tupleIJPjSI_NS0_16reverse_iteratorISI_EEEEENSH_IJSG_SG_SG_EEES9_SI_JZNS1_25segmented_radix_sort_implINS0_14default_configELb0EPK6__halfPSP_PKlPlN2at6native12_GLOBAL__N_18offset_tEEE10hipError_tPvRmT1_PNSt15iterator_traitsIS13_E10value_typeET2_T3_PNS14_IS19_E10value_typeET4_jRbjT5_S1F_jjP12ihipStream_tbEUljE_ZNSN_ISO_Lb0ESR_SS_SU_SV_SZ_EES10_S11_S12_S13_S17_S18_S19_S1C_S1D_jS1E_jS1F_S1F_jjS1H_bEUljE0_EEES10_S11_S12_S19_S1D_S1F_T6_T7_T9_mT8_S1H_bDpT10_ENKUlT_T0_E_clISt17integral_constantIbLb0EES1U_IbLb1EEEEDaS1Q_S1R_EUlS1Q_E_NS1_11comp_targetILNS1_3genE3ELNS1_11target_archE908ELNS1_3gpuE7ELNS1_3repE0EEENS1_30default_config_static_selectorELNS0_4arch9wavefront6targetE1EEEvS13_
		.amdhsa_group_segment_fixed_size 0
		.amdhsa_private_segment_fixed_size 0
		.amdhsa_kernarg_size 184
		.amdhsa_user_sgpr_count 6
		.amdhsa_user_sgpr_private_segment_buffer 1
		.amdhsa_user_sgpr_dispatch_ptr 0
		.amdhsa_user_sgpr_queue_ptr 0
		.amdhsa_user_sgpr_kernarg_segment_ptr 1
		.amdhsa_user_sgpr_dispatch_id 0
		.amdhsa_user_sgpr_flat_scratch_init 0
		.amdhsa_user_sgpr_kernarg_preload_length 0
		.amdhsa_user_sgpr_kernarg_preload_offset 0
		.amdhsa_user_sgpr_private_segment_size 0
		.amdhsa_uses_dynamic_stack 0
		.amdhsa_system_sgpr_private_segment_wavefront_offset 0
		.amdhsa_system_sgpr_workgroup_id_x 1
		.amdhsa_system_sgpr_workgroup_id_y 0
		.amdhsa_system_sgpr_workgroup_id_z 0
		.amdhsa_system_sgpr_workgroup_info 0
		.amdhsa_system_vgpr_workitem_id 0
		.amdhsa_next_free_vgpr 1
		.amdhsa_next_free_sgpr 0
		.amdhsa_accum_offset 4
		.amdhsa_reserve_vcc 0
		.amdhsa_reserve_flat_scratch 0
		.amdhsa_float_round_mode_32 0
		.amdhsa_float_round_mode_16_64 0
		.amdhsa_float_denorm_mode_32 3
		.amdhsa_float_denorm_mode_16_64 3
		.amdhsa_dx10_clamp 1
		.amdhsa_ieee_mode 1
		.amdhsa_fp16_overflow 0
		.amdhsa_tg_split 0
		.amdhsa_exception_fp_ieee_invalid_op 0
		.amdhsa_exception_fp_denorm_src 0
		.amdhsa_exception_fp_ieee_div_zero 0
		.amdhsa_exception_fp_ieee_overflow 0
		.amdhsa_exception_fp_ieee_underflow 0
		.amdhsa_exception_fp_ieee_inexact 0
		.amdhsa_exception_int_div_zero 0
	.end_amdhsa_kernel
	.section	.text._ZN7rocprim17ROCPRIM_400000_NS6detail17trampoline_kernelINS0_13select_configILj256ELj13ELNS0_17block_load_methodE3ELS4_3ELS4_3ELNS0_20block_scan_algorithmE0ELj4294967295EEENS1_25partition_config_selectorILNS1_17partition_subalgoE4EjNS0_10empty_typeEbEEZZNS1_14partition_implILS8_4ELb0ES6_15HIP_vector_typeIjLj2EENS0_17counting_iteratorIjlEEPS9_SG_NS0_5tupleIJPjSI_NS0_16reverse_iteratorISI_EEEEENSH_IJSG_SG_SG_EEES9_SI_JZNS1_25segmented_radix_sort_implINS0_14default_configELb0EPK6__halfPSP_PKlPlN2at6native12_GLOBAL__N_18offset_tEEE10hipError_tPvRmT1_PNSt15iterator_traitsIS13_E10value_typeET2_T3_PNS14_IS19_E10value_typeET4_jRbjT5_S1F_jjP12ihipStream_tbEUljE_ZNSN_ISO_Lb0ESR_SS_SU_SV_SZ_EES10_S11_S12_S13_S17_S18_S19_S1C_S1D_jS1E_jS1F_S1F_jjS1H_bEUljE0_EEES10_S11_S12_S19_S1D_S1F_T6_T7_T9_mT8_S1H_bDpT10_ENKUlT_T0_E_clISt17integral_constantIbLb0EES1U_IbLb1EEEEDaS1Q_S1R_EUlS1Q_E_NS1_11comp_targetILNS1_3genE3ELNS1_11target_archE908ELNS1_3gpuE7ELNS1_3repE0EEENS1_30default_config_static_selectorELNS0_4arch9wavefront6targetE1EEEvS13_,"axG",@progbits,_ZN7rocprim17ROCPRIM_400000_NS6detail17trampoline_kernelINS0_13select_configILj256ELj13ELNS0_17block_load_methodE3ELS4_3ELS4_3ELNS0_20block_scan_algorithmE0ELj4294967295EEENS1_25partition_config_selectorILNS1_17partition_subalgoE4EjNS0_10empty_typeEbEEZZNS1_14partition_implILS8_4ELb0ES6_15HIP_vector_typeIjLj2EENS0_17counting_iteratorIjlEEPS9_SG_NS0_5tupleIJPjSI_NS0_16reverse_iteratorISI_EEEEENSH_IJSG_SG_SG_EEES9_SI_JZNS1_25segmented_radix_sort_implINS0_14default_configELb0EPK6__halfPSP_PKlPlN2at6native12_GLOBAL__N_18offset_tEEE10hipError_tPvRmT1_PNSt15iterator_traitsIS13_E10value_typeET2_T3_PNS14_IS19_E10value_typeET4_jRbjT5_S1F_jjP12ihipStream_tbEUljE_ZNSN_ISO_Lb0ESR_SS_SU_SV_SZ_EES10_S11_S12_S13_S17_S18_S19_S1C_S1D_jS1E_jS1F_S1F_jjS1H_bEUljE0_EEES10_S11_S12_S19_S1D_S1F_T6_T7_T9_mT8_S1H_bDpT10_ENKUlT_T0_E_clISt17integral_constantIbLb0EES1U_IbLb1EEEEDaS1Q_S1R_EUlS1Q_E_NS1_11comp_targetILNS1_3genE3ELNS1_11target_archE908ELNS1_3gpuE7ELNS1_3repE0EEENS1_30default_config_static_selectorELNS0_4arch9wavefront6targetE1EEEvS13_,comdat
.Lfunc_end1803:
	.size	_ZN7rocprim17ROCPRIM_400000_NS6detail17trampoline_kernelINS0_13select_configILj256ELj13ELNS0_17block_load_methodE3ELS4_3ELS4_3ELNS0_20block_scan_algorithmE0ELj4294967295EEENS1_25partition_config_selectorILNS1_17partition_subalgoE4EjNS0_10empty_typeEbEEZZNS1_14partition_implILS8_4ELb0ES6_15HIP_vector_typeIjLj2EENS0_17counting_iteratorIjlEEPS9_SG_NS0_5tupleIJPjSI_NS0_16reverse_iteratorISI_EEEEENSH_IJSG_SG_SG_EEES9_SI_JZNS1_25segmented_radix_sort_implINS0_14default_configELb0EPK6__halfPSP_PKlPlN2at6native12_GLOBAL__N_18offset_tEEE10hipError_tPvRmT1_PNSt15iterator_traitsIS13_E10value_typeET2_T3_PNS14_IS19_E10value_typeET4_jRbjT5_S1F_jjP12ihipStream_tbEUljE_ZNSN_ISO_Lb0ESR_SS_SU_SV_SZ_EES10_S11_S12_S13_S17_S18_S19_S1C_S1D_jS1E_jS1F_S1F_jjS1H_bEUljE0_EEES10_S11_S12_S19_S1D_S1F_T6_T7_T9_mT8_S1H_bDpT10_ENKUlT_T0_E_clISt17integral_constantIbLb0EES1U_IbLb1EEEEDaS1Q_S1R_EUlS1Q_E_NS1_11comp_targetILNS1_3genE3ELNS1_11target_archE908ELNS1_3gpuE7ELNS1_3repE0EEENS1_30default_config_static_selectorELNS0_4arch9wavefront6targetE1EEEvS13_, .Lfunc_end1803-_ZN7rocprim17ROCPRIM_400000_NS6detail17trampoline_kernelINS0_13select_configILj256ELj13ELNS0_17block_load_methodE3ELS4_3ELS4_3ELNS0_20block_scan_algorithmE0ELj4294967295EEENS1_25partition_config_selectorILNS1_17partition_subalgoE4EjNS0_10empty_typeEbEEZZNS1_14partition_implILS8_4ELb0ES6_15HIP_vector_typeIjLj2EENS0_17counting_iteratorIjlEEPS9_SG_NS0_5tupleIJPjSI_NS0_16reverse_iteratorISI_EEEEENSH_IJSG_SG_SG_EEES9_SI_JZNS1_25segmented_radix_sort_implINS0_14default_configELb0EPK6__halfPSP_PKlPlN2at6native12_GLOBAL__N_18offset_tEEE10hipError_tPvRmT1_PNSt15iterator_traitsIS13_E10value_typeET2_T3_PNS14_IS19_E10value_typeET4_jRbjT5_S1F_jjP12ihipStream_tbEUljE_ZNSN_ISO_Lb0ESR_SS_SU_SV_SZ_EES10_S11_S12_S13_S17_S18_S19_S1C_S1D_jS1E_jS1F_S1F_jjS1H_bEUljE0_EEES10_S11_S12_S19_S1D_S1F_T6_T7_T9_mT8_S1H_bDpT10_ENKUlT_T0_E_clISt17integral_constantIbLb0EES1U_IbLb1EEEEDaS1Q_S1R_EUlS1Q_E_NS1_11comp_targetILNS1_3genE3ELNS1_11target_archE908ELNS1_3gpuE7ELNS1_3repE0EEENS1_30default_config_static_selectorELNS0_4arch9wavefront6targetE1EEEvS13_
                                        ; -- End function
	.section	.AMDGPU.csdata,"",@progbits
; Kernel info:
; codeLenInByte = 0
; NumSgprs: 4
; NumVgprs: 0
; NumAgprs: 0
; TotalNumVgprs: 0
; ScratchSize: 0
; MemoryBound: 0
; FloatMode: 240
; IeeeMode: 1
; LDSByteSize: 0 bytes/workgroup (compile time only)
; SGPRBlocks: 0
; VGPRBlocks: 0
; NumSGPRsForWavesPerEU: 4
; NumVGPRsForWavesPerEU: 1
; AccumOffset: 4
; Occupancy: 8
; WaveLimiterHint : 0
; COMPUTE_PGM_RSRC2:SCRATCH_EN: 0
; COMPUTE_PGM_RSRC2:USER_SGPR: 6
; COMPUTE_PGM_RSRC2:TRAP_HANDLER: 0
; COMPUTE_PGM_RSRC2:TGID_X_EN: 1
; COMPUTE_PGM_RSRC2:TGID_Y_EN: 0
; COMPUTE_PGM_RSRC2:TGID_Z_EN: 0
; COMPUTE_PGM_RSRC2:TIDIG_COMP_CNT: 0
; COMPUTE_PGM_RSRC3_GFX90A:ACCUM_OFFSET: 0
; COMPUTE_PGM_RSRC3_GFX90A:TG_SPLIT: 0
	.section	.text._ZN7rocprim17ROCPRIM_400000_NS6detail17trampoline_kernelINS0_13select_configILj256ELj13ELNS0_17block_load_methodE3ELS4_3ELS4_3ELNS0_20block_scan_algorithmE0ELj4294967295EEENS1_25partition_config_selectorILNS1_17partition_subalgoE4EjNS0_10empty_typeEbEEZZNS1_14partition_implILS8_4ELb0ES6_15HIP_vector_typeIjLj2EENS0_17counting_iteratorIjlEEPS9_SG_NS0_5tupleIJPjSI_NS0_16reverse_iteratorISI_EEEEENSH_IJSG_SG_SG_EEES9_SI_JZNS1_25segmented_radix_sort_implINS0_14default_configELb0EPK6__halfPSP_PKlPlN2at6native12_GLOBAL__N_18offset_tEEE10hipError_tPvRmT1_PNSt15iterator_traitsIS13_E10value_typeET2_T3_PNS14_IS19_E10value_typeET4_jRbjT5_S1F_jjP12ihipStream_tbEUljE_ZNSN_ISO_Lb0ESR_SS_SU_SV_SZ_EES10_S11_S12_S13_S17_S18_S19_S1C_S1D_jS1E_jS1F_S1F_jjS1H_bEUljE0_EEES10_S11_S12_S19_S1D_S1F_T6_T7_T9_mT8_S1H_bDpT10_ENKUlT_T0_E_clISt17integral_constantIbLb0EES1U_IbLb1EEEEDaS1Q_S1R_EUlS1Q_E_NS1_11comp_targetILNS1_3genE2ELNS1_11target_archE906ELNS1_3gpuE6ELNS1_3repE0EEENS1_30default_config_static_selectorELNS0_4arch9wavefront6targetE1EEEvS13_,"axG",@progbits,_ZN7rocprim17ROCPRIM_400000_NS6detail17trampoline_kernelINS0_13select_configILj256ELj13ELNS0_17block_load_methodE3ELS4_3ELS4_3ELNS0_20block_scan_algorithmE0ELj4294967295EEENS1_25partition_config_selectorILNS1_17partition_subalgoE4EjNS0_10empty_typeEbEEZZNS1_14partition_implILS8_4ELb0ES6_15HIP_vector_typeIjLj2EENS0_17counting_iteratorIjlEEPS9_SG_NS0_5tupleIJPjSI_NS0_16reverse_iteratorISI_EEEEENSH_IJSG_SG_SG_EEES9_SI_JZNS1_25segmented_radix_sort_implINS0_14default_configELb0EPK6__halfPSP_PKlPlN2at6native12_GLOBAL__N_18offset_tEEE10hipError_tPvRmT1_PNSt15iterator_traitsIS13_E10value_typeET2_T3_PNS14_IS19_E10value_typeET4_jRbjT5_S1F_jjP12ihipStream_tbEUljE_ZNSN_ISO_Lb0ESR_SS_SU_SV_SZ_EES10_S11_S12_S13_S17_S18_S19_S1C_S1D_jS1E_jS1F_S1F_jjS1H_bEUljE0_EEES10_S11_S12_S19_S1D_S1F_T6_T7_T9_mT8_S1H_bDpT10_ENKUlT_T0_E_clISt17integral_constantIbLb0EES1U_IbLb1EEEEDaS1Q_S1R_EUlS1Q_E_NS1_11comp_targetILNS1_3genE2ELNS1_11target_archE906ELNS1_3gpuE6ELNS1_3repE0EEENS1_30default_config_static_selectorELNS0_4arch9wavefront6targetE1EEEvS13_,comdat
	.globl	_ZN7rocprim17ROCPRIM_400000_NS6detail17trampoline_kernelINS0_13select_configILj256ELj13ELNS0_17block_load_methodE3ELS4_3ELS4_3ELNS0_20block_scan_algorithmE0ELj4294967295EEENS1_25partition_config_selectorILNS1_17partition_subalgoE4EjNS0_10empty_typeEbEEZZNS1_14partition_implILS8_4ELb0ES6_15HIP_vector_typeIjLj2EENS0_17counting_iteratorIjlEEPS9_SG_NS0_5tupleIJPjSI_NS0_16reverse_iteratorISI_EEEEENSH_IJSG_SG_SG_EEES9_SI_JZNS1_25segmented_radix_sort_implINS0_14default_configELb0EPK6__halfPSP_PKlPlN2at6native12_GLOBAL__N_18offset_tEEE10hipError_tPvRmT1_PNSt15iterator_traitsIS13_E10value_typeET2_T3_PNS14_IS19_E10value_typeET4_jRbjT5_S1F_jjP12ihipStream_tbEUljE_ZNSN_ISO_Lb0ESR_SS_SU_SV_SZ_EES10_S11_S12_S13_S17_S18_S19_S1C_S1D_jS1E_jS1F_S1F_jjS1H_bEUljE0_EEES10_S11_S12_S19_S1D_S1F_T6_T7_T9_mT8_S1H_bDpT10_ENKUlT_T0_E_clISt17integral_constantIbLb0EES1U_IbLb1EEEEDaS1Q_S1R_EUlS1Q_E_NS1_11comp_targetILNS1_3genE2ELNS1_11target_archE906ELNS1_3gpuE6ELNS1_3repE0EEENS1_30default_config_static_selectorELNS0_4arch9wavefront6targetE1EEEvS13_ ; -- Begin function _ZN7rocprim17ROCPRIM_400000_NS6detail17trampoline_kernelINS0_13select_configILj256ELj13ELNS0_17block_load_methodE3ELS4_3ELS4_3ELNS0_20block_scan_algorithmE0ELj4294967295EEENS1_25partition_config_selectorILNS1_17partition_subalgoE4EjNS0_10empty_typeEbEEZZNS1_14partition_implILS8_4ELb0ES6_15HIP_vector_typeIjLj2EENS0_17counting_iteratorIjlEEPS9_SG_NS0_5tupleIJPjSI_NS0_16reverse_iteratorISI_EEEEENSH_IJSG_SG_SG_EEES9_SI_JZNS1_25segmented_radix_sort_implINS0_14default_configELb0EPK6__halfPSP_PKlPlN2at6native12_GLOBAL__N_18offset_tEEE10hipError_tPvRmT1_PNSt15iterator_traitsIS13_E10value_typeET2_T3_PNS14_IS19_E10value_typeET4_jRbjT5_S1F_jjP12ihipStream_tbEUljE_ZNSN_ISO_Lb0ESR_SS_SU_SV_SZ_EES10_S11_S12_S13_S17_S18_S19_S1C_S1D_jS1E_jS1F_S1F_jjS1H_bEUljE0_EEES10_S11_S12_S19_S1D_S1F_T6_T7_T9_mT8_S1H_bDpT10_ENKUlT_T0_E_clISt17integral_constantIbLb0EES1U_IbLb1EEEEDaS1Q_S1R_EUlS1Q_E_NS1_11comp_targetILNS1_3genE2ELNS1_11target_archE906ELNS1_3gpuE6ELNS1_3repE0EEENS1_30default_config_static_selectorELNS0_4arch9wavefront6targetE1EEEvS13_
	.p2align	8
	.type	_ZN7rocprim17ROCPRIM_400000_NS6detail17trampoline_kernelINS0_13select_configILj256ELj13ELNS0_17block_load_methodE3ELS4_3ELS4_3ELNS0_20block_scan_algorithmE0ELj4294967295EEENS1_25partition_config_selectorILNS1_17partition_subalgoE4EjNS0_10empty_typeEbEEZZNS1_14partition_implILS8_4ELb0ES6_15HIP_vector_typeIjLj2EENS0_17counting_iteratorIjlEEPS9_SG_NS0_5tupleIJPjSI_NS0_16reverse_iteratorISI_EEEEENSH_IJSG_SG_SG_EEES9_SI_JZNS1_25segmented_radix_sort_implINS0_14default_configELb0EPK6__halfPSP_PKlPlN2at6native12_GLOBAL__N_18offset_tEEE10hipError_tPvRmT1_PNSt15iterator_traitsIS13_E10value_typeET2_T3_PNS14_IS19_E10value_typeET4_jRbjT5_S1F_jjP12ihipStream_tbEUljE_ZNSN_ISO_Lb0ESR_SS_SU_SV_SZ_EES10_S11_S12_S13_S17_S18_S19_S1C_S1D_jS1E_jS1F_S1F_jjS1H_bEUljE0_EEES10_S11_S12_S19_S1D_S1F_T6_T7_T9_mT8_S1H_bDpT10_ENKUlT_T0_E_clISt17integral_constantIbLb0EES1U_IbLb1EEEEDaS1Q_S1R_EUlS1Q_E_NS1_11comp_targetILNS1_3genE2ELNS1_11target_archE906ELNS1_3gpuE6ELNS1_3repE0EEENS1_30default_config_static_selectorELNS0_4arch9wavefront6targetE1EEEvS13_,@function
_ZN7rocprim17ROCPRIM_400000_NS6detail17trampoline_kernelINS0_13select_configILj256ELj13ELNS0_17block_load_methodE3ELS4_3ELS4_3ELNS0_20block_scan_algorithmE0ELj4294967295EEENS1_25partition_config_selectorILNS1_17partition_subalgoE4EjNS0_10empty_typeEbEEZZNS1_14partition_implILS8_4ELb0ES6_15HIP_vector_typeIjLj2EENS0_17counting_iteratorIjlEEPS9_SG_NS0_5tupleIJPjSI_NS0_16reverse_iteratorISI_EEEEENSH_IJSG_SG_SG_EEES9_SI_JZNS1_25segmented_radix_sort_implINS0_14default_configELb0EPK6__halfPSP_PKlPlN2at6native12_GLOBAL__N_18offset_tEEE10hipError_tPvRmT1_PNSt15iterator_traitsIS13_E10value_typeET2_T3_PNS14_IS19_E10value_typeET4_jRbjT5_S1F_jjP12ihipStream_tbEUljE_ZNSN_ISO_Lb0ESR_SS_SU_SV_SZ_EES10_S11_S12_S13_S17_S18_S19_S1C_S1D_jS1E_jS1F_S1F_jjS1H_bEUljE0_EEES10_S11_S12_S19_S1D_S1F_T6_T7_T9_mT8_S1H_bDpT10_ENKUlT_T0_E_clISt17integral_constantIbLb0EES1U_IbLb1EEEEDaS1Q_S1R_EUlS1Q_E_NS1_11comp_targetILNS1_3genE2ELNS1_11target_archE906ELNS1_3gpuE6ELNS1_3repE0EEENS1_30default_config_static_selectorELNS0_4arch9wavefront6targetE1EEEvS13_: ; @_ZN7rocprim17ROCPRIM_400000_NS6detail17trampoline_kernelINS0_13select_configILj256ELj13ELNS0_17block_load_methodE3ELS4_3ELS4_3ELNS0_20block_scan_algorithmE0ELj4294967295EEENS1_25partition_config_selectorILNS1_17partition_subalgoE4EjNS0_10empty_typeEbEEZZNS1_14partition_implILS8_4ELb0ES6_15HIP_vector_typeIjLj2EENS0_17counting_iteratorIjlEEPS9_SG_NS0_5tupleIJPjSI_NS0_16reverse_iteratorISI_EEEEENSH_IJSG_SG_SG_EEES9_SI_JZNS1_25segmented_radix_sort_implINS0_14default_configELb0EPK6__halfPSP_PKlPlN2at6native12_GLOBAL__N_18offset_tEEE10hipError_tPvRmT1_PNSt15iterator_traitsIS13_E10value_typeET2_T3_PNS14_IS19_E10value_typeET4_jRbjT5_S1F_jjP12ihipStream_tbEUljE_ZNSN_ISO_Lb0ESR_SS_SU_SV_SZ_EES10_S11_S12_S13_S17_S18_S19_S1C_S1D_jS1E_jS1F_S1F_jjS1H_bEUljE0_EEES10_S11_S12_S19_S1D_S1F_T6_T7_T9_mT8_S1H_bDpT10_ENKUlT_T0_E_clISt17integral_constantIbLb0EES1U_IbLb1EEEEDaS1Q_S1R_EUlS1Q_E_NS1_11comp_targetILNS1_3genE2ELNS1_11target_archE906ELNS1_3gpuE6ELNS1_3repE0EEENS1_30default_config_static_selectorELNS0_4arch9wavefront6targetE1EEEvS13_
; %bb.0:
	.section	.rodata,"a",@progbits
	.p2align	6, 0x0
	.amdhsa_kernel _ZN7rocprim17ROCPRIM_400000_NS6detail17trampoline_kernelINS0_13select_configILj256ELj13ELNS0_17block_load_methodE3ELS4_3ELS4_3ELNS0_20block_scan_algorithmE0ELj4294967295EEENS1_25partition_config_selectorILNS1_17partition_subalgoE4EjNS0_10empty_typeEbEEZZNS1_14partition_implILS8_4ELb0ES6_15HIP_vector_typeIjLj2EENS0_17counting_iteratorIjlEEPS9_SG_NS0_5tupleIJPjSI_NS0_16reverse_iteratorISI_EEEEENSH_IJSG_SG_SG_EEES9_SI_JZNS1_25segmented_radix_sort_implINS0_14default_configELb0EPK6__halfPSP_PKlPlN2at6native12_GLOBAL__N_18offset_tEEE10hipError_tPvRmT1_PNSt15iterator_traitsIS13_E10value_typeET2_T3_PNS14_IS19_E10value_typeET4_jRbjT5_S1F_jjP12ihipStream_tbEUljE_ZNSN_ISO_Lb0ESR_SS_SU_SV_SZ_EES10_S11_S12_S13_S17_S18_S19_S1C_S1D_jS1E_jS1F_S1F_jjS1H_bEUljE0_EEES10_S11_S12_S19_S1D_S1F_T6_T7_T9_mT8_S1H_bDpT10_ENKUlT_T0_E_clISt17integral_constantIbLb0EES1U_IbLb1EEEEDaS1Q_S1R_EUlS1Q_E_NS1_11comp_targetILNS1_3genE2ELNS1_11target_archE906ELNS1_3gpuE6ELNS1_3repE0EEENS1_30default_config_static_selectorELNS0_4arch9wavefront6targetE1EEEvS13_
		.amdhsa_group_segment_fixed_size 0
		.amdhsa_private_segment_fixed_size 0
		.amdhsa_kernarg_size 184
		.amdhsa_user_sgpr_count 6
		.amdhsa_user_sgpr_private_segment_buffer 1
		.amdhsa_user_sgpr_dispatch_ptr 0
		.amdhsa_user_sgpr_queue_ptr 0
		.amdhsa_user_sgpr_kernarg_segment_ptr 1
		.amdhsa_user_sgpr_dispatch_id 0
		.amdhsa_user_sgpr_flat_scratch_init 0
		.amdhsa_user_sgpr_kernarg_preload_length 0
		.amdhsa_user_sgpr_kernarg_preload_offset 0
		.amdhsa_user_sgpr_private_segment_size 0
		.amdhsa_uses_dynamic_stack 0
		.amdhsa_system_sgpr_private_segment_wavefront_offset 0
		.amdhsa_system_sgpr_workgroup_id_x 1
		.amdhsa_system_sgpr_workgroup_id_y 0
		.amdhsa_system_sgpr_workgroup_id_z 0
		.amdhsa_system_sgpr_workgroup_info 0
		.amdhsa_system_vgpr_workitem_id 0
		.amdhsa_next_free_vgpr 1
		.amdhsa_next_free_sgpr 0
		.amdhsa_accum_offset 4
		.amdhsa_reserve_vcc 0
		.amdhsa_reserve_flat_scratch 0
		.amdhsa_float_round_mode_32 0
		.amdhsa_float_round_mode_16_64 0
		.amdhsa_float_denorm_mode_32 3
		.amdhsa_float_denorm_mode_16_64 3
		.amdhsa_dx10_clamp 1
		.amdhsa_ieee_mode 1
		.amdhsa_fp16_overflow 0
		.amdhsa_tg_split 0
		.amdhsa_exception_fp_ieee_invalid_op 0
		.amdhsa_exception_fp_denorm_src 0
		.amdhsa_exception_fp_ieee_div_zero 0
		.amdhsa_exception_fp_ieee_overflow 0
		.amdhsa_exception_fp_ieee_underflow 0
		.amdhsa_exception_fp_ieee_inexact 0
		.amdhsa_exception_int_div_zero 0
	.end_amdhsa_kernel
	.section	.text._ZN7rocprim17ROCPRIM_400000_NS6detail17trampoline_kernelINS0_13select_configILj256ELj13ELNS0_17block_load_methodE3ELS4_3ELS4_3ELNS0_20block_scan_algorithmE0ELj4294967295EEENS1_25partition_config_selectorILNS1_17partition_subalgoE4EjNS0_10empty_typeEbEEZZNS1_14partition_implILS8_4ELb0ES6_15HIP_vector_typeIjLj2EENS0_17counting_iteratorIjlEEPS9_SG_NS0_5tupleIJPjSI_NS0_16reverse_iteratorISI_EEEEENSH_IJSG_SG_SG_EEES9_SI_JZNS1_25segmented_radix_sort_implINS0_14default_configELb0EPK6__halfPSP_PKlPlN2at6native12_GLOBAL__N_18offset_tEEE10hipError_tPvRmT1_PNSt15iterator_traitsIS13_E10value_typeET2_T3_PNS14_IS19_E10value_typeET4_jRbjT5_S1F_jjP12ihipStream_tbEUljE_ZNSN_ISO_Lb0ESR_SS_SU_SV_SZ_EES10_S11_S12_S13_S17_S18_S19_S1C_S1D_jS1E_jS1F_S1F_jjS1H_bEUljE0_EEES10_S11_S12_S19_S1D_S1F_T6_T7_T9_mT8_S1H_bDpT10_ENKUlT_T0_E_clISt17integral_constantIbLb0EES1U_IbLb1EEEEDaS1Q_S1R_EUlS1Q_E_NS1_11comp_targetILNS1_3genE2ELNS1_11target_archE906ELNS1_3gpuE6ELNS1_3repE0EEENS1_30default_config_static_selectorELNS0_4arch9wavefront6targetE1EEEvS13_,"axG",@progbits,_ZN7rocprim17ROCPRIM_400000_NS6detail17trampoline_kernelINS0_13select_configILj256ELj13ELNS0_17block_load_methodE3ELS4_3ELS4_3ELNS0_20block_scan_algorithmE0ELj4294967295EEENS1_25partition_config_selectorILNS1_17partition_subalgoE4EjNS0_10empty_typeEbEEZZNS1_14partition_implILS8_4ELb0ES6_15HIP_vector_typeIjLj2EENS0_17counting_iteratorIjlEEPS9_SG_NS0_5tupleIJPjSI_NS0_16reverse_iteratorISI_EEEEENSH_IJSG_SG_SG_EEES9_SI_JZNS1_25segmented_radix_sort_implINS0_14default_configELb0EPK6__halfPSP_PKlPlN2at6native12_GLOBAL__N_18offset_tEEE10hipError_tPvRmT1_PNSt15iterator_traitsIS13_E10value_typeET2_T3_PNS14_IS19_E10value_typeET4_jRbjT5_S1F_jjP12ihipStream_tbEUljE_ZNSN_ISO_Lb0ESR_SS_SU_SV_SZ_EES10_S11_S12_S13_S17_S18_S19_S1C_S1D_jS1E_jS1F_S1F_jjS1H_bEUljE0_EEES10_S11_S12_S19_S1D_S1F_T6_T7_T9_mT8_S1H_bDpT10_ENKUlT_T0_E_clISt17integral_constantIbLb0EES1U_IbLb1EEEEDaS1Q_S1R_EUlS1Q_E_NS1_11comp_targetILNS1_3genE2ELNS1_11target_archE906ELNS1_3gpuE6ELNS1_3repE0EEENS1_30default_config_static_selectorELNS0_4arch9wavefront6targetE1EEEvS13_,comdat
.Lfunc_end1804:
	.size	_ZN7rocprim17ROCPRIM_400000_NS6detail17trampoline_kernelINS0_13select_configILj256ELj13ELNS0_17block_load_methodE3ELS4_3ELS4_3ELNS0_20block_scan_algorithmE0ELj4294967295EEENS1_25partition_config_selectorILNS1_17partition_subalgoE4EjNS0_10empty_typeEbEEZZNS1_14partition_implILS8_4ELb0ES6_15HIP_vector_typeIjLj2EENS0_17counting_iteratorIjlEEPS9_SG_NS0_5tupleIJPjSI_NS0_16reverse_iteratorISI_EEEEENSH_IJSG_SG_SG_EEES9_SI_JZNS1_25segmented_radix_sort_implINS0_14default_configELb0EPK6__halfPSP_PKlPlN2at6native12_GLOBAL__N_18offset_tEEE10hipError_tPvRmT1_PNSt15iterator_traitsIS13_E10value_typeET2_T3_PNS14_IS19_E10value_typeET4_jRbjT5_S1F_jjP12ihipStream_tbEUljE_ZNSN_ISO_Lb0ESR_SS_SU_SV_SZ_EES10_S11_S12_S13_S17_S18_S19_S1C_S1D_jS1E_jS1F_S1F_jjS1H_bEUljE0_EEES10_S11_S12_S19_S1D_S1F_T6_T7_T9_mT8_S1H_bDpT10_ENKUlT_T0_E_clISt17integral_constantIbLb0EES1U_IbLb1EEEEDaS1Q_S1R_EUlS1Q_E_NS1_11comp_targetILNS1_3genE2ELNS1_11target_archE906ELNS1_3gpuE6ELNS1_3repE0EEENS1_30default_config_static_selectorELNS0_4arch9wavefront6targetE1EEEvS13_, .Lfunc_end1804-_ZN7rocprim17ROCPRIM_400000_NS6detail17trampoline_kernelINS0_13select_configILj256ELj13ELNS0_17block_load_methodE3ELS4_3ELS4_3ELNS0_20block_scan_algorithmE0ELj4294967295EEENS1_25partition_config_selectorILNS1_17partition_subalgoE4EjNS0_10empty_typeEbEEZZNS1_14partition_implILS8_4ELb0ES6_15HIP_vector_typeIjLj2EENS0_17counting_iteratorIjlEEPS9_SG_NS0_5tupleIJPjSI_NS0_16reverse_iteratorISI_EEEEENSH_IJSG_SG_SG_EEES9_SI_JZNS1_25segmented_radix_sort_implINS0_14default_configELb0EPK6__halfPSP_PKlPlN2at6native12_GLOBAL__N_18offset_tEEE10hipError_tPvRmT1_PNSt15iterator_traitsIS13_E10value_typeET2_T3_PNS14_IS19_E10value_typeET4_jRbjT5_S1F_jjP12ihipStream_tbEUljE_ZNSN_ISO_Lb0ESR_SS_SU_SV_SZ_EES10_S11_S12_S13_S17_S18_S19_S1C_S1D_jS1E_jS1F_S1F_jjS1H_bEUljE0_EEES10_S11_S12_S19_S1D_S1F_T6_T7_T9_mT8_S1H_bDpT10_ENKUlT_T0_E_clISt17integral_constantIbLb0EES1U_IbLb1EEEEDaS1Q_S1R_EUlS1Q_E_NS1_11comp_targetILNS1_3genE2ELNS1_11target_archE906ELNS1_3gpuE6ELNS1_3repE0EEENS1_30default_config_static_selectorELNS0_4arch9wavefront6targetE1EEEvS13_
                                        ; -- End function
	.section	.AMDGPU.csdata,"",@progbits
; Kernel info:
; codeLenInByte = 0
; NumSgprs: 4
; NumVgprs: 0
; NumAgprs: 0
; TotalNumVgprs: 0
; ScratchSize: 0
; MemoryBound: 0
; FloatMode: 240
; IeeeMode: 1
; LDSByteSize: 0 bytes/workgroup (compile time only)
; SGPRBlocks: 0
; VGPRBlocks: 0
; NumSGPRsForWavesPerEU: 4
; NumVGPRsForWavesPerEU: 1
; AccumOffset: 4
; Occupancy: 8
; WaveLimiterHint : 0
; COMPUTE_PGM_RSRC2:SCRATCH_EN: 0
; COMPUTE_PGM_RSRC2:USER_SGPR: 6
; COMPUTE_PGM_RSRC2:TRAP_HANDLER: 0
; COMPUTE_PGM_RSRC2:TGID_X_EN: 1
; COMPUTE_PGM_RSRC2:TGID_Y_EN: 0
; COMPUTE_PGM_RSRC2:TGID_Z_EN: 0
; COMPUTE_PGM_RSRC2:TIDIG_COMP_CNT: 0
; COMPUTE_PGM_RSRC3_GFX90A:ACCUM_OFFSET: 0
; COMPUTE_PGM_RSRC3_GFX90A:TG_SPLIT: 0
	.section	.text._ZN7rocprim17ROCPRIM_400000_NS6detail17trampoline_kernelINS0_13select_configILj256ELj13ELNS0_17block_load_methodE3ELS4_3ELS4_3ELNS0_20block_scan_algorithmE0ELj4294967295EEENS1_25partition_config_selectorILNS1_17partition_subalgoE4EjNS0_10empty_typeEbEEZZNS1_14partition_implILS8_4ELb0ES6_15HIP_vector_typeIjLj2EENS0_17counting_iteratorIjlEEPS9_SG_NS0_5tupleIJPjSI_NS0_16reverse_iteratorISI_EEEEENSH_IJSG_SG_SG_EEES9_SI_JZNS1_25segmented_radix_sort_implINS0_14default_configELb0EPK6__halfPSP_PKlPlN2at6native12_GLOBAL__N_18offset_tEEE10hipError_tPvRmT1_PNSt15iterator_traitsIS13_E10value_typeET2_T3_PNS14_IS19_E10value_typeET4_jRbjT5_S1F_jjP12ihipStream_tbEUljE_ZNSN_ISO_Lb0ESR_SS_SU_SV_SZ_EES10_S11_S12_S13_S17_S18_S19_S1C_S1D_jS1E_jS1F_S1F_jjS1H_bEUljE0_EEES10_S11_S12_S19_S1D_S1F_T6_T7_T9_mT8_S1H_bDpT10_ENKUlT_T0_E_clISt17integral_constantIbLb0EES1U_IbLb1EEEEDaS1Q_S1R_EUlS1Q_E_NS1_11comp_targetILNS1_3genE10ELNS1_11target_archE1200ELNS1_3gpuE4ELNS1_3repE0EEENS1_30default_config_static_selectorELNS0_4arch9wavefront6targetE1EEEvS13_,"axG",@progbits,_ZN7rocprim17ROCPRIM_400000_NS6detail17trampoline_kernelINS0_13select_configILj256ELj13ELNS0_17block_load_methodE3ELS4_3ELS4_3ELNS0_20block_scan_algorithmE0ELj4294967295EEENS1_25partition_config_selectorILNS1_17partition_subalgoE4EjNS0_10empty_typeEbEEZZNS1_14partition_implILS8_4ELb0ES6_15HIP_vector_typeIjLj2EENS0_17counting_iteratorIjlEEPS9_SG_NS0_5tupleIJPjSI_NS0_16reverse_iteratorISI_EEEEENSH_IJSG_SG_SG_EEES9_SI_JZNS1_25segmented_radix_sort_implINS0_14default_configELb0EPK6__halfPSP_PKlPlN2at6native12_GLOBAL__N_18offset_tEEE10hipError_tPvRmT1_PNSt15iterator_traitsIS13_E10value_typeET2_T3_PNS14_IS19_E10value_typeET4_jRbjT5_S1F_jjP12ihipStream_tbEUljE_ZNSN_ISO_Lb0ESR_SS_SU_SV_SZ_EES10_S11_S12_S13_S17_S18_S19_S1C_S1D_jS1E_jS1F_S1F_jjS1H_bEUljE0_EEES10_S11_S12_S19_S1D_S1F_T6_T7_T9_mT8_S1H_bDpT10_ENKUlT_T0_E_clISt17integral_constantIbLb0EES1U_IbLb1EEEEDaS1Q_S1R_EUlS1Q_E_NS1_11comp_targetILNS1_3genE10ELNS1_11target_archE1200ELNS1_3gpuE4ELNS1_3repE0EEENS1_30default_config_static_selectorELNS0_4arch9wavefront6targetE1EEEvS13_,comdat
	.globl	_ZN7rocprim17ROCPRIM_400000_NS6detail17trampoline_kernelINS0_13select_configILj256ELj13ELNS0_17block_load_methodE3ELS4_3ELS4_3ELNS0_20block_scan_algorithmE0ELj4294967295EEENS1_25partition_config_selectorILNS1_17partition_subalgoE4EjNS0_10empty_typeEbEEZZNS1_14partition_implILS8_4ELb0ES6_15HIP_vector_typeIjLj2EENS0_17counting_iteratorIjlEEPS9_SG_NS0_5tupleIJPjSI_NS0_16reverse_iteratorISI_EEEEENSH_IJSG_SG_SG_EEES9_SI_JZNS1_25segmented_radix_sort_implINS0_14default_configELb0EPK6__halfPSP_PKlPlN2at6native12_GLOBAL__N_18offset_tEEE10hipError_tPvRmT1_PNSt15iterator_traitsIS13_E10value_typeET2_T3_PNS14_IS19_E10value_typeET4_jRbjT5_S1F_jjP12ihipStream_tbEUljE_ZNSN_ISO_Lb0ESR_SS_SU_SV_SZ_EES10_S11_S12_S13_S17_S18_S19_S1C_S1D_jS1E_jS1F_S1F_jjS1H_bEUljE0_EEES10_S11_S12_S19_S1D_S1F_T6_T7_T9_mT8_S1H_bDpT10_ENKUlT_T0_E_clISt17integral_constantIbLb0EES1U_IbLb1EEEEDaS1Q_S1R_EUlS1Q_E_NS1_11comp_targetILNS1_3genE10ELNS1_11target_archE1200ELNS1_3gpuE4ELNS1_3repE0EEENS1_30default_config_static_selectorELNS0_4arch9wavefront6targetE1EEEvS13_ ; -- Begin function _ZN7rocprim17ROCPRIM_400000_NS6detail17trampoline_kernelINS0_13select_configILj256ELj13ELNS0_17block_load_methodE3ELS4_3ELS4_3ELNS0_20block_scan_algorithmE0ELj4294967295EEENS1_25partition_config_selectorILNS1_17partition_subalgoE4EjNS0_10empty_typeEbEEZZNS1_14partition_implILS8_4ELb0ES6_15HIP_vector_typeIjLj2EENS0_17counting_iteratorIjlEEPS9_SG_NS0_5tupleIJPjSI_NS0_16reverse_iteratorISI_EEEEENSH_IJSG_SG_SG_EEES9_SI_JZNS1_25segmented_radix_sort_implINS0_14default_configELb0EPK6__halfPSP_PKlPlN2at6native12_GLOBAL__N_18offset_tEEE10hipError_tPvRmT1_PNSt15iterator_traitsIS13_E10value_typeET2_T3_PNS14_IS19_E10value_typeET4_jRbjT5_S1F_jjP12ihipStream_tbEUljE_ZNSN_ISO_Lb0ESR_SS_SU_SV_SZ_EES10_S11_S12_S13_S17_S18_S19_S1C_S1D_jS1E_jS1F_S1F_jjS1H_bEUljE0_EEES10_S11_S12_S19_S1D_S1F_T6_T7_T9_mT8_S1H_bDpT10_ENKUlT_T0_E_clISt17integral_constantIbLb0EES1U_IbLb1EEEEDaS1Q_S1R_EUlS1Q_E_NS1_11comp_targetILNS1_3genE10ELNS1_11target_archE1200ELNS1_3gpuE4ELNS1_3repE0EEENS1_30default_config_static_selectorELNS0_4arch9wavefront6targetE1EEEvS13_
	.p2align	8
	.type	_ZN7rocprim17ROCPRIM_400000_NS6detail17trampoline_kernelINS0_13select_configILj256ELj13ELNS0_17block_load_methodE3ELS4_3ELS4_3ELNS0_20block_scan_algorithmE0ELj4294967295EEENS1_25partition_config_selectorILNS1_17partition_subalgoE4EjNS0_10empty_typeEbEEZZNS1_14partition_implILS8_4ELb0ES6_15HIP_vector_typeIjLj2EENS0_17counting_iteratorIjlEEPS9_SG_NS0_5tupleIJPjSI_NS0_16reverse_iteratorISI_EEEEENSH_IJSG_SG_SG_EEES9_SI_JZNS1_25segmented_radix_sort_implINS0_14default_configELb0EPK6__halfPSP_PKlPlN2at6native12_GLOBAL__N_18offset_tEEE10hipError_tPvRmT1_PNSt15iterator_traitsIS13_E10value_typeET2_T3_PNS14_IS19_E10value_typeET4_jRbjT5_S1F_jjP12ihipStream_tbEUljE_ZNSN_ISO_Lb0ESR_SS_SU_SV_SZ_EES10_S11_S12_S13_S17_S18_S19_S1C_S1D_jS1E_jS1F_S1F_jjS1H_bEUljE0_EEES10_S11_S12_S19_S1D_S1F_T6_T7_T9_mT8_S1H_bDpT10_ENKUlT_T0_E_clISt17integral_constantIbLb0EES1U_IbLb1EEEEDaS1Q_S1R_EUlS1Q_E_NS1_11comp_targetILNS1_3genE10ELNS1_11target_archE1200ELNS1_3gpuE4ELNS1_3repE0EEENS1_30default_config_static_selectorELNS0_4arch9wavefront6targetE1EEEvS13_,@function
_ZN7rocprim17ROCPRIM_400000_NS6detail17trampoline_kernelINS0_13select_configILj256ELj13ELNS0_17block_load_methodE3ELS4_3ELS4_3ELNS0_20block_scan_algorithmE0ELj4294967295EEENS1_25partition_config_selectorILNS1_17partition_subalgoE4EjNS0_10empty_typeEbEEZZNS1_14partition_implILS8_4ELb0ES6_15HIP_vector_typeIjLj2EENS0_17counting_iteratorIjlEEPS9_SG_NS0_5tupleIJPjSI_NS0_16reverse_iteratorISI_EEEEENSH_IJSG_SG_SG_EEES9_SI_JZNS1_25segmented_radix_sort_implINS0_14default_configELb0EPK6__halfPSP_PKlPlN2at6native12_GLOBAL__N_18offset_tEEE10hipError_tPvRmT1_PNSt15iterator_traitsIS13_E10value_typeET2_T3_PNS14_IS19_E10value_typeET4_jRbjT5_S1F_jjP12ihipStream_tbEUljE_ZNSN_ISO_Lb0ESR_SS_SU_SV_SZ_EES10_S11_S12_S13_S17_S18_S19_S1C_S1D_jS1E_jS1F_S1F_jjS1H_bEUljE0_EEES10_S11_S12_S19_S1D_S1F_T6_T7_T9_mT8_S1H_bDpT10_ENKUlT_T0_E_clISt17integral_constantIbLb0EES1U_IbLb1EEEEDaS1Q_S1R_EUlS1Q_E_NS1_11comp_targetILNS1_3genE10ELNS1_11target_archE1200ELNS1_3gpuE4ELNS1_3repE0EEENS1_30default_config_static_selectorELNS0_4arch9wavefront6targetE1EEEvS13_: ; @_ZN7rocprim17ROCPRIM_400000_NS6detail17trampoline_kernelINS0_13select_configILj256ELj13ELNS0_17block_load_methodE3ELS4_3ELS4_3ELNS0_20block_scan_algorithmE0ELj4294967295EEENS1_25partition_config_selectorILNS1_17partition_subalgoE4EjNS0_10empty_typeEbEEZZNS1_14partition_implILS8_4ELb0ES6_15HIP_vector_typeIjLj2EENS0_17counting_iteratorIjlEEPS9_SG_NS0_5tupleIJPjSI_NS0_16reverse_iteratorISI_EEEEENSH_IJSG_SG_SG_EEES9_SI_JZNS1_25segmented_radix_sort_implINS0_14default_configELb0EPK6__halfPSP_PKlPlN2at6native12_GLOBAL__N_18offset_tEEE10hipError_tPvRmT1_PNSt15iterator_traitsIS13_E10value_typeET2_T3_PNS14_IS19_E10value_typeET4_jRbjT5_S1F_jjP12ihipStream_tbEUljE_ZNSN_ISO_Lb0ESR_SS_SU_SV_SZ_EES10_S11_S12_S13_S17_S18_S19_S1C_S1D_jS1E_jS1F_S1F_jjS1H_bEUljE0_EEES10_S11_S12_S19_S1D_S1F_T6_T7_T9_mT8_S1H_bDpT10_ENKUlT_T0_E_clISt17integral_constantIbLb0EES1U_IbLb1EEEEDaS1Q_S1R_EUlS1Q_E_NS1_11comp_targetILNS1_3genE10ELNS1_11target_archE1200ELNS1_3gpuE4ELNS1_3repE0EEENS1_30default_config_static_selectorELNS0_4arch9wavefront6targetE1EEEvS13_
; %bb.0:
	.section	.rodata,"a",@progbits
	.p2align	6, 0x0
	.amdhsa_kernel _ZN7rocprim17ROCPRIM_400000_NS6detail17trampoline_kernelINS0_13select_configILj256ELj13ELNS0_17block_load_methodE3ELS4_3ELS4_3ELNS0_20block_scan_algorithmE0ELj4294967295EEENS1_25partition_config_selectorILNS1_17partition_subalgoE4EjNS0_10empty_typeEbEEZZNS1_14partition_implILS8_4ELb0ES6_15HIP_vector_typeIjLj2EENS0_17counting_iteratorIjlEEPS9_SG_NS0_5tupleIJPjSI_NS0_16reverse_iteratorISI_EEEEENSH_IJSG_SG_SG_EEES9_SI_JZNS1_25segmented_radix_sort_implINS0_14default_configELb0EPK6__halfPSP_PKlPlN2at6native12_GLOBAL__N_18offset_tEEE10hipError_tPvRmT1_PNSt15iterator_traitsIS13_E10value_typeET2_T3_PNS14_IS19_E10value_typeET4_jRbjT5_S1F_jjP12ihipStream_tbEUljE_ZNSN_ISO_Lb0ESR_SS_SU_SV_SZ_EES10_S11_S12_S13_S17_S18_S19_S1C_S1D_jS1E_jS1F_S1F_jjS1H_bEUljE0_EEES10_S11_S12_S19_S1D_S1F_T6_T7_T9_mT8_S1H_bDpT10_ENKUlT_T0_E_clISt17integral_constantIbLb0EES1U_IbLb1EEEEDaS1Q_S1R_EUlS1Q_E_NS1_11comp_targetILNS1_3genE10ELNS1_11target_archE1200ELNS1_3gpuE4ELNS1_3repE0EEENS1_30default_config_static_selectorELNS0_4arch9wavefront6targetE1EEEvS13_
		.amdhsa_group_segment_fixed_size 0
		.amdhsa_private_segment_fixed_size 0
		.amdhsa_kernarg_size 184
		.amdhsa_user_sgpr_count 6
		.amdhsa_user_sgpr_private_segment_buffer 1
		.amdhsa_user_sgpr_dispatch_ptr 0
		.amdhsa_user_sgpr_queue_ptr 0
		.amdhsa_user_sgpr_kernarg_segment_ptr 1
		.amdhsa_user_sgpr_dispatch_id 0
		.amdhsa_user_sgpr_flat_scratch_init 0
		.amdhsa_user_sgpr_kernarg_preload_length 0
		.amdhsa_user_sgpr_kernarg_preload_offset 0
		.amdhsa_user_sgpr_private_segment_size 0
		.amdhsa_uses_dynamic_stack 0
		.amdhsa_system_sgpr_private_segment_wavefront_offset 0
		.amdhsa_system_sgpr_workgroup_id_x 1
		.amdhsa_system_sgpr_workgroup_id_y 0
		.amdhsa_system_sgpr_workgroup_id_z 0
		.amdhsa_system_sgpr_workgroup_info 0
		.amdhsa_system_vgpr_workitem_id 0
		.amdhsa_next_free_vgpr 1
		.amdhsa_next_free_sgpr 0
		.amdhsa_accum_offset 4
		.amdhsa_reserve_vcc 0
		.amdhsa_reserve_flat_scratch 0
		.amdhsa_float_round_mode_32 0
		.amdhsa_float_round_mode_16_64 0
		.amdhsa_float_denorm_mode_32 3
		.amdhsa_float_denorm_mode_16_64 3
		.amdhsa_dx10_clamp 1
		.amdhsa_ieee_mode 1
		.amdhsa_fp16_overflow 0
		.amdhsa_tg_split 0
		.amdhsa_exception_fp_ieee_invalid_op 0
		.amdhsa_exception_fp_denorm_src 0
		.amdhsa_exception_fp_ieee_div_zero 0
		.amdhsa_exception_fp_ieee_overflow 0
		.amdhsa_exception_fp_ieee_underflow 0
		.amdhsa_exception_fp_ieee_inexact 0
		.amdhsa_exception_int_div_zero 0
	.end_amdhsa_kernel
	.section	.text._ZN7rocprim17ROCPRIM_400000_NS6detail17trampoline_kernelINS0_13select_configILj256ELj13ELNS0_17block_load_methodE3ELS4_3ELS4_3ELNS0_20block_scan_algorithmE0ELj4294967295EEENS1_25partition_config_selectorILNS1_17partition_subalgoE4EjNS0_10empty_typeEbEEZZNS1_14partition_implILS8_4ELb0ES6_15HIP_vector_typeIjLj2EENS0_17counting_iteratorIjlEEPS9_SG_NS0_5tupleIJPjSI_NS0_16reverse_iteratorISI_EEEEENSH_IJSG_SG_SG_EEES9_SI_JZNS1_25segmented_radix_sort_implINS0_14default_configELb0EPK6__halfPSP_PKlPlN2at6native12_GLOBAL__N_18offset_tEEE10hipError_tPvRmT1_PNSt15iterator_traitsIS13_E10value_typeET2_T3_PNS14_IS19_E10value_typeET4_jRbjT5_S1F_jjP12ihipStream_tbEUljE_ZNSN_ISO_Lb0ESR_SS_SU_SV_SZ_EES10_S11_S12_S13_S17_S18_S19_S1C_S1D_jS1E_jS1F_S1F_jjS1H_bEUljE0_EEES10_S11_S12_S19_S1D_S1F_T6_T7_T9_mT8_S1H_bDpT10_ENKUlT_T0_E_clISt17integral_constantIbLb0EES1U_IbLb1EEEEDaS1Q_S1R_EUlS1Q_E_NS1_11comp_targetILNS1_3genE10ELNS1_11target_archE1200ELNS1_3gpuE4ELNS1_3repE0EEENS1_30default_config_static_selectorELNS0_4arch9wavefront6targetE1EEEvS13_,"axG",@progbits,_ZN7rocprim17ROCPRIM_400000_NS6detail17trampoline_kernelINS0_13select_configILj256ELj13ELNS0_17block_load_methodE3ELS4_3ELS4_3ELNS0_20block_scan_algorithmE0ELj4294967295EEENS1_25partition_config_selectorILNS1_17partition_subalgoE4EjNS0_10empty_typeEbEEZZNS1_14partition_implILS8_4ELb0ES6_15HIP_vector_typeIjLj2EENS0_17counting_iteratorIjlEEPS9_SG_NS0_5tupleIJPjSI_NS0_16reverse_iteratorISI_EEEEENSH_IJSG_SG_SG_EEES9_SI_JZNS1_25segmented_radix_sort_implINS0_14default_configELb0EPK6__halfPSP_PKlPlN2at6native12_GLOBAL__N_18offset_tEEE10hipError_tPvRmT1_PNSt15iterator_traitsIS13_E10value_typeET2_T3_PNS14_IS19_E10value_typeET4_jRbjT5_S1F_jjP12ihipStream_tbEUljE_ZNSN_ISO_Lb0ESR_SS_SU_SV_SZ_EES10_S11_S12_S13_S17_S18_S19_S1C_S1D_jS1E_jS1F_S1F_jjS1H_bEUljE0_EEES10_S11_S12_S19_S1D_S1F_T6_T7_T9_mT8_S1H_bDpT10_ENKUlT_T0_E_clISt17integral_constantIbLb0EES1U_IbLb1EEEEDaS1Q_S1R_EUlS1Q_E_NS1_11comp_targetILNS1_3genE10ELNS1_11target_archE1200ELNS1_3gpuE4ELNS1_3repE0EEENS1_30default_config_static_selectorELNS0_4arch9wavefront6targetE1EEEvS13_,comdat
.Lfunc_end1805:
	.size	_ZN7rocprim17ROCPRIM_400000_NS6detail17trampoline_kernelINS0_13select_configILj256ELj13ELNS0_17block_load_methodE3ELS4_3ELS4_3ELNS0_20block_scan_algorithmE0ELj4294967295EEENS1_25partition_config_selectorILNS1_17partition_subalgoE4EjNS0_10empty_typeEbEEZZNS1_14partition_implILS8_4ELb0ES6_15HIP_vector_typeIjLj2EENS0_17counting_iteratorIjlEEPS9_SG_NS0_5tupleIJPjSI_NS0_16reverse_iteratorISI_EEEEENSH_IJSG_SG_SG_EEES9_SI_JZNS1_25segmented_radix_sort_implINS0_14default_configELb0EPK6__halfPSP_PKlPlN2at6native12_GLOBAL__N_18offset_tEEE10hipError_tPvRmT1_PNSt15iterator_traitsIS13_E10value_typeET2_T3_PNS14_IS19_E10value_typeET4_jRbjT5_S1F_jjP12ihipStream_tbEUljE_ZNSN_ISO_Lb0ESR_SS_SU_SV_SZ_EES10_S11_S12_S13_S17_S18_S19_S1C_S1D_jS1E_jS1F_S1F_jjS1H_bEUljE0_EEES10_S11_S12_S19_S1D_S1F_T6_T7_T9_mT8_S1H_bDpT10_ENKUlT_T0_E_clISt17integral_constantIbLb0EES1U_IbLb1EEEEDaS1Q_S1R_EUlS1Q_E_NS1_11comp_targetILNS1_3genE10ELNS1_11target_archE1200ELNS1_3gpuE4ELNS1_3repE0EEENS1_30default_config_static_selectorELNS0_4arch9wavefront6targetE1EEEvS13_, .Lfunc_end1805-_ZN7rocprim17ROCPRIM_400000_NS6detail17trampoline_kernelINS0_13select_configILj256ELj13ELNS0_17block_load_methodE3ELS4_3ELS4_3ELNS0_20block_scan_algorithmE0ELj4294967295EEENS1_25partition_config_selectorILNS1_17partition_subalgoE4EjNS0_10empty_typeEbEEZZNS1_14partition_implILS8_4ELb0ES6_15HIP_vector_typeIjLj2EENS0_17counting_iteratorIjlEEPS9_SG_NS0_5tupleIJPjSI_NS0_16reverse_iteratorISI_EEEEENSH_IJSG_SG_SG_EEES9_SI_JZNS1_25segmented_radix_sort_implINS0_14default_configELb0EPK6__halfPSP_PKlPlN2at6native12_GLOBAL__N_18offset_tEEE10hipError_tPvRmT1_PNSt15iterator_traitsIS13_E10value_typeET2_T3_PNS14_IS19_E10value_typeET4_jRbjT5_S1F_jjP12ihipStream_tbEUljE_ZNSN_ISO_Lb0ESR_SS_SU_SV_SZ_EES10_S11_S12_S13_S17_S18_S19_S1C_S1D_jS1E_jS1F_S1F_jjS1H_bEUljE0_EEES10_S11_S12_S19_S1D_S1F_T6_T7_T9_mT8_S1H_bDpT10_ENKUlT_T0_E_clISt17integral_constantIbLb0EES1U_IbLb1EEEEDaS1Q_S1R_EUlS1Q_E_NS1_11comp_targetILNS1_3genE10ELNS1_11target_archE1200ELNS1_3gpuE4ELNS1_3repE0EEENS1_30default_config_static_selectorELNS0_4arch9wavefront6targetE1EEEvS13_
                                        ; -- End function
	.section	.AMDGPU.csdata,"",@progbits
; Kernel info:
; codeLenInByte = 0
; NumSgprs: 4
; NumVgprs: 0
; NumAgprs: 0
; TotalNumVgprs: 0
; ScratchSize: 0
; MemoryBound: 0
; FloatMode: 240
; IeeeMode: 1
; LDSByteSize: 0 bytes/workgroup (compile time only)
; SGPRBlocks: 0
; VGPRBlocks: 0
; NumSGPRsForWavesPerEU: 4
; NumVGPRsForWavesPerEU: 1
; AccumOffset: 4
; Occupancy: 8
; WaveLimiterHint : 0
; COMPUTE_PGM_RSRC2:SCRATCH_EN: 0
; COMPUTE_PGM_RSRC2:USER_SGPR: 6
; COMPUTE_PGM_RSRC2:TRAP_HANDLER: 0
; COMPUTE_PGM_RSRC2:TGID_X_EN: 1
; COMPUTE_PGM_RSRC2:TGID_Y_EN: 0
; COMPUTE_PGM_RSRC2:TGID_Z_EN: 0
; COMPUTE_PGM_RSRC2:TIDIG_COMP_CNT: 0
; COMPUTE_PGM_RSRC3_GFX90A:ACCUM_OFFSET: 0
; COMPUTE_PGM_RSRC3_GFX90A:TG_SPLIT: 0
	.section	.text._ZN7rocprim17ROCPRIM_400000_NS6detail17trampoline_kernelINS0_13select_configILj256ELj13ELNS0_17block_load_methodE3ELS4_3ELS4_3ELNS0_20block_scan_algorithmE0ELj4294967295EEENS1_25partition_config_selectorILNS1_17partition_subalgoE4EjNS0_10empty_typeEbEEZZNS1_14partition_implILS8_4ELb0ES6_15HIP_vector_typeIjLj2EENS0_17counting_iteratorIjlEEPS9_SG_NS0_5tupleIJPjSI_NS0_16reverse_iteratorISI_EEEEENSH_IJSG_SG_SG_EEES9_SI_JZNS1_25segmented_radix_sort_implINS0_14default_configELb0EPK6__halfPSP_PKlPlN2at6native12_GLOBAL__N_18offset_tEEE10hipError_tPvRmT1_PNSt15iterator_traitsIS13_E10value_typeET2_T3_PNS14_IS19_E10value_typeET4_jRbjT5_S1F_jjP12ihipStream_tbEUljE_ZNSN_ISO_Lb0ESR_SS_SU_SV_SZ_EES10_S11_S12_S13_S17_S18_S19_S1C_S1D_jS1E_jS1F_S1F_jjS1H_bEUljE0_EEES10_S11_S12_S19_S1D_S1F_T6_T7_T9_mT8_S1H_bDpT10_ENKUlT_T0_E_clISt17integral_constantIbLb0EES1U_IbLb1EEEEDaS1Q_S1R_EUlS1Q_E_NS1_11comp_targetILNS1_3genE9ELNS1_11target_archE1100ELNS1_3gpuE3ELNS1_3repE0EEENS1_30default_config_static_selectorELNS0_4arch9wavefront6targetE1EEEvS13_,"axG",@progbits,_ZN7rocprim17ROCPRIM_400000_NS6detail17trampoline_kernelINS0_13select_configILj256ELj13ELNS0_17block_load_methodE3ELS4_3ELS4_3ELNS0_20block_scan_algorithmE0ELj4294967295EEENS1_25partition_config_selectorILNS1_17partition_subalgoE4EjNS0_10empty_typeEbEEZZNS1_14partition_implILS8_4ELb0ES6_15HIP_vector_typeIjLj2EENS0_17counting_iteratorIjlEEPS9_SG_NS0_5tupleIJPjSI_NS0_16reverse_iteratorISI_EEEEENSH_IJSG_SG_SG_EEES9_SI_JZNS1_25segmented_radix_sort_implINS0_14default_configELb0EPK6__halfPSP_PKlPlN2at6native12_GLOBAL__N_18offset_tEEE10hipError_tPvRmT1_PNSt15iterator_traitsIS13_E10value_typeET2_T3_PNS14_IS19_E10value_typeET4_jRbjT5_S1F_jjP12ihipStream_tbEUljE_ZNSN_ISO_Lb0ESR_SS_SU_SV_SZ_EES10_S11_S12_S13_S17_S18_S19_S1C_S1D_jS1E_jS1F_S1F_jjS1H_bEUljE0_EEES10_S11_S12_S19_S1D_S1F_T6_T7_T9_mT8_S1H_bDpT10_ENKUlT_T0_E_clISt17integral_constantIbLb0EES1U_IbLb1EEEEDaS1Q_S1R_EUlS1Q_E_NS1_11comp_targetILNS1_3genE9ELNS1_11target_archE1100ELNS1_3gpuE3ELNS1_3repE0EEENS1_30default_config_static_selectorELNS0_4arch9wavefront6targetE1EEEvS13_,comdat
	.globl	_ZN7rocprim17ROCPRIM_400000_NS6detail17trampoline_kernelINS0_13select_configILj256ELj13ELNS0_17block_load_methodE3ELS4_3ELS4_3ELNS0_20block_scan_algorithmE0ELj4294967295EEENS1_25partition_config_selectorILNS1_17partition_subalgoE4EjNS0_10empty_typeEbEEZZNS1_14partition_implILS8_4ELb0ES6_15HIP_vector_typeIjLj2EENS0_17counting_iteratorIjlEEPS9_SG_NS0_5tupleIJPjSI_NS0_16reverse_iteratorISI_EEEEENSH_IJSG_SG_SG_EEES9_SI_JZNS1_25segmented_radix_sort_implINS0_14default_configELb0EPK6__halfPSP_PKlPlN2at6native12_GLOBAL__N_18offset_tEEE10hipError_tPvRmT1_PNSt15iterator_traitsIS13_E10value_typeET2_T3_PNS14_IS19_E10value_typeET4_jRbjT5_S1F_jjP12ihipStream_tbEUljE_ZNSN_ISO_Lb0ESR_SS_SU_SV_SZ_EES10_S11_S12_S13_S17_S18_S19_S1C_S1D_jS1E_jS1F_S1F_jjS1H_bEUljE0_EEES10_S11_S12_S19_S1D_S1F_T6_T7_T9_mT8_S1H_bDpT10_ENKUlT_T0_E_clISt17integral_constantIbLb0EES1U_IbLb1EEEEDaS1Q_S1R_EUlS1Q_E_NS1_11comp_targetILNS1_3genE9ELNS1_11target_archE1100ELNS1_3gpuE3ELNS1_3repE0EEENS1_30default_config_static_selectorELNS0_4arch9wavefront6targetE1EEEvS13_ ; -- Begin function _ZN7rocprim17ROCPRIM_400000_NS6detail17trampoline_kernelINS0_13select_configILj256ELj13ELNS0_17block_load_methodE3ELS4_3ELS4_3ELNS0_20block_scan_algorithmE0ELj4294967295EEENS1_25partition_config_selectorILNS1_17partition_subalgoE4EjNS0_10empty_typeEbEEZZNS1_14partition_implILS8_4ELb0ES6_15HIP_vector_typeIjLj2EENS0_17counting_iteratorIjlEEPS9_SG_NS0_5tupleIJPjSI_NS0_16reverse_iteratorISI_EEEEENSH_IJSG_SG_SG_EEES9_SI_JZNS1_25segmented_radix_sort_implINS0_14default_configELb0EPK6__halfPSP_PKlPlN2at6native12_GLOBAL__N_18offset_tEEE10hipError_tPvRmT1_PNSt15iterator_traitsIS13_E10value_typeET2_T3_PNS14_IS19_E10value_typeET4_jRbjT5_S1F_jjP12ihipStream_tbEUljE_ZNSN_ISO_Lb0ESR_SS_SU_SV_SZ_EES10_S11_S12_S13_S17_S18_S19_S1C_S1D_jS1E_jS1F_S1F_jjS1H_bEUljE0_EEES10_S11_S12_S19_S1D_S1F_T6_T7_T9_mT8_S1H_bDpT10_ENKUlT_T0_E_clISt17integral_constantIbLb0EES1U_IbLb1EEEEDaS1Q_S1R_EUlS1Q_E_NS1_11comp_targetILNS1_3genE9ELNS1_11target_archE1100ELNS1_3gpuE3ELNS1_3repE0EEENS1_30default_config_static_selectorELNS0_4arch9wavefront6targetE1EEEvS13_
	.p2align	8
	.type	_ZN7rocprim17ROCPRIM_400000_NS6detail17trampoline_kernelINS0_13select_configILj256ELj13ELNS0_17block_load_methodE3ELS4_3ELS4_3ELNS0_20block_scan_algorithmE0ELj4294967295EEENS1_25partition_config_selectorILNS1_17partition_subalgoE4EjNS0_10empty_typeEbEEZZNS1_14partition_implILS8_4ELb0ES6_15HIP_vector_typeIjLj2EENS0_17counting_iteratorIjlEEPS9_SG_NS0_5tupleIJPjSI_NS0_16reverse_iteratorISI_EEEEENSH_IJSG_SG_SG_EEES9_SI_JZNS1_25segmented_radix_sort_implINS0_14default_configELb0EPK6__halfPSP_PKlPlN2at6native12_GLOBAL__N_18offset_tEEE10hipError_tPvRmT1_PNSt15iterator_traitsIS13_E10value_typeET2_T3_PNS14_IS19_E10value_typeET4_jRbjT5_S1F_jjP12ihipStream_tbEUljE_ZNSN_ISO_Lb0ESR_SS_SU_SV_SZ_EES10_S11_S12_S13_S17_S18_S19_S1C_S1D_jS1E_jS1F_S1F_jjS1H_bEUljE0_EEES10_S11_S12_S19_S1D_S1F_T6_T7_T9_mT8_S1H_bDpT10_ENKUlT_T0_E_clISt17integral_constantIbLb0EES1U_IbLb1EEEEDaS1Q_S1R_EUlS1Q_E_NS1_11comp_targetILNS1_3genE9ELNS1_11target_archE1100ELNS1_3gpuE3ELNS1_3repE0EEENS1_30default_config_static_selectorELNS0_4arch9wavefront6targetE1EEEvS13_,@function
_ZN7rocprim17ROCPRIM_400000_NS6detail17trampoline_kernelINS0_13select_configILj256ELj13ELNS0_17block_load_methodE3ELS4_3ELS4_3ELNS0_20block_scan_algorithmE0ELj4294967295EEENS1_25partition_config_selectorILNS1_17partition_subalgoE4EjNS0_10empty_typeEbEEZZNS1_14partition_implILS8_4ELb0ES6_15HIP_vector_typeIjLj2EENS0_17counting_iteratorIjlEEPS9_SG_NS0_5tupleIJPjSI_NS0_16reverse_iteratorISI_EEEEENSH_IJSG_SG_SG_EEES9_SI_JZNS1_25segmented_radix_sort_implINS0_14default_configELb0EPK6__halfPSP_PKlPlN2at6native12_GLOBAL__N_18offset_tEEE10hipError_tPvRmT1_PNSt15iterator_traitsIS13_E10value_typeET2_T3_PNS14_IS19_E10value_typeET4_jRbjT5_S1F_jjP12ihipStream_tbEUljE_ZNSN_ISO_Lb0ESR_SS_SU_SV_SZ_EES10_S11_S12_S13_S17_S18_S19_S1C_S1D_jS1E_jS1F_S1F_jjS1H_bEUljE0_EEES10_S11_S12_S19_S1D_S1F_T6_T7_T9_mT8_S1H_bDpT10_ENKUlT_T0_E_clISt17integral_constantIbLb0EES1U_IbLb1EEEEDaS1Q_S1R_EUlS1Q_E_NS1_11comp_targetILNS1_3genE9ELNS1_11target_archE1100ELNS1_3gpuE3ELNS1_3repE0EEENS1_30default_config_static_selectorELNS0_4arch9wavefront6targetE1EEEvS13_: ; @_ZN7rocprim17ROCPRIM_400000_NS6detail17trampoline_kernelINS0_13select_configILj256ELj13ELNS0_17block_load_methodE3ELS4_3ELS4_3ELNS0_20block_scan_algorithmE0ELj4294967295EEENS1_25partition_config_selectorILNS1_17partition_subalgoE4EjNS0_10empty_typeEbEEZZNS1_14partition_implILS8_4ELb0ES6_15HIP_vector_typeIjLj2EENS0_17counting_iteratorIjlEEPS9_SG_NS0_5tupleIJPjSI_NS0_16reverse_iteratorISI_EEEEENSH_IJSG_SG_SG_EEES9_SI_JZNS1_25segmented_radix_sort_implINS0_14default_configELb0EPK6__halfPSP_PKlPlN2at6native12_GLOBAL__N_18offset_tEEE10hipError_tPvRmT1_PNSt15iterator_traitsIS13_E10value_typeET2_T3_PNS14_IS19_E10value_typeET4_jRbjT5_S1F_jjP12ihipStream_tbEUljE_ZNSN_ISO_Lb0ESR_SS_SU_SV_SZ_EES10_S11_S12_S13_S17_S18_S19_S1C_S1D_jS1E_jS1F_S1F_jjS1H_bEUljE0_EEES10_S11_S12_S19_S1D_S1F_T6_T7_T9_mT8_S1H_bDpT10_ENKUlT_T0_E_clISt17integral_constantIbLb0EES1U_IbLb1EEEEDaS1Q_S1R_EUlS1Q_E_NS1_11comp_targetILNS1_3genE9ELNS1_11target_archE1100ELNS1_3gpuE3ELNS1_3repE0EEENS1_30default_config_static_selectorELNS0_4arch9wavefront6targetE1EEEvS13_
; %bb.0:
	.section	.rodata,"a",@progbits
	.p2align	6, 0x0
	.amdhsa_kernel _ZN7rocprim17ROCPRIM_400000_NS6detail17trampoline_kernelINS0_13select_configILj256ELj13ELNS0_17block_load_methodE3ELS4_3ELS4_3ELNS0_20block_scan_algorithmE0ELj4294967295EEENS1_25partition_config_selectorILNS1_17partition_subalgoE4EjNS0_10empty_typeEbEEZZNS1_14partition_implILS8_4ELb0ES6_15HIP_vector_typeIjLj2EENS0_17counting_iteratorIjlEEPS9_SG_NS0_5tupleIJPjSI_NS0_16reverse_iteratorISI_EEEEENSH_IJSG_SG_SG_EEES9_SI_JZNS1_25segmented_radix_sort_implINS0_14default_configELb0EPK6__halfPSP_PKlPlN2at6native12_GLOBAL__N_18offset_tEEE10hipError_tPvRmT1_PNSt15iterator_traitsIS13_E10value_typeET2_T3_PNS14_IS19_E10value_typeET4_jRbjT5_S1F_jjP12ihipStream_tbEUljE_ZNSN_ISO_Lb0ESR_SS_SU_SV_SZ_EES10_S11_S12_S13_S17_S18_S19_S1C_S1D_jS1E_jS1F_S1F_jjS1H_bEUljE0_EEES10_S11_S12_S19_S1D_S1F_T6_T7_T9_mT8_S1H_bDpT10_ENKUlT_T0_E_clISt17integral_constantIbLb0EES1U_IbLb1EEEEDaS1Q_S1R_EUlS1Q_E_NS1_11comp_targetILNS1_3genE9ELNS1_11target_archE1100ELNS1_3gpuE3ELNS1_3repE0EEENS1_30default_config_static_selectorELNS0_4arch9wavefront6targetE1EEEvS13_
		.amdhsa_group_segment_fixed_size 0
		.amdhsa_private_segment_fixed_size 0
		.amdhsa_kernarg_size 184
		.amdhsa_user_sgpr_count 6
		.amdhsa_user_sgpr_private_segment_buffer 1
		.amdhsa_user_sgpr_dispatch_ptr 0
		.amdhsa_user_sgpr_queue_ptr 0
		.amdhsa_user_sgpr_kernarg_segment_ptr 1
		.amdhsa_user_sgpr_dispatch_id 0
		.amdhsa_user_sgpr_flat_scratch_init 0
		.amdhsa_user_sgpr_kernarg_preload_length 0
		.amdhsa_user_sgpr_kernarg_preload_offset 0
		.amdhsa_user_sgpr_private_segment_size 0
		.amdhsa_uses_dynamic_stack 0
		.amdhsa_system_sgpr_private_segment_wavefront_offset 0
		.amdhsa_system_sgpr_workgroup_id_x 1
		.amdhsa_system_sgpr_workgroup_id_y 0
		.amdhsa_system_sgpr_workgroup_id_z 0
		.amdhsa_system_sgpr_workgroup_info 0
		.amdhsa_system_vgpr_workitem_id 0
		.amdhsa_next_free_vgpr 1
		.amdhsa_next_free_sgpr 0
		.amdhsa_accum_offset 4
		.amdhsa_reserve_vcc 0
		.amdhsa_reserve_flat_scratch 0
		.amdhsa_float_round_mode_32 0
		.amdhsa_float_round_mode_16_64 0
		.amdhsa_float_denorm_mode_32 3
		.amdhsa_float_denorm_mode_16_64 3
		.amdhsa_dx10_clamp 1
		.amdhsa_ieee_mode 1
		.amdhsa_fp16_overflow 0
		.amdhsa_tg_split 0
		.amdhsa_exception_fp_ieee_invalid_op 0
		.amdhsa_exception_fp_denorm_src 0
		.amdhsa_exception_fp_ieee_div_zero 0
		.amdhsa_exception_fp_ieee_overflow 0
		.amdhsa_exception_fp_ieee_underflow 0
		.amdhsa_exception_fp_ieee_inexact 0
		.amdhsa_exception_int_div_zero 0
	.end_amdhsa_kernel
	.section	.text._ZN7rocprim17ROCPRIM_400000_NS6detail17trampoline_kernelINS0_13select_configILj256ELj13ELNS0_17block_load_methodE3ELS4_3ELS4_3ELNS0_20block_scan_algorithmE0ELj4294967295EEENS1_25partition_config_selectorILNS1_17partition_subalgoE4EjNS0_10empty_typeEbEEZZNS1_14partition_implILS8_4ELb0ES6_15HIP_vector_typeIjLj2EENS0_17counting_iteratorIjlEEPS9_SG_NS0_5tupleIJPjSI_NS0_16reverse_iteratorISI_EEEEENSH_IJSG_SG_SG_EEES9_SI_JZNS1_25segmented_radix_sort_implINS0_14default_configELb0EPK6__halfPSP_PKlPlN2at6native12_GLOBAL__N_18offset_tEEE10hipError_tPvRmT1_PNSt15iterator_traitsIS13_E10value_typeET2_T3_PNS14_IS19_E10value_typeET4_jRbjT5_S1F_jjP12ihipStream_tbEUljE_ZNSN_ISO_Lb0ESR_SS_SU_SV_SZ_EES10_S11_S12_S13_S17_S18_S19_S1C_S1D_jS1E_jS1F_S1F_jjS1H_bEUljE0_EEES10_S11_S12_S19_S1D_S1F_T6_T7_T9_mT8_S1H_bDpT10_ENKUlT_T0_E_clISt17integral_constantIbLb0EES1U_IbLb1EEEEDaS1Q_S1R_EUlS1Q_E_NS1_11comp_targetILNS1_3genE9ELNS1_11target_archE1100ELNS1_3gpuE3ELNS1_3repE0EEENS1_30default_config_static_selectorELNS0_4arch9wavefront6targetE1EEEvS13_,"axG",@progbits,_ZN7rocprim17ROCPRIM_400000_NS6detail17trampoline_kernelINS0_13select_configILj256ELj13ELNS0_17block_load_methodE3ELS4_3ELS4_3ELNS0_20block_scan_algorithmE0ELj4294967295EEENS1_25partition_config_selectorILNS1_17partition_subalgoE4EjNS0_10empty_typeEbEEZZNS1_14partition_implILS8_4ELb0ES6_15HIP_vector_typeIjLj2EENS0_17counting_iteratorIjlEEPS9_SG_NS0_5tupleIJPjSI_NS0_16reverse_iteratorISI_EEEEENSH_IJSG_SG_SG_EEES9_SI_JZNS1_25segmented_radix_sort_implINS0_14default_configELb0EPK6__halfPSP_PKlPlN2at6native12_GLOBAL__N_18offset_tEEE10hipError_tPvRmT1_PNSt15iterator_traitsIS13_E10value_typeET2_T3_PNS14_IS19_E10value_typeET4_jRbjT5_S1F_jjP12ihipStream_tbEUljE_ZNSN_ISO_Lb0ESR_SS_SU_SV_SZ_EES10_S11_S12_S13_S17_S18_S19_S1C_S1D_jS1E_jS1F_S1F_jjS1H_bEUljE0_EEES10_S11_S12_S19_S1D_S1F_T6_T7_T9_mT8_S1H_bDpT10_ENKUlT_T0_E_clISt17integral_constantIbLb0EES1U_IbLb1EEEEDaS1Q_S1R_EUlS1Q_E_NS1_11comp_targetILNS1_3genE9ELNS1_11target_archE1100ELNS1_3gpuE3ELNS1_3repE0EEENS1_30default_config_static_selectorELNS0_4arch9wavefront6targetE1EEEvS13_,comdat
.Lfunc_end1806:
	.size	_ZN7rocprim17ROCPRIM_400000_NS6detail17trampoline_kernelINS0_13select_configILj256ELj13ELNS0_17block_load_methodE3ELS4_3ELS4_3ELNS0_20block_scan_algorithmE0ELj4294967295EEENS1_25partition_config_selectorILNS1_17partition_subalgoE4EjNS0_10empty_typeEbEEZZNS1_14partition_implILS8_4ELb0ES6_15HIP_vector_typeIjLj2EENS0_17counting_iteratorIjlEEPS9_SG_NS0_5tupleIJPjSI_NS0_16reverse_iteratorISI_EEEEENSH_IJSG_SG_SG_EEES9_SI_JZNS1_25segmented_radix_sort_implINS0_14default_configELb0EPK6__halfPSP_PKlPlN2at6native12_GLOBAL__N_18offset_tEEE10hipError_tPvRmT1_PNSt15iterator_traitsIS13_E10value_typeET2_T3_PNS14_IS19_E10value_typeET4_jRbjT5_S1F_jjP12ihipStream_tbEUljE_ZNSN_ISO_Lb0ESR_SS_SU_SV_SZ_EES10_S11_S12_S13_S17_S18_S19_S1C_S1D_jS1E_jS1F_S1F_jjS1H_bEUljE0_EEES10_S11_S12_S19_S1D_S1F_T6_T7_T9_mT8_S1H_bDpT10_ENKUlT_T0_E_clISt17integral_constantIbLb0EES1U_IbLb1EEEEDaS1Q_S1R_EUlS1Q_E_NS1_11comp_targetILNS1_3genE9ELNS1_11target_archE1100ELNS1_3gpuE3ELNS1_3repE0EEENS1_30default_config_static_selectorELNS0_4arch9wavefront6targetE1EEEvS13_, .Lfunc_end1806-_ZN7rocprim17ROCPRIM_400000_NS6detail17trampoline_kernelINS0_13select_configILj256ELj13ELNS0_17block_load_methodE3ELS4_3ELS4_3ELNS0_20block_scan_algorithmE0ELj4294967295EEENS1_25partition_config_selectorILNS1_17partition_subalgoE4EjNS0_10empty_typeEbEEZZNS1_14partition_implILS8_4ELb0ES6_15HIP_vector_typeIjLj2EENS0_17counting_iteratorIjlEEPS9_SG_NS0_5tupleIJPjSI_NS0_16reverse_iteratorISI_EEEEENSH_IJSG_SG_SG_EEES9_SI_JZNS1_25segmented_radix_sort_implINS0_14default_configELb0EPK6__halfPSP_PKlPlN2at6native12_GLOBAL__N_18offset_tEEE10hipError_tPvRmT1_PNSt15iterator_traitsIS13_E10value_typeET2_T3_PNS14_IS19_E10value_typeET4_jRbjT5_S1F_jjP12ihipStream_tbEUljE_ZNSN_ISO_Lb0ESR_SS_SU_SV_SZ_EES10_S11_S12_S13_S17_S18_S19_S1C_S1D_jS1E_jS1F_S1F_jjS1H_bEUljE0_EEES10_S11_S12_S19_S1D_S1F_T6_T7_T9_mT8_S1H_bDpT10_ENKUlT_T0_E_clISt17integral_constantIbLb0EES1U_IbLb1EEEEDaS1Q_S1R_EUlS1Q_E_NS1_11comp_targetILNS1_3genE9ELNS1_11target_archE1100ELNS1_3gpuE3ELNS1_3repE0EEENS1_30default_config_static_selectorELNS0_4arch9wavefront6targetE1EEEvS13_
                                        ; -- End function
	.section	.AMDGPU.csdata,"",@progbits
; Kernel info:
; codeLenInByte = 0
; NumSgprs: 4
; NumVgprs: 0
; NumAgprs: 0
; TotalNumVgprs: 0
; ScratchSize: 0
; MemoryBound: 0
; FloatMode: 240
; IeeeMode: 1
; LDSByteSize: 0 bytes/workgroup (compile time only)
; SGPRBlocks: 0
; VGPRBlocks: 0
; NumSGPRsForWavesPerEU: 4
; NumVGPRsForWavesPerEU: 1
; AccumOffset: 4
; Occupancy: 8
; WaveLimiterHint : 0
; COMPUTE_PGM_RSRC2:SCRATCH_EN: 0
; COMPUTE_PGM_RSRC2:USER_SGPR: 6
; COMPUTE_PGM_RSRC2:TRAP_HANDLER: 0
; COMPUTE_PGM_RSRC2:TGID_X_EN: 1
; COMPUTE_PGM_RSRC2:TGID_Y_EN: 0
; COMPUTE_PGM_RSRC2:TGID_Z_EN: 0
; COMPUTE_PGM_RSRC2:TIDIG_COMP_CNT: 0
; COMPUTE_PGM_RSRC3_GFX90A:ACCUM_OFFSET: 0
; COMPUTE_PGM_RSRC3_GFX90A:TG_SPLIT: 0
	.section	.text._ZN7rocprim17ROCPRIM_400000_NS6detail17trampoline_kernelINS0_13select_configILj256ELj13ELNS0_17block_load_methodE3ELS4_3ELS4_3ELNS0_20block_scan_algorithmE0ELj4294967295EEENS1_25partition_config_selectorILNS1_17partition_subalgoE4EjNS0_10empty_typeEbEEZZNS1_14partition_implILS8_4ELb0ES6_15HIP_vector_typeIjLj2EENS0_17counting_iteratorIjlEEPS9_SG_NS0_5tupleIJPjSI_NS0_16reverse_iteratorISI_EEEEENSH_IJSG_SG_SG_EEES9_SI_JZNS1_25segmented_radix_sort_implINS0_14default_configELb0EPK6__halfPSP_PKlPlN2at6native12_GLOBAL__N_18offset_tEEE10hipError_tPvRmT1_PNSt15iterator_traitsIS13_E10value_typeET2_T3_PNS14_IS19_E10value_typeET4_jRbjT5_S1F_jjP12ihipStream_tbEUljE_ZNSN_ISO_Lb0ESR_SS_SU_SV_SZ_EES10_S11_S12_S13_S17_S18_S19_S1C_S1D_jS1E_jS1F_S1F_jjS1H_bEUljE0_EEES10_S11_S12_S19_S1D_S1F_T6_T7_T9_mT8_S1H_bDpT10_ENKUlT_T0_E_clISt17integral_constantIbLb0EES1U_IbLb1EEEEDaS1Q_S1R_EUlS1Q_E_NS1_11comp_targetILNS1_3genE8ELNS1_11target_archE1030ELNS1_3gpuE2ELNS1_3repE0EEENS1_30default_config_static_selectorELNS0_4arch9wavefront6targetE1EEEvS13_,"axG",@progbits,_ZN7rocprim17ROCPRIM_400000_NS6detail17trampoline_kernelINS0_13select_configILj256ELj13ELNS0_17block_load_methodE3ELS4_3ELS4_3ELNS0_20block_scan_algorithmE0ELj4294967295EEENS1_25partition_config_selectorILNS1_17partition_subalgoE4EjNS0_10empty_typeEbEEZZNS1_14partition_implILS8_4ELb0ES6_15HIP_vector_typeIjLj2EENS0_17counting_iteratorIjlEEPS9_SG_NS0_5tupleIJPjSI_NS0_16reverse_iteratorISI_EEEEENSH_IJSG_SG_SG_EEES9_SI_JZNS1_25segmented_radix_sort_implINS0_14default_configELb0EPK6__halfPSP_PKlPlN2at6native12_GLOBAL__N_18offset_tEEE10hipError_tPvRmT1_PNSt15iterator_traitsIS13_E10value_typeET2_T3_PNS14_IS19_E10value_typeET4_jRbjT5_S1F_jjP12ihipStream_tbEUljE_ZNSN_ISO_Lb0ESR_SS_SU_SV_SZ_EES10_S11_S12_S13_S17_S18_S19_S1C_S1D_jS1E_jS1F_S1F_jjS1H_bEUljE0_EEES10_S11_S12_S19_S1D_S1F_T6_T7_T9_mT8_S1H_bDpT10_ENKUlT_T0_E_clISt17integral_constantIbLb0EES1U_IbLb1EEEEDaS1Q_S1R_EUlS1Q_E_NS1_11comp_targetILNS1_3genE8ELNS1_11target_archE1030ELNS1_3gpuE2ELNS1_3repE0EEENS1_30default_config_static_selectorELNS0_4arch9wavefront6targetE1EEEvS13_,comdat
	.globl	_ZN7rocprim17ROCPRIM_400000_NS6detail17trampoline_kernelINS0_13select_configILj256ELj13ELNS0_17block_load_methodE3ELS4_3ELS4_3ELNS0_20block_scan_algorithmE0ELj4294967295EEENS1_25partition_config_selectorILNS1_17partition_subalgoE4EjNS0_10empty_typeEbEEZZNS1_14partition_implILS8_4ELb0ES6_15HIP_vector_typeIjLj2EENS0_17counting_iteratorIjlEEPS9_SG_NS0_5tupleIJPjSI_NS0_16reverse_iteratorISI_EEEEENSH_IJSG_SG_SG_EEES9_SI_JZNS1_25segmented_radix_sort_implINS0_14default_configELb0EPK6__halfPSP_PKlPlN2at6native12_GLOBAL__N_18offset_tEEE10hipError_tPvRmT1_PNSt15iterator_traitsIS13_E10value_typeET2_T3_PNS14_IS19_E10value_typeET4_jRbjT5_S1F_jjP12ihipStream_tbEUljE_ZNSN_ISO_Lb0ESR_SS_SU_SV_SZ_EES10_S11_S12_S13_S17_S18_S19_S1C_S1D_jS1E_jS1F_S1F_jjS1H_bEUljE0_EEES10_S11_S12_S19_S1D_S1F_T6_T7_T9_mT8_S1H_bDpT10_ENKUlT_T0_E_clISt17integral_constantIbLb0EES1U_IbLb1EEEEDaS1Q_S1R_EUlS1Q_E_NS1_11comp_targetILNS1_3genE8ELNS1_11target_archE1030ELNS1_3gpuE2ELNS1_3repE0EEENS1_30default_config_static_selectorELNS0_4arch9wavefront6targetE1EEEvS13_ ; -- Begin function _ZN7rocprim17ROCPRIM_400000_NS6detail17trampoline_kernelINS0_13select_configILj256ELj13ELNS0_17block_load_methodE3ELS4_3ELS4_3ELNS0_20block_scan_algorithmE0ELj4294967295EEENS1_25partition_config_selectorILNS1_17partition_subalgoE4EjNS0_10empty_typeEbEEZZNS1_14partition_implILS8_4ELb0ES6_15HIP_vector_typeIjLj2EENS0_17counting_iteratorIjlEEPS9_SG_NS0_5tupleIJPjSI_NS0_16reverse_iteratorISI_EEEEENSH_IJSG_SG_SG_EEES9_SI_JZNS1_25segmented_radix_sort_implINS0_14default_configELb0EPK6__halfPSP_PKlPlN2at6native12_GLOBAL__N_18offset_tEEE10hipError_tPvRmT1_PNSt15iterator_traitsIS13_E10value_typeET2_T3_PNS14_IS19_E10value_typeET4_jRbjT5_S1F_jjP12ihipStream_tbEUljE_ZNSN_ISO_Lb0ESR_SS_SU_SV_SZ_EES10_S11_S12_S13_S17_S18_S19_S1C_S1D_jS1E_jS1F_S1F_jjS1H_bEUljE0_EEES10_S11_S12_S19_S1D_S1F_T6_T7_T9_mT8_S1H_bDpT10_ENKUlT_T0_E_clISt17integral_constantIbLb0EES1U_IbLb1EEEEDaS1Q_S1R_EUlS1Q_E_NS1_11comp_targetILNS1_3genE8ELNS1_11target_archE1030ELNS1_3gpuE2ELNS1_3repE0EEENS1_30default_config_static_selectorELNS0_4arch9wavefront6targetE1EEEvS13_
	.p2align	8
	.type	_ZN7rocprim17ROCPRIM_400000_NS6detail17trampoline_kernelINS0_13select_configILj256ELj13ELNS0_17block_load_methodE3ELS4_3ELS4_3ELNS0_20block_scan_algorithmE0ELj4294967295EEENS1_25partition_config_selectorILNS1_17partition_subalgoE4EjNS0_10empty_typeEbEEZZNS1_14partition_implILS8_4ELb0ES6_15HIP_vector_typeIjLj2EENS0_17counting_iteratorIjlEEPS9_SG_NS0_5tupleIJPjSI_NS0_16reverse_iteratorISI_EEEEENSH_IJSG_SG_SG_EEES9_SI_JZNS1_25segmented_radix_sort_implINS0_14default_configELb0EPK6__halfPSP_PKlPlN2at6native12_GLOBAL__N_18offset_tEEE10hipError_tPvRmT1_PNSt15iterator_traitsIS13_E10value_typeET2_T3_PNS14_IS19_E10value_typeET4_jRbjT5_S1F_jjP12ihipStream_tbEUljE_ZNSN_ISO_Lb0ESR_SS_SU_SV_SZ_EES10_S11_S12_S13_S17_S18_S19_S1C_S1D_jS1E_jS1F_S1F_jjS1H_bEUljE0_EEES10_S11_S12_S19_S1D_S1F_T6_T7_T9_mT8_S1H_bDpT10_ENKUlT_T0_E_clISt17integral_constantIbLb0EES1U_IbLb1EEEEDaS1Q_S1R_EUlS1Q_E_NS1_11comp_targetILNS1_3genE8ELNS1_11target_archE1030ELNS1_3gpuE2ELNS1_3repE0EEENS1_30default_config_static_selectorELNS0_4arch9wavefront6targetE1EEEvS13_,@function
_ZN7rocprim17ROCPRIM_400000_NS6detail17trampoline_kernelINS0_13select_configILj256ELj13ELNS0_17block_load_methodE3ELS4_3ELS4_3ELNS0_20block_scan_algorithmE0ELj4294967295EEENS1_25partition_config_selectorILNS1_17partition_subalgoE4EjNS0_10empty_typeEbEEZZNS1_14partition_implILS8_4ELb0ES6_15HIP_vector_typeIjLj2EENS0_17counting_iteratorIjlEEPS9_SG_NS0_5tupleIJPjSI_NS0_16reverse_iteratorISI_EEEEENSH_IJSG_SG_SG_EEES9_SI_JZNS1_25segmented_radix_sort_implINS0_14default_configELb0EPK6__halfPSP_PKlPlN2at6native12_GLOBAL__N_18offset_tEEE10hipError_tPvRmT1_PNSt15iterator_traitsIS13_E10value_typeET2_T3_PNS14_IS19_E10value_typeET4_jRbjT5_S1F_jjP12ihipStream_tbEUljE_ZNSN_ISO_Lb0ESR_SS_SU_SV_SZ_EES10_S11_S12_S13_S17_S18_S19_S1C_S1D_jS1E_jS1F_S1F_jjS1H_bEUljE0_EEES10_S11_S12_S19_S1D_S1F_T6_T7_T9_mT8_S1H_bDpT10_ENKUlT_T0_E_clISt17integral_constantIbLb0EES1U_IbLb1EEEEDaS1Q_S1R_EUlS1Q_E_NS1_11comp_targetILNS1_3genE8ELNS1_11target_archE1030ELNS1_3gpuE2ELNS1_3repE0EEENS1_30default_config_static_selectorELNS0_4arch9wavefront6targetE1EEEvS13_: ; @_ZN7rocprim17ROCPRIM_400000_NS6detail17trampoline_kernelINS0_13select_configILj256ELj13ELNS0_17block_load_methodE3ELS4_3ELS4_3ELNS0_20block_scan_algorithmE0ELj4294967295EEENS1_25partition_config_selectorILNS1_17partition_subalgoE4EjNS0_10empty_typeEbEEZZNS1_14partition_implILS8_4ELb0ES6_15HIP_vector_typeIjLj2EENS0_17counting_iteratorIjlEEPS9_SG_NS0_5tupleIJPjSI_NS0_16reverse_iteratorISI_EEEEENSH_IJSG_SG_SG_EEES9_SI_JZNS1_25segmented_radix_sort_implINS0_14default_configELb0EPK6__halfPSP_PKlPlN2at6native12_GLOBAL__N_18offset_tEEE10hipError_tPvRmT1_PNSt15iterator_traitsIS13_E10value_typeET2_T3_PNS14_IS19_E10value_typeET4_jRbjT5_S1F_jjP12ihipStream_tbEUljE_ZNSN_ISO_Lb0ESR_SS_SU_SV_SZ_EES10_S11_S12_S13_S17_S18_S19_S1C_S1D_jS1E_jS1F_S1F_jjS1H_bEUljE0_EEES10_S11_S12_S19_S1D_S1F_T6_T7_T9_mT8_S1H_bDpT10_ENKUlT_T0_E_clISt17integral_constantIbLb0EES1U_IbLb1EEEEDaS1Q_S1R_EUlS1Q_E_NS1_11comp_targetILNS1_3genE8ELNS1_11target_archE1030ELNS1_3gpuE2ELNS1_3repE0EEENS1_30default_config_static_selectorELNS0_4arch9wavefront6targetE1EEEvS13_
; %bb.0:
	.section	.rodata,"a",@progbits
	.p2align	6, 0x0
	.amdhsa_kernel _ZN7rocprim17ROCPRIM_400000_NS6detail17trampoline_kernelINS0_13select_configILj256ELj13ELNS0_17block_load_methodE3ELS4_3ELS4_3ELNS0_20block_scan_algorithmE0ELj4294967295EEENS1_25partition_config_selectorILNS1_17partition_subalgoE4EjNS0_10empty_typeEbEEZZNS1_14partition_implILS8_4ELb0ES6_15HIP_vector_typeIjLj2EENS0_17counting_iteratorIjlEEPS9_SG_NS0_5tupleIJPjSI_NS0_16reverse_iteratorISI_EEEEENSH_IJSG_SG_SG_EEES9_SI_JZNS1_25segmented_radix_sort_implINS0_14default_configELb0EPK6__halfPSP_PKlPlN2at6native12_GLOBAL__N_18offset_tEEE10hipError_tPvRmT1_PNSt15iterator_traitsIS13_E10value_typeET2_T3_PNS14_IS19_E10value_typeET4_jRbjT5_S1F_jjP12ihipStream_tbEUljE_ZNSN_ISO_Lb0ESR_SS_SU_SV_SZ_EES10_S11_S12_S13_S17_S18_S19_S1C_S1D_jS1E_jS1F_S1F_jjS1H_bEUljE0_EEES10_S11_S12_S19_S1D_S1F_T6_T7_T9_mT8_S1H_bDpT10_ENKUlT_T0_E_clISt17integral_constantIbLb0EES1U_IbLb1EEEEDaS1Q_S1R_EUlS1Q_E_NS1_11comp_targetILNS1_3genE8ELNS1_11target_archE1030ELNS1_3gpuE2ELNS1_3repE0EEENS1_30default_config_static_selectorELNS0_4arch9wavefront6targetE1EEEvS13_
		.amdhsa_group_segment_fixed_size 0
		.amdhsa_private_segment_fixed_size 0
		.amdhsa_kernarg_size 184
		.amdhsa_user_sgpr_count 6
		.amdhsa_user_sgpr_private_segment_buffer 1
		.amdhsa_user_sgpr_dispatch_ptr 0
		.amdhsa_user_sgpr_queue_ptr 0
		.amdhsa_user_sgpr_kernarg_segment_ptr 1
		.amdhsa_user_sgpr_dispatch_id 0
		.amdhsa_user_sgpr_flat_scratch_init 0
		.amdhsa_user_sgpr_kernarg_preload_length 0
		.amdhsa_user_sgpr_kernarg_preload_offset 0
		.amdhsa_user_sgpr_private_segment_size 0
		.amdhsa_uses_dynamic_stack 0
		.amdhsa_system_sgpr_private_segment_wavefront_offset 0
		.amdhsa_system_sgpr_workgroup_id_x 1
		.amdhsa_system_sgpr_workgroup_id_y 0
		.amdhsa_system_sgpr_workgroup_id_z 0
		.amdhsa_system_sgpr_workgroup_info 0
		.amdhsa_system_vgpr_workitem_id 0
		.amdhsa_next_free_vgpr 1
		.amdhsa_next_free_sgpr 0
		.amdhsa_accum_offset 4
		.amdhsa_reserve_vcc 0
		.amdhsa_reserve_flat_scratch 0
		.amdhsa_float_round_mode_32 0
		.amdhsa_float_round_mode_16_64 0
		.amdhsa_float_denorm_mode_32 3
		.amdhsa_float_denorm_mode_16_64 3
		.amdhsa_dx10_clamp 1
		.amdhsa_ieee_mode 1
		.amdhsa_fp16_overflow 0
		.amdhsa_tg_split 0
		.amdhsa_exception_fp_ieee_invalid_op 0
		.amdhsa_exception_fp_denorm_src 0
		.amdhsa_exception_fp_ieee_div_zero 0
		.amdhsa_exception_fp_ieee_overflow 0
		.amdhsa_exception_fp_ieee_underflow 0
		.amdhsa_exception_fp_ieee_inexact 0
		.amdhsa_exception_int_div_zero 0
	.end_amdhsa_kernel
	.section	.text._ZN7rocprim17ROCPRIM_400000_NS6detail17trampoline_kernelINS0_13select_configILj256ELj13ELNS0_17block_load_methodE3ELS4_3ELS4_3ELNS0_20block_scan_algorithmE0ELj4294967295EEENS1_25partition_config_selectorILNS1_17partition_subalgoE4EjNS0_10empty_typeEbEEZZNS1_14partition_implILS8_4ELb0ES6_15HIP_vector_typeIjLj2EENS0_17counting_iteratorIjlEEPS9_SG_NS0_5tupleIJPjSI_NS0_16reverse_iteratorISI_EEEEENSH_IJSG_SG_SG_EEES9_SI_JZNS1_25segmented_radix_sort_implINS0_14default_configELb0EPK6__halfPSP_PKlPlN2at6native12_GLOBAL__N_18offset_tEEE10hipError_tPvRmT1_PNSt15iterator_traitsIS13_E10value_typeET2_T3_PNS14_IS19_E10value_typeET4_jRbjT5_S1F_jjP12ihipStream_tbEUljE_ZNSN_ISO_Lb0ESR_SS_SU_SV_SZ_EES10_S11_S12_S13_S17_S18_S19_S1C_S1D_jS1E_jS1F_S1F_jjS1H_bEUljE0_EEES10_S11_S12_S19_S1D_S1F_T6_T7_T9_mT8_S1H_bDpT10_ENKUlT_T0_E_clISt17integral_constantIbLb0EES1U_IbLb1EEEEDaS1Q_S1R_EUlS1Q_E_NS1_11comp_targetILNS1_3genE8ELNS1_11target_archE1030ELNS1_3gpuE2ELNS1_3repE0EEENS1_30default_config_static_selectorELNS0_4arch9wavefront6targetE1EEEvS13_,"axG",@progbits,_ZN7rocprim17ROCPRIM_400000_NS6detail17trampoline_kernelINS0_13select_configILj256ELj13ELNS0_17block_load_methodE3ELS4_3ELS4_3ELNS0_20block_scan_algorithmE0ELj4294967295EEENS1_25partition_config_selectorILNS1_17partition_subalgoE4EjNS0_10empty_typeEbEEZZNS1_14partition_implILS8_4ELb0ES6_15HIP_vector_typeIjLj2EENS0_17counting_iteratorIjlEEPS9_SG_NS0_5tupleIJPjSI_NS0_16reverse_iteratorISI_EEEEENSH_IJSG_SG_SG_EEES9_SI_JZNS1_25segmented_radix_sort_implINS0_14default_configELb0EPK6__halfPSP_PKlPlN2at6native12_GLOBAL__N_18offset_tEEE10hipError_tPvRmT1_PNSt15iterator_traitsIS13_E10value_typeET2_T3_PNS14_IS19_E10value_typeET4_jRbjT5_S1F_jjP12ihipStream_tbEUljE_ZNSN_ISO_Lb0ESR_SS_SU_SV_SZ_EES10_S11_S12_S13_S17_S18_S19_S1C_S1D_jS1E_jS1F_S1F_jjS1H_bEUljE0_EEES10_S11_S12_S19_S1D_S1F_T6_T7_T9_mT8_S1H_bDpT10_ENKUlT_T0_E_clISt17integral_constantIbLb0EES1U_IbLb1EEEEDaS1Q_S1R_EUlS1Q_E_NS1_11comp_targetILNS1_3genE8ELNS1_11target_archE1030ELNS1_3gpuE2ELNS1_3repE0EEENS1_30default_config_static_selectorELNS0_4arch9wavefront6targetE1EEEvS13_,comdat
.Lfunc_end1807:
	.size	_ZN7rocprim17ROCPRIM_400000_NS6detail17trampoline_kernelINS0_13select_configILj256ELj13ELNS0_17block_load_methodE3ELS4_3ELS4_3ELNS0_20block_scan_algorithmE0ELj4294967295EEENS1_25partition_config_selectorILNS1_17partition_subalgoE4EjNS0_10empty_typeEbEEZZNS1_14partition_implILS8_4ELb0ES6_15HIP_vector_typeIjLj2EENS0_17counting_iteratorIjlEEPS9_SG_NS0_5tupleIJPjSI_NS0_16reverse_iteratorISI_EEEEENSH_IJSG_SG_SG_EEES9_SI_JZNS1_25segmented_radix_sort_implINS0_14default_configELb0EPK6__halfPSP_PKlPlN2at6native12_GLOBAL__N_18offset_tEEE10hipError_tPvRmT1_PNSt15iterator_traitsIS13_E10value_typeET2_T3_PNS14_IS19_E10value_typeET4_jRbjT5_S1F_jjP12ihipStream_tbEUljE_ZNSN_ISO_Lb0ESR_SS_SU_SV_SZ_EES10_S11_S12_S13_S17_S18_S19_S1C_S1D_jS1E_jS1F_S1F_jjS1H_bEUljE0_EEES10_S11_S12_S19_S1D_S1F_T6_T7_T9_mT8_S1H_bDpT10_ENKUlT_T0_E_clISt17integral_constantIbLb0EES1U_IbLb1EEEEDaS1Q_S1R_EUlS1Q_E_NS1_11comp_targetILNS1_3genE8ELNS1_11target_archE1030ELNS1_3gpuE2ELNS1_3repE0EEENS1_30default_config_static_selectorELNS0_4arch9wavefront6targetE1EEEvS13_, .Lfunc_end1807-_ZN7rocprim17ROCPRIM_400000_NS6detail17trampoline_kernelINS0_13select_configILj256ELj13ELNS0_17block_load_methodE3ELS4_3ELS4_3ELNS0_20block_scan_algorithmE0ELj4294967295EEENS1_25partition_config_selectorILNS1_17partition_subalgoE4EjNS0_10empty_typeEbEEZZNS1_14partition_implILS8_4ELb0ES6_15HIP_vector_typeIjLj2EENS0_17counting_iteratorIjlEEPS9_SG_NS0_5tupleIJPjSI_NS0_16reverse_iteratorISI_EEEEENSH_IJSG_SG_SG_EEES9_SI_JZNS1_25segmented_radix_sort_implINS0_14default_configELb0EPK6__halfPSP_PKlPlN2at6native12_GLOBAL__N_18offset_tEEE10hipError_tPvRmT1_PNSt15iterator_traitsIS13_E10value_typeET2_T3_PNS14_IS19_E10value_typeET4_jRbjT5_S1F_jjP12ihipStream_tbEUljE_ZNSN_ISO_Lb0ESR_SS_SU_SV_SZ_EES10_S11_S12_S13_S17_S18_S19_S1C_S1D_jS1E_jS1F_S1F_jjS1H_bEUljE0_EEES10_S11_S12_S19_S1D_S1F_T6_T7_T9_mT8_S1H_bDpT10_ENKUlT_T0_E_clISt17integral_constantIbLb0EES1U_IbLb1EEEEDaS1Q_S1R_EUlS1Q_E_NS1_11comp_targetILNS1_3genE8ELNS1_11target_archE1030ELNS1_3gpuE2ELNS1_3repE0EEENS1_30default_config_static_selectorELNS0_4arch9wavefront6targetE1EEEvS13_
                                        ; -- End function
	.section	.AMDGPU.csdata,"",@progbits
; Kernel info:
; codeLenInByte = 0
; NumSgprs: 4
; NumVgprs: 0
; NumAgprs: 0
; TotalNumVgprs: 0
; ScratchSize: 0
; MemoryBound: 0
; FloatMode: 240
; IeeeMode: 1
; LDSByteSize: 0 bytes/workgroup (compile time only)
; SGPRBlocks: 0
; VGPRBlocks: 0
; NumSGPRsForWavesPerEU: 4
; NumVGPRsForWavesPerEU: 1
; AccumOffset: 4
; Occupancy: 8
; WaveLimiterHint : 0
; COMPUTE_PGM_RSRC2:SCRATCH_EN: 0
; COMPUTE_PGM_RSRC2:USER_SGPR: 6
; COMPUTE_PGM_RSRC2:TRAP_HANDLER: 0
; COMPUTE_PGM_RSRC2:TGID_X_EN: 1
; COMPUTE_PGM_RSRC2:TGID_Y_EN: 0
; COMPUTE_PGM_RSRC2:TGID_Z_EN: 0
; COMPUTE_PGM_RSRC2:TIDIG_COMP_CNT: 0
; COMPUTE_PGM_RSRC3_GFX90A:ACCUM_OFFSET: 0
; COMPUTE_PGM_RSRC3_GFX90A:TG_SPLIT: 0
	.section	.text._ZN7rocprim17ROCPRIM_400000_NS6detail17trampoline_kernelINS0_13select_configILj256ELj13ELNS0_17block_load_methodE3ELS4_3ELS4_3ELNS0_20block_scan_algorithmE0ELj4294967295EEENS1_25partition_config_selectorILNS1_17partition_subalgoE3EjNS0_10empty_typeEbEEZZNS1_14partition_implILS8_3ELb0ES6_jNS0_17counting_iteratorIjlEEPS9_SE_NS0_5tupleIJPjSE_EEENSF_IJSE_SE_EEES9_SG_JZNS1_25segmented_radix_sort_implINS0_14default_configELb0EPK6__halfPSL_PKlPlN2at6native12_GLOBAL__N_18offset_tEEE10hipError_tPvRmT1_PNSt15iterator_traitsISZ_E10value_typeET2_T3_PNS10_IS15_E10value_typeET4_jRbjT5_S1B_jjP12ihipStream_tbEUljE_EEESW_SX_SY_S15_S19_S1B_T6_T7_T9_mT8_S1D_bDpT10_ENKUlT_T0_E_clISt17integral_constantIbLb0EES1Q_EEDaS1L_S1M_EUlS1L_E_NS1_11comp_targetILNS1_3genE0ELNS1_11target_archE4294967295ELNS1_3gpuE0ELNS1_3repE0EEENS1_30default_config_static_selectorELNS0_4arch9wavefront6targetE1EEEvSZ_,"axG",@progbits,_ZN7rocprim17ROCPRIM_400000_NS6detail17trampoline_kernelINS0_13select_configILj256ELj13ELNS0_17block_load_methodE3ELS4_3ELS4_3ELNS0_20block_scan_algorithmE0ELj4294967295EEENS1_25partition_config_selectorILNS1_17partition_subalgoE3EjNS0_10empty_typeEbEEZZNS1_14partition_implILS8_3ELb0ES6_jNS0_17counting_iteratorIjlEEPS9_SE_NS0_5tupleIJPjSE_EEENSF_IJSE_SE_EEES9_SG_JZNS1_25segmented_radix_sort_implINS0_14default_configELb0EPK6__halfPSL_PKlPlN2at6native12_GLOBAL__N_18offset_tEEE10hipError_tPvRmT1_PNSt15iterator_traitsISZ_E10value_typeET2_T3_PNS10_IS15_E10value_typeET4_jRbjT5_S1B_jjP12ihipStream_tbEUljE_EEESW_SX_SY_S15_S19_S1B_T6_T7_T9_mT8_S1D_bDpT10_ENKUlT_T0_E_clISt17integral_constantIbLb0EES1Q_EEDaS1L_S1M_EUlS1L_E_NS1_11comp_targetILNS1_3genE0ELNS1_11target_archE4294967295ELNS1_3gpuE0ELNS1_3repE0EEENS1_30default_config_static_selectorELNS0_4arch9wavefront6targetE1EEEvSZ_,comdat
	.globl	_ZN7rocprim17ROCPRIM_400000_NS6detail17trampoline_kernelINS0_13select_configILj256ELj13ELNS0_17block_load_methodE3ELS4_3ELS4_3ELNS0_20block_scan_algorithmE0ELj4294967295EEENS1_25partition_config_selectorILNS1_17partition_subalgoE3EjNS0_10empty_typeEbEEZZNS1_14partition_implILS8_3ELb0ES6_jNS0_17counting_iteratorIjlEEPS9_SE_NS0_5tupleIJPjSE_EEENSF_IJSE_SE_EEES9_SG_JZNS1_25segmented_radix_sort_implINS0_14default_configELb0EPK6__halfPSL_PKlPlN2at6native12_GLOBAL__N_18offset_tEEE10hipError_tPvRmT1_PNSt15iterator_traitsISZ_E10value_typeET2_T3_PNS10_IS15_E10value_typeET4_jRbjT5_S1B_jjP12ihipStream_tbEUljE_EEESW_SX_SY_S15_S19_S1B_T6_T7_T9_mT8_S1D_bDpT10_ENKUlT_T0_E_clISt17integral_constantIbLb0EES1Q_EEDaS1L_S1M_EUlS1L_E_NS1_11comp_targetILNS1_3genE0ELNS1_11target_archE4294967295ELNS1_3gpuE0ELNS1_3repE0EEENS1_30default_config_static_selectorELNS0_4arch9wavefront6targetE1EEEvSZ_ ; -- Begin function _ZN7rocprim17ROCPRIM_400000_NS6detail17trampoline_kernelINS0_13select_configILj256ELj13ELNS0_17block_load_methodE3ELS4_3ELS4_3ELNS0_20block_scan_algorithmE0ELj4294967295EEENS1_25partition_config_selectorILNS1_17partition_subalgoE3EjNS0_10empty_typeEbEEZZNS1_14partition_implILS8_3ELb0ES6_jNS0_17counting_iteratorIjlEEPS9_SE_NS0_5tupleIJPjSE_EEENSF_IJSE_SE_EEES9_SG_JZNS1_25segmented_radix_sort_implINS0_14default_configELb0EPK6__halfPSL_PKlPlN2at6native12_GLOBAL__N_18offset_tEEE10hipError_tPvRmT1_PNSt15iterator_traitsISZ_E10value_typeET2_T3_PNS10_IS15_E10value_typeET4_jRbjT5_S1B_jjP12ihipStream_tbEUljE_EEESW_SX_SY_S15_S19_S1B_T6_T7_T9_mT8_S1D_bDpT10_ENKUlT_T0_E_clISt17integral_constantIbLb0EES1Q_EEDaS1L_S1M_EUlS1L_E_NS1_11comp_targetILNS1_3genE0ELNS1_11target_archE4294967295ELNS1_3gpuE0ELNS1_3repE0EEENS1_30default_config_static_selectorELNS0_4arch9wavefront6targetE1EEEvSZ_
	.p2align	8
	.type	_ZN7rocprim17ROCPRIM_400000_NS6detail17trampoline_kernelINS0_13select_configILj256ELj13ELNS0_17block_load_methodE3ELS4_3ELS4_3ELNS0_20block_scan_algorithmE0ELj4294967295EEENS1_25partition_config_selectorILNS1_17partition_subalgoE3EjNS0_10empty_typeEbEEZZNS1_14partition_implILS8_3ELb0ES6_jNS0_17counting_iteratorIjlEEPS9_SE_NS0_5tupleIJPjSE_EEENSF_IJSE_SE_EEES9_SG_JZNS1_25segmented_radix_sort_implINS0_14default_configELb0EPK6__halfPSL_PKlPlN2at6native12_GLOBAL__N_18offset_tEEE10hipError_tPvRmT1_PNSt15iterator_traitsISZ_E10value_typeET2_T3_PNS10_IS15_E10value_typeET4_jRbjT5_S1B_jjP12ihipStream_tbEUljE_EEESW_SX_SY_S15_S19_S1B_T6_T7_T9_mT8_S1D_bDpT10_ENKUlT_T0_E_clISt17integral_constantIbLb0EES1Q_EEDaS1L_S1M_EUlS1L_E_NS1_11comp_targetILNS1_3genE0ELNS1_11target_archE4294967295ELNS1_3gpuE0ELNS1_3repE0EEENS1_30default_config_static_selectorELNS0_4arch9wavefront6targetE1EEEvSZ_,@function
_ZN7rocprim17ROCPRIM_400000_NS6detail17trampoline_kernelINS0_13select_configILj256ELj13ELNS0_17block_load_methodE3ELS4_3ELS4_3ELNS0_20block_scan_algorithmE0ELj4294967295EEENS1_25partition_config_selectorILNS1_17partition_subalgoE3EjNS0_10empty_typeEbEEZZNS1_14partition_implILS8_3ELb0ES6_jNS0_17counting_iteratorIjlEEPS9_SE_NS0_5tupleIJPjSE_EEENSF_IJSE_SE_EEES9_SG_JZNS1_25segmented_radix_sort_implINS0_14default_configELb0EPK6__halfPSL_PKlPlN2at6native12_GLOBAL__N_18offset_tEEE10hipError_tPvRmT1_PNSt15iterator_traitsISZ_E10value_typeET2_T3_PNS10_IS15_E10value_typeET4_jRbjT5_S1B_jjP12ihipStream_tbEUljE_EEESW_SX_SY_S15_S19_S1B_T6_T7_T9_mT8_S1D_bDpT10_ENKUlT_T0_E_clISt17integral_constantIbLb0EES1Q_EEDaS1L_S1M_EUlS1L_E_NS1_11comp_targetILNS1_3genE0ELNS1_11target_archE4294967295ELNS1_3gpuE0ELNS1_3repE0EEENS1_30default_config_static_selectorELNS0_4arch9wavefront6targetE1EEEvSZ_: ; @_ZN7rocprim17ROCPRIM_400000_NS6detail17trampoline_kernelINS0_13select_configILj256ELj13ELNS0_17block_load_methodE3ELS4_3ELS4_3ELNS0_20block_scan_algorithmE0ELj4294967295EEENS1_25partition_config_selectorILNS1_17partition_subalgoE3EjNS0_10empty_typeEbEEZZNS1_14partition_implILS8_3ELb0ES6_jNS0_17counting_iteratorIjlEEPS9_SE_NS0_5tupleIJPjSE_EEENSF_IJSE_SE_EEES9_SG_JZNS1_25segmented_radix_sort_implINS0_14default_configELb0EPK6__halfPSL_PKlPlN2at6native12_GLOBAL__N_18offset_tEEE10hipError_tPvRmT1_PNSt15iterator_traitsISZ_E10value_typeET2_T3_PNS10_IS15_E10value_typeET4_jRbjT5_S1B_jjP12ihipStream_tbEUljE_EEESW_SX_SY_S15_S19_S1B_T6_T7_T9_mT8_S1D_bDpT10_ENKUlT_T0_E_clISt17integral_constantIbLb0EES1Q_EEDaS1L_S1M_EUlS1L_E_NS1_11comp_targetILNS1_3genE0ELNS1_11target_archE4294967295ELNS1_3gpuE0ELNS1_3repE0EEENS1_30default_config_static_selectorELNS0_4arch9wavefront6targetE1EEEvSZ_
; %bb.0:
	.section	.rodata,"a",@progbits
	.p2align	6, 0x0
	.amdhsa_kernel _ZN7rocprim17ROCPRIM_400000_NS6detail17trampoline_kernelINS0_13select_configILj256ELj13ELNS0_17block_load_methodE3ELS4_3ELS4_3ELNS0_20block_scan_algorithmE0ELj4294967295EEENS1_25partition_config_selectorILNS1_17partition_subalgoE3EjNS0_10empty_typeEbEEZZNS1_14partition_implILS8_3ELb0ES6_jNS0_17counting_iteratorIjlEEPS9_SE_NS0_5tupleIJPjSE_EEENSF_IJSE_SE_EEES9_SG_JZNS1_25segmented_radix_sort_implINS0_14default_configELb0EPK6__halfPSL_PKlPlN2at6native12_GLOBAL__N_18offset_tEEE10hipError_tPvRmT1_PNSt15iterator_traitsISZ_E10value_typeET2_T3_PNS10_IS15_E10value_typeET4_jRbjT5_S1B_jjP12ihipStream_tbEUljE_EEESW_SX_SY_S15_S19_S1B_T6_T7_T9_mT8_S1D_bDpT10_ENKUlT_T0_E_clISt17integral_constantIbLb0EES1Q_EEDaS1L_S1M_EUlS1L_E_NS1_11comp_targetILNS1_3genE0ELNS1_11target_archE4294967295ELNS1_3gpuE0ELNS1_3repE0EEENS1_30default_config_static_selectorELNS0_4arch9wavefront6targetE1EEEvSZ_
		.amdhsa_group_segment_fixed_size 0
		.amdhsa_private_segment_fixed_size 0
		.amdhsa_kernarg_size 144
		.amdhsa_user_sgpr_count 6
		.amdhsa_user_sgpr_private_segment_buffer 1
		.amdhsa_user_sgpr_dispatch_ptr 0
		.amdhsa_user_sgpr_queue_ptr 0
		.amdhsa_user_sgpr_kernarg_segment_ptr 1
		.amdhsa_user_sgpr_dispatch_id 0
		.amdhsa_user_sgpr_flat_scratch_init 0
		.amdhsa_user_sgpr_kernarg_preload_length 0
		.amdhsa_user_sgpr_kernarg_preload_offset 0
		.amdhsa_user_sgpr_private_segment_size 0
		.amdhsa_uses_dynamic_stack 0
		.amdhsa_system_sgpr_private_segment_wavefront_offset 0
		.amdhsa_system_sgpr_workgroup_id_x 1
		.amdhsa_system_sgpr_workgroup_id_y 0
		.amdhsa_system_sgpr_workgroup_id_z 0
		.amdhsa_system_sgpr_workgroup_info 0
		.amdhsa_system_vgpr_workitem_id 0
		.amdhsa_next_free_vgpr 1
		.amdhsa_next_free_sgpr 0
		.amdhsa_accum_offset 4
		.amdhsa_reserve_vcc 0
		.amdhsa_reserve_flat_scratch 0
		.amdhsa_float_round_mode_32 0
		.amdhsa_float_round_mode_16_64 0
		.amdhsa_float_denorm_mode_32 3
		.amdhsa_float_denorm_mode_16_64 3
		.amdhsa_dx10_clamp 1
		.amdhsa_ieee_mode 1
		.amdhsa_fp16_overflow 0
		.amdhsa_tg_split 0
		.amdhsa_exception_fp_ieee_invalid_op 0
		.amdhsa_exception_fp_denorm_src 0
		.amdhsa_exception_fp_ieee_div_zero 0
		.amdhsa_exception_fp_ieee_overflow 0
		.amdhsa_exception_fp_ieee_underflow 0
		.amdhsa_exception_fp_ieee_inexact 0
		.amdhsa_exception_int_div_zero 0
	.end_amdhsa_kernel
	.section	.text._ZN7rocprim17ROCPRIM_400000_NS6detail17trampoline_kernelINS0_13select_configILj256ELj13ELNS0_17block_load_methodE3ELS4_3ELS4_3ELNS0_20block_scan_algorithmE0ELj4294967295EEENS1_25partition_config_selectorILNS1_17partition_subalgoE3EjNS0_10empty_typeEbEEZZNS1_14partition_implILS8_3ELb0ES6_jNS0_17counting_iteratorIjlEEPS9_SE_NS0_5tupleIJPjSE_EEENSF_IJSE_SE_EEES9_SG_JZNS1_25segmented_radix_sort_implINS0_14default_configELb0EPK6__halfPSL_PKlPlN2at6native12_GLOBAL__N_18offset_tEEE10hipError_tPvRmT1_PNSt15iterator_traitsISZ_E10value_typeET2_T3_PNS10_IS15_E10value_typeET4_jRbjT5_S1B_jjP12ihipStream_tbEUljE_EEESW_SX_SY_S15_S19_S1B_T6_T7_T9_mT8_S1D_bDpT10_ENKUlT_T0_E_clISt17integral_constantIbLb0EES1Q_EEDaS1L_S1M_EUlS1L_E_NS1_11comp_targetILNS1_3genE0ELNS1_11target_archE4294967295ELNS1_3gpuE0ELNS1_3repE0EEENS1_30default_config_static_selectorELNS0_4arch9wavefront6targetE1EEEvSZ_,"axG",@progbits,_ZN7rocprim17ROCPRIM_400000_NS6detail17trampoline_kernelINS0_13select_configILj256ELj13ELNS0_17block_load_methodE3ELS4_3ELS4_3ELNS0_20block_scan_algorithmE0ELj4294967295EEENS1_25partition_config_selectorILNS1_17partition_subalgoE3EjNS0_10empty_typeEbEEZZNS1_14partition_implILS8_3ELb0ES6_jNS0_17counting_iteratorIjlEEPS9_SE_NS0_5tupleIJPjSE_EEENSF_IJSE_SE_EEES9_SG_JZNS1_25segmented_radix_sort_implINS0_14default_configELb0EPK6__halfPSL_PKlPlN2at6native12_GLOBAL__N_18offset_tEEE10hipError_tPvRmT1_PNSt15iterator_traitsISZ_E10value_typeET2_T3_PNS10_IS15_E10value_typeET4_jRbjT5_S1B_jjP12ihipStream_tbEUljE_EEESW_SX_SY_S15_S19_S1B_T6_T7_T9_mT8_S1D_bDpT10_ENKUlT_T0_E_clISt17integral_constantIbLb0EES1Q_EEDaS1L_S1M_EUlS1L_E_NS1_11comp_targetILNS1_3genE0ELNS1_11target_archE4294967295ELNS1_3gpuE0ELNS1_3repE0EEENS1_30default_config_static_selectorELNS0_4arch9wavefront6targetE1EEEvSZ_,comdat
.Lfunc_end1808:
	.size	_ZN7rocprim17ROCPRIM_400000_NS6detail17trampoline_kernelINS0_13select_configILj256ELj13ELNS0_17block_load_methodE3ELS4_3ELS4_3ELNS0_20block_scan_algorithmE0ELj4294967295EEENS1_25partition_config_selectorILNS1_17partition_subalgoE3EjNS0_10empty_typeEbEEZZNS1_14partition_implILS8_3ELb0ES6_jNS0_17counting_iteratorIjlEEPS9_SE_NS0_5tupleIJPjSE_EEENSF_IJSE_SE_EEES9_SG_JZNS1_25segmented_radix_sort_implINS0_14default_configELb0EPK6__halfPSL_PKlPlN2at6native12_GLOBAL__N_18offset_tEEE10hipError_tPvRmT1_PNSt15iterator_traitsISZ_E10value_typeET2_T3_PNS10_IS15_E10value_typeET4_jRbjT5_S1B_jjP12ihipStream_tbEUljE_EEESW_SX_SY_S15_S19_S1B_T6_T7_T9_mT8_S1D_bDpT10_ENKUlT_T0_E_clISt17integral_constantIbLb0EES1Q_EEDaS1L_S1M_EUlS1L_E_NS1_11comp_targetILNS1_3genE0ELNS1_11target_archE4294967295ELNS1_3gpuE0ELNS1_3repE0EEENS1_30default_config_static_selectorELNS0_4arch9wavefront6targetE1EEEvSZ_, .Lfunc_end1808-_ZN7rocprim17ROCPRIM_400000_NS6detail17trampoline_kernelINS0_13select_configILj256ELj13ELNS0_17block_load_methodE3ELS4_3ELS4_3ELNS0_20block_scan_algorithmE0ELj4294967295EEENS1_25partition_config_selectorILNS1_17partition_subalgoE3EjNS0_10empty_typeEbEEZZNS1_14partition_implILS8_3ELb0ES6_jNS0_17counting_iteratorIjlEEPS9_SE_NS0_5tupleIJPjSE_EEENSF_IJSE_SE_EEES9_SG_JZNS1_25segmented_radix_sort_implINS0_14default_configELb0EPK6__halfPSL_PKlPlN2at6native12_GLOBAL__N_18offset_tEEE10hipError_tPvRmT1_PNSt15iterator_traitsISZ_E10value_typeET2_T3_PNS10_IS15_E10value_typeET4_jRbjT5_S1B_jjP12ihipStream_tbEUljE_EEESW_SX_SY_S15_S19_S1B_T6_T7_T9_mT8_S1D_bDpT10_ENKUlT_T0_E_clISt17integral_constantIbLb0EES1Q_EEDaS1L_S1M_EUlS1L_E_NS1_11comp_targetILNS1_3genE0ELNS1_11target_archE4294967295ELNS1_3gpuE0ELNS1_3repE0EEENS1_30default_config_static_selectorELNS0_4arch9wavefront6targetE1EEEvSZ_
                                        ; -- End function
	.section	.AMDGPU.csdata,"",@progbits
; Kernel info:
; codeLenInByte = 0
; NumSgprs: 4
; NumVgprs: 0
; NumAgprs: 0
; TotalNumVgprs: 0
; ScratchSize: 0
; MemoryBound: 0
; FloatMode: 240
; IeeeMode: 1
; LDSByteSize: 0 bytes/workgroup (compile time only)
; SGPRBlocks: 0
; VGPRBlocks: 0
; NumSGPRsForWavesPerEU: 4
; NumVGPRsForWavesPerEU: 1
; AccumOffset: 4
; Occupancy: 8
; WaveLimiterHint : 0
; COMPUTE_PGM_RSRC2:SCRATCH_EN: 0
; COMPUTE_PGM_RSRC2:USER_SGPR: 6
; COMPUTE_PGM_RSRC2:TRAP_HANDLER: 0
; COMPUTE_PGM_RSRC2:TGID_X_EN: 1
; COMPUTE_PGM_RSRC2:TGID_Y_EN: 0
; COMPUTE_PGM_RSRC2:TGID_Z_EN: 0
; COMPUTE_PGM_RSRC2:TIDIG_COMP_CNT: 0
; COMPUTE_PGM_RSRC3_GFX90A:ACCUM_OFFSET: 0
; COMPUTE_PGM_RSRC3_GFX90A:TG_SPLIT: 0
	.section	.text._ZN7rocprim17ROCPRIM_400000_NS6detail17trampoline_kernelINS0_13select_configILj256ELj13ELNS0_17block_load_methodE3ELS4_3ELS4_3ELNS0_20block_scan_algorithmE0ELj4294967295EEENS1_25partition_config_selectorILNS1_17partition_subalgoE3EjNS0_10empty_typeEbEEZZNS1_14partition_implILS8_3ELb0ES6_jNS0_17counting_iteratorIjlEEPS9_SE_NS0_5tupleIJPjSE_EEENSF_IJSE_SE_EEES9_SG_JZNS1_25segmented_radix_sort_implINS0_14default_configELb0EPK6__halfPSL_PKlPlN2at6native12_GLOBAL__N_18offset_tEEE10hipError_tPvRmT1_PNSt15iterator_traitsISZ_E10value_typeET2_T3_PNS10_IS15_E10value_typeET4_jRbjT5_S1B_jjP12ihipStream_tbEUljE_EEESW_SX_SY_S15_S19_S1B_T6_T7_T9_mT8_S1D_bDpT10_ENKUlT_T0_E_clISt17integral_constantIbLb0EES1Q_EEDaS1L_S1M_EUlS1L_E_NS1_11comp_targetILNS1_3genE5ELNS1_11target_archE942ELNS1_3gpuE9ELNS1_3repE0EEENS1_30default_config_static_selectorELNS0_4arch9wavefront6targetE1EEEvSZ_,"axG",@progbits,_ZN7rocprim17ROCPRIM_400000_NS6detail17trampoline_kernelINS0_13select_configILj256ELj13ELNS0_17block_load_methodE3ELS4_3ELS4_3ELNS0_20block_scan_algorithmE0ELj4294967295EEENS1_25partition_config_selectorILNS1_17partition_subalgoE3EjNS0_10empty_typeEbEEZZNS1_14partition_implILS8_3ELb0ES6_jNS0_17counting_iteratorIjlEEPS9_SE_NS0_5tupleIJPjSE_EEENSF_IJSE_SE_EEES9_SG_JZNS1_25segmented_radix_sort_implINS0_14default_configELb0EPK6__halfPSL_PKlPlN2at6native12_GLOBAL__N_18offset_tEEE10hipError_tPvRmT1_PNSt15iterator_traitsISZ_E10value_typeET2_T3_PNS10_IS15_E10value_typeET4_jRbjT5_S1B_jjP12ihipStream_tbEUljE_EEESW_SX_SY_S15_S19_S1B_T6_T7_T9_mT8_S1D_bDpT10_ENKUlT_T0_E_clISt17integral_constantIbLb0EES1Q_EEDaS1L_S1M_EUlS1L_E_NS1_11comp_targetILNS1_3genE5ELNS1_11target_archE942ELNS1_3gpuE9ELNS1_3repE0EEENS1_30default_config_static_selectorELNS0_4arch9wavefront6targetE1EEEvSZ_,comdat
	.globl	_ZN7rocprim17ROCPRIM_400000_NS6detail17trampoline_kernelINS0_13select_configILj256ELj13ELNS0_17block_load_methodE3ELS4_3ELS4_3ELNS0_20block_scan_algorithmE0ELj4294967295EEENS1_25partition_config_selectorILNS1_17partition_subalgoE3EjNS0_10empty_typeEbEEZZNS1_14partition_implILS8_3ELb0ES6_jNS0_17counting_iteratorIjlEEPS9_SE_NS0_5tupleIJPjSE_EEENSF_IJSE_SE_EEES9_SG_JZNS1_25segmented_radix_sort_implINS0_14default_configELb0EPK6__halfPSL_PKlPlN2at6native12_GLOBAL__N_18offset_tEEE10hipError_tPvRmT1_PNSt15iterator_traitsISZ_E10value_typeET2_T3_PNS10_IS15_E10value_typeET4_jRbjT5_S1B_jjP12ihipStream_tbEUljE_EEESW_SX_SY_S15_S19_S1B_T6_T7_T9_mT8_S1D_bDpT10_ENKUlT_T0_E_clISt17integral_constantIbLb0EES1Q_EEDaS1L_S1M_EUlS1L_E_NS1_11comp_targetILNS1_3genE5ELNS1_11target_archE942ELNS1_3gpuE9ELNS1_3repE0EEENS1_30default_config_static_selectorELNS0_4arch9wavefront6targetE1EEEvSZ_ ; -- Begin function _ZN7rocprim17ROCPRIM_400000_NS6detail17trampoline_kernelINS0_13select_configILj256ELj13ELNS0_17block_load_methodE3ELS4_3ELS4_3ELNS0_20block_scan_algorithmE0ELj4294967295EEENS1_25partition_config_selectorILNS1_17partition_subalgoE3EjNS0_10empty_typeEbEEZZNS1_14partition_implILS8_3ELb0ES6_jNS0_17counting_iteratorIjlEEPS9_SE_NS0_5tupleIJPjSE_EEENSF_IJSE_SE_EEES9_SG_JZNS1_25segmented_radix_sort_implINS0_14default_configELb0EPK6__halfPSL_PKlPlN2at6native12_GLOBAL__N_18offset_tEEE10hipError_tPvRmT1_PNSt15iterator_traitsISZ_E10value_typeET2_T3_PNS10_IS15_E10value_typeET4_jRbjT5_S1B_jjP12ihipStream_tbEUljE_EEESW_SX_SY_S15_S19_S1B_T6_T7_T9_mT8_S1D_bDpT10_ENKUlT_T0_E_clISt17integral_constantIbLb0EES1Q_EEDaS1L_S1M_EUlS1L_E_NS1_11comp_targetILNS1_3genE5ELNS1_11target_archE942ELNS1_3gpuE9ELNS1_3repE0EEENS1_30default_config_static_selectorELNS0_4arch9wavefront6targetE1EEEvSZ_
	.p2align	8
	.type	_ZN7rocprim17ROCPRIM_400000_NS6detail17trampoline_kernelINS0_13select_configILj256ELj13ELNS0_17block_load_methodE3ELS4_3ELS4_3ELNS0_20block_scan_algorithmE0ELj4294967295EEENS1_25partition_config_selectorILNS1_17partition_subalgoE3EjNS0_10empty_typeEbEEZZNS1_14partition_implILS8_3ELb0ES6_jNS0_17counting_iteratorIjlEEPS9_SE_NS0_5tupleIJPjSE_EEENSF_IJSE_SE_EEES9_SG_JZNS1_25segmented_radix_sort_implINS0_14default_configELb0EPK6__halfPSL_PKlPlN2at6native12_GLOBAL__N_18offset_tEEE10hipError_tPvRmT1_PNSt15iterator_traitsISZ_E10value_typeET2_T3_PNS10_IS15_E10value_typeET4_jRbjT5_S1B_jjP12ihipStream_tbEUljE_EEESW_SX_SY_S15_S19_S1B_T6_T7_T9_mT8_S1D_bDpT10_ENKUlT_T0_E_clISt17integral_constantIbLb0EES1Q_EEDaS1L_S1M_EUlS1L_E_NS1_11comp_targetILNS1_3genE5ELNS1_11target_archE942ELNS1_3gpuE9ELNS1_3repE0EEENS1_30default_config_static_selectorELNS0_4arch9wavefront6targetE1EEEvSZ_,@function
_ZN7rocprim17ROCPRIM_400000_NS6detail17trampoline_kernelINS0_13select_configILj256ELj13ELNS0_17block_load_methodE3ELS4_3ELS4_3ELNS0_20block_scan_algorithmE0ELj4294967295EEENS1_25partition_config_selectorILNS1_17partition_subalgoE3EjNS0_10empty_typeEbEEZZNS1_14partition_implILS8_3ELb0ES6_jNS0_17counting_iteratorIjlEEPS9_SE_NS0_5tupleIJPjSE_EEENSF_IJSE_SE_EEES9_SG_JZNS1_25segmented_radix_sort_implINS0_14default_configELb0EPK6__halfPSL_PKlPlN2at6native12_GLOBAL__N_18offset_tEEE10hipError_tPvRmT1_PNSt15iterator_traitsISZ_E10value_typeET2_T3_PNS10_IS15_E10value_typeET4_jRbjT5_S1B_jjP12ihipStream_tbEUljE_EEESW_SX_SY_S15_S19_S1B_T6_T7_T9_mT8_S1D_bDpT10_ENKUlT_T0_E_clISt17integral_constantIbLb0EES1Q_EEDaS1L_S1M_EUlS1L_E_NS1_11comp_targetILNS1_3genE5ELNS1_11target_archE942ELNS1_3gpuE9ELNS1_3repE0EEENS1_30default_config_static_selectorELNS0_4arch9wavefront6targetE1EEEvSZ_: ; @_ZN7rocprim17ROCPRIM_400000_NS6detail17trampoline_kernelINS0_13select_configILj256ELj13ELNS0_17block_load_methodE3ELS4_3ELS4_3ELNS0_20block_scan_algorithmE0ELj4294967295EEENS1_25partition_config_selectorILNS1_17partition_subalgoE3EjNS0_10empty_typeEbEEZZNS1_14partition_implILS8_3ELb0ES6_jNS0_17counting_iteratorIjlEEPS9_SE_NS0_5tupleIJPjSE_EEENSF_IJSE_SE_EEES9_SG_JZNS1_25segmented_radix_sort_implINS0_14default_configELb0EPK6__halfPSL_PKlPlN2at6native12_GLOBAL__N_18offset_tEEE10hipError_tPvRmT1_PNSt15iterator_traitsISZ_E10value_typeET2_T3_PNS10_IS15_E10value_typeET4_jRbjT5_S1B_jjP12ihipStream_tbEUljE_EEESW_SX_SY_S15_S19_S1B_T6_T7_T9_mT8_S1D_bDpT10_ENKUlT_T0_E_clISt17integral_constantIbLb0EES1Q_EEDaS1L_S1M_EUlS1L_E_NS1_11comp_targetILNS1_3genE5ELNS1_11target_archE942ELNS1_3gpuE9ELNS1_3repE0EEENS1_30default_config_static_selectorELNS0_4arch9wavefront6targetE1EEEvSZ_
; %bb.0:
	.section	.rodata,"a",@progbits
	.p2align	6, 0x0
	.amdhsa_kernel _ZN7rocprim17ROCPRIM_400000_NS6detail17trampoline_kernelINS0_13select_configILj256ELj13ELNS0_17block_load_methodE3ELS4_3ELS4_3ELNS0_20block_scan_algorithmE0ELj4294967295EEENS1_25partition_config_selectorILNS1_17partition_subalgoE3EjNS0_10empty_typeEbEEZZNS1_14partition_implILS8_3ELb0ES6_jNS0_17counting_iteratorIjlEEPS9_SE_NS0_5tupleIJPjSE_EEENSF_IJSE_SE_EEES9_SG_JZNS1_25segmented_radix_sort_implINS0_14default_configELb0EPK6__halfPSL_PKlPlN2at6native12_GLOBAL__N_18offset_tEEE10hipError_tPvRmT1_PNSt15iterator_traitsISZ_E10value_typeET2_T3_PNS10_IS15_E10value_typeET4_jRbjT5_S1B_jjP12ihipStream_tbEUljE_EEESW_SX_SY_S15_S19_S1B_T6_T7_T9_mT8_S1D_bDpT10_ENKUlT_T0_E_clISt17integral_constantIbLb0EES1Q_EEDaS1L_S1M_EUlS1L_E_NS1_11comp_targetILNS1_3genE5ELNS1_11target_archE942ELNS1_3gpuE9ELNS1_3repE0EEENS1_30default_config_static_selectorELNS0_4arch9wavefront6targetE1EEEvSZ_
		.amdhsa_group_segment_fixed_size 0
		.amdhsa_private_segment_fixed_size 0
		.amdhsa_kernarg_size 144
		.amdhsa_user_sgpr_count 6
		.amdhsa_user_sgpr_private_segment_buffer 1
		.amdhsa_user_sgpr_dispatch_ptr 0
		.amdhsa_user_sgpr_queue_ptr 0
		.amdhsa_user_sgpr_kernarg_segment_ptr 1
		.amdhsa_user_sgpr_dispatch_id 0
		.amdhsa_user_sgpr_flat_scratch_init 0
		.amdhsa_user_sgpr_kernarg_preload_length 0
		.amdhsa_user_sgpr_kernarg_preload_offset 0
		.amdhsa_user_sgpr_private_segment_size 0
		.amdhsa_uses_dynamic_stack 0
		.amdhsa_system_sgpr_private_segment_wavefront_offset 0
		.amdhsa_system_sgpr_workgroup_id_x 1
		.amdhsa_system_sgpr_workgroup_id_y 0
		.amdhsa_system_sgpr_workgroup_id_z 0
		.amdhsa_system_sgpr_workgroup_info 0
		.amdhsa_system_vgpr_workitem_id 0
		.amdhsa_next_free_vgpr 1
		.amdhsa_next_free_sgpr 0
		.amdhsa_accum_offset 4
		.amdhsa_reserve_vcc 0
		.amdhsa_reserve_flat_scratch 0
		.amdhsa_float_round_mode_32 0
		.amdhsa_float_round_mode_16_64 0
		.amdhsa_float_denorm_mode_32 3
		.amdhsa_float_denorm_mode_16_64 3
		.amdhsa_dx10_clamp 1
		.amdhsa_ieee_mode 1
		.amdhsa_fp16_overflow 0
		.amdhsa_tg_split 0
		.amdhsa_exception_fp_ieee_invalid_op 0
		.amdhsa_exception_fp_denorm_src 0
		.amdhsa_exception_fp_ieee_div_zero 0
		.amdhsa_exception_fp_ieee_overflow 0
		.amdhsa_exception_fp_ieee_underflow 0
		.amdhsa_exception_fp_ieee_inexact 0
		.amdhsa_exception_int_div_zero 0
	.end_amdhsa_kernel
	.section	.text._ZN7rocprim17ROCPRIM_400000_NS6detail17trampoline_kernelINS0_13select_configILj256ELj13ELNS0_17block_load_methodE3ELS4_3ELS4_3ELNS0_20block_scan_algorithmE0ELj4294967295EEENS1_25partition_config_selectorILNS1_17partition_subalgoE3EjNS0_10empty_typeEbEEZZNS1_14partition_implILS8_3ELb0ES6_jNS0_17counting_iteratorIjlEEPS9_SE_NS0_5tupleIJPjSE_EEENSF_IJSE_SE_EEES9_SG_JZNS1_25segmented_radix_sort_implINS0_14default_configELb0EPK6__halfPSL_PKlPlN2at6native12_GLOBAL__N_18offset_tEEE10hipError_tPvRmT1_PNSt15iterator_traitsISZ_E10value_typeET2_T3_PNS10_IS15_E10value_typeET4_jRbjT5_S1B_jjP12ihipStream_tbEUljE_EEESW_SX_SY_S15_S19_S1B_T6_T7_T9_mT8_S1D_bDpT10_ENKUlT_T0_E_clISt17integral_constantIbLb0EES1Q_EEDaS1L_S1M_EUlS1L_E_NS1_11comp_targetILNS1_3genE5ELNS1_11target_archE942ELNS1_3gpuE9ELNS1_3repE0EEENS1_30default_config_static_selectorELNS0_4arch9wavefront6targetE1EEEvSZ_,"axG",@progbits,_ZN7rocprim17ROCPRIM_400000_NS6detail17trampoline_kernelINS0_13select_configILj256ELj13ELNS0_17block_load_methodE3ELS4_3ELS4_3ELNS0_20block_scan_algorithmE0ELj4294967295EEENS1_25partition_config_selectorILNS1_17partition_subalgoE3EjNS0_10empty_typeEbEEZZNS1_14partition_implILS8_3ELb0ES6_jNS0_17counting_iteratorIjlEEPS9_SE_NS0_5tupleIJPjSE_EEENSF_IJSE_SE_EEES9_SG_JZNS1_25segmented_radix_sort_implINS0_14default_configELb0EPK6__halfPSL_PKlPlN2at6native12_GLOBAL__N_18offset_tEEE10hipError_tPvRmT1_PNSt15iterator_traitsISZ_E10value_typeET2_T3_PNS10_IS15_E10value_typeET4_jRbjT5_S1B_jjP12ihipStream_tbEUljE_EEESW_SX_SY_S15_S19_S1B_T6_T7_T9_mT8_S1D_bDpT10_ENKUlT_T0_E_clISt17integral_constantIbLb0EES1Q_EEDaS1L_S1M_EUlS1L_E_NS1_11comp_targetILNS1_3genE5ELNS1_11target_archE942ELNS1_3gpuE9ELNS1_3repE0EEENS1_30default_config_static_selectorELNS0_4arch9wavefront6targetE1EEEvSZ_,comdat
.Lfunc_end1809:
	.size	_ZN7rocprim17ROCPRIM_400000_NS6detail17trampoline_kernelINS0_13select_configILj256ELj13ELNS0_17block_load_methodE3ELS4_3ELS4_3ELNS0_20block_scan_algorithmE0ELj4294967295EEENS1_25partition_config_selectorILNS1_17partition_subalgoE3EjNS0_10empty_typeEbEEZZNS1_14partition_implILS8_3ELb0ES6_jNS0_17counting_iteratorIjlEEPS9_SE_NS0_5tupleIJPjSE_EEENSF_IJSE_SE_EEES9_SG_JZNS1_25segmented_radix_sort_implINS0_14default_configELb0EPK6__halfPSL_PKlPlN2at6native12_GLOBAL__N_18offset_tEEE10hipError_tPvRmT1_PNSt15iterator_traitsISZ_E10value_typeET2_T3_PNS10_IS15_E10value_typeET4_jRbjT5_S1B_jjP12ihipStream_tbEUljE_EEESW_SX_SY_S15_S19_S1B_T6_T7_T9_mT8_S1D_bDpT10_ENKUlT_T0_E_clISt17integral_constantIbLb0EES1Q_EEDaS1L_S1M_EUlS1L_E_NS1_11comp_targetILNS1_3genE5ELNS1_11target_archE942ELNS1_3gpuE9ELNS1_3repE0EEENS1_30default_config_static_selectorELNS0_4arch9wavefront6targetE1EEEvSZ_, .Lfunc_end1809-_ZN7rocprim17ROCPRIM_400000_NS6detail17trampoline_kernelINS0_13select_configILj256ELj13ELNS0_17block_load_methodE3ELS4_3ELS4_3ELNS0_20block_scan_algorithmE0ELj4294967295EEENS1_25partition_config_selectorILNS1_17partition_subalgoE3EjNS0_10empty_typeEbEEZZNS1_14partition_implILS8_3ELb0ES6_jNS0_17counting_iteratorIjlEEPS9_SE_NS0_5tupleIJPjSE_EEENSF_IJSE_SE_EEES9_SG_JZNS1_25segmented_radix_sort_implINS0_14default_configELb0EPK6__halfPSL_PKlPlN2at6native12_GLOBAL__N_18offset_tEEE10hipError_tPvRmT1_PNSt15iterator_traitsISZ_E10value_typeET2_T3_PNS10_IS15_E10value_typeET4_jRbjT5_S1B_jjP12ihipStream_tbEUljE_EEESW_SX_SY_S15_S19_S1B_T6_T7_T9_mT8_S1D_bDpT10_ENKUlT_T0_E_clISt17integral_constantIbLb0EES1Q_EEDaS1L_S1M_EUlS1L_E_NS1_11comp_targetILNS1_3genE5ELNS1_11target_archE942ELNS1_3gpuE9ELNS1_3repE0EEENS1_30default_config_static_selectorELNS0_4arch9wavefront6targetE1EEEvSZ_
                                        ; -- End function
	.section	.AMDGPU.csdata,"",@progbits
; Kernel info:
; codeLenInByte = 0
; NumSgprs: 4
; NumVgprs: 0
; NumAgprs: 0
; TotalNumVgprs: 0
; ScratchSize: 0
; MemoryBound: 0
; FloatMode: 240
; IeeeMode: 1
; LDSByteSize: 0 bytes/workgroup (compile time only)
; SGPRBlocks: 0
; VGPRBlocks: 0
; NumSGPRsForWavesPerEU: 4
; NumVGPRsForWavesPerEU: 1
; AccumOffset: 4
; Occupancy: 8
; WaveLimiterHint : 0
; COMPUTE_PGM_RSRC2:SCRATCH_EN: 0
; COMPUTE_PGM_RSRC2:USER_SGPR: 6
; COMPUTE_PGM_RSRC2:TRAP_HANDLER: 0
; COMPUTE_PGM_RSRC2:TGID_X_EN: 1
; COMPUTE_PGM_RSRC2:TGID_Y_EN: 0
; COMPUTE_PGM_RSRC2:TGID_Z_EN: 0
; COMPUTE_PGM_RSRC2:TIDIG_COMP_CNT: 0
; COMPUTE_PGM_RSRC3_GFX90A:ACCUM_OFFSET: 0
; COMPUTE_PGM_RSRC3_GFX90A:TG_SPLIT: 0
	.section	.text._ZN7rocprim17ROCPRIM_400000_NS6detail17trampoline_kernelINS0_13select_configILj256ELj13ELNS0_17block_load_methodE3ELS4_3ELS4_3ELNS0_20block_scan_algorithmE0ELj4294967295EEENS1_25partition_config_selectorILNS1_17partition_subalgoE3EjNS0_10empty_typeEbEEZZNS1_14partition_implILS8_3ELb0ES6_jNS0_17counting_iteratorIjlEEPS9_SE_NS0_5tupleIJPjSE_EEENSF_IJSE_SE_EEES9_SG_JZNS1_25segmented_radix_sort_implINS0_14default_configELb0EPK6__halfPSL_PKlPlN2at6native12_GLOBAL__N_18offset_tEEE10hipError_tPvRmT1_PNSt15iterator_traitsISZ_E10value_typeET2_T3_PNS10_IS15_E10value_typeET4_jRbjT5_S1B_jjP12ihipStream_tbEUljE_EEESW_SX_SY_S15_S19_S1B_T6_T7_T9_mT8_S1D_bDpT10_ENKUlT_T0_E_clISt17integral_constantIbLb0EES1Q_EEDaS1L_S1M_EUlS1L_E_NS1_11comp_targetILNS1_3genE4ELNS1_11target_archE910ELNS1_3gpuE8ELNS1_3repE0EEENS1_30default_config_static_selectorELNS0_4arch9wavefront6targetE1EEEvSZ_,"axG",@progbits,_ZN7rocprim17ROCPRIM_400000_NS6detail17trampoline_kernelINS0_13select_configILj256ELj13ELNS0_17block_load_methodE3ELS4_3ELS4_3ELNS0_20block_scan_algorithmE0ELj4294967295EEENS1_25partition_config_selectorILNS1_17partition_subalgoE3EjNS0_10empty_typeEbEEZZNS1_14partition_implILS8_3ELb0ES6_jNS0_17counting_iteratorIjlEEPS9_SE_NS0_5tupleIJPjSE_EEENSF_IJSE_SE_EEES9_SG_JZNS1_25segmented_radix_sort_implINS0_14default_configELb0EPK6__halfPSL_PKlPlN2at6native12_GLOBAL__N_18offset_tEEE10hipError_tPvRmT1_PNSt15iterator_traitsISZ_E10value_typeET2_T3_PNS10_IS15_E10value_typeET4_jRbjT5_S1B_jjP12ihipStream_tbEUljE_EEESW_SX_SY_S15_S19_S1B_T6_T7_T9_mT8_S1D_bDpT10_ENKUlT_T0_E_clISt17integral_constantIbLb0EES1Q_EEDaS1L_S1M_EUlS1L_E_NS1_11comp_targetILNS1_3genE4ELNS1_11target_archE910ELNS1_3gpuE8ELNS1_3repE0EEENS1_30default_config_static_selectorELNS0_4arch9wavefront6targetE1EEEvSZ_,comdat
	.globl	_ZN7rocprim17ROCPRIM_400000_NS6detail17trampoline_kernelINS0_13select_configILj256ELj13ELNS0_17block_load_methodE3ELS4_3ELS4_3ELNS0_20block_scan_algorithmE0ELj4294967295EEENS1_25partition_config_selectorILNS1_17partition_subalgoE3EjNS0_10empty_typeEbEEZZNS1_14partition_implILS8_3ELb0ES6_jNS0_17counting_iteratorIjlEEPS9_SE_NS0_5tupleIJPjSE_EEENSF_IJSE_SE_EEES9_SG_JZNS1_25segmented_radix_sort_implINS0_14default_configELb0EPK6__halfPSL_PKlPlN2at6native12_GLOBAL__N_18offset_tEEE10hipError_tPvRmT1_PNSt15iterator_traitsISZ_E10value_typeET2_T3_PNS10_IS15_E10value_typeET4_jRbjT5_S1B_jjP12ihipStream_tbEUljE_EEESW_SX_SY_S15_S19_S1B_T6_T7_T9_mT8_S1D_bDpT10_ENKUlT_T0_E_clISt17integral_constantIbLb0EES1Q_EEDaS1L_S1M_EUlS1L_E_NS1_11comp_targetILNS1_3genE4ELNS1_11target_archE910ELNS1_3gpuE8ELNS1_3repE0EEENS1_30default_config_static_selectorELNS0_4arch9wavefront6targetE1EEEvSZ_ ; -- Begin function _ZN7rocprim17ROCPRIM_400000_NS6detail17trampoline_kernelINS0_13select_configILj256ELj13ELNS0_17block_load_methodE3ELS4_3ELS4_3ELNS0_20block_scan_algorithmE0ELj4294967295EEENS1_25partition_config_selectorILNS1_17partition_subalgoE3EjNS0_10empty_typeEbEEZZNS1_14partition_implILS8_3ELb0ES6_jNS0_17counting_iteratorIjlEEPS9_SE_NS0_5tupleIJPjSE_EEENSF_IJSE_SE_EEES9_SG_JZNS1_25segmented_radix_sort_implINS0_14default_configELb0EPK6__halfPSL_PKlPlN2at6native12_GLOBAL__N_18offset_tEEE10hipError_tPvRmT1_PNSt15iterator_traitsISZ_E10value_typeET2_T3_PNS10_IS15_E10value_typeET4_jRbjT5_S1B_jjP12ihipStream_tbEUljE_EEESW_SX_SY_S15_S19_S1B_T6_T7_T9_mT8_S1D_bDpT10_ENKUlT_T0_E_clISt17integral_constantIbLb0EES1Q_EEDaS1L_S1M_EUlS1L_E_NS1_11comp_targetILNS1_3genE4ELNS1_11target_archE910ELNS1_3gpuE8ELNS1_3repE0EEENS1_30default_config_static_selectorELNS0_4arch9wavefront6targetE1EEEvSZ_
	.p2align	8
	.type	_ZN7rocprim17ROCPRIM_400000_NS6detail17trampoline_kernelINS0_13select_configILj256ELj13ELNS0_17block_load_methodE3ELS4_3ELS4_3ELNS0_20block_scan_algorithmE0ELj4294967295EEENS1_25partition_config_selectorILNS1_17partition_subalgoE3EjNS0_10empty_typeEbEEZZNS1_14partition_implILS8_3ELb0ES6_jNS0_17counting_iteratorIjlEEPS9_SE_NS0_5tupleIJPjSE_EEENSF_IJSE_SE_EEES9_SG_JZNS1_25segmented_radix_sort_implINS0_14default_configELb0EPK6__halfPSL_PKlPlN2at6native12_GLOBAL__N_18offset_tEEE10hipError_tPvRmT1_PNSt15iterator_traitsISZ_E10value_typeET2_T3_PNS10_IS15_E10value_typeET4_jRbjT5_S1B_jjP12ihipStream_tbEUljE_EEESW_SX_SY_S15_S19_S1B_T6_T7_T9_mT8_S1D_bDpT10_ENKUlT_T0_E_clISt17integral_constantIbLb0EES1Q_EEDaS1L_S1M_EUlS1L_E_NS1_11comp_targetILNS1_3genE4ELNS1_11target_archE910ELNS1_3gpuE8ELNS1_3repE0EEENS1_30default_config_static_selectorELNS0_4arch9wavefront6targetE1EEEvSZ_,@function
_ZN7rocprim17ROCPRIM_400000_NS6detail17trampoline_kernelINS0_13select_configILj256ELj13ELNS0_17block_load_methodE3ELS4_3ELS4_3ELNS0_20block_scan_algorithmE0ELj4294967295EEENS1_25partition_config_selectorILNS1_17partition_subalgoE3EjNS0_10empty_typeEbEEZZNS1_14partition_implILS8_3ELb0ES6_jNS0_17counting_iteratorIjlEEPS9_SE_NS0_5tupleIJPjSE_EEENSF_IJSE_SE_EEES9_SG_JZNS1_25segmented_radix_sort_implINS0_14default_configELb0EPK6__halfPSL_PKlPlN2at6native12_GLOBAL__N_18offset_tEEE10hipError_tPvRmT1_PNSt15iterator_traitsISZ_E10value_typeET2_T3_PNS10_IS15_E10value_typeET4_jRbjT5_S1B_jjP12ihipStream_tbEUljE_EEESW_SX_SY_S15_S19_S1B_T6_T7_T9_mT8_S1D_bDpT10_ENKUlT_T0_E_clISt17integral_constantIbLb0EES1Q_EEDaS1L_S1M_EUlS1L_E_NS1_11comp_targetILNS1_3genE4ELNS1_11target_archE910ELNS1_3gpuE8ELNS1_3repE0EEENS1_30default_config_static_selectorELNS0_4arch9wavefront6targetE1EEEvSZ_: ; @_ZN7rocprim17ROCPRIM_400000_NS6detail17trampoline_kernelINS0_13select_configILj256ELj13ELNS0_17block_load_methodE3ELS4_3ELS4_3ELNS0_20block_scan_algorithmE0ELj4294967295EEENS1_25partition_config_selectorILNS1_17partition_subalgoE3EjNS0_10empty_typeEbEEZZNS1_14partition_implILS8_3ELb0ES6_jNS0_17counting_iteratorIjlEEPS9_SE_NS0_5tupleIJPjSE_EEENSF_IJSE_SE_EEES9_SG_JZNS1_25segmented_radix_sort_implINS0_14default_configELb0EPK6__halfPSL_PKlPlN2at6native12_GLOBAL__N_18offset_tEEE10hipError_tPvRmT1_PNSt15iterator_traitsISZ_E10value_typeET2_T3_PNS10_IS15_E10value_typeET4_jRbjT5_S1B_jjP12ihipStream_tbEUljE_EEESW_SX_SY_S15_S19_S1B_T6_T7_T9_mT8_S1D_bDpT10_ENKUlT_T0_E_clISt17integral_constantIbLb0EES1Q_EEDaS1L_S1M_EUlS1L_E_NS1_11comp_targetILNS1_3genE4ELNS1_11target_archE910ELNS1_3gpuE8ELNS1_3repE0EEENS1_30default_config_static_selectorELNS0_4arch9wavefront6targetE1EEEvSZ_
; %bb.0:
	s_load_dwordx2 s[26:27], s[4:5], 0x58
	s_load_dwordx4 s[20:23], s[4:5], 0x48
	s_load_dword s13, s[4:5], 0x8
	s_load_dwordx2 s[28:29], s[4:5], 0x10
	s_load_dword s12, s[4:5], 0x70
	s_load_dword s7, s[4:5], 0x88
	s_load_dwordx4 s[8:11], s[4:5], 0x78
	s_waitcnt lgkmcnt(0)
	s_load_dwordx2 s[30:31], s[22:23], 0x0
	v_pk_mov_b32 v[2:3], s[26:27], s[26:27] op_sel:[0,1]
	s_add_i32 s2, s12, -1
	s_mulk_i32 s12, 0xd00
	s_add_u32 s0, s28, s12
	s_addc_u32 s1, s29, 0
	s_cmp_eq_u32 s6, s2
	s_cselect_b64 s[22:23], -1, 0
	s_cmp_lg_u32 s6, s2
	s_mul_i32 s42, s6, 0xd00
	v_cmp_lt_u64_e32 vcc, s[0:1], v[2:3]
	s_cselect_b64 s[0:1], -1, 0
	s_or_b64 s[2:3], s[0:1], vcc
	s_add_i32 s0, s13, s42
	s_add_i32 s0, s0, s28
	v_add_u32_e32 v2, s0, v0
	s_mov_b64 s[0:1], -1
	s_and_b64 vcc, exec, s[2:3]
	v_lshlrev_b32_e32 v1, 2, v0
	s_cbranch_vccz .LBB1810_2
; %bb.1:
	v_add_u32_e32 v3, 0x100, v2
	v_add_u32_e32 v4, 0x200, v2
	;; [unrolled: 1-line block ×12, first 2 shown]
	ds_write2st64_b32 v1, v2, v3 offset1:4
	ds_write2st64_b32 v1, v4, v5 offset0:8 offset1:12
	ds_write2st64_b32 v1, v6, v7 offset0:16 offset1:20
	;; [unrolled: 1-line block ×5, first 2 shown]
	ds_write_b32 v1, v14 offset:12288
	s_waitcnt lgkmcnt(0)
	s_barrier
	s_mov_b64 s[0:1], 0
.LBB1810_2:
	s_andn2_b64 vcc, exec, s[0:1]
	s_add_i32 s12, s12, s28
	s_cbranch_vccnz .LBB1810_4
; %bb.3:
	v_add_u32_e32 v3, 0x100, v2
	v_add_u32_e32 v4, 0x200, v2
	;; [unrolled: 1-line block ×12, first 2 shown]
	ds_write2st64_b32 v1, v2, v3 offset1:4
	ds_write2st64_b32 v1, v4, v5 offset0:8 offset1:12
	ds_write2st64_b32 v1, v6, v7 offset0:16 offset1:20
	;; [unrolled: 1-line block ×5, first 2 shown]
	ds_write_b32 v1, v14 offset:12288
	s_waitcnt lgkmcnt(0)
	s_barrier
.LBB1810_4:
	v_mul_u32_u24_e32 v33, 13, v0
	v_lshlrev_b32_e32 v2, 2, v33
	s_waitcnt lgkmcnt(0)
	ds_read2_b32 v[30:31], v2 offset1:1
	ds_read2_b32 v[28:29], v2 offset0:2 offset1:3
	ds_read2_b32 v[26:27], v2 offset0:4 offset1:5
	;; [unrolled: 1-line block ×5, first 2 shown]
	ds_read_b32 v32, v2 offset:48
	v_cndmask_b32_e64 v2, 0, 1, s[2:3]
	s_sub_i32 s33, s26, s12
	v_cmp_ne_u32_e64 s[0:1], 1, v2
	s_andn2_b64 vcc, exec, s[2:3]
	s_waitcnt lgkmcnt(0)
	s_barrier
	s_cbranch_vccnz .LBB1810_6
; %bb.5:
	v_add_u32_e32 v2, s9, v30
	v_add_u32_e32 v3, s11, v30
	v_mul_lo_u32 v2, v2, s8
	v_mul_lo_u32 v3, v3, s10
	v_sub_u32_e32 v2, v2, v3
	v_add_u32_e32 v3, s9, v31
	v_add_u32_e32 v4, s11, v31
	v_mul_lo_u32 v3, v3, s8
	v_mul_lo_u32 v4, v4, s10
	v_sub_u32_e32 v3, v3, v4
	;; [unrolled: 5-line block ×6, first 2 shown]
	v_add_u32_e32 v8, s9, v24
	v_add_u32_e32 v9, s11, v24
	v_mul_lo_u32 v8, v8, s8
	v_mul_lo_u32 v9, v9, s10
	v_cmp_lt_u32_e32 vcc, s7, v2
	v_sub_u32_e32 v8, v8, v9
	v_add_u32_e32 v9, s9, v25
	v_add_u32_e32 v10, s11, v25
	v_cndmask_b32_e64 v2, 0, 1, vcc
	v_cmp_lt_u32_e32 vcc, s7, v3
	v_mul_lo_u32 v9, v9, s8
	v_mul_lo_u32 v10, v10, s10
	v_cndmask_b32_e64 v3, 0, 1, vcc
	v_cmp_lt_u32_e32 vcc, s7, v4
	v_sub_u32_e32 v9, v9, v10
	v_add_u32_e32 v10, s9, v22
	v_add_u32_e32 v11, s11, v22
	v_cndmask_b32_e64 v4, 0, 1, vcc
	v_cmp_lt_u32_e32 vcc, s7, v5
	v_mul_lo_u32 v10, v10, s8
	v_mul_lo_u32 v11, v11, s10
	v_cndmask_b32_e64 v5, 0, 1, vcc
	;; [unrolled: 9-line block ×4, first 2 shown]
	v_cmp_lt_u32_e32 vcc, s7, v10
	v_sub_u32_e32 v12, v12, v13
	v_add_u32_e32 v13, s9, v21
	v_add_u32_e32 v14, s11, v21
	v_lshlrev_b16_e32 v3, 8, v3
	v_cndmask_b32_e64 v10, 0, 1, vcc
	v_cmp_lt_u32_e32 vcc, s7, v11
	v_mul_lo_u32 v13, v13, s8
	v_mul_lo_u32 v14, v14, s10
	v_or_b32_e32 v2, v2, v3
	v_lshlrev_b16_e32 v3, 8, v5
	v_cndmask_b32_e64 v11, 0, 1, vcc
	v_cmp_lt_u32_e32 vcc, s7, v12
	v_sub_u32_e32 v13, v13, v14
	v_or_b32_sdwa v3, v4, v3 dst_sel:WORD_1 dst_unused:UNUSED_PAD src0_sel:DWORD src1_sel:DWORD
	v_cndmask_b32_e64 v12, 0, 1, vcc
	v_cmp_lt_u32_e32 vcc, s7, v13
	v_add_u32_e32 v14, s9, v32
	v_add_u32_e32 v15, s11, v32
	v_or_b32_sdwa v37, v2, v3 dst_sel:DWORD dst_unused:UNUSED_PAD src0_sel:WORD_0 src1_sel:DWORD
	v_lshlrev_b16_e32 v2, 8, v7
	v_lshlrev_b16_e32 v3, 8, v9
	v_cndmask_b32_e64 v13, 0, 1, vcc
	v_mul_lo_u32 v14, v14, s8
	v_mul_lo_u32 v15, v15, s10
	v_or_b32_e32 v2, v6, v2
	v_or_b32_sdwa v3, v8, v3 dst_sel:WORD_1 dst_unused:UNUSED_PAD src0_sel:DWORD src1_sel:DWORD
	v_sub_u32_e32 v14, v14, v15
	v_or_b32_sdwa v36, v2, v3 dst_sel:DWORD dst_unused:UNUSED_PAD src0_sel:WORD_0 src1_sel:DWORD
	v_lshlrev_b16_e32 v2, 8, v11
	v_lshlrev_b16_e32 v3, 8, v13
	v_cmp_lt_u32_e32 vcc, s7, v14
	v_or_b32_e32 v2, v10, v2
	v_or_b32_sdwa v3, v12, v3 dst_sel:WORD_1 dst_unused:UNUSED_PAD src0_sel:DWORD src1_sel:DWORD
	v_cndmask_b32_e64 v34, 0, 1, vcc
	v_or_b32_sdwa v35, v2, v3 dst_sel:DWORD dst_unused:UNUSED_PAD src0_sel:WORD_0 src1_sel:DWORD
	s_mov_b64 s[2:3], 0
	s_branch .LBB1810_7
.LBB1810_6:
	s_mov_b64 s[2:3], -1
                                        ; implicit-def: $vgpr34
                                        ; implicit-def: $vgpr35
                                        ; implicit-def: $vgpr36
                                        ; implicit-def: $vgpr37
.LBB1810_7:
	s_load_dwordx2 s[24:25], s[4:5], 0x28
	s_load_dwordx2 s[34:35], s[4:5], 0x68
	s_andn2_b64 vcc, exec, s[2:3]
	s_addk_i32 s33, 0xd00
	s_cbranch_vccnz .LBB1810_35
; %bb.8:
	v_cmp_gt_u32_e32 vcc, s33, v33
	v_mov_b32_e32 v3, 0
	v_mov_b32_e32 v2, 0
	s_and_saveexec_b64 s[2:3], vcc
; %bb.9:
	v_add_u32_e32 v2, s9, v30
	v_add_u32_e32 v4, s11, v30
	v_mul_lo_u32 v2, v2, s8
	v_mul_lo_u32 v4, v4, s10
	v_sub_u32_e32 v2, v2, v4
	v_cmp_lt_u32_e32 vcc, s7, v2
	v_cndmask_b32_e64 v2, 0, 1, vcc
; %bb.10:
	s_or_b64 exec, exec, s[2:3]
	v_add_u32_e32 v4, 1, v33
	v_cmp_gt_u32_e32 vcc, s33, v4
	s_and_saveexec_b64 s[2:3], vcc
; %bb.11:
	v_add_u32_e32 v3, s9, v31
	v_add_u32_e32 v4, s11, v31
	v_mul_lo_u32 v3, v3, s8
	v_mul_lo_u32 v4, v4, s10
	v_sub_u32_e32 v3, v3, v4
	v_cmp_lt_u32_e32 vcc, s7, v3
	v_cndmask_b32_e64 v3, 0, 1, vcc
; %bb.12:
	s_or_b64 exec, exec, s[2:3]
	v_add_u32_e32 v4, 2, v33
	v_cmp_gt_u32_e32 vcc, s33, v4
	v_mov_b32_e32 v5, 0
	v_mov_b32_e32 v4, 0
	s_and_saveexec_b64 s[2:3], vcc
; %bb.13:
	v_add_u32_e32 v4, s9, v28
	v_add_u32_e32 v6, s11, v28
	v_mul_lo_u32 v4, v4, s8
	v_mul_lo_u32 v6, v6, s10
	v_sub_u32_e32 v4, v4, v6
	v_cmp_lt_u32_e32 vcc, s7, v4
	v_cndmask_b32_e64 v4, 0, 1, vcc
; %bb.14:
	s_or_b64 exec, exec, s[2:3]
	v_add_u32_e32 v6, 3, v33
	v_cmp_gt_u32_e32 vcc, s33, v6
	s_and_saveexec_b64 s[2:3], vcc
; %bb.15:
	v_add_u32_e32 v5, s9, v29
	v_add_u32_e32 v6, s11, v29
	v_mul_lo_u32 v5, v5, s8
	v_mul_lo_u32 v6, v6, s10
	v_sub_u32_e32 v5, v5, v6
	v_cmp_lt_u32_e32 vcc, s7, v5
	v_cndmask_b32_e64 v5, 0, 1, vcc
; %bb.16:
	s_or_b64 exec, exec, s[2:3]
	v_add_u32_e32 v6, 4, v33
	;; [unrolled: 28-line block ×6, first 2 shown]
	v_cmp_gt_u32_e32 vcc, s33, v14
	v_mov_b32_e32 v34, 0
	s_and_saveexec_b64 s[2:3], vcc
; %bb.33:
	v_add_u32_e32 v14, s9, v32
	v_add_u32_e32 v15, s11, v32
	v_mul_lo_u32 v14, v14, s8
	v_mul_lo_u32 v15, v15, s10
	v_sub_u32_e32 v14, v14, v15
	v_cmp_lt_u32_e32 vcc, s7, v14
	v_cndmask_b32_e64 v34, 0, 1, vcc
; %bb.34:
	s_or_b64 exec, exec, s[2:3]
	v_lshlrev_b16_e32 v3, 8, v3
	v_or_b32_e32 v2, v2, v3
	v_lshlrev_b16_e32 v3, 8, v5
	v_or_b32_sdwa v3, v4, v3 dst_sel:WORD_1 dst_unused:UNUSED_PAD src0_sel:DWORD src1_sel:DWORD
	v_or_b32_sdwa v37, v2, v3 dst_sel:DWORD dst_unused:UNUSED_PAD src0_sel:WORD_0 src1_sel:DWORD
	v_lshlrev_b16_e32 v2, 8, v7
	v_lshlrev_b16_e32 v3, 8, v9
	v_or_b32_e32 v2, v6, v2
	v_or_b32_sdwa v3, v8, v3 dst_sel:WORD_1 dst_unused:UNUSED_PAD src0_sel:DWORD src1_sel:DWORD
	v_or_b32_sdwa v36, v2, v3 dst_sel:DWORD dst_unused:UNUSED_PAD src0_sel:WORD_0 src1_sel:DWORD
	v_lshlrev_b16_e32 v2, 8, v11
	v_lshlrev_b16_e32 v3, 8, v13
	v_or_b32_e32 v2, v10, v2
	v_or_b32_sdwa v3, v12, v3 dst_sel:WORD_1 dst_unused:UNUSED_PAD src0_sel:DWORD src1_sel:DWORD
	v_or_b32_sdwa v35, v2, v3 dst_sel:DWORD dst_unused:UNUSED_PAD src0_sel:WORD_0 src1_sel:DWORD
.LBB1810_35:
	v_and_b32_e32 v41, 0xff, v37
	v_bfe_u32 v42, v37, 8, 8
	v_bfe_u32 v43, v37, 16, 8
	v_lshrrev_b32_e32 v40, 24, v37
	v_and_b32_e32 v44, 0xff, v36
	v_add3_u32 v3, v42, v41, v43
	v_bfe_u32 v45, v36, 8, 8
	v_bfe_u32 v46, v36, 16, 8
	v_add3_u32 v3, v3, v40, v44
	v_lshrrev_b32_e32 v39, 24, v36
	v_and_b32_e32 v47, 0xff, v35
	v_add3_u32 v3, v3, v45, v46
	v_bfe_u32 v48, v35, 8, 8
	v_bfe_u32 v49, v35, 16, 8
	v_add3_u32 v3, v3, v39, v47
	v_lshrrev_b32_e32 v38, 24, v35
	v_and_b32_e32 v2, 0xff, v34
	v_add3_u32 v3, v3, v48, v49
	v_add3_u32 v52, v3, v38, v2
	v_mbcnt_lo_u32_b32 v2, -1, 0
	v_mbcnt_hi_u32_b32 v50, -1, v2
	v_and_b32_e32 v2, 15, v50
	v_cmp_eq_u32_e64 s[14:15], 0, v2
	v_cmp_lt_u32_e64 s[12:13], 1, v2
	v_cmp_lt_u32_e64 s[10:11], 3, v2
	;; [unrolled: 1-line block ×3, first 2 shown]
	v_and_b32_e32 v2, 16, v50
	v_cmp_eq_u32_e64 s[18:19], 0, v2
	v_or_b32_e32 v2, 63, v0
	s_cmp_lg_u32 s6, 0
	v_cmp_lt_u32_e64 s[2:3], 31, v50
	v_lshrrev_b32_e32 v51, 6, v0
	v_cmp_eq_u32_e64 s[4:5], v2, v0
	s_cbranch_scc0 .LBB1810_62
; %bb.36:
	v_mov_b32_dpp v2, v52 row_shr:1 row_mask:0xf bank_mask:0xf
	v_cndmask_b32_e64 v2, v2, 0, s[14:15]
	v_add_u32_e32 v2, v2, v52
	s_nop 1
	v_mov_b32_dpp v3, v2 row_shr:2 row_mask:0xf bank_mask:0xf
	v_cndmask_b32_e64 v3, 0, v3, s[12:13]
	v_add_u32_e32 v2, v2, v3
	s_nop 1
	;; [unrolled: 4-line block ×4, first 2 shown]
	v_mov_b32_dpp v3, v2 row_bcast:15 row_mask:0xf bank_mask:0xf
	v_cndmask_b32_e64 v3, v3, 0, s[18:19]
	v_add_u32_e32 v2, v2, v3
	s_nop 1
	v_mov_b32_dpp v3, v2 row_bcast:31 row_mask:0xf bank_mask:0xf
	v_cndmask_b32_e64 v3, 0, v3, s[2:3]
	v_add_u32_e32 v2, v2, v3
	s_and_saveexec_b64 s[16:17], s[4:5]
	s_cbranch_execz .LBB1810_38
; %bb.37:
	v_lshlrev_b32_e32 v3, 2, v51
	ds_write_b32 v3, v2
.LBB1810_38:
	s_or_b64 exec, exec, s[16:17]
	v_cmp_gt_u32_e32 vcc, 4, v0
	s_waitcnt lgkmcnt(0)
	s_barrier
	s_and_saveexec_b64 s[16:17], vcc
	s_cbranch_execz .LBB1810_40
; %bb.39:
	ds_read_b32 v3, v1
	v_and_b32_e32 v4, 3, v50
	v_cmp_ne_u32_e32 vcc, 0, v4
	s_waitcnt lgkmcnt(0)
	v_mov_b32_dpp v5, v3 row_shr:1 row_mask:0xf bank_mask:0xf
	v_cndmask_b32_e32 v5, 0, v5, vcc
	v_add_u32_e32 v3, v5, v3
	v_cmp_lt_u32_e32 vcc, 1, v4
	s_nop 0
	v_mov_b32_dpp v5, v3 row_shr:2 row_mask:0xf bank_mask:0xf
	v_cndmask_b32_e32 v4, 0, v5, vcc
	v_add_u32_e32 v3, v3, v4
	ds_write_b32 v1, v3
.LBB1810_40:
	s_or_b64 exec, exec, s[16:17]
	v_cmp_gt_u32_e32 vcc, 64, v0
	v_cmp_lt_u32_e64 s[16:17], 63, v0
	s_waitcnt lgkmcnt(0)
	s_barrier
	s_waitcnt lgkmcnt(0)
                                        ; implicit-def: $vgpr12
	s_and_saveexec_b64 s[36:37], s[16:17]
	s_cbranch_execz .LBB1810_42
; %bb.41:
	v_lshl_add_u32 v3, v51, 2, -4
	ds_read_b32 v12, v3
	s_waitcnt lgkmcnt(0)
	v_add_u32_e32 v2, v12, v2
.LBB1810_42:
	s_or_b64 exec, exec, s[36:37]
	v_add_u32_e32 v3, -1, v50
	v_and_b32_e32 v4, 64, v50
	v_cmp_lt_i32_e64 s[16:17], v3, v4
	v_cndmask_b32_e64 v3, v3, v50, s[16:17]
	v_lshlrev_b32_e32 v3, 2, v3
	ds_bpermute_b32 v13, v3, v2
	v_cmp_eq_u32_e64 s[16:17], 0, v50
	s_and_saveexec_b64 s[36:37], vcc
	s_cbranch_execz .LBB1810_61
; %bb.43:
	v_mov_b32_e32 v9, 0
	ds_read_b32 v2, v9 offset:12
	s_and_saveexec_b64 s[38:39], s[16:17]
	s_cbranch_execz .LBB1810_45
; %bb.44:
	s_add_i32 s40, s6, 64
	s_mov_b32 s41, 0
	s_lshl_b64 s[40:41], s[40:41], 3
	s_add_u32 s40, s34, s40
	v_mov_b32_e32 v3, 1
	s_addc_u32 s41, s35, s41
	s_waitcnt lgkmcnt(0)
	global_store_dwordx2 v9, v[2:3], s[40:41]
.LBB1810_45:
	s_or_b64 exec, exec, s[38:39]
	v_xad_u32 v4, v50, -1, s6
	v_add_u32_e32 v8, 64, v4
	v_lshlrev_b64 v[6:7], 3, v[8:9]
	v_mov_b32_e32 v3, s35
	v_add_co_u32_e32 v10, vcc, s34, v6
	v_addc_co_u32_e32 v11, vcc, v3, v7, vcc
	global_load_dwordx2 v[6:7], v[10:11], off glc
	s_waitcnt vmcnt(0)
	v_cmp_eq_u16_sdwa s[40:41], v7, v9 src0_sel:BYTE_0 src1_sel:DWORD
	s_and_saveexec_b64 s[38:39], s[40:41]
	s_cbranch_execz .LBB1810_49
; %bb.46:
	s_mov_b64 s[40:41], 0
	v_mov_b32_e32 v3, 0
.LBB1810_47:                            ; =>This Inner Loop Header: Depth=1
	global_load_dwordx2 v[6:7], v[10:11], off glc
	s_waitcnt vmcnt(0)
	v_cmp_ne_u16_sdwa s[44:45], v7, v3 src0_sel:BYTE_0 src1_sel:DWORD
	s_or_b64 s[40:41], s[44:45], s[40:41]
	s_andn2_b64 exec, exec, s[40:41]
	s_cbranch_execnz .LBB1810_47
; %bb.48:
	s_or_b64 exec, exec, s[40:41]
.LBB1810_49:
	s_or_b64 exec, exec, s[38:39]
	v_and_b32_e32 v14, 63, v50
	v_mov_b32_e32 v3, 2
	v_cmp_ne_u32_e32 vcc, 63, v14
	v_cmp_eq_u16_sdwa s[38:39], v7, v3 src0_sel:BYTE_0 src1_sel:DWORD
	v_lshlrev_b64 v[8:9], v50, -1
	v_addc_co_u32_e32 v11, vcc, 0, v50, vcc
	v_and_b32_e32 v5, s39, v9
	v_lshlrev_b32_e32 v15, 2, v11
	v_or_b32_e32 v5, 0x80000000, v5
	ds_bpermute_b32 v11, v15, v6
	v_and_b32_e32 v10, s38, v8
	v_ffbl_b32_e32 v5, v5
	v_add_u32_e32 v5, 32, v5
	v_ffbl_b32_e32 v10, v10
	v_min_u32_e32 v5, v10, v5
	v_cmp_lt_u32_e32 vcc, v14, v5
	s_waitcnt lgkmcnt(0)
	v_cndmask_b32_e32 v10, 0, v11, vcc
	v_cmp_gt_u32_e32 vcc, 62, v14
	v_add_u32_e32 v6, v10, v6
	v_cndmask_b32_e64 v10, 0, 1, vcc
	v_lshlrev_b32_e32 v10, 1, v10
	v_add_lshl_u32 v16, v10, v50, 2
	ds_bpermute_b32 v10, v16, v6
	v_add_u32_e32 v17, 2, v14
	v_cmp_le_u32_e32 vcc, v17, v5
	v_add_u32_e32 v19, 4, v14
	v_add_u32_e32 v54, 8, v14
	s_waitcnt lgkmcnt(0)
	v_cndmask_b32_e32 v10, 0, v10, vcc
	v_cmp_gt_u32_e32 vcc, 60, v14
	v_add_u32_e32 v6, v6, v10
	v_cndmask_b32_e64 v10, 0, 1, vcc
	v_lshlrev_b32_e32 v10, 2, v10
	v_add_lshl_u32 v18, v10, v50, 2
	ds_bpermute_b32 v10, v18, v6
	v_cmp_le_u32_e32 vcc, v19, v5
	v_add_u32_e32 v57, 16, v14
	v_add_u32_e32 v59, 32, v14
	s_waitcnt lgkmcnt(0)
	v_cndmask_b32_e32 v10, 0, v10, vcc
	v_cmp_gt_u32_e32 vcc, 56, v14
	v_add_u32_e32 v6, v6, v10
	v_cndmask_b32_e64 v10, 0, 1, vcc
	v_lshlrev_b32_e32 v10, 3, v10
	v_add_lshl_u32 v53, v10, v50, 2
	ds_bpermute_b32 v10, v53, v6
	v_cmp_le_u32_e32 vcc, v54, v5
	s_waitcnt lgkmcnt(0)
	v_cndmask_b32_e32 v10, 0, v10, vcc
	v_cmp_gt_u32_e32 vcc, 48, v14
	v_add_u32_e32 v6, v6, v10
	v_cndmask_b32_e64 v10, 0, 1, vcc
	v_lshlrev_b32_e32 v10, 4, v10
	v_add_lshl_u32 v56, v10, v50, 2
	ds_bpermute_b32 v10, v56, v6
	v_cmp_le_u32_e32 vcc, v57, v5
	s_waitcnt lgkmcnt(0)
	v_cndmask_b32_e32 v10, 0, v10, vcc
	v_cmp_gt_u32_e32 vcc, 32, v14
	v_add_u32_e32 v6, v6, v10
	v_cndmask_b32_e64 v10, 0, 1, vcc
	v_lshlrev_b32_e32 v10, 5, v10
	v_add_lshl_u32 v58, v10, v50, 2
	ds_bpermute_b32 v10, v58, v6
	v_cmp_le_u32_e32 vcc, v59, v5
	s_waitcnt lgkmcnt(0)
	v_cndmask_b32_e32 v5, 0, v10, vcc
	v_add_u32_e32 v6, v6, v5
	v_mov_b32_e32 v5, 0
	s_branch .LBB1810_51
.LBB1810_50:                            ;   in Loop: Header=BB1810_51 Depth=1
	s_or_b64 exec, exec, s[38:39]
	v_cmp_eq_u16_sdwa s[38:39], v7, v3 src0_sel:BYTE_0 src1_sel:DWORD
	v_and_b32_e32 v10, s39, v9
	v_or_b32_e32 v10, 0x80000000, v10
	ds_bpermute_b32 v60, v15, v6
	v_and_b32_e32 v11, s38, v8
	v_ffbl_b32_e32 v10, v10
	v_add_u32_e32 v10, 32, v10
	v_ffbl_b32_e32 v11, v11
	v_min_u32_e32 v10, v11, v10
	v_cmp_lt_u32_e32 vcc, v14, v10
	s_waitcnt lgkmcnt(0)
	v_cndmask_b32_e32 v11, 0, v60, vcc
	v_add_u32_e32 v6, v11, v6
	ds_bpermute_b32 v11, v16, v6
	v_cmp_le_u32_e32 vcc, v17, v10
	v_subrev_u32_e32 v4, 64, v4
	s_waitcnt lgkmcnt(0)
	v_cndmask_b32_e32 v11, 0, v11, vcc
	v_add_u32_e32 v6, v6, v11
	ds_bpermute_b32 v11, v18, v6
	v_cmp_le_u32_e32 vcc, v19, v10
	s_waitcnt lgkmcnt(0)
	v_cndmask_b32_e32 v11, 0, v11, vcc
	v_add_u32_e32 v6, v6, v11
	ds_bpermute_b32 v11, v53, v6
	v_cmp_le_u32_e32 vcc, v54, v10
	;; [unrolled: 5-line block ×4, first 2 shown]
	s_waitcnt lgkmcnt(0)
	v_cndmask_b32_e32 v10, 0, v11, vcc
	v_add3_u32 v6, v10, v55, v6
.LBB1810_51:                            ; =>This Loop Header: Depth=1
                                        ;     Child Loop BB1810_54 Depth 2
	v_cmp_ne_u16_sdwa s[38:39], v7, v3 src0_sel:BYTE_0 src1_sel:DWORD
	v_cndmask_b32_e64 v7, 0, 1, s[38:39]
	;;#ASMSTART
	;;#ASMEND
	v_cmp_ne_u32_e32 vcc, 0, v7
	s_cmp_lg_u64 vcc, exec
	v_mov_b32_e32 v55, v6
	s_cbranch_scc1 .LBB1810_56
; %bb.52:                               ;   in Loop: Header=BB1810_51 Depth=1
	v_lshlrev_b64 v[6:7], 3, v[4:5]
	v_mov_b32_e32 v11, s35
	v_add_co_u32_e32 v10, vcc, s34, v6
	v_addc_co_u32_e32 v11, vcc, v11, v7, vcc
	global_load_dwordx2 v[6:7], v[10:11], off glc
	s_waitcnt vmcnt(0)
	v_cmp_eq_u16_sdwa s[40:41], v7, v5 src0_sel:BYTE_0 src1_sel:DWORD
	s_and_saveexec_b64 s[38:39], s[40:41]
	s_cbranch_execz .LBB1810_50
; %bb.53:                               ;   in Loop: Header=BB1810_51 Depth=1
	s_mov_b64 s[40:41], 0
.LBB1810_54:                            ;   Parent Loop BB1810_51 Depth=1
                                        ; =>  This Inner Loop Header: Depth=2
	global_load_dwordx2 v[6:7], v[10:11], off glc
	s_waitcnt vmcnt(0)
	v_cmp_ne_u16_sdwa s[44:45], v7, v5 src0_sel:BYTE_0 src1_sel:DWORD
	s_or_b64 s[40:41], s[44:45], s[40:41]
	s_andn2_b64 exec, exec, s[40:41]
	s_cbranch_execnz .LBB1810_54
; %bb.55:                               ;   in Loop: Header=BB1810_51 Depth=1
	s_or_b64 exec, exec, s[40:41]
	s_branch .LBB1810_50
.LBB1810_56:                            ;   in Loop: Header=BB1810_51 Depth=1
                                        ; implicit-def: $vgpr6
                                        ; implicit-def: $vgpr7
	s_cbranch_execz .LBB1810_51
; %bb.57:
	s_and_saveexec_b64 s[38:39], s[16:17]
	s_cbranch_execz .LBB1810_59
; %bb.58:
	s_add_i32 s6, s6, 64
	s_mov_b32 s7, 0
	s_lshl_b64 s[6:7], s[6:7], 3
	s_add_u32 s6, s34, s6
	v_add_u32_e32 v4, v55, v2
	v_mov_b32_e32 v5, 2
	s_addc_u32 s7, s35, s7
	v_mov_b32_e32 v3, 0
	global_store_dwordx2 v3, v[4:5], s[6:7]
	s_movk_i32 s6, 0x3400
	v_add_u32_e64 v3, s6, 0
	ds_write2_b32 v3, v2, v55 offset1:2
.LBB1810_59:
	s_or_b64 exec, exec, s[38:39]
	v_cmp_eq_u32_e32 vcc, 0, v0
	s_and_b64 exec, exec, vcc
	s_cbranch_execz .LBB1810_61
; %bb.60:
	v_mov_b32_e32 v2, 0
	ds_write_b32 v2, v55 offset:12
.LBB1810_61:
	s_or_b64 exec, exec, s[36:37]
	v_mov_b32_e32 v2, 0
	s_waitcnt lgkmcnt(0)
	s_barrier
	ds_read_b32 v2, v2 offset:12
	v_cndmask_b32_e64 v3, v13, v12, s[16:17]
	v_cmp_ne_u32_e32 vcc, 0, v0
	v_cndmask_b32_e32 v3, 0, v3, vcc
	s_movk_i32 s6, 0x3400
	s_waitcnt lgkmcnt(0)
	v_add_u32_e32 v2, v2, v3
	v_add_u32_e32 v3, v2, v41
	;; [unrolled: 1-line block ×8, first 2 shown]
	v_add_u32_e64 v12, s6, 0
	v_add_u32_e32 v10, v9, v39
	s_barrier
	ds_read2_b32 v[18:19], v12 offset1:2
	v_add_u32_e32 v11, v10, v47
	v_add_u32_e32 v12, v11, v48
	;; [unrolled: 1-line block ×4, first 2 shown]
	s_branch .LBB1810_72
.LBB1810_62:
                                        ; implicit-def: $vgpr19
                                        ; implicit-def: $vgpr2_vgpr3_vgpr4_vgpr5_vgpr6_vgpr7_vgpr8_vgpr9_vgpr10_vgpr11_vgpr12_vgpr13_vgpr14_vgpr15_vgpr16_vgpr17
	s_cbranch_execz .LBB1810_72
; %bb.63:
	s_nop 0
	v_mov_b32_dpp v2, v52 row_shr:1 row_mask:0xf bank_mask:0xf
	v_cndmask_b32_e64 v2, v2, 0, s[14:15]
	v_add_u32_e32 v2, v2, v52
	s_nop 1
	v_mov_b32_dpp v3, v2 row_shr:2 row_mask:0xf bank_mask:0xf
	v_cndmask_b32_e64 v3, 0, v3, s[12:13]
	v_add_u32_e32 v2, v2, v3
	;; [unrolled: 4-line block ×4, first 2 shown]
	s_nop 1
	v_mov_b32_dpp v3, v2 row_bcast:15 row_mask:0xf bank_mask:0xf
	v_cndmask_b32_e64 v3, v3, 0, s[18:19]
	v_add_u32_e32 v2, v2, v3
	s_nop 1
	v_mov_b32_dpp v3, v2 row_bcast:31 row_mask:0xf bank_mask:0xf
	v_cndmask_b32_e64 v3, 0, v3, s[2:3]
	v_add_u32_e32 v2, v2, v3
	s_and_saveexec_b64 s[2:3], s[4:5]
	s_cbranch_execz .LBB1810_65
; %bb.64:
	v_lshlrev_b32_e32 v3, 2, v51
	ds_write_b32 v3, v2
.LBB1810_65:
	s_or_b64 exec, exec, s[2:3]
	v_cmp_gt_u32_e32 vcc, 4, v0
	s_waitcnt lgkmcnt(0)
	s_barrier
	s_and_saveexec_b64 s[2:3], vcc
	s_cbranch_execz .LBB1810_67
; %bb.66:
	ds_read_b32 v3, v1
	v_and_b32_e32 v4, 3, v50
	v_cmp_ne_u32_e32 vcc, 0, v4
	s_waitcnt lgkmcnt(0)
	v_mov_b32_dpp v5, v3 row_shr:1 row_mask:0xf bank_mask:0xf
	v_cndmask_b32_e32 v5, 0, v5, vcc
	v_add_u32_e32 v3, v5, v3
	v_cmp_lt_u32_e32 vcc, 1, v4
	s_nop 0
	v_mov_b32_dpp v5, v3 row_shr:2 row_mask:0xf bank_mask:0xf
	v_cndmask_b32_e32 v4, 0, v5, vcc
	v_add_u32_e32 v3, v3, v4
	ds_write_b32 v1, v3
.LBB1810_67:
	s_or_b64 exec, exec, s[2:3]
	v_cmp_lt_u32_e32 vcc, 63, v0
	v_mov_b32_e32 v4, 0
	v_mov_b32_e32 v3, 0
	s_waitcnt lgkmcnt(0)
	s_barrier
	s_and_saveexec_b64 s[2:3], vcc
	s_cbranch_execz .LBB1810_69
; %bb.68:
	v_lshl_add_u32 v3, v51, 2, -4
	ds_read_b32 v3, v3
.LBB1810_69:
	s_or_b64 exec, exec, s[2:3]
	v_add_u32_e32 v5, -1, v50
	v_and_b32_e32 v6, 64, v50
	v_cmp_lt_i32_e32 vcc, v5, v6
	v_cndmask_b32_e32 v5, v5, v50, vcc
	s_waitcnt lgkmcnt(0)
	v_add_u32_e32 v2, v3, v2
	v_lshlrev_b32_e32 v5, 2, v5
	ds_bpermute_b32 v2, v5, v2
	ds_read_b32 v18, v4 offset:12
	v_cmp_eq_u32_e32 vcc, 0, v0
	s_and_saveexec_b64 s[2:3], vcc
	s_cbranch_execz .LBB1810_71
; %bb.70:
	v_mov_b32_e32 v4, 0
	v_mov_b32_e32 v19, 2
	s_waitcnt lgkmcnt(0)
	global_store_dwordx2 v4, v[18:19], s[34:35] offset:512
.LBB1810_71:
	s_or_b64 exec, exec, s[2:3]
	v_cmp_eq_u32_e64 s[2:3], 0, v50
	s_waitcnt lgkmcnt(1)
	v_cndmask_b32_e64 v2, v2, v3, s[2:3]
	v_cndmask_b32_e64 v2, v2, 0, vcc
	v_add_u32_e32 v3, v2, v41
	v_add_u32_e32 v4, v3, v42
	;; [unrolled: 1-line block ×11, first 2 shown]
	v_mov_b32_e32 v19, 0
	v_add_u32_e32 v14, v13, v38
	s_waitcnt lgkmcnt(0)
	s_barrier
.LBB1810_72:
	s_waitcnt lgkmcnt(0)
	v_add_u32_e32 v33, v18, v33
	v_sub_u32_e32 v2, v2, v19
	v_and_b32_e32 v42, 1, v37
	v_sub_u32_e32 v41, v33, v2
	v_cmp_eq_u32_e32 vcc, 1, v42
	v_cndmask_b32_e32 v2, v41, v2, vcc
	v_lshlrev_b32_e32 v2, 2, v2
	v_lshrrev_b32_e32 v17, 8, v37
	ds_write_b32 v2, v30
	v_sub_u32_e32 v2, v3, v19
	v_sub_u32_e32 v3, v33, v2
	v_and_b32_e32 v17, 1, v17
	v_add_u32_e32 v3, 1, v3
	v_cmp_eq_u32_e32 vcc, 1, v17
	v_cndmask_b32_e32 v2, v3, v2, vcc
	v_lshlrev_b32_e32 v2, 2, v2
	ds_write_b32 v2, v31
	v_sub_u32_e32 v2, v4, v19
	v_mov_b32_e32 v4, 1
	v_sub_u32_e32 v3, v33, v2
	v_and_b32_sdwa v17, v4, v37 dst_sel:DWORD dst_unused:UNUSED_PAD src0_sel:DWORD src1_sel:WORD_1
	v_add_u32_e32 v3, 2, v3
	v_cmp_eq_u32_e32 vcc, 1, v17
	v_cndmask_b32_e32 v2, v3, v2, vcc
	v_lshlrev_b32_e32 v2, 2, v2
	ds_write_b32 v2, v28
	v_sub_u32_e32 v2, v5, v19
	v_sub_u32_e32 v3, v33, v2
	v_and_b32_e32 v5, 1, v40
	v_add_u32_e32 v3, 3, v3
	v_cmp_eq_u32_e32 vcc, 1, v5
	v_cndmask_b32_e32 v2, v3, v2, vcc
	v_lshlrev_b32_e32 v2, 2, v2
	ds_write_b32 v2, v29
	v_sub_u32_e32 v2, v6, v19
	v_sub_u32_e32 v3, v33, v2
	v_and_b32_e32 v5, 1, v36
	v_add_u32_e32 v3, 4, v3
	v_cmp_eq_u32_e32 vcc, 1, v5
	v_cndmask_b32_e32 v2, v3, v2, vcc
	v_lshlrev_b32_e32 v2, 2, v2
	v_lshrrev_b32_e32 v16, 8, v36
	ds_write_b32 v2, v26
	v_sub_u32_e32 v2, v7, v19
	v_sub_u32_e32 v3, v33, v2
	v_and_b32_e32 v5, 1, v16
	v_add_u32_e32 v3, 5, v3
	v_cmp_eq_u32_e32 vcc, 1, v5
	v_cndmask_b32_e32 v2, v3, v2, vcc
	v_lshlrev_b32_e32 v2, 2, v2
	ds_write_b32 v2, v27
	v_sub_u32_e32 v2, v8, v19
	v_sub_u32_e32 v3, v33, v2
	v_and_b32_sdwa v5, v4, v36 dst_sel:DWORD dst_unused:UNUSED_PAD src0_sel:DWORD src1_sel:WORD_1
	v_add_u32_e32 v3, 6, v3
	v_cmp_eq_u32_e32 vcc, 1, v5
	v_cndmask_b32_e32 v2, v3, v2, vcc
	v_lshlrev_b32_e32 v2, 2, v2
	ds_write_b32 v2, v24
	v_sub_u32_e32 v2, v9, v19
	v_sub_u32_e32 v3, v33, v2
	v_and_b32_e32 v5, 1, v39
	v_add_u32_e32 v3, 7, v3
	v_cmp_eq_u32_e32 vcc, 1, v5
	v_cndmask_b32_e32 v2, v3, v2, vcc
	v_lshlrev_b32_e32 v2, 2, v2
	ds_write_b32 v2, v25
	v_sub_u32_e32 v2, v10, v19
	v_sub_u32_e32 v3, v33, v2
	v_and_b32_e32 v5, 1, v35
	v_add_u32_e32 v3, 8, v3
	v_cmp_eq_u32_e32 vcc, 1, v5
	v_cndmask_b32_e32 v2, v3, v2, vcc
	v_lshlrev_b32_e32 v2, 2, v2
	v_lshrrev_b32_e32 v15, 8, v35
	ds_write_b32 v2, v22
	v_sub_u32_e32 v2, v11, v19
	v_sub_u32_e32 v3, v33, v2
	v_and_b32_e32 v5, 1, v15
	v_add_u32_e32 v3, 9, v3
	v_cmp_eq_u32_e32 vcc, 1, v5
	v_cndmask_b32_e32 v2, v3, v2, vcc
	v_lshlrev_b32_e32 v2, 2, v2
	ds_write_b32 v2, v23
	v_sub_u32_e32 v2, v12, v19
	v_sub_u32_e32 v3, v33, v2
	v_and_b32_sdwa v4, v4, v35 dst_sel:DWORD dst_unused:UNUSED_PAD src0_sel:DWORD src1_sel:WORD_1
	v_add_u32_e32 v3, 10, v3
	v_cmp_eq_u32_e32 vcc, 1, v4
	v_cndmask_b32_e32 v2, v3, v2, vcc
	v_lshlrev_b32_e32 v2, 2, v2
	ds_write_b32 v2, v20
	v_sub_u32_e32 v2, v13, v19
	v_sub_u32_e32 v3, v33, v2
	v_and_b32_e32 v4, 1, v38
	v_add_u32_e32 v3, 11, v3
	v_cmp_eq_u32_e32 vcc, 1, v4
	v_cndmask_b32_e32 v2, v3, v2, vcc
	v_lshlrev_b32_e32 v2, 2, v2
	ds_write_b32 v2, v21
	v_sub_u32_e32 v2, v14, v19
	v_sub_u32_e32 v3, v33, v2
	v_and_b32_e32 v4, 1, v34
	v_add_u32_e32 v3, 12, v3
	v_cmp_eq_u32_e32 vcc, 1, v4
	v_cndmask_b32_e32 v2, v3, v2, vcc
	s_add_u32 s2, s28, s42
	v_lshlrev_b32_e32 v2, 2, v2
	s_addc_u32 s3, s29, 0
	ds_write_b32 v2, v32
	s_waitcnt lgkmcnt(0)
	s_barrier
	ds_read2st64_b32 v[12:13], v1 offset1:4
	ds_read2st64_b32 v[10:11], v1 offset0:8 offset1:12
	ds_read2st64_b32 v[8:9], v1 offset0:16 offset1:20
	;; [unrolled: 1-line block ×5, first 2 shown]
	ds_read_b32 v17, v1 offset:12288
	v_mov_b32_e32 v14, s31
	v_add_co_u32_e32 v1, vcc, s30, v19
	s_sub_u32 s2, s26, s2
	v_addc_co_u32_e32 v16, vcc, 0, v14, vcc
	s_subb_u32 s3, s27, s3
	v_mov_b32_e32 v14, s3
	v_add_co_u32_e32 v15, vcc, s2, v18
	v_addc_co_u32_e32 v14, vcc, 0, v14, vcc
	s_and_b64 vcc, exec, s[0:1]
	v_add_co_u32_e64 v19, s[0:1], v15, v1
	v_or_b32_e32 v32, 0x100, v0
	v_or_b32_e32 v31, 0x200, v0
	;; [unrolled: 1-line block ×12, first 2 shown]
	v_addc_co_u32_e64 v21, s[0:1], v14, v16, s[0:1]
	s_cbranch_vccnz .LBB1810_126
; %bb.73:
	v_cmp_ge_u32_e32 vcc, v0, v18
                                        ; implicit-def: $vgpr14_vgpr15
	s_and_saveexec_b64 s[0:1], vcc
	s_xor_b64 s[0:1], exec, s[0:1]
; %bb.74:
	v_not_b32_e32 v14, v0
	v_ashrrev_i32_e32 v15, 31, v14
	v_add_co_u32_e32 v14, vcc, v19, v14
	v_addc_co_u32_e32 v15, vcc, v21, v15, vcc
; %bb.75:
	s_andn2_saveexec_b64 s[0:1], s[0:1]
; %bb.76:
	v_add_co_u32_e32 v14, vcc, v1, v0
	v_addc_co_u32_e32 v15, vcc, 0, v16, vcc
; %bb.77:
	s_or_b64 exec, exec, s[0:1]
	v_lshlrev_b64 v[14:15], 2, v[14:15]
	v_mov_b32_e32 v33, s25
	v_add_co_u32_e32 v14, vcc, s24, v14
	v_addc_co_u32_e32 v15, vcc, v33, v15, vcc
	v_cmp_ge_u32_e32 vcc, v32, v18
	s_waitcnt lgkmcnt(6)
	global_store_dword v[14:15], v12, off
                                        ; implicit-def: $vgpr14_vgpr15
	s_and_saveexec_b64 s[0:1], vcc
	s_xor_b64 s[0:1], exec, s[0:1]
; %bb.78:
	v_xor_b32_e32 v14, 0xfffffeff, v0
	v_ashrrev_i32_e32 v15, 31, v14
	v_add_co_u32_e32 v14, vcc, v19, v14
	v_addc_co_u32_e32 v15, vcc, v21, v15, vcc
; %bb.79:
	s_andn2_saveexec_b64 s[0:1], s[0:1]
; %bb.80:
	v_add_co_u32_e32 v14, vcc, v1, v32
	v_addc_co_u32_e32 v15, vcc, 0, v16, vcc
; %bb.81:
	s_or_b64 exec, exec, s[0:1]
	v_lshlrev_b64 v[14:15], 2, v[14:15]
	v_mov_b32_e32 v33, s25
	v_add_co_u32_e32 v14, vcc, s24, v14
	v_addc_co_u32_e32 v15, vcc, v33, v15, vcc
	v_cmp_ge_u32_e32 vcc, v31, v18
	global_store_dword v[14:15], v13, off
                                        ; implicit-def: $vgpr14_vgpr15
	s_and_saveexec_b64 s[0:1], vcc
	s_xor_b64 s[0:1], exec, s[0:1]
; %bb.82:
	v_xor_b32_e32 v14, 0xfffffdff, v0
	v_ashrrev_i32_e32 v15, 31, v14
	v_add_co_u32_e32 v14, vcc, v19, v14
	v_addc_co_u32_e32 v15, vcc, v21, v15, vcc
; %bb.83:
	s_andn2_saveexec_b64 s[0:1], s[0:1]
; %bb.84:
	v_add_co_u32_e32 v14, vcc, v1, v31
	v_addc_co_u32_e32 v15, vcc, 0, v16, vcc
; %bb.85:
	s_or_b64 exec, exec, s[0:1]
	v_lshlrev_b64 v[14:15], 2, v[14:15]
	v_mov_b32_e32 v33, s25
	v_add_co_u32_e32 v14, vcc, s24, v14
	v_addc_co_u32_e32 v15, vcc, v33, v15, vcc
	v_cmp_ge_u32_e32 vcc, v30, v18
	s_waitcnt lgkmcnt(5)
	global_store_dword v[14:15], v10, off
                                        ; implicit-def: $vgpr14_vgpr15
	s_and_saveexec_b64 s[0:1], vcc
	s_xor_b64 s[0:1], exec, s[0:1]
; %bb.86:
	v_xor_b32_e32 v14, 0xfffffcff, v0
	v_ashrrev_i32_e32 v15, 31, v14
	v_add_co_u32_e32 v14, vcc, v19, v14
	v_addc_co_u32_e32 v15, vcc, v21, v15, vcc
; %bb.87:
	s_andn2_saveexec_b64 s[0:1], s[0:1]
; %bb.88:
	v_add_co_u32_e32 v14, vcc, v1, v30
	v_addc_co_u32_e32 v15, vcc, 0, v16, vcc
; %bb.89:
	s_or_b64 exec, exec, s[0:1]
	v_lshlrev_b64 v[14:15], 2, v[14:15]
	v_mov_b32_e32 v33, s25
	v_add_co_u32_e32 v14, vcc, s24, v14
	v_addc_co_u32_e32 v15, vcc, v33, v15, vcc
	v_cmp_ge_u32_e32 vcc, v29, v18
	global_store_dword v[14:15], v11, off
                                        ; implicit-def: $vgpr14_vgpr15
	s_and_saveexec_b64 s[0:1], vcc
	s_xor_b64 s[0:1], exec, s[0:1]
; %bb.90:
	v_xor_b32_e32 v14, 0xfffffbff, v0
	;; [unrolled: 43-line block ×6, first 2 shown]
	v_ashrrev_i32_e32 v15, 31, v14
	v_add_co_u32_e32 v14, vcc, v19, v14
	v_addc_co_u32_e32 v15, vcc, v21, v15, vcc
; %bb.123:
	s_andn2_saveexec_b64 s[0:1], s[0:1]
; %bb.124:
	v_add_co_u32_e32 v14, vcc, v1, v20
	v_addc_co_u32_e32 v15, vcc, 0, v16, vcc
; %bb.125:
	s_or_b64 exec, exec, s[0:1]
	s_mov_b64 s[0:1], -1
	s_branch .LBB1810_206
.LBB1810_126:
	s_mov_b64 s[0:1], 0
                                        ; implicit-def: $vgpr14_vgpr15
	s_cbranch_execz .LBB1810_206
; %bb.127:
	v_cmp_gt_u32_e32 vcc, s33, v0
	s_and_saveexec_b64 s[2:3], vcc
	s_cbranch_execz .LBB1810_163
; %bb.128:
	v_cmp_ge_u32_e32 vcc, v0, v18
                                        ; implicit-def: $vgpr14_vgpr15
	s_and_saveexec_b64 s[4:5], vcc
	s_xor_b64 s[4:5], exec, s[4:5]
; %bb.129:
	v_not_b32_e32 v14, v0
	v_ashrrev_i32_e32 v15, 31, v14
	v_add_co_u32_e32 v14, vcc, v19, v14
	v_addc_co_u32_e32 v15, vcc, v21, v15, vcc
; %bb.130:
	s_andn2_saveexec_b64 s[4:5], s[4:5]
; %bb.131:
	v_add_co_u32_e32 v14, vcc, v1, v0
	v_addc_co_u32_e32 v15, vcc, 0, v16, vcc
; %bb.132:
	s_or_b64 exec, exec, s[4:5]
	v_lshlrev_b64 v[14:15], 2, v[14:15]
	v_mov_b32_e32 v33, s25
	v_add_co_u32_e32 v14, vcc, s24, v14
	v_addc_co_u32_e32 v15, vcc, v33, v15, vcc
	s_waitcnt lgkmcnt(6)
	global_store_dword v[14:15], v12, off
	s_or_b64 exec, exec, s[2:3]
	v_cmp_gt_u32_e32 vcc, s33, v32
	s_and_saveexec_b64 s[2:3], vcc
	s_cbranch_execnz .LBB1810_164
.LBB1810_133:
	s_or_b64 exec, exec, s[2:3]
	v_cmp_gt_u32_e32 vcc, s33, v31
	s_and_saveexec_b64 s[2:3], vcc
	s_cbranch_execz .LBB1810_169
.LBB1810_134:
	v_cmp_ge_u32_e32 vcc, v31, v18
                                        ; implicit-def: $vgpr12_vgpr13
	s_and_saveexec_b64 s[4:5], vcc
	s_xor_b64 s[4:5], exec, s[4:5]
	s_cbranch_execz .LBB1810_136
; %bb.135:
	s_waitcnt lgkmcnt(6)
	v_xor_b32_e32 v12, 0xfffffdff, v0
	v_ashrrev_i32_e32 v13, 31, v12
	v_add_co_u32_e32 v12, vcc, v19, v12
	v_addc_co_u32_e32 v13, vcc, v21, v13, vcc
                                        ; implicit-def: $vgpr31
.LBB1810_136:
	s_andn2_saveexec_b64 s[4:5], s[4:5]
	s_cbranch_execz .LBB1810_138
; %bb.137:
	s_waitcnt lgkmcnt(6)
	v_add_co_u32_e32 v12, vcc, v1, v31
	v_addc_co_u32_e32 v13, vcc, 0, v16, vcc
.LBB1810_138:
	s_or_b64 exec, exec, s[4:5]
	s_waitcnt lgkmcnt(6)
	v_lshlrev_b64 v[12:13], 2, v[12:13]
	v_mov_b32_e32 v14, s25
	v_add_co_u32_e32 v12, vcc, s24, v12
	v_addc_co_u32_e32 v13, vcc, v14, v13, vcc
	s_waitcnt lgkmcnt(5)
	global_store_dword v[12:13], v10, off
	s_or_b64 exec, exec, s[2:3]
	v_cmp_gt_u32_e32 vcc, s33, v30
	s_and_saveexec_b64 s[2:3], vcc
	s_cbranch_execnz .LBB1810_170
.LBB1810_139:
	s_or_b64 exec, exec, s[2:3]
	v_cmp_gt_u32_e32 vcc, s33, v29
	s_and_saveexec_b64 s[2:3], vcc
	s_cbranch_execz .LBB1810_175
.LBB1810_140:
	v_cmp_ge_u32_e32 vcc, v29, v18
                                        ; implicit-def: $vgpr10_vgpr11
	s_and_saveexec_b64 s[4:5], vcc
	s_xor_b64 s[4:5], exec, s[4:5]
	s_cbranch_execz .LBB1810_142
; %bb.141:
	s_waitcnt lgkmcnt(5)
	v_xor_b32_e32 v10, 0xfffffbff, v0
	v_ashrrev_i32_e32 v11, 31, v10
	v_add_co_u32_e32 v10, vcc, v19, v10
	v_addc_co_u32_e32 v11, vcc, v21, v11, vcc
                                        ; implicit-def: $vgpr29
.LBB1810_142:
	s_andn2_saveexec_b64 s[4:5], s[4:5]
	s_cbranch_execz .LBB1810_144
; %bb.143:
	s_waitcnt lgkmcnt(5)
	v_add_co_u32_e32 v10, vcc, v1, v29
	v_addc_co_u32_e32 v11, vcc, 0, v16, vcc
.LBB1810_144:
	s_or_b64 exec, exec, s[4:5]
	s_waitcnt lgkmcnt(5)
	v_lshlrev_b64 v[10:11], 2, v[10:11]
	v_mov_b32_e32 v12, s25
	v_add_co_u32_e32 v10, vcc, s24, v10
	v_addc_co_u32_e32 v11, vcc, v12, v11, vcc
	s_waitcnt lgkmcnt(4)
	global_store_dword v[10:11], v8, off
	s_or_b64 exec, exec, s[2:3]
	v_cmp_gt_u32_e32 vcc, s33, v28
	s_and_saveexec_b64 s[2:3], vcc
	s_cbranch_execnz .LBB1810_176
.LBB1810_145:
	s_or_b64 exec, exec, s[2:3]
	v_cmp_gt_u32_e32 vcc, s33, v27
	s_and_saveexec_b64 s[2:3], vcc
	s_cbranch_execz .LBB1810_181
.LBB1810_146:
	v_cmp_ge_u32_e32 vcc, v27, v18
                                        ; implicit-def: $vgpr8_vgpr9
	s_and_saveexec_b64 s[4:5], vcc
	s_xor_b64 s[4:5], exec, s[4:5]
	s_cbranch_execz .LBB1810_148
; %bb.147:
	s_waitcnt lgkmcnt(4)
	v_xor_b32_e32 v8, 0xfffff9ff, v0
	v_ashrrev_i32_e32 v9, 31, v8
	v_add_co_u32_e32 v8, vcc, v19, v8
	v_addc_co_u32_e32 v9, vcc, v21, v9, vcc
                                        ; implicit-def: $vgpr27
.LBB1810_148:
	s_andn2_saveexec_b64 s[4:5], s[4:5]
	s_cbranch_execz .LBB1810_150
; %bb.149:
	s_waitcnt lgkmcnt(4)
	v_add_co_u32_e32 v8, vcc, v1, v27
	v_addc_co_u32_e32 v9, vcc, 0, v16, vcc
.LBB1810_150:
	s_or_b64 exec, exec, s[4:5]
	s_waitcnt lgkmcnt(4)
	v_lshlrev_b64 v[8:9], 2, v[8:9]
	v_mov_b32_e32 v10, s25
	v_add_co_u32_e32 v8, vcc, s24, v8
	v_addc_co_u32_e32 v9, vcc, v10, v9, vcc
	s_waitcnt lgkmcnt(3)
	global_store_dword v[8:9], v6, off
	s_or_b64 exec, exec, s[2:3]
	v_cmp_gt_u32_e32 vcc, s33, v26
	s_and_saveexec_b64 s[2:3], vcc
	s_cbranch_execnz .LBB1810_182
.LBB1810_151:
	s_or_b64 exec, exec, s[2:3]
	v_cmp_gt_u32_e32 vcc, s33, v25
	s_and_saveexec_b64 s[2:3], vcc
	s_cbranch_execz .LBB1810_187
.LBB1810_152:
	v_cmp_ge_u32_e32 vcc, v25, v18
                                        ; implicit-def: $vgpr6_vgpr7
	s_and_saveexec_b64 s[4:5], vcc
	s_xor_b64 s[4:5], exec, s[4:5]
	s_cbranch_execz .LBB1810_154
; %bb.153:
	s_waitcnt lgkmcnt(3)
	v_xor_b32_e32 v6, 0xfffff7ff, v0
	v_ashrrev_i32_e32 v7, 31, v6
	v_add_co_u32_e32 v6, vcc, v19, v6
	v_addc_co_u32_e32 v7, vcc, v21, v7, vcc
                                        ; implicit-def: $vgpr25
.LBB1810_154:
	s_andn2_saveexec_b64 s[4:5], s[4:5]
	s_cbranch_execz .LBB1810_156
; %bb.155:
	s_waitcnt lgkmcnt(3)
	v_add_co_u32_e32 v6, vcc, v1, v25
	v_addc_co_u32_e32 v7, vcc, 0, v16, vcc
.LBB1810_156:
	s_or_b64 exec, exec, s[4:5]
	s_waitcnt lgkmcnt(3)
	v_lshlrev_b64 v[6:7], 2, v[6:7]
	v_mov_b32_e32 v8, s25
	v_add_co_u32_e32 v6, vcc, s24, v6
	v_addc_co_u32_e32 v7, vcc, v8, v7, vcc
	s_waitcnt lgkmcnt(2)
	global_store_dword v[6:7], v4, off
	s_or_b64 exec, exec, s[2:3]
	v_cmp_gt_u32_e32 vcc, s33, v24
	s_and_saveexec_b64 s[2:3], vcc
	s_cbranch_execnz .LBB1810_188
.LBB1810_157:
	s_or_b64 exec, exec, s[2:3]
	v_cmp_gt_u32_e32 vcc, s33, v23
	s_and_saveexec_b64 s[2:3], vcc
	s_cbranch_execz .LBB1810_193
.LBB1810_158:
	v_cmp_ge_u32_e32 vcc, v23, v18
                                        ; implicit-def: $vgpr4_vgpr5
	s_and_saveexec_b64 s[4:5], vcc
	s_xor_b64 s[4:5], exec, s[4:5]
	s_cbranch_execz .LBB1810_160
; %bb.159:
	s_waitcnt lgkmcnt(2)
	v_xor_b32_e32 v4, 0xfffff5ff, v0
	v_ashrrev_i32_e32 v5, 31, v4
	v_add_co_u32_e32 v4, vcc, v19, v4
	v_addc_co_u32_e32 v5, vcc, v21, v5, vcc
                                        ; implicit-def: $vgpr23
.LBB1810_160:
	s_andn2_saveexec_b64 s[4:5], s[4:5]
	s_cbranch_execz .LBB1810_162
; %bb.161:
	s_waitcnt lgkmcnt(2)
	v_add_co_u32_e32 v4, vcc, v1, v23
	v_addc_co_u32_e32 v5, vcc, 0, v16, vcc
.LBB1810_162:
	s_or_b64 exec, exec, s[4:5]
	s_waitcnt lgkmcnt(2)
	v_lshlrev_b64 v[4:5], 2, v[4:5]
	v_mov_b32_e32 v6, s25
	v_add_co_u32_e32 v4, vcc, s24, v4
	v_addc_co_u32_e32 v5, vcc, v6, v5, vcc
	s_waitcnt lgkmcnt(1)
	global_store_dword v[4:5], v2, off
	s_or_b64 exec, exec, s[2:3]
	v_cmp_gt_u32_e32 vcc, s33, v22
	s_and_saveexec_b64 s[2:3], vcc
	s_cbranch_execz .LBB1810_199
	s_branch .LBB1810_194
.LBB1810_163:
	s_or_b64 exec, exec, s[2:3]
	v_cmp_gt_u32_e32 vcc, s33, v32
	s_and_saveexec_b64 s[2:3], vcc
	s_cbranch_execz .LBB1810_133
.LBB1810_164:
	v_cmp_ge_u32_e32 vcc, v32, v18
                                        ; implicit-def: $vgpr14_vgpr15
	s_and_saveexec_b64 s[4:5], vcc
	s_xor_b64 s[4:5], exec, s[4:5]
	s_cbranch_execz .LBB1810_166
; %bb.165:
	s_waitcnt lgkmcnt(6)
	v_xor_b32_e32 v12, 0xfffffeff, v0
	v_ashrrev_i32_e32 v15, 31, v12
	v_add_co_u32_e32 v14, vcc, v19, v12
	v_addc_co_u32_e32 v15, vcc, v21, v15, vcc
                                        ; implicit-def: $vgpr32
.LBB1810_166:
	s_andn2_saveexec_b64 s[4:5], s[4:5]
; %bb.167:
	v_add_co_u32_e32 v14, vcc, v1, v32
	v_addc_co_u32_e32 v15, vcc, 0, v16, vcc
; %bb.168:
	s_or_b64 exec, exec, s[4:5]
	v_lshlrev_b64 v[14:15], 2, v[14:15]
	s_waitcnt lgkmcnt(6)
	v_mov_b32_e32 v12, s25
	v_add_co_u32_e32 v14, vcc, s24, v14
	v_addc_co_u32_e32 v15, vcc, v12, v15, vcc
	global_store_dword v[14:15], v13, off
	s_or_b64 exec, exec, s[2:3]
	v_cmp_gt_u32_e32 vcc, s33, v31
	s_and_saveexec_b64 s[2:3], vcc
	s_cbranch_execnz .LBB1810_134
.LBB1810_169:
	s_or_b64 exec, exec, s[2:3]
	v_cmp_gt_u32_e32 vcc, s33, v30
	s_and_saveexec_b64 s[2:3], vcc
	s_cbranch_execz .LBB1810_139
.LBB1810_170:
	v_cmp_ge_u32_e32 vcc, v30, v18
                                        ; implicit-def: $vgpr12_vgpr13
	s_and_saveexec_b64 s[4:5], vcc
	s_xor_b64 s[4:5], exec, s[4:5]
	s_cbranch_execz .LBB1810_172
; %bb.171:
	s_waitcnt lgkmcnt(5)
	v_xor_b32_e32 v10, 0xfffffcff, v0
	v_ashrrev_i32_e32 v13, 31, v10
	v_add_co_u32_e32 v12, vcc, v19, v10
	v_addc_co_u32_e32 v13, vcc, v21, v13, vcc
                                        ; implicit-def: $vgpr30
.LBB1810_172:
	s_andn2_saveexec_b64 s[4:5], s[4:5]
	s_cbranch_execz .LBB1810_174
; %bb.173:
	s_waitcnt lgkmcnt(6)
	v_add_co_u32_e32 v12, vcc, v1, v30
	v_addc_co_u32_e32 v13, vcc, 0, v16, vcc
.LBB1810_174:
	s_or_b64 exec, exec, s[4:5]
	s_waitcnt lgkmcnt(6)
	v_lshlrev_b64 v[12:13], 2, v[12:13]
	s_waitcnt lgkmcnt(5)
	v_mov_b32_e32 v10, s25
	v_add_co_u32_e32 v12, vcc, s24, v12
	v_addc_co_u32_e32 v13, vcc, v10, v13, vcc
	global_store_dword v[12:13], v11, off
	s_or_b64 exec, exec, s[2:3]
	v_cmp_gt_u32_e32 vcc, s33, v29
	s_and_saveexec_b64 s[2:3], vcc
	s_cbranch_execnz .LBB1810_140
.LBB1810_175:
	s_or_b64 exec, exec, s[2:3]
	v_cmp_gt_u32_e32 vcc, s33, v28
	s_and_saveexec_b64 s[2:3], vcc
	s_cbranch_execz .LBB1810_145
.LBB1810_176:
	v_cmp_ge_u32_e32 vcc, v28, v18
                                        ; implicit-def: $vgpr10_vgpr11
	s_and_saveexec_b64 s[4:5], vcc
	s_xor_b64 s[4:5], exec, s[4:5]
	s_cbranch_execz .LBB1810_178
; %bb.177:
	s_waitcnt lgkmcnt(4)
	v_xor_b32_e32 v8, 0xfffffaff, v0
	v_ashrrev_i32_e32 v11, 31, v8
	v_add_co_u32_e32 v10, vcc, v19, v8
	v_addc_co_u32_e32 v11, vcc, v21, v11, vcc
                                        ; implicit-def: $vgpr28
.LBB1810_178:
	s_andn2_saveexec_b64 s[4:5], s[4:5]
	s_cbranch_execz .LBB1810_180
; %bb.179:
	s_waitcnt lgkmcnt(5)
	v_add_co_u32_e32 v10, vcc, v1, v28
	v_addc_co_u32_e32 v11, vcc, 0, v16, vcc
.LBB1810_180:
	s_or_b64 exec, exec, s[4:5]
	s_waitcnt lgkmcnt(5)
	v_lshlrev_b64 v[10:11], 2, v[10:11]
	s_waitcnt lgkmcnt(4)
	v_mov_b32_e32 v8, s25
	v_add_co_u32_e32 v10, vcc, s24, v10
	v_addc_co_u32_e32 v11, vcc, v8, v11, vcc
	global_store_dword v[10:11], v9, off
	s_or_b64 exec, exec, s[2:3]
	v_cmp_gt_u32_e32 vcc, s33, v27
	s_and_saveexec_b64 s[2:3], vcc
	s_cbranch_execnz .LBB1810_146
.LBB1810_181:
	s_or_b64 exec, exec, s[2:3]
	v_cmp_gt_u32_e32 vcc, s33, v26
	s_and_saveexec_b64 s[2:3], vcc
	s_cbranch_execz .LBB1810_151
.LBB1810_182:
	v_cmp_ge_u32_e32 vcc, v26, v18
                                        ; implicit-def: $vgpr8_vgpr9
	s_and_saveexec_b64 s[4:5], vcc
	s_xor_b64 s[4:5], exec, s[4:5]
	s_cbranch_execz .LBB1810_184
; %bb.183:
	s_waitcnt lgkmcnt(3)
	v_xor_b32_e32 v6, 0xfffff8ff, v0
	v_ashrrev_i32_e32 v9, 31, v6
	v_add_co_u32_e32 v8, vcc, v19, v6
	v_addc_co_u32_e32 v9, vcc, v21, v9, vcc
                                        ; implicit-def: $vgpr26
.LBB1810_184:
	s_andn2_saveexec_b64 s[4:5], s[4:5]
	s_cbranch_execz .LBB1810_186
; %bb.185:
	s_waitcnt lgkmcnt(4)
	v_add_co_u32_e32 v8, vcc, v1, v26
	v_addc_co_u32_e32 v9, vcc, 0, v16, vcc
.LBB1810_186:
	s_or_b64 exec, exec, s[4:5]
	s_waitcnt lgkmcnt(4)
	v_lshlrev_b64 v[8:9], 2, v[8:9]
	s_waitcnt lgkmcnt(3)
	v_mov_b32_e32 v6, s25
	v_add_co_u32_e32 v8, vcc, s24, v8
	v_addc_co_u32_e32 v9, vcc, v6, v9, vcc
	global_store_dword v[8:9], v7, off
	s_or_b64 exec, exec, s[2:3]
	v_cmp_gt_u32_e32 vcc, s33, v25
	s_and_saveexec_b64 s[2:3], vcc
	s_cbranch_execnz .LBB1810_152
.LBB1810_187:
	s_or_b64 exec, exec, s[2:3]
	v_cmp_gt_u32_e32 vcc, s33, v24
	s_and_saveexec_b64 s[2:3], vcc
	s_cbranch_execz .LBB1810_157
.LBB1810_188:
	v_cmp_ge_u32_e32 vcc, v24, v18
                                        ; implicit-def: $vgpr6_vgpr7
	s_and_saveexec_b64 s[4:5], vcc
	s_xor_b64 s[4:5], exec, s[4:5]
	s_cbranch_execz .LBB1810_190
; %bb.189:
	s_waitcnt lgkmcnt(2)
	v_xor_b32_e32 v4, 0xfffff6ff, v0
	v_ashrrev_i32_e32 v7, 31, v4
	v_add_co_u32_e32 v6, vcc, v19, v4
	v_addc_co_u32_e32 v7, vcc, v21, v7, vcc
                                        ; implicit-def: $vgpr24
.LBB1810_190:
	s_andn2_saveexec_b64 s[4:5], s[4:5]
	s_cbranch_execz .LBB1810_192
; %bb.191:
	s_waitcnt lgkmcnt(3)
	v_add_co_u32_e32 v6, vcc, v1, v24
	v_addc_co_u32_e32 v7, vcc, 0, v16, vcc
.LBB1810_192:
	s_or_b64 exec, exec, s[4:5]
	s_waitcnt lgkmcnt(3)
	v_lshlrev_b64 v[6:7], 2, v[6:7]
	s_waitcnt lgkmcnt(2)
	v_mov_b32_e32 v4, s25
	v_add_co_u32_e32 v6, vcc, s24, v6
	v_addc_co_u32_e32 v7, vcc, v4, v7, vcc
	global_store_dword v[6:7], v5, off
	s_or_b64 exec, exec, s[2:3]
	v_cmp_gt_u32_e32 vcc, s33, v23
	s_and_saveexec_b64 s[2:3], vcc
	s_cbranch_execnz .LBB1810_158
.LBB1810_193:
	s_or_b64 exec, exec, s[2:3]
	v_cmp_gt_u32_e32 vcc, s33, v22
	s_and_saveexec_b64 s[2:3], vcc
	s_cbranch_execz .LBB1810_199
.LBB1810_194:
	v_cmp_ge_u32_e32 vcc, v22, v18
                                        ; implicit-def: $vgpr4_vgpr5
	s_and_saveexec_b64 s[4:5], vcc
	s_xor_b64 s[4:5], exec, s[4:5]
	s_cbranch_execz .LBB1810_196
; %bb.195:
	s_waitcnt lgkmcnt(1)
	v_xor_b32_e32 v2, 0xfffff4ff, v0
	v_ashrrev_i32_e32 v5, 31, v2
	v_add_co_u32_e32 v4, vcc, v19, v2
	v_addc_co_u32_e32 v5, vcc, v21, v5, vcc
                                        ; implicit-def: $vgpr22
.LBB1810_196:
	s_andn2_saveexec_b64 s[4:5], s[4:5]
	s_cbranch_execz .LBB1810_198
; %bb.197:
	s_waitcnt lgkmcnt(2)
	v_add_co_u32_e32 v4, vcc, v1, v22
	v_addc_co_u32_e32 v5, vcc, 0, v16, vcc
.LBB1810_198:
	s_or_b64 exec, exec, s[4:5]
	s_waitcnt lgkmcnt(2)
	v_lshlrev_b64 v[4:5], 2, v[4:5]
	s_waitcnt lgkmcnt(1)
	v_mov_b32_e32 v2, s25
	v_add_co_u32_e32 v4, vcc, s24, v4
	v_addc_co_u32_e32 v5, vcc, v2, v5, vcc
	global_store_dword v[4:5], v3, off
.LBB1810_199:
	s_or_b64 exec, exec, s[2:3]
	v_cmp_gt_u32_e32 vcc, s33, v20
                                        ; implicit-def: $vgpr14_vgpr15
	s_and_saveexec_b64 s[2:3], vcc
	s_cbranch_execz .LBB1810_205
; %bb.200:
	v_cmp_ge_u32_e32 vcc, v20, v18
                                        ; implicit-def: $vgpr14_vgpr15
	s_and_saveexec_b64 s[4:5], vcc
	s_xor_b64 s[4:5], exec, s[4:5]
	s_cbranch_execz .LBB1810_202
; %bb.201:
	s_waitcnt lgkmcnt(1)
	v_xor_b32_e32 v2, 0xfffff3ff, v0
	v_ashrrev_i32_e32 v3, 31, v2
	v_add_co_u32_e32 v14, vcc, v19, v2
	v_addc_co_u32_e32 v15, vcc, v21, v3, vcc
                                        ; implicit-def: $vgpr20
.LBB1810_202:
	s_andn2_saveexec_b64 s[4:5], s[4:5]
; %bb.203:
	v_add_co_u32_e32 v14, vcc, v1, v20
	v_addc_co_u32_e32 v15, vcc, 0, v16, vcc
; %bb.204:
	s_or_b64 exec, exec, s[4:5]
	s_or_b64 s[0:1], s[0:1], exec
.LBB1810_205:
	s_or_b64 exec, exec, s[2:3]
.LBB1810_206:
	s_and_saveexec_b64 s[2:3], s[0:1]
	s_cbranch_execz .LBB1810_208
; %bb.207:
	s_waitcnt lgkmcnt(1)
	v_lshlrev_b64 v[2:3], 2, v[14:15]
	v_mov_b32_e32 v4, s25
	v_add_co_u32_e32 v2, vcc, s24, v2
	v_addc_co_u32_e32 v3, vcc, v4, v3, vcc
	s_waitcnt lgkmcnt(0)
	global_store_dword v[2:3], v17, off
.LBB1810_208:
	s_or_b64 exec, exec, s[2:3]
	v_cmp_eq_u32_e32 vcc, 0, v0
	s_and_b64 s[0:1], vcc, s[22:23]
	s_and_saveexec_b64 s[2:3], s[0:1]
	s_cbranch_execz .LBB1810_210
; %bb.209:
	v_add_co_u32_e32 v0, vcc, v1, v18
	s_waitcnt lgkmcnt(1)
	v_mov_b32_e32 v2, 0
	v_addc_co_u32_e32 v1, vcc, 0, v16, vcc
	global_store_dwordx2 v2, v[0:1], s[20:21]
.LBB1810_210:
	s_endpgm
	.section	.rodata,"a",@progbits
	.p2align	6, 0x0
	.amdhsa_kernel _ZN7rocprim17ROCPRIM_400000_NS6detail17trampoline_kernelINS0_13select_configILj256ELj13ELNS0_17block_load_methodE3ELS4_3ELS4_3ELNS0_20block_scan_algorithmE0ELj4294967295EEENS1_25partition_config_selectorILNS1_17partition_subalgoE3EjNS0_10empty_typeEbEEZZNS1_14partition_implILS8_3ELb0ES6_jNS0_17counting_iteratorIjlEEPS9_SE_NS0_5tupleIJPjSE_EEENSF_IJSE_SE_EEES9_SG_JZNS1_25segmented_radix_sort_implINS0_14default_configELb0EPK6__halfPSL_PKlPlN2at6native12_GLOBAL__N_18offset_tEEE10hipError_tPvRmT1_PNSt15iterator_traitsISZ_E10value_typeET2_T3_PNS10_IS15_E10value_typeET4_jRbjT5_S1B_jjP12ihipStream_tbEUljE_EEESW_SX_SY_S15_S19_S1B_T6_T7_T9_mT8_S1D_bDpT10_ENKUlT_T0_E_clISt17integral_constantIbLb0EES1Q_EEDaS1L_S1M_EUlS1L_E_NS1_11comp_targetILNS1_3genE4ELNS1_11target_archE910ELNS1_3gpuE8ELNS1_3repE0EEENS1_30default_config_static_selectorELNS0_4arch9wavefront6targetE1EEEvSZ_
		.amdhsa_group_segment_fixed_size 13324
		.amdhsa_private_segment_fixed_size 0
		.amdhsa_kernarg_size 144
		.amdhsa_user_sgpr_count 6
		.amdhsa_user_sgpr_private_segment_buffer 1
		.amdhsa_user_sgpr_dispatch_ptr 0
		.amdhsa_user_sgpr_queue_ptr 0
		.amdhsa_user_sgpr_kernarg_segment_ptr 1
		.amdhsa_user_sgpr_dispatch_id 0
		.amdhsa_user_sgpr_flat_scratch_init 0
		.amdhsa_user_sgpr_kernarg_preload_length 0
		.amdhsa_user_sgpr_kernarg_preload_offset 0
		.amdhsa_user_sgpr_private_segment_size 0
		.amdhsa_uses_dynamic_stack 0
		.amdhsa_system_sgpr_private_segment_wavefront_offset 0
		.amdhsa_system_sgpr_workgroup_id_x 1
		.amdhsa_system_sgpr_workgroup_id_y 0
		.amdhsa_system_sgpr_workgroup_id_z 0
		.amdhsa_system_sgpr_workgroup_info 0
		.amdhsa_system_vgpr_workitem_id 0
		.amdhsa_next_free_vgpr 61
		.amdhsa_next_free_sgpr 46
		.amdhsa_accum_offset 64
		.amdhsa_reserve_vcc 1
		.amdhsa_reserve_flat_scratch 0
		.amdhsa_float_round_mode_32 0
		.amdhsa_float_round_mode_16_64 0
		.amdhsa_float_denorm_mode_32 3
		.amdhsa_float_denorm_mode_16_64 3
		.amdhsa_dx10_clamp 1
		.amdhsa_ieee_mode 1
		.amdhsa_fp16_overflow 0
		.amdhsa_tg_split 0
		.amdhsa_exception_fp_ieee_invalid_op 0
		.amdhsa_exception_fp_denorm_src 0
		.amdhsa_exception_fp_ieee_div_zero 0
		.amdhsa_exception_fp_ieee_overflow 0
		.amdhsa_exception_fp_ieee_underflow 0
		.amdhsa_exception_fp_ieee_inexact 0
		.amdhsa_exception_int_div_zero 0
	.end_amdhsa_kernel
	.section	.text._ZN7rocprim17ROCPRIM_400000_NS6detail17trampoline_kernelINS0_13select_configILj256ELj13ELNS0_17block_load_methodE3ELS4_3ELS4_3ELNS0_20block_scan_algorithmE0ELj4294967295EEENS1_25partition_config_selectorILNS1_17partition_subalgoE3EjNS0_10empty_typeEbEEZZNS1_14partition_implILS8_3ELb0ES6_jNS0_17counting_iteratorIjlEEPS9_SE_NS0_5tupleIJPjSE_EEENSF_IJSE_SE_EEES9_SG_JZNS1_25segmented_radix_sort_implINS0_14default_configELb0EPK6__halfPSL_PKlPlN2at6native12_GLOBAL__N_18offset_tEEE10hipError_tPvRmT1_PNSt15iterator_traitsISZ_E10value_typeET2_T3_PNS10_IS15_E10value_typeET4_jRbjT5_S1B_jjP12ihipStream_tbEUljE_EEESW_SX_SY_S15_S19_S1B_T6_T7_T9_mT8_S1D_bDpT10_ENKUlT_T0_E_clISt17integral_constantIbLb0EES1Q_EEDaS1L_S1M_EUlS1L_E_NS1_11comp_targetILNS1_3genE4ELNS1_11target_archE910ELNS1_3gpuE8ELNS1_3repE0EEENS1_30default_config_static_selectorELNS0_4arch9wavefront6targetE1EEEvSZ_,"axG",@progbits,_ZN7rocprim17ROCPRIM_400000_NS6detail17trampoline_kernelINS0_13select_configILj256ELj13ELNS0_17block_load_methodE3ELS4_3ELS4_3ELNS0_20block_scan_algorithmE0ELj4294967295EEENS1_25partition_config_selectorILNS1_17partition_subalgoE3EjNS0_10empty_typeEbEEZZNS1_14partition_implILS8_3ELb0ES6_jNS0_17counting_iteratorIjlEEPS9_SE_NS0_5tupleIJPjSE_EEENSF_IJSE_SE_EEES9_SG_JZNS1_25segmented_radix_sort_implINS0_14default_configELb0EPK6__halfPSL_PKlPlN2at6native12_GLOBAL__N_18offset_tEEE10hipError_tPvRmT1_PNSt15iterator_traitsISZ_E10value_typeET2_T3_PNS10_IS15_E10value_typeET4_jRbjT5_S1B_jjP12ihipStream_tbEUljE_EEESW_SX_SY_S15_S19_S1B_T6_T7_T9_mT8_S1D_bDpT10_ENKUlT_T0_E_clISt17integral_constantIbLb0EES1Q_EEDaS1L_S1M_EUlS1L_E_NS1_11comp_targetILNS1_3genE4ELNS1_11target_archE910ELNS1_3gpuE8ELNS1_3repE0EEENS1_30default_config_static_selectorELNS0_4arch9wavefront6targetE1EEEvSZ_,comdat
.Lfunc_end1810:
	.size	_ZN7rocprim17ROCPRIM_400000_NS6detail17trampoline_kernelINS0_13select_configILj256ELj13ELNS0_17block_load_methodE3ELS4_3ELS4_3ELNS0_20block_scan_algorithmE0ELj4294967295EEENS1_25partition_config_selectorILNS1_17partition_subalgoE3EjNS0_10empty_typeEbEEZZNS1_14partition_implILS8_3ELb0ES6_jNS0_17counting_iteratorIjlEEPS9_SE_NS0_5tupleIJPjSE_EEENSF_IJSE_SE_EEES9_SG_JZNS1_25segmented_radix_sort_implINS0_14default_configELb0EPK6__halfPSL_PKlPlN2at6native12_GLOBAL__N_18offset_tEEE10hipError_tPvRmT1_PNSt15iterator_traitsISZ_E10value_typeET2_T3_PNS10_IS15_E10value_typeET4_jRbjT5_S1B_jjP12ihipStream_tbEUljE_EEESW_SX_SY_S15_S19_S1B_T6_T7_T9_mT8_S1D_bDpT10_ENKUlT_T0_E_clISt17integral_constantIbLb0EES1Q_EEDaS1L_S1M_EUlS1L_E_NS1_11comp_targetILNS1_3genE4ELNS1_11target_archE910ELNS1_3gpuE8ELNS1_3repE0EEENS1_30default_config_static_selectorELNS0_4arch9wavefront6targetE1EEEvSZ_, .Lfunc_end1810-_ZN7rocprim17ROCPRIM_400000_NS6detail17trampoline_kernelINS0_13select_configILj256ELj13ELNS0_17block_load_methodE3ELS4_3ELS4_3ELNS0_20block_scan_algorithmE0ELj4294967295EEENS1_25partition_config_selectorILNS1_17partition_subalgoE3EjNS0_10empty_typeEbEEZZNS1_14partition_implILS8_3ELb0ES6_jNS0_17counting_iteratorIjlEEPS9_SE_NS0_5tupleIJPjSE_EEENSF_IJSE_SE_EEES9_SG_JZNS1_25segmented_radix_sort_implINS0_14default_configELb0EPK6__halfPSL_PKlPlN2at6native12_GLOBAL__N_18offset_tEEE10hipError_tPvRmT1_PNSt15iterator_traitsISZ_E10value_typeET2_T3_PNS10_IS15_E10value_typeET4_jRbjT5_S1B_jjP12ihipStream_tbEUljE_EEESW_SX_SY_S15_S19_S1B_T6_T7_T9_mT8_S1D_bDpT10_ENKUlT_T0_E_clISt17integral_constantIbLb0EES1Q_EEDaS1L_S1M_EUlS1L_E_NS1_11comp_targetILNS1_3genE4ELNS1_11target_archE910ELNS1_3gpuE8ELNS1_3repE0EEENS1_30default_config_static_selectorELNS0_4arch9wavefront6targetE1EEEvSZ_
                                        ; -- End function
	.section	.AMDGPU.csdata,"",@progbits
; Kernel info:
; codeLenInByte = 7676
; NumSgprs: 50
; NumVgprs: 61
; NumAgprs: 0
; TotalNumVgprs: 61
; ScratchSize: 0
; MemoryBound: 0
; FloatMode: 240
; IeeeMode: 1
; LDSByteSize: 13324 bytes/workgroup (compile time only)
; SGPRBlocks: 6
; VGPRBlocks: 7
; NumSGPRsForWavesPerEU: 50
; NumVGPRsForWavesPerEU: 61
; AccumOffset: 64
; Occupancy: 4
; WaveLimiterHint : 0
; COMPUTE_PGM_RSRC2:SCRATCH_EN: 0
; COMPUTE_PGM_RSRC2:USER_SGPR: 6
; COMPUTE_PGM_RSRC2:TRAP_HANDLER: 0
; COMPUTE_PGM_RSRC2:TGID_X_EN: 1
; COMPUTE_PGM_RSRC2:TGID_Y_EN: 0
; COMPUTE_PGM_RSRC2:TGID_Z_EN: 0
; COMPUTE_PGM_RSRC2:TIDIG_COMP_CNT: 0
; COMPUTE_PGM_RSRC3_GFX90A:ACCUM_OFFSET: 15
; COMPUTE_PGM_RSRC3_GFX90A:TG_SPLIT: 0
	.section	.text._ZN7rocprim17ROCPRIM_400000_NS6detail17trampoline_kernelINS0_13select_configILj256ELj13ELNS0_17block_load_methodE3ELS4_3ELS4_3ELNS0_20block_scan_algorithmE0ELj4294967295EEENS1_25partition_config_selectorILNS1_17partition_subalgoE3EjNS0_10empty_typeEbEEZZNS1_14partition_implILS8_3ELb0ES6_jNS0_17counting_iteratorIjlEEPS9_SE_NS0_5tupleIJPjSE_EEENSF_IJSE_SE_EEES9_SG_JZNS1_25segmented_radix_sort_implINS0_14default_configELb0EPK6__halfPSL_PKlPlN2at6native12_GLOBAL__N_18offset_tEEE10hipError_tPvRmT1_PNSt15iterator_traitsISZ_E10value_typeET2_T3_PNS10_IS15_E10value_typeET4_jRbjT5_S1B_jjP12ihipStream_tbEUljE_EEESW_SX_SY_S15_S19_S1B_T6_T7_T9_mT8_S1D_bDpT10_ENKUlT_T0_E_clISt17integral_constantIbLb0EES1Q_EEDaS1L_S1M_EUlS1L_E_NS1_11comp_targetILNS1_3genE3ELNS1_11target_archE908ELNS1_3gpuE7ELNS1_3repE0EEENS1_30default_config_static_selectorELNS0_4arch9wavefront6targetE1EEEvSZ_,"axG",@progbits,_ZN7rocprim17ROCPRIM_400000_NS6detail17trampoline_kernelINS0_13select_configILj256ELj13ELNS0_17block_load_methodE3ELS4_3ELS4_3ELNS0_20block_scan_algorithmE0ELj4294967295EEENS1_25partition_config_selectorILNS1_17partition_subalgoE3EjNS0_10empty_typeEbEEZZNS1_14partition_implILS8_3ELb0ES6_jNS0_17counting_iteratorIjlEEPS9_SE_NS0_5tupleIJPjSE_EEENSF_IJSE_SE_EEES9_SG_JZNS1_25segmented_radix_sort_implINS0_14default_configELb0EPK6__halfPSL_PKlPlN2at6native12_GLOBAL__N_18offset_tEEE10hipError_tPvRmT1_PNSt15iterator_traitsISZ_E10value_typeET2_T3_PNS10_IS15_E10value_typeET4_jRbjT5_S1B_jjP12ihipStream_tbEUljE_EEESW_SX_SY_S15_S19_S1B_T6_T7_T9_mT8_S1D_bDpT10_ENKUlT_T0_E_clISt17integral_constantIbLb0EES1Q_EEDaS1L_S1M_EUlS1L_E_NS1_11comp_targetILNS1_3genE3ELNS1_11target_archE908ELNS1_3gpuE7ELNS1_3repE0EEENS1_30default_config_static_selectorELNS0_4arch9wavefront6targetE1EEEvSZ_,comdat
	.globl	_ZN7rocprim17ROCPRIM_400000_NS6detail17trampoline_kernelINS0_13select_configILj256ELj13ELNS0_17block_load_methodE3ELS4_3ELS4_3ELNS0_20block_scan_algorithmE0ELj4294967295EEENS1_25partition_config_selectorILNS1_17partition_subalgoE3EjNS0_10empty_typeEbEEZZNS1_14partition_implILS8_3ELb0ES6_jNS0_17counting_iteratorIjlEEPS9_SE_NS0_5tupleIJPjSE_EEENSF_IJSE_SE_EEES9_SG_JZNS1_25segmented_radix_sort_implINS0_14default_configELb0EPK6__halfPSL_PKlPlN2at6native12_GLOBAL__N_18offset_tEEE10hipError_tPvRmT1_PNSt15iterator_traitsISZ_E10value_typeET2_T3_PNS10_IS15_E10value_typeET4_jRbjT5_S1B_jjP12ihipStream_tbEUljE_EEESW_SX_SY_S15_S19_S1B_T6_T7_T9_mT8_S1D_bDpT10_ENKUlT_T0_E_clISt17integral_constantIbLb0EES1Q_EEDaS1L_S1M_EUlS1L_E_NS1_11comp_targetILNS1_3genE3ELNS1_11target_archE908ELNS1_3gpuE7ELNS1_3repE0EEENS1_30default_config_static_selectorELNS0_4arch9wavefront6targetE1EEEvSZ_ ; -- Begin function _ZN7rocprim17ROCPRIM_400000_NS6detail17trampoline_kernelINS0_13select_configILj256ELj13ELNS0_17block_load_methodE3ELS4_3ELS4_3ELNS0_20block_scan_algorithmE0ELj4294967295EEENS1_25partition_config_selectorILNS1_17partition_subalgoE3EjNS0_10empty_typeEbEEZZNS1_14partition_implILS8_3ELb0ES6_jNS0_17counting_iteratorIjlEEPS9_SE_NS0_5tupleIJPjSE_EEENSF_IJSE_SE_EEES9_SG_JZNS1_25segmented_radix_sort_implINS0_14default_configELb0EPK6__halfPSL_PKlPlN2at6native12_GLOBAL__N_18offset_tEEE10hipError_tPvRmT1_PNSt15iterator_traitsISZ_E10value_typeET2_T3_PNS10_IS15_E10value_typeET4_jRbjT5_S1B_jjP12ihipStream_tbEUljE_EEESW_SX_SY_S15_S19_S1B_T6_T7_T9_mT8_S1D_bDpT10_ENKUlT_T0_E_clISt17integral_constantIbLb0EES1Q_EEDaS1L_S1M_EUlS1L_E_NS1_11comp_targetILNS1_3genE3ELNS1_11target_archE908ELNS1_3gpuE7ELNS1_3repE0EEENS1_30default_config_static_selectorELNS0_4arch9wavefront6targetE1EEEvSZ_
	.p2align	8
	.type	_ZN7rocprim17ROCPRIM_400000_NS6detail17trampoline_kernelINS0_13select_configILj256ELj13ELNS0_17block_load_methodE3ELS4_3ELS4_3ELNS0_20block_scan_algorithmE0ELj4294967295EEENS1_25partition_config_selectorILNS1_17partition_subalgoE3EjNS0_10empty_typeEbEEZZNS1_14partition_implILS8_3ELb0ES6_jNS0_17counting_iteratorIjlEEPS9_SE_NS0_5tupleIJPjSE_EEENSF_IJSE_SE_EEES9_SG_JZNS1_25segmented_radix_sort_implINS0_14default_configELb0EPK6__halfPSL_PKlPlN2at6native12_GLOBAL__N_18offset_tEEE10hipError_tPvRmT1_PNSt15iterator_traitsISZ_E10value_typeET2_T3_PNS10_IS15_E10value_typeET4_jRbjT5_S1B_jjP12ihipStream_tbEUljE_EEESW_SX_SY_S15_S19_S1B_T6_T7_T9_mT8_S1D_bDpT10_ENKUlT_T0_E_clISt17integral_constantIbLb0EES1Q_EEDaS1L_S1M_EUlS1L_E_NS1_11comp_targetILNS1_3genE3ELNS1_11target_archE908ELNS1_3gpuE7ELNS1_3repE0EEENS1_30default_config_static_selectorELNS0_4arch9wavefront6targetE1EEEvSZ_,@function
_ZN7rocprim17ROCPRIM_400000_NS6detail17trampoline_kernelINS0_13select_configILj256ELj13ELNS0_17block_load_methodE3ELS4_3ELS4_3ELNS0_20block_scan_algorithmE0ELj4294967295EEENS1_25partition_config_selectorILNS1_17partition_subalgoE3EjNS0_10empty_typeEbEEZZNS1_14partition_implILS8_3ELb0ES6_jNS0_17counting_iteratorIjlEEPS9_SE_NS0_5tupleIJPjSE_EEENSF_IJSE_SE_EEES9_SG_JZNS1_25segmented_radix_sort_implINS0_14default_configELb0EPK6__halfPSL_PKlPlN2at6native12_GLOBAL__N_18offset_tEEE10hipError_tPvRmT1_PNSt15iterator_traitsISZ_E10value_typeET2_T3_PNS10_IS15_E10value_typeET4_jRbjT5_S1B_jjP12ihipStream_tbEUljE_EEESW_SX_SY_S15_S19_S1B_T6_T7_T9_mT8_S1D_bDpT10_ENKUlT_T0_E_clISt17integral_constantIbLb0EES1Q_EEDaS1L_S1M_EUlS1L_E_NS1_11comp_targetILNS1_3genE3ELNS1_11target_archE908ELNS1_3gpuE7ELNS1_3repE0EEENS1_30default_config_static_selectorELNS0_4arch9wavefront6targetE1EEEvSZ_: ; @_ZN7rocprim17ROCPRIM_400000_NS6detail17trampoline_kernelINS0_13select_configILj256ELj13ELNS0_17block_load_methodE3ELS4_3ELS4_3ELNS0_20block_scan_algorithmE0ELj4294967295EEENS1_25partition_config_selectorILNS1_17partition_subalgoE3EjNS0_10empty_typeEbEEZZNS1_14partition_implILS8_3ELb0ES6_jNS0_17counting_iteratorIjlEEPS9_SE_NS0_5tupleIJPjSE_EEENSF_IJSE_SE_EEES9_SG_JZNS1_25segmented_radix_sort_implINS0_14default_configELb0EPK6__halfPSL_PKlPlN2at6native12_GLOBAL__N_18offset_tEEE10hipError_tPvRmT1_PNSt15iterator_traitsISZ_E10value_typeET2_T3_PNS10_IS15_E10value_typeET4_jRbjT5_S1B_jjP12ihipStream_tbEUljE_EEESW_SX_SY_S15_S19_S1B_T6_T7_T9_mT8_S1D_bDpT10_ENKUlT_T0_E_clISt17integral_constantIbLb0EES1Q_EEDaS1L_S1M_EUlS1L_E_NS1_11comp_targetILNS1_3genE3ELNS1_11target_archE908ELNS1_3gpuE7ELNS1_3repE0EEENS1_30default_config_static_selectorELNS0_4arch9wavefront6targetE1EEEvSZ_
; %bb.0:
	.section	.rodata,"a",@progbits
	.p2align	6, 0x0
	.amdhsa_kernel _ZN7rocprim17ROCPRIM_400000_NS6detail17trampoline_kernelINS0_13select_configILj256ELj13ELNS0_17block_load_methodE3ELS4_3ELS4_3ELNS0_20block_scan_algorithmE0ELj4294967295EEENS1_25partition_config_selectorILNS1_17partition_subalgoE3EjNS0_10empty_typeEbEEZZNS1_14partition_implILS8_3ELb0ES6_jNS0_17counting_iteratorIjlEEPS9_SE_NS0_5tupleIJPjSE_EEENSF_IJSE_SE_EEES9_SG_JZNS1_25segmented_radix_sort_implINS0_14default_configELb0EPK6__halfPSL_PKlPlN2at6native12_GLOBAL__N_18offset_tEEE10hipError_tPvRmT1_PNSt15iterator_traitsISZ_E10value_typeET2_T3_PNS10_IS15_E10value_typeET4_jRbjT5_S1B_jjP12ihipStream_tbEUljE_EEESW_SX_SY_S15_S19_S1B_T6_T7_T9_mT8_S1D_bDpT10_ENKUlT_T0_E_clISt17integral_constantIbLb0EES1Q_EEDaS1L_S1M_EUlS1L_E_NS1_11comp_targetILNS1_3genE3ELNS1_11target_archE908ELNS1_3gpuE7ELNS1_3repE0EEENS1_30default_config_static_selectorELNS0_4arch9wavefront6targetE1EEEvSZ_
		.amdhsa_group_segment_fixed_size 0
		.amdhsa_private_segment_fixed_size 0
		.amdhsa_kernarg_size 144
		.amdhsa_user_sgpr_count 6
		.amdhsa_user_sgpr_private_segment_buffer 1
		.amdhsa_user_sgpr_dispatch_ptr 0
		.amdhsa_user_sgpr_queue_ptr 0
		.amdhsa_user_sgpr_kernarg_segment_ptr 1
		.amdhsa_user_sgpr_dispatch_id 0
		.amdhsa_user_sgpr_flat_scratch_init 0
		.amdhsa_user_sgpr_kernarg_preload_length 0
		.amdhsa_user_sgpr_kernarg_preload_offset 0
		.amdhsa_user_sgpr_private_segment_size 0
		.amdhsa_uses_dynamic_stack 0
		.amdhsa_system_sgpr_private_segment_wavefront_offset 0
		.amdhsa_system_sgpr_workgroup_id_x 1
		.amdhsa_system_sgpr_workgroup_id_y 0
		.amdhsa_system_sgpr_workgroup_id_z 0
		.amdhsa_system_sgpr_workgroup_info 0
		.amdhsa_system_vgpr_workitem_id 0
		.amdhsa_next_free_vgpr 1
		.amdhsa_next_free_sgpr 0
		.amdhsa_accum_offset 4
		.amdhsa_reserve_vcc 0
		.amdhsa_reserve_flat_scratch 0
		.amdhsa_float_round_mode_32 0
		.amdhsa_float_round_mode_16_64 0
		.amdhsa_float_denorm_mode_32 3
		.amdhsa_float_denorm_mode_16_64 3
		.amdhsa_dx10_clamp 1
		.amdhsa_ieee_mode 1
		.amdhsa_fp16_overflow 0
		.amdhsa_tg_split 0
		.amdhsa_exception_fp_ieee_invalid_op 0
		.amdhsa_exception_fp_denorm_src 0
		.amdhsa_exception_fp_ieee_div_zero 0
		.amdhsa_exception_fp_ieee_overflow 0
		.amdhsa_exception_fp_ieee_underflow 0
		.amdhsa_exception_fp_ieee_inexact 0
		.amdhsa_exception_int_div_zero 0
	.end_amdhsa_kernel
	.section	.text._ZN7rocprim17ROCPRIM_400000_NS6detail17trampoline_kernelINS0_13select_configILj256ELj13ELNS0_17block_load_methodE3ELS4_3ELS4_3ELNS0_20block_scan_algorithmE0ELj4294967295EEENS1_25partition_config_selectorILNS1_17partition_subalgoE3EjNS0_10empty_typeEbEEZZNS1_14partition_implILS8_3ELb0ES6_jNS0_17counting_iteratorIjlEEPS9_SE_NS0_5tupleIJPjSE_EEENSF_IJSE_SE_EEES9_SG_JZNS1_25segmented_radix_sort_implINS0_14default_configELb0EPK6__halfPSL_PKlPlN2at6native12_GLOBAL__N_18offset_tEEE10hipError_tPvRmT1_PNSt15iterator_traitsISZ_E10value_typeET2_T3_PNS10_IS15_E10value_typeET4_jRbjT5_S1B_jjP12ihipStream_tbEUljE_EEESW_SX_SY_S15_S19_S1B_T6_T7_T9_mT8_S1D_bDpT10_ENKUlT_T0_E_clISt17integral_constantIbLb0EES1Q_EEDaS1L_S1M_EUlS1L_E_NS1_11comp_targetILNS1_3genE3ELNS1_11target_archE908ELNS1_3gpuE7ELNS1_3repE0EEENS1_30default_config_static_selectorELNS0_4arch9wavefront6targetE1EEEvSZ_,"axG",@progbits,_ZN7rocprim17ROCPRIM_400000_NS6detail17trampoline_kernelINS0_13select_configILj256ELj13ELNS0_17block_load_methodE3ELS4_3ELS4_3ELNS0_20block_scan_algorithmE0ELj4294967295EEENS1_25partition_config_selectorILNS1_17partition_subalgoE3EjNS0_10empty_typeEbEEZZNS1_14partition_implILS8_3ELb0ES6_jNS0_17counting_iteratorIjlEEPS9_SE_NS0_5tupleIJPjSE_EEENSF_IJSE_SE_EEES9_SG_JZNS1_25segmented_radix_sort_implINS0_14default_configELb0EPK6__halfPSL_PKlPlN2at6native12_GLOBAL__N_18offset_tEEE10hipError_tPvRmT1_PNSt15iterator_traitsISZ_E10value_typeET2_T3_PNS10_IS15_E10value_typeET4_jRbjT5_S1B_jjP12ihipStream_tbEUljE_EEESW_SX_SY_S15_S19_S1B_T6_T7_T9_mT8_S1D_bDpT10_ENKUlT_T0_E_clISt17integral_constantIbLb0EES1Q_EEDaS1L_S1M_EUlS1L_E_NS1_11comp_targetILNS1_3genE3ELNS1_11target_archE908ELNS1_3gpuE7ELNS1_3repE0EEENS1_30default_config_static_selectorELNS0_4arch9wavefront6targetE1EEEvSZ_,comdat
.Lfunc_end1811:
	.size	_ZN7rocprim17ROCPRIM_400000_NS6detail17trampoline_kernelINS0_13select_configILj256ELj13ELNS0_17block_load_methodE3ELS4_3ELS4_3ELNS0_20block_scan_algorithmE0ELj4294967295EEENS1_25partition_config_selectorILNS1_17partition_subalgoE3EjNS0_10empty_typeEbEEZZNS1_14partition_implILS8_3ELb0ES6_jNS0_17counting_iteratorIjlEEPS9_SE_NS0_5tupleIJPjSE_EEENSF_IJSE_SE_EEES9_SG_JZNS1_25segmented_radix_sort_implINS0_14default_configELb0EPK6__halfPSL_PKlPlN2at6native12_GLOBAL__N_18offset_tEEE10hipError_tPvRmT1_PNSt15iterator_traitsISZ_E10value_typeET2_T3_PNS10_IS15_E10value_typeET4_jRbjT5_S1B_jjP12ihipStream_tbEUljE_EEESW_SX_SY_S15_S19_S1B_T6_T7_T9_mT8_S1D_bDpT10_ENKUlT_T0_E_clISt17integral_constantIbLb0EES1Q_EEDaS1L_S1M_EUlS1L_E_NS1_11comp_targetILNS1_3genE3ELNS1_11target_archE908ELNS1_3gpuE7ELNS1_3repE0EEENS1_30default_config_static_selectorELNS0_4arch9wavefront6targetE1EEEvSZ_, .Lfunc_end1811-_ZN7rocprim17ROCPRIM_400000_NS6detail17trampoline_kernelINS0_13select_configILj256ELj13ELNS0_17block_load_methodE3ELS4_3ELS4_3ELNS0_20block_scan_algorithmE0ELj4294967295EEENS1_25partition_config_selectorILNS1_17partition_subalgoE3EjNS0_10empty_typeEbEEZZNS1_14partition_implILS8_3ELb0ES6_jNS0_17counting_iteratorIjlEEPS9_SE_NS0_5tupleIJPjSE_EEENSF_IJSE_SE_EEES9_SG_JZNS1_25segmented_radix_sort_implINS0_14default_configELb0EPK6__halfPSL_PKlPlN2at6native12_GLOBAL__N_18offset_tEEE10hipError_tPvRmT1_PNSt15iterator_traitsISZ_E10value_typeET2_T3_PNS10_IS15_E10value_typeET4_jRbjT5_S1B_jjP12ihipStream_tbEUljE_EEESW_SX_SY_S15_S19_S1B_T6_T7_T9_mT8_S1D_bDpT10_ENKUlT_T0_E_clISt17integral_constantIbLb0EES1Q_EEDaS1L_S1M_EUlS1L_E_NS1_11comp_targetILNS1_3genE3ELNS1_11target_archE908ELNS1_3gpuE7ELNS1_3repE0EEENS1_30default_config_static_selectorELNS0_4arch9wavefront6targetE1EEEvSZ_
                                        ; -- End function
	.section	.AMDGPU.csdata,"",@progbits
; Kernel info:
; codeLenInByte = 0
; NumSgprs: 4
; NumVgprs: 0
; NumAgprs: 0
; TotalNumVgprs: 0
; ScratchSize: 0
; MemoryBound: 0
; FloatMode: 240
; IeeeMode: 1
; LDSByteSize: 0 bytes/workgroup (compile time only)
; SGPRBlocks: 0
; VGPRBlocks: 0
; NumSGPRsForWavesPerEU: 4
; NumVGPRsForWavesPerEU: 1
; AccumOffset: 4
; Occupancy: 8
; WaveLimiterHint : 0
; COMPUTE_PGM_RSRC2:SCRATCH_EN: 0
; COMPUTE_PGM_RSRC2:USER_SGPR: 6
; COMPUTE_PGM_RSRC2:TRAP_HANDLER: 0
; COMPUTE_PGM_RSRC2:TGID_X_EN: 1
; COMPUTE_PGM_RSRC2:TGID_Y_EN: 0
; COMPUTE_PGM_RSRC2:TGID_Z_EN: 0
; COMPUTE_PGM_RSRC2:TIDIG_COMP_CNT: 0
; COMPUTE_PGM_RSRC3_GFX90A:ACCUM_OFFSET: 0
; COMPUTE_PGM_RSRC3_GFX90A:TG_SPLIT: 0
	.section	.text._ZN7rocprim17ROCPRIM_400000_NS6detail17trampoline_kernelINS0_13select_configILj256ELj13ELNS0_17block_load_methodE3ELS4_3ELS4_3ELNS0_20block_scan_algorithmE0ELj4294967295EEENS1_25partition_config_selectorILNS1_17partition_subalgoE3EjNS0_10empty_typeEbEEZZNS1_14partition_implILS8_3ELb0ES6_jNS0_17counting_iteratorIjlEEPS9_SE_NS0_5tupleIJPjSE_EEENSF_IJSE_SE_EEES9_SG_JZNS1_25segmented_radix_sort_implINS0_14default_configELb0EPK6__halfPSL_PKlPlN2at6native12_GLOBAL__N_18offset_tEEE10hipError_tPvRmT1_PNSt15iterator_traitsISZ_E10value_typeET2_T3_PNS10_IS15_E10value_typeET4_jRbjT5_S1B_jjP12ihipStream_tbEUljE_EEESW_SX_SY_S15_S19_S1B_T6_T7_T9_mT8_S1D_bDpT10_ENKUlT_T0_E_clISt17integral_constantIbLb0EES1Q_EEDaS1L_S1M_EUlS1L_E_NS1_11comp_targetILNS1_3genE2ELNS1_11target_archE906ELNS1_3gpuE6ELNS1_3repE0EEENS1_30default_config_static_selectorELNS0_4arch9wavefront6targetE1EEEvSZ_,"axG",@progbits,_ZN7rocprim17ROCPRIM_400000_NS6detail17trampoline_kernelINS0_13select_configILj256ELj13ELNS0_17block_load_methodE3ELS4_3ELS4_3ELNS0_20block_scan_algorithmE0ELj4294967295EEENS1_25partition_config_selectorILNS1_17partition_subalgoE3EjNS0_10empty_typeEbEEZZNS1_14partition_implILS8_3ELb0ES6_jNS0_17counting_iteratorIjlEEPS9_SE_NS0_5tupleIJPjSE_EEENSF_IJSE_SE_EEES9_SG_JZNS1_25segmented_radix_sort_implINS0_14default_configELb0EPK6__halfPSL_PKlPlN2at6native12_GLOBAL__N_18offset_tEEE10hipError_tPvRmT1_PNSt15iterator_traitsISZ_E10value_typeET2_T3_PNS10_IS15_E10value_typeET4_jRbjT5_S1B_jjP12ihipStream_tbEUljE_EEESW_SX_SY_S15_S19_S1B_T6_T7_T9_mT8_S1D_bDpT10_ENKUlT_T0_E_clISt17integral_constantIbLb0EES1Q_EEDaS1L_S1M_EUlS1L_E_NS1_11comp_targetILNS1_3genE2ELNS1_11target_archE906ELNS1_3gpuE6ELNS1_3repE0EEENS1_30default_config_static_selectorELNS0_4arch9wavefront6targetE1EEEvSZ_,comdat
	.globl	_ZN7rocprim17ROCPRIM_400000_NS6detail17trampoline_kernelINS0_13select_configILj256ELj13ELNS0_17block_load_methodE3ELS4_3ELS4_3ELNS0_20block_scan_algorithmE0ELj4294967295EEENS1_25partition_config_selectorILNS1_17partition_subalgoE3EjNS0_10empty_typeEbEEZZNS1_14partition_implILS8_3ELb0ES6_jNS0_17counting_iteratorIjlEEPS9_SE_NS0_5tupleIJPjSE_EEENSF_IJSE_SE_EEES9_SG_JZNS1_25segmented_radix_sort_implINS0_14default_configELb0EPK6__halfPSL_PKlPlN2at6native12_GLOBAL__N_18offset_tEEE10hipError_tPvRmT1_PNSt15iterator_traitsISZ_E10value_typeET2_T3_PNS10_IS15_E10value_typeET4_jRbjT5_S1B_jjP12ihipStream_tbEUljE_EEESW_SX_SY_S15_S19_S1B_T6_T7_T9_mT8_S1D_bDpT10_ENKUlT_T0_E_clISt17integral_constantIbLb0EES1Q_EEDaS1L_S1M_EUlS1L_E_NS1_11comp_targetILNS1_3genE2ELNS1_11target_archE906ELNS1_3gpuE6ELNS1_3repE0EEENS1_30default_config_static_selectorELNS0_4arch9wavefront6targetE1EEEvSZ_ ; -- Begin function _ZN7rocprim17ROCPRIM_400000_NS6detail17trampoline_kernelINS0_13select_configILj256ELj13ELNS0_17block_load_methodE3ELS4_3ELS4_3ELNS0_20block_scan_algorithmE0ELj4294967295EEENS1_25partition_config_selectorILNS1_17partition_subalgoE3EjNS0_10empty_typeEbEEZZNS1_14partition_implILS8_3ELb0ES6_jNS0_17counting_iteratorIjlEEPS9_SE_NS0_5tupleIJPjSE_EEENSF_IJSE_SE_EEES9_SG_JZNS1_25segmented_radix_sort_implINS0_14default_configELb0EPK6__halfPSL_PKlPlN2at6native12_GLOBAL__N_18offset_tEEE10hipError_tPvRmT1_PNSt15iterator_traitsISZ_E10value_typeET2_T3_PNS10_IS15_E10value_typeET4_jRbjT5_S1B_jjP12ihipStream_tbEUljE_EEESW_SX_SY_S15_S19_S1B_T6_T7_T9_mT8_S1D_bDpT10_ENKUlT_T0_E_clISt17integral_constantIbLb0EES1Q_EEDaS1L_S1M_EUlS1L_E_NS1_11comp_targetILNS1_3genE2ELNS1_11target_archE906ELNS1_3gpuE6ELNS1_3repE0EEENS1_30default_config_static_selectorELNS0_4arch9wavefront6targetE1EEEvSZ_
	.p2align	8
	.type	_ZN7rocprim17ROCPRIM_400000_NS6detail17trampoline_kernelINS0_13select_configILj256ELj13ELNS0_17block_load_methodE3ELS4_3ELS4_3ELNS0_20block_scan_algorithmE0ELj4294967295EEENS1_25partition_config_selectorILNS1_17partition_subalgoE3EjNS0_10empty_typeEbEEZZNS1_14partition_implILS8_3ELb0ES6_jNS0_17counting_iteratorIjlEEPS9_SE_NS0_5tupleIJPjSE_EEENSF_IJSE_SE_EEES9_SG_JZNS1_25segmented_radix_sort_implINS0_14default_configELb0EPK6__halfPSL_PKlPlN2at6native12_GLOBAL__N_18offset_tEEE10hipError_tPvRmT1_PNSt15iterator_traitsISZ_E10value_typeET2_T3_PNS10_IS15_E10value_typeET4_jRbjT5_S1B_jjP12ihipStream_tbEUljE_EEESW_SX_SY_S15_S19_S1B_T6_T7_T9_mT8_S1D_bDpT10_ENKUlT_T0_E_clISt17integral_constantIbLb0EES1Q_EEDaS1L_S1M_EUlS1L_E_NS1_11comp_targetILNS1_3genE2ELNS1_11target_archE906ELNS1_3gpuE6ELNS1_3repE0EEENS1_30default_config_static_selectorELNS0_4arch9wavefront6targetE1EEEvSZ_,@function
_ZN7rocprim17ROCPRIM_400000_NS6detail17trampoline_kernelINS0_13select_configILj256ELj13ELNS0_17block_load_methodE3ELS4_3ELS4_3ELNS0_20block_scan_algorithmE0ELj4294967295EEENS1_25partition_config_selectorILNS1_17partition_subalgoE3EjNS0_10empty_typeEbEEZZNS1_14partition_implILS8_3ELb0ES6_jNS0_17counting_iteratorIjlEEPS9_SE_NS0_5tupleIJPjSE_EEENSF_IJSE_SE_EEES9_SG_JZNS1_25segmented_radix_sort_implINS0_14default_configELb0EPK6__halfPSL_PKlPlN2at6native12_GLOBAL__N_18offset_tEEE10hipError_tPvRmT1_PNSt15iterator_traitsISZ_E10value_typeET2_T3_PNS10_IS15_E10value_typeET4_jRbjT5_S1B_jjP12ihipStream_tbEUljE_EEESW_SX_SY_S15_S19_S1B_T6_T7_T9_mT8_S1D_bDpT10_ENKUlT_T0_E_clISt17integral_constantIbLb0EES1Q_EEDaS1L_S1M_EUlS1L_E_NS1_11comp_targetILNS1_3genE2ELNS1_11target_archE906ELNS1_3gpuE6ELNS1_3repE0EEENS1_30default_config_static_selectorELNS0_4arch9wavefront6targetE1EEEvSZ_: ; @_ZN7rocprim17ROCPRIM_400000_NS6detail17trampoline_kernelINS0_13select_configILj256ELj13ELNS0_17block_load_methodE3ELS4_3ELS4_3ELNS0_20block_scan_algorithmE0ELj4294967295EEENS1_25partition_config_selectorILNS1_17partition_subalgoE3EjNS0_10empty_typeEbEEZZNS1_14partition_implILS8_3ELb0ES6_jNS0_17counting_iteratorIjlEEPS9_SE_NS0_5tupleIJPjSE_EEENSF_IJSE_SE_EEES9_SG_JZNS1_25segmented_radix_sort_implINS0_14default_configELb0EPK6__halfPSL_PKlPlN2at6native12_GLOBAL__N_18offset_tEEE10hipError_tPvRmT1_PNSt15iterator_traitsISZ_E10value_typeET2_T3_PNS10_IS15_E10value_typeET4_jRbjT5_S1B_jjP12ihipStream_tbEUljE_EEESW_SX_SY_S15_S19_S1B_T6_T7_T9_mT8_S1D_bDpT10_ENKUlT_T0_E_clISt17integral_constantIbLb0EES1Q_EEDaS1L_S1M_EUlS1L_E_NS1_11comp_targetILNS1_3genE2ELNS1_11target_archE906ELNS1_3gpuE6ELNS1_3repE0EEENS1_30default_config_static_selectorELNS0_4arch9wavefront6targetE1EEEvSZ_
; %bb.0:
	.section	.rodata,"a",@progbits
	.p2align	6, 0x0
	.amdhsa_kernel _ZN7rocprim17ROCPRIM_400000_NS6detail17trampoline_kernelINS0_13select_configILj256ELj13ELNS0_17block_load_methodE3ELS4_3ELS4_3ELNS0_20block_scan_algorithmE0ELj4294967295EEENS1_25partition_config_selectorILNS1_17partition_subalgoE3EjNS0_10empty_typeEbEEZZNS1_14partition_implILS8_3ELb0ES6_jNS0_17counting_iteratorIjlEEPS9_SE_NS0_5tupleIJPjSE_EEENSF_IJSE_SE_EEES9_SG_JZNS1_25segmented_radix_sort_implINS0_14default_configELb0EPK6__halfPSL_PKlPlN2at6native12_GLOBAL__N_18offset_tEEE10hipError_tPvRmT1_PNSt15iterator_traitsISZ_E10value_typeET2_T3_PNS10_IS15_E10value_typeET4_jRbjT5_S1B_jjP12ihipStream_tbEUljE_EEESW_SX_SY_S15_S19_S1B_T6_T7_T9_mT8_S1D_bDpT10_ENKUlT_T0_E_clISt17integral_constantIbLb0EES1Q_EEDaS1L_S1M_EUlS1L_E_NS1_11comp_targetILNS1_3genE2ELNS1_11target_archE906ELNS1_3gpuE6ELNS1_3repE0EEENS1_30default_config_static_selectorELNS0_4arch9wavefront6targetE1EEEvSZ_
		.amdhsa_group_segment_fixed_size 0
		.amdhsa_private_segment_fixed_size 0
		.amdhsa_kernarg_size 144
		.amdhsa_user_sgpr_count 6
		.amdhsa_user_sgpr_private_segment_buffer 1
		.amdhsa_user_sgpr_dispatch_ptr 0
		.amdhsa_user_sgpr_queue_ptr 0
		.amdhsa_user_sgpr_kernarg_segment_ptr 1
		.amdhsa_user_sgpr_dispatch_id 0
		.amdhsa_user_sgpr_flat_scratch_init 0
		.amdhsa_user_sgpr_kernarg_preload_length 0
		.amdhsa_user_sgpr_kernarg_preload_offset 0
		.amdhsa_user_sgpr_private_segment_size 0
		.amdhsa_uses_dynamic_stack 0
		.amdhsa_system_sgpr_private_segment_wavefront_offset 0
		.amdhsa_system_sgpr_workgroup_id_x 1
		.amdhsa_system_sgpr_workgroup_id_y 0
		.amdhsa_system_sgpr_workgroup_id_z 0
		.amdhsa_system_sgpr_workgroup_info 0
		.amdhsa_system_vgpr_workitem_id 0
		.amdhsa_next_free_vgpr 1
		.amdhsa_next_free_sgpr 0
		.amdhsa_accum_offset 4
		.amdhsa_reserve_vcc 0
		.amdhsa_reserve_flat_scratch 0
		.amdhsa_float_round_mode_32 0
		.amdhsa_float_round_mode_16_64 0
		.amdhsa_float_denorm_mode_32 3
		.amdhsa_float_denorm_mode_16_64 3
		.amdhsa_dx10_clamp 1
		.amdhsa_ieee_mode 1
		.amdhsa_fp16_overflow 0
		.amdhsa_tg_split 0
		.amdhsa_exception_fp_ieee_invalid_op 0
		.amdhsa_exception_fp_denorm_src 0
		.amdhsa_exception_fp_ieee_div_zero 0
		.amdhsa_exception_fp_ieee_overflow 0
		.amdhsa_exception_fp_ieee_underflow 0
		.amdhsa_exception_fp_ieee_inexact 0
		.amdhsa_exception_int_div_zero 0
	.end_amdhsa_kernel
	.section	.text._ZN7rocprim17ROCPRIM_400000_NS6detail17trampoline_kernelINS0_13select_configILj256ELj13ELNS0_17block_load_methodE3ELS4_3ELS4_3ELNS0_20block_scan_algorithmE0ELj4294967295EEENS1_25partition_config_selectorILNS1_17partition_subalgoE3EjNS0_10empty_typeEbEEZZNS1_14partition_implILS8_3ELb0ES6_jNS0_17counting_iteratorIjlEEPS9_SE_NS0_5tupleIJPjSE_EEENSF_IJSE_SE_EEES9_SG_JZNS1_25segmented_radix_sort_implINS0_14default_configELb0EPK6__halfPSL_PKlPlN2at6native12_GLOBAL__N_18offset_tEEE10hipError_tPvRmT1_PNSt15iterator_traitsISZ_E10value_typeET2_T3_PNS10_IS15_E10value_typeET4_jRbjT5_S1B_jjP12ihipStream_tbEUljE_EEESW_SX_SY_S15_S19_S1B_T6_T7_T9_mT8_S1D_bDpT10_ENKUlT_T0_E_clISt17integral_constantIbLb0EES1Q_EEDaS1L_S1M_EUlS1L_E_NS1_11comp_targetILNS1_3genE2ELNS1_11target_archE906ELNS1_3gpuE6ELNS1_3repE0EEENS1_30default_config_static_selectorELNS0_4arch9wavefront6targetE1EEEvSZ_,"axG",@progbits,_ZN7rocprim17ROCPRIM_400000_NS6detail17trampoline_kernelINS0_13select_configILj256ELj13ELNS0_17block_load_methodE3ELS4_3ELS4_3ELNS0_20block_scan_algorithmE0ELj4294967295EEENS1_25partition_config_selectorILNS1_17partition_subalgoE3EjNS0_10empty_typeEbEEZZNS1_14partition_implILS8_3ELb0ES6_jNS0_17counting_iteratorIjlEEPS9_SE_NS0_5tupleIJPjSE_EEENSF_IJSE_SE_EEES9_SG_JZNS1_25segmented_radix_sort_implINS0_14default_configELb0EPK6__halfPSL_PKlPlN2at6native12_GLOBAL__N_18offset_tEEE10hipError_tPvRmT1_PNSt15iterator_traitsISZ_E10value_typeET2_T3_PNS10_IS15_E10value_typeET4_jRbjT5_S1B_jjP12ihipStream_tbEUljE_EEESW_SX_SY_S15_S19_S1B_T6_T7_T9_mT8_S1D_bDpT10_ENKUlT_T0_E_clISt17integral_constantIbLb0EES1Q_EEDaS1L_S1M_EUlS1L_E_NS1_11comp_targetILNS1_3genE2ELNS1_11target_archE906ELNS1_3gpuE6ELNS1_3repE0EEENS1_30default_config_static_selectorELNS0_4arch9wavefront6targetE1EEEvSZ_,comdat
.Lfunc_end1812:
	.size	_ZN7rocprim17ROCPRIM_400000_NS6detail17trampoline_kernelINS0_13select_configILj256ELj13ELNS0_17block_load_methodE3ELS4_3ELS4_3ELNS0_20block_scan_algorithmE0ELj4294967295EEENS1_25partition_config_selectorILNS1_17partition_subalgoE3EjNS0_10empty_typeEbEEZZNS1_14partition_implILS8_3ELb0ES6_jNS0_17counting_iteratorIjlEEPS9_SE_NS0_5tupleIJPjSE_EEENSF_IJSE_SE_EEES9_SG_JZNS1_25segmented_radix_sort_implINS0_14default_configELb0EPK6__halfPSL_PKlPlN2at6native12_GLOBAL__N_18offset_tEEE10hipError_tPvRmT1_PNSt15iterator_traitsISZ_E10value_typeET2_T3_PNS10_IS15_E10value_typeET4_jRbjT5_S1B_jjP12ihipStream_tbEUljE_EEESW_SX_SY_S15_S19_S1B_T6_T7_T9_mT8_S1D_bDpT10_ENKUlT_T0_E_clISt17integral_constantIbLb0EES1Q_EEDaS1L_S1M_EUlS1L_E_NS1_11comp_targetILNS1_3genE2ELNS1_11target_archE906ELNS1_3gpuE6ELNS1_3repE0EEENS1_30default_config_static_selectorELNS0_4arch9wavefront6targetE1EEEvSZ_, .Lfunc_end1812-_ZN7rocprim17ROCPRIM_400000_NS6detail17trampoline_kernelINS0_13select_configILj256ELj13ELNS0_17block_load_methodE3ELS4_3ELS4_3ELNS0_20block_scan_algorithmE0ELj4294967295EEENS1_25partition_config_selectorILNS1_17partition_subalgoE3EjNS0_10empty_typeEbEEZZNS1_14partition_implILS8_3ELb0ES6_jNS0_17counting_iteratorIjlEEPS9_SE_NS0_5tupleIJPjSE_EEENSF_IJSE_SE_EEES9_SG_JZNS1_25segmented_radix_sort_implINS0_14default_configELb0EPK6__halfPSL_PKlPlN2at6native12_GLOBAL__N_18offset_tEEE10hipError_tPvRmT1_PNSt15iterator_traitsISZ_E10value_typeET2_T3_PNS10_IS15_E10value_typeET4_jRbjT5_S1B_jjP12ihipStream_tbEUljE_EEESW_SX_SY_S15_S19_S1B_T6_T7_T9_mT8_S1D_bDpT10_ENKUlT_T0_E_clISt17integral_constantIbLb0EES1Q_EEDaS1L_S1M_EUlS1L_E_NS1_11comp_targetILNS1_3genE2ELNS1_11target_archE906ELNS1_3gpuE6ELNS1_3repE0EEENS1_30default_config_static_selectorELNS0_4arch9wavefront6targetE1EEEvSZ_
                                        ; -- End function
	.section	.AMDGPU.csdata,"",@progbits
; Kernel info:
; codeLenInByte = 0
; NumSgprs: 4
; NumVgprs: 0
; NumAgprs: 0
; TotalNumVgprs: 0
; ScratchSize: 0
; MemoryBound: 0
; FloatMode: 240
; IeeeMode: 1
; LDSByteSize: 0 bytes/workgroup (compile time only)
; SGPRBlocks: 0
; VGPRBlocks: 0
; NumSGPRsForWavesPerEU: 4
; NumVGPRsForWavesPerEU: 1
; AccumOffset: 4
; Occupancy: 8
; WaveLimiterHint : 0
; COMPUTE_PGM_RSRC2:SCRATCH_EN: 0
; COMPUTE_PGM_RSRC2:USER_SGPR: 6
; COMPUTE_PGM_RSRC2:TRAP_HANDLER: 0
; COMPUTE_PGM_RSRC2:TGID_X_EN: 1
; COMPUTE_PGM_RSRC2:TGID_Y_EN: 0
; COMPUTE_PGM_RSRC2:TGID_Z_EN: 0
; COMPUTE_PGM_RSRC2:TIDIG_COMP_CNT: 0
; COMPUTE_PGM_RSRC3_GFX90A:ACCUM_OFFSET: 0
; COMPUTE_PGM_RSRC3_GFX90A:TG_SPLIT: 0
	.section	.text._ZN7rocprim17ROCPRIM_400000_NS6detail17trampoline_kernelINS0_13select_configILj256ELj13ELNS0_17block_load_methodE3ELS4_3ELS4_3ELNS0_20block_scan_algorithmE0ELj4294967295EEENS1_25partition_config_selectorILNS1_17partition_subalgoE3EjNS0_10empty_typeEbEEZZNS1_14partition_implILS8_3ELb0ES6_jNS0_17counting_iteratorIjlEEPS9_SE_NS0_5tupleIJPjSE_EEENSF_IJSE_SE_EEES9_SG_JZNS1_25segmented_radix_sort_implINS0_14default_configELb0EPK6__halfPSL_PKlPlN2at6native12_GLOBAL__N_18offset_tEEE10hipError_tPvRmT1_PNSt15iterator_traitsISZ_E10value_typeET2_T3_PNS10_IS15_E10value_typeET4_jRbjT5_S1B_jjP12ihipStream_tbEUljE_EEESW_SX_SY_S15_S19_S1B_T6_T7_T9_mT8_S1D_bDpT10_ENKUlT_T0_E_clISt17integral_constantIbLb0EES1Q_EEDaS1L_S1M_EUlS1L_E_NS1_11comp_targetILNS1_3genE10ELNS1_11target_archE1200ELNS1_3gpuE4ELNS1_3repE0EEENS1_30default_config_static_selectorELNS0_4arch9wavefront6targetE1EEEvSZ_,"axG",@progbits,_ZN7rocprim17ROCPRIM_400000_NS6detail17trampoline_kernelINS0_13select_configILj256ELj13ELNS0_17block_load_methodE3ELS4_3ELS4_3ELNS0_20block_scan_algorithmE0ELj4294967295EEENS1_25partition_config_selectorILNS1_17partition_subalgoE3EjNS0_10empty_typeEbEEZZNS1_14partition_implILS8_3ELb0ES6_jNS0_17counting_iteratorIjlEEPS9_SE_NS0_5tupleIJPjSE_EEENSF_IJSE_SE_EEES9_SG_JZNS1_25segmented_radix_sort_implINS0_14default_configELb0EPK6__halfPSL_PKlPlN2at6native12_GLOBAL__N_18offset_tEEE10hipError_tPvRmT1_PNSt15iterator_traitsISZ_E10value_typeET2_T3_PNS10_IS15_E10value_typeET4_jRbjT5_S1B_jjP12ihipStream_tbEUljE_EEESW_SX_SY_S15_S19_S1B_T6_T7_T9_mT8_S1D_bDpT10_ENKUlT_T0_E_clISt17integral_constantIbLb0EES1Q_EEDaS1L_S1M_EUlS1L_E_NS1_11comp_targetILNS1_3genE10ELNS1_11target_archE1200ELNS1_3gpuE4ELNS1_3repE0EEENS1_30default_config_static_selectorELNS0_4arch9wavefront6targetE1EEEvSZ_,comdat
	.globl	_ZN7rocprim17ROCPRIM_400000_NS6detail17trampoline_kernelINS0_13select_configILj256ELj13ELNS0_17block_load_methodE3ELS4_3ELS4_3ELNS0_20block_scan_algorithmE0ELj4294967295EEENS1_25partition_config_selectorILNS1_17partition_subalgoE3EjNS0_10empty_typeEbEEZZNS1_14partition_implILS8_3ELb0ES6_jNS0_17counting_iteratorIjlEEPS9_SE_NS0_5tupleIJPjSE_EEENSF_IJSE_SE_EEES9_SG_JZNS1_25segmented_radix_sort_implINS0_14default_configELb0EPK6__halfPSL_PKlPlN2at6native12_GLOBAL__N_18offset_tEEE10hipError_tPvRmT1_PNSt15iterator_traitsISZ_E10value_typeET2_T3_PNS10_IS15_E10value_typeET4_jRbjT5_S1B_jjP12ihipStream_tbEUljE_EEESW_SX_SY_S15_S19_S1B_T6_T7_T9_mT8_S1D_bDpT10_ENKUlT_T0_E_clISt17integral_constantIbLb0EES1Q_EEDaS1L_S1M_EUlS1L_E_NS1_11comp_targetILNS1_3genE10ELNS1_11target_archE1200ELNS1_3gpuE4ELNS1_3repE0EEENS1_30default_config_static_selectorELNS0_4arch9wavefront6targetE1EEEvSZ_ ; -- Begin function _ZN7rocprim17ROCPRIM_400000_NS6detail17trampoline_kernelINS0_13select_configILj256ELj13ELNS0_17block_load_methodE3ELS4_3ELS4_3ELNS0_20block_scan_algorithmE0ELj4294967295EEENS1_25partition_config_selectorILNS1_17partition_subalgoE3EjNS0_10empty_typeEbEEZZNS1_14partition_implILS8_3ELb0ES6_jNS0_17counting_iteratorIjlEEPS9_SE_NS0_5tupleIJPjSE_EEENSF_IJSE_SE_EEES9_SG_JZNS1_25segmented_radix_sort_implINS0_14default_configELb0EPK6__halfPSL_PKlPlN2at6native12_GLOBAL__N_18offset_tEEE10hipError_tPvRmT1_PNSt15iterator_traitsISZ_E10value_typeET2_T3_PNS10_IS15_E10value_typeET4_jRbjT5_S1B_jjP12ihipStream_tbEUljE_EEESW_SX_SY_S15_S19_S1B_T6_T7_T9_mT8_S1D_bDpT10_ENKUlT_T0_E_clISt17integral_constantIbLb0EES1Q_EEDaS1L_S1M_EUlS1L_E_NS1_11comp_targetILNS1_3genE10ELNS1_11target_archE1200ELNS1_3gpuE4ELNS1_3repE0EEENS1_30default_config_static_selectorELNS0_4arch9wavefront6targetE1EEEvSZ_
	.p2align	8
	.type	_ZN7rocprim17ROCPRIM_400000_NS6detail17trampoline_kernelINS0_13select_configILj256ELj13ELNS0_17block_load_methodE3ELS4_3ELS4_3ELNS0_20block_scan_algorithmE0ELj4294967295EEENS1_25partition_config_selectorILNS1_17partition_subalgoE3EjNS0_10empty_typeEbEEZZNS1_14partition_implILS8_3ELb0ES6_jNS0_17counting_iteratorIjlEEPS9_SE_NS0_5tupleIJPjSE_EEENSF_IJSE_SE_EEES9_SG_JZNS1_25segmented_radix_sort_implINS0_14default_configELb0EPK6__halfPSL_PKlPlN2at6native12_GLOBAL__N_18offset_tEEE10hipError_tPvRmT1_PNSt15iterator_traitsISZ_E10value_typeET2_T3_PNS10_IS15_E10value_typeET4_jRbjT5_S1B_jjP12ihipStream_tbEUljE_EEESW_SX_SY_S15_S19_S1B_T6_T7_T9_mT8_S1D_bDpT10_ENKUlT_T0_E_clISt17integral_constantIbLb0EES1Q_EEDaS1L_S1M_EUlS1L_E_NS1_11comp_targetILNS1_3genE10ELNS1_11target_archE1200ELNS1_3gpuE4ELNS1_3repE0EEENS1_30default_config_static_selectorELNS0_4arch9wavefront6targetE1EEEvSZ_,@function
_ZN7rocprim17ROCPRIM_400000_NS6detail17trampoline_kernelINS0_13select_configILj256ELj13ELNS0_17block_load_methodE3ELS4_3ELS4_3ELNS0_20block_scan_algorithmE0ELj4294967295EEENS1_25partition_config_selectorILNS1_17partition_subalgoE3EjNS0_10empty_typeEbEEZZNS1_14partition_implILS8_3ELb0ES6_jNS0_17counting_iteratorIjlEEPS9_SE_NS0_5tupleIJPjSE_EEENSF_IJSE_SE_EEES9_SG_JZNS1_25segmented_radix_sort_implINS0_14default_configELb0EPK6__halfPSL_PKlPlN2at6native12_GLOBAL__N_18offset_tEEE10hipError_tPvRmT1_PNSt15iterator_traitsISZ_E10value_typeET2_T3_PNS10_IS15_E10value_typeET4_jRbjT5_S1B_jjP12ihipStream_tbEUljE_EEESW_SX_SY_S15_S19_S1B_T6_T7_T9_mT8_S1D_bDpT10_ENKUlT_T0_E_clISt17integral_constantIbLb0EES1Q_EEDaS1L_S1M_EUlS1L_E_NS1_11comp_targetILNS1_3genE10ELNS1_11target_archE1200ELNS1_3gpuE4ELNS1_3repE0EEENS1_30default_config_static_selectorELNS0_4arch9wavefront6targetE1EEEvSZ_: ; @_ZN7rocprim17ROCPRIM_400000_NS6detail17trampoline_kernelINS0_13select_configILj256ELj13ELNS0_17block_load_methodE3ELS4_3ELS4_3ELNS0_20block_scan_algorithmE0ELj4294967295EEENS1_25partition_config_selectorILNS1_17partition_subalgoE3EjNS0_10empty_typeEbEEZZNS1_14partition_implILS8_3ELb0ES6_jNS0_17counting_iteratorIjlEEPS9_SE_NS0_5tupleIJPjSE_EEENSF_IJSE_SE_EEES9_SG_JZNS1_25segmented_radix_sort_implINS0_14default_configELb0EPK6__halfPSL_PKlPlN2at6native12_GLOBAL__N_18offset_tEEE10hipError_tPvRmT1_PNSt15iterator_traitsISZ_E10value_typeET2_T3_PNS10_IS15_E10value_typeET4_jRbjT5_S1B_jjP12ihipStream_tbEUljE_EEESW_SX_SY_S15_S19_S1B_T6_T7_T9_mT8_S1D_bDpT10_ENKUlT_T0_E_clISt17integral_constantIbLb0EES1Q_EEDaS1L_S1M_EUlS1L_E_NS1_11comp_targetILNS1_3genE10ELNS1_11target_archE1200ELNS1_3gpuE4ELNS1_3repE0EEENS1_30default_config_static_selectorELNS0_4arch9wavefront6targetE1EEEvSZ_
; %bb.0:
	.section	.rodata,"a",@progbits
	.p2align	6, 0x0
	.amdhsa_kernel _ZN7rocprim17ROCPRIM_400000_NS6detail17trampoline_kernelINS0_13select_configILj256ELj13ELNS0_17block_load_methodE3ELS4_3ELS4_3ELNS0_20block_scan_algorithmE0ELj4294967295EEENS1_25partition_config_selectorILNS1_17partition_subalgoE3EjNS0_10empty_typeEbEEZZNS1_14partition_implILS8_3ELb0ES6_jNS0_17counting_iteratorIjlEEPS9_SE_NS0_5tupleIJPjSE_EEENSF_IJSE_SE_EEES9_SG_JZNS1_25segmented_radix_sort_implINS0_14default_configELb0EPK6__halfPSL_PKlPlN2at6native12_GLOBAL__N_18offset_tEEE10hipError_tPvRmT1_PNSt15iterator_traitsISZ_E10value_typeET2_T3_PNS10_IS15_E10value_typeET4_jRbjT5_S1B_jjP12ihipStream_tbEUljE_EEESW_SX_SY_S15_S19_S1B_T6_T7_T9_mT8_S1D_bDpT10_ENKUlT_T0_E_clISt17integral_constantIbLb0EES1Q_EEDaS1L_S1M_EUlS1L_E_NS1_11comp_targetILNS1_3genE10ELNS1_11target_archE1200ELNS1_3gpuE4ELNS1_3repE0EEENS1_30default_config_static_selectorELNS0_4arch9wavefront6targetE1EEEvSZ_
		.amdhsa_group_segment_fixed_size 0
		.amdhsa_private_segment_fixed_size 0
		.amdhsa_kernarg_size 144
		.amdhsa_user_sgpr_count 6
		.amdhsa_user_sgpr_private_segment_buffer 1
		.amdhsa_user_sgpr_dispatch_ptr 0
		.amdhsa_user_sgpr_queue_ptr 0
		.amdhsa_user_sgpr_kernarg_segment_ptr 1
		.amdhsa_user_sgpr_dispatch_id 0
		.amdhsa_user_sgpr_flat_scratch_init 0
		.amdhsa_user_sgpr_kernarg_preload_length 0
		.amdhsa_user_sgpr_kernarg_preload_offset 0
		.amdhsa_user_sgpr_private_segment_size 0
		.amdhsa_uses_dynamic_stack 0
		.amdhsa_system_sgpr_private_segment_wavefront_offset 0
		.amdhsa_system_sgpr_workgroup_id_x 1
		.amdhsa_system_sgpr_workgroup_id_y 0
		.amdhsa_system_sgpr_workgroup_id_z 0
		.amdhsa_system_sgpr_workgroup_info 0
		.amdhsa_system_vgpr_workitem_id 0
		.amdhsa_next_free_vgpr 1
		.amdhsa_next_free_sgpr 0
		.amdhsa_accum_offset 4
		.amdhsa_reserve_vcc 0
		.amdhsa_reserve_flat_scratch 0
		.amdhsa_float_round_mode_32 0
		.amdhsa_float_round_mode_16_64 0
		.amdhsa_float_denorm_mode_32 3
		.amdhsa_float_denorm_mode_16_64 3
		.amdhsa_dx10_clamp 1
		.amdhsa_ieee_mode 1
		.amdhsa_fp16_overflow 0
		.amdhsa_tg_split 0
		.amdhsa_exception_fp_ieee_invalid_op 0
		.amdhsa_exception_fp_denorm_src 0
		.amdhsa_exception_fp_ieee_div_zero 0
		.amdhsa_exception_fp_ieee_overflow 0
		.amdhsa_exception_fp_ieee_underflow 0
		.amdhsa_exception_fp_ieee_inexact 0
		.amdhsa_exception_int_div_zero 0
	.end_amdhsa_kernel
	.section	.text._ZN7rocprim17ROCPRIM_400000_NS6detail17trampoline_kernelINS0_13select_configILj256ELj13ELNS0_17block_load_methodE3ELS4_3ELS4_3ELNS0_20block_scan_algorithmE0ELj4294967295EEENS1_25partition_config_selectorILNS1_17partition_subalgoE3EjNS0_10empty_typeEbEEZZNS1_14partition_implILS8_3ELb0ES6_jNS0_17counting_iteratorIjlEEPS9_SE_NS0_5tupleIJPjSE_EEENSF_IJSE_SE_EEES9_SG_JZNS1_25segmented_radix_sort_implINS0_14default_configELb0EPK6__halfPSL_PKlPlN2at6native12_GLOBAL__N_18offset_tEEE10hipError_tPvRmT1_PNSt15iterator_traitsISZ_E10value_typeET2_T3_PNS10_IS15_E10value_typeET4_jRbjT5_S1B_jjP12ihipStream_tbEUljE_EEESW_SX_SY_S15_S19_S1B_T6_T7_T9_mT8_S1D_bDpT10_ENKUlT_T0_E_clISt17integral_constantIbLb0EES1Q_EEDaS1L_S1M_EUlS1L_E_NS1_11comp_targetILNS1_3genE10ELNS1_11target_archE1200ELNS1_3gpuE4ELNS1_3repE0EEENS1_30default_config_static_selectorELNS0_4arch9wavefront6targetE1EEEvSZ_,"axG",@progbits,_ZN7rocprim17ROCPRIM_400000_NS6detail17trampoline_kernelINS0_13select_configILj256ELj13ELNS0_17block_load_methodE3ELS4_3ELS4_3ELNS0_20block_scan_algorithmE0ELj4294967295EEENS1_25partition_config_selectorILNS1_17partition_subalgoE3EjNS0_10empty_typeEbEEZZNS1_14partition_implILS8_3ELb0ES6_jNS0_17counting_iteratorIjlEEPS9_SE_NS0_5tupleIJPjSE_EEENSF_IJSE_SE_EEES9_SG_JZNS1_25segmented_radix_sort_implINS0_14default_configELb0EPK6__halfPSL_PKlPlN2at6native12_GLOBAL__N_18offset_tEEE10hipError_tPvRmT1_PNSt15iterator_traitsISZ_E10value_typeET2_T3_PNS10_IS15_E10value_typeET4_jRbjT5_S1B_jjP12ihipStream_tbEUljE_EEESW_SX_SY_S15_S19_S1B_T6_T7_T9_mT8_S1D_bDpT10_ENKUlT_T0_E_clISt17integral_constantIbLb0EES1Q_EEDaS1L_S1M_EUlS1L_E_NS1_11comp_targetILNS1_3genE10ELNS1_11target_archE1200ELNS1_3gpuE4ELNS1_3repE0EEENS1_30default_config_static_selectorELNS0_4arch9wavefront6targetE1EEEvSZ_,comdat
.Lfunc_end1813:
	.size	_ZN7rocprim17ROCPRIM_400000_NS6detail17trampoline_kernelINS0_13select_configILj256ELj13ELNS0_17block_load_methodE3ELS4_3ELS4_3ELNS0_20block_scan_algorithmE0ELj4294967295EEENS1_25partition_config_selectorILNS1_17partition_subalgoE3EjNS0_10empty_typeEbEEZZNS1_14partition_implILS8_3ELb0ES6_jNS0_17counting_iteratorIjlEEPS9_SE_NS0_5tupleIJPjSE_EEENSF_IJSE_SE_EEES9_SG_JZNS1_25segmented_radix_sort_implINS0_14default_configELb0EPK6__halfPSL_PKlPlN2at6native12_GLOBAL__N_18offset_tEEE10hipError_tPvRmT1_PNSt15iterator_traitsISZ_E10value_typeET2_T3_PNS10_IS15_E10value_typeET4_jRbjT5_S1B_jjP12ihipStream_tbEUljE_EEESW_SX_SY_S15_S19_S1B_T6_T7_T9_mT8_S1D_bDpT10_ENKUlT_T0_E_clISt17integral_constantIbLb0EES1Q_EEDaS1L_S1M_EUlS1L_E_NS1_11comp_targetILNS1_3genE10ELNS1_11target_archE1200ELNS1_3gpuE4ELNS1_3repE0EEENS1_30default_config_static_selectorELNS0_4arch9wavefront6targetE1EEEvSZ_, .Lfunc_end1813-_ZN7rocprim17ROCPRIM_400000_NS6detail17trampoline_kernelINS0_13select_configILj256ELj13ELNS0_17block_load_methodE3ELS4_3ELS4_3ELNS0_20block_scan_algorithmE0ELj4294967295EEENS1_25partition_config_selectorILNS1_17partition_subalgoE3EjNS0_10empty_typeEbEEZZNS1_14partition_implILS8_3ELb0ES6_jNS0_17counting_iteratorIjlEEPS9_SE_NS0_5tupleIJPjSE_EEENSF_IJSE_SE_EEES9_SG_JZNS1_25segmented_radix_sort_implINS0_14default_configELb0EPK6__halfPSL_PKlPlN2at6native12_GLOBAL__N_18offset_tEEE10hipError_tPvRmT1_PNSt15iterator_traitsISZ_E10value_typeET2_T3_PNS10_IS15_E10value_typeET4_jRbjT5_S1B_jjP12ihipStream_tbEUljE_EEESW_SX_SY_S15_S19_S1B_T6_T7_T9_mT8_S1D_bDpT10_ENKUlT_T0_E_clISt17integral_constantIbLb0EES1Q_EEDaS1L_S1M_EUlS1L_E_NS1_11comp_targetILNS1_3genE10ELNS1_11target_archE1200ELNS1_3gpuE4ELNS1_3repE0EEENS1_30default_config_static_selectorELNS0_4arch9wavefront6targetE1EEEvSZ_
                                        ; -- End function
	.section	.AMDGPU.csdata,"",@progbits
; Kernel info:
; codeLenInByte = 0
; NumSgprs: 4
; NumVgprs: 0
; NumAgprs: 0
; TotalNumVgprs: 0
; ScratchSize: 0
; MemoryBound: 0
; FloatMode: 240
; IeeeMode: 1
; LDSByteSize: 0 bytes/workgroup (compile time only)
; SGPRBlocks: 0
; VGPRBlocks: 0
; NumSGPRsForWavesPerEU: 4
; NumVGPRsForWavesPerEU: 1
; AccumOffset: 4
; Occupancy: 8
; WaveLimiterHint : 0
; COMPUTE_PGM_RSRC2:SCRATCH_EN: 0
; COMPUTE_PGM_RSRC2:USER_SGPR: 6
; COMPUTE_PGM_RSRC2:TRAP_HANDLER: 0
; COMPUTE_PGM_RSRC2:TGID_X_EN: 1
; COMPUTE_PGM_RSRC2:TGID_Y_EN: 0
; COMPUTE_PGM_RSRC2:TGID_Z_EN: 0
; COMPUTE_PGM_RSRC2:TIDIG_COMP_CNT: 0
; COMPUTE_PGM_RSRC3_GFX90A:ACCUM_OFFSET: 0
; COMPUTE_PGM_RSRC3_GFX90A:TG_SPLIT: 0
	.section	.text._ZN7rocprim17ROCPRIM_400000_NS6detail17trampoline_kernelINS0_13select_configILj256ELj13ELNS0_17block_load_methodE3ELS4_3ELS4_3ELNS0_20block_scan_algorithmE0ELj4294967295EEENS1_25partition_config_selectorILNS1_17partition_subalgoE3EjNS0_10empty_typeEbEEZZNS1_14partition_implILS8_3ELb0ES6_jNS0_17counting_iteratorIjlEEPS9_SE_NS0_5tupleIJPjSE_EEENSF_IJSE_SE_EEES9_SG_JZNS1_25segmented_radix_sort_implINS0_14default_configELb0EPK6__halfPSL_PKlPlN2at6native12_GLOBAL__N_18offset_tEEE10hipError_tPvRmT1_PNSt15iterator_traitsISZ_E10value_typeET2_T3_PNS10_IS15_E10value_typeET4_jRbjT5_S1B_jjP12ihipStream_tbEUljE_EEESW_SX_SY_S15_S19_S1B_T6_T7_T9_mT8_S1D_bDpT10_ENKUlT_T0_E_clISt17integral_constantIbLb0EES1Q_EEDaS1L_S1M_EUlS1L_E_NS1_11comp_targetILNS1_3genE9ELNS1_11target_archE1100ELNS1_3gpuE3ELNS1_3repE0EEENS1_30default_config_static_selectorELNS0_4arch9wavefront6targetE1EEEvSZ_,"axG",@progbits,_ZN7rocprim17ROCPRIM_400000_NS6detail17trampoline_kernelINS0_13select_configILj256ELj13ELNS0_17block_load_methodE3ELS4_3ELS4_3ELNS0_20block_scan_algorithmE0ELj4294967295EEENS1_25partition_config_selectorILNS1_17partition_subalgoE3EjNS0_10empty_typeEbEEZZNS1_14partition_implILS8_3ELb0ES6_jNS0_17counting_iteratorIjlEEPS9_SE_NS0_5tupleIJPjSE_EEENSF_IJSE_SE_EEES9_SG_JZNS1_25segmented_radix_sort_implINS0_14default_configELb0EPK6__halfPSL_PKlPlN2at6native12_GLOBAL__N_18offset_tEEE10hipError_tPvRmT1_PNSt15iterator_traitsISZ_E10value_typeET2_T3_PNS10_IS15_E10value_typeET4_jRbjT5_S1B_jjP12ihipStream_tbEUljE_EEESW_SX_SY_S15_S19_S1B_T6_T7_T9_mT8_S1D_bDpT10_ENKUlT_T0_E_clISt17integral_constantIbLb0EES1Q_EEDaS1L_S1M_EUlS1L_E_NS1_11comp_targetILNS1_3genE9ELNS1_11target_archE1100ELNS1_3gpuE3ELNS1_3repE0EEENS1_30default_config_static_selectorELNS0_4arch9wavefront6targetE1EEEvSZ_,comdat
	.globl	_ZN7rocprim17ROCPRIM_400000_NS6detail17trampoline_kernelINS0_13select_configILj256ELj13ELNS0_17block_load_methodE3ELS4_3ELS4_3ELNS0_20block_scan_algorithmE0ELj4294967295EEENS1_25partition_config_selectorILNS1_17partition_subalgoE3EjNS0_10empty_typeEbEEZZNS1_14partition_implILS8_3ELb0ES6_jNS0_17counting_iteratorIjlEEPS9_SE_NS0_5tupleIJPjSE_EEENSF_IJSE_SE_EEES9_SG_JZNS1_25segmented_radix_sort_implINS0_14default_configELb0EPK6__halfPSL_PKlPlN2at6native12_GLOBAL__N_18offset_tEEE10hipError_tPvRmT1_PNSt15iterator_traitsISZ_E10value_typeET2_T3_PNS10_IS15_E10value_typeET4_jRbjT5_S1B_jjP12ihipStream_tbEUljE_EEESW_SX_SY_S15_S19_S1B_T6_T7_T9_mT8_S1D_bDpT10_ENKUlT_T0_E_clISt17integral_constantIbLb0EES1Q_EEDaS1L_S1M_EUlS1L_E_NS1_11comp_targetILNS1_3genE9ELNS1_11target_archE1100ELNS1_3gpuE3ELNS1_3repE0EEENS1_30default_config_static_selectorELNS0_4arch9wavefront6targetE1EEEvSZ_ ; -- Begin function _ZN7rocprim17ROCPRIM_400000_NS6detail17trampoline_kernelINS0_13select_configILj256ELj13ELNS0_17block_load_methodE3ELS4_3ELS4_3ELNS0_20block_scan_algorithmE0ELj4294967295EEENS1_25partition_config_selectorILNS1_17partition_subalgoE3EjNS0_10empty_typeEbEEZZNS1_14partition_implILS8_3ELb0ES6_jNS0_17counting_iteratorIjlEEPS9_SE_NS0_5tupleIJPjSE_EEENSF_IJSE_SE_EEES9_SG_JZNS1_25segmented_radix_sort_implINS0_14default_configELb0EPK6__halfPSL_PKlPlN2at6native12_GLOBAL__N_18offset_tEEE10hipError_tPvRmT1_PNSt15iterator_traitsISZ_E10value_typeET2_T3_PNS10_IS15_E10value_typeET4_jRbjT5_S1B_jjP12ihipStream_tbEUljE_EEESW_SX_SY_S15_S19_S1B_T6_T7_T9_mT8_S1D_bDpT10_ENKUlT_T0_E_clISt17integral_constantIbLb0EES1Q_EEDaS1L_S1M_EUlS1L_E_NS1_11comp_targetILNS1_3genE9ELNS1_11target_archE1100ELNS1_3gpuE3ELNS1_3repE0EEENS1_30default_config_static_selectorELNS0_4arch9wavefront6targetE1EEEvSZ_
	.p2align	8
	.type	_ZN7rocprim17ROCPRIM_400000_NS6detail17trampoline_kernelINS0_13select_configILj256ELj13ELNS0_17block_load_methodE3ELS4_3ELS4_3ELNS0_20block_scan_algorithmE0ELj4294967295EEENS1_25partition_config_selectorILNS1_17partition_subalgoE3EjNS0_10empty_typeEbEEZZNS1_14partition_implILS8_3ELb0ES6_jNS0_17counting_iteratorIjlEEPS9_SE_NS0_5tupleIJPjSE_EEENSF_IJSE_SE_EEES9_SG_JZNS1_25segmented_radix_sort_implINS0_14default_configELb0EPK6__halfPSL_PKlPlN2at6native12_GLOBAL__N_18offset_tEEE10hipError_tPvRmT1_PNSt15iterator_traitsISZ_E10value_typeET2_T3_PNS10_IS15_E10value_typeET4_jRbjT5_S1B_jjP12ihipStream_tbEUljE_EEESW_SX_SY_S15_S19_S1B_T6_T7_T9_mT8_S1D_bDpT10_ENKUlT_T0_E_clISt17integral_constantIbLb0EES1Q_EEDaS1L_S1M_EUlS1L_E_NS1_11comp_targetILNS1_3genE9ELNS1_11target_archE1100ELNS1_3gpuE3ELNS1_3repE0EEENS1_30default_config_static_selectorELNS0_4arch9wavefront6targetE1EEEvSZ_,@function
_ZN7rocprim17ROCPRIM_400000_NS6detail17trampoline_kernelINS0_13select_configILj256ELj13ELNS0_17block_load_methodE3ELS4_3ELS4_3ELNS0_20block_scan_algorithmE0ELj4294967295EEENS1_25partition_config_selectorILNS1_17partition_subalgoE3EjNS0_10empty_typeEbEEZZNS1_14partition_implILS8_3ELb0ES6_jNS0_17counting_iteratorIjlEEPS9_SE_NS0_5tupleIJPjSE_EEENSF_IJSE_SE_EEES9_SG_JZNS1_25segmented_radix_sort_implINS0_14default_configELb0EPK6__halfPSL_PKlPlN2at6native12_GLOBAL__N_18offset_tEEE10hipError_tPvRmT1_PNSt15iterator_traitsISZ_E10value_typeET2_T3_PNS10_IS15_E10value_typeET4_jRbjT5_S1B_jjP12ihipStream_tbEUljE_EEESW_SX_SY_S15_S19_S1B_T6_T7_T9_mT8_S1D_bDpT10_ENKUlT_T0_E_clISt17integral_constantIbLb0EES1Q_EEDaS1L_S1M_EUlS1L_E_NS1_11comp_targetILNS1_3genE9ELNS1_11target_archE1100ELNS1_3gpuE3ELNS1_3repE0EEENS1_30default_config_static_selectorELNS0_4arch9wavefront6targetE1EEEvSZ_: ; @_ZN7rocprim17ROCPRIM_400000_NS6detail17trampoline_kernelINS0_13select_configILj256ELj13ELNS0_17block_load_methodE3ELS4_3ELS4_3ELNS0_20block_scan_algorithmE0ELj4294967295EEENS1_25partition_config_selectorILNS1_17partition_subalgoE3EjNS0_10empty_typeEbEEZZNS1_14partition_implILS8_3ELb0ES6_jNS0_17counting_iteratorIjlEEPS9_SE_NS0_5tupleIJPjSE_EEENSF_IJSE_SE_EEES9_SG_JZNS1_25segmented_radix_sort_implINS0_14default_configELb0EPK6__halfPSL_PKlPlN2at6native12_GLOBAL__N_18offset_tEEE10hipError_tPvRmT1_PNSt15iterator_traitsISZ_E10value_typeET2_T3_PNS10_IS15_E10value_typeET4_jRbjT5_S1B_jjP12ihipStream_tbEUljE_EEESW_SX_SY_S15_S19_S1B_T6_T7_T9_mT8_S1D_bDpT10_ENKUlT_T0_E_clISt17integral_constantIbLb0EES1Q_EEDaS1L_S1M_EUlS1L_E_NS1_11comp_targetILNS1_3genE9ELNS1_11target_archE1100ELNS1_3gpuE3ELNS1_3repE0EEENS1_30default_config_static_selectorELNS0_4arch9wavefront6targetE1EEEvSZ_
; %bb.0:
	.section	.rodata,"a",@progbits
	.p2align	6, 0x0
	.amdhsa_kernel _ZN7rocprim17ROCPRIM_400000_NS6detail17trampoline_kernelINS0_13select_configILj256ELj13ELNS0_17block_load_methodE3ELS4_3ELS4_3ELNS0_20block_scan_algorithmE0ELj4294967295EEENS1_25partition_config_selectorILNS1_17partition_subalgoE3EjNS0_10empty_typeEbEEZZNS1_14partition_implILS8_3ELb0ES6_jNS0_17counting_iteratorIjlEEPS9_SE_NS0_5tupleIJPjSE_EEENSF_IJSE_SE_EEES9_SG_JZNS1_25segmented_radix_sort_implINS0_14default_configELb0EPK6__halfPSL_PKlPlN2at6native12_GLOBAL__N_18offset_tEEE10hipError_tPvRmT1_PNSt15iterator_traitsISZ_E10value_typeET2_T3_PNS10_IS15_E10value_typeET4_jRbjT5_S1B_jjP12ihipStream_tbEUljE_EEESW_SX_SY_S15_S19_S1B_T6_T7_T9_mT8_S1D_bDpT10_ENKUlT_T0_E_clISt17integral_constantIbLb0EES1Q_EEDaS1L_S1M_EUlS1L_E_NS1_11comp_targetILNS1_3genE9ELNS1_11target_archE1100ELNS1_3gpuE3ELNS1_3repE0EEENS1_30default_config_static_selectorELNS0_4arch9wavefront6targetE1EEEvSZ_
		.amdhsa_group_segment_fixed_size 0
		.amdhsa_private_segment_fixed_size 0
		.amdhsa_kernarg_size 144
		.amdhsa_user_sgpr_count 6
		.amdhsa_user_sgpr_private_segment_buffer 1
		.amdhsa_user_sgpr_dispatch_ptr 0
		.amdhsa_user_sgpr_queue_ptr 0
		.amdhsa_user_sgpr_kernarg_segment_ptr 1
		.amdhsa_user_sgpr_dispatch_id 0
		.amdhsa_user_sgpr_flat_scratch_init 0
		.amdhsa_user_sgpr_kernarg_preload_length 0
		.amdhsa_user_sgpr_kernarg_preload_offset 0
		.amdhsa_user_sgpr_private_segment_size 0
		.amdhsa_uses_dynamic_stack 0
		.amdhsa_system_sgpr_private_segment_wavefront_offset 0
		.amdhsa_system_sgpr_workgroup_id_x 1
		.amdhsa_system_sgpr_workgroup_id_y 0
		.amdhsa_system_sgpr_workgroup_id_z 0
		.amdhsa_system_sgpr_workgroup_info 0
		.amdhsa_system_vgpr_workitem_id 0
		.amdhsa_next_free_vgpr 1
		.amdhsa_next_free_sgpr 0
		.amdhsa_accum_offset 4
		.amdhsa_reserve_vcc 0
		.amdhsa_reserve_flat_scratch 0
		.amdhsa_float_round_mode_32 0
		.amdhsa_float_round_mode_16_64 0
		.amdhsa_float_denorm_mode_32 3
		.amdhsa_float_denorm_mode_16_64 3
		.amdhsa_dx10_clamp 1
		.amdhsa_ieee_mode 1
		.amdhsa_fp16_overflow 0
		.amdhsa_tg_split 0
		.amdhsa_exception_fp_ieee_invalid_op 0
		.amdhsa_exception_fp_denorm_src 0
		.amdhsa_exception_fp_ieee_div_zero 0
		.amdhsa_exception_fp_ieee_overflow 0
		.amdhsa_exception_fp_ieee_underflow 0
		.amdhsa_exception_fp_ieee_inexact 0
		.amdhsa_exception_int_div_zero 0
	.end_amdhsa_kernel
	.section	.text._ZN7rocprim17ROCPRIM_400000_NS6detail17trampoline_kernelINS0_13select_configILj256ELj13ELNS0_17block_load_methodE3ELS4_3ELS4_3ELNS0_20block_scan_algorithmE0ELj4294967295EEENS1_25partition_config_selectorILNS1_17partition_subalgoE3EjNS0_10empty_typeEbEEZZNS1_14partition_implILS8_3ELb0ES6_jNS0_17counting_iteratorIjlEEPS9_SE_NS0_5tupleIJPjSE_EEENSF_IJSE_SE_EEES9_SG_JZNS1_25segmented_radix_sort_implINS0_14default_configELb0EPK6__halfPSL_PKlPlN2at6native12_GLOBAL__N_18offset_tEEE10hipError_tPvRmT1_PNSt15iterator_traitsISZ_E10value_typeET2_T3_PNS10_IS15_E10value_typeET4_jRbjT5_S1B_jjP12ihipStream_tbEUljE_EEESW_SX_SY_S15_S19_S1B_T6_T7_T9_mT8_S1D_bDpT10_ENKUlT_T0_E_clISt17integral_constantIbLb0EES1Q_EEDaS1L_S1M_EUlS1L_E_NS1_11comp_targetILNS1_3genE9ELNS1_11target_archE1100ELNS1_3gpuE3ELNS1_3repE0EEENS1_30default_config_static_selectorELNS0_4arch9wavefront6targetE1EEEvSZ_,"axG",@progbits,_ZN7rocprim17ROCPRIM_400000_NS6detail17trampoline_kernelINS0_13select_configILj256ELj13ELNS0_17block_load_methodE3ELS4_3ELS4_3ELNS0_20block_scan_algorithmE0ELj4294967295EEENS1_25partition_config_selectorILNS1_17partition_subalgoE3EjNS0_10empty_typeEbEEZZNS1_14partition_implILS8_3ELb0ES6_jNS0_17counting_iteratorIjlEEPS9_SE_NS0_5tupleIJPjSE_EEENSF_IJSE_SE_EEES9_SG_JZNS1_25segmented_radix_sort_implINS0_14default_configELb0EPK6__halfPSL_PKlPlN2at6native12_GLOBAL__N_18offset_tEEE10hipError_tPvRmT1_PNSt15iterator_traitsISZ_E10value_typeET2_T3_PNS10_IS15_E10value_typeET4_jRbjT5_S1B_jjP12ihipStream_tbEUljE_EEESW_SX_SY_S15_S19_S1B_T6_T7_T9_mT8_S1D_bDpT10_ENKUlT_T0_E_clISt17integral_constantIbLb0EES1Q_EEDaS1L_S1M_EUlS1L_E_NS1_11comp_targetILNS1_3genE9ELNS1_11target_archE1100ELNS1_3gpuE3ELNS1_3repE0EEENS1_30default_config_static_selectorELNS0_4arch9wavefront6targetE1EEEvSZ_,comdat
.Lfunc_end1814:
	.size	_ZN7rocprim17ROCPRIM_400000_NS6detail17trampoline_kernelINS0_13select_configILj256ELj13ELNS0_17block_load_methodE3ELS4_3ELS4_3ELNS0_20block_scan_algorithmE0ELj4294967295EEENS1_25partition_config_selectorILNS1_17partition_subalgoE3EjNS0_10empty_typeEbEEZZNS1_14partition_implILS8_3ELb0ES6_jNS0_17counting_iteratorIjlEEPS9_SE_NS0_5tupleIJPjSE_EEENSF_IJSE_SE_EEES9_SG_JZNS1_25segmented_radix_sort_implINS0_14default_configELb0EPK6__halfPSL_PKlPlN2at6native12_GLOBAL__N_18offset_tEEE10hipError_tPvRmT1_PNSt15iterator_traitsISZ_E10value_typeET2_T3_PNS10_IS15_E10value_typeET4_jRbjT5_S1B_jjP12ihipStream_tbEUljE_EEESW_SX_SY_S15_S19_S1B_T6_T7_T9_mT8_S1D_bDpT10_ENKUlT_T0_E_clISt17integral_constantIbLb0EES1Q_EEDaS1L_S1M_EUlS1L_E_NS1_11comp_targetILNS1_3genE9ELNS1_11target_archE1100ELNS1_3gpuE3ELNS1_3repE0EEENS1_30default_config_static_selectorELNS0_4arch9wavefront6targetE1EEEvSZ_, .Lfunc_end1814-_ZN7rocprim17ROCPRIM_400000_NS6detail17trampoline_kernelINS0_13select_configILj256ELj13ELNS0_17block_load_methodE3ELS4_3ELS4_3ELNS0_20block_scan_algorithmE0ELj4294967295EEENS1_25partition_config_selectorILNS1_17partition_subalgoE3EjNS0_10empty_typeEbEEZZNS1_14partition_implILS8_3ELb0ES6_jNS0_17counting_iteratorIjlEEPS9_SE_NS0_5tupleIJPjSE_EEENSF_IJSE_SE_EEES9_SG_JZNS1_25segmented_radix_sort_implINS0_14default_configELb0EPK6__halfPSL_PKlPlN2at6native12_GLOBAL__N_18offset_tEEE10hipError_tPvRmT1_PNSt15iterator_traitsISZ_E10value_typeET2_T3_PNS10_IS15_E10value_typeET4_jRbjT5_S1B_jjP12ihipStream_tbEUljE_EEESW_SX_SY_S15_S19_S1B_T6_T7_T9_mT8_S1D_bDpT10_ENKUlT_T0_E_clISt17integral_constantIbLb0EES1Q_EEDaS1L_S1M_EUlS1L_E_NS1_11comp_targetILNS1_3genE9ELNS1_11target_archE1100ELNS1_3gpuE3ELNS1_3repE0EEENS1_30default_config_static_selectorELNS0_4arch9wavefront6targetE1EEEvSZ_
                                        ; -- End function
	.section	.AMDGPU.csdata,"",@progbits
; Kernel info:
; codeLenInByte = 0
; NumSgprs: 4
; NumVgprs: 0
; NumAgprs: 0
; TotalNumVgprs: 0
; ScratchSize: 0
; MemoryBound: 0
; FloatMode: 240
; IeeeMode: 1
; LDSByteSize: 0 bytes/workgroup (compile time only)
; SGPRBlocks: 0
; VGPRBlocks: 0
; NumSGPRsForWavesPerEU: 4
; NumVGPRsForWavesPerEU: 1
; AccumOffset: 4
; Occupancy: 8
; WaveLimiterHint : 0
; COMPUTE_PGM_RSRC2:SCRATCH_EN: 0
; COMPUTE_PGM_RSRC2:USER_SGPR: 6
; COMPUTE_PGM_RSRC2:TRAP_HANDLER: 0
; COMPUTE_PGM_RSRC2:TGID_X_EN: 1
; COMPUTE_PGM_RSRC2:TGID_Y_EN: 0
; COMPUTE_PGM_RSRC2:TGID_Z_EN: 0
; COMPUTE_PGM_RSRC2:TIDIG_COMP_CNT: 0
; COMPUTE_PGM_RSRC3_GFX90A:ACCUM_OFFSET: 0
; COMPUTE_PGM_RSRC3_GFX90A:TG_SPLIT: 0
	.section	.text._ZN7rocprim17ROCPRIM_400000_NS6detail17trampoline_kernelINS0_13select_configILj256ELj13ELNS0_17block_load_methodE3ELS4_3ELS4_3ELNS0_20block_scan_algorithmE0ELj4294967295EEENS1_25partition_config_selectorILNS1_17partition_subalgoE3EjNS0_10empty_typeEbEEZZNS1_14partition_implILS8_3ELb0ES6_jNS0_17counting_iteratorIjlEEPS9_SE_NS0_5tupleIJPjSE_EEENSF_IJSE_SE_EEES9_SG_JZNS1_25segmented_radix_sort_implINS0_14default_configELb0EPK6__halfPSL_PKlPlN2at6native12_GLOBAL__N_18offset_tEEE10hipError_tPvRmT1_PNSt15iterator_traitsISZ_E10value_typeET2_T3_PNS10_IS15_E10value_typeET4_jRbjT5_S1B_jjP12ihipStream_tbEUljE_EEESW_SX_SY_S15_S19_S1B_T6_T7_T9_mT8_S1D_bDpT10_ENKUlT_T0_E_clISt17integral_constantIbLb0EES1Q_EEDaS1L_S1M_EUlS1L_E_NS1_11comp_targetILNS1_3genE8ELNS1_11target_archE1030ELNS1_3gpuE2ELNS1_3repE0EEENS1_30default_config_static_selectorELNS0_4arch9wavefront6targetE1EEEvSZ_,"axG",@progbits,_ZN7rocprim17ROCPRIM_400000_NS6detail17trampoline_kernelINS0_13select_configILj256ELj13ELNS0_17block_load_methodE3ELS4_3ELS4_3ELNS0_20block_scan_algorithmE0ELj4294967295EEENS1_25partition_config_selectorILNS1_17partition_subalgoE3EjNS0_10empty_typeEbEEZZNS1_14partition_implILS8_3ELb0ES6_jNS0_17counting_iteratorIjlEEPS9_SE_NS0_5tupleIJPjSE_EEENSF_IJSE_SE_EEES9_SG_JZNS1_25segmented_radix_sort_implINS0_14default_configELb0EPK6__halfPSL_PKlPlN2at6native12_GLOBAL__N_18offset_tEEE10hipError_tPvRmT1_PNSt15iterator_traitsISZ_E10value_typeET2_T3_PNS10_IS15_E10value_typeET4_jRbjT5_S1B_jjP12ihipStream_tbEUljE_EEESW_SX_SY_S15_S19_S1B_T6_T7_T9_mT8_S1D_bDpT10_ENKUlT_T0_E_clISt17integral_constantIbLb0EES1Q_EEDaS1L_S1M_EUlS1L_E_NS1_11comp_targetILNS1_3genE8ELNS1_11target_archE1030ELNS1_3gpuE2ELNS1_3repE0EEENS1_30default_config_static_selectorELNS0_4arch9wavefront6targetE1EEEvSZ_,comdat
	.globl	_ZN7rocprim17ROCPRIM_400000_NS6detail17trampoline_kernelINS0_13select_configILj256ELj13ELNS0_17block_load_methodE3ELS4_3ELS4_3ELNS0_20block_scan_algorithmE0ELj4294967295EEENS1_25partition_config_selectorILNS1_17partition_subalgoE3EjNS0_10empty_typeEbEEZZNS1_14partition_implILS8_3ELb0ES6_jNS0_17counting_iteratorIjlEEPS9_SE_NS0_5tupleIJPjSE_EEENSF_IJSE_SE_EEES9_SG_JZNS1_25segmented_radix_sort_implINS0_14default_configELb0EPK6__halfPSL_PKlPlN2at6native12_GLOBAL__N_18offset_tEEE10hipError_tPvRmT1_PNSt15iterator_traitsISZ_E10value_typeET2_T3_PNS10_IS15_E10value_typeET4_jRbjT5_S1B_jjP12ihipStream_tbEUljE_EEESW_SX_SY_S15_S19_S1B_T6_T7_T9_mT8_S1D_bDpT10_ENKUlT_T0_E_clISt17integral_constantIbLb0EES1Q_EEDaS1L_S1M_EUlS1L_E_NS1_11comp_targetILNS1_3genE8ELNS1_11target_archE1030ELNS1_3gpuE2ELNS1_3repE0EEENS1_30default_config_static_selectorELNS0_4arch9wavefront6targetE1EEEvSZ_ ; -- Begin function _ZN7rocprim17ROCPRIM_400000_NS6detail17trampoline_kernelINS0_13select_configILj256ELj13ELNS0_17block_load_methodE3ELS4_3ELS4_3ELNS0_20block_scan_algorithmE0ELj4294967295EEENS1_25partition_config_selectorILNS1_17partition_subalgoE3EjNS0_10empty_typeEbEEZZNS1_14partition_implILS8_3ELb0ES6_jNS0_17counting_iteratorIjlEEPS9_SE_NS0_5tupleIJPjSE_EEENSF_IJSE_SE_EEES9_SG_JZNS1_25segmented_radix_sort_implINS0_14default_configELb0EPK6__halfPSL_PKlPlN2at6native12_GLOBAL__N_18offset_tEEE10hipError_tPvRmT1_PNSt15iterator_traitsISZ_E10value_typeET2_T3_PNS10_IS15_E10value_typeET4_jRbjT5_S1B_jjP12ihipStream_tbEUljE_EEESW_SX_SY_S15_S19_S1B_T6_T7_T9_mT8_S1D_bDpT10_ENKUlT_T0_E_clISt17integral_constantIbLb0EES1Q_EEDaS1L_S1M_EUlS1L_E_NS1_11comp_targetILNS1_3genE8ELNS1_11target_archE1030ELNS1_3gpuE2ELNS1_3repE0EEENS1_30default_config_static_selectorELNS0_4arch9wavefront6targetE1EEEvSZ_
	.p2align	8
	.type	_ZN7rocprim17ROCPRIM_400000_NS6detail17trampoline_kernelINS0_13select_configILj256ELj13ELNS0_17block_load_methodE3ELS4_3ELS4_3ELNS0_20block_scan_algorithmE0ELj4294967295EEENS1_25partition_config_selectorILNS1_17partition_subalgoE3EjNS0_10empty_typeEbEEZZNS1_14partition_implILS8_3ELb0ES6_jNS0_17counting_iteratorIjlEEPS9_SE_NS0_5tupleIJPjSE_EEENSF_IJSE_SE_EEES9_SG_JZNS1_25segmented_radix_sort_implINS0_14default_configELb0EPK6__halfPSL_PKlPlN2at6native12_GLOBAL__N_18offset_tEEE10hipError_tPvRmT1_PNSt15iterator_traitsISZ_E10value_typeET2_T3_PNS10_IS15_E10value_typeET4_jRbjT5_S1B_jjP12ihipStream_tbEUljE_EEESW_SX_SY_S15_S19_S1B_T6_T7_T9_mT8_S1D_bDpT10_ENKUlT_T0_E_clISt17integral_constantIbLb0EES1Q_EEDaS1L_S1M_EUlS1L_E_NS1_11comp_targetILNS1_3genE8ELNS1_11target_archE1030ELNS1_3gpuE2ELNS1_3repE0EEENS1_30default_config_static_selectorELNS0_4arch9wavefront6targetE1EEEvSZ_,@function
_ZN7rocprim17ROCPRIM_400000_NS6detail17trampoline_kernelINS0_13select_configILj256ELj13ELNS0_17block_load_methodE3ELS4_3ELS4_3ELNS0_20block_scan_algorithmE0ELj4294967295EEENS1_25partition_config_selectorILNS1_17partition_subalgoE3EjNS0_10empty_typeEbEEZZNS1_14partition_implILS8_3ELb0ES6_jNS0_17counting_iteratorIjlEEPS9_SE_NS0_5tupleIJPjSE_EEENSF_IJSE_SE_EEES9_SG_JZNS1_25segmented_radix_sort_implINS0_14default_configELb0EPK6__halfPSL_PKlPlN2at6native12_GLOBAL__N_18offset_tEEE10hipError_tPvRmT1_PNSt15iterator_traitsISZ_E10value_typeET2_T3_PNS10_IS15_E10value_typeET4_jRbjT5_S1B_jjP12ihipStream_tbEUljE_EEESW_SX_SY_S15_S19_S1B_T6_T7_T9_mT8_S1D_bDpT10_ENKUlT_T0_E_clISt17integral_constantIbLb0EES1Q_EEDaS1L_S1M_EUlS1L_E_NS1_11comp_targetILNS1_3genE8ELNS1_11target_archE1030ELNS1_3gpuE2ELNS1_3repE0EEENS1_30default_config_static_selectorELNS0_4arch9wavefront6targetE1EEEvSZ_: ; @_ZN7rocprim17ROCPRIM_400000_NS6detail17trampoline_kernelINS0_13select_configILj256ELj13ELNS0_17block_load_methodE3ELS4_3ELS4_3ELNS0_20block_scan_algorithmE0ELj4294967295EEENS1_25partition_config_selectorILNS1_17partition_subalgoE3EjNS0_10empty_typeEbEEZZNS1_14partition_implILS8_3ELb0ES6_jNS0_17counting_iteratorIjlEEPS9_SE_NS0_5tupleIJPjSE_EEENSF_IJSE_SE_EEES9_SG_JZNS1_25segmented_radix_sort_implINS0_14default_configELb0EPK6__halfPSL_PKlPlN2at6native12_GLOBAL__N_18offset_tEEE10hipError_tPvRmT1_PNSt15iterator_traitsISZ_E10value_typeET2_T3_PNS10_IS15_E10value_typeET4_jRbjT5_S1B_jjP12ihipStream_tbEUljE_EEESW_SX_SY_S15_S19_S1B_T6_T7_T9_mT8_S1D_bDpT10_ENKUlT_T0_E_clISt17integral_constantIbLb0EES1Q_EEDaS1L_S1M_EUlS1L_E_NS1_11comp_targetILNS1_3genE8ELNS1_11target_archE1030ELNS1_3gpuE2ELNS1_3repE0EEENS1_30default_config_static_selectorELNS0_4arch9wavefront6targetE1EEEvSZ_
; %bb.0:
	.section	.rodata,"a",@progbits
	.p2align	6, 0x0
	.amdhsa_kernel _ZN7rocprim17ROCPRIM_400000_NS6detail17trampoline_kernelINS0_13select_configILj256ELj13ELNS0_17block_load_methodE3ELS4_3ELS4_3ELNS0_20block_scan_algorithmE0ELj4294967295EEENS1_25partition_config_selectorILNS1_17partition_subalgoE3EjNS0_10empty_typeEbEEZZNS1_14partition_implILS8_3ELb0ES6_jNS0_17counting_iteratorIjlEEPS9_SE_NS0_5tupleIJPjSE_EEENSF_IJSE_SE_EEES9_SG_JZNS1_25segmented_radix_sort_implINS0_14default_configELb0EPK6__halfPSL_PKlPlN2at6native12_GLOBAL__N_18offset_tEEE10hipError_tPvRmT1_PNSt15iterator_traitsISZ_E10value_typeET2_T3_PNS10_IS15_E10value_typeET4_jRbjT5_S1B_jjP12ihipStream_tbEUljE_EEESW_SX_SY_S15_S19_S1B_T6_T7_T9_mT8_S1D_bDpT10_ENKUlT_T0_E_clISt17integral_constantIbLb0EES1Q_EEDaS1L_S1M_EUlS1L_E_NS1_11comp_targetILNS1_3genE8ELNS1_11target_archE1030ELNS1_3gpuE2ELNS1_3repE0EEENS1_30default_config_static_selectorELNS0_4arch9wavefront6targetE1EEEvSZ_
		.amdhsa_group_segment_fixed_size 0
		.amdhsa_private_segment_fixed_size 0
		.amdhsa_kernarg_size 144
		.amdhsa_user_sgpr_count 6
		.amdhsa_user_sgpr_private_segment_buffer 1
		.amdhsa_user_sgpr_dispatch_ptr 0
		.amdhsa_user_sgpr_queue_ptr 0
		.amdhsa_user_sgpr_kernarg_segment_ptr 1
		.amdhsa_user_sgpr_dispatch_id 0
		.amdhsa_user_sgpr_flat_scratch_init 0
		.amdhsa_user_sgpr_kernarg_preload_length 0
		.amdhsa_user_sgpr_kernarg_preload_offset 0
		.amdhsa_user_sgpr_private_segment_size 0
		.amdhsa_uses_dynamic_stack 0
		.amdhsa_system_sgpr_private_segment_wavefront_offset 0
		.amdhsa_system_sgpr_workgroup_id_x 1
		.amdhsa_system_sgpr_workgroup_id_y 0
		.amdhsa_system_sgpr_workgroup_id_z 0
		.amdhsa_system_sgpr_workgroup_info 0
		.amdhsa_system_vgpr_workitem_id 0
		.amdhsa_next_free_vgpr 1
		.amdhsa_next_free_sgpr 0
		.amdhsa_accum_offset 4
		.amdhsa_reserve_vcc 0
		.amdhsa_reserve_flat_scratch 0
		.amdhsa_float_round_mode_32 0
		.amdhsa_float_round_mode_16_64 0
		.amdhsa_float_denorm_mode_32 3
		.amdhsa_float_denorm_mode_16_64 3
		.amdhsa_dx10_clamp 1
		.amdhsa_ieee_mode 1
		.amdhsa_fp16_overflow 0
		.amdhsa_tg_split 0
		.amdhsa_exception_fp_ieee_invalid_op 0
		.amdhsa_exception_fp_denorm_src 0
		.amdhsa_exception_fp_ieee_div_zero 0
		.amdhsa_exception_fp_ieee_overflow 0
		.amdhsa_exception_fp_ieee_underflow 0
		.amdhsa_exception_fp_ieee_inexact 0
		.amdhsa_exception_int_div_zero 0
	.end_amdhsa_kernel
	.section	.text._ZN7rocprim17ROCPRIM_400000_NS6detail17trampoline_kernelINS0_13select_configILj256ELj13ELNS0_17block_load_methodE3ELS4_3ELS4_3ELNS0_20block_scan_algorithmE0ELj4294967295EEENS1_25partition_config_selectorILNS1_17partition_subalgoE3EjNS0_10empty_typeEbEEZZNS1_14partition_implILS8_3ELb0ES6_jNS0_17counting_iteratorIjlEEPS9_SE_NS0_5tupleIJPjSE_EEENSF_IJSE_SE_EEES9_SG_JZNS1_25segmented_radix_sort_implINS0_14default_configELb0EPK6__halfPSL_PKlPlN2at6native12_GLOBAL__N_18offset_tEEE10hipError_tPvRmT1_PNSt15iterator_traitsISZ_E10value_typeET2_T3_PNS10_IS15_E10value_typeET4_jRbjT5_S1B_jjP12ihipStream_tbEUljE_EEESW_SX_SY_S15_S19_S1B_T6_T7_T9_mT8_S1D_bDpT10_ENKUlT_T0_E_clISt17integral_constantIbLb0EES1Q_EEDaS1L_S1M_EUlS1L_E_NS1_11comp_targetILNS1_3genE8ELNS1_11target_archE1030ELNS1_3gpuE2ELNS1_3repE0EEENS1_30default_config_static_selectorELNS0_4arch9wavefront6targetE1EEEvSZ_,"axG",@progbits,_ZN7rocprim17ROCPRIM_400000_NS6detail17trampoline_kernelINS0_13select_configILj256ELj13ELNS0_17block_load_methodE3ELS4_3ELS4_3ELNS0_20block_scan_algorithmE0ELj4294967295EEENS1_25partition_config_selectorILNS1_17partition_subalgoE3EjNS0_10empty_typeEbEEZZNS1_14partition_implILS8_3ELb0ES6_jNS0_17counting_iteratorIjlEEPS9_SE_NS0_5tupleIJPjSE_EEENSF_IJSE_SE_EEES9_SG_JZNS1_25segmented_radix_sort_implINS0_14default_configELb0EPK6__halfPSL_PKlPlN2at6native12_GLOBAL__N_18offset_tEEE10hipError_tPvRmT1_PNSt15iterator_traitsISZ_E10value_typeET2_T3_PNS10_IS15_E10value_typeET4_jRbjT5_S1B_jjP12ihipStream_tbEUljE_EEESW_SX_SY_S15_S19_S1B_T6_T7_T9_mT8_S1D_bDpT10_ENKUlT_T0_E_clISt17integral_constantIbLb0EES1Q_EEDaS1L_S1M_EUlS1L_E_NS1_11comp_targetILNS1_3genE8ELNS1_11target_archE1030ELNS1_3gpuE2ELNS1_3repE0EEENS1_30default_config_static_selectorELNS0_4arch9wavefront6targetE1EEEvSZ_,comdat
.Lfunc_end1815:
	.size	_ZN7rocprim17ROCPRIM_400000_NS6detail17trampoline_kernelINS0_13select_configILj256ELj13ELNS0_17block_load_methodE3ELS4_3ELS4_3ELNS0_20block_scan_algorithmE0ELj4294967295EEENS1_25partition_config_selectorILNS1_17partition_subalgoE3EjNS0_10empty_typeEbEEZZNS1_14partition_implILS8_3ELb0ES6_jNS0_17counting_iteratorIjlEEPS9_SE_NS0_5tupleIJPjSE_EEENSF_IJSE_SE_EEES9_SG_JZNS1_25segmented_radix_sort_implINS0_14default_configELb0EPK6__halfPSL_PKlPlN2at6native12_GLOBAL__N_18offset_tEEE10hipError_tPvRmT1_PNSt15iterator_traitsISZ_E10value_typeET2_T3_PNS10_IS15_E10value_typeET4_jRbjT5_S1B_jjP12ihipStream_tbEUljE_EEESW_SX_SY_S15_S19_S1B_T6_T7_T9_mT8_S1D_bDpT10_ENKUlT_T0_E_clISt17integral_constantIbLb0EES1Q_EEDaS1L_S1M_EUlS1L_E_NS1_11comp_targetILNS1_3genE8ELNS1_11target_archE1030ELNS1_3gpuE2ELNS1_3repE0EEENS1_30default_config_static_selectorELNS0_4arch9wavefront6targetE1EEEvSZ_, .Lfunc_end1815-_ZN7rocprim17ROCPRIM_400000_NS6detail17trampoline_kernelINS0_13select_configILj256ELj13ELNS0_17block_load_methodE3ELS4_3ELS4_3ELNS0_20block_scan_algorithmE0ELj4294967295EEENS1_25partition_config_selectorILNS1_17partition_subalgoE3EjNS0_10empty_typeEbEEZZNS1_14partition_implILS8_3ELb0ES6_jNS0_17counting_iteratorIjlEEPS9_SE_NS0_5tupleIJPjSE_EEENSF_IJSE_SE_EEES9_SG_JZNS1_25segmented_radix_sort_implINS0_14default_configELb0EPK6__halfPSL_PKlPlN2at6native12_GLOBAL__N_18offset_tEEE10hipError_tPvRmT1_PNSt15iterator_traitsISZ_E10value_typeET2_T3_PNS10_IS15_E10value_typeET4_jRbjT5_S1B_jjP12ihipStream_tbEUljE_EEESW_SX_SY_S15_S19_S1B_T6_T7_T9_mT8_S1D_bDpT10_ENKUlT_T0_E_clISt17integral_constantIbLb0EES1Q_EEDaS1L_S1M_EUlS1L_E_NS1_11comp_targetILNS1_3genE8ELNS1_11target_archE1030ELNS1_3gpuE2ELNS1_3repE0EEENS1_30default_config_static_selectorELNS0_4arch9wavefront6targetE1EEEvSZ_
                                        ; -- End function
	.section	.AMDGPU.csdata,"",@progbits
; Kernel info:
; codeLenInByte = 0
; NumSgprs: 4
; NumVgprs: 0
; NumAgprs: 0
; TotalNumVgprs: 0
; ScratchSize: 0
; MemoryBound: 0
; FloatMode: 240
; IeeeMode: 1
; LDSByteSize: 0 bytes/workgroup (compile time only)
; SGPRBlocks: 0
; VGPRBlocks: 0
; NumSGPRsForWavesPerEU: 4
; NumVGPRsForWavesPerEU: 1
; AccumOffset: 4
; Occupancy: 8
; WaveLimiterHint : 0
; COMPUTE_PGM_RSRC2:SCRATCH_EN: 0
; COMPUTE_PGM_RSRC2:USER_SGPR: 6
; COMPUTE_PGM_RSRC2:TRAP_HANDLER: 0
; COMPUTE_PGM_RSRC2:TGID_X_EN: 1
; COMPUTE_PGM_RSRC2:TGID_Y_EN: 0
; COMPUTE_PGM_RSRC2:TGID_Z_EN: 0
; COMPUTE_PGM_RSRC2:TIDIG_COMP_CNT: 0
; COMPUTE_PGM_RSRC3_GFX90A:ACCUM_OFFSET: 0
; COMPUTE_PGM_RSRC3_GFX90A:TG_SPLIT: 0
	.section	.text._ZN7rocprim17ROCPRIM_400000_NS6detail17trampoline_kernelINS0_13select_configILj256ELj13ELNS0_17block_load_methodE3ELS4_3ELS4_3ELNS0_20block_scan_algorithmE0ELj4294967295EEENS1_25partition_config_selectorILNS1_17partition_subalgoE3EjNS0_10empty_typeEbEEZZNS1_14partition_implILS8_3ELb0ES6_jNS0_17counting_iteratorIjlEEPS9_SE_NS0_5tupleIJPjSE_EEENSF_IJSE_SE_EEES9_SG_JZNS1_25segmented_radix_sort_implINS0_14default_configELb0EPK6__halfPSL_PKlPlN2at6native12_GLOBAL__N_18offset_tEEE10hipError_tPvRmT1_PNSt15iterator_traitsISZ_E10value_typeET2_T3_PNS10_IS15_E10value_typeET4_jRbjT5_S1B_jjP12ihipStream_tbEUljE_EEESW_SX_SY_S15_S19_S1B_T6_T7_T9_mT8_S1D_bDpT10_ENKUlT_T0_E_clISt17integral_constantIbLb1EES1Q_EEDaS1L_S1M_EUlS1L_E_NS1_11comp_targetILNS1_3genE0ELNS1_11target_archE4294967295ELNS1_3gpuE0ELNS1_3repE0EEENS1_30default_config_static_selectorELNS0_4arch9wavefront6targetE1EEEvSZ_,"axG",@progbits,_ZN7rocprim17ROCPRIM_400000_NS6detail17trampoline_kernelINS0_13select_configILj256ELj13ELNS0_17block_load_methodE3ELS4_3ELS4_3ELNS0_20block_scan_algorithmE0ELj4294967295EEENS1_25partition_config_selectorILNS1_17partition_subalgoE3EjNS0_10empty_typeEbEEZZNS1_14partition_implILS8_3ELb0ES6_jNS0_17counting_iteratorIjlEEPS9_SE_NS0_5tupleIJPjSE_EEENSF_IJSE_SE_EEES9_SG_JZNS1_25segmented_radix_sort_implINS0_14default_configELb0EPK6__halfPSL_PKlPlN2at6native12_GLOBAL__N_18offset_tEEE10hipError_tPvRmT1_PNSt15iterator_traitsISZ_E10value_typeET2_T3_PNS10_IS15_E10value_typeET4_jRbjT5_S1B_jjP12ihipStream_tbEUljE_EEESW_SX_SY_S15_S19_S1B_T6_T7_T9_mT8_S1D_bDpT10_ENKUlT_T0_E_clISt17integral_constantIbLb1EES1Q_EEDaS1L_S1M_EUlS1L_E_NS1_11comp_targetILNS1_3genE0ELNS1_11target_archE4294967295ELNS1_3gpuE0ELNS1_3repE0EEENS1_30default_config_static_selectorELNS0_4arch9wavefront6targetE1EEEvSZ_,comdat
	.globl	_ZN7rocprim17ROCPRIM_400000_NS6detail17trampoline_kernelINS0_13select_configILj256ELj13ELNS0_17block_load_methodE3ELS4_3ELS4_3ELNS0_20block_scan_algorithmE0ELj4294967295EEENS1_25partition_config_selectorILNS1_17partition_subalgoE3EjNS0_10empty_typeEbEEZZNS1_14partition_implILS8_3ELb0ES6_jNS0_17counting_iteratorIjlEEPS9_SE_NS0_5tupleIJPjSE_EEENSF_IJSE_SE_EEES9_SG_JZNS1_25segmented_radix_sort_implINS0_14default_configELb0EPK6__halfPSL_PKlPlN2at6native12_GLOBAL__N_18offset_tEEE10hipError_tPvRmT1_PNSt15iterator_traitsISZ_E10value_typeET2_T3_PNS10_IS15_E10value_typeET4_jRbjT5_S1B_jjP12ihipStream_tbEUljE_EEESW_SX_SY_S15_S19_S1B_T6_T7_T9_mT8_S1D_bDpT10_ENKUlT_T0_E_clISt17integral_constantIbLb1EES1Q_EEDaS1L_S1M_EUlS1L_E_NS1_11comp_targetILNS1_3genE0ELNS1_11target_archE4294967295ELNS1_3gpuE0ELNS1_3repE0EEENS1_30default_config_static_selectorELNS0_4arch9wavefront6targetE1EEEvSZ_ ; -- Begin function _ZN7rocprim17ROCPRIM_400000_NS6detail17trampoline_kernelINS0_13select_configILj256ELj13ELNS0_17block_load_methodE3ELS4_3ELS4_3ELNS0_20block_scan_algorithmE0ELj4294967295EEENS1_25partition_config_selectorILNS1_17partition_subalgoE3EjNS0_10empty_typeEbEEZZNS1_14partition_implILS8_3ELb0ES6_jNS0_17counting_iteratorIjlEEPS9_SE_NS0_5tupleIJPjSE_EEENSF_IJSE_SE_EEES9_SG_JZNS1_25segmented_radix_sort_implINS0_14default_configELb0EPK6__halfPSL_PKlPlN2at6native12_GLOBAL__N_18offset_tEEE10hipError_tPvRmT1_PNSt15iterator_traitsISZ_E10value_typeET2_T3_PNS10_IS15_E10value_typeET4_jRbjT5_S1B_jjP12ihipStream_tbEUljE_EEESW_SX_SY_S15_S19_S1B_T6_T7_T9_mT8_S1D_bDpT10_ENKUlT_T0_E_clISt17integral_constantIbLb1EES1Q_EEDaS1L_S1M_EUlS1L_E_NS1_11comp_targetILNS1_3genE0ELNS1_11target_archE4294967295ELNS1_3gpuE0ELNS1_3repE0EEENS1_30default_config_static_selectorELNS0_4arch9wavefront6targetE1EEEvSZ_
	.p2align	8
	.type	_ZN7rocprim17ROCPRIM_400000_NS6detail17trampoline_kernelINS0_13select_configILj256ELj13ELNS0_17block_load_methodE3ELS4_3ELS4_3ELNS0_20block_scan_algorithmE0ELj4294967295EEENS1_25partition_config_selectorILNS1_17partition_subalgoE3EjNS0_10empty_typeEbEEZZNS1_14partition_implILS8_3ELb0ES6_jNS0_17counting_iteratorIjlEEPS9_SE_NS0_5tupleIJPjSE_EEENSF_IJSE_SE_EEES9_SG_JZNS1_25segmented_radix_sort_implINS0_14default_configELb0EPK6__halfPSL_PKlPlN2at6native12_GLOBAL__N_18offset_tEEE10hipError_tPvRmT1_PNSt15iterator_traitsISZ_E10value_typeET2_T3_PNS10_IS15_E10value_typeET4_jRbjT5_S1B_jjP12ihipStream_tbEUljE_EEESW_SX_SY_S15_S19_S1B_T6_T7_T9_mT8_S1D_bDpT10_ENKUlT_T0_E_clISt17integral_constantIbLb1EES1Q_EEDaS1L_S1M_EUlS1L_E_NS1_11comp_targetILNS1_3genE0ELNS1_11target_archE4294967295ELNS1_3gpuE0ELNS1_3repE0EEENS1_30default_config_static_selectorELNS0_4arch9wavefront6targetE1EEEvSZ_,@function
_ZN7rocprim17ROCPRIM_400000_NS6detail17trampoline_kernelINS0_13select_configILj256ELj13ELNS0_17block_load_methodE3ELS4_3ELS4_3ELNS0_20block_scan_algorithmE0ELj4294967295EEENS1_25partition_config_selectorILNS1_17partition_subalgoE3EjNS0_10empty_typeEbEEZZNS1_14partition_implILS8_3ELb0ES6_jNS0_17counting_iteratorIjlEEPS9_SE_NS0_5tupleIJPjSE_EEENSF_IJSE_SE_EEES9_SG_JZNS1_25segmented_radix_sort_implINS0_14default_configELb0EPK6__halfPSL_PKlPlN2at6native12_GLOBAL__N_18offset_tEEE10hipError_tPvRmT1_PNSt15iterator_traitsISZ_E10value_typeET2_T3_PNS10_IS15_E10value_typeET4_jRbjT5_S1B_jjP12ihipStream_tbEUljE_EEESW_SX_SY_S15_S19_S1B_T6_T7_T9_mT8_S1D_bDpT10_ENKUlT_T0_E_clISt17integral_constantIbLb1EES1Q_EEDaS1L_S1M_EUlS1L_E_NS1_11comp_targetILNS1_3genE0ELNS1_11target_archE4294967295ELNS1_3gpuE0ELNS1_3repE0EEENS1_30default_config_static_selectorELNS0_4arch9wavefront6targetE1EEEvSZ_: ; @_ZN7rocprim17ROCPRIM_400000_NS6detail17trampoline_kernelINS0_13select_configILj256ELj13ELNS0_17block_load_methodE3ELS4_3ELS4_3ELNS0_20block_scan_algorithmE0ELj4294967295EEENS1_25partition_config_selectorILNS1_17partition_subalgoE3EjNS0_10empty_typeEbEEZZNS1_14partition_implILS8_3ELb0ES6_jNS0_17counting_iteratorIjlEEPS9_SE_NS0_5tupleIJPjSE_EEENSF_IJSE_SE_EEES9_SG_JZNS1_25segmented_radix_sort_implINS0_14default_configELb0EPK6__halfPSL_PKlPlN2at6native12_GLOBAL__N_18offset_tEEE10hipError_tPvRmT1_PNSt15iterator_traitsISZ_E10value_typeET2_T3_PNS10_IS15_E10value_typeET4_jRbjT5_S1B_jjP12ihipStream_tbEUljE_EEESW_SX_SY_S15_S19_S1B_T6_T7_T9_mT8_S1D_bDpT10_ENKUlT_T0_E_clISt17integral_constantIbLb1EES1Q_EEDaS1L_S1M_EUlS1L_E_NS1_11comp_targetILNS1_3genE0ELNS1_11target_archE4294967295ELNS1_3gpuE0ELNS1_3repE0EEENS1_30default_config_static_selectorELNS0_4arch9wavefront6targetE1EEEvSZ_
; %bb.0:
	.section	.rodata,"a",@progbits
	.p2align	6, 0x0
	.amdhsa_kernel _ZN7rocprim17ROCPRIM_400000_NS6detail17trampoline_kernelINS0_13select_configILj256ELj13ELNS0_17block_load_methodE3ELS4_3ELS4_3ELNS0_20block_scan_algorithmE0ELj4294967295EEENS1_25partition_config_selectorILNS1_17partition_subalgoE3EjNS0_10empty_typeEbEEZZNS1_14partition_implILS8_3ELb0ES6_jNS0_17counting_iteratorIjlEEPS9_SE_NS0_5tupleIJPjSE_EEENSF_IJSE_SE_EEES9_SG_JZNS1_25segmented_radix_sort_implINS0_14default_configELb0EPK6__halfPSL_PKlPlN2at6native12_GLOBAL__N_18offset_tEEE10hipError_tPvRmT1_PNSt15iterator_traitsISZ_E10value_typeET2_T3_PNS10_IS15_E10value_typeET4_jRbjT5_S1B_jjP12ihipStream_tbEUljE_EEESW_SX_SY_S15_S19_S1B_T6_T7_T9_mT8_S1D_bDpT10_ENKUlT_T0_E_clISt17integral_constantIbLb1EES1Q_EEDaS1L_S1M_EUlS1L_E_NS1_11comp_targetILNS1_3genE0ELNS1_11target_archE4294967295ELNS1_3gpuE0ELNS1_3repE0EEENS1_30default_config_static_selectorELNS0_4arch9wavefront6targetE1EEEvSZ_
		.amdhsa_group_segment_fixed_size 0
		.amdhsa_private_segment_fixed_size 0
		.amdhsa_kernarg_size 152
		.amdhsa_user_sgpr_count 6
		.amdhsa_user_sgpr_private_segment_buffer 1
		.amdhsa_user_sgpr_dispatch_ptr 0
		.amdhsa_user_sgpr_queue_ptr 0
		.amdhsa_user_sgpr_kernarg_segment_ptr 1
		.amdhsa_user_sgpr_dispatch_id 0
		.amdhsa_user_sgpr_flat_scratch_init 0
		.amdhsa_user_sgpr_kernarg_preload_length 0
		.amdhsa_user_sgpr_kernarg_preload_offset 0
		.amdhsa_user_sgpr_private_segment_size 0
		.amdhsa_uses_dynamic_stack 0
		.amdhsa_system_sgpr_private_segment_wavefront_offset 0
		.amdhsa_system_sgpr_workgroup_id_x 1
		.amdhsa_system_sgpr_workgroup_id_y 0
		.amdhsa_system_sgpr_workgroup_id_z 0
		.amdhsa_system_sgpr_workgroup_info 0
		.amdhsa_system_vgpr_workitem_id 0
		.amdhsa_next_free_vgpr 1
		.amdhsa_next_free_sgpr 0
		.amdhsa_accum_offset 4
		.amdhsa_reserve_vcc 0
		.amdhsa_reserve_flat_scratch 0
		.amdhsa_float_round_mode_32 0
		.amdhsa_float_round_mode_16_64 0
		.amdhsa_float_denorm_mode_32 3
		.amdhsa_float_denorm_mode_16_64 3
		.amdhsa_dx10_clamp 1
		.amdhsa_ieee_mode 1
		.amdhsa_fp16_overflow 0
		.amdhsa_tg_split 0
		.amdhsa_exception_fp_ieee_invalid_op 0
		.amdhsa_exception_fp_denorm_src 0
		.amdhsa_exception_fp_ieee_div_zero 0
		.amdhsa_exception_fp_ieee_overflow 0
		.amdhsa_exception_fp_ieee_underflow 0
		.amdhsa_exception_fp_ieee_inexact 0
		.amdhsa_exception_int_div_zero 0
	.end_amdhsa_kernel
	.section	.text._ZN7rocprim17ROCPRIM_400000_NS6detail17trampoline_kernelINS0_13select_configILj256ELj13ELNS0_17block_load_methodE3ELS4_3ELS4_3ELNS0_20block_scan_algorithmE0ELj4294967295EEENS1_25partition_config_selectorILNS1_17partition_subalgoE3EjNS0_10empty_typeEbEEZZNS1_14partition_implILS8_3ELb0ES6_jNS0_17counting_iteratorIjlEEPS9_SE_NS0_5tupleIJPjSE_EEENSF_IJSE_SE_EEES9_SG_JZNS1_25segmented_radix_sort_implINS0_14default_configELb0EPK6__halfPSL_PKlPlN2at6native12_GLOBAL__N_18offset_tEEE10hipError_tPvRmT1_PNSt15iterator_traitsISZ_E10value_typeET2_T3_PNS10_IS15_E10value_typeET4_jRbjT5_S1B_jjP12ihipStream_tbEUljE_EEESW_SX_SY_S15_S19_S1B_T6_T7_T9_mT8_S1D_bDpT10_ENKUlT_T0_E_clISt17integral_constantIbLb1EES1Q_EEDaS1L_S1M_EUlS1L_E_NS1_11comp_targetILNS1_3genE0ELNS1_11target_archE4294967295ELNS1_3gpuE0ELNS1_3repE0EEENS1_30default_config_static_selectorELNS0_4arch9wavefront6targetE1EEEvSZ_,"axG",@progbits,_ZN7rocprim17ROCPRIM_400000_NS6detail17trampoline_kernelINS0_13select_configILj256ELj13ELNS0_17block_load_methodE3ELS4_3ELS4_3ELNS0_20block_scan_algorithmE0ELj4294967295EEENS1_25partition_config_selectorILNS1_17partition_subalgoE3EjNS0_10empty_typeEbEEZZNS1_14partition_implILS8_3ELb0ES6_jNS0_17counting_iteratorIjlEEPS9_SE_NS0_5tupleIJPjSE_EEENSF_IJSE_SE_EEES9_SG_JZNS1_25segmented_radix_sort_implINS0_14default_configELb0EPK6__halfPSL_PKlPlN2at6native12_GLOBAL__N_18offset_tEEE10hipError_tPvRmT1_PNSt15iterator_traitsISZ_E10value_typeET2_T3_PNS10_IS15_E10value_typeET4_jRbjT5_S1B_jjP12ihipStream_tbEUljE_EEESW_SX_SY_S15_S19_S1B_T6_T7_T9_mT8_S1D_bDpT10_ENKUlT_T0_E_clISt17integral_constantIbLb1EES1Q_EEDaS1L_S1M_EUlS1L_E_NS1_11comp_targetILNS1_3genE0ELNS1_11target_archE4294967295ELNS1_3gpuE0ELNS1_3repE0EEENS1_30default_config_static_selectorELNS0_4arch9wavefront6targetE1EEEvSZ_,comdat
.Lfunc_end1816:
	.size	_ZN7rocprim17ROCPRIM_400000_NS6detail17trampoline_kernelINS0_13select_configILj256ELj13ELNS0_17block_load_methodE3ELS4_3ELS4_3ELNS0_20block_scan_algorithmE0ELj4294967295EEENS1_25partition_config_selectorILNS1_17partition_subalgoE3EjNS0_10empty_typeEbEEZZNS1_14partition_implILS8_3ELb0ES6_jNS0_17counting_iteratorIjlEEPS9_SE_NS0_5tupleIJPjSE_EEENSF_IJSE_SE_EEES9_SG_JZNS1_25segmented_radix_sort_implINS0_14default_configELb0EPK6__halfPSL_PKlPlN2at6native12_GLOBAL__N_18offset_tEEE10hipError_tPvRmT1_PNSt15iterator_traitsISZ_E10value_typeET2_T3_PNS10_IS15_E10value_typeET4_jRbjT5_S1B_jjP12ihipStream_tbEUljE_EEESW_SX_SY_S15_S19_S1B_T6_T7_T9_mT8_S1D_bDpT10_ENKUlT_T0_E_clISt17integral_constantIbLb1EES1Q_EEDaS1L_S1M_EUlS1L_E_NS1_11comp_targetILNS1_3genE0ELNS1_11target_archE4294967295ELNS1_3gpuE0ELNS1_3repE0EEENS1_30default_config_static_selectorELNS0_4arch9wavefront6targetE1EEEvSZ_, .Lfunc_end1816-_ZN7rocprim17ROCPRIM_400000_NS6detail17trampoline_kernelINS0_13select_configILj256ELj13ELNS0_17block_load_methodE3ELS4_3ELS4_3ELNS0_20block_scan_algorithmE0ELj4294967295EEENS1_25partition_config_selectorILNS1_17partition_subalgoE3EjNS0_10empty_typeEbEEZZNS1_14partition_implILS8_3ELb0ES6_jNS0_17counting_iteratorIjlEEPS9_SE_NS0_5tupleIJPjSE_EEENSF_IJSE_SE_EEES9_SG_JZNS1_25segmented_radix_sort_implINS0_14default_configELb0EPK6__halfPSL_PKlPlN2at6native12_GLOBAL__N_18offset_tEEE10hipError_tPvRmT1_PNSt15iterator_traitsISZ_E10value_typeET2_T3_PNS10_IS15_E10value_typeET4_jRbjT5_S1B_jjP12ihipStream_tbEUljE_EEESW_SX_SY_S15_S19_S1B_T6_T7_T9_mT8_S1D_bDpT10_ENKUlT_T0_E_clISt17integral_constantIbLb1EES1Q_EEDaS1L_S1M_EUlS1L_E_NS1_11comp_targetILNS1_3genE0ELNS1_11target_archE4294967295ELNS1_3gpuE0ELNS1_3repE0EEENS1_30default_config_static_selectorELNS0_4arch9wavefront6targetE1EEEvSZ_
                                        ; -- End function
	.section	.AMDGPU.csdata,"",@progbits
; Kernel info:
; codeLenInByte = 0
; NumSgprs: 4
; NumVgprs: 0
; NumAgprs: 0
; TotalNumVgprs: 0
; ScratchSize: 0
; MemoryBound: 0
; FloatMode: 240
; IeeeMode: 1
; LDSByteSize: 0 bytes/workgroup (compile time only)
; SGPRBlocks: 0
; VGPRBlocks: 0
; NumSGPRsForWavesPerEU: 4
; NumVGPRsForWavesPerEU: 1
; AccumOffset: 4
; Occupancy: 8
; WaveLimiterHint : 0
; COMPUTE_PGM_RSRC2:SCRATCH_EN: 0
; COMPUTE_PGM_RSRC2:USER_SGPR: 6
; COMPUTE_PGM_RSRC2:TRAP_HANDLER: 0
; COMPUTE_PGM_RSRC2:TGID_X_EN: 1
; COMPUTE_PGM_RSRC2:TGID_Y_EN: 0
; COMPUTE_PGM_RSRC2:TGID_Z_EN: 0
; COMPUTE_PGM_RSRC2:TIDIG_COMP_CNT: 0
; COMPUTE_PGM_RSRC3_GFX90A:ACCUM_OFFSET: 0
; COMPUTE_PGM_RSRC3_GFX90A:TG_SPLIT: 0
	.section	.text._ZN7rocprim17ROCPRIM_400000_NS6detail17trampoline_kernelINS0_13select_configILj256ELj13ELNS0_17block_load_methodE3ELS4_3ELS4_3ELNS0_20block_scan_algorithmE0ELj4294967295EEENS1_25partition_config_selectorILNS1_17partition_subalgoE3EjNS0_10empty_typeEbEEZZNS1_14partition_implILS8_3ELb0ES6_jNS0_17counting_iteratorIjlEEPS9_SE_NS0_5tupleIJPjSE_EEENSF_IJSE_SE_EEES9_SG_JZNS1_25segmented_radix_sort_implINS0_14default_configELb0EPK6__halfPSL_PKlPlN2at6native12_GLOBAL__N_18offset_tEEE10hipError_tPvRmT1_PNSt15iterator_traitsISZ_E10value_typeET2_T3_PNS10_IS15_E10value_typeET4_jRbjT5_S1B_jjP12ihipStream_tbEUljE_EEESW_SX_SY_S15_S19_S1B_T6_T7_T9_mT8_S1D_bDpT10_ENKUlT_T0_E_clISt17integral_constantIbLb1EES1Q_EEDaS1L_S1M_EUlS1L_E_NS1_11comp_targetILNS1_3genE5ELNS1_11target_archE942ELNS1_3gpuE9ELNS1_3repE0EEENS1_30default_config_static_selectorELNS0_4arch9wavefront6targetE1EEEvSZ_,"axG",@progbits,_ZN7rocprim17ROCPRIM_400000_NS6detail17trampoline_kernelINS0_13select_configILj256ELj13ELNS0_17block_load_methodE3ELS4_3ELS4_3ELNS0_20block_scan_algorithmE0ELj4294967295EEENS1_25partition_config_selectorILNS1_17partition_subalgoE3EjNS0_10empty_typeEbEEZZNS1_14partition_implILS8_3ELb0ES6_jNS0_17counting_iteratorIjlEEPS9_SE_NS0_5tupleIJPjSE_EEENSF_IJSE_SE_EEES9_SG_JZNS1_25segmented_radix_sort_implINS0_14default_configELb0EPK6__halfPSL_PKlPlN2at6native12_GLOBAL__N_18offset_tEEE10hipError_tPvRmT1_PNSt15iterator_traitsISZ_E10value_typeET2_T3_PNS10_IS15_E10value_typeET4_jRbjT5_S1B_jjP12ihipStream_tbEUljE_EEESW_SX_SY_S15_S19_S1B_T6_T7_T9_mT8_S1D_bDpT10_ENKUlT_T0_E_clISt17integral_constantIbLb1EES1Q_EEDaS1L_S1M_EUlS1L_E_NS1_11comp_targetILNS1_3genE5ELNS1_11target_archE942ELNS1_3gpuE9ELNS1_3repE0EEENS1_30default_config_static_selectorELNS0_4arch9wavefront6targetE1EEEvSZ_,comdat
	.globl	_ZN7rocprim17ROCPRIM_400000_NS6detail17trampoline_kernelINS0_13select_configILj256ELj13ELNS0_17block_load_methodE3ELS4_3ELS4_3ELNS0_20block_scan_algorithmE0ELj4294967295EEENS1_25partition_config_selectorILNS1_17partition_subalgoE3EjNS0_10empty_typeEbEEZZNS1_14partition_implILS8_3ELb0ES6_jNS0_17counting_iteratorIjlEEPS9_SE_NS0_5tupleIJPjSE_EEENSF_IJSE_SE_EEES9_SG_JZNS1_25segmented_radix_sort_implINS0_14default_configELb0EPK6__halfPSL_PKlPlN2at6native12_GLOBAL__N_18offset_tEEE10hipError_tPvRmT1_PNSt15iterator_traitsISZ_E10value_typeET2_T3_PNS10_IS15_E10value_typeET4_jRbjT5_S1B_jjP12ihipStream_tbEUljE_EEESW_SX_SY_S15_S19_S1B_T6_T7_T9_mT8_S1D_bDpT10_ENKUlT_T0_E_clISt17integral_constantIbLb1EES1Q_EEDaS1L_S1M_EUlS1L_E_NS1_11comp_targetILNS1_3genE5ELNS1_11target_archE942ELNS1_3gpuE9ELNS1_3repE0EEENS1_30default_config_static_selectorELNS0_4arch9wavefront6targetE1EEEvSZ_ ; -- Begin function _ZN7rocprim17ROCPRIM_400000_NS6detail17trampoline_kernelINS0_13select_configILj256ELj13ELNS0_17block_load_methodE3ELS4_3ELS4_3ELNS0_20block_scan_algorithmE0ELj4294967295EEENS1_25partition_config_selectorILNS1_17partition_subalgoE3EjNS0_10empty_typeEbEEZZNS1_14partition_implILS8_3ELb0ES6_jNS0_17counting_iteratorIjlEEPS9_SE_NS0_5tupleIJPjSE_EEENSF_IJSE_SE_EEES9_SG_JZNS1_25segmented_radix_sort_implINS0_14default_configELb0EPK6__halfPSL_PKlPlN2at6native12_GLOBAL__N_18offset_tEEE10hipError_tPvRmT1_PNSt15iterator_traitsISZ_E10value_typeET2_T3_PNS10_IS15_E10value_typeET4_jRbjT5_S1B_jjP12ihipStream_tbEUljE_EEESW_SX_SY_S15_S19_S1B_T6_T7_T9_mT8_S1D_bDpT10_ENKUlT_T0_E_clISt17integral_constantIbLb1EES1Q_EEDaS1L_S1M_EUlS1L_E_NS1_11comp_targetILNS1_3genE5ELNS1_11target_archE942ELNS1_3gpuE9ELNS1_3repE0EEENS1_30default_config_static_selectorELNS0_4arch9wavefront6targetE1EEEvSZ_
	.p2align	8
	.type	_ZN7rocprim17ROCPRIM_400000_NS6detail17trampoline_kernelINS0_13select_configILj256ELj13ELNS0_17block_load_methodE3ELS4_3ELS4_3ELNS0_20block_scan_algorithmE0ELj4294967295EEENS1_25partition_config_selectorILNS1_17partition_subalgoE3EjNS0_10empty_typeEbEEZZNS1_14partition_implILS8_3ELb0ES6_jNS0_17counting_iteratorIjlEEPS9_SE_NS0_5tupleIJPjSE_EEENSF_IJSE_SE_EEES9_SG_JZNS1_25segmented_radix_sort_implINS0_14default_configELb0EPK6__halfPSL_PKlPlN2at6native12_GLOBAL__N_18offset_tEEE10hipError_tPvRmT1_PNSt15iterator_traitsISZ_E10value_typeET2_T3_PNS10_IS15_E10value_typeET4_jRbjT5_S1B_jjP12ihipStream_tbEUljE_EEESW_SX_SY_S15_S19_S1B_T6_T7_T9_mT8_S1D_bDpT10_ENKUlT_T0_E_clISt17integral_constantIbLb1EES1Q_EEDaS1L_S1M_EUlS1L_E_NS1_11comp_targetILNS1_3genE5ELNS1_11target_archE942ELNS1_3gpuE9ELNS1_3repE0EEENS1_30default_config_static_selectorELNS0_4arch9wavefront6targetE1EEEvSZ_,@function
_ZN7rocprim17ROCPRIM_400000_NS6detail17trampoline_kernelINS0_13select_configILj256ELj13ELNS0_17block_load_methodE3ELS4_3ELS4_3ELNS0_20block_scan_algorithmE0ELj4294967295EEENS1_25partition_config_selectorILNS1_17partition_subalgoE3EjNS0_10empty_typeEbEEZZNS1_14partition_implILS8_3ELb0ES6_jNS0_17counting_iteratorIjlEEPS9_SE_NS0_5tupleIJPjSE_EEENSF_IJSE_SE_EEES9_SG_JZNS1_25segmented_radix_sort_implINS0_14default_configELb0EPK6__halfPSL_PKlPlN2at6native12_GLOBAL__N_18offset_tEEE10hipError_tPvRmT1_PNSt15iterator_traitsISZ_E10value_typeET2_T3_PNS10_IS15_E10value_typeET4_jRbjT5_S1B_jjP12ihipStream_tbEUljE_EEESW_SX_SY_S15_S19_S1B_T6_T7_T9_mT8_S1D_bDpT10_ENKUlT_T0_E_clISt17integral_constantIbLb1EES1Q_EEDaS1L_S1M_EUlS1L_E_NS1_11comp_targetILNS1_3genE5ELNS1_11target_archE942ELNS1_3gpuE9ELNS1_3repE0EEENS1_30default_config_static_selectorELNS0_4arch9wavefront6targetE1EEEvSZ_: ; @_ZN7rocprim17ROCPRIM_400000_NS6detail17trampoline_kernelINS0_13select_configILj256ELj13ELNS0_17block_load_methodE3ELS4_3ELS4_3ELNS0_20block_scan_algorithmE0ELj4294967295EEENS1_25partition_config_selectorILNS1_17partition_subalgoE3EjNS0_10empty_typeEbEEZZNS1_14partition_implILS8_3ELb0ES6_jNS0_17counting_iteratorIjlEEPS9_SE_NS0_5tupleIJPjSE_EEENSF_IJSE_SE_EEES9_SG_JZNS1_25segmented_radix_sort_implINS0_14default_configELb0EPK6__halfPSL_PKlPlN2at6native12_GLOBAL__N_18offset_tEEE10hipError_tPvRmT1_PNSt15iterator_traitsISZ_E10value_typeET2_T3_PNS10_IS15_E10value_typeET4_jRbjT5_S1B_jjP12ihipStream_tbEUljE_EEESW_SX_SY_S15_S19_S1B_T6_T7_T9_mT8_S1D_bDpT10_ENKUlT_T0_E_clISt17integral_constantIbLb1EES1Q_EEDaS1L_S1M_EUlS1L_E_NS1_11comp_targetILNS1_3genE5ELNS1_11target_archE942ELNS1_3gpuE9ELNS1_3repE0EEENS1_30default_config_static_selectorELNS0_4arch9wavefront6targetE1EEEvSZ_
; %bb.0:
	.section	.rodata,"a",@progbits
	.p2align	6, 0x0
	.amdhsa_kernel _ZN7rocprim17ROCPRIM_400000_NS6detail17trampoline_kernelINS0_13select_configILj256ELj13ELNS0_17block_load_methodE3ELS4_3ELS4_3ELNS0_20block_scan_algorithmE0ELj4294967295EEENS1_25partition_config_selectorILNS1_17partition_subalgoE3EjNS0_10empty_typeEbEEZZNS1_14partition_implILS8_3ELb0ES6_jNS0_17counting_iteratorIjlEEPS9_SE_NS0_5tupleIJPjSE_EEENSF_IJSE_SE_EEES9_SG_JZNS1_25segmented_radix_sort_implINS0_14default_configELb0EPK6__halfPSL_PKlPlN2at6native12_GLOBAL__N_18offset_tEEE10hipError_tPvRmT1_PNSt15iterator_traitsISZ_E10value_typeET2_T3_PNS10_IS15_E10value_typeET4_jRbjT5_S1B_jjP12ihipStream_tbEUljE_EEESW_SX_SY_S15_S19_S1B_T6_T7_T9_mT8_S1D_bDpT10_ENKUlT_T0_E_clISt17integral_constantIbLb1EES1Q_EEDaS1L_S1M_EUlS1L_E_NS1_11comp_targetILNS1_3genE5ELNS1_11target_archE942ELNS1_3gpuE9ELNS1_3repE0EEENS1_30default_config_static_selectorELNS0_4arch9wavefront6targetE1EEEvSZ_
		.amdhsa_group_segment_fixed_size 0
		.amdhsa_private_segment_fixed_size 0
		.amdhsa_kernarg_size 152
		.amdhsa_user_sgpr_count 6
		.amdhsa_user_sgpr_private_segment_buffer 1
		.amdhsa_user_sgpr_dispatch_ptr 0
		.amdhsa_user_sgpr_queue_ptr 0
		.amdhsa_user_sgpr_kernarg_segment_ptr 1
		.amdhsa_user_sgpr_dispatch_id 0
		.amdhsa_user_sgpr_flat_scratch_init 0
		.amdhsa_user_sgpr_kernarg_preload_length 0
		.amdhsa_user_sgpr_kernarg_preload_offset 0
		.amdhsa_user_sgpr_private_segment_size 0
		.amdhsa_uses_dynamic_stack 0
		.amdhsa_system_sgpr_private_segment_wavefront_offset 0
		.amdhsa_system_sgpr_workgroup_id_x 1
		.amdhsa_system_sgpr_workgroup_id_y 0
		.amdhsa_system_sgpr_workgroup_id_z 0
		.amdhsa_system_sgpr_workgroup_info 0
		.amdhsa_system_vgpr_workitem_id 0
		.amdhsa_next_free_vgpr 1
		.amdhsa_next_free_sgpr 0
		.amdhsa_accum_offset 4
		.amdhsa_reserve_vcc 0
		.amdhsa_reserve_flat_scratch 0
		.amdhsa_float_round_mode_32 0
		.amdhsa_float_round_mode_16_64 0
		.amdhsa_float_denorm_mode_32 3
		.amdhsa_float_denorm_mode_16_64 3
		.amdhsa_dx10_clamp 1
		.amdhsa_ieee_mode 1
		.amdhsa_fp16_overflow 0
		.amdhsa_tg_split 0
		.amdhsa_exception_fp_ieee_invalid_op 0
		.amdhsa_exception_fp_denorm_src 0
		.amdhsa_exception_fp_ieee_div_zero 0
		.amdhsa_exception_fp_ieee_overflow 0
		.amdhsa_exception_fp_ieee_underflow 0
		.amdhsa_exception_fp_ieee_inexact 0
		.amdhsa_exception_int_div_zero 0
	.end_amdhsa_kernel
	.section	.text._ZN7rocprim17ROCPRIM_400000_NS6detail17trampoline_kernelINS0_13select_configILj256ELj13ELNS0_17block_load_methodE3ELS4_3ELS4_3ELNS0_20block_scan_algorithmE0ELj4294967295EEENS1_25partition_config_selectorILNS1_17partition_subalgoE3EjNS0_10empty_typeEbEEZZNS1_14partition_implILS8_3ELb0ES6_jNS0_17counting_iteratorIjlEEPS9_SE_NS0_5tupleIJPjSE_EEENSF_IJSE_SE_EEES9_SG_JZNS1_25segmented_radix_sort_implINS0_14default_configELb0EPK6__halfPSL_PKlPlN2at6native12_GLOBAL__N_18offset_tEEE10hipError_tPvRmT1_PNSt15iterator_traitsISZ_E10value_typeET2_T3_PNS10_IS15_E10value_typeET4_jRbjT5_S1B_jjP12ihipStream_tbEUljE_EEESW_SX_SY_S15_S19_S1B_T6_T7_T9_mT8_S1D_bDpT10_ENKUlT_T0_E_clISt17integral_constantIbLb1EES1Q_EEDaS1L_S1M_EUlS1L_E_NS1_11comp_targetILNS1_3genE5ELNS1_11target_archE942ELNS1_3gpuE9ELNS1_3repE0EEENS1_30default_config_static_selectorELNS0_4arch9wavefront6targetE1EEEvSZ_,"axG",@progbits,_ZN7rocprim17ROCPRIM_400000_NS6detail17trampoline_kernelINS0_13select_configILj256ELj13ELNS0_17block_load_methodE3ELS4_3ELS4_3ELNS0_20block_scan_algorithmE0ELj4294967295EEENS1_25partition_config_selectorILNS1_17partition_subalgoE3EjNS0_10empty_typeEbEEZZNS1_14partition_implILS8_3ELb0ES6_jNS0_17counting_iteratorIjlEEPS9_SE_NS0_5tupleIJPjSE_EEENSF_IJSE_SE_EEES9_SG_JZNS1_25segmented_radix_sort_implINS0_14default_configELb0EPK6__halfPSL_PKlPlN2at6native12_GLOBAL__N_18offset_tEEE10hipError_tPvRmT1_PNSt15iterator_traitsISZ_E10value_typeET2_T3_PNS10_IS15_E10value_typeET4_jRbjT5_S1B_jjP12ihipStream_tbEUljE_EEESW_SX_SY_S15_S19_S1B_T6_T7_T9_mT8_S1D_bDpT10_ENKUlT_T0_E_clISt17integral_constantIbLb1EES1Q_EEDaS1L_S1M_EUlS1L_E_NS1_11comp_targetILNS1_3genE5ELNS1_11target_archE942ELNS1_3gpuE9ELNS1_3repE0EEENS1_30default_config_static_selectorELNS0_4arch9wavefront6targetE1EEEvSZ_,comdat
.Lfunc_end1817:
	.size	_ZN7rocprim17ROCPRIM_400000_NS6detail17trampoline_kernelINS0_13select_configILj256ELj13ELNS0_17block_load_methodE3ELS4_3ELS4_3ELNS0_20block_scan_algorithmE0ELj4294967295EEENS1_25partition_config_selectorILNS1_17partition_subalgoE3EjNS0_10empty_typeEbEEZZNS1_14partition_implILS8_3ELb0ES6_jNS0_17counting_iteratorIjlEEPS9_SE_NS0_5tupleIJPjSE_EEENSF_IJSE_SE_EEES9_SG_JZNS1_25segmented_radix_sort_implINS0_14default_configELb0EPK6__halfPSL_PKlPlN2at6native12_GLOBAL__N_18offset_tEEE10hipError_tPvRmT1_PNSt15iterator_traitsISZ_E10value_typeET2_T3_PNS10_IS15_E10value_typeET4_jRbjT5_S1B_jjP12ihipStream_tbEUljE_EEESW_SX_SY_S15_S19_S1B_T6_T7_T9_mT8_S1D_bDpT10_ENKUlT_T0_E_clISt17integral_constantIbLb1EES1Q_EEDaS1L_S1M_EUlS1L_E_NS1_11comp_targetILNS1_3genE5ELNS1_11target_archE942ELNS1_3gpuE9ELNS1_3repE0EEENS1_30default_config_static_selectorELNS0_4arch9wavefront6targetE1EEEvSZ_, .Lfunc_end1817-_ZN7rocprim17ROCPRIM_400000_NS6detail17trampoline_kernelINS0_13select_configILj256ELj13ELNS0_17block_load_methodE3ELS4_3ELS4_3ELNS0_20block_scan_algorithmE0ELj4294967295EEENS1_25partition_config_selectorILNS1_17partition_subalgoE3EjNS0_10empty_typeEbEEZZNS1_14partition_implILS8_3ELb0ES6_jNS0_17counting_iteratorIjlEEPS9_SE_NS0_5tupleIJPjSE_EEENSF_IJSE_SE_EEES9_SG_JZNS1_25segmented_radix_sort_implINS0_14default_configELb0EPK6__halfPSL_PKlPlN2at6native12_GLOBAL__N_18offset_tEEE10hipError_tPvRmT1_PNSt15iterator_traitsISZ_E10value_typeET2_T3_PNS10_IS15_E10value_typeET4_jRbjT5_S1B_jjP12ihipStream_tbEUljE_EEESW_SX_SY_S15_S19_S1B_T6_T7_T9_mT8_S1D_bDpT10_ENKUlT_T0_E_clISt17integral_constantIbLb1EES1Q_EEDaS1L_S1M_EUlS1L_E_NS1_11comp_targetILNS1_3genE5ELNS1_11target_archE942ELNS1_3gpuE9ELNS1_3repE0EEENS1_30default_config_static_selectorELNS0_4arch9wavefront6targetE1EEEvSZ_
                                        ; -- End function
	.section	.AMDGPU.csdata,"",@progbits
; Kernel info:
; codeLenInByte = 0
; NumSgprs: 4
; NumVgprs: 0
; NumAgprs: 0
; TotalNumVgprs: 0
; ScratchSize: 0
; MemoryBound: 0
; FloatMode: 240
; IeeeMode: 1
; LDSByteSize: 0 bytes/workgroup (compile time only)
; SGPRBlocks: 0
; VGPRBlocks: 0
; NumSGPRsForWavesPerEU: 4
; NumVGPRsForWavesPerEU: 1
; AccumOffset: 4
; Occupancy: 8
; WaveLimiterHint : 0
; COMPUTE_PGM_RSRC2:SCRATCH_EN: 0
; COMPUTE_PGM_RSRC2:USER_SGPR: 6
; COMPUTE_PGM_RSRC2:TRAP_HANDLER: 0
; COMPUTE_PGM_RSRC2:TGID_X_EN: 1
; COMPUTE_PGM_RSRC2:TGID_Y_EN: 0
; COMPUTE_PGM_RSRC2:TGID_Z_EN: 0
; COMPUTE_PGM_RSRC2:TIDIG_COMP_CNT: 0
; COMPUTE_PGM_RSRC3_GFX90A:ACCUM_OFFSET: 0
; COMPUTE_PGM_RSRC3_GFX90A:TG_SPLIT: 0
	.section	.text._ZN7rocprim17ROCPRIM_400000_NS6detail17trampoline_kernelINS0_13select_configILj256ELj13ELNS0_17block_load_methodE3ELS4_3ELS4_3ELNS0_20block_scan_algorithmE0ELj4294967295EEENS1_25partition_config_selectorILNS1_17partition_subalgoE3EjNS0_10empty_typeEbEEZZNS1_14partition_implILS8_3ELb0ES6_jNS0_17counting_iteratorIjlEEPS9_SE_NS0_5tupleIJPjSE_EEENSF_IJSE_SE_EEES9_SG_JZNS1_25segmented_radix_sort_implINS0_14default_configELb0EPK6__halfPSL_PKlPlN2at6native12_GLOBAL__N_18offset_tEEE10hipError_tPvRmT1_PNSt15iterator_traitsISZ_E10value_typeET2_T3_PNS10_IS15_E10value_typeET4_jRbjT5_S1B_jjP12ihipStream_tbEUljE_EEESW_SX_SY_S15_S19_S1B_T6_T7_T9_mT8_S1D_bDpT10_ENKUlT_T0_E_clISt17integral_constantIbLb1EES1Q_EEDaS1L_S1M_EUlS1L_E_NS1_11comp_targetILNS1_3genE4ELNS1_11target_archE910ELNS1_3gpuE8ELNS1_3repE0EEENS1_30default_config_static_selectorELNS0_4arch9wavefront6targetE1EEEvSZ_,"axG",@progbits,_ZN7rocprim17ROCPRIM_400000_NS6detail17trampoline_kernelINS0_13select_configILj256ELj13ELNS0_17block_load_methodE3ELS4_3ELS4_3ELNS0_20block_scan_algorithmE0ELj4294967295EEENS1_25partition_config_selectorILNS1_17partition_subalgoE3EjNS0_10empty_typeEbEEZZNS1_14partition_implILS8_3ELb0ES6_jNS0_17counting_iteratorIjlEEPS9_SE_NS0_5tupleIJPjSE_EEENSF_IJSE_SE_EEES9_SG_JZNS1_25segmented_radix_sort_implINS0_14default_configELb0EPK6__halfPSL_PKlPlN2at6native12_GLOBAL__N_18offset_tEEE10hipError_tPvRmT1_PNSt15iterator_traitsISZ_E10value_typeET2_T3_PNS10_IS15_E10value_typeET4_jRbjT5_S1B_jjP12ihipStream_tbEUljE_EEESW_SX_SY_S15_S19_S1B_T6_T7_T9_mT8_S1D_bDpT10_ENKUlT_T0_E_clISt17integral_constantIbLb1EES1Q_EEDaS1L_S1M_EUlS1L_E_NS1_11comp_targetILNS1_3genE4ELNS1_11target_archE910ELNS1_3gpuE8ELNS1_3repE0EEENS1_30default_config_static_selectorELNS0_4arch9wavefront6targetE1EEEvSZ_,comdat
	.globl	_ZN7rocprim17ROCPRIM_400000_NS6detail17trampoline_kernelINS0_13select_configILj256ELj13ELNS0_17block_load_methodE3ELS4_3ELS4_3ELNS0_20block_scan_algorithmE0ELj4294967295EEENS1_25partition_config_selectorILNS1_17partition_subalgoE3EjNS0_10empty_typeEbEEZZNS1_14partition_implILS8_3ELb0ES6_jNS0_17counting_iteratorIjlEEPS9_SE_NS0_5tupleIJPjSE_EEENSF_IJSE_SE_EEES9_SG_JZNS1_25segmented_radix_sort_implINS0_14default_configELb0EPK6__halfPSL_PKlPlN2at6native12_GLOBAL__N_18offset_tEEE10hipError_tPvRmT1_PNSt15iterator_traitsISZ_E10value_typeET2_T3_PNS10_IS15_E10value_typeET4_jRbjT5_S1B_jjP12ihipStream_tbEUljE_EEESW_SX_SY_S15_S19_S1B_T6_T7_T9_mT8_S1D_bDpT10_ENKUlT_T0_E_clISt17integral_constantIbLb1EES1Q_EEDaS1L_S1M_EUlS1L_E_NS1_11comp_targetILNS1_3genE4ELNS1_11target_archE910ELNS1_3gpuE8ELNS1_3repE0EEENS1_30default_config_static_selectorELNS0_4arch9wavefront6targetE1EEEvSZ_ ; -- Begin function _ZN7rocprim17ROCPRIM_400000_NS6detail17trampoline_kernelINS0_13select_configILj256ELj13ELNS0_17block_load_methodE3ELS4_3ELS4_3ELNS0_20block_scan_algorithmE0ELj4294967295EEENS1_25partition_config_selectorILNS1_17partition_subalgoE3EjNS0_10empty_typeEbEEZZNS1_14partition_implILS8_3ELb0ES6_jNS0_17counting_iteratorIjlEEPS9_SE_NS0_5tupleIJPjSE_EEENSF_IJSE_SE_EEES9_SG_JZNS1_25segmented_radix_sort_implINS0_14default_configELb0EPK6__halfPSL_PKlPlN2at6native12_GLOBAL__N_18offset_tEEE10hipError_tPvRmT1_PNSt15iterator_traitsISZ_E10value_typeET2_T3_PNS10_IS15_E10value_typeET4_jRbjT5_S1B_jjP12ihipStream_tbEUljE_EEESW_SX_SY_S15_S19_S1B_T6_T7_T9_mT8_S1D_bDpT10_ENKUlT_T0_E_clISt17integral_constantIbLb1EES1Q_EEDaS1L_S1M_EUlS1L_E_NS1_11comp_targetILNS1_3genE4ELNS1_11target_archE910ELNS1_3gpuE8ELNS1_3repE0EEENS1_30default_config_static_selectorELNS0_4arch9wavefront6targetE1EEEvSZ_
	.p2align	8
	.type	_ZN7rocprim17ROCPRIM_400000_NS6detail17trampoline_kernelINS0_13select_configILj256ELj13ELNS0_17block_load_methodE3ELS4_3ELS4_3ELNS0_20block_scan_algorithmE0ELj4294967295EEENS1_25partition_config_selectorILNS1_17partition_subalgoE3EjNS0_10empty_typeEbEEZZNS1_14partition_implILS8_3ELb0ES6_jNS0_17counting_iteratorIjlEEPS9_SE_NS0_5tupleIJPjSE_EEENSF_IJSE_SE_EEES9_SG_JZNS1_25segmented_radix_sort_implINS0_14default_configELb0EPK6__halfPSL_PKlPlN2at6native12_GLOBAL__N_18offset_tEEE10hipError_tPvRmT1_PNSt15iterator_traitsISZ_E10value_typeET2_T3_PNS10_IS15_E10value_typeET4_jRbjT5_S1B_jjP12ihipStream_tbEUljE_EEESW_SX_SY_S15_S19_S1B_T6_T7_T9_mT8_S1D_bDpT10_ENKUlT_T0_E_clISt17integral_constantIbLb1EES1Q_EEDaS1L_S1M_EUlS1L_E_NS1_11comp_targetILNS1_3genE4ELNS1_11target_archE910ELNS1_3gpuE8ELNS1_3repE0EEENS1_30default_config_static_selectorELNS0_4arch9wavefront6targetE1EEEvSZ_,@function
_ZN7rocprim17ROCPRIM_400000_NS6detail17trampoline_kernelINS0_13select_configILj256ELj13ELNS0_17block_load_methodE3ELS4_3ELS4_3ELNS0_20block_scan_algorithmE0ELj4294967295EEENS1_25partition_config_selectorILNS1_17partition_subalgoE3EjNS0_10empty_typeEbEEZZNS1_14partition_implILS8_3ELb0ES6_jNS0_17counting_iteratorIjlEEPS9_SE_NS0_5tupleIJPjSE_EEENSF_IJSE_SE_EEES9_SG_JZNS1_25segmented_radix_sort_implINS0_14default_configELb0EPK6__halfPSL_PKlPlN2at6native12_GLOBAL__N_18offset_tEEE10hipError_tPvRmT1_PNSt15iterator_traitsISZ_E10value_typeET2_T3_PNS10_IS15_E10value_typeET4_jRbjT5_S1B_jjP12ihipStream_tbEUljE_EEESW_SX_SY_S15_S19_S1B_T6_T7_T9_mT8_S1D_bDpT10_ENKUlT_T0_E_clISt17integral_constantIbLb1EES1Q_EEDaS1L_S1M_EUlS1L_E_NS1_11comp_targetILNS1_3genE4ELNS1_11target_archE910ELNS1_3gpuE8ELNS1_3repE0EEENS1_30default_config_static_selectorELNS0_4arch9wavefront6targetE1EEEvSZ_: ; @_ZN7rocprim17ROCPRIM_400000_NS6detail17trampoline_kernelINS0_13select_configILj256ELj13ELNS0_17block_load_methodE3ELS4_3ELS4_3ELNS0_20block_scan_algorithmE0ELj4294967295EEENS1_25partition_config_selectorILNS1_17partition_subalgoE3EjNS0_10empty_typeEbEEZZNS1_14partition_implILS8_3ELb0ES6_jNS0_17counting_iteratorIjlEEPS9_SE_NS0_5tupleIJPjSE_EEENSF_IJSE_SE_EEES9_SG_JZNS1_25segmented_radix_sort_implINS0_14default_configELb0EPK6__halfPSL_PKlPlN2at6native12_GLOBAL__N_18offset_tEEE10hipError_tPvRmT1_PNSt15iterator_traitsISZ_E10value_typeET2_T3_PNS10_IS15_E10value_typeET4_jRbjT5_S1B_jjP12ihipStream_tbEUljE_EEESW_SX_SY_S15_S19_S1B_T6_T7_T9_mT8_S1D_bDpT10_ENKUlT_T0_E_clISt17integral_constantIbLb1EES1Q_EEDaS1L_S1M_EUlS1L_E_NS1_11comp_targetILNS1_3genE4ELNS1_11target_archE910ELNS1_3gpuE8ELNS1_3repE0EEENS1_30default_config_static_selectorELNS0_4arch9wavefront6targetE1EEEvSZ_
; %bb.0:
	s_load_dwordx2 s[28:29], s[4:5], 0x10
	s_load_dwordx2 s[24:25], s[4:5], 0x28
	;; [unrolled: 1-line block ×3, first 2 shown]
	s_load_dwordx4 s[20:23], s[4:5], 0x48
	s_load_dword s14, s[4:5], 0x90
	s_load_dwordx2 s[30:31], s[4:5], 0x68
	s_load_dwordx4 s[8:11], s[4:5], 0x80
	v_cmp_eq_u32_e64 s[0:1], 0, v0
	s_and_saveexec_b64 s[2:3], s[0:1]
	s_cbranch_execz .LBB1818_4
; %bb.1:
	s_mov_b64 s[12:13], exec
	v_mbcnt_lo_u32_b32 v1, s12, 0
	v_mbcnt_hi_u32_b32 v1, s13, v1
	v_cmp_eq_u32_e32 vcc, 0, v1
                                        ; implicit-def: $vgpr2
	s_and_saveexec_b64 s[6:7], vcc
	s_cbranch_execz .LBB1818_3
; %bb.2:
	s_load_dwordx2 s[16:17], s[4:5], 0x78
	s_bcnt1_i32_b64 s12, s[12:13]
	v_mov_b32_e32 v2, 0
	v_mov_b32_e32 v3, s12
	s_waitcnt lgkmcnt(0)
	global_atomic_add v2, v2, v3, s[16:17] glc
.LBB1818_3:
	s_or_b64 exec, exec, s[6:7]
	s_waitcnt vmcnt(0)
	v_readfirstlane_b32 s6, v2
	v_add_u32_e32 v1, s6, v1
	v_mov_b32_e32 v2, 0
	ds_write_b32 v2, v1
.LBB1818_4:
	s_or_b64 exec, exec, s[2:3]
	v_mov_b32_e32 v1, 0
	s_load_dword s2, s[4:5], 0x8
	s_load_dword s6, s[4:5], 0x70
	s_waitcnt lgkmcnt(0)
	s_barrier
	ds_read_b32 v2, v1
	s_waitcnt lgkmcnt(0)
	s_barrier
	global_load_dwordx2 v[20:21], v1, s[22:23]
	s_add_i32 s7, s2, s28
	s_movk_i32 s2, 0xd00
	s_add_i32 s4, s6, -1
	s_mulk_i32 s6, 0xd00
	v_mul_lo_u32 v1, v2, s2
	s_add_u32 s2, s28, s6
	v_readfirstlane_b32 s40, v2
	s_addc_u32 s3, s29, 0
	s_cmp_eq_u32 s40, s4
	v_pk_mov_b32 v[2:3], s[26:27], s[26:27] op_sel:[0,1]
	s_cselect_b64 s[22:23], -1, 0
	s_cmp_lg_u32 s40, s4
	v_cmp_lt_u64_e32 vcc, s[2:3], v[2:3]
	s_cselect_b64 s[2:3], -1, 0
	s_or_b64 s[4:5], vcc, s[2:3]
	v_add_u32_e32 v2, s7, v1
	s_mov_b64 s[2:3], -1
	s_and_b64 vcc, exec, s[4:5]
	v_add_u32_e32 v2, v2, v0
	v_lshlrev_b32_e32 v34, 2, v0
	s_cbranch_vccz .LBB1818_6
; %bb.5:
	v_add_u32_e32 v3, 0x100, v2
	v_add_u32_e32 v4, 0x200, v2
	;; [unrolled: 1-line block ×12, first 2 shown]
	ds_write2st64_b32 v34, v2, v3 offset1:4
	ds_write2st64_b32 v34, v4, v5 offset0:8 offset1:12
	ds_write2st64_b32 v34, v6, v7 offset0:16 offset1:20
	ds_write2st64_b32 v34, v8, v9 offset0:24 offset1:28
	ds_write2st64_b32 v34, v10, v11 offset0:32 offset1:36
	ds_write2st64_b32 v34, v12, v13 offset0:40 offset1:44
	ds_write_b32 v34, v14 offset:12288
	s_waitcnt lgkmcnt(0)
	s_barrier
	s_mov_b64 s[2:3], 0
.LBB1818_6:
	s_andn2_b64 vcc, exec, s[2:3]
	s_add_i32 s6, s6, s28
	s_cbranch_vccnz .LBB1818_8
; %bb.7:
	v_add_u32_e32 v3, 0x100, v2
	v_add_u32_e32 v4, 0x200, v2
	v_add_u32_e32 v5, 0x300, v2
	v_add_u32_e32 v6, 0x400, v2
	v_add_u32_e32 v7, 0x500, v2
	v_add_u32_e32 v8, 0x600, v2
	v_add_u32_e32 v9, 0x700, v2
	v_add_u32_e32 v10, 0x800, v2
	v_add_u32_e32 v11, 0x900, v2
	v_add_u32_e32 v12, 0xa00, v2
	v_add_u32_e32 v13, 0xb00, v2
	v_add_u32_e32 v14, 0xc00, v2
	ds_write2st64_b32 v34, v2, v3 offset1:4
	ds_write2st64_b32 v34, v4, v5 offset0:8 offset1:12
	ds_write2st64_b32 v34, v6, v7 offset0:16 offset1:20
	;; [unrolled: 1-line block ×5, first 2 shown]
	ds_write_b32 v34, v14 offset:12288
	s_waitcnt lgkmcnt(0)
	s_barrier
.LBB1818_8:
	v_mul_u32_u24_e32 v36, 13, v0
	v_lshlrev_b32_e32 v2, 2, v36
	ds_read2_b32 v[32:33], v2 offset1:1
	ds_read2_b32 v[30:31], v2 offset0:2 offset1:3
	ds_read2_b32 v[28:29], v2 offset0:4 offset1:5
	;; [unrolled: 1-line block ×5, first 2 shown]
	ds_read_b32 v35, v2 offset:48
	v_cndmask_b32_e64 v2, 0, 1, s[4:5]
	s_sub_i32 s33, s26, s6
	v_cmp_ne_u32_e64 s[2:3], 1, v2
	s_andn2_b64 vcc, exec, s[4:5]
	s_waitcnt lgkmcnt(0)
	s_barrier
	s_cbranch_vccnz .LBB1818_10
; %bb.9:
	v_add_u32_e32 v2, s9, v32
	v_add_u32_e32 v3, s11, v32
	v_mul_lo_u32 v2, v2, s8
	v_mul_lo_u32 v3, v3, s10
	v_sub_u32_e32 v2, v2, v3
	v_add_u32_e32 v3, s9, v33
	v_add_u32_e32 v4, s11, v33
	v_mul_lo_u32 v3, v3, s8
	v_mul_lo_u32 v4, v4, s10
	v_sub_u32_e32 v3, v3, v4
	;; [unrolled: 5-line block ×6, first 2 shown]
	v_add_u32_e32 v8, s9, v26
	v_add_u32_e32 v9, s11, v26
	v_mul_lo_u32 v8, v8, s8
	v_mul_lo_u32 v9, v9, s10
	v_cmp_lt_u32_e32 vcc, s14, v2
	v_sub_u32_e32 v8, v8, v9
	v_add_u32_e32 v9, s9, v27
	v_add_u32_e32 v10, s11, v27
	v_cndmask_b32_e64 v2, 0, 1, vcc
	v_cmp_lt_u32_e32 vcc, s14, v3
	v_mul_lo_u32 v9, v9, s8
	v_mul_lo_u32 v10, v10, s10
	v_cndmask_b32_e64 v3, 0, 1, vcc
	v_cmp_lt_u32_e32 vcc, s14, v4
	v_sub_u32_e32 v9, v9, v10
	v_add_u32_e32 v10, s9, v24
	v_add_u32_e32 v11, s11, v24
	v_cndmask_b32_e64 v4, 0, 1, vcc
	v_cmp_lt_u32_e32 vcc, s14, v5
	v_mul_lo_u32 v10, v10, s8
	v_mul_lo_u32 v11, v11, s10
	v_cndmask_b32_e64 v5, 0, 1, vcc
	;; [unrolled: 9-line block ×4, first 2 shown]
	v_cmp_lt_u32_e32 vcc, s14, v10
	v_sub_u32_e32 v12, v12, v13
	v_add_u32_e32 v13, s9, v23
	v_add_u32_e32 v14, s11, v23
	v_lshlrev_b16_e32 v3, 8, v3
	v_cndmask_b32_e64 v10, 0, 1, vcc
	v_cmp_lt_u32_e32 vcc, s14, v11
	v_mul_lo_u32 v13, v13, s8
	v_mul_lo_u32 v14, v14, s10
	v_or_b32_e32 v2, v2, v3
	v_lshlrev_b16_e32 v3, 8, v5
	v_cndmask_b32_e64 v11, 0, 1, vcc
	v_cmp_lt_u32_e32 vcc, s14, v12
	v_sub_u32_e32 v13, v13, v14
	v_or_b32_sdwa v3, v4, v3 dst_sel:WORD_1 dst_unused:UNUSED_PAD src0_sel:DWORD src1_sel:DWORD
	v_cndmask_b32_e64 v12, 0, 1, vcc
	v_cmp_lt_u32_e32 vcc, s14, v13
	v_add_u32_e32 v14, s9, v35
	v_add_u32_e32 v15, s11, v35
	v_or_b32_sdwa v40, v2, v3 dst_sel:DWORD dst_unused:UNUSED_PAD src0_sel:WORD_0 src1_sel:DWORD
	v_lshlrev_b16_e32 v2, 8, v7
	v_lshlrev_b16_e32 v3, 8, v9
	v_cndmask_b32_e64 v13, 0, 1, vcc
	v_mul_lo_u32 v14, v14, s8
	v_mul_lo_u32 v15, v15, s10
	v_or_b32_e32 v2, v6, v2
	v_or_b32_sdwa v3, v8, v3 dst_sel:WORD_1 dst_unused:UNUSED_PAD src0_sel:DWORD src1_sel:DWORD
	v_sub_u32_e32 v14, v14, v15
	v_or_b32_sdwa v39, v2, v3 dst_sel:DWORD dst_unused:UNUSED_PAD src0_sel:WORD_0 src1_sel:DWORD
	v_lshlrev_b16_e32 v2, 8, v11
	v_lshlrev_b16_e32 v3, 8, v13
	v_cmp_lt_u32_e32 vcc, s14, v14
	v_or_b32_e32 v2, v10, v2
	v_or_b32_sdwa v3, v12, v3 dst_sel:WORD_1 dst_unused:UNUSED_PAD src0_sel:DWORD src1_sel:DWORD
	v_cndmask_b32_e64 v37, 0, 1, vcc
	v_or_b32_sdwa v38, v2, v3 dst_sel:DWORD dst_unused:UNUSED_PAD src0_sel:WORD_0 src1_sel:DWORD
	s_addk_i32 s33, 0xd00
	s_cbranch_execz .LBB1818_11
	s_branch .LBB1818_38
.LBB1818_10:
                                        ; implicit-def: $vgpr37
                                        ; implicit-def: $vgpr38
                                        ; implicit-def: $vgpr39
                                        ; implicit-def: $vgpr40
	s_addk_i32 s33, 0xd00
.LBB1818_11:
	v_cmp_gt_u32_e32 vcc, s33, v36
	v_mov_b32_e32 v3, 0
	v_mov_b32_e32 v2, 0
	s_and_saveexec_b64 s[4:5], vcc
; %bb.12:
	v_add_u32_e32 v2, s9, v32
	v_add_u32_e32 v4, s11, v32
	v_mul_lo_u32 v2, v2, s8
	v_mul_lo_u32 v4, v4, s10
	v_sub_u32_e32 v2, v2, v4
	v_cmp_lt_u32_e32 vcc, s14, v2
	v_cndmask_b32_e64 v2, 0, 1, vcc
; %bb.13:
	s_or_b64 exec, exec, s[4:5]
	v_add_u32_e32 v4, 1, v36
	v_cmp_gt_u32_e32 vcc, s33, v4
	s_and_saveexec_b64 s[4:5], vcc
; %bb.14:
	v_add_u32_e32 v3, s9, v33
	v_add_u32_e32 v4, s11, v33
	v_mul_lo_u32 v3, v3, s8
	v_mul_lo_u32 v4, v4, s10
	v_sub_u32_e32 v3, v3, v4
	v_cmp_lt_u32_e32 vcc, s14, v3
	v_cndmask_b32_e64 v3, 0, 1, vcc
; %bb.15:
	s_or_b64 exec, exec, s[4:5]
	v_add_u32_e32 v4, 2, v36
	v_cmp_gt_u32_e32 vcc, s33, v4
	v_mov_b32_e32 v5, 0
	v_mov_b32_e32 v4, 0
	s_and_saveexec_b64 s[4:5], vcc
; %bb.16:
	v_add_u32_e32 v4, s9, v30
	v_add_u32_e32 v6, s11, v30
	v_mul_lo_u32 v4, v4, s8
	v_mul_lo_u32 v6, v6, s10
	v_sub_u32_e32 v4, v4, v6
	v_cmp_lt_u32_e32 vcc, s14, v4
	v_cndmask_b32_e64 v4, 0, 1, vcc
; %bb.17:
	s_or_b64 exec, exec, s[4:5]
	v_add_u32_e32 v6, 3, v36
	v_cmp_gt_u32_e32 vcc, s33, v6
	s_and_saveexec_b64 s[4:5], vcc
; %bb.18:
	v_add_u32_e32 v5, s9, v31
	v_add_u32_e32 v6, s11, v31
	v_mul_lo_u32 v5, v5, s8
	v_mul_lo_u32 v6, v6, s10
	v_sub_u32_e32 v5, v5, v6
	v_cmp_lt_u32_e32 vcc, s14, v5
	v_cndmask_b32_e64 v5, 0, 1, vcc
; %bb.19:
	s_or_b64 exec, exec, s[4:5]
	v_add_u32_e32 v6, 4, v36
	;; [unrolled: 28-line block ×6, first 2 shown]
	v_cmp_gt_u32_e32 vcc, s33, v14
	v_mov_b32_e32 v37, 0
	s_and_saveexec_b64 s[4:5], vcc
; %bb.36:
	v_add_u32_e32 v14, s9, v35
	v_add_u32_e32 v15, s11, v35
	v_mul_lo_u32 v14, v14, s8
	v_mul_lo_u32 v15, v15, s10
	v_sub_u32_e32 v14, v14, v15
	v_cmp_lt_u32_e32 vcc, s14, v14
	v_cndmask_b32_e64 v37, 0, 1, vcc
; %bb.37:
	s_or_b64 exec, exec, s[4:5]
	v_lshlrev_b16_e32 v3, 8, v3
	v_or_b32_e32 v2, v2, v3
	v_lshlrev_b16_e32 v3, 8, v5
	v_or_b32_sdwa v3, v4, v3 dst_sel:WORD_1 dst_unused:UNUSED_PAD src0_sel:DWORD src1_sel:DWORD
	v_or_b32_sdwa v40, v2, v3 dst_sel:DWORD dst_unused:UNUSED_PAD src0_sel:WORD_0 src1_sel:DWORD
	v_lshlrev_b16_e32 v2, 8, v7
	v_lshlrev_b16_e32 v3, 8, v9
	v_or_b32_e32 v2, v6, v2
	v_or_b32_sdwa v3, v8, v3 dst_sel:WORD_1 dst_unused:UNUSED_PAD src0_sel:DWORD src1_sel:DWORD
	v_or_b32_sdwa v39, v2, v3 dst_sel:DWORD dst_unused:UNUSED_PAD src0_sel:WORD_0 src1_sel:DWORD
	v_lshlrev_b16_e32 v2, 8, v11
	v_lshlrev_b16_e32 v3, 8, v13
	v_or_b32_e32 v2, v10, v2
	v_or_b32_sdwa v3, v12, v3 dst_sel:WORD_1 dst_unused:UNUSED_PAD src0_sel:DWORD src1_sel:DWORD
	v_or_b32_sdwa v38, v2, v3 dst_sel:DWORD dst_unused:UNUSED_PAD src0_sel:WORD_0 src1_sel:DWORD
.LBB1818_38:
	v_and_b32_e32 v44, 0xff, v40
	v_bfe_u32 v45, v40, 8, 8
	v_bfe_u32 v46, v40, 16, 8
	v_lshrrev_b32_e32 v43, 24, v40
	v_and_b32_e32 v47, 0xff, v39
	v_add3_u32 v3, v45, v44, v46
	v_bfe_u32 v48, v39, 8, 8
	v_bfe_u32 v49, v39, 16, 8
	v_add3_u32 v3, v3, v43, v47
	v_lshrrev_b32_e32 v42, 24, v39
	v_and_b32_e32 v50, 0xff, v38
	v_add3_u32 v3, v3, v48, v49
	v_bfe_u32 v51, v38, 8, 8
	v_bfe_u32 v52, v38, 16, 8
	v_add3_u32 v3, v3, v42, v50
	v_lshrrev_b32_e32 v41, 24, v38
	v_and_b32_e32 v2, 0xff, v37
	v_add3_u32 v3, v3, v51, v52
	v_add3_u32 v55, v3, v41, v2
	v_mbcnt_lo_u32_b32 v2, -1, 0
	v_mbcnt_hi_u32_b32 v53, -1, v2
	v_and_b32_e32 v2, 15, v53
	v_cmp_eq_u32_e64 s[16:17], 0, v2
	v_cmp_lt_u32_e64 s[14:15], 1, v2
	v_cmp_lt_u32_e64 s[12:13], 3, v2
	;; [unrolled: 1-line block ×3, first 2 shown]
	v_and_b32_e32 v2, 16, v53
	v_cmp_eq_u32_e64 s[8:9], 0, v2
	v_or_b32_e32 v2, 63, v0
	s_cmp_lg_u32 s40, 0
	v_cmp_lt_u32_e64 s[4:5], 31, v53
	v_lshrrev_b32_e32 v54, 6, v0
	v_cmp_eq_u32_e64 s[6:7], v2, v0
	s_cbranch_scc0 .LBB1818_69
; %bb.39:
	v_mov_b32_dpp v2, v55 row_shr:1 row_mask:0xf bank_mask:0xf
	v_cndmask_b32_e64 v2, v2, 0, s[16:17]
	v_add_u32_e32 v2, v2, v55
	s_nop 1
	v_mov_b32_dpp v3, v2 row_shr:2 row_mask:0xf bank_mask:0xf
	v_cndmask_b32_e64 v3, 0, v3, s[14:15]
	v_add_u32_e32 v2, v2, v3
	s_nop 1
	;; [unrolled: 4-line block ×4, first 2 shown]
	v_mov_b32_dpp v3, v2 row_bcast:15 row_mask:0xf bank_mask:0xf
	v_cndmask_b32_e64 v3, v3, 0, s[8:9]
	v_add_u32_e32 v2, v2, v3
	s_nop 1
	v_mov_b32_dpp v3, v2 row_bcast:31 row_mask:0xf bank_mask:0xf
	v_cndmask_b32_e64 v3, 0, v3, s[4:5]
	v_add_u32_e32 v2, v2, v3
	s_and_saveexec_b64 s[18:19], s[6:7]
	s_cbranch_execz .LBB1818_41
; %bb.40:
	v_lshlrev_b32_e32 v3, 2, v54
	ds_write_b32 v3, v2
.LBB1818_41:
	s_or_b64 exec, exec, s[18:19]
	v_cmp_gt_u32_e32 vcc, 4, v0
	s_waitcnt lgkmcnt(0)
	s_barrier
	s_and_saveexec_b64 s[18:19], vcc
	s_cbranch_execz .LBB1818_43
; %bb.42:
	ds_read_b32 v3, v34
	v_and_b32_e32 v4, 3, v53
	v_cmp_ne_u32_e32 vcc, 0, v4
	s_waitcnt lgkmcnt(0)
	v_mov_b32_dpp v5, v3 row_shr:1 row_mask:0xf bank_mask:0xf
	v_cndmask_b32_e32 v5, 0, v5, vcc
	v_add_u32_e32 v3, v5, v3
	v_cmp_lt_u32_e32 vcc, 1, v4
	s_nop 0
	v_mov_b32_dpp v5, v3 row_shr:2 row_mask:0xf bank_mask:0xf
	v_cndmask_b32_e32 v4, 0, v5, vcc
	v_add_u32_e32 v3, v3, v4
	ds_write_b32 v34, v3
.LBB1818_43:
	s_or_b64 exec, exec, s[18:19]
	v_cmp_gt_u32_e32 vcc, 64, v0
	v_cmp_lt_u32_e64 s[18:19], 63, v0
	s_waitcnt lgkmcnt(0)
	s_barrier
	s_waitcnt lgkmcnt(0)
                                        ; implicit-def: $vgpr12
	s_and_saveexec_b64 s[34:35], s[18:19]
	s_cbranch_execz .LBB1818_45
; %bb.44:
	v_lshl_add_u32 v3, v54, 2, -4
	ds_read_b32 v12, v3
	s_waitcnt lgkmcnt(0)
	v_add_u32_e32 v2, v12, v2
.LBB1818_45:
	s_or_b64 exec, exec, s[34:35]
	v_add_u32_e32 v3, -1, v53
	v_and_b32_e32 v4, 64, v53
	v_cmp_lt_i32_e64 s[18:19], v3, v4
	v_cndmask_b32_e64 v3, v3, v53, s[18:19]
	v_lshlrev_b32_e32 v3, 2, v3
	ds_bpermute_b32 v13, v3, v2
	v_cmp_eq_u32_e64 s[18:19], 0, v53
	s_and_saveexec_b64 s[34:35], vcc
	s_cbranch_execz .LBB1818_68
; %bb.46:
	v_mov_b32_e32 v11, 0
	ds_read_b32 v2, v11 offset:12
	s_and_saveexec_b64 s[36:37], s[18:19]
	s_cbranch_execz .LBB1818_48
; %bb.47:
	s_add_i32 s38, s40, 64
	s_mov_b32 s39, 0
	s_lshl_b64 s[38:39], s[38:39], 3
	s_add_u32 s38, s30, s38
	v_mov_b32_e32 v3, 1
	s_addc_u32 s39, s31, s39
	s_waitcnt lgkmcnt(0)
	global_store_dwordx2 v11, v[2:3], s[38:39]
.LBB1818_48:
	s_or_b64 exec, exec, s[36:37]
	v_xad_u32 v4, v53, -1, s40
	v_add_u32_e32 v10, 64, v4
	v_lshlrev_b64 v[6:7], 3, v[10:11]
	v_mov_b32_e32 v3, s31
	v_add_co_u32_e32 v6, vcc, s30, v6
	v_addc_co_u32_e32 v7, vcc, v3, v7, vcc
	global_load_dwordx2 v[8:9], v[6:7], off glc
	s_waitcnt vmcnt(0)
	v_cmp_eq_u16_sdwa s[38:39], v9, v11 src0_sel:BYTE_0 src1_sel:DWORD
	s_and_saveexec_b64 s[36:37], s[38:39]
	s_cbranch_execz .LBB1818_54
; %bb.49:
	s_mov_b32 s41, 1
	s_mov_b64 s[38:39], 0
	v_mov_b32_e32 v3, 0
.LBB1818_50:                            ; =>This Loop Header: Depth=1
                                        ;     Child Loop BB1818_51 Depth 2
	s_max_u32 s42, s41, 1
.LBB1818_51:                            ;   Parent Loop BB1818_50 Depth=1
                                        ; =>  This Inner Loop Header: Depth=2
	s_add_i32 s42, s42, -1
	s_cmp_eq_u32 s42, 0
	s_sleep 1
	s_cbranch_scc0 .LBB1818_51
; %bb.52:                               ;   in Loop: Header=BB1818_50 Depth=1
	global_load_dwordx2 v[8:9], v[6:7], off glc
	s_cmp_lt_u32 s41, 32
	s_cselect_b64 s[42:43], -1, 0
	s_cmp_lg_u64 s[42:43], 0
	s_addc_u32 s41, s41, 0
	s_waitcnt vmcnt(0)
	v_cmp_ne_u16_sdwa s[42:43], v9, v3 src0_sel:BYTE_0 src1_sel:DWORD
	s_or_b64 s[38:39], s[42:43], s[38:39]
	s_andn2_b64 exec, exec, s[38:39]
	s_cbranch_execnz .LBB1818_50
; %bb.53:
	s_or_b64 exec, exec, s[38:39]
.LBB1818_54:
	s_or_b64 exec, exec, s[36:37]
	v_and_b32_e32 v14, 63, v53
	v_mov_b32_e32 v3, 2
	v_cmp_ne_u32_e32 vcc, 63, v14
	v_cmp_eq_u16_sdwa s[36:37], v9, v3 src0_sel:BYTE_0 src1_sel:DWORD
	v_lshlrev_b64 v[6:7], v53, -1
	v_addc_co_u32_e32 v11, vcc, 0, v53, vcc
	v_and_b32_e32 v5, s37, v7
	v_lshlrev_b32_e32 v15, 2, v11
	v_or_b32_e32 v5, 0x80000000, v5
	ds_bpermute_b32 v11, v15, v8
	v_and_b32_e32 v10, s36, v6
	v_ffbl_b32_e32 v5, v5
	v_add_u32_e32 v5, 32, v5
	v_ffbl_b32_e32 v10, v10
	v_min_u32_e32 v5, v10, v5
	v_cmp_lt_u32_e32 vcc, v14, v5
	s_waitcnt lgkmcnt(0)
	v_cndmask_b32_e32 v10, 0, v11, vcc
	v_cmp_gt_u32_e32 vcc, 62, v14
	v_add_u32_e32 v8, v10, v8
	v_cndmask_b32_e64 v10, 0, 1, vcc
	v_lshlrev_b32_e32 v10, 1, v10
	v_add_lshl_u32 v16, v10, v53, 2
	ds_bpermute_b32 v10, v16, v8
	v_add_u32_e32 v17, 2, v14
	v_cmp_le_u32_e32 vcc, v17, v5
	v_add_u32_e32 v19, 4, v14
	v_add_u32_e32 v57, 8, v14
	s_waitcnt lgkmcnt(0)
	v_cndmask_b32_e32 v10, 0, v10, vcc
	v_cmp_gt_u32_e32 vcc, 60, v14
	v_add_u32_e32 v8, v8, v10
	v_cndmask_b32_e64 v10, 0, 1, vcc
	v_lshlrev_b32_e32 v10, 2, v10
	v_add_lshl_u32 v18, v10, v53, 2
	ds_bpermute_b32 v10, v18, v8
	v_cmp_le_u32_e32 vcc, v19, v5
	v_add_u32_e32 v60, 16, v14
	v_add_u32_e32 v62, 32, v14
	s_waitcnt lgkmcnt(0)
	v_cndmask_b32_e32 v10, 0, v10, vcc
	v_cmp_gt_u32_e32 vcc, 56, v14
	v_add_u32_e32 v8, v8, v10
	v_cndmask_b32_e64 v10, 0, 1, vcc
	v_lshlrev_b32_e32 v10, 3, v10
	v_add_lshl_u32 v56, v10, v53, 2
	ds_bpermute_b32 v10, v56, v8
	v_cmp_le_u32_e32 vcc, v57, v5
	s_waitcnt lgkmcnt(0)
	v_cndmask_b32_e32 v10, 0, v10, vcc
	v_cmp_gt_u32_e32 vcc, 48, v14
	v_add_u32_e32 v8, v8, v10
	v_cndmask_b32_e64 v10, 0, 1, vcc
	v_lshlrev_b32_e32 v10, 4, v10
	v_add_lshl_u32 v59, v10, v53, 2
	ds_bpermute_b32 v10, v59, v8
	v_cmp_le_u32_e32 vcc, v60, v5
	;; [unrolled: 9-line block ×3, first 2 shown]
	s_waitcnt lgkmcnt(0)
	v_cndmask_b32_e32 v5, 0, v10, vcc
	v_add_u32_e32 v8, v8, v5
	v_mov_b32_e32 v5, 0
	s_branch .LBB1818_56
.LBB1818_55:                            ;   in Loop: Header=BB1818_56 Depth=1
	s_or_b64 exec, exec, s[36:37]
	v_cmp_eq_u16_sdwa s[36:37], v9, v3 src0_sel:BYTE_0 src1_sel:DWORD
	v_and_b32_e32 v10, s37, v7
	v_or_b32_e32 v10, 0x80000000, v10
	ds_bpermute_b32 v63, v15, v8
	v_and_b32_e32 v11, s36, v6
	v_ffbl_b32_e32 v10, v10
	v_add_u32_e32 v10, 32, v10
	v_ffbl_b32_e32 v11, v11
	v_min_u32_e32 v10, v11, v10
	v_cmp_lt_u32_e32 vcc, v14, v10
	s_waitcnt lgkmcnt(0)
	v_cndmask_b32_e32 v11, 0, v63, vcc
	v_add_u32_e32 v8, v11, v8
	ds_bpermute_b32 v11, v16, v8
	v_cmp_le_u32_e32 vcc, v17, v10
	v_subrev_u32_e32 v4, 64, v4
	s_waitcnt lgkmcnt(0)
	v_cndmask_b32_e32 v11, 0, v11, vcc
	v_add_u32_e32 v8, v8, v11
	ds_bpermute_b32 v11, v18, v8
	v_cmp_le_u32_e32 vcc, v19, v10
	s_waitcnt lgkmcnt(0)
	v_cndmask_b32_e32 v11, 0, v11, vcc
	v_add_u32_e32 v8, v8, v11
	ds_bpermute_b32 v11, v56, v8
	v_cmp_le_u32_e32 vcc, v57, v10
	;; [unrolled: 5-line block ×4, first 2 shown]
	s_waitcnt lgkmcnt(0)
	v_cndmask_b32_e32 v10, 0, v11, vcc
	v_add3_u32 v8, v10, v58, v8
.LBB1818_56:                            ; =>This Loop Header: Depth=1
                                        ;     Child Loop BB1818_59 Depth 2
                                        ;       Child Loop BB1818_60 Depth 3
	v_cmp_ne_u16_sdwa s[36:37], v9, v3 src0_sel:BYTE_0 src1_sel:DWORD
	v_cndmask_b32_e64 v9, 0, 1, s[36:37]
	;;#ASMSTART
	;;#ASMEND
	v_cmp_ne_u32_e32 vcc, 0, v9
	s_cmp_lg_u64 vcc, exec
	v_mov_b32_e32 v58, v8
	s_cbranch_scc1 .LBB1818_63
; %bb.57:                               ;   in Loop: Header=BB1818_56 Depth=1
	v_lshlrev_b64 v[8:9], 3, v[4:5]
	v_mov_b32_e32 v11, s31
	v_add_co_u32_e32 v10, vcc, s30, v8
	v_addc_co_u32_e32 v11, vcc, v11, v9, vcc
	global_load_dwordx2 v[8:9], v[10:11], off glc
	s_waitcnt vmcnt(0)
	v_cmp_eq_u16_sdwa s[38:39], v9, v5 src0_sel:BYTE_0 src1_sel:DWORD
	s_and_saveexec_b64 s[36:37], s[38:39]
	s_cbranch_execz .LBB1818_55
; %bb.58:                               ;   in Loop: Header=BB1818_56 Depth=1
	s_mov_b32 s41, 1
	s_mov_b64 s[38:39], 0
.LBB1818_59:                            ;   Parent Loop BB1818_56 Depth=1
                                        ; =>  This Loop Header: Depth=2
                                        ;       Child Loop BB1818_60 Depth 3
	s_max_u32 s42, s41, 1
.LBB1818_60:                            ;   Parent Loop BB1818_56 Depth=1
                                        ;     Parent Loop BB1818_59 Depth=2
                                        ; =>    This Inner Loop Header: Depth=3
	s_add_i32 s42, s42, -1
	s_cmp_eq_u32 s42, 0
	s_sleep 1
	s_cbranch_scc0 .LBB1818_60
; %bb.61:                               ;   in Loop: Header=BB1818_59 Depth=2
	global_load_dwordx2 v[8:9], v[10:11], off glc
	s_cmp_lt_u32 s41, 32
	s_cselect_b64 s[42:43], -1, 0
	s_cmp_lg_u64 s[42:43], 0
	s_addc_u32 s41, s41, 0
	s_waitcnt vmcnt(0)
	v_cmp_ne_u16_sdwa s[42:43], v9, v5 src0_sel:BYTE_0 src1_sel:DWORD
	s_or_b64 s[38:39], s[42:43], s[38:39]
	s_andn2_b64 exec, exec, s[38:39]
	s_cbranch_execnz .LBB1818_59
; %bb.62:                               ;   in Loop: Header=BB1818_56 Depth=1
	s_or_b64 exec, exec, s[38:39]
	s_branch .LBB1818_55
.LBB1818_63:                            ;   in Loop: Header=BB1818_56 Depth=1
                                        ; implicit-def: $vgpr8
                                        ; implicit-def: $vgpr9
	s_cbranch_execz .LBB1818_56
; %bb.64:
	s_and_saveexec_b64 s[36:37], s[18:19]
	s_cbranch_execz .LBB1818_66
; %bb.65:
	s_add_i32 s38, s40, 64
	s_mov_b32 s39, 0
	s_lshl_b64 s[38:39], s[38:39], 3
	s_add_u32 s38, s30, s38
	v_add_u32_e32 v4, v58, v2
	v_mov_b32_e32 v5, 2
	s_addc_u32 s39, s31, s39
	v_mov_b32_e32 v3, 0
	global_store_dwordx2 v3, v[4:5], s[38:39]
	s_movk_i32 s38, 0x3400
	v_add_u32_e64 v3, s38, 0
	ds_write2_b32 v3, v2, v58 offset1:2
.LBB1818_66:
	s_or_b64 exec, exec, s[36:37]
	s_and_b64 exec, exec, s[0:1]
	s_cbranch_execz .LBB1818_68
; %bb.67:
	v_mov_b32_e32 v2, 0
	ds_write_b32 v2, v58 offset:12
.LBB1818_68:
	s_or_b64 exec, exec, s[34:35]
	v_mov_b32_e32 v2, 0
	s_waitcnt lgkmcnt(0)
	s_barrier
	ds_read_b32 v2, v2 offset:12
	v_cndmask_b32_e64 v3, v13, v12, s[18:19]
	v_cndmask_b32_e64 v3, v3, 0, s[0:1]
	s_movk_i32 s18, 0x3400
	v_add_u32_e64 v12, s18, 0
	s_waitcnt lgkmcnt(0)
	v_add_u32_e32 v2, v2, v3
	v_add_u32_e32 v3, v2, v44
	v_add_u32_e32 v4, v3, v45
	v_add_u32_e32 v5, v4, v46
	v_add_u32_e32 v6, v5, v43
	v_add_u32_e32 v7, v6, v47
	v_add_u32_e32 v8, v7, v48
	v_add_u32_e32 v9, v8, v49
	v_add_u32_e32 v10, v9, v42
	s_barrier
	ds_read2_b32 v[18:19], v12 offset1:2
	v_add_u32_e32 v11, v10, v50
	v_add_u32_e32 v12, v11, v51
	;; [unrolled: 1-line block ×4, first 2 shown]
	s_branch .LBB1818_79
.LBB1818_69:
                                        ; implicit-def: $vgpr19
                                        ; implicit-def: $vgpr2_vgpr3_vgpr4_vgpr5_vgpr6_vgpr7_vgpr8_vgpr9_vgpr10_vgpr11_vgpr12_vgpr13_vgpr14_vgpr15_vgpr16_vgpr17
	s_cbranch_execz .LBB1818_79
; %bb.70:
	s_nop 0
	v_mov_b32_dpp v2, v55 row_shr:1 row_mask:0xf bank_mask:0xf
	v_cndmask_b32_e64 v2, v2, 0, s[16:17]
	v_add_u32_e32 v2, v2, v55
	s_nop 1
	v_mov_b32_dpp v3, v2 row_shr:2 row_mask:0xf bank_mask:0xf
	v_cndmask_b32_e64 v3, 0, v3, s[14:15]
	v_add_u32_e32 v2, v2, v3
	;; [unrolled: 4-line block ×4, first 2 shown]
	s_nop 1
	v_mov_b32_dpp v3, v2 row_bcast:15 row_mask:0xf bank_mask:0xf
	v_cndmask_b32_e64 v3, v3, 0, s[8:9]
	v_add_u32_e32 v2, v2, v3
	s_nop 1
	v_mov_b32_dpp v3, v2 row_bcast:31 row_mask:0xf bank_mask:0xf
	v_cndmask_b32_e64 v3, 0, v3, s[4:5]
	v_add_u32_e32 v2, v2, v3
	s_and_saveexec_b64 s[4:5], s[6:7]
	s_cbranch_execz .LBB1818_72
; %bb.71:
	v_lshlrev_b32_e32 v3, 2, v54
	ds_write_b32 v3, v2
.LBB1818_72:
	s_or_b64 exec, exec, s[4:5]
	v_cmp_gt_u32_e32 vcc, 4, v0
	s_waitcnt lgkmcnt(0)
	s_barrier
	s_and_saveexec_b64 s[4:5], vcc
	s_cbranch_execz .LBB1818_74
; %bb.73:
	ds_read_b32 v3, v34
	v_and_b32_e32 v4, 3, v53
	v_cmp_ne_u32_e32 vcc, 0, v4
	s_waitcnt lgkmcnt(0)
	v_mov_b32_dpp v5, v3 row_shr:1 row_mask:0xf bank_mask:0xf
	v_cndmask_b32_e32 v5, 0, v5, vcc
	v_add_u32_e32 v3, v5, v3
	v_cmp_lt_u32_e32 vcc, 1, v4
	s_nop 0
	v_mov_b32_dpp v5, v3 row_shr:2 row_mask:0xf bank_mask:0xf
	v_cndmask_b32_e32 v4, 0, v5, vcc
	v_add_u32_e32 v3, v3, v4
	ds_write_b32 v34, v3
.LBB1818_74:
	s_or_b64 exec, exec, s[4:5]
	v_cmp_lt_u32_e32 vcc, 63, v0
	v_mov_b32_e32 v4, 0
	v_mov_b32_e32 v3, 0
	s_waitcnt lgkmcnt(0)
	s_barrier
	s_and_saveexec_b64 s[4:5], vcc
	s_cbranch_execz .LBB1818_76
; %bb.75:
	v_lshl_add_u32 v3, v54, 2, -4
	ds_read_b32 v3, v3
.LBB1818_76:
	s_or_b64 exec, exec, s[4:5]
	v_add_u32_e32 v5, -1, v53
	v_and_b32_e32 v6, 64, v53
	v_cmp_lt_i32_e32 vcc, v5, v6
	v_cndmask_b32_e32 v5, v5, v53, vcc
	s_waitcnt lgkmcnt(0)
	v_add_u32_e32 v2, v3, v2
	v_lshlrev_b32_e32 v5, 2, v5
	ds_bpermute_b32 v2, v5, v2
	ds_read_b32 v18, v4 offset:12
	s_and_saveexec_b64 s[4:5], s[0:1]
	s_cbranch_execz .LBB1818_78
; %bb.77:
	v_mov_b32_e32 v4, 0
	v_mov_b32_e32 v19, 2
	s_waitcnt lgkmcnt(0)
	global_store_dwordx2 v4, v[18:19], s[30:31] offset:512
.LBB1818_78:
	s_or_b64 exec, exec, s[4:5]
	v_cmp_eq_u32_e32 vcc, 0, v53
	s_waitcnt lgkmcnt(1)
	v_cndmask_b32_e32 v2, v2, v3, vcc
	v_cndmask_b32_e64 v2, v2, 0, s[0:1]
	v_add_u32_e32 v3, v2, v44
	v_add_u32_e32 v4, v3, v45
	;; [unrolled: 1-line block ×11, first 2 shown]
	v_mov_b32_e32 v19, 0
	v_add_u32_e32 v14, v13, v41
	s_waitcnt lgkmcnt(0)
	s_barrier
.LBB1818_79:
	s_waitcnt lgkmcnt(0)
	v_add_u32_e32 v36, v18, v36
	v_sub_u32_e32 v2, v2, v19
	v_and_b32_e32 v45, 1, v40
	v_sub_u32_e32 v44, v36, v2
	v_cmp_eq_u32_e32 vcc, 1, v45
	v_cndmask_b32_e32 v2, v44, v2, vcc
	v_lshlrev_b32_e32 v2, 2, v2
	v_lshrrev_b32_e32 v17, 8, v40
	ds_write_b32 v2, v32
	v_sub_u32_e32 v2, v3, v19
	v_sub_u32_e32 v3, v36, v2
	v_and_b32_e32 v17, 1, v17
	v_add_u32_e32 v3, 1, v3
	v_cmp_eq_u32_e32 vcc, 1, v17
	v_cndmask_b32_e32 v2, v3, v2, vcc
	v_lshlrev_b32_e32 v2, 2, v2
	ds_write_b32 v2, v33
	v_sub_u32_e32 v2, v4, v19
	v_mov_b32_e32 v4, 1
	v_sub_u32_e32 v3, v36, v2
	v_and_b32_sdwa v17, v4, v40 dst_sel:DWORD dst_unused:UNUSED_PAD src0_sel:DWORD src1_sel:WORD_1
	v_add_u32_e32 v3, 2, v3
	v_cmp_eq_u32_e32 vcc, 1, v17
	v_cndmask_b32_e32 v2, v3, v2, vcc
	v_lshlrev_b32_e32 v2, 2, v2
	ds_write_b32 v2, v30
	v_sub_u32_e32 v2, v5, v19
	v_sub_u32_e32 v3, v36, v2
	v_and_b32_e32 v5, 1, v43
	v_add_u32_e32 v3, 3, v3
	v_cmp_eq_u32_e32 vcc, 1, v5
	v_cndmask_b32_e32 v2, v3, v2, vcc
	v_lshlrev_b32_e32 v2, 2, v2
	ds_write_b32 v2, v31
	v_sub_u32_e32 v2, v6, v19
	v_sub_u32_e32 v3, v36, v2
	v_and_b32_e32 v5, 1, v39
	v_add_u32_e32 v3, 4, v3
	v_cmp_eq_u32_e32 vcc, 1, v5
	v_cndmask_b32_e32 v2, v3, v2, vcc
	v_lshlrev_b32_e32 v2, 2, v2
	v_lshrrev_b32_e32 v16, 8, v39
	ds_write_b32 v2, v28
	v_sub_u32_e32 v2, v7, v19
	v_sub_u32_e32 v3, v36, v2
	v_and_b32_e32 v5, 1, v16
	v_add_u32_e32 v3, 5, v3
	v_cmp_eq_u32_e32 vcc, 1, v5
	v_cndmask_b32_e32 v2, v3, v2, vcc
	v_lshlrev_b32_e32 v2, 2, v2
	ds_write_b32 v2, v29
	v_sub_u32_e32 v2, v8, v19
	v_sub_u32_e32 v3, v36, v2
	v_and_b32_sdwa v5, v4, v39 dst_sel:DWORD dst_unused:UNUSED_PAD src0_sel:DWORD src1_sel:WORD_1
	v_add_u32_e32 v3, 6, v3
	v_cmp_eq_u32_e32 vcc, 1, v5
	v_cndmask_b32_e32 v2, v3, v2, vcc
	v_lshlrev_b32_e32 v2, 2, v2
	ds_write_b32 v2, v26
	v_sub_u32_e32 v2, v9, v19
	v_sub_u32_e32 v3, v36, v2
	v_and_b32_e32 v5, 1, v42
	v_add_u32_e32 v3, 7, v3
	v_cmp_eq_u32_e32 vcc, 1, v5
	v_cndmask_b32_e32 v2, v3, v2, vcc
	v_lshlrev_b32_e32 v2, 2, v2
	ds_write_b32 v2, v27
	v_sub_u32_e32 v2, v10, v19
	v_sub_u32_e32 v3, v36, v2
	v_and_b32_e32 v5, 1, v38
	v_add_u32_e32 v3, 8, v3
	v_cmp_eq_u32_e32 vcc, 1, v5
	v_cndmask_b32_e32 v2, v3, v2, vcc
	v_lshlrev_b32_e32 v2, 2, v2
	v_lshrrev_b32_e32 v15, 8, v38
	ds_write_b32 v2, v24
	v_sub_u32_e32 v2, v11, v19
	v_sub_u32_e32 v3, v36, v2
	v_and_b32_e32 v5, 1, v15
	v_add_u32_e32 v3, 9, v3
	v_cmp_eq_u32_e32 vcc, 1, v5
	v_cndmask_b32_e32 v2, v3, v2, vcc
	v_lshlrev_b32_e32 v2, 2, v2
	ds_write_b32 v2, v25
	v_sub_u32_e32 v2, v12, v19
	v_sub_u32_e32 v3, v36, v2
	v_and_b32_sdwa v4, v4, v38 dst_sel:DWORD dst_unused:UNUSED_PAD src0_sel:DWORD src1_sel:WORD_1
	v_add_u32_e32 v3, 10, v3
	v_cmp_eq_u32_e32 vcc, 1, v4
	v_cndmask_b32_e32 v2, v3, v2, vcc
	v_lshlrev_b32_e32 v2, 2, v2
	ds_write_b32 v2, v22
	v_sub_u32_e32 v2, v13, v19
	v_sub_u32_e32 v3, v36, v2
	v_and_b32_e32 v4, 1, v41
	v_add_u32_e32 v3, 11, v3
	v_cmp_eq_u32_e32 vcc, 1, v4
	v_cndmask_b32_e32 v2, v3, v2, vcc
	v_lshlrev_b32_e32 v2, 2, v2
	ds_write_b32 v2, v23
	v_sub_u32_e32 v2, v14, v19
	v_sub_u32_e32 v3, v36, v2
	v_and_b32_e32 v4, 1, v37
	v_add_u32_e32 v3, 12, v3
	v_cmp_eq_u32_e32 vcc, 1, v4
	v_cndmask_b32_e32 v2, v3, v2, vcc
	s_waitcnt vmcnt(0)
	v_add_co_u32_e32 v16, vcc, v20, v19
	v_addc_co_u32_e32 v17, vcc, 0, v21, vcc
	v_mov_b32_e32 v14, s29
	v_add_co_u32_e32 v1, vcc, s28, v1
	v_addc_co_u32_e32 v14, vcc, 0, v14, vcc
	v_lshlrev_b32_e32 v2, 2, v2
	v_mov_b32_e32 v15, s27
	v_sub_co_u32_e32 v1, vcc, s26, v1
	ds_write_b32 v2, v35
	s_waitcnt lgkmcnt(0)
	s_barrier
	ds_read2st64_b32 v[12:13], v34 offset1:4
	ds_read2st64_b32 v[10:11], v34 offset0:8 offset1:12
	ds_read2st64_b32 v[8:9], v34 offset0:16 offset1:20
	;; [unrolled: 1-line block ×5, first 2 shown]
	ds_read_b32 v22, v34 offset:12288
	v_subb_co_u32_e32 v14, vcc, v15, v14, vcc
	v_add_co_u32_e32 v1, vcc, v1, v18
	v_addc_co_u32_e32 v14, vcc, 0, v14, vcc
	s_and_b64 vcc, exec, s[2:3]
	v_add_co_u32_e64 v1, s[2:3], v1, v16
	v_or_b32_e32 v35, 0x100, v0
	v_or_b32_e32 v33, 0x200, v0
	;; [unrolled: 1-line block ×12, first 2 shown]
	v_addc_co_u32_e64 v19, s[2:3], v14, v17, s[2:3]
	s_cbranch_vccnz .LBB1818_136
; %bb.80:
	v_cmp_ge_u32_e32 vcc, v0, v18
                                        ; implicit-def: $vgpr14_vgpr15
	s_and_saveexec_b64 s[2:3], vcc
	s_xor_b64 s[2:3], exec, s[2:3]
; %bb.81:
	v_not_b32_e32 v14, v0
	v_ashrrev_i32_e32 v15, 31, v14
	v_add_co_u32_e32 v14, vcc, v1, v14
	v_addc_co_u32_e32 v15, vcc, v19, v15, vcc
; %bb.82:
	s_andn2_saveexec_b64 s[2:3], s[2:3]
; %bb.83:
	v_add_co_u32_e32 v14, vcc, v16, v0
	v_addc_co_u32_e32 v15, vcc, 0, v17, vcc
; %bb.84:
	s_or_b64 exec, exec, s[2:3]
	v_lshlrev_b64 v[14:15], 2, v[14:15]
	v_mov_b32_e32 v20, s25
	v_add_co_u32_e32 v14, vcc, s24, v14
	v_addc_co_u32_e32 v15, vcc, v20, v15, vcc
	v_cmp_ge_u32_e32 vcc, v35, v18
	s_waitcnt lgkmcnt(6)
	global_store_dword v[14:15], v12, off
                                        ; implicit-def: $vgpr14_vgpr15
	s_and_saveexec_b64 s[2:3], vcc
	s_xor_b64 s[2:3], exec, s[2:3]
; %bb.85:
	v_xor_b32_e32 v14, 0xfffffeff, v0
	v_ashrrev_i32_e32 v15, 31, v14
	v_add_co_u32_e32 v14, vcc, v1, v14
	v_addc_co_u32_e32 v15, vcc, v19, v15, vcc
; %bb.86:
	s_andn2_saveexec_b64 s[2:3], s[2:3]
; %bb.87:
	v_add_co_u32_e32 v14, vcc, v16, v35
	v_addc_co_u32_e32 v15, vcc, 0, v17, vcc
; %bb.88:
	s_or_b64 exec, exec, s[2:3]
	v_lshlrev_b64 v[14:15], 2, v[14:15]
	v_mov_b32_e32 v20, s25
	v_add_co_u32_e32 v14, vcc, s24, v14
	v_addc_co_u32_e32 v15, vcc, v20, v15, vcc
	v_cmp_ge_u32_e32 vcc, v33, v18
	global_store_dword v[14:15], v13, off
                                        ; implicit-def: $vgpr14_vgpr15
	s_and_saveexec_b64 s[2:3], vcc
	s_xor_b64 s[2:3], exec, s[2:3]
; %bb.89:
	v_xor_b32_e32 v14, 0xfffffdff, v0
	v_ashrrev_i32_e32 v15, 31, v14
	v_add_co_u32_e32 v14, vcc, v1, v14
	v_addc_co_u32_e32 v15, vcc, v19, v15, vcc
; %bb.90:
	s_andn2_saveexec_b64 s[2:3], s[2:3]
; %bb.91:
	v_add_co_u32_e32 v14, vcc, v16, v33
	v_addc_co_u32_e32 v15, vcc, 0, v17, vcc
; %bb.92:
	s_or_b64 exec, exec, s[2:3]
	v_lshlrev_b64 v[14:15], 2, v[14:15]
	v_mov_b32_e32 v20, s25
	v_add_co_u32_e32 v14, vcc, s24, v14
	v_addc_co_u32_e32 v15, vcc, v20, v15, vcc
	v_cmp_ge_u32_e32 vcc, v32, v18
	s_waitcnt lgkmcnt(5)
	global_store_dword v[14:15], v10, off
                                        ; implicit-def: $vgpr14_vgpr15
	s_and_saveexec_b64 s[2:3], vcc
	s_xor_b64 s[2:3], exec, s[2:3]
; %bb.93:
	v_xor_b32_e32 v14, 0xfffffcff, v0
	v_ashrrev_i32_e32 v15, 31, v14
	v_add_co_u32_e32 v14, vcc, v1, v14
	v_addc_co_u32_e32 v15, vcc, v19, v15, vcc
; %bb.94:
	s_andn2_saveexec_b64 s[2:3], s[2:3]
; %bb.95:
	v_add_co_u32_e32 v14, vcc, v16, v32
	v_addc_co_u32_e32 v15, vcc, 0, v17, vcc
; %bb.96:
	s_or_b64 exec, exec, s[2:3]
	v_lshlrev_b64 v[14:15], 2, v[14:15]
	v_mov_b32_e32 v20, s25
	v_add_co_u32_e32 v14, vcc, s24, v14
	v_addc_co_u32_e32 v15, vcc, v20, v15, vcc
	v_cmp_ge_u32_e32 vcc, v31, v18
	global_store_dword v[14:15], v11, off
                                        ; implicit-def: $vgpr14_vgpr15
	s_and_saveexec_b64 s[2:3], vcc
	s_xor_b64 s[2:3], exec, s[2:3]
; %bb.97:
	v_xor_b32_e32 v14, 0xfffffbff, v0
	;; [unrolled: 43-line block ×6, first 2 shown]
	v_ashrrev_i32_e32 v15, 31, v14
	v_add_co_u32_e32 v14, vcc, v1, v14
	v_addc_co_u32_e32 v15, vcc, v19, v15, vcc
; %bb.130:
	s_andn2_saveexec_b64 s[2:3], s[2:3]
; %bb.131:
	v_add_co_u32_e32 v14, vcc, v16, v23
	v_addc_co_u32_e32 v15, vcc, 0, v17, vcc
; %bb.132:
	s_or_b64 exec, exec, s[2:3]
	s_mov_b64 s[2:3], -1
.LBB1818_133:
	s_and_saveexec_b64 s[4:5], s[2:3]
	s_cbranch_execz .LBB1818_216
.LBB1818_134:
	v_lshlrev_b64 v[0:1], 2, v[14:15]
	s_waitcnt lgkmcnt(1)
	v_mov_b32_e32 v2, s25
	v_add_co_u32_e32 v0, vcc, s24, v0
	v_addc_co_u32_e32 v1, vcc, v2, v1, vcc
	s_waitcnt lgkmcnt(0)
	global_store_dword v[0:1], v22, off
	s_or_b64 exec, exec, s[4:5]
	s_and_b64 s[0:1], s[0:1], s[22:23]
	s_and_saveexec_b64 s[2:3], s[0:1]
	s_cbranch_execnz .LBB1818_217
.LBB1818_135:
	s_endpgm
.LBB1818_136:
	s_mov_b64 s[2:3], 0
                                        ; implicit-def: $vgpr14_vgpr15
	s_cbranch_execz .LBB1818_133
; %bb.137:
	v_cmp_gt_u32_e32 vcc, s33, v0
	s_and_saveexec_b64 s[4:5], vcc
	s_cbranch_execz .LBB1818_173
; %bb.138:
	v_cmp_ge_u32_e32 vcc, v0, v18
                                        ; implicit-def: $vgpr14_vgpr15
	s_and_saveexec_b64 s[6:7], vcc
	s_xor_b64 s[6:7], exec, s[6:7]
; %bb.139:
	v_not_b32_e32 v14, v0
	v_ashrrev_i32_e32 v15, 31, v14
	v_add_co_u32_e32 v14, vcc, v1, v14
	v_addc_co_u32_e32 v15, vcc, v19, v15, vcc
; %bb.140:
	s_andn2_saveexec_b64 s[6:7], s[6:7]
; %bb.141:
	v_add_co_u32_e32 v14, vcc, v16, v0
	v_addc_co_u32_e32 v15, vcc, 0, v17, vcc
; %bb.142:
	s_or_b64 exec, exec, s[6:7]
	v_lshlrev_b64 v[14:15], 2, v[14:15]
	v_mov_b32_e32 v20, s25
	v_add_co_u32_e32 v14, vcc, s24, v14
	v_addc_co_u32_e32 v15, vcc, v20, v15, vcc
	s_waitcnt lgkmcnt(6)
	global_store_dword v[14:15], v12, off
	s_or_b64 exec, exec, s[4:5]
	v_cmp_gt_u32_e32 vcc, s33, v35
	s_and_saveexec_b64 s[4:5], vcc
	s_cbranch_execnz .LBB1818_174
.LBB1818_143:
	s_or_b64 exec, exec, s[4:5]
	v_cmp_gt_u32_e32 vcc, s33, v33
	s_and_saveexec_b64 s[4:5], vcc
	s_cbranch_execz .LBB1818_179
.LBB1818_144:
	v_cmp_ge_u32_e32 vcc, v33, v18
                                        ; implicit-def: $vgpr12_vgpr13
	s_and_saveexec_b64 s[6:7], vcc
	s_xor_b64 s[6:7], exec, s[6:7]
	s_cbranch_execz .LBB1818_146
; %bb.145:
	s_waitcnt lgkmcnt(6)
	v_xor_b32_e32 v12, 0xfffffdff, v0
	v_ashrrev_i32_e32 v13, 31, v12
	v_add_co_u32_e32 v12, vcc, v1, v12
	v_addc_co_u32_e32 v13, vcc, v19, v13, vcc
                                        ; implicit-def: $vgpr33
.LBB1818_146:
	s_andn2_saveexec_b64 s[6:7], s[6:7]
	s_cbranch_execz .LBB1818_148
; %bb.147:
	s_waitcnt lgkmcnt(6)
	v_add_co_u32_e32 v12, vcc, v16, v33
	v_addc_co_u32_e32 v13, vcc, 0, v17, vcc
.LBB1818_148:
	s_or_b64 exec, exec, s[6:7]
	s_waitcnt lgkmcnt(6)
	v_lshlrev_b64 v[12:13], 2, v[12:13]
	v_mov_b32_e32 v14, s25
	v_add_co_u32_e32 v12, vcc, s24, v12
	v_addc_co_u32_e32 v13, vcc, v14, v13, vcc
	s_waitcnt lgkmcnt(5)
	global_store_dword v[12:13], v10, off
	s_or_b64 exec, exec, s[4:5]
	v_cmp_gt_u32_e32 vcc, s33, v32
	s_and_saveexec_b64 s[4:5], vcc
	s_cbranch_execnz .LBB1818_180
.LBB1818_149:
	s_or_b64 exec, exec, s[4:5]
	v_cmp_gt_u32_e32 vcc, s33, v31
	s_and_saveexec_b64 s[4:5], vcc
	s_cbranch_execz .LBB1818_185
.LBB1818_150:
	v_cmp_ge_u32_e32 vcc, v31, v18
                                        ; implicit-def: $vgpr10_vgpr11
	s_and_saveexec_b64 s[6:7], vcc
	s_xor_b64 s[6:7], exec, s[6:7]
	s_cbranch_execz .LBB1818_152
; %bb.151:
	s_waitcnt lgkmcnt(5)
	v_xor_b32_e32 v10, 0xfffffbff, v0
	v_ashrrev_i32_e32 v11, 31, v10
	v_add_co_u32_e32 v10, vcc, v1, v10
	v_addc_co_u32_e32 v11, vcc, v19, v11, vcc
                                        ; implicit-def: $vgpr31
.LBB1818_152:
	s_andn2_saveexec_b64 s[6:7], s[6:7]
	s_cbranch_execz .LBB1818_154
; %bb.153:
	s_waitcnt lgkmcnt(5)
	v_add_co_u32_e32 v10, vcc, v16, v31
	v_addc_co_u32_e32 v11, vcc, 0, v17, vcc
.LBB1818_154:
	s_or_b64 exec, exec, s[6:7]
	s_waitcnt lgkmcnt(5)
	v_lshlrev_b64 v[10:11], 2, v[10:11]
	v_mov_b32_e32 v12, s25
	v_add_co_u32_e32 v10, vcc, s24, v10
	v_addc_co_u32_e32 v11, vcc, v12, v11, vcc
	s_waitcnt lgkmcnt(4)
	global_store_dword v[10:11], v8, off
	s_or_b64 exec, exec, s[4:5]
	v_cmp_gt_u32_e32 vcc, s33, v30
	s_and_saveexec_b64 s[4:5], vcc
	s_cbranch_execnz .LBB1818_186
.LBB1818_155:
	s_or_b64 exec, exec, s[4:5]
	v_cmp_gt_u32_e32 vcc, s33, v29
	s_and_saveexec_b64 s[4:5], vcc
	s_cbranch_execz .LBB1818_191
.LBB1818_156:
	v_cmp_ge_u32_e32 vcc, v29, v18
                                        ; implicit-def: $vgpr8_vgpr9
	s_and_saveexec_b64 s[6:7], vcc
	s_xor_b64 s[6:7], exec, s[6:7]
	s_cbranch_execz .LBB1818_158
; %bb.157:
	s_waitcnt lgkmcnt(4)
	v_xor_b32_e32 v8, 0xfffff9ff, v0
	v_ashrrev_i32_e32 v9, 31, v8
	v_add_co_u32_e32 v8, vcc, v1, v8
	v_addc_co_u32_e32 v9, vcc, v19, v9, vcc
                                        ; implicit-def: $vgpr29
.LBB1818_158:
	s_andn2_saveexec_b64 s[6:7], s[6:7]
	s_cbranch_execz .LBB1818_160
; %bb.159:
	s_waitcnt lgkmcnt(4)
	v_add_co_u32_e32 v8, vcc, v16, v29
	v_addc_co_u32_e32 v9, vcc, 0, v17, vcc
.LBB1818_160:
	s_or_b64 exec, exec, s[6:7]
	s_waitcnt lgkmcnt(4)
	v_lshlrev_b64 v[8:9], 2, v[8:9]
	v_mov_b32_e32 v10, s25
	v_add_co_u32_e32 v8, vcc, s24, v8
	v_addc_co_u32_e32 v9, vcc, v10, v9, vcc
	s_waitcnt lgkmcnt(3)
	global_store_dword v[8:9], v6, off
	s_or_b64 exec, exec, s[4:5]
	v_cmp_gt_u32_e32 vcc, s33, v28
	s_and_saveexec_b64 s[4:5], vcc
	s_cbranch_execnz .LBB1818_192
.LBB1818_161:
	s_or_b64 exec, exec, s[4:5]
	v_cmp_gt_u32_e32 vcc, s33, v27
	s_and_saveexec_b64 s[4:5], vcc
	s_cbranch_execz .LBB1818_197
.LBB1818_162:
	v_cmp_ge_u32_e32 vcc, v27, v18
                                        ; implicit-def: $vgpr6_vgpr7
	s_and_saveexec_b64 s[6:7], vcc
	s_xor_b64 s[6:7], exec, s[6:7]
	s_cbranch_execz .LBB1818_164
; %bb.163:
	s_waitcnt lgkmcnt(3)
	v_xor_b32_e32 v6, 0xfffff7ff, v0
	v_ashrrev_i32_e32 v7, 31, v6
	v_add_co_u32_e32 v6, vcc, v1, v6
	v_addc_co_u32_e32 v7, vcc, v19, v7, vcc
                                        ; implicit-def: $vgpr27
.LBB1818_164:
	s_andn2_saveexec_b64 s[6:7], s[6:7]
	s_cbranch_execz .LBB1818_166
; %bb.165:
	s_waitcnt lgkmcnt(3)
	v_add_co_u32_e32 v6, vcc, v16, v27
	v_addc_co_u32_e32 v7, vcc, 0, v17, vcc
.LBB1818_166:
	s_or_b64 exec, exec, s[6:7]
	s_waitcnt lgkmcnt(3)
	v_lshlrev_b64 v[6:7], 2, v[6:7]
	v_mov_b32_e32 v8, s25
	v_add_co_u32_e32 v6, vcc, s24, v6
	v_addc_co_u32_e32 v7, vcc, v8, v7, vcc
	s_waitcnt lgkmcnt(2)
	global_store_dword v[6:7], v4, off
	s_or_b64 exec, exec, s[4:5]
	v_cmp_gt_u32_e32 vcc, s33, v26
	s_and_saveexec_b64 s[4:5], vcc
	s_cbranch_execnz .LBB1818_198
.LBB1818_167:
	s_or_b64 exec, exec, s[4:5]
	v_cmp_gt_u32_e32 vcc, s33, v25
	s_and_saveexec_b64 s[4:5], vcc
	s_cbranch_execz .LBB1818_203
.LBB1818_168:
	v_cmp_ge_u32_e32 vcc, v25, v18
                                        ; implicit-def: $vgpr4_vgpr5
	s_and_saveexec_b64 s[6:7], vcc
	s_xor_b64 s[6:7], exec, s[6:7]
	s_cbranch_execz .LBB1818_170
; %bb.169:
	s_waitcnt lgkmcnt(2)
	v_xor_b32_e32 v4, 0xfffff5ff, v0
	v_ashrrev_i32_e32 v5, 31, v4
	v_add_co_u32_e32 v4, vcc, v1, v4
	v_addc_co_u32_e32 v5, vcc, v19, v5, vcc
                                        ; implicit-def: $vgpr25
.LBB1818_170:
	s_andn2_saveexec_b64 s[6:7], s[6:7]
	s_cbranch_execz .LBB1818_172
; %bb.171:
	s_waitcnt lgkmcnt(2)
	v_add_co_u32_e32 v4, vcc, v16, v25
	v_addc_co_u32_e32 v5, vcc, 0, v17, vcc
.LBB1818_172:
	s_or_b64 exec, exec, s[6:7]
	s_waitcnt lgkmcnt(2)
	v_lshlrev_b64 v[4:5], 2, v[4:5]
	v_mov_b32_e32 v6, s25
	v_add_co_u32_e32 v4, vcc, s24, v4
	v_addc_co_u32_e32 v5, vcc, v6, v5, vcc
	s_waitcnt lgkmcnt(1)
	global_store_dword v[4:5], v2, off
	s_or_b64 exec, exec, s[4:5]
	v_cmp_gt_u32_e32 vcc, s33, v24
	s_and_saveexec_b64 s[4:5], vcc
	s_cbranch_execz .LBB1818_209
	s_branch .LBB1818_204
.LBB1818_173:
	s_or_b64 exec, exec, s[4:5]
	v_cmp_gt_u32_e32 vcc, s33, v35
	s_and_saveexec_b64 s[4:5], vcc
	s_cbranch_execz .LBB1818_143
.LBB1818_174:
	v_cmp_ge_u32_e32 vcc, v35, v18
                                        ; implicit-def: $vgpr14_vgpr15
	s_and_saveexec_b64 s[6:7], vcc
	s_xor_b64 s[6:7], exec, s[6:7]
	s_cbranch_execz .LBB1818_176
; %bb.175:
	s_waitcnt lgkmcnt(6)
	v_xor_b32_e32 v12, 0xfffffeff, v0
	v_ashrrev_i32_e32 v15, 31, v12
	v_add_co_u32_e32 v14, vcc, v1, v12
	v_addc_co_u32_e32 v15, vcc, v19, v15, vcc
                                        ; implicit-def: $vgpr35
.LBB1818_176:
	s_andn2_saveexec_b64 s[6:7], s[6:7]
; %bb.177:
	v_add_co_u32_e32 v14, vcc, v16, v35
	v_addc_co_u32_e32 v15, vcc, 0, v17, vcc
; %bb.178:
	s_or_b64 exec, exec, s[6:7]
	v_lshlrev_b64 v[14:15], 2, v[14:15]
	s_waitcnt lgkmcnt(6)
	v_mov_b32_e32 v12, s25
	v_add_co_u32_e32 v14, vcc, s24, v14
	v_addc_co_u32_e32 v15, vcc, v12, v15, vcc
	global_store_dword v[14:15], v13, off
	s_or_b64 exec, exec, s[4:5]
	v_cmp_gt_u32_e32 vcc, s33, v33
	s_and_saveexec_b64 s[4:5], vcc
	s_cbranch_execnz .LBB1818_144
.LBB1818_179:
	s_or_b64 exec, exec, s[4:5]
	v_cmp_gt_u32_e32 vcc, s33, v32
	s_and_saveexec_b64 s[4:5], vcc
	s_cbranch_execz .LBB1818_149
.LBB1818_180:
	v_cmp_ge_u32_e32 vcc, v32, v18
                                        ; implicit-def: $vgpr12_vgpr13
	s_and_saveexec_b64 s[6:7], vcc
	s_xor_b64 s[6:7], exec, s[6:7]
	s_cbranch_execz .LBB1818_182
; %bb.181:
	s_waitcnt lgkmcnt(5)
	v_xor_b32_e32 v10, 0xfffffcff, v0
	v_ashrrev_i32_e32 v13, 31, v10
	v_add_co_u32_e32 v12, vcc, v1, v10
	v_addc_co_u32_e32 v13, vcc, v19, v13, vcc
                                        ; implicit-def: $vgpr32
.LBB1818_182:
	s_andn2_saveexec_b64 s[6:7], s[6:7]
	s_cbranch_execz .LBB1818_184
; %bb.183:
	s_waitcnt lgkmcnt(6)
	v_add_co_u32_e32 v12, vcc, v16, v32
	v_addc_co_u32_e32 v13, vcc, 0, v17, vcc
.LBB1818_184:
	s_or_b64 exec, exec, s[6:7]
	s_waitcnt lgkmcnt(6)
	v_lshlrev_b64 v[12:13], 2, v[12:13]
	s_waitcnt lgkmcnt(5)
	v_mov_b32_e32 v10, s25
	v_add_co_u32_e32 v12, vcc, s24, v12
	v_addc_co_u32_e32 v13, vcc, v10, v13, vcc
	global_store_dword v[12:13], v11, off
	s_or_b64 exec, exec, s[4:5]
	v_cmp_gt_u32_e32 vcc, s33, v31
	s_and_saveexec_b64 s[4:5], vcc
	s_cbranch_execnz .LBB1818_150
.LBB1818_185:
	s_or_b64 exec, exec, s[4:5]
	v_cmp_gt_u32_e32 vcc, s33, v30
	s_and_saveexec_b64 s[4:5], vcc
	s_cbranch_execz .LBB1818_155
.LBB1818_186:
	v_cmp_ge_u32_e32 vcc, v30, v18
                                        ; implicit-def: $vgpr10_vgpr11
	s_and_saveexec_b64 s[6:7], vcc
	s_xor_b64 s[6:7], exec, s[6:7]
	s_cbranch_execz .LBB1818_188
; %bb.187:
	s_waitcnt lgkmcnt(4)
	v_xor_b32_e32 v8, 0xfffffaff, v0
	v_ashrrev_i32_e32 v11, 31, v8
	v_add_co_u32_e32 v10, vcc, v1, v8
	v_addc_co_u32_e32 v11, vcc, v19, v11, vcc
                                        ; implicit-def: $vgpr30
.LBB1818_188:
	s_andn2_saveexec_b64 s[6:7], s[6:7]
	s_cbranch_execz .LBB1818_190
; %bb.189:
	s_waitcnt lgkmcnt(5)
	v_add_co_u32_e32 v10, vcc, v16, v30
	v_addc_co_u32_e32 v11, vcc, 0, v17, vcc
.LBB1818_190:
	s_or_b64 exec, exec, s[6:7]
	s_waitcnt lgkmcnt(5)
	v_lshlrev_b64 v[10:11], 2, v[10:11]
	s_waitcnt lgkmcnt(4)
	v_mov_b32_e32 v8, s25
	v_add_co_u32_e32 v10, vcc, s24, v10
	v_addc_co_u32_e32 v11, vcc, v8, v11, vcc
	global_store_dword v[10:11], v9, off
	s_or_b64 exec, exec, s[4:5]
	v_cmp_gt_u32_e32 vcc, s33, v29
	s_and_saveexec_b64 s[4:5], vcc
	s_cbranch_execnz .LBB1818_156
.LBB1818_191:
	s_or_b64 exec, exec, s[4:5]
	v_cmp_gt_u32_e32 vcc, s33, v28
	s_and_saveexec_b64 s[4:5], vcc
	s_cbranch_execz .LBB1818_161
.LBB1818_192:
	v_cmp_ge_u32_e32 vcc, v28, v18
                                        ; implicit-def: $vgpr8_vgpr9
	s_and_saveexec_b64 s[6:7], vcc
	s_xor_b64 s[6:7], exec, s[6:7]
	s_cbranch_execz .LBB1818_194
; %bb.193:
	s_waitcnt lgkmcnt(3)
	v_xor_b32_e32 v6, 0xfffff8ff, v0
	v_ashrrev_i32_e32 v9, 31, v6
	v_add_co_u32_e32 v8, vcc, v1, v6
	v_addc_co_u32_e32 v9, vcc, v19, v9, vcc
                                        ; implicit-def: $vgpr28
.LBB1818_194:
	s_andn2_saveexec_b64 s[6:7], s[6:7]
	s_cbranch_execz .LBB1818_196
; %bb.195:
	s_waitcnt lgkmcnt(4)
	v_add_co_u32_e32 v8, vcc, v16, v28
	v_addc_co_u32_e32 v9, vcc, 0, v17, vcc
.LBB1818_196:
	s_or_b64 exec, exec, s[6:7]
	s_waitcnt lgkmcnt(4)
	v_lshlrev_b64 v[8:9], 2, v[8:9]
	s_waitcnt lgkmcnt(3)
	v_mov_b32_e32 v6, s25
	v_add_co_u32_e32 v8, vcc, s24, v8
	v_addc_co_u32_e32 v9, vcc, v6, v9, vcc
	global_store_dword v[8:9], v7, off
	s_or_b64 exec, exec, s[4:5]
	v_cmp_gt_u32_e32 vcc, s33, v27
	s_and_saveexec_b64 s[4:5], vcc
	s_cbranch_execnz .LBB1818_162
.LBB1818_197:
	s_or_b64 exec, exec, s[4:5]
	v_cmp_gt_u32_e32 vcc, s33, v26
	s_and_saveexec_b64 s[4:5], vcc
	s_cbranch_execz .LBB1818_167
.LBB1818_198:
	v_cmp_ge_u32_e32 vcc, v26, v18
                                        ; implicit-def: $vgpr6_vgpr7
	s_and_saveexec_b64 s[6:7], vcc
	s_xor_b64 s[6:7], exec, s[6:7]
	s_cbranch_execz .LBB1818_200
; %bb.199:
	s_waitcnt lgkmcnt(2)
	v_xor_b32_e32 v4, 0xfffff6ff, v0
	v_ashrrev_i32_e32 v7, 31, v4
	v_add_co_u32_e32 v6, vcc, v1, v4
	v_addc_co_u32_e32 v7, vcc, v19, v7, vcc
                                        ; implicit-def: $vgpr26
.LBB1818_200:
	s_andn2_saveexec_b64 s[6:7], s[6:7]
	s_cbranch_execz .LBB1818_202
; %bb.201:
	s_waitcnt lgkmcnt(3)
	v_add_co_u32_e32 v6, vcc, v16, v26
	v_addc_co_u32_e32 v7, vcc, 0, v17, vcc
.LBB1818_202:
	s_or_b64 exec, exec, s[6:7]
	s_waitcnt lgkmcnt(3)
	v_lshlrev_b64 v[6:7], 2, v[6:7]
	s_waitcnt lgkmcnt(2)
	v_mov_b32_e32 v4, s25
	v_add_co_u32_e32 v6, vcc, s24, v6
	v_addc_co_u32_e32 v7, vcc, v4, v7, vcc
	global_store_dword v[6:7], v5, off
	s_or_b64 exec, exec, s[4:5]
	v_cmp_gt_u32_e32 vcc, s33, v25
	s_and_saveexec_b64 s[4:5], vcc
	s_cbranch_execnz .LBB1818_168
.LBB1818_203:
	s_or_b64 exec, exec, s[4:5]
	v_cmp_gt_u32_e32 vcc, s33, v24
	s_and_saveexec_b64 s[4:5], vcc
	s_cbranch_execz .LBB1818_209
.LBB1818_204:
	v_cmp_ge_u32_e32 vcc, v24, v18
                                        ; implicit-def: $vgpr4_vgpr5
	s_and_saveexec_b64 s[6:7], vcc
	s_xor_b64 s[6:7], exec, s[6:7]
	s_cbranch_execz .LBB1818_206
; %bb.205:
	s_waitcnt lgkmcnt(1)
	v_xor_b32_e32 v2, 0xfffff4ff, v0
	v_ashrrev_i32_e32 v5, 31, v2
	v_add_co_u32_e32 v4, vcc, v1, v2
	v_addc_co_u32_e32 v5, vcc, v19, v5, vcc
                                        ; implicit-def: $vgpr24
.LBB1818_206:
	s_andn2_saveexec_b64 s[6:7], s[6:7]
	s_cbranch_execz .LBB1818_208
; %bb.207:
	s_waitcnt lgkmcnt(2)
	v_add_co_u32_e32 v4, vcc, v16, v24
	v_addc_co_u32_e32 v5, vcc, 0, v17, vcc
.LBB1818_208:
	s_or_b64 exec, exec, s[6:7]
	s_waitcnt lgkmcnt(2)
	v_lshlrev_b64 v[4:5], 2, v[4:5]
	s_waitcnt lgkmcnt(1)
	v_mov_b32_e32 v2, s25
	v_add_co_u32_e32 v4, vcc, s24, v4
	v_addc_co_u32_e32 v5, vcc, v2, v5, vcc
	global_store_dword v[4:5], v3, off
.LBB1818_209:
	s_or_b64 exec, exec, s[4:5]
	v_cmp_gt_u32_e32 vcc, s33, v23
                                        ; implicit-def: $vgpr14_vgpr15
	s_and_saveexec_b64 s[4:5], vcc
	s_cbranch_execz .LBB1818_215
; %bb.210:
	v_cmp_ge_u32_e32 vcc, v23, v18
                                        ; implicit-def: $vgpr14_vgpr15
	s_and_saveexec_b64 s[6:7], vcc
	s_xor_b64 s[6:7], exec, s[6:7]
	s_cbranch_execz .LBB1818_212
; %bb.211:
	v_xor_b32_e32 v0, 0xfffff3ff, v0
	s_waitcnt lgkmcnt(1)
	v_ashrrev_i32_e32 v2, 31, v0
	v_add_co_u32_e32 v14, vcc, v1, v0
	v_addc_co_u32_e32 v15, vcc, v19, v2, vcc
                                        ; implicit-def: $vgpr23
.LBB1818_212:
	s_andn2_saveexec_b64 s[6:7], s[6:7]
; %bb.213:
	v_add_co_u32_e32 v14, vcc, v16, v23
	v_addc_co_u32_e32 v15, vcc, 0, v17, vcc
; %bb.214:
	s_or_b64 exec, exec, s[6:7]
	s_or_b64 s[2:3], s[2:3], exec
.LBB1818_215:
	s_or_b64 exec, exec, s[4:5]
	s_and_saveexec_b64 s[4:5], s[2:3]
	s_cbranch_execnz .LBB1818_134
.LBB1818_216:
	s_or_b64 exec, exec, s[4:5]
	s_and_b64 s[0:1], s[0:1], s[22:23]
	s_and_saveexec_b64 s[2:3], s[0:1]
	s_cbranch_execz .LBB1818_135
.LBB1818_217:
	v_add_co_u32_e32 v0, vcc, v16, v18
	s_waitcnt lgkmcnt(1)
	v_mov_b32_e32 v2, 0
	v_addc_co_u32_e32 v1, vcc, 0, v17, vcc
	global_store_dwordx2 v2, v[0:1], s[20:21]
	s_endpgm
	.section	.rodata,"a",@progbits
	.p2align	6, 0x0
	.amdhsa_kernel _ZN7rocprim17ROCPRIM_400000_NS6detail17trampoline_kernelINS0_13select_configILj256ELj13ELNS0_17block_load_methodE3ELS4_3ELS4_3ELNS0_20block_scan_algorithmE0ELj4294967295EEENS1_25partition_config_selectorILNS1_17partition_subalgoE3EjNS0_10empty_typeEbEEZZNS1_14partition_implILS8_3ELb0ES6_jNS0_17counting_iteratorIjlEEPS9_SE_NS0_5tupleIJPjSE_EEENSF_IJSE_SE_EEES9_SG_JZNS1_25segmented_radix_sort_implINS0_14default_configELb0EPK6__halfPSL_PKlPlN2at6native12_GLOBAL__N_18offset_tEEE10hipError_tPvRmT1_PNSt15iterator_traitsISZ_E10value_typeET2_T3_PNS10_IS15_E10value_typeET4_jRbjT5_S1B_jjP12ihipStream_tbEUljE_EEESW_SX_SY_S15_S19_S1B_T6_T7_T9_mT8_S1D_bDpT10_ENKUlT_T0_E_clISt17integral_constantIbLb1EES1Q_EEDaS1L_S1M_EUlS1L_E_NS1_11comp_targetILNS1_3genE4ELNS1_11target_archE910ELNS1_3gpuE8ELNS1_3repE0EEENS1_30default_config_static_selectorELNS0_4arch9wavefront6targetE1EEEvSZ_
		.amdhsa_group_segment_fixed_size 13324
		.amdhsa_private_segment_fixed_size 0
		.amdhsa_kernarg_size 152
		.amdhsa_user_sgpr_count 6
		.amdhsa_user_sgpr_private_segment_buffer 1
		.amdhsa_user_sgpr_dispatch_ptr 0
		.amdhsa_user_sgpr_queue_ptr 0
		.amdhsa_user_sgpr_kernarg_segment_ptr 1
		.amdhsa_user_sgpr_dispatch_id 0
		.amdhsa_user_sgpr_flat_scratch_init 0
		.amdhsa_user_sgpr_kernarg_preload_length 0
		.amdhsa_user_sgpr_kernarg_preload_offset 0
		.amdhsa_user_sgpr_private_segment_size 0
		.amdhsa_uses_dynamic_stack 0
		.amdhsa_system_sgpr_private_segment_wavefront_offset 0
		.amdhsa_system_sgpr_workgroup_id_x 1
		.amdhsa_system_sgpr_workgroup_id_y 0
		.amdhsa_system_sgpr_workgroup_id_z 0
		.amdhsa_system_sgpr_workgroup_info 0
		.amdhsa_system_vgpr_workitem_id 0
		.amdhsa_next_free_vgpr 64
		.amdhsa_next_free_sgpr 44
		.amdhsa_accum_offset 64
		.amdhsa_reserve_vcc 1
		.amdhsa_reserve_flat_scratch 0
		.amdhsa_float_round_mode_32 0
		.amdhsa_float_round_mode_16_64 0
		.amdhsa_float_denorm_mode_32 3
		.amdhsa_float_denorm_mode_16_64 3
		.amdhsa_dx10_clamp 1
		.amdhsa_ieee_mode 1
		.amdhsa_fp16_overflow 0
		.amdhsa_tg_split 0
		.amdhsa_exception_fp_ieee_invalid_op 0
		.amdhsa_exception_fp_denorm_src 0
		.amdhsa_exception_fp_ieee_div_zero 0
		.amdhsa_exception_fp_ieee_overflow 0
		.amdhsa_exception_fp_ieee_underflow 0
		.amdhsa_exception_fp_ieee_inexact 0
		.amdhsa_exception_int_div_zero 0
	.end_amdhsa_kernel
	.section	.text._ZN7rocprim17ROCPRIM_400000_NS6detail17trampoline_kernelINS0_13select_configILj256ELj13ELNS0_17block_load_methodE3ELS4_3ELS4_3ELNS0_20block_scan_algorithmE0ELj4294967295EEENS1_25partition_config_selectorILNS1_17partition_subalgoE3EjNS0_10empty_typeEbEEZZNS1_14partition_implILS8_3ELb0ES6_jNS0_17counting_iteratorIjlEEPS9_SE_NS0_5tupleIJPjSE_EEENSF_IJSE_SE_EEES9_SG_JZNS1_25segmented_radix_sort_implINS0_14default_configELb0EPK6__halfPSL_PKlPlN2at6native12_GLOBAL__N_18offset_tEEE10hipError_tPvRmT1_PNSt15iterator_traitsISZ_E10value_typeET2_T3_PNS10_IS15_E10value_typeET4_jRbjT5_S1B_jjP12ihipStream_tbEUljE_EEESW_SX_SY_S15_S19_S1B_T6_T7_T9_mT8_S1D_bDpT10_ENKUlT_T0_E_clISt17integral_constantIbLb1EES1Q_EEDaS1L_S1M_EUlS1L_E_NS1_11comp_targetILNS1_3genE4ELNS1_11target_archE910ELNS1_3gpuE8ELNS1_3repE0EEENS1_30default_config_static_selectorELNS0_4arch9wavefront6targetE1EEEvSZ_,"axG",@progbits,_ZN7rocprim17ROCPRIM_400000_NS6detail17trampoline_kernelINS0_13select_configILj256ELj13ELNS0_17block_load_methodE3ELS4_3ELS4_3ELNS0_20block_scan_algorithmE0ELj4294967295EEENS1_25partition_config_selectorILNS1_17partition_subalgoE3EjNS0_10empty_typeEbEEZZNS1_14partition_implILS8_3ELb0ES6_jNS0_17counting_iteratorIjlEEPS9_SE_NS0_5tupleIJPjSE_EEENSF_IJSE_SE_EEES9_SG_JZNS1_25segmented_radix_sort_implINS0_14default_configELb0EPK6__halfPSL_PKlPlN2at6native12_GLOBAL__N_18offset_tEEE10hipError_tPvRmT1_PNSt15iterator_traitsISZ_E10value_typeET2_T3_PNS10_IS15_E10value_typeET4_jRbjT5_S1B_jjP12ihipStream_tbEUljE_EEESW_SX_SY_S15_S19_S1B_T6_T7_T9_mT8_S1D_bDpT10_ENKUlT_T0_E_clISt17integral_constantIbLb1EES1Q_EEDaS1L_S1M_EUlS1L_E_NS1_11comp_targetILNS1_3genE4ELNS1_11target_archE910ELNS1_3gpuE8ELNS1_3repE0EEENS1_30default_config_static_selectorELNS0_4arch9wavefront6targetE1EEEvSZ_,comdat
.Lfunc_end1818:
	.size	_ZN7rocprim17ROCPRIM_400000_NS6detail17trampoline_kernelINS0_13select_configILj256ELj13ELNS0_17block_load_methodE3ELS4_3ELS4_3ELNS0_20block_scan_algorithmE0ELj4294967295EEENS1_25partition_config_selectorILNS1_17partition_subalgoE3EjNS0_10empty_typeEbEEZZNS1_14partition_implILS8_3ELb0ES6_jNS0_17counting_iteratorIjlEEPS9_SE_NS0_5tupleIJPjSE_EEENSF_IJSE_SE_EEES9_SG_JZNS1_25segmented_radix_sort_implINS0_14default_configELb0EPK6__halfPSL_PKlPlN2at6native12_GLOBAL__N_18offset_tEEE10hipError_tPvRmT1_PNSt15iterator_traitsISZ_E10value_typeET2_T3_PNS10_IS15_E10value_typeET4_jRbjT5_S1B_jjP12ihipStream_tbEUljE_EEESW_SX_SY_S15_S19_S1B_T6_T7_T9_mT8_S1D_bDpT10_ENKUlT_T0_E_clISt17integral_constantIbLb1EES1Q_EEDaS1L_S1M_EUlS1L_E_NS1_11comp_targetILNS1_3genE4ELNS1_11target_archE910ELNS1_3gpuE8ELNS1_3repE0EEENS1_30default_config_static_selectorELNS0_4arch9wavefront6targetE1EEEvSZ_, .Lfunc_end1818-_ZN7rocprim17ROCPRIM_400000_NS6detail17trampoline_kernelINS0_13select_configILj256ELj13ELNS0_17block_load_methodE3ELS4_3ELS4_3ELNS0_20block_scan_algorithmE0ELj4294967295EEENS1_25partition_config_selectorILNS1_17partition_subalgoE3EjNS0_10empty_typeEbEEZZNS1_14partition_implILS8_3ELb0ES6_jNS0_17counting_iteratorIjlEEPS9_SE_NS0_5tupleIJPjSE_EEENSF_IJSE_SE_EEES9_SG_JZNS1_25segmented_radix_sort_implINS0_14default_configELb0EPK6__halfPSL_PKlPlN2at6native12_GLOBAL__N_18offset_tEEE10hipError_tPvRmT1_PNSt15iterator_traitsISZ_E10value_typeET2_T3_PNS10_IS15_E10value_typeET4_jRbjT5_S1B_jjP12ihipStream_tbEUljE_EEESW_SX_SY_S15_S19_S1B_T6_T7_T9_mT8_S1D_bDpT10_ENKUlT_T0_E_clISt17integral_constantIbLb1EES1Q_EEDaS1L_S1M_EUlS1L_E_NS1_11comp_targetILNS1_3genE4ELNS1_11target_archE910ELNS1_3gpuE8ELNS1_3repE0EEENS1_30default_config_static_selectorELNS0_4arch9wavefront6targetE1EEEvSZ_
                                        ; -- End function
	.section	.AMDGPU.csdata,"",@progbits
; Kernel info:
; codeLenInByte = 7896
; NumSgprs: 48
; NumVgprs: 64
; NumAgprs: 0
; TotalNumVgprs: 64
; ScratchSize: 0
; MemoryBound: 0
; FloatMode: 240
; IeeeMode: 1
; LDSByteSize: 13324 bytes/workgroup (compile time only)
; SGPRBlocks: 5
; VGPRBlocks: 7
; NumSGPRsForWavesPerEU: 48
; NumVGPRsForWavesPerEU: 64
; AccumOffset: 64
; Occupancy: 4
; WaveLimiterHint : 0
; COMPUTE_PGM_RSRC2:SCRATCH_EN: 0
; COMPUTE_PGM_RSRC2:USER_SGPR: 6
; COMPUTE_PGM_RSRC2:TRAP_HANDLER: 0
; COMPUTE_PGM_RSRC2:TGID_X_EN: 1
; COMPUTE_PGM_RSRC2:TGID_Y_EN: 0
; COMPUTE_PGM_RSRC2:TGID_Z_EN: 0
; COMPUTE_PGM_RSRC2:TIDIG_COMP_CNT: 0
; COMPUTE_PGM_RSRC3_GFX90A:ACCUM_OFFSET: 15
; COMPUTE_PGM_RSRC3_GFX90A:TG_SPLIT: 0
	.section	.text._ZN7rocprim17ROCPRIM_400000_NS6detail17trampoline_kernelINS0_13select_configILj256ELj13ELNS0_17block_load_methodE3ELS4_3ELS4_3ELNS0_20block_scan_algorithmE0ELj4294967295EEENS1_25partition_config_selectorILNS1_17partition_subalgoE3EjNS0_10empty_typeEbEEZZNS1_14partition_implILS8_3ELb0ES6_jNS0_17counting_iteratorIjlEEPS9_SE_NS0_5tupleIJPjSE_EEENSF_IJSE_SE_EEES9_SG_JZNS1_25segmented_radix_sort_implINS0_14default_configELb0EPK6__halfPSL_PKlPlN2at6native12_GLOBAL__N_18offset_tEEE10hipError_tPvRmT1_PNSt15iterator_traitsISZ_E10value_typeET2_T3_PNS10_IS15_E10value_typeET4_jRbjT5_S1B_jjP12ihipStream_tbEUljE_EEESW_SX_SY_S15_S19_S1B_T6_T7_T9_mT8_S1D_bDpT10_ENKUlT_T0_E_clISt17integral_constantIbLb1EES1Q_EEDaS1L_S1M_EUlS1L_E_NS1_11comp_targetILNS1_3genE3ELNS1_11target_archE908ELNS1_3gpuE7ELNS1_3repE0EEENS1_30default_config_static_selectorELNS0_4arch9wavefront6targetE1EEEvSZ_,"axG",@progbits,_ZN7rocprim17ROCPRIM_400000_NS6detail17trampoline_kernelINS0_13select_configILj256ELj13ELNS0_17block_load_methodE3ELS4_3ELS4_3ELNS0_20block_scan_algorithmE0ELj4294967295EEENS1_25partition_config_selectorILNS1_17partition_subalgoE3EjNS0_10empty_typeEbEEZZNS1_14partition_implILS8_3ELb0ES6_jNS0_17counting_iteratorIjlEEPS9_SE_NS0_5tupleIJPjSE_EEENSF_IJSE_SE_EEES9_SG_JZNS1_25segmented_radix_sort_implINS0_14default_configELb0EPK6__halfPSL_PKlPlN2at6native12_GLOBAL__N_18offset_tEEE10hipError_tPvRmT1_PNSt15iterator_traitsISZ_E10value_typeET2_T3_PNS10_IS15_E10value_typeET4_jRbjT5_S1B_jjP12ihipStream_tbEUljE_EEESW_SX_SY_S15_S19_S1B_T6_T7_T9_mT8_S1D_bDpT10_ENKUlT_T0_E_clISt17integral_constantIbLb1EES1Q_EEDaS1L_S1M_EUlS1L_E_NS1_11comp_targetILNS1_3genE3ELNS1_11target_archE908ELNS1_3gpuE7ELNS1_3repE0EEENS1_30default_config_static_selectorELNS0_4arch9wavefront6targetE1EEEvSZ_,comdat
	.globl	_ZN7rocprim17ROCPRIM_400000_NS6detail17trampoline_kernelINS0_13select_configILj256ELj13ELNS0_17block_load_methodE3ELS4_3ELS4_3ELNS0_20block_scan_algorithmE0ELj4294967295EEENS1_25partition_config_selectorILNS1_17partition_subalgoE3EjNS0_10empty_typeEbEEZZNS1_14partition_implILS8_3ELb0ES6_jNS0_17counting_iteratorIjlEEPS9_SE_NS0_5tupleIJPjSE_EEENSF_IJSE_SE_EEES9_SG_JZNS1_25segmented_radix_sort_implINS0_14default_configELb0EPK6__halfPSL_PKlPlN2at6native12_GLOBAL__N_18offset_tEEE10hipError_tPvRmT1_PNSt15iterator_traitsISZ_E10value_typeET2_T3_PNS10_IS15_E10value_typeET4_jRbjT5_S1B_jjP12ihipStream_tbEUljE_EEESW_SX_SY_S15_S19_S1B_T6_T7_T9_mT8_S1D_bDpT10_ENKUlT_T0_E_clISt17integral_constantIbLb1EES1Q_EEDaS1L_S1M_EUlS1L_E_NS1_11comp_targetILNS1_3genE3ELNS1_11target_archE908ELNS1_3gpuE7ELNS1_3repE0EEENS1_30default_config_static_selectorELNS0_4arch9wavefront6targetE1EEEvSZ_ ; -- Begin function _ZN7rocprim17ROCPRIM_400000_NS6detail17trampoline_kernelINS0_13select_configILj256ELj13ELNS0_17block_load_methodE3ELS4_3ELS4_3ELNS0_20block_scan_algorithmE0ELj4294967295EEENS1_25partition_config_selectorILNS1_17partition_subalgoE3EjNS0_10empty_typeEbEEZZNS1_14partition_implILS8_3ELb0ES6_jNS0_17counting_iteratorIjlEEPS9_SE_NS0_5tupleIJPjSE_EEENSF_IJSE_SE_EEES9_SG_JZNS1_25segmented_radix_sort_implINS0_14default_configELb0EPK6__halfPSL_PKlPlN2at6native12_GLOBAL__N_18offset_tEEE10hipError_tPvRmT1_PNSt15iterator_traitsISZ_E10value_typeET2_T3_PNS10_IS15_E10value_typeET4_jRbjT5_S1B_jjP12ihipStream_tbEUljE_EEESW_SX_SY_S15_S19_S1B_T6_T7_T9_mT8_S1D_bDpT10_ENKUlT_T0_E_clISt17integral_constantIbLb1EES1Q_EEDaS1L_S1M_EUlS1L_E_NS1_11comp_targetILNS1_3genE3ELNS1_11target_archE908ELNS1_3gpuE7ELNS1_3repE0EEENS1_30default_config_static_selectorELNS0_4arch9wavefront6targetE1EEEvSZ_
	.p2align	8
	.type	_ZN7rocprim17ROCPRIM_400000_NS6detail17trampoline_kernelINS0_13select_configILj256ELj13ELNS0_17block_load_methodE3ELS4_3ELS4_3ELNS0_20block_scan_algorithmE0ELj4294967295EEENS1_25partition_config_selectorILNS1_17partition_subalgoE3EjNS0_10empty_typeEbEEZZNS1_14partition_implILS8_3ELb0ES6_jNS0_17counting_iteratorIjlEEPS9_SE_NS0_5tupleIJPjSE_EEENSF_IJSE_SE_EEES9_SG_JZNS1_25segmented_radix_sort_implINS0_14default_configELb0EPK6__halfPSL_PKlPlN2at6native12_GLOBAL__N_18offset_tEEE10hipError_tPvRmT1_PNSt15iterator_traitsISZ_E10value_typeET2_T3_PNS10_IS15_E10value_typeET4_jRbjT5_S1B_jjP12ihipStream_tbEUljE_EEESW_SX_SY_S15_S19_S1B_T6_T7_T9_mT8_S1D_bDpT10_ENKUlT_T0_E_clISt17integral_constantIbLb1EES1Q_EEDaS1L_S1M_EUlS1L_E_NS1_11comp_targetILNS1_3genE3ELNS1_11target_archE908ELNS1_3gpuE7ELNS1_3repE0EEENS1_30default_config_static_selectorELNS0_4arch9wavefront6targetE1EEEvSZ_,@function
_ZN7rocprim17ROCPRIM_400000_NS6detail17trampoline_kernelINS0_13select_configILj256ELj13ELNS0_17block_load_methodE3ELS4_3ELS4_3ELNS0_20block_scan_algorithmE0ELj4294967295EEENS1_25partition_config_selectorILNS1_17partition_subalgoE3EjNS0_10empty_typeEbEEZZNS1_14partition_implILS8_3ELb0ES6_jNS0_17counting_iteratorIjlEEPS9_SE_NS0_5tupleIJPjSE_EEENSF_IJSE_SE_EEES9_SG_JZNS1_25segmented_radix_sort_implINS0_14default_configELb0EPK6__halfPSL_PKlPlN2at6native12_GLOBAL__N_18offset_tEEE10hipError_tPvRmT1_PNSt15iterator_traitsISZ_E10value_typeET2_T3_PNS10_IS15_E10value_typeET4_jRbjT5_S1B_jjP12ihipStream_tbEUljE_EEESW_SX_SY_S15_S19_S1B_T6_T7_T9_mT8_S1D_bDpT10_ENKUlT_T0_E_clISt17integral_constantIbLb1EES1Q_EEDaS1L_S1M_EUlS1L_E_NS1_11comp_targetILNS1_3genE3ELNS1_11target_archE908ELNS1_3gpuE7ELNS1_3repE0EEENS1_30default_config_static_selectorELNS0_4arch9wavefront6targetE1EEEvSZ_: ; @_ZN7rocprim17ROCPRIM_400000_NS6detail17trampoline_kernelINS0_13select_configILj256ELj13ELNS0_17block_load_methodE3ELS4_3ELS4_3ELNS0_20block_scan_algorithmE0ELj4294967295EEENS1_25partition_config_selectorILNS1_17partition_subalgoE3EjNS0_10empty_typeEbEEZZNS1_14partition_implILS8_3ELb0ES6_jNS0_17counting_iteratorIjlEEPS9_SE_NS0_5tupleIJPjSE_EEENSF_IJSE_SE_EEES9_SG_JZNS1_25segmented_radix_sort_implINS0_14default_configELb0EPK6__halfPSL_PKlPlN2at6native12_GLOBAL__N_18offset_tEEE10hipError_tPvRmT1_PNSt15iterator_traitsISZ_E10value_typeET2_T3_PNS10_IS15_E10value_typeET4_jRbjT5_S1B_jjP12ihipStream_tbEUljE_EEESW_SX_SY_S15_S19_S1B_T6_T7_T9_mT8_S1D_bDpT10_ENKUlT_T0_E_clISt17integral_constantIbLb1EES1Q_EEDaS1L_S1M_EUlS1L_E_NS1_11comp_targetILNS1_3genE3ELNS1_11target_archE908ELNS1_3gpuE7ELNS1_3repE0EEENS1_30default_config_static_selectorELNS0_4arch9wavefront6targetE1EEEvSZ_
; %bb.0:
	.section	.rodata,"a",@progbits
	.p2align	6, 0x0
	.amdhsa_kernel _ZN7rocprim17ROCPRIM_400000_NS6detail17trampoline_kernelINS0_13select_configILj256ELj13ELNS0_17block_load_methodE3ELS4_3ELS4_3ELNS0_20block_scan_algorithmE0ELj4294967295EEENS1_25partition_config_selectorILNS1_17partition_subalgoE3EjNS0_10empty_typeEbEEZZNS1_14partition_implILS8_3ELb0ES6_jNS0_17counting_iteratorIjlEEPS9_SE_NS0_5tupleIJPjSE_EEENSF_IJSE_SE_EEES9_SG_JZNS1_25segmented_radix_sort_implINS0_14default_configELb0EPK6__halfPSL_PKlPlN2at6native12_GLOBAL__N_18offset_tEEE10hipError_tPvRmT1_PNSt15iterator_traitsISZ_E10value_typeET2_T3_PNS10_IS15_E10value_typeET4_jRbjT5_S1B_jjP12ihipStream_tbEUljE_EEESW_SX_SY_S15_S19_S1B_T6_T7_T9_mT8_S1D_bDpT10_ENKUlT_T0_E_clISt17integral_constantIbLb1EES1Q_EEDaS1L_S1M_EUlS1L_E_NS1_11comp_targetILNS1_3genE3ELNS1_11target_archE908ELNS1_3gpuE7ELNS1_3repE0EEENS1_30default_config_static_selectorELNS0_4arch9wavefront6targetE1EEEvSZ_
		.amdhsa_group_segment_fixed_size 0
		.amdhsa_private_segment_fixed_size 0
		.amdhsa_kernarg_size 152
		.amdhsa_user_sgpr_count 6
		.amdhsa_user_sgpr_private_segment_buffer 1
		.amdhsa_user_sgpr_dispatch_ptr 0
		.amdhsa_user_sgpr_queue_ptr 0
		.amdhsa_user_sgpr_kernarg_segment_ptr 1
		.amdhsa_user_sgpr_dispatch_id 0
		.amdhsa_user_sgpr_flat_scratch_init 0
		.amdhsa_user_sgpr_kernarg_preload_length 0
		.amdhsa_user_sgpr_kernarg_preload_offset 0
		.amdhsa_user_sgpr_private_segment_size 0
		.amdhsa_uses_dynamic_stack 0
		.amdhsa_system_sgpr_private_segment_wavefront_offset 0
		.amdhsa_system_sgpr_workgroup_id_x 1
		.amdhsa_system_sgpr_workgroup_id_y 0
		.amdhsa_system_sgpr_workgroup_id_z 0
		.amdhsa_system_sgpr_workgroup_info 0
		.amdhsa_system_vgpr_workitem_id 0
		.amdhsa_next_free_vgpr 1
		.amdhsa_next_free_sgpr 0
		.amdhsa_accum_offset 4
		.amdhsa_reserve_vcc 0
		.amdhsa_reserve_flat_scratch 0
		.amdhsa_float_round_mode_32 0
		.amdhsa_float_round_mode_16_64 0
		.amdhsa_float_denorm_mode_32 3
		.amdhsa_float_denorm_mode_16_64 3
		.amdhsa_dx10_clamp 1
		.amdhsa_ieee_mode 1
		.amdhsa_fp16_overflow 0
		.amdhsa_tg_split 0
		.amdhsa_exception_fp_ieee_invalid_op 0
		.amdhsa_exception_fp_denorm_src 0
		.amdhsa_exception_fp_ieee_div_zero 0
		.amdhsa_exception_fp_ieee_overflow 0
		.amdhsa_exception_fp_ieee_underflow 0
		.amdhsa_exception_fp_ieee_inexact 0
		.amdhsa_exception_int_div_zero 0
	.end_amdhsa_kernel
	.section	.text._ZN7rocprim17ROCPRIM_400000_NS6detail17trampoline_kernelINS0_13select_configILj256ELj13ELNS0_17block_load_methodE3ELS4_3ELS4_3ELNS0_20block_scan_algorithmE0ELj4294967295EEENS1_25partition_config_selectorILNS1_17partition_subalgoE3EjNS0_10empty_typeEbEEZZNS1_14partition_implILS8_3ELb0ES6_jNS0_17counting_iteratorIjlEEPS9_SE_NS0_5tupleIJPjSE_EEENSF_IJSE_SE_EEES9_SG_JZNS1_25segmented_radix_sort_implINS0_14default_configELb0EPK6__halfPSL_PKlPlN2at6native12_GLOBAL__N_18offset_tEEE10hipError_tPvRmT1_PNSt15iterator_traitsISZ_E10value_typeET2_T3_PNS10_IS15_E10value_typeET4_jRbjT5_S1B_jjP12ihipStream_tbEUljE_EEESW_SX_SY_S15_S19_S1B_T6_T7_T9_mT8_S1D_bDpT10_ENKUlT_T0_E_clISt17integral_constantIbLb1EES1Q_EEDaS1L_S1M_EUlS1L_E_NS1_11comp_targetILNS1_3genE3ELNS1_11target_archE908ELNS1_3gpuE7ELNS1_3repE0EEENS1_30default_config_static_selectorELNS0_4arch9wavefront6targetE1EEEvSZ_,"axG",@progbits,_ZN7rocprim17ROCPRIM_400000_NS6detail17trampoline_kernelINS0_13select_configILj256ELj13ELNS0_17block_load_methodE3ELS4_3ELS4_3ELNS0_20block_scan_algorithmE0ELj4294967295EEENS1_25partition_config_selectorILNS1_17partition_subalgoE3EjNS0_10empty_typeEbEEZZNS1_14partition_implILS8_3ELb0ES6_jNS0_17counting_iteratorIjlEEPS9_SE_NS0_5tupleIJPjSE_EEENSF_IJSE_SE_EEES9_SG_JZNS1_25segmented_radix_sort_implINS0_14default_configELb0EPK6__halfPSL_PKlPlN2at6native12_GLOBAL__N_18offset_tEEE10hipError_tPvRmT1_PNSt15iterator_traitsISZ_E10value_typeET2_T3_PNS10_IS15_E10value_typeET4_jRbjT5_S1B_jjP12ihipStream_tbEUljE_EEESW_SX_SY_S15_S19_S1B_T6_T7_T9_mT8_S1D_bDpT10_ENKUlT_T0_E_clISt17integral_constantIbLb1EES1Q_EEDaS1L_S1M_EUlS1L_E_NS1_11comp_targetILNS1_3genE3ELNS1_11target_archE908ELNS1_3gpuE7ELNS1_3repE0EEENS1_30default_config_static_selectorELNS0_4arch9wavefront6targetE1EEEvSZ_,comdat
.Lfunc_end1819:
	.size	_ZN7rocprim17ROCPRIM_400000_NS6detail17trampoline_kernelINS0_13select_configILj256ELj13ELNS0_17block_load_methodE3ELS4_3ELS4_3ELNS0_20block_scan_algorithmE0ELj4294967295EEENS1_25partition_config_selectorILNS1_17partition_subalgoE3EjNS0_10empty_typeEbEEZZNS1_14partition_implILS8_3ELb0ES6_jNS0_17counting_iteratorIjlEEPS9_SE_NS0_5tupleIJPjSE_EEENSF_IJSE_SE_EEES9_SG_JZNS1_25segmented_radix_sort_implINS0_14default_configELb0EPK6__halfPSL_PKlPlN2at6native12_GLOBAL__N_18offset_tEEE10hipError_tPvRmT1_PNSt15iterator_traitsISZ_E10value_typeET2_T3_PNS10_IS15_E10value_typeET4_jRbjT5_S1B_jjP12ihipStream_tbEUljE_EEESW_SX_SY_S15_S19_S1B_T6_T7_T9_mT8_S1D_bDpT10_ENKUlT_T0_E_clISt17integral_constantIbLb1EES1Q_EEDaS1L_S1M_EUlS1L_E_NS1_11comp_targetILNS1_3genE3ELNS1_11target_archE908ELNS1_3gpuE7ELNS1_3repE0EEENS1_30default_config_static_selectorELNS0_4arch9wavefront6targetE1EEEvSZ_, .Lfunc_end1819-_ZN7rocprim17ROCPRIM_400000_NS6detail17trampoline_kernelINS0_13select_configILj256ELj13ELNS0_17block_load_methodE3ELS4_3ELS4_3ELNS0_20block_scan_algorithmE0ELj4294967295EEENS1_25partition_config_selectorILNS1_17partition_subalgoE3EjNS0_10empty_typeEbEEZZNS1_14partition_implILS8_3ELb0ES6_jNS0_17counting_iteratorIjlEEPS9_SE_NS0_5tupleIJPjSE_EEENSF_IJSE_SE_EEES9_SG_JZNS1_25segmented_radix_sort_implINS0_14default_configELb0EPK6__halfPSL_PKlPlN2at6native12_GLOBAL__N_18offset_tEEE10hipError_tPvRmT1_PNSt15iterator_traitsISZ_E10value_typeET2_T3_PNS10_IS15_E10value_typeET4_jRbjT5_S1B_jjP12ihipStream_tbEUljE_EEESW_SX_SY_S15_S19_S1B_T6_T7_T9_mT8_S1D_bDpT10_ENKUlT_T0_E_clISt17integral_constantIbLb1EES1Q_EEDaS1L_S1M_EUlS1L_E_NS1_11comp_targetILNS1_3genE3ELNS1_11target_archE908ELNS1_3gpuE7ELNS1_3repE0EEENS1_30default_config_static_selectorELNS0_4arch9wavefront6targetE1EEEvSZ_
                                        ; -- End function
	.section	.AMDGPU.csdata,"",@progbits
; Kernel info:
; codeLenInByte = 0
; NumSgprs: 4
; NumVgprs: 0
; NumAgprs: 0
; TotalNumVgprs: 0
; ScratchSize: 0
; MemoryBound: 0
; FloatMode: 240
; IeeeMode: 1
; LDSByteSize: 0 bytes/workgroup (compile time only)
; SGPRBlocks: 0
; VGPRBlocks: 0
; NumSGPRsForWavesPerEU: 4
; NumVGPRsForWavesPerEU: 1
; AccumOffset: 4
; Occupancy: 8
; WaveLimiterHint : 0
; COMPUTE_PGM_RSRC2:SCRATCH_EN: 0
; COMPUTE_PGM_RSRC2:USER_SGPR: 6
; COMPUTE_PGM_RSRC2:TRAP_HANDLER: 0
; COMPUTE_PGM_RSRC2:TGID_X_EN: 1
; COMPUTE_PGM_RSRC2:TGID_Y_EN: 0
; COMPUTE_PGM_RSRC2:TGID_Z_EN: 0
; COMPUTE_PGM_RSRC2:TIDIG_COMP_CNT: 0
; COMPUTE_PGM_RSRC3_GFX90A:ACCUM_OFFSET: 0
; COMPUTE_PGM_RSRC3_GFX90A:TG_SPLIT: 0
	.section	.text._ZN7rocprim17ROCPRIM_400000_NS6detail17trampoline_kernelINS0_13select_configILj256ELj13ELNS0_17block_load_methodE3ELS4_3ELS4_3ELNS0_20block_scan_algorithmE0ELj4294967295EEENS1_25partition_config_selectorILNS1_17partition_subalgoE3EjNS0_10empty_typeEbEEZZNS1_14partition_implILS8_3ELb0ES6_jNS0_17counting_iteratorIjlEEPS9_SE_NS0_5tupleIJPjSE_EEENSF_IJSE_SE_EEES9_SG_JZNS1_25segmented_radix_sort_implINS0_14default_configELb0EPK6__halfPSL_PKlPlN2at6native12_GLOBAL__N_18offset_tEEE10hipError_tPvRmT1_PNSt15iterator_traitsISZ_E10value_typeET2_T3_PNS10_IS15_E10value_typeET4_jRbjT5_S1B_jjP12ihipStream_tbEUljE_EEESW_SX_SY_S15_S19_S1B_T6_T7_T9_mT8_S1D_bDpT10_ENKUlT_T0_E_clISt17integral_constantIbLb1EES1Q_EEDaS1L_S1M_EUlS1L_E_NS1_11comp_targetILNS1_3genE2ELNS1_11target_archE906ELNS1_3gpuE6ELNS1_3repE0EEENS1_30default_config_static_selectorELNS0_4arch9wavefront6targetE1EEEvSZ_,"axG",@progbits,_ZN7rocprim17ROCPRIM_400000_NS6detail17trampoline_kernelINS0_13select_configILj256ELj13ELNS0_17block_load_methodE3ELS4_3ELS4_3ELNS0_20block_scan_algorithmE0ELj4294967295EEENS1_25partition_config_selectorILNS1_17partition_subalgoE3EjNS0_10empty_typeEbEEZZNS1_14partition_implILS8_3ELb0ES6_jNS0_17counting_iteratorIjlEEPS9_SE_NS0_5tupleIJPjSE_EEENSF_IJSE_SE_EEES9_SG_JZNS1_25segmented_radix_sort_implINS0_14default_configELb0EPK6__halfPSL_PKlPlN2at6native12_GLOBAL__N_18offset_tEEE10hipError_tPvRmT1_PNSt15iterator_traitsISZ_E10value_typeET2_T3_PNS10_IS15_E10value_typeET4_jRbjT5_S1B_jjP12ihipStream_tbEUljE_EEESW_SX_SY_S15_S19_S1B_T6_T7_T9_mT8_S1D_bDpT10_ENKUlT_T0_E_clISt17integral_constantIbLb1EES1Q_EEDaS1L_S1M_EUlS1L_E_NS1_11comp_targetILNS1_3genE2ELNS1_11target_archE906ELNS1_3gpuE6ELNS1_3repE0EEENS1_30default_config_static_selectorELNS0_4arch9wavefront6targetE1EEEvSZ_,comdat
	.globl	_ZN7rocprim17ROCPRIM_400000_NS6detail17trampoline_kernelINS0_13select_configILj256ELj13ELNS0_17block_load_methodE3ELS4_3ELS4_3ELNS0_20block_scan_algorithmE0ELj4294967295EEENS1_25partition_config_selectorILNS1_17partition_subalgoE3EjNS0_10empty_typeEbEEZZNS1_14partition_implILS8_3ELb0ES6_jNS0_17counting_iteratorIjlEEPS9_SE_NS0_5tupleIJPjSE_EEENSF_IJSE_SE_EEES9_SG_JZNS1_25segmented_radix_sort_implINS0_14default_configELb0EPK6__halfPSL_PKlPlN2at6native12_GLOBAL__N_18offset_tEEE10hipError_tPvRmT1_PNSt15iterator_traitsISZ_E10value_typeET2_T3_PNS10_IS15_E10value_typeET4_jRbjT5_S1B_jjP12ihipStream_tbEUljE_EEESW_SX_SY_S15_S19_S1B_T6_T7_T9_mT8_S1D_bDpT10_ENKUlT_T0_E_clISt17integral_constantIbLb1EES1Q_EEDaS1L_S1M_EUlS1L_E_NS1_11comp_targetILNS1_3genE2ELNS1_11target_archE906ELNS1_3gpuE6ELNS1_3repE0EEENS1_30default_config_static_selectorELNS0_4arch9wavefront6targetE1EEEvSZ_ ; -- Begin function _ZN7rocprim17ROCPRIM_400000_NS6detail17trampoline_kernelINS0_13select_configILj256ELj13ELNS0_17block_load_methodE3ELS4_3ELS4_3ELNS0_20block_scan_algorithmE0ELj4294967295EEENS1_25partition_config_selectorILNS1_17partition_subalgoE3EjNS0_10empty_typeEbEEZZNS1_14partition_implILS8_3ELb0ES6_jNS0_17counting_iteratorIjlEEPS9_SE_NS0_5tupleIJPjSE_EEENSF_IJSE_SE_EEES9_SG_JZNS1_25segmented_radix_sort_implINS0_14default_configELb0EPK6__halfPSL_PKlPlN2at6native12_GLOBAL__N_18offset_tEEE10hipError_tPvRmT1_PNSt15iterator_traitsISZ_E10value_typeET2_T3_PNS10_IS15_E10value_typeET4_jRbjT5_S1B_jjP12ihipStream_tbEUljE_EEESW_SX_SY_S15_S19_S1B_T6_T7_T9_mT8_S1D_bDpT10_ENKUlT_T0_E_clISt17integral_constantIbLb1EES1Q_EEDaS1L_S1M_EUlS1L_E_NS1_11comp_targetILNS1_3genE2ELNS1_11target_archE906ELNS1_3gpuE6ELNS1_3repE0EEENS1_30default_config_static_selectorELNS0_4arch9wavefront6targetE1EEEvSZ_
	.p2align	8
	.type	_ZN7rocprim17ROCPRIM_400000_NS6detail17trampoline_kernelINS0_13select_configILj256ELj13ELNS0_17block_load_methodE3ELS4_3ELS4_3ELNS0_20block_scan_algorithmE0ELj4294967295EEENS1_25partition_config_selectorILNS1_17partition_subalgoE3EjNS0_10empty_typeEbEEZZNS1_14partition_implILS8_3ELb0ES6_jNS0_17counting_iteratorIjlEEPS9_SE_NS0_5tupleIJPjSE_EEENSF_IJSE_SE_EEES9_SG_JZNS1_25segmented_radix_sort_implINS0_14default_configELb0EPK6__halfPSL_PKlPlN2at6native12_GLOBAL__N_18offset_tEEE10hipError_tPvRmT1_PNSt15iterator_traitsISZ_E10value_typeET2_T3_PNS10_IS15_E10value_typeET4_jRbjT5_S1B_jjP12ihipStream_tbEUljE_EEESW_SX_SY_S15_S19_S1B_T6_T7_T9_mT8_S1D_bDpT10_ENKUlT_T0_E_clISt17integral_constantIbLb1EES1Q_EEDaS1L_S1M_EUlS1L_E_NS1_11comp_targetILNS1_3genE2ELNS1_11target_archE906ELNS1_3gpuE6ELNS1_3repE0EEENS1_30default_config_static_selectorELNS0_4arch9wavefront6targetE1EEEvSZ_,@function
_ZN7rocprim17ROCPRIM_400000_NS6detail17trampoline_kernelINS0_13select_configILj256ELj13ELNS0_17block_load_methodE3ELS4_3ELS4_3ELNS0_20block_scan_algorithmE0ELj4294967295EEENS1_25partition_config_selectorILNS1_17partition_subalgoE3EjNS0_10empty_typeEbEEZZNS1_14partition_implILS8_3ELb0ES6_jNS0_17counting_iteratorIjlEEPS9_SE_NS0_5tupleIJPjSE_EEENSF_IJSE_SE_EEES9_SG_JZNS1_25segmented_radix_sort_implINS0_14default_configELb0EPK6__halfPSL_PKlPlN2at6native12_GLOBAL__N_18offset_tEEE10hipError_tPvRmT1_PNSt15iterator_traitsISZ_E10value_typeET2_T3_PNS10_IS15_E10value_typeET4_jRbjT5_S1B_jjP12ihipStream_tbEUljE_EEESW_SX_SY_S15_S19_S1B_T6_T7_T9_mT8_S1D_bDpT10_ENKUlT_T0_E_clISt17integral_constantIbLb1EES1Q_EEDaS1L_S1M_EUlS1L_E_NS1_11comp_targetILNS1_3genE2ELNS1_11target_archE906ELNS1_3gpuE6ELNS1_3repE0EEENS1_30default_config_static_selectorELNS0_4arch9wavefront6targetE1EEEvSZ_: ; @_ZN7rocprim17ROCPRIM_400000_NS6detail17trampoline_kernelINS0_13select_configILj256ELj13ELNS0_17block_load_methodE3ELS4_3ELS4_3ELNS0_20block_scan_algorithmE0ELj4294967295EEENS1_25partition_config_selectorILNS1_17partition_subalgoE3EjNS0_10empty_typeEbEEZZNS1_14partition_implILS8_3ELb0ES6_jNS0_17counting_iteratorIjlEEPS9_SE_NS0_5tupleIJPjSE_EEENSF_IJSE_SE_EEES9_SG_JZNS1_25segmented_radix_sort_implINS0_14default_configELb0EPK6__halfPSL_PKlPlN2at6native12_GLOBAL__N_18offset_tEEE10hipError_tPvRmT1_PNSt15iterator_traitsISZ_E10value_typeET2_T3_PNS10_IS15_E10value_typeET4_jRbjT5_S1B_jjP12ihipStream_tbEUljE_EEESW_SX_SY_S15_S19_S1B_T6_T7_T9_mT8_S1D_bDpT10_ENKUlT_T0_E_clISt17integral_constantIbLb1EES1Q_EEDaS1L_S1M_EUlS1L_E_NS1_11comp_targetILNS1_3genE2ELNS1_11target_archE906ELNS1_3gpuE6ELNS1_3repE0EEENS1_30default_config_static_selectorELNS0_4arch9wavefront6targetE1EEEvSZ_
; %bb.0:
	.section	.rodata,"a",@progbits
	.p2align	6, 0x0
	.amdhsa_kernel _ZN7rocprim17ROCPRIM_400000_NS6detail17trampoline_kernelINS0_13select_configILj256ELj13ELNS0_17block_load_methodE3ELS4_3ELS4_3ELNS0_20block_scan_algorithmE0ELj4294967295EEENS1_25partition_config_selectorILNS1_17partition_subalgoE3EjNS0_10empty_typeEbEEZZNS1_14partition_implILS8_3ELb0ES6_jNS0_17counting_iteratorIjlEEPS9_SE_NS0_5tupleIJPjSE_EEENSF_IJSE_SE_EEES9_SG_JZNS1_25segmented_radix_sort_implINS0_14default_configELb0EPK6__halfPSL_PKlPlN2at6native12_GLOBAL__N_18offset_tEEE10hipError_tPvRmT1_PNSt15iterator_traitsISZ_E10value_typeET2_T3_PNS10_IS15_E10value_typeET4_jRbjT5_S1B_jjP12ihipStream_tbEUljE_EEESW_SX_SY_S15_S19_S1B_T6_T7_T9_mT8_S1D_bDpT10_ENKUlT_T0_E_clISt17integral_constantIbLb1EES1Q_EEDaS1L_S1M_EUlS1L_E_NS1_11comp_targetILNS1_3genE2ELNS1_11target_archE906ELNS1_3gpuE6ELNS1_3repE0EEENS1_30default_config_static_selectorELNS0_4arch9wavefront6targetE1EEEvSZ_
		.amdhsa_group_segment_fixed_size 0
		.amdhsa_private_segment_fixed_size 0
		.amdhsa_kernarg_size 152
		.amdhsa_user_sgpr_count 6
		.amdhsa_user_sgpr_private_segment_buffer 1
		.amdhsa_user_sgpr_dispatch_ptr 0
		.amdhsa_user_sgpr_queue_ptr 0
		.amdhsa_user_sgpr_kernarg_segment_ptr 1
		.amdhsa_user_sgpr_dispatch_id 0
		.amdhsa_user_sgpr_flat_scratch_init 0
		.amdhsa_user_sgpr_kernarg_preload_length 0
		.amdhsa_user_sgpr_kernarg_preload_offset 0
		.amdhsa_user_sgpr_private_segment_size 0
		.amdhsa_uses_dynamic_stack 0
		.amdhsa_system_sgpr_private_segment_wavefront_offset 0
		.amdhsa_system_sgpr_workgroup_id_x 1
		.amdhsa_system_sgpr_workgroup_id_y 0
		.amdhsa_system_sgpr_workgroup_id_z 0
		.amdhsa_system_sgpr_workgroup_info 0
		.amdhsa_system_vgpr_workitem_id 0
		.amdhsa_next_free_vgpr 1
		.amdhsa_next_free_sgpr 0
		.amdhsa_accum_offset 4
		.amdhsa_reserve_vcc 0
		.amdhsa_reserve_flat_scratch 0
		.amdhsa_float_round_mode_32 0
		.amdhsa_float_round_mode_16_64 0
		.amdhsa_float_denorm_mode_32 3
		.amdhsa_float_denorm_mode_16_64 3
		.amdhsa_dx10_clamp 1
		.amdhsa_ieee_mode 1
		.amdhsa_fp16_overflow 0
		.amdhsa_tg_split 0
		.amdhsa_exception_fp_ieee_invalid_op 0
		.amdhsa_exception_fp_denorm_src 0
		.amdhsa_exception_fp_ieee_div_zero 0
		.amdhsa_exception_fp_ieee_overflow 0
		.amdhsa_exception_fp_ieee_underflow 0
		.amdhsa_exception_fp_ieee_inexact 0
		.amdhsa_exception_int_div_zero 0
	.end_amdhsa_kernel
	.section	.text._ZN7rocprim17ROCPRIM_400000_NS6detail17trampoline_kernelINS0_13select_configILj256ELj13ELNS0_17block_load_methodE3ELS4_3ELS4_3ELNS0_20block_scan_algorithmE0ELj4294967295EEENS1_25partition_config_selectorILNS1_17partition_subalgoE3EjNS0_10empty_typeEbEEZZNS1_14partition_implILS8_3ELb0ES6_jNS0_17counting_iteratorIjlEEPS9_SE_NS0_5tupleIJPjSE_EEENSF_IJSE_SE_EEES9_SG_JZNS1_25segmented_radix_sort_implINS0_14default_configELb0EPK6__halfPSL_PKlPlN2at6native12_GLOBAL__N_18offset_tEEE10hipError_tPvRmT1_PNSt15iterator_traitsISZ_E10value_typeET2_T3_PNS10_IS15_E10value_typeET4_jRbjT5_S1B_jjP12ihipStream_tbEUljE_EEESW_SX_SY_S15_S19_S1B_T6_T7_T9_mT8_S1D_bDpT10_ENKUlT_T0_E_clISt17integral_constantIbLb1EES1Q_EEDaS1L_S1M_EUlS1L_E_NS1_11comp_targetILNS1_3genE2ELNS1_11target_archE906ELNS1_3gpuE6ELNS1_3repE0EEENS1_30default_config_static_selectorELNS0_4arch9wavefront6targetE1EEEvSZ_,"axG",@progbits,_ZN7rocprim17ROCPRIM_400000_NS6detail17trampoline_kernelINS0_13select_configILj256ELj13ELNS0_17block_load_methodE3ELS4_3ELS4_3ELNS0_20block_scan_algorithmE0ELj4294967295EEENS1_25partition_config_selectorILNS1_17partition_subalgoE3EjNS0_10empty_typeEbEEZZNS1_14partition_implILS8_3ELb0ES6_jNS0_17counting_iteratorIjlEEPS9_SE_NS0_5tupleIJPjSE_EEENSF_IJSE_SE_EEES9_SG_JZNS1_25segmented_radix_sort_implINS0_14default_configELb0EPK6__halfPSL_PKlPlN2at6native12_GLOBAL__N_18offset_tEEE10hipError_tPvRmT1_PNSt15iterator_traitsISZ_E10value_typeET2_T3_PNS10_IS15_E10value_typeET4_jRbjT5_S1B_jjP12ihipStream_tbEUljE_EEESW_SX_SY_S15_S19_S1B_T6_T7_T9_mT8_S1D_bDpT10_ENKUlT_T0_E_clISt17integral_constantIbLb1EES1Q_EEDaS1L_S1M_EUlS1L_E_NS1_11comp_targetILNS1_3genE2ELNS1_11target_archE906ELNS1_3gpuE6ELNS1_3repE0EEENS1_30default_config_static_selectorELNS0_4arch9wavefront6targetE1EEEvSZ_,comdat
.Lfunc_end1820:
	.size	_ZN7rocprim17ROCPRIM_400000_NS6detail17trampoline_kernelINS0_13select_configILj256ELj13ELNS0_17block_load_methodE3ELS4_3ELS4_3ELNS0_20block_scan_algorithmE0ELj4294967295EEENS1_25partition_config_selectorILNS1_17partition_subalgoE3EjNS0_10empty_typeEbEEZZNS1_14partition_implILS8_3ELb0ES6_jNS0_17counting_iteratorIjlEEPS9_SE_NS0_5tupleIJPjSE_EEENSF_IJSE_SE_EEES9_SG_JZNS1_25segmented_radix_sort_implINS0_14default_configELb0EPK6__halfPSL_PKlPlN2at6native12_GLOBAL__N_18offset_tEEE10hipError_tPvRmT1_PNSt15iterator_traitsISZ_E10value_typeET2_T3_PNS10_IS15_E10value_typeET4_jRbjT5_S1B_jjP12ihipStream_tbEUljE_EEESW_SX_SY_S15_S19_S1B_T6_T7_T9_mT8_S1D_bDpT10_ENKUlT_T0_E_clISt17integral_constantIbLb1EES1Q_EEDaS1L_S1M_EUlS1L_E_NS1_11comp_targetILNS1_3genE2ELNS1_11target_archE906ELNS1_3gpuE6ELNS1_3repE0EEENS1_30default_config_static_selectorELNS0_4arch9wavefront6targetE1EEEvSZ_, .Lfunc_end1820-_ZN7rocprim17ROCPRIM_400000_NS6detail17trampoline_kernelINS0_13select_configILj256ELj13ELNS0_17block_load_methodE3ELS4_3ELS4_3ELNS0_20block_scan_algorithmE0ELj4294967295EEENS1_25partition_config_selectorILNS1_17partition_subalgoE3EjNS0_10empty_typeEbEEZZNS1_14partition_implILS8_3ELb0ES6_jNS0_17counting_iteratorIjlEEPS9_SE_NS0_5tupleIJPjSE_EEENSF_IJSE_SE_EEES9_SG_JZNS1_25segmented_radix_sort_implINS0_14default_configELb0EPK6__halfPSL_PKlPlN2at6native12_GLOBAL__N_18offset_tEEE10hipError_tPvRmT1_PNSt15iterator_traitsISZ_E10value_typeET2_T3_PNS10_IS15_E10value_typeET4_jRbjT5_S1B_jjP12ihipStream_tbEUljE_EEESW_SX_SY_S15_S19_S1B_T6_T7_T9_mT8_S1D_bDpT10_ENKUlT_T0_E_clISt17integral_constantIbLb1EES1Q_EEDaS1L_S1M_EUlS1L_E_NS1_11comp_targetILNS1_3genE2ELNS1_11target_archE906ELNS1_3gpuE6ELNS1_3repE0EEENS1_30default_config_static_selectorELNS0_4arch9wavefront6targetE1EEEvSZ_
                                        ; -- End function
	.section	.AMDGPU.csdata,"",@progbits
; Kernel info:
; codeLenInByte = 0
; NumSgprs: 4
; NumVgprs: 0
; NumAgprs: 0
; TotalNumVgprs: 0
; ScratchSize: 0
; MemoryBound: 0
; FloatMode: 240
; IeeeMode: 1
; LDSByteSize: 0 bytes/workgroup (compile time only)
; SGPRBlocks: 0
; VGPRBlocks: 0
; NumSGPRsForWavesPerEU: 4
; NumVGPRsForWavesPerEU: 1
; AccumOffset: 4
; Occupancy: 8
; WaveLimiterHint : 0
; COMPUTE_PGM_RSRC2:SCRATCH_EN: 0
; COMPUTE_PGM_RSRC2:USER_SGPR: 6
; COMPUTE_PGM_RSRC2:TRAP_HANDLER: 0
; COMPUTE_PGM_RSRC2:TGID_X_EN: 1
; COMPUTE_PGM_RSRC2:TGID_Y_EN: 0
; COMPUTE_PGM_RSRC2:TGID_Z_EN: 0
; COMPUTE_PGM_RSRC2:TIDIG_COMP_CNT: 0
; COMPUTE_PGM_RSRC3_GFX90A:ACCUM_OFFSET: 0
; COMPUTE_PGM_RSRC3_GFX90A:TG_SPLIT: 0
	.section	.text._ZN7rocprim17ROCPRIM_400000_NS6detail17trampoline_kernelINS0_13select_configILj256ELj13ELNS0_17block_load_methodE3ELS4_3ELS4_3ELNS0_20block_scan_algorithmE0ELj4294967295EEENS1_25partition_config_selectorILNS1_17partition_subalgoE3EjNS0_10empty_typeEbEEZZNS1_14partition_implILS8_3ELb0ES6_jNS0_17counting_iteratorIjlEEPS9_SE_NS0_5tupleIJPjSE_EEENSF_IJSE_SE_EEES9_SG_JZNS1_25segmented_radix_sort_implINS0_14default_configELb0EPK6__halfPSL_PKlPlN2at6native12_GLOBAL__N_18offset_tEEE10hipError_tPvRmT1_PNSt15iterator_traitsISZ_E10value_typeET2_T3_PNS10_IS15_E10value_typeET4_jRbjT5_S1B_jjP12ihipStream_tbEUljE_EEESW_SX_SY_S15_S19_S1B_T6_T7_T9_mT8_S1D_bDpT10_ENKUlT_T0_E_clISt17integral_constantIbLb1EES1Q_EEDaS1L_S1M_EUlS1L_E_NS1_11comp_targetILNS1_3genE10ELNS1_11target_archE1200ELNS1_3gpuE4ELNS1_3repE0EEENS1_30default_config_static_selectorELNS0_4arch9wavefront6targetE1EEEvSZ_,"axG",@progbits,_ZN7rocprim17ROCPRIM_400000_NS6detail17trampoline_kernelINS0_13select_configILj256ELj13ELNS0_17block_load_methodE3ELS4_3ELS4_3ELNS0_20block_scan_algorithmE0ELj4294967295EEENS1_25partition_config_selectorILNS1_17partition_subalgoE3EjNS0_10empty_typeEbEEZZNS1_14partition_implILS8_3ELb0ES6_jNS0_17counting_iteratorIjlEEPS9_SE_NS0_5tupleIJPjSE_EEENSF_IJSE_SE_EEES9_SG_JZNS1_25segmented_radix_sort_implINS0_14default_configELb0EPK6__halfPSL_PKlPlN2at6native12_GLOBAL__N_18offset_tEEE10hipError_tPvRmT1_PNSt15iterator_traitsISZ_E10value_typeET2_T3_PNS10_IS15_E10value_typeET4_jRbjT5_S1B_jjP12ihipStream_tbEUljE_EEESW_SX_SY_S15_S19_S1B_T6_T7_T9_mT8_S1D_bDpT10_ENKUlT_T0_E_clISt17integral_constantIbLb1EES1Q_EEDaS1L_S1M_EUlS1L_E_NS1_11comp_targetILNS1_3genE10ELNS1_11target_archE1200ELNS1_3gpuE4ELNS1_3repE0EEENS1_30default_config_static_selectorELNS0_4arch9wavefront6targetE1EEEvSZ_,comdat
	.globl	_ZN7rocprim17ROCPRIM_400000_NS6detail17trampoline_kernelINS0_13select_configILj256ELj13ELNS0_17block_load_methodE3ELS4_3ELS4_3ELNS0_20block_scan_algorithmE0ELj4294967295EEENS1_25partition_config_selectorILNS1_17partition_subalgoE3EjNS0_10empty_typeEbEEZZNS1_14partition_implILS8_3ELb0ES6_jNS0_17counting_iteratorIjlEEPS9_SE_NS0_5tupleIJPjSE_EEENSF_IJSE_SE_EEES9_SG_JZNS1_25segmented_radix_sort_implINS0_14default_configELb0EPK6__halfPSL_PKlPlN2at6native12_GLOBAL__N_18offset_tEEE10hipError_tPvRmT1_PNSt15iterator_traitsISZ_E10value_typeET2_T3_PNS10_IS15_E10value_typeET4_jRbjT5_S1B_jjP12ihipStream_tbEUljE_EEESW_SX_SY_S15_S19_S1B_T6_T7_T9_mT8_S1D_bDpT10_ENKUlT_T0_E_clISt17integral_constantIbLb1EES1Q_EEDaS1L_S1M_EUlS1L_E_NS1_11comp_targetILNS1_3genE10ELNS1_11target_archE1200ELNS1_3gpuE4ELNS1_3repE0EEENS1_30default_config_static_selectorELNS0_4arch9wavefront6targetE1EEEvSZ_ ; -- Begin function _ZN7rocprim17ROCPRIM_400000_NS6detail17trampoline_kernelINS0_13select_configILj256ELj13ELNS0_17block_load_methodE3ELS4_3ELS4_3ELNS0_20block_scan_algorithmE0ELj4294967295EEENS1_25partition_config_selectorILNS1_17partition_subalgoE3EjNS0_10empty_typeEbEEZZNS1_14partition_implILS8_3ELb0ES6_jNS0_17counting_iteratorIjlEEPS9_SE_NS0_5tupleIJPjSE_EEENSF_IJSE_SE_EEES9_SG_JZNS1_25segmented_radix_sort_implINS0_14default_configELb0EPK6__halfPSL_PKlPlN2at6native12_GLOBAL__N_18offset_tEEE10hipError_tPvRmT1_PNSt15iterator_traitsISZ_E10value_typeET2_T3_PNS10_IS15_E10value_typeET4_jRbjT5_S1B_jjP12ihipStream_tbEUljE_EEESW_SX_SY_S15_S19_S1B_T6_T7_T9_mT8_S1D_bDpT10_ENKUlT_T0_E_clISt17integral_constantIbLb1EES1Q_EEDaS1L_S1M_EUlS1L_E_NS1_11comp_targetILNS1_3genE10ELNS1_11target_archE1200ELNS1_3gpuE4ELNS1_3repE0EEENS1_30default_config_static_selectorELNS0_4arch9wavefront6targetE1EEEvSZ_
	.p2align	8
	.type	_ZN7rocprim17ROCPRIM_400000_NS6detail17trampoline_kernelINS0_13select_configILj256ELj13ELNS0_17block_load_methodE3ELS4_3ELS4_3ELNS0_20block_scan_algorithmE0ELj4294967295EEENS1_25partition_config_selectorILNS1_17partition_subalgoE3EjNS0_10empty_typeEbEEZZNS1_14partition_implILS8_3ELb0ES6_jNS0_17counting_iteratorIjlEEPS9_SE_NS0_5tupleIJPjSE_EEENSF_IJSE_SE_EEES9_SG_JZNS1_25segmented_radix_sort_implINS0_14default_configELb0EPK6__halfPSL_PKlPlN2at6native12_GLOBAL__N_18offset_tEEE10hipError_tPvRmT1_PNSt15iterator_traitsISZ_E10value_typeET2_T3_PNS10_IS15_E10value_typeET4_jRbjT5_S1B_jjP12ihipStream_tbEUljE_EEESW_SX_SY_S15_S19_S1B_T6_T7_T9_mT8_S1D_bDpT10_ENKUlT_T0_E_clISt17integral_constantIbLb1EES1Q_EEDaS1L_S1M_EUlS1L_E_NS1_11comp_targetILNS1_3genE10ELNS1_11target_archE1200ELNS1_3gpuE4ELNS1_3repE0EEENS1_30default_config_static_selectorELNS0_4arch9wavefront6targetE1EEEvSZ_,@function
_ZN7rocprim17ROCPRIM_400000_NS6detail17trampoline_kernelINS0_13select_configILj256ELj13ELNS0_17block_load_methodE3ELS4_3ELS4_3ELNS0_20block_scan_algorithmE0ELj4294967295EEENS1_25partition_config_selectorILNS1_17partition_subalgoE3EjNS0_10empty_typeEbEEZZNS1_14partition_implILS8_3ELb0ES6_jNS0_17counting_iteratorIjlEEPS9_SE_NS0_5tupleIJPjSE_EEENSF_IJSE_SE_EEES9_SG_JZNS1_25segmented_radix_sort_implINS0_14default_configELb0EPK6__halfPSL_PKlPlN2at6native12_GLOBAL__N_18offset_tEEE10hipError_tPvRmT1_PNSt15iterator_traitsISZ_E10value_typeET2_T3_PNS10_IS15_E10value_typeET4_jRbjT5_S1B_jjP12ihipStream_tbEUljE_EEESW_SX_SY_S15_S19_S1B_T6_T7_T9_mT8_S1D_bDpT10_ENKUlT_T0_E_clISt17integral_constantIbLb1EES1Q_EEDaS1L_S1M_EUlS1L_E_NS1_11comp_targetILNS1_3genE10ELNS1_11target_archE1200ELNS1_3gpuE4ELNS1_3repE0EEENS1_30default_config_static_selectorELNS0_4arch9wavefront6targetE1EEEvSZ_: ; @_ZN7rocprim17ROCPRIM_400000_NS6detail17trampoline_kernelINS0_13select_configILj256ELj13ELNS0_17block_load_methodE3ELS4_3ELS4_3ELNS0_20block_scan_algorithmE0ELj4294967295EEENS1_25partition_config_selectorILNS1_17partition_subalgoE3EjNS0_10empty_typeEbEEZZNS1_14partition_implILS8_3ELb0ES6_jNS0_17counting_iteratorIjlEEPS9_SE_NS0_5tupleIJPjSE_EEENSF_IJSE_SE_EEES9_SG_JZNS1_25segmented_radix_sort_implINS0_14default_configELb0EPK6__halfPSL_PKlPlN2at6native12_GLOBAL__N_18offset_tEEE10hipError_tPvRmT1_PNSt15iterator_traitsISZ_E10value_typeET2_T3_PNS10_IS15_E10value_typeET4_jRbjT5_S1B_jjP12ihipStream_tbEUljE_EEESW_SX_SY_S15_S19_S1B_T6_T7_T9_mT8_S1D_bDpT10_ENKUlT_T0_E_clISt17integral_constantIbLb1EES1Q_EEDaS1L_S1M_EUlS1L_E_NS1_11comp_targetILNS1_3genE10ELNS1_11target_archE1200ELNS1_3gpuE4ELNS1_3repE0EEENS1_30default_config_static_selectorELNS0_4arch9wavefront6targetE1EEEvSZ_
; %bb.0:
	.section	.rodata,"a",@progbits
	.p2align	6, 0x0
	.amdhsa_kernel _ZN7rocprim17ROCPRIM_400000_NS6detail17trampoline_kernelINS0_13select_configILj256ELj13ELNS0_17block_load_methodE3ELS4_3ELS4_3ELNS0_20block_scan_algorithmE0ELj4294967295EEENS1_25partition_config_selectorILNS1_17partition_subalgoE3EjNS0_10empty_typeEbEEZZNS1_14partition_implILS8_3ELb0ES6_jNS0_17counting_iteratorIjlEEPS9_SE_NS0_5tupleIJPjSE_EEENSF_IJSE_SE_EEES9_SG_JZNS1_25segmented_radix_sort_implINS0_14default_configELb0EPK6__halfPSL_PKlPlN2at6native12_GLOBAL__N_18offset_tEEE10hipError_tPvRmT1_PNSt15iterator_traitsISZ_E10value_typeET2_T3_PNS10_IS15_E10value_typeET4_jRbjT5_S1B_jjP12ihipStream_tbEUljE_EEESW_SX_SY_S15_S19_S1B_T6_T7_T9_mT8_S1D_bDpT10_ENKUlT_T0_E_clISt17integral_constantIbLb1EES1Q_EEDaS1L_S1M_EUlS1L_E_NS1_11comp_targetILNS1_3genE10ELNS1_11target_archE1200ELNS1_3gpuE4ELNS1_3repE0EEENS1_30default_config_static_selectorELNS0_4arch9wavefront6targetE1EEEvSZ_
		.amdhsa_group_segment_fixed_size 0
		.amdhsa_private_segment_fixed_size 0
		.amdhsa_kernarg_size 152
		.amdhsa_user_sgpr_count 6
		.amdhsa_user_sgpr_private_segment_buffer 1
		.amdhsa_user_sgpr_dispatch_ptr 0
		.amdhsa_user_sgpr_queue_ptr 0
		.amdhsa_user_sgpr_kernarg_segment_ptr 1
		.amdhsa_user_sgpr_dispatch_id 0
		.amdhsa_user_sgpr_flat_scratch_init 0
		.amdhsa_user_sgpr_kernarg_preload_length 0
		.amdhsa_user_sgpr_kernarg_preload_offset 0
		.amdhsa_user_sgpr_private_segment_size 0
		.amdhsa_uses_dynamic_stack 0
		.amdhsa_system_sgpr_private_segment_wavefront_offset 0
		.amdhsa_system_sgpr_workgroup_id_x 1
		.amdhsa_system_sgpr_workgroup_id_y 0
		.amdhsa_system_sgpr_workgroup_id_z 0
		.amdhsa_system_sgpr_workgroup_info 0
		.amdhsa_system_vgpr_workitem_id 0
		.amdhsa_next_free_vgpr 1
		.amdhsa_next_free_sgpr 0
		.amdhsa_accum_offset 4
		.amdhsa_reserve_vcc 0
		.amdhsa_reserve_flat_scratch 0
		.amdhsa_float_round_mode_32 0
		.amdhsa_float_round_mode_16_64 0
		.amdhsa_float_denorm_mode_32 3
		.amdhsa_float_denorm_mode_16_64 3
		.amdhsa_dx10_clamp 1
		.amdhsa_ieee_mode 1
		.amdhsa_fp16_overflow 0
		.amdhsa_tg_split 0
		.amdhsa_exception_fp_ieee_invalid_op 0
		.amdhsa_exception_fp_denorm_src 0
		.amdhsa_exception_fp_ieee_div_zero 0
		.amdhsa_exception_fp_ieee_overflow 0
		.amdhsa_exception_fp_ieee_underflow 0
		.amdhsa_exception_fp_ieee_inexact 0
		.amdhsa_exception_int_div_zero 0
	.end_amdhsa_kernel
	.section	.text._ZN7rocprim17ROCPRIM_400000_NS6detail17trampoline_kernelINS0_13select_configILj256ELj13ELNS0_17block_load_methodE3ELS4_3ELS4_3ELNS0_20block_scan_algorithmE0ELj4294967295EEENS1_25partition_config_selectorILNS1_17partition_subalgoE3EjNS0_10empty_typeEbEEZZNS1_14partition_implILS8_3ELb0ES6_jNS0_17counting_iteratorIjlEEPS9_SE_NS0_5tupleIJPjSE_EEENSF_IJSE_SE_EEES9_SG_JZNS1_25segmented_radix_sort_implINS0_14default_configELb0EPK6__halfPSL_PKlPlN2at6native12_GLOBAL__N_18offset_tEEE10hipError_tPvRmT1_PNSt15iterator_traitsISZ_E10value_typeET2_T3_PNS10_IS15_E10value_typeET4_jRbjT5_S1B_jjP12ihipStream_tbEUljE_EEESW_SX_SY_S15_S19_S1B_T6_T7_T9_mT8_S1D_bDpT10_ENKUlT_T0_E_clISt17integral_constantIbLb1EES1Q_EEDaS1L_S1M_EUlS1L_E_NS1_11comp_targetILNS1_3genE10ELNS1_11target_archE1200ELNS1_3gpuE4ELNS1_3repE0EEENS1_30default_config_static_selectorELNS0_4arch9wavefront6targetE1EEEvSZ_,"axG",@progbits,_ZN7rocprim17ROCPRIM_400000_NS6detail17trampoline_kernelINS0_13select_configILj256ELj13ELNS0_17block_load_methodE3ELS4_3ELS4_3ELNS0_20block_scan_algorithmE0ELj4294967295EEENS1_25partition_config_selectorILNS1_17partition_subalgoE3EjNS0_10empty_typeEbEEZZNS1_14partition_implILS8_3ELb0ES6_jNS0_17counting_iteratorIjlEEPS9_SE_NS0_5tupleIJPjSE_EEENSF_IJSE_SE_EEES9_SG_JZNS1_25segmented_radix_sort_implINS0_14default_configELb0EPK6__halfPSL_PKlPlN2at6native12_GLOBAL__N_18offset_tEEE10hipError_tPvRmT1_PNSt15iterator_traitsISZ_E10value_typeET2_T3_PNS10_IS15_E10value_typeET4_jRbjT5_S1B_jjP12ihipStream_tbEUljE_EEESW_SX_SY_S15_S19_S1B_T6_T7_T9_mT8_S1D_bDpT10_ENKUlT_T0_E_clISt17integral_constantIbLb1EES1Q_EEDaS1L_S1M_EUlS1L_E_NS1_11comp_targetILNS1_3genE10ELNS1_11target_archE1200ELNS1_3gpuE4ELNS1_3repE0EEENS1_30default_config_static_selectorELNS0_4arch9wavefront6targetE1EEEvSZ_,comdat
.Lfunc_end1821:
	.size	_ZN7rocprim17ROCPRIM_400000_NS6detail17trampoline_kernelINS0_13select_configILj256ELj13ELNS0_17block_load_methodE3ELS4_3ELS4_3ELNS0_20block_scan_algorithmE0ELj4294967295EEENS1_25partition_config_selectorILNS1_17partition_subalgoE3EjNS0_10empty_typeEbEEZZNS1_14partition_implILS8_3ELb0ES6_jNS0_17counting_iteratorIjlEEPS9_SE_NS0_5tupleIJPjSE_EEENSF_IJSE_SE_EEES9_SG_JZNS1_25segmented_radix_sort_implINS0_14default_configELb0EPK6__halfPSL_PKlPlN2at6native12_GLOBAL__N_18offset_tEEE10hipError_tPvRmT1_PNSt15iterator_traitsISZ_E10value_typeET2_T3_PNS10_IS15_E10value_typeET4_jRbjT5_S1B_jjP12ihipStream_tbEUljE_EEESW_SX_SY_S15_S19_S1B_T6_T7_T9_mT8_S1D_bDpT10_ENKUlT_T0_E_clISt17integral_constantIbLb1EES1Q_EEDaS1L_S1M_EUlS1L_E_NS1_11comp_targetILNS1_3genE10ELNS1_11target_archE1200ELNS1_3gpuE4ELNS1_3repE0EEENS1_30default_config_static_selectorELNS0_4arch9wavefront6targetE1EEEvSZ_, .Lfunc_end1821-_ZN7rocprim17ROCPRIM_400000_NS6detail17trampoline_kernelINS0_13select_configILj256ELj13ELNS0_17block_load_methodE3ELS4_3ELS4_3ELNS0_20block_scan_algorithmE0ELj4294967295EEENS1_25partition_config_selectorILNS1_17partition_subalgoE3EjNS0_10empty_typeEbEEZZNS1_14partition_implILS8_3ELb0ES6_jNS0_17counting_iteratorIjlEEPS9_SE_NS0_5tupleIJPjSE_EEENSF_IJSE_SE_EEES9_SG_JZNS1_25segmented_radix_sort_implINS0_14default_configELb0EPK6__halfPSL_PKlPlN2at6native12_GLOBAL__N_18offset_tEEE10hipError_tPvRmT1_PNSt15iterator_traitsISZ_E10value_typeET2_T3_PNS10_IS15_E10value_typeET4_jRbjT5_S1B_jjP12ihipStream_tbEUljE_EEESW_SX_SY_S15_S19_S1B_T6_T7_T9_mT8_S1D_bDpT10_ENKUlT_T0_E_clISt17integral_constantIbLb1EES1Q_EEDaS1L_S1M_EUlS1L_E_NS1_11comp_targetILNS1_3genE10ELNS1_11target_archE1200ELNS1_3gpuE4ELNS1_3repE0EEENS1_30default_config_static_selectorELNS0_4arch9wavefront6targetE1EEEvSZ_
                                        ; -- End function
	.section	.AMDGPU.csdata,"",@progbits
; Kernel info:
; codeLenInByte = 0
; NumSgprs: 4
; NumVgprs: 0
; NumAgprs: 0
; TotalNumVgprs: 0
; ScratchSize: 0
; MemoryBound: 0
; FloatMode: 240
; IeeeMode: 1
; LDSByteSize: 0 bytes/workgroup (compile time only)
; SGPRBlocks: 0
; VGPRBlocks: 0
; NumSGPRsForWavesPerEU: 4
; NumVGPRsForWavesPerEU: 1
; AccumOffset: 4
; Occupancy: 8
; WaveLimiterHint : 0
; COMPUTE_PGM_RSRC2:SCRATCH_EN: 0
; COMPUTE_PGM_RSRC2:USER_SGPR: 6
; COMPUTE_PGM_RSRC2:TRAP_HANDLER: 0
; COMPUTE_PGM_RSRC2:TGID_X_EN: 1
; COMPUTE_PGM_RSRC2:TGID_Y_EN: 0
; COMPUTE_PGM_RSRC2:TGID_Z_EN: 0
; COMPUTE_PGM_RSRC2:TIDIG_COMP_CNT: 0
; COMPUTE_PGM_RSRC3_GFX90A:ACCUM_OFFSET: 0
; COMPUTE_PGM_RSRC3_GFX90A:TG_SPLIT: 0
	.section	.text._ZN7rocprim17ROCPRIM_400000_NS6detail17trampoline_kernelINS0_13select_configILj256ELj13ELNS0_17block_load_methodE3ELS4_3ELS4_3ELNS0_20block_scan_algorithmE0ELj4294967295EEENS1_25partition_config_selectorILNS1_17partition_subalgoE3EjNS0_10empty_typeEbEEZZNS1_14partition_implILS8_3ELb0ES6_jNS0_17counting_iteratorIjlEEPS9_SE_NS0_5tupleIJPjSE_EEENSF_IJSE_SE_EEES9_SG_JZNS1_25segmented_radix_sort_implINS0_14default_configELb0EPK6__halfPSL_PKlPlN2at6native12_GLOBAL__N_18offset_tEEE10hipError_tPvRmT1_PNSt15iterator_traitsISZ_E10value_typeET2_T3_PNS10_IS15_E10value_typeET4_jRbjT5_S1B_jjP12ihipStream_tbEUljE_EEESW_SX_SY_S15_S19_S1B_T6_T7_T9_mT8_S1D_bDpT10_ENKUlT_T0_E_clISt17integral_constantIbLb1EES1Q_EEDaS1L_S1M_EUlS1L_E_NS1_11comp_targetILNS1_3genE9ELNS1_11target_archE1100ELNS1_3gpuE3ELNS1_3repE0EEENS1_30default_config_static_selectorELNS0_4arch9wavefront6targetE1EEEvSZ_,"axG",@progbits,_ZN7rocprim17ROCPRIM_400000_NS6detail17trampoline_kernelINS0_13select_configILj256ELj13ELNS0_17block_load_methodE3ELS4_3ELS4_3ELNS0_20block_scan_algorithmE0ELj4294967295EEENS1_25partition_config_selectorILNS1_17partition_subalgoE3EjNS0_10empty_typeEbEEZZNS1_14partition_implILS8_3ELb0ES6_jNS0_17counting_iteratorIjlEEPS9_SE_NS0_5tupleIJPjSE_EEENSF_IJSE_SE_EEES9_SG_JZNS1_25segmented_radix_sort_implINS0_14default_configELb0EPK6__halfPSL_PKlPlN2at6native12_GLOBAL__N_18offset_tEEE10hipError_tPvRmT1_PNSt15iterator_traitsISZ_E10value_typeET2_T3_PNS10_IS15_E10value_typeET4_jRbjT5_S1B_jjP12ihipStream_tbEUljE_EEESW_SX_SY_S15_S19_S1B_T6_T7_T9_mT8_S1D_bDpT10_ENKUlT_T0_E_clISt17integral_constantIbLb1EES1Q_EEDaS1L_S1M_EUlS1L_E_NS1_11comp_targetILNS1_3genE9ELNS1_11target_archE1100ELNS1_3gpuE3ELNS1_3repE0EEENS1_30default_config_static_selectorELNS0_4arch9wavefront6targetE1EEEvSZ_,comdat
	.globl	_ZN7rocprim17ROCPRIM_400000_NS6detail17trampoline_kernelINS0_13select_configILj256ELj13ELNS0_17block_load_methodE3ELS4_3ELS4_3ELNS0_20block_scan_algorithmE0ELj4294967295EEENS1_25partition_config_selectorILNS1_17partition_subalgoE3EjNS0_10empty_typeEbEEZZNS1_14partition_implILS8_3ELb0ES6_jNS0_17counting_iteratorIjlEEPS9_SE_NS0_5tupleIJPjSE_EEENSF_IJSE_SE_EEES9_SG_JZNS1_25segmented_radix_sort_implINS0_14default_configELb0EPK6__halfPSL_PKlPlN2at6native12_GLOBAL__N_18offset_tEEE10hipError_tPvRmT1_PNSt15iterator_traitsISZ_E10value_typeET2_T3_PNS10_IS15_E10value_typeET4_jRbjT5_S1B_jjP12ihipStream_tbEUljE_EEESW_SX_SY_S15_S19_S1B_T6_T7_T9_mT8_S1D_bDpT10_ENKUlT_T0_E_clISt17integral_constantIbLb1EES1Q_EEDaS1L_S1M_EUlS1L_E_NS1_11comp_targetILNS1_3genE9ELNS1_11target_archE1100ELNS1_3gpuE3ELNS1_3repE0EEENS1_30default_config_static_selectorELNS0_4arch9wavefront6targetE1EEEvSZ_ ; -- Begin function _ZN7rocprim17ROCPRIM_400000_NS6detail17trampoline_kernelINS0_13select_configILj256ELj13ELNS0_17block_load_methodE3ELS4_3ELS4_3ELNS0_20block_scan_algorithmE0ELj4294967295EEENS1_25partition_config_selectorILNS1_17partition_subalgoE3EjNS0_10empty_typeEbEEZZNS1_14partition_implILS8_3ELb0ES6_jNS0_17counting_iteratorIjlEEPS9_SE_NS0_5tupleIJPjSE_EEENSF_IJSE_SE_EEES9_SG_JZNS1_25segmented_radix_sort_implINS0_14default_configELb0EPK6__halfPSL_PKlPlN2at6native12_GLOBAL__N_18offset_tEEE10hipError_tPvRmT1_PNSt15iterator_traitsISZ_E10value_typeET2_T3_PNS10_IS15_E10value_typeET4_jRbjT5_S1B_jjP12ihipStream_tbEUljE_EEESW_SX_SY_S15_S19_S1B_T6_T7_T9_mT8_S1D_bDpT10_ENKUlT_T0_E_clISt17integral_constantIbLb1EES1Q_EEDaS1L_S1M_EUlS1L_E_NS1_11comp_targetILNS1_3genE9ELNS1_11target_archE1100ELNS1_3gpuE3ELNS1_3repE0EEENS1_30default_config_static_selectorELNS0_4arch9wavefront6targetE1EEEvSZ_
	.p2align	8
	.type	_ZN7rocprim17ROCPRIM_400000_NS6detail17trampoline_kernelINS0_13select_configILj256ELj13ELNS0_17block_load_methodE3ELS4_3ELS4_3ELNS0_20block_scan_algorithmE0ELj4294967295EEENS1_25partition_config_selectorILNS1_17partition_subalgoE3EjNS0_10empty_typeEbEEZZNS1_14partition_implILS8_3ELb0ES6_jNS0_17counting_iteratorIjlEEPS9_SE_NS0_5tupleIJPjSE_EEENSF_IJSE_SE_EEES9_SG_JZNS1_25segmented_radix_sort_implINS0_14default_configELb0EPK6__halfPSL_PKlPlN2at6native12_GLOBAL__N_18offset_tEEE10hipError_tPvRmT1_PNSt15iterator_traitsISZ_E10value_typeET2_T3_PNS10_IS15_E10value_typeET4_jRbjT5_S1B_jjP12ihipStream_tbEUljE_EEESW_SX_SY_S15_S19_S1B_T6_T7_T9_mT8_S1D_bDpT10_ENKUlT_T0_E_clISt17integral_constantIbLb1EES1Q_EEDaS1L_S1M_EUlS1L_E_NS1_11comp_targetILNS1_3genE9ELNS1_11target_archE1100ELNS1_3gpuE3ELNS1_3repE0EEENS1_30default_config_static_selectorELNS0_4arch9wavefront6targetE1EEEvSZ_,@function
_ZN7rocprim17ROCPRIM_400000_NS6detail17trampoline_kernelINS0_13select_configILj256ELj13ELNS0_17block_load_methodE3ELS4_3ELS4_3ELNS0_20block_scan_algorithmE0ELj4294967295EEENS1_25partition_config_selectorILNS1_17partition_subalgoE3EjNS0_10empty_typeEbEEZZNS1_14partition_implILS8_3ELb0ES6_jNS0_17counting_iteratorIjlEEPS9_SE_NS0_5tupleIJPjSE_EEENSF_IJSE_SE_EEES9_SG_JZNS1_25segmented_radix_sort_implINS0_14default_configELb0EPK6__halfPSL_PKlPlN2at6native12_GLOBAL__N_18offset_tEEE10hipError_tPvRmT1_PNSt15iterator_traitsISZ_E10value_typeET2_T3_PNS10_IS15_E10value_typeET4_jRbjT5_S1B_jjP12ihipStream_tbEUljE_EEESW_SX_SY_S15_S19_S1B_T6_T7_T9_mT8_S1D_bDpT10_ENKUlT_T0_E_clISt17integral_constantIbLb1EES1Q_EEDaS1L_S1M_EUlS1L_E_NS1_11comp_targetILNS1_3genE9ELNS1_11target_archE1100ELNS1_3gpuE3ELNS1_3repE0EEENS1_30default_config_static_selectorELNS0_4arch9wavefront6targetE1EEEvSZ_: ; @_ZN7rocprim17ROCPRIM_400000_NS6detail17trampoline_kernelINS0_13select_configILj256ELj13ELNS0_17block_load_methodE3ELS4_3ELS4_3ELNS0_20block_scan_algorithmE0ELj4294967295EEENS1_25partition_config_selectorILNS1_17partition_subalgoE3EjNS0_10empty_typeEbEEZZNS1_14partition_implILS8_3ELb0ES6_jNS0_17counting_iteratorIjlEEPS9_SE_NS0_5tupleIJPjSE_EEENSF_IJSE_SE_EEES9_SG_JZNS1_25segmented_radix_sort_implINS0_14default_configELb0EPK6__halfPSL_PKlPlN2at6native12_GLOBAL__N_18offset_tEEE10hipError_tPvRmT1_PNSt15iterator_traitsISZ_E10value_typeET2_T3_PNS10_IS15_E10value_typeET4_jRbjT5_S1B_jjP12ihipStream_tbEUljE_EEESW_SX_SY_S15_S19_S1B_T6_T7_T9_mT8_S1D_bDpT10_ENKUlT_T0_E_clISt17integral_constantIbLb1EES1Q_EEDaS1L_S1M_EUlS1L_E_NS1_11comp_targetILNS1_3genE9ELNS1_11target_archE1100ELNS1_3gpuE3ELNS1_3repE0EEENS1_30default_config_static_selectorELNS0_4arch9wavefront6targetE1EEEvSZ_
; %bb.0:
	.section	.rodata,"a",@progbits
	.p2align	6, 0x0
	.amdhsa_kernel _ZN7rocprim17ROCPRIM_400000_NS6detail17trampoline_kernelINS0_13select_configILj256ELj13ELNS0_17block_load_methodE3ELS4_3ELS4_3ELNS0_20block_scan_algorithmE0ELj4294967295EEENS1_25partition_config_selectorILNS1_17partition_subalgoE3EjNS0_10empty_typeEbEEZZNS1_14partition_implILS8_3ELb0ES6_jNS0_17counting_iteratorIjlEEPS9_SE_NS0_5tupleIJPjSE_EEENSF_IJSE_SE_EEES9_SG_JZNS1_25segmented_radix_sort_implINS0_14default_configELb0EPK6__halfPSL_PKlPlN2at6native12_GLOBAL__N_18offset_tEEE10hipError_tPvRmT1_PNSt15iterator_traitsISZ_E10value_typeET2_T3_PNS10_IS15_E10value_typeET4_jRbjT5_S1B_jjP12ihipStream_tbEUljE_EEESW_SX_SY_S15_S19_S1B_T6_T7_T9_mT8_S1D_bDpT10_ENKUlT_T0_E_clISt17integral_constantIbLb1EES1Q_EEDaS1L_S1M_EUlS1L_E_NS1_11comp_targetILNS1_3genE9ELNS1_11target_archE1100ELNS1_3gpuE3ELNS1_3repE0EEENS1_30default_config_static_selectorELNS0_4arch9wavefront6targetE1EEEvSZ_
		.amdhsa_group_segment_fixed_size 0
		.amdhsa_private_segment_fixed_size 0
		.amdhsa_kernarg_size 152
		.amdhsa_user_sgpr_count 6
		.amdhsa_user_sgpr_private_segment_buffer 1
		.amdhsa_user_sgpr_dispatch_ptr 0
		.amdhsa_user_sgpr_queue_ptr 0
		.amdhsa_user_sgpr_kernarg_segment_ptr 1
		.amdhsa_user_sgpr_dispatch_id 0
		.amdhsa_user_sgpr_flat_scratch_init 0
		.amdhsa_user_sgpr_kernarg_preload_length 0
		.amdhsa_user_sgpr_kernarg_preload_offset 0
		.amdhsa_user_sgpr_private_segment_size 0
		.amdhsa_uses_dynamic_stack 0
		.amdhsa_system_sgpr_private_segment_wavefront_offset 0
		.amdhsa_system_sgpr_workgroup_id_x 1
		.amdhsa_system_sgpr_workgroup_id_y 0
		.amdhsa_system_sgpr_workgroup_id_z 0
		.amdhsa_system_sgpr_workgroup_info 0
		.amdhsa_system_vgpr_workitem_id 0
		.amdhsa_next_free_vgpr 1
		.amdhsa_next_free_sgpr 0
		.amdhsa_accum_offset 4
		.amdhsa_reserve_vcc 0
		.amdhsa_reserve_flat_scratch 0
		.amdhsa_float_round_mode_32 0
		.amdhsa_float_round_mode_16_64 0
		.amdhsa_float_denorm_mode_32 3
		.amdhsa_float_denorm_mode_16_64 3
		.amdhsa_dx10_clamp 1
		.amdhsa_ieee_mode 1
		.amdhsa_fp16_overflow 0
		.amdhsa_tg_split 0
		.amdhsa_exception_fp_ieee_invalid_op 0
		.amdhsa_exception_fp_denorm_src 0
		.amdhsa_exception_fp_ieee_div_zero 0
		.amdhsa_exception_fp_ieee_overflow 0
		.amdhsa_exception_fp_ieee_underflow 0
		.amdhsa_exception_fp_ieee_inexact 0
		.amdhsa_exception_int_div_zero 0
	.end_amdhsa_kernel
	.section	.text._ZN7rocprim17ROCPRIM_400000_NS6detail17trampoline_kernelINS0_13select_configILj256ELj13ELNS0_17block_load_methodE3ELS4_3ELS4_3ELNS0_20block_scan_algorithmE0ELj4294967295EEENS1_25partition_config_selectorILNS1_17partition_subalgoE3EjNS0_10empty_typeEbEEZZNS1_14partition_implILS8_3ELb0ES6_jNS0_17counting_iteratorIjlEEPS9_SE_NS0_5tupleIJPjSE_EEENSF_IJSE_SE_EEES9_SG_JZNS1_25segmented_radix_sort_implINS0_14default_configELb0EPK6__halfPSL_PKlPlN2at6native12_GLOBAL__N_18offset_tEEE10hipError_tPvRmT1_PNSt15iterator_traitsISZ_E10value_typeET2_T3_PNS10_IS15_E10value_typeET4_jRbjT5_S1B_jjP12ihipStream_tbEUljE_EEESW_SX_SY_S15_S19_S1B_T6_T7_T9_mT8_S1D_bDpT10_ENKUlT_T0_E_clISt17integral_constantIbLb1EES1Q_EEDaS1L_S1M_EUlS1L_E_NS1_11comp_targetILNS1_3genE9ELNS1_11target_archE1100ELNS1_3gpuE3ELNS1_3repE0EEENS1_30default_config_static_selectorELNS0_4arch9wavefront6targetE1EEEvSZ_,"axG",@progbits,_ZN7rocprim17ROCPRIM_400000_NS6detail17trampoline_kernelINS0_13select_configILj256ELj13ELNS0_17block_load_methodE3ELS4_3ELS4_3ELNS0_20block_scan_algorithmE0ELj4294967295EEENS1_25partition_config_selectorILNS1_17partition_subalgoE3EjNS0_10empty_typeEbEEZZNS1_14partition_implILS8_3ELb0ES6_jNS0_17counting_iteratorIjlEEPS9_SE_NS0_5tupleIJPjSE_EEENSF_IJSE_SE_EEES9_SG_JZNS1_25segmented_radix_sort_implINS0_14default_configELb0EPK6__halfPSL_PKlPlN2at6native12_GLOBAL__N_18offset_tEEE10hipError_tPvRmT1_PNSt15iterator_traitsISZ_E10value_typeET2_T3_PNS10_IS15_E10value_typeET4_jRbjT5_S1B_jjP12ihipStream_tbEUljE_EEESW_SX_SY_S15_S19_S1B_T6_T7_T9_mT8_S1D_bDpT10_ENKUlT_T0_E_clISt17integral_constantIbLb1EES1Q_EEDaS1L_S1M_EUlS1L_E_NS1_11comp_targetILNS1_3genE9ELNS1_11target_archE1100ELNS1_3gpuE3ELNS1_3repE0EEENS1_30default_config_static_selectorELNS0_4arch9wavefront6targetE1EEEvSZ_,comdat
.Lfunc_end1822:
	.size	_ZN7rocprim17ROCPRIM_400000_NS6detail17trampoline_kernelINS0_13select_configILj256ELj13ELNS0_17block_load_methodE3ELS4_3ELS4_3ELNS0_20block_scan_algorithmE0ELj4294967295EEENS1_25partition_config_selectorILNS1_17partition_subalgoE3EjNS0_10empty_typeEbEEZZNS1_14partition_implILS8_3ELb0ES6_jNS0_17counting_iteratorIjlEEPS9_SE_NS0_5tupleIJPjSE_EEENSF_IJSE_SE_EEES9_SG_JZNS1_25segmented_radix_sort_implINS0_14default_configELb0EPK6__halfPSL_PKlPlN2at6native12_GLOBAL__N_18offset_tEEE10hipError_tPvRmT1_PNSt15iterator_traitsISZ_E10value_typeET2_T3_PNS10_IS15_E10value_typeET4_jRbjT5_S1B_jjP12ihipStream_tbEUljE_EEESW_SX_SY_S15_S19_S1B_T6_T7_T9_mT8_S1D_bDpT10_ENKUlT_T0_E_clISt17integral_constantIbLb1EES1Q_EEDaS1L_S1M_EUlS1L_E_NS1_11comp_targetILNS1_3genE9ELNS1_11target_archE1100ELNS1_3gpuE3ELNS1_3repE0EEENS1_30default_config_static_selectorELNS0_4arch9wavefront6targetE1EEEvSZ_, .Lfunc_end1822-_ZN7rocprim17ROCPRIM_400000_NS6detail17trampoline_kernelINS0_13select_configILj256ELj13ELNS0_17block_load_methodE3ELS4_3ELS4_3ELNS0_20block_scan_algorithmE0ELj4294967295EEENS1_25partition_config_selectorILNS1_17partition_subalgoE3EjNS0_10empty_typeEbEEZZNS1_14partition_implILS8_3ELb0ES6_jNS0_17counting_iteratorIjlEEPS9_SE_NS0_5tupleIJPjSE_EEENSF_IJSE_SE_EEES9_SG_JZNS1_25segmented_radix_sort_implINS0_14default_configELb0EPK6__halfPSL_PKlPlN2at6native12_GLOBAL__N_18offset_tEEE10hipError_tPvRmT1_PNSt15iterator_traitsISZ_E10value_typeET2_T3_PNS10_IS15_E10value_typeET4_jRbjT5_S1B_jjP12ihipStream_tbEUljE_EEESW_SX_SY_S15_S19_S1B_T6_T7_T9_mT8_S1D_bDpT10_ENKUlT_T0_E_clISt17integral_constantIbLb1EES1Q_EEDaS1L_S1M_EUlS1L_E_NS1_11comp_targetILNS1_3genE9ELNS1_11target_archE1100ELNS1_3gpuE3ELNS1_3repE0EEENS1_30default_config_static_selectorELNS0_4arch9wavefront6targetE1EEEvSZ_
                                        ; -- End function
	.section	.AMDGPU.csdata,"",@progbits
; Kernel info:
; codeLenInByte = 0
; NumSgprs: 4
; NumVgprs: 0
; NumAgprs: 0
; TotalNumVgprs: 0
; ScratchSize: 0
; MemoryBound: 0
; FloatMode: 240
; IeeeMode: 1
; LDSByteSize: 0 bytes/workgroup (compile time only)
; SGPRBlocks: 0
; VGPRBlocks: 0
; NumSGPRsForWavesPerEU: 4
; NumVGPRsForWavesPerEU: 1
; AccumOffset: 4
; Occupancy: 8
; WaveLimiterHint : 0
; COMPUTE_PGM_RSRC2:SCRATCH_EN: 0
; COMPUTE_PGM_RSRC2:USER_SGPR: 6
; COMPUTE_PGM_RSRC2:TRAP_HANDLER: 0
; COMPUTE_PGM_RSRC2:TGID_X_EN: 1
; COMPUTE_PGM_RSRC2:TGID_Y_EN: 0
; COMPUTE_PGM_RSRC2:TGID_Z_EN: 0
; COMPUTE_PGM_RSRC2:TIDIG_COMP_CNT: 0
; COMPUTE_PGM_RSRC3_GFX90A:ACCUM_OFFSET: 0
; COMPUTE_PGM_RSRC3_GFX90A:TG_SPLIT: 0
	.section	.text._ZN7rocprim17ROCPRIM_400000_NS6detail17trampoline_kernelINS0_13select_configILj256ELj13ELNS0_17block_load_methodE3ELS4_3ELS4_3ELNS0_20block_scan_algorithmE0ELj4294967295EEENS1_25partition_config_selectorILNS1_17partition_subalgoE3EjNS0_10empty_typeEbEEZZNS1_14partition_implILS8_3ELb0ES6_jNS0_17counting_iteratorIjlEEPS9_SE_NS0_5tupleIJPjSE_EEENSF_IJSE_SE_EEES9_SG_JZNS1_25segmented_radix_sort_implINS0_14default_configELb0EPK6__halfPSL_PKlPlN2at6native12_GLOBAL__N_18offset_tEEE10hipError_tPvRmT1_PNSt15iterator_traitsISZ_E10value_typeET2_T3_PNS10_IS15_E10value_typeET4_jRbjT5_S1B_jjP12ihipStream_tbEUljE_EEESW_SX_SY_S15_S19_S1B_T6_T7_T9_mT8_S1D_bDpT10_ENKUlT_T0_E_clISt17integral_constantIbLb1EES1Q_EEDaS1L_S1M_EUlS1L_E_NS1_11comp_targetILNS1_3genE8ELNS1_11target_archE1030ELNS1_3gpuE2ELNS1_3repE0EEENS1_30default_config_static_selectorELNS0_4arch9wavefront6targetE1EEEvSZ_,"axG",@progbits,_ZN7rocprim17ROCPRIM_400000_NS6detail17trampoline_kernelINS0_13select_configILj256ELj13ELNS0_17block_load_methodE3ELS4_3ELS4_3ELNS0_20block_scan_algorithmE0ELj4294967295EEENS1_25partition_config_selectorILNS1_17partition_subalgoE3EjNS0_10empty_typeEbEEZZNS1_14partition_implILS8_3ELb0ES6_jNS0_17counting_iteratorIjlEEPS9_SE_NS0_5tupleIJPjSE_EEENSF_IJSE_SE_EEES9_SG_JZNS1_25segmented_radix_sort_implINS0_14default_configELb0EPK6__halfPSL_PKlPlN2at6native12_GLOBAL__N_18offset_tEEE10hipError_tPvRmT1_PNSt15iterator_traitsISZ_E10value_typeET2_T3_PNS10_IS15_E10value_typeET4_jRbjT5_S1B_jjP12ihipStream_tbEUljE_EEESW_SX_SY_S15_S19_S1B_T6_T7_T9_mT8_S1D_bDpT10_ENKUlT_T0_E_clISt17integral_constantIbLb1EES1Q_EEDaS1L_S1M_EUlS1L_E_NS1_11comp_targetILNS1_3genE8ELNS1_11target_archE1030ELNS1_3gpuE2ELNS1_3repE0EEENS1_30default_config_static_selectorELNS0_4arch9wavefront6targetE1EEEvSZ_,comdat
	.globl	_ZN7rocprim17ROCPRIM_400000_NS6detail17trampoline_kernelINS0_13select_configILj256ELj13ELNS0_17block_load_methodE3ELS4_3ELS4_3ELNS0_20block_scan_algorithmE0ELj4294967295EEENS1_25partition_config_selectorILNS1_17partition_subalgoE3EjNS0_10empty_typeEbEEZZNS1_14partition_implILS8_3ELb0ES6_jNS0_17counting_iteratorIjlEEPS9_SE_NS0_5tupleIJPjSE_EEENSF_IJSE_SE_EEES9_SG_JZNS1_25segmented_radix_sort_implINS0_14default_configELb0EPK6__halfPSL_PKlPlN2at6native12_GLOBAL__N_18offset_tEEE10hipError_tPvRmT1_PNSt15iterator_traitsISZ_E10value_typeET2_T3_PNS10_IS15_E10value_typeET4_jRbjT5_S1B_jjP12ihipStream_tbEUljE_EEESW_SX_SY_S15_S19_S1B_T6_T7_T9_mT8_S1D_bDpT10_ENKUlT_T0_E_clISt17integral_constantIbLb1EES1Q_EEDaS1L_S1M_EUlS1L_E_NS1_11comp_targetILNS1_3genE8ELNS1_11target_archE1030ELNS1_3gpuE2ELNS1_3repE0EEENS1_30default_config_static_selectorELNS0_4arch9wavefront6targetE1EEEvSZ_ ; -- Begin function _ZN7rocprim17ROCPRIM_400000_NS6detail17trampoline_kernelINS0_13select_configILj256ELj13ELNS0_17block_load_methodE3ELS4_3ELS4_3ELNS0_20block_scan_algorithmE0ELj4294967295EEENS1_25partition_config_selectorILNS1_17partition_subalgoE3EjNS0_10empty_typeEbEEZZNS1_14partition_implILS8_3ELb0ES6_jNS0_17counting_iteratorIjlEEPS9_SE_NS0_5tupleIJPjSE_EEENSF_IJSE_SE_EEES9_SG_JZNS1_25segmented_radix_sort_implINS0_14default_configELb0EPK6__halfPSL_PKlPlN2at6native12_GLOBAL__N_18offset_tEEE10hipError_tPvRmT1_PNSt15iterator_traitsISZ_E10value_typeET2_T3_PNS10_IS15_E10value_typeET4_jRbjT5_S1B_jjP12ihipStream_tbEUljE_EEESW_SX_SY_S15_S19_S1B_T6_T7_T9_mT8_S1D_bDpT10_ENKUlT_T0_E_clISt17integral_constantIbLb1EES1Q_EEDaS1L_S1M_EUlS1L_E_NS1_11comp_targetILNS1_3genE8ELNS1_11target_archE1030ELNS1_3gpuE2ELNS1_3repE0EEENS1_30default_config_static_selectorELNS0_4arch9wavefront6targetE1EEEvSZ_
	.p2align	8
	.type	_ZN7rocprim17ROCPRIM_400000_NS6detail17trampoline_kernelINS0_13select_configILj256ELj13ELNS0_17block_load_methodE3ELS4_3ELS4_3ELNS0_20block_scan_algorithmE0ELj4294967295EEENS1_25partition_config_selectorILNS1_17partition_subalgoE3EjNS0_10empty_typeEbEEZZNS1_14partition_implILS8_3ELb0ES6_jNS0_17counting_iteratorIjlEEPS9_SE_NS0_5tupleIJPjSE_EEENSF_IJSE_SE_EEES9_SG_JZNS1_25segmented_radix_sort_implINS0_14default_configELb0EPK6__halfPSL_PKlPlN2at6native12_GLOBAL__N_18offset_tEEE10hipError_tPvRmT1_PNSt15iterator_traitsISZ_E10value_typeET2_T3_PNS10_IS15_E10value_typeET4_jRbjT5_S1B_jjP12ihipStream_tbEUljE_EEESW_SX_SY_S15_S19_S1B_T6_T7_T9_mT8_S1D_bDpT10_ENKUlT_T0_E_clISt17integral_constantIbLb1EES1Q_EEDaS1L_S1M_EUlS1L_E_NS1_11comp_targetILNS1_3genE8ELNS1_11target_archE1030ELNS1_3gpuE2ELNS1_3repE0EEENS1_30default_config_static_selectorELNS0_4arch9wavefront6targetE1EEEvSZ_,@function
_ZN7rocprim17ROCPRIM_400000_NS6detail17trampoline_kernelINS0_13select_configILj256ELj13ELNS0_17block_load_methodE3ELS4_3ELS4_3ELNS0_20block_scan_algorithmE0ELj4294967295EEENS1_25partition_config_selectorILNS1_17partition_subalgoE3EjNS0_10empty_typeEbEEZZNS1_14partition_implILS8_3ELb0ES6_jNS0_17counting_iteratorIjlEEPS9_SE_NS0_5tupleIJPjSE_EEENSF_IJSE_SE_EEES9_SG_JZNS1_25segmented_radix_sort_implINS0_14default_configELb0EPK6__halfPSL_PKlPlN2at6native12_GLOBAL__N_18offset_tEEE10hipError_tPvRmT1_PNSt15iterator_traitsISZ_E10value_typeET2_T3_PNS10_IS15_E10value_typeET4_jRbjT5_S1B_jjP12ihipStream_tbEUljE_EEESW_SX_SY_S15_S19_S1B_T6_T7_T9_mT8_S1D_bDpT10_ENKUlT_T0_E_clISt17integral_constantIbLb1EES1Q_EEDaS1L_S1M_EUlS1L_E_NS1_11comp_targetILNS1_3genE8ELNS1_11target_archE1030ELNS1_3gpuE2ELNS1_3repE0EEENS1_30default_config_static_selectorELNS0_4arch9wavefront6targetE1EEEvSZ_: ; @_ZN7rocprim17ROCPRIM_400000_NS6detail17trampoline_kernelINS0_13select_configILj256ELj13ELNS0_17block_load_methodE3ELS4_3ELS4_3ELNS0_20block_scan_algorithmE0ELj4294967295EEENS1_25partition_config_selectorILNS1_17partition_subalgoE3EjNS0_10empty_typeEbEEZZNS1_14partition_implILS8_3ELb0ES6_jNS0_17counting_iteratorIjlEEPS9_SE_NS0_5tupleIJPjSE_EEENSF_IJSE_SE_EEES9_SG_JZNS1_25segmented_radix_sort_implINS0_14default_configELb0EPK6__halfPSL_PKlPlN2at6native12_GLOBAL__N_18offset_tEEE10hipError_tPvRmT1_PNSt15iterator_traitsISZ_E10value_typeET2_T3_PNS10_IS15_E10value_typeET4_jRbjT5_S1B_jjP12ihipStream_tbEUljE_EEESW_SX_SY_S15_S19_S1B_T6_T7_T9_mT8_S1D_bDpT10_ENKUlT_T0_E_clISt17integral_constantIbLb1EES1Q_EEDaS1L_S1M_EUlS1L_E_NS1_11comp_targetILNS1_3genE8ELNS1_11target_archE1030ELNS1_3gpuE2ELNS1_3repE0EEENS1_30default_config_static_selectorELNS0_4arch9wavefront6targetE1EEEvSZ_
; %bb.0:
	.section	.rodata,"a",@progbits
	.p2align	6, 0x0
	.amdhsa_kernel _ZN7rocprim17ROCPRIM_400000_NS6detail17trampoline_kernelINS0_13select_configILj256ELj13ELNS0_17block_load_methodE3ELS4_3ELS4_3ELNS0_20block_scan_algorithmE0ELj4294967295EEENS1_25partition_config_selectorILNS1_17partition_subalgoE3EjNS0_10empty_typeEbEEZZNS1_14partition_implILS8_3ELb0ES6_jNS0_17counting_iteratorIjlEEPS9_SE_NS0_5tupleIJPjSE_EEENSF_IJSE_SE_EEES9_SG_JZNS1_25segmented_radix_sort_implINS0_14default_configELb0EPK6__halfPSL_PKlPlN2at6native12_GLOBAL__N_18offset_tEEE10hipError_tPvRmT1_PNSt15iterator_traitsISZ_E10value_typeET2_T3_PNS10_IS15_E10value_typeET4_jRbjT5_S1B_jjP12ihipStream_tbEUljE_EEESW_SX_SY_S15_S19_S1B_T6_T7_T9_mT8_S1D_bDpT10_ENKUlT_T0_E_clISt17integral_constantIbLb1EES1Q_EEDaS1L_S1M_EUlS1L_E_NS1_11comp_targetILNS1_3genE8ELNS1_11target_archE1030ELNS1_3gpuE2ELNS1_3repE0EEENS1_30default_config_static_selectorELNS0_4arch9wavefront6targetE1EEEvSZ_
		.amdhsa_group_segment_fixed_size 0
		.amdhsa_private_segment_fixed_size 0
		.amdhsa_kernarg_size 152
		.amdhsa_user_sgpr_count 6
		.amdhsa_user_sgpr_private_segment_buffer 1
		.amdhsa_user_sgpr_dispatch_ptr 0
		.amdhsa_user_sgpr_queue_ptr 0
		.amdhsa_user_sgpr_kernarg_segment_ptr 1
		.amdhsa_user_sgpr_dispatch_id 0
		.amdhsa_user_sgpr_flat_scratch_init 0
		.amdhsa_user_sgpr_kernarg_preload_length 0
		.amdhsa_user_sgpr_kernarg_preload_offset 0
		.amdhsa_user_sgpr_private_segment_size 0
		.amdhsa_uses_dynamic_stack 0
		.amdhsa_system_sgpr_private_segment_wavefront_offset 0
		.amdhsa_system_sgpr_workgroup_id_x 1
		.amdhsa_system_sgpr_workgroup_id_y 0
		.amdhsa_system_sgpr_workgroup_id_z 0
		.amdhsa_system_sgpr_workgroup_info 0
		.amdhsa_system_vgpr_workitem_id 0
		.amdhsa_next_free_vgpr 1
		.amdhsa_next_free_sgpr 0
		.amdhsa_accum_offset 4
		.amdhsa_reserve_vcc 0
		.amdhsa_reserve_flat_scratch 0
		.amdhsa_float_round_mode_32 0
		.amdhsa_float_round_mode_16_64 0
		.amdhsa_float_denorm_mode_32 3
		.amdhsa_float_denorm_mode_16_64 3
		.amdhsa_dx10_clamp 1
		.amdhsa_ieee_mode 1
		.amdhsa_fp16_overflow 0
		.amdhsa_tg_split 0
		.amdhsa_exception_fp_ieee_invalid_op 0
		.amdhsa_exception_fp_denorm_src 0
		.amdhsa_exception_fp_ieee_div_zero 0
		.amdhsa_exception_fp_ieee_overflow 0
		.amdhsa_exception_fp_ieee_underflow 0
		.amdhsa_exception_fp_ieee_inexact 0
		.amdhsa_exception_int_div_zero 0
	.end_amdhsa_kernel
	.section	.text._ZN7rocprim17ROCPRIM_400000_NS6detail17trampoline_kernelINS0_13select_configILj256ELj13ELNS0_17block_load_methodE3ELS4_3ELS4_3ELNS0_20block_scan_algorithmE0ELj4294967295EEENS1_25partition_config_selectorILNS1_17partition_subalgoE3EjNS0_10empty_typeEbEEZZNS1_14partition_implILS8_3ELb0ES6_jNS0_17counting_iteratorIjlEEPS9_SE_NS0_5tupleIJPjSE_EEENSF_IJSE_SE_EEES9_SG_JZNS1_25segmented_radix_sort_implINS0_14default_configELb0EPK6__halfPSL_PKlPlN2at6native12_GLOBAL__N_18offset_tEEE10hipError_tPvRmT1_PNSt15iterator_traitsISZ_E10value_typeET2_T3_PNS10_IS15_E10value_typeET4_jRbjT5_S1B_jjP12ihipStream_tbEUljE_EEESW_SX_SY_S15_S19_S1B_T6_T7_T9_mT8_S1D_bDpT10_ENKUlT_T0_E_clISt17integral_constantIbLb1EES1Q_EEDaS1L_S1M_EUlS1L_E_NS1_11comp_targetILNS1_3genE8ELNS1_11target_archE1030ELNS1_3gpuE2ELNS1_3repE0EEENS1_30default_config_static_selectorELNS0_4arch9wavefront6targetE1EEEvSZ_,"axG",@progbits,_ZN7rocprim17ROCPRIM_400000_NS6detail17trampoline_kernelINS0_13select_configILj256ELj13ELNS0_17block_load_methodE3ELS4_3ELS4_3ELNS0_20block_scan_algorithmE0ELj4294967295EEENS1_25partition_config_selectorILNS1_17partition_subalgoE3EjNS0_10empty_typeEbEEZZNS1_14partition_implILS8_3ELb0ES6_jNS0_17counting_iteratorIjlEEPS9_SE_NS0_5tupleIJPjSE_EEENSF_IJSE_SE_EEES9_SG_JZNS1_25segmented_radix_sort_implINS0_14default_configELb0EPK6__halfPSL_PKlPlN2at6native12_GLOBAL__N_18offset_tEEE10hipError_tPvRmT1_PNSt15iterator_traitsISZ_E10value_typeET2_T3_PNS10_IS15_E10value_typeET4_jRbjT5_S1B_jjP12ihipStream_tbEUljE_EEESW_SX_SY_S15_S19_S1B_T6_T7_T9_mT8_S1D_bDpT10_ENKUlT_T0_E_clISt17integral_constantIbLb1EES1Q_EEDaS1L_S1M_EUlS1L_E_NS1_11comp_targetILNS1_3genE8ELNS1_11target_archE1030ELNS1_3gpuE2ELNS1_3repE0EEENS1_30default_config_static_selectorELNS0_4arch9wavefront6targetE1EEEvSZ_,comdat
.Lfunc_end1823:
	.size	_ZN7rocprim17ROCPRIM_400000_NS6detail17trampoline_kernelINS0_13select_configILj256ELj13ELNS0_17block_load_methodE3ELS4_3ELS4_3ELNS0_20block_scan_algorithmE0ELj4294967295EEENS1_25partition_config_selectorILNS1_17partition_subalgoE3EjNS0_10empty_typeEbEEZZNS1_14partition_implILS8_3ELb0ES6_jNS0_17counting_iteratorIjlEEPS9_SE_NS0_5tupleIJPjSE_EEENSF_IJSE_SE_EEES9_SG_JZNS1_25segmented_radix_sort_implINS0_14default_configELb0EPK6__halfPSL_PKlPlN2at6native12_GLOBAL__N_18offset_tEEE10hipError_tPvRmT1_PNSt15iterator_traitsISZ_E10value_typeET2_T3_PNS10_IS15_E10value_typeET4_jRbjT5_S1B_jjP12ihipStream_tbEUljE_EEESW_SX_SY_S15_S19_S1B_T6_T7_T9_mT8_S1D_bDpT10_ENKUlT_T0_E_clISt17integral_constantIbLb1EES1Q_EEDaS1L_S1M_EUlS1L_E_NS1_11comp_targetILNS1_3genE8ELNS1_11target_archE1030ELNS1_3gpuE2ELNS1_3repE0EEENS1_30default_config_static_selectorELNS0_4arch9wavefront6targetE1EEEvSZ_, .Lfunc_end1823-_ZN7rocprim17ROCPRIM_400000_NS6detail17trampoline_kernelINS0_13select_configILj256ELj13ELNS0_17block_load_methodE3ELS4_3ELS4_3ELNS0_20block_scan_algorithmE0ELj4294967295EEENS1_25partition_config_selectorILNS1_17partition_subalgoE3EjNS0_10empty_typeEbEEZZNS1_14partition_implILS8_3ELb0ES6_jNS0_17counting_iteratorIjlEEPS9_SE_NS0_5tupleIJPjSE_EEENSF_IJSE_SE_EEES9_SG_JZNS1_25segmented_radix_sort_implINS0_14default_configELb0EPK6__halfPSL_PKlPlN2at6native12_GLOBAL__N_18offset_tEEE10hipError_tPvRmT1_PNSt15iterator_traitsISZ_E10value_typeET2_T3_PNS10_IS15_E10value_typeET4_jRbjT5_S1B_jjP12ihipStream_tbEUljE_EEESW_SX_SY_S15_S19_S1B_T6_T7_T9_mT8_S1D_bDpT10_ENKUlT_T0_E_clISt17integral_constantIbLb1EES1Q_EEDaS1L_S1M_EUlS1L_E_NS1_11comp_targetILNS1_3genE8ELNS1_11target_archE1030ELNS1_3gpuE2ELNS1_3repE0EEENS1_30default_config_static_selectorELNS0_4arch9wavefront6targetE1EEEvSZ_
                                        ; -- End function
	.section	.AMDGPU.csdata,"",@progbits
; Kernel info:
; codeLenInByte = 0
; NumSgprs: 4
; NumVgprs: 0
; NumAgprs: 0
; TotalNumVgprs: 0
; ScratchSize: 0
; MemoryBound: 0
; FloatMode: 240
; IeeeMode: 1
; LDSByteSize: 0 bytes/workgroup (compile time only)
; SGPRBlocks: 0
; VGPRBlocks: 0
; NumSGPRsForWavesPerEU: 4
; NumVGPRsForWavesPerEU: 1
; AccumOffset: 4
; Occupancy: 8
; WaveLimiterHint : 0
; COMPUTE_PGM_RSRC2:SCRATCH_EN: 0
; COMPUTE_PGM_RSRC2:USER_SGPR: 6
; COMPUTE_PGM_RSRC2:TRAP_HANDLER: 0
; COMPUTE_PGM_RSRC2:TGID_X_EN: 1
; COMPUTE_PGM_RSRC2:TGID_Y_EN: 0
; COMPUTE_PGM_RSRC2:TGID_Z_EN: 0
; COMPUTE_PGM_RSRC2:TIDIG_COMP_CNT: 0
; COMPUTE_PGM_RSRC3_GFX90A:ACCUM_OFFSET: 0
; COMPUTE_PGM_RSRC3_GFX90A:TG_SPLIT: 0
	.section	.text._ZN7rocprim17ROCPRIM_400000_NS6detail17trampoline_kernelINS0_13select_configILj256ELj13ELNS0_17block_load_methodE3ELS4_3ELS4_3ELNS0_20block_scan_algorithmE0ELj4294967295EEENS1_25partition_config_selectorILNS1_17partition_subalgoE3EjNS0_10empty_typeEbEEZZNS1_14partition_implILS8_3ELb0ES6_jNS0_17counting_iteratorIjlEEPS9_SE_NS0_5tupleIJPjSE_EEENSF_IJSE_SE_EEES9_SG_JZNS1_25segmented_radix_sort_implINS0_14default_configELb0EPK6__halfPSL_PKlPlN2at6native12_GLOBAL__N_18offset_tEEE10hipError_tPvRmT1_PNSt15iterator_traitsISZ_E10value_typeET2_T3_PNS10_IS15_E10value_typeET4_jRbjT5_S1B_jjP12ihipStream_tbEUljE_EEESW_SX_SY_S15_S19_S1B_T6_T7_T9_mT8_S1D_bDpT10_ENKUlT_T0_E_clISt17integral_constantIbLb1EES1P_IbLb0EEEEDaS1L_S1M_EUlS1L_E_NS1_11comp_targetILNS1_3genE0ELNS1_11target_archE4294967295ELNS1_3gpuE0ELNS1_3repE0EEENS1_30default_config_static_selectorELNS0_4arch9wavefront6targetE1EEEvSZ_,"axG",@progbits,_ZN7rocprim17ROCPRIM_400000_NS6detail17trampoline_kernelINS0_13select_configILj256ELj13ELNS0_17block_load_methodE3ELS4_3ELS4_3ELNS0_20block_scan_algorithmE0ELj4294967295EEENS1_25partition_config_selectorILNS1_17partition_subalgoE3EjNS0_10empty_typeEbEEZZNS1_14partition_implILS8_3ELb0ES6_jNS0_17counting_iteratorIjlEEPS9_SE_NS0_5tupleIJPjSE_EEENSF_IJSE_SE_EEES9_SG_JZNS1_25segmented_radix_sort_implINS0_14default_configELb0EPK6__halfPSL_PKlPlN2at6native12_GLOBAL__N_18offset_tEEE10hipError_tPvRmT1_PNSt15iterator_traitsISZ_E10value_typeET2_T3_PNS10_IS15_E10value_typeET4_jRbjT5_S1B_jjP12ihipStream_tbEUljE_EEESW_SX_SY_S15_S19_S1B_T6_T7_T9_mT8_S1D_bDpT10_ENKUlT_T0_E_clISt17integral_constantIbLb1EES1P_IbLb0EEEEDaS1L_S1M_EUlS1L_E_NS1_11comp_targetILNS1_3genE0ELNS1_11target_archE4294967295ELNS1_3gpuE0ELNS1_3repE0EEENS1_30default_config_static_selectorELNS0_4arch9wavefront6targetE1EEEvSZ_,comdat
	.globl	_ZN7rocprim17ROCPRIM_400000_NS6detail17trampoline_kernelINS0_13select_configILj256ELj13ELNS0_17block_load_methodE3ELS4_3ELS4_3ELNS0_20block_scan_algorithmE0ELj4294967295EEENS1_25partition_config_selectorILNS1_17partition_subalgoE3EjNS0_10empty_typeEbEEZZNS1_14partition_implILS8_3ELb0ES6_jNS0_17counting_iteratorIjlEEPS9_SE_NS0_5tupleIJPjSE_EEENSF_IJSE_SE_EEES9_SG_JZNS1_25segmented_radix_sort_implINS0_14default_configELb0EPK6__halfPSL_PKlPlN2at6native12_GLOBAL__N_18offset_tEEE10hipError_tPvRmT1_PNSt15iterator_traitsISZ_E10value_typeET2_T3_PNS10_IS15_E10value_typeET4_jRbjT5_S1B_jjP12ihipStream_tbEUljE_EEESW_SX_SY_S15_S19_S1B_T6_T7_T9_mT8_S1D_bDpT10_ENKUlT_T0_E_clISt17integral_constantIbLb1EES1P_IbLb0EEEEDaS1L_S1M_EUlS1L_E_NS1_11comp_targetILNS1_3genE0ELNS1_11target_archE4294967295ELNS1_3gpuE0ELNS1_3repE0EEENS1_30default_config_static_selectorELNS0_4arch9wavefront6targetE1EEEvSZ_ ; -- Begin function _ZN7rocprim17ROCPRIM_400000_NS6detail17trampoline_kernelINS0_13select_configILj256ELj13ELNS0_17block_load_methodE3ELS4_3ELS4_3ELNS0_20block_scan_algorithmE0ELj4294967295EEENS1_25partition_config_selectorILNS1_17partition_subalgoE3EjNS0_10empty_typeEbEEZZNS1_14partition_implILS8_3ELb0ES6_jNS0_17counting_iteratorIjlEEPS9_SE_NS0_5tupleIJPjSE_EEENSF_IJSE_SE_EEES9_SG_JZNS1_25segmented_radix_sort_implINS0_14default_configELb0EPK6__halfPSL_PKlPlN2at6native12_GLOBAL__N_18offset_tEEE10hipError_tPvRmT1_PNSt15iterator_traitsISZ_E10value_typeET2_T3_PNS10_IS15_E10value_typeET4_jRbjT5_S1B_jjP12ihipStream_tbEUljE_EEESW_SX_SY_S15_S19_S1B_T6_T7_T9_mT8_S1D_bDpT10_ENKUlT_T0_E_clISt17integral_constantIbLb1EES1P_IbLb0EEEEDaS1L_S1M_EUlS1L_E_NS1_11comp_targetILNS1_3genE0ELNS1_11target_archE4294967295ELNS1_3gpuE0ELNS1_3repE0EEENS1_30default_config_static_selectorELNS0_4arch9wavefront6targetE1EEEvSZ_
	.p2align	8
	.type	_ZN7rocprim17ROCPRIM_400000_NS6detail17trampoline_kernelINS0_13select_configILj256ELj13ELNS0_17block_load_methodE3ELS4_3ELS4_3ELNS0_20block_scan_algorithmE0ELj4294967295EEENS1_25partition_config_selectorILNS1_17partition_subalgoE3EjNS0_10empty_typeEbEEZZNS1_14partition_implILS8_3ELb0ES6_jNS0_17counting_iteratorIjlEEPS9_SE_NS0_5tupleIJPjSE_EEENSF_IJSE_SE_EEES9_SG_JZNS1_25segmented_radix_sort_implINS0_14default_configELb0EPK6__halfPSL_PKlPlN2at6native12_GLOBAL__N_18offset_tEEE10hipError_tPvRmT1_PNSt15iterator_traitsISZ_E10value_typeET2_T3_PNS10_IS15_E10value_typeET4_jRbjT5_S1B_jjP12ihipStream_tbEUljE_EEESW_SX_SY_S15_S19_S1B_T6_T7_T9_mT8_S1D_bDpT10_ENKUlT_T0_E_clISt17integral_constantIbLb1EES1P_IbLb0EEEEDaS1L_S1M_EUlS1L_E_NS1_11comp_targetILNS1_3genE0ELNS1_11target_archE4294967295ELNS1_3gpuE0ELNS1_3repE0EEENS1_30default_config_static_selectorELNS0_4arch9wavefront6targetE1EEEvSZ_,@function
_ZN7rocprim17ROCPRIM_400000_NS6detail17trampoline_kernelINS0_13select_configILj256ELj13ELNS0_17block_load_methodE3ELS4_3ELS4_3ELNS0_20block_scan_algorithmE0ELj4294967295EEENS1_25partition_config_selectorILNS1_17partition_subalgoE3EjNS0_10empty_typeEbEEZZNS1_14partition_implILS8_3ELb0ES6_jNS0_17counting_iteratorIjlEEPS9_SE_NS0_5tupleIJPjSE_EEENSF_IJSE_SE_EEES9_SG_JZNS1_25segmented_radix_sort_implINS0_14default_configELb0EPK6__halfPSL_PKlPlN2at6native12_GLOBAL__N_18offset_tEEE10hipError_tPvRmT1_PNSt15iterator_traitsISZ_E10value_typeET2_T3_PNS10_IS15_E10value_typeET4_jRbjT5_S1B_jjP12ihipStream_tbEUljE_EEESW_SX_SY_S15_S19_S1B_T6_T7_T9_mT8_S1D_bDpT10_ENKUlT_T0_E_clISt17integral_constantIbLb1EES1P_IbLb0EEEEDaS1L_S1M_EUlS1L_E_NS1_11comp_targetILNS1_3genE0ELNS1_11target_archE4294967295ELNS1_3gpuE0ELNS1_3repE0EEENS1_30default_config_static_selectorELNS0_4arch9wavefront6targetE1EEEvSZ_: ; @_ZN7rocprim17ROCPRIM_400000_NS6detail17trampoline_kernelINS0_13select_configILj256ELj13ELNS0_17block_load_methodE3ELS4_3ELS4_3ELNS0_20block_scan_algorithmE0ELj4294967295EEENS1_25partition_config_selectorILNS1_17partition_subalgoE3EjNS0_10empty_typeEbEEZZNS1_14partition_implILS8_3ELb0ES6_jNS0_17counting_iteratorIjlEEPS9_SE_NS0_5tupleIJPjSE_EEENSF_IJSE_SE_EEES9_SG_JZNS1_25segmented_radix_sort_implINS0_14default_configELb0EPK6__halfPSL_PKlPlN2at6native12_GLOBAL__N_18offset_tEEE10hipError_tPvRmT1_PNSt15iterator_traitsISZ_E10value_typeET2_T3_PNS10_IS15_E10value_typeET4_jRbjT5_S1B_jjP12ihipStream_tbEUljE_EEESW_SX_SY_S15_S19_S1B_T6_T7_T9_mT8_S1D_bDpT10_ENKUlT_T0_E_clISt17integral_constantIbLb1EES1P_IbLb0EEEEDaS1L_S1M_EUlS1L_E_NS1_11comp_targetILNS1_3genE0ELNS1_11target_archE4294967295ELNS1_3gpuE0ELNS1_3repE0EEENS1_30default_config_static_selectorELNS0_4arch9wavefront6targetE1EEEvSZ_
; %bb.0:
	.section	.rodata,"a",@progbits
	.p2align	6, 0x0
	.amdhsa_kernel _ZN7rocprim17ROCPRIM_400000_NS6detail17trampoline_kernelINS0_13select_configILj256ELj13ELNS0_17block_load_methodE3ELS4_3ELS4_3ELNS0_20block_scan_algorithmE0ELj4294967295EEENS1_25partition_config_selectorILNS1_17partition_subalgoE3EjNS0_10empty_typeEbEEZZNS1_14partition_implILS8_3ELb0ES6_jNS0_17counting_iteratorIjlEEPS9_SE_NS0_5tupleIJPjSE_EEENSF_IJSE_SE_EEES9_SG_JZNS1_25segmented_radix_sort_implINS0_14default_configELb0EPK6__halfPSL_PKlPlN2at6native12_GLOBAL__N_18offset_tEEE10hipError_tPvRmT1_PNSt15iterator_traitsISZ_E10value_typeET2_T3_PNS10_IS15_E10value_typeET4_jRbjT5_S1B_jjP12ihipStream_tbEUljE_EEESW_SX_SY_S15_S19_S1B_T6_T7_T9_mT8_S1D_bDpT10_ENKUlT_T0_E_clISt17integral_constantIbLb1EES1P_IbLb0EEEEDaS1L_S1M_EUlS1L_E_NS1_11comp_targetILNS1_3genE0ELNS1_11target_archE4294967295ELNS1_3gpuE0ELNS1_3repE0EEENS1_30default_config_static_selectorELNS0_4arch9wavefront6targetE1EEEvSZ_
		.amdhsa_group_segment_fixed_size 0
		.amdhsa_private_segment_fixed_size 0
		.amdhsa_kernarg_size 144
		.amdhsa_user_sgpr_count 6
		.amdhsa_user_sgpr_private_segment_buffer 1
		.amdhsa_user_sgpr_dispatch_ptr 0
		.amdhsa_user_sgpr_queue_ptr 0
		.amdhsa_user_sgpr_kernarg_segment_ptr 1
		.amdhsa_user_sgpr_dispatch_id 0
		.amdhsa_user_sgpr_flat_scratch_init 0
		.amdhsa_user_sgpr_kernarg_preload_length 0
		.amdhsa_user_sgpr_kernarg_preload_offset 0
		.amdhsa_user_sgpr_private_segment_size 0
		.amdhsa_uses_dynamic_stack 0
		.amdhsa_system_sgpr_private_segment_wavefront_offset 0
		.amdhsa_system_sgpr_workgroup_id_x 1
		.amdhsa_system_sgpr_workgroup_id_y 0
		.amdhsa_system_sgpr_workgroup_id_z 0
		.amdhsa_system_sgpr_workgroup_info 0
		.amdhsa_system_vgpr_workitem_id 0
		.amdhsa_next_free_vgpr 1
		.amdhsa_next_free_sgpr 0
		.amdhsa_accum_offset 4
		.amdhsa_reserve_vcc 0
		.amdhsa_reserve_flat_scratch 0
		.amdhsa_float_round_mode_32 0
		.amdhsa_float_round_mode_16_64 0
		.amdhsa_float_denorm_mode_32 3
		.amdhsa_float_denorm_mode_16_64 3
		.amdhsa_dx10_clamp 1
		.amdhsa_ieee_mode 1
		.amdhsa_fp16_overflow 0
		.amdhsa_tg_split 0
		.amdhsa_exception_fp_ieee_invalid_op 0
		.amdhsa_exception_fp_denorm_src 0
		.amdhsa_exception_fp_ieee_div_zero 0
		.amdhsa_exception_fp_ieee_overflow 0
		.amdhsa_exception_fp_ieee_underflow 0
		.amdhsa_exception_fp_ieee_inexact 0
		.amdhsa_exception_int_div_zero 0
	.end_amdhsa_kernel
	.section	.text._ZN7rocprim17ROCPRIM_400000_NS6detail17trampoline_kernelINS0_13select_configILj256ELj13ELNS0_17block_load_methodE3ELS4_3ELS4_3ELNS0_20block_scan_algorithmE0ELj4294967295EEENS1_25partition_config_selectorILNS1_17partition_subalgoE3EjNS0_10empty_typeEbEEZZNS1_14partition_implILS8_3ELb0ES6_jNS0_17counting_iteratorIjlEEPS9_SE_NS0_5tupleIJPjSE_EEENSF_IJSE_SE_EEES9_SG_JZNS1_25segmented_radix_sort_implINS0_14default_configELb0EPK6__halfPSL_PKlPlN2at6native12_GLOBAL__N_18offset_tEEE10hipError_tPvRmT1_PNSt15iterator_traitsISZ_E10value_typeET2_T3_PNS10_IS15_E10value_typeET4_jRbjT5_S1B_jjP12ihipStream_tbEUljE_EEESW_SX_SY_S15_S19_S1B_T6_T7_T9_mT8_S1D_bDpT10_ENKUlT_T0_E_clISt17integral_constantIbLb1EES1P_IbLb0EEEEDaS1L_S1M_EUlS1L_E_NS1_11comp_targetILNS1_3genE0ELNS1_11target_archE4294967295ELNS1_3gpuE0ELNS1_3repE0EEENS1_30default_config_static_selectorELNS0_4arch9wavefront6targetE1EEEvSZ_,"axG",@progbits,_ZN7rocprim17ROCPRIM_400000_NS6detail17trampoline_kernelINS0_13select_configILj256ELj13ELNS0_17block_load_methodE3ELS4_3ELS4_3ELNS0_20block_scan_algorithmE0ELj4294967295EEENS1_25partition_config_selectorILNS1_17partition_subalgoE3EjNS0_10empty_typeEbEEZZNS1_14partition_implILS8_3ELb0ES6_jNS0_17counting_iteratorIjlEEPS9_SE_NS0_5tupleIJPjSE_EEENSF_IJSE_SE_EEES9_SG_JZNS1_25segmented_radix_sort_implINS0_14default_configELb0EPK6__halfPSL_PKlPlN2at6native12_GLOBAL__N_18offset_tEEE10hipError_tPvRmT1_PNSt15iterator_traitsISZ_E10value_typeET2_T3_PNS10_IS15_E10value_typeET4_jRbjT5_S1B_jjP12ihipStream_tbEUljE_EEESW_SX_SY_S15_S19_S1B_T6_T7_T9_mT8_S1D_bDpT10_ENKUlT_T0_E_clISt17integral_constantIbLb1EES1P_IbLb0EEEEDaS1L_S1M_EUlS1L_E_NS1_11comp_targetILNS1_3genE0ELNS1_11target_archE4294967295ELNS1_3gpuE0ELNS1_3repE0EEENS1_30default_config_static_selectorELNS0_4arch9wavefront6targetE1EEEvSZ_,comdat
.Lfunc_end1824:
	.size	_ZN7rocprim17ROCPRIM_400000_NS6detail17trampoline_kernelINS0_13select_configILj256ELj13ELNS0_17block_load_methodE3ELS4_3ELS4_3ELNS0_20block_scan_algorithmE0ELj4294967295EEENS1_25partition_config_selectorILNS1_17partition_subalgoE3EjNS0_10empty_typeEbEEZZNS1_14partition_implILS8_3ELb0ES6_jNS0_17counting_iteratorIjlEEPS9_SE_NS0_5tupleIJPjSE_EEENSF_IJSE_SE_EEES9_SG_JZNS1_25segmented_radix_sort_implINS0_14default_configELb0EPK6__halfPSL_PKlPlN2at6native12_GLOBAL__N_18offset_tEEE10hipError_tPvRmT1_PNSt15iterator_traitsISZ_E10value_typeET2_T3_PNS10_IS15_E10value_typeET4_jRbjT5_S1B_jjP12ihipStream_tbEUljE_EEESW_SX_SY_S15_S19_S1B_T6_T7_T9_mT8_S1D_bDpT10_ENKUlT_T0_E_clISt17integral_constantIbLb1EES1P_IbLb0EEEEDaS1L_S1M_EUlS1L_E_NS1_11comp_targetILNS1_3genE0ELNS1_11target_archE4294967295ELNS1_3gpuE0ELNS1_3repE0EEENS1_30default_config_static_selectorELNS0_4arch9wavefront6targetE1EEEvSZ_, .Lfunc_end1824-_ZN7rocprim17ROCPRIM_400000_NS6detail17trampoline_kernelINS0_13select_configILj256ELj13ELNS0_17block_load_methodE3ELS4_3ELS4_3ELNS0_20block_scan_algorithmE0ELj4294967295EEENS1_25partition_config_selectorILNS1_17partition_subalgoE3EjNS0_10empty_typeEbEEZZNS1_14partition_implILS8_3ELb0ES6_jNS0_17counting_iteratorIjlEEPS9_SE_NS0_5tupleIJPjSE_EEENSF_IJSE_SE_EEES9_SG_JZNS1_25segmented_radix_sort_implINS0_14default_configELb0EPK6__halfPSL_PKlPlN2at6native12_GLOBAL__N_18offset_tEEE10hipError_tPvRmT1_PNSt15iterator_traitsISZ_E10value_typeET2_T3_PNS10_IS15_E10value_typeET4_jRbjT5_S1B_jjP12ihipStream_tbEUljE_EEESW_SX_SY_S15_S19_S1B_T6_T7_T9_mT8_S1D_bDpT10_ENKUlT_T0_E_clISt17integral_constantIbLb1EES1P_IbLb0EEEEDaS1L_S1M_EUlS1L_E_NS1_11comp_targetILNS1_3genE0ELNS1_11target_archE4294967295ELNS1_3gpuE0ELNS1_3repE0EEENS1_30default_config_static_selectorELNS0_4arch9wavefront6targetE1EEEvSZ_
                                        ; -- End function
	.section	.AMDGPU.csdata,"",@progbits
; Kernel info:
; codeLenInByte = 0
; NumSgprs: 4
; NumVgprs: 0
; NumAgprs: 0
; TotalNumVgprs: 0
; ScratchSize: 0
; MemoryBound: 0
; FloatMode: 240
; IeeeMode: 1
; LDSByteSize: 0 bytes/workgroup (compile time only)
; SGPRBlocks: 0
; VGPRBlocks: 0
; NumSGPRsForWavesPerEU: 4
; NumVGPRsForWavesPerEU: 1
; AccumOffset: 4
; Occupancy: 8
; WaveLimiterHint : 0
; COMPUTE_PGM_RSRC2:SCRATCH_EN: 0
; COMPUTE_PGM_RSRC2:USER_SGPR: 6
; COMPUTE_PGM_RSRC2:TRAP_HANDLER: 0
; COMPUTE_PGM_RSRC2:TGID_X_EN: 1
; COMPUTE_PGM_RSRC2:TGID_Y_EN: 0
; COMPUTE_PGM_RSRC2:TGID_Z_EN: 0
; COMPUTE_PGM_RSRC2:TIDIG_COMP_CNT: 0
; COMPUTE_PGM_RSRC3_GFX90A:ACCUM_OFFSET: 0
; COMPUTE_PGM_RSRC3_GFX90A:TG_SPLIT: 0
	.section	.text._ZN7rocprim17ROCPRIM_400000_NS6detail17trampoline_kernelINS0_13select_configILj256ELj13ELNS0_17block_load_methodE3ELS4_3ELS4_3ELNS0_20block_scan_algorithmE0ELj4294967295EEENS1_25partition_config_selectorILNS1_17partition_subalgoE3EjNS0_10empty_typeEbEEZZNS1_14partition_implILS8_3ELb0ES6_jNS0_17counting_iteratorIjlEEPS9_SE_NS0_5tupleIJPjSE_EEENSF_IJSE_SE_EEES9_SG_JZNS1_25segmented_radix_sort_implINS0_14default_configELb0EPK6__halfPSL_PKlPlN2at6native12_GLOBAL__N_18offset_tEEE10hipError_tPvRmT1_PNSt15iterator_traitsISZ_E10value_typeET2_T3_PNS10_IS15_E10value_typeET4_jRbjT5_S1B_jjP12ihipStream_tbEUljE_EEESW_SX_SY_S15_S19_S1B_T6_T7_T9_mT8_S1D_bDpT10_ENKUlT_T0_E_clISt17integral_constantIbLb1EES1P_IbLb0EEEEDaS1L_S1M_EUlS1L_E_NS1_11comp_targetILNS1_3genE5ELNS1_11target_archE942ELNS1_3gpuE9ELNS1_3repE0EEENS1_30default_config_static_selectorELNS0_4arch9wavefront6targetE1EEEvSZ_,"axG",@progbits,_ZN7rocprim17ROCPRIM_400000_NS6detail17trampoline_kernelINS0_13select_configILj256ELj13ELNS0_17block_load_methodE3ELS4_3ELS4_3ELNS0_20block_scan_algorithmE0ELj4294967295EEENS1_25partition_config_selectorILNS1_17partition_subalgoE3EjNS0_10empty_typeEbEEZZNS1_14partition_implILS8_3ELb0ES6_jNS0_17counting_iteratorIjlEEPS9_SE_NS0_5tupleIJPjSE_EEENSF_IJSE_SE_EEES9_SG_JZNS1_25segmented_radix_sort_implINS0_14default_configELb0EPK6__halfPSL_PKlPlN2at6native12_GLOBAL__N_18offset_tEEE10hipError_tPvRmT1_PNSt15iterator_traitsISZ_E10value_typeET2_T3_PNS10_IS15_E10value_typeET4_jRbjT5_S1B_jjP12ihipStream_tbEUljE_EEESW_SX_SY_S15_S19_S1B_T6_T7_T9_mT8_S1D_bDpT10_ENKUlT_T0_E_clISt17integral_constantIbLb1EES1P_IbLb0EEEEDaS1L_S1M_EUlS1L_E_NS1_11comp_targetILNS1_3genE5ELNS1_11target_archE942ELNS1_3gpuE9ELNS1_3repE0EEENS1_30default_config_static_selectorELNS0_4arch9wavefront6targetE1EEEvSZ_,comdat
	.globl	_ZN7rocprim17ROCPRIM_400000_NS6detail17trampoline_kernelINS0_13select_configILj256ELj13ELNS0_17block_load_methodE3ELS4_3ELS4_3ELNS0_20block_scan_algorithmE0ELj4294967295EEENS1_25partition_config_selectorILNS1_17partition_subalgoE3EjNS0_10empty_typeEbEEZZNS1_14partition_implILS8_3ELb0ES6_jNS0_17counting_iteratorIjlEEPS9_SE_NS0_5tupleIJPjSE_EEENSF_IJSE_SE_EEES9_SG_JZNS1_25segmented_radix_sort_implINS0_14default_configELb0EPK6__halfPSL_PKlPlN2at6native12_GLOBAL__N_18offset_tEEE10hipError_tPvRmT1_PNSt15iterator_traitsISZ_E10value_typeET2_T3_PNS10_IS15_E10value_typeET4_jRbjT5_S1B_jjP12ihipStream_tbEUljE_EEESW_SX_SY_S15_S19_S1B_T6_T7_T9_mT8_S1D_bDpT10_ENKUlT_T0_E_clISt17integral_constantIbLb1EES1P_IbLb0EEEEDaS1L_S1M_EUlS1L_E_NS1_11comp_targetILNS1_3genE5ELNS1_11target_archE942ELNS1_3gpuE9ELNS1_3repE0EEENS1_30default_config_static_selectorELNS0_4arch9wavefront6targetE1EEEvSZ_ ; -- Begin function _ZN7rocprim17ROCPRIM_400000_NS6detail17trampoline_kernelINS0_13select_configILj256ELj13ELNS0_17block_load_methodE3ELS4_3ELS4_3ELNS0_20block_scan_algorithmE0ELj4294967295EEENS1_25partition_config_selectorILNS1_17partition_subalgoE3EjNS0_10empty_typeEbEEZZNS1_14partition_implILS8_3ELb0ES6_jNS0_17counting_iteratorIjlEEPS9_SE_NS0_5tupleIJPjSE_EEENSF_IJSE_SE_EEES9_SG_JZNS1_25segmented_radix_sort_implINS0_14default_configELb0EPK6__halfPSL_PKlPlN2at6native12_GLOBAL__N_18offset_tEEE10hipError_tPvRmT1_PNSt15iterator_traitsISZ_E10value_typeET2_T3_PNS10_IS15_E10value_typeET4_jRbjT5_S1B_jjP12ihipStream_tbEUljE_EEESW_SX_SY_S15_S19_S1B_T6_T7_T9_mT8_S1D_bDpT10_ENKUlT_T0_E_clISt17integral_constantIbLb1EES1P_IbLb0EEEEDaS1L_S1M_EUlS1L_E_NS1_11comp_targetILNS1_3genE5ELNS1_11target_archE942ELNS1_3gpuE9ELNS1_3repE0EEENS1_30default_config_static_selectorELNS0_4arch9wavefront6targetE1EEEvSZ_
	.p2align	8
	.type	_ZN7rocprim17ROCPRIM_400000_NS6detail17trampoline_kernelINS0_13select_configILj256ELj13ELNS0_17block_load_methodE3ELS4_3ELS4_3ELNS0_20block_scan_algorithmE0ELj4294967295EEENS1_25partition_config_selectorILNS1_17partition_subalgoE3EjNS0_10empty_typeEbEEZZNS1_14partition_implILS8_3ELb0ES6_jNS0_17counting_iteratorIjlEEPS9_SE_NS0_5tupleIJPjSE_EEENSF_IJSE_SE_EEES9_SG_JZNS1_25segmented_radix_sort_implINS0_14default_configELb0EPK6__halfPSL_PKlPlN2at6native12_GLOBAL__N_18offset_tEEE10hipError_tPvRmT1_PNSt15iterator_traitsISZ_E10value_typeET2_T3_PNS10_IS15_E10value_typeET4_jRbjT5_S1B_jjP12ihipStream_tbEUljE_EEESW_SX_SY_S15_S19_S1B_T6_T7_T9_mT8_S1D_bDpT10_ENKUlT_T0_E_clISt17integral_constantIbLb1EES1P_IbLb0EEEEDaS1L_S1M_EUlS1L_E_NS1_11comp_targetILNS1_3genE5ELNS1_11target_archE942ELNS1_3gpuE9ELNS1_3repE0EEENS1_30default_config_static_selectorELNS0_4arch9wavefront6targetE1EEEvSZ_,@function
_ZN7rocprim17ROCPRIM_400000_NS6detail17trampoline_kernelINS0_13select_configILj256ELj13ELNS0_17block_load_methodE3ELS4_3ELS4_3ELNS0_20block_scan_algorithmE0ELj4294967295EEENS1_25partition_config_selectorILNS1_17partition_subalgoE3EjNS0_10empty_typeEbEEZZNS1_14partition_implILS8_3ELb0ES6_jNS0_17counting_iteratorIjlEEPS9_SE_NS0_5tupleIJPjSE_EEENSF_IJSE_SE_EEES9_SG_JZNS1_25segmented_radix_sort_implINS0_14default_configELb0EPK6__halfPSL_PKlPlN2at6native12_GLOBAL__N_18offset_tEEE10hipError_tPvRmT1_PNSt15iterator_traitsISZ_E10value_typeET2_T3_PNS10_IS15_E10value_typeET4_jRbjT5_S1B_jjP12ihipStream_tbEUljE_EEESW_SX_SY_S15_S19_S1B_T6_T7_T9_mT8_S1D_bDpT10_ENKUlT_T0_E_clISt17integral_constantIbLb1EES1P_IbLb0EEEEDaS1L_S1M_EUlS1L_E_NS1_11comp_targetILNS1_3genE5ELNS1_11target_archE942ELNS1_3gpuE9ELNS1_3repE0EEENS1_30default_config_static_selectorELNS0_4arch9wavefront6targetE1EEEvSZ_: ; @_ZN7rocprim17ROCPRIM_400000_NS6detail17trampoline_kernelINS0_13select_configILj256ELj13ELNS0_17block_load_methodE3ELS4_3ELS4_3ELNS0_20block_scan_algorithmE0ELj4294967295EEENS1_25partition_config_selectorILNS1_17partition_subalgoE3EjNS0_10empty_typeEbEEZZNS1_14partition_implILS8_3ELb0ES6_jNS0_17counting_iteratorIjlEEPS9_SE_NS0_5tupleIJPjSE_EEENSF_IJSE_SE_EEES9_SG_JZNS1_25segmented_radix_sort_implINS0_14default_configELb0EPK6__halfPSL_PKlPlN2at6native12_GLOBAL__N_18offset_tEEE10hipError_tPvRmT1_PNSt15iterator_traitsISZ_E10value_typeET2_T3_PNS10_IS15_E10value_typeET4_jRbjT5_S1B_jjP12ihipStream_tbEUljE_EEESW_SX_SY_S15_S19_S1B_T6_T7_T9_mT8_S1D_bDpT10_ENKUlT_T0_E_clISt17integral_constantIbLb1EES1P_IbLb0EEEEDaS1L_S1M_EUlS1L_E_NS1_11comp_targetILNS1_3genE5ELNS1_11target_archE942ELNS1_3gpuE9ELNS1_3repE0EEENS1_30default_config_static_selectorELNS0_4arch9wavefront6targetE1EEEvSZ_
; %bb.0:
	.section	.rodata,"a",@progbits
	.p2align	6, 0x0
	.amdhsa_kernel _ZN7rocprim17ROCPRIM_400000_NS6detail17trampoline_kernelINS0_13select_configILj256ELj13ELNS0_17block_load_methodE3ELS4_3ELS4_3ELNS0_20block_scan_algorithmE0ELj4294967295EEENS1_25partition_config_selectorILNS1_17partition_subalgoE3EjNS0_10empty_typeEbEEZZNS1_14partition_implILS8_3ELb0ES6_jNS0_17counting_iteratorIjlEEPS9_SE_NS0_5tupleIJPjSE_EEENSF_IJSE_SE_EEES9_SG_JZNS1_25segmented_radix_sort_implINS0_14default_configELb0EPK6__halfPSL_PKlPlN2at6native12_GLOBAL__N_18offset_tEEE10hipError_tPvRmT1_PNSt15iterator_traitsISZ_E10value_typeET2_T3_PNS10_IS15_E10value_typeET4_jRbjT5_S1B_jjP12ihipStream_tbEUljE_EEESW_SX_SY_S15_S19_S1B_T6_T7_T9_mT8_S1D_bDpT10_ENKUlT_T0_E_clISt17integral_constantIbLb1EES1P_IbLb0EEEEDaS1L_S1M_EUlS1L_E_NS1_11comp_targetILNS1_3genE5ELNS1_11target_archE942ELNS1_3gpuE9ELNS1_3repE0EEENS1_30default_config_static_selectorELNS0_4arch9wavefront6targetE1EEEvSZ_
		.amdhsa_group_segment_fixed_size 0
		.amdhsa_private_segment_fixed_size 0
		.amdhsa_kernarg_size 144
		.amdhsa_user_sgpr_count 6
		.amdhsa_user_sgpr_private_segment_buffer 1
		.amdhsa_user_sgpr_dispatch_ptr 0
		.amdhsa_user_sgpr_queue_ptr 0
		.amdhsa_user_sgpr_kernarg_segment_ptr 1
		.amdhsa_user_sgpr_dispatch_id 0
		.amdhsa_user_sgpr_flat_scratch_init 0
		.amdhsa_user_sgpr_kernarg_preload_length 0
		.amdhsa_user_sgpr_kernarg_preload_offset 0
		.amdhsa_user_sgpr_private_segment_size 0
		.amdhsa_uses_dynamic_stack 0
		.amdhsa_system_sgpr_private_segment_wavefront_offset 0
		.amdhsa_system_sgpr_workgroup_id_x 1
		.amdhsa_system_sgpr_workgroup_id_y 0
		.amdhsa_system_sgpr_workgroup_id_z 0
		.amdhsa_system_sgpr_workgroup_info 0
		.amdhsa_system_vgpr_workitem_id 0
		.amdhsa_next_free_vgpr 1
		.amdhsa_next_free_sgpr 0
		.amdhsa_accum_offset 4
		.amdhsa_reserve_vcc 0
		.amdhsa_reserve_flat_scratch 0
		.amdhsa_float_round_mode_32 0
		.amdhsa_float_round_mode_16_64 0
		.amdhsa_float_denorm_mode_32 3
		.amdhsa_float_denorm_mode_16_64 3
		.amdhsa_dx10_clamp 1
		.amdhsa_ieee_mode 1
		.amdhsa_fp16_overflow 0
		.amdhsa_tg_split 0
		.amdhsa_exception_fp_ieee_invalid_op 0
		.amdhsa_exception_fp_denorm_src 0
		.amdhsa_exception_fp_ieee_div_zero 0
		.amdhsa_exception_fp_ieee_overflow 0
		.amdhsa_exception_fp_ieee_underflow 0
		.amdhsa_exception_fp_ieee_inexact 0
		.amdhsa_exception_int_div_zero 0
	.end_amdhsa_kernel
	.section	.text._ZN7rocprim17ROCPRIM_400000_NS6detail17trampoline_kernelINS0_13select_configILj256ELj13ELNS0_17block_load_methodE3ELS4_3ELS4_3ELNS0_20block_scan_algorithmE0ELj4294967295EEENS1_25partition_config_selectorILNS1_17partition_subalgoE3EjNS0_10empty_typeEbEEZZNS1_14partition_implILS8_3ELb0ES6_jNS0_17counting_iteratorIjlEEPS9_SE_NS0_5tupleIJPjSE_EEENSF_IJSE_SE_EEES9_SG_JZNS1_25segmented_radix_sort_implINS0_14default_configELb0EPK6__halfPSL_PKlPlN2at6native12_GLOBAL__N_18offset_tEEE10hipError_tPvRmT1_PNSt15iterator_traitsISZ_E10value_typeET2_T3_PNS10_IS15_E10value_typeET4_jRbjT5_S1B_jjP12ihipStream_tbEUljE_EEESW_SX_SY_S15_S19_S1B_T6_T7_T9_mT8_S1D_bDpT10_ENKUlT_T0_E_clISt17integral_constantIbLb1EES1P_IbLb0EEEEDaS1L_S1M_EUlS1L_E_NS1_11comp_targetILNS1_3genE5ELNS1_11target_archE942ELNS1_3gpuE9ELNS1_3repE0EEENS1_30default_config_static_selectorELNS0_4arch9wavefront6targetE1EEEvSZ_,"axG",@progbits,_ZN7rocprim17ROCPRIM_400000_NS6detail17trampoline_kernelINS0_13select_configILj256ELj13ELNS0_17block_load_methodE3ELS4_3ELS4_3ELNS0_20block_scan_algorithmE0ELj4294967295EEENS1_25partition_config_selectorILNS1_17partition_subalgoE3EjNS0_10empty_typeEbEEZZNS1_14partition_implILS8_3ELb0ES6_jNS0_17counting_iteratorIjlEEPS9_SE_NS0_5tupleIJPjSE_EEENSF_IJSE_SE_EEES9_SG_JZNS1_25segmented_radix_sort_implINS0_14default_configELb0EPK6__halfPSL_PKlPlN2at6native12_GLOBAL__N_18offset_tEEE10hipError_tPvRmT1_PNSt15iterator_traitsISZ_E10value_typeET2_T3_PNS10_IS15_E10value_typeET4_jRbjT5_S1B_jjP12ihipStream_tbEUljE_EEESW_SX_SY_S15_S19_S1B_T6_T7_T9_mT8_S1D_bDpT10_ENKUlT_T0_E_clISt17integral_constantIbLb1EES1P_IbLb0EEEEDaS1L_S1M_EUlS1L_E_NS1_11comp_targetILNS1_3genE5ELNS1_11target_archE942ELNS1_3gpuE9ELNS1_3repE0EEENS1_30default_config_static_selectorELNS0_4arch9wavefront6targetE1EEEvSZ_,comdat
.Lfunc_end1825:
	.size	_ZN7rocprim17ROCPRIM_400000_NS6detail17trampoline_kernelINS0_13select_configILj256ELj13ELNS0_17block_load_methodE3ELS4_3ELS4_3ELNS0_20block_scan_algorithmE0ELj4294967295EEENS1_25partition_config_selectorILNS1_17partition_subalgoE3EjNS0_10empty_typeEbEEZZNS1_14partition_implILS8_3ELb0ES6_jNS0_17counting_iteratorIjlEEPS9_SE_NS0_5tupleIJPjSE_EEENSF_IJSE_SE_EEES9_SG_JZNS1_25segmented_radix_sort_implINS0_14default_configELb0EPK6__halfPSL_PKlPlN2at6native12_GLOBAL__N_18offset_tEEE10hipError_tPvRmT1_PNSt15iterator_traitsISZ_E10value_typeET2_T3_PNS10_IS15_E10value_typeET4_jRbjT5_S1B_jjP12ihipStream_tbEUljE_EEESW_SX_SY_S15_S19_S1B_T6_T7_T9_mT8_S1D_bDpT10_ENKUlT_T0_E_clISt17integral_constantIbLb1EES1P_IbLb0EEEEDaS1L_S1M_EUlS1L_E_NS1_11comp_targetILNS1_3genE5ELNS1_11target_archE942ELNS1_3gpuE9ELNS1_3repE0EEENS1_30default_config_static_selectorELNS0_4arch9wavefront6targetE1EEEvSZ_, .Lfunc_end1825-_ZN7rocprim17ROCPRIM_400000_NS6detail17trampoline_kernelINS0_13select_configILj256ELj13ELNS0_17block_load_methodE3ELS4_3ELS4_3ELNS0_20block_scan_algorithmE0ELj4294967295EEENS1_25partition_config_selectorILNS1_17partition_subalgoE3EjNS0_10empty_typeEbEEZZNS1_14partition_implILS8_3ELb0ES6_jNS0_17counting_iteratorIjlEEPS9_SE_NS0_5tupleIJPjSE_EEENSF_IJSE_SE_EEES9_SG_JZNS1_25segmented_radix_sort_implINS0_14default_configELb0EPK6__halfPSL_PKlPlN2at6native12_GLOBAL__N_18offset_tEEE10hipError_tPvRmT1_PNSt15iterator_traitsISZ_E10value_typeET2_T3_PNS10_IS15_E10value_typeET4_jRbjT5_S1B_jjP12ihipStream_tbEUljE_EEESW_SX_SY_S15_S19_S1B_T6_T7_T9_mT8_S1D_bDpT10_ENKUlT_T0_E_clISt17integral_constantIbLb1EES1P_IbLb0EEEEDaS1L_S1M_EUlS1L_E_NS1_11comp_targetILNS1_3genE5ELNS1_11target_archE942ELNS1_3gpuE9ELNS1_3repE0EEENS1_30default_config_static_selectorELNS0_4arch9wavefront6targetE1EEEvSZ_
                                        ; -- End function
	.section	.AMDGPU.csdata,"",@progbits
; Kernel info:
; codeLenInByte = 0
; NumSgprs: 4
; NumVgprs: 0
; NumAgprs: 0
; TotalNumVgprs: 0
; ScratchSize: 0
; MemoryBound: 0
; FloatMode: 240
; IeeeMode: 1
; LDSByteSize: 0 bytes/workgroup (compile time only)
; SGPRBlocks: 0
; VGPRBlocks: 0
; NumSGPRsForWavesPerEU: 4
; NumVGPRsForWavesPerEU: 1
; AccumOffset: 4
; Occupancy: 8
; WaveLimiterHint : 0
; COMPUTE_PGM_RSRC2:SCRATCH_EN: 0
; COMPUTE_PGM_RSRC2:USER_SGPR: 6
; COMPUTE_PGM_RSRC2:TRAP_HANDLER: 0
; COMPUTE_PGM_RSRC2:TGID_X_EN: 1
; COMPUTE_PGM_RSRC2:TGID_Y_EN: 0
; COMPUTE_PGM_RSRC2:TGID_Z_EN: 0
; COMPUTE_PGM_RSRC2:TIDIG_COMP_CNT: 0
; COMPUTE_PGM_RSRC3_GFX90A:ACCUM_OFFSET: 0
; COMPUTE_PGM_RSRC3_GFX90A:TG_SPLIT: 0
	.section	.text._ZN7rocprim17ROCPRIM_400000_NS6detail17trampoline_kernelINS0_13select_configILj256ELj13ELNS0_17block_load_methodE3ELS4_3ELS4_3ELNS0_20block_scan_algorithmE0ELj4294967295EEENS1_25partition_config_selectorILNS1_17partition_subalgoE3EjNS0_10empty_typeEbEEZZNS1_14partition_implILS8_3ELb0ES6_jNS0_17counting_iteratorIjlEEPS9_SE_NS0_5tupleIJPjSE_EEENSF_IJSE_SE_EEES9_SG_JZNS1_25segmented_radix_sort_implINS0_14default_configELb0EPK6__halfPSL_PKlPlN2at6native12_GLOBAL__N_18offset_tEEE10hipError_tPvRmT1_PNSt15iterator_traitsISZ_E10value_typeET2_T3_PNS10_IS15_E10value_typeET4_jRbjT5_S1B_jjP12ihipStream_tbEUljE_EEESW_SX_SY_S15_S19_S1B_T6_T7_T9_mT8_S1D_bDpT10_ENKUlT_T0_E_clISt17integral_constantIbLb1EES1P_IbLb0EEEEDaS1L_S1M_EUlS1L_E_NS1_11comp_targetILNS1_3genE4ELNS1_11target_archE910ELNS1_3gpuE8ELNS1_3repE0EEENS1_30default_config_static_selectorELNS0_4arch9wavefront6targetE1EEEvSZ_,"axG",@progbits,_ZN7rocprim17ROCPRIM_400000_NS6detail17trampoline_kernelINS0_13select_configILj256ELj13ELNS0_17block_load_methodE3ELS4_3ELS4_3ELNS0_20block_scan_algorithmE0ELj4294967295EEENS1_25partition_config_selectorILNS1_17partition_subalgoE3EjNS0_10empty_typeEbEEZZNS1_14partition_implILS8_3ELb0ES6_jNS0_17counting_iteratorIjlEEPS9_SE_NS0_5tupleIJPjSE_EEENSF_IJSE_SE_EEES9_SG_JZNS1_25segmented_radix_sort_implINS0_14default_configELb0EPK6__halfPSL_PKlPlN2at6native12_GLOBAL__N_18offset_tEEE10hipError_tPvRmT1_PNSt15iterator_traitsISZ_E10value_typeET2_T3_PNS10_IS15_E10value_typeET4_jRbjT5_S1B_jjP12ihipStream_tbEUljE_EEESW_SX_SY_S15_S19_S1B_T6_T7_T9_mT8_S1D_bDpT10_ENKUlT_T0_E_clISt17integral_constantIbLb1EES1P_IbLb0EEEEDaS1L_S1M_EUlS1L_E_NS1_11comp_targetILNS1_3genE4ELNS1_11target_archE910ELNS1_3gpuE8ELNS1_3repE0EEENS1_30default_config_static_selectorELNS0_4arch9wavefront6targetE1EEEvSZ_,comdat
	.globl	_ZN7rocprim17ROCPRIM_400000_NS6detail17trampoline_kernelINS0_13select_configILj256ELj13ELNS0_17block_load_methodE3ELS4_3ELS4_3ELNS0_20block_scan_algorithmE0ELj4294967295EEENS1_25partition_config_selectorILNS1_17partition_subalgoE3EjNS0_10empty_typeEbEEZZNS1_14partition_implILS8_3ELb0ES6_jNS0_17counting_iteratorIjlEEPS9_SE_NS0_5tupleIJPjSE_EEENSF_IJSE_SE_EEES9_SG_JZNS1_25segmented_radix_sort_implINS0_14default_configELb0EPK6__halfPSL_PKlPlN2at6native12_GLOBAL__N_18offset_tEEE10hipError_tPvRmT1_PNSt15iterator_traitsISZ_E10value_typeET2_T3_PNS10_IS15_E10value_typeET4_jRbjT5_S1B_jjP12ihipStream_tbEUljE_EEESW_SX_SY_S15_S19_S1B_T6_T7_T9_mT8_S1D_bDpT10_ENKUlT_T0_E_clISt17integral_constantIbLb1EES1P_IbLb0EEEEDaS1L_S1M_EUlS1L_E_NS1_11comp_targetILNS1_3genE4ELNS1_11target_archE910ELNS1_3gpuE8ELNS1_3repE0EEENS1_30default_config_static_selectorELNS0_4arch9wavefront6targetE1EEEvSZ_ ; -- Begin function _ZN7rocprim17ROCPRIM_400000_NS6detail17trampoline_kernelINS0_13select_configILj256ELj13ELNS0_17block_load_methodE3ELS4_3ELS4_3ELNS0_20block_scan_algorithmE0ELj4294967295EEENS1_25partition_config_selectorILNS1_17partition_subalgoE3EjNS0_10empty_typeEbEEZZNS1_14partition_implILS8_3ELb0ES6_jNS0_17counting_iteratorIjlEEPS9_SE_NS0_5tupleIJPjSE_EEENSF_IJSE_SE_EEES9_SG_JZNS1_25segmented_radix_sort_implINS0_14default_configELb0EPK6__halfPSL_PKlPlN2at6native12_GLOBAL__N_18offset_tEEE10hipError_tPvRmT1_PNSt15iterator_traitsISZ_E10value_typeET2_T3_PNS10_IS15_E10value_typeET4_jRbjT5_S1B_jjP12ihipStream_tbEUljE_EEESW_SX_SY_S15_S19_S1B_T6_T7_T9_mT8_S1D_bDpT10_ENKUlT_T0_E_clISt17integral_constantIbLb1EES1P_IbLb0EEEEDaS1L_S1M_EUlS1L_E_NS1_11comp_targetILNS1_3genE4ELNS1_11target_archE910ELNS1_3gpuE8ELNS1_3repE0EEENS1_30default_config_static_selectorELNS0_4arch9wavefront6targetE1EEEvSZ_
	.p2align	8
	.type	_ZN7rocprim17ROCPRIM_400000_NS6detail17trampoline_kernelINS0_13select_configILj256ELj13ELNS0_17block_load_methodE3ELS4_3ELS4_3ELNS0_20block_scan_algorithmE0ELj4294967295EEENS1_25partition_config_selectorILNS1_17partition_subalgoE3EjNS0_10empty_typeEbEEZZNS1_14partition_implILS8_3ELb0ES6_jNS0_17counting_iteratorIjlEEPS9_SE_NS0_5tupleIJPjSE_EEENSF_IJSE_SE_EEES9_SG_JZNS1_25segmented_radix_sort_implINS0_14default_configELb0EPK6__halfPSL_PKlPlN2at6native12_GLOBAL__N_18offset_tEEE10hipError_tPvRmT1_PNSt15iterator_traitsISZ_E10value_typeET2_T3_PNS10_IS15_E10value_typeET4_jRbjT5_S1B_jjP12ihipStream_tbEUljE_EEESW_SX_SY_S15_S19_S1B_T6_T7_T9_mT8_S1D_bDpT10_ENKUlT_T0_E_clISt17integral_constantIbLb1EES1P_IbLb0EEEEDaS1L_S1M_EUlS1L_E_NS1_11comp_targetILNS1_3genE4ELNS1_11target_archE910ELNS1_3gpuE8ELNS1_3repE0EEENS1_30default_config_static_selectorELNS0_4arch9wavefront6targetE1EEEvSZ_,@function
_ZN7rocprim17ROCPRIM_400000_NS6detail17trampoline_kernelINS0_13select_configILj256ELj13ELNS0_17block_load_methodE3ELS4_3ELS4_3ELNS0_20block_scan_algorithmE0ELj4294967295EEENS1_25partition_config_selectorILNS1_17partition_subalgoE3EjNS0_10empty_typeEbEEZZNS1_14partition_implILS8_3ELb0ES6_jNS0_17counting_iteratorIjlEEPS9_SE_NS0_5tupleIJPjSE_EEENSF_IJSE_SE_EEES9_SG_JZNS1_25segmented_radix_sort_implINS0_14default_configELb0EPK6__halfPSL_PKlPlN2at6native12_GLOBAL__N_18offset_tEEE10hipError_tPvRmT1_PNSt15iterator_traitsISZ_E10value_typeET2_T3_PNS10_IS15_E10value_typeET4_jRbjT5_S1B_jjP12ihipStream_tbEUljE_EEESW_SX_SY_S15_S19_S1B_T6_T7_T9_mT8_S1D_bDpT10_ENKUlT_T0_E_clISt17integral_constantIbLb1EES1P_IbLb0EEEEDaS1L_S1M_EUlS1L_E_NS1_11comp_targetILNS1_3genE4ELNS1_11target_archE910ELNS1_3gpuE8ELNS1_3repE0EEENS1_30default_config_static_selectorELNS0_4arch9wavefront6targetE1EEEvSZ_: ; @_ZN7rocprim17ROCPRIM_400000_NS6detail17trampoline_kernelINS0_13select_configILj256ELj13ELNS0_17block_load_methodE3ELS4_3ELS4_3ELNS0_20block_scan_algorithmE0ELj4294967295EEENS1_25partition_config_selectorILNS1_17partition_subalgoE3EjNS0_10empty_typeEbEEZZNS1_14partition_implILS8_3ELb0ES6_jNS0_17counting_iteratorIjlEEPS9_SE_NS0_5tupleIJPjSE_EEENSF_IJSE_SE_EEES9_SG_JZNS1_25segmented_radix_sort_implINS0_14default_configELb0EPK6__halfPSL_PKlPlN2at6native12_GLOBAL__N_18offset_tEEE10hipError_tPvRmT1_PNSt15iterator_traitsISZ_E10value_typeET2_T3_PNS10_IS15_E10value_typeET4_jRbjT5_S1B_jjP12ihipStream_tbEUljE_EEESW_SX_SY_S15_S19_S1B_T6_T7_T9_mT8_S1D_bDpT10_ENKUlT_T0_E_clISt17integral_constantIbLb1EES1P_IbLb0EEEEDaS1L_S1M_EUlS1L_E_NS1_11comp_targetILNS1_3genE4ELNS1_11target_archE910ELNS1_3gpuE8ELNS1_3repE0EEENS1_30default_config_static_selectorELNS0_4arch9wavefront6targetE1EEEvSZ_
; %bb.0:
	s_load_dwordx2 s[26:27], s[4:5], 0x58
	s_load_dwordx4 s[20:23], s[4:5], 0x48
	s_load_dword s13, s[4:5], 0x8
	s_load_dwordx2 s[28:29], s[4:5], 0x10
	s_load_dword s12, s[4:5], 0x70
	s_load_dword s7, s[4:5], 0x88
	s_load_dwordx4 s[8:11], s[4:5], 0x78
	s_waitcnt lgkmcnt(0)
	s_load_dwordx2 s[30:31], s[22:23], 0x0
	v_pk_mov_b32 v[2:3], s[26:27], s[26:27] op_sel:[0,1]
	s_add_i32 s2, s12, -1
	s_mulk_i32 s12, 0xd00
	s_add_u32 s0, s28, s12
	s_addc_u32 s1, s29, 0
	s_cmp_eq_u32 s6, s2
	s_cselect_b64 s[22:23], -1, 0
	s_cmp_lg_u32 s6, s2
	s_mul_i32 s42, s6, 0xd00
	v_cmp_lt_u64_e32 vcc, s[0:1], v[2:3]
	s_cselect_b64 s[0:1], -1, 0
	s_or_b64 s[2:3], s[0:1], vcc
	s_add_i32 s0, s13, s42
	s_add_i32 s0, s0, s28
	v_add_u32_e32 v2, s0, v0
	s_mov_b64 s[0:1], -1
	s_and_b64 vcc, exec, s[2:3]
	v_lshlrev_b32_e32 v1, 2, v0
	s_cbranch_vccz .LBB1826_2
; %bb.1:
	v_add_u32_e32 v3, 0x100, v2
	v_add_u32_e32 v4, 0x200, v2
	;; [unrolled: 1-line block ×12, first 2 shown]
	ds_write2st64_b32 v1, v2, v3 offset1:4
	ds_write2st64_b32 v1, v4, v5 offset0:8 offset1:12
	ds_write2st64_b32 v1, v6, v7 offset0:16 offset1:20
	;; [unrolled: 1-line block ×5, first 2 shown]
	ds_write_b32 v1, v14 offset:12288
	s_waitcnt lgkmcnt(0)
	s_barrier
	s_mov_b64 s[0:1], 0
.LBB1826_2:
	s_andn2_b64 vcc, exec, s[0:1]
	s_add_i32 s12, s12, s28
	s_cbranch_vccnz .LBB1826_4
; %bb.3:
	v_add_u32_e32 v3, 0x100, v2
	v_add_u32_e32 v4, 0x200, v2
	;; [unrolled: 1-line block ×12, first 2 shown]
	ds_write2st64_b32 v1, v2, v3 offset1:4
	ds_write2st64_b32 v1, v4, v5 offset0:8 offset1:12
	ds_write2st64_b32 v1, v6, v7 offset0:16 offset1:20
	;; [unrolled: 1-line block ×5, first 2 shown]
	ds_write_b32 v1, v14 offset:12288
	s_waitcnt lgkmcnt(0)
	s_barrier
.LBB1826_4:
	v_mul_u32_u24_e32 v33, 13, v0
	v_lshlrev_b32_e32 v2, 2, v33
	s_waitcnt lgkmcnt(0)
	ds_read2_b32 v[30:31], v2 offset1:1
	ds_read2_b32 v[28:29], v2 offset0:2 offset1:3
	ds_read2_b32 v[26:27], v2 offset0:4 offset1:5
	ds_read2_b32 v[24:25], v2 offset0:6 offset1:7
	ds_read2_b32 v[22:23], v2 offset0:8 offset1:9
	ds_read2_b32 v[20:21], v2 offset0:10 offset1:11
	ds_read_b32 v32, v2 offset:48
	v_cndmask_b32_e64 v2, 0, 1, s[2:3]
	s_sub_i32 s33, s26, s12
	v_cmp_ne_u32_e64 s[0:1], 1, v2
	s_andn2_b64 vcc, exec, s[2:3]
	s_waitcnt lgkmcnt(0)
	s_barrier
	s_cbranch_vccnz .LBB1826_6
; %bb.5:
	v_add_u32_e32 v2, s9, v30
	v_add_u32_e32 v3, s11, v30
	v_mul_lo_u32 v2, v2, s8
	v_mul_lo_u32 v3, v3, s10
	v_sub_u32_e32 v2, v2, v3
	v_add_u32_e32 v3, s9, v31
	v_add_u32_e32 v4, s11, v31
	v_mul_lo_u32 v3, v3, s8
	v_mul_lo_u32 v4, v4, s10
	v_sub_u32_e32 v3, v3, v4
	;; [unrolled: 5-line block ×6, first 2 shown]
	v_add_u32_e32 v8, s9, v24
	v_add_u32_e32 v9, s11, v24
	v_mul_lo_u32 v8, v8, s8
	v_mul_lo_u32 v9, v9, s10
	v_cmp_lt_u32_e32 vcc, s7, v2
	v_sub_u32_e32 v8, v8, v9
	v_add_u32_e32 v9, s9, v25
	v_add_u32_e32 v10, s11, v25
	v_cndmask_b32_e64 v2, 0, 1, vcc
	v_cmp_lt_u32_e32 vcc, s7, v3
	v_mul_lo_u32 v9, v9, s8
	v_mul_lo_u32 v10, v10, s10
	v_cndmask_b32_e64 v3, 0, 1, vcc
	v_cmp_lt_u32_e32 vcc, s7, v4
	v_sub_u32_e32 v9, v9, v10
	v_add_u32_e32 v10, s9, v22
	v_add_u32_e32 v11, s11, v22
	v_cndmask_b32_e64 v4, 0, 1, vcc
	v_cmp_lt_u32_e32 vcc, s7, v5
	v_mul_lo_u32 v10, v10, s8
	v_mul_lo_u32 v11, v11, s10
	v_cndmask_b32_e64 v5, 0, 1, vcc
	;; [unrolled: 9-line block ×4, first 2 shown]
	v_cmp_lt_u32_e32 vcc, s7, v10
	v_sub_u32_e32 v12, v12, v13
	v_add_u32_e32 v13, s9, v21
	v_add_u32_e32 v14, s11, v21
	v_lshlrev_b16_e32 v3, 8, v3
	v_cndmask_b32_e64 v10, 0, 1, vcc
	v_cmp_lt_u32_e32 vcc, s7, v11
	v_mul_lo_u32 v13, v13, s8
	v_mul_lo_u32 v14, v14, s10
	v_or_b32_e32 v2, v2, v3
	v_lshlrev_b16_e32 v3, 8, v5
	v_cndmask_b32_e64 v11, 0, 1, vcc
	v_cmp_lt_u32_e32 vcc, s7, v12
	v_sub_u32_e32 v13, v13, v14
	v_or_b32_sdwa v3, v4, v3 dst_sel:WORD_1 dst_unused:UNUSED_PAD src0_sel:DWORD src1_sel:DWORD
	v_cndmask_b32_e64 v12, 0, 1, vcc
	v_cmp_lt_u32_e32 vcc, s7, v13
	v_add_u32_e32 v14, s9, v32
	v_add_u32_e32 v15, s11, v32
	v_or_b32_sdwa v37, v2, v3 dst_sel:DWORD dst_unused:UNUSED_PAD src0_sel:WORD_0 src1_sel:DWORD
	v_lshlrev_b16_e32 v2, 8, v7
	v_lshlrev_b16_e32 v3, 8, v9
	v_cndmask_b32_e64 v13, 0, 1, vcc
	v_mul_lo_u32 v14, v14, s8
	v_mul_lo_u32 v15, v15, s10
	v_or_b32_e32 v2, v6, v2
	v_or_b32_sdwa v3, v8, v3 dst_sel:WORD_1 dst_unused:UNUSED_PAD src0_sel:DWORD src1_sel:DWORD
	v_sub_u32_e32 v14, v14, v15
	v_or_b32_sdwa v36, v2, v3 dst_sel:DWORD dst_unused:UNUSED_PAD src0_sel:WORD_0 src1_sel:DWORD
	v_lshlrev_b16_e32 v2, 8, v11
	v_lshlrev_b16_e32 v3, 8, v13
	v_cmp_lt_u32_e32 vcc, s7, v14
	v_or_b32_e32 v2, v10, v2
	v_or_b32_sdwa v3, v12, v3 dst_sel:WORD_1 dst_unused:UNUSED_PAD src0_sel:DWORD src1_sel:DWORD
	v_cndmask_b32_e64 v34, 0, 1, vcc
	v_or_b32_sdwa v35, v2, v3 dst_sel:DWORD dst_unused:UNUSED_PAD src0_sel:WORD_0 src1_sel:DWORD
	s_mov_b64 s[2:3], 0
	s_branch .LBB1826_7
.LBB1826_6:
	s_mov_b64 s[2:3], -1
                                        ; implicit-def: $vgpr34
                                        ; implicit-def: $vgpr35
                                        ; implicit-def: $vgpr36
                                        ; implicit-def: $vgpr37
.LBB1826_7:
	s_load_dwordx2 s[24:25], s[4:5], 0x28
	s_load_dwordx2 s[34:35], s[4:5], 0x68
	s_andn2_b64 vcc, exec, s[2:3]
	s_addk_i32 s33, 0xd00
	s_cbranch_vccnz .LBB1826_35
; %bb.8:
	v_cmp_gt_u32_e32 vcc, s33, v33
	v_mov_b32_e32 v3, 0
	v_mov_b32_e32 v2, 0
	s_and_saveexec_b64 s[2:3], vcc
; %bb.9:
	v_add_u32_e32 v2, s9, v30
	v_add_u32_e32 v4, s11, v30
	v_mul_lo_u32 v2, v2, s8
	v_mul_lo_u32 v4, v4, s10
	v_sub_u32_e32 v2, v2, v4
	v_cmp_lt_u32_e32 vcc, s7, v2
	v_cndmask_b32_e64 v2, 0, 1, vcc
; %bb.10:
	s_or_b64 exec, exec, s[2:3]
	v_add_u32_e32 v4, 1, v33
	v_cmp_gt_u32_e32 vcc, s33, v4
	s_and_saveexec_b64 s[2:3], vcc
; %bb.11:
	v_add_u32_e32 v3, s9, v31
	v_add_u32_e32 v4, s11, v31
	v_mul_lo_u32 v3, v3, s8
	v_mul_lo_u32 v4, v4, s10
	v_sub_u32_e32 v3, v3, v4
	v_cmp_lt_u32_e32 vcc, s7, v3
	v_cndmask_b32_e64 v3, 0, 1, vcc
; %bb.12:
	s_or_b64 exec, exec, s[2:3]
	v_add_u32_e32 v4, 2, v33
	v_cmp_gt_u32_e32 vcc, s33, v4
	v_mov_b32_e32 v5, 0
	v_mov_b32_e32 v4, 0
	s_and_saveexec_b64 s[2:3], vcc
; %bb.13:
	v_add_u32_e32 v4, s9, v28
	v_add_u32_e32 v6, s11, v28
	v_mul_lo_u32 v4, v4, s8
	v_mul_lo_u32 v6, v6, s10
	v_sub_u32_e32 v4, v4, v6
	v_cmp_lt_u32_e32 vcc, s7, v4
	v_cndmask_b32_e64 v4, 0, 1, vcc
; %bb.14:
	s_or_b64 exec, exec, s[2:3]
	v_add_u32_e32 v6, 3, v33
	v_cmp_gt_u32_e32 vcc, s33, v6
	s_and_saveexec_b64 s[2:3], vcc
; %bb.15:
	v_add_u32_e32 v5, s9, v29
	v_add_u32_e32 v6, s11, v29
	v_mul_lo_u32 v5, v5, s8
	v_mul_lo_u32 v6, v6, s10
	v_sub_u32_e32 v5, v5, v6
	v_cmp_lt_u32_e32 vcc, s7, v5
	v_cndmask_b32_e64 v5, 0, 1, vcc
; %bb.16:
	s_or_b64 exec, exec, s[2:3]
	v_add_u32_e32 v6, 4, v33
	;; [unrolled: 28-line block ×6, first 2 shown]
	v_cmp_gt_u32_e32 vcc, s33, v14
	v_mov_b32_e32 v34, 0
	s_and_saveexec_b64 s[2:3], vcc
; %bb.33:
	v_add_u32_e32 v14, s9, v32
	v_add_u32_e32 v15, s11, v32
	v_mul_lo_u32 v14, v14, s8
	v_mul_lo_u32 v15, v15, s10
	v_sub_u32_e32 v14, v14, v15
	v_cmp_lt_u32_e32 vcc, s7, v14
	v_cndmask_b32_e64 v34, 0, 1, vcc
; %bb.34:
	s_or_b64 exec, exec, s[2:3]
	v_lshlrev_b16_e32 v3, 8, v3
	v_or_b32_e32 v2, v2, v3
	v_lshlrev_b16_e32 v3, 8, v5
	v_or_b32_sdwa v3, v4, v3 dst_sel:WORD_1 dst_unused:UNUSED_PAD src0_sel:DWORD src1_sel:DWORD
	v_or_b32_sdwa v37, v2, v3 dst_sel:DWORD dst_unused:UNUSED_PAD src0_sel:WORD_0 src1_sel:DWORD
	v_lshlrev_b16_e32 v2, 8, v7
	v_lshlrev_b16_e32 v3, 8, v9
	v_or_b32_e32 v2, v6, v2
	v_or_b32_sdwa v3, v8, v3 dst_sel:WORD_1 dst_unused:UNUSED_PAD src0_sel:DWORD src1_sel:DWORD
	v_or_b32_sdwa v36, v2, v3 dst_sel:DWORD dst_unused:UNUSED_PAD src0_sel:WORD_0 src1_sel:DWORD
	v_lshlrev_b16_e32 v2, 8, v11
	v_lshlrev_b16_e32 v3, 8, v13
	v_or_b32_e32 v2, v10, v2
	v_or_b32_sdwa v3, v12, v3 dst_sel:WORD_1 dst_unused:UNUSED_PAD src0_sel:DWORD src1_sel:DWORD
	v_or_b32_sdwa v35, v2, v3 dst_sel:DWORD dst_unused:UNUSED_PAD src0_sel:WORD_0 src1_sel:DWORD
.LBB1826_35:
	v_and_b32_e32 v41, 0xff, v37
	v_bfe_u32 v42, v37, 8, 8
	v_bfe_u32 v43, v37, 16, 8
	v_lshrrev_b32_e32 v40, 24, v37
	v_and_b32_e32 v44, 0xff, v36
	v_add3_u32 v3, v42, v41, v43
	v_bfe_u32 v45, v36, 8, 8
	v_bfe_u32 v46, v36, 16, 8
	v_add3_u32 v3, v3, v40, v44
	v_lshrrev_b32_e32 v39, 24, v36
	v_and_b32_e32 v47, 0xff, v35
	v_add3_u32 v3, v3, v45, v46
	v_bfe_u32 v48, v35, 8, 8
	v_bfe_u32 v49, v35, 16, 8
	v_add3_u32 v3, v3, v39, v47
	v_lshrrev_b32_e32 v38, 24, v35
	v_and_b32_e32 v2, 0xff, v34
	v_add3_u32 v3, v3, v48, v49
	v_add3_u32 v52, v3, v38, v2
	v_mbcnt_lo_u32_b32 v2, -1, 0
	v_mbcnt_hi_u32_b32 v50, -1, v2
	v_and_b32_e32 v2, 15, v50
	v_cmp_eq_u32_e64 s[14:15], 0, v2
	v_cmp_lt_u32_e64 s[12:13], 1, v2
	v_cmp_lt_u32_e64 s[10:11], 3, v2
	;; [unrolled: 1-line block ×3, first 2 shown]
	v_and_b32_e32 v2, 16, v50
	v_cmp_eq_u32_e64 s[18:19], 0, v2
	v_or_b32_e32 v2, 63, v0
	s_cmp_lg_u32 s6, 0
	v_cmp_lt_u32_e64 s[2:3], 31, v50
	v_lshrrev_b32_e32 v51, 6, v0
	v_cmp_eq_u32_e64 s[4:5], v2, v0
	s_cbranch_scc0 .LBB1826_66
; %bb.36:
	v_mov_b32_dpp v2, v52 row_shr:1 row_mask:0xf bank_mask:0xf
	v_cndmask_b32_e64 v2, v2, 0, s[14:15]
	v_add_u32_e32 v2, v2, v52
	s_nop 1
	v_mov_b32_dpp v3, v2 row_shr:2 row_mask:0xf bank_mask:0xf
	v_cndmask_b32_e64 v3, 0, v3, s[12:13]
	v_add_u32_e32 v2, v2, v3
	s_nop 1
	;; [unrolled: 4-line block ×4, first 2 shown]
	v_mov_b32_dpp v3, v2 row_bcast:15 row_mask:0xf bank_mask:0xf
	v_cndmask_b32_e64 v3, v3, 0, s[18:19]
	v_add_u32_e32 v2, v2, v3
	s_nop 1
	v_mov_b32_dpp v3, v2 row_bcast:31 row_mask:0xf bank_mask:0xf
	v_cndmask_b32_e64 v3, 0, v3, s[2:3]
	v_add_u32_e32 v2, v2, v3
	s_and_saveexec_b64 s[16:17], s[4:5]
	s_cbranch_execz .LBB1826_38
; %bb.37:
	v_lshlrev_b32_e32 v3, 2, v51
	ds_write_b32 v3, v2
.LBB1826_38:
	s_or_b64 exec, exec, s[16:17]
	v_cmp_gt_u32_e32 vcc, 4, v0
	s_waitcnt lgkmcnt(0)
	s_barrier
	s_and_saveexec_b64 s[16:17], vcc
	s_cbranch_execz .LBB1826_40
; %bb.39:
	ds_read_b32 v3, v1
	v_and_b32_e32 v4, 3, v50
	v_cmp_ne_u32_e32 vcc, 0, v4
	s_waitcnt lgkmcnt(0)
	v_mov_b32_dpp v5, v3 row_shr:1 row_mask:0xf bank_mask:0xf
	v_cndmask_b32_e32 v5, 0, v5, vcc
	v_add_u32_e32 v3, v5, v3
	v_cmp_lt_u32_e32 vcc, 1, v4
	s_nop 0
	v_mov_b32_dpp v5, v3 row_shr:2 row_mask:0xf bank_mask:0xf
	v_cndmask_b32_e32 v4, 0, v5, vcc
	v_add_u32_e32 v3, v3, v4
	ds_write_b32 v1, v3
.LBB1826_40:
	s_or_b64 exec, exec, s[16:17]
	v_cmp_gt_u32_e32 vcc, 64, v0
	v_cmp_lt_u32_e64 s[16:17], 63, v0
	s_waitcnt lgkmcnt(0)
	s_barrier
	s_waitcnt lgkmcnt(0)
                                        ; implicit-def: $vgpr12
	s_and_saveexec_b64 s[36:37], s[16:17]
	s_cbranch_execz .LBB1826_42
; %bb.41:
	v_lshl_add_u32 v3, v51, 2, -4
	ds_read_b32 v12, v3
	s_waitcnt lgkmcnt(0)
	v_add_u32_e32 v2, v12, v2
.LBB1826_42:
	s_or_b64 exec, exec, s[36:37]
	v_add_u32_e32 v3, -1, v50
	v_and_b32_e32 v4, 64, v50
	v_cmp_lt_i32_e64 s[16:17], v3, v4
	v_cndmask_b32_e64 v3, v3, v50, s[16:17]
	v_lshlrev_b32_e32 v3, 2, v3
	ds_bpermute_b32 v13, v3, v2
	v_cmp_eq_u32_e64 s[16:17], 0, v50
	s_and_saveexec_b64 s[36:37], vcc
	s_cbranch_execz .LBB1826_65
; %bb.43:
	v_mov_b32_e32 v11, 0
	ds_read_b32 v2, v11 offset:12
	s_and_saveexec_b64 s[38:39], s[16:17]
	s_cbranch_execz .LBB1826_45
; %bb.44:
	s_add_i32 s40, s6, 64
	s_mov_b32 s41, 0
	s_lshl_b64 s[40:41], s[40:41], 3
	s_add_u32 s40, s34, s40
	v_mov_b32_e32 v3, 1
	s_addc_u32 s41, s35, s41
	s_waitcnt lgkmcnt(0)
	global_store_dwordx2 v11, v[2:3], s[40:41]
.LBB1826_45:
	s_or_b64 exec, exec, s[38:39]
	v_xad_u32 v4, v50, -1, s6
	v_add_u32_e32 v10, 64, v4
	v_lshlrev_b64 v[6:7], 3, v[10:11]
	v_mov_b32_e32 v3, s35
	v_add_co_u32_e32 v6, vcc, s34, v6
	v_addc_co_u32_e32 v7, vcc, v3, v7, vcc
	global_load_dwordx2 v[8:9], v[6:7], off glc
	s_waitcnt vmcnt(0)
	v_cmp_eq_u16_sdwa s[40:41], v9, v11 src0_sel:BYTE_0 src1_sel:DWORD
	s_and_saveexec_b64 s[38:39], s[40:41]
	s_cbranch_execz .LBB1826_51
; %bb.46:
	s_mov_b32 s7, 1
	s_mov_b64 s[40:41], 0
	v_mov_b32_e32 v3, 0
.LBB1826_47:                            ; =>This Loop Header: Depth=1
                                        ;     Child Loop BB1826_48 Depth 2
	s_max_u32 s43, s7, 1
.LBB1826_48:                            ;   Parent Loop BB1826_47 Depth=1
                                        ; =>  This Inner Loop Header: Depth=2
	s_add_i32 s43, s43, -1
	s_cmp_eq_u32 s43, 0
	s_sleep 1
	s_cbranch_scc0 .LBB1826_48
; %bb.49:                               ;   in Loop: Header=BB1826_47 Depth=1
	global_load_dwordx2 v[8:9], v[6:7], off glc
	s_cmp_lt_u32 s7, 32
	s_cselect_b64 s[44:45], -1, 0
	s_cmp_lg_u64 s[44:45], 0
	s_addc_u32 s7, s7, 0
	s_waitcnt vmcnt(0)
	v_cmp_ne_u16_sdwa s[44:45], v9, v3 src0_sel:BYTE_0 src1_sel:DWORD
	s_or_b64 s[40:41], s[44:45], s[40:41]
	s_andn2_b64 exec, exec, s[40:41]
	s_cbranch_execnz .LBB1826_47
; %bb.50:
	s_or_b64 exec, exec, s[40:41]
.LBB1826_51:
	s_or_b64 exec, exec, s[38:39]
	v_and_b32_e32 v14, 63, v50
	v_mov_b32_e32 v3, 2
	v_cmp_ne_u32_e32 vcc, 63, v14
	v_cmp_eq_u16_sdwa s[38:39], v9, v3 src0_sel:BYTE_0 src1_sel:DWORD
	v_lshlrev_b64 v[6:7], v50, -1
	v_addc_co_u32_e32 v11, vcc, 0, v50, vcc
	v_and_b32_e32 v5, s39, v7
	v_lshlrev_b32_e32 v15, 2, v11
	v_or_b32_e32 v5, 0x80000000, v5
	ds_bpermute_b32 v11, v15, v8
	v_and_b32_e32 v10, s38, v6
	v_ffbl_b32_e32 v5, v5
	v_add_u32_e32 v5, 32, v5
	v_ffbl_b32_e32 v10, v10
	v_min_u32_e32 v5, v10, v5
	v_cmp_lt_u32_e32 vcc, v14, v5
	s_waitcnt lgkmcnt(0)
	v_cndmask_b32_e32 v10, 0, v11, vcc
	v_cmp_gt_u32_e32 vcc, 62, v14
	v_add_u32_e32 v8, v10, v8
	v_cndmask_b32_e64 v10, 0, 1, vcc
	v_lshlrev_b32_e32 v10, 1, v10
	v_add_lshl_u32 v16, v10, v50, 2
	ds_bpermute_b32 v10, v16, v8
	v_add_u32_e32 v17, 2, v14
	v_cmp_le_u32_e32 vcc, v17, v5
	v_add_u32_e32 v19, 4, v14
	v_add_u32_e32 v54, 8, v14
	s_waitcnt lgkmcnt(0)
	v_cndmask_b32_e32 v10, 0, v10, vcc
	v_cmp_gt_u32_e32 vcc, 60, v14
	v_add_u32_e32 v8, v8, v10
	v_cndmask_b32_e64 v10, 0, 1, vcc
	v_lshlrev_b32_e32 v10, 2, v10
	v_add_lshl_u32 v18, v10, v50, 2
	ds_bpermute_b32 v10, v18, v8
	v_cmp_le_u32_e32 vcc, v19, v5
	v_add_u32_e32 v57, 16, v14
	v_add_u32_e32 v59, 32, v14
	s_waitcnt lgkmcnt(0)
	v_cndmask_b32_e32 v10, 0, v10, vcc
	v_cmp_gt_u32_e32 vcc, 56, v14
	v_add_u32_e32 v8, v8, v10
	v_cndmask_b32_e64 v10, 0, 1, vcc
	v_lshlrev_b32_e32 v10, 3, v10
	v_add_lshl_u32 v53, v10, v50, 2
	ds_bpermute_b32 v10, v53, v8
	v_cmp_le_u32_e32 vcc, v54, v5
	s_waitcnt lgkmcnt(0)
	v_cndmask_b32_e32 v10, 0, v10, vcc
	v_cmp_gt_u32_e32 vcc, 48, v14
	v_add_u32_e32 v8, v8, v10
	v_cndmask_b32_e64 v10, 0, 1, vcc
	v_lshlrev_b32_e32 v10, 4, v10
	v_add_lshl_u32 v56, v10, v50, 2
	ds_bpermute_b32 v10, v56, v8
	v_cmp_le_u32_e32 vcc, v57, v5
	;; [unrolled: 9-line block ×3, first 2 shown]
	s_waitcnt lgkmcnt(0)
	v_cndmask_b32_e32 v5, 0, v10, vcc
	v_add_u32_e32 v8, v8, v5
	v_mov_b32_e32 v5, 0
	s_branch .LBB1826_53
.LBB1826_52:                            ;   in Loop: Header=BB1826_53 Depth=1
	s_or_b64 exec, exec, s[38:39]
	v_cmp_eq_u16_sdwa s[38:39], v9, v3 src0_sel:BYTE_0 src1_sel:DWORD
	v_and_b32_e32 v10, s39, v7
	v_or_b32_e32 v10, 0x80000000, v10
	ds_bpermute_b32 v60, v15, v8
	v_and_b32_e32 v11, s38, v6
	v_ffbl_b32_e32 v10, v10
	v_add_u32_e32 v10, 32, v10
	v_ffbl_b32_e32 v11, v11
	v_min_u32_e32 v10, v11, v10
	v_cmp_lt_u32_e32 vcc, v14, v10
	s_waitcnt lgkmcnt(0)
	v_cndmask_b32_e32 v11, 0, v60, vcc
	v_add_u32_e32 v8, v11, v8
	ds_bpermute_b32 v11, v16, v8
	v_cmp_le_u32_e32 vcc, v17, v10
	v_subrev_u32_e32 v4, 64, v4
	s_waitcnt lgkmcnt(0)
	v_cndmask_b32_e32 v11, 0, v11, vcc
	v_add_u32_e32 v8, v8, v11
	ds_bpermute_b32 v11, v18, v8
	v_cmp_le_u32_e32 vcc, v19, v10
	s_waitcnt lgkmcnt(0)
	v_cndmask_b32_e32 v11, 0, v11, vcc
	v_add_u32_e32 v8, v8, v11
	ds_bpermute_b32 v11, v53, v8
	v_cmp_le_u32_e32 vcc, v54, v10
	;; [unrolled: 5-line block ×4, first 2 shown]
	s_waitcnt lgkmcnt(0)
	v_cndmask_b32_e32 v10, 0, v11, vcc
	v_add3_u32 v8, v10, v55, v8
.LBB1826_53:                            ; =>This Loop Header: Depth=1
                                        ;     Child Loop BB1826_56 Depth 2
                                        ;       Child Loop BB1826_57 Depth 3
	v_cmp_ne_u16_sdwa s[38:39], v9, v3 src0_sel:BYTE_0 src1_sel:DWORD
	v_cndmask_b32_e64 v9, 0, 1, s[38:39]
	;;#ASMSTART
	;;#ASMEND
	v_cmp_ne_u32_e32 vcc, 0, v9
	s_cmp_lg_u64 vcc, exec
	v_mov_b32_e32 v55, v8
	s_cbranch_scc1 .LBB1826_60
; %bb.54:                               ;   in Loop: Header=BB1826_53 Depth=1
	v_lshlrev_b64 v[8:9], 3, v[4:5]
	v_mov_b32_e32 v11, s35
	v_add_co_u32_e32 v10, vcc, s34, v8
	v_addc_co_u32_e32 v11, vcc, v11, v9, vcc
	global_load_dwordx2 v[8:9], v[10:11], off glc
	s_waitcnt vmcnt(0)
	v_cmp_eq_u16_sdwa s[40:41], v9, v5 src0_sel:BYTE_0 src1_sel:DWORD
	s_and_saveexec_b64 s[38:39], s[40:41]
	s_cbranch_execz .LBB1826_52
; %bb.55:                               ;   in Loop: Header=BB1826_53 Depth=1
	s_mov_b32 s7, 1
	s_mov_b64 s[40:41], 0
.LBB1826_56:                            ;   Parent Loop BB1826_53 Depth=1
                                        ; =>  This Loop Header: Depth=2
                                        ;       Child Loop BB1826_57 Depth 3
	s_max_u32 s43, s7, 1
.LBB1826_57:                            ;   Parent Loop BB1826_53 Depth=1
                                        ;     Parent Loop BB1826_56 Depth=2
                                        ; =>    This Inner Loop Header: Depth=3
	s_add_i32 s43, s43, -1
	s_cmp_eq_u32 s43, 0
	s_sleep 1
	s_cbranch_scc0 .LBB1826_57
; %bb.58:                               ;   in Loop: Header=BB1826_56 Depth=2
	global_load_dwordx2 v[8:9], v[10:11], off glc
	s_cmp_lt_u32 s7, 32
	s_cselect_b64 s[44:45], -1, 0
	s_cmp_lg_u64 s[44:45], 0
	s_addc_u32 s7, s7, 0
	s_waitcnt vmcnt(0)
	v_cmp_ne_u16_sdwa s[44:45], v9, v5 src0_sel:BYTE_0 src1_sel:DWORD
	s_or_b64 s[40:41], s[44:45], s[40:41]
	s_andn2_b64 exec, exec, s[40:41]
	s_cbranch_execnz .LBB1826_56
; %bb.59:                               ;   in Loop: Header=BB1826_53 Depth=1
	s_or_b64 exec, exec, s[40:41]
	s_branch .LBB1826_52
.LBB1826_60:                            ;   in Loop: Header=BB1826_53 Depth=1
                                        ; implicit-def: $vgpr8
                                        ; implicit-def: $vgpr9
	s_cbranch_execz .LBB1826_53
; %bb.61:
	s_and_saveexec_b64 s[38:39], s[16:17]
	s_cbranch_execz .LBB1826_63
; %bb.62:
	s_add_i32 s6, s6, 64
	s_mov_b32 s7, 0
	s_lshl_b64 s[6:7], s[6:7], 3
	s_add_u32 s6, s34, s6
	v_add_u32_e32 v4, v55, v2
	v_mov_b32_e32 v5, 2
	s_addc_u32 s7, s35, s7
	v_mov_b32_e32 v3, 0
	global_store_dwordx2 v3, v[4:5], s[6:7]
	s_movk_i32 s6, 0x3400
	v_add_u32_e64 v3, s6, 0
	ds_write2_b32 v3, v2, v55 offset1:2
.LBB1826_63:
	s_or_b64 exec, exec, s[38:39]
	v_cmp_eq_u32_e32 vcc, 0, v0
	s_and_b64 exec, exec, vcc
	s_cbranch_execz .LBB1826_65
; %bb.64:
	v_mov_b32_e32 v2, 0
	ds_write_b32 v2, v55 offset:12
.LBB1826_65:
	s_or_b64 exec, exec, s[36:37]
	v_mov_b32_e32 v2, 0
	s_waitcnt lgkmcnt(0)
	s_barrier
	ds_read_b32 v2, v2 offset:12
	v_cndmask_b32_e64 v3, v13, v12, s[16:17]
	v_cmp_ne_u32_e32 vcc, 0, v0
	v_cndmask_b32_e32 v3, 0, v3, vcc
	s_movk_i32 s6, 0x3400
	s_waitcnt lgkmcnt(0)
	v_add_u32_e32 v2, v2, v3
	v_add_u32_e32 v3, v2, v41
	;; [unrolled: 1-line block ×8, first 2 shown]
	v_add_u32_e64 v12, s6, 0
	v_add_u32_e32 v10, v9, v39
	s_barrier
	ds_read2_b32 v[18:19], v12 offset1:2
	v_add_u32_e32 v11, v10, v47
	v_add_u32_e32 v12, v11, v48
	;; [unrolled: 1-line block ×4, first 2 shown]
	s_branch .LBB1826_76
.LBB1826_66:
                                        ; implicit-def: $vgpr19
                                        ; implicit-def: $vgpr2_vgpr3_vgpr4_vgpr5_vgpr6_vgpr7_vgpr8_vgpr9_vgpr10_vgpr11_vgpr12_vgpr13_vgpr14_vgpr15_vgpr16_vgpr17
	s_cbranch_execz .LBB1826_76
; %bb.67:
	s_nop 0
	v_mov_b32_dpp v2, v52 row_shr:1 row_mask:0xf bank_mask:0xf
	v_cndmask_b32_e64 v2, v2, 0, s[14:15]
	v_add_u32_e32 v2, v2, v52
	s_nop 1
	v_mov_b32_dpp v3, v2 row_shr:2 row_mask:0xf bank_mask:0xf
	v_cndmask_b32_e64 v3, 0, v3, s[12:13]
	v_add_u32_e32 v2, v2, v3
	;; [unrolled: 4-line block ×4, first 2 shown]
	s_nop 1
	v_mov_b32_dpp v3, v2 row_bcast:15 row_mask:0xf bank_mask:0xf
	v_cndmask_b32_e64 v3, v3, 0, s[18:19]
	v_add_u32_e32 v2, v2, v3
	s_nop 1
	v_mov_b32_dpp v3, v2 row_bcast:31 row_mask:0xf bank_mask:0xf
	v_cndmask_b32_e64 v3, 0, v3, s[2:3]
	v_add_u32_e32 v2, v2, v3
	s_and_saveexec_b64 s[2:3], s[4:5]
	s_cbranch_execz .LBB1826_69
; %bb.68:
	v_lshlrev_b32_e32 v3, 2, v51
	ds_write_b32 v3, v2
.LBB1826_69:
	s_or_b64 exec, exec, s[2:3]
	v_cmp_gt_u32_e32 vcc, 4, v0
	s_waitcnt lgkmcnt(0)
	s_barrier
	s_and_saveexec_b64 s[2:3], vcc
	s_cbranch_execz .LBB1826_71
; %bb.70:
	ds_read_b32 v3, v1
	v_and_b32_e32 v4, 3, v50
	v_cmp_ne_u32_e32 vcc, 0, v4
	s_waitcnt lgkmcnt(0)
	v_mov_b32_dpp v5, v3 row_shr:1 row_mask:0xf bank_mask:0xf
	v_cndmask_b32_e32 v5, 0, v5, vcc
	v_add_u32_e32 v3, v5, v3
	v_cmp_lt_u32_e32 vcc, 1, v4
	s_nop 0
	v_mov_b32_dpp v5, v3 row_shr:2 row_mask:0xf bank_mask:0xf
	v_cndmask_b32_e32 v4, 0, v5, vcc
	v_add_u32_e32 v3, v3, v4
	ds_write_b32 v1, v3
.LBB1826_71:
	s_or_b64 exec, exec, s[2:3]
	v_cmp_lt_u32_e32 vcc, 63, v0
	v_mov_b32_e32 v4, 0
	v_mov_b32_e32 v3, 0
	s_waitcnt lgkmcnt(0)
	s_barrier
	s_and_saveexec_b64 s[2:3], vcc
	s_cbranch_execz .LBB1826_73
; %bb.72:
	v_lshl_add_u32 v3, v51, 2, -4
	ds_read_b32 v3, v3
.LBB1826_73:
	s_or_b64 exec, exec, s[2:3]
	v_add_u32_e32 v5, -1, v50
	v_and_b32_e32 v6, 64, v50
	v_cmp_lt_i32_e32 vcc, v5, v6
	v_cndmask_b32_e32 v5, v5, v50, vcc
	s_waitcnt lgkmcnt(0)
	v_add_u32_e32 v2, v3, v2
	v_lshlrev_b32_e32 v5, 2, v5
	ds_bpermute_b32 v2, v5, v2
	ds_read_b32 v18, v4 offset:12
	v_cmp_eq_u32_e32 vcc, 0, v0
	s_and_saveexec_b64 s[2:3], vcc
	s_cbranch_execz .LBB1826_75
; %bb.74:
	v_mov_b32_e32 v4, 0
	v_mov_b32_e32 v19, 2
	s_waitcnt lgkmcnt(0)
	global_store_dwordx2 v4, v[18:19], s[34:35] offset:512
.LBB1826_75:
	s_or_b64 exec, exec, s[2:3]
	v_cmp_eq_u32_e64 s[2:3], 0, v50
	s_waitcnt lgkmcnt(1)
	v_cndmask_b32_e64 v2, v2, v3, s[2:3]
	v_cndmask_b32_e64 v2, v2, 0, vcc
	v_add_u32_e32 v3, v2, v41
	v_add_u32_e32 v4, v3, v42
	v_add_u32_e32 v5, v4, v43
	v_add_u32_e32 v6, v5, v40
	v_add_u32_e32 v7, v6, v44
	v_add_u32_e32 v8, v7, v45
	v_add_u32_e32 v9, v8, v46
	v_add_u32_e32 v10, v9, v39
	v_add_u32_e32 v11, v10, v47
	v_add_u32_e32 v12, v11, v48
	v_add_u32_e32 v13, v12, v49
	v_mov_b32_e32 v19, 0
	v_add_u32_e32 v14, v13, v38
	s_waitcnt lgkmcnt(0)
	s_barrier
.LBB1826_76:
	s_waitcnt lgkmcnt(0)
	v_add_u32_e32 v33, v18, v33
	v_sub_u32_e32 v2, v2, v19
	v_and_b32_e32 v42, 1, v37
	v_sub_u32_e32 v41, v33, v2
	v_cmp_eq_u32_e32 vcc, 1, v42
	v_cndmask_b32_e32 v2, v41, v2, vcc
	v_lshlrev_b32_e32 v2, 2, v2
	v_lshrrev_b32_e32 v17, 8, v37
	ds_write_b32 v2, v30
	v_sub_u32_e32 v2, v3, v19
	v_sub_u32_e32 v3, v33, v2
	v_and_b32_e32 v17, 1, v17
	v_add_u32_e32 v3, 1, v3
	v_cmp_eq_u32_e32 vcc, 1, v17
	v_cndmask_b32_e32 v2, v3, v2, vcc
	v_lshlrev_b32_e32 v2, 2, v2
	ds_write_b32 v2, v31
	v_sub_u32_e32 v2, v4, v19
	v_mov_b32_e32 v4, 1
	v_sub_u32_e32 v3, v33, v2
	v_and_b32_sdwa v17, v4, v37 dst_sel:DWORD dst_unused:UNUSED_PAD src0_sel:DWORD src1_sel:WORD_1
	v_add_u32_e32 v3, 2, v3
	v_cmp_eq_u32_e32 vcc, 1, v17
	v_cndmask_b32_e32 v2, v3, v2, vcc
	v_lshlrev_b32_e32 v2, 2, v2
	ds_write_b32 v2, v28
	v_sub_u32_e32 v2, v5, v19
	v_sub_u32_e32 v3, v33, v2
	v_and_b32_e32 v5, 1, v40
	v_add_u32_e32 v3, 3, v3
	v_cmp_eq_u32_e32 vcc, 1, v5
	v_cndmask_b32_e32 v2, v3, v2, vcc
	v_lshlrev_b32_e32 v2, 2, v2
	ds_write_b32 v2, v29
	v_sub_u32_e32 v2, v6, v19
	v_sub_u32_e32 v3, v33, v2
	v_and_b32_e32 v5, 1, v36
	v_add_u32_e32 v3, 4, v3
	v_cmp_eq_u32_e32 vcc, 1, v5
	v_cndmask_b32_e32 v2, v3, v2, vcc
	v_lshlrev_b32_e32 v2, 2, v2
	v_lshrrev_b32_e32 v16, 8, v36
	ds_write_b32 v2, v26
	v_sub_u32_e32 v2, v7, v19
	v_sub_u32_e32 v3, v33, v2
	v_and_b32_e32 v5, 1, v16
	v_add_u32_e32 v3, 5, v3
	v_cmp_eq_u32_e32 vcc, 1, v5
	v_cndmask_b32_e32 v2, v3, v2, vcc
	v_lshlrev_b32_e32 v2, 2, v2
	ds_write_b32 v2, v27
	v_sub_u32_e32 v2, v8, v19
	v_sub_u32_e32 v3, v33, v2
	v_and_b32_sdwa v5, v4, v36 dst_sel:DWORD dst_unused:UNUSED_PAD src0_sel:DWORD src1_sel:WORD_1
	v_add_u32_e32 v3, 6, v3
	v_cmp_eq_u32_e32 vcc, 1, v5
	v_cndmask_b32_e32 v2, v3, v2, vcc
	v_lshlrev_b32_e32 v2, 2, v2
	ds_write_b32 v2, v24
	v_sub_u32_e32 v2, v9, v19
	v_sub_u32_e32 v3, v33, v2
	v_and_b32_e32 v5, 1, v39
	v_add_u32_e32 v3, 7, v3
	v_cmp_eq_u32_e32 vcc, 1, v5
	v_cndmask_b32_e32 v2, v3, v2, vcc
	v_lshlrev_b32_e32 v2, 2, v2
	ds_write_b32 v2, v25
	v_sub_u32_e32 v2, v10, v19
	v_sub_u32_e32 v3, v33, v2
	v_and_b32_e32 v5, 1, v35
	v_add_u32_e32 v3, 8, v3
	v_cmp_eq_u32_e32 vcc, 1, v5
	v_cndmask_b32_e32 v2, v3, v2, vcc
	v_lshlrev_b32_e32 v2, 2, v2
	v_lshrrev_b32_e32 v15, 8, v35
	ds_write_b32 v2, v22
	v_sub_u32_e32 v2, v11, v19
	v_sub_u32_e32 v3, v33, v2
	v_and_b32_e32 v5, 1, v15
	v_add_u32_e32 v3, 9, v3
	v_cmp_eq_u32_e32 vcc, 1, v5
	v_cndmask_b32_e32 v2, v3, v2, vcc
	v_lshlrev_b32_e32 v2, 2, v2
	ds_write_b32 v2, v23
	v_sub_u32_e32 v2, v12, v19
	v_sub_u32_e32 v3, v33, v2
	v_and_b32_sdwa v4, v4, v35 dst_sel:DWORD dst_unused:UNUSED_PAD src0_sel:DWORD src1_sel:WORD_1
	v_add_u32_e32 v3, 10, v3
	v_cmp_eq_u32_e32 vcc, 1, v4
	v_cndmask_b32_e32 v2, v3, v2, vcc
	v_lshlrev_b32_e32 v2, 2, v2
	ds_write_b32 v2, v20
	v_sub_u32_e32 v2, v13, v19
	v_sub_u32_e32 v3, v33, v2
	v_and_b32_e32 v4, 1, v38
	v_add_u32_e32 v3, 11, v3
	v_cmp_eq_u32_e32 vcc, 1, v4
	v_cndmask_b32_e32 v2, v3, v2, vcc
	v_lshlrev_b32_e32 v2, 2, v2
	ds_write_b32 v2, v21
	v_sub_u32_e32 v2, v14, v19
	v_sub_u32_e32 v3, v33, v2
	v_and_b32_e32 v4, 1, v34
	v_add_u32_e32 v3, 12, v3
	v_cmp_eq_u32_e32 vcc, 1, v4
	v_cndmask_b32_e32 v2, v3, v2, vcc
	s_add_u32 s2, s28, s42
	v_lshlrev_b32_e32 v2, 2, v2
	s_addc_u32 s3, s29, 0
	ds_write_b32 v2, v32
	s_waitcnt lgkmcnt(0)
	s_barrier
	ds_read2st64_b32 v[12:13], v1 offset1:4
	ds_read2st64_b32 v[10:11], v1 offset0:8 offset1:12
	ds_read2st64_b32 v[8:9], v1 offset0:16 offset1:20
	ds_read2st64_b32 v[6:7], v1 offset0:24 offset1:28
	ds_read2st64_b32 v[4:5], v1 offset0:32 offset1:36
	ds_read2st64_b32 v[2:3], v1 offset0:40 offset1:44
	ds_read_b32 v17, v1 offset:12288
	v_mov_b32_e32 v14, s31
	v_add_co_u32_e32 v1, vcc, s30, v19
	s_sub_u32 s2, s26, s2
	v_addc_co_u32_e32 v16, vcc, 0, v14, vcc
	s_subb_u32 s3, s27, s3
	v_mov_b32_e32 v14, s3
	v_add_co_u32_e32 v15, vcc, s2, v18
	v_addc_co_u32_e32 v14, vcc, 0, v14, vcc
	s_and_b64 vcc, exec, s[0:1]
	v_add_co_u32_e64 v19, s[0:1], v15, v1
	v_or_b32_e32 v32, 0x100, v0
	v_or_b32_e32 v31, 0x200, v0
	;; [unrolled: 1-line block ×12, first 2 shown]
	v_addc_co_u32_e64 v21, s[0:1], v14, v16, s[0:1]
	s_cbranch_vccnz .LBB1826_130
; %bb.77:
	v_cmp_ge_u32_e32 vcc, v0, v18
                                        ; implicit-def: $vgpr14_vgpr15
	s_and_saveexec_b64 s[0:1], vcc
	s_xor_b64 s[0:1], exec, s[0:1]
; %bb.78:
	v_not_b32_e32 v14, v0
	v_ashrrev_i32_e32 v15, 31, v14
	v_add_co_u32_e32 v14, vcc, v19, v14
	v_addc_co_u32_e32 v15, vcc, v21, v15, vcc
; %bb.79:
	s_andn2_saveexec_b64 s[0:1], s[0:1]
; %bb.80:
	v_add_co_u32_e32 v14, vcc, v1, v0
	v_addc_co_u32_e32 v15, vcc, 0, v16, vcc
; %bb.81:
	s_or_b64 exec, exec, s[0:1]
	v_lshlrev_b64 v[14:15], 2, v[14:15]
	v_mov_b32_e32 v33, s25
	v_add_co_u32_e32 v14, vcc, s24, v14
	v_addc_co_u32_e32 v15, vcc, v33, v15, vcc
	v_cmp_ge_u32_e32 vcc, v32, v18
	s_waitcnt lgkmcnt(6)
	global_store_dword v[14:15], v12, off
                                        ; implicit-def: $vgpr14_vgpr15
	s_and_saveexec_b64 s[0:1], vcc
	s_xor_b64 s[0:1], exec, s[0:1]
; %bb.82:
	v_xor_b32_e32 v14, 0xfffffeff, v0
	v_ashrrev_i32_e32 v15, 31, v14
	v_add_co_u32_e32 v14, vcc, v19, v14
	v_addc_co_u32_e32 v15, vcc, v21, v15, vcc
; %bb.83:
	s_andn2_saveexec_b64 s[0:1], s[0:1]
; %bb.84:
	v_add_co_u32_e32 v14, vcc, v1, v32
	v_addc_co_u32_e32 v15, vcc, 0, v16, vcc
; %bb.85:
	s_or_b64 exec, exec, s[0:1]
	v_lshlrev_b64 v[14:15], 2, v[14:15]
	v_mov_b32_e32 v33, s25
	v_add_co_u32_e32 v14, vcc, s24, v14
	v_addc_co_u32_e32 v15, vcc, v33, v15, vcc
	v_cmp_ge_u32_e32 vcc, v31, v18
	global_store_dword v[14:15], v13, off
                                        ; implicit-def: $vgpr14_vgpr15
	s_and_saveexec_b64 s[0:1], vcc
	s_xor_b64 s[0:1], exec, s[0:1]
; %bb.86:
	v_xor_b32_e32 v14, 0xfffffdff, v0
	v_ashrrev_i32_e32 v15, 31, v14
	v_add_co_u32_e32 v14, vcc, v19, v14
	v_addc_co_u32_e32 v15, vcc, v21, v15, vcc
; %bb.87:
	s_andn2_saveexec_b64 s[0:1], s[0:1]
; %bb.88:
	v_add_co_u32_e32 v14, vcc, v1, v31
	v_addc_co_u32_e32 v15, vcc, 0, v16, vcc
; %bb.89:
	s_or_b64 exec, exec, s[0:1]
	v_lshlrev_b64 v[14:15], 2, v[14:15]
	v_mov_b32_e32 v33, s25
	v_add_co_u32_e32 v14, vcc, s24, v14
	v_addc_co_u32_e32 v15, vcc, v33, v15, vcc
	v_cmp_ge_u32_e32 vcc, v30, v18
	s_waitcnt lgkmcnt(5)
	global_store_dword v[14:15], v10, off
                                        ; implicit-def: $vgpr14_vgpr15
	s_and_saveexec_b64 s[0:1], vcc
	s_xor_b64 s[0:1], exec, s[0:1]
; %bb.90:
	v_xor_b32_e32 v14, 0xfffffcff, v0
	v_ashrrev_i32_e32 v15, 31, v14
	v_add_co_u32_e32 v14, vcc, v19, v14
	v_addc_co_u32_e32 v15, vcc, v21, v15, vcc
; %bb.91:
	s_andn2_saveexec_b64 s[0:1], s[0:1]
; %bb.92:
	v_add_co_u32_e32 v14, vcc, v1, v30
	v_addc_co_u32_e32 v15, vcc, 0, v16, vcc
; %bb.93:
	s_or_b64 exec, exec, s[0:1]
	v_lshlrev_b64 v[14:15], 2, v[14:15]
	v_mov_b32_e32 v33, s25
	v_add_co_u32_e32 v14, vcc, s24, v14
	v_addc_co_u32_e32 v15, vcc, v33, v15, vcc
	v_cmp_ge_u32_e32 vcc, v29, v18
	global_store_dword v[14:15], v11, off
                                        ; implicit-def: $vgpr14_vgpr15
	s_and_saveexec_b64 s[0:1], vcc
	s_xor_b64 s[0:1], exec, s[0:1]
; %bb.94:
	v_xor_b32_e32 v14, 0xfffffbff, v0
	;; [unrolled: 43-line block ×6, first 2 shown]
	v_ashrrev_i32_e32 v15, 31, v14
	v_add_co_u32_e32 v14, vcc, v19, v14
	v_addc_co_u32_e32 v15, vcc, v21, v15, vcc
; %bb.127:
	s_andn2_saveexec_b64 s[0:1], s[0:1]
; %bb.128:
	v_add_co_u32_e32 v14, vcc, v1, v20
	v_addc_co_u32_e32 v15, vcc, 0, v16, vcc
; %bb.129:
	s_or_b64 exec, exec, s[0:1]
	s_mov_b64 s[0:1], -1
	s_branch .LBB1826_210
.LBB1826_130:
	s_mov_b64 s[0:1], 0
                                        ; implicit-def: $vgpr14_vgpr15
	s_cbranch_execz .LBB1826_210
; %bb.131:
	v_cmp_gt_u32_e32 vcc, s33, v0
	s_and_saveexec_b64 s[2:3], vcc
	s_cbranch_execz .LBB1826_167
; %bb.132:
	v_cmp_ge_u32_e32 vcc, v0, v18
                                        ; implicit-def: $vgpr14_vgpr15
	s_and_saveexec_b64 s[4:5], vcc
	s_xor_b64 s[4:5], exec, s[4:5]
; %bb.133:
	v_not_b32_e32 v14, v0
	v_ashrrev_i32_e32 v15, 31, v14
	v_add_co_u32_e32 v14, vcc, v19, v14
	v_addc_co_u32_e32 v15, vcc, v21, v15, vcc
; %bb.134:
	s_andn2_saveexec_b64 s[4:5], s[4:5]
; %bb.135:
	v_add_co_u32_e32 v14, vcc, v1, v0
	v_addc_co_u32_e32 v15, vcc, 0, v16, vcc
; %bb.136:
	s_or_b64 exec, exec, s[4:5]
	v_lshlrev_b64 v[14:15], 2, v[14:15]
	v_mov_b32_e32 v33, s25
	v_add_co_u32_e32 v14, vcc, s24, v14
	v_addc_co_u32_e32 v15, vcc, v33, v15, vcc
	s_waitcnt lgkmcnt(6)
	global_store_dword v[14:15], v12, off
	s_or_b64 exec, exec, s[2:3]
	v_cmp_gt_u32_e32 vcc, s33, v32
	s_and_saveexec_b64 s[2:3], vcc
	s_cbranch_execnz .LBB1826_168
.LBB1826_137:
	s_or_b64 exec, exec, s[2:3]
	v_cmp_gt_u32_e32 vcc, s33, v31
	s_and_saveexec_b64 s[2:3], vcc
	s_cbranch_execz .LBB1826_173
.LBB1826_138:
	v_cmp_ge_u32_e32 vcc, v31, v18
                                        ; implicit-def: $vgpr12_vgpr13
	s_and_saveexec_b64 s[4:5], vcc
	s_xor_b64 s[4:5], exec, s[4:5]
	s_cbranch_execz .LBB1826_140
; %bb.139:
	s_waitcnt lgkmcnt(6)
	v_xor_b32_e32 v12, 0xfffffdff, v0
	v_ashrrev_i32_e32 v13, 31, v12
	v_add_co_u32_e32 v12, vcc, v19, v12
	v_addc_co_u32_e32 v13, vcc, v21, v13, vcc
                                        ; implicit-def: $vgpr31
.LBB1826_140:
	s_andn2_saveexec_b64 s[4:5], s[4:5]
	s_cbranch_execz .LBB1826_142
; %bb.141:
	s_waitcnt lgkmcnt(6)
	v_add_co_u32_e32 v12, vcc, v1, v31
	v_addc_co_u32_e32 v13, vcc, 0, v16, vcc
.LBB1826_142:
	s_or_b64 exec, exec, s[4:5]
	s_waitcnt lgkmcnt(6)
	v_lshlrev_b64 v[12:13], 2, v[12:13]
	v_mov_b32_e32 v14, s25
	v_add_co_u32_e32 v12, vcc, s24, v12
	v_addc_co_u32_e32 v13, vcc, v14, v13, vcc
	s_waitcnt lgkmcnt(5)
	global_store_dword v[12:13], v10, off
	s_or_b64 exec, exec, s[2:3]
	v_cmp_gt_u32_e32 vcc, s33, v30
	s_and_saveexec_b64 s[2:3], vcc
	s_cbranch_execnz .LBB1826_174
.LBB1826_143:
	s_or_b64 exec, exec, s[2:3]
	v_cmp_gt_u32_e32 vcc, s33, v29
	s_and_saveexec_b64 s[2:3], vcc
	s_cbranch_execz .LBB1826_179
.LBB1826_144:
	v_cmp_ge_u32_e32 vcc, v29, v18
                                        ; implicit-def: $vgpr10_vgpr11
	s_and_saveexec_b64 s[4:5], vcc
	s_xor_b64 s[4:5], exec, s[4:5]
	s_cbranch_execz .LBB1826_146
; %bb.145:
	s_waitcnt lgkmcnt(5)
	v_xor_b32_e32 v10, 0xfffffbff, v0
	v_ashrrev_i32_e32 v11, 31, v10
	v_add_co_u32_e32 v10, vcc, v19, v10
	v_addc_co_u32_e32 v11, vcc, v21, v11, vcc
                                        ; implicit-def: $vgpr29
.LBB1826_146:
	s_andn2_saveexec_b64 s[4:5], s[4:5]
	s_cbranch_execz .LBB1826_148
; %bb.147:
	s_waitcnt lgkmcnt(5)
	v_add_co_u32_e32 v10, vcc, v1, v29
	v_addc_co_u32_e32 v11, vcc, 0, v16, vcc
.LBB1826_148:
	s_or_b64 exec, exec, s[4:5]
	s_waitcnt lgkmcnt(5)
	v_lshlrev_b64 v[10:11], 2, v[10:11]
	v_mov_b32_e32 v12, s25
	v_add_co_u32_e32 v10, vcc, s24, v10
	v_addc_co_u32_e32 v11, vcc, v12, v11, vcc
	s_waitcnt lgkmcnt(4)
	global_store_dword v[10:11], v8, off
	s_or_b64 exec, exec, s[2:3]
	v_cmp_gt_u32_e32 vcc, s33, v28
	s_and_saveexec_b64 s[2:3], vcc
	s_cbranch_execnz .LBB1826_180
.LBB1826_149:
	s_or_b64 exec, exec, s[2:3]
	v_cmp_gt_u32_e32 vcc, s33, v27
	s_and_saveexec_b64 s[2:3], vcc
	s_cbranch_execz .LBB1826_185
.LBB1826_150:
	v_cmp_ge_u32_e32 vcc, v27, v18
                                        ; implicit-def: $vgpr8_vgpr9
	s_and_saveexec_b64 s[4:5], vcc
	s_xor_b64 s[4:5], exec, s[4:5]
	s_cbranch_execz .LBB1826_152
; %bb.151:
	s_waitcnt lgkmcnt(4)
	v_xor_b32_e32 v8, 0xfffff9ff, v0
	v_ashrrev_i32_e32 v9, 31, v8
	v_add_co_u32_e32 v8, vcc, v19, v8
	v_addc_co_u32_e32 v9, vcc, v21, v9, vcc
                                        ; implicit-def: $vgpr27
.LBB1826_152:
	s_andn2_saveexec_b64 s[4:5], s[4:5]
	s_cbranch_execz .LBB1826_154
; %bb.153:
	s_waitcnt lgkmcnt(4)
	v_add_co_u32_e32 v8, vcc, v1, v27
	v_addc_co_u32_e32 v9, vcc, 0, v16, vcc
.LBB1826_154:
	s_or_b64 exec, exec, s[4:5]
	s_waitcnt lgkmcnt(4)
	v_lshlrev_b64 v[8:9], 2, v[8:9]
	v_mov_b32_e32 v10, s25
	v_add_co_u32_e32 v8, vcc, s24, v8
	v_addc_co_u32_e32 v9, vcc, v10, v9, vcc
	s_waitcnt lgkmcnt(3)
	global_store_dword v[8:9], v6, off
	s_or_b64 exec, exec, s[2:3]
	v_cmp_gt_u32_e32 vcc, s33, v26
	s_and_saveexec_b64 s[2:3], vcc
	s_cbranch_execnz .LBB1826_186
.LBB1826_155:
	s_or_b64 exec, exec, s[2:3]
	v_cmp_gt_u32_e32 vcc, s33, v25
	s_and_saveexec_b64 s[2:3], vcc
	s_cbranch_execz .LBB1826_191
.LBB1826_156:
	v_cmp_ge_u32_e32 vcc, v25, v18
                                        ; implicit-def: $vgpr6_vgpr7
	s_and_saveexec_b64 s[4:5], vcc
	s_xor_b64 s[4:5], exec, s[4:5]
	s_cbranch_execz .LBB1826_158
; %bb.157:
	s_waitcnt lgkmcnt(3)
	v_xor_b32_e32 v6, 0xfffff7ff, v0
	v_ashrrev_i32_e32 v7, 31, v6
	v_add_co_u32_e32 v6, vcc, v19, v6
	v_addc_co_u32_e32 v7, vcc, v21, v7, vcc
                                        ; implicit-def: $vgpr25
.LBB1826_158:
	s_andn2_saveexec_b64 s[4:5], s[4:5]
	s_cbranch_execz .LBB1826_160
; %bb.159:
	s_waitcnt lgkmcnt(3)
	v_add_co_u32_e32 v6, vcc, v1, v25
	v_addc_co_u32_e32 v7, vcc, 0, v16, vcc
.LBB1826_160:
	s_or_b64 exec, exec, s[4:5]
	s_waitcnt lgkmcnt(3)
	v_lshlrev_b64 v[6:7], 2, v[6:7]
	v_mov_b32_e32 v8, s25
	v_add_co_u32_e32 v6, vcc, s24, v6
	v_addc_co_u32_e32 v7, vcc, v8, v7, vcc
	s_waitcnt lgkmcnt(2)
	global_store_dword v[6:7], v4, off
	s_or_b64 exec, exec, s[2:3]
	v_cmp_gt_u32_e32 vcc, s33, v24
	s_and_saveexec_b64 s[2:3], vcc
	s_cbranch_execnz .LBB1826_192
.LBB1826_161:
	s_or_b64 exec, exec, s[2:3]
	v_cmp_gt_u32_e32 vcc, s33, v23
	s_and_saveexec_b64 s[2:3], vcc
	s_cbranch_execz .LBB1826_197
.LBB1826_162:
	v_cmp_ge_u32_e32 vcc, v23, v18
                                        ; implicit-def: $vgpr4_vgpr5
	s_and_saveexec_b64 s[4:5], vcc
	s_xor_b64 s[4:5], exec, s[4:5]
	s_cbranch_execz .LBB1826_164
; %bb.163:
	s_waitcnt lgkmcnt(2)
	v_xor_b32_e32 v4, 0xfffff5ff, v0
	v_ashrrev_i32_e32 v5, 31, v4
	v_add_co_u32_e32 v4, vcc, v19, v4
	v_addc_co_u32_e32 v5, vcc, v21, v5, vcc
                                        ; implicit-def: $vgpr23
.LBB1826_164:
	s_andn2_saveexec_b64 s[4:5], s[4:5]
	s_cbranch_execz .LBB1826_166
; %bb.165:
	s_waitcnt lgkmcnt(2)
	v_add_co_u32_e32 v4, vcc, v1, v23
	v_addc_co_u32_e32 v5, vcc, 0, v16, vcc
.LBB1826_166:
	s_or_b64 exec, exec, s[4:5]
	s_waitcnt lgkmcnt(2)
	v_lshlrev_b64 v[4:5], 2, v[4:5]
	v_mov_b32_e32 v6, s25
	v_add_co_u32_e32 v4, vcc, s24, v4
	v_addc_co_u32_e32 v5, vcc, v6, v5, vcc
	s_waitcnt lgkmcnt(1)
	global_store_dword v[4:5], v2, off
	s_or_b64 exec, exec, s[2:3]
	v_cmp_gt_u32_e32 vcc, s33, v22
	s_and_saveexec_b64 s[2:3], vcc
	s_cbranch_execz .LBB1826_203
	s_branch .LBB1826_198
.LBB1826_167:
	s_or_b64 exec, exec, s[2:3]
	v_cmp_gt_u32_e32 vcc, s33, v32
	s_and_saveexec_b64 s[2:3], vcc
	s_cbranch_execz .LBB1826_137
.LBB1826_168:
	v_cmp_ge_u32_e32 vcc, v32, v18
                                        ; implicit-def: $vgpr14_vgpr15
	s_and_saveexec_b64 s[4:5], vcc
	s_xor_b64 s[4:5], exec, s[4:5]
	s_cbranch_execz .LBB1826_170
; %bb.169:
	s_waitcnt lgkmcnt(6)
	v_xor_b32_e32 v12, 0xfffffeff, v0
	v_ashrrev_i32_e32 v15, 31, v12
	v_add_co_u32_e32 v14, vcc, v19, v12
	v_addc_co_u32_e32 v15, vcc, v21, v15, vcc
                                        ; implicit-def: $vgpr32
.LBB1826_170:
	s_andn2_saveexec_b64 s[4:5], s[4:5]
; %bb.171:
	v_add_co_u32_e32 v14, vcc, v1, v32
	v_addc_co_u32_e32 v15, vcc, 0, v16, vcc
; %bb.172:
	s_or_b64 exec, exec, s[4:5]
	v_lshlrev_b64 v[14:15], 2, v[14:15]
	s_waitcnt lgkmcnt(6)
	v_mov_b32_e32 v12, s25
	v_add_co_u32_e32 v14, vcc, s24, v14
	v_addc_co_u32_e32 v15, vcc, v12, v15, vcc
	global_store_dword v[14:15], v13, off
	s_or_b64 exec, exec, s[2:3]
	v_cmp_gt_u32_e32 vcc, s33, v31
	s_and_saveexec_b64 s[2:3], vcc
	s_cbranch_execnz .LBB1826_138
.LBB1826_173:
	s_or_b64 exec, exec, s[2:3]
	v_cmp_gt_u32_e32 vcc, s33, v30
	s_and_saveexec_b64 s[2:3], vcc
	s_cbranch_execz .LBB1826_143
.LBB1826_174:
	v_cmp_ge_u32_e32 vcc, v30, v18
                                        ; implicit-def: $vgpr12_vgpr13
	s_and_saveexec_b64 s[4:5], vcc
	s_xor_b64 s[4:5], exec, s[4:5]
	s_cbranch_execz .LBB1826_176
; %bb.175:
	s_waitcnt lgkmcnt(5)
	v_xor_b32_e32 v10, 0xfffffcff, v0
	v_ashrrev_i32_e32 v13, 31, v10
	v_add_co_u32_e32 v12, vcc, v19, v10
	v_addc_co_u32_e32 v13, vcc, v21, v13, vcc
                                        ; implicit-def: $vgpr30
.LBB1826_176:
	s_andn2_saveexec_b64 s[4:5], s[4:5]
	s_cbranch_execz .LBB1826_178
; %bb.177:
	s_waitcnt lgkmcnt(6)
	v_add_co_u32_e32 v12, vcc, v1, v30
	v_addc_co_u32_e32 v13, vcc, 0, v16, vcc
.LBB1826_178:
	s_or_b64 exec, exec, s[4:5]
	s_waitcnt lgkmcnt(6)
	v_lshlrev_b64 v[12:13], 2, v[12:13]
	s_waitcnt lgkmcnt(5)
	v_mov_b32_e32 v10, s25
	v_add_co_u32_e32 v12, vcc, s24, v12
	v_addc_co_u32_e32 v13, vcc, v10, v13, vcc
	global_store_dword v[12:13], v11, off
	s_or_b64 exec, exec, s[2:3]
	v_cmp_gt_u32_e32 vcc, s33, v29
	s_and_saveexec_b64 s[2:3], vcc
	s_cbranch_execnz .LBB1826_144
.LBB1826_179:
	s_or_b64 exec, exec, s[2:3]
	v_cmp_gt_u32_e32 vcc, s33, v28
	s_and_saveexec_b64 s[2:3], vcc
	s_cbranch_execz .LBB1826_149
.LBB1826_180:
	v_cmp_ge_u32_e32 vcc, v28, v18
                                        ; implicit-def: $vgpr10_vgpr11
	s_and_saveexec_b64 s[4:5], vcc
	s_xor_b64 s[4:5], exec, s[4:5]
	s_cbranch_execz .LBB1826_182
; %bb.181:
	s_waitcnt lgkmcnt(4)
	v_xor_b32_e32 v8, 0xfffffaff, v0
	v_ashrrev_i32_e32 v11, 31, v8
	v_add_co_u32_e32 v10, vcc, v19, v8
	v_addc_co_u32_e32 v11, vcc, v21, v11, vcc
                                        ; implicit-def: $vgpr28
.LBB1826_182:
	s_andn2_saveexec_b64 s[4:5], s[4:5]
	s_cbranch_execz .LBB1826_184
; %bb.183:
	s_waitcnt lgkmcnt(5)
	v_add_co_u32_e32 v10, vcc, v1, v28
	v_addc_co_u32_e32 v11, vcc, 0, v16, vcc
.LBB1826_184:
	s_or_b64 exec, exec, s[4:5]
	s_waitcnt lgkmcnt(5)
	v_lshlrev_b64 v[10:11], 2, v[10:11]
	s_waitcnt lgkmcnt(4)
	v_mov_b32_e32 v8, s25
	v_add_co_u32_e32 v10, vcc, s24, v10
	v_addc_co_u32_e32 v11, vcc, v8, v11, vcc
	global_store_dword v[10:11], v9, off
	s_or_b64 exec, exec, s[2:3]
	v_cmp_gt_u32_e32 vcc, s33, v27
	s_and_saveexec_b64 s[2:3], vcc
	s_cbranch_execnz .LBB1826_150
.LBB1826_185:
	s_or_b64 exec, exec, s[2:3]
	v_cmp_gt_u32_e32 vcc, s33, v26
	s_and_saveexec_b64 s[2:3], vcc
	s_cbranch_execz .LBB1826_155
.LBB1826_186:
	v_cmp_ge_u32_e32 vcc, v26, v18
                                        ; implicit-def: $vgpr8_vgpr9
	s_and_saveexec_b64 s[4:5], vcc
	s_xor_b64 s[4:5], exec, s[4:5]
	s_cbranch_execz .LBB1826_188
; %bb.187:
	s_waitcnt lgkmcnt(3)
	v_xor_b32_e32 v6, 0xfffff8ff, v0
	v_ashrrev_i32_e32 v9, 31, v6
	v_add_co_u32_e32 v8, vcc, v19, v6
	v_addc_co_u32_e32 v9, vcc, v21, v9, vcc
                                        ; implicit-def: $vgpr26
.LBB1826_188:
	s_andn2_saveexec_b64 s[4:5], s[4:5]
	s_cbranch_execz .LBB1826_190
; %bb.189:
	s_waitcnt lgkmcnt(4)
	v_add_co_u32_e32 v8, vcc, v1, v26
	v_addc_co_u32_e32 v9, vcc, 0, v16, vcc
.LBB1826_190:
	s_or_b64 exec, exec, s[4:5]
	s_waitcnt lgkmcnt(4)
	v_lshlrev_b64 v[8:9], 2, v[8:9]
	s_waitcnt lgkmcnt(3)
	v_mov_b32_e32 v6, s25
	v_add_co_u32_e32 v8, vcc, s24, v8
	v_addc_co_u32_e32 v9, vcc, v6, v9, vcc
	global_store_dword v[8:9], v7, off
	s_or_b64 exec, exec, s[2:3]
	v_cmp_gt_u32_e32 vcc, s33, v25
	s_and_saveexec_b64 s[2:3], vcc
	s_cbranch_execnz .LBB1826_156
.LBB1826_191:
	s_or_b64 exec, exec, s[2:3]
	v_cmp_gt_u32_e32 vcc, s33, v24
	s_and_saveexec_b64 s[2:3], vcc
	s_cbranch_execz .LBB1826_161
.LBB1826_192:
	v_cmp_ge_u32_e32 vcc, v24, v18
                                        ; implicit-def: $vgpr6_vgpr7
	s_and_saveexec_b64 s[4:5], vcc
	s_xor_b64 s[4:5], exec, s[4:5]
	s_cbranch_execz .LBB1826_194
; %bb.193:
	s_waitcnt lgkmcnt(2)
	v_xor_b32_e32 v4, 0xfffff6ff, v0
	v_ashrrev_i32_e32 v7, 31, v4
	v_add_co_u32_e32 v6, vcc, v19, v4
	v_addc_co_u32_e32 v7, vcc, v21, v7, vcc
                                        ; implicit-def: $vgpr24
.LBB1826_194:
	s_andn2_saveexec_b64 s[4:5], s[4:5]
	s_cbranch_execz .LBB1826_196
; %bb.195:
	s_waitcnt lgkmcnt(3)
	v_add_co_u32_e32 v6, vcc, v1, v24
	v_addc_co_u32_e32 v7, vcc, 0, v16, vcc
.LBB1826_196:
	s_or_b64 exec, exec, s[4:5]
	s_waitcnt lgkmcnt(3)
	v_lshlrev_b64 v[6:7], 2, v[6:7]
	s_waitcnt lgkmcnt(2)
	v_mov_b32_e32 v4, s25
	v_add_co_u32_e32 v6, vcc, s24, v6
	v_addc_co_u32_e32 v7, vcc, v4, v7, vcc
	global_store_dword v[6:7], v5, off
	s_or_b64 exec, exec, s[2:3]
	v_cmp_gt_u32_e32 vcc, s33, v23
	s_and_saveexec_b64 s[2:3], vcc
	s_cbranch_execnz .LBB1826_162
.LBB1826_197:
	s_or_b64 exec, exec, s[2:3]
	v_cmp_gt_u32_e32 vcc, s33, v22
	s_and_saveexec_b64 s[2:3], vcc
	s_cbranch_execz .LBB1826_203
.LBB1826_198:
	v_cmp_ge_u32_e32 vcc, v22, v18
                                        ; implicit-def: $vgpr4_vgpr5
	s_and_saveexec_b64 s[4:5], vcc
	s_xor_b64 s[4:5], exec, s[4:5]
	s_cbranch_execz .LBB1826_200
; %bb.199:
	s_waitcnt lgkmcnt(1)
	v_xor_b32_e32 v2, 0xfffff4ff, v0
	v_ashrrev_i32_e32 v5, 31, v2
	v_add_co_u32_e32 v4, vcc, v19, v2
	v_addc_co_u32_e32 v5, vcc, v21, v5, vcc
                                        ; implicit-def: $vgpr22
.LBB1826_200:
	s_andn2_saveexec_b64 s[4:5], s[4:5]
	s_cbranch_execz .LBB1826_202
; %bb.201:
	s_waitcnt lgkmcnt(2)
	v_add_co_u32_e32 v4, vcc, v1, v22
	v_addc_co_u32_e32 v5, vcc, 0, v16, vcc
.LBB1826_202:
	s_or_b64 exec, exec, s[4:5]
	s_waitcnt lgkmcnt(2)
	v_lshlrev_b64 v[4:5], 2, v[4:5]
	s_waitcnt lgkmcnt(1)
	v_mov_b32_e32 v2, s25
	v_add_co_u32_e32 v4, vcc, s24, v4
	v_addc_co_u32_e32 v5, vcc, v2, v5, vcc
	global_store_dword v[4:5], v3, off
.LBB1826_203:
	s_or_b64 exec, exec, s[2:3]
	v_cmp_gt_u32_e32 vcc, s33, v20
                                        ; implicit-def: $vgpr14_vgpr15
	s_and_saveexec_b64 s[2:3], vcc
	s_cbranch_execz .LBB1826_209
; %bb.204:
	v_cmp_ge_u32_e32 vcc, v20, v18
                                        ; implicit-def: $vgpr14_vgpr15
	s_and_saveexec_b64 s[4:5], vcc
	s_xor_b64 s[4:5], exec, s[4:5]
	s_cbranch_execz .LBB1826_206
; %bb.205:
	s_waitcnt lgkmcnt(1)
	v_xor_b32_e32 v2, 0xfffff3ff, v0
	v_ashrrev_i32_e32 v3, 31, v2
	v_add_co_u32_e32 v14, vcc, v19, v2
	v_addc_co_u32_e32 v15, vcc, v21, v3, vcc
                                        ; implicit-def: $vgpr20
.LBB1826_206:
	s_andn2_saveexec_b64 s[4:5], s[4:5]
; %bb.207:
	v_add_co_u32_e32 v14, vcc, v1, v20
	v_addc_co_u32_e32 v15, vcc, 0, v16, vcc
; %bb.208:
	s_or_b64 exec, exec, s[4:5]
	s_or_b64 s[0:1], s[0:1], exec
.LBB1826_209:
	s_or_b64 exec, exec, s[2:3]
.LBB1826_210:
	s_and_saveexec_b64 s[2:3], s[0:1]
	s_cbranch_execz .LBB1826_212
; %bb.211:
	s_waitcnt lgkmcnt(1)
	v_lshlrev_b64 v[2:3], 2, v[14:15]
	v_mov_b32_e32 v4, s25
	v_add_co_u32_e32 v2, vcc, s24, v2
	v_addc_co_u32_e32 v3, vcc, v4, v3, vcc
	s_waitcnt lgkmcnt(0)
	global_store_dword v[2:3], v17, off
.LBB1826_212:
	s_or_b64 exec, exec, s[2:3]
	v_cmp_eq_u32_e32 vcc, 0, v0
	s_and_b64 s[0:1], vcc, s[22:23]
	s_and_saveexec_b64 s[2:3], s[0:1]
	s_cbranch_execz .LBB1826_214
; %bb.213:
	v_add_co_u32_e32 v0, vcc, v1, v18
	s_waitcnt lgkmcnt(1)
	v_mov_b32_e32 v2, 0
	v_addc_co_u32_e32 v1, vcc, 0, v16, vcc
	global_store_dwordx2 v2, v[0:1], s[20:21]
.LBB1826_214:
	s_endpgm
	.section	.rodata,"a",@progbits
	.p2align	6, 0x0
	.amdhsa_kernel _ZN7rocprim17ROCPRIM_400000_NS6detail17trampoline_kernelINS0_13select_configILj256ELj13ELNS0_17block_load_methodE3ELS4_3ELS4_3ELNS0_20block_scan_algorithmE0ELj4294967295EEENS1_25partition_config_selectorILNS1_17partition_subalgoE3EjNS0_10empty_typeEbEEZZNS1_14partition_implILS8_3ELb0ES6_jNS0_17counting_iteratorIjlEEPS9_SE_NS0_5tupleIJPjSE_EEENSF_IJSE_SE_EEES9_SG_JZNS1_25segmented_radix_sort_implINS0_14default_configELb0EPK6__halfPSL_PKlPlN2at6native12_GLOBAL__N_18offset_tEEE10hipError_tPvRmT1_PNSt15iterator_traitsISZ_E10value_typeET2_T3_PNS10_IS15_E10value_typeET4_jRbjT5_S1B_jjP12ihipStream_tbEUljE_EEESW_SX_SY_S15_S19_S1B_T6_T7_T9_mT8_S1D_bDpT10_ENKUlT_T0_E_clISt17integral_constantIbLb1EES1P_IbLb0EEEEDaS1L_S1M_EUlS1L_E_NS1_11comp_targetILNS1_3genE4ELNS1_11target_archE910ELNS1_3gpuE8ELNS1_3repE0EEENS1_30default_config_static_selectorELNS0_4arch9wavefront6targetE1EEEvSZ_
		.amdhsa_group_segment_fixed_size 13324
		.amdhsa_private_segment_fixed_size 0
		.amdhsa_kernarg_size 144
		.amdhsa_user_sgpr_count 6
		.amdhsa_user_sgpr_private_segment_buffer 1
		.amdhsa_user_sgpr_dispatch_ptr 0
		.amdhsa_user_sgpr_queue_ptr 0
		.amdhsa_user_sgpr_kernarg_segment_ptr 1
		.amdhsa_user_sgpr_dispatch_id 0
		.amdhsa_user_sgpr_flat_scratch_init 0
		.amdhsa_user_sgpr_kernarg_preload_length 0
		.amdhsa_user_sgpr_kernarg_preload_offset 0
		.amdhsa_user_sgpr_private_segment_size 0
		.amdhsa_uses_dynamic_stack 0
		.amdhsa_system_sgpr_private_segment_wavefront_offset 0
		.amdhsa_system_sgpr_workgroup_id_x 1
		.amdhsa_system_sgpr_workgroup_id_y 0
		.amdhsa_system_sgpr_workgroup_id_z 0
		.amdhsa_system_sgpr_workgroup_info 0
		.amdhsa_system_vgpr_workitem_id 0
		.amdhsa_next_free_vgpr 61
		.amdhsa_next_free_sgpr 46
		.amdhsa_accum_offset 64
		.amdhsa_reserve_vcc 1
		.amdhsa_reserve_flat_scratch 0
		.amdhsa_float_round_mode_32 0
		.amdhsa_float_round_mode_16_64 0
		.amdhsa_float_denorm_mode_32 3
		.amdhsa_float_denorm_mode_16_64 3
		.amdhsa_dx10_clamp 1
		.amdhsa_ieee_mode 1
		.amdhsa_fp16_overflow 0
		.amdhsa_tg_split 0
		.amdhsa_exception_fp_ieee_invalid_op 0
		.amdhsa_exception_fp_denorm_src 0
		.amdhsa_exception_fp_ieee_div_zero 0
		.amdhsa_exception_fp_ieee_overflow 0
		.amdhsa_exception_fp_ieee_underflow 0
		.amdhsa_exception_fp_ieee_inexact 0
		.amdhsa_exception_int_div_zero 0
	.end_amdhsa_kernel
	.section	.text._ZN7rocprim17ROCPRIM_400000_NS6detail17trampoline_kernelINS0_13select_configILj256ELj13ELNS0_17block_load_methodE3ELS4_3ELS4_3ELNS0_20block_scan_algorithmE0ELj4294967295EEENS1_25partition_config_selectorILNS1_17partition_subalgoE3EjNS0_10empty_typeEbEEZZNS1_14partition_implILS8_3ELb0ES6_jNS0_17counting_iteratorIjlEEPS9_SE_NS0_5tupleIJPjSE_EEENSF_IJSE_SE_EEES9_SG_JZNS1_25segmented_radix_sort_implINS0_14default_configELb0EPK6__halfPSL_PKlPlN2at6native12_GLOBAL__N_18offset_tEEE10hipError_tPvRmT1_PNSt15iterator_traitsISZ_E10value_typeET2_T3_PNS10_IS15_E10value_typeET4_jRbjT5_S1B_jjP12ihipStream_tbEUljE_EEESW_SX_SY_S15_S19_S1B_T6_T7_T9_mT8_S1D_bDpT10_ENKUlT_T0_E_clISt17integral_constantIbLb1EES1P_IbLb0EEEEDaS1L_S1M_EUlS1L_E_NS1_11comp_targetILNS1_3genE4ELNS1_11target_archE910ELNS1_3gpuE8ELNS1_3repE0EEENS1_30default_config_static_selectorELNS0_4arch9wavefront6targetE1EEEvSZ_,"axG",@progbits,_ZN7rocprim17ROCPRIM_400000_NS6detail17trampoline_kernelINS0_13select_configILj256ELj13ELNS0_17block_load_methodE3ELS4_3ELS4_3ELNS0_20block_scan_algorithmE0ELj4294967295EEENS1_25partition_config_selectorILNS1_17partition_subalgoE3EjNS0_10empty_typeEbEEZZNS1_14partition_implILS8_3ELb0ES6_jNS0_17counting_iteratorIjlEEPS9_SE_NS0_5tupleIJPjSE_EEENSF_IJSE_SE_EEES9_SG_JZNS1_25segmented_radix_sort_implINS0_14default_configELb0EPK6__halfPSL_PKlPlN2at6native12_GLOBAL__N_18offset_tEEE10hipError_tPvRmT1_PNSt15iterator_traitsISZ_E10value_typeET2_T3_PNS10_IS15_E10value_typeET4_jRbjT5_S1B_jjP12ihipStream_tbEUljE_EEESW_SX_SY_S15_S19_S1B_T6_T7_T9_mT8_S1D_bDpT10_ENKUlT_T0_E_clISt17integral_constantIbLb1EES1P_IbLb0EEEEDaS1L_S1M_EUlS1L_E_NS1_11comp_targetILNS1_3genE4ELNS1_11target_archE910ELNS1_3gpuE8ELNS1_3repE0EEENS1_30default_config_static_selectorELNS0_4arch9wavefront6targetE1EEEvSZ_,comdat
.Lfunc_end1826:
	.size	_ZN7rocprim17ROCPRIM_400000_NS6detail17trampoline_kernelINS0_13select_configILj256ELj13ELNS0_17block_load_methodE3ELS4_3ELS4_3ELNS0_20block_scan_algorithmE0ELj4294967295EEENS1_25partition_config_selectorILNS1_17partition_subalgoE3EjNS0_10empty_typeEbEEZZNS1_14partition_implILS8_3ELb0ES6_jNS0_17counting_iteratorIjlEEPS9_SE_NS0_5tupleIJPjSE_EEENSF_IJSE_SE_EEES9_SG_JZNS1_25segmented_radix_sort_implINS0_14default_configELb0EPK6__halfPSL_PKlPlN2at6native12_GLOBAL__N_18offset_tEEE10hipError_tPvRmT1_PNSt15iterator_traitsISZ_E10value_typeET2_T3_PNS10_IS15_E10value_typeET4_jRbjT5_S1B_jjP12ihipStream_tbEUljE_EEESW_SX_SY_S15_S19_S1B_T6_T7_T9_mT8_S1D_bDpT10_ENKUlT_T0_E_clISt17integral_constantIbLb1EES1P_IbLb0EEEEDaS1L_S1M_EUlS1L_E_NS1_11comp_targetILNS1_3genE4ELNS1_11target_archE910ELNS1_3gpuE8ELNS1_3repE0EEENS1_30default_config_static_selectorELNS0_4arch9wavefront6targetE1EEEvSZ_, .Lfunc_end1826-_ZN7rocprim17ROCPRIM_400000_NS6detail17trampoline_kernelINS0_13select_configILj256ELj13ELNS0_17block_load_methodE3ELS4_3ELS4_3ELNS0_20block_scan_algorithmE0ELj4294967295EEENS1_25partition_config_selectorILNS1_17partition_subalgoE3EjNS0_10empty_typeEbEEZZNS1_14partition_implILS8_3ELb0ES6_jNS0_17counting_iteratorIjlEEPS9_SE_NS0_5tupleIJPjSE_EEENSF_IJSE_SE_EEES9_SG_JZNS1_25segmented_radix_sort_implINS0_14default_configELb0EPK6__halfPSL_PKlPlN2at6native12_GLOBAL__N_18offset_tEEE10hipError_tPvRmT1_PNSt15iterator_traitsISZ_E10value_typeET2_T3_PNS10_IS15_E10value_typeET4_jRbjT5_S1B_jjP12ihipStream_tbEUljE_EEESW_SX_SY_S15_S19_S1B_T6_T7_T9_mT8_S1D_bDpT10_ENKUlT_T0_E_clISt17integral_constantIbLb1EES1P_IbLb0EEEEDaS1L_S1M_EUlS1L_E_NS1_11comp_targetILNS1_3genE4ELNS1_11target_archE910ELNS1_3gpuE8ELNS1_3repE0EEENS1_30default_config_static_selectorELNS0_4arch9wavefront6targetE1EEEvSZ_
                                        ; -- End function
	.section	.AMDGPU.csdata,"",@progbits
; Kernel info:
; codeLenInByte = 7756
; NumSgprs: 50
; NumVgprs: 61
; NumAgprs: 0
; TotalNumVgprs: 61
; ScratchSize: 0
; MemoryBound: 0
; FloatMode: 240
; IeeeMode: 1
; LDSByteSize: 13324 bytes/workgroup (compile time only)
; SGPRBlocks: 6
; VGPRBlocks: 7
; NumSGPRsForWavesPerEU: 50
; NumVGPRsForWavesPerEU: 61
; AccumOffset: 64
; Occupancy: 4
; WaveLimiterHint : 0
; COMPUTE_PGM_RSRC2:SCRATCH_EN: 0
; COMPUTE_PGM_RSRC2:USER_SGPR: 6
; COMPUTE_PGM_RSRC2:TRAP_HANDLER: 0
; COMPUTE_PGM_RSRC2:TGID_X_EN: 1
; COMPUTE_PGM_RSRC2:TGID_Y_EN: 0
; COMPUTE_PGM_RSRC2:TGID_Z_EN: 0
; COMPUTE_PGM_RSRC2:TIDIG_COMP_CNT: 0
; COMPUTE_PGM_RSRC3_GFX90A:ACCUM_OFFSET: 15
; COMPUTE_PGM_RSRC3_GFX90A:TG_SPLIT: 0
	.section	.text._ZN7rocprim17ROCPRIM_400000_NS6detail17trampoline_kernelINS0_13select_configILj256ELj13ELNS0_17block_load_methodE3ELS4_3ELS4_3ELNS0_20block_scan_algorithmE0ELj4294967295EEENS1_25partition_config_selectorILNS1_17partition_subalgoE3EjNS0_10empty_typeEbEEZZNS1_14partition_implILS8_3ELb0ES6_jNS0_17counting_iteratorIjlEEPS9_SE_NS0_5tupleIJPjSE_EEENSF_IJSE_SE_EEES9_SG_JZNS1_25segmented_radix_sort_implINS0_14default_configELb0EPK6__halfPSL_PKlPlN2at6native12_GLOBAL__N_18offset_tEEE10hipError_tPvRmT1_PNSt15iterator_traitsISZ_E10value_typeET2_T3_PNS10_IS15_E10value_typeET4_jRbjT5_S1B_jjP12ihipStream_tbEUljE_EEESW_SX_SY_S15_S19_S1B_T6_T7_T9_mT8_S1D_bDpT10_ENKUlT_T0_E_clISt17integral_constantIbLb1EES1P_IbLb0EEEEDaS1L_S1M_EUlS1L_E_NS1_11comp_targetILNS1_3genE3ELNS1_11target_archE908ELNS1_3gpuE7ELNS1_3repE0EEENS1_30default_config_static_selectorELNS0_4arch9wavefront6targetE1EEEvSZ_,"axG",@progbits,_ZN7rocprim17ROCPRIM_400000_NS6detail17trampoline_kernelINS0_13select_configILj256ELj13ELNS0_17block_load_methodE3ELS4_3ELS4_3ELNS0_20block_scan_algorithmE0ELj4294967295EEENS1_25partition_config_selectorILNS1_17partition_subalgoE3EjNS0_10empty_typeEbEEZZNS1_14partition_implILS8_3ELb0ES6_jNS0_17counting_iteratorIjlEEPS9_SE_NS0_5tupleIJPjSE_EEENSF_IJSE_SE_EEES9_SG_JZNS1_25segmented_radix_sort_implINS0_14default_configELb0EPK6__halfPSL_PKlPlN2at6native12_GLOBAL__N_18offset_tEEE10hipError_tPvRmT1_PNSt15iterator_traitsISZ_E10value_typeET2_T3_PNS10_IS15_E10value_typeET4_jRbjT5_S1B_jjP12ihipStream_tbEUljE_EEESW_SX_SY_S15_S19_S1B_T6_T7_T9_mT8_S1D_bDpT10_ENKUlT_T0_E_clISt17integral_constantIbLb1EES1P_IbLb0EEEEDaS1L_S1M_EUlS1L_E_NS1_11comp_targetILNS1_3genE3ELNS1_11target_archE908ELNS1_3gpuE7ELNS1_3repE0EEENS1_30default_config_static_selectorELNS0_4arch9wavefront6targetE1EEEvSZ_,comdat
	.globl	_ZN7rocprim17ROCPRIM_400000_NS6detail17trampoline_kernelINS0_13select_configILj256ELj13ELNS0_17block_load_methodE3ELS4_3ELS4_3ELNS0_20block_scan_algorithmE0ELj4294967295EEENS1_25partition_config_selectorILNS1_17partition_subalgoE3EjNS0_10empty_typeEbEEZZNS1_14partition_implILS8_3ELb0ES6_jNS0_17counting_iteratorIjlEEPS9_SE_NS0_5tupleIJPjSE_EEENSF_IJSE_SE_EEES9_SG_JZNS1_25segmented_radix_sort_implINS0_14default_configELb0EPK6__halfPSL_PKlPlN2at6native12_GLOBAL__N_18offset_tEEE10hipError_tPvRmT1_PNSt15iterator_traitsISZ_E10value_typeET2_T3_PNS10_IS15_E10value_typeET4_jRbjT5_S1B_jjP12ihipStream_tbEUljE_EEESW_SX_SY_S15_S19_S1B_T6_T7_T9_mT8_S1D_bDpT10_ENKUlT_T0_E_clISt17integral_constantIbLb1EES1P_IbLb0EEEEDaS1L_S1M_EUlS1L_E_NS1_11comp_targetILNS1_3genE3ELNS1_11target_archE908ELNS1_3gpuE7ELNS1_3repE0EEENS1_30default_config_static_selectorELNS0_4arch9wavefront6targetE1EEEvSZ_ ; -- Begin function _ZN7rocprim17ROCPRIM_400000_NS6detail17trampoline_kernelINS0_13select_configILj256ELj13ELNS0_17block_load_methodE3ELS4_3ELS4_3ELNS0_20block_scan_algorithmE0ELj4294967295EEENS1_25partition_config_selectorILNS1_17partition_subalgoE3EjNS0_10empty_typeEbEEZZNS1_14partition_implILS8_3ELb0ES6_jNS0_17counting_iteratorIjlEEPS9_SE_NS0_5tupleIJPjSE_EEENSF_IJSE_SE_EEES9_SG_JZNS1_25segmented_radix_sort_implINS0_14default_configELb0EPK6__halfPSL_PKlPlN2at6native12_GLOBAL__N_18offset_tEEE10hipError_tPvRmT1_PNSt15iterator_traitsISZ_E10value_typeET2_T3_PNS10_IS15_E10value_typeET4_jRbjT5_S1B_jjP12ihipStream_tbEUljE_EEESW_SX_SY_S15_S19_S1B_T6_T7_T9_mT8_S1D_bDpT10_ENKUlT_T0_E_clISt17integral_constantIbLb1EES1P_IbLb0EEEEDaS1L_S1M_EUlS1L_E_NS1_11comp_targetILNS1_3genE3ELNS1_11target_archE908ELNS1_3gpuE7ELNS1_3repE0EEENS1_30default_config_static_selectorELNS0_4arch9wavefront6targetE1EEEvSZ_
	.p2align	8
	.type	_ZN7rocprim17ROCPRIM_400000_NS6detail17trampoline_kernelINS0_13select_configILj256ELj13ELNS0_17block_load_methodE3ELS4_3ELS4_3ELNS0_20block_scan_algorithmE0ELj4294967295EEENS1_25partition_config_selectorILNS1_17partition_subalgoE3EjNS0_10empty_typeEbEEZZNS1_14partition_implILS8_3ELb0ES6_jNS0_17counting_iteratorIjlEEPS9_SE_NS0_5tupleIJPjSE_EEENSF_IJSE_SE_EEES9_SG_JZNS1_25segmented_radix_sort_implINS0_14default_configELb0EPK6__halfPSL_PKlPlN2at6native12_GLOBAL__N_18offset_tEEE10hipError_tPvRmT1_PNSt15iterator_traitsISZ_E10value_typeET2_T3_PNS10_IS15_E10value_typeET4_jRbjT5_S1B_jjP12ihipStream_tbEUljE_EEESW_SX_SY_S15_S19_S1B_T6_T7_T9_mT8_S1D_bDpT10_ENKUlT_T0_E_clISt17integral_constantIbLb1EES1P_IbLb0EEEEDaS1L_S1M_EUlS1L_E_NS1_11comp_targetILNS1_3genE3ELNS1_11target_archE908ELNS1_3gpuE7ELNS1_3repE0EEENS1_30default_config_static_selectorELNS0_4arch9wavefront6targetE1EEEvSZ_,@function
_ZN7rocprim17ROCPRIM_400000_NS6detail17trampoline_kernelINS0_13select_configILj256ELj13ELNS0_17block_load_methodE3ELS4_3ELS4_3ELNS0_20block_scan_algorithmE0ELj4294967295EEENS1_25partition_config_selectorILNS1_17partition_subalgoE3EjNS0_10empty_typeEbEEZZNS1_14partition_implILS8_3ELb0ES6_jNS0_17counting_iteratorIjlEEPS9_SE_NS0_5tupleIJPjSE_EEENSF_IJSE_SE_EEES9_SG_JZNS1_25segmented_radix_sort_implINS0_14default_configELb0EPK6__halfPSL_PKlPlN2at6native12_GLOBAL__N_18offset_tEEE10hipError_tPvRmT1_PNSt15iterator_traitsISZ_E10value_typeET2_T3_PNS10_IS15_E10value_typeET4_jRbjT5_S1B_jjP12ihipStream_tbEUljE_EEESW_SX_SY_S15_S19_S1B_T6_T7_T9_mT8_S1D_bDpT10_ENKUlT_T0_E_clISt17integral_constantIbLb1EES1P_IbLb0EEEEDaS1L_S1M_EUlS1L_E_NS1_11comp_targetILNS1_3genE3ELNS1_11target_archE908ELNS1_3gpuE7ELNS1_3repE0EEENS1_30default_config_static_selectorELNS0_4arch9wavefront6targetE1EEEvSZ_: ; @_ZN7rocprim17ROCPRIM_400000_NS6detail17trampoline_kernelINS0_13select_configILj256ELj13ELNS0_17block_load_methodE3ELS4_3ELS4_3ELNS0_20block_scan_algorithmE0ELj4294967295EEENS1_25partition_config_selectorILNS1_17partition_subalgoE3EjNS0_10empty_typeEbEEZZNS1_14partition_implILS8_3ELb0ES6_jNS0_17counting_iteratorIjlEEPS9_SE_NS0_5tupleIJPjSE_EEENSF_IJSE_SE_EEES9_SG_JZNS1_25segmented_radix_sort_implINS0_14default_configELb0EPK6__halfPSL_PKlPlN2at6native12_GLOBAL__N_18offset_tEEE10hipError_tPvRmT1_PNSt15iterator_traitsISZ_E10value_typeET2_T3_PNS10_IS15_E10value_typeET4_jRbjT5_S1B_jjP12ihipStream_tbEUljE_EEESW_SX_SY_S15_S19_S1B_T6_T7_T9_mT8_S1D_bDpT10_ENKUlT_T0_E_clISt17integral_constantIbLb1EES1P_IbLb0EEEEDaS1L_S1M_EUlS1L_E_NS1_11comp_targetILNS1_3genE3ELNS1_11target_archE908ELNS1_3gpuE7ELNS1_3repE0EEENS1_30default_config_static_selectorELNS0_4arch9wavefront6targetE1EEEvSZ_
; %bb.0:
	.section	.rodata,"a",@progbits
	.p2align	6, 0x0
	.amdhsa_kernel _ZN7rocprim17ROCPRIM_400000_NS6detail17trampoline_kernelINS0_13select_configILj256ELj13ELNS0_17block_load_methodE3ELS4_3ELS4_3ELNS0_20block_scan_algorithmE0ELj4294967295EEENS1_25partition_config_selectorILNS1_17partition_subalgoE3EjNS0_10empty_typeEbEEZZNS1_14partition_implILS8_3ELb0ES6_jNS0_17counting_iteratorIjlEEPS9_SE_NS0_5tupleIJPjSE_EEENSF_IJSE_SE_EEES9_SG_JZNS1_25segmented_radix_sort_implINS0_14default_configELb0EPK6__halfPSL_PKlPlN2at6native12_GLOBAL__N_18offset_tEEE10hipError_tPvRmT1_PNSt15iterator_traitsISZ_E10value_typeET2_T3_PNS10_IS15_E10value_typeET4_jRbjT5_S1B_jjP12ihipStream_tbEUljE_EEESW_SX_SY_S15_S19_S1B_T6_T7_T9_mT8_S1D_bDpT10_ENKUlT_T0_E_clISt17integral_constantIbLb1EES1P_IbLb0EEEEDaS1L_S1M_EUlS1L_E_NS1_11comp_targetILNS1_3genE3ELNS1_11target_archE908ELNS1_3gpuE7ELNS1_3repE0EEENS1_30default_config_static_selectorELNS0_4arch9wavefront6targetE1EEEvSZ_
		.amdhsa_group_segment_fixed_size 0
		.amdhsa_private_segment_fixed_size 0
		.amdhsa_kernarg_size 144
		.amdhsa_user_sgpr_count 6
		.amdhsa_user_sgpr_private_segment_buffer 1
		.amdhsa_user_sgpr_dispatch_ptr 0
		.amdhsa_user_sgpr_queue_ptr 0
		.amdhsa_user_sgpr_kernarg_segment_ptr 1
		.amdhsa_user_sgpr_dispatch_id 0
		.amdhsa_user_sgpr_flat_scratch_init 0
		.amdhsa_user_sgpr_kernarg_preload_length 0
		.amdhsa_user_sgpr_kernarg_preload_offset 0
		.amdhsa_user_sgpr_private_segment_size 0
		.amdhsa_uses_dynamic_stack 0
		.amdhsa_system_sgpr_private_segment_wavefront_offset 0
		.amdhsa_system_sgpr_workgroup_id_x 1
		.amdhsa_system_sgpr_workgroup_id_y 0
		.amdhsa_system_sgpr_workgroup_id_z 0
		.amdhsa_system_sgpr_workgroup_info 0
		.amdhsa_system_vgpr_workitem_id 0
		.amdhsa_next_free_vgpr 1
		.amdhsa_next_free_sgpr 0
		.amdhsa_accum_offset 4
		.amdhsa_reserve_vcc 0
		.amdhsa_reserve_flat_scratch 0
		.amdhsa_float_round_mode_32 0
		.amdhsa_float_round_mode_16_64 0
		.amdhsa_float_denorm_mode_32 3
		.amdhsa_float_denorm_mode_16_64 3
		.amdhsa_dx10_clamp 1
		.amdhsa_ieee_mode 1
		.amdhsa_fp16_overflow 0
		.amdhsa_tg_split 0
		.amdhsa_exception_fp_ieee_invalid_op 0
		.amdhsa_exception_fp_denorm_src 0
		.amdhsa_exception_fp_ieee_div_zero 0
		.amdhsa_exception_fp_ieee_overflow 0
		.amdhsa_exception_fp_ieee_underflow 0
		.amdhsa_exception_fp_ieee_inexact 0
		.amdhsa_exception_int_div_zero 0
	.end_amdhsa_kernel
	.section	.text._ZN7rocprim17ROCPRIM_400000_NS6detail17trampoline_kernelINS0_13select_configILj256ELj13ELNS0_17block_load_methodE3ELS4_3ELS4_3ELNS0_20block_scan_algorithmE0ELj4294967295EEENS1_25partition_config_selectorILNS1_17partition_subalgoE3EjNS0_10empty_typeEbEEZZNS1_14partition_implILS8_3ELb0ES6_jNS0_17counting_iteratorIjlEEPS9_SE_NS0_5tupleIJPjSE_EEENSF_IJSE_SE_EEES9_SG_JZNS1_25segmented_radix_sort_implINS0_14default_configELb0EPK6__halfPSL_PKlPlN2at6native12_GLOBAL__N_18offset_tEEE10hipError_tPvRmT1_PNSt15iterator_traitsISZ_E10value_typeET2_T3_PNS10_IS15_E10value_typeET4_jRbjT5_S1B_jjP12ihipStream_tbEUljE_EEESW_SX_SY_S15_S19_S1B_T6_T7_T9_mT8_S1D_bDpT10_ENKUlT_T0_E_clISt17integral_constantIbLb1EES1P_IbLb0EEEEDaS1L_S1M_EUlS1L_E_NS1_11comp_targetILNS1_3genE3ELNS1_11target_archE908ELNS1_3gpuE7ELNS1_3repE0EEENS1_30default_config_static_selectorELNS0_4arch9wavefront6targetE1EEEvSZ_,"axG",@progbits,_ZN7rocprim17ROCPRIM_400000_NS6detail17trampoline_kernelINS0_13select_configILj256ELj13ELNS0_17block_load_methodE3ELS4_3ELS4_3ELNS0_20block_scan_algorithmE0ELj4294967295EEENS1_25partition_config_selectorILNS1_17partition_subalgoE3EjNS0_10empty_typeEbEEZZNS1_14partition_implILS8_3ELb0ES6_jNS0_17counting_iteratorIjlEEPS9_SE_NS0_5tupleIJPjSE_EEENSF_IJSE_SE_EEES9_SG_JZNS1_25segmented_radix_sort_implINS0_14default_configELb0EPK6__halfPSL_PKlPlN2at6native12_GLOBAL__N_18offset_tEEE10hipError_tPvRmT1_PNSt15iterator_traitsISZ_E10value_typeET2_T3_PNS10_IS15_E10value_typeET4_jRbjT5_S1B_jjP12ihipStream_tbEUljE_EEESW_SX_SY_S15_S19_S1B_T6_T7_T9_mT8_S1D_bDpT10_ENKUlT_T0_E_clISt17integral_constantIbLb1EES1P_IbLb0EEEEDaS1L_S1M_EUlS1L_E_NS1_11comp_targetILNS1_3genE3ELNS1_11target_archE908ELNS1_3gpuE7ELNS1_3repE0EEENS1_30default_config_static_selectorELNS0_4arch9wavefront6targetE1EEEvSZ_,comdat
.Lfunc_end1827:
	.size	_ZN7rocprim17ROCPRIM_400000_NS6detail17trampoline_kernelINS0_13select_configILj256ELj13ELNS0_17block_load_methodE3ELS4_3ELS4_3ELNS0_20block_scan_algorithmE0ELj4294967295EEENS1_25partition_config_selectorILNS1_17partition_subalgoE3EjNS0_10empty_typeEbEEZZNS1_14partition_implILS8_3ELb0ES6_jNS0_17counting_iteratorIjlEEPS9_SE_NS0_5tupleIJPjSE_EEENSF_IJSE_SE_EEES9_SG_JZNS1_25segmented_radix_sort_implINS0_14default_configELb0EPK6__halfPSL_PKlPlN2at6native12_GLOBAL__N_18offset_tEEE10hipError_tPvRmT1_PNSt15iterator_traitsISZ_E10value_typeET2_T3_PNS10_IS15_E10value_typeET4_jRbjT5_S1B_jjP12ihipStream_tbEUljE_EEESW_SX_SY_S15_S19_S1B_T6_T7_T9_mT8_S1D_bDpT10_ENKUlT_T0_E_clISt17integral_constantIbLb1EES1P_IbLb0EEEEDaS1L_S1M_EUlS1L_E_NS1_11comp_targetILNS1_3genE3ELNS1_11target_archE908ELNS1_3gpuE7ELNS1_3repE0EEENS1_30default_config_static_selectorELNS0_4arch9wavefront6targetE1EEEvSZ_, .Lfunc_end1827-_ZN7rocprim17ROCPRIM_400000_NS6detail17trampoline_kernelINS0_13select_configILj256ELj13ELNS0_17block_load_methodE3ELS4_3ELS4_3ELNS0_20block_scan_algorithmE0ELj4294967295EEENS1_25partition_config_selectorILNS1_17partition_subalgoE3EjNS0_10empty_typeEbEEZZNS1_14partition_implILS8_3ELb0ES6_jNS0_17counting_iteratorIjlEEPS9_SE_NS0_5tupleIJPjSE_EEENSF_IJSE_SE_EEES9_SG_JZNS1_25segmented_radix_sort_implINS0_14default_configELb0EPK6__halfPSL_PKlPlN2at6native12_GLOBAL__N_18offset_tEEE10hipError_tPvRmT1_PNSt15iterator_traitsISZ_E10value_typeET2_T3_PNS10_IS15_E10value_typeET4_jRbjT5_S1B_jjP12ihipStream_tbEUljE_EEESW_SX_SY_S15_S19_S1B_T6_T7_T9_mT8_S1D_bDpT10_ENKUlT_T0_E_clISt17integral_constantIbLb1EES1P_IbLb0EEEEDaS1L_S1M_EUlS1L_E_NS1_11comp_targetILNS1_3genE3ELNS1_11target_archE908ELNS1_3gpuE7ELNS1_3repE0EEENS1_30default_config_static_selectorELNS0_4arch9wavefront6targetE1EEEvSZ_
                                        ; -- End function
	.section	.AMDGPU.csdata,"",@progbits
; Kernel info:
; codeLenInByte = 0
; NumSgprs: 4
; NumVgprs: 0
; NumAgprs: 0
; TotalNumVgprs: 0
; ScratchSize: 0
; MemoryBound: 0
; FloatMode: 240
; IeeeMode: 1
; LDSByteSize: 0 bytes/workgroup (compile time only)
; SGPRBlocks: 0
; VGPRBlocks: 0
; NumSGPRsForWavesPerEU: 4
; NumVGPRsForWavesPerEU: 1
; AccumOffset: 4
; Occupancy: 8
; WaveLimiterHint : 0
; COMPUTE_PGM_RSRC2:SCRATCH_EN: 0
; COMPUTE_PGM_RSRC2:USER_SGPR: 6
; COMPUTE_PGM_RSRC2:TRAP_HANDLER: 0
; COMPUTE_PGM_RSRC2:TGID_X_EN: 1
; COMPUTE_PGM_RSRC2:TGID_Y_EN: 0
; COMPUTE_PGM_RSRC2:TGID_Z_EN: 0
; COMPUTE_PGM_RSRC2:TIDIG_COMP_CNT: 0
; COMPUTE_PGM_RSRC3_GFX90A:ACCUM_OFFSET: 0
; COMPUTE_PGM_RSRC3_GFX90A:TG_SPLIT: 0
	.section	.text._ZN7rocprim17ROCPRIM_400000_NS6detail17trampoline_kernelINS0_13select_configILj256ELj13ELNS0_17block_load_methodE3ELS4_3ELS4_3ELNS0_20block_scan_algorithmE0ELj4294967295EEENS1_25partition_config_selectorILNS1_17partition_subalgoE3EjNS0_10empty_typeEbEEZZNS1_14partition_implILS8_3ELb0ES6_jNS0_17counting_iteratorIjlEEPS9_SE_NS0_5tupleIJPjSE_EEENSF_IJSE_SE_EEES9_SG_JZNS1_25segmented_radix_sort_implINS0_14default_configELb0EPK6__halfPSL_PKlPlN2at6native12_GLOBAL__N_18offset_tEEE10hipError_tPvRmT1_PNSt15iterator_traitsISZ_E10value_typeET2_T3_PNS10_IS15_E10value_typeET4_jRbjT5_S1B_jjP12ihipStream_tbEUljE_EEESW_SX_SY_S15_S19_S1B_T6_T7_T9_mT8_S1D_bDpT10_ENKUlT_T0_E_clISt17integral_constantIbLb1EES1P_IbLb0EEEEDaS1L_S1M_EUlS1L_E_NS1_11comp_targetILNS1_3genE2ELNS1_11target_archE906ELNS1_3gpuE6ELNS1_3repE0EEENS1_30default_config_static_selectorELNS0_4arch9wavefront6targetE1EEEvSZ_,"axG",@progbits,_ZN7rocprim17ROCPRIM_400000_NS6detail17trampoline_kernelINS0_13select_configILj256ELj13ELNS0_17block_load_methodE3ELS4_3ELS4_3ELNS0_20block_scan_algorithmE0ELj4294967295EEENS1_25partition_config_selectorILNS1_17partition_subalgoE3EjNS0_10empty_typeEbEEZZNS1_14partition_implILS8_3ELb0ES6_jNS0_17counting_iteratorIjlEEPS9_SE_NS0_5tupleIJPjSE_EEENSF_IJSE_SE_EEES9_SG_JZNS1_25segmented_radix_sort_implINS0_14default_configELb0EPK6__halfPSL_PKlPlN2at6native12_GLOBAL__N_18offset_tEEE10hipError_tPvRmT1_PNSt15iterator_traitsISZ_E10value_typeET2_T3_PNS10_IS15_E10value_typeET4_jRbjT5_S1B_jjP12ihipStream_tbEUljE_EEESW_SX_SY_S15_S19_S1B_T6_T7_T9_mT8_S1D_bDpT10_ENKUlT_T0_E_clISt17integral_constantIbLb1EES1P_IbLb0EEEEDaS1L_S1M_EUlS1L_E_NS1_11comp_targetILNS1_3genE2ELNS1_11target_archE906ELNS1_3gpuE6ELNS1_3repE0EEENS1_30default_config_static_selectorELNS0_4arch9wavefront6targetE1EEEvSZ_,comdat
	.globl	_ZN7rocprim17ROCPRIM_400000_NS6detail17trampoline_kernelINS0_13select_configILj256ELj13ELNS0_17block_load_methodE3ELS4_3ELS4_3ELNS0_20block_scan_algorithmE0ELj4294967295EEENS1_25partition_config_selectorILNS1_17partition_subalgoE3EjNS0_10empty_typeEbEEZZNS1_14partition_implILS8_3ELb0ES6_jNS0_17counting_iteratorIjlEEPS9_SE_NS0_5tupleIJPjSE_EEENSF_IJSE_SE_EEES9_SG_JZNS1_25segmented_radix_sort_implINS0_14default_configELb0EPK6__halfPSL_PKlPlN2at6native12_GLOBAL__N_18offset_tEEE10hipError_tPvRmT1_PNSt15iterator_traitsISZ_E10value_typeET2_T3_PNS10_IS15_E10value_typeET4_jRbjT5_S1B_jjP12ihipStream_tbEUljE_EEESW_SX_SY_S15_S19_S1B_T6_T7_T9_mT8_S1D_bDpT10_ENKUlT_T0_E_clISt17integral_constantIbLb1EES1P_IbLb0EEEEDaS1L_S1M_EUlS1L_E_NS1_11comp_targetILNS1_3genE2ELNS1_11target_archE906ELNS1_3gpuE6ELNS1_3repE0EEENS1_30default_config_static_selectorELNS0_4arch9wavefront6targetE1EEEvSZ_ ; -- Begin function _ZN7rocprim17ROCPRIM_400000_NS6detail17trampoline_kernelINS0_13select_configILj256ELj13ELNS0_17block_load_methodE3ELS4_3ELS4_3ELNS0_20block_scan_algorithmE0ELj4294967295EEENS1_25partition_config_selectorILNS1_17partition_subalgoE3EjNS0_10empty_typeEbEEZZNS1_14partition_implILS8_3ELb0ES6_jNS0_17counting_iteratorIjlEEPS9_SE_NS0_5tupleIJPjSE_EEENSF_IJSE_SE_EEES9_SG_JZNS1_25segmented_radix_sort_implINS0_14default_configELb0EPK6__halfPSL_PKlPlN2at6native12_GLOBAL__N_18offset_tEEE10hipError_tPvRmT1_PNSt15iterator_traitsISZ_E10value_typeET2_T3_PNS10_IS15_E10value_typeET4_jRbjT5_S1B_jjP12ihipStream_tbEUljE_EEESW_SX_SY_S15_S19_S1B_T6_T7_T9_mT8_S1D_bDpT10_ENKUlT_T0_E_clISt17integral_constantIbLb1EES1P_IbLb0EEEEDaS1L_S1M_EUlS1L_E_NS1_11comp_targetILNS1_3genE2ELNS1_11target_archE906ELNS1_3gpuE6ELNS1_3repE0EEENS1_30default_config_static_selectorELNS0_4arch9wavefront6targetE1EEEvSZ_
	.p2align	8
	.type	_ZN7rocprim17ROCPRIM_400000_NS6detail17trampoline_kernelINS0_13select_configILj256ELj13ELNS0_17block_load_methodE3ELS4_3ELS4_3ELNS0_20block_scan_algorithmE0ELj4294967295EEENS1_25partition_config_selectorILNS1_17partition_subalgoE3EjNS0_10empty_typeEbEEZZNS1_14partition_implILS8_3ELb0ES6_jNS0_17counting_iteratorIjlEEPS9_SE_NS0_5tupleIJPjSE_EEENSF_IJSE_SE_EEES9_SG_JZNS1_25segmented_radix_sort_implINS0_14default_configELb0EPK6__halfPSL_PKlPlN2at6native12_GLOBAL__N_18offset_tEEE10hipError_tPvRmT1_PNSt15iterator_traitsISZ_E10value_typeET2_T3_PNS10_IS15_E10value_typeET4_jRbjT5_S1B_jjP12ihipStream_tbEUljE_EEESW_SX_SY_S15_S19_S1B_T6_T7_T9_mT8_S1D_bDpT10_ENKUlT_T0_E_clISt17integral_constantIbLb1EES1P_IbLb0EEEEDaS1L_S1M_EUlS1L_E_NS1_11comp_targetILNS1_3genE2ELNS1_11target_archE906ELNS1_3gpuE6ELNS1_3repE0EEENS1_30default_config_static_selectorELNS0_4arch9wavefront6targetE1EEEvSZ_,@function
_ZN7rocprim17ROCPRIM_400000_NS6detail17trampoline_kernelINS0_13select_configILj256ELj13ELNS0_17block_load_methodE3ELS4_3ELS4_3ELNS0_20block_scan_algorithmE0ELj4294967295EEENS1_25partition_config_selectorILNS1_17partition_subalgoE3EjNS0_10empty_typeEbEEZZNS1_14partition_implILS8_3ELb0ES6_jNS0_17counting_iteratorIjlEEPS9_SE_NS0_5tupleIJPjSE_EEENSF_IJSE_SE_EEES9_SG_JZNS1_25segmented_radix_sort_implINS0_14default_configELb0EPK6__halfPSL_PKlPlN2at6native12_GLOBAL__N_18offset_tEEE10hipError_tPvRmT1_PNSt15iterator_traitsISZ_E10value_typeET2_T3_PNS10_IS15_E10value_typeET4_jRbjT5_S1B_jjP12ihipStream_tbEUljE_EEESW_SX_SY_S15_S19_S1B_T6_T7_T9_mT8_S1D_bDpT10_ENKUlT_T0_E_clISt17integral_constantIbLb1EES1P_IbLb0EEEEDaS1L_S1M_EUlS1L_E_NS1_11comp_targetILNS1_3genE2ELNS1_11target_archE906ELNS1_3gpuE6ELNS1_3repE0EEENS1_30default_config_static_selectorELNS0_4arch9wavefront6targetE1EEEvSZ_: ; @_ZN7rocprim17ROCPRIM_400000_NS6detail17trampoline_kernelINS0_13select_configILj256ELj13ELNS0_17block_load_methodE3ELS4_3ELS4_3ELNS0_20block_scan_algorithmE0ELj4294967295EEENS1_25partition_config_selectorILNS1_17partition_subalgoE3EjNS0_10empty_typeEbEEZZNS1_14partition_implILS8_3ELb0ES6_jNS0_17counting_iteratorIjlEEPS9_SE_NS0_5tupleIJPjSE_EEENSF_IJSE_SE_EEES9_SG_JZNS1_25segmented_radix_sort_implINS0_14default_configELb0EPK6__halfPSL_PKlPlN2at6native12_GLOBAL__N_18offset_tEEE10hipError_tPvRmT1_PNSt15iterator_traitsISZ_E10value_typeET2_T3_PNS10_IS15_E10value_typeET4_jRbjT5_S1B_jjP12ihipStream_tbEUljE_EEESW_SX_SY_S15_S19_S1B_T6_T7_T9_mT8_S1D_bDpT10_ENKUlT_T0_E_clISt17integral_constantIbLb1EES1P_IbLb0EEEEDaS1L_S1M_EUlS1L_E_NS1_11comp_targetILNS1_3genE2ELNS1_11target_archE906ELNS1_3gpuE6ELNS1_3repE0EEENS1_30default_config_static_selectorELNS0_4arch9wavefront6targetE1EEEvSZ_
; %bb.0:
	.section	.rodata,"a",@progbits
	.p2align	6, 0x0
	.amdhsa_kernel _ZN7rocprim17ROCPRIM_400000_NS6detail17trampoline_kernelINS0_13select_configILj256ELj13ELNS0_17block_load_methodE3ELS4_3ELS4_3ELNS0_20block_scan_algorithmE0ELj4294967295EEENS1_25partition_config_selectorILNS1_17partition_subalgoE3EjNS0_10empty_typeEbEEZZNS1_14partition_implILS8_3ELb0ES6_jNS0_17counting_iteratorIjlEEPS9_SE_NS0_5tupleIJPjSE_EEENSF_IJSE_SE_EEES9_SG_JZNS1_25segmented_radix_sort_implINS0_14default_configELb0EPK6__halfPSL_PKlPlN2at6native12_GLOBAL__N_18offset_tEEE10hipError_tPvRmT1_PNSt15iterator_traitsISZ_E10value_typeET2_T3_PNS10_IS15_E10value_typeET4_jRbjT5_S1B_jjP12ihipStream_tbEUljE_EEESW_SX_SY_S15_S19_S1B_T6_T7_T9_mT8_S1D_bDpT10_ENKUlT_T0_E_clISt17integral_constantIbLb1EES1P_IbLb0EEEEDaS1L_S1M_EUlS1L_E_NS1_11comp_targetILNS1_3genE2ELNS1_11target_archE906ELNS1_3gpuE6ELNS1_3repE0EEENS1_30default_config_static_selectorELNS0_4arch9wavefront6targetE1EEEvSZ_
		.amdhsa_group_segment_fixed_size 0
		.amdhsa_private_segment_fixed_size 0
		.amdhsa_kernarg_size 144
		.amdhsa_user_sgpr_count 6
		.amdhsa_user_sgpr_private_segment_buffer 1
		.amdhsa_user_sgpr_dispatch_ptr 0
		.amdhsa_user_sgpr_queue_ptr 0
		.amdhsa_user_sgpr_kernarg_segment_ptr 1
		.amdhsa_user_sgpr_dispatch_id 0
		.amdhsa_user_sgpr_flat_scratch_init 0
		.amdhsa_user_sgpr_kernarg_preload_length 0
		.amdhsa_user_sgpr_kernarg_preload_offset 0
		.amdhsa_user_sgpr_private_segment_size 0
		.amdhsa_uses_dynamic_stack 0
		.amdhsa_system_sgpr_private_segment_wavefront_offset 0
		.amdhsa_system_sgpr_workgroup_id_x 1
		.amdhsa_system_sgpr_workgroup_id_y 0
		.amdhsa_system_sgpr_workgroup_id_z 0
		.amdhsa_system_sgpr_workgroup_info 0
		.amdhsa_system_vgpr_workitem_id 0
		.amdhsa_next_free_vgpr 1
		.amdhsa_next_free_sgpr 0
		.amdhsa_accum_offset 4
		.amdhsa_reserve_vcc 0
		.amdhsa_reserve_flat_scratch 0
		.amdhsa_float_round_mode_32 0
		.amdhsa_float_round_mode_16_64 0
		.amdhsa_float_denorm_mode_32 3
		.amdhsa_float_denorm_mode_16_64 3
		.amdhsa_dx10_clamp 1
		.amdhsa_ieee_mode 1
		.amdhsa_fp16_overflow 0
		.amdhsa_tg_split 0
		.amdhsa_exception_fp_ieee_invalid_op 0
		.amdhsa_exception_fp_denorm_src 0
		.amdhsa_exception_fp_ieee_div_zero 0
		.amdhsa_exception_fp_ieee_overflow 0
		.amdhsa_exception_fp_ieee_underflow 0
		.amdhsa_exception_fp_ieee_inexact 0
		.amdhsa_exception_int_div_zero 0
	.end_amdhsa_kernel
	.section	.text._ZN7rocprim17ROCPRIM_400000_NS6detail17trampoline_kernelINS0_13select_configILj256ELj13ELNS0_17block_load_methodE3ELS4_3ELS4_3ELNS0_20block_scan_algorithmE0ELj4294967295EEENS1_25partition_config_selectorILNS1_17partition_subalgoE3EjNS0_10empty_typeEbEEZZNS1_14partition_implILS8_3ELb0ES6_jNS0_17counting_iteratorIjlEEPS9_SE_NS0_5tupleIJPjSE_EEENSF_IJSE_SE_EEES9_SG_JZNS1_25segmented_radix_sort_implINS0_14default_configELb0EPK6__halfPSL_PKlPlN2at6native12_GLOBAL__N_18offset_tEEE10hipError_tPvRmT1_PNSt15iterator_traitsISZ_E10value_typeET2_T3_PNS10_IS15_E10value_typeET4_jRbjT5_S1B_jjP12ihipStream_tbEUljE_EEESW_SX_SY_S15_S19_S1B_T6_T7_T9_mT8_S1D_bDpT10_ENKUlT_T0_E_clISt17integral_constantIbLb1EES1P_IbLb0EEEEDaS1L_S1M_EUlS1L_E_NS1_11comp_targetILNS1_3genE2ELNS1_11target_archE906ELNS1_3gpuE6ELNS1_3repE0EEENS1_30default_config_static_selectorELNS0_4arch9wavefront6targetE1EEEvSZ_,"axG",@progbits,_ZN7rocprim17ROCPRIM_400000_NS6detail17trampoline_kernelINS0_13select_configILj256ELj13ELNS0_17block_load_methodE3ELS4_3ELS4_3ELNS0_20block_scan_algorithmE0ELj4294967295EEENS1_25partition_config_selectorILNS1_17partition_subalgoE3EjNS0_10empty_typeEbEEZZNS1_14partition_implILS8_3ELb0ES6_jNS0_17counting_iteratorIjlEEPS9_SE_NS0_5tupleIJPjSE_EEENSF_IJSE_SE_EEES9_SG_JZNS1_25segmented_radix_sort_implINS0_14default_configELb0EPK6__halfPSL_PKlPlN2at6native12_GLOBAL__N_18offset_tEEE10hipError_tPvRmT1_PNSt15iterator_traitsISZ_E10value_typeET2_T3_PNS10_IS15_E10value_typeET4_jRbjT5_S1B_jjP12ihipStream_tbEUljE_EEESW_SX_SY_S15_S19_S1B_T6_T7_T9_mT8_S1D_bDpT10_ENKUlT_T0_E_clISt17integral_constantIbLb1EES1P_IbLb0EEEEDaS1L_S1M_EUlS1L_E_NS1_11comp_targetILNS1_3genE2ELNS1_11target_archE906ELNS1_3gpuE6ELNS1_3repE0EEENS1_30default_config_static_selectorELNS0_4arch9wavefront6targetE1EEEvSZ_,comdat
.Lfunc_end1828:
	.size	_ZN7rocprim17ROCPRIM_400000_NS6detail17trampoline_kernelINS0_13select_configILj256ELj13ELNS0_17block_load_methodE3ELS4_3ELS4_3ELNS0_20block_scan_algorithmE0ELj4294967295EEENS1_25partition_config_selectorILNS1_17partition_subalgoE3EjNS0_10empty_typeEbEEZZNS1_14partition_implILS8_3ELb0ES6_jNS0_17counting_iteratorIjlEEPS9_SE_NS0_5tupleIJPjSE_EEENSF_IJSE_SE_EEES9_SG_JZNS1_25segmented_radix_sort_implINS0_14default_configELb0EPK6__halfPSL_PKlPlN2at6native12_GLOBAL__N_18offset_tEEE10hipError_tPvRmT1_PNSt15iterator_traitsISZ_E10value_typeET2_T3_PNS10_IS15_E10value_typeET4_jRbjT5_S1B_jjP12ihipStream_tbEUljE_EEESW_SX_SY_S15_S19_S1B_T6_T7_T9_mT8_S1D_bDpT10_ENKUlT_T0_E_clISt17integral_constantIbLb1EES1P_IbLb0EEEEDaS1L_S1M_EUlS1L_E_NS1_11comp_targetILNS1_3genE2ELNS1_11target_archE906ELNS1_3gpuE6ELNS1_3repE0EEENS1_30default_config_static_selectorELNS0_4arch9wavefront6targetE1EEEvSZ_, .Lfunc_end1828-_ZN7rocprim17ROCPRIM_400000_NS6detail17trampoline_kernelINS0_13select_configILj256ELj13ELNS0_17block_load_methodE3ELS4_3ELS4_3ELNS0_20block_scan_algorithmE0ELj4294967295EEENS1_25partition_config_selectorILNS1_17partition_subalgoE3EjNS0_10empty_typeEbEEZZNS1_14partition_implILS8_3ELb0ES6_jNS0_17counting_iteratorIjlEEPS9_SE_NS0_5tupleIJPjSE_EEENSF_IJSE_SE_EEES9_SG_JZNS1_25segmented_radix_sort_implINS0_14default_configELb0EPK6__halfPSL_PKlPlN2at6native12_GLOBAL__N_18offset_tEEE10hipError_tPvRmT1_PNSt15iterator_traitsISZ_E10value_typeET2_T3_PNS10_IS15_E10value_typeET4_jRbjT5_S1B_jjP12ihipStream_tbEUljE_EEESW_SX_SY_S15_S19_S1B_T6_T7_T9_mT8_S1D_bDpT10_ENKUlT_T0_E_clISt17integral_constantIbLb1EES1P_IbLb0EEEEDaS1L_S1M_EUlS1L_E_NS1_11comp_targetILNS1_3genE2ELNS1_11target_archE906ELNS1_3gpuE6ELNS1_3repE0EEENS1_30default_config_static_selectorELNS0_4arch9wavefront6targetE1EEEvSZ_
                                        ; -- End function
	.section	.AMDGPU.csdata,"",@progbits
; Kernel info:
; codeLenInByte = 0
; NumSgprs: 4
; NumVgprs: 0
; NumAgprs: 0
; TotalNumVgprs: 0
; ScratchSize: 0
; MemoryBound: 0
; FloatMode: 240
; IeeeMode: 1
; LDSByteSize: 0 bytes/workgroup (compile time only)
; SGPRBlocks: 0
; VGPRBlocks: 0
; NumSGPRsForWavesPerEU: 4
; NumVGPRsForWavesPerEU: 1
; AccumOffset: 4
; Occupancy: 8
; WaveLimiterHint : 0
; COMPUTE_PGM_RSRC2:SCRATCH_EN: 0
; COMPUTE_PGM_RSRC2:USER_SGPR: 6
; COMPUTE_PGM_RSRC2:TRAP_HANDLER: 0
; COMPUTE_PGM_RSRC2:TGID_X_EN: 1
; COMPUTE_PGM_RSRC2:TGID_Y_EN: 0
; COMPUTE_PGM_RSRC2:TGID_Z_EN: 0
; COMPUTE_PGM_RSRC2:TIDIG_COMP_CNT: 0
; COMPUTE_PGM_RSRC3_GFX90A:ACCUM_OFFSET: 0
; COMPUTE_PGM_RSRC3_GFX90A:TG_SPLIT: 0
	.section	.text._ZN7rocprim17ROCPRIM_400000_NS6detail17trampoline_kernelINS0_13select_configILj256ELj13ELNS0_17block_load_methodE3ELS4_3ELS4_3ELNS0_20block_scan_algorithmE0ELj4294967295EEENS1_25partition_config_selectorILNS1_17partition_subalgoE3EjNS0_10empty_typeEbEEZZNS1_14partition_implILS8_3ELb0ES6_jNS0_17counting_iteratorIjlEEPS9_SE_NS0_5tupleIJPjSE_EEENSF_IJSE_SE_EEES9_SG_JZNS1_25segmented_radix_sort_implINS0_14default_configELb0EPK6__halfPSL_PKlPlN2at6native12_GLOBAL__N_18offset_tEEE10hipError_tPvRmT1_PNSt15iterator_traitsISZ_E10value_typeET2_T3_PNS10_IS15_E10value_typeET4_jRbjT5_S1B_jjP12ihipStream_tbEUljE_EEESW_SX_SY_S15_S19_S1B_T6_T7_T9_mT8_S1D_bDpT10_ENKUlT_T0_E_clISt17integral_constantIbLb1EES1P_IbLb0EEEEDaS1L_S1M_EUlS1L_E_NS1_11comp_targetILNS1_3genE10ELNS1_11target_archE1200ELNS1_3gpuE4ELNS1_3repE0EEENS1_30default_config_static_selectorELNS0_4arch9wavefront6targetE1EEEvSZ_,"axG",@progbits,_ZN7rocprim17ROCPRIM_400000_NS6detail17trampoline_kernelINS0_13select_configILj256ELj13ELNS0_17block_load_methodE3ELS4_3ELS4_3ELNS0_20block_scan_algorithmE0ELj4294967295EEENS1_25partition_config_selectorILNS1_17partition_subalgoE3EjNS0_10empty_typeEbEEZZNS1_14partition_implILS8_3ELb0ES6_jNS0_17counting_iteratorIjlEEPS9_SE_NS0_5tupleIJPjSE_EEENSF_IJSE_SE_EEES9_SG_JZNS1_25segmented_radix_sort_implINS0_14default_configELb0EPK6__halfPSL_PKlPlN2at6native12_GLOBAL__N_18offset_tEEE10hipError_tPvRmT1_PNSt15iterator_traitsISZ_E10value_typeET2_T3_PNS10_IS15_E10value_typeET4_jRbjT5_S1B_jjP12ihipStream_tbEUljE_EEESW_SX_SY_S15_S19_S1B_T6_T7_T9_mT8_S1D_bDpT10_ENKUlT_T0_E_clISt17integral_constantIbLb1EES1P_IbLb0EEEEDaS1L_S1M_EUlS1L_E_NS1_11comp_targetILNS1_3genE10ELNS1_11target_archE1200ELNS1_3gpuE4ELNS1_3repE0EEENS1_30default_config_static_selectorELNS0_4arch9wavefront6targetE1EEEvSZ_,comdat
	.globl	_ZN7rocprim17ROCPRIM_400000_NS6detail17trampoline_kernelINS0_13select_configILj256ELj13ELNS0_17block_load_methodE3ELS4_3ELS4_3ELNS0_20block_scan_algorithmE0ELj4294967295EEENS1_25partition_config_selectorILNS1_17partition_subalgoE3EjNS0_10empty_typeEbEEZZNS1_14partition_implILS8_3ELb0ES6_jNS0_17counting_iteratorIjlEEPS9_SE_NS0_5tupleIJPjSE_EEENSF_IJSE_SE_EEES9_SG_JZNS1_25segmented_radix_sort_implINS0_14default_configELb0EPK6__halfPSL_PKlPlN2at6native12_GLOBAL__N_18offset_tEEE10hipError_tPvRmT1_PNSt15iterator_traitsISZ_E10value_typeET2_T3_PNS10_IS15_E10value_typeET4_jRbjT5_S1B_jjP12ihipStream_tbEUljE_EEESW_SX_SY_S15_S19_S1B_T6_T7_T9_mT8_S1D_bDpT10_ENKUlT_T0_E_clISt17integral_constantIbLb1EES1P_IbLb0EEEEDaS1L_S1M_EUlS1L_E_NS1_11comp_targetILNS1_3genE10ELNS1_11target_archE1200ELNS1_3gpuE4ELNS1_3repE0EEENS1_30default_config_static_selectorELNS0_4arch9wavefront6targetE1EEEvSZ_ ; -- Begin function _ZN7rocprim17ROCPRIM_400000_NS6detail17trampoline_kernelINS0_13select_configILj256ELj13ELNS0_17block_load_methodE3ELS4_3ELS4_3ELNS0_20block_scan_algorithmE0ELj4294967295EEENS1_25partition_config_selectorILNS1_17partition_subalgoE3EjNS0_10empty_typeEbEEZZNS1_14partition_implILS8_3ELb0ES6_jNS0_17counting_iteratorIjlEEPS9_SE_NS0_5tupleIJPjSE_EEENSF_IJSE_SE_EEES9_SG_JZNS1_25segmented_radix_sort_implINS0_14default_configELb0EPK6__halfPSL_PKlPlN2at6native12_GLOBAL__N_18offset_tEEE10hipError_tPvRmT1_PNSt15iterator_traitsISZ_E10value_typeET2_T3_PNS10_IS15_E10value_typeET4_jRbjT5_S1B_jjP12ihipStream_tbEUljE_EEESW_SX_SY_S15_S19_S1B_T6_T7_T9_mT8_S1D_bDpT10_ENKUlT_T0_E_clISt17integral_constantIbLb1EES1P_IbLb0EEEEDaS1L_S1M_EUlS1L_E_NS1_11comp_targetILNS1_3genE10ELNS1_11target_archE1200ELNS1_3gpuE4ELNS1_3repE0EEENS1_30default_config_static_selectorELNS0_4arch9wavefront6targetE1EEEvSZ_
	.p2align	8
	.type	_ZN7rocprim17ROCPRIM_400000_NS6detail17trampoline_kernelINS0_13select_configILj256ELj13ELNS0_17block_load_methodE3ELS4_3ELS4_3ELNS0_20block_scan_algorithmE0ELj4294967295EEENS1_25partition_config_selectorILNS1_17partition_subalgoE3EjNS0_10empty_typeEbEEZZNS1_14partition_implILS8_3ELb0ES6_jNS0_17counting_iteratorIjlEEPS9_SE_NS0_5tupleIJPjSE_EEENSF_IJSE_SE_EEES9_SG_JZNS1_25segmented_radix_sort_implINS0_14default_configELb0EPK6__halfPSL_PKlPlN2at6native12_GLOBAL__N_18offset_tEEE10hipError_tPvRmT1_PNSt15iterator_traitsISZ_E10value_typeET2_T3_PNS10_IS15_E10value_typeET4_jRbjT5_S1B_jjP12ihipStream_tbEUljE_EEESW_SX_SY_S15_S19_S1B_T6_T7_T9_mT8_S1D_bDpT10_ENKUlT_T0_E_clISt17integral_constantIbLb1EES1P_IbLb0EEEEDaS1L_S1M_EUlS1L_E_NS1_11comp_targetILNS1_3genE10ELNS1_11target_archE1200ELNS1_3gpuE4ELNS1_3repE0EEENS1_30default_config_static_selectorELNS0_4arch9wavefront6targetE1EEEvSZ_,@function
_ZN7rocprim17ROCPRIM_400000_NS6detail17trampoline_kernelINS0_13select_configILj256ELj13ELNS0_17block_load_methodE3ELS4_3ELS4_3ELNS0_20block_scan_algorithmE0ELj4294967295EEENS1_25partition_config_selectorILNS1_17partition_subalgoE3EjNS0_10empty_typeEbEEZZNS1_14partition_implILS8_3ELb0ES6_jNS0_17counting_iteratorIjlEEPS9_SE_NS0_5tupleIJPjSE_EEENSF_IJSE_SE_EEES9_SG_JZNS1_25segmented_radix_sort_implINS0_14default_configELb0EPK6__halfPSL_PKlPlN2at6native12_GLOBAL__N_18offset_tEEE10hipError_tPvRmT1_PNSt15iterator_traitsISZ_E10value_typeET2_T3_PNS10_IS15_E10value_typeET4_jRbjT5_S1B_jjP12ihipStream_tbEUljE_EEESW_SX_SY_S15_S19_S1B_T6_T7_T9_mT8_S1D_bDpT10_ENKUlT_T0_E_clISt17integral_constantIbLb1EES1P_IbLb0EEEEDaS1L_S1M_EUlS1L_E_NS1_11comp_targetILNS1_3genE10ELNS1_11target_archE1200ELNS1_3gpuE4ELNS1_3repE0EEENS1_30default_config_static_selectorELNS0_4arch9wavefront6targetE1EEEvSZ_: ; @_ZN7rocprim17ROCPRIM_400000_NS6detail17trampoline_kernelINS0_13select_configILj256ELj13ELNS0_17block_load_methodE3ELS4_3ELS4_3ELNS0_20block_scan_algorithmE0ELj4294967295EEENS1_25partition_config_selectorILNS1_17partition_subalgoE3EjNS0_10empty_typeEbEEZZNS1_14partition_implILS8_3ELb0ES6_jNS0_17counting_iteratorIjlEEPS9_SE_NS0_5tupleIJPjSE_EEENSF_IJSE_SE_EEES9_SG_JZNS1_25segmented_radix_sort_implINS0_14default_configELb0EPK6__halfPSL_PKlPlN2at6native12_GLOBAL__N_18offset_tEEE10hipError_tPvRmT1_PNSt15iterator_traitsISZ_E10value_typeET2_T3_PNS10_IS15_E10value_typeET4_jRbjT5_S1B_jjP12ihipStream_tbEUljE_EEESW_SX_SY_S15_S19_S1B_T6_T7_T9_mT8_S1D_bDpT10_ENKUlT_T0_E_clISt17integral_constantIbLb1EES1P_IbLb0EEEEDaS1L_S1M_EUlS1L_E_NS1_11comp_targetILNS1_3genE10ELNS1_11target_archE1200ELNS1_3gpuE4ELNS1_3repE0EEENS1_30default_config_static_selectorELNS0_4arch9wavefront6targetE1EEEvSZ_
; %bb.0:
	.section	.rodata,"a",@progbits
	.p2align	6, 0x0
	.amdhsa_kernel _ZN7rocprim17ROCPRIM_400000_NS6detail17trampoline_kernelINS0_13select_configILj256ELj13ELNS0_17block_load_methodE3ELS4_3ELS4_3ELNS0_20block_scan_algorithmE0ELj4294967295EEENS1_25partition_config_selectorILNS1_17partition_subalgoE3EjNS0_10empty_typeEbEEZZNS1_14partition_implILS8_3ELb0ES6_jNS0_17counting_iteratorIjlEEPS9_SE_NS0_5tupleIJPjSE_EEENSF_IJSE_SE_EEES9_SG_JZNS1_25segmented_radix_sort_implINS0_14default_configELb0EPK6__halfPSL_PKlPlN2at6native12_GLOBAL__N_18offset_tEEE10hipError_tPvRmT1_PNSt15iterator_traitsISZ_E10value_typeET2_T3_PNS10_IS15_E10value_typeET4_jRbjT5_S1B_jjP12ihipStream_tbEUljE_EEESW_SX_SY_S15_S19_S1B_T6_T7_T9_mT8_S1D_bDpT10_ENKUlT_T0_E_clISt17integral_constantIbLb1EES1P_IbLb0EEEEDaS1L_S1M_EUlS1L_E_NS1_11comp_targetILNS1_3genE10ELNS1_11target_archE1200ELNS1_3gpuE4ELNS1_3repE0EEENS1_30default_config_static_selectorELNS0_4arch9wavefront6targetE1EEEvSZ_
		.amdhsa_group_segment_fixed_size 0
		.amdhsa_private_segment_fixed_size 0
		.amdhsa_kernarg_size 144
		.amdhsa_user_sgpr_count 6
		.amdhsa_user_sgpr_private_segment_buffer 1
		.amdhsa_user_sgpr_dispatch_ptr 0
		.amdhsa_user_sgpr_queue_ptr 0
		.amdhsa_user_sgpr_kernarg_segment_ptr 1
		.amdhsa_user_sgpr_dispatch_id 0
		.amdhsa_user_sgpr_flat_scratch_init 0
		.amdhsa_user_sgpr_kernarg_preload_length 0
		.amdhsa_user_sgpr_kernarg_preload_offset 0
		.amdhsa_user_sgpr_private_segment_size 0
		.amdhsa_uses_dynamic_stack 0
		.amdhsa_system_sgpr_private_segment_wavefront_offset 0
		.amdhsa_system_sgpr_workgroup_id_x 1
		.amdhsa_system_sgpr_workgroup_id_y 0
		.amdhsa_system_sgpr_workgroup_id_z 0
		.amdhsa_system_sgpr_workgroup_info 0
		.amdhsa_system_vgpr_workitem_id 0
		.amdhsa_next_free_vgpr 1
		.amdhsa_next_free_sgpr 0
		.amdhsa_accum_offset 4
		.amdhsa_reserve_vcc 0
		.amdhsa_reserve_flat_scratch 0
		.amdhsa_float_round_mode_32 0
		.amdhsa_float_round_mode_16_64 0
		.amdhsa_float_denorm_mode_32 3
		.amdhsa_float_denorm_mode_16_64 3
		.amdhsa_dx10_clamp 1
		.amdhsa_ieee_mode 1
		.amdhsa_fp16_overflow 0
		.amdhsa_tg_split 0
		.amdhsa_exception_fp_ieee_invalid_op 0
		.amdhsa_exception_fp_denorm_src 0
		.amdhsa_exception_fp_ieee_div_zero 0
		.amdhsa_exception_fp_ieee_overflow 0
		.amdhsa_exception_fp_ieee_underflow 0
		.amdhsa_exception_fp_ieee_inexact 0
		.amdhsa_exception_int_div_zero 0
	.end_amdhsa_kernel
	.section	.text._ZN7rocprim17ROCPRIM_400000_NS6detail17trampoline_kernelINS0_13select_configILj256ELj13ELNS0_17block_load_methodE3ELS4_3ELS4_3ELNS0_20block_scan_algorithmE0ELj4294967295EEENS1_25partition_config_selectorILNS1_17partition_subalgoE3EjNS0_10empty_typeEbEEZZNS1_14partition_implILS8_3ELb0ES6_jNS0_17counting_iteratorIjlEEPS9_SE_NS0_5tupleIJPjSE_EEENSF_IJSE_SE_EEES9_SG_JZNS1_25segmented_radix_sort_implINS0_14default_configELb0EPK6__halfPSL_PKlPlN2at6native12_GLOBAL__N_18offset_tEEE10hipError_tPvRmT1_PNSt15iterator_traitsISZ_E10value_typeET2_T3_PNS10_IS15_E10value_typeET4_jRbjT5_S1B_jjP12ihipStream_tbEUljE_EEESW_SX_SY_S15_S19_S1B_T6_T7_T9_mT8_S1D_bDpT10_ENKUlT_T0_E_clISt17integral_constantIbLb1EES1P_IbLb0EEEEDaS1L_S1M_EUlS1L_E_NS1_11comp_targetILNS1_3genE10ELNS1_11target_archE1200ELNS1_3gpuE4ELNS1_3repE0EEENS1_30default_config_static_selectorELNS0_4arch9wavefront6targetE1EEEvSZ_,"axG",@progbits,_ZN7rocprim17ROCPRIM_400000_NS6detail17trampoline_kernelINS0_13select_configILj256ELj13ELNS0_17block_load_methodE3ELS4_3ELS4_3ELNS0_20block_scan_algorithmE0ELj4294967295EEENS1_25partition_config_selectorILNS1_17partition_subalgoE3EjNS0_10empty_typeEbEEZZNS1_14partition_implILS8_3ELb0ES6_jNS0_17counting_iteratorIjlEEPS9_SE_NS0_5tupleIJPjSE_EEENSF_IJSE_SE_EEES9_SG_JZNS1_25segmented_radix_sort_implINS0_14default_configELb0EPK6__halfPSL_PKlPlN2at6native12_GLOBAL__N_18offset_tEEE10hipError_tPvRmT1_PNSt15iterator_traitsISZ_E10value_typeET2_T3_PNS10_IS15_E10value_typeET4_jRbjT5_S1B_jjP12ihipStream_tbEUljE_EEESW_SX_SY_S15_S19_S1B_T6_T7_T9_mT8_S1D_bDpT10_ENKUlT_T0_E_clISt17integral_constantIbLb1EES1P_IbLb0EEEEDaS1L_S1M_EUlS1L_E_NS1_11comp_targetILNS1_3genE10ELNS1_11target_archE1200ELNS1_3gpuE4ELNS1_3repE0EEENS1_30default_config_static_selectorELNS0_4arch9wavefront6targetE1EEEvSZ_,comdat
.Lfunc_end1829:
	.size	_ZN7rocprim17ROCPRIM_400000_NS6detail17trampoline_kernelINS0_13select_configILj256ELj13ELNS0_17block_load_methodE3ELS4_3ELS4_3ELNS0_20block_scan_algorithmE0ELj4294967295EEENS1_25partition_config_selectorILNS1_17partition_subalgoE3EjNS0_10empty_typeEbEEZZNS1_14partition_implILS8_3ELb0ES6_jNS0_17counting_iteratorIjlEEPS9_SE_NS0_5tupleIJPjSE_EEENSF_IJSE_SE_EEES9_SG_JZNS1_25segmented_radix_sort_implINS0_14default_configELb0EPK6__halfPSL_PKlPlN2at6native12_GLOBAL__N_18offset_tEEE10hipError_tPvRmT1_PNSt15iterator_traitsISZ_E10value_typeET2_T3_PNS10_IS15_E10value_typeET4_jRbjT5_S1B_jjP12ihipStream_tbEUljE_EEESW_SX_SY_S15_S19_S1B_T6_T7_T9_mT8_S1D_bDpT10_ENKUlT_T0_E_clISt17integral_constantIbLb1EES1P_IbLb0EEEEDaS1L_S1M_EUlS1L_E_NS1_11comp_targetILNS1_3genE10ELNS1_11target_archE1200ELNS1_3gpuE4ELNS1_3repE0EEENS1_30default_config_static_selectorELNS0_4arch9wavefront6targetE1EEEvSZ_, .Lfunc_end1829-_ZN7rocprim17ROCPRIM_400000_NS6detail17trampoline_kernelINS0_13select_configILj256ELj13ELNS0_17block_load_methodE3ELS4_3ELS4_3ELNS0_20block_scan_algorithmE0ELj4294967295EEENS1_25partition_config_selectorILNS1_17partition_subalgoE3EjNS0_10empty_typeEbEEZZNS1_14partition_implILS8_3ELb0ES6_jNS0_17counting_iteratorIjlEEPS9_SE_NS0_5tupleIJPjSE_EEENSF_IJSE_SE_EEES9_SG_JZNS1_25segmented_radix_sort_implINS0_14default_configELb0EPK6__halfPSL_PKlPlN2at6native12_GLOBAL__N_18offset_tEEE10hipError_tPvRmT1_PNSt15iterator_traitsISZ_E10value_typeET2_T3_PNS10_IS15_E10value_typeET4_jRbjT5_S1B_jjP12ihipStream_tbEUljE_EEESW_SX_SY_S15_S19_S1B_T6_T7_T9_mT8_S1D_bDpT10_ENKUlT_T0_E_clISt17integral_constantIbLb1EES1P_IbLb0EEEEDaS1L_S1M_EUlS1L_E_NS1_11comp_targetILNS1_3genE10ELNS1_11target_archE1200ELNS1_3gpuE4ELNS1_3repE0EEENS1_30default_config_static_selectorELNS0_4arch9wavefront6targetE1EEEvSZ_
                                        ; -- End function
	.section	.AMDGPU.csdata,"",@progbits
; Kernel info:
; codeLenInByte = 0
; NumSgprs: 4
; NumVgprs: 0
; NumAgprs: 0
; TotalNumVgprs: 0
; ScratchSize: 0
; MemoryBound: 0
; FloatMode: 240
; IeeeMode: 1
; LDSByteSize: 0 bytes/workgroup (compile time only)
; SGPRBlocks: 0
; VGPRBlocks: 0
; NumSGPRsForWavesPerEU: 4
; NumVGPRsForWavesPerEU: 1
; AccumOffset: 4
; Occupancy: 8
; WaveLimiterHint : 0
; COMPUTE_PGM_RSRC2:SCRATCH_EN: 0
; COMPUTE_PGM_RSRC2:USER_SGPR: 6
; COMPUTE_PGM_RSRC2:TRAP_HANDLER: 0
; COMPUTE_PGM_RSRC2:TGID_X_EN: 1
; COMPUTE_PGM_RSRC2:TGID_Y_EN: 0
; COMPUTE_PGM_RSRC2:TGID_Z_EN: 0
; COMPUTE_PGM_RSRC2:TIDIG_COMP_CNT: 0
; COMPUTE_PGM_RSRC3_GFX90A:ACCUM_OFFSET: 0
; COMPUTE_PGM_RSRC3_GFX90A:TG_SPLIT: 0
	.section	.text._ZN7rocprim17ROCPRIM_400000_NS6detail17trampoline_kernelINS0_13select_configILj256ELj13ELNS0_17block_load_methodE3ELS4_3ELS4_3ELNS0_20block_scan_algorithmE0ELj4294967295EEENS1_25partition_config_selectorILNS1_17partition_subalgoE3EjNS0_10empty_typeEbEEZZNS1_14partition_implILS8_3ELb0ES6_jNS0_17counting_iteratorIjlEEPS9_SE_NS0_5tupleIJPjSE_EEENSF_IJSE_SE_EEES9_SG_JZNS1_25segmented_radix_sort_implINS0_14default_configELb0EPK6__halfPSL_PKlPlN2at6native12_GLOBAL__N_18offset_tEEE10hipError_tPvRmT1_PNSt15iterator_traitsISZ_E10value_typeET2_T3_PNS10_IS15_E10value_typeET4_jRbjT5_S1B_jjP12ihipStream_tbEUljE_EEESW_SX_SY_S15_S19_S1B_T6_T7_T9_mT8_S1D_bDpT10_ENKUlT_T0_E_clISt17integral_constantIbLb1EES1P_IbLb0EEEEDaS1L_S1M_EUlS1L_E_NS1_11comp_targetILNS1_3genE9ELNS1_11target_archE1100ELNS1_3gpuE3ELNS1_3repE0EEENS1_30default_config_static_selectorELNS0_4arch9wavefront6targetE1EEEvSZ_,"axG",@progbits,_ZN7rocprim17ROCPRIM_400000_NS6detail17trampoline_kernelINS0_13select_configILj256ELj13ELNS0_17block_load_methodE3ELS4_3ELS4_3ELNS0_20block_scan_algorithmE0ELj4294967295EEENS1_25partition_config_selectorILNS1_17partition_subalgoE3EjNS0_10empty_typeEbEEZZNS1_14partition_implILS8_3ELb0ES6_jNS0_17counting_iteratorIjlEEPS9_SE_NS0_5tupleIJPjSE_EEENSF_IJSE_SE_EEES9_SG_JZNS1_25segmented_radix_sort_implINS0_14default_configELb0EPK6__halfPSL_PKlPlN2at6native12_GLOBAL__N_18offset_tEEE10hipError_tPvRmT1_PNSt15iterator_traitsISZ_E10value_typeET2_T3_PNS10_IS15_E10value_typeET4_jRbjT5_S1B_jjP12ihipStream_tbEUljE_EEESW_SX_SY_S15_S19_S1B_T6_T7_T9_mT8_S1D_bDpT10_ENKUlT_T0_E_clISt17integral_constantIbLb1EES1P_IbLb0EEEEDaS1L_S1M_EUlS1L_E_NS1_11comp_targetILNS1_3genE9ELNS1_11target_archE1100ELNS1_3gpuE3ELNS1_3repE0EEENS1_30default_config_static_selectorELNS0_4arch9wavefront6targetE1EEEvSZ_,comdat
	.globl	_ZN7rocprim17ROCPRIM_400000_NS6detail17trampoline_kernelINS0_13select_configILj256ELj13ELNS0_17block_load_methodE3ELS4_3ELS4_3ELNS0_20block_scan_algorithmE0ELj4294967295EEENS1_25partition_config_selectorILNS1_17partition_subalgoE3EjNS0_10empty_typeEbEEZZNS1_14partition_implILS8_3ELb0ES6_jNS0_17counting_iteratorIjlEEPS9_SE_NS0_5tupleIJPjSE_EEENSF_IJSE_SE_EEES9_SG_JZNS1_25segmented_radix_sort_implINS0_14default_configELb0EPK6__halfPSL_PKlPlN2at6native12_GLOBAL__N_18offset_tEEE10hipError_tPvRmT1_PNSt15iterator_traitsISZ_E10value_typeET2_T3_PNS10_IS15_E10value_typeET4_jRbjT5_S1B_jjP12ihipStream_tbEUljE_EEESW_SX_SY_S15_S19_S1B_T6_T7_T9_mT8_S1D_bDpT10_ENKUlT_T0_E_clISt17integral_constantIbLb1EES1P_IbLb0EEEEDaS1L_S1M_EUlS1L_E_NS1_11comp_targetILNS1_3genE9ELNS1_11target_archE1100ELNS1_3gpuE3ELNS1_3repE0EEENS1_30default_config_static_selectorELNS0_4arch9wavefront6targetE1EEEvSZ_ ; -- Begin function _ZN7rocprim17ROCPRIM_400000_NS6detail17trampoline_kernelINS0_13select_configILj256ELj13ELNS0_17block_load_methodE3ELS4_3ELS4_3ELNS0_20block_scan_algorithmE0ELj4294967295EEENS1_25partition_config_selectorILNS1_17partition_subalgoE3EjNS0_10empty_typeEbEEZZNS1_14partition_implILS8_3ELb0ES6_jNS0_17counting_iteratorIjlEEPS9_SE_NS0_5tupleIJPjSE_EEENSF_IJSE_SE_EEES9_SG_JZNS1_25segmented_radix_sort_implINS0_14default_configELb0EPK6__halfPSL_PKlPlN2at6native12_GLOBAL__N_18offset_tEEE10hipError_tPvRmT1_PNSt15iterator_traitsISZ_E10value_typeET2_T3_PNS10_IS15_E10value_typeET4_jRbjT5_S1B_jjP12ihipStream_tbEUljE_EEESW_SX_SY_S15_S19_S1B_T6_T7_T9_mT8_S1D_bDpT10_ENKUlT_T0_E_clISt17integral_constantIbLb1EES1P_IbLb0EEEEDaS1L_S1M_EUlS1L_E_NS1_11comp_targetILNS1_3genE9ELNS1_11target_archE1100ELNS1_3gpuE3ELNS1_3repE0EEENS1_30default_config_static_selectorELNS0_4arch9wavefront6targetE1EEEvSZ_
	.p2align	8
	.type	_ZN7rocprim17ROCPRIM_400000_NS6detail17trampoline_kernelINS0_13select_configILj256ELj13ELNS0_17block_load_methodE3ELS4_3ELS4_3ELNS0_20block_scan_algorithmE0ELj4294967295EEENS1_25partition_config_selectorILNS1_17partition_subalgoE3EjNS0_10empty_typeEbEEZZNS1_14partition_implILS8_3ELb0ES6_jNS0_17counting_iteratorIjlEEPS9_SE_NS0_5tupleIJPjSE_EEENSF_IJSE_SE_EEES9_SG_JZNS1_25segmented_radix_sort_implINS0_14default_configELb0EPK6__halfPSL_PKlPlN2at6native12_GLOBAL__N_18offset_tEEE10hipError_tPvRmT1_PNSt15iterator_traitsISZ_E10value_typeET2_T3_PNS10_IS15_E10value_typeET4_jRbjT5_S1B_jjP12ihipStream_tbEUljE_EEESW_SX_SY_S15_S19_S1B_T6_T7_T9_mT8_S1D_bDpT10_ENKUlT_T0_E_clISt17integral_constantIbLb1EES1P_IbLb0EEEEDaS1L_S1M_EUlS1L_E_NS1_11comp_targetILNS1_3genE9ELNS1_11target_archE1100ELNS1_3gpuE3ELNS1_3repE0EEENS1_30default_config_static_selectorELNS0_4arch9wavefront6targetE1EEEvSZ_,@function
_ZN7rocprim17ROCPRIM_400000_NS6detail17trampoline_kernelINS0_13select_configILj256ELj13ELNS0_17block_load_methodE3ELS4_3ELS4_3ELNS0_20block_scan_algorithmE0ELj4294967295EEENS1_25partition_config_selectorILNS1_17partition_subalgoE3EjNS0_10empty_typeEbEEZZNS1_14partition_implILS8_3ELb0ES6_jNS0_17counting_iteratorIjlEEPS9_SE_NS0_5tupleIJPjSE_EEENSF_IJSE_SE_EEES9_SG_JZNS1_25segmented_radix_sort_implINS0_14default_configELb0EPK6__halfPSL_PKlPlN2at6native12_GLOBAL__N_18offset_tEEE10hipError_tPvRmT1_PNSt15iterator_traitsISZ_E10value_typeET2_T3_PNS10_IS15_E10value_typeET4_jRbjT5_S1B_jjP12ihipStream_tbEUljE_EEESW_SX_SY_S15_S19_S1B_T6_T7_T9_mT8_S1D_bDpT10_ENKUlT_T0_E_clISt17integral_constantIbLb1EES1P_IbLb0EEEEDaS1L_S1M_EUlS1L_E_NS1_11comp_targetILNS1_3genE9ELNS1_11target_archE1100ELNS1_3gpuE3ELNS1_3repE0EEENS1_30default_config_static_selectorELNS0_4arch9wavefront6targetE1EEEvSZ_: ; @_ZN7rocprim17ROCPRIM_400000_NS6detail17trampoline_kernelINS0_13select_configILj256ELj13ELNS0_17block_load_methodE3ELS4_3ELS4_3ELNS0_20block_scan_algorithmE0ELj4294967295EEENS1_25partition_config_selectorILNS1_17partition_subalgoE3EjNS0_10empty_typeEbEEZZNS1_14partition_implILS8_3ELb0ES6_jNS0_17counting_iteratorIjlEEPS9_SE_NS0_5tupleIJPjSE_EEENSF_IJSE_SE_EEES9_SG_JZNS1_25segmented_radix_sort_implINS0_14default_configELb0EPK6__halfPSL_PKlPlN2at6native12_GLOBAL__N_18offset_tEEE10hipError_tPvRmT1_PNSt15iterator_traitsISZ_E10value_typeET2_T3_PNS10_IS15_E10value_typeET4_jRbjT5_S1B_jjP12ihipStream_tbEUljE_EEESW_SX_SY_S15_S19_S1B_T6_T7_T9_mT8_S1D_bDpT10_ENKUlT_T0_E_clISt17integral_constantIbLb1EES1P_IbLb0EEEEDaS1L_S1M_EUlS1L_E_NS1_11comp_targetILNS1_3genE9ELNS1_11target_archE1100ELNS1_3gpuE3ELNS1_3repE0EEENS1_30default_config_static_selectorELNS0_4arch9wavefront6targetE1EEEvSZ_
; %bb.0:
	.section	.rodata,"a",@progbits
	.p2align	6, 0x0
	.amdhsa_kernel _ZN7rocprim17ROCPRIM_400000_NS6detail17trampoline_kernelINS0_13select_configILj256ELj13ELNS0_17block_load_methodE3ELS4_3ELS4_3ELNS0_20block_scan_algorithmE0ELj4294967295EEENS1_25partition_config_selectorILNS1_17partition_subalgoE3EjNS0_10empty_typeEbEEZZNS1_14partition_implILS8_3ELb0ES6_jNS0_17counting_iteratorIjlEEPS9_SE_NS0_5tupleIJPjSE_EEENSF_IJSE_SE_EEES9_SG_JZNS1_25segmented_radix_sort_implINS0_14default_configELb0EPK6__halfPSL_PKlPlN2at6native12_GLOBAL__N_18offset_tEEE10hipError_tPvRmT1_PNSt15iterator_traitsISZ_E10value_typeET2_T3_PNS10_IS15_E10value_typeET4_jRbjT5_S1B_jjP12ihipStream_tbEUljE_EEESW_SX_SY_S15_S19_S1B_T6_T7_T9_mT8_S1D_bDpT10_ENKUlT_T0_E_clISt17integral_constantIbLb1EES1P_IbLb0EEEEDaS1L_S1M_EUlS1L_E_NS1_11comp_targetILNS1_3genE9ELNS1_11target_archE1100ELNS1_3gpuE3ELNS1_3repE0EEENS1_30default_config_static_selectorELNS0_4arch9wavefront6targetE1EEEvSZ_
		.amdhsa_group_segment_fixed_size 0
		.amdhsa_private_segment_fixed_size 0
		.amdhsa_kernarg_size 144
		.amdhsa_user_sgpr_count 6
		.amdhsa_user_sgpr_private_segment_buffer 1
		.amdhsa_user_sgpr_dispatch_ptr 0
		.amdhsa_user_sgpr_queue_ptr 0
		.amdhsa_user_sgpr_kernarg_segment_ptr 1
		.amdhsa_user_sgpr_dispatch_id 0
		.amdhsa_user_sgpr_flat_scratch_init 0
		.amdhsa_user_sgpr_kernarg_preload_length 0
		.amdhsa_user_sgpr_kernarg_preload_offset 0
		.amdhsa_user_sgpr_private_segment_size 0
		.amdhsa_uses_dynamic_stack 0
		.amdhsa_system_sgpr_private_segment_wavefront_offset 0
		.amdhsa_system_sgpr_workgroup_id_x 1
		.amdhsa_system_sgpr_workgroup_id_y 0
		.amdhsa_system_sgpr_workgroup_id_z 0
		.amdhsa_system_sgpr_workgroup_info 0
		.amdhsa_system_vgpr_workitem_id 0
		.amdhsa_next_free_vgpr 1
		.amdhsa_next_free_sgpr 0
		.amdhsa_accum_offset 4
		.amdhsa_reserve_vcc 0
		.amdhsa_reserve_flat_scratch 0
		.amdhsa_float_round_mode_32 0
		.amdhsa_float_round_mode_16_64 0
		.amdhsa_float_denorm_mode_32 3
		.amdhsa_float_denorm_mode_16_64 3
		.amdhsa_dx10_clamp 1
		.amdhsa_ieee_mode 1
		.amdhsa_fp16_overflow 0
		.amdhsa_tg_split 0
		.amdhsa_exception_fp_ieee_invalid_op 0
		.amdhsa_exception_fp_denorm_src 0
		.amdhsa_exception_fp_ieee_div_zero 0
		.amdhsa_exception_fp_ieee_overflow 0
		.amdhsa_exception_fp_ieee_underflow 0
		.amdhsa_exception_fp_ieee_inexact 0
		.amdhsa_exception_int_div_zero 0
	.end_amdhsa_kernel
	.section	.text._ZN7rocprim17ROCPRIM_400000_NS6detail17trampoline_kernelINS0_13select_configILj256ELj13ELNS0_17block_load_methodE3ELS4_3ELS4_3ELNS0_20block_scan_algorithmE0ELj4294967295EEENS1_25partition_config_selectorILNS1_17partition_subalgoE3EjNS0_10empty_typeEbEEZZNS1_14partition_implILS8_3ELb0ES6_jNS0_17counting_iteratorIjlEEPS9_SE_NS0_5tupleIJPjSE_EEENSF_IJSE_SE_EEES9_SG_JZNS1_25segmented_radix_sort_implINS0_14default_configELb0EPK6__halfPSL_PKlPlN2at6native12_GLOBAL__N_18offset_tEEE10hipError_tPvRmT1_PNSt15iterator_traitsISZ_E10value_typeET2_T3_PNS10_IS15_E10value_typeET4_jRbjT5_S1B_jjP12ihipStream_tbEUljE_EEESW_SX_SY_S15_S19_S1B_T6_T7_T9_mT8_S1D_bDpT10_ENKUlT_T0_E_clISt17integral_constantIbLb1EES1P_IbLb0EEEEDaS1L_S1M_EUlS1L_E_NS1_11comp_targetILNS1_3genE9ELNS1_11target_archE1100ELNS1_3gpuE3ELNS1_3repE0EEENS1_30default_config_static_selectorELNS0_4arch9wavefront6targetE1EEEvSZ_,"axG",@progbits,_ZN7rocprim17ROCPRIM_400000_NS6detail17trampoline_kernelINS0_13select_configILj256ELj13ELNS0_17block_load_methodE3ELS4_3ELS4_3ELNS0_20block_scan_algorithmE0ELj4294967295EEENS1_25partition_config_selectorILNS1_17partition_subalgoE3EjNS0_10empty_typeEbEEZZNS1_14partition_implILS8_3ELb0ES6_jNS0_17counting_iteratorIjlEEPS9_SE_NS0_5tupleIJPjSE_EEENSF_IJSE_SE_EEES9_SG_JZNS1_25segmented_radix_sort_implINS0_14default_configELb0EPK6__halfPSL_PKlPlN2at6native12_GLOBAL__N_18offset_tEEE10hipError_tPvRmT1_PNSt15iterator_traitsISZ_E10value_typeET2_T3_PNS10_IS15_E10value_typeET4_jRbjT5_S1B_jjP12ihipStream_tbEUljE_EEESW_SX_SY_S15_S19_S1B_T6_T7_T9_mT8_S1D_bDpT10_ENKUlT_T0_E_clISt17integral_constantIbLb1EES1P_IbLb0EEEEDaS1L_S1M_EUlS1L_E_NS1_11comp_targetILNS1_3genE9ELNS1_11target_archE1100ELNS1_3gpuE3ELNS1_3repE0EEENS1_30default_config_static_selectorELNS0_4arch9wavefront6targetE1EEEvSZ_,comdat
.Lfunc_end1830:
	.size	_ZN7rocprim17ROCPRIM_400000_NS6detail17trampoline_kernelINS0_13select_configILj256ELj13ELNS0_17block_load_methodE3ELS4_3ELS4_3ELNS0_20block_scan_algorithmE0ELj4294967295EEENS1_25partition_config_selectorILNS1_17partition_subalgoE3EjNS0_10empty_typeEbEEZZNS1_14partition_implILS8_3ELb0ES6_jNS0_17counting_iteratorIjlEEPS9_SE_NS0_5tupleIJPjSE_EEENSF_IJSE_SE_EEES9_SG_JZNS1_25segmented_radix_sort_implINS0_14default_configELb0EPK6__halfPSL_PKlPlN2at6native12_GLOBAL__N_18offset_tEEE10hipError_tPvRmT1_PNSt15iterator_traitsISZ_E10value_typeET2_T3_PNS10_IS15_E10value_typeET4_jRbjT5_S1B_jjP12ihipStream_tbEUljE_EEESW_SX_SY_S15_S19_S1B_T6_T7_T9_mT8_S1D_bDpT10_ENKUlT_T0_E_clISt17integral_constantIbLb1EES1P_IbLb0EEEEDaS1L_S1M_EUlS1L_E_NS1_11comp_targetILNS1_3genE9ELNS1_11target_archE1100ELNS1_3gpuE3ELNS1_3repE0EEENS1_30default_config_static_selectorELNS0_4arch9wavefront6targetE1EEEvSZ_, .Lfunc_end1830-_ZN7rocprim17ROCPRIM_400000_NS6detail17trampoline_kernelINS0_13select_configILj256ELj13ELNS0_17block_load_methodE3ELS4_3ELS4_3ELNS0_20block_scan_algorithmE0ELj4294967295EEENS1_25partition_config_selectorILNS1_17partition_subalgoE3EjNS0_10empty_typeEbEEZZNS1_14partition_implILS8_3ELb0ES6_jNS0_17counting_iteratorIjlEEPS9_SE_NS0_5tupleIJPjSE_EEENSF_IJSE_SE_EEES9_SG_JZNS1_25segmented_radix_sort_implINS0_14default_configELb0EPK6__halfPSL_PKlPlN2at6native12_GLOBAL__N_18offset_tEEE10hipError_tPvRmT1_PNSt15iterator_traitsISZ_E10value_typeET2_T3_PNS10_IS15_E10value_typeET4_jRbjT5_S1B_jjP12ihipStream_tbEUljE_EEESW_SX_SY_S15_S19_S1B_T6_T7_T9_mT8_S1D_bDpT10_ENKUlT_T0_E_clISt17integral_constantIbLb1EES1P_IbLb0EEEEDaS1L_S1M_EUlS1L_E_NS1_11comp_targetILNS1_3genE9ELNS1_11target_archE1100ELNS1_3gpuE3ELNS1_3repE0EEENS1_30default_config_static_selectorELNS0_4arch9wavefront6targetE1EEEvSZ_
                                        ; -- End function
	.section	.AMDGPU.csdata,"",@progbits
; Kernel info:
; codeLenInByte = 0
; NumSgprs: 4
; NumVgprs: 0
; NumAgprs: 0
; TotalNumVgprs: 0
; ScratchSize: 0
; MemoryBound: 0
; FloatMode: 240
; IeeeMode: 1
; LDSByteSize: 0 bytes/workgroup (compile time only)
; SGPRBlocks: 0
; VGPRBlocks: 0
; NumSGPRsForWavesPerEU: 4
; NumVGPRsForWavesPerEU: 1
; AccumOffset: 4
; Occupancy: 8
; WaveLimiterHint : 0
; COMPUTE_PGM_RSRC2:SCRATCH_EN: 0
; COMPUTE_PGM_RSRC2:USER_SGPR: 6
; COMPUTE_PGM_RSRC2:TRAP_HANDLER: 0
; COMPUTE_PGM_RSRC2:TGID_X_EN: 1
; COMPUTE_PGM_RSRC2:TGID_Y_EN: 0
; COMPUTE_PGM_RSRC2:TGID_Z_EN: 0
; COMPUTE_PGM_RSRC2:TIDIG_COMP_CNT: 0
; COMPUTE_PGM_RSRC3_GFX90A:ACCUM_OFFSET: 0
; COMPUTE_PGM_RSRC3_GFX90A:TG_SPLIT: 0
	.section	.text._ZN7rocprim17ROCPRIM_400000_NS6detail17trampoline_kernelINS0_13select_configILj256ELj13ELNS0_17block_load_methodE3ELS4_3ELS4_3ELNS0_20block_scan_algorithmE0ELj4294967295EEENS1_25partition_config_selectorILNS1_17partition_subalgoE3EjNS0_10empty_typeEbEEZZNS1_14partition_implILS8_3ELb0ES6_jNS0_17counting_iteratorIjlEEPS9_SE_NS0_5tupleIJPjSE_EEENSF_IJSE_SE_EEES9_SG_JZNS1_25segmented_radix_sort_implINS0_14default_configELb0EPK6__halfPSL_PKlPlN2at6native12_GLOBAL__N_18offset_tEEE10hipError_tPvRmT1_PNSt15iterator_traitsISZ_E10value_typeET2_T3_PNS10_IS15_E10value_typeET4_jRbjT5_S1B_jjP12ihipStream_tbEUljE_EEESW_SX_SY_S15_S19_S1B_T6_T7_T9_mT8_S1D_bDpT10_ENKUlT_T0_E_clISt17integral_constantIbLb1EES1P_IbLb0EEEEDaS1L_S1M_EUlS1L_E_NS1_11comp_targetILNS1_3genE8ELNS1_11target_archE1030ELNS1_3gpuE2ELNS1_3repE0EEENS1_30default_config_static_selectorELNS0_4arch9wavefront6targetE1EEEvSZ_,"axG",@progbits,_ZN7rocprim17ROCPRIM_400000_NS6detail17trampoline_kernelINS0_13select_configILj256ELj13ELNS0_17block_load_methodE3ELS4_3ELS4_3ELNS0_20block_scan_algorithmE0ELj4294967295EEENS1_25partition_config_selectorILNS1_17partition_subalgoE3EjNS0_10empty_typeEbEEZZNS1_14partition_implILS8_3ELb0ES6_jNS0_17counting_iteratorIjlEEPS9_SE_NS0_5tupleIJPjSE_EEENSF_IJSE_SE_EEES9_SG_JZNS1_25segmented_radix_sort_implINS0_14default_configELb0EPK6__halfPSL_PKlPlN2at6native12_GLOBAL__N_18offset_tEEE10hipError_tPvRmT1_PNSt15iterator_traitsISZ_E10value_typeET2_T3_PNS10_IS15_E10value_typeET4_jRbjT5_S1B_jjP12ihipStream_tbEUljE_EEESW_SX_SY_S15_S19_S1B_T6_T7_T9_mT8_S1D_bDpT10_ENKUlT_T0_E_clISt17integral_constantIbLb1EES1P_IbLb0EEEEDaS1L_S1M_EUlS1L_E_NS1_11comp_targetILNS1_3genE8ELNS1_11target_archE1030ELNS1_3gpuE2ELNS1_3repE0EEENS1_30default_config_static_selectorELNS0_4arch9wavefront6targetE1EEEvSZ_,comdat
	.globl	_ZN7rocprim17ROCPRIM_400000_NS6detail17trampoline_kernelINS0_13select_configILj256ELj13ELNS0_17block_load_methodE3ELS4_3ELS4_3ELNS0_20block_scan_algorithmE0ELj4294967295EEENS1_25partition_config_selectorILNS1_17partition_subalgoE3EjNS0_10empty_typeEbEEZZNS1_14partition_implILS8_3ELb0ES6_jNS0_17counting_iteratorIjlEEPS9_SE_NS0_5tupleIJPjSE_EEENSF_IJSE_SE_EEES9_SG_JZNS1_25segmented_radix_sort_implINS0_14default_configELb0EPK6__halfPSL_PKlPlN2at6native12_GLOBAL__N_18offset_tEEE10hipError_tPvRmT1_PNSt15iterator_traitsISZ_E10value_typeET2_T3_PNS10_IS15_E10value_typeET4_jRbjT5_S1B_jjP12ihipStream_tbEUljE_EEESW_SX_SY_S15_S19_S1B_T6_T7_T9_mT8_S1D_bDpT10_ENKUlT_T0_E_clISt17integral_constantIbLb1EES1P_IbLb0EEEEDaS1L_S1M_EUlS1L_E_NS1_11comp_targetILNS1_3genE8ELNS1_11target_archE1030ELNS1_3gpuE2ELNS1_3repE0EEENS1_30default_config_static_selectorELNS0_4arch9wavefront6targetE1EEEvSZ_ ; -- Begin function _ZN7rocprim17ROCPRIM_400000_NS6detail17trampoline_kernelINS0_13select_configILj256ELj13ELNS0_17block_load_methodE3ELS4_3ELS4_3ELNS0_20block_scan_algorithmE0ELj4294967295EEENS1_25partition_config_selectorILNS1_17partition_subalgoE3EjNS0_10empty_typeEbEEZZNS1_14partition_implILS8_3ELb0ES6_jNS0_17counting_iteratorIjlEEPS9_SE_NS0_5tupleIJPjSE_EEENSF_IJSE_SE_EEES9_SG_JZNS1_25segmented_radix_sort_implINS0_14default_configELb0EPK6__halfPSL_PKlPlN2at6native12_GLOBAL__N_18offset_tEEE10hipError_tPvRmT1_PNSt15iterator_traitsISZ_E10value_typeET2_T3_PNS10_IS15_E10value_typeET4_jRbjT5_S1B_jjP12ihipStream_tbEUljE_EEESW_SX_SY_S15_S19_S1B_T6_T7_T9_mT8_S1D_bDpT10_ENKUlT_T0_E_clISt17integral_constantIbLb1EES1P_IbLb0EEEEDaS1L_S1M_EUlS1L_E_NS1_11comp_targetILNS1_3genE8ELNS1_11target_archE1030ELNS1_3gpuE2ELNS1_3repE0EEENS1_30default_config_static_selectorELNS0_4arch9wavefront6targetE1EEEvSZ_
	.p2align	8
	.type	_ZN7rocprim17ROCPRIM_400000_NS6detail17trampoline_kernelINS0_13select_configILj256ELj13ELNS0_17block_load_methodE3ELS4_3ELS4_3ELNS0_20block_scan_algorithmE0ELj4294967295EEENS1_25partition_config_selectorILNS1_17partition_subalgoE3EjNS0_10empty_typeEbEEZZNS1_14partition_implILS8_3ELb0ES6_jNS0_17counting_iteratorIjlEEPS9_SE_NS0_5tupleIJPjSE_EEENSF_IJSE_SE_EEES9_SG_JZNS1_25segmented_radix_sort_implINS0_14default_configELb0EPK6__halfPSL_PKlPlN2at6native12_GLOBAL__N_18offset_tEEE10hipError_tPvRmT1_PNSt15iterator_traitsISZ_E10value_typeET2_T3_PNS10_IS15_E10value_typeET4_jRbjT5_S1B_jjP12ihipStream_tbEUljE_EEESW_SX_SY_S15_S19_S1B_T6_T7_T9_mT8_S1D_bDpT10_ENKUlT_T0_E_clISt17integral_constantIbLb1EES1P_IbLb0EEEEDaS1L_S1M_EUlS1L_E_NS1_11comp_targetILNS1_3genE8ELNS1_11target_archE1030ELNS1_3gpuE2ELNS1_3repE0EEENS1_30default_config_static_selectorELNS0_4arch9wavefront6targetE1EEEvSZ_,@function
_ZN7rocprim17ROCPRIM_400000_NS6detail17trampoline_kernelINS0_13select_configILj256ELj13ELNS0_17block_load_methodE3ELS4_3ELS4_3ELNS0_20block_scan_algorithmE0ELj4294967295EEENS1_25partition_config_selectorILNS1_17partition_subalgoE3EjNS0_10empty_typeEbEEZZNS1_14partition_implILS8_3ELb0ES6_jNS0_17counting_iteratorIjlEEPS9_SE_NS0_5tupleIJPjSE_EEENSF_IJSE_SE_EEES9_SG_JZNS1_25segmented_radix_sort_implINS0_14default_configELb0EPK6__halfPSL_PKlPlN2at6native12_GLOBAL__N_18offset_tEEE10hipError_tPvRmT1_PNSt15iterator_traitsISZ_E10value_typeET2_T3_PNS10_IS15_E10value_typeET4_jRbjT5_S1B_jjP12ihipStream_tbEUljE_EEESW_SX_SY_S15_S19_S1B_T6_T7_T9_mT8_S1D_bDpT10_ENKUlT_T0_E_clISt17integral_constantIbLb1EES1P_IbLb0EEEEDaS1L_S1M_EUlS1L_E_NS1_11comp_targetILNS1_3genE8ELNS1_11target_archE1030ELNS1_3gpuE2ELNS1_3repE0EEENS1_30default_config_static_selectorELNS0_4arch9wavefront6targetE1EEEvSZ_: ; @_ZN7rocprim17ROCPRIM_400000_NS6detail17trampoline_kernelINS0_13select_configILj256ELj13ELNS0_17block_load_methodE3ELS4_3ELS4_3ELNS0_20block_scan_algorithmE0ELj4294967295EEENS1_25partition_config_selectorILNS1_17partition_subalgoE3EjNS0_10empty_typeEbEEZZNS1_14partition_implILS8_3ELb0ES6_jNS0_17counting_iteratorIjlEEPS9_SE_NS0_5tupleIJPjSE_EEENSF_IJSE_SE_EEES9_SG_JZNS1_25segmented_radix_sort_implINS0_14default_configELb0EPK6__halfPSL_PKlPlN2at6native12_GLOBAL__N_18offset_tEEE10hipError_tPvRmT1_PNSt15iterator_traitsISZ_E10value_typeET2_T3_PNS10_IS15_E10value_typeET4_jRbjT5_S1B_jjP12ihipStream_tbEUljE_EEESW_SX_SY_S15_S19_S1B_T6_T7_T9_mT8_S1D_bDpT10_ENKUlT_T0_E_clISt17integral_constantIbLb1EES1P_IbLb0EEEEDaS1L_S1M_EUlS1L_E_NS1_11comp_targetILNS1_3genE8ELNS1_11target_archE1030ELNS1_3gpuE2ELNS1_3repE0EEENS1_30default_config_static_selectorELNS0_4arch9wavefront6targetE1EEEvSZ_
; %bb.0:
	.section	.rodata,"a",@progbits
	.p2align	6, 0x0
	.amdhsa_kernel _ZN7rocprim17ROCPRIM_400000_NS6detail17trampoline_kernelINS0_13select_configILj256ELj13ELNS0_17block_load_methodE3ELS4_3ELS4_3ELNS0_20block_scan_algorithmE0ELj4294967295EEENS1_25partition_config_selectorILNS1_17partition_subalgoE3EjNS0_10empty_typeEbEEZZNS1_14partition_implILS8_3ELb0ES6_jNS0_17counting_iteratorIjlEEPS9_SE_NS0_5tupleIJPjSE_EEENSF_IJSE_SE_EEES9_SG_JZNS1_25segmented_radix_sort_implINS0_14default_configELb0EPK6__halfPSL_PKlPlN2at6native12_GLOBAL__N_18offset_tEEE10hipError_tPvRmT1_PNSt15iterator_traitsISZ_E10value_typeET2_T3_PNS10_IS15_E10value_typeET4_jRbjT5_S1B_jjP12ihipStream_tbEUljE_EEESW_SX_SY_S15_S19_S1B_T6_T7_T9_mT8_S1D_bDpT10_ENKUlT_T0_E_clISt17integral_constantIbLb1EES1P_IbLb0EEEEDaS1L_S1M_EUlS1L_E_NS1_11comp_targetILNS1_3genE8ELNS1_11target_archE1030ELNS1_3gpuE2ELNS1_3repE0EEENS1_30default_config_static_selectorELNS0_4arch9wavefront6targetE1EEEvSZ_
		.amdhsa_group_segment_fixed_size 0
		.amdhsa_private_segment_fixed_size 0
		.amdhsa_kernarg_size 144
		.amdhsa_user_sgpr_count 6
		.amdhsa_user_sgpr_private_segment_buffer 1
		.amdhsa_user_sgpr_dispatch_ptr 0
		.amdhsa_user_sgpr_queue_ptr 0
		.amdhsa_user_sgpr_kernarg_segment_ptr 1
		.amdhsa_user_sgpr_dispatch_id 0
		.amdhsa_user_sgpr_flat_scratch_init 0
		.amdhsa_user_sgpr_kernarg_preload_length 0
		.amdhsa_user_sgpr_kernarg_preload_offset 0
		.amdhsa_user_sgpr_private_segment_size 0
		.amdhsa_uses_dynamic_stack 0
		.amdhsa_system_sgpr_private_segment_wavefront_offset 0
		.amdhsa_system_sgpr_workgroup_id_x 1
		.amdhsa_system_sgpr_workgroup_id_y 0
		.amdhsa_system_sgpr_workgroup_id_z 0
		.amdhsa_system_sgpr_workgroup_info 0
		.amdhsa_system_vgpr_workitem_id 0
		.amdhsa_next_free_vgpr 1
		.amdhsa_next_free_sgpr 0
		.amdhsa_accum_offset 4
		.amdhsa_reserve_vcc 0
		.amdhsa_reserve_flat_scratch 0
		.amdhsa_float_round_mode_32 0
		.amdhsa_float_round_mode_16_64 0
		.amdhsa_float_denorm_mode_32 3
		.amdhsa_float_denorm_mode_16_64 3
		.amdhsa_dx10_clamp 1
		.amdhsa_ieee_mode 1
		.amdhsa_fp16_overflow 0
		.amdhsa_tg_split 0
		.amdhsa_exception_fp_ieee_invalid_op 0
		.amdhsa_exception_fp_denorm_src 0
		.amdhsa_exception_fp_ieee_div_zero 0
		.amdhsa_exception_fp_ieee_overflow 0
		.amdhsa_exception_fp_ieee_underflow 0
		.amdhsa_exception_fp_ieee_inexact 0
		.amdhsa_exception_int_div_zero 0
	.end_amdhsa_kernel
	.section	.text._ZN7rocprim17ROCPRIM_400000_NS6detail17trampoline_kernelINS0_13select_configILj256ELj13ELNS0_17block_load_methodE3ELS4_3ELS4_3ELNS0_20block_scan_algorithmE0ELj4294967295EEENS1_25partition_config_selectorILNS1_17partition_subalgoE3EjNS0_10empty_typeEbEEZZNS1_14partition_implILS8_3ELb0ES6_jNS0_17counting_iteratorIjlEEPS9_SE_NS0_5tupleIJPjSE_EEENSF_IJSE_SE_EEES9_SG_JZNS1_25segmented_radix_sort_implINS0_14default_configELb0EPK6__halfPSL_PKlPlN2at6native12_GLOBAL__N_18offset_tEEE10hipError_tPvRmT1_PNSt15iterator_traitsISZ_E10value_typeET2_T3_PNS10_IS15_E10value_typeET4_jRbjT5_S1B_jjP12ihipStream_tbEUljE_EEESW_SX_SY_S15_S19_S1B_T6_T7_T9_mT8_S1D_bDpT10_ENKUlT_T0_E_clISt17integral_constantIbLb1EES1P_IbLb0EEEEDaS1L_S1M_EUlS1L_E_NS1_11comp_targetILNS1_3genE8ELNS1_11target_archE1030ELNS1_3gpuE2ELNS1_3repE0EEENS1_30default_config_static_selectorELNS0_4arch9wavefront6targetE1EEEvSZ_,"axG",@progbits,_ZN7rocprim17ROCPRIM_400000_NS6detail17trampoline_kernelINS0_13select_configILj256ELj13ELNS0_17block_load_methodE3ELS4_3ELS4_3ELNS0_20block_scan_algorithmE0ELj4294967295EEENS1_25partition_config_selectorILNS1_17partition_subalgoE3EjNS0_10empty_typeEbEEZZNS1_14partition_implILS8_3ELb0ES6_jNS0_17counting_iteratorIjlEEPS9_SE_NS0_5tupleIJPjSE_EEENSF_IJSE_SE_EEES9_SG_JZNS1_25segmented_radix_sort_implINS0_14default_configELb0EPK6__halfPSL_PKlPlN2at6native12_GLOBAL__N_18offset_tEEE10hipError_tPvRmT1_PNSt15iterator_traitsISZ_E10value_typeET2_T3_PNS10_IS15_E10value_typeET4_jRbjT5_S1B_jjP12ihipStream_tbEUljE_EEESW_SX_SY_S15_S19_S1B_T6_T7_T9_mT8_S1D_bDpT10_ENKUlT_T0_E_clISt17integral_constantIbLb1EES1P_IbLb0EEEEDaS1L_S1M_EUlS1L_E_NS1_11comp_targetILNS1_3genE8ELNS1_11target_archE1030ELNS1_3gpuE2ELNS1_3repE0EEENS1_30default_config_static_selectorELNS0_4arch9wavefront6targetE1EEEvSZ_,comdat
.Lfunc_end1831:
	.size	_ZN7rocprim17ROCPRIM_400000_NS6detail17trampoline_kernelINS0_13select_configILj256ELj13ELNS0_17block_load_methodE3ELS4_3ELS4_3ELNS0_20block_scan_algorithmE0ELj4294967295EEENS1_25partition_config_selectorILNS1_17partition_subalgoE3EjNS0_10empty_typeEbEEZZNS1_14partition_implILS8_3ELb0ES6_jNS0_17counting_iteratorIjlEEPS9_SE_NS0_5tupleIJPjSE_EEENSF_IJSE_SE_EEES9_SG_JZNS1_25segmented_radix_sort_implINS0_14default_configELb0EPK6__halfPSL_PKlPlN2at6native12_GLOBAL__N_18offset_tEEE10hipError_tPvRmT1_PNSt15iterator_traitsISZ_E10value_typeET2_T3_PNS10_IS15_E10value_typeET4_jRbjT5_S1B_jjP12ihipStream_tbEUljE_EEESW_SX_SY_S15_S19_S1B_T6_T7_T9_mT8_S1D_bDpT10_ENKUlT_T0_E_clISt17integral_constantIbLb1EES1P_IbLb0EEEEDaS1L_S1M_EUlS1L_E_NS1_11comp_targetILNS1_3genE8ELNS1_11target_archE1030ELNS1_3gpuE2ELNS1_3repE0EEENS1_30default_config_static_selectorELNS0_4arch9wavefront6targetE1EEEvSZ_, .Lfunc_end1831-_ZN7rocprim17ROCPRIM_400000_NS6detail17trampoline_kernelINS0_13select_configILj256ELj13ELNS0_17block_load_methodE3ELS4_3ELS4_3ELNS0_20block_scan_algorithmE0ELj4294967295EEENS1_25partition_config_selectorILNS1_17partition_subalgoE3EjNS0_10empty_typeEbEEZZNS1_14partition_implILS8_3ELb0ES6_jNS0_17counting_iteratorIjlEEPS9_SE_NS0_5tupleIJPjSE_EEENSF_IJSE_SE_EEES9_SG_JZNS1_25segmented_radix_sort_implINS0_14default_configELb0EPK6__halfPSL_PKlPlN2at6native12_GLOBAL__N_18offset_tEEE10hipError_tPvRmT1_PNSt15iterator_traitsISZ_E10value_typeET2_T3_PNS10_IS15_E10value_typeET4_jRbjT5_S1B_jjP12ihipStream_tbEUljE_EEESW_SX_SY_S15_S19_S1B_T6_T7_T9_mT8_S1D_bDpT10_ENKUlT_T0_E_clISt17integral_constantIbLb1EES1P_IbLb0EEEEDaS1L_S1M_EUlS1L_E_NS1_11comp_targetILNS1_3genE8ELNS1_11target_archE1030ELNS1_3gpuE2ELNS1_3repE0EEENS1_30default_config_static_selectorELNS0_4arch9wavefront6targetE1EEEvSZ_
                                        ; -- End function
	.section	.AMDGPU.csdata,"",@progbits
; Kernel info:
; codeLenInByte = 0
; NumSgprs: 4
; NumVgprs: 0
; NumAgprs: 0
; TotalNumVgprs: 0
; ScratchSize: 0
; MemoryBound: 0
; FloatMode: 240
; IeeeMode: 1
; LDSByteSize: 0 bytes/workgroup (compile time only)
; SGPRBlocks: 0
; VGPRBlocks: 0
; NumSGPRsForWavesPerEU: 4
; NumVGPRsForWavesPerEU: 1
; AccumOffset: 4
; Occupancy: 8
; WaveLimiterHint : 0
; COMPUTE_PGM_RSRC2:SCRATCH_EN: 0
; COMPUTE_PGM_RSRC2:USER_SGPR: 6
; COMPUTE_PGM_RSRC2:TRAP_HANDLER: 0
; COMPUTE_PGM_RSRC2:TGID_X_EN: 1
; COMPUTE_PGM_RSRC2:TGID_Y_EN: 0
; COMPUTE_PGM_RSRC2:TGID_Z_EN: 0
; COMPUTE_PGM_RSRC2:TIDIG_COMP_CNT: 0
; COMPUTE_PGM_RSRC3_GFX90A:ACCUM_OFFSET: 0
; COMPUTE_PGM_RSRC3_GFX90A:TG_SPLIT: 0
	.section	.text._ZN7rocprim17ROCPRIM_400000_NS6detail17trampoline_kernelINS0_13select_configILj256ELj13ELNS0_17block_load_methodE3ELS4_3ELS4_3ELNS0_20block_scan_algorithmE0ELj4294967295EEENS1_25partition_config_selectorILNS1_17partition_subalgoE3EjNS0_10empty_typeEbEEZZNS1_14partition_implILS8_3ELb0ES6_jNS0_17counting_iteratorIjlEEPS9_SE_NS0_5tupleIJPjSE_EEENSF_IJSE_SE_EEES9_SG_JZNS1_25segmented_radix_sort_implINS0_14default_configELb0EPK6__halfPSL_PKlPlN2at6native12_GLOBAL__N_18offset_tEEE10hipError_tPvRmT1_PNSt15iterator_traitsISZ_E10value_typeET2_T3_PNS10_IS15_E10value_typeET4_jRbjT5_S1B_jjP12ihipStream_tbEUljE_EEESW_SX_SY_S15_S19_S1B_T6_T7_T9_mT8_S1D_bDpT10_ENKUlT_T0_E_clISt17integral_constantIbLb0EES1P_IbLb1EEEEDaS1L_S1M_EUlS1L_E_NS1_11comp_targetILNS1_3genE0ELNS1_11target_archE4294967295ELNS1_3gpuE0ELNS1_3repE0EEENS1_30default_config_static_selectorELNS0_4arch9wavefront6targetE1EEEvSZ_,"axG",@progbits,_ZN7rocprim17ROCPRIM_400000_NS6detail17trampoline_kernelINS0_13select_configILj256ELj13ELNS0_17block_load_methodE3ELS4_3ELS4_3ELNS0_20block_scan_algorithmE0ELj4294967295EEENS1_25partition_config_selectorILNS1_17partition_subalgoE3EjNS0_10empty_typeEbEEZZNS1_14partition_implILS8_3ELb0ES6_jNS0_17counting_iteratorIjlEEPS9_SE_NS0_5tupleIJPjSE_EEENSF_IJSE_SE_EEES9_SG_JZNS1_25segmented_radix_sort_implINS0_14default_configELb0EPK6__halfPSL_PKlPlN2at6native12_GLOBAL__N_18offset_tEEE10hipError_tPvRmT1_PNSt15iterator_traitsISZ_E10value_typeET2_T3_PNS10_IS15_E10value_typeET4_jRbjT5_S1B_jjP12ihipStream_tbEUljE_EEESW_SX_SY_S15_S19_S1B_T6_T7_T9_mT8_S1D_bDpT10_ENKUlT_T0_E_clISt17integral_constantIbLb0EES1P_IbLb1EEEEDaS1L_S1M_EUlS1L_E_NS1_11comp_targetILNS1_3genE0ELNS1_11target_archE4294967295ELNS1_3gpuE0ELNS1_3repE0EEENS1_30default_config_static_selectorELNS0_4arch9wavefront6targetE1EEEvSZ_,comdat
	.globl	_ZN7rocprim17ROCPRIM_400000_NS6detail17trampoline_kernelINS0_13select_configILj256ELj13ELNS0_17block_load_methodE3ELS4_3ELS4_3ELNS0_20block_scan_algorithmE0ELj4294967295EEENS1_25partition_config_selectorILNS1_17partition_subalgoE3EjNS0_10empty_typeEbEEZZNS1_14partition_implILS8_3ELb0ES6_jNS0_17counting_iteratorIjlEEPS9_SE_NS0_5tupleIJPjSE_EEENSF_IJSE_SE_EEES9_SG_JZNS1_25segmented_radix_sort_implINS0_14default_configELb0EPK6__halfPSL_PKlPlN2at6native12_GLOBAL__N_18offset_tEEE10hipError_tPvRmT1_PNSt15iterator_traitsISZ_E10value_typeET2_T3_PNS10_IS15_E10value_typeET4_jRbjT5_S1B_jjP12ihipStream_tbEUljE_EEESW_SX_SY_S15_S19_S1B_T6_T7_T9_mT8_S1D_bDpT10_ENKUlT_T0_E_clISt17integral_constantIbLb0EES1P_IbLb1EEEEDaS1L_S1M_EUlS1L_E_NS1_11comp_targetILNS1_3genE0ELNS1_11target_archE4294967295ELNS1_3gpuE0ELNS1_3repE0EEENS1_30default_config_static_selectorELNS0_4arch9wavefront6targetE1EEEvSZ_ ; -- Begin function _ZN7rocprim17ROCPRIM_400000_NS6detail17trampoline_kernelINS0_13select_configILj256ELj13ELNS0_17block_load_methodE3ELS4_3ELS4_3ELNS0_20block_scan_algorithmE0ELj4294967295EEENS1_25partition_config_selectorILNS1_17partition_subalgoE3EjNS0_10empty_typeEbEEZZNS1_14partition_implILS8_3ELb0ES6_jNS0_17counting_iteratorIjlEEPS9_SE_NS0_5tupleIJPjSE_EEENSF_IJSE_SE_EEES9_SG_JZNS1_25segmented_radix_sort_implINS0_14default_configELb0EPK6__halfPSL_PKlPlN2at6native12_GLOBAL__N_18offset_tEEE10hipError_tPvRmT1_PNSt15iterator_traitsISZ_E10value_typeET2_T3_PNS10_IS15_E10value_typeET4_jRbjT5_S1B_jjP12ihipStream_tbEUljE_EEESW_SX_SY_S15_S19_S1B_T6_T7_T9_mT8_S1D_bDpT10_ENKUlT_T0_E_clISt17integral_constantIbLb0EES1P_IbLb1EEEEDaS1L_S1M_EUlS1L_E_NS1_11comp_targetILNS1_3genE0ELNS1_11target_archE4294967295ELNS1_3gpuE0ELNS1_3repE0EEENS1_30default_config_static_selectorELNS0_4arch9wavefront6targetE1EEEvSZ_
	.p2align	8
	.type	_ZN7rocprim17ROCPRIM_400000_NS6detail17trampoline_kernelINS0_13select_configILj256ELj13ELNS0_17block_load_methodE3ELS4_3ELS4_3ELNS0_20block_scan_algorithmE0ELj4294967295EEENS1_25partition_config_selectorILNS1_17partition_subalgoE3EjNS0_10empty_typeEbEEZZNS1_14partition_implILS8_3ELb0ES6_jNS0_17counting_iteratorIjlEEPS9_SE_NS0_5tupleIJPjSE_EEENSF_IJSE_SE_EEES9_SG_JZNS1_25segmented_radix_sort_implINS0_14default_configELb0EPK6__halfPSL_PKlPlN2at6native12_GLOBAL__N_18offset_tEEE10hipError_tPvRmT1_PNSt15iterator_traitsISZ_E10value_typeET2_T3_PNS10_IS15_E10value_typeET4_jRbjT5_S1B_jjP12ihipStream_tbEUljE_EEESW_SX_SY_S15_S19_S1B_T6_T7_T9_mT8_S1D_bDpT10_ENKUlT_T0_E_clISt17integral_constantIbLb0EES1P_IbLb1EEEEDaS1L_S1M_EUlS1L_E_NS1_11comp_targetILNS1_3genE0ELNS1_11target_archE4294967295ELNS1_3gpuE0ELNS1_3repE0EEENS1_30default_config_static_selectorELNS0_4arch9wavefront6targetE1EEEvSZ_,@function
_ZN7rocprim17ROCPRIM_400000_NS6detail17trampoline_kernelINS0_13select_configILj256ELj13ELNS0_17block_load_methodE3ELS4_3ELS4_3ELNS0_20block_scan_algorithmE0ELj4294967295EEENS1_25partition_config_selectorILNS1_17partition_subalgoE3EjNS0_10empty_typeEbEEZZNS1_14partition_implILS8_3ELb0ES6_jNS0_17counting_iteratorIjlEEPS9_SE_NS0_5tupleIJPjSE_EEENSF_IJSE_SE_EEES9_SG_JZNS1_25segmented_radix_sort_implINS0_14default_configELb0EPK6__halfPSL_PKlPlN2at6native12_GLOBAL__N_18offset_tEEE10hipError_tPvRmT1_PNSt15iterator_traitsISZ_E10value_typeET2_T3_PNS10_IS15_E10value_typeET4_jRbjT5_S1B_jjP12ihipStream_tbEUljE_EEESW_SX_SY_S15_S19_S1B_T6_T7_T9_mT8_S1D_bDpT10_ENKUlT_T0_E_clISt17integral_constantIbLb0EES1P_IbLb1EEEEDaS1L_S1M_EUlS1L_E_NS1_11comp_targetILNS1_3genE0ELNS1_11target_archE4294967295ELNS1_3gpuE0ELNS1_3repE0EEENS1_30default_config_static_selectorELNS0_4arch9wavefront6targetE1EEEvSZ_: ; @_ZN7rocprim17ROCPRIM_400000_NS6detail17trampoline_kernelINS0_13select_configILj256ELj13ELNS0_17block_load_methodE3ELS4_3ELS4_3ELNS0_20block_scan_algorithmE0ELj4294967295EEENS1_25partition_config_selectorILNS1_17partition_subalgoE3EjNS0_10empty_typeEbEEZZNS1_14partition_implILS8_3ELb0ES6_jNS0_17counting_iteratorIjlEEPS9_SE_NS0_5tupleIJPjSE_EEENSF_IJSE_SE_EEES9_SG_JZNS1_25segmented_radix_sort_implINS0_14default_configELb0EPK6__halfPSL_PKlPlN2at6native12_GLOBAL__N_18offset_tEEE10hipError_tPvRmT1_PNSt15iterator_traitsISZ_E10value_typeET2_T3_PNS10_IS15_E10value_typeET4_jRbjT5_S1B_jjP12ihipStream_tbEUljE_EEESW_SX_SY_S15_S19_S1B_T6_T7_T9_mT8_S1D_bDpT10_ENKUlT_T0_E_clISt17integral_constantIbLb0EES1P_IbLb1EEEEDaS1L_S1M_EUlS1L_E_NS1_11comp_targetILNS1_3genE0ELNS1_11target_archE4294967295ELNS1_3gpuE0ELNS1_3repE0EEENS1_30default_config_static_selectorELNS0_4arch9wavefront6targetE1EEEvSZ_
; %bb.0:
	.section	.rodata,"a",@progbits
	.p2align	6, 0x0
	.amdhsa_kernel _ZN7rocprim17ROCPRIM_400000_NS6detail17trampoline_kernelINS0_13select_configILj256ELj13ELNS0_17block_load_methodE3ELS4_3ELS4_3ELNS0_20block_scan_algorithmE0ELj4294967295EEENS1_25partition_config_selectorILNS1_17partition_subalgoE3EjNS0_10empty_typeEbEEZZNS1_14partition_implILS8_3ELb0ES6_jNS0_17counting_iteratorIjlEEPS9_SE_NS0_5tupleIJPjSE_EEENSF_IJSE_SE_EEES9_SG_JZNS1_25segmented_radix_sort_implINS0_14default_configELb0EPK6__halfPSL_PKlPlN2at6native12_GLOBAL__N_18offset_tEEE10hipError_tPvRmT1_PNSt15iterator_traitsISZ_E10value_typeET2_T3_PNS10_IS15_E10value_typeET4_jRbjT5_S1B_jjP12ihipStream_tbEUljE_EEESW_SX_SY_S15_S19_S1B_T6_T7_T9_mT8_S1D_bDpT10_ENKUlT_T0_E_clISt17integral_constantIbLb0EES1P_IbLb1EEEEDaS1L_S1M_EUlS1L_E_NS1_11comp_targetILNS1_3genE0ELNS1_11target_archE4294967295ELNS1_3gpuE0ELNS1_3repE0EEENS1_30default_config_static_selectorELNS0_4arch9wavefront6targetE1EEEvSZ_
		.amdhsa_group_segment_fixed_size 0
		.amdhsa_private_segment_fixed_size 0
		.amdhsa_kernarg_size 152
		.amdhsa_user_sgpr_count 6
		.amdhsa_user_sgpr_private_segment_buffer 1
		.amdhsa_user_sgpr_dispatch_ptr 0
		.amdhsa_user_sgpr_queue_ptr 0
		.amdhsa_user_sgpr_kernarg_segment_ptr 1
		.amdhsa_user_sgpr_dispatch_id 0
		.amdhsa_user_sgpr_flat_scratch_init 0
		.amdhsa_user_sgpr_kernarg_preload_length 0
		.amdhsa_user_sgpr_kernarg_preload_offset 0
		.amdhsa_user_sgpr_private_segment_size 0
		.amdhsa_uses_dynamic_stack 0
		.amdhsa_system_sgpr_private_segment_wavefront_offset 0
		.amdhsa_system_sgpr_workgroup_id_x 1
		.amdhsa_system_sgpr_workgroup_id_y 0
		.amdhsa_system_sgpr_workgroup_id_z 0
		.amdhsa_system_sgpr_workgroup_info 0
		.amdhsa_system_vgpr_workitem_id 0
		.amdhsa_next_free_vgpr 1
		.amdhsa_next_free_sgpr 0
		.amdhsa_accum_offset 4
		.amdhsa_reserve_vcc 0
		.amdhsa_reserve_flat_scratch 0
		.amdhsa_float_round_mode_32 0
		.amdhsa_float_round_mode_16_64 0
		.amdhsa_float_denorm_mode_32 3
		.amdhsa_float_denorm_mode_16_64 3
		.amdhsa_dx10_clamp 1
		.amdhsa_ieee_mode 1
		.amdhsa_fp16_overflow 0
		.amdhsa_tg_split 0
		.amdhsa_exception_fp_ieee_invalid_op 0
		.amdhsa_exception_fp_denorm_src 0
		.amdhsa_exception_fp_ieee_div_zero 0
		.amdhsa_exception_fp_ieee_overflow 0
		.amdhsa_exception_fp_ieee_underflow 0
		.amdhsa_exception_fp_ieee_inexact 0
		.amdhsa_exception_int_div_zero 0
	.end_amdhsa_kernel
	.section	.text._ZN7rocprim17ROCPRIM_400000_NS6detail17trampoline_kernelINS0_13select_configILj256ELj13ELNS0_17block_load_methodE3ELS4_3ELS4_3ELNS0_20block_scan_algorithmE0ELj4294967295EEENS1_25partition_config_selectorILNS1_17partition_subalgoE3EjNS0_10empty_typeEbEEZZNS1_14partition_implILS8_3ELb0ES6_jNS0_17counting_iteratorIjlEEPS9_SE_NS0_5tupleIJPjSE_EEENSF_IJSE_SE_EEES9_SG_JZNS1_25segmented_radix_sort_implINS0_14default_configELb0EPK6__halfPSL_PKlPlN2at6native12_GLOBAL__N_18offset_tEEE10hipError_tPvRmT1_PNSt15iterator_traitsISZ_E10value_typeET2_T3_PNS10_IS15_E10value_typeET4_jRbjT5_S1B_jjP12ihipStream_tbEUljE_EEESW_SX_SY_S15_S19_S1B_T6_T7_T9_mT8_S1D_bDpT10_ENKUlT_T0_E_clISt17integral_constantIbLb0EES1P_IbLb1EEEEDaS1L_S1M_EUlS1L_E_NS1_11comp_targetILNS1_3genE0ELNS1_11target_archE4294967295ELNS1_3gpuE0ELNS1_3repE0EEENS1_30default_config_static_selectorELNS0_4arch9wavefront6targetE1EEEvSZ_,"axG",@progbits,_ZN7rocprim17ROCPRIM_400000_NS6detail17trampoline_kernelINS0_13select_configILj256ELj13ELNS0_17block_load_methodE3ELS4_3ELS4_3ELNS0_20block_scan_algorithmE0ELj4294967295EEENS1_25partition_config_selectorILNS1_17partition_subalgoE3EjNS0_10empty_typeEbEEZZNS1_14partition_implILS8_3ELb0ES6_jNS0_17counting_iteratorIjlEEPS9_SE_NS0_5tupleIJPjSE_EEENSF_IJSE_SE_EEES9_SG_JZNS1_25segmented_radix_sort_implINS0_14default_configELb0EPK6__halfPSL_PKlPlN2at6native12_GLOBAL__N_18offset_tEEE10hipError_tPvRmT1_PNSt15iterator_traitsISZ_E10value_typeET2_T3_PNS10_IS15_E10value_typeET4_jRbjT5_S1B_jjP12ihipStream_tbEUljE_EEESW_SX_SY_S15_S19_S1B_T6_T7_T9_mT8_S1D_bDpT10_ENKUlT_T0_E_clISt17integral_constantIbLb0EES1P_IbLb1EEEEDaS1L_S1M_EUlS1L_E_NS1_11comp_targetILNS1_3genE0ELNS1_11target_archE4294967295ELNS1_3gpuE0ELNS1_3repE0EEENS1_30default_config_static_selectorELNS0_4arch9wavefront6targetE1EEEvSZ_,comdat
.Lfunc_end1832:
	.size	_ZN7rocprim17ROCPRIM_400000_NS6detail17trampoline_kernelINS0_13select_configILj256ELj13ELNS0_17block_load_methodE3ELS4_3ELS4_3ELNS0_20block_scan_algorithmE0ELj4294967295EEENS1_25partition_config_selectorILNS1_17partition_subalgoE3EjNS0_10empty_typeEbEEZZNS1_14partition_implILS8_3ELb0ES6_jNS0_17counting_iteratorIjlEEPS9_SE_NS0_5tupleIJPjSE_EEENSF_IJSE_SE_EEES9_SG_JZNS1_25segmented_radix_sort_implINS0_14default_configELb0EPK6__halfPSL_PKlPlN2at6native12_GLOBAL__N_18offset_tEEE10hipError_tPvRmT1_PNSt15iterator_traitsISZ_E10value_typeET2_T3_PNS10_IS15_E10value_typeET4_jRbjT5_S1B_jjP12ihipStream_tbEUljE_EEESW_SX_SY_S15_S19_S1B_T6_T7_T9_mT8_S1D_bDpT10_ENKUlT_T0_E_clISt17integral_constantIbLb0EES1P_IbLb1EEEEDaS1L_S1M_EUlS1L_E_NS1_11comp_targetILNS1_3genE0ELNS1_11target_archE4294967295ELNS1_3gpuE0ELNS1_3repE0EEENS1_30default_config_static_selectorELNS0_4arch9wavefront6targetE1EEEvSZ_, .Lfunc_end1832-_ZN7rocprim17ROCPRIM_400000_NS6detail17trampoline_kernelINS0_13select_configILj256ELj13ELNS0_17block_load_methodE3ELS4_3ELS4_3ELNS0_20block_scan_algorithmE0ELj4294967295EEENS1_25partition_config_selectorILNS1_17partition_subalgoE3EjNS0_10empty_typeEbEEZZNS1_14partition_implILS8_3ELb0ES6_jNS0_17counting_iteratorIjlEEPS9_SE_NS0_5tupleIJPjSE_EEENSF_IJSE_SE_EEES9_SG_JZNS1_25segmented_radix_sort_implINS0_14default_configELb0EPK6__halfPSL_PKlPlN2at6native12_GLOBAL__N_18offset_tEEE10hipError_tPvRmT1_PNSt15iterator_traitsISZ_E10value_typeET2_T3_PNS10_IS15_E10value_typeET4_jRbjT5_S1B_jjP12ihipStream_tbEUljE_EEESW_SX_SY_S15_S19_S1B_T6_T7_T9_mT8_S1D_bDpT10_ENKUlT_T0_E_clISt17integral_constantIbLb0EES1P_IbLb1EEEEDaS1L_S1M_EUlS1L_E_NS1_11comp_targetILNS1_3genE0ELNS1_11target_archE4294967295ELNS1_3gpuE0ELNS1_3repE0EEENS1_30default_config_static_selectorELNS0_4arch9wavefront6targetE1EEEvSZ_
                                        ; -- End function
	.section	.AMDGPU.csdata,"",@progbits
; Kernel info:
; codeLenInByte = 0
; NumSgprs: 4
; NumVgprs: 0
; NumAgprs: 0
; TotalNumVgprs: 0
; ScratchSize: 0
; MemoryBound: 0
; FloatMode: 240
; IeeeMode: 1
; LDSByteSize: 0 bytes/workgroup (compile time only)
; SGPRBlocks: 0
; VGPRBlocks: 0
; NumSGPRsForWavesPerEU: 4
; NumVGPRsForWavesPerEU: 1
; AccumOffset: 4
; Occupancy: 8
; WaveLimiterHint : 0
; COMPUTE_PGM_RSRC2:SCRATCH_EN: 0
; COMPUTE_PGM_RSRC2:USER_SGPR: 6
; COMPUTE_PGM_RSRC2:TRAP_HANDLER: 0
; COMPUTE_PGM_RSRC2:TGID_X_EN: 1
; COMPUTE_PGM_RSRC2:TGID_Y_EN: 0
; COMPUTE_PGM_RSRC2:TGID_Z_EN: 0
; COMPUTE_PGM_RSRC2:TIDIG_COMP_CNT: 0
; COMPUTE_PGM_RSRC3_GFX90A:ACCUM_OFFSET: 0
; COMPUTE_PGM_RSRC3_GFX90A:TG_SPLIT: 0
	.section	.text._ZN7rocprim17ROCPRIM_400000_NS6detail17trampoline_kernelINS0_13select_configILj256ELj13ELNS0_17block_load_methodE3ELS4_3ELS4_3ELNS0_20block_scan_algorithmE0ELj4294967295EEENS1_25partition_config_selectorILNS1_17partition_subalgoE3EjNS0_10empty_typeEbEEZZNS1_14partition_implILS8_3ELb0ES6_jNS0_17counting_iteratorIjlEEPS9_SE_NS0_5tupleIJPjSE_EEENSF_IJSE_SE_EEES9_SG_JZNS1_25segmented_radix_sort_implINS0_14default_configELb0EPK6__halfPSL_PKlPlN2at6native12_GLOBAL__N_18offset_tEEE10hipError_tPvRmT1_PNSt15iterator_traitsISZ_E10value_typeET2_T3_PNS10_IS15_E10value_typeET4_jRbjT5_S1B_jjP12ihipStream_tbEUljE_EEESW_SX_SY_S15_S19_S1B_T6_T7_T9_mT8_S1D_bDpT10_ENKUlT_T0_E_clISt17integral_constantIbLb0EES1P_IbLb1EEEEDaS1L_S1M_EUlS1L_E_NS1_11comp_targetILNS1_3genE5ELNS1_11target_archE942ELNS1_3gpuE9ELNS1_3repE0EEENS1_30default_config_static_selectorELNS0_4arch9wavefront6targetE1EEEvSZ_,"axG",@progbits,_ZN7rocprim17ROCPRIM_400000_NS6detail17trampoline_kernelINS0_13select_configILj256ELj13ELNS0_17block_load_methodE3ELS4_3ELS4_3ELNS0_20block_scan_algorithmE0ELj4294967295EEENS1_25partition_config_selectorILNS1_17partition_subalgoE3EjNS0_10empty_typeEbEEZZNS1_14partition_implILS8_3ELb0ES6_jNS0_17counting_iteratorIjlEEPS9_SE_NS0_5tupleIJPjSE_EEENSF_IJSE_SE_EEES9_SG_JZNS1_25segmented_radix_sort_implINS0_14default_configELb0EPK6__halfPSL_PKlPlN2at6native12_GLOBAL__N_18offset_tEEE10hipError_tPvRmT1_PNSt15iterator_traitsISZ_E10value_typeET2_T3_PNS10_IS15_E10value_typeET4_jRbjT5_S1B_jjP12ihipStream_tbEUljE_EEESW_SX_SY_S15_S19_S1B_T6_T7_T9_mT8_S1D_bDpT10_ENKUlT_T0_E_clISt17integral_constantIbLb0EES1P_IbLb1EEEEDaS1L_S1M_EUlS1L_E_NS1_11comp_targetILNS1_3genE5ELNS1_11target_archE942ELNS1_3gpuE9ELNS1_3repE0EEENS1_30default_config_static_selectorELNS0_4arch9wavefront6targetE1EEEvSZ_,comdat
	.globl	_ZN7rocprim17ROCPRIM_400000_NS6detail17trampoline_kernelINS0_13select_configILj256ELj13ELNS0_17block_load_methodE3ELS4_3ELS4_3ELNS0_20block_scan_algorithmE0ELj4294967295EEENS1_25partition_config_selectorILNS1_17partition_subalgoE3EjNS0_10empty_typeEbEEZZNS1_14partition_implILS8_3ELb0ES6_jNS0_17counting_iteratorIjlEEPS9_SE_NS0_5tupleIJPjSE_EEENSF_IJSE_SE_EEES9_SG_JZNS1_25segmented_radix_sort_implINS0_14default_configELb0EPK6__halfPSL_PKlPlN2at6native12_GLOBAL__N_18offset_tEEE10hipError_tPvRmT1_PNSt15iterator_traitsISZ_E10value_typeET2_T3_PNS10_IS15_E10value_typeET4_jRbjT5_S1B_jjP12ihipStream_tbEUljE_EEESW_SX_SY_S15_S19_S1B_T6_T7_T9_mT8_S1D_bDpT10_ENKUlT_T0_E_clISt17integral_constantIbLb0EES1P_IbLb1EEEEDaS1L_S1M_EUlS1L_E_NS1_11comp_targetILNS1_3genE5ELNS1_11target_archE942ELNS1_3gpuE9ELNS1_3repE0EEENS1_30default_config_static_selectorELNS0_4arch9wavefront6targetE1EEEvSZ_ ; -- Begin function _ZN7rocprim17ROCPRIM_400000_NS6detail17trampoline_kernelINS0_13select_configILj256ELj13ELNS0_17block_load_methodE3ELS4_3ELS4_3ELNS0_20block_scan_algorithmE0ELj4294967295EEENS1_25partition_config_selectorILNS1_17partition_subalgoE3EjNS0_10empty_typeEbEEZZNS1_14partition_implILS8_3ELb0ES6_jNS0_17counting_iteratorIjlEEPS9_SE_NS0_5tupleIJPjSE_EEENSF_IJSE_SE_EEES9_SG_JZNS1_25segmented_radix_sort_implINS0_14default_configELb0EPK6__halfPSL_PKlPlN2at6native12_GLOBAL__N_18offset_tEEE10hipError_tPvRmT1_PNSt15iterator_traitsISZ_E10value_typeET2_T3_PNS10_IS15_E10value_typeET4_jRbjT5_S1B_jjP12ihipStream_tbEUljE_EEESW_SX_SY_S15_S19_S1B_T6_T7_T9_mT8_S1D_bDpT10_ENKUlT_T0_E_clISt17integral_constantIbLb0EES1P_IbLb1EEEEDaS1L_S1M_EUlS1L_E_NS1_11comp_targetILNS1_3genE5ELNS1_11target_archE942ELNS1_3gpuE9ELNS1_3repE0EEENS1_30default_config_static_selectorELNS0_4arch9wavefront6targetE1EEEvSZ_
	.p2align	8
	.type	_ZN7rocprim17ROCPRIM_400000_NS6detail17trampoline_kernelINS0_13select_configILj256ELj13ELNS0_17block_load_methodE3ELS4_3ELS4_3ELNS0_20block_scan_algorithmE0ELj4294967295EEENS1_25partition_config_selectorILNS1_17partition_subalgoE3EjNS0_10empty_typeEbEEZZNS1_14partition_implILS8_3ELb0ES6_jNS0_17counting_iteratorIjlEEPS9_SE_NS0_5tupleIJPjSE_EEENSF_IJSE_SE_EEES9_SG_JZNS1_25segmented_radix_sort_implINS0_14default_configELb0EPK6__halfPSL_PKlPlN2at6native12_GLOBAL__N_18offset_tEEE10hipError_tPvRmT1_PNSt15iterator_traitsISZ_E10value_typeET2_T3_PNS10_IS15_E10value_typeET4_jRbjT5_S1B_jjP12ihipStream_tbEUljE_EEESW_SX_SY_S15_S19_S1B_T6_T7_T9_mT8_S1D_bDpT10_ENKUlT_T0_E_clISt17integral_constantIbLb0EES1P_IbLb1EEEEDaS1L_S1M_EUlS1L_E_NS1_11comp_targetILNS1_3genE5ELNS1_11target_archE942ELNS1_3gpuE9ELNS1_3repE0EEENS1_30default_config_static_selectorELNS0_4arch9wavefront6targetE1EEEvSZ_,@function
_ZN7rocprim17ROCPRIM_400000_NS6detail17trampoline_kernelINS0_13select_configILj256ELj13ELNS0_17block_load_methodE3ELS4_3ELS4_3ELNS0_20block_scan_algorithmE0ELj4294967295EEENS1_25partition_config_selectorILNS1_17partition_subalgoE3EjNS0_10empty_typeEbEEZZNS1_14partition_implILS8_3ELb0ES6_jNS0_17counting_iteratorIjlEEPS9_SE_NS0_5tupleIJPjSE_EEENSF_IJSE_SE_EEES9_SG_JZNS1_25segmented_radix_sort_implINS0_14default_configELb0EPK6__halfPSL_PKlPlN2at6native12_GLOBAL__N_18offset_tEEE10hipError_tPvRmT1_PNSt15iterator_traitsISZ_E10value_typeET2_T3_PNS10_IS15_E10value_typeET4_jRbjT5_S1B_jjP12ihipStream_tbEUljE_EEESW_SX_SY_S15_S19_S1B_T6_T7_T9_mT8_S1D_bDpT10_ENKUlT_T0_E_clISt17integral_constantIbLb0EES1P_IbLb1EEEEDaS1L_S1M_EUlS1L_E_NS1_11comp_targetILNS1_3genE5ELNS1_11target_archE942ELNS1_3gpuE9ELNS1_3repE0EEENS1_30default_config_static_selectorELNS0_4arch9wavefront6targetE1EEEvSZ_: ; @_ZN7rocprim17ROCPRIM_400000_NS6detail17trampoline_kernelINS0_13select_configILj256ELj13ELNS0_17block_load_methodE3ELS4_3ELS4_3ELNS0_20block_scan_algorithmE0ELj4294967295EEENS1_25partition_config_selectorILNS1_17partition_subalgoE3EjNS0_10empty_typeEbEEZZNS1_14partition_implILS8_3ELb0ES6_jNS0_17counting_iteratorIjlEEPS9_SE_NS0_5tupleIJPjSE_EEENSF_IJSE_SE_EEES9_SG_JZNS1_25segmented_radix_sort_implINS0_14default_configELb0EPK6__halfPSL_PKlPlN2at6native12_GLOBAL__N_18offset_tEEE10hipError_tPvRmT1_PNSt15iterator_traitsISZ_E10value_typeET2_T3_PNS10_IS15_E10value_typeET4_jRbjT5_S1B_jjP12ihipStream_tbEUljE_EEESW_SX_SY_S15_S19_S1B_T6_T7_T9_mT8_S1D_bDpT10_ENKUlT_T0_E_clISt17integral_constantIbLb0EES1P_IbLb1EEEEDaS1L_S1M_EUlS1L_E_NS1_11comp_targetILNS1_3genE5ELNS1_11target_archE942ELNS1_3gpuE9ELNS1_3repE0EEENS1_30default_config_static_selectorELNS0_4arch9wavefront6targetE1EEEvSZ_
; %bb.0:
	.section	.rodata,"a",@progbits
	.p2align	6, 0x0
	.amdhsa_kernel _ZN7rocprim17ROCPRIM_400000_NS6detail17trampoline_kernelINS0_13select_configILj256ELj13ELNS0_17block_load_methodE3ELS4_3ELS4_3ELNS0_20block_scan_algorithmE0ELj4294967295EEENS1_25partition_config_selectorILNS1_17partition_subalgoE3EjNS0_10empty_typeEbEEZZNS1_14partition_implILS8_3ELb0ES6_jNS0_17counting_iteratorIjlEEPS9_SE_NS0_5tupleIJPjSE_EEENSF_IJSE_SE_EEES9_SG_JZNS1_25segmented_radix_sort_implINS0_14default_configELb0EPK6__halfPSL_PKlPlN2at6native12_GLOBAL__N_18offset_tEEE10hipError_tPvRmT1_PNSt15iterator_traitsISZ_E10value_typeET2_T3_PNS10_IS15_E10value_typeET4_jRbjT5_S1B_jjP12ihipStream_tbEUljE_EEESW_SX_SY_S15_S19_S1B_T6_T7_T9_mT8_S1D_bDpT10_ENKUlT_T0_E_clISt17integral_constantIbLb0EES1P_IbLb1EEEEDaS1L_S1M_EUlS1L_E_NS1_11comp_targetILNS1_3genE5ELNS1_11target_archE942ELNS1_3gpuE9ELNS1_3repE0EEENS1_30default_config_static_selectorELNS0_4arch9wavefront6targetE1EEEvSZ_
		.amdhsa_group_segment_fixed_size 0
		.amdhsa_private_segment_fixed_size 0
		.amdhsa_kernarg_size 152
		.amdhsa_user_sgpr_count 6
		.amdhsa_user_sgpr_private_segment_buffer 1
		.amdhsa_user_sgpr_dispatch_ptr 0
		.amdhsa_user_sgpr_queue_ptr 0
		.amdhsa_user_sgpr_kernarg_segment_ptr 1
		.amdhsa_user_sgpr_dispatch_id 0
		.amdhsa_user_sgpr_flat_scratch_init 0
		.amdhsa_user_sgpr_kernarg_preload_length 0
		.amdhsa_user_sgpr_kernarg_preload_offset 0
		.amdhsa_user_sgpr_private_segment_size 0
		.amdhsa_uses_dynamic_stack 0
		.amdhsa_system_sgpr_private_segment_wavefront_offset 0
		.amdhsa_system_sgpr_workgroup_id_x 1
		.amdhsa_system_sgpr_workgroup_id_y 0
		.amdhsa_system_sgpr_workgroup_id_z 0
		.amdhsa_system_sgpr_workgroup_info 0
		.amdhsa_system_vgpr_workitem_id 0
		.amdhsa_next_free_vgpr 1
		.amdhsa_next_free_sgpr 0
		.amdhsa_accum_offset 4
		.amdhsa_reserve_vcc 0
		.amdhsa_reserve_flat_scratch 0
		.amdhsa_float_round_mode_32 0
		.amdhsa_float_round_mode_16_64 0
		.amdhsa_float_denorm_mode_32 3
		.amdhsa_float_denorm_mode_16_64 3
		.amdhsa_dx10_clamp 1
		.amdhsa_ieee_mode 1
		.amdhsa_fp16_overflow 0
		.amdhsa_tg_split 0
		.amdhsa_exception_fp_ieee_invalid_op 0
		.amdhsa_exception_fp_denorm_src 0
		.amdhsa_exception_fp_ieee_div_zero 0
		.amdhsa_exception_fp_ieee_overflow 0
		.amdhsa_exception_fp_ieee_underflow 0
		.amdhsa_exception_fp_ieee_inexact 0
		.amdhsa_exception_int_div_zero 0
	.end_amdhsa_kernel
	.section	.text._ZN7rocprim17ROCPRIM_400000_NS6detail17trampoline_kernelINS0_13select_configILj256ELj13ELNS0_17block_load_methodE3ELS4_3ELS4_3ELNS0_20block_scan_algorithmE0ELj4294967295EEENS1_25partition_config_selectorILNS1_17partition_subalgoE3EjNS0_10empty_typeEbEEZZNS1_14partition_implILS8_3ELb0ES6_jNS0_17counting_iteratorIjlEEPS9_SE_NS0_5tupleIJPjSE_EEENSF_IJSE_SE_EEES9_SG_JZNS1_25segmented_radix_sort_implINS0_14default_configELb0EPK6__halfPSL_PKlPlN2at6native12_GLOBAL__N_18offset_tEEE10hipError_tPvRmT1_PNSt15iterator_traitsISZ_E10value_typeET2_T3_PNS10_IS15_E10value_typeET4_jRbjT5_S1B_jjP12ihipStream_tbEUljE_EEESW_SX_SY_S15_S19_S1B_T6_T7_T9_mT8_S1D_bDpT10_ENKUlT_T0_E_clISt17integral_constantIbLb0EES1P_IbLb1EEEEDaS1L_S1M_EUlS1L_E_NS1_11comp_targetILNS1_3genE5ELNS1_11target_archE942ELNS1_3gpuE9ELNS1_3repE0EEENS1_30default_config_static_selectorELNS0_4arch9wavefront6targetE1EEEvSZ_,"axG",@progbits,_ZN7rocprim17ROCPRIM_400000_NS6detail17trampoline_kernelINS0_13select_configILj256ELj13ELNS0_17block_load_methodE3ELS4_3ELS4_3ELNS0_20block_scan_algorithmE0ELj4294967295EEENS1_25partition_config_selectorILNS1_17partition_subalgoE3EjNS0_10empty_typeEbEEZZNS1_14partition_implILS8_3ELb0ES6_jNS0_17counting_iteratorIjlEEPS9_SE_NS0_5tupleIJPjSE_EEENSF_IJSE_SE_EEES9_SG_JZNS1_25segmented_radix_sort_implINS0_14default_configELb0EPK6__halfPSL_PKlPlN2at6native12_GLOBAL__N_18offset_tEEE10hipError_tPvRmT1_PNSt15iterator_traitsISZ_E10value_typeET2_T3_PNS10_IS15_E10value_typeET4_jRbjT5_S1B_jjP12ihipStream_tbEUljE_EEESW_SX_SY_S15_S19_S1B_T6_T7_T9_mT8_S1D_bDpT10_ENKUlT_T0_E_clISt17integral_constantIbLb0EES1P_IbLb1EEEEDaS1L_S1M_EUlS1L_E_NS1_11comp_targetILNS1_3genE5ELNS1_11target_archE942ELNS1_3gpuE9ELNS1_3repE0EEENS1_30default_config_static_selectorELNS0_4arch9wavefront6targetE1EEEvSZ_,comdat
.Lfunc_end1833:
	.size	_ZN7rocprim17ROCPRIM_400000_NS6detail17trampoline_kernelINS0_13select_configILj256ELj13ELNS0_17block_load_methodE3ELS4_3ELS4_3ELNS0_20block_scan_algorithmE0ELj4294967295EEENS1_25partition_config_selectorILNS1_17partition_subalgoE3EjNS0_10empty_typeEbEEZZNS1_14partition_implILS8_3ELb0ES6_jNS0_17counting_iteratorIjlEEPS9_SE_NS0_5tupleIJPjSE_EEENSF_IJSE_SE_EEES9_SG_JZNS1_25segmented_radix_sort_implINS0_14default_configELb0EPK6__halfPSL_PKlPlN2at6native12_GLOBAL__N_18offset_tEEE10hipError_tPvRmT1_PNSt15iterator_traitsISZ_E10value_typeET2_T3_PNS10_IS15_E10value_typeET4_jRbjT5_S1B_jjP12ihipStream_tbEUljE_EEESW_SX_SY_S15_S19_S1B_T6_T7_T9_mT8_S1D_bDpT10_ENKUlT_T0_E_clISt17integral_constantIbLb0EES1P_IbLb1EEEEDaS1L_S1M_EUlS1L_E_NS1_11comp_targetILNS1_3genE5ELNS1_11target_archE942ELNS1_3gpuE9ELNS1_3repE0EEENS1_30default_config_static_selectorELNS0_4arch9wavefront6targetE1EEEvSZ_, .Lfunc_end1833-_ZN7rocprim17ROCPRIM_400000_NS6detail17trampoline_kernelINS0_13select_configILj256ELj13ELNS0_17block_load_methodE3ELS4_3ELS4_3ELNS0_20block_scan_algorithmE0ELj4294967295EEENS1_25partition_config_selectorILNS1_17partition_subalgoE3EjNS0_10empty_typeEbEEZZNS1_14partition_implILS8_3ELb0ES6_jNS0_17counting_iteratorIjlEEPS9_SE_NS0_5tupleIJPjSE_EEENSF_IJSE_SE_EEES9_SG_JZNS1_25segmented_radix_sort_implINS0_14default_configELb0EPK6__halfPSL_PKlPlN2at6native12_GLOBAL__N_18offset_tEEE10hipError_tPvRmT1_PNSt15iterator_traitsISZ_E10value_typeET2_T3_PNS10_IS15_E10value_typeET4_jRbjT5_S1B_jjP12ihipStream_tbEUljE_EEESW_SX_SY_S15_S19_S1B_T6_T7_T9_mT8_S1D_bDpT10_ENKUlT_T0_E_clISt17integral_constantIbLb0EES1P_IbLb1EEEEDaS1L_S1M_EUlS1L_E_NS1_11comp_targetILNS1_3genE5ELNS1_11target_archE942ELNS1_3gpuE9ELNS1_3repE0EEENS1_30default_config_static_selectorELNS0_4arch9wavefront6targetE1EEEvSZ_
                                        ; -- End function
	.section	.AMDGPU.csdata,"",@progbits
; Kernel info:
; codeLenInByte = 0
; NumSgprs: 4
; NumVgprs: 0
; NumAgprs: 0
; TotalNumVgprs: 0
; ScratchSize: 0
; MemoryBound: 0
; FloatMode: 240
; IeeeMode: 1
; LDSByteSize: 0 bytes/workgroup (compile time only)
; SGPRBlocks: 0
; VGPRBlocks: 0
; NumSGPRsForWavesPerEU: 4
; NumVGPRsForWavesPerEU: 1
; AccumOffset: 4
; Occupancy: 8
; WaveLimiterHint : 0
; COMPUTE_PGM_RSRC2:SCRATCH_EN: 0
; COMPUTE_PGM_RSRC2:USER_SGPR: 6
; COMPUTE_PGM_RSRC2:TRAP_HANDLER: 0
; COMPUTE_PGM_RSRC2:TGID_X_EN: 1
; COMPUTE_PGM_RSRC2:TGID_Y_EN: 0
; COMPUTE_PGM_RSRC2:TGID_Z_EN: 0
; COMPUTE_PGM_RSRC2:TIDIG_COMP_CNT: 0
; COMPUTE_PGM_RSRC3_GFX90A:ACCUM_OFFSET: 0
; COMPUTE_PGM_RSRC3_GFX90A:TG_SPLIT: 0
	.section	.text._ZN7rocprim17ROCPRIM_400000_NS6detail17trampoline_kernelINS0_13select_configILj256ELj13ELNS0_17block_load_methodE3ELS4_3ELS4_3ELNS0_20block_scan_algorithmE0ELj4294967295EEENS1_25partition_config_selectorILNS1_17partition_subalgoE3EjNS0_10empty_typeEbEEZZNS1_14partition_implILS8_3ELb0ES6_jNS0_17counting_iteratorIjlEEPS9_SE_NS0_5tupleIJPjSE_EEENSF_IJSE_SE_EEES9_SG_JZNS1_25segmented_radix_sort_implINS0_14default_configELb0EPK6__halfPSL_PKlPlN2at6native12_GLOBAL__N_18offset_tEEE10hipError_tPvRmT1_PNSt15iterator_traitsISZ_E10value_typeET2_T3_PNS10_IS15_E10value_typeET4_jRbjT5_S1B_jjP12ihipStream_tbEUljE_EEESW_SX_SY_S15_S19_S1B_T6_T7_T9_mT8_S1D_bDpT10_ENKUlT_T0_E_clISt17integral_constantIbLb0EES1P_IbLb1EEEEDaS1L_S1M_EUlS1L_E_NS1_11comp_targetILNS1_3genE4ELNS1_11target_archE910ELNS1_3gpuE8ELNS1_3repE0EEENS1_30default_config_static_selectorELNS0_4arch9wavefront6targetE1EEEvSZ_,"axG",@progbits,_ZN7rocprim17ROCPRIM_400000_NS6detail17trampoline_kernelINS0_13select_configILj256ELj13ELNS0_17block_load_methodE3ELS4_3ELS4_3ELNS0_20block_scan_algorithmE0ELj4294967295EEENS1_25partition_config_selectorILNS1_17partition_subalgoE3EjNS0_10empty_typeEbEEZZNS1_14partition_implILS8_3ELb0ES6_jNS0_17counting_iteratorIjlEEPS9_SE_NS0_5tupleIJPjSE_EEENSF_IJSE_SE_EEES9_SG_JZNS1_25segmented_radix_sort_implINS0_14default_configELb0EPK6__halfPSL_PKlPlN2at6native12_GLOBAL__N_18offset_tEEE10hipError_tPvRmT1_PNSt15iterator_traitsISZ_E10value_typeET2_T3_PNS10_IS15_E10value_typeET4_jRbjT5_S1B_jjP12ihipStream_tbEUljE_EEESW_SX_SY_S15_S19_S1B_T6_T7_T9_mT8_S1D_bDpT10_ENKUlT_T0_E_clISt17integral_constantIbLb0EES1P_IbLb1EEEEDaS1L_S1M_EUlS1L_E_NS1_11comp_targetILNS1_3genE4ELNS1_11target_archE910ELNS1_3gpuE8ELNS1_3repE0EEENS1_30default_config_static_selectorELNS0_4arch9wavefront6targetE1EEEvSZ_,comdat
	.globl	_ZN7rocprim17ROCPRIM_400000_NS6detail17trampoline_kernelINS0_13select_configILj256ELj13ELNS0_17block_load_methodE3ELS4_3ELS4_3ELNS0_20block_scan_algorithmE0ELj4294967295EEENS1_25partition_config_selectorILNS1_17partition_subalgoE3EjNS0_10empty_typeEbEEZZNS1_14partition_implILS8_3ELb0ES6_jNS0_17counting_iteratorIjlEEPS9_SE_NS0_5tupleIJPjSE_EEENSF_IJSE_SE_EEES9_SG_JZNS1_25segmented_radix_sort_implINS0_14default_configELb0EPK6__halfPSL_PKlPlN2at6native12_GLOBAL__N_18offset_tEEE10hipError_tPvRmT1_PNSt15iterator_traitsISZ_E10value_typeET2_T3_PNS10_IS15_E10value_typeET4_jRbjT5_S1B_jjP12ihipStream_tbEUljE_EEESW_SX_SY_S15_S19_S1B_T6_T7_T9_mT8_S1D_bDpT10_ENKUlT_T0_E_clISt17integral_constantIbLb0EES1P_IbLb1EEEEDaS1L_S1M_EUlS1L_E_NS1_11comp_targetILNS1_3genE4ELNS1_11target_archE910ELNS1_3gpuE8ELNS1_3repE0EEENS1_30default_config_static_selectorELNS0_4arch9wavefront6targetE1EEEvSZ_ ; -- Begin function _ZN7rocprim17ROCPRIM_400000_NS6detail17trampoline_kernelINS0_13select_configILj256ELj13ELNS0_17block_load_methodE3ELS4_3ELS4_3ELNS0_20block_scan_algorithmE0ELj4294967295EEENS1_25partition_config_selectorILNS1_17partition_subalgoE3EjNS0_10empty_typeEbEEZZNS1_14partition_implILS8_3ELb0ES6_jNS0_17counting_iteratorIjlEEPS9_SE_NS0_5tupleIJPjSE_EEENSF_IJSE_SE_EEES9_SG_JZNS1_25segmented_radix_sort_implINS0_14default_configELb0EPK6__halfPSL_PKlPlN2at6native12_GLOBAL__N_18offset_tEEE10hipError_tPvRmT1_PNSt15iterator_traitsISZ_E10value_typeET2_T3_PNS10_IS15_E10value_typeET4_jRbjT5_S1B_jjP12ihipStream_tbEUljE_EEESW_SX_SY_S15_S19_S1B_T6_T7_T9_mT8_S1D_bDpT10_ENKUlT_T0_E_clISt17integral_constantIbLb0EES1P_IbLb1EEEEDaS1L_S1M_EUlS1L_E_NS1_11comp_targetILNS1_3genE4ELNS1_11target_archE910ELNS1_3gpuE8ELNS1_3repE0EEENS1_30default_config_static_selectorELNS0_4arch9wavefront6targetE1EEEvSZ_
	.p2align	8
	.type	_ZN7rocprim17ROCPRIM_400000_NS6detail17trampoline_kernelINS0_13select_configILj256ELj13ELNS0_17block_load_methodE3ELS4_3ELS4_3ELNS0_20block_scan_algorithmE0ELj4294967295EEENS1_25partition_config_selectorILNS1_17partition_subalgoE3EjNS0_10empty_typeEbEEZZNS1_14partition_implILS8_3ELb0ES6_jNS0_17counting_iteratorIjlEEPS9_SE_NS0_5tupleIJPjSE_EEENSF_IJSE_SE_EEES9_SG_JZNS1_25segmented_radix_sort_implINS0_14default_configELb0EPK6__halfPSL_PKlPlN2at6native12_GLOBAL__N_18offset_tEEE10hipError_tPvRmT1_PNSt15iterator_traitsISZ_E10value_typeET2_T3_PNS10_IS15_E10value_typeET4_jRbjT5_S1B_jjP12ihipStream_tbEUljE_EEESW_SX_SY_S15_S19_S1B_T6_T7_T9_mT8_S1D_bDpT10_ENKUlT_T0_E_clISt17integral_constantIbLb0EES1P_IbLb1EEEEDaS1L_S1M_EUlS1L_E_NS1_11comp_targetILNS1_3genE4ELNS1_11target_archE910ELNS1_3gpuE8ELNS1_3repE0EEENS1_30default_config_static_selectorELNS0_4arch9wavefront6targetE1EEEvSZ_,@function
_ZN7rocprim17ROCPRIM_400000_NS6detail17trampoline_kernelINS0_13select_configILj256ELj13ELNS0_17block_load_methodE3ELS4_3ELS4_3ELNS0_20block_scan_algorithmE0ELj4294967295EEENS1_25partition_config_selectorILNS1_17partition_subalgoE3EjNS0_10empty_typeEbEEZZNS1_14partition_implILS8_3ELb0ES6_jNS0_17counting_iteratorIjlEEPS9_SE_NS0_5tupleIJPjSE_EEENSF_IJSE_SE_EEES9_SG_JZNS1_25segmented_radix_sort_implINS0_14default_configELb0EPK6__halfPSL_PKlPlN2at6native12_GLOBAL__N_18offset_tEEE10hipError_tPvRmT1_PNSt15iterator_traitsISZ_E10value_typeET2_T3_PNS10_IS15_E10value_typeET4_jRbjT5_S1B_jjP12ihipStream_tbEUljE_EEESW_SX_SY_S15_S19_S1B_T6_T7_T9_mT8_S1D_bDpT10_ENKUlT_T0_E_clISt17integral_constantIbLb0EES1P_IbLb1EEEEDaS1L_S1M_EUlS1L_E_NS1_11comp_targetILNS1_3genE4ELNS1_11target_archE910ELNS1_3gpuE8ELNS1_3repE0EEENS1_30default_config_static_selectorELNS0_4arch9wavefront6targetE1EEEvSZ_: ; @_ZN7rocprim17ROCPRIM_400000_NS6detail17trampoline_kernelINS0_13select_configILj256ELj13ELNS0_17block_load_methodE3ELS4_3ELS4_3ELNS0_20block_scan_algorithmE0ELj4294967295EEENS1_25partition_config_selectorILNS1_17partition_subalgoE3EjNS0_10empty_typeEbEEZZNS1_14partition_implILS8_3ELb0ES6_jNS0_17counting_iteratorIjlEEPS9_SE_NS0_5tupleIJPjSE_EEENSF_IJSE_SE_EEES9_SG_JZNS1_25segmented_radix_sort_implINS0_14default_configELb0EPK6__halfPSL_PKlPlN2at6native12_GLOBAL__N_18offset_tEEE10hipError_tPvRmT1_PNSt15iterator_traitsISZ_E10value_typeET2_T3_PNS10_IS15_E10value_typeET4_jRbjT5_S1B_jjP12ihipStream_tbEUljE_EEESW_SX_SY_S15_S19_S1B_T6_T7_T9_mT8_S1D_bDpT10_ENKUlT_T0_E_clISt17integral_constantIbLb0EES1P_IbLb1EEEEDaS1L_S1M_EUlS1L_E_NS1_11comp_targetILNS1_3genE4ELNS1_11target_archE910ELNS1_3gpuE8ELNS1_3repE0EEENS1_30default_config_static_selectorELNS0_4arch9wavefront6targetE1EEEvSZ_
; %bb.0:
	s_load_dwordx2 s[28:29], s[4:5], 0x10
	s_load_dwordx2 s[24:25], s[4:5], 0x28
	;; [unrolled: 1-line block ×3, first 2 shown]
	s_load_dwordx4 s[20:23], s[4:5], 0x48
	s_load_dword s14, s[4:5], 0x90
	s_load_dwordx2 s[30:31], s[4:5], 0x68
	s_load_dwordx4 s[8:11], s[4:5], 0x80
	v_cmp_eq_u32_e64 s[0:1], 0, v0
	s_and_saveexec_b64 s[2:3], s[0:1]
	s_cbranch_execz .LBB1834_4
; %bb.1:
	s_mov_b64 s[12:13], exec
	v_mbcnt_lo_u32_b32 v1, s12, 0
	v_mbcnt_hi_u32_b32 v1, s13, v1
	v_cmp_eq_u32_e32 vcc, 0, v1
                                        ; implicit-def: $vgpr2
	s_and_saveexec_b64 s[6:7], vcc
	s_cbranch_execz .LBB1834_3
; %bb.2:
	s_load_dwordx2 s[16:17], s[4:5], 0x78
	s_bcnt1_i32_b64 s12, s[12:13]
	v_mov_b32_e32 v2, 0
	v_mov_b32_e32 v3, s12
	s_waitcnt lgkmcnt(0)
	global_atomic_add v2, v2, v3, s[16:17] glc
.LBB1834_3:
	s_or_b64 exec, exec, s[6:7]
	s_waitcnt vmcnt(0)
	v_readfirstlane_b32 s6, v2
	v_add_u32_e32 v1, s6, v1
	v_mov_b32_e32 v2, 0
	ds_write_b32 v2, v1
.LBB1834_4:
	s_or_b64 exec, exec, s[2:3]
	v_mov_b32_e32 v1, 0
	s_load_dword s2, s[4:5], 0x8
	s_load_dword s6, s[4:5], 0x70
	s_waitcnt lgkmcnt(0)
	s_barrier
	ds_read_b32 v2, v1
	s_waitcnt lgkmcnt(0)
	s_barrier
	global_load_dwordx2 v[20:21], v1, s[22:23]
	s_add_i32 s7, s2, s28
	s_movk_i32 s2, 0xd00
	s_add_i32 s4, s6, -1
	s_mulk_i32 s6, 0xd00
	v_mul_lo_u32 v34, v2, s2
	s_add_u32 s2, s28, s6
	v_readfirstlane_b32 s40, v2
	s_addc_u32 s3, s29, 0
	s_cmp_eq_u32 s40, s4
	v_pk_mov_b32 v[2:3], s[26:27], s[26:27] op_sel:[0,1]
	s_cselect_b64 s[22:23], -1, 0
	s_cmp_lg_u32 s40, s4
	v_cmp_lt_u64_e32 vcc, s[2:3], v[2:3]
	s_cselect_b64 s[2:3], -1, 0
	s_or_b64 s[4:5], vcc, s[2:3]
	v_add_u32_e32 v1, s7, v34
	s_mov_b64 s[2:3], -1
	s_and_b64 vcc, exec, s[4:5]
	v_add_u32_e32 v2, v1, v0
	v_lshlrev_b32_e32 v1, 2, v0
	s_cbranch_vccz .LBB1834_6
; %bb.5:
	v_add_u32_e32 v3, 0x100, v2
	v_add_u32_e32 v4, 0x200, v2
	;; [unrolled: 1-line block ×12, first 2 shown]
	ds_write2st64_b32 v1, v2, v3 offset1:4
	ds_write2st64_b32 v1, v4, v5 offset0:8 offset1:12
	ds_write2st64_b32 v1, v6, v7 offset0:16 offset1:20
	ds_write2st64_b32 v1, v8, v9 offset0:24 offset1:28
	ds_write2st64_b32 v1, v10, v11 offset0:32 offset1:36
	ds_write2st64_b32 v1, v12, v13 offset0:40 offset1:44
	ds_write_b32 v1, v14 offset:12288
	s_waitcnt lgkmcnt(0)
	s_barrier
	s_mov_b64 s[2:3], 0
.LBB1834_6:
	s_andn2_b64 vcc, exec, s[2:3]
	s_add_i32 s6, s6, s28
	s_cbranch_vccnz .LBB1834_8
; %bb.7:
	v_add_u32_e32 v3, 0x100, v2
	v_add_u32_e32 v4, 0x200, v2
	;; [unrolled: 1-line block ×12, first 2 shown]
	ds_write2st64_b32 v1, v2, v3 offset1:4
	ds_write2st64_b32 v1, v4, v5 offset0:8 offset1:12
	ds_write2st64_b32 v1, v6, v7 offset0:16 offset1:20
	;; [unrolled: 1-line block ×5, first 2 shown]
	ds_write_b32 v1, v14 offset:12288
	s_waitcnt lgkmcnt(0)
	s_barrier
.LBB1834_8:
	v_mul_u32_u24_e32 v36, 13, v0
	v_lshlrev_b32_e32 v2, 2, v36
	ds_read2_b32 v[32:33], v2 offset1:1
	ds_read2_b32 v[30:31], v2 offset0:2 offset1:3
	ds_read2_b32 v[28:29], v2 offset0:4 offset1:5
	;; [unrolled: 1-line block ×5, first 2 shown]
	ds_read_b32 v35, v2 offset:48
	v_cndmask_b32_e64 v2, 0, 1, s[4:5]
	s_sub_i32 s33, s26, s6
	v_cmp_ne_u32_e64 s[2:3], 1, v2
	s_andn2_b64 vcc, exec, s[4:5]
	s_waitcnt lgkmcnt(0)
	s_barrier
	s_cbranch_vccnz .LBB1834_10
; %bb.9:
	v_add_u32_e32 v2, s9, v32
	v_add_u32_e32 v3, s11, v32
	v_mul_lo_u32 v2, v2, s8
	v_mul_lo_u32 v3, v3, s10
	v_sub_u32_e32 v2, v2, v3
	v_add_u32_e32 v3, s9, v33
	v_add_u32_e32 v4, s11, v33
	v_mul_lo_u32 v3, v3, s8
	v_mul_lo_u32 v4, v4, s10
	v_sub_u32_e32 v3, v3, v4
	;; [unrolled: 5-line block ×6, first 2 shown]
	v_add_u32_e32 v8, s9, v26
	v_add_u32_e32 v9, s11, v26
	v_mul_lo_u32 v8, v8, s8
	v_mul_lo_u32 v9, v9, s10
	v_cmp_lt_u32_e32 vcc, s14, v2
	v_sub_u32_e32 v8, v8, v9
	v_add_u32_e32 v9, s9, v27
	v_add_u32_e32 v10, s11, v27
	v_cndmask_b32_e64 v2, 0, 1, vcc
	v_cmp_lt_u32_e32 vcc, s14, v3
	v_mul_lo_u32 v9, v9, s8
	v_mul_lo_u32 v10, v10, s10
	v_cndmask_b32_e64 v3, 0, 1, vcc
	v_cmp_lt_u32_e32 vcc, s14, v4
	v_sub_u32_e32 v9, v9, v10
	v_add_u32_e32 v10, s9, v24
	v_add_u32_e32 v11, s11, v24
	v_cndmask_b32_e64 v4, 0, 1, vcc
	v_cmp_lt_u32_e32 vcc, s14, v5
	v_mul_lo_u32 v10, v10, s8
	v_mul_lo_u32 v11, v11, s10
	v_cndmask_b32_e64 v5, 0, 1, vcc
	;; [unrolled: 9-line block ×4, first 2 shown]
	v_cmp_lt_u32_e32 vcc, s14, v10
	v_sub_u32_e32 v12, v12, v13
	v_add_u32_e32 v13, s9, v23
	v_add_u32_e32 v14, s11, v23
	v_lshlrev_b16_e32 v3, 8, v3
	v_cndmask_b32_e64 v10, 0, 1, vcc
	v_cmp_lt_u32_e32 vcc, s14, v11
	v_mul_lo_u32 v13, v13, s8
	v_mul_lo_u32 v14, v14, s10
	v_or_b32_e32 v2, v2, v3
	v_lshlrev_b16_e32 v3, 8, v5
	v_cndmask_b32_e64 v11, 0, 1, vcc
	v_cmp_lt_u32_e32 vcc, s14, v12
	v_sub_u32_e32 v13, v13, v14
	v_or_b32_sdwa v3, v4, v3 dst_sel:WORD_1 dst_unused:UNUSED_PAD src0_sel:DWORD src1_sel:DWORD
	v_cndmask_b32_e64 v12, 0, 1, vcc
	v_cmp_lt_u32_e32 vcc, s14, v13
	v_add_u32_e32 v14, s9, v35
	v_add_u32_e32 v15, s11, v35
	v_or_b32_sdwa v40, v2, v3 dst_sel:DWORD dst_unused:UNUSED_PAD src0_sel:WORD_0 src1_sel:DWORD
	v_lshlrev_b16_e32 v2, 8, v7
	v_lshlrev_b16_e32 v3, 8, v9
	v_cndmask_b32_e64 v13, 0, 1, vcc
	v_mul_lo_u32 v14, v14, s8
	v_mul_lo_u32 v15, v15, s10
	v_or_b32_e32 v2, v6, v2
	v_or_b32_sdwa v3, v8, v3 dst_sel:WORD_1 dst_unused:UNUSED_PAD src0_sel:DWORD src1_sel:DWORD
	v_sub_u32_e32 v14, v14, v15
	v_or_b32_sdwa v39, v2, v3 dst_sel:DWORD dst_unused:UNUSED_PAD src0_sel:WORD_0 src1_sel:DWORD
	v_lshlrev_b16_e32 v2, 8, v11
	v_lshlrev_b16_e32 v3, 8, v13
	v_cmp_lt_u32_e32 vcc, s14, v14
	v_or_b32_e32 v2, v10, v2
	v_or_b32_sdwa v3, v12, v3 dst_sel:WORD_1 dst_unused:UNUSED_PAD src0_sel:DWORD src1_sel:DWORD
	v_cndmask_b32_e64 v37, 0, 1, vcc
	v_or_b32_sdwa v38, v2, v3 dst_sel:DWORD dst_unused:UNUSED_PAD src0_sel:WORD_0 src1_sel:DWORD
	s_addk_i32 s33, 0xd00
	s_cbranch_execz .LBB1834_11
	s_branch .LBB1834_38
.LBB1834_10:
                                        ; implicit-def: $vgpr37
                                        ; implicit-def: $vgpr38
                                        ; implicit-def: $vgpr39
                                        ; implicit-def: $vgpr40
	s_addk_i32 s33, 0xd00
.LBB1834_11:
	v_cmp_gt_u32_e32 vcc, s33, v36
	v_mov_b32_e32 v3, 0
	v_mov_b32_e32 v2, 0
	s_and_saveexec_b64 s[4:5], vcc
; %bb.12:
	v_add_u32_e32 v2, s9, v32
	v_add_u32_e32 v4, s11, v32
	v_mul_lo_u32 v2, v2, s8
	v_mul_lo_u32 v4, v4, s10
	v_sub_u32_e32 v2, v2, v4
	v_cmp_lt_u32_e32 vcc, s14, v2
	v_cndmask_b32_e64 v2, 0, 1, vcc
; %bb.13:
	s_or_b64 exec, exec, s[4:5]
	v_add_u32_e32 v4, 1, v36
	v_cmp_gt_u32_e32 vcc, s33, v4
	s_and_saveexec_b64 s[4:5], vcc
; %bb.14:
	v_add_u32_e32 v3, s9, v33
	v_add_u32_e32 v4, s11, v33
	v_mul_lo_u32 v3, v3, s8
	v_mul_lo_u32 v4, v4, s10
	v_sub_u32_e32 v3, v3, v4
	v_cmp_lt_u32_e32 vcc, s14, v3
	v_cndmask_b32_e64 v3, 0, 1, vcc
; %bb.15:
	s_or_b64 exec, exec, s[4:5]
	v_add_u32_e32 v4, 2, v36
	v_cmp_gt_u32_e32 vcc, s33, v4
	v_mov_b32_e32 v5, 0
	v_mov_b32_e32 v4, 0
	s_and_saveexec_b64 s[4:5], vcc
; %bb.16:
	v_add_u32_e32 v4, s9, v30
	v_add_u32_e32 v6, s11, v30
	v_mul_lo_u32 v4, v4, s8
	v_mul_lo_u32 v6, v6, s10
	v_sub_u32_e32 v4, v4, v6
	v_cmp_lt_u32_e32 vcc, s14, v4
	v_cndmask_b32_e64 v4, 0, 1, vcc
; %bb.17:
	s_or_b64 exec, exec, s[4:5]
	v_add_u32_e32 v6, 3, v36
	v_cmp_gt_u32_e32 vcc, s33, v6
	s_and_saveexec_b64 s[4:5], vcc
; %bb.18:
	v_add_u32_e32 v5, s9, v31
	v_add_u32_e32 v6, s11, v31
	v_mul_lo_u32 v5, v5, s8
	v_mul_lo_u32 v6, v6, s10
	v_sub_u32_e32 v5, v5, v6
	v_cmp_lt_u32_e32 vcc, s14, v5
	v_cndmask_b32_e64 v5, 0, 1, vcc
; %bb.19:
	s_or_b64 exec, exec, s[4:5]
	v_add_u32_e32 v6, 4, v36
	;; [unrolled: 28-line block ×6, first 2 shown]
	v_cmp_gt_u32_e32 vcc, s33, v14
	v_mov_b32_e32 v37, 0
	s_and_saveexec_b64 s[4:5], vcc
; %bb.36:
	v_add_u32_e32 v14, s9, v35
	v_add_u32_e32 v15, s11, v35
	v_mul_lo_u32 v14, v14, s8
	v_mul_lo_u32 v15, v15, s10
	v_sub_u32_e32 v14, v14, v15
	v_cmp_lt_u32_e32 vcc, s14, v14
	v_cndmask_b32_e64 v37, 0, 1, vcc
; %bb.37:
	s_or_b64 exec, exec, s[4:5]
	v_lshlrev_b16_e32 v3, 8, v3
	v_or_b32_e32 v2, v2, v3
	v_lshlrev_b16_e32 v3, 8, v5
	v_or_b32_sdwa v3, v4, v3 dst_sel:WORD_1 dst_unused:UNUSED_PAD src0_sel:DWORD src1_sel:DWORD
	v_or_b32_sdwa v40, v2, v3 dst_sel:DWORD dst_unused:UNUSED_PAD src0_sel:WORD_0 src1_sel:DWORD
	v_lshlrev_b16_e32 v2, 8, v7
	v_lshlrev_b16_e32 v3, 8, v9
	v_or_b32_e32 v2, v6, v2
	v_or_b32_sdwa v3, v8, v3 dst_sel:WORD_1 dst_unused:UNUSED_PAD src0_sel:DWORD src1_sel:DWORD
	v_or_b32_sdwa v39, v2, v3 dst_sel:DWORD dst_unused:UNUSED_PAD src0_sel:WORD_0 src1_sel:DWORD
	v_lshlrev_b16_e32 v2, 8, v11
	v_lshlrev_b16_e32 v3, 8, v13
	v_or_b32_e32 v2, v10, v2
	v_or_b32_sdwa v3, v12, v3 dst_sel:WORD_1 dst_unused:UNUSED_PAD src0_sel:DWORD src1_sel:DWORD
	v_or_b32_sdwa v38, v2, v3 dst_sel:DWORD dst_unused:UNUSED_PAD src0_sel:WORD_0 src1_sel:DWORD
.LBB1834_38:
	v_and_b32_e32 v44, 0xff, v40
	v_bfe_u32 v45, v40, 8, 8
	v_bfe_u32 v46, v40, 16, 8
	v_lshrrev_b32_e32 v43, 24, v40
	v_and_b32_e32 v47, 0xff, v39
	v_add3_u32 v3, v45, v44, v46
	v_bfe_u32 v48, v39, 8, 8
	v_bfe_u32 v49, v39, 16, 8
	v_add3_u32 v3, v3, v43, v47
	v_lshrrev_b32_e32 v42, 24, v39
	v_and_b32_e32 v50, 0xff, v38
	v_add3_u32 v3, v3, v48, v49
	v_bfe_u32 v51, v38, 8, 8
	v_bfe_u32 v52, v38, 16, 8
	v_add3_u32 v3, v3, v42, v50
	v_lshrrev_b32_e32 v41, 24, v38
	v_and_b32_e32 v2, 0xff, v37
	v_add3_u32 v3, v3, v51, v52
	v_add3_u32 v55, v3, v41, v2
	v_mbcnt_lo_u32_b32 v2, -1, 0
	v_mbcnt_hi_u32_b32 v53, -1, v2
	v_and_b32_e32 v2, 15, v53
	v_cmp_eq_u32_e64 s[16:17], 0, v2
	v_cmp_lt_u32_e64 s[14:15], 1, v2
	v_cmp_lt_u32_e64 s[12:13], 3, v2
	;; [unrolled: 1-line block ×3, first 2 shown]
	v_and_b32_e32 v2, 16, v53
	v_cmp_eq_u32_e64 s[8:9], 0, v2
	v_or_b32_e32 v2, 63, v0
	s_cmp_lg_u32 s40, 0
	v_cmp_lt_u32_e64 s[4:5], 31, v53
	v_lshrrev_b32_e32 v54, 6, v0
	v_cmp_eq_u32_e64 s[6:7], v2, v0
	s_cbranch_scc0 .LBB1834_65
; %bb.39:
	v_mov_b32_dpp v2, v55 row_shr:1 row_mask:0xf bank_mask:0xf
	v_cndmask_b32_e64 v2, v2, 0, s[16:17]
	v_add_u32_e32 v2, v2, v55
	s_nop 1
	v_mov_b32_dpp v3, v2 row_shr:2 row_mask:0xf bank_mask:0xf
	v_cndmask_b32_e64 v3, 0, v3, s[14:15]
	v_add_u32_e32 v2, v2, v3
	s_nop 1
	;; [unrolled: 4-line block ×4, first 2 shown]
	v_mov_b32_dpp v3, v2 row_bcast:15 row_mask:0xf bank_mask:0xf
	v_cndmask_b32_e64 v3, v3, 0, s[8:9]
	v_add_u32_e32 v2, v2, v3
	s_nop 1
	v_mov_b32_dpp v3, v2 row_bcast:31 row_mask:0xf bank_mask:0xf
	v_cndmask_b32_e64 v3, 0, v3, s[4:5]
	v_add_u32_e32 v2, v2, v3
	s_and_saveexec_b64 s[18:19], s[6:7]
	s_cbranch_execz .LBB1834_41
; %bb.40:
	v_lshlrev_b32_e32 v3, 2, v54
	ds_write_b32 v3, v2
.LBB1834_41:
	s_or_b64 exec, exec, s[18:19]
	v_cmp_gt_u32_e32 vcc, 4, v0
	s_waitcnt lgkmcnt(0)
	s_barrier
	s_and_saveexec_b64 s[18:19], vcc
	s_cbranch_execz .LBB1834_43
; %bb.42:
	ds_read_b32 v3, v1
	v_and_b32_e32 v4, 3, v53
	v_cmp_ne_u32_e32 vcc, 0, v4
	s_waitcnt lgkmcnt(0)
	v_mov_b32_dpp v5, v3 row_shr:1 row_mask:0xf bank_mask:0xf
	v_cndmask_b32_e32 v5, 0, v5, vcc
	v_add_u32_e32 v3, v5, v3
	v_cmp_lt_u32_e32 vcc, 1, v4
	s_nop 0
	v_mov_b32_dpp v5, v3 row_shr:2 row_mask:0xf bank_mask:0xf
	v_cndmask_b32_e32 v4, 0, v5, vcc
	v_add_u32_e32 v3, v3, v4
	ds_write_b32 v1, v3
.LBB1834_43:
	s_or_b64 exec, exec, s[18:19]
	v_cmp_gt_u32_e32 vcc, 64, v0
	v_cmp_lt_u32_e64 s[18:19], 63, v0
	s_waitcnt lgkmcnt(0)
	s_barrier
	s_waitcnt lgkmcnt(0)
                                        ; implicit-def: $vgpr12
	s_and_saveexec_b64 s[34:35], s[18:19]
	s_cbranch_execz .LBB1834_45
; %bb.44:
	v_lshl_add_u32 v3, v54, 2, -4
	ds_read_b32 v12, v3
	s_waitcnt lgkmcnt(0)
	v_add_u32_e32 v2, v12, v2
.LBB1834_45:
	s_or_b64 exec, exec, s[34:35]
	v_add_u32_e32 v3, -1, v53
	v_and_b32_e32 v4, 64, v53
	v_cmp_lt_i32_e64 s[18:19], v3, v4
	v_cndmask_b32_e64 v3, v3, v53, s[18:19]
	v_lshlrev_b32_e32 v3, 2, v3
	ds_bpermute_b32 v13, v3, v2
	v_cmp_eq_u32_e64 s[18:19], 0, v53
	s_and_saveexec_b64 s[34:35], vcc
	s_cbranch_execz .LBB1834_64
; %bb.46:
	v_mov_b32_e32 v9, 0
	ds_read_b32 v2, v9 offset:12
	s_and_saveexec_b64 s[36:37], s[18:19]
	s_cbranch_execz .LBB1834_48
; %bb.47:
	s_add_i32 s38, s40, 64
	s_mov_b32 s39, 0
	s_lshl_b64 s[38:39], s[38:39], 3
	s_add_u32 s38, s30, s38
	v_mov_b32_e32 v3, 1
	s_addc_u32 s39, s31, s39
	s_waitcnt lgkmcnt(0)
	global_store_dwordx2 v9, v[2:3], s[38:39]
.LBB1834_48:
	s_or_b64 exec, exec, s[36:37]
	v_xad_u32 v4, v53, -1, s40
	v_add_u32_e32 v8, 64, v4
	v_lshlrev_b64 v[6:7], 3, v[8:9]
	v_mov_b32_e32 v3, s31
	v_add_co_u32_e32 v10, vcc, s30, v6
	v_addc_co_u32_e32 v11, vcc, v3, v7, vcc
	global_load_dwordx2 v[6:7], v[10:11], off glc
	s_waitcnt vmcnt(0)
	v_cmp_eq_u16_sdwa s[38:39], v7, v9 src0_sel:BYTE_0 src1_sel:DWORD
	s_and_saveexec_b64 s[36:37], s[38:39]
	s_cbranch_execz .LBB1834_52
; %bb.49:
	s_mov_b64 s[38:39], 0
	v_mov_b32_e32 v3, 0
.LBB1834_50:                            ; =>This Inner Loop Header: Depth=1
	global_load_dwordx2 v[6:7], v[10:11], off glc
	s_waitcnt vmcnt(0)
	v_cmp_ne_u16_sdwa s[42:43], v7, v3 src0_sel:BYTE_0 src1_sel:DWORD
	s_or_b64 s[38:39], s[42:43], s[38:39]
	s_andn2_b64 exec, exec, s[38:39]
	s_cbranch_execnz .LBB1834_50
; %bb.51:
	s_or_b64 exec, exec, s[38:39]
.LBB1834_52:
	s_or_b64 exec, exec, s[36:37]
	v_and_b32_e32 v14, 63, v53
	v_mov_b32_e32 v3, 2
	v_cmp_ne_u32_e32 vcc, 63, v14
	v_cmp_eq_u16_sdwa s[36:37], v7, v3 src0_sel:BYTE_0 src1_sel:DWORD
	v_lshlrev_b64 v[8:9], v53, -1
	v_addc_co_u32_e32 v11, vcc, 0, v53, vcc
	v_and_b32_e32 v5, s37, v9
	v_lshlrev_b32_e32 v15, 2, v11
	v_or_b32_e32 v5, 0x80000000, v5
	ds_bpermute_b32 v11, v15, v6
	v_and_b32_e32 v10, s36, v8
	v_ffbl_b32_e32 v5, v5
	v_add_u32_e32 v5, 32, v5
	v_ffbl_b32_e32 v10, v10
	v_min_u32_e32 v5, v10, v5
	v_cmp_lt_u32_e32 vcc, v14, v5
	s_waitcnt lgkmcnt(0)
	v_cndmask_b32_e32 v10, 0, v11, vcc
	v_cmp_gt_u32_e32 vcc, 62, v14
	v_add_u32_e32 v6, v10, v6
	v_cndmask_b32_e64 v10, 0, 1, vcc
	v_lshlrev_b32_e32 v10, 1, v10
	v_add_lshl_u32 v16, v10, v53, 2
	ds_bpermute_b32 v10, v16, v6
	v_add_u32_e32 v17, 2, v14
	v_cmp_le_u32_e32 vcc, v17, v5
	v_add_u32_e32 v19, 4, v14
	v_add_u32_e32 v57, 8, v14
	s_waitcnt lgkmcnt(0)
	v_cndmask_b32_e32 v10, 0, v10, vcc
	v_cmp_gt_u32_e32 vcc, 60, v14
	v_add_u32_e32 v6, v6, v10
	v_cndmask_b32_e64 v10, 0, 1, vcc
	v_lshlrev_b32_e32 v10, 2, v10
	v_add_lshl_u32 v18, v10, v53, 2
	ds_bpermute_b32 v10, v18, v6
	v_cmp_le_u32_e32 vcc, v19, v5
	v_add_u32_e32 v60, 16, v14
	v_add_u32_e32 v62, 32, v14
	s_waitcnt lgkmcnt(0)
	v_cndmask_b32_e32 v10, 0, v10, vcc
	v_cmp_gt_u32_e32 vcc, 56, v14
	v_add_u32_e32 v6, v6, v10
	v_cndmask_b32_e64 v10, 0, 1, vcc
	v_lshlrev_b32_e32 v10, 3, v10
	v_add_lshl_u32 v56, v10, v53, 2
	ds_bpermute_b32 v10, v56, v6
	v_cmp_le_u32_e32 vcc, v57, v5
	s_waitcnt lgkmcnt(0)
	v_cndmask_b32_e32 v10, 0, v10, vcc
	v_cmp_gt_u32_e32 vcc, 48, v14
	v_add_u32_e32 v6, v6, v10
	v_cndmask_b32_e64 v10, 0, 1, vcc
	v_lshlrev_b32_e32 v10, 4, v10
	v_add_lshl_u32 v59, v10, v53, 2
	ds_bpermute_b32 v10, v59, v6
	v_cmp_le_u32_e32 vcc, v60, v5
	s_waitcnt lgkmcnt(0)
	v_cndmask_b32_e32 v10, 0, v10, vcc
	v_cmp_gt_u32_e32 vcc, 32, v14
	v_add_u32_e32 v6, v6, v10
	v_cndmask_b32_e64 v10, 0, 1, vcc
	v_lshlrev_b32_e32 v10, 5, v10
	v_add_lshl_u32 v61, v10, v53, 2
	ds_bpermute_b32 v10, v61, v6
	v_cmp_le_u32_e32 vcc, v62, v5
	s_waitcnt lgkmcnt(0)
	v_cndmask_b32_e32 v5, 0, v10, vcc
	v_add_u32_e32 v6, v6, v5
	v_mov_b32_e32 v5, 0
	s_branch .LBB1834_54
.LBB1834_53:                            ;   in Loop: Header=BB1834_54 Depth=1
	s_or_b64 exec, exec, s[36:37]
	v_cmp_eq_u16_sdwa s[36:37], v7, v3 src0_sel:BYTE_0 src1_sel:DWORD
	v_and_b32_e32 v10, s37, v9
	v_or_b32_e32 v10, 0x80000000, v10
	ds_bpermute_b32 v63, v15, v6
	v_and_b32_e32 v11, s36, v8
	v_ffbl_b32_e32 v10, v10
	v_add_u32_e32 v10, 32, v10
	v_ffbl_b32_e32 v11, v11
	v_min_u32_e32 v10, v11, v10
	v_cmp_lt_u32_e32 vcc, v14, v10
	s_waitcnt lgkmcnt(0)
	v_cndmask_b32_e32 v11, 0, v63, vcc
	v_add_u32_e32 v6, v11, v6
	ds_bpermute_b32 v11, v16, v6
	v_cmp_le_u32_e32 vcc, v17, v10
	v_subrev_u32_e32 v4, 64, v4
	s_waitcnt lgkmcnt(0)
	v_cndmask_b32_e32 v11, 0, v11, vcc
	v_add_u32_e32 v6, v6, v11
	ds_bpermute_b32 v11, v18, v6
	v_cmp_le_u32_e32 vcc, v19, v10
	s_waitcnt lgkmcnt(0)
	v_cndmask_b32_e32 v11, 0, v11, vcc
	v_add_u32_e32 v6, v6, v11
	ds_bpermute_b32 v11, v56, v6
	v_cmp_le_u32_e32 vcc, v57, v10
	;; [unrolled: 5-line block ×4, first 2 shown]
	s_waitcnt lgkmcnt(0)
	v_cndmask_b32_e32 v10, 0, v11, vcc
	v_add3_u32 v6, v10, v58, v6
.LBB1834_54:                            ; =>This Loop Header: Depth=1
                                        ;     Child Loop BB1834_57 Depth 2
	v_cmp_ne_u16_sdwa s[36:37], v7, v3 src0_sel:BYTE_0 src1_sel:DWORD
	v_cndmask_b32_e64 v7, 0, 1, s[36:37]
	;;#ASMSTART
	;;#ASMEND
	v_cmp_ne_u32_e32 vcc, 0, v7
	s_cmp_lg_u64 vcc, exec
	v_mov_b32_e32 v58, v6
	s_cbranch_scc1 .LBB1834_59
; %bb.55:                               ;   in Loop: Header=BB1834_54 Depth=1
	v_lshlrev_b64 v[6:7], 3, v[4:5]
	v_mov_b32_e32 v11, s31
	v_add_co_u32_e32 v10, vcc, s30, v6
	v_addc_co_u32_e32 v11, vcc, v11, v7, vcc
	global_load_dwordx2 v[6:7], v[10:11], off glc
	s_waitcnt vmcnt(0)
	v_cmp_eq_u16_sdwa s[38:39], v7, v5 src0_sel:BYTE_0 src1_sel:DWORD
	s_and_saveexec_b64 s[36:37], s[38:39]
	s_cbranch_execz .LBB1834_53
; %bb.56:                               ;   in Loop: Header=BB1834_54 Depth=1
	s_mov_b64 s[38:39], 0
.LBB1834_57:                            ;   Parent Loop BB1834_54 Depth=1
                                        ; =>  This Inner Loop Header: Depth=2
	global_load_dwordx2 v[6:7], v[10:11], off glc
	s_waitcnt vmcnt(0)
	v_cmp_ne_u16_sdwa s[42:43], v7, v5 src0_sel:BYTE_0 src1_sel:DWORD
	s_or_b64 s[38:39], s[42:43], s[38:39]
	s_andn2_b64 exec, exec, s[38:39]
	s_cbranch_execnz .LBB1834_57
; %bb.58:                               ;   in Loop: Header=BB1834_54 Depth=1
	s_or_b64 exec, exec, s[38:39]
	s_branch .LBB1834_53
.LBB1834_59:                            ;   in Loop: Header=BB1834_54 Depth=1
                                        ; implicit-def: $vgpr6
                                        ; implicit-def: $vgpr7
	s_cbranch_execz .LBB1834_54
; %bb.60:
	s_and_saveexec_b64 s[36:37], s[18:19]
	s_cbranch_execz .LBB1834_62
; %bb.61:
	s_add_i32 s38, s40, 64
	s_mov_b32 s39, 0
	s_lshl_b64 s[38:39], s[38:39], 3
	s_add_u32 s38, s30, s38
	v_add_u32_e32 v4, v58, v2
	v_mov_b32_e32 v5, 2
	s_addc_u32 s39, s31, s39
	v_mov_b32_e32 v3, 0
	global_store_dwordx2 v3, v[4:5], s[38:39]
	s_movk_i32 s38, 0x3400
	v_add_u32_e64 v3, s38, 0
	ds_write2_b32 v3, v2, v58 offset1:2
.LBB1834_62:
	s_or_b64 exec, exec, s[36:37]
	s_and_b64 exec, exec, s[0:1]
	s_cbranch_execz .LBB1834_64
; %bb.63:
	v_mov_b32_e32 v2, 0
	ds_write_b32 v2, v58 offset:12
.LBB1834_64:
	s_or_b64 exec, exec, s[34:35]
	v_mov_b32_e32 v2, 0
	s_waitcnt lgkmcnt(0)
	s_barrier
	ds_read_b32 v2, v2 offset:12
	v_cndmask_b32_e64 v3, v13, v12, s[18:19]
	v_cndmask_b32_e64 v3, v3, 0, s[0:1]
	s_movk_i32 s18, 0x3400
	v_add_u32_e64 v12, s18, 0
	s_waitcnt lgkmcnt(0)
	v_add_u32_e32 v2, v2, v3
	v_add_u32_e32 v3, v2, v44
	;; [unrolled: 1-line block ×9, first 2 shown]
	s_barrier
	ds_read2_b32 v[18:19], v12 offset1:2
	v_add_u32_e32 v11, v10, v50
	v_add_u32_e32 v12, v11, v51
	;; [unrolled: 1-line block ×4, first 2 shown]
	s_branch .LBB1834_75
.LBB1834_65:
                                        ; implicit-def: $vgpr19
                                        ; implicit-def: $vgpr2_vgpr3_vgpr4_vgpr5_vgpr6_vgpr7_vgpr8_vgpr9_vgpr10_vgpr11_vgpr12_vgpr13_vgpr14_vgpr15_vgpr16_vgpr17
	s_cbranch_execz .LBB1834_75
; %bb.66:
	s_nop 0
	v_mov_b32_dpp v2, v55 row_shr:1 row_mask:0xf bank_mask:0xf
	v_cndmask_b32_e64 v2, v2, 0, s[16:17]
	v_add_u32_e32 v2, v2, v55
	s_nop 1
	v_mov_b32_dpp v3, v2 row_shr:2 row_mask:0xf bank_mask:0xf
	v_cndmask_b32_e64 v3, 0, v3, s[14:15]
	v_add_u32_e32 v2, v2, v3
	;; [unrolled: 4-line block ×4, first 2 shown]
	s_nop 1
	v_mov_b32_dpp v3, v2 row_bcast:15 row_mask:0xf bank_mask:0xf
	v_cndmask_b32_e64 v3, v3, 0, s[8:9]
	v_add_u32_e32 v2, v2, v3
	s_nop 1
	v_mov_b32_dpp v3, v2 row_bcast:31 row_mask:0xf bank_mask:0xf
	v_cndmask_b32_e64 v3, 0, v3, s[4:5]
	v_add_u32_e32 v2, v2, v3
	s_and_saveexec_b64 s[4:5], s[6:7]
	s_cbranch_execz .LBB1834_68
; %bb.67:
	v_lshlrev_b32_e32 v3, 2, v54
	ds_write_b32 v3, v2
.LBB1834_68:
	s_or_b64 exec, exec, s[4:5]
	v_cmp_gt_u32_e32 vcc, 4, v0
	s_waitcnt lgkmcnt(0)
	s_barrier
	s_and_saveexec_b64 s[4:5], vcc
	s_cbranch_execz .LBB1834_70
; %bb.69:
	ds_read_b32 v3, v1
	v_and_b32_e32 v4, 3, v53
	v_cmp_ne_u32_e32 vcc, 0, v4
	s_waitcnt lgkmcnt(0)
	v_mov_b32_dpp v5, v3 row_shr:1 row_mask:0xf bank_mask:0xf
	v_cndmask_b32_e32 v5, 0, v5, vcc
	v_add_u32_e32 v3, v5, v3
	v_cmp_lt_u32_e32 vcc, 1, v4
	s_nop 0
	v_mov_b32_dpp v5, v3 row_shr:2 row_mask:0xf bank_mask:0xf
	v_cndmask_b32_e32 v4, 0, v5, vcc
	v_add_u32_e32 v3, v3, v4
	ds_write_b32 v1, v3
.LBB1834_70:
	s_or_b64 exec, exec, s[4:5]
	v_cmp_lt_u32_e32 vcc, 63, v0
	v_mov_b32_e32 v4, 0
	v_mov_b32_e32 v3, 0
	s_waitcnt lgkmcnt(0)
	s_barrier
	s_and_saveexec_b64 s[4:5], vcc
	s_cbranch_execz .LBB1834_72
; %bb.71:
	v_lshl_add_u32 v3, v54, 2, -4
	ds_read_b32 v3, v3
.LBB1834_72:
	s_or_b64 exec, exec, s[4:5]
	v_add_u32_e32 v5, -1, v53
	v_and_b32_e32 v6, 64, v53
	v_cmp_lt_i32_e32 vcc, v5, v6
	v_cndmask_b32_e32 v5, v5, v53, vcc
	s_waitcnt lgkmcnt(0)
	v_add_u32_e32 v2, v3, v2
	v_lshlrev_b32_e32 v5, 2, v5
	ds_bpermute_b32 v2, v5, v2
	ds_read_b32 v18, v4 offset:12
	s_and_saveexec_b64 s[4:5], s[0:1]
	s_cbranch_execz .LBB1834_74
; %bb.73:
	v_mov_b32_e32 v4, 0
	v_mov_b32_e32 v19, 2
	s_waitcnt lgkmcnt(0)
	global_store_dwordx2 v4, v[18:19], s[30:31] offset:512
.LBB1834_74:
	s_or_b64 exec, exec, s[4:5]
	v_cmp_eq_u32_e32 vcc, 0, v53
	s_waitcnt lgkmcnt(1)
	v_cndmask_b32_e32 v2, v2, v3, vcc
	v_cndmask_b32_e64 v2, v2, 0, s[0:1]
	v_add_u32_e32 v3, v2, v44
	v_add_u32_e32 v4, v3, v45
	;; [unrolled: 1-line block ×11, first 2 shown]
	v_mov_b32_e32 v19, 0
	v_add_u32_e32 v14, v13, v41
	s_waitcnt lgkmcnt(0)
	s_barrier
.LBB1834_75:
	s_waitcnt lgkmcnt(0)
	v_add_u32_e32 v36, v18, v36
	v_sub_u32_e32 v2, v2, v19
	v_and_b32_e32 v45, 1, v40
	v_sub_u32_e32 v44, v36, v2
	v_cmp_eq_u32_e32 vcc, 1, v45
	v_cndmask_b32_e32 v2, v44, v2, vcc
	v_lshlrev_b32_e32 v2, 2, v2
	v_lshrrev_b32_e32 v17, 8, v40
	ds_write_b32 v2, v32
	v_sub_u32_e32 v2, v3, v19
	v_sub_u32_e32 v3, v36, v2
	v_and_b32_e32 v17, 1, v17
	v_add_u32_e32 v3, 1, v3
	v_cmp_eq_u32_e32 vcc, 1, v17
	v_cndmask_b32_e32 v2, v3, v2, vcc
	v_lshlrev_b32_e32 v2, 2, v2
	ds_write_b32 v2, v33
	v_sub_u32_e32 v2, v4, v19
	v_mov_b32_e32 v4, 1
	v_sub_u32_e32 v3, v36, v2
	v_and_b32_sdwa v17, v4, v40 dst_sel:DWORD dst_unused:UNUSED_PAD src0_sel:DWORD src1_sel:WORD_1
	v_add_u32_e32 v3, 2, v3
	v_cmp_eq_u32_e32 vcc, 1, v17
	v_cndmask_b32_e32 v2, v3, v2, vcc
	v_lshlrev_b32_e32 v2, 2, v2
	ds_write_b32 v2, v30
	v_sub_u32_e32 v2, v5, v19
	v_sub_u32_e32 v3, v36, v2
	v_and_b32_e32 v5, 1, v43
	v_add_u32_e32 v3, 3, v3
	v_cmp_eq_u32_e32 vcc, 1, v5
	v_cndmask_b32_e32 v2, v3, v2, vcc
	v_lshlrev_b32_e32 v2, 2, v2
	ds_write_b32 v2, v31
	v_sub_u32_e32 v2, v6, v19
	v_sub_u32_e32 v3, v36, v2
	v_and_b32_e32 v5, 1, v39
	v_add_u32_e32 v3, 4, v3
	v_cmp_eq_u32_e32 vcc, 1, v5
	v_cndmask_b32_e32 v2, v3, v2, vcc
	v_lshlrev_b32_e32 v2, 2, v2
	v_lshrrev_b32_e32 v16, 8, v39
	ds_write_b32 v2, v28
	v_sub_u32_e32 v2, v7, v19
	v_sub_u32_e32 v3, v36, v2
	v_and_b32_e32 v5, 1, v16
	v_add_u32_e32 v3, 5, v3
	v_cmp_eq_u32_e32 vcc, 1, v5
	v_cndmask_b32_e32 v2, v3, v2, vcc
	v_lshlrev_b32_e32 v2, 2, v2
	ds_write_b32 v2, v29
	v_sub_u32_e32 v2, v8, v19
	v_sub_u32_e32 v3, v36, v2
	v_and_b32_sdwa v5, v4, v39 dst_sel:DWORD dst_unused:UNUSED_PAD src0_sel:DWORD src1_sel:WORD_1
	v_add_u32_e32 v3, 6, v3
	v_cmp_eq_u32_e32 vcc, 1, v5
	v_cndmask_b32_e32 v2, v3, v2, vcc
	v_lshlrev_b32_e32 v2, 2, v2
	ds_write_b32 v2, v26
	v_sub_u32_e32 v2, v9, v19
	v_sub_u32_e32 v3, v36, v2
	v_and_b32_e32 v5, 1, v42
	v_add_u32_e32 v3, 7, v3
	v_cmp_eq_u32_e32 vcc, 1, v5
	v_cndmask_b32_e32 v2, v3, v2, vcc
	v_lshlrev_b32_e32 v2, 2, v2
	ds_write_b32 v2, v27
	v_sub_u32_e32 v2, v10, v19
	v_sub_u32_e32 v3, v36, v2
	v_and_b32_e32 v5, 1, v38
	v_add_u32_e32 v3, 8, v3
	v_cmp_eq_u32_e32 vcc, 1, v5
	v_cndmask_b32_e32 v2, v3, v2, vcc
	v_lshlrev_b32_e32 v2, 2, v2
	v_lshrrev_b32_e32 v15, 8, v38
	ds_write_b32 v2, v24
	v_sub_u32_e32 v2, v11, v19
	v_sub_u32_e32 v3, v36, v2
	v_and_b32_e32 v5, 1, v15
	v_add_u32_e32 v3, 9, v3
	v_cmp_eq_u32_e32 vcc, 1, v5
	v_cndmask_b32_e32 v2, v3, v2, vcc
	v_lshlrev_b32_e32 v2, 2, v2
	ds_write_b32 v2, v25
	v_sub_u32_e32 v2, v12, v19
	v_sub_u32_e32 v3, v36, v2
	v_and_b32_sdwa v4, v4, v38 dst_sel:DWORD dst_unused:UNUSED_PAD src0_sel:DWORD src1_sel:WORD_1
	v_add_u32_e32 v3, 10, v3
	v_cmp_eq_u32_e32 vcc, 1, v4
	v_cndmask_b32_e32 v2, v3, v2, vcc
	v_lshlrev_b32_e32 v2, 2, v2
	ds_write_b32 v2, v22
	v_sub_u32_e32 v2, v13, v19
	v_sub_u32_e32 v3, v36, v2
	v_and_b32_e32 v4, 1, v41
	v_add_u32_e32 v3, 11, v3
	v_cmp_eq_u32_e32 vcc, 1, v4
	v_cndmask_b32_e32 v2, v3, v2, vcc
	v_lshlrev_b32_e32 v2, 2, v2
	ds_write_b32 v2, v23
	v_sub_u32_e32 v2, v14, v19
	v_sub_u32_e32 v3, v36, v2
	v_and_b32_e32 v4, 1, v37
	v_add_u32_e32 v3, 12, v3
	v_cmp_eq_u32_e32 vcc, 1, v4
	v_cndmask_b32_e32 v2, v3, v2, vcc
	v_lshlrev_b32_e32 v2, 2, v2
	ds_write_b32 v2, v35
	s_waitcnt lgkmcnt(0)
	s_barrier
	ds_read2st64_b32 v[12:13], v1 offset1:4
	ds_read2st64_b32 v[10:11], v1 offset0:8 offset1:12
	ds_read2st64_b32 v[8:9], v1 offset0:16 offset1:20
	;; [unrolled: 1-line block ×5, first 2 shown]
	ds_read_b32 v17, v1 offset:12288
	s_waitcnt vmcnt(0)
	v_add_co_u32_e32 v1, vcc, v20, v19
	v_addc_co_u32_e32 v16, vcc, 0, v21, vcc
	v_mov_b32_e32 v14, s29
	v_add_co_u32_e32 v15, vcc, s28, v34
	v_addc_co_u32_e32 v14, vcc, 0, v14, vcc
	v_mov_b32_e32 v19, s27
	v_sub_co_u32_e32 v15, vcc, s26, v15
	v_subb_co_u32_e32 v14, vcc, v19, v14, vcc
	v_add_co_u32_e32 v15, vcc, v15, v18
	v_addc_co_u32_e32 v14, vcc, 0, v14, vcc
	s_and_b64 vcc, exec, s[2:3]
	v_add_co_u32_e64 v19, s[2:3], v15, v1
	v_or_b32_e32 v33, 0x100, v0
	v_or_b32_e32 v32, 0x200, v0
	;; [unrolled: 1-line block ×12, first 2 shown]
	v_addc_co_u32_e64 v20, s[2:3], v14, v16, s[2:3]
	s_cbranch_vccnz .LBB1834_132
; %bb.76:
	v_cmp_ge_u32_e32 vcc, v0, v18
                                        ; implicit-def: $vgpr14_vgpr15
	s_and_saveexec_b64 s[2:3], vcc
	s_xor_b64 s[2:3], exec, s[2:3]
; %bb.77:
	v_not_b32_e32 v14, v0
	v_ashrrev_i32_e32 v15, 31, v14
	v_add_co_u32_e32 v14, vcc, v19, v14
	v_addc_co_u32_e32 v15, vcc, v20, v15, vcc
; %bb.78:
	s_andn2_saveexec_b64 s[2:3], s[2:3]
; %bb.79:
	v_add_co_u32_e32 v14, vcc, v1, v0
	v_addc_co_u32_e32 v15, vcc, 0, v16, vcc
; %bb.80:
	s_or_b64 exec, exec, s[2:3]
	v_lshlrev_b64 v[14:15], 2, v[14:15]
	v_mov_b32_e32 v21, s25
	v_add_co_u32_e32 v14, vcc, s24, v14
	v_addc_co_u32_e32 v15, vcc, v21, v15, vcc
	v_cmp_ge_u32_e32 vcc, v33, v18
	s_waitcnt lgkmcnt(6)
	global_store_dword v[14:15], v12, off
                                        ; implicit-def: $vgpr14_vgpr15
	s_and_saveexec_b64 s[2:3], vcc
	s_xor_b64 s[2:3], exec, s[2:3]
; %bb.81:
	v_xor_b32_e32 v14, 0xfffffeff, v0
	v_ashrrev_i32_e32 v15, 31, v14
	v_add_co_u32_e32 v14, vcc, v19, v14
	v_addc_co_u32_e32 v15, vcc, v20, v15, vcc
; %bb.82:
	s_andn2_saveexec_b64 s[2:3], s[2:3]
; %bb.83:
	v_add_co_u32_e32 v14, vcc, v1, v33
	v_addc_co_u32_e32 v15, vcc, 0, v16, vcc
; %bb.84:
	s_or_b64 exec, exec, s[2:3]
	v_lshlrev_b64 v[14:15], 2, v[14:15]
	v_mov_b32_e32 v21, s25
	v_add_co_u32_e32 v14, vcc, s24, v14
	v_addc_co_u32_e32 v15, vcc, v21, v15, vcc
	v_cmp_ge_u32_e32 vcc, v32, v18
	global_store_dword v[14:15], v13, off
                                        ; implicit-def: $vgpr14_vgpr15
	s_and_saveexec_b64 s[2:3], vcc
	s_xor_b64 s[2:3], exec, s[2:3]
; %bb.85:
	v_xor_b32_e32 v14, 0xfffffdff, v0
	v_ashrrev_i32_e32 v15, 31, v14
	v_add_co_u32_e32 v14, vcc, v19, v14
	v_addc_co_u32_e32 v15, vcc, v20, v15, vcc
; %bb.86:
	s_andn2_saveexec_b64 s[2:3], s[2:3]
; %bb.87:
	v_add_co_u32_e32 v14, vcc, v1, v32
	v_addc_co_u32_e32 v15, vcc, 0, v16, vcc
; %bb.88:
	s_or_b64 exec, exec, s[2:3]
	v_lshlrev_b64 v[14:15], 2, v[14:15]
	v_mov_b32_e32 v21, s25
	v_add_co_u32_e32 v14, vcc, s24, v14
	v_addc_co_u32_e32 v15, vcc, v21, v15, vcc
	v_cmp_ge_u32_e32 vcc, v31, v18
	s_waitcnt lgkmcnt(5)
	global_store_dword v[14:15], v10, off
                                        ; implicit-def: $vgpr14_vgpr15
	s_and_saveexec_b64 s[2:3], vcc
	s_xor_b64 s[2:3], exec, s[2:3]
; %bb.89:
	v_xor_b32_e32 v14, 0xfffffcff, v0
	v_ashrrev_i32_e32 v15, 31, v14
	v_add_co_u32_e32 v14, vcc, v19, v14
	v_addc_co_u32_e32 v15, vcc, v20, v15, vcc
; %bb.90:
	s_andn2_saveexec_b64 s[2:3], s[2:3]
; %bb.91:
	v_add_co_u32_e32 v14, vcc, v1, v31
	v_addc_co_u32_e32 v15, vcc, 0, v16, vcc
; %bb.92:
	s_or_b64 exec, exec, s[2:3]
	v_lshlrev_b64 v[14:15], 2, v[14:15]
	v_mov_b32_e32 v21, s25
	v_add_co_u32_e32 v14, vcc, s24, v14
	v_addc_co_u32_e32 v15, vcc, v21, v15, vcc
	v_cmp_ge_u32_e32 vcc, v30, v18
	global_store_dword v[14:15], v11, off
                                        ; implicit-def: $vgpr14_vgpr15
	s_and_saveexec_b64 s[2:3], vcc
	s_xor_b64 s[2:3], exec, s[2:3]
; %bb.93:
	v_xor_b32_e32 v14, 0xfffffbff, v0
	;; [unrolled: 43-line block ×6, first 2 shown]
	v_ashrrev_i32_e32 v15, 31, v14
	v_add_co_u32_e32 v14, vcc, v19, v14
	v_addc_co_u32_e32 v15, vcc, v20, v15, vcc
; %bb.126:
	s_andn2_saveexec_b64 s[2:3], s[2:3]
; %bb.127:
	v_add_co_u32_e32 v14, vcc, v1, v22
	v_addc_co_u32_e32 v15, vcc, 0, v16, vcc
; %bb.128:
	s_or_b64 exec, exec, s[2:3]
	s_mov_b64 s[2:3], -1
.LBB1834_129:
	s_and_saveexec_b64 s[4:5], s[2:3]
	s_cbranch_execz .LBB1834_212
.LBB1834_130:
	s_waitcnt lgkmcnt(1)
	v_lshlrev_b64 v[2:3], 2, v[14:15]
	v_mov_b32_e32 v0, s25
	v_add_co_u32_e32 v2, vcc, s24, v2
	v_addc_co_u32_e32 v3, vcc, v0, v3, vcc
	s_waitcnt lgkmcnt(0)
	global_store_dword v[2:3], v17, off
	s_or_b64 exec, exec, s[4:5]
	s_and_b64 s[0:1], s[0:1], s[22:23]
	s_and_saveexec_b64 s[2:3], s[0:1]
	s_cbranch_execnz .LBB1834_213
.LBB1834_131:
	s_endpgm
.LBB1834_132:
	s_mov_b64 s[2:3], 0
                                        ; implicit-def: $vgpr14_vgpr15
	s_cbranch_execz .LBB1834_129
; %bb.133:
	v_cmp_gt_u32_e32 vcc, s33, v0
	s_and_saveexec_b64 s[4:5], vcc
	s_cbranch_execz .LBB1834_169
; %bb.134:
	v_cmp_ge_u32_e32 vcc, v0, v18
                                        ; implicit-def: $vgpr14_vgpr15
	s_and_saveexec_b64 s[6:7], vcc
	s_xor_b64 s[6:7], exec, s[6:7]
; %bb.135:
	v_not_b32_e32 v14, v0
	v_ashrrev_i32_e32 v15, 31, v14
	v_add_co_u32_e32 v14, vcc, v19, v14
	v_addc_co_u32_e32 v15, vcc, v20, v15, vcc
; %bb.136:
	s_andn2_saveexec_b64 s[6:7], s[6:7]
; %bb.137:
	v_add_co_u32_e32 v14, vcc, v1, v0
	v_addc_co_u32_e32 v15, vcc, 0, v16, vcc
; %bb.138:
	s_or_b64 exec, exec, s[6:7]
	v_lshlrev_b64 v[14:15], 2, v[14:15]
	v_mov_b32_e32 v21, s25
	v_add_co_u32_e32 v14, vcc, s24, v14
	v_addc_co_u32_e32 v15, vcc, v21, v15, vcc
	s_waitcnt lgkmcnt(6)
	global_store_dword v[14:15], v12, off
	s_or_b64 exec, exec, s[4:5]
	v_cmp_gt_u32_e32 vcc, s33, v33
	s_and_saveexec_b64 s[4:5], vcc
	s_cbranch_execnz .LBB1834_170
.LBB1834_139:
	s_or_b64 exec, exec, s[4:5]
	v_cmp_gt_u32_e32 vcc, s33, v32
	s_and_saveexec_b64 s[4:5], vcc
	s_cbranch_execz .LBB1834_175
.LBB1834_140:
	v_cmp_ge_u32_e32 vcc, v32, v18
                                        ; implicit-def: $vgpr12_vgpr13
	s_and_saveexec_b64 s[6:7], vcc
	s_xor_b64 s[6:7], exec, s[6:7]
	s_cbranch_execz .LBB1834_142
; %bb.141:
	s_waitcnt lgkmcnt(6)
	v_xor_b32_e32 v12, 0xfffffdff, v0
	v_ashrrev_i32_e32 v13, 31, v12
	v_add_co_u32_e32 v12, vcc, v19, v12
	v_addc_co_u32_e32 v13, vcc, v20, v13, vcc
                                        ; implicit-def: $vgpr32
.LBB1834_142:
	s_andn2_saveexec_b64 s[6:7], s[6:7]
	s_cbranch_execz .LBB1834_144
; %bb.143:
	s_waitcnt lgkmcnt(6)
	v_add_co_u32_e32 v12, vcc, v1, v32
	v_addc_co_u32_e32 v13, vcc, 0, v16, vcc
.LBB1834_144:
	s_or_b64 exec, exec, s[6:7]
	s_waitcnt lgkmcnt(6)
	v_lshlrev_b64 v[12:13], 2, v[12:13]
	v_mov_b32_e32 v14, s25
	v_add_co_u32_e32 v12, vcc, s24, v12
	v_addc_co_u32_e32 v13, vcc, v14, v13, vcc
	s_waitcnt lgkmcnt(5)
	global_store_dword v[12:13], v10, off
	s_or_b64 exec, exec, s[4:5]
	v_cmp_gt_u32_e32 vcc, s33, v31
	s_and_saveexec_b64 s[4:5], vcc
	s_cbranch_execnz .LBB1834_176
.LBB1834_145:
	s_or_b64 exec, exec, s[4:5]
	v_cmp_gt_u32_e32 vcc, s33, v30
	s_and_saveexec_b64 s[4:5], vcc
	s_cbranch_execz .LBB1834_181
.LBB1834_146:
	v_cmp_ge_u32_e32 vcc, v30, v18
                                        ; implicit-def: $vgpr10_vgpr11
	s_and_saveexec_b64 s[6:7], vcc
	s_xor_b64 s[6:7], exec, s[6:7]
	s_cbranch_execz .LBB1834_148
; %bb.147:
	s_waitcnt lgkmcnt(5)
	v_xor_b32_e32 v10, 0xfffffbff, v0
	v_ashrrev_i32_e32 v11, 31, v10
	v_add_co_u32_e32 v10, vcc, v19, v10
	v_addc_co_u32_e32 v11, vcc, v20, v11, vcc
                                        ; implicit-def: $vgpr30
.LBB1834_148:
	s_andn2_saveexec_b64 s[6:7], s[6:7]
	s_cbranch_execz .LBB1834_150
; %bb.149:
	s_waitcnt lgkmcnt(5)
	v_add_co_u32_e32 v10, vcc, v1, v30
	v_addc_co_u32_e32 v11, vcc, 0, v16, vcc
.LBB1834_150:
	s_or_b64 exec, exec, s[6:7]
	s_waitcnt lgkmcnt(5)
	v_lshlrev_b64 v[10:11], 2, v[10:11]
	v_mov_b32_e32 v12, s25
	v_add_co_u32_e32 v10, vcc, s24, v10
	v_addc_co_u32_e32 v11, vcc, v12, v11, vcc
	s_waitcnt lgkmcnt(4)
	global_store_dword v[10:11], v8, off
	s_or_b64 exec, exec, s[4:5]
	v_cmp_gt_u32_e32 vcc, s33, v29
	s_and_saveexec_b64 s[4:5], vcc
	s_cbranch_execnz .LBB1834_182
.LBB1834_151:
	s_or_b64 exec, exec, s[4:5]
	v_cmp_gt_u32_e32 vcc, s33, v28
	s_and_saveexec_b64 s[4:5], vcc
	s_cbranch_execz .LBB1834_187
.LBB1834_152:
	v_cmp_ge_u32_e32 vcc, v28, v18
                                        ; implicit-def: $vgpr8_vgpr9
	s_and_saveexec_b64 s[6:7], vcc
	s_xor_b64 s[6:7], exec, s[6:7]
	s_cbranch_execz .LBB1834_154
; %bb.153:
	s_waitcnt lgkmcnt(4)
	v_xor_b32_e32 v8, 0xfffff9ff, v0
	v_ashrrev_i32_e32 v9, 31, v8
	v_add_co_u32_e32 v8, vcc, v19, v8
	v_addc_co_u32_e32 v9, vcc, v20, v9, vcc
                                        ; implicit-def: $vgpr28
.LBB1834_154:
	s_andn2_saveexec_b64 s[6:7], s[6:7]
	s_cbranch_execz .LBB1834_156
; %bb.155:
	s_waitcnt lgkmcnt(4)
	v_add_co_u32_e32 v8, vcc, v1, v28
	v_addc_co_u32_e32 v9, vcc, 0, v16, vcc
.LBB1834_156:
	s_or_b64 exec, exec, s[6:7]
	s_waitcnt lgkmcnt(4)
	v_lshlrev_b64 v[8:9], 2, v[8:9]
	v_mov_b32_e32 v10, s25
	v_add_co_u32_e32 v8, vcc, s24, v8
	v_addc_co_u32_e32 v9, vcc, v10, v9, vcc
	s_waitcnt lgkmcnt(3)
	global_store_dword v[8:9], v6, off
	s_or_b64 exec, exec, s[4:5]
	v_cmp_gt_u32_e32 vcc, s33, v27
	s_and_saveexec_b64 s[4:5], vcc
	s_cbranch_execnz .LBB1834_188
.LBB1834_157:
	s_or_b64 exec, exec, s[4:5]
	v_cmp_gt_u32_e32 vcc, s33, v26
	s_and_saveexec_b64 s[4:5], vcc
	s_cbranch_execz .LBB1834_193
.LBB1834_158:
	v_cmp_ge_u32_e32 vcc, v26, v18
                                        ; implicit-def: $vgpr6_vgpr7
	s_and_saveexec_b64 s[6:7], vcc
	s_xor_b64 s[6:7], exec, s[6:7]
	s_cbranch_execz .LBB1834_160
; %bb.159:
	s_waitcnt lgkmcnt(3)
	v_xor_b32_e32 v6, 0xfffff7ff, v0
	v_ashrrev_i32_e32 v7, 31, v6
	v_add_co_u32_e32 v6, vcc, v19, v6
	v_addc_co_u32_e32 v7, vcc, v20, v7, vcc
                                        ; implicit-def: $vgpr26
.LBB1834_160:
	s_andn2_saveexec_b64 s[6:7], s[6:7]
	s_cbranch_execz .LBB1834_162
; %bb.161:
	s_waitcnt lgkmcnt(3)
	v_add_co_u32_e32 v6, vcc, v1, v26
	v_addc_co_u32_e32 v7, vcc, 0, v16, vcc
.LBB1834_162:
	s_or_b64 exec, exec, s[6:7]
	s_waitcnt lgkmcnt(3)
	v_lshlrev_b64 v[6:7], 2, v[6:7]
	v_mov_b32_e32 v8, s25
	v_add_co_u32_e32 v6, vcc, s24, v6
	v_addc_co_u32_e32 v7, vcc, v8, v7, vcc
	s_waitcnt lgkmcnt(2)
	global_store_dword v[6:7], v4, off
	s_or_b64 exec, exec, s[4:5]
	v_cmp_gt_u32_e32 vcc, s33, v25
	s_and_saveexec_b64 s[4:5], vcc
	s_cbranch_execnz .LBB1834_194
.LBB1834_163:
	s_or_b64 exec, exec, s[4:5]
	v_cmp_gt_u32_e32 vcc, s33, v24
	s_and_saveexec_b64 s[4:5], vcc
	s_cbranch_execz .LBB1834_199
.LBB1834_164:
	v_cmp_ge_u32_e32 vcc, v24, v18
                                        ; implicit-def: $vgpr4_vgpr5
	s_and_saveexec_b64 s[6:7], vcc
	s_xor_b64 s[6:7], exec, s[6:7]
	s_cbranch_execz .LBB1834_166
; %bb.165:
	s_waitcnt lgkmcnt(2)
	v_xor_b32_e32 v4, 0xfffff5ff, v0
	v_ashrrev_i32_e32 v5, 31, v4
	v_add_co_u32_e32 v4, vcc, v19, v4
	v_addc_co_u32_e32 v5, vcc, v20, v5, vcc
                                        ; implicit-def: $vgpr24
.LBB1834_166:
	s_andn2_saveexec_b64 s[6:7], s[6:7]
	s_cbranch_execz .LBB1834_168
; %bb.167:
	s_waitcnt lgkmcnt(2)
	v_add_co_u32_e32 v4, vcc, v1, v24
	v_addc_co_u32_e32 v5, vcc, 0, v16, vcc
.LBB1834_168:
	s_or_b64 exec, exec, s[6:7]
	s_waitcnt lgkmcnt(2)
	v_lshlrev_b64 v[4:5], 2, v[4:5]
	v_mov_b32_e32 v6, s25
	v_add_co_u32_e32 v4, vcc, s24, v4
	v_addc_co_u32_e32 v5, vcc, v6, v5, vcc
	s_waitcnt lgkmcnt(1)
	global_store_dword v[4:5], v2, off
	s_or_b64 exec, exec, s[4:5]
	v_cmp_gt_u32_e32 vcc, s33, v23
	s_and_saveexec_b64 s[4:5], vcc
	s_cbranch_execz .LBB1834_205
	s_branch .LBB1834_200
.LBB1834_169:
	s_or_b64 exec, exec, s[4:5]
	v_cmp_gt_u32_e32 vcc, s33, v33
	s_and_saveexec_b64 s[4:5], vcc
	s_cbranch_execz .LBB1834_139
.LBB1834_170:
	v_cmp_ge_u32_e32 vcc, v33, v18
                                        ; implicit-def: $vgpr14_vgpr15
	s_and_saveexec_b64 s[6:7], vcc
	s_xor_b64 s[6:7], exec, s[6:7]
	s_cbranch_execz .LBB1834_172
; %bb.171:
	s_waitcnt lgkmcnt(6)
	v_xor_b32_e32 v12, 0xfffffeff, v0
	v_ashrrev_i32_e32 v15, 31, v12
	v_add_co_u32_e32 v14, vcc, v19, v12
	v_addc_co_u32_e32 v15, vcc, v20, v15, vcc
                                        ; implicit-def: $vgpr33
.LBB1834_172:
	s_andn2_saveexec_b64 s[6:7], s[6:7]
; %bb.173:
	v_add_co_u32_e32 v14, vcc, v1, v33
	v_addc_co_u32_e32 v15, vcc, 0, v16, vcc
; %bb.174:
	s_or_b64 exec, exec, s[6:7]
	v_lshlrev_b64 v[14:15], 2, v[14:15]
	s_waitcnt lgkmcnt(6)
	v_mov_b32_e32 v12, s25
	v_add_co_u32_e32 v14, vcc, s24, v14
	v_addc_co_u32_e32 v15, vcc, v12, v15, vcc
	global_store_dword v[14:15], v13, off
	s_or_b64 exec, exec, s[4:5]
	v_cmp_gt_u32_e32 vcc, s33, v32
	s_and_saveexec_b64 s[4:5], vcc
	s_cbranch_execnz .LBB1834_140
.LBB1834_175:
	s_or_b64 exec, exec, s[4:5]
	v_cmp_gt_u32_e32 vcc, s33, v31
	s_and_saveexec_b64 s[4:5], vcc
	s_cbranch_execz .LBB1834_145
.LBB1834_176:
	v_cmp_ge_u32_e32 vcc, v31, v18
                                        ; implicit-def: $vgpr12_vgpr13
	s_and_saveexec_b64 s[6:7], vcc
	s_xor_b64 s[6:7], exec, s[6:7]
	s_cbranch_execz .LBB1834_178
; %bb.177:
	s_waitcnt lgkmcnt(5)
	v_xor_b32_e32 v10, 0xfffffcff, v0
	v_ashrrev_i32_e32 v13, 31, v10
	v_add_co_u32_e32 v12, vcc, v19, v10
	v_addc_co_u32_e32 v13, vcc, v20, v13, vcc
                                        ; implicit-def: $vgpr31
.LBB1834_178:
	s_andn2_saveexec_b64 s[6:7], s[6:7]
	s_cbranch_execz .LBB1834_180
; %bb.179:
	s_waitcnt lgkmcnt(6)
	v_add_co_u32_e32 v12, vcc, v1, v31
	v_addc_co_u32_e32 v13, vcc, 0, v16, vcc
.LBB1834_180:
	s_or_b64 exec, exec, s[6:7]
	s_waitcnt lgkmcnt(6)
	v_lshlrev_b64 v[12:13], 2, v[12:13]
	s_waitcnt lgkmcnt(5)
	v_mov_b32_e32 v10, s25
	v_add_co_u32_e32 v12, vcc, s24, v12
	v_addc_co_u32_e32 v13, vcc, v10, v13, vcc
	global_store_dword v[12:13], v11, off
	s_or_b64 exec, exec, s[4:5]
	v_cmp_gt_u32_e32 vcc, s33, v30
	s_and_saveexec_b64 s[4:5], vcc
	s_cbranch_execnz .LBB1834_146
.LBB1834_181:
	s_or_b64 exec, exec, s[4:5]
	v_cmp_gt_u32_e32 vcc, s33, v29
	s_and_saveexec_b64 s[4:5], vcc
	s_cbranch_execz .LBB1834_151
.LBB1834_182:
	v_cmp_ge_u32_e32 vcc, v29, v18
                                        ; implicit-def: $vgpr10_vgpr11
	s_and_saveexec_b64 s[6:7], vcc
	s_xor_b64 s[6:7], exec, s[6:7]
	s_cbranch_execz .LBB1834_184
; %bb.183:
	s_waitcnt lgkmcnt(4)
	v_xor_b32_e32 v8, 0xfffffaff, v0
	v_ashrrev_i32_e32 v11, 31, v8
	v_add_co_u32_e32 v10, vcc, v19, v8
	v_addc_co_u32_e32 v11, vcc, v20, v11, vcc
                                        ; implicit-def: $vgpr29
.LBB1834_184:
	s_andn2_saveexec_b64 s[6:7], s[6:7]
	s_cbranch_execz .LBB1834_186
; %bb.185:
	s_waitcnt lgkmcnt(5)
	v_add_co_u32_e32 v10, vcc, v1, v29
	v_addc_co_u32_e32 v11, vcc, 0, v16, vcc
.LBB1834_186:
	s_or_b64 exec, exec, s[6:7]
	s_waitcnt lgkmcnt(5)
	v_lshlrev_b64 v[10:11], 2, v[10:11]
	s_waitcnt lgkmcnt(4)
	v_mov_b32_e32 v8, s25
	v_add_co_u32_e32 v10, vcc, s24, v10
	v_addc_co_u32_e32 v11, vcc, v8, v11, vcc
	global_store_dword v[10:11], v9, off
	s_or_b64 exec, exec, s[4:5]
	v_cmp_gt_u32_e32 vcc, s33, v28
	s_and_saveexec_b64 s[4:5], vcc
	s_cbranch_execnz .LBB1834_152
.LBB1834_187:
	s_or_b64 exec, exec, s[4:5]
	v_cmp_gt_u32_e32 vcc, s33, v27
	s_and_saveexec_b64 s[4:5], vcc
	s_cbranch_execz .LBB1834_157
.LBB1834_188:
	v_cmp_ge_u32_e32 vcc, v27, v18
                                        ; implicit-def: $vgpr8_vgpr9
	s_and_saveexec_b64 s[6:7], vcc
	s_xor_b64 s[6:7], exec, s[6:7]
	s_cbranch_execz .LBB1834_190
; %bb.189:
	s_waitcnt lgkmcnt(3)
	v_xor_b32_e32 v6, 0xfffff8ff, v0
	v_ashrrev_i32_e32 v9, 31, v6
	v_add_co_u32_e32 v8, vcc, v19, v6
	v_addc_co_u32_e32 v9, vcc, v20, v9, vcc
                                        ; implicit-def: $vgpr27
.LBB1834_190:
	s_andn2_saveexec_b64 s[6:7], s[6:7]
	s_cbranch_execz .LBB1834_192
; %bb.191:
	s_waitcnt lgkmcnt(4)
	v_add_co_u32_e32 v8, vcc, v1, v27
	v_addc_co_u32_e32 v9, vcc, 0, v16, vcc
.LBB1834_192:
	s_or_b64 exec, exec, s[6:7]
	s_waitcnt lgkmcnt(4)
	v_lshlrev_b64 v[8:9], 2, v[8:9]
	s_waitcnt lgkmcnt(3)
	v_mov_b32_e32 v6, s25
	v_add_co_u32_e32 v8, vcc, s24, v8
	v_addc_co_u32_e32 v9, vcc, v6, v9, vcc
	global_store_dword v[8:9], v7, off
	s_or_b64 exec, exec, s[4:5]
	v_cmp_gt_u32_e32 vcc, s33, v26
	s_and_saveexec_b64 s[4:5], vcc
	s_cbranch_execnz .LBB1834_158
.LBB1834_193:
	s_or_b64 exec, exec, s[4:5]
	v_cmp_gt_u32_e32 vcc, s33, v25
	s_and_saveexec_b64 s[4:5], vcc
	s_cbranch_execz .LBB1834_163
.LBB1834_194:
	v_cmp_ge_u32_e32 vcc, v25, v18
                                        ; implicit-def: $vgpr6_vgpr7
	s_and_saveexec_b64 s[6:7], vcc
	s_xor_b64 s[6:7], exec, s[6:7]
	s_cbranch_execz .LBB1834_196
; %bb.195:
	s_waitcnt lgkmcnt(2)
	v_xor_b32_e32 v4, 0xfffff6ff, v0
	v_ashrrev_i32_e32 v7, 31, v4
	v_add_co_u32_e32 v6, vcc, v19, v4
	v_addc_co_u32_e32 v7, vcc, v20, v7, vcc
                                        ; implicit-def: $vgpr25
.LBB1834_196:
	s_andn2_saveexec_b64 s[6:7], s[6:7]
	s_cbranch_execz .LBB1834_198
; %bb.197:
	s_waitcnt lgkmcnt(3)
	v_add_co_u32_e32 v6, vcc, v1, v25
	v_addc_co_u32_e32 v7, vcc, 0, v16, vcc
.LBB1834_198:
	s_or_b64 exec, exec, s[6:7]
	s_waitcnt lgkmcnt(3)
	v_lshlrev_b64 v[6:7], 2, v[6:7]
	s_waitcnt lgkmcnt(2)
	v_mov_b32_e32 v4, s25
	v_add_co_u32_e32 v6, vcc, s24, v6
	v_addc_co_u32_e32 v7, vcc, v4, v7, vcc
	global_store_dword v[6:7], v5, off
	s_or_b64 exec, exec, s[4:5]
	v_cmp_gt_u32_e32 vcc, s33, v24
	s_and_saveexec_b64 s[4:5], vcc
	s_cbranch_execnz .LBB1834_164
.LBB1834_199:
	s_or_b64 exec, exec, s[4:5]
	v_cmp_gt_u32_e32 vcc, s33, v23
	s_and_saveexec_b64 s[4:5], vcc
	s_cbranch_execz .LBB1834_205
.LBB1834_200:
	v_cmp_ge_u32_e32 vcc, v23, v18
                                        ; implicit-def: $vgpr4_vgpr5
	s_and_saveexec_b64 s[6:7], vcc
	s_xor_b64 s[6:7], exec, s[6:7]
	s_cbranch_execz .LBB1834_202
; %bb.201:
	s_waitcnt lgkmcnt(1)
	v_xor_b32_e32 v2, 0xfffff4ff, v0
	v_ashrrev_i32_e32 v5, 31, v2
	v_add_co_u32_e32 v4, vcc, v19, v2
	v_addc_co_u32_e32 v5, vcc, v20, v5, vcc
                                        ; implicit-def: $vgpr23
.LBB1834_202:
	s_andn2_saveexec_b64 s[6:7], s[6:7]
	s_cbranch_execz .LBB1834_204
; %bb.203:
	s_waitcnt lgkmcnt(2)
	v_add_co_u32_e32 v4, vcc, v1, v23
	v_addc_co_u32_e32 v5, vcc, 0, v16, vcc
.LBB1834_204:
	s_or_b64 exec, exec, s[6:7]
	s_waitcnt lgkmcnt(2)
	v_lshlrev_b64 v[4:5], 2, v[4:5]
	s_waitcnt lgkmcnt(1)
	v_mov_b32_e32 v2, s25
	v_add_co_u32_e32 v4, vcc, s24, v4
	v_addc_co_u32_e32 v5, vcc, v2, v5, vcc
	global_store_dword v[4:5], v3, off
.LBB1834_205:
	s_or_b64 exec, exec, s[4:5]
	v_cmp_gt_u32_e32 vcc, s33, v22
                                        ; implicit-def: $vgpr14_vgpr15
	s_and_saveexec_b64 s[4:5], vcc
	s_cbranch_execz .LBB1834_211
; %bb.206:
	v_cmp_ge_u32_e32 vcc, v22, v18
                                        ; implicit-def: $vgpr14_vgpr15
	s_and_saveexec_b64 s[6:7], vcc
	s_xor_b64 s[6:7], exec, s[6:7]
	s_cbranch_execz .LBB1834_208
; %bb.207:
	v_xor_b32_e32 v0, 0xfffff3ff, v0
	s_waitcnt lgkmcnt(1)
	v_ashrrev_i32_e32 v2, 31, v0
	v_add_co_u32_e32 v14, vcc, v19, v0
	v_addc_co_u32_e32 v15, vcc, v20, v2, vcc
                                        ; implicit-def: $vgpr22
.LBB1834_208:
	s_andn2_saveexec_b64 s[6:7], s[6:7]
; %bb.209:
	v_add_co_u32_e32 v14, vcc, v1, v22
	v_addc_co_u32_e32 v15, vcc, 0, v16, vcc
; %bb.210:
	s_or_b64 exec, exec, s[6:7]
	s_or_b64 s[2:3], s[2:3], exec
.LBB1834_211:
	s_or_b64 exec, exec, s[4:5]
	s_and_saveexec_b64 s[4:5], s[2:3]
	s_cbranch_execnz .LBB1834_130
.LBB1834_212:
	s_or_b64 exec, exec, s[4:5]
	s_and_b64 s[0:1], s[0:1], s[22:23]
	s_and_saveexec_b64 s[2:3], s[0:1]
	s_cbranch_execz .LBB1834_131
.LBB1834_213:
	v_add_co_u32_e32 v0, vcc, v1, v18
	s_waitcnt lgkmcnt(1)
	v_mov_b32_e32 v2, 0
	v_addc_co_u32_e32 v1, vcc, 0, v16, vcc
	global_store_dwordx2 v2, v[0:1], s[20:21]
	s_endpgm
	.section	.rodata,"a",@progbits
	.p2align	6, 0x0
	.amdhsa_kernel _ZN7rocprim17ROCPRIM_400000_NS6detail17trampoline_kernelINS0_13select_configILj256ELj13ELNS0_17block_load_methodE3ELS4_3ELS4_3ELNS0_20block_scan_algorithmE0ELj4294967295EEENS1_25partition_config_selectorILNS1_17partition_subalgoE3EjNS0_10empty_typeEbEEZZNS1_14partition_implILS8_3ELb0ES6_jNS0_17counting_iteratorIjlEEPS9_SE_NS0_5tupleIJPjSE_EEENSF_IJSE_SE_EEES9_SG_JZNS1_25segmented_radix_sort_implINS0_14default_configELb0EPK6__halfPSL_PKlPlN2at6native12_GLOBAL__N_18offset_tEEE10hipError_tPvRmT1_PNSt15iterator_traitsISZ_E10value_typeET2_T3_PNS10_IS15_E10value_typeET4_jRbjT5_S1B_jjP12ihipStream_tbEUljE_EEESW_SX_SY_S15_S19_S1B_T6_T7_T9_mT8_S1D_bDpT10_ENKUlT_T0_E_clISt17integral_constantIbLb0EES1P_IbLb1EEEEDaS1L_S1M_EUlS1L_E_NS1_11comp_targetILNS1_3genE4ELNS1_11target_archE910ELNS1_3gpuE8ELNS1_3repE0EEENS1_30default_config_static_selectorELNS0_4arch9wavefront6targetE1EEEvSZ_
		.amdhsa_group_segment_fixed_size 13324
		.amdhsa_private_segment_fixed_size 0
		.amdhsa_kernarg_size 152
		.amdhsa_user_sgpr_count 6
		.amdhsa_user_sgpr_private_segment_buffer 1
		.amdhsa_user_sgpr_dispatch_ptr 0
		.amdhsa_user_sgpr_queue_ptr 0
		.amdhsa_user_sgpr_kernarg_segment_ptr 1
		.amdhsa_user_sgpr_dispatch_id 0
		.amdhsa_user_sgpr_flat_scratch_init 0
		.amdhsa_user_sgpr_kernarg_preload_length 0
		.amdhsa_user_sgpr_kernarg_preload_offset 0
		.amdhsa_user_sgpr_private_segment_size 0
		.amdhsa_uses_dynamic_stack 0
		.amdhsa_system_sgpr_private_segment_wavefront_offset 0
		.amdhsa_system_sgpr_workgroup_id_x 1
		.amdhsa_system_sgpr_workgroup_id_y 0
		.amdhsa_system_sgpr_workgroup_id_z 0
		.amdhsa_system_sgpr_workgroup_info 0
		.amdhsa_system_vgpr_workitem_id 0
		.amdhsa_next_free_vgpr 64
		.amdhsa_next_free_sgpr 44
		.amdhsa_accum_offset 64
		.amdhsa_reserve_vcc 1
		.amdhsa_reserve_flat_scratch 0
		.amdhsa_float_round_mode_32 0
		.amdhsa_float_round_mode_16_64 0
		.amdhsa_float_denorm_mode_32 3
		.amdhsa_float_denorm_mode_16_64 3
		.amdhsa_dx10_clamp 1
		.amdhsa_ieee_mode 1
		.amdhsa_fp16_overflow 0
		.amdhsa_tg_split 0
		.amdhsa_exception_fp_ieee_invalid_op 0
		.amdhsa_exception_fp_denorm_src 0
		.amdhsa_exception_fp_ieee_div_zero 0
		.amdhsa_exception_fp_ieee_overflow 0
		.amdhsa_exception_fp_ieee_underflow 0
		.amdhsa_exception_fp_ieee_inexact 0
		.amdhsa_exception_int_div_zero 0
	.end_amdhsa_kernel
	.section	.text._ZN7rocprim17ROCPRIM_400000_NS6detail17trampoline_kernelINS0_13select_configILj256ELj13ELNS0_17block_load_methodE3ELS4_3ELS4_3ELNS0_20block_scan_algorithmE0ELj4294967295EEENS1_25partition_config_selectorILNS1_17partition_subalgoE3EjNS0_10empty_typeEbEEZZNS1_14partition_implILS8_3ELb0ES6_jNS0_17counting_iteratorIjlEEPS9_SE_NS0_5tupleIJPjSE_EEENSF_IJSE_SE_EEES9_SG_JZNS1_25segmented_radix_sort_implINS0_14default_configELb0EPK6__halfPSL_PKlPlN2at6native12_GLOBAL__N_18offset_tEEE10hipError_tPvRmT1_PNSt15iterator_traitsISZ_E10value_typeET2_T3_PNS10_IS15_E10value_typeET4_jRbjT5_S1B_jjP12ihipStream_tbEUljE_EEESW_SX_SY_S15_S19_S1B_T6_T7_T9_mT8_S1D_bDpT10_ENKUlT_T0_E_clISt17integral_constantIbLb0EES1P_IbLb1EEEEDaS1L_S1M_EUlS1L_E_NS1_11comp_targetILNS1_3genE4ELNS1_11target_archE910ELNS1_3gpuE8ELNS1_3repE0EEENS1_30default_config_static_selectorELNS0_4arch9wavefront6targetE1EEEvSZ_,"axG",@progbits,_ZN7rocprim17ROCPRIM_400000_NS6detail17trampoline_kernelINS0_13select_configILj256ELj13ELNS0_17block_load_methodE3ELS4_3ELS4_3ELNS0_20block_scan_algorithmE0ELj4294967295EEENS1_25partition_config_selectorILNS1_17partition_subalgoE3EjNS0_10empty_typeEbEEZZNS1_14partition_implILS8_3ELb0ES6_jNS0_17counting_iteratorIjlEEPS9_SE_NS0_5tupleIJPjSE_EEENSF_IJSE_SE_EEES9_SG_JZNS1_25segmented_radix_sort_implINS0_14default_configELb0EPK6__halfPSL_PKlPlN2at6native12_GLOBAL__N_18offset_tEEE10hipError_tPvRmT1_PNSt15iterator_traitsISZ_E10value_typeET2_T3_PNS10_IS15_E10value_typeET4_jRbjT5_S1B_jjP12ihipStream_tbEUljE_EEESW_SX_SY_S15_S19_S1B_T6_T7_T9_mT8_S1D_bDpT10_ENKUlT_T0_E_clISt17integral_constantIbLb0EES1P_IbLb1EEEEDaS1L_S1M_EUlS1L_E_NS1_11comp_targetILNS1_3genE4ELNS1_11target_archE910ELNS1_3gpuE8ELNS1_3repE0EEENS1_30default_config_static_selectorELNS0_4arch9wavefront6targetE1EEEvSZ_,comdat
.Lfunc_end1834:
	.size	_ZN7rocprim17ROCPRIM_400000_NS6detail17trampoline_kernelINS0_13select_configILj256ELj13ELNS0_17block_load_methodE3ELS4_3ELS4_3ELNS0_20block_scan_algorithmE0ELj4294967295EEENS1_25partition_config_selectorILNS1_17partition_subalgoE3EjNS0_10empty_typeEbEEZZNS1_14partition_implILS8_3ELb0ES6_jNS0_17counting_iteratorIjlEEPS9_SE_NS0_5tupleIJPjSE_EEENSF_IJSE_SE_EEES9_SG_JZNS1_25segmented_radix_sort_implINS0_14default_configELb0EPK6__halfPSL_PKlPlN2at6native12_GLOBAL__N_18offset_tEEE10hipError_tPvRmT1_PNSt15iterator_traitsISZ_E10value_typeET2_T3_PNS10_IS15_E10value_typeET4_jRbjT5_S1B_jjP12ihipStream_tbEUljE_EEESW_SX_SY_S15_S19_S1B_T6_T7_T9_mT8_S1D_bDpT10_ENKUlT_T0_E_clISt17integral_constantIbLb0EES1P_IbLb1EEEEDaS1L_S1M_EUlS1L_E_NS1_11comp_targetILNS1_3genE4ELNS1_11target_archE910ELNS1_3gpuE8ELNS1_3repE0EEENS1_30default_config_static_selectorELNS0_4arch9wavefront6targetE1EEEvSZ_, .Lfunc_end1834-_ZN7rocprim17ROCPRIM_400000_NS6detail17trampoline_kernelINS0_13select_configILj256ELj13ELNS0_17block_load_methodE3ELS4_3ELS4_3ELNS0_20block_scan_algorithmE0ELj4294967295EEENS1_25partition_config_selectorILNS1_17partition_subalgoE3EjNS0_10empty_typeEbEEZZNS1_14partition_implILS8_3ELb0ES6_jNS0_17counting_iteratorIjlEEPS9_SE_NS0_5tupleIJPjSE_EEENSF_IJSE_SE_EEES9_SG_JZNS1_25segmented_radix_sort_implINS0_14default_configELb0EPK6__halfPSL_PKlPlN2at6native12_GLOBAL__N_18offset_tEEE10hipError_tPvRmT1_PNSt15iterator_traitsISZ_E10value_typeET2_T3_PNS10_IS15_E10value_typeET4_jRbjT5_S1B_jjP12ihipStream_tbEUljE_EEESW_SX_SY_S15_S19_S1B_T6_T7_T9_mT8_S1D_bDpT10_ENKUlT_T0_E_clISt17integral_constantIbLb0EES1P_IbLb1EEEEDaS1L_S1M_EUlS1L_E_NS1_11comp_targetILNS1_3genE4ELNS1_11target_archE910ELNS1_3gpuE8ELNS1_3repE0EEENS1_30default_config_static_selectorELNS0_4arch9wavefront6targetE1EEEvSZ_
                                        ; -- End function
	.section	.AMDGPU.csdata,"",@progbits
; Kernel info:
; codeLenInByte = 7816
; NumSgprs: 48
; NumVgprs: 64
; NumAgprs: 0
; TotalNumVgprs: 64
; ScratchSize: 0
; MemoryBound: 0
; FloatMode: 240
; IeeeMode: 1
; LDSByteSize: 13324 bytes/workgroup (compile time only)
; SGPRBlocks: 5
; VGPRBlocks: 7
; NumSGPRsForWavesPerEU: 48
; NumVGPRsForWavesPerEU: 64
; AccumOffset: 64
; Occupancy: 4
; WaveLimiterHint : 0
; COMPUTE_PGM_RSRC2:SCRATCH_EN: 0
; COMPUTE_PGM_RSRC2:USER_SGPR: 6
; COMPUTE_PGM_RSRC2:TRAP_HANDLER: 0
; COMPUTE_PGM_RSRC2:TGID_X_EN: 1
; COMPUTE_PGM_RSRC2:TGID_Y_EN: 0
; COMPUTE_PGM_RSRC2:TGID_Z_EN: 0
; COMPUTE_PGM_RSRC2:TIDIG_COMP_CNT: 0
; COMPUTE_PGM_RSRC3_GFX90A:ACCUM_OFFSET: 15
; COMPUTE_PGM_RSRC3_GFX90A:TG_SPLIT: 0
	.section	.text._ZN7rocprim17ROCPRIM_400000_NS6detail17trampoline_kernelINS0_13select_configILj256ELj13ELNS0_17block_load_methodE3ELS4_3ELS4_3ELNS0_20block_scan_algorithmE0ELj4294967295EEENS1_25partition_config_selectorILNS1_17partition_subalgoE3EjNS0_10empty_typeEbEEZZNS1_14partition_implILS8_3ELb0ES6_jNS0_17counting_iteratorIjlEEPS9_SE_NS0_5tupleIJPjSE_EEENSF_IJSE_SE_EEES9_SG_JZNS1_25segmented_radix_sort_implINS0_14default_configELb0EPK6__halfPSL_PKlPlN2at6native12_GLOBAL__N_18offset_tEEE10hipError_tPvRmT1_PNSt15iterator_traitsISZ_E10value_typeET2_T3_PNS10_IS15_E10value_typeET4_jRbjT5_S1B_jjP12ihipStream_tbEUljE_EEESW_SX_SY_S15_S19_S1B_T6_T7_T9_mT8_S1D_bDpT10_ENKUlT_T0_E_clISt17integral_constantIbLb0EES1P_IbLb1EEEEDaS1L_S1M_EUlS1L_E_NS1_11comp_targetILNS1_3genE3ELNS1_11target_archE908ELNS1_3gpuE7ELNS1_3repE0EEENS1_30default_config_static_selectorELNS0_4arch9wavefront6targetE1EEEvSZ_,"axG",@progbits,_ZN7rocprim17ROCPRIM_400000_NS6detail17trampoline_kernelINS0_13select_configILj256ELj13ELNS0_17block_load_methodE3ELS4_3ELS4_3ELNS0_20block_scan_algorithmE0ELj4294967295EEENS1_25partition_config_selectorILNS1_17partition_subalgoE3EjNS0_10empty_typeEbEEZZNS1_14partition_implILS8_3ELb0ES6_jNS0_17counting_iteratorIjlEEPS9_SE_NS0_5tupleIJPjSE_EEENSF_IJSE_SE_EEES9_SG_JZNS1_25segmented_radix_sort_implINS0_14default_configELb0EPK6__halfPSL_PKlPlN2at6native12_GLOBAL__N_18offset_tEEE10hipError_tPvRmT1_PNSt15iterator_traitsISZ_E10value_typeET2_T3_PNS10_IS15_E10value_typeET4_jRbjT5_S1B_jjP12ihipStream_tbEUljE_EEESW_SX_SY_S15_S19_S1B_T6_T7_T9_mT8_S1D_bDpT10_ENKUlT_T0_E_clISt17integral_constantIbLb0EES1P_IbLb1EEEEDaS1L_S1M_EUlS1L_E_NS1_11comp_targetILNS1_3genE3ELNS1_11target_archE908ELNS1_3gpuE7ELNS1_3repE0EEENS1_30default_config_static_selectorELNS0_4arch9wavefront6targetE1EEEvSZ_,comdat
	.globl	_ZN7rocprim17ROCPRIM_400000_NS6detail17trampoline_kernelINS0_13select_configILj256ELj13ELNS0_17block_load_methodE3ELS4_3ELS4_3ELNS0_20block_scan_algorithmE0ELj4294967295EEENS1_25partition_config_selectorILNS1_17partition_subalgoE3EjNS0_10empty_typeEbEEZZNS1_14partition_implILS8_3ELb0ES6_jNS0_17counting_iteratorIjlEEPS9_SE_NS0_5tupleIJPjSE_EEENSF_IJSE_SE_EEES9_SG_JZNS1_25segmented_radix_sort_implINS0_14default_configELb0EPK6__halfPSL_PKlPlN2at6native12_GLOBAL__N_18offset_tEEE10hipError_tPvRmT1_PNSt15iterator_traitsISZ_E10value_typeET2_T3_PNS10_IS15_E10value_typeET4_jRbjT5_S1B_jjP12ihipStream_tbEUljE_EEESW_SX_SY_S15_S19_S1B_T6_T7_T9_mT8_S1D_bDpT10_ENKUlT_T0_E_clISt17integral_constantIbLb0EES1P_IbLb1EEEEDaS1L_S1M_EUlS1L_E_NS1_11comp_targetILNS1_3genE3ELNS1_11target_archE908ELNS1_3gpuE7ELNS1_3repE0EEENS1_30default_config_static_selectorELNS0_4arch9wavefront6targetE1EEEvSZ_ ; -- Begin function _ZN7rocprim17ROCPRIM_400000_NS6detail17trampoline_kernelINS0_13select_configILj256ELj13ELNS0_17block_load_methodE3ELS4_3ELS4_3ELNS0_20block_scan_algorithmE0ELj4294967295EEENS1_25partition_config_selectorILNS1_17partition_subalgoE3EjNS0_10empty_typeEbEEZZNS1_14partition_implILS8_3ELb0ES6_jNS0_17counting_iteratorIjlEEPS9_SE_NS0_5tupleIJPjSE_EEENSF_IJSE_SE_EEES9_SG_JZNS1_25segmented_radix_sort_implINS0_14default_configELb0EPK6__halfPSL_PKlPlN2at6native12_GLOBAL__N_18offset_tEEE10hipError_tPvRmT1_PNSt15iterator_traitsISZ_E10value_typeET2_T3_PNS10_IS15_E10value_typeET4_jRbjT5_S1B_jjP12ihipStream_tbEUljE_EEESW_SX_SY_S15_S19_S1B_T6_T7_T9_mT8_S1D_bDpT10_ENKUlT_T0_E_clISt17integral_constantIbLb0EES1P_IbLb1EEEEDaS1L_S1M_EUlS1L_E_NS1_11comp_targetILNS1_3genE3ELNS1_11target_archE908ELNS1_3gpuE7ELNS1_3repE0EEENS1_30default_config_static_selectorELNS0_4arch9wavefront6targetE1EEEvSZ_
	.p2align	8
	.type	_ZN7rocprim17ROCPRIM_400000_NS6detail17trampoline_kernelINS0_13select_configILj256ELj13ELNS0_17block_load_methodE3ELS4_3ELS4_3ELNS0_20block_scan_algorithmE0ELj4294967295EEENS1_25partition_config_selectorILNS1_17partition_subalgoE3EjNS0_10empty_typeEbEEZZNS1_14partition_implILS8_3ELb0ES6_jNS0_17counting_iteratorIjlEEPS9_SE_NS0_5tupleIJPjSE_EEENSF_IJSE_SE_EEES9_SG_JZNS1_25segmented_radix_sort_implINS0_14default_configELb0EPK6__halfPSL_PKlPlN2at6native12_GLOBAL__N_18offset_tEEE10hipError_tPvRmT1_PNSt15iterator_traitsISZ_E10value_typeET2_T3_PNS10_IS15_E10value_typeET4_jRbjT5_S1B_jjP12ihipStream_tbEUljE_EEESW_SX_SY_S15_S19_S1B_T6_T7_T9_mT8_S1D_bDpT10_ENKUlT_T0_E_clISt17integral_constantIbLb0EES1P_IbLb1EEEEDaS1L_S1M_EUlS1L_E_NS1_11comp_targetILNS1_3genE3ELNS1_11target_archE908ELNS1_3gpuE7ELNS1_3repE0EEENS1_30default_config_static_selectorELNS0_4arch9wavefront6targetE1EEEvSZ_,@function
_ZN7rocprim17ROCPRIM_400000_NS6detail17trampoline_kernelINS0_13select_configILj256ELj13ELNS0_17block_load_methodE3ELS4_3ELS4_3ELNS0_20block_scan_algorithmE0ELj4294967295EEENS1_25partition_config_selectorILNS1_17partition_subalgoE3EjNS0_10empty_typeEbEEZZNS1_14partition_implILS8_3ELb0ES6_jNS0_17counting_iteratorIjlEEPS9_SE_NS0_5tupleIJPjSE_EEENSF_IJSE_SE_EEES9_SG_JZNS1_25segmented_radix_sort_implINS0_14default_configELb0EPK6__halfPSL_PKlPlN2at6native12_GLOBAL__N_18offset_tEEE10hipError_tPvRmT1_PNSt15iterator_traitsISZ_E10value_typeET2_T3_PNS10_IS15_E10value_typeET4_jRbjT5_S1B_jjP12ihipStream_tbEUljE_EEESW_SX_SY_S15_S19_S1B_T6_T7_T9_mT8_S1D_bDpT10_ENKUlT_T0_E_clISt17integral_constantIbLb0EES1P_IbLb1EEEEDaS1L_S1M_EUlS1L_E_NS1_11comp_targetILNS1_3genE3ELNS1_11target_archE908ELNS1_3gpuE7ELNS1_3repE0EEENS1_30default_config_static_selectorELNS0_4arch9wavefront6targetE1EEEvSZ_: ; @_ZN7rocprim17ROCPRIM_400000_NS6detail17trampoline_kernelINS0_13select_configILj256ELj13ELNS0_17block_load_methodE3ELS4_3ELS4_3ELNS0_20block_scan_algorithmE0ELj4294967295EEENS1_25partition_config_selectorILNS1_17partition_subalgoE3EjNS0_10empty_typeEbEEZZNS1_14partition_implILS8_3ELb0ES6_jNS0_17counting_iteratorIjlEEPS9_SE_NS0_5tupleIJPjSE_EEENSF_IJSE_SE_EEES9_SG_JZNS1_25segmented_radix_sort_implINS0_14default_configELb0EPK6__halfPSL_PKlPlN2at6native12_GLOBAL__N_18offset_tEEE10hipError_tPvRmT1_PNSt15iterator_traitsISZ_E10value_typeET2_T3_PNS10_IS15_E10value_typeET4_jRbjT5_S1B_jjP12ihipStream_tbEUljE_EEESW_SX_SY_S15_S19_S1B_T6_T7_T9_mT8_S1D_bDpT10_ENKUlT_T0_E_clISt17integral_constantIbLb0EES1P_IbLb1EEEEDaS1L_S1M_EUlS1L_E_NS1_11comp_targetILNS1_3genE3ELNS1_11target_archE908ELNS1_3gpuE7ELNS1_3repE0EEENS1_30default_config_static_selectorELNS0_4arch9wavefront6targetE1EEEvSZ_
; %bb.0:
	.section	.rodata,"a",@progbits
	.p2align	6, 0x0
	.amdhsa_kernel _ZN7rocprim17ROCPRIM_400000_NS6detail17trampoline_kernelINS0_13select_configILj256ELj13ELNS0_17block_load_methodE3ELS4_3ELS4_3ELNS0_20block_scan_algorithmE0ELj4294967295EEENS1_25partition_config_selectorILNS1_17partition_subalgoE3EjNS0_10empty_typeEbEEZZNS1_14partition_implILS8_3ELb0ES6_jNS0_17counting_iteratorIjlEEPS9_SE_NS0_5tupleIJPjSE_EEENSF_IJSE_SE_EEES9_SG_JZNS1_25segmented_radix_sort_implINS0_14default_configELb0EPK6__halfPSL_PKlPlN2at6native12_GLOBAL__N_18offset_tEEE10hipError_tPvRmT1_PNSt15iterator_traitsISZ_E10value_typeET2_T3_PNS10_IS15_E10value_typeET4_jRbjT5_S1B_jjP12ihipStream_tbEUljE_EEESW_SX_SY_S15_S19_S1B_T6_T7_T9_mT8_S1D_bDpT10_ENKUlT_T0_E_clISt17integral_constantIbLb0EES1P_IbLb1EEEEDaS1L_S1M_EUlS1L_E_NS1_11comp_targetILNS1_3genE3ELNS1_11target_archE908ELNS1_3gpuE7ELNS1_3repE0EEENS1_30default_config_static_selectorELNS0_4arch9wavefront6targetE1EEEvSZ_
		.amdhsa_group_segment_fixed_size 0
		.amdhsa_private_segment_fixed_size 0
		.amdhsa_kernarg_size 152
		.amdhsa_user_sgpr_count 6
		.amdhsa_user_sgpr_private_segment_buffer 1
		.amdhsa_user_sgpr_dispatch_ptr 0
		.amdhsa_user_sgpr_queue_ptr 0
		.amdhsa_user_sgpr_kernarg_segment_ptr 1
		.amdhsa_user_sgpr_dispatch_id 0
		.amdhsa_user_sgpr_flat_scratch_init 0
		.amdhsa_user_sgpr_kernarg_preload_length 0
		.amdhsa_user_sgpr_kernarg_preload_offset 0
		.amdhsa_user_sgpr_private_segment_size 0
		.amdhsa_uses_dynamic_stack 0
		.amdhsa_system_sgpr_private_segment_wavefront_offset 0
		.amdhsa_system_sgpr_workgroup_id_x 1
		.amdhsa_system_sgpr_workgroup_id_y 0
		.amdhsa_system_sgpr_workgroup_id_z 0
		.amdhsa_system_sgpr_workgroup_info 0
		.amdhsa_system_vgpr_workitem_id 0
		.amdhsa_next_free_vgpr 1
		.amdhsa_next_free_sgpr 0
		.amdhsa_accum_offset 4
		.amdhsa_reserve_vcc 0
		.amdhsa_reserve_flat_scratch 0
		.amdhsa_float_round_mode_32 0
		.amdhsa_float_round_mode_16_64 0
		.amdhsa_float_denorm_mode_32 3
		.amdhsa_float_denorm_mode_16_64 3
		.amdhsa_dx10_clamp 1
		.amdhsa_ieee_mode 1
		.amdhsa_fp16_overflow 0
		.amdhsa_tg_split 0
		.amdhsa_exception_fp_ieee_invalid_op 0
		.amdhsa_exception_fp_denorm_src 0
		.amdhsa_exception_fp_ieee_div_zero 0
		.amdhsa_exception_fp_ieee_overflow 0
		.amdhsa_exception_fp_ieee_underflow 0
		.amdhsa_exception_fp_ieee_inexact 0
		.amdhsa_exception_int_div_zero 0
	.end_amdhsa_kernel
	.section	.text._ZN7rocprim17ROCPRIM_400000_NS6detail17trampoline_kernelINS0_13select_configILj256ELj13ELNS0_17block_load_methodE3ELS4_3ELS4_3ELNS0_20block_scan_algorithmE0ELj4294967295EEENS1_25partition_config_selectorILNS1_17partition_subalgoE3EjNS0_10empty_typeEbEEZZNS1_14partition_implILS8_3ELb0ES6_jNS0_17counting_iteratorIjlEEPS9_SE_NS0_5tupleIJPjSE_EEENSF_IJSE_SE_EEES9_SG_JZNS1_25segmented_radix_sort_implINS0_14default_configELb0EPK6__halfPSL_PKlPlN2at6native12_GLOBAL__N_18offset_tEEE10hipError_tPvRmT1_PNSt15iterator_traitsISZ_E10value_typeET2_T3_PNS10_IS15_E10value_typeET4_jRbjT5_S1B_jjP12ihipStream_tbEUljE_EEESW_SX_SY_S15_S19_S1B_T6_T7_T9_mT8_S1D_bDpT10_ENKUlT_T0_E_clISt17integral_constantIbLb0EES1P_IbLb1EEEEDaS1L_S1M_EUlS1L_E_NS1_11comp_targetILNS1_3genE3ELNS1_11target_archE908ELNS1_3gpuE7ELNS1_3repE0EEENS1_30default_config_static_selectorELNS0_4arch9wavefront6targetE1EEEvSZ_,"axG",@progbits,_ZN7rocprim17ROCPRIM_400000_NS6detail17trampoline_kernelINS0_13select_configILj256ELj13ELNS0_17block_load_methodE3ELS4_3ELS4_3ELNS0_20block_scan_algorithmE0ELj4294967295EEENS1_25partition_config_selectorILNS1_17partition_subalgoE3EjNS0_10empty_typeEbEEZZNS1_14partition_implILS8_3ELb0ES6_jNS0_17counting_iteratorIjlEEPS9_SE_NS0_5tupleIJPjSE_EEENSF_IJSE_SE_EEES9_SG_JZNS1_25segmented_radix_sort_implINS0_14default_configELb0EPK6__halfPSL_PKlPlN2at6native12_GLOBAL__N_18offset_tEEE10hipError_tPvRmT1_PNSt15iterator_traitsISZ_E10value_typeET2_T3_PNS10_IS15_E10value_typeET4_jRbjT5_S1B_jjP12ihipStream_tbEUljE_EEESW_SX_SY_S15_S19_S1B_T6_T7_T9_mT8_S1D_bDpT10_ENKUlT_T0_E_clISt17integral_constantIbLb0EES1P_IbLb1EEEEDaS1L_S1M_EUlS1L_E_NS1_11comp_targetILNS1_3genE3ELNS1_11target_archE908ELNS1_3gpuE7ELNS1_3repE0EEENS1_30default_config_static_selectorELNS0_4arch9wavefront6targetE1EEEvSZ_,comdat
.Lfunc_end1835:
	.size	_ZN7rocprim17ROCPRIM_400000_NS6detail17trampoline_kernelINS0_13select_configILj256ELj13ELNS0_17block_load_methodE3ELS4_3ELS4_3ELNS0_20block_scan_algorithmE0ELj4294967295EEENS1_25partition_config_selectorILNS1_17partition_subalgoE3EjNS0_10empty_typeEbEEZZNS1_14partition_implILS8_3ELb0ES6_jNS0_17counting_iteratorIjlEEPS9_SE_NS0_5tupleIJPjSE_EEENSF_IJSE_SE_EEES9_SG_JZNS1_25segmented_radix_sort_implINS0_14default_configELb0EPK6__halfPSL_PKlPlN2at6native12_GLOBAL__N_18offset_tEEE10hipError_tPvRmT1_PNSt15iterator_traitsISZ_E10value_typeET2_T3_PNS10_IS15_E10value_typeET4_jRbjT5_S1B_jjP12ihipStream_tbEUljE_EEESW_SX_SY_S15_S19_S1B_T6_T7_T9_mT8_S1D_bDpT10_ENKUlT_T0_E_clISt17integral_constantIbLb0EES1P_IbLb1EEEEDaS1L_S1M_EUlS1L_E_NS1_11comp_targetILNS1_3genE3ELNS1_11target_archE908ELNS1_3gpuE7ELNS1_3repE0EEENS1_30default_config_static_selectorELNS0_4arch9wavefront6targetE1EEEvSZ_, .Lfunc_end1835-_ZN7rocprim17ROCPRIM_400000_NS6detail17trampoline_kernelINS0_13select_configILj256ELj13ELNS0_17block_load_methodE3ELS4_3ELS4_3ELNS0_20block_scan_algorithmE0ELj4294967295EEENS1_25partition_config_selectorILNS1_17partition_subalgoE3EjNS0_10empty_typeEbEEZZNS1_14partition_implILS8_3ELb0ES6_jNS0_17counting_iteratorIjlEEPS9_SE_NS0_5tupleIJPjSE_EEENSF_IJSE_SE_EEES9_SG_JZNS1_25segmented_radix_sort_implINS0_14default_configELb0EPK6__halfPSL_PKlPlN2at6native12_GLOBAL__N_18offset_tEEE10hipError_tPvRmT1_PNSt15iterator_traitsISZ_E10value_typeET2_T3_PNS10_IS15_E10value_typeET4_jRbjT5_S1B_jjP12ihipStream_tbEUljE_EEESW_SX_SY_S15_S19_S1B_T6_T7_T9_mT8_S1D_bDpT10_ENKUlT_T0_E_clISt17integral_constantIbLb0EES1P_IbLb1EEEEDaS1L_S1M_EUlS1L_E_NS1_11comp_targetILNS1_3genE3ELNS1_11target_archE908ELNS1_3gpuE7ELNS1_3repE0EEENS1_30default_config_static_selectorELNS0_4arch9wavefront6targetE1EEEvSZ_
                                        ; -- End function
	.section	.AMDGPU.csdata,"",@progbits
; Kernel info:
; codeLenInByte = 0
; NumSgprs: 4
; NumVgprs: 0
; NumAgprs: 0
; TotalNumVgprs: 0
; ScratchSize: 0
; MemoryBound: 0
; FloatMode: 240
; IeeeMode: 1
; LDSByteSize: 0 bytes/workgroup (compile time only)
; SGPRBlocks: 0
; VGPRBlocks: 0
; NumSGPRsForWavesPerEU: 4
; NumVGPRsForWavesPerEU: 1
; AccumOffset: 4
; Occupancy: 8
; WaveLimiterHint : 0
; COMPUTE_PGM_RSRC2:SCRATCH_EN: 0
; COMPUTE_PGM_RSRC2:USER_SGPR: 6
; COMPUTE_PGM_RSRC2:TRAP_HANDLER: 0
; COMPUTE_PGM_RSRC2:TGID_X_EN: 1
; COMPUTE_PGM_RSRC2:TGID_Y_EN: 0
; COMPUTE_PGM_RSRC2:TGID_Z_EN: 0
; COMPUTE_PGM_RSRC2:TIDIG_COMP_CNT: 0
; COMPUTE_PGM_RSRC3_GFX90A:ACCUM_OFFSET: 0
; COMPUTE_PGM_RSRC3_GFX90A:TG_SPLIT: 0
	.section	.text._ZN7rocprim17ROCPRIM_400000_NS6detail17trampoline_kernelINS0_13select_configILj256ELj13ELNS0_17block_load_methodE3ELS4_3ELS4_3ELNS0_20block_scan_algorithmE0ELj4294967295EEENS1_25partition_config_selectorILNS1_17partition_subalgoE3EjNS0_10empty_typeEbEEZZNS1_14partition_implILS8_3ELb0ES6_jNS0_17counting_iteratorIjlEEPS9_SE_NS0_5tupleIJPjSE_EEENSF_IJSE_SE_EEES9_SG_JZNS1_25segmented_radix_sort_implINS0_14default_configELb0EPK6__halfPSL_PKlPlN2at6native12_GLOBAL__N_18offset_tEEE10hipError_tPvRmT1_PNSt15iterator_traitsISZ_E10value_typeET2_T3_PNS10_IS15_E10value_typeET4_jRbjT5_S1B_jjP12ihipStream_tbEUljE_EEESW_SX_SY_S15_S19_S1B_T6_T7_T9_mT8_S1D_bDpT10_ENKUlT_T0_E_clISt17integral_constantIbLb0EES1P_IbLb1EEEEDaS1L_S1M_EUlS1L_E_NS1_11comp_targetILNS1_3genE2ELNS1_11target_archE906ELNS1_3gpuE6ELNS1_3repE0EEENS1_30default_config_static_selectorELNS0_4arch9wavefront6targetE1EEEvSZ_,"axG",@progbits,_ZN7rocprim17ROCPRIM_400000_NS6detail17trampoline_kernelINS0_13select_configILj256ELj13ELNS0_17block_load_methodE3ELS4_3ELS4_3ELNS0_20block_scan_algorithmE0ELj4294967295EEENS1_25partition_config_selectorILNS1_17partition_subalgoE3EjNS0_10empty_typeEbEEZZNS1_14partition_implILS8_3ELb0ES6_jNS0_17counting_iteratorIjlEEPS9_SE_NS0_5tupleIJPjSE_EEENSF_IJSE_SE_EEES9_SG_JZNS1_25segmented_radix_sort_implINS0_14default_configELb0EPK6__halfPSL_PKlPlN2at6native12_GLOBAL__N_18offset_tEEE10hipError_tPvRmT1_PNSt15iterator_traitsISZ_E10value_typeET2_T3_PNS10_IS15_E10value_typeET4_jRbjT5_S1B_jjP12ihipStream_tbEUljE_EEESW_SX_SY_S15_S19_S1B_T6_T7_T9_mT8_S1D_bDpT10_ENKUlT_T0_E_clISt17integral_constantIbLb0EES1P_IbLb1EEEEDaS1L_S1M_EUlS1L_E_NS1_11comp_targetILNS1_3genE2ELNS1_11target_archE906ELNS1_3gpuE6ELNS1_3repE0EEENS1_30default_config_static_selectorELNS0_4arch9wavefront6targetE1EEEvSZ_,comdat
	.globl	_ZN7rocprim17ROCPRIM_400000_NS6detail17trampoline_kernelINS0_13select_configILj256ELj13ELNS0_17block_load_methodE3ELS4_3ELS4_3ELNS0_20block_scan_algorithmE0ELj4294967295EEENS1_25partition_config_selectorILNS1_17partition_subalgoE3EjNS0_10empty_typeEbEEZZNS1_14partition_implILS8_3ELb0ES6_jNS0_17counting_iteratorIjlEEPS9_SE_NS0_5tupleIJPjSE_EEENSF_IJSE_SE_EEES9_SG_JZNS1_25segmented_radix_sort_implINS0_14default_configELb0EPK6__halfPSL_PKlPlN2at6native12_GLOBAL__N_18offset_tEEE10hipError_tPvRmT1_PNSt15iterator_traitsISZ_E10value_typeET2_T3_PNS10_IS15_E10value_typeET4_jRbjT5_S1B_jjP12ihipStream_tbEUljE_EEESW_SX_SY_S15_S19_S1B_T6_T7_T9_mT8_S1D_bDpT10_ENKUlT_T0_E_clISt17integral_constantIbLb0EES1P_IbLb1EEEEDaS1L_S1M_EUlS1L_E_NS1_11comp_targetILNS1_3genE2ELNS1_11target_archE906ELNS1_3gpuE6ELNS1_3repE0EEENS1_30default_config_static_selectorELNS0_4arch9wavefront6targetE1EEEvSZ_ ; -- Begin function _ZN7rocprim17ROCPRIM_400000_NS6detail17trampoline_kernelINS0_13select_configILj256ELj13ELNS0_17block_load_methodE3ELS4_3ELS4_3ELNS0_20block_scan_algorithmE0ELj4294967295EEENS1_25partition_config_selectorILNS1_17partition_subalgoE3EjNS0_10empty_typeEbEEZZNS1_14partition_implILS8_3ELb0ES6_jNS0_17counting_iteratorIjlEEPS9_SE_NS0_5tupleIJPjSE_EEENSF_IJSE_SE_EEES9_SG_JZNS1_25segmented_radix_sort_implINS0_14default_configELb0EPK6__halfPSL_PKlPlN2at6native12_GLOBAL__N_18offset_tEEE10hipError_tPvRmT1_PNSt15iterator_traitsISZ_E10value_typeET2_T3_PNS10_IS15_E10value_typeET4_jRbjT5_S1B_jjP12ihipStream_tbEUljE_EEESW_SX_SY_S15_S19_S1B_T6_T7_T9_mT8_S1D_bDpT10_ENKUlT_T0_E_clISt17integral_constantIbLb0EES1P_IbLb1EEEEDaS1L_S1M_EUlS1L_E_NS1_11comp_targetILNS1_3genE2ELNS1_11target_archE906ELNS1_3gpuE6ELNS1_3repE0EEENS1_30default_config_static_selectorELNS0_4arch9wavefront6targetE1EEEvSZ_
	.p2align	8
	.type	_ZN7rocprim17ROCPRIM_400000_NS6detail17trampoline_kernelINS0_13select_configILj256ELj13ELNS0_17block_load_methodE3ELS4_3ELS4_3ELNS0_20block_scan_algorithmE0ELj4294967295EEENS1_25partition_config_selectorILNS1_17partition_subalgoE3EjNS0_10empty_typeEbEEZZNS1_14partition_implILS8_3ELb0ES6_jNS0_17counting_iteratorIjlEEPS9_SE_NS0_5tupleIJPjSE_EEENSF_IJSE_SE_EEES9_SG_JZNS1_25segmented_radix_sort_implINS0_14default_configELb0EPK6__halfPSL_PKlPlN2at6native12_GLOBAL__N_18offset_tEEE10hipError_tPvRmT1_PNSt15iterator_traitsISZ_E10value_typeET2_T3_PNS10_IS15_E10value_typeET4_jRbjT5_S1B_jjP12ihipStream_tbEUljE_EEESW_SX_SY_S15_S19_S1B_T6_T7_T9_mT8_S1D_bDpT10_ENKUlT_T0_E_clISt17integral_constantIbLb0EES1P_IbLb1EEEEDaS1L_S1M_EUlS1L_E_NS1_11comp_targetILNS1_3genE2ELNS1_11target_archE906ELNS1_3gpuE6ELNS1_3repE0EEENS1_30default_config_static_selectorELNS0_4arch9wavefront6targetE1EEEvSZ_,@function
_ZN7rocprim17ROCPRIM_400000_NS6detail17trampoline_kernelINS0_13select_configILj256ELj13ELNS0_17block_load_methodE3ELS4_3ELS4_3ELNS0_20block_scan_algorithmE0ELj4294967295EEENS1_25partition_config_selectorILNS1_17partition_subalgoE3EjNS0_10empty_typeEbEEZZNS1_14partition_implILS8_3ELb0ES6_jNS0_17counting_iteratorIjlEEPS9_SE_NS0_5tupleIJPjSE_EEENSF_IJSE_SE_EEES9_SG_JZNS1_25segmented_radix_sort_implINS0_14default_configELb0EPK6__halfPSL_PKlPlN2at6native12_GLOBAL__N_18offset_tEEE10hipError_tPvRmT1_PNSt15iterator_traitsISZ_E10value_typeET2_T3_PNS10_IS15_E10value_typeET4_jRbjT5_S1B_jjP12ihipStream_tbEUljE_EEESW_SX_SY_S15_S19_S1B_T6_T7_T9_mT8_S1D_bDpT10_ENKUlT_T0_E_clISt17integral_constantIbLb0EES1P_IbLb1EEEEDaS1L_S1M_EUlS1L_E_NS1_11comp_targetILNS1_3genE2ELNS1_11target_archE906ELNS1_3gpuE6ELNS1_3repE0EEENS1_30default_config_static_selectorELNS0_4arch9wavefront6targetE1EEEvSZ_: ; @_ZN7rocprim17ROCPRIM_400000_NS6detail17trampoline_kernelINS0_13select_configILj256ELj13ELNS0_17block_load_methodE3ELS4_3ELS4_3ELNS0_20block_scan_algorithmE0ELj4294967295EEENS1_25partition_config_selectorILNS1_17partition_subalgoE3EjNS0_10empty_typeEbEEZZNS1_14partition_implILS8_3ELb0ES6_jNS0_17counting_iteratorIjlEEPS9_SE_NS0_5tupleIJPjSE_EEENSF_IJSE_SE_EEES9_SG_JZNS1_25segmented_radix_sort_implINS0_14default_configELb0EPK6__halfPSL_PKlPlN2at6native12_GLOBAL__N_18offset_tEEE10hipError_tPvRmT1_PNSt15iterator_traitsISZ_E10value_typeET2_T3_PNS10_IS15_E10value_typeET4_jRbjT5_S1B_jjP12ihipStream_tbEUljE_EEESW_SX_SY_S15_S19_S1B_T6_T7_T9_mT8_S1D_bDpT10_ENKUlT_T0_E_clISt17integral_constantIbLb0EES1P_IbLb1EEEEDaS1L_S1M_EUlS1L_E_NS1_11comp_targetILNS1_3genE2ELNS1_11target_archE906ELNS1_3gpuE6ELNS1_3repE0EEENS1_30default_config_static_selectorELNS0_4arch9wavefront6targetE1EEEvSZ_
; %bb.0:
	.section	.rodata,"a",@progbits
	.p2align	6, 0x0
	.amdhsa_kernel _ZN7rocprim17ROCPRIM_400000_NS6detail17trampoline_kernelINS0_13select_configILj256ELj13ELNS0_17block_load_methodE3ELS4_3ELS4_3ELNS0_20block_scan_algorithmE0ELj4294967295EEENS1_25partition_config_selectorILNS1_17partition_subalgoE3EjNS0_10empty_typeEbEEZZNS1_14partition_implILS8_3ELb0ES6_jNS0_17counting_iteratorIjlEEPS9_SE_NS0_5tupleIJPjSE_EEENSF_IJSE_SE_EEES9_SG_JZNS1_25segmented_radix_sort_implINS0_14default_configELb0EPK6__halfPSL_PKlPlN2at6native12_GLOBAL__N_18offset_tEEE10hipError_tPvRmT1_PNSt15iterator_traitsISZ_E10value_typeET2_T3_PNS10_IS15_E10value_typeET4_jRbjT5_S1B_jjP12ihipStream_tbEUljE_EEESW_SX_SY_S15_S19_S1B_T6_T7_T9_mT8_S1D_bDpT10_ENKUlT_T0_E_clISt17integral_constantIbLb0EES1P_IbLb1EEEEDaS1L_S1M_EUlS1L_E_NS1_11comp_targetILNS1_3genE2ELNS1_11target_archE906ELNS1_3gpuE6ELNS1_3repE0EEENS1_30default_config_static_selectorELNS0_4arch9wavefront6targetE1EEEvSZ_
		.amdhsa_group_segment_fixed_size 0
		.amdhsa_private_segment_fixed_size 0
		.amdhsa_kernarg_size 152
		.amdhsa_user_sgpr_count 6
		.amdhsa_user_sgpr_private_segment_buffer 1
		.amdhsa_user_sgpr_dispatch_ptr 0
		.amdhsa_user_sgpr_queue_ptr 0
		.amdhsa_user_sgpr_kernarg_segment_ptr 1
		.amdhsa_user_sgpr_dispatch_id 0
		.amdhsa_user_sgpr_flat_scratch_init 0
		.amdhsa_user_sgpr_kernarg_preload_length 0
		.amdhsa_user_sgpr_kernarg_preload_offset 0
		.amdhsa_user_sgpr_private_segment_size 0
		.amdhsa_uses_dynamic_stack 0
		.amdhsa_system_sgpr_private_segment_wavefront_offset 0
		.amdhsa_system_sgpr_workgroup_id_x 1
		.amdhsa_system_sgpr_workgroup_id_y 0
		.amdhsa_system_sgpr_workgroup_id_z 0
		.amdhsa_system_sgpr_workgroup_info 0
		.amdhsa_system_vgpr_workitem_id 0
		.amdhsa_next_free_vgpr 1
		.amdhsa_next_free_sgpr 0
		.amdhsa_accum_offset 4
		.amdhsa_reserve_vcc 0
		.amdhsa_reserve_flat_scratch 0
		.amdhsa_float_round_mode_32 0
		.amdhsa_float_round_mode_16_64 0
		.amdhsa_float_denorm_mode_32 3
		.amdhsa_float_denorm_mode_16_64 3
		.amdhsa_dx10_clamp 1
		.amdhsa_ieee_mode 1
		.amdhsa_fp16_overflow 0
		.amdhsa_tg_split 0
		.amdhsa_exception_fp_ieee_invalid_op 0
		.amdhsa_exception_fp_denorm_src 0
		.amdhsa_exception_fp_ieee_div_zero 0
		.amdhsa_exception_fp_ieee_overflow 0
		.amdhsa_exception_fp_ieee_underflow 0
		.amdhsa_exception_fp_ieee_inexact 0
		.amdhsa_exception_int_div_zero 0
	.end_amdhsa_kernel
	.section	.text._ZN7rocprim17ROCPRIM_400000_NS6detail17trampoline_kernelINS0_13select_configILj256ELj13ELNS0_17block_load_methodE3ELS4_3ELS4_3ELNS0_20block_scan_algorithmE0ELj4294967295EEENS1_25partition_config_selectorILNS1_17partition_subalgoE3EjNS0_10empty_typeEbEEZZNS1_14partition_implILS8_3ELb0ES6_jNS0_17counting_iteratorIjlEEPS9_SE_NS0_5tupleIJPjSE_EEENSF_IJSE_SE_EEES9_SG_JZNS1_25segmented_radix_sort_implINS0_14default_configELb0EPK6__halfPSL_PKlPlN2at6native12_GLOBAL__N_18offset_tEEE10hipError_tPvRmT1_PNSt15iterator_traitsISZ_E10value_typeET2_T3_PNS10_IS15_E10value_typeET4_jRbjT5_S1B_jjP12ihipStream_tbEUljE_EEESW_SX_SY_S15_S19_S1B_T6_T7_T9_mT8_S1D_bDpT10_ENKUlT_T0_E_clISt17integral_constantIbLb0EES1P_IbLb1EEEEDaS1L_S1M_EUlS1L_E_NS1_11comp_targetILNS1_3genE2ELNS1_11target_archE906ELNS1_3gpuE6ELNS1_3repE0EEENS1_30default_config_static_selectorELNS0_4arch9wavefront6targetE1EEEvSZ_,"axG",@progbits,_ZN7rocprim17ROCPRIM_400000_NS6detail17trampoline_kernelINS0_13select_configILj256ELj13ELNS0_17block_load_methodE3ELS4_3ELS4_3ELNS0_20block_scan_algorithmE0ELj4294967295EEENS1_25partition_config_selectorILNS1_17partition_subalgoE3EjNS0_10empty_typeEbEEZZNS1_14partition_implILS8_3ELb0ES6_jNS0_17counting_iteratorIjlEEPS9_SE_NS0_5tupleIJPjSE_EEENSF_IJSE_SE_EEES9_SG_JZNS1_25segmented_radix_sort_implINS0_14default_configELb0EPK6__halfPSL_PKlPlN2at6native12_GLOBAL__N_18offset_tEEE10hipError_tPvRmT1_PNSt15iterator_traitsISZ_E10value_typeET2_T3_PNS10_IS15_E10value_typeET4_jRbjT5_S1B_jjP12ihipStream_tbEUljE_EEESW_SX_SY_S15_S19_S1B_T6_T7_T9_mT8_S1D_bDpT10_ENKUlT_T0_E_clISt17integral_constantIbLb0EES1P_IbLb1EEEEDaS1L_S1M_EUlS1L_E_NS1_11comp_targetILNS1_3genE2ELNS1_11target_archE906ELNS1_3gpuE6ELNS1_3repE0EEENS1_30default_config_static_selectorELNS0_4arch9wavefront6targetE1EEEvSZ_,comdat
.Lfunc_end1836:
	.size	_ZN7rocprim17ROCPRIM_400000_NS6detail17trampoline_kernelINS0_13select_configILj256ELj13ELNS0_17block_load_methodE3ELS4_3ELS4_3ELNS0_20block_scan_algorithmE0ELj4294967295EEENS1_25partition_config_selectorILNS1_17partition_subalgoE3EjNS0_10empty_typeEbEEZZNS1_14partition_implILS8_3ELb0ES6_jNS0_17counting_iteratorIjlEEPS9_SE_NS0_5tupleIJPjSE_EEENSF_IJSE_SE_EEES9_SG_JZNS1_25segmented_radix_sort_implINS0_14default_configELb0EPK6__halfPSL_PKlPlN2at6native12_GLOBAL__N_18offset_tEEE10hipError_tPvRmT1_PNSt15iterator_traitsISZ_E10value_typeET2_T3_PNS10_IS15_E10value_typeET4_jRbjT5_S1B_jjP12ihipStream_tbEUljE_EEESW_SX_SY_S15_S19_S1B_T6_T7_T9_mT8_S1D_bDpT10_ENKUlT_T0_E_clISt17integral_constantIbLb0EES1P_IbLb1EEEEDaS1L_S1M_EUlS1L_E_NS1_11comp_targetILNS1_3genE2ELNS1_11target_archE906ELNS1_3gpuE6ELNS1_3repE0EEENS1_30default_config_static_selectorELNS0_4arch9wavefront6targetE1EEEvSZ_, .Lfunc_end1836-_ZN7rocprim17ROCPRIM_400000_NS6detail17trampoline_kernelINS0_13select_configILj256ELj13ELNS0_17block_load_methodE3ELS4_3ELS4_3ELNS0_20block_scan_algorithmE0ELj4294967295EEENS1_25partition_config_selectorILNS1_17partition_subalgoE3EjNS0_10empty_typeEbEEZZNS1_14partition_implILS8_3ELb0ES6_jNS0_17counting_iteratorIjlEEPS9_SE_NS0_5tupleIJPjSE_EEENSF_IJSE_SE_EEES9_SG_JZNS1_25segmented_radix_sort_implINS0_14default_configELb0EPK6__halfPSL_PKlPlN2at6native12_GLOBAL__N_18offset_tEEE10hipError_tPvRmT1_PNSt15iterator_traitsISZ_E10value_typeET2_T3_PNS10_IS15_E10value_typeET4_jRbjT5_S1B_jjP12ihipStream_tbEUljE_EEESW_SX_SY_S15_S19_S1B_T6_T7_T9_mT8_S1D_bDpT10_ENKUlT_T0_E_clISt17integral_constantIbLb0EES1P_IbLb1EEEEDaS1L_S1M_EUlS1L_E_NS1_11comp_targetILNS1_3genE2ELNS1_11target_archE906ELNS1_3gpuE6ELNS1_3repE0EEENS1_30default_config_static_selectorELNS0_4arch9wavefront6targetE1EEEvSZ_
                                        ; -- End function
	.section	.AMDGPU.csdata,"",@progbits
; Kernel info:
; codeLenInByte = 0
; NumSgprs: 4
; NumVgprs: 0
; NumAgprs: 0
; TotalNumVgprs: 0
; ScratchSize: 0
; MemoryBound: 0
; FloatMode: 240
; IeeeMode: 1
; LDSByteSize: 0 bytes/workgroup (compile time only)
; SGPRBlocks: 0
; VGPRBlocks: 0
; NumSGPRsForWavesPerEU: 4
; NumVGPRsForWavesPerEU: 1
; AccumOffset: 4
; Occupancy: 8
; WaveLimiterHint : 0
; COMPUTE_PGM_RSRC2:SCRATCH_EN: 0
; COMPUTE_PGM_RSRC2:USER_SGPR: 6
; COMPUTE_PGM_RSRC2:TRAP_HANDLER: 0
; COMPUTE_PGM_RSRC2:TGID_X_EN: 1
; COMPUTE_PGM_RSRC2:TGID_Y_EN: 0
; COMPUTE_PGM_RSRC2:TGID_Z_EN: 0
; COMPUTE_PGM_RSRC2:TIDIG_COMP_CNT: 0
; COMPUTE_PGM_RSRC3_GFX90A:ACCUM_OFFSET: 0
; COMPUTE_PGM_RSRC3_GFX90A:TG_SPLIT: 0
	.section	.text._ZN7rocprim17ROCPRIM_400000_NS6detail17trampoline_kernelINS0_13select_configILj256ELj13ELNS0_17block_load_methodE3ELS4_3ELS4_3ELNS0_20block_scan_algorithmE0ELj4294967295EEENS1_25partition_config_selectorILNS1_17partition_subalgoE3EjNS0_10empty_typeEbEEZZNS1_14partition_implILS8_3ELb0ES6_jNS0_17counting_iteratorIjlEEPS9_SE_NS0_5tupleIJPjSE_EEENSF_IJSE_SE_EEES9_SG_JZNS1_25segmented_radix_sort_implINS0_14default_configELb0EPK6__halfPSL_PKlPlN2at6native12_GLOBAL__N_18offset_tEEE10hipError_tPvRmT1_PNSt15iterator_traitsISZ_E10value_typeET2_T3_PNS10_IS15_E10value_typeET4_jRbjT5_S1B_jjP12ihipStream_tbEUljE_EEESW_SX_SY_S15_S19_S1B_T6_T7_T9_mT8_S1D_bDpT10_ENKUlT_T0_E_clISt17integral_constantIbLb0EES1P_IbLb1EEEEDaS1L_S1M_EUlS1L_E_NS1_11comp_targetILNS1_3genE10ELNS1_11target_archE1200ELNS1_3gpuE4ELNS1_3repE0EEENS1_30default_config_static_selectorELNS0_4arch9wavefront6targetE1EEEvSZ_,"axG",@progbits,_ZN7rocprim17ROCPRIM_400000_NS6detail17trampoline_kernelINS0_13select_configILj256ELj13ELNS0_17block_load_methodE3ELS4_3ELS4_3ELNS0_20block_scan_algorithmE0ELj4294967295EEENS1_25partition_config_selectorILNS1_17partition_subalgoE3EjNS0_10empty_typeEbEEZZNS1_14partition_implILS8_3ELb0ES6_jNS0_17counting_iteratorIjlEEPS9_SE_NS0_5tupleIJPjSE_EEENSF_IJSE_SE_EEES9_SG_JZNS1_25segmented_radix_sort_implINS0_14default_configELb0EPK6__halfPSL_PKlPlN2at6native12_GLOBAL__N_18offset_tEEE10hipError_tPvRmT1_PNSt15iterator_traitsISZ_E10value_typeET2_T3_PNS10_IS15_E10value_typeET4_jRbjT5_S1B_jjP12ihipStream_tbEUljE_EEESW_SX_SY_S15_S19_S1B_T6_T7_T9_mT8_S1D_bDpT10_ENKUlT_T0_E_clISt17integral_constantIbLb0EES1P_IbLb1EEEEDaS1L_S1M_EUlS1L_E_NS1_11comp_targetILNS1_3genE10ELNS1_11target_archE1200ELNS1_3gpuE4ELNS1_3repE0EEENS1_30default_config_static_selectorELNS0_4arch9wavefront6targetE1EEEvSZ_,comdat
	.globl	_ZN7rocprim17ROCPRIM_400000_NS6detail17trampoline_kernelINS0_13select_configILj256ELj13ELNS0_17block_load_methodE3ELS4_3ELS4_3ELNS0_20block_scan_algorithmE0ELj4294967295EEENS1_25partition_config_selectorILNS1_17partition_subalgoE3EjNS0_10empty_typeEbEEZZNS1_14partition_implILS8_3ELb0ES6_jNS0_17counting_iteratorIjlEEPS9_SE_NS0_5tupleIJPjSE_EEENSF_IJSE_SE_EEES9_SG_JZNS1_25segmented_radix_sort_implINS0_14default_configELb0EPK6__halfPSL_PKlPlN2at6native12_GLOBAL__N_18offset_tEEE10hipError_tPvRmT1_PNSt15iterator_traitsISZ_E10value_typeET2_T3_PNS10_IS15_E10value_typeET4_jRbjT5_S1B_jjP12ihipStream_tbEUljE_EEESW_SX_SY_S15_S19_S1B_T6_T7_T9_mT8_S1D_bDpT10_ENKUlT_T0_E_clISt17integral_constantIbLb0EES1P_IbLb1EEEEDaS1L_S1M_EUlS1L_E_NS1_11comp_targetILNS1_3genE10ELNS1_11target_archE1200ELNS1_3gpuE4ELNS1_3repE0EEENS1_30default_config_static_selectorELNS0_4arch9wavefront6targetE1EEEvSZ_ ; -- Begin function _ZN7rocprim17ROCPRIM_400000_NS6detail17trampoline_kernelINS0_13select_configILj256ELj13ELNS0_17block_load_methodE3ELS4_3ELS4_3ELNS0_20block_scan_algorithmE0ELj4294967295EEENS1_25partition_config_selectorILNS1_17partition_subalgoE3EjNS0_10empty_typeEbEEZZNS1_14partition_implILS8_3ELb0ES6_jNS0_17counting_iteratorIjlEEPS9_SE_NS0_5tupleIJPjSE_EEENSF_IJSE_SE_EEES9_SG_JZNS1_25segmented_radix_sort_implINS0_14default_configELb0EPK6__halfPSL_PKlPlN2at6native12_GLOBAL__N_18offset_tEEE10hipError_tPvRmT1_PNSt15iterator_traitsISZ_E10value_typeET2_T3_PNS10_IS15_E10value_typeET4_jRbjT5_S1B_jjP12ihipStream_tbEUljE_EEESW_SX_SY_S15_S19_S1B_T6_T7_T9_mT8_S1D_bDpT10_ENKUlT_T0_E_clISt17integral_constantIbLb0EES1P_IbLb1EEEEDaS1L_S1M_EUlS1L_E_NS1_11comp_targetILNS1_3genE10ELNS1_11target_archE1200ELNS1_3gpuE4ELNS1_3repE0EEENS1_30default_config_static_selectorELNS0_4arch9wavefront6targetE1EEEvSZ_
	.p2align	8
	.type	_ZN7rocprim17ROCPRIM_400000_NS6detail17trampoline_kernelINS0_13select_configILj256ELj13ELNS0_17block_load_methodE3ELS4_3ELS4_3ELNS0_20block_scan_algorithmE0ELj4294967295EEENS1_25partition_config_selectorILNS1_17partition_subalgoE3EjNS0_10empty_typeEbEEZZNS1_14partition_implILS8_3ELb0ES6_jNS0_17counting_iteratorIjlEEPS9_SE_NS0_5tupleIJPjSE_EEENSF_IJSE_SE_EEES9_SG_JZNS1_25segmented_radix_sort_implINS0_14default_configELb0EPK6__halfPSL_PKlPlN2at6native12_GLOBAL__N_18offset_tEEE10hipError_tPvRmT1_PNSt15iterator_traitsISZ_E10value_typeET2_T3_PNS10_IS15_E10value_typeET4_jRbjT5_S1B_jjP12ihipStream_tbEUljE_EEESW_SX_SY_S15_S19_S1B_T6_T7_T9_mT8_S1D_bDpT10_ENKUlT_T0_E_clISt17integral_constantIbLb0EES1P_IbLb1EEEEDaS1L_S1M_EUlS1L_E_NS1_11comp_targetILNS1_3genE10ELNS1_11target_archE1200ELNS1_3gpuE4ELNS1_3repE0EEENS1_30default_config_static_selectorELNS0_4arch9wavefront6targetE1EEEvSZ_,@function
_ZN7rocprim17ROCPRIM_400000_NS6detail17trampoline_kernelINS0_13select_configILj256ELj13ELNS0_17block_load_methodE3ELS4_3ELS4_3ELNS0_20block_scan_algorithmE0ELj4294967295EEENS1_25partition_config_selectorILNS1_17partition_subalgoE3EjNS0_10empty_typeEbEEZZNS1_14partition_implILS8_3ELb0ES6_jNS0_17counting_iteratorIjlEEPS9_SE_NS0_5tupleIJPjSE_EEENSF_IJSE_SE_EEES9_SG_JZNS1_25segmented_radix_sort_implINS0_14default_configELb0EPK6__halfPSL_PKlPlN2at6native12_GLOBAL__N_18offset_tEEE10hipError_tPvRmT1_PNSt15iterator_traitsISZ_E10value_typeET2_T3_PNS10_IS15_E10value_typeET4_jRbjT5_S1B_jjP12ihipStream_tbEUljE_EEESW_SX_SY_S15_S19_S1B_T6_T7_T9_mT8_S1D_bDpT10_ENKUlT_T0_E_clISt17integral_constantIbLb0EES1P_IbLb1EEEEDaS1L_S1M_EUlS1L_E_NS1_11comp_targetILNS1_3genE10ELNS1_11target_archE1200ELNS1_3gpuE4ELNS1_3repE0EEENS1_30default_config_static_selectorELNS0_4arch9wavefront6targetE1EEEvSZ_: ; @_ZN7rocprim17ROCPRIM_400000_NS6detail17trampoline_kernelINS0_13select_configILj256ELj13ELNS0_17block_load_methodE3ELS4_3ELS4_3ELNS0_20block_scan_algorithmE0ELj4294967295EEENS1_25partition_config_selectorILNS1_17partition_subalgoE3EjNS0_10empty_typeEbEEZZNS1_14partition_implILS8_3ELb0ES6_jNS0_17counting_iteratorIjlEEPS9_SE_NS0_5tupleIJPjSE_EEENSF_IJSE_SE_EEES9_SG_JZNS1_25segmented_radix_sort_implINS0_14default_configELb0EPK6__halfPSL_PKlPlN2at6native12_GLOBAL__N_18offset_tEEE10hipError_tPvRmT1_PNSt15iterator_traitsISZ_E10value_typeET2_T3_PNS10_IS15_E10value_typeET4_jRbjT5_S1B_jjP12ihipStream_tbEUljE_EEESW_SX_SY_S15_S19_S1B_T6_T7_T9_mT8_S1D_bDpT10_ENKUlT_T0_E_clISt17integral_constantIbLb0EES1P_IbLb1EEEEDaS1L_S1M_EUlS1L_E_NS1_11comp_targetILNS1_3genE10ELNS1_11target_archE1200ELNS1_3gpuE4ELNS1_3repE0EEENS1_30default_config_static_selectorELNS0_4arch9wavefront6targetE1EEEvSZ_
; %bb.0:
	.section	.rodata,"a",@progbits
	.p2align	6, 0x0
	.amdhsa_kernel _ZN7rocprim17ROCPRIM_400000_NS6detail17trampoline_kernelINS0_13select_configILj256ELj13ELNS0_17block_load_methodE3ELS4_3ELS4_3ELNS0_20block_scan_algorithmE0ELj4294967295EEENS1_25partition_config_selectorILNS1_17partition_subalgoE3EjNS0_10empty_typeEbEEZZNS1_14partition_implILS8_3ELb0ES6_jNS0_17counting_iteratorIjlEEPS9_SE_NS0_5tupleIJPjSE_EEENSF_IJSE_SE_EEES9_SG_JZNS1_25segmented_radix_sort_implINS0_14default_configELb0EPK6__halfPSL_PKlPlN2at6native12_GLOBAL__N_18offset_tEEE10hipError_tPvRmT1_PNSt15iterator_traitsISZ_E10value_typeET2_T3_PNS10_IS15_E10value_typeET4_jRbjT5_S1B_jjP12ihipStream_tbEUljE_EEESW_SX_SY_S15_S19_S1B_T6_T7_T9_mT8_S1D_bDpT10_ENKUlT_T0_E_clISt17integral_constantIbLb0EES1P_IbLb1EEEEDaS1L_S1M_EUlS1L_E_NS1_11comp_targetILNS1_3genE10ELNS1_11target_archE1200ELNS1_3gpuE4ELNS1_3repE0EEENS1_30default_config_static_selectorELNS0_4arch9wavefront6targetE1EEEvSZ_
		.amdhsa_group_segment_fixed_size 0
		.amdhsa_private_segment_fixed_size 0
		.amdhsa_kernarg_size 152
		.amdhsa_user_sgpr_count 6
		.amdhsa_user_sgpr_private_segment_buffer 1
		.amdhsa_user_sgpr_dispatch_ptr 0
		.amdhsa_user_sgpr_queue_ptr 0
		.amdhsa_user_sgpr_kernarg_segment_ptr 1
		.amdhsa_user_sgpr_dispatch_id 0
		.amdhsa_user_sgpr_flat_scratch_init 0
		.amdhsa_user_sgpr_kernarg_preload_length 0
		.amdhsa_user_sgpr_kernarg_preload_offset 0
		.amdhsa_user_sgpr_private_segment_size 0
		.amdhsa_uses_dynamic_stack 0
		.amdhsa_system_sgpr_private_segment_wavefront_offset 0
		.amdhsa_system_sgpr_workgroup_id_x 1
		.amdhsa_system_sgpr_workgroup_id_y 0
		.amdhsa_system_sgpr_workgroup_id_z 0
		.amdhsa_system_sgpr_workgroup_info 0
		.amdhsa_system_vgpr_workitem_id 0
		.amdhsa_next_free_vgpr 1
		.amdhsa_next_free_sgpr 0
		.amdhsa_accum_offset 4
		.amdhsa_reserve_vcc 0
		.amdhsa_reserve_flat_scratch 0
		.amdhsa_float_round_mode_32 0
		.amdhsa_float_round_mode_16_64 0
		.amdhsa_float_denorm_mode_32 3
		.amdhsa_float_denorm_mode_16_64 3
		.amdhsa_dx10_clamp 1
		.amdhsa_ieee_mode 1
		.amdhsa_fp16_overflow 0
		.amdhsa_tg_split 0
		.amdhsa_exception_fp_ieee_invalid_op 0
		.amdhsa_exception_fp_denorm_src 0
		.amdhsa_exception_fp_ieee_div_zero 0
		.amdhsa_exception_fp_ieee_overflow 0
		.amdhsa_exception_fp_ieee_underflow 0
		.amdhsa_exception_fp_ieee_inexact 0
		.amdhsa_exception_int_div_zero 0
	.end_amdhsa_kernel
	.section	.text._ZN7rocprim17ROCPRIM_400000_NS6detail17trampoline_kernelINS0_13select_configILj256ELj13ELNS0_17block_load_methodE3ELS4_3ELS4_3ELNS0_20block_scan_algorithmE0ELj4294967295EEENS1_25partition_config_selectorILNS1_17partition_subalgoE3EjNS0_10empty_typeEbEEZZNS1_14partition_implILS8_3ELb0ES6_jNS0_17counting_iteratorIjlEEPS9_SE_NS0_5tupleIJPjSE_EEENSF_IJSE_SE_EEES9_SG_JZNS1_25segmented_radix_sort_implINS0_14default_configELb0EPK6__halfPSL_PKlPlN2at6native12_GLOBAL__N_18offset_tEEE10hipError_tPvRmT1_PNSt15iterator_traitsISZ_E10value_typeET2_T3_PNS10_IS15_E10value_typeET4_jRbjT5_S1B_jjP12ihipStream_tbEUljE_EEESW_SX_SY_S15_S19_S1B_T6_T7_T9_mT8_S1D_bDpT10_ENKUlT_T0_E_clISt17integral_constantIbLb0EES1P_IbLb1EEEEDaS1L_S1M_EUlS1L_E_NS1_11comp_targetILNS1_3genE10ELNS1_11target_archE1200ELNS1_3gpuE4ELNS1_3repE0EEENS1_30default_config_static_selectorELNS0_4arch9wavefront6targetE1EEEvSZ_,"axG",@progbits,_ZN7rocprim17ROCPRIM_400000_NS6detail17trampoline_kernelINS0_13select_configILj256ELj13ELNS0_17block_load_methodE3ELS4_3ELS4_3ELNS0_20block_scan_algorithmE0ELj4294967295EEENS1_25partition_config_selectorILNS1_17partition_subalgoE3EjNS0_10empty_typeEbEEZZNS1_14partition_implILS8_3ELb0ES6_jNS0_17counting_iteratorIjlEEPS9_SE_NS0_5tupleIJPjSE_EEENSF_IJSE_SE_EEES9_SG_JZNS1_25segmented_radix_sort_implINS0_14default_configELb0EPK6__halfPSL_PKlPlN2at6native12_GLOBAL__N_18offset_tEEE10hipError_tPvRmT1_PNSt15iterator_traitsISZ_E10value_typeET2_T3_PNS10_IS15_E10value_typeET4_jRbjT5_S1B_jjP12ihipStream_tbEUljE_EEESW_SX_SY_S15_S19_S1B_T6_T7_T9_mT8_S1D_bDpT10_ENKUlT_T0_E_clISt17integral_constantIbLb0EES1P_IbLb1EEEEDaS1L_S1M_EUlS1L_E_NS1_11comp_targetILNS1_3genE10ELNS1_11target_archE1200ELNS1_3gpuE4ELNS1_3repE0EEENS1_30default_config_static_selectorELNS0_4arch9wavefront6targetE1EEEvSZ_,comdat
.Lfunc_end1837:
	.size	_ZN7rocprim17ROCPRIM_400000_NS6detail17trampoline_kernelINS0_13select_configILj256ELj13ELNS0_17block_load_methodE3ELS4_3ELS4_3ELNS0_20block_scan_algorithmE0ELj4294967295EEENS1_25partition_config_selectorILNS1_17partition_subalgoE3EjNS0_10empty_typeEbEEZZNS1_14partition_implILS8_3ELb0ES6_jNS0_17counting_iteratorIjlEEPS9_SE_NS0_5tupleIJPjSE_EEENSF_IJSE_SE_EEES9_SG_JZNS1_25segmented_radix_sort_implINS0_14default_configELb0EPK6__halfPSL_PKlPlN2at6native12_GLOBAL__N_18offset_tEEE10hipError_tPvRmT1_PNSt15iterator_traitsISZ_E10value_typeET2_T3_PNS10_IS15_E10value_typeET4_jRbjT5_S1B_jjP12ihipStream_tbEUljE_EEESW_SX_SY_S15_S19_S1B_T6_T7_T9_mT8_S1D_bDpT10_ENKUlT_T0_E_clISt17integral_constantIbLb0EES1P_IbLb1EEEEDaS1L_S1M_EUlS1L_E_NS1_11comp_targetILNS1_3genE10ELNS1_11target_archE1200ELNS1_3gpuE4ELNS1_3repE0EEENS1_30default_config_static_selectorELNS0_4arch9wavefront6targetE1EEEvSZ_, .Lfunc_end1837-_ZN7rocprim17ROCPRIM_400000_NS6detail17trampoline_kernelINS0_13select_configILj256ELj13ELNS0_17block_load_methodE3ELS4_3ELS4_3ELNS0_20block_scan_algorithmE0ELj4294967295EEENS1_25partition_config_selectorILNS1_17partition_subalgoE3EjNS0_10empty_typeEbEEZZNS1_14partition_implILS8_3ELb0ES6_jNS0_17counting_iteratorIjlEEPS9_SE_NS0_5tupleIJPjSE_EEENSF_IJSE_SE_EEES9_SG_JZNS1_25segmented_radix_sort_implINS0_14default_configELb0EPK6__halfPSL_PKlPlN2at6native12_GLOBAL__N_18offset_tEEE10hipError_tPvRmT1_PNSt15iterator_traitsISZ_E10value_typeET2_T3_PNS10_IS15_E10value_typeET4_jRbjT5_S1B_jjP12ihipStream_tbEUljE_EEESW_SX_SY_S15_S19_S1B_T6_T7_T9_mT8_S1D_bDpT10_ENKUlT_T0_E_clISt17integral_constantIbLb0EES1P_IbLb1EEEEDaS1L_S1M_EUlS1L_E_NS1_11comp_targetILNS1_3genE10ELNS1_11target_archE1200ELNS1_3gpuE4ELNS1_3repE0EEENS1_30default_config_static_selectorELNS0_4arch9wavefront6targetE1EEEvSZ_
                                        ; -- End function
	.section	.AMDGPU.csdata,"",@progbits
; Kernel info:
; codeLenInByte = 0
; NumSgprs: 4
; NumVgprs: 0
; NumAgprs: 0
; TotalNumVgprs: 0
; ScratchSize: 0
; MemoryBound: 0
; FloatMode: 240
; IeeeMode: 1
; LDSByteSize: 0 bytes/workgroup (compile time only)
; SGPRBlocks: 0
; VGPRBlocks: 0
; NumSGPRsForWavesPerEU: 4
; NumVGPRsForWavesPerEU: 1
; AccumOffset: 4
; Occupancy: 8
; WaveLimiterHint : 0
; COMPUTE_PGM_RSRC2:SCRATCH_EN: 0
; COMPUTE_PGM_RSRC2:USER_SGPR: 6
; COMPUTE_PGM_RSRC2:TRAP_HANDLER: 0
; COMPUTE_PGM_RSRC2:TGID_X_EN: 1
; COMPUTE_PGM_RSRC2:TGID_Y_EN: 0
; COMPUTE_PGM_RSRC2:TGID_Z_EN: 0
; COMPUTE_PGM_RSRC2:TIDIG_COMP_CNT: 0
; COMPUTE_PGM_RSRC3_GFX90A:ACCUM_OFFSET: 0
; COMPUTE_PGM_RSRC3_GFX90A:TG_SPLIT: 0
	.section	.text._ZN7rocprim17ROCPRIM_400000_NS6detail17trampoline_kernelINS0_13select_configILj256ELj13ELNS0_17block_load_methodE3ELS4_3ELS4_3ELNS0_20block_scan_algorithmE0ELj4294967295EEENS1_25partition_config_selectorILNS1_17partition_subalgoE3EjNS0_10empty_typeEbEEZZNS1_14partition_implILS8_3ELb0ES6_jNS0_17counting_iteratorIjlEEPS9_SE_NS0_5tupleIJPjSE_EEENSF_IJSE_SE_EEES9_SG_JZNS1_25segmented_radix_sort_implINS0_14default_configELb0EPK6__halfPSL_PKlPlN2at6native12_GLOBAL__N_18offset_tEEE10hipError_tPvRmT1_PNSt15iterator_traitsISZ_E10value_typeET2_T3_PNS10_IS15_E10value_typeET4_jRbjT5_S1B_jjP12ihipStream_tbEUljE_EEESW_SX_SY_S15_S19_S1B_T6_T7_T9_mT8_S1D_bDpT10_ENKUlT_T0_E_clISt17integral_constantIbLb0EES1P_IbLb1EEEEDaS1L_S1M_EUlS1L_E_NS1_11comp_targetILNS1_3genE9ELNS1_11target_archE1100ELNS1_3gpuE3ELNS1_3repE0EEENS1_30default_config_static_selectorELNS0_4arch9wavefront6targetE1EEEvSZ_,"axG",@progbits,_ZN7rocprim17ROCPRIM_400000_NS6detail17trampoline_kernelINS0_13select_configILj256ELj13ELNS0_17block_load_methodE3ELS4_3ELS4_3ELNS0_20block_scan_algorithmE0ELj4294967295EEENS1_25partition_config_selectorILNS1_17partition_subalgoE3EjNS0_10empty_typeEbEEZZNS1_14partition_implILS8_3ELb0ES6_jNS0_17counting_iteratorIjlEEPS9_SE_NS0_5tupleIJPjSE_EEENSF_IJSE_SE_EEES9_SG_JZNS1_25segmented_radix_sort_implINS0_14default_configELb0EPK6__halfPSL_PKlPlN2at6native12_GLOBAL__N_18offset_tEEE10hipError_tPvRmT1_PNSt15iterator_traitsISZ_E10value_typeET2_T3_PNS10_IS15_E10value_typeET4_jRbjT5_S1B_jjP12ihipStream_tbEUljE_EEESW_SX_SY_S15_S19_S1B_T6_T7_T9_mT8_S1D_bDpT10_ENKUlT_T0_E_clISt17integral_constantIbLb0EES1P_IbLb1EEEEDaS1L_S1M_EUlS1L_E_NS1_11comp_targetILNS1_3genE9ELNS1_11target_archE1100ELNS1_3gpuE3ELNS1_3repE0EEENS1_30default_config_static_selectorELNS0_4arch9wavefront6targetE1EEEvSZ_,comdat
	.globl	_ZN7rocprim17ROCPRIM_400000_NS6detail17trampoline_kernelINS0_13select_configILj256ELj13ELNS0_17block_load_methodE3ELS4_3ELS4_3ELNS0_20block_scan_algorithmE0ELj4294967295EEENS1_25partition_config_selectorILNS1_17partition_subalgoE3EjNS0_10empty_typeEbEEZZNS1_14partition_implILS8_3ELb0ES6_jNS0_17counting_iteratorIjlEEPS9_SE_NS0_5tupleIJPjSE_EEENSF_IJSE_SE_EEES9_SG_JZNS1_25segmented_radix_sort_implINS0_14default_configELb0EPK6__halfPSL_PKlPlN2at6native12_GLOBAL__N_18offset_tEEE10hipError_tPvRmT1_PNSt15iterator_traitsISZ_E10value_typeET2_T3_PNS10_IS15_E10value_typeET4_jRbjT5_S1B_jjP12ihipStream_tbEUljE_EEESW_SX_SY_S15_S19_S1B_T6_T7_T9_mT8_S1D_bDpT10_ENKUlT_T0_E_clISt17integral_constantIbLb0EES1P_IbLb1EEEEDaS1L_S1M_EUlS1L_E_NS1_11comp_targetILNS1_3genE9ELNS1_11target_archE1100ELNS1_3gpuE3ELNS1_3repE0EEENS1_30default_config_static_selectorELNS0_4arch9wavefront6targetE1EEEvSZ_ ; -- Begin function _ZN7rocprim17ROCPRIM_400000_NS6detail17trampoline_kernelINS0_13select_configILj256ELj13ELNS0_17block_load_methodE3ELS4_3ELS4_3ELNS0_20block_scan_algorithmE0ELj4294967295EEENS1_25partition_config_selectorILNS1_17partition_subalgoE3EjNS0_10empty_typeEbEEZZNS1_14partition_implILS8_3ELb0ES6_jNS0_17counting_iteratorIjlEEPS9_SE_NS0_5tupleIJPjSE_EEENSF_IJSE_SE_EEES9_SG_JZNS1_25segmented_radix_sort_implINS0_14default_configELb0EPK6__halfPSL_PKlPlN2at6native12_GLOBAL__N_18offset_tEEE10hipError_tPvRmT1_PNSt15iterator_traitsISZ_E10value_typeET2_T3_PNS10_IS15_E10value_typeET4_jRbjT5_S1B_jjP12ihipStream_tbEUljE_EEESW_SX_SY_S15_S19_S1B_T6_T7_T9_mT8_S1D_bDpT10_ENKUlT_T0_E_clISt17integral_constantIbLb0EES1P_IbLb1EEEEDaS1L_S1M_EUlS1L_E_NS1_11comp_targetILNS1_3genE9ELNS1_11target_archE1100ELNS1_3gpuE3ELNS1_3repE0EEENS1_30default_config_static_selectorELNS0_4arch9wavefront6targetE1EEEvSZ_
	.p2align	8
	.type	_ZN7rocprim17ROCPRIM_400000_NS6detail17trampoline_kernelINS0_13select_configILj256ELj13ELNS0_17block_load_methodE3ELS4_3ELS4_3ELNS0_20block_scan_algorithmE0ELj4294967295EEENS1_25partition_config_selectorILNS1_17partition_subalgoE3EjNS0_10empty_typeEbEEZZNS1_14partition_implILS8_3ELb0ES6_jNS0_17counting_iteratorIjlEEPS9_SE_NS0_5tupleIJPjSE_EEENSF_IJSE_SE_EEES9_SG_JZNS1_25segmented_radix_sort_implINS0_14default_configELb0EPK6__halfPSL_PKlPlN2at6native12_GLOBAL__N_18offset_tEEE10hipError_tPvRmT1_PNSt15iterator_traitsISZ_E10value_typeET2_T3_PNS10_IS15_E10value_typeET4_jRbjT5_S1B_jjP12ihipStream_tbEUljE_EEESW_SX_SY_S15_S19_S1B_T6_T7_T9_mT8_S1D_bDpT10_ENKUlT_T0_E_clISt17integral_constantIbLb0EES1P_IbLb1EEEEDaS1L_S1M_EUlS1L_E_NS1_11comp_targetILNS1_3genE9ELNS1_11target_archE1100ELNS1_3gpuE3ELNS1_3repE0EEENS1_30default_config_static_selectorELNS0_4arch9wavefront6targetE1EEEvSZ_,@function
_ZN7rocprim17ROCPRIM_400000_NS6detail17trampoline_kernelINS0_13select_configILj256ELj13ELNS0_17block_load_methodE3ELS4_3ELS4_3ELNS0_20block_scan_algorithmE0ELj4294967295EEENS1_25partition_config_selectorILNS1_17partition_subalgoE3EjNS0_10empty_typeEbEEZZNS1_14partition_implILS8_3ELb0ES6_jNS0_17counting_iteratorIjlEEPS9_SE_NS0_5tupleIJPjSE_EEENSF_IJSE_SE_EEES9_SG_JZNS1_25segmented_radix_sort_implINS0_14default_configELb0EPK6__halfPSL_PKlPlN2at6native12_GLOBAL__N_18offset_tEEE10hipError_tPvRmT1_PNSt15iterator_traitsISZ_E10value_typeET2_T3_PNS10_IS15_E10value_typeET4_jRbjT5_S1B_jjP12ihipStream_tbEUljE_EEESW_SX_SY_S15_S19_S1B_T6_T7_T9_mT8_S1D_bDpT10_ENKUlT_T0_E_clISt17integral_constantIbLb0EES1P_IbLb1EEEEDaS1L_S1M_EUlS1L_E_NS1_11comp_targetILNS1_3genE9ELNS1_11target_archE1100ELNS1_3gpuE3ELNS1_3repE0EEENS1_30default_config_static_selectorELNS0_4arch9wavefront6targetE1EEEvSZ_: ; @_ZN7rocprim17ROCPRIM_400000_NS6detail17trampoline_kernelINS0_13select_configILj256ELj13ELNS0_17block_load_methodE3ELS4_3ELS4_3ELNS0_20block_scan_algorithmE0ELj4294967295EEENS1_25partition_config_selectorILNS1_17partition_subalgoE3EjNS0_10empty_typeEbEEZZNS1_14partition_implILS8_3ELb0ES6_jNS0_17counting_iteratorIjlEEPS9_SE_NS0_5tupleIJPjSE_EEENSF_IJSE_SE_EEES9_SG_JZNS1_25segmented_radix_sort_implINS0_14default_configELb0EPK6__halfPSL_PKlPlN2at6native12_GLOBAL__N_18offset_tEEE10hipError_tPvRmT1_PNSt15iterator_traitsISZ_E10value_typeET2_T3_PNS10_IS15_E10value_typeET4_jRbjT5_S1B_jjP12ihipStream_tbEUljE_EEESW_SX_SY_S15_S19_S1B_T6_T7_T9_mT8_S1D_bDpT10_ENKUlT_T0_E_clISt17integral_constantIbLb0EES1P_IbLb1EEEEDaS1L_S1M_EUlS1L_E_NS1_11comp_targetILNS1_3genE9ELNS1_11target_archE1100ELNS1_3gpuE3ELNS1_3repE0EEENS1_30default_config_static_selectorELNS0_4arch9wavefront6targetE1EEEvSZ_
; %bb.0:
	.section	.rodata,"a",@progbits
	.p2align	6, 0x0
	.amdhsa_kernel _ZN7rocprim17ROCPRIM_400000_NS6detail17trampoline_kernelINS0_13select_configILj256ELj13ELNS0_17block_load_methodE3ELS4_3ELS4_3ELNS0_20block_scan_algorithmE0ELj4294967295EEENS1_25partition_config_selectorILNS1_17partition_subalgoE3EjNS0_10empty_typeEbEEZZNS1_14partition_implILS8_3ELb0ES6_jNS0_17counting_iteratorIjlEEPS9_SE_NS0_5tupleIJPjSE_EEENSF_IJSE_SE_EEES9_SG_JZNS1_25segmented_radix_sort_implINS0_14default_configELb0EPK6__halfPSL_PKlPlN2at6native12_GLOBAL__N_18offset_tEEE10hipError_tPvRmT1_PNSt15iterator_traitsISZ_E10value_typeET2_T3_PNS10_IS15_E10value_typeET4_jRbjT5_S1B_jjP12ihipStream_tbEUljE_EEESW_SX_SY_S15_S19_S1B_T6_T7_T9_mT8_S1D_bDpT10_ENKUlT_T0_E_clISt17integral_constantIbLb0EES1P_IbLb1EEEEDaS1L_S1M_EUlS1L_E_NS1_11comp_targetILNS1_3genE9ELNS1_11target_archE1100ELNS1_3gpuE3ELNS1_3repE0EEENS1_30default_config_static_selectorELNS0_4arch9wavefront6targetE1EEEvSZ_
		.amdhsa_group_segment_fixed_size 0
		.amdhsa_private_segment_fixed_size 0
		.amdhsa_kernarg_size 152
		.amdhsa_user_sgpr_count 6
		.amdhsa_user_sgpr_private_segment_buffer 1
		.amdhsa_user_sgpr_dispatch_ptr 0
		.amdhsa_user_sgpr_queue_ptr 0
		.amdhsa_user_sgpr_kernarg_segment_ptr 1
		.amdhsa_user_sgpr_dispatch_id 0
		.amdhsa_user_sgpr_flat_scratch_init 0
		.amdhsa_user_sgpr_kernarg_preload_length 0
		.amdhsa_user_sgpr_kernarg_preload_offset 0
		.amdhsa_user_sgpr_private_segment_size 0
		.amdhsa_uses_dynamic_stack 0
		.amdhsa_system_sgpr_private_segment_wavefront_offset 0
		.amdhsa_system_sgpr_workgroup_id_x 1
		.amdhsa_system_sgpr_workgroup_id_y 0
		.amdhsa_system_sgpr_workgroup_id_z 0
		.amdhsa_system_sgpr_workgroup_info 0
		.amdhsa_system_vgpr_workitem_id 0
		.amdhsa_next_free_vgpr 1
		.amdhsa_next_free_sgpr 0
		.amdhsa_accum_offset 4
		.amdhsa_reserve_vcc 0
		.amdhsa_reserve_flat_scratch 0
		.amdhsa_float_round_mode_32 0
		.amdhsa_float_round_mode_16_64 0
		.amdhsa_float_denorm_mode_32 3
		.amdhsa_float_denorm_mode_16_64 3
		.amdhsa_dx10_clamp 1
		.amdhsa_ieee_mode 1
		.amdhsa_fp16_overflow 0
		.amdhsa_tg_split 0
		.amdhsa_exception_fp_ieee_invalid_op 0
		.amdhsa_exception_fp_denorm_src 0
		.amdhsa_exception_fp_ieee_div_zero 0
		.amdhsa_exception_fp_ieee_overflow 0
		.amdhsa_exception_fp_ieee_underflow 0
		.amdhsa_exception_fp_ieee_inexact 0
		.amdhsa_exception_int_div_zero 0
	.end_amdhsa_kernel
	.section	.text._ZN7rocprim17ROCPRIM_400000_NS6detail17trampoline_kernelINS0_13select_configILj256ELj13ELNS0_17block_load_methodE3ELS4_3ELS4_3ELNS0_20block_scan_algorithmE0ELj4294967295EEENS1_25partition_config_selectorILNS1_17partition_subalgoE3EjNS0_10empty_typeEbEEZZNS1_14partition_implILS8_3ELb0ES6_jNS0_17counting_iteratorIjlEEPS9_SE_NS0_5tupleIJPjSE_EEENSF_IJSE_SE_EEES9_SG_JZNS1_25segmented_radix_sort_implINS0_14default_configELb0EPK6__halfPSL_PKlPlN2at6native12_GLOBAL__N_18offset_tEEE10hipError_tPvRmT1_PNSt15iterator_traitsISZ_E10value_typeET2_T3_PNS10_IS15_E10value_typeET4_jRbjT5_S1B_jjP12ihipStream_tbEUljE_EEESW_SX_SY_S15_S19_S1B_T6_T7_T9_mT8_S1D_bDpT10_ENKUlT_T0_E_clISt17integral_constantIbLb0EES1P_IbLb1EEEEDaS1L_S1M_EUlS1L_E_NS1_11comp_targetILNS1_3genE9ELNS1_11target_archE1100ELNS1_3gpuE3ELNS1_3repE0EEENS1_30default_config_static_selectorELNS0_4arch9wavefront6targetE1EEEvSZ_,"axG",@progbits,_ZN7rocprim17ROCPRIM_400000_NS6detail17trampoline_kernelINS0_13select_configILj256ELj13ELNS0_17block_load_methodE3ELS4_3ELS4_3ELNS0_20block_scan_algorithmE0ELj4294967295EEENS1_25partition_config_selectorILNS1_17partition_subalgoE3EjNS0_10empty_typeEbEEZZNS1_14partition_implILS8_3ELb0ES6_jNS0_17counting_iteratorIjlEEPS9_SE_NS0_5tupleIJPjSE_EEENSF_IJSE_SE_EEES9_SG_JZNS1_25segmented_radix_sort_implINS0_14default_configELb0EPK6__halfPSL_PKlPlN2at6native12_GLOBAL__N_18offset_tEEE10hipError_tPvRmT1_PNSt15iterator_traitsISZ_E10value_typeET2_T3_PNS10_IS15_E10value_typeET4_jRbjT5_S1B_jjP12ihipStream_tbEUljE_EEESW_SX_SY_S15_S19_S1B_T6_T7_T9_mT8_S1D_bDpT10_ENKUlT_T0_E_clISt17integral_constantIbLb0EES1P_IbLb1EEEEDaS1L_S1M_EUlS1L_E_NS1_11comp_targetILNS1_3genE9ELNS1_11target_archE1100ELNS1_3gpuE3ELNS1_3repE0EEENS1_30default_config_static_selectorELNS0_4arch9wavefront6targetE1EEEvSZ_,comdat
.Lfunc_end1838:
	.size	_ZN7rocprim17ROCPRIM_400000_NS6detail17trampoline_kernelINS0_13select_configILj256ELj13ELNS0_17block_load_methodE3ELS4_3ELS4_3ELNS0_20block_scan_algorithmE0ELj4294967295EEENS1_25partition_config_selectorILNS1_17partition_subalgoE3EjNS0_10empty_typeEbEEZZNS1_14partition_implILS8_3ELb0ES6_jNS0_17counting_iteratorIjlEEPS9_SE_NS0_5tupleIJPjSE_EEENSF_IJSE_SE_EEES9_SG_JZNS1_25segmented_radix_sort_implINS0_14default_configELb0EPK6__halfPSL_PKlPlN2at6native12_GLOBAL__N_18offset_tEEE10hipError_tPvRmT1_PNSt15iterator_traitsISZ_E10value_typeET2_T3_PNS10_IS15_E10value_typeET4_jRbjT5_S1B_jjP12ihipStream_tbEUljE_EEESW_SX_SY_S15_S19_S1B_T6_T7_T9_mT8_S1D_bDpT10_ENKUlT_T0_E_clISt17integral_constantIbLb0EES1P_IbLb1EEEEDaS1L_S1M_EUlS1L_E_NS1_11comp_targetILNS1_3genE9ELNS1_11target_archE1100ELNS1_3gpuE3ELNS1_3repE0EEENS1_30default_config_static_selectorELNS0_4arch9wavefront6targetE1EEEvSZ_, .Lfunc_end1838-_ZN7rocprim17ROCPRIM_400000_NS6detail17trampoline_kernelINS0_13select_configILj256ELj13ELNS0_17block_load_methodE3ELS4_3ELS4_3ELNS0_20block_scan_algorithmE0ELj4294967295EEENS1_25partition_config_selectorILNS1_17partition_subalgoE3EjNS0_10empty_typeEbEEZZNS1_14partition_implILS8_3ELb0ES6_jNS0_17counting_iteratorIjlEEPS9_SE_NS0_5tupleIJPjSE_EEENSF_IJSE_SE_EEES9_SG_JZNS1_25segmented_radix_sort_implINS0_14default_configELb0EPK6__halfPSL_PKlPlN2at6native12_GLOBAL__N_18offset_tEEE10hipError_tPvRmT1_PNSt15iterator_traitsISZ_E10value_typeET2_T3_PNS10_IS15_E10value_typeET4_jRbjT5_S1B_jjP12ihipStream_tbEUljE_EEESW_SX_SY_S15_S19_S1B_T6_T7_T9_mT8_S1D_bDpT10_ENKUlT_T0_E_clISt17integral_constantIbLb0EES1P_IbLb1EEEEDaS1L_S1M_EUlS1L_E_NS1_11comp_targetILNS1_3genE9ELNS1_11target_archE1100ELNS1_3gpuE3ELNS1_3repE0EEENS1_30default_config_static_selectorELNS0_4arch9wavefront6targetE1EEEvSZ_
                                        ; -- End function
	.section	.AMDGPU.csdata,"",@progbits
; Kernel info:
; codeLenInByte = 0
; NumSgprs: 4
; NumVgprs: 0
; NumAgprs: 0
; TotalNumVgprs: 0
; ScratchSize: 0
; MemoryBound: 0
; FloatMode: 240
; IeeeMode: 1
; LDSByteSize: 0 bytes/workgroup (compile time only)
; SGPRBlocks: 0
; VGPRBlocks: 0
; NumSGPRsForWavesPerEU: 4
; NumVGPRsForWavesPerEU: 1
; AccumOffset: 4
; Occupancy: 8
; WaveLimiterHint : 0
; COMPUTE_PGM_RSRC2:SCRATCH_EN: 0
; COMPUTE_PGM_RSRC2:USER_SGPR: 6
; COMPUTE_PGM_RSRC2:TRAP_HANDLER: 0
; COMPUTE_PGM_RSRC2:TGID_X_EN: 1
; COMPUTE_PGM_RSRC2:TGID_Y_EN: 0
; COMPUTE_PGM_RSRC2:TGID_Z_EN: 0
; COMPUTE_PGM_RSRC2:TIDIG_COMP_CNT: 0
; COMPUTE_PGM_RSRC3_GFX90A:ACCUM_OFFSET: 0
; COMPUTE_PGM_RSRC3_GFX90A:TG_SPLIT: 0
	.section	.text._ZN7rocprim17ROCPRIM_400000_NS6detail17trampoline_kernelINS0_13select_configILj256ELj13ELNS0_17block_load_methodE3ELS4_3ELS4_3ELNS0_20block_scan_algorithmE0ELj4294967295EEENS1_25partition_config_selectorILNS1_17partition_subalgoE3EjNS0_10empty_typeEbEEZZNS1_14partition_implILS8_3ELb0ES6_jNS0_17counting_iteratorIjlEEPS9_SE_NS0_5tupleIJPjSE_EEENSF_IJSE_SE_EEES9_SG_JZNS1_25segmented_radix_sort_implINS0_14default_configELb0EPK6__halfPSL_PKlPlN2at6native12_GLOBAL__N_18offset_tEEE10hipError_tPvRmT1_PNSt15iterator_traitsISZ_E10value_typeET2_T3_PNS10_IS15_E10value_typeET4_jRbjT5_S1B_jjP12ihipStream_tbEUljE_EEESW_SX_SY_S15_S19_S1B_T6_T7_T9_mT8_S1D_bDpT10_ENKUlT_T0_E_clISt17integral_constantIbLb0EES1P_IbLb1EEEEDaS1L_S1M_EUlS1L_E_NS1_11comp_targetILNS1_3genE8ELNS1_11target_archE1030ELNS1_3gpuE2ELNS1_3repE0EEENS1_30default_config_static_selectorELNS0_4arch9wavefront6targetE1EEEvSZ_,"axG",@progbits,_ZN7rocprim17ROCPRIM_400000_NS6detail17trampoline_kernelINS0_13select_configILj256ELj13ELNS0_17block_load_methodE3ELS4_3ELS4_3ELNS0_20block_scan_algorithmE0ELj4294967295EEENS1_25partition_config_selectorILNS1_17partition_subalgoE3EjNS0_10empty_typeEbEEZZNS1_14partition_implILS8_3ELb0ES6_jNS0_17counting_iteratorIjlEEPS9_SE_NS0_5tupleIJPjSE_EEENSF_IJSE_SE_EEES9_SG_JZNS1_25segmented_radix_sort_implINS0_14default_configELb0EPK6__halfPSL_PKlPlN2at6native12_GLOBAL__N_18offset_tEEE10hipError_tPvRmT1_PNSt15iterator_traitsISZ_E10value_typeET2_T3_PNS10_IS15_E10value_typeET4_jRbjT5_S1B_jjP12ihipStream_tbEUljE_EEESW_SX_SY_S15_S19_S1B_T6_T7_T9_mT8_S1D_bDpT10_ENKUlT_T0_E_clISt17integral_constantIbLb0EES1P_IbLb1EEEEDaS1L_S1M_EUlS1L_E_NS1_11comp_targetILNS1_3genE8ELNS1_11target_archE1030ELNS1_3gpuE2ELNS1_3repE0EEENS1_30default_config_static_selectorELNS0_4arch9wavefront6targetE1EEEvSZ_,comdat
	.globl	_ZN7rocprim17ROCPRIM_400000_NS6detail17trampoline_kernelINS0_13select_configILj256ELj13ELNS0_17block_load_methodE3ELS4_3ELS4_3ELNS0_20block_scan_algorithmE0ELj4294967295EEENS1_25partition_config_selectorILNS1_17partition_subalgoE3EjNS0_10empty_typeEbEEZZNS1_14partition_implILS8_3ELb0ES6_jNS0_17counting_iteratorIjlEEPS9_SE_NS0_5tupleIJPjSE_EEENSF_IJSE_SE_EEES9_SG_JZNS1_25segmented_radix_sort_implINS0_14default_configELb0EPK6__halfPSL_PKlPlN2at6native12_GLOBAL__N_18offset_tEEE10hipError_tPvRmT1_PNSt15iterator_traitsISZ_E10value_typeET2_T3_PNS10_IS15_E10value_typeET4_jRbjT5_S1B_jjP12ihipStream_tbEUljE_EEESW_SX_SY_S15_S19_S1B_T6_T7_T9_mT8_S1D_bDpT10_ENKUlT_T0_E_clISt17integral_constantIbLb0EES1P_IbLb1EEEEDaS1L_S1M_EUlS1L_E_NS1_11comp_targetILNS1_3genE8ELNS1_11target_archE1030ELNS1_3gpuE2ELNS1_3repE0EEENS1_30default_config_static_selectorELNS0_4arch9wavefront6targetE1EEEvSZ_ ; -- Begin function _ZN7rocprim17ROCPRIM_400000_NS6detail17trampoline_kernelINS0_13select_configILj256ELj13ELNS0_17block_load_methodE3ELS4_3ELS4_3ELNS0_20block_scan_algorithmE0ELj4294967295EEENS1_25partition_config_selectorILNS1_17partition_subalgoE3EjNS0_10empty_typeEbEEZZNS1_14partition_implILS8_3ELb0ES6_jNS0_17counting_iteratorIjlEEPS9_SE_NS0_5tupleIJPjSE_EEENSF_IJSE_SE_EEES9_SG_JZNS1_25segmented_radix_sort_implINS0_14default_configELb0EPK6__halfPSL_PKlPlN2at6native12_GLOBAL__N_18offset_tEEE10hipError_tPvRmT1_PNSt15iterator_traitsISZ_E10value_typeET2_T3_PNS10_IS15_E10value_typeET4_jRbjT5_S1B_jjP12ihipStream_tbEUljE_EEESW_SX_SY_S15_S19_S1B_T6_T7_T9_mT8_S1D_bDpT10_ENKUlT_T0_E_clISt17integral_constantIbLb0EES1P_IbLb1EEEEDaS1L_S1M_EUlS1L_E_NS1_11comp_targetILNS1_3genE8ELNS1_11target_archE1030ELNS1_3gpuE2ELNS1_3repE0EEENS1_30default_config_static_selectorELNS0_4arch9wavefront6targetE1EEEvSZ_
	.p2align	8
	.type	_ZN7rocprim17ROCPRIM_400000_NS6detail17trampoline_kernelINS0_13select_configILj256ELj13ELNS0_17block_load_methodE3ELS4_3ELS4_3ELNS0_20block_scan_algorithmE0ELj4294967295EEENS1_25partition_config_selectorILNS1_17partition_subalgoE3EjNS0_10empty_typeEbEEZZNS1_14partition_implILS8_3ELb0ES6_jNS0_17counting_iteratorIjlEEPS9_SE_NS0_5tupleIJPjSE_EEENSF_IJSE_SE_EEES9_SG_JZNS1_25segmented_radix_sort_implINS0_14default_configELb0EPK6__halfPSL_PKlPlN2at6native12_GLOBAL__N_18offset_tEEE10hipError_tPvRmT1_PNSt15iterator_traitsISZ_E10value_typeET2_T3_PNS10_IS15_E10value_typeET4_jRbjT5_S1B_jjP12ihipStream_tbEUljE_EEESW_SX_SY_S15_S19_S1B_T6_T7_T9_mT8_S1D_bDpT10_ENKUlT_T0_E_clISt17integral_constantIbLb0EES1P_IbLb1EEEEDaS1L_S1M_EUlS1L_E_NS1_11comp_targetILNS1_3genE8ELNS1_11target_archE1030ELNS1_3gpuE2ELNS1_3repE0EEENS1_30default_config_static_selectorELNS0_4arch9wavefront6targetE1EEEvSZ_,@function
_ZN7rocprim17ROCPRIM_400000_NS6detail17trampoline_kernelINS0_13select_configILj256ELj13ELNS0_17block_load_methodE3ELS4_3ELS4_3ELNS0_20block_scan_algorithmE0ELj4294967295EEENS1_25partition_config_selectorILNS1_17partition_subalgoE3EjNS0_10empty_typeEbEEZZNS1_14partition_implILS8_3ELb0ES6_jNS0_17counting_iteratorIjlEEPS9_SE_NS0_5tupleIJPjSE_EEENSF_IJSE_SE_EEES9_SG_JZNS1_25segmented_radix_sort_implINS0_14default_configELb0EPK6__halfPSL_PKlPlN2at6native12_GLOBAL__N_18offset_tEEE10hipError_tPvRmT1_PNSt15iterator_traitsISZ_E10value_typeET2_T3_PNS10_IS15_E10value_typeET4_jRbjT5_S1B_jjP12ihipStream_tbEUljE_EEESW_SX_SY_S15_S19_S1B_T6_T7_T9_mT8_S1D_bDpT10_ENKUlT_T0_E_clISt17integral_constantIbLb0EES1P_IbLb1EEEEDaS1L_S1M_EUlS1L_E_NS1_11comp_targetILNS1_3genE8ELNS1_11target_archE1030ELNS1_3gpuE2ELNS1_3repE0EEENS1_30default_config_static_selectorELNS0_4arch9wavefront6targetE1EEEvSZ_: ; @_ZN7rocprim17ROCPRIM_400000_NS6detail17trampoline_kernelINS0_13select_configILj256ELj13ELNS0_17block_load_methodE3ELS4_3ELS4_3ELNS0_20block_scan_algorithmE0ELj4294967295EEENS1_25partition_config_selectorILNS1_17partition_subalgoE3EjNS0_10empty_typeEbEEZZNS1_14partition_implILS8_3ELb0ES6_jNS0_17counting_iteratorIjlEEPS9_SE_NS0_5tupleIJPjSE_EEENSF_IJSE_SE_EEES9_SG_JZNS1_25segmented_radix_sort_implINS0_14default_configELb0EPK6__halfPSL_PKlPlN2at6native12_GLOBAL__N_18offset_tEEE10hipError_tPvRmT1_PNSt15iterator_traitsISZ_E10value_typeET2_T3_PNS10_IS15_E10value_typeET4_jRbjT5_S1B_jjP12ihipStream_tbEUljE_EEESW_SX_SY_S15_S19_S1B_T6_T7_T9_mT8_S1D_bDpT10_ENKUlT_T0_E_clISt17integral_constantIbLb0EES1P_IbLb1EEEEDaS1L_S1M_EUlS1L_E_NS1_11comp_targetILNS1_3genE8ELNS1_11target_archE1030ELNS1_3gpuE2ELNS1_3repE0EEENS1_30default_config_static_selectorELNS0_4arch9wavefront6targetE1EEEvSZ_
; %bb.0:
	.section	.rodata,"a",@progbits
	.p2align	6, 0x0
	.amdhsa_kernel _ZN7rocprim17ROCPRIM_400000_NS6detail17trampoline_kernelINS0_13select_configILj256ELj13ELNS0_17block_load_methodE3ELS4_3ELS4_3ELNS0_20block_scan_algorithmE0ELj4294967295EEENS1_25partition_config_selectorILNS1_17partition_subalgoE3EjNS0_10empty_typeEbEEZZNS1_14partition_implILS8_3ELb0ES6_jNS0_17counting_iteratorIjlEEPS9_SE_NS0_5tupleIJPjSE_EEENSF_IJSE_SE_EEES9_SG_JZNS1_25segmented_radix_sort_implINS0_14default_configELb0EPK6__halfPSL_PKlPlN2at6native12_GLOBAL__N_18offset_tEEE10hipError_tPvRmT1_PNSt15iterator_traitsISZ_E10value_typeET2_T3_PNS10_IS15_E10value_typeET4_jRbjT5_S1B_jjP12ihipStream_tbEUljE_EEESW_SX_SY_S15_S19_S1B_T6_T7_T9_mT8_S1D_bDpT10_ENKUlT_T0_E_clISt17integral_constantIbLb0EES1P_IbLb1EEEEDaS1L_S1M_EUlS1L_E_NS1_11comp_targetILNS1_3genE8ELNS1_11target_archE1030ELNS1_3gpuE2ELNS1_3repE0EEENS1_30default_config_static_selectorELNS0_4arch9wavefront6targetE1EEEvSZ_
		.amdhsa_group_segment_fixed_size 0
		.amdhsa_private_segment_fixed_size 0
		.amdhsa_kernarg_size 152
		.amdhsa_user_sgpr_count 6
		.amdhsa_user_sgpr_private_segment_buffer 1
		.amdhsa_user_sgpr_dispatch_ptr 0
		.amdhsa_user_sgpr_queue_ptr 0
		.amdhsa_user_sgpr_kernarg_segment_ptr 1
		.amdhsa_user_sgpr_dispatch_id 0
		.amdhsa_user_sgpr_flat_scratch_init 0
		.amdhsa_user_sgpr_kernarg_preload_length 0
		.amdhsa_user_sgpr_kernarg_preload_offset 0
		.amdhsa_user_sgpr_private_segment_size 0
		.amdhsa_uses_dynamic_stack 0
		.amdhsa_system_sgpr_private_segment_wavefront_offset 0
		.amdhsa_system_sgpr_workgroup_id_x 1
		.amdhsa_system_sgpr_workgroup_id_y 0
		.amdhsa_system_sgpr_workgroup_id_z 0
		.amdhsa_system_sgpr_workgroup_info 0
		.amdhsa_system_vgpr_workitem_id 0
		.amdhsa_next_free_vgpr 1
		.amdhsa_next_free_sgpr 0
		.amdhsa_accum_offset 4
		.amdhsa_reserve_vcc 0
		.amdhsa_reserve_flat_scratch 0
		.amdhsa_float_round_mode_32 0
		.amdhsa_float_round_mode_16_64 0
		.amdhsa_float_denorm_mode_32 3
		.amdhsa_float_denorm_mode_16_64 3
		.amdhsa_dx10_clamp 1
		.amdhsa_ieee_mode 1
		.amdhsa_fp16_overflow 0
		.amdhsa_tg_split 0
		.amdhsa_exception_fp_ieee_invalid_op 0
		.amdhsa_exception_fp_denorm_src 0
		.amdhsa_exception_fp_ieee_div_zero 0
		.amdhsa_exception_fp_ieee_overflow 0
		.amdhsa_exception_fp_ieee_underflow 0
		.amdhsa_exception_fp_ieee_inexact 0
		.amdhsa_exception_int_div_zero 0
	.end_amdhsa_kernel
	.section	.text._ZN7rocprim17ROCPRIM_400000_NS6detail17trampoline_kernelINS0_13select_configILj256ELj13ELNS0_17block_load_methodE3ELS4_3ELS4_3ELNS0_20block_scan_algorithmE0ELj4294967295EEENS1_25partition_config_selectorILNS1_17partition_subalgoE3EjNS0_10empty_typeEbEEZZNS1_14partition_implILS8_3ELb0ES6_jNS0_17counting_iteratorIjlEEPS9_SE_NS0_5tupleIJPjSE_EEENSF_IJSE_SE_EEES9_SG_JZNS1_25segmented_radix_sort_implINS0_14default_configELb0EPK6__halfPSL_PKlPlN2at6native12_GLOBAL__N_18offset_tEEE10hipError_tPvRmT1_PNSt15iterator_traitsISZ_E10value_typeET2_T3_PNS10_IS15_E10value_typeET4_jRbjT5_S1B_jjP12ihipStream_tbEUljE_EEESW_SX_SY_S15_S19_S1B_T6_T7_T9_mT8_S1D_bDpT10_ENKUlT_T0_E_clISt17integral_constantIbLb0EES1P_IbLb1EEEEDaS1L_S1M_EUlS1L_E_NS1_11comp_targetILNS1_3genE8ELNS1_11target_archE1030ELNS1_3gpuE2ELNS1_3repE0EEENS1_30default_config_static_selectorELNS0_4arch9wavefront6targetE1EEEvSZ_,"axG",@progbits,_ZN7rocprim17ROCPRIM_400000_NS6detail17trampoline_kernelINS0_13select_configILj256ELj13ELNS0_17block_load_methodE3ELS4_3ELS4_3ELNS0_20block_scan_algorithmE0ELj4294967295EEENS1_25partition_config_selectorILNS1_17partition_subalgoE3EjNS0_10empty_typeEbEEZZNS1_14partition_implILS8_3ELb0ES6_jNS0_17counting_iteratorIjlEEPS9_SE_NS0_5tupleIJPjSE_EEENSF_IJSE_SE_EEES9_SG_JZNS1_25segmented_radix_sort_implINS0_14default_configELb0EPK6__halfPSL_PKlPlN2at6native12_GLOBAL__N_18offset_tEEE10hipError_tPvRmT1_PNSt15iterator_traitsISZ_E10value_typeET2_T3_PNS10_IS15_E10value_typeET4_jRbjT5_S1B_jjP12ihipStream_tbEUljE_EEESW_SX_SY_S15_S19_S1B_T6_T7_T9_mT8_S1D_bDpT10_ENKUlT_T0_E_clISt17integral_constantIbLb0EES1P_IbLb1EEEEDaS1L_S1M_EUlS1L_E_NS1_11comp_targetILNS1_3genE8ELNS1_11target_archE1030ELNS1_3gpuE2ELNS1_3repE0EEENS1_30default_config_static_selectorELNS0_4arch9wavefront6targetE1EEEvSZ_,comdat
.Lfunc_end1839:
	.size	_ZN7rocprim17ROCPRIM_400000_NS6detail17trampoline_kernelINS0_13select_configILj256ELj13ELNS0_17block_load_methodE3ELS4_3ELS4_3ELNS0_20block_scan_algorithmE0ELj4294967295EEENS1_25partition_config_selectorILNS1_17partition_subalgoE3EjNS0_10empty_typeEbEEZZNS1_14partition_implILS8_3ELb0ES6_jNS0_17counting_iteratorIjlEEPS9_SE_NS0_5tupleIJPjSE_EEENSF_IJSE_SE_EEES9_SG_JZNS1_25segmented_radix_sort_implINS0_14default_configELb0EPK6__halfPSL_PKlPlN2at6native12_GLOBAL__N_18offset_tEEE10hipError_tPvRmT1_PNSt15iterator_traitsISZ_E10value_typeET2_T3_PNS10_IS15_E10value_typeET4_jRbjT5_S1B_jjP12ihipStream_tbEUljE_EEESW_SX_SY_S15_S19_S1B_T6_T7_T9_mT8_S1D_bDpT10_ENKUlT_T0_E_clISt17integral_constantIbLb0EES1P_IbLb1EEEEDaS1L_S1M_EUlS1L_E_NS1_11comp_targetILNS1_3genE8ELNS1_11target_archE1030ELNS1_3gpuE2ELNS1_3repE0EEENS1_30default_config_static_selectorELNS0_4arch9wavefront6targetE1EEEvSZ_, .Lfunc_end1839-_ZN7rocprim17ROCPRIM_400000_NS6detail17trampoline_kernelINS0_13select_configILj256ELj13ELNS0_17block_load_methodE3ELS4_3ELS4_3ELNS0_20block_scan_algorithmE0ELj4294967295EEENS1_25partition_config_selectorILNS1_17partition_subalgoE3EjNS0_10empty_typeEbEEZZNS1_14partition_implILS8_3ELb0ES6_jNS0_17counting_iteratorIjlEEPS9_SE_NS0_5tupleIJPjSE_EEENSF_IJSE_SE_EEES9_SG_JZNS1_25segmented_radix_sort_implINS0_14default_configELb0EPK6__halfPSL_PKlPlN2at6native12_GLOBAL__N_18offset_tEEE10hipError_tPvRmT1_PNSt15iterator_traitsISZ_E10value_typeET2_T3_PNS10_IS15_E10value_typeET4_jRbjT5_S1B_jjP12ihipStream_tbEUljE_EEESW_SX_SY_S15_S19_S1B_T6_T7_T9_mT8_S1D_bDpT10_ENKUlT_T0_E_clISt17integral_constantIbLb0EES1P_IbLb1EEEEDaS1L_S1M_EUlS1L_E_NS1_11comp_targetILNS1_3genE8ELNS1_11target_archE1030ELNS1_3gpuE2ELNS1_3repE0EEENS1_30default_config_static_selectorELNS0_4arch9wavefront6targetE1EEEvSZ_
                                        ; -- End function
	.section	.AMDGPU.csdata,"",@progbits
; Kernel info:
; codeLenInByte = 0
; NumSgprs: 4
; NumVgprs: 0
; NumAgprs: 0
; TotalNumVgprs: 0
; ScratchSize: 0
; MemoryBound: 0
; FloatMode: 240
; IeeeMode: 1
; LDSByteSize: 0 bytes/workgroup (compile time only)
; SGPRBlocks: 0
; VGPRBlocks: 0
; NumSGPRsForWavesPerEU: 4
; NumVGPRsForWavesPerEU: 1
; AccumOffset: 4
; Occupancy: 8
; WaveLimiterHint : 0
; COMPUTE_PGM_RSRC2:SCRATCH_EN: 0
; COMPUTE_PGM_RSRC2:USER_SGPR: 6
; COMPUTE_PGM_RSRC2:TRAP_HANDLER: 0
; COMPUTE_PGM_RSRC2:TGID_X_EN: 1
; COMPUTE_PGM_RSRC2:TGID_Y_EN: 0
; COMPUTE_PGM_RSRC2:TGID_Z_EN: 0
; COMPUTE_PGM_RSRC2:TIDIG_COMP_CNT: 0
; COMPUTE_PGM_RSRC3_GFX90A:ACCUM_OFFSET: 0
; COMPUTE_PGM_RSRC3_GFX90A:TG_SPLIT: 0
	.section	.text._ZN7rocprim17ROCPRIM_400000_NS6detail17trampoline_kernelINS0_14default_configENS1_36segmented_radix_sort_config_selectorI6__halflEEZNS1_25segmented_radix_sort_implIS3_Lb0EPKS5_PS5_PKlPlN2at6native12_GLOBAL__N_18offset_tEEE10hipError_tPvRmT1_PNSt15iterator_traitsISL_E10value_typeET2_T3_PNSM_ISR_E10value_typeET4_jRbjT5_SX_jjP12ihipStream_tbEUlT_E_NS1_11comp_targetILNS1_3genE0ELNS1_11target_archE4294967295ELNS1_3gpuE0ELNS1_3repE0EEENS1_30default_config_static_selectorELNS0_4arch9wavefront6targetE1EEEvSL_,"axG",@progbits,_ZN7rocprim17ROCPRIM_400000_NS6detail17trampoline_kernelINS0_14default_configENS1_36segmented_radix_sort_config_selectorI6__halflEEZNS1_25segmented_radix_sort_implIS3_Lb0EPKS5_PS5_PKlPlN2at6native12_GLOBAL__N_18offset_tEEE10hipError_tPvRmT1_PNSt15iterator_traitsISL_E10value_typeET2_T3_PNSM_ISR_E10value_typeET4_jRbjT5_SX_jjP12ihipStream_tbEUlT_E_NS1_11comp_targetILNS1_3genE0ELNS1_11target_archE4294967295ELNS1_3gpuE0ELNS1_3repE0EEENS1_30default_config_static_selectorELNS0_4arch9wavefront6targetE1EEEvSL_,comdat
	.globl	_ZN7rocprim17ROCPRIM_400000_NS6detail17trampoline_kernelINS0_14default_configENS1_36segmented_radix_sort_config_selectorI6__halflEEZNS1_25segmented_radix_sort_implIS3_Lb0EPKS5_PS5_PKlPlN2at6native12_GLOBAL__N_18offset_tEEE10hipError_tPvRmT1_PNSt15iterator_traitsISL_E10value_typeET2_T3_PNSM_ISR_E10value_typeET4_jRbjT5_SX_jjP12ihipStream_tbEUlT_E_NS1_11comp_targetILNS1_3genE0ELNS1_11target_archE4294967295ELNS1_3gpuE0ELNS1_3repE0EEENS1_30default_config_static_selectorELNS0_4arch9wavefront6targetE1EEEvSL_ ; -- Begin function _ZN7rocprim17ROCPRIM_400000_NS6detail17trampoline_kernelINS0_14default_configENS1_36segmented_radix_sort_config_selectorI6__halflEEZNS1_25segmented_radix_sort_implIS3_Lb0EPKS5_PS5_PKlPlN2at6native12_GLOBAL__N_18offset_tEEE10hipError_tPvRmT1_PNSt15iterator_traitsISL_E10value_typeET2_T3_PNSM_ISR_E10value_typeET4_jRbjT5_SX_jjP12ihipStream_tbEUlT_E_NS1_11comp_targetILNS1_3genE0ELNS1_11target_archE4294967295ELNS1_3gpuE0ELNS1_3repE0EEENS1_30default_config_static_selectorELNS0_4arch9wavefront6targetE1EEEvSL_
	.p2align	8
	.type	_ZN7rocprim17ROCPRIM_400000_NS6detail17trampoline_kernelINS0_14default_configENS1_36segmented_radix_sort_config_selectorI6__halflEEZNS1_25segmented_radix_sort_implIS3_Lb0EPKS5_PS5_PKlPlN2at6native12_GLOBAL__N_18offset_tEEE10hipError_tPvRmT1_PNSt15iterator_traitsISL_E10value_typeET2_T3_PNSM_ISR_E10value_typeET4_jRbjT5_SX_jjP12ihipStream_tbEUlT_E_NS1_11comp_targetILNS1_3genE0ELNS1_11target_archE4294967295ELNS1_3gpuE0ELNS1_3repE0EEENS1_30default_config_static_selectorELNS0_4arch9wavefront6targetE1EEEvSL_,@function
_ZN7rocprim17ROCPRIM_400000_NS6detail17trampoline_kernelINS0_14default_configENS1_36segmented_radix_sort_config_selectorI6__halflEEZNS1_25segmented_radix_sort_implIS3_Lb0EPKS5_PS5_PKlPlN2at6native12_GLOBAL__N_18offset_tEEE10hipError_tPvRmT1_PNSt15iterator_traitsISL_E10value_typeET2_T3_PNSM_ISR_E10value_typeET4_jRbjT5_SX_jjP12ihipStream_tbEUlT_E_NS1_11comp_targetILNS1_3genE0ELNS1_11target_archE4294967295ELNS1_3gpuE0ELNS1_3repE0EEENS1_30default_config_static_selectorELNS0_4arch9wavefront6targetE1EEEvSL_: ; @_ZN7rocprim17ROCPRIM_400000_NS6detail17trampoline_kernelINS0_14default_configENS1_36segmented_radix_sort_config_selectorI6__halflEEZNS1_25segmented_radix_sort_implIS3_Lb0EPKS5_PS5_PKlPlN2at6native12_GLOBAL__N_18offset_tEEE10hipError_tPvRmT1_PNSt15iterator_traitsISL_E10value_typeET2_T3_PNSM_ISR_E10value_typeET4_jRbjT5_SX_jjP12ihipStream_tbEUlT_E_NS1_11comp_targetILNS1_3genE0ELNS1_11target_archE4294967295ELNS1_3gpuE0ELNS1_3repE0EEENS1_30default_config_static_selectorELNS0_4arch9wavefront6targetE1EEEvSL_
; %bb.0:
	.section	.rodata,"a",@progbits
	.p2align	6, 0x0
	.amdhsa_kernel _ZN7rocprim17ROCPRIM_400000_NS6detail17trampoline_kernelINS0_14default_configENS1_36segmented_radix_sort_config_selectorI6__halflEEZNS1_25segmented_radix_sort_implIS3_Lb0EPKS5_PS5_PKlPlN2at6native12_GLOBAL__N_18offset_tEEE10hipError_tPvRmT1_PNSt15iterator_traitsISL_E10value_typeET2_T3_PNSM_ISR_E10value_typeET4_jRbjT5_SX_jjP12ihipStream_tbEUlT_E_NS1_11comp_targetILNS1_3genE0ELNS1_11target_archE4294967295ELNS1_3gpuE0ELNS1_3repE0EEENS1_30default_config_static_selectorELNS0_4arch9wavefront6targetE1EEEvSL_
		.amdhsa_group_segment_fixed_size 0
		.amdhsa_private_segment_fixed_size 0
		.amdhsa_kernarg_size 96
		.amdhsa_user_sgpr_count 6
		.amdhsa_user_sgpr_private_segment_buffer 1
		.amdhsa_user_sgpr_dispatch_ptr 0
		.amdhsa_user_sgpr_queue_ptr 0
		.amdhsa_user_sgpr_kernarg_segment_ptr 1
		.amdhsa_user_sgpr_dispatch_id 0
		.amdhsa_user_sgpr_flat_scratch_init 0
		.amdhsa_user_sgpr_kernarg_preload_length 0
		.amdhsa_user_sgpr_kernarg_preload_offset 0
		.amdhsa_user_sgpr_private_segment_size 0
		.amdhsa_uses_dynamic_stack 0
		.amdhsa_system_sgpr_private_segment_wavefront_offset 0
		.amdhsa_system_sgpr_workgroup_id_x 1
		.amdhsa_system_sgpr_workgroup_id_y 0
		.amdhsa_system_sgpr_workgroup_id_z 0
		.amdhsa_system_sgpr_workgroup_info 0
		.amdhsa_system_vgpr_workitem_id 0
		.amdhsa_next_free_vgpr 1
		.amdhsa_next_free_sgpr 0
		.amdhsa_accum_offset 4
		.amdhsa_reserve_vcc 0
		.amdhsa_reserve_flat_scratch 0
		.amdhsa_float_round_mode_32 0
		.amdhsa_float_round_mode_16_64 0
		.amdhsa_float_denorm_mode_32 3
		.amdhsa_float_denorm_mode_16_64 3
		.amdhsa_dx10_clamp 1
		.amdhsa_ieee_mode 1
		.amdhsa_fp16_overflow 0
		.amdhsa_tg_split 0
		.amdhsa_exception_fp_ieee_invalid_op 0
		.amdhsa_exception_fp_denorm_src 0
		.amdhsa_exception_fp_ieee_div_zero 0
		.amdhsa_exception_fp_ieee_overflow 0
		.amdhsa_exception_fp_ieee_underflow 0
		.amdhsa_exception_fp_ieee_inexact 0
		.amdhsa_exception_int_div_zero 0
	.end_amdhsa_kernel
	.section	.text._ZN7rocprim17ROCPRIM_400000_NS6detail17trampoline_kernelINS0_14default_configENS1_36segmented_radix_sort_config_selectorI6__halflEEZNS1_25segmented_radix_sort_implIS3_Lb0EPKS5_PS5_PKlPlN2at6native12_GLOBAL__N_18offset_tEEE10hipError_tPvRmT1_PNSt15iterator_traitsISL_E10value_typeET2_T3_PNSM_ISR_E10value_typeET4_jRbjT5_SX_jjP12ihipStream_tbEUlT_E_NS1_11comp_targetILNS1_3genE0ELNS1_11target_archE4294967295ELNS1_3gpuE0ELNS1_3repE0EEENS1_30default_config_static_selectorELNS0_4arch9wavefront6targetE1EEEvSL_,"axG",@progbits,_ZN7rocprim17ROCPRIM_400000_NS6detail17trampoline_kernelINS0_14default_configENS1_36segmented_radix_sort_config_selectorI6__halflEEZNS1_25segmented_radix_sort_implIS3_Lb0EPKS5_PS5_PKlPlN2at6native12_GLOBAL__N_18offset_tEEE10hipError_tPvRmT1_PNSt15iterator_traitsISL_E10value_typeET2_T3_PNSM_ISR_E10value_typeET4_jRbjT5_SX_jjP12ihipStream_tbEUlT_E_NS1_11comp_targetILNS1_3genE0ELNS1_11target_archE4294967295ELNS1_3gpuE0ELNS1_3repE0EEENS1_30default_config_static_selectorELNS0_4arch9wavefront6targetE1EEEvSL_,comdat
.Lfunc_end1840:
	.size	_ZN7rocprim17ROCPRIM_400000_NS6detail17trampoline_kernelINS0_14default_configENS1_36segmented_radix_sort_config_selectorI6__halflEEZNS1_25segmented_radix_sort_implIS3_Lb0EPKS5_PS5_PKlPlN2at6native12_GLOBAL__N_18offset_tEEE10hipError_tPvRmT1_PNSt15iterator_traitsISL_E10value_typeET2_T3_PNSM_ISR_E10value_typeET4_jRbjT5_SX_jjP12ihipStream_tbEUlT_E_NS1_11comp_targetILNS1_3genE0ELNS1_11target_archE4294967295ELNS1_3gpuE0ELNS1_3repE0EEENS1_30default_config_static_selectorELNS0_4arch9wavefront6targetE1EEEvSL_, .Lfunc_end1840-_ZN7rocprim17ROCPRIM_400000_NS6detail17trampoline_kernelINS0_14default_configENS1_36segmented_radix_sort_config_selectorI6__halflEEZNS1_25segmented_radix_sort_implIS3_Lb0EPKS5_PS5_PKlPlN2at6native12_GLOBAL__N_18offset_tEEE10hipError_tPvRmT1_PNSt15iterator_traitsISL_E10value_typeET2_T3_PNSM_ISR_E10value_typeET4_jRbjT5_SX_jjP12ihipStream_tbEUlT_E_NS1_11comp_targetILNS1_3genE0ELNS1_11target_archE4294967295ELNS1_3gpuE0ELNS1_3repE0EEENS1_30default_config_static_selectorELNS0_4arch9wavefront6targetE1EEEvSL_
                                        ; -- End function
	.section	.AMDGPU.csdata,"",@progbits
; Kernel info:
; codeLenInByte = 0
; NumSgprs: 4
; NumVgprs: 0
; NumAgprs: 0
; TotalNumVgprs: 0
; ScratchSize: 0
; MemoryBound: 0
; FloatMode: 240
; IeeeMode: 1
; LDSByteSize: 0 bytes/workgroup (compile time only)
; SGPRBlocks: 0
; VGPRBlocks: 0
; NumSGPRsForWavesPerEU: 4
; NumVGPRsForWavesPerEU: 1
; AccumOffset: 4
; Occupancy: 8
; WaveLimiterHint : 0
; COMPUTE_PGM_RSRC2:SCRATCH_EN: 0
; COMPUTE_PGM_RSRC2:USER_SGPR: 6
; COMPUTE_PGM_RSRC2:TRAP_HANDLER: 0
; COMPUTE_PGM_RSRC2:TGID_X_EN: 1
; COMPUTE_PGM_RSRC2:TGID_Y_EN: 0
; COMPUTE_PGM_RSRC2:TGID_Z_EN: 0
; COMPUTE_PGM_RSRC2:TIDIG_COMP_CNT: 0
; COMPUTE_PGM_RSRC3_GFX90A:ACCUM_OFFSET: 0
; COMPUTE_PGM_RSRC3_GFX90A:TG_SPLIT: 0
	.section	.text._ZN7rocprim17ROCPRIM_400000_NS6detail17trampoline_kernelINS0_14default_configENS1_36segmented_radix_sort_config_selectorI6__halflEEZNS1_25segmented_radix_sort_implIS3_Lb0EPKS5_PS5_PKlPlN2at6native12_GLOBAL__N_18offset_tEEE10hipError_tPvRmT1_PNSt15iterator_traitsISL_E10value_typeET2_T3_PNSM_ISR_E10value_typeET4_jRbjT5_SX_jjP12ihipStream_tbEUlT_E_NS1_11comp_targetILNS1_3genE5ELNS1_11target_archE942ELNS1_3gpuE9ELNS1_3repE0EEENS1_30default_config_static_selectorELNS0_4arch9wavefront6targetE1EEEvSL_,"axG",@progbits,_ZN7rocprim17ROCPRIM_400000_NS6detail17trampoline_kernelINS0_14default_configENS1_36segmented_radix_sort_config_selectorI6__halflEEZNS1_25segmented_radix_sort_implIS3_Lb0EPKS5_PS5_PKlPlN2at6native12_GLOBAL__N_18offset_tEEE10hipError_tPvRmT1_PNSt15iterator_traitsISL_E10value_typeET2_T3_PNSM_ISR_E10value_typeET4_jRbjT5_SX_jjP12ihipStream_tbEUlT_E_NS1_11comp_targetILNS1_3genE5ELNS1_11target_archE942ELNS1_3gpuE9ELNS1_3repE0EEENS1_30default_config_static_selectorELNS0_4arch9wavefront6targetE1EEEvSL_,comdat
	.globl	_ZN7rocprim17ROCPRIM_400000_NS6detail17trampoline_kernelINS0_14default_configENS1_36segmented_radix_sort_config_selectorI6__halflEEZNS1_25segmented_radix_sort_implIS3_Lb0EPKS5_PS5_PKlPlN2at6native12_GLOBAL__N_18offset_tEEE10hipError_tPvRmT1_PNSt15iterator_traitsISL_E10value_typeET2_T3_PNSM_ISR_E10value_typeET4_jRbjT5_SX_jjP12ihipStream_tbEUlT_E_NS1_11comp_targetILNS1_3genE5ELNS1_11target_archE942ELNS1_3gpuE9ELNS1_3repE0EEENS1_30default_config_static_selectorELNS0_4arch9wavefront6targetE1EEEvSL_ ; -- Begin function _ZN7rocprim17ROCPRIM_400000_NS6detail17trampoline_kernelINS0_14default_configENS1_36segmented_radix_sort_config_selectorI6__halflEEZNS1_25segmented_radix_sort_implIS3_Lb0EPKS5_PS5_PKlPlN2at6native12_GLOBAL__N_18offset_tEEE10hipError_tPvRmT1_PNSt15iterator_traitsISL_E10value_typeET2_T3_PNSM_ISR_E10value_typeET4_jRbjT5_SX_jjP12ihipStream_tbEUlT_E_NS1_11comp_targetILNS1_3genE5ELNS1_11target_archE942ELNS1_3gpuE9ELNS1_3repE0EEENS1_30default_config_static_selectorELNS0_4arch9wavefront6targetE1EEEvSL_
	.p2align	8
	.type	_ZN7rocprim17ROCPRIM_400000_NS6detail17trampoline_kernelINS0_14default_configENS1_36segmented_radix_sort_config_selectorI6__halflEEZNS1_25segmented_radix_sort_implIS3_Lb0EPKS5_PS5_PKlPlN2at6native12_GLOBAL__N_18offset_tEEE10hipError_tPvRmT1_PNSt15iterator_traitsISL_E10value_typeET2_T3_PNSM_ISR_E10value_typeET4_jRbjT5_SX_jjP12ihipStream_tbEUlT_E_NS1_11comp_targetILNS1_3genE5ELNS1_11target_archE942ELNS1_3gpuE9ELNS1_3repE0EEENS1_30default_config_static_selectorELNS0_4arch9wavefront6targetE1EEEvSL_,@function
_ZN7rocprim17ROCPRIM_400000_NS6detail17trampoline_kernelINS0_14default_configENS1_36segmented_radix_sort_config_selectorI6__halflEEZNS1_25segmented_radix_sort_implIS3_Lb0EPKS5_PS5_PKlPlN2at6native12_GLOBAL__N_18offset_tEEE10hipError_tPvRmT1_PNSt15iterator_traitsISL_E10value_typeET2_T3_PNSM_ISR_E10value_typeET4_jRbjT5_SX_jjP12ihipStream_tbEUlT_E_NS1_11comp_targetILNS1_3genE5ELNS1_11target_archE942ELNS1_3gpuE9ELNS1_3repE0EEENS1_30default_config_static_selectorELNS0_4arch9wavefront6targetE1EEEvSL_: ; @_ZN7rocprim17ROCPRIM_400000_NS6detail17trampoline_kernelINS0_14default_configENS1_36segmented_radix_sort_config_selectorI6__halflEEZNS1_25segmented_radix_sort_implIS3_Lb0EPKS5_PS5_PKlPlN2at6native12_GLOBAL__N_18offset_tEEE10hipError_tPvRmT1_PNSt15iterator_traitsISL_E10value_typeET2_T3_PNSM_ISR_E10value_typeET4_jRbjT5_SX_jjP12ihipStream_tbEUlT_E_NS1_11comp_targetILNS1_3genE5ELNS1_11target_archE942ELNS1_3gpuE9ELNS1_3repE0EEENS1_30default_config_static_selectorELNS0_4arch9wavefront6targetE1EEEvSL_
; %bb.0:
	.section	.rodata,"a",@progbits
	.p2align	6, 0x0
	.amdhsa_kernel _ZN7rocprim17ROCPRIM_400000_NS6detail17trampoline_kernelINS0_14default_configENS1_36segmented_radix_sort_config_selectorI6__halflEEZNS1_25segmented_radix_sort_implIS3_Lb0EPKS5_PS5_PKlPlN2at6native12_GLOBAL__N_18offset_tEEE10hipError_tPvRmT1_PNSt15iterator_traitsISL_E10value_typeET2_T3_PNSM_ISR_E10value_typeET4_jRbjT5_SX_jjP12ihipStream_tbEUlT_E_NS1_11comp_targetILNS1_3genE5ELNS1_11target_archE942ELNS1_3gpuE9ELNS1_3repE0EEENS1_30default_config_static_selectorELNS0_4arch9wavefront6targetE1EEEvSL_
		.amdhsa_group_segment_fixed_size 0
		.amdhsa_private_segment_fixed_size 0
		.amdhsa_kernarg_size 96
		.amdhsa_user_sgpr_count 6
		.amdhsa_user_sgpr_private_segment_buffer 1
		.amdhsa_user_sgpr_dispatch_ptr 0
		.amdhsa_user_sgpr_queue_ptr 0
		.amdhsa_user_sgpr_kernarg_segment_ptr 1
		.amdhsa_user_sgpr_dispatch_id 0
		.amdhsa_user_sgpr_flat_scratch_init 0
		.amdhsa_user_sgpr_kernarg_preload_length 0
		.amdhsa_user_sgpr_kernarg_preload_offset 0
		.amdhsa_user_sgpr_private_segment_size 0
		.amdhsa_uses_dynamic_stack 0
		.amdhsa_system_sgpr_private_segment_wavefront_offset 0
		.amdhsa_system_sgpr_workgroup_id_x 1
		.amdhsa_system_sgpr_workgroup_id_y 0
		.amdhsa_system_sgpr_workgroup_id_z 0
		.amdhsa_system_sgpr_workgroup_info 0
		.amdhsa_system_vgpr_workitem_id 0
		.amdhsa_next_free_vgpr 1
		.amdhsa_next_free_sgpr 0
		.amdhsa_accum_offset 4
		.amdhsa_reserve_vcc 0
		.amdhsa_reserve_flat_scratch 0
		.amdhsa_float_round_mode_32 0
		.amdhsa_float_round_mode_16_64 0
		.amdhsa_float_denorm_mode_32 3
		.amdhsa_float_denorm_mode_16_64 3
		.amdhsa_dx10_clamp 1
		.amdhsa_ieee_mode 1
		.amdhsa_fp16_overflow 0
		.amdhsa_tg_split 0
		.amdhsa_exception_fp_ieee_invalid_op 0
		.amdhsa_exception_fp_denorm_src 0
		.amdhsa_exception_fp_ieee_div_zero 0
		.amdhsa_exception_fp_ieee_overflow 0
		.amdhsa_exception_fp_ieee_underflow 0
		.amdhsa_exception_fp_ieee_inexact 0
		.amdhsa_exception_int_div_zero 0
	.end_amdhsa_kernel
	.section	.text._ZN7rocprim17ROCPRIM_400000_NS6detail17trampoline_kernelINS0_14default_configENS1_36segmented_radix_sort_config_selectorI6__halflEEZNS1_25segmented_radix_sort_implIS3_Lb0EPKS5_PS5_PKlPlN2at6native12_GLOBAL__N_18offset_tEEE10hipError_tPvRmT1_PNSt15iterator_traitsISL_E10value_typeET2_T3_PNSM_ISR_E10value_typeET4_jRbjT5_SX_jjP12ihipStream_tbEUlT_E_NS1_11comp_targetILNS1_3genE5ELNS1_11target_archE942ELNS1_3gpuE9ELNS1_3repE0EEENS1_30default_config_static_selectorELNS0_4arch9wavefront6targetE1EEEvSL_,"axG",@progbits,_ZN7rocprim17ROCPRIM_400000_NS6detail17trampoline_kernelINS0_14default_configENS1_36segmented_radix_sort_config_selectorI6__halflEEZNS1_25segmented_radix_sort_implIS3_Lb0EPKS5_PS5_PKlPlN2at6native12_GLOBAL__N_18offset_tEEE10hipError_tPvRmT1_PNSt15iterator_traitsISL_E10value_typeET2_T3_PNSM_ISR_E10value_typeET4_jRbjT5_SX_jjP12ihipStream_tbEUlT_E_NS1_11comp_targetILNS1_3genE5ELNS1_11target_archE942ELNS1_3gpuE9ELNS1_3repE0EEENS1_30default_config_static_selectorELNS0_4arch9wavefront6targetE1EEEvSL_,comdat
.Lfunc_end1841:
	.size	_ZN7rocprim17ROCPRIM_400000_NS6detail17trampoline_kernelINS0_14default_configENS1_36segmented_radix_sort_config_selectorI6__halflEEZNS1_25segmented_radix_sort_implIS3_Lb0EPKS5_PS5_PKlPlN2at6native12_GLOBAL__N_18offset_tEEE10hipError_tPvRmT1_PNSt15iterator_traitsISL_E10value_typeET2_T3_PNSM_ISR_E10value_typeET4_jRbjT5_SX_jjP12ihipStream_tbEUlT_E_NS1_11comp_targetILNS1_3genE5ELNS1_11target_archE942ELNS1_3gpuE9ELNS1_3repE0EEENS1_30default_config_static_selectorELNS0_4arch9wavefront6targetE1EEEvSL_, .Lfunc_end1841-_ZN7rocprim17ROCPRIM_400000_NS6detail17trampoline_kernelINS0_14default_configENS1_36segmented_radix_sort_config_selectorI6__halflEEZNS1_25segmented_radix_sort_implIS3_Lb0EPKS5_PS5_PKlPlN2at6native12_GLOBAL__N_18offset_tEEE10hipError_tPvRmT1_PNSt15iterator_traitsISL_E10value_typeET2_T3_PNSM_ISR_E10value_typeET4_jRbjT5_SX_jjP12ihipStream_tbEUlT_E_NS1_11comp_targetILNS1_3genE5ELNS1_11target_archE942ELNS1_3gpuE9ELNS1_3repE0EEENS1_30default_config_static_selectorELNS0_4arch9wavefront6targetE1EEEvSL_
                                        ; -- End function
	.section	.AMDGPU.csdata,"",@progbits
; Kernel info:
; codeLenInByte = 0
; NumSgprs: 4
; NumVgprs: 0
; NumAgprs: 0
; TotalNumVgprs: 0
; ScratchSize: 0
; MemoryBound: 0
; FloatMode: 240
; IeeeMode: 1
; LDSByteSize: 0 bytes/workgroup (compile time only)
; SGPRBlocks: 0
; VGPRBlocks: 0
; NumSGPRsForWavesPerEU: 4
; NumVGPRsForWavesPerEU: 1
; AccumOffset: 4
; Occupancy: 8
; WaveLimiterHint : 0
; COMPUTE_PGM_RSRC2:SCRATCH_EN: 0
; COMPUTE_PGM_RSRC2:USER_SGPR: 6
; COMPUTE_PGM_RSRC2:TRAP_HANDLER: 0
; COMPUTE_PGM_RSRC2:TGID_X_EN: 1
; COMPUTE_PGM_RSRC2:TGID_Y_EN: 0
; COMPUTE_PGM_RSRC2:TGID_Z_EN: 0
; COMPUTE_PGM_RSRC2:TIDIG_COMP_CNT: 0
; COMPUTE_PGM_RSRC3_GFX90A:ACCUM_OFFSET: 0
; COMPUTE_PGM_RSRC3_GFX90A:TG_SPLIT: 0
	.text
	.p2align	2                               ; -- Begin function _ZN7rocprim17ROCPRIM_400000_NS6detail40segmented_radix_sort_single_block_helperI6__halflLj256ELj8ELb0EE4sortIPKS3_PS3_PKlPlEEbT_T0_T1_T2_jjjjRNS4_12storage_typeE
	.type	_ZN7rocprim17ROCPRIM_400000_NS6detail40segmented_radix_sort_single_block_helperI6__halflLj256ELj8ELb0EE4sortIPKS3_PS3_PKlPlEEbT_T0_T1_T2_jjjjRNS4_12storage_typeE,@function
_ZN7rocprim17ROCPRIM_400000_NS6detail40segmented_radix_sort_single_block_helperI6__halflLj256ELj8ELb0EE4sortIPKS3_PS3_PKlPlEEbT_T0_T1_T2_jjjjRNS4_12storage_typeE: ; @_ZN7rocprim17ROCPRIM_400000_NS6detail40segmented_radix_sort_single_block_helperI6__halflLj256ELj8ELb0EE4sortIPKS3_PS3_PKlPlEEbT_T0_T1_T2_jjjjRNS4_12storage_typeE
; %bb.0:
	s_waitcnt vmcnt(0) expcnt(0) lgkmcnt(0)
	s_or_saveexec_b64 s[4:5], -1
	buffer_store_dword v40, off, s[0:3], s32 ; 4-byte Folded Spill
	s_mov_b64 exec, s[4:5]
	v_writelane_b32 v40, s34, 0
	v_writelane_b32 v40, s35, 1
	v_writelane_b32 v40, s36, 2
	v_writelane_b32 v40, s37, 3
	v_writelane_b32 v40, s38, 4
	v_writelane_b32 v40, s39, 5
	v_writelane_b32 v40, s40, 6
	v_writelane_b32 v40, s41, 7
	v_writelane_b32 v40, s42, 8
	v_writelane_b32 v40, s43, 9
	v_writelane_b32 v40, s44, 10
	v_writelane_b32 v40, s45, 11
	v_writelane_b32 v40, s46, 12
	v_writelane_b32 v40, s47, 13
	v_writelane_b32 v40, s30, 14
	v_writelane_b32 v40, s31, 15
	v_sub_u32_e32 v148, v9, v8
	s_movk_i32 s4, 0x801
	v_cmp_gt_u32_e32 vcc, s4, v148
	s_and_saveexec_b64 s[38:39], vcc
	s_cbranch_execz .LBB1842_199
; %bb.1:
	s_movk_i32 s4, 0x400
	v_cmp_lt_u32_e32 vcc, s4, v148
	v_bfe_u32 v16, v31, 10, 10
	v_bfe_u32 v17, v31, 20, 10
	v_mbcnt_lo_u32_b32 v14, -1, 0
	s_and_saveexec_b64 s[4:5], vcc
	s_xor_b64 s[40:41], exec, s[4:5]
	s_cbranch_execz .LBB1842_79
; %bb.2:
	s_load_dwordx2 s[4:5], s[8:9], 0x0
	v_mov_b32_e32 v9, 0
	v_mbcnt_hi_u32_b32 v28, -1, v14
	v_lshlrev_b64 v[20:21], 1, v[8:9]
	v_and_b32_e32 v29, 63, v28
	s_waitcnt lgkmcnt(0)
	s_cmp_lt_u32 s12, s4
	s_cselect_b32 s6, 12, 18
	s_cmp_lt_u32 s13, s5
	s_cselect_b32 s4, 14, 20
	s_add_u32 s4, s8, s4
	s_addc_u32 s5, s9, 0
	s_add_u32 s6, s8, s6
	global_load_ushort v18, v9, s[4:5]
	s_addc_u32 s7, s9, 0
	global_load_ushort v19, v9, s[6:7]
	v_add_co_u32_e32 v0, vcc, v0, v20
	v_addc_co_u32_e32 v1, vcc, v1, v21, vcc
	v_lshlrev_b32_e32 v14, 1, v29
	v_and_b32_e32 v22, 0x3ff, v31
	v_mov_b32_e32 v23, 0x7fff
	v_add_co_u32_e32 v24, vcc, v0, v14
	v_addc_co_u32_e32 v25, vcc, 0, v1, vcc
	v_mov_b32_e32 v15, v9
	s_waitcnt vmcnt(1)
	v_mad_u32_u24 v0, v17, v18, v16
	s_waitcnt vmcnt(0)
	v_mad_u64_u32 v[0:1], s[4:5], v0, v19, v[22:23]
	v_lshlrev_b32_e32 v1, 3, v0
	v_and_b32_e32 v14, 0xfffffe00, v1
	v_lshlrev_b64 v[16:17], 1, v[14:15]
	v_add_co_u32_e32 v16, vcc, v24, v16
	v_or_b32_e32 v1, v14, v29
	v_addc_co_u32_e32 v17, vcc, v25, v17, vcc
	v_cmp_lt_u32_e32 vcc, v1, v148
	v_mov_b32_e32 v24, 0x7fff
	s_and_saveexec_b64 s[4:5], vcc
	s_cbranch_execz .LBB1842_4
; %bb.3:
	flat_load_ushort v24, v[16:17]
.LBB1842_4:
	s_or_b64 exec, exec, s[4:5]
	v_or_b32_e32 v18, 64, v1
	v_cmp_lt_u32_e64 s[4:5], v18, v148
	s_and_saveexec_b64 s[6:7], s[4:5]
	s_cbranch_execz .LBB1842_6
; %bb.5:
	flat_load_ushort v23, v[16:17] offset:128
.LBB1842_6:
	s_or_b64 exec, exec, s[6:7]
	v_or_b32_e32 v18, 0x80, v1
	v_cmp_lt_u32_e64 s[6:7], v18, v148
	v_mov_b32_e32 v25, 0x7fff
	v_mov_b32_e32 v26, 0x7fff
	s_and_saveexec_b64 s[10:11], s[6:7]
	s_cbranch_execz .LBB1842_8
; %bb.7:
	flat_load_ushort v26, v[16:17] offset:256
.LBB1842_8:
	s_or_b64 exec, exec, s[10:11]
	v_or_b32_e32 v18, 0xc0, v1
	v_cmp_lt_u32_e64 s[10:11], v18, v148
	s_and_saveexec_b64 s[14:15], s[10:11]
	s_cbranch_execz .LBB1842_10
; %bb.9:
	flat_load_ushort v25, v[16:17] offset:384
.LBB1842_10:
	s_or_b64 exec, exec, s[14:15]
	v_or_b32_e32 v18, 0x100, v1
	v_cmp_lt_u32_e64 s[20:21], v18, v148
	v_mov_b32_e32 v27, 0x7fff
	v_mov_b32_e32 v30, 0x7fff
	s_and_saveexec_b64 s[14:15], s[20:21]
	s_cbranch_execz .LBB1842_12
; %bb.11:
	flat_load_ushort v30, v[16:17] offset:512
.LBB1842_12:
	;; [unrolled: 18-line block ×3, first 2 shown]
	s_or_b64 exec, exec, s[18:19]
	v_or_b32_e32 v1, 0x1c0, v1
	v_cmp_lt_u32_e64 s[18:19], v1, v148
	s_and_saveexec_b64 s[22:23], s[18:19]
	s_cbranch_execz .LBB1842_18
; %bb.17:
	flat_load_ushort v31, v[16:17] offset:896
.LBB1842_18:
	s_or_b64 exec, exec, s[22:23]
	v_lshlrev_b64 v[8:9], 3, v[8:9]
	v_add_co_u32_e64 v1, s[22:23], v4, v8
	v_addc_co_u32_e64 v4, s[22:23], v5, v9, s[22:23]
	v_lshlrev_b32_e32 v5, 3, v29
	v_add_co_u32_e64 v1, s[22:23], v1, v5
	v_addc_co_u32_e64 v16, s[22:23], 0, v4, s[22:23]
	v_lshlrev_b64 v[4:5], 3, v[14:15]
	v_add_co_u32_e64 v4, s[22:23], v1, v4
	v_addc_co_u32_e64 v5, s[22:23], v16, v5, s[22:23]
                                        ; implicit-def: $vgpr16_vgpr17
	s_and_saveexec_b64 s[22:23], vcc
	s_cbranch_execnz .LBB1842_112
; %bb.19:
	s_or_b64 exec, exec, s[22:23]
                                        ; implicit-def: $vgpr18_vgpr19
	s_and_saveexec_b64 s[22:23], s[4:5]
	s_cbranch_execnz .LBB1842_113
.LBB1842_20:
	s_or_b64 exec, exec, s[22:23]
                                        ; implicit-def: $vgpr66_vgpr67
	s_and_saveexec_b64 s[4:5], s[6:7]
	s_cbranch_execnz .LBB1842_114
.LBB1842_21:
	s_or_b64 exec, exec, s[4:5]
                                        ; implicit-def: $vgpr68_vgpr69
	s_and_saveexec_b64 s[4:5], s[10:11]
	s_cbranch_execnz .LBB1842_115
.LBB1842_22:
	s_or_b64 exec, exec, s[4:5]
                                        ; implicit-def: $vgpr80_vgpr81
	s_and_saveexec_b64 s[4:5], s[20:21]
	s_cbranch_execnz .LBB1842_116
.LBB1842_23:
	s_or_b64 exec, exec, s[4:5]
                                        ; implicit-def: $vgpr86_vgpr87
	s_and_saveexec_b64 s[4:5], s[14:15]
	s_cbranch_execnz .LBB1842_117
.LBB1842_24:
	s_or_b64 exec, exec, s[4:5]
                                        ; implicit-def: $vgpr102_vgpr103
	s_and_saveexec_b64 s[4:5], s[16:17]
	s_cbranch_execnz .LBB1842_118
.LBB1842_25:
	s_or_b64 exec, exec, s[4:5]
                                        ; implicit-def: $vgpr114_vgpr115
	s_and_saveexec_b64 s[4:5], s[18:19]
	s_cbranch_execz .LBB1842_27
.LBB1842_26:
	flat_load_dwordx2 v[114:115], v[4:5] offset:3584
.LBB1842_27:
	s_or_b64 exec, exec, s[4:5]
	v_mov_b32_e32 v1, 0xffff8000
	s_waitcnt vmcnt(0) lgkmcnt(0)
	v_cmp_lt_i16_e32 vcc, -1, v24
	v_cndmask_b32_e32 v4, -1, v1, vcc
	v_cmp_lt_i16_e32 vcc, -1, v23
	v_xor_b32_e32 v71, v4, v24
	v_cndmask_b32_e32 v4, -1, v1, vcc
	v_cmp_lt_i16_e32 vcc, -1, v26
	v_xor_b32_e32 v83, v4, v23
	;; [unrolled: 3-line block ×7, first 2 shown]
	v_cndmask_b32_e32 v4, -1, v1, vcc
	v_add_co_u32_e32 v23, vcc, 16, v12
	v_xor_b32_e32 v177, v4, v31
	v_addc_co_u32_e32 v149, vcc, 0, v13, vcc
	v_lshlrev_b32_e32 v4, 4, v22
	v_add_co_u32_e32 v4, vcc, v12, v4
	s_getpc_b64 s[4:5]
	s_add_u32 s4, s4, _ZN7rocprim17ROCPRIM_400000_NS16block_radix_sortI6__halfLj256ELj8ElLj1ELj1ELj8ELNS0_26block_radix_rank_algorithmE2ELNS0_18block_padding_hintE2ELNS0_4arch9wavefront6targetE1EE19radix_bits_per_passE@rel32@lo+4
	s_addc_u32 s5, s5, _ZN7rocprim17ROCPRIM_400000_NS16block_radix_sortI6__halfLj256ELj8ElLj1ELj1ELj8ELNS0_26block_radix_rank_algorithmE2ELNS0_18block_padding_hintE2ELNS0_4arch9wavefront6targetE1EE19radix_bits_per_passE@rel32@hi+12
	v_addc_co_u32_e32 v5, vcc, 0, v13, vcc
	v_and_b32_e32 v24, 15, v28
	s_load_dword s46, s[4:5], 0x0
	v_cmp_eq_u32_e32 vcc, 0, v24
	v_cmp_lt_u32_e64 s[4:5], 1, v24
	v_cmp_lt_u32_e64 s[6:7], 3, v24
	;; [unrolled: 1-line block ×3, first 2 shown]
	v_and_b32_e32 v24, 16, v28
	v_cmp_eq_u32_e64 s[30:31], 0, v24
	v_and_b32_e32 v24, 0x3c0, v22
	v_min_u32_e32 v24, 0xc0, v24
	v_or_b32_e32 v24, 63, v24
	v_cmp_eq_u32_e64 s[16:17], v24, v22
	v_add_u32_e32 v24, -1, v28
	v_and_b32_e32 v25, 64, v28
	v_cmp_lt_i32_e64 s[22:23], v24, v25
	v_lshrrev_b32_e32 v30, 6, v22
	v_cndmask_b32_e64 v24, v24, v28, s[22:23]
	v_lshlrev_b32_e32 v151, 2, v24
	v_lshlrev_b32_e32 v24, 2, v30
	v_add_co_u32_e64 v24, s[26:27], v12, v24
	v_lshlrev_b32_e32 v14, 2, v22
	v_addc_co_u32_e64 v25, s[26:27], 0, v13, s[26:27]
	v_add_co_u32_e64 v26, s[26:27], v12, v14
	v_addc_co_u32_e64 v27, s[26:27], 0, v13, s[26:27]
	v_and_b32_e32 v14, 3, v28
	v_mov_b32_e32 v15, 0
	v_cmp_eq_u32_e64 s[26:27], 0, v14
	v_cmp_lt_u32_e64 s[28:29], 1, v14
	v_add_u32_e32 v14, -1, v30
	v_lshlrev_b64 v[30:31], 2, v[14:15]
	v_add_co_u32_e64 v38, s[34:35], v12, v30
	v_addc_co_u32_e64 v39, s[34:35], v13, v31, s[34:35]
	v_lshlrev_b32_e32 v14, 3, v22
	s_movk_i32 s34, 0x1e00
	v_and_or_b32 v14, v14, s34, v29
	v_cmp_lt_u32_e64 s[14:15], 31, v28
	v_cmp_eq_u32_e64 s[22:23], 0, v28
	v_lshlrev_b32_e32 v28, 1, v14
	v_add_co_u32_e64 v54, s[34:35], v12, v28
	v_addc_co_u32_e64 v55, s[34:35], 0, v13, s[34:35]
	v_lshrrev_b32_e32 v150, 6, v0
	v_cmp_gt_u32_e64 s[18:19], 4, v22
	v_cmp_lt_u32_e64 s[20:21], 63, v22
	v_cmp_eq_u32_e64 s[24:25], 0, v22
	v_mad_u64_u32 v[64:65], s[34:35], v14, 6, v[54:55]
	v_sub_u32_e32 v160, v11, v10
	s_mov_b64 s[42:43], 0
	s_movk_i32 s47, 0x7fff
	s_waitcnt lgkmcnt(0)
	s_barrier
	s_branch .LBB1842_29
.LBB1842_28:                            ;   in Loop: Header=BB1842_29 Depth=1
	s_or_b64 exec, exec, s[36:37]
	s_and_b64 s[34:35], exec, s[44:45]
	s_or_b64 s[42:43], s[34:35], s[42:43]
	s_andn2_b64 exec, exec, s[42:43]
	s_cbranch_execz .LBB1842_53
.LBB1842_29:                            ; =>This Inner Loop Header: Depth=1
	s_waitcnt vmcnt(0)
	v_pk_mov_b32 v[52:53], v[16:17], v[16:17] op_sel:[0,1]
	v_pk_mov_b32 v[50:51], v[18:19], v[18:19] op_sel:[0,1]
	v_mov_b32_e32 v176, v71
	v_min_u32_e32 v18, s46, v160
	v_mov_b32_e32 v14, v15
	v_mov_b32_e32 v16, v15
	;; [unrolled: 1-line block ×3, first 2 shown]
	flat_store_dwordx4 v[4:5], v[14:17] offset:16
	v_cmp_ne_u16_e64 s[34:35], s47, v176
	v_lshlrev_b32_e64 v14, v18, -1
	v_not_b32_e32 v18, v14
	v_cndmask_b32_e64 v14, v1, v176, s[34:35]
	v_lshrrev_b32_sdwa v14, v10, v14 dst_sel:DWORD dst_unused:UNUSED_PAD src0_sel:DWORD src1_sel:WORD_0
	v_and_b32_e32 v14, v14, v18
	v_lshlrev_b32_e32 v16, 2, v14
	v_add_lshl_u32 v16, v16, v150, 2
	v_pk_mov_b32 v[48:49], v[66:67], v[66:67] op_sel:[0,1]
	v_add_co_u32_e64 v66, s[34:35], v23, v16
	v_addc_co_u32_e64 v67, s[34:35], 0, v149, s[34:35]
	v_and_b32_e32 v16, 1, v14
	v_add_co_u32_e64 v17, s[34:35], -1, v16
	v_addc_co_u32_e64 v19, s[34:35], 0, -1, s[34:35]
	v_cmp_ne_u32_e64 s[34:35], 0, v16
	v_xor_b32_e32 v16, s35, v19
	v_xor_b32_e32 v17, s34, v17
	v_pk_mov_b32 v[36:37], v[68:69], v[68:69] op_sel:[0,1]
	v_and_b32_e32 v19, exec_hi, v16
	v_and_b32_e32 v68, exec_lo, v17
	v_lshlrev_b32_e32 v17, 30, v14
	v_mov_b32_e32 v16, v15
	v_cmp_gt_i64_e64 s[34:35], 0, v[16:17]
	v_not_b32_e32 v16, v17
	v_ashrrev_i32_e32 v16, 31, v16
	v_xor_b32_e32 v17, s35, v16
	v_xor_b32_e32 v16, s34, v16
	v_and_b32_e32 v19, v19, v17
	v_and_b32_e32 v68, v68, v16
	v_lshlrev_b32_e32 v17, 29, v14
	v_mov_b32_e32 v16, v15
	v_cmp_gt_i64_e64 s[34:35], 0, v[16:17]
	v_not_b32_e32 v16, v17
	v_ashrrev_i32_e32 v16, 31, v16
	v_xor_b32_e32 v17, s35, v16
	v_xor_b32_e32 v16, s34, v16
	v_and_b32_e32 v19, v19, v17
	v_and_b32_e32 v68, v68, v16
	;; [unrolled: 9-line block ×5, first 2 shown]
	v_lshlrev_b32_e32 v17, 25, v14
	v_mov_b32_e32 v16, v15
	v_cmp_gt_i64_e64 s[34:35], 0, v[16:17]
	v_not_b32_e32 v16, v17
	v_ashrrev_i32_e32 v16, 31, v16
	v_xor_b32_e32 v17, s35, v16
	v_xor_b32_e32 v16, s34, v16
	v_and_b32_e32 v19, v19, v17
	v_lshlrev_b32_e32 v17, 24, v14
	v_and_b32_e32 v68, v68, v16
	v_mov_b32_e32 v16, v15
	v_not_b32_e32 v14, v17
	v_cmp_gt_i64_e64 s[34:35], 0, v[16:17]
	v_ashrrev_i32_e32 v14, 31, v14
	v_xor_b32_e32 v16, s35, v14
	v_xor_b32_e32 v14, s34, v14
	v_and_b32_e32 v17, v19, v16
	v_and_b32_e32 v16, v68, v14
	v_mbcnt_lo_u32_b32 v14, v16, 0
	v_mbcnt_hi_u32_b32 v14, v17, v14
	v_cmp_eq_u32_e64 s[34:35], 0, v14
	v_cmp_ne_u64_e64 s[36:37], 0, v[16:17]
	v_pk_mov_b32 v[34:35], v[80:81], v[80:81] op_sel:[0,1]
	v_pk_mov_b32 v[32:33], v[86:87], v[86:87] op_sel:[0,1]
	;; [unrolled: 1-line block ×4, first 2 shown]
	v_mov_b32_e32 v167, v83
	v_mov_b32_e32 v166, v85
	;; [unrolled: 1-line block ×7, first 2 shown]
	s_and_b64 s[36:37], s[36:37], s[34:35]
	s_waitcnt lgkmcnt(0)
	s_barrier
	s_waitcnt lgkmcnt(0)
	; wave barrier
	s_and_saveexec_b64 s[34:35], s[36:37]
	s_cbranch_execz .LBB1842_31
; %bb.30:                               ;   in Loop: Header=BB1842_29 Depth=1
	v_bcnt_u32_b32 v16, v16, 0
	v_bcnt_u32_b32 v16, v17, v16
	flat_store_dword v[66:67], v16
.LBB1842_31:                            ;   in Loop: Header=BB1842_29 Depth=1
	s_or_b64 exec, exec, s[34:35]
	v_cmp_ne_u16_e64 s[34:35], s47, v167
	v_cndmask_b32_e64 v16, v1, v167, s[34:35]
	v_lshrrev_b32_sdwa v16, v10, v16 dst_sel:DWORD dst_unused:UNUSED_PAD src0_sel:DWORD src1_sel:WORD_0
	v_and_b32_e32 v19, v16, v18
	v_lshlrev_b32_e32 v16, 2, v19
	v_add_lshl_u32 v16, v16, v150, 2
	v_add_co_u32_e64 v68, s[34:35], v23, v16
	v_addc_co_u32_e64 v69, s[34:35], 0, v149, s[34:35]
	; wave barrier
	flat_load_dword v98, v[68:69]
	v_and_b32_e32 v16, 1, v19
	v_add_co_u32_e64 v17, s[34:35], -1, v16
	v_addc_co_u32_e64 v70, s[34:35], 0, -1, s[34:35]
	v_cmp_ne_u32_e64 s[34:35], 0, v16
	v_xor_b32_e32 v16, s35, v70
	v_xor_b32_e32 v17, s34, v17
	v_and_b32_e32 v70, exec_hi, v16
	v_and_b32_e32 v71, exec_lo, v17
	v_lshlrev_b32_e32 v17, 30, v19
	v_mov_b32_e32 v16, v15
	v_cmp_gt_i64_e64 s[34:35], 0, v[16:17]
	v_not_b32_e32 v16, v17
	v_ashrrev_i32_e32 v16, 31, v16
	v_xor_b32_e32 v17, s35, v16
	v_xor_b32_e32 v16, s34, v16
	v_and_b32_e32 v70, v70, v17
	v_and_b32_e32 v71, v71, v16
	v_lshlrev_b32_e32 v17, 29, v19
	v_mov_b32_e32 v16, v15
	v_cmp_gt_i64_e64 s[34:35], 0, v[16:17]
	v_not_b32_e32 v16, v17
	v_ashrrev_i32_e32 v16, 31, v16
	v_xor_b32_e32 v17, s35, v16
	v_xor_b32_e32 v16, s34, v16
	v_and_b32_e32 v70, v70, v17
	v_and_b32_e32 v71, v71, v16
	;; [unrolled: 9-line block ×7, first 2 shown]
	v_mbcnt_lo_u32_b32 v19, v16, 0
	v_mbcnt_hi_u32_b32 v100, v17, v19
	v_cmp_eq_u32_e64 s[34:35], 0, v100
	v_cmp_ne_u64_e64 s[36:37], 0, v[16:17]
	s_and_b64 s[36:37], s[36:37], s[34:35]
	; wave barrier
	s_and_saveexec_b64 s[34:35], s[36:37]
	s_cbranch_execz .LBB1842_33
; %bb.32:                               ;   in Loop: Header=BB1842_29 Depth=1
	v_bcnt_u32_b32 v16, v16, 0
	v_bcnt_u32_b32 v16, v17, v16
	s_waitcnt vmcnt(0) lgkmcnt(0)
	v_add_u32_e32 v16, v98, v16
	flat_store_dword v[68:69], v16
.LBB1842_33:                            ;   in Loop: Header=BB1842_29 Depth=1
	s_or_b64 exec, exec, s[34:35]
	v_cmp_ne_u16_e64 s[34:35], s47, v166
	v_cndmask_b32_e64 v16, v1, v166, s[34:35]
	v_lshrrev_b32_sdwa v16, v10, v16 dst_sel:DWORD dst_unused:UNUSED_PAD src0_sel:DWORD src1_sel:WORD_0
	v_and_b32_e32 v19, v16, v18
	v_lshlrev_b32_e32 v16, 2, v19
	v_add_lshl_u32 v16, v16, v150, 2
	v_add_co_u32_e64 v70, s[34:35], v23, v16
	v_addc_co_u32_e64 v71, s[34:35], 0, v149, s[34:35]
	; wave barrier
	flat_load_dword v102, v[70:71]
	v_and_b32_e32 v16, 1, v19
	v_add_co_u32_e64 v17, s[34:35], -1, v16
	v_addc_co_u32_e64 v80, s[34:35], 0, -1, s[34:35]
	v_cmp_ne_u32_e64 s[34:35], 0, v16
	v_xor_b32_e32 v16, s35, v80
	v_xor_b32_e32 v17, s34, v17
	v_and_b32_e32 v80, exec_hi, v16
	v_and_b32_e32 v81, exec_lo, v17
	v_lshlrev_b32_e32 v17, 30, v19
	v_mov_b32_e32 v16, v15
	v_cmp_gt_i64_e64 s[34:35], 0, v[16:17]
	v_not_b32_e32 v16, v17
	v_ashrrev_i32_e32 v16, 31, v16
	v_xor_b32_e32 v17, s35, v16
	v_xor_b32_e32 v16, s34, v16
	v_and_b32_e32 v80, v80, v17
	v_and_b32_e32 v81, v81, v16
	v_lshlrev_b32_e32 v17, 29, v19
	v_mov_b32_e32 v16, v15
	v_cmp_gt_i64_e64 s[34:35], 0, v[16:17]
	v_not_b32_e32 v16, v17
	v_ashrrev_i32_e32 v16, 31, v16
	v_xor_b32_e32 v17, s35, v16
	v_xor_b32_e32 v16, s34, v16
	v_and_b32_e32 v80, v80, v17
	v_and_b32_e32 v81, v81, v16
	;; [unrolled: 9-line block ×7, first 2 shown]
	v_mbcnt_lo_u32_b32 v19, v16, 0
	v_mbcnt_hi_u32_b32 v103, v17, v19
	v_cmp_eq_u32_e64 s[34:35], 0, v103
	v_cmp_ne_u64_e64 s[36:37], 0, v[16:17]
	s_and_b64 s[36:37], s[36:37], s[34:35]
	; wave barrier
	s_and_saveexec_b64 s[34:35], s[36:37]
	s_cbranch_execz .LBB1842_35
; %bb.34:                               ;   in Loop: Header=BB1842_29 Depth=1
	v_bcnt_u32_b32 v16, v16, 0
	v_bcnt_u32_b32 v16, v17, v16
	s_waitcnt vmcnt(0) lgkmcnt(0)
	v_add_u32_e32 v16, v102, v16
	flat_store_dword v[70:71], v16
.LBB1842_35:                            ;   in Loop: Header=BB1842_29 Depth=1
	s_or_b64 exec, exec, s[34:35]
	v_cmp_ne_u16_e64 s[34:35], s47, v165
	v_cndmask_b32_e64 v16, v1, v165, s[34:35]
	v_lshrrev_b32_sdwa v16, v10, v16 dst_sel:DWORD dst_unused:UNUSED_PAD src0_sel:DWORD src1_sel:WORD_0
	v_and_b32_e32 v19, v16, v18
	v_lshlrev_b32_e32 v16, 2, v19
	v_add_lshl_u32 v16, v16, v150, 2
	v_add_co_u32_e64 v80, s[34:35], v23, v16
	v_addc_co_u32_e64 v81, s[34:35], 0, v149, s[34:35]
	; wave barrier
	flat_load_dword v112, v[80:81]
	v_and_b32_e32 v16, 1, v19
	v_add_co_u32_e64 v17, s[34:35], -1, v16
	v_addc_co_u32_e64 v82, s[34:35], 0, -1, s[34:35]
	v_cmp_ne_u32_e64 s[34:35], 0, v16
	v_xor_b32_e32 v16, s35, v82
	v_xor_b32_e32 v17, s34, v17
	v_and_b32_e32 v82, exec_hi, v16
	v_and_b32_e32 v83, exec_lo, v17
	v_lshlrev_b32_e32 v17, 30, v19
	v_mov_b32_e32 v16, v15
	v_cmp_gt_i64_e64 s[34:35], 0, v[16:17]
	v_not_b32_e32 v16, v17
	v_ashrrev_i32_e32 v16, 31, v16
	v_xor_b32_e32 v17, s35, v16
	v_xor_b32_e32 v16, s34, v16
	v_and_b32_e32 v82, v82, v17
	v_and_b32_e32 v83, v83, v16
	v_lshlrev_b32_e32 v17, 29, v19
	v_mov_b32_e32 v16, v15
	v_cmp_gt_i64_e64 s[34:35], 0, v[16:17]
	v_not_b32_e32 v16, v17
	v_ashrrev_i32_e32 v16, 31, v16
	v_xor_b32_e32 v17, s35, v16
	v_xor_b32_e32 v16, s34, v16
	v_and_b32_e32 v82, v82, v17
	v_and_b32_e32 v83, v83, v16
	v_lshlrev_b32_e32 v17, 28, v19
	v_mov_b32_e32 v16, v15
	v_cmp_gt_i64_e64 s[34:35], 0, v[16:17]
	v_not_b32_e32 v16, v17
	v_ashrrev_i32_e32 v16, 31, v16
	v_xor_b32_e32 v17, s35, v16
	v_xor_b32_e32 v16, s34, v16
	v_and_b32_e32 v82, v82, v17
	v_and_b32_e32 v83, v83, v16
	v_lshlrev_b32_e32 v17, 27, v19
	v_mov_b32_e32 v16, v15
	v_cmp_gt_i64_e64 s[34:35], 0, v[16:17]
	v_not_b32_e32 v16, v17
	v_ashrrev_i32_e32 v16, 31, v16
	v_xor_b32_e32 v17, s35, v16
	v_xor_b32_e32 v16, s34, v16
	v_and_b32_e32 v82, v82, v17
	v_and_b32_e32 v83, v83, v16
	v_lshlrev_b32_e32 v17, 26, v19
	v_mov_b32_e32 v16, v15
	v_cmp_gt_i64_e64 s[34:35], 0, v[16:17]
	v_not_b32_e32 v16, v17
	v_ashrrev_i32_e32 v16, 31, v16
	v_xor_b32_e32 v17, s35, v16
	v_xor_b32_e32 v16, s34, v16
	v_and_b32_e32 v82, v82, v17
	v_and_b32_e32 v83, v83, v16
	v_lshlrev_b32_e32 v17, 25, v19
	v_mov_b32_e32 v16, v15
	v_cmp_gt_i64_e64 s[34:35], 0, v[16:17]
	v_not_b32_e32 v16, v17
	v_ashrrev_i32_e32 v16, 31, v16
	v_xor_b32_e32 v17, s35, v16
	v_xor_b32_e32 v16, s34, v16
	v_and_b32_e32 v82, v82, v17
	v_and_b32_e32 v83, v83, v16
	v_lshlrev_b32_e32 v17, 24, v19
	v_mov_b32_e32 v16, v15
	v_cmp_gt_i64_e64 s[34:35], 0, v[16:17]
	v_not_b32_e32 v16, v17
	v_ashrrev_i32_e32 v16, 31, v16
	v_xor_b32_e32 v17, s35, v16
	v_xor_b32_e32 v16, s34, v16
	v_and_b32_e32 v16, v83, v16
	v_and_b32_e32 v17, v82, v17
	v_mbcnt_lo_u32_b32 v19, v16, 0
	v_mbcnt_hi_u32_b32 v114, v17, v19
	v_cmp_eq_u32_e64 s[34:35], 0, v114
	v_cmp_ne_u64_e64 s[36:37], 0, v[16:17]
	s_and_b64 s[36:37], s[36:37], s[34:35]
	; wave barrier
	s_and_saveexec_b64 s[34:35], s[36:37]
	s_cbranch_execz .LBB1842_37
; %bb.36:                               ;   in Loop: Header=BB1842_29 Depth=1
	v_bcnt_u32_b32 v16, v16, 0
	v_bcnt_u32_b32 v16, v17, v16
	s_waitcnt vmcnt(0) lgkmcnt(0)
	v_add_u32_e32 v16, v112, v16
	flat_store_dword v[80:81], v16
.LBB1842_37:                            ;   in Loop: Header=BB1842_29 Depth=1
	s_or_b64 exec, exec, s[34:35]
	v_cmp_ne_u16_e64 s[34:35], s47, v164
	v_cndmask_b32_e64 v16, v1, v164, s[34:35]
	v_lshrrev_b32_sdwa v16, v10, v16 dst_sel:DWORD dst_unused:UNUSED_PAD src0_sel:DWORD src1_sel:WORD_0
	v_and_b32_e32 v19, v16, v18
	v_lshlrev_b32_e32 v16, 2, v19
	v_add_lshl_u32 v16, v16, v150, 2
	v_add_co_u32_e64 v82, s[34:35], v23, v16
	v_addc_co_u32_e64 v83, s[34:35], 0, v149, s[34:35]
	; wave barrier
	flat_load_dword v115, v[82:83]
	v_and_b32_e32 v16, 1, v19
	v_add_co_u32_e64 v17, s[34:35], -1, v16
	v_addc_co_u32_e64 v84, s[34:35], 0, -1, s[34:35]
	v_cmp_ne_u32_e64 s[34:35], 0, v16
	v_xor_b32_e32 v16, s35, v84
	v_xor_b32_e32 v17, s34, v17
	v_and_b32_e32 v84, exec_hi, v16
	v_and_b32_e32 v85, exec_lo, v17
	v_lshlrev_b32_e32 v17, 30, v19
	v_mov_b32_e32 v16, v15
	v_cmp_gt_i64_e64 s[34:35], 0, v[16:17]
	v_not_b32_e32 v16, v17
	v_ashrrev_i32_e32 v16, 31, v16
	v_xor_b32_e32 v17, s35, v16
	v_xor_b32_e32 v16, s34, v16
	v_and_b32_e32 v84, v84, v17
	v_and_b32_e32 v85, v85, v16
	v_lshlrev_b32_e32 v17, 29, v19
	v_mov_b32_e32 v16, v15
	v_cmp_gt_i64_e64 s[34:35], 0, v[16:17]
	v_not_b32_e32 v16, v17
	v_ashrrev_i32_e32 v16, 31, v16
	v_xor_b32_e32 v17, s35, v16
	v_xor_b32_e32 v16, s34, v16
	v_and_b32_e32 v84, v84, v17
	v_and_b32_e32 v85, v85, v16
	;; [unrolled: 9-line block ×7, first 2 shown]
	v_mbcnt_lo_u32_b32 v19, v16, 0
	v_mbcnt_hi_u32_b32 v116, v17, v19
	v_cmp_eq_u32_e64 s[34:35], 0, v116
	v_cmp_ne_u64_e64 s[36:37], 0, v[16:17]
	s_and_b64 s[36:37], s[36:37], s[34:35]
	; wave barrier
	s_and_saveexec_b64 s[34:35], s[36:37]
	s_cbranch_execz .LBB1842_39
; %bb.38:                               ;   in Loop: Header=BB1842_29 Depth=1
	v_bcnt_u32_b32 v16, v16, 0
	v_bcnt_u32_b32 v16, v17, v16
	s_waitcnt vmcnt(0) lgkmcnt(0)
	v_add_u32_e32 v16, v115, v16
	flat_store_dword v[82:83], v16
.LBB1842_39:                            ;   in Loop: Header=BB1842_29 Depth=1
	s_or_b64 exec, exec, s[34:35]
	v_cmp_ne_u16_e64 s[34:35], s47, v163
	v_cndmask_b32_e64 v16, v1, v163, s[34:35]
	v_lshrrev_b32_sdwa v16, v10, v16 dst_sel:DWORD dst_unused:UNUSED_PAD src0_sel:DWORD src1_sel:WORD_0
	v_and_b32_e32 v19, v16, v18
	v_lshlrev_b32_e32 v16, 2, v19
	v_add_lshl_u32 v16, v16, v150, 2
	v_add_co_u32_e64 v84, s[34:35], v23, v16
	v_addc_co_u32_e64 v85, s[34:35], 0, v149, s[34:35]
	; wave barrier
	flat_load_dword v117, v[84:85]
	v_and_b32_e32 v16, 1, v19
	v_add_co_u32_e64 v17, s[34:35], -1, v16
	v_addc_co_u32_e64 v86, s[34:35], 0, -1, s[34:35]
	v_cmp_ne_u32_e64 s[34:35], 0, v16
	v_xor_b32_e32 v16, s35, v86
	v_xor_b32_e32 v17, s34, v17
	v_and_b32_e32 v86, exec_hi, v16
	v_and_b32_e32 v87, exec_lo, v17
	v_lshlrev_b32_e32 v17, 30, v19
	v_mov_b32_e32 v16, v15
	v_cmp_gt_i64_e64 s[34:35], 0, v[16:17]
	v_not_b32_e32 v16, v17
	v_ashrrev_i32_e32 v16, 31, v16
	v_xor_b32_e32 v17, s35, v16
	v_xor_b32_e32 v16, s34, v16
	v_and_b32_e32 v86, v86, v17
	v_and_b32_e32 v87, v87, v16
	v_lshlrev_b32_e32 v17, 29, v19
	v_mov_b32_e32 v16, v15
	v_cmp_gt_i64_e64 s[34:35], 0, v[16:17]
	v_not_b32_e32 v16, v17
	v_ashrrev_i32_e32 v16, 31, v16
	v_xor_b32_e32 v17, s35, v16
	v_xor_b32_e32 v16, s34, v16
	v_and_b32_e32 v86, v86, v17
	v_and_b32_e32 v87, v87, v16
	;; [unrolled: 9-line block ×7, first 2 shown]
	v_mbcnt_lo_u32_b32 v19, v16, 0
	v_mbcnt_hi_u32_b32 v118, v17, v19
	v_cmp_eq_u32_e64 s[34:35], 0, v118
	v_cmp_ne_u64_e64 s[36:37], 0, v[16:17]
	s_and_b64 s[36:37], s[36:37], s[34:35]
	; wave barrier
	s_and_saveexec_b64 s[34:35], s[36:37]
	s_cbranch_execz .LBB1842_41
; %bb.40:                               ;   in Loop: Header=BB1842_29 Depth=1
	v_bcnt_u32_b32 v16, v16, 0
	v_bcnt_u32_b32 v16, v17, v16
	s_waitcnt vmcnt(0) lgkmcnt(0)
	v_add_u32_e32 v16, v117, v16
	flat_store_dword v[84:85], v16
.LBB1842_41:                            ;   in Loop: Header=BB1842_29 Depth=1
	s_or_b64 exec, exec, s[34:35]
	v_cmp_ne_u16_e64 s[34:35], s47, v162
	v_cndmask_b32_e64 v16, v1, v162, s[34:35]
	v_lshrrev_b32_sdwa v16, v10, v16 dst_sel:DWORD dst_unused:UNUSED_PAD src0_sel:DWORD src1_sel:WORD_0
	v_and_b32_e32 v19, v16, v18
	v_lshlrev_b32_e32 v16, 2, v19
	v_add_lshl_u32 v16, v16, v150, 2
	v_add_co_u32_e64 v86, s[34:35], v23, v16
	v_addc_co_u32_e64 v87, s[34:35], 0, v149, s[34:35]
	; wave barrier
	flat_load_dword v119, v[86:87]
	v_and_b32_e32 v16, 1, v19
	v_add_co_u32_e64 v17, s[34:35], -1, v16
	v_addc_co_u32_e64 v96, s[34:35], 0, -1, s[34:35]
	v_cmp_ne_u32_e64 s[34:35], 0, v16
	v_xor_b32_e32 v16, s35, v96
	v_xor_b32_e32 v17, s34, v17
	v_and_b32_e32 v96, exec_hi, v16
	v_and_b32_e32 v97, exec_lo, v17
	v_lshlrev_b32_e32 v17, 30, v19
	v_mov_b32_e32 v16, v15
	v_cmp_gt_i64_e64 s[34:35], 0, v[16:17]
	v_not_b32_e32 v16, v17
	v_ashrrev_i32_e32 v16, 31, v16
	v_xor_b32_e32 v17, s35, v16
	v_xor_b32_e32 v16, s34, v16
	v_and_b32_e32 v96, v96, v17
	v_and_b32_e32 v97, v97, v16
	v_lshlrev_b32_e32 v17, 29, v19
	v_mov_b32_e32 v16, v15
	v_cmp_gt_i64_e64 s[34:35], 0, v[16:17]
	v_not_b32_e32 v16, v17
	v_ashrrev_i32_e32 v16, 31, v16
	v_xor_b32_e32 v17, s35, v16
	v_xor_b32_e32 v16, s34, v16
	v_and_b32_e32 v96, v96, v17
	v_and_b32_e32 v97, v97, v16
	;; [unrolled: 9-line block ×7, first 2 shown]
	v_mbcnt_lo_u32_b32 v19, v16, 0
	v_mbcnt_hi_u32_b32 v128, v17, v19
	v_cmp_eq_u32_e64 s[34:35], 0, v128
	v_cmp_ne_u64_e64 s[36:37], 0, v[16:17]
	s_and_b64 s[36:37], s[36:37], s[34:35]
	; wave barrier
	s_and_saveexec_b64 s[34:35], s[36:37]
	s_cbranch_execz .LBB1842_43
; %bb.42:                               ;   in Loop: Header=BB1842_29 Depth=1
	v_bcnt_u32_b32 v16, v16, 0
	v_bcnt_u32_b32 v16, v17, v16
	s_waitcnt vmcnt(0) lgkmcnt(0)
	v_add_u32_e32 v16, v119, v16
	flat_store_dword v[86:87], v16
.LBB1842_43:                            ;   in Loop: Header=BB1842_29 Depth=1
	s_or_b64 exec, exec, s[34:35]
	v_cmp_ne_u16_e64 s[34:35], s47, v161
	v_cndmask_b32_e64 v16, v1, v161, s[34:35]
	v_lshrrev_b32_sdwa v16, v10, v16 dst_sel:DWORD dst_unused:UNUSED_PAD src0_sel:DWORD src1_sel:WORD_0
	v_and_b32_e32 v18, v16, v18
	v_lshlrev_b32_e32 v16, 2, v18
	v_add_lshl_u32 v16, v16, v150, 2
	v_add_co_u32_e64 v96, s[34:35], v23, v16
	v_addc_co_u32_e64 v97, s[34:35], 0, v149, s[34:35]
	; wave barrier
	flat_load_dword v129, v[96:97]
	v_and_b32_e32 v16, 1, v18
	v_add_co_u32_e64 v17, s[34:35], -1, v16
	v_addc_co_u32_e64 v19, s[34:35], 0, -1, s[34:35]
	v_cmp_ne_u32_e64 s[34:35], 0, v16
	v_xor_b32_e32 v16, s35, v19
	v_xor_b32_e32 v17, s34, v17
	v_and_b32_e32 v19, exec_hi, v16
	v_and_b32_e32 v99, exec_lo, v17
	v_lshlrev_b32_e32 v17, 30, v18
	v_mov_b32_e32 v16, v15
	v_cmp_gt_i64_e64 s[34:35], 0, v[16:17]
	v_not_b32_e32 v16, v17
	v_ashrrev_i32_e32 v16, 31, v16
	v_xor_b32_e32 v17, s35, v16
	v_xor_b32_e32 v16, s34, v16
	v_and_b32_e32 v19, v19, v17
	v_and_b32_e32 v99, v99, v16
	v_lshlrev_b32_e32 v17, 29, v18
	v_mov_b32_e32 v16, v15
	v_cmp_gt_i64_e64 s[34:35], 0, v[16:17]
	v_not_b32_e32 v16, v17
	v_ashrrev_i32_e32 v16, 31, v16
	v_xor_b32_e32 v17, s35, v16
	v_xor_b32_e32 v16, s34, v16
	v_and_b32_e32 v19, v19, v17
	v_and_b32_e32 v99, v99, v16
	;; [unrolled: 9-line block ×7, first 2 shown]
	v_mbcnt_lo_u32_b32 v18, v16, 0
	v_mbcnt_hi_u32_b32 v130, v17, v18
	v_cmp_eq_u32_e64 s[34:35], 0, v130
	v_cmp_ne_u64_e64 s[36:37], 0, v[16:17]
	s_and_b64 s[36:37], s[36:37], s[34:35]
	; wave barrier
	s_and_saveexec_b64 s[34:35], s[36:37]
	s_cbranch_execz .LBB1842_45
; %bb.44:                               ;   in Loop: Header=BB1842_29 Depth=1
	v_bcnt_u32_b32 v16, v16, 0
	v_bcnt_u32_b32 v16, v17, v16
	s_waitcnt vmcnt(0) lgkmcnt(0)
	v_add_u32_e32 v16, v129, v16
	flat_store_dword v[96:97], v16
.LBB1842_45:                            ;   in Loop: Header=BB1842_29 Depth=1
	s_or_b64 exec, exec, s[34:35]
	; wave barrier
	s_waitcnt lgkmcnt(0)
	s_barrier
	flat_load_dwordx4 v[16:19], v[4:5] offset:16
	s_waitcnt vmcnt(0) lgkmcnt(0)
	v_add_u32_e32 v99, v17, v16
	v_add3_u32 v19, v99, v18, v19
	s_nop 1
	v_mov_b32_dpp v99, v19 row_shr:1 row_mask:0xf bank_mask:0xf
	v_cndmask_b32_e64 v99, v99, 0, vcc
	v_add_u32_e32 v19, v99, v19
	s_nop 1
	v_mov_b32_dpp v99, v19 row_shr:2 row_mask:0xf bank_mask:0xf
	v_cndmask_b32_e64 v99, 0, v99, s[4:5]
	v_add_u32_e32 v19, v19, v99
	s_nop 1
	v_mov_b32_dpp v99, v19 row_shr:4 row_mask:0xf bank_mask:0xf
	v_cndmask_b32_e64 v99, 0, v99, s[6:7]
	v_add_u32_e32 v19, v19, v99
	s_nop 1
	v_mov_b32_dpp v99, v19 row_shr:8 row_mask:0xf bank_mask:0xf
	v_cndmask_b32_e64 v99, 0, v99, s[10:11]
	v_add_u32_e32 v19, v19, v99
	s_nop 1
	v_mov_b32_dpp v99, v19 row_bcast:15 row_mask:0xf bank_mask:0xf
	v_cndmask_b32_e64 v99, v99, 0, s[30:31]
	v_add_u32_e32 v19, v19, v99
	s_nop 1
	v_mov_b32_dpp v99, v19 row_bcast:31 row_mask:0xf bank_mask:0xf
	v_cndmask_b32_e64 v99, 0, v99, s[14:15]
	v_add_u32_e32 v19, v19, v99
	s_and_saveexec_b64 s[34:35], s[16:17]
	s_cbranch_execz .LBB1842_47
; %bb.46:                               ;   in Loop: Header=BB1842_29 Depth=1
	flat_store_dword v[24:25], v19
.LBB1842_47:                            ;   in Loop: Header=BB1842_29 Depth=1
	s_or_b64 exec, exec, s[34:35]
	s_waitcnt lgkmcnt(0)
	s_barrier
	s_and_saveexec_b64 s[34:35], s[18:19]
	s_cbranch_execz .LBB1842_49
; %bb.48:                               ;   in Loop: Header=BB1842_29 Depth=1
	flat_load_dword v99, v[26:27]
	s_waitcnt vmcnt(0) lgkmcnt(0)
	s_nop 0
	v_mov_b32_dpp v101, v99 row_shr:1 row_mask:0xf bank_mask:0xf
	v_cndmask_b32_e64 v101, v101, 0, s[26:27]
	v_add_u32_e32 v99, v101, v99
	s_nop 1
	v_mov_b32_dpp v101, v99 row_shr:2 row_mask:0xf bank_mask:0xf
	v_cndmask_b32_e64 v101, 0, v101, s[28:29]
	v_add_u32_e32 v99, v99, v101
	flat_store_dword v[26:27], v99
.LBB1842_49:                            ;   in Loop: Header=BB1842_29 Depth=1
	s_or_b64 exec, exec, s[34:35]
	v_mov_b32_e32 v99, 0
	s_waitcnt lgkmcnt(0)
	s_barrier
	s_and_saveexec_b64 s[34:35], s[20:21]
	s_cbranch_execz .LBB1842_51
; %bb.50:                               ;   in Loop: Header=BB1842_29 Depth=1
	flat_load_dword v99, v[38:39]
.LBB1842_51:                            ;   in Loop: Header=BB1842_29 Depth=1
	s_or_b64 exec, exec, s[34:35]
	s_waitcnt vmcnt(0) lgkmcnt(0)
	v_add_u32_e32 v19, v99, v19
	ds_bpermute_b32 v19, v151, v19
	v_mov_b32_e32 v101, v15
	v_mov_b32_e32 v113, v15
	v_add_u32_e32 v10, 8, v10
	v_cmp_lt_u32_e64 s[34:35], v10, v11
	s_waitcnt lgkmcnt(0)
	v_cndmask_b32_e64 v19, v19, v99, s[22:23]
	v_cndmask_b32_e64 v132, v19, 0, s[24:25]
	v_add_u32_e32 v133, v132, v16
	v_add_u32_e32 v134, v133, v17
	v_add_u32_e32 v135, v134, v18
	flat_store_dwordx4 v[4:5], v[132:135] offset:16
	s_waitcnt lgkmcnt(0)
	s_barrier
	flat_load_dword v16, v[66:67]
	flat_load_dword v17, v[68:69]
	;; [unrolled: 1-line block ×8, first 2 shown]
	v_mov_b32_e32 v71, v15
	v_mov_b32_e32 v83, v15
	;; [unrolled: 1-line block ×5, first 2 shown]
	s_mov_b64 s[44:45], -1
	s_waitcnt lgkmcnt(0)
                                        ; implicit-def: $vgpr177
	s_waitcnt vmcnt(0) lgkmcnt(0)
	v_add_u32_e32 v14, v16, v14
	v_add3_u32 v70, v100, v98, v17
	v_lshlrev_b64 v[16:17], 1, v[14:15]
	v_add3_u32 v82, v103, v102, v18
	v_add3_u32 v96, v116, v115, v131
	v_add_co_u32_e64 v116, s[36:37], v12, v16
	v_add3_u32 v84, v114, v112, v19
	v_add3_u32 v98, v118, v117, v132
	v_lshlrev_b64 v[18:19], 1, v[70:71]
	v_addc_co_u32_e64 v117, s[36:37], v13, v17, s[36:37]
	v_add_co_u32_e64 v118, s[36:37], v12, v18
	v_add3_u32 v100, v128, v119, v133
	v_lshlrev_b64 v[66:67], 1, v[82:83]
	v_addc_co_u32_e64 v119, s[36:37], v13, v19, s[36:37]
	v_add_co_u32_e64 v128, s[36:37], v12, v66
	;; [unrolled: 4-line block ×3, first 2 shown]
	v_lshlrev_b64 v[80:81], 1, v[96:97]
	v_addc_co_u32_e64 v131, s[36:37], v13, v69, s[36:37]
	v_add_co_u32_e64 v132, s[36:37], v12, v80
	v_lshlrev_b64 v[86:87], 1, v[98:99]
	v_addc_co_u32_e64 v133, s[36:37], v13, v81, s[36:37]
	v_add_co_u32_e64 v134, s[36:37], v12, v86
	;; [unrolled: 3-line block ×4, first 2 shown]
	v_addc_co_u32_e64 v147, s[36:37], v13, v115, s[36:37]
                                        ; implicit-def: $vgpr16_vgpr17
                                        ; implicit-def: $vgpr18_vgpr19
                                        ; implicit-def: $vgpr66_vgpr67
                                        ; implicit-def: $vgpr68_vgpr69
                                        ; implicit-def: $vgpr80_vgpr81
                                        ; implicit-def: $vgpr86_vgpr87
                                        ; implicit-def: $vgpr102_vgpr103
                                        ; implicit-def: $vgpr114_vgpr115
                                        ; implicit-def: $vgpr71
                                        ; implicit-def: $vgpr83
                                        ; implicit-def: $vgpr85
                                        ; implicit-def: $vgpr97
                                        ; implicit-def: $vgpr99
                                        ; implicit-def: $vgpr101
                                        ; implicit-def: $vgpr113
	s_and_saveexec_b64 s[36:37], s[34:35]
	s_cbranch_execz .LBB1842_28
; %bb.52:                               ;   in Loop: Header=BB1842_29 Depth=1
	v_mad_u64_u32 v[16:17], s[34:35], v14, 6, v[116:117]
	s_barrier
	flat_store_short v[116:117], v176
	flat_store_short v[118:119], v167
	;; [unrolled: 1-line block ×8, first 2 shown]
	s_waitcnt lgkmcnt(0)
	s_barrier
	flat_load_ushort v71, v[54:55]
	flat_load_ushort v83, v[54:55] offset:128
	flat_load_ushort v85, v[54:55] offset:256
	;; [unrolled: 1-line block ×7, first 2 shown]
	s_waitcnt lgkmcnt(0)
	s_barrier
	flat_store_dwordx2 v[16:17], v[52:53]
	v_mad_u64_u32 v[16:17], s[34:35], v70, 6, v[118:119]
	flat_store_dwordx2 v[16:17], v[50:51]
	v_mad_u64_u32 v[16:17], s[34:35], v82, 6, v[128:129]
	;; [unrolled: 2-line block ×7, first 2 shown]
	flat_store_dwordx2 v[16:17], v[28:29]
	s_waitcnt lgkmcnt(0)
	s_barrier
	flat_load_dwordx2 v[16:17], v[64:65]
	flat_load_dwordx2 v[18:19], v[64:65] offset:512
	flat_load_dwordx2 v[66:67], v[64:65] offset:1024
	flat_load_dwordx2 v[68:69], v[64:65] offset:1536
	flat_load_dwordx2 v[80:81], v[64:65] offset:2048
	flat_load_dwordx2 v[86:87], v[64:65] offset:2560
	flat_load_dwordx2 v[102:103], v[64:65] offset:3072
	flat_load_dwordx2 v[114:115], v[64:65] offset:3584
	v_add_u32_e32 v160, -8, v160
	s_xor_b64 s[44:45], exec, -1
	s_waitcnt lgkmcnt(0)
	s_barrier
	s_branch .LBB1842_28
.LBB1842_53:
	s_or_b64 exec, exec, s[42:43]
	v_lshlrev_b32_e32 v1, 1, v22
	v_add_co_u32_e32 v4, vcc, v12, v1
	v_addc_co_u32_e32 v5, vcc, 0, v13, vcc
	v_mad_u64_u32 v[10:11], s[4:5], v14, 6, v[116:117]
	s_barrier
	flat_store_short v[116:117], v176
	flat_store_short v[118:119], v167
	flat_store_short v[128:129], v166
	flat_store_short v[130:131], v165
	flat_store_short v[132:133], v164
	flat_store_short v[134:135], v163
	flat_store_short v[144:145], v162
	flat_store_short v[146:147], v161
	s_waitcnt lgkmcnt(0)
	s_barrier
	s_waitcnt vmcnt(0)
	flat_load_ushort v66, v[4:5]
	flat_load_ushort v65, v[4:5] offset:512
	flat_load_ushort v64, v[4:5] offset:1024
	;; [unrolled: 1-line block ×7, first 2 shown]
	s_waitcnt lgkmcnt(0)
	s_barrier
	flat_store_dwordx2 v[10:11], v[52:53]
	v_mad_u64_u32 v[10:11], s[4:5], v70, 6, v[118:119]
	flat_store_dwordx2 v[10:11], v[50:51]
	v_mad_u64_u32 v[10:11], s[4:5], v82, 6, v[128:129]
	;; [unrolled: 2-line block ×7, first 2 shown]
	v_mad_u64_u32 v[4:5], s[4:5], v22, 6, v[4:5]
	s_movk_i32 s4, 0x1000
	flat_store_dwordx2 v[10:11], v[28:29]
	v_add_co_u32_e32 v10, vcc, s4, v4
	v_mov_b32_e32 v1, 0x2000
	v_addc_co_u32_e32 v11, vcc, 0, v5, vcc
	v_lshl_or_b32 v1, v22, 3, v1
	v_add_co_u32_e32 v28, vcc, v12, v1
	s_movk_i32 s4, 0x2000
	v_addc_co_u32_e32 v29, vcc, 0, v13, vcc
	v_add_co_u32_e32 v30, vcc, s4, v4
	v_addc_co_u32_e32 v31, vcc, 0, v5, vcc
	s_movk_i32 s4, 0x3000
	v_add_co_u32_e32 v32, vcc, s4, v4
	s_waitcnt lgkmcnt(0)
	s_barrier
	flat_load_dwordx2 v[26:27], v[4:5]
	flat_load_dwordx2 v[24:25], v[4:5] offset:2048
	flat_load_dwordx2 v[18:19], v[10:11]
	flat_load_dwordx2 v[14:15], v[10:11] offset:2048
	v_addc_co_u32_e32 v33, vcc, 0, v5, vcc
	flat_load_dwordx2 v[16:17], v[28:29]
	flat_load_dwordx2 v[12:13], v[30:31] offset:2048
	flat_load_dwordx2 v[10:11], v[32:33]
	flat_load_dwordx2 v[4:5], v[32:33] offset:2048
	v_mov_b32_e32 v1, 0
	v_add_co_u32_e32 v20, vcc, v2, v20
	v_addc_co_u32_e32 v21, vcc, v3, v21, vcc
	v_lshlrev_b64 v[2:3], 1, v[0:1]
	v_add_co_u32_e32 v2, vcc, v20, v2
	v_addc_co_u32_e32 v3, vcc, v21, v3, vcc
	v_cmp_lt_u32_e32 vcc, v0, v148
	s_waitcnt lgkmcnt(0)
	s_barrier
	s_and_saveexec_b64 s[6:7], vcc
	s_cbranch_execz .LBB1842_55
; %bb.54:
	v_mov_b32_e32 v20, 0xffff8000
	s_waitcnt vmcnt(0)
	v_cmp_lt_i16_e64 s[4:5], -1, v66
	v_cndmask_b32_e64 v20, v20, -1, s[4:5]
	v_xor_b32_e32 v20, v20, v66
	flat_store_short v[2:3], v20
.LBB1842_55:
	s_or_b64 exec, exec, s[6:7]
	v_add_u32_e32 v20, 0x100, v0
	v_cmp_lt_u32_e64 s[4:5], v20, v148
	s_and_saveexec_b64 s[10:11], s[4:5]
	s_cbranch_execz .LBB1842_57
; %bb.56:
	v_mov_b32_e32 v20, 0xffff8000
	s_waitcnt vmcnt(0)
	v_cmp_lt_i16_e64 s[6:7], -1, v65
	v_cndmask_b32_e64 v20, v20, -1, s[6:7]
	v_xor_b32_e32 v20, v20, v65
	flat_store_short v[2:3], v20 offset:512
.LBB1842_57:
	s_or_b64 exec, exec, s[10:11]
	v_add_u32_e32 v20, 0x200, v0
	v_cmp_lt_u32_e64 s[6:7], v20, v148
	s_and_saveexec_b64 s[14:15], s[6:7]
	s_cbranch_execz .LBB1842_59
; %bb.58:
	v_mov_b32_e32 v20, 0xffff8000
	s_waitcnt vmcnt(0)
	v_cmp_lt_i16_e64 s[10:11], -1, v64
	v_cndmask_b32_e64 v20, v20, -1, s[10:11]
	v_xor_b32_e32 v20, v20, v64
	flat_store_short v[2:3], v20 offset:1024
.LBB1842_59:
	;; [unrolled: 13-line block ×7, first 2 shown]
	s_or_b64 exec, exec, s[24:25]
	v_add_co_u32_e64 v2, s[22:23], v6, v8
	v_addc_co_u32_e64 v3, s[22:23], v7, v9, s[22:23]
	v_lshlrev_b64 v[0:1], 3, v[0:1]
	v_add_co_u32_e64 v0, s[22:23], v2, v0
	v_addc_co_u32_e64 v1, s[22:23], v3, v1, s[22:23]
	s_and_saveexec_b64 s[22:23], vcc
	s_cbranch_execnz .LBB1842_119
; %bb.70:
	s_or_b64 exec, exec, s[22:23]
	s_and_saveexec_b64 s[22:23], s[4:5]
	s_cbranch_execnz .LBB1842_120
.LBB1842_71:
	s_or_b64 exec, exec, s[22:23]
	s_and_saveexec_b64 s[4:5], s[6:7]
	s_cbranch_execnz .LBB1842_121
.LBB1842_72:
	s_or_b64 exec, exec, s[4:5]
	s_and_saveexec_b64 s[4:5], s[10:11]
	s_cbranch_execnz .LBB1842_122
.LBB1842_73:
	s_or_b64 exec, exec, s[4:5]
	s_and_saveexec_b64 s[4:5], s[20:21]
	s_cbranch_execnz .LBB1842_123
.LBB1842_74:
	s_or_b64 exec, exec, s[4:5]
	s_and_saveexec_b64 s[4:5], s[14:15]
	s_cbranch_execnz .LBB1842_124
.LBB1842_75:
	s_or_b64 exec, exec, s[4:5]
	s_and_saveexec_b64 s[4:5], s[16:17]
	s_cbranch_execnz .LBB1842_125
.LBB1842_76:
	s_or_b64 exec, exec, s[4:5]
	s_and_saveexec_b64 s[4:5], s[18:19]
	s_cbranch_execz .LBB1842_78
.LBB1842_77:
	v_add_co_u32_e32 v0, vcc, 0x3000, v0
	v_addc_co_u32_e32 v1, vcc, 0, v1, vcc
	s_waitcnt vmcnt(0)
	flat_store_dwordx2 v[0:1], v[4:5] offset:2048
.LBB1842_78:
	s_or_b64 exec, exec, s[4:5]
                                        ; implicit-def: $vgpr148
                                        ; implicit-def: $vgpr0
                                        ; implicit-def: $vgpr1
                                        ; implicit-def: $vgpr2
                                        ; implicit-def: $vgpr3
                                        ; implicit-def: $vgpr4
                                        ; implicit-def: $vgpr5
                                        ; implicit-def: $vgpr6
                                        ; implicit-def: $vgpr7
                                        ; implicit-def: $vgpr8
                                        ; implicit-def: $vgpr10
                                        ; implicit-def: $vgpr11
                                        ; implicit-def: $vgpr12
                                        ; implicit-def: $vgpr13
                                        ; implicit-def: $vgpr31
                                        ; implicit-def: $vgpr16
                                        ; implicit-def: $vgpr17
                                        ; implicit-def: $vgpr14
.LBB1842_79:
	s_andn2_saveexec_b64 s[4:5], s[40:41]
	s_cbranch_execz .LBB1842_199
; %bb.80:
	s_movk_i32 s4, 0x200
	v_cmp_lt_u32_e32 vcc, s4, v148
	s_and_saveexec_b64 s[4:5], vcc
	s_xor_b64 s[40:41], exec, s[4:5]
	s_cbranch_execz .LBB1842_140
; %bb.81:
	s_load_dwordx2 s[4:5], s[8:9], 0x0
	v_mov_b32_e32 v9, 0
	s_waitcnt vmcnt(0)
	v_mbcnt_hi_u32_b32 v18, -1, v14
	v_lshlrev_b64 v[36:37], 1, v[8:9]
	v_and_b32_e32 v19, 63, v18
	s_waitcnt lgkmcnt(0)
	s_cmp_lt_u32 s12, s4
	s_cselect_b32 s6, 12, 18
	s_cmp_lt_u32 s13, s5
	s_cselect_b32 s4, 14, 20
	s_add_u32 s4, s8, s4
	s_addc_u32 s5, s9, 0
	s_add_u32 s6, s8, s6
	global_load_ushort v21, v9, s[4:5]
	s_addc_u32 s7, s9, 0
	global_load_ushort v22, v9, s[6:7]
	v_add_co_u32_e32 v0, vcc, v0, v36
	v_addc_co_u32_e32 v1, vcc, v1, v37, vcc
	v_lshlrev_b32_e32 v14, 1, v19
	v_and_b32_e32 v34, 0x3ff, v31
	v_add_co_u32_e32 v23, vcc, v0, v14
	v_addc_co_u32_e32 v24, vcc, 0, v1, vcc
	v_mov_b32_e32 v15, v9
	v_mov_b32_e32 v20, 0x7fff
	s_waitcnt vmcnt(1)
	v_mad_u32_u24 v0, v17, v21, v16
	v_mov_b32_e32 v21, 0x7fff
	s_waitcnt vmcnt(0)
	v_mad_u64_u32 v[0:1], s[4:5], v0, v22, v[34:35]
	v_lshlrev_b32_e32 v1, 2, v0
	v_and_b32_e32 v14, 0xffffff00, v1
	v_lshlrev_b64 v[16:17], 1, v[14:15]
	v_or_b32_e32 v1, v14, v19
	v_add_co_u32_e32 v16, vcc, v23, v16
	v_addc_co_u32_e32 v17, vcc, v24, v17, vcc
	v_cmp_lt_u32_e64 s[10:11], v1, v148
	s_and_saveexec_b64 s[4:5], s[10:11]
	s_cbranch_execz .LBB1842_83
; %bb.82:
	flat_load_ushort v21, v[16:17]
.LBB1842_83:
	s_or_b64 exec, exec, s[4:5]
	v_or_b32_e32 v22, 64, v1
	v_cmp_lt_u32_e64 s[6:7], v22, v148
	s_and_saveexec_b64 s[4:5], s[6:7]
	s_cbranch_execz .LBB1842_85
; %bb.84:
	flat_load_ushort v20, v[16:17] offset:128
.LBB1842_85:
	s_or_b64 exec, exec, s[4:5]
	v_or_b32_e32 v22, 0x80, v1
	v_cmp_lt_u32_e64 s[4:5], v22, v148
	v_mov_b32_e32 v30, 0x7fff
	v_mov_b32_e32 v31, 0x7fff
	s_and_saveexec_b64 s[14:15], s[4:5]
	s_cbranch_execz .LBB1842_87
; %bb.86:
	flat_load_ushort v31, v[16:17] offset:256
.LBB1842_87:
	s_or_b64 exec, exec, s[14:15]
	v_or_b32_e32 v1, 0xc0, v1
	v_cmp_lt_u32_e32 vcc, v1, v148
	s_and_saveexec_b64 s[14:15], vcc
	s_cbranch_execz .LBB1842_89
; %bb.88:
	flat_load_ushort v30, v[16:17] offset:384
.LBB1842_89:
	s_or_b64 exec, exec, s[14:15]
	v_lshlrev_b64 v[8:9], 3, v[8:9]
	v_add_co_u32_e64 v1, s[14:15], v4, v8
	v_addc_co_u32_e64 v4, s[14:15], v5, v9, s[14:15]
	v_lshlrev_b32_e32 v5, 3, v19
	v_add_co_u32_e64 v1, s[14:15], v1, v5
	v_addc_co_u32_e64 v16, s[14:15], 0, v4, s[14:15]
	v_lshlrev_b64 v[4:5], 3, v[14:15]
	v_add_co_u32_e64 v4, s[14:15], v1, v4
	v_addc_co_u32_e64 v5, s[14:15], v16, v5, s[14:15]
                                        ; implicit-def: $vgpr22_vgpr23_vgpr24_vgpr25_vgpr26_vgpr27_vgpr28_vgpr29
	s_and_saveexec_b64 s[14:15], s[10:11]
	s_cbranch_execnz .LBB1842_164
; %bb.90:
	s_or_b64 exec, exec, s[14:15]
	s_and_saveexec_b64 s[10:11], s[6:7]
	s_cbranch_execnz .LBB1842_165
.LBB1842_91:
	s_or_b64 exec, exec, s[10:11]
	s_and_saveexec_b64 s[6:7], s[4:5]
	s_cbranch_execnz .LBB1842_166
.LBB1842_92:
	s_or_b64 exec, exec, s[6:7]
	s_and_saveexec_b64 s[4:5], vcc
	s_cbranch_execz .LBB1842_94
.LBB1842_93:
	flat_load_dwordx2 v[28:29], v[4:5] offset:1536
.LBB1842_94:
	s_or_b64 exec, exec, s[4:5]
	v_mov_b32_e32 v1, 0xffff8000
	s_waitcnt vmcnt(0) lgkmcnt(0)
	v_cmp_lt_i16_e32 vcc, -1, v21
	v_cndmask_b32_e32 v4, -1, v1, vcc
	v_cmp_lt_i16_e32 vcc, -1, v20
	v_xor_b32_e32 v67, v4, v21
	v_cndmask_b32_e32 v4, -1, v1, vcc
	v_cmp_lt_i16_e32 vcc, -1, v31
	v_xor_b32_e32 v69, v4, v20
	;; [unrolled: 3-line block ×3, first 2 shown]
	v_cndmask_b32_e32 v4, -1, v1, vcc
	v_add_co_u32_e32 v35, vcc, 16, v12
	v_and_b32_e32 v14, 0x3c0, v34
	v_xor_b32_e32 v112, v4, v30
	v_addc_co_u32_e32 v96, vcc, 0, v13, vcc
	v_lshlrev_b32_e32 v4, 4, v34
	v_min_u32_e32 v14, 0xc0, v14
	v_add_co_u32_e32 v38, vcc, v12, v4
	v_or_b32_e32 v14, 63, v14
	s_getpc_b64 s[4:5]
	s_add_u32 s4, s4, _ZN7rocprim17ROCPRIM_400000_NS16block_radix_sortI6__halfLj256ELj4ElLj1ELj1ELj8ELNS0_26block_radix_rank_algorithmE2ELNS0_18block_padding_hintE2ELNS0_4arch9wavefront6targetE1EE19radix_bits_per_passE@rel32@lo+4
	s_addc_u32 s5, s5, _ZN7rocprim17ROCPRIM_400000_NS16block_radix_sortI6__halfLj256ELj4ElLj1ELj1ELj8ELNS0_26block_radix_rank_algorithmE2ELNS0_18block_padding_hintE2ELNS0_4arch9wavefront6targetE1EE19radix_bits_per_passE@rel32@hi+12
	v_addc_co_u32_e32 v39, vcc, 0, v13, vcc
	v_and_b32_e32 v4, 15, v18
	v_cmp_eq_u32_e64 s[16:17], v14, v34
	v_add_u32_e32 v14, -1, v18
	v_and_b32_e32 v15, 64, v18
	s_load_dword s46, s[4:5], 0x0
	v_cmp_eq_u32_e32 vcc, 0, v4
	v_cmp_lt_u32_e64 s[4:5], 1, v4
	v_cmp_lt_u32_e64 s[6:7], 3, v4
	;; [unrolled: 1-line block ×3, first 2 shown]
	v_and_b32_e32 v4, 16, v18
	v_cmp_lt_i32_e64 s[22:23], v14, v15
	v_cmp_eq_u32_e64 s[30:31], 0, v4
	v_lshrrev_b32_e32 v4, 6, v34
	v_cndmask_b32_e64 v14, v14, v18, s[22:23]
	v_lshlrev_b32_e32 v98, 2, v14
	v_lshlrev_b32_e32 v14, 2, v4
	v_add_co_u32_e64 v48, s[26:27], v12, v14
	v_lshlrev_b32_e32 v16, 2, v34
	v_addc_co_u32_e64 v49, s[26:27], 0, v13, s[26:27]
	v_add_co_u32_e64 v50, s[26:27], v12, v16
	v_mov_b32_e32 v5, 0
	v_addc_co_u32_e64 v51, s[26:27], 0, v13, s[26:27]
	v_and_b32_e32 v14, 3, v18
	v_add_u32_e32 v4, -1, v4
	v_cmp_eq_u32_e64 s[26:27], 0, v14
	v_cmp_lt_u32_e64 s[28:29], 1, v14
	v_lshlrev_b64 v[14:15], 2, v[4:5]
	v_add_co_u32_e64 v52, s[34:35], v12, v14
	v_addc_co_u32_e64 v53, s[34:35], v13, v15, s[34:35]
	s_movk_i32 s34, 0xf00
	v_and_or_b32 v4, v16, s34, v19
	v_lshlrev_b32_e32 v14, 1, v4
	v_add_co_u32_e64 v54, s[34:35], v12, v14
	v_addc_co_u32_e64 v55, s[34:35], 0, v13, s[34:35]
	v_lshrrev_b32_e32 v97, 6, v0
	v_cmp_lt_u32_e64 s[14:15], 31, v18
	v_cmp_gt_u32_e64 s[18:19], 4, v34
	v_cmp_lt_u32_e64 s[20:21], 63, v34
	v_cmp_eq_u32_e64 s[22:23], 0, v18
	v_cmp_eq_u32_e64 s[24:25], 0, v34
	v_mad_u64_u32 v[64:65], s[34:35], v4, 6, v[54:55]
	v_sub_u32_e32 v99, v11, v10
	s_mov_b64 s[42:43], 0
	s_movk_i32 s47, 0x7fff
	v_mov_b32_e32 v30, v5
	v_mov_b32_e32 v31, v5
	;; [unrolled: 1-line block ×4, first 2 shown]
	s_waitcnt lgkmcnt(0)
	s_barrier
	s_branch .LBB1842_96
.LBB1842_95:                            ;   in Loop: Header=BB1842_96 Depth=1
	s_or_b64 exec, exec, s[36:37]
	s_and_b64 s[34:35], exec, s[44:45]
	s_or_b64 s[42:43], s[34:35], s[42:43]
	s_andn2_b64 exec, exec, s[42:43]
	s_cbranch_execz .LBB1842_126
.LBB1842_96:                            ; =>This Inner Loop Header: Depth=1
	s_waitcnt vmcnt(0)
	v_mov_b32_e32 v103, v67
	v_min_u32_e32 v4, s46, v99
	v_pk_mov_b32 v[14:15], v[22:23], v[22:23] op_sel:[0,1]
	v_lshlrev_b32_e64 v4, v4, -1
	v_cmp_ne_u16_e64 s[34:35], s47, v103
	v_pk_mov_b32 v[16:17], v[24:25], v[24:25] op_sel:[0,1]
	v_pk_mov_b32 v[18:19], v[26:27], v[26:27] op_sel:[0,1]
	;; [unrolled: 1-line block ×3, first 2 shown]
	v_not_b32_e32 v24, v4
	v_cndmask_b32_e64 v4, v1, v103, s[34:35]
	v_lshrrev_b32_sdwa v4, v10, v4 dst_sel:DWORD dst_unused:UNUSED_PAD src0_sel:DWORD src1_sel:WORD_0
	v_and_b32_e32 v4, v4, v24
	v_lshlrev_b32_e32 v22, 2, v4
	v_add_lshl_u32 v22, v22, v97, 2
	v_add_co_u32_e64 v26, s[34:35], v35, v22
	v_addc_co_u32_e64 v27, s[34:35], 0, v96, s[34:35]
	v_and_b32_e32 v22, 1, v4
	v_add_co_u32_e64 v23, s[34:35], -1, v22
	v_addc_co_u32_e64 v25, s[34:35], 0, -1, s[34:35]
	v_cmp_ne_u32_e64 s[34:35], 0, v22
	v_xor_b32_e32 v22, s35, v25
	v_xor_b32_e32 v23, s34, v23
	v_and_b32_e32 v25, exec_hi, v22
	v_and_b32_e32 v28, exec_lo, v23
	v_lshlrev_b32_e32 v23, 30, v4
	v_mov_b32_e32 v22, v5
	v_cmp_gt_i64_e64 s[34:35], 0, v[22:23]
	v_not_b32_e32 v22, v23
	v_ashrrev_i32_e32 v22, 31, v22
	v_xor_b32_e32 v23, s35, v22
	v_xor_b32_e32 v22, s34, v22
	v_and_b32_e32 v25, v25, v23
	v_and_b32_e32 v28, v28, v22
	v_lshlrev_b32_e32 v23, 29, v4
	v_mov_b32_e32 v22, v5
	v_cmp_gt_i64_e64 s[34:35], 0, v[22:23]
	v_not_b32_e32 v22, v23
	v_ashrrev_i32_e32 v22, 31, v22
	v_xor_b32_e32 v23, s35, v22
	v_xor_b32_e32 v22, s34, v22
	v_and_b32_e32 v25, v25, v23
	v_and_b32_e32 v28, v28, v22
	;; [unrolled: 9-line block ×5, first 2 shown]
	v_lshlrev_b32_e32 v23, 25, v4
	v_mov_b32_e32 v22, v5
	v_cmp_gt_i64_e64 s[34:35], 0, v[22:23]
	v_not_b32_e32 v22, v23
	v_ashrrev_i32_e32 v22, 31, v22
	v_xor_b32_e32 v23, s35, v22
	v_xor_b32_e32 v22, s34, v22
	v_and_b32_e32 v25, v25, v23
	v_lshlrev_b32_e32 v23, 24, v4
	v_and_b32_e32 v28, v28, v22
	v_mov_b32_e32 v22, v5
	v_not_b32_e32 v4, v23
	v_cmp_gt_i64_e64 s[34:35], 0, v[22:23]
	v_ashrrev_i32_e32 v4, 31, v4
	v_xor_b32_e32 v22, s35, v4
	v_xor_b32_e32 v4, s34, v4
	v_and_b32_e32 v23, v25, v22
	v_and_b32_e32 v22, v28, v4
	v_mbcnt_lo_u32_b32 v4, v22, 0
	v_mbcnt_hi_u32_b32 v4, v23, v4
	v_cmp_eq_u32_e64 s[34:35], 0, v4
	v_cmp_ne_u64_e64 s[36:37], 0, v[22:23]
	v_mov_b32_e32 v102, v69
	v_mov_b32_e32 v101, v71
	;; [unrolled: 1-line block ×3, first 2 shown]
	s_and_b64 s[36:37], s[36:37], s[34:35]
	flat_store_dwordx4 v[38:39], v[30:33] offset:16
	s_waitcnt lgkmcnt(0)
	s_barrier
	s_waitcnt lgkmcnt(0)
	; wave barrier
	s_and_saveexec_b64 s[34:35], s[36:37]
	s_cbranch_execz .LBB1842_98
; %bb.97:                               ;   in Loop: Header=BB1842_96 Depth=1
	v_bcnt_u32_b32 v22, v22, 0
	v_bcnt_u32_b32 v22, v23, v22
	flat_store_dword v[26:27], v22
.LBB1842_98:                            ;   in Loop: Header=BB1842_96 Depth=1
	s_or_b64 exec, exec, s[34:35]
	v_cmp_ne_u16_e64 s[34:35], s47, v102
	v_cndmask_b32_e64 v22, v1, v102, s[34:35]
	v_lshrrev_b32_sdwa v22, v10, v22 dst_sel:DWORD dst_unused:UNUSED_PAD src0_sel:DWORD src1_sel:WORD_0
	v_and_b32_e32 v25, v22, v24
	v_lshlrev_b32_e32 v22, 2, v25
	v_add_lshl_u32 v22, v22, v97, 2
	v_add_co_u32_e64 v28, s[34:35], v35, v22
	v_addc_co_u32_e64 v29, s[34:35], 0, v96, s[34:35]
	; wave barrier
	flat_load_dword v70, v[28:29]
	v_and_b32_e32 v22, 1, v25
	v_add_co_u32_e64 v23, s[34:35], -1, v22
	v_addc_co_u32_e64 v66, s[34:35], 0, -1, s[34:35]
	v_cmp_ne_u32_e64 s[34:35], 0, v22
	v_xor_b32_e32 v22, s35, v66
	v_xor_b32_e32 v23, s34, v23
	v_and_b32_e32 v66, exec_hi, v22
	v_and_b32_e32 v67, exec_lo, v23
	v_lshlrev_b32_e32 v23, 30, v25
	v_mov_b32_e32 v22, v5
	v_cmp_gt_i64_e64 s[34:35], 0, v[22:23]
	v_not_b32_e32 v22, v23
	v_ashrrev_i32_e32 v22, 31, v22
	v_xor_b32_e32 v23, s35, v22
	v_xor_b32_e32 v22, s34, v22
	v_and_b32_e32 v66, v66, v23
	v_and_b32_e32 v67, v67, v22
	v_lshlrev_b32_e32 v23, 29, v25
	v_mov_b32_e32 v22, v5
	v_cmp_gt_i64_e64 s[34:35], 0, v[22:23]
	v_not_b32_e32 v22, v23
	v_ashrrev_i32_e32 v22, 31, v22
	v_xor_b32_e32 v23, s35, v22
	v_xor_b32_e32 v22, s34, v22
	v_and_b32_e32 v66, v66, v23
	v_and_b32_e32 v67, v67, v22
	;; [unrolled: 9-line block ×7, first 2 shown]
	v_mbcnt_lo_u32_b32 v25, v22, 0
	v_mbcnt_hi_u32_b32 v80, v23, v25
	v_cmp_eq_u32_e64 s[34:35], 0, v80
	v_cmp_ne_u64_e64 s[36:37], 0, v[22:23]
	s_and_b64 s[36:37], s[36:37], s[34:35]
	; wave barrier
	s_and_saveexec_b64 s[34:35], s[36:37]
	s_cbranch_execz .LBB1842_100
; %bb.99:                               ;   in Loop: Header=BB1842_96 Depth=1
	v_bcnt_u32_b32 v22, v22, 0
	v_bcnt_u32_b32 v22, v23, v22
	s_waitcnt vmcnt(0) lgkmcnt(0)
	v_add_u32_e32 v22, v70, v22
	flat_store_dword v[28:29], v22
.LBB1842_100:                           ;   in Loop: Header=BB1842_96 Depth=1
	s_or_b64 exec, exec, s[34:35]
	v_cmp_ne_u16_e64 s[34:35], s47, v101
	v_cndmask_b32_e64 v22, v1, v101, s[34:35]
	v_lshrrev_b32_sdwa v22, v10, v22 dst_sel:DWORD dst_unused:UNUSED_PAD src0_sel:DWORD src1_sel:WORD_0
	v_and_b32_e32 v25, v22, v24
	v_lshlrev_b32_e32 v22, 2, v25
	v_add_lshl_u32 v22, v22, v97, 2
	v_add_co_u32_e64 v66, s[34:35], v35, v22
	v_addc_co_u32_e64 v67, s[34:35], 0, v96, s[34:35]
	; wave barrier
	flat_load_dword v81, v[66:67]
	v_and_b32_e32 v22, 1, v25
	v_add_co_u32_e64 v23, s[34:35], -1, v22
	v_addc_co_u32_e64 v68, s[34:35], 0, -1, s[34:35]
	v_cmp_ne_u32_e64 s[34:35], 0, v22
	v_xor_b32_e32 v22, s35, v68
	v_xor_b32_e32 v23, s34, v23
	v_and_b32_e32 v68, exec_hi, v22
	v_and_b32_e32 v69, exec_lo, v23
	v_lshlrev_b32_e32 v23, 30, v25
	v_mov_b32_e32 v22, v5
	v_cmp_gt_i64_e64 s[34:35], 0, v[22:23]
	v_not_b32_e32 v22, v23
	v_ashrrev_i32_e32 v22, 31, v22
	v_xor_b32_e32 v23, s35, v22
	v_xor_b32_e32 v22, s34, v22
	v_and_b32_e32 v68, v68, v23
	v_and_b32_e32 v69, v69, v22
	v_lshlrev_b32_e32 v23, 29, v25
	v_mov_b32_e32 v22, v5
	v_cmp_gt_i64_e64 s[34:35], 0, v[22:23]
	v_not_b32_e32 v22, v23
	v_ashrrev_i32_e32 v22, 31, v22
	v_xor_b32_e32 v23, s35, v22
	v_xor_b32_e32 v22, s34, v22
	v_and_b32_e32 v68, v68, v23
	v_and_b32_e32 v69, v69, v22
	;; [unrolled: 9-line block ×7, first 2 shown]
	v_mbcnt_lo_u32_b32 v25, v22, 0
	v_mbcnt_hi_u32_b32 v82, v23, v25
	v_cmp_eq_u32_e64 s[34:35], 0, v82
	v_cmp_ne_u64_e64 s[36:37], 0, v[22:23]
	s_and_b64 s[36:37], s[36:37], s[34:35]
	; wave barrier
	s_and_saveexec_b64 s[34:35], s[36:37]
	s_cbranch_execz .LBB1842_102
; %bb.101:                              ;   in Loop: Header=BB1842_96 Depth=1
	v_bcnt_u32_b32 v22, v22, 0
	v_bcnt_u32_b32 v22, v23, v22
	s_waitcnt vmcnt(0) lgkmcnt(0)
	v_add_u32_e32 v22, v81, v22
	flat_store_dword v[66:67], v22
.LBB1842_102:                           ;   in Loop: Header=BB1842_96 Depth=1
	s_or_b64 exec, exec, s[34:35]
	v_cmp_ne_u16_e64 s[34:35], s47, v100
	v_cndmask_b32_e64 v22, v1, v100, s[34:35]
	v_lshrrev_b32_sdwa v22, v10, v22 dst_sel:DWORD dst_unused:UNUSED_PAD src0_sel:DWORD src1_sel:WORD_0
	v_and_b32_e32 v24, v22, v24
	v_lshlrev_b32_e32 v22, 2, v24
	v_add_lshl_u32 v22, v22, v97, 2
	v_add_co_u32_e64 v68, s[34:35], v35, v22
	v_addc_co_u32_e64 v69, s[34:35], 0, v96, s[34:35]
	; wave barrier
	flat_load_dword v83, v[68:69]
	v_and_b32_e32 v22, 1, v24
	v_add_co_u32_e64 v23, s[34:35], -1, v22
	v_addc_co_u32_e64 v25, s[34:35], 0, -1, s[34:35]
	v_cmp_ne_u32_e64 s[34:35], 0, v22
	v_xor_b32_e32 v22, s35, v25
	v_xor_b32_e32 v23, s34, v23
	v_and_b32_e32 v25, exec_hi, v22
	v_and_b32_e32 v71, exec_lo, v23
	v_lshlrev_b32_e32 v23, 30, v24
	v_mov_b32_e32 v22, v5
	v_cmp_gt_i64_e64 s[34:35], 0, v[22:23]
	v_not_b32_e32 v22, v23
	v_ashrrev_i32_e32 v22, 31, v22
	v_xor_b32_e32 v23, s35, v22
	v_xor_b32_e32 v22, s34, v22
	v_and_b32_e32 v25, v25, v23
	v_and_b32_e32 v71, v71, v22
	v_lshlrev_b32_e32 v23, 29, v24
	v_mov_b32_e32 v22, v5
	v_cmp_gt_i64_e64 s[34:35], 0, v[22:23]
	v_not_b32_e32 v22, v23
	v_ashrrev_i32_e32 v22, 31, v22
	v_xor_b32_e32 v23, s35, v22
	v_xor_b32_e32 v22, s34, v22
	v_and_b32_e32 v25, v25, v23
	v_and_b32_e32 v71, v71, v22
	;; [unrolled: 9-line block ×7, first 2 shown]
	v_mbcnt_lo_u32_b32 v24, v22, 0
	v_mbcnt_hi_u32_b32 v84, v23, v24
	v_cmp_eq_u32_e64 s[34:35], 0, v84
	v_cmp_ne_u64_e64 s[36:37], 0, v[22:23]
	s_and_b64 s[36:37], s[36:37], s[34:35]
	; wave barrier
	s_and_saveexec_b64 s[34:35], s[36:37]
	s_cbranch_execz .LBB1842_104
; %bb.103:                              ;   in Loop: Header=BB1842_96 Depth=1
	v_bcnt_u32_b32 v22, v22, 0
	v_bcnt_u32_b32 v22, v23, v22
	s_waitcnt vmcnt(0) lgkmcnt(0)
	v_add_u32_e32 v22, v83, v22
	flat_store_dword v[68:69], v22
.LBB1842_104:                           ;   in Loop: Header=BB1842_96 Depth=1
	s_or_b64 exec, exec, s[34:35]
	; wave barrier
	s_waitcnt lgkmcnt(0)
	s_barrier
	flat_load_dwordx4 v[22:25], v[38:39] offset:16
	s_waitcnt vmcnt(0) lgkmcnt(0)
	v_add_u32_e32 v71, v23, v22
	v_add3_u32 v25, v71, v24, v25
	s_nop 1
	v_mov_b32_dpp v71, v25 row_shr:1 row_mask:0xf bank_mask:0xf
	v_cndmask_b32_e64 v71, v71, 0, vcc
	v_add_u32_e32 v25, v71, v25
	s_nop 1
	v_mov_b32_dpp v71, v25 row_shr:2 row_mask:0xf bank_mask:0xf
	v_cndmask_b32_e64 v71, 0, v71, s[4:5]
	v_add_u32_e32 v25, v25, v71
	s_nop 1
	v_mov_b32_dpp v71, v25 row_shr:4 row_mask:0xf bank_mask:0xf
	v_cndmask_b32_e64 v71, 0, v71, s[6:7]
	;; [unrolled: 4-line block ×3, first 2 shown]
	v_add_u32_e32 v25, v25, v71
	s_nop 1
	v_mov_b32_dpp v71, v25 row_bcast:15 row_mask:0xf bank_mask:0xf
	v_cndmask_b32_e64 v71, v71, 0, s[30:31]
	v_add_u32_e32 v25, v25, v71
	s_nop 1
	v_mov_b32_dpp v71, v25 row_bcast:31 row_mask:0xf bank_mask:0xf
	v_cndmask_b32_e64 v71, 0, v71, s[14:15]
	v_add_u32_e32 v25, v25, v71
	s_and_saveexec_b64 s[34:35], s[16:17]
	s_cbranch_execz .LBB1842_106
; %bb.105:                              ;   in Loop: Header=BB1842_96 Depth=1
	flat_store_dword v[48:49], v25
.LBB1842_106:                           ;   in Loop: Header=BB1842_96 Depth=1
	s_or_b64 exec, exec, s[34:35]
	s_waitcnt lgkmcnt(0)
	s_barrier
	s_and_saveexec_b64 s[34:35], s[18:19]
	s_cbranch_execz .LBB1842_108
; %bb.107:                              ;   in Loop: Header=BB1842_96 Depth=1
	flat_load_dword v71, v[50:51]
	s_waitcnt vmcnt(0) lgkmcnt(0)
	s_nop 0
	v_mov_b32_dpp v85, v71 row_shr:1 row_mask:0xf bank_mask:0xf
	v_cndmask_b32_e64 v85, v85, 0, s[26:27]
	v_add_u32_e32 v71, v85, v71
	s_nop 1
	v_mov_b32_dpp v85, v71 row_shr:2 row_mask:0xf bank_mask:0xf
	v_cndmask_b32_e64 v85, 0, v85, s[28:29]
	v_add_u32_e32 v71, v71, v85
	flat_store_dword v[50:51], v71
.LBB1842_108:                           ;   in Loop: Header=BB1842_96 Depth=1
	s_or_b64 exec, exec, s[34:35]
	v_mov_b32_e32 v71, 0
	s_waitcnt lgkmcnt(0)
	s_barrier
	s_and_saveexec_b64 s[34:35], s[20:21]
	s_cbranch_execz .LBB1842_110
; %bb.109:                              ;   in Loop: Header=BB1842_96 Depth=1
	flat_load_dword v71, v[52:53]
.LBB1842_110:                           ;   in Loop: Header=BB1842_96 Depth=1
	s_or_b64 exec, exec, s[34:35]
	s_waitcnt vmcnt(0) lgkmcnt(0)
	v_add_u32_e32 v25, v71, v25
	ds_bpermute_b32 v25, v98, v25
	v_add_u32_e32 v10, 8, v10
	v_cmp_lt_u32_e64 s[34:35], v10, v11
	s_mov_b64 s[44:45], -1
	s_waitcnt lgkmcnt(0)
	v_cndmask_b32_e64 v25, v25, v71, s[22:23]
	v_cndmask_b32_e64 v112, v25, 0, s[24:25]
	v_add_u32_e32 v113, v112, v22
	v_add_u32_e32 v114, v113, v23
	;; [unrolled: 1-line block ×3, first 2 shown]
	flat_store_dwordx4 v[38:39], v[112:115] offset:16
	s_waitcnt lgkmcnt(0)
	s_barrier
	flat_load_dword v22, v[26:27]
	flat_load_dword v23, v[28:29]
	;; [unrolled: 1-line block ×4, first 2 shown]
	v_mov_b32_e32 v67, v5
	v_mov_b32_e32 v69, v5
	;; [unrolled: 1-line block ×3, first 2 shown]
	s_waitcnt lgkmcnt(0)
                                        ; implicit-def: $vgpr112
	s_waitcnt vmcnt(0) lgkmcnt(0)
	v_add_u32_e32 v4, v22, v4
	v_add3_u32 v66, v80, v70, v23
	v_lshlrev_b64 v[22:23], 1, v[4:5]
	v_add_co_u32_e64 v86, s[36:37], v12, v22
	v_add3_u32 v68, v82, v81, v24
	v_add3_u32 v70, v84, v83, v25
	v_lshlrev_b64 v[24:25], 1, v[66:67]
	v_addc_co_u32_e64 v87, s[36:37], v13, v23, s[36:37]
	v_add_co_u32_e64 v84, s[36:37], v12, v24
	v_lshlrev_b64 v[26:27], 1, v[68:69]
	v_addc_co_u32_e64 v85, s[36:37], v13, v25, s[36:37]
	v_add_co_u32_e64 v82, s[36:37], v12, v26
	v_lshlrev_b64 v[28:29], 1, v[70:71]
	v_addc_co_u32_e64 v83, s[36:37], v13, v27, s[36:37]
	v_add_co_u32_e64 v80, s[36:37], v12, v28
	v_addc_co_u32_e64 v81, s[36:37], v13, v29, s[36:37]
                                        ; implicit-def: $vgpr22_vgpr23_vgpr24_vgpr25_vgpr26_vgpr27_vgpr28_vgpr29
                                        ; implicit-def: $vgpr67
                                        ; implicit-def: $vgpr69
                                        ; implicit-def: $vgpr71
	s_and_saveexec_b64 s[36:37], s[34:35]
	s_cbranch_execz .LBB1842_95
; %bb.111:                              ;   in Loop: Header=BB1842_96 Depth=1
	v_mad_u64_u32 v[22:23], s[34:35], v4, 6, v[86:87]
	s_barrier
	flat_store_short v[86:87], v103
	flat_store_short v[84:85], v102
	;; [unrolled: 1-line block ×4, first 2 shown]
	s_waitcnt lgkmcnt(0)
	s_barrier
	flat_load_ushort v67, v[54:55]
	flat_load_ushort v69, v[54:55] offset:128
	flat_load_ushort v71, v[54:55] offset:256
	;; [unrolled: 1-line block ×3, first 2 shown]
	s_waitcnt lgkmcnt(0)
	s_barrier
	flat_store_dwordx2 v[22:23], v[14:15]
	v_mad_u64_u32 v[22:23], s[34:35], v66, 6, v[84:85]
	flat_store_dwordx2 v[22:23], v[16:17]
	v_mad_u64_u32 v[22:23], s[34:35], v68, 6, v[82:83]
	;; [unrolled: 2-line block ×3, first 2 shown]
	flat_store_dwordx2 v[22:23], v[20:21]
	s_waitcnt lgkmcnt(0)
	s_barrier
	flat_load_dwordx2 v[22:23], v[64:65]
	flat_load_dwordx2 v[24:25], v[64:65] offset:512
	flat_load_dwordx2 v[26:27], v[64:65] offset:1024
	;; [unrolled: 1-line block ×3, first 2 shown]
	v_add_u32_e32 v99, -8, v99
	s_xor_b64 s[44:45], exec, -1
	s_waitcnt lgkmcnt(0)
	s_barrier
	s_branch .LBB1842_95
.LBB1842_112:
	flat_load_dwordx2 v[16:17], v[4:5]
	s_or_b64 exec, exec, s[22:23]
                                        ; implicit-def: $vgpr18_vgpr19
	s_and_saveexec_b64 s[22:23], s[4:5]
	s_cbranch_execz .LBB1842_20
.LBB1842_113:
	flat_load_dwordx2 v[18:19], v[4:5] offset:512
	s_or_b64 exec, exec, s[22:23]
                                        ; implicit-def: $vgpr66_vgpr67
	s_and_saveexec_b64 s[4:5], s[6:7]
	s_cbranch_execz .LBB1842_21
.LBB1842_114:
	flat_load_dwordx2 v[66:67], v[4:5] offset:1024
	s_or_b64 exec, exec, s[4:5]
                                        ; implicit-def: $vgpr68_vgpr69
	s_and_saveexec_b64 s[4:5], s[10:11]
	s_cbranch_execz .LBB1842_22
.LBB1842_115:
	flat_load_dwordx2 v[68:69], v[4:5] offset:1536
	s_or_b64 exec, exec, s[4:5]
                                        ; implicit-def: $vgpr80_vgpr81
	s_and_saveexec_b64 s[4:5], s[20:21]
	s_cbranch_execz .LBB1842_23
.LBB1842_116:
	flat_load_dwordx2 v[80:81], v[4:5] offset:2048
	s_or_b64 exec, exec, s[4:5]
                                        ; implicit-def: $vgpr86_vgpr87
	s_and_saveexec_b64 s[4:5], s[14:15]
	s_cbranch_execz .LBB1842_24
.LBB1842_117:
	flat_load_dwordx2 v[86:87], v[4:5] offset:2560
	s_or_b64 exec, exec, s[4:5]
                                        ; implicit-def: $vgpr102_vgpr103
	s_and_saveexec_b64 s[4:5], s[16:17]
	s_cbranch_execz .LBB1842_25
.LBB1842_118:
	flat_load_dwordx2 v[102:103], v[4:5] offset:3072
	s_or_b64 exec, exec, s[4:5]
                                        ; implicit-def: $vgpr114_vgpr115
	s_and_saveexec_b64 s[4:5], s[18:19]
	s_cbranch_execnz .LBB1842_26
	s_branch .LBB1842_27
.LBB1842_119:
	s_waitcnt vmcnt(0)
	flat_store_dwordx2 v[0:1], v[26:27]
	s_or_b64 exec, exec, s[22:23]
	s_and_saveexec_b64 s[22:23], s[4:5]
	s_cbranch_execz .LBB1842_71
.LBB1842_120:
	s_waitcnt vmcnt(0)
	flat_store_dwordx2 v[0:1], v[24:25] offset:2048
	s_or_b64 exec, exec, s[22:23]
	s_and_saveexec_b64 s[4:5], s[6:7]
	s_cbranch_execz .LBB1842_72
.LBB1842_121:
	v_add_co_u32_e32 v2, vcc, 0x1000, v0
	v_addc_co_u32_e32 v3, vcc, 0, v1, vcc
	s_waitcnt vmcnt(0)
	flat_store_dwordx2 v[2:3], v[18:19]
	s_or_b64 exec, exec, s[4:5]
	s_and_saveexec_b64 s[4:5], s[10:11]
	s_cbranch_execz .LBB1842_73
.LBB1842_122:
	v_add_co_u32_e32 v2, vcc, 0x1000, v0
	v_addc_co_u32_e32 v3, vcc, 0, v1, vcc
	s_waitcnt vmcnt(0)
	flat_store_dwordx2 v[2:3], v[14:15] offset:2048
	s_or_b64 exec, exec, s[4:5]
	s_and_saveexec_b64 s[4:5], s[20:21]
	s_cbranch_execz .LBB1842_74
.LBB1842_123:
	v_add_co_u32_e32 v2, vcc, 0x2000, v0
	v_addc_co_u32_e32 v3, vcc, 0, v1, vcc
	s_waitcnt vmcnt(0)
	flat_store_dwordx2 v[2:3], v[16:17]
	s_or_b64 exec, exec, s[4:5]
	s_and_saveexec_b64 s[4:5], s[14:15]
	s_cbranch_execz .LBB1842_75
.LBB1842_124:
	v_add_co_u32_e32 v2, vcc, 0x2000, v0
	v_addc_co_u32_e32 v3, vcc, 0, v1, vcc
	s_waitcnt vmcnt(0)
	flat_store_dwordx2 v[2:3], v[12:13] offset:2048
	s_or_b64 exec, exec, s[4:5]
	s_and_saveexec_b64 s[4:5], s[16:17]
	s_cbranch_execz .LBB1842_76
.LBB1842_125:
	v_add_co_u32_e32 v2, vcc, 0x3000, v0
	v_addc_co_u32_e32 v3, vcc, 0, v1, vcc
	s_waitcnt vmcnt(0)
	flat_store_dwordx2 v[2:3], v[10:11]
	s_or_b64 exec, exec, s[4:5]
	s_and_saveexec_b64 s[4:5], s[18:19]
	s_cbranch_execnz .LBB1842_77
	s_branch .LBB1842_78
.LBB1842_126:
	s_or_b64 exec, exec, s[42:43]
	v_lshlrev_b32_e32 v1, 1, v34
	v_add_co_u32_e32 v10, vcc, v12, v1
	v_addc_co_u32_e32 v11, vcc, 0, v13, vcc
	v_mad_u64_u32 v[4:5], s[4:5], v4, 6, v[86:87]
	s_barrier
	flat_store_short v[86:87], v103
	flat_store_short v[84:85], v102
	;; [unrolled: 1-line block ×4, first 2 shown]
	s_waitcnt lgkmcnt(0)
	s_barrier
	s_waitcnt vmcnt(0)
	flat_load_ushort v25, v[10:11]
	flat_load_ushort v24, v[10:11] offset:512
	flat_load_ushort v23, v[10:11] offset:1024
	;; [unrolled: 1-line block ×3, first 2 shown]
	s_waitcnt lgkmcnt(0)
	s_barrier
	flat_store_dwordx2 v[4:5], v[14:15]
	v_mad_u64_u32 v[4:5], s[4:5], v66, 6, v[84:85]
	flat_store_dwordx2 v[4:5], v[16:17]
	v_mad_u64_u32 v[4:5], s[4:5], v68, 6, v[82:83]
	;; [unrolled: 2-line block ×3, first 2 shown]
	v_mad_u64_u32 v[16:17], s[4:5], v34, 6, v[10:11]
	s_movk_i32 s4, 0x1000
	v_add_co_u32_e32 v18, vcc, s4, v16
	flat_store_dwordx2 v[4:5], v[20:21]
	s_waitcnt lgkmcnt(0)
	s_barrier
	v_addc_co_u32_e32 v19, vcc, 0, v17, vcc
	flat_load_dwordx2 v[14:15], v[16:17]
	flat_load_dwordx2 v[12:13], v[16:17] offset:2048
	flat_load_dwordx2 v[10:11], v[18:19]
	flat_load_dwordx2 v[4:5], v[18:19] offset:2048
	v_mov_b32_e32 v1, 0
	v_add_co_u32_e32 v16, vcc, v2, v36
	v_addc_co_u32_e32 v17, vcc, v3, v37, vcc
	v_lshlrev_b64 v[2:3], 1, v[0:1]
	v_add_co_u32_e32 v2, vcc, v16, v2
	v_addc_co_u32_e32 v3, vcc, v17, v3, vcc
	v_cmp_lt_u32_e32 vcc, v0, v148
	s_waitcnt lgkmcnt(0)
	s_barrier
	s_and_saveexec_b64 s[6:7], vcc
	s_cbranch_execz .LBB1842_128
; %bb.127:
	v_mov_b32_e32 v16, 0xffff8000
	s_waitcnt vmcnt(0)
	v_cmp_lt_i16_e64 s[4:5], -1, v25
	v_cndmask_b32_e64 v16, v16, -1, s[4:5]
	v_xor_b32_e32 v16, v16, v25
	flat_store_short v[2:3], v16
.LBB1842_128:
	s_or_b64 exec, exec, s[6:7]
	v_add_u32_e32 v16, 0x100, v0
	v_cmp_lt_u32_e64 s[4:5], v16, v148
	s_and_saveexec_b64 s[10:11], s[4:5]
	s_cbranch_execz .LBB1842_130
; %bb.129:
	v_mov_b32_e32 v16, 0xffff8000
	s_waitcnt vmcnt(0)
	v_cmp_lt_i16_e64 s[6:7], -1, v24
	v_cndmask_b32_e64 v16, v16, -1, s[6:7]
	v_xor_b32_e32 v16, v16, v24
	flat_store_short v[2:3], v16 offset:512
.LBB1842_130:
	s_or_b64 exec, exec, s[10:11]
	v_add_u32_e32 v16, 0x200, v0
	v_cmp_lt_u32_e64 s[6:7], v16, v148
	s_and_saveexec_b64 s[14:15], s[6:7]
	s_cbranch_execz .LBB1842_132
; %bb.131:
	v_mov_b32_e32 v16, 0xffff8000
	s_waitcnt vmcnt(0)
	v_cmp_lt_i16_e64 s[10:11], -1, v23
	v_cndmask_b32_e64 v16, v16, -1, s[10:11]
	v_xor_b32_e32 v16, v16, v23
	flat_store_short v[2:3], v16 offset:1024
.LBB1842_132:
	;; [unrolled: 13-line block ×3, first 2 shown]
	s_or_b64 exec, exec, s[16:17]
	v_add_co_u32_e64 v2, s[14:15], v6, v8
	v_addc_co_u32_e64 v3, s[14:15], v7, v9, s[14:15]
	v_lshlrev_b64 v[0:1], 3, v[0:1]
	v_add_co_u32_e64 v0, s[14:15], v2, v0
	v_addc_co_u32_e64 v1, s[14:15], v3, v1, s[14:15]
	s_and_saveexec_b64 s[14:15], vcc
	s_cbranch_execnz .LBB1842_167
; %bb.135:
	s_or_b64 exec, exec, s[14:15]
	s_and_saveexec_b64 s[14:15], s[4:5]
	s_cbranch_execnz .LBB1842_168
.LBB1842_136:
	s_or_b64 exec, exec, s[14:15]
	s_and_saveexec_b64 s[4:5], s[6:7]
	s_cbranch_execnz .LBB1842_169
.LBB1842_137:
	s_or_b64 exec, exec, s[4:5]
	s_and_saveexec_b64 s[4:5], s[10:11]
	s_cbranch_execz .LBB1842_139
.LBB1842_138:
	v_add_co_u32_e32 v0, vcc, 0x1000, v0
	v_addc_co_u32_e32 v1, vcc, 0, v1, vcc
	s_waitcnt vmcnt(0)
	flat_store_dwordx2 v[0:1], v[4:5] offset:2048
.LBB1842_139:
	s_or_b64 exec, exec, s[4:5]
                                        ; implicit-def: $vgpr148
                                        ; implicit-def: $vgpr0
                                        ; implicit-def: $vgpr1
                                        ; implicit-def: $vgpr2
                                        ; implicit-def: $vgpr3
                                        ; implicit-def: $vgpr4
                                        ; implicit-def: $vgpr5
                                        ; implicit-def: $vgpr6
                                        ; implicit-def: $vgpr7
                                        ; implicit-def: $vgpr8
                                        ; implicit-def: $vgpr10
                                        ; implicit-def: $vgpr11
                                        ; implicit-def: $vgpr12
                                        ; implicit-def: $vgpr13
                                        ; implicit-def: $vgpr31
                                        ; implicit-def: $vgpr16
                                        ; implicit-def: $vgpr17
                                        ; implicit-def: $vgpr14
.LBB1842_140:
	s_andn2_saveexec_b64 s[4:5], s[40:41]
	s_cbranch_execz .LBB1842_199
; %bb.141:
	s_load_dwordx2 s[4:5], s[8:9], 0x0
	v_mov_b32_e32 v9, 0
	s_waitcnt vmcnt(0)
	v_and_b32_e32 v26, 0x3ff, v31
	v_lshlrev_b64 v[24:25], 1, v[8:9]
	s_waitcnt lgkmcnt(0)
	s_cmp_lt_u32 s12, s4
	s_cselect_b32 s6, 12, 18
	s_cmp_lt_u32 s13, s5
	s_cselect_b32 s4, 14, 20
	s_add_u32 s4, s8, s4
	s_addc_u32 s5, s9, 0
	s_add_u32 s6, s8, s6
	global_load_ushort v15, v9, s[4:5]
	s_addc_u32 s7, s9, 0
	global_load_ushort v18, v9, s[6:7]
	s_movk_i32 s4, 0x100
	v_cmp_lt_u32_e32 vcc, s4, v148
	s_waitcnt vmcnt(1)
	v_mad_u32_u24 v15, v17, v15, v16
	s_waitcnt vmcnt(0)
	v_mad_u64_u32 v[22:23], s[4:5], v15, v18, v[26:27]
	s_and_saveexec_b64 s[4:5], vcc
	s_xor_b64 s[34:35], exec, s[4:5]
	s_cbranch_execz .LBB1842_179
; %bb.142:
	v_mbcnt_hi_u32_b32 v17, -1, v14
	v_add_co_u32_e32 v0, vcc, v0, v24
	v_and_b32_e32 v16, 63, v17
	v_addc_co_u32_e32 v1, vcc, v1, v25, vcc
	v_lshlrev_b32_e32 v14, 1, v22
	v_lshlrev_b32_e32 v15, 1, v16
	v_and_b32_e32 v14, 0xffffff80, v14
	v_add_co_u32_e32 v18, vcc, v0, v15
	v_mov_b32_e32 v15, v9
	v_addc_co_u32_e32 v19, vcc, 0, v1, vcc
	v_lshlrev_b64 v[0:1], 1, v[14:15]
	v_add_co_u32_e32 v0, vcc, v18, v0
	v_addc_co_u32_e32 v1, vcc, v19, v1, vcc
	v_or_b32_e32 v18, v16, v14
	v_cmp_lt_u32_e32 vcc, v18, v148
	v_mov_b32_e32 v27, 0x7fff
	v_mov_b32_e32 v28, 0x7fff
	s_and_saveexec_b64 s[4:5], vcc
	s_cbranch_execz .LBB1842_144
; %bb.143:
	flat_load_ushort v28, v[0:1]
.LBB1842_144:
	s_or_b64 exec, exec, s[4:5]
	v_or_b32_e32 v18, 64, v18
	v_cmp_lt_u32_e64 s[4:5], v18, v148
	s_and_saveexec_b64 s[6:7], s[4:5]
	s_cbranch_execz .LBB1842_146
; %bb.145:
	flat_load_ushort v27, v[0:1] offset:128
.LBB1842_146:
	s_or_b64 exec, exec, s[6:7]
	v_lshlrev_b64 v[0:1], 3, v[8:9]
	v_add_co_u32_e64 v4, s[6:7], v4, v0
	v_addc_co_u32_e64 v5, s[6:7], v5, v1, s[6:7]
	v_lshlrev_b32_e32 v8, 3, v16
	v_add_co_u32_e64 v8, s[6:7], v4, v8
	v_addc_co_u32_e64 v9, s[6:7], 0, v5, s[6:7]
	v_lshlrev_b64 v[4:5], 3, v[14:15]
	v_add_co_u32_e64 v4, s[6:7], v8, v4
	v_addc_co_u32_e64 v5, s[6:7], v9, v5, s[6:7]
                                        ; implicit-def: $vgpr18_vgpr19
	s_and_saveexec_b64 s[6:7], vcc
	s_cbranch_execz .LBB1842_148
; %bb.147:
	flat_load_dwordx2 v[18:19], v[4:5]
.LBB1842_148:
	s_or_b64 exec, exec, s[6:7]
                                        ; implicit-def: $vgpr20_vgpr21
	s_and_saveexec_b64 s[6:7], s[4:5]
	s_cbranch_execz .LBB1842_150
; %bb.149:
	flat_load_dwordx2 v[20:21], v[4:5] offset:512
.LBB1842_150:
	s_or_b64 exec, exec, s[6:7]
	v_mov_b32_e32 v23, 0xffff8000
	s_waitcnt vmcnt(0) lgkmcnt(0)
	v_cmp_lt_i16_e32 vcc, -1, v28
	v_cndmask_b32_e32 v4, -1, v23, vcc
	v_cmp_lt_i16_e32 vcc, -1, v27
	v_xor_b32_e32 v51, v4, v28
	v_cndmask_b32_e32 v4, -1, v23, vcc
	v_xor_b32_e32 v70, v4, v27
	v_add_co_u32_e32 v27, vcc, 16, v12
	v_and_b32_e32 v15, 0x3c0, v26
	v_addc_co_u32_e32 v64, vcc, 0, v13, vcc
	v_lshlrev_b32_e32 v8, 4, v26
	v_min_u32_e32 v15, 0xc0, v15
	v_add_co_u32_e32 v8, vcc, v12, v8
	v_or_b32_e32 v15, 63, v15
	s_getpc_b64 s[4:5]
	s_add_u32 s4, s4, _ZN7rocprim17ROCPRIM_400000_NS16block_radix_sortI6__halfLj256ELj2ElLj1ELj1ELj8ELNS0_26block_radix_rank_algorithmE2ELNS0_18block_padding_hintE2ELNS0_4arch9wavefront6targetE1EE19radix_bits_per_passE@rel32@lo+4
	s_addc_u32 s5, s5, _ZN7rocprim17ROCPRIM_400000_NS16block_radix_sortI6__halfLj256ELj2ElLj1ELj1ELj8ELNS0_26block_radix_rank_algorithmE2ELNS0_18block_padding_hintE2ELNS0_4arch9wavefront6targetE1EE19radix_bits_per_passE@rel32@hi+12
	v_addc_co_u32_e32 v9, vcc, 0, v13, vcc
	v_and_b32_e32 v14, 15, v17
	v_cmp_eq_u32_e64 s[14:15], v15, v26
	v_add_u32_e32 v15, -1, v17
	v_and_b32_e32 v28, 64, v17
	s_load_dword s42, s[4:5], 0x0
	v_cmp_eq_u32_e32 vcc, 0, v14
	v_cmp_lt_u32_e64 s[4:5], 1, v14
	v_cmp_lt_u32_e64 s[6:7], 3, v14
	;; [unrolled: 1-line block ×3, first 2 shown]
	v_and_b32_e32 v14, 16, v17
	v_cmp_lt_i32_e64 s[20:21], v15, v28
	v_cmp_eq_u32_e64 s[10:11], 0, v14
	v_lshrrev_b32_e32 v14, 6, v26
	v_cndmask_b32_e64 v15, v15, v17, s[20:21]
	v_lshlrev_b32_e32 v66, 2, v15
	v_lshlrev_b32_e32 v15, 2, v14
	v_add_co_u32_e64 v28, s[24:25], v12, v15
	v_lshlrev_b32_e32 v4, 2, v26
	v_addc_co_u32_e64 v29, s[24:25], 0, v13, s[24:25]
	v_add_co_u32_e64 v30, s[24:25], v12, v4
	v_addc_co_u32_e64 v31, s[24:25], 0, v13, s[24:25]
	v_and_b32_e32 v4, 3, v17
	v_mov_b32_e32 v5, 0
	v_cmp_eq_u32_e64 s[24:25], 0, v4
	v_cmp_lt_u32_e64 s[26:27], 1, v4
	v_add_u32_e32 v4, -1, v14
	v_lshlrev_b64 v[14:15], 2, v[4:5]
	v_add_co_u32_e64 v32, s[28:29], v12, v14
	v_addc_co_u32_e64 v33, s[28:29], v13, v15, s[28:29]
	v_lshlrev_b32_e32 v4, 1, v26
	s_movk_i32 s28, 0x780
	v_and_or_b32 v4, v4, s28, v16
	v_lshlrev_b32_e32 v14, 1, v4
	v_add_co_u32_e64 v38, s[28:29], v12, v14
	v_addc_co_u32_e64 v39, s[28:29], 0, v13, s[28:29]
	v_lshrrev_b32_e32 v65, 6, v22
	v_cmp_lt_u32_e64 s[12:13], 31, v17
	v_cmp_gt_u32_e64 s[16:17], 4, v26
	v_cmp_lt_u32_e64 s[18:19], 63, v26
	v_cmp_eq_u32_e64 s[20:21], 0, v17
	v_cmp_eq_u32_e64 s[22:23], 0, v26
	v_mad_u64_u32 v[48:49], s[28:29], v4, 6, v[38:39]
	v_sub_u32_e32 v67, v11, v10
	s_mov_b64 s[36:37], 0
	s_movk_i32 s43, 0x7fff
	v_mov_b32_e32 v14, v5
	v_mov_b32_e32 v15, v5
	;; [unrolled: 1-line block ×4, first 2 shown]
	s_waitcnt lgkmcnt(0)
	s_barrier
	s_branch .LBB1842_152
.LBB1842_151:                           ;   in Loop: Header=BB1842_152 Depth=1
	s_or_b64 exec, exec, s[30:31]
	s_and_b64 s[28:29], exec, s[40:41]
	s_or_b64 s[36:37], s[28:29], s[36:37]
	s_andn2_b64 exec, exec, s[36:37]
	s_cbranch_execz .LBB1842_170
.LBB1842_152:                           ; =>This Inner Loop Header: Depth=1
	s_waitcnt vmcnt(0)
	v_mov_b32_e32 v69, v51
	v_min_u32_e32 v4, s42, v67
	v_lshlrev_b32_e64 v4, v4, -1
	v_cmp_ne_u16_e64 s[28:29], s43, v69
	v_pk_mov_b32 v[34:35], v[20:21], v[20:21] op_sel:[0,1]
	v_not_b32_e32 v20, v4
	v_cndmask_b32_e64 v4, v23, v69, s[28:29]
	v_lshrrev_b32_sdwa v4, v10, v4 dst_sel:DWORD dst_unused:UNUSED_PAD src0_sel:DWORD src1_sel:WORD_0
	v_and_b32_e32 v4, v4, v20
	v_pk_mov_b32 v[36:37], v[18:19], v[18:19] op_sel:[0,1]
	v_lshlrev_b32_e32 v18, 2, v4
	v_add_lshl_u32 v18, v18, v65, 2
	v_add_co_u32_e64 v50, s[28:29], v27, v18
	v_addc_co_u32_e64 v51, s[28:29], 0, v64, s[28:29]
	v_and_b32_e32 v18, 1, v4
	v_add_co_u32_e64 v19, s[28:29], -1, v18
	v_addc_co_u32_e64 v21, s[28:29], 0, -1, s[28:29]
	v_cmp_ne_u32_e64 s[28:29], 0, v18
	v_xor_b32_e32 v18, s29, v21
	v_xor_b32_e32 v19, s28, v19
	v_and_b32_e32 v21, exec_hi, v18
	v_and_b32_e32 v52, exec_lo, v19
	v_lshlrev_b32_e32 v19, 30, v4
	v_mov_b32_e32 v18, v5
	v_cmp_gt_i64_e64 s[28:29], 0, v[18:19]
	v_not_b32_e32 v18, v19
	v_ashrrev_i32_e32 v18, 31, v18
	v_xor_b32_e32 v19, s29, v18
	v_xor_b32_e32 v18, s28, v18
	v_and_b32_e32 v21, v21, v19
	v_and_b32_e32 v52, v52, v18
	v_lshlrev_b32_e32 v19, 29, v4
	v_mov_b32_e32 v18, v5
	v_cmp_gt_i64_e64 s[28:29], 0, v[18:19]
	v_not_b32_e32 v18, v19
	v_ashrrev_i32_e32 v18, 31, v18
	v_xor_b32_e32 v19, s29, v18
	v_xor_b32_e32 v18, s28, v18
	v_and_b32_e32 v21, v21, v19
	v_and_b32_e32 v52, v52, v18
	;; [unrolled: 9-line block ×5, first 2 shown]
	v_lshlrev_b32_e32 v19, 25, v4
	v_mov_b32_e32 v18, v5
	v_cmp_gt_i64_e64 s[28:29], 0, v[18:19]
	v_not_b32_e32 v18, v19
	v_ashrrev_i32_e32 v18, 31, v18
	v_xor_b32_e32 v19, s29, v18
	v_xor_b32_e32 v18, s28, v18
	v_and_b32_e32 v21, v21, v19
	v_lshlrev_b32_e32 v19, 24, v4
	v_and_b32_e32 v52, v52, v18
	v_mov_b32_e32 v18, v5
	v_not_b32_e32 v4, v19
	v_cmp_gt_i64_e64 s[28:29], 0, v[18:19]
	v_ashrrev_i32_e32 v4, 31, v4
	v_xor_b32_e32 v18, s29, v4
	v_xor_b32_e32 v4, s28, v4
	v_and_b32_e32 v19, v21, v18
	v_and_b32_e32 v18, v52, v4
	v_mbcnt_lo_u32_b32 v4, v18, 0
	v_mbcnt_hi_u32_b32 v4, v19, v4
	v_cmp_eq_u32_e64 s[28:29], 0, v4
	v_cmp_ne_u64_e64 s[30:31], 0, v[18:19]
	v_mov_b32_e32 v68, v70
	s_and_b64 s[30:31], s[30:31], s[28:29]
	flat_store_dwordx4 v[8:9], v[14:17] offset:16
	s_waitcnt lgkmcnt(0)
	s_barrier
	s_waitcnt lgkmcnt(0)
	; wave barrier
	s_and_saveexec_b64 s[28:29], s[30:31]
	s_cbranch_execz .LBB1842_154
; %bb.153:                              ;   in Loop: Header=BB1842_152 Depth=1
	v_bcnt_u32_b32 v18, v18, 0
	v_bcnt_u32_b32 v18, v19, v18
	flat_store_dword v[50:51], v18
.LBB1842_154:                           ;   in Loop: Header=BB1842_152 Depth=1
	s_or_b64 exec, exec, s[28:29]
	v_cmp_ne_u16_e64 s[28:29], s43, v68
	v_cndmask_b32_e64 v18, v23, v68, s[28:29]
	v_lshrrev_b32_sdwa v18, v10, v18 dst_sel:DWORD dst_unused:UNUSED_PAD src0_sel:DWORD src1_sel:WORD_0
	v_and_b32_e32 v20, v18, v20
	v_lshlrev_b32_e32 v18, 2, v20
	v_add_lshl_u32 v18, v18, v65, 2
	v_add_co_u32_e64 v52, s[28:29], v27, v18
	v_addc_co_u32_e64 v53, s[28:29], 0, v64, s[28:29]
	; wave barrier
	flat_load_dword v54, v[52:53]
	v_and_b32_e32 v18, 1, v20
	v_add_co_u32_e64 v19, s[28:29], -1, v18
	v_addc_co_u32_e64 v21, s[28:29], 0, -1, s[28:29]
	v_cmp_ne_u32_e64 s[28:29], 0, v18
	v_xor_b32_e32 v18, s29, v21
	v_xor_b32_e32 v19, s28, v19
	v_and_b32_e32 v21, exec_hi, v18
	v_and_b32_e32 v55, exec_lo, v19
	v_lshlrev_b32_e32 v19, 30, v20
	v_mov_b32_e32 v18, v5
	v_cmp_gt_i64_e64 s[28:29], 0, v[18:19]
	v_not_b32_e32 v18, v19
	v_ashrrev_i32_e32 v18, 31, v18
	v_xor_b32_e32 v19, s29, v18
	v_xor_b32_e32 v18, s28, v18
	v_and_b32_e32 v21, v21, v19
	v_and_b32_e32 v55, v55, v18
	v_lshlrev_b32_e32 v19, 29, v20
	v_mov_b32_e32 v18, v5
	v_cmp_gt_i64_e64 s[28:29], 0, v[18:19]
	v_not_b32_e32 v18, v19
	v_ashrrev_i32_e32 v18, 31, v18
	v_xor_b32_e32 v19, s29, v18
	v_xor_b32_e32 v18, s28, v18
	v_and_b32_e32 v21, v21, v19
	v_and_b32_e32 v55, v55, v18
	;; [unrolled: 9-line block ×7, first 2 shown]
	v_mbcnt_lo_u32_b32 v20, v18, 0
	v_mbcnt_hi_u32_b32 v55, v19, v20
	v_cmp_eq_u32_e64 s[28:29], 0, v55
	v_cmp_ne_u64_e64 s[30:31], 0, v[18:19]
	s_and_b64 s[30:31], s[30:31], s[28:29]
	; wave barrier
	s_and_saveexec_b64 s[28:29], s[30:31]
	s_cbranch_execz .LBB1842_156
; %bb.155:                              ;   in Loop: Header=BB1842_152 Depth=1
	v_bcnt_u32_b32 v18, v18, 0
	v_bcnt_u32_b32 v18, v19, v18
	s_waitcnt vmcnt(0) lgkmcnt(0)
	v_add_u32_e32 v18, v54, v18
	flat_store_dword v[52:53], v18
.LBB1842_156:                           ;   in Loop: Header=BB1842_152 Depth=1
	s_or_b64 exec, exec, s[28:29]
	; wave barrier
	s_waitcnt lgkmcnt(0)
	s_barrier
	flat_load_dwordx4 v[18:21], v[8:9] offset:16
	s_waitcnt vmcnt(0) lgkmcnt(0)
	v_add_u32_e32 v70, v19, v18
	v_add3_u32 v21, v70, v20, v21
	s_nop 1
	v_mov_b32_dpp v70, v21 row_shr:1 row_mask:0xf bank_mask:0xf
	v_cndmask_b32_e64 v70, v70, 0, vcc
	v_add_u32_e32 v21, v70, v21
	s_nop 1
	v_mov_b32_dpp v70, v21 row_shr:2 row_mask:0xf bank_mask:0xf
	v_cndmask_b32_e64 v70, 0, v70, s[4:5]
	v_add_u32_e32 v21, v21, v70
	s_nop 1
	v_mov_b32_dpp v70, v21 row_shr:4 row_mask:0xf bank_mask:0xf
	v_cndmask_b32_e64 v70, 0, v70, s[6:7]
	;; [unrolled: 4-line block ×3, first 2 shown]
	v_add_u32_e32 v21, v21, v70
	s_nop 1
	v_mov_b32_dpp v70, v21 row_bcast:15 row_mask:0xf bank_mask:0xf
	v_cndmask_b32_e64 v70, v70, 0, s[10:11]
	v_add_u32_e32 v21, v21, v70
	s_nop 1
	v_mov_b32_dpp v70, v21 row_bcast:31 row_mask:0xf bank_mask:0xf
	v_cndmask_b32_e64 v70, 0, v70, s[12:13]
	v_add_u32_e32 v21, v21, v70
	s_and_saveexec_b64 s[28:29], s[14:15]
	s_cbranch_execz .LBB1842_158
; %bb.157:                              ;   in Loop: Header=BB1842_152 Depth=1
	flat_store_dword v[28:29], v21
.LBB1842_158:                           ;   in Loop: Header=BB1842_152 Depth=1
	s_or_b64 exec, exec, s[28:29]
	s_waitcnt lgkmcnt(0)
	s_barrier
	s_and_saveexec_b64 s[28:29], s[16:17]
	s_cbranch_execz .LBB1842_160
; %bb.159:                              ;   in Loop: Header=BB1842_152 Depth=1
	flat_load_dword v70, v[30:31]
	s_waitcnt vmcnt(0) lgkmcnt(0)
	s_nop 0
	v_mov_b32_dpp v71, v70 row_shr:1 row_mask:0xf bank_mask:0xf
	v_cndmask_b32_e64 v71, v71, 0, s[24:25]
	v_add_u32_e32 v70, v71, v70
	s_nop 1
	v_mov_b32_dpp v71, v70 row_shr:2 row_mask:0xf bank_mask:0xf
	v_cndmask_b32_e64 v71, 0, v71, s[26:27]
	v_add_u32_e32 v70, v70, v71
	flat_store_dword v[30:31], v70
.LBB1842_160:                           ;   in Loop: Header=BB1842_152 Depth=1
	s_or_b64 exec, exec, s[28:29]
	v_mov_b32_e32 v70, 0
	s_waitcnt lgkmcnt(0)
	s_barrier
	s_and_saveexec_b64 s[28:29], s[18:19]
	s_cbranch_execz .LBB1842_162
; %bb.161:                              ;   in Loop: Header=BB1842_152 Depth=1
	flat_load_dword v70, v[32:33]
.LBB1842_162:                           ;   in Loop: Header=BB1842_152 Depth=1
	s_or_b64 exec, exec, s[28:29]
	s_waitcnt vmcnt(0) lgkmcnt(0)
	v_add_u32_e32 v21, v70, v21
	ds_bpermute_b32 v21, v66, v21
	v_add_u32_e32 v10, 8, v10
	v_cmp_lt_u32_e64 s[28:29], v10, v11
	s_mov_b64 s[40:41], -1
	s_waitcnt lgkmcnt(0)
	v_cndmask_b32_e64 v21, v21, v70, s[20:21]
	v_cndmask_b32_e64 v80, v21, 0, s[22:23]
	v_add_u32_e32 v81, v80, v18
	v_add_u32_e32 v82, v81, v19
	;; [unrolled: 1-line block ×3, first 2 shown]
	flat_store_dwordx4 v[8:9], v[80:83] offset:16
	s_waitcnt lgkmcnt(0)
	s_barrier
	flat_load_dword v18, v[50:51]
	flat_load_dword v19, v[52:53]
	v_mov_b32_e32 v51, v5
	s_waitcnt lgkmcnt(0)
                                        ; implicit-def: $vgpr70
	s_waitcnt vmcnt(0) lgkmcnt(0)
	v_add_u32_e32 v4, v18, v4
	v_add3_u32 v50, v55, v54, v19
	v_lshlrev_b64 v[18:19], 1, v[4:5]
	v_add_co_u32_e64 v52, s[30:31], v12, v18
	v_lshlrev_b64 v[20:21], 1, v[50:51]
	v_addc_co_u32_e64 v53, s[30:31], v13, v19, s[30:31]
	v_add_co_u32_e64 v54, s[30:31], v12, v20
	v_addc_co_u32_e64 v55, s[30:31], v13, v21, s[30:31]
                                        ; implicit-def: $vgpr20_vgpr21
                                        ; implicit-def: $vgpr18_vgpr19
                                        ; implicit-def: $vgpr51
	s_and_saveexec_b64 s[30:31], s[28:29]
	s_cbranch_execz .LBB1842_151
; %bb.163:                              ;   in Loop: Header=BB1842_152 Depth=1
	v_mad_u64_u32 v[18:19], s[28:29], v4, 6, v[52:53]
	s_barrier
	flat_store_short v[52:53], v69
	flat_store_short v[54:55], v68
	s_waitcnt lgkmcnt(0)
	s_barrier
	flat_load_ushort v51, v[38:39]
	flat_load_ushort v70, v[38:39] offset:128
	s_waitcnt lgkmcnt(0)
	s_barrier
	flat_store_dwordx2 v[18:19], v[36:37]
	v_mad_u64_u32 v[18:19], s[28:29], v50, 6, v[54:55]
	flat_store_dwordx2 v[18:19], v[34:35]
	s_waitcnt lgkmcnt(0)
	s_barrier
	flat_load_dwordx2 v[18:19], v[48:49]
	flat_load_dwordx2 v[20:21], v[48:49] offset:512
	v_add_u32_e32 v67, -8, v67
	s_xor_b64 s[40:41], exec, -1
	s_waitcnt lgkmcnt(0)
	s_barrier
	s_branch .LBB1842_151
.LBB1842_164:
	flat_load_dwordx2 v[22:23], v[4:5]
	s_or_b64 exec, exec, s[14:15]
	s_and_saveexec_b64 s[10:11], s[6:7]
	s_cbranch_execz .LBB1842_91
.LBB1842_165:
	flat_load_dwordx2 v[24:25], v[4:5] offset:512
	s_or_b64 exec, exec, s[10:11]
	s_and_saveexec_b64 s[6:7], s[4:5]
	s_cbranch_execz .LBB1842_92
.LBB1842_166:
	flat_load_dwordx2 v[26:27], v[4:5] offset:1024
	s_or_b64 exec, exec, s[6:7]
	s_and_saveexec_b64 s[4:5], vcc
	s_cbranch_execnz .LBB1842_93
	s_branch .LBB1842_94
.LBB1842_167:
	s_waitcnt vmcnt(0)
	flat_store_dwordx2 v[0:1], v[14:15]
	s_or_b64 exec, exec, s[14:15]
	s_and_saveexec_b64 s[14:15], s[4:5]
	s_cbranch_execz .LBB1842_136
.LBB1842_168:
	s_waitcnt vmcnt(0)
	flat_store_dwordx2 v[0:1], v[12:13] offset:2048
	s_or_b64 exec, exec, s[14:15]
	s_and_saveexec_b64 s[4:5], s[6:7]
	s_cbranch_execz .LBB1842_137
.LBB1842_169:
	v_add_co_u32_e32 v2, vcc, 0x1000, v0
	v_addc_co_u32_e32 v3, vcc, 0, v1, vcc
	s_waitcnt vmcnt(0)
	flat_store_dwordx2 v[2:3], v[10:11]
	s_or_b64 exec, exec, s[4:5]
	s_and_saveexec_b64 s[4:5], s[10:11]
	s_cbranch_execnz .LBB1842_138
	s_branch .LBB1842_139
.LBB1842_170:
	s_or_b64 exec, exec, s[36:37]
	v_lshlrev_b32_e32 v5, 1, v26
	v_add_co_u32_e32 v8, vcc, v12, v5
	v_addc_co_u32_e32 v9, vcc, 0, v13, vcc
	v_mad_u64_u32 v[4:5], s[4:5], v4, 6, v[52:53]
	s_barrier
	flat_store_short v[52:53], v69
	flat_store_short v[54:55], v68
	s_waitcnt lgkmcnt(0)
	s_barrier
	flat_load_ushort v11, v[8:9]
	flat_load_ushort v10, v[8:9] offset:512
	s_waitcnt lgkmcnt(0)
	s_barrier
	flat_store_dwordx2 v[4:5], v[36:37]
	v_mad_u64_u32 v[4:5], s[4:5], v50, 6, v[54:55]
	v_mad_u64_u32 v[12:13], s[4:5], v26, 6, v[8:9]
	flat_store_dwordx2 v[4:5], v[34:35]
	s_waitcnt lgkmcnt(0)
	s_barrier
	flat_load_dwordx2 v[8:9], v[12:13]
	flat_load_dwordx2 v[4:5], v[12:13] offset:2048
	v_mov_b32_e32 v23, 0
	v_add_co_u32_e32 v12, vcc, v2, v24
	v_addc_co_u32_e32 v13, vcc, v3, v25, vcc
	v_lshlrev_b64 v[2:3], 1, v[22:23]
	v_add_co_u32_e32 v2, vcc, v12, v2
	v_addc_co_u32_e32 v3, vcc, v13, v3, vcc
	v_cmp_lt_u32_e32 vcc, v22, v148
	s_waitcnt lgkmcnt(0)
	s_barrier
	s_and_saveexec_b64 s[6:7], vcc
	s_cbranch_execz .LBB1842_172
; %bb.171:
	v_mov_b32_e32 v12, 0xffff8000
	s_waitcnt vmcnt(0)
	v_cmp_lt_i16_e64 s[4:5], -1, v11
	v_cndmask_b32_e64 v12, v12, -1, s[4:5]
	v_xor_b32_e32 v11, v12, v11
	flat_store_short v[2:3], v11
.LBB1842_172:
	s_or_b64 exec, exec, s[6:7]
	s_waitcnt vmcnt(0)
	v_add_u32_e32 v11, 0x100, v22
	v_cmp_lt_u32_e64 s[4:5], v11, v148
	s_and_saveexec_b64 s[8:9], s[4:5]
	s_cbranch_execz .LBB1842_174
; %bb.173:
	v_mov_b32_e32 v11, 0xffff8000
	v_cmp_lt_i16_e64 s[6:7], -1, v10
	v_cndmask_b32_e64 v11, v11, -1, s[6:7]
	v_xor_b32_e32 v10, v11, v10
	flat_store_short v[2:3], v10 offset:512
.LBB1842_174:
	s_or_b64 exec, exec, s[8:9]
	v_add_co_u32_e64 v2, s[6:7], v6, v0
	v_addc_co_u32_e64 v3, s[6:7], v7, v1, s[6:7]
	v_lshlrev_b64 v[0:1], 3, v[22:23]
	v_add_co_u32_e64 v0, s[6:7], v2, v0
	v_addc_co_u32_e64 v1, s[6:7], v3, v1, s[6:7]
	s_and_saveexec_b64 s[6:7], vcc
	s_cbranch_execz .LBB1842_176
; %bb.175:
	flat_store_dwordx2 v[0:1], v[8:9]
.LBB1842_176:
	s_or_b64 exec, exec, s[6:7]
	s_and_saveexec_b64 s[6:7], s[4:5]
	s_cbranch_execz .LBB1842_178
; %bb.177:
	flat_store_dwordx2 v[0:1], v[4:5] offset:2048
.LBB1842_178:
	s_or_b64 exec, exec, s[6:7]
                                        ; implicit-def: $vgpr26
                                        ; implicit-def: $vgpr22_vgpr23
                                        ; implicit-def: $vgpr8_vgpr9
                                        ; implicit-def: $vgpr24_vgpr25
                                        ; implicit-def: $vgpr148
                                        ; implicit-def: $vgpr0
                                        ; implicit-def: $vgpr1
                                        ; implicit-def: $vgpr2
                                        ; implicit-def: $vgpr3
                                        ; implicit-def: $vgpr4
                                        ; implicit-def: $vgpr5
                                        ; implicit-def: $vgpr6
                                        ; implicit-def: $vgpr7
                                        ; implicit-def: $vgpr10
                                        ; implicit-def: $vgpr11
                                        ; implicit-def: $vgpr12
                                        ; implicit-def: $vgpr13
                                        ; implicit-def: $vgpr14
.LBB1842_179:
	s_andn2_saveexec_b64 s[4:5], s[34:35]
	s_cbranch_execz .LBB1842_199
; %bb.180:
	v_mbcnt_hi_u32_b32 v17, -1, v14
	v_bfi_b32 v15, 63, v17, v22
	v_and_b32_e32 v16, 63, v17
	v_and_b32_e32 v14, 0xffffffc0, v22
	v_cmp_lt_u32_e32 vcc, v15, v148
	v_mov_b32_e32 v20, 0x7fff
	s_and_saveexec_b64 s[6:7], vcc
	s_cbranch_execz .LBB1842_182
; %bb.181:
	v_add_co_u32_e64 v0, s[4:5], v0, v24
	v_addc_co_u32_e64 v1, s[4:5], v1, v25, s[4:5]
	v_lshlrev_b32_e32 v18, 1, v16
	v_mov_b32_e32 v15, 0
	v_add_co_u32_e64 v18, s[4:5], v0, v18
	v_addc_co_u32_e64 v19, s[4:5], 0, v1, s[4:5]
	v_lshlrev_b64 v[0:1], 1, v[14:15]
	v_add_co_u32_e64 v0, s[4:5], v18, v0
	v_addc_co_u32_e64 v1, s[4:5], v19, v1, s[4:5]
	flat_load_ushort v20, v[0:1]
.LBB1842_182:
	s_or_b64 exec, exec, s[6:7]
	v_lshlrev_b64 v[0:1], 3, v[8:9]
                                        ; implicit-def: $vgpr18_vgpr19
	s_and_saveexec_b64 s[4:5], vcc
	s_cbranch_execz .LBB1842_184
; %bb.183:
	v_add_co_u32_e32 v4, vcc, v4, v0
	v_addc_co_u32_e32 v5, vcc, v5, v1, vcc
	v_lshlrev_b32_e32 v8, 3, v16
	v_mov_b32_e32 v15, 0
	v_add_co_u32_e32 v8, vcc, v4, v8
	v_addc_co_u32_e32 v9, vcc, 0, v5, vcc
	v_lshlrev_b64 v[4:5], 3, v[14:15]
	v_add_co_u32_e32 v4, vcc, v8, v4
	v_addc_co_u32_e32 v5, vcc, v9, v5, vcc
	flat_load_dwordx2 v[18:19], v[4:5]
.LBB1842_184:
	s_or_b64 exec, exec, s[4:5]
	v_mov_b32_e32 v23, 0xffff8000
	s_waitcnt vmcnt(0) lgkmcnt(0)
	v_cmp_lt_i16_e32 vcc, -1, v20
	v_cndmask_b32_e32 v4, -1, v23, vcc
	v_xor_b32_e32 v48, v4, v20
	v_add_co_u32_e32 v27, vcc, 16, v12
	v_and_b32_e32 v20, 0x3c0, v26
	v_addc_co_u32_e32 v50, vcc, 0, v13, vcc
	v_lshlrev_b32_e32 v8, 4, v26
	v_min_u32_e32 v15, 0xc0, v20
	v_add_co_u32_e32 v8, vcc, v12, v8
	v_or_b32_e32 v15, 63, v15
	s_getpc_b64 s[4:5]
	s_add_u32 s4, s4, _ZN7rocprim17ROCPRIM_400000_NS16block_radix_sortI6__halfLj256ELj1ElLj1ELj1ELj8ELNS0_26block_radix_rank_algorithmE2ELNS0_18block_padding_hintE2ELNS0_4arch9wavefront6targetE1EE19radix_bits_per_passE@rel32@lo+4
	s_addc_u32 s5, s5, _ZN7rocprim17ROCPRIM_400000_NS16block_radix_sortI6__halfLj256ELj1ElLj1ELj1ELj8ELNS0_26block_radix_rank_algorithmE2ELNS0_18block_padding_hintE2ELNS0_4arch9wavefront6targetE1EE19radix_bits_per_passE@rel32@hi+12
	v_addc_co_u32_e32 v9, vcc, 0, v13, vcc
	v_and_b32_e32 v14, 15, v17
	v_cmp_eq_u32_e64 s[14:15], v15, v26
	v_add_u32_e32 v15, -1, v17
	v_and_b32_e32 v21, 64, v17
	s_load_dword s40, s[4:5], 0x0
	v_cmp_eq_u32_e32 vcc, 0, v14
	v_cmp_lt_u32_e64 s[4:5], 1, v14
	v_cmp_lt_u32_e64 s[6:7], 3, v14
	;; [unrolled: 1-line block ×3, first 2 shown]
	v_and_b32_e32 v14, 16, v17
	v_cmp_lt_i32_e64 s[20:21], v15, v21
	v_cmp_eq_u32_e64 s[10:11], 0, v14
	v_lshrrev_b32_e32 v14, 6, v26
	v_cndmask_b32_e64 v15, v15, v17, s[20:21]
	v_lshlrev_b32_e32 v52, 2, v15
	v_lshlrev_b32_e32 v15, 2, v14
	v_add_co_u32_e64 v28, s[24:25], v12, v15
	v_lshlrev_b32_e32 v4, 2, v26
	v_addc_co_u32_e64 v29, s[24:25], 0, v13, s[24:25]
	v_add_co_u32_e64 v30, s[24:25], v12, v4
	v_addc_co_u32_e64 v31, s[24:25], 0, v13, s[24:25]
	v_and_b32_e32 v4, 3, v17
	v_mov_b32_e32 v5, 0
	v_cmp_eq_u32_e64 s[24:25], 0, v4
	v_cmp_lt_u32_e64 s[26:27], 1, v4
	v_add_u32_e32 v4, -1, v14
	v_lshlrev_b64 v[14:15], 2, v[4:5]
	v_add_co_u32_e64 v32, s[28:29], v12, v14
	v_or_b32_e32 v4, v16, v20
	v_addc_co_u32_e64 v33, s[28:29], v13, v15, s[28:29]
	v_lshlrev_b32_e32 v14, 1, v4
	v_add_co_u32_e64 v36, s[28:29], v12, v14
	v_addc_co_u32_e64 v37, s[28:29], 0, v13, s[28:29]
	v_lshrrev_b32_e32 v51, 6, v22
	v_cmp_lt_u32_e64 s[12:13], 31, v17
	v_cmp_gt_u32_e64 s[16:17], 4, v26
	v_cmp_lt_u32_e64 s[18:19], 63, v26
	v_cmp_eq_u32_e64 s[20:21], 0, v17
	v_cmp_eq_u32_e64 s[22:23], 0, v26
	v_mad_u64_u32 v[38:39], s[28:29], v4, 6, v[36:37]
	v_sub_u32_e32 v53, v11, v10
	s_mov_b64 s[34:35], 0
	s_movk_i32 s41, 0x7fff
	v_mov_b32_e32 v14, v5
	v_mov_b32_e32 v15, v5
	;; [unrolled: 1-line block ×4, first 2 shown]
	s_waitcnt lgkmcnt(0)
	s_barrier
	s_branch .LBB1842_186
.LBB1842_185:                           ;   in Loop: Header=BB1842_186 Depth=1
	s_or_b64 exec, exec, s[30:31]
	s_and_b64 s[28:29], exec, s[36:37]
	s_or_b64 s[34:35], s[28:29], s[34:35]
	s_andn2_b64 exec, exec, s[34:35]
	s_cbranch_execz .LBB1842_196
.LBB1842_186:                           ; =>This Inner Loop Header: Depth=1
	s_waitcnt vmcnt(0)
	v_mov_b32_e32 v54, v48
	v_cmp_ne_u16_e64 s[28:29], s41, v54
	v_pk_mov_b32 v[34:35], v[18:19], v[18:19] op_sel:[0,1]
	v_cndmask_b32_e64 v18, v23, v54, s[28:29]
	v_min_u32_e32 v4, s40, v53
	v_lshrrev_b32_sdwa v18, v10, v18 dst_sel:DWORD dst_unused:UNUSED_PAD src0_sel:DWORD src1_sel:WORD_0
	v_bfe_u32 v4, v18, 0, v4
	v_lshlrev_b32_e32 v18, 2, v4
	v_add_lshl_u32 v18, v18, v51, 2
	v_add_co_u32_e64 v48, s[28:29], v27, v18
	v_addc_co_u32_e64 v49, s[28:29], 0, v50, s[28:29]
	v_and_b32_e32 v18, 1, v4
	v_add_co_u32_e64 v19, s[28:29], -1, v18
	v_addc_co_u32_e64 v20, s[28:29], 0, -1, s[28:29]
	v_cmp_ne_u32_e64 s[28:29], 0, v18
	v_xor_b32_e32 v18, s29, v20
	v_xor_b32_e32 v19, s28, v19
	v_and_b32_e32 v20, exec_hi, v18
	v_and_b32_e32 v21, exec_lo, v19
	v_lshlrev_b32_e32 v19, 30, v4
	v_mov_b32_e32 v18, v5
	v_cmp_gt_i64_e64 s[28:29], 0, v[18:19]
	v_not_b32_e32 v18, v19
	v_ashrrev_i32_e32 v18, 31, v18
	v_xor_b32_e32 v19, s29, v18
	v_xor_b32_e32 v18, s28, v18
	v_and_b32_e32 v20, v20, v19
	v_and_b32_e32 v21, v21, v18
	v_lshlrev_b32_e32 v19, 29, v4
	v_mov_b32_e32 v18, v5
	v_cmp_gt_i64_e64 s[28:29], 0, v[18:19]
	v_not_b32_e32 v18, v19
	v_ashrrev_i32_e32 v18, 31, v18
	v_xor_b32_e32 v19, s29, v18
	v_xor_b32_e32 v18, s28, v18
	v_and_b32_e32 v20, v20, v19
	v_and_b32_e32 v21, v21, v18
	;; [unrolled: 9-line block ×5, first 2 shown]
	v_lshlrev_b32_e32 v19, 25, v4
	v_mov_b32_e32 v18, v5
	v_cmp_gt_i64_e64 s[28:29], 0, v[18:19]
	v_not_b32_e32 v18, v19
	v_ashrrev_i32_e32 v18, 31, v18
	v_xor_b32_e32 v19, s29, v18
	v_xor_b32_e32 v18, s28, v18
	v_and_b32_e32 v20, v20, v19
	v_lshlrev_b32_e32 v19, 24, v4
	v_and_b32_e32 v21, v21, v18
	v_mov_b32_e32 v18, v5
	v_not_b32_e32 v4, v19
	v_cmp_gt_i64_e64 s[28:29], 0, v[18:19]
	v_ashrrev_i32_e32 v4, 31, v4
	v_xor_b32_e32 v18, s29, v4
	v_xor_b32_e32 v4, s28, v4
	v_and_b32_e32 v19, v20, v18
	v_and_b32_e32 v18, v21, v4
	v_mbcnt_lo_u32_b32 v4, v18, 0
	v_mbcnt_hi_u32_b32 v4, v19, v4
	v_cmp_eq_u32_e64 s[28:29], 0, v4
	v_cmp_ne_u64_e64 s[30:31], 0, v[18:19]
	s_and_b64 s[30:31], s[30:31], s[28:29]
	flat_store_dwordx4 v[8:9], v[14:17] offset:16
	s_waitcnt lgkmcnt(0)
	s_barrier
	s_waitcnt lgkmcnt(0)
	; wave barrier
	s_and_saveexec_b64 s[28:29], s[30:31]
	s_cbranch_execz .LBB1842_188
; %bb.187:                              ;   in Loop: Header=BB1842_186 Depth=1
	v_bcnt_u32_b32 v18, v18, 0
	v_bcnt_u32_b32 v18, v19, v18
	flat_store_dword v[48:49], v18
.LBB1842_188:                           ;   in Loop: Header=BB1842_186 Depth=1
	s_or_b64 exec, exec, s[28:29]
	; wave barrier
	s_waitcnt lgkmcnt(0)
	s_barrier
	flat_load_dwordx4 v[18:21], v[8:9] offset:16
	s_waitcnt vmcnt(0) lgkmcnt(0)
	v_add_u32_e32 v55, v19, v18
	v_add3_u32 v21, v55, v20, v21
	s_nop 1
	v_mov_b32_dpp v55, v21 row_shr:1 row_mask:0xf bank_mask:0xf
	v_cndmask_b32_e64 v55, v55, 0, vcc
	v_add_u32_e32 v21, v55, v21
	s_nop 1
	v_mov_b32_dpp v55, v21 row_shr:2 row_mask:0xf bank_mask:0xf
	v_cndmask_b32_e64 v55, 0, v55, s[4:5]
	v_add_u32_e32 v21, v21, v55
	s_nop 1
	v_mov_b32_dpp v55, v21 row_shr:4 row_mask:0xf bank_mask:0xf
	v_cndmask_b32_e64 v55, 0, v55, s[6:7]
	;; [unrolled: 4-line block ×3, first 2 shown]
	v_add_u32_e32 v21, v21, v55
	s_nop 1
	v_mov_b32_dpp v55, v21 row_bcast:15 row_mask:0xf bank_mask:0xf
	v_cndmask_b32_e64 v55, v55, 0, s[10:11]
	v_add_u32_e32 v21, v21, v55
	s_nop 1
	v_mov_b32_dpp v55, v21 row_bcast:31 row_mask:0xf bank_mask:0xf
	v_cndmask_b32_e64 v55, 0, v55, s[12:13]
	v_add_u32_e32 v21, v21, v55
	s_and_saveexec_b64 s[28:29], s[14:15]
	s_cbranch_execz .LBB1842_190
; %bb.189:                              ;   in Loop: Header=BB1842_186 Depth=1
	flat_store_dword v[28:29], v21
.LBB1842_190:                           ;   in Loop: Header=BB1842_186 Depth=1
	s_or_b64 exec, exec, s[28:29]
	s_waitcnt lgkmcnt(0)
	s_barrier
	s_and_saveexec_b64 s[28:29], s[16:17]
	s_cbranch_execz .LBB1842_192
; %bb.191:                              ;   in Loop: Header=BB1842_186 Depth=1
	flat_load_dword v55, v[30:31]
	s_waitcnt vmcnt(0) lgkmcnt(0)
	s_nop 0
	v_mov_b32_dpp v64, v55 row_shr:1 row_mask:0xf bank_mask:0xf
	v_cndmask_b32_e64 v64, v64, 0, s[24:25]
	v_add_u32_e32 v55, v64, v55
	s_nop 1
	v_mov_b32_dpp v64, v55 row_shr:2 row_mask:0xf bank_mask:0xf
	v_cndmask_b32_e64 v64, 0, v64, s[26:27]
	v_add_u32_e32 v55, v55, v64
	flat_store_dword v[30:31], v55
.LBB1842_192:                           ;   in Loop: Header=BB1842_186 Depth=1
	s_or_b64 exec, exec, s[28:29]
	v_mov_b32_e32 v55, 0
	s_waitcnt lgkmcnt(0)
	s_barrier
	s_and_saveexec_b64 s[28:29], s[18:19]
	s_cbranch_execz .LBB1842_194
; %bb.193:                              ;   in Loop: Header=BB1842_186 Depth=1
	flat_load_dword v55, v[32:33]
.LBB1842_194:                           ;   in Loop: Header=BB1842_186 Depth=1
	s_or_b64 exec, exec, s[28:29]
	s_waitcnt vmcnt(0) lgkmcnt(0)
	v_add_u32_e32 v21, v55, v21
	ds_bpermute_b32 v21, v52, v21
	v_add_u32_e32 v10, 8, v10
	v_cmp_lt_u32_e64 s[28:29], v10, v11
	s_mov_b64 s[36:37], -1
	s_waitcnt lgkmcnt(0)
	v_cndmask_b32_e64 v21, v21, v55, s[20:21]
	v_cndmask_b32_e64 v64, v21, 0, s[22:23]
	v_add_u32_e32 v65, v64, v18
	v_add_u32_e32 v66, v65, v19
	;; [unrolled: 1-line block ×3, first 2 shown]
	flat_store_dwordx4 v[8:9], v[64:67] offset:16
	s_waitcnt lgkmcnt(0)
	s_barrier
	flat_load_dword v18, v[48:49]
	s_waitcnt lgkmcnt(0)
                                        ; implicit-def: $vgpr48
	s_waitcnt vmcnt(0) lgkmcnt(0)
	v_add_u32_e32 v4, v18, v4
	v_lshlrev_b64 v[18:19], 1, v[4:5]
	v_add_co_u32_e64 v20, s[30:31], v12, v18
	v_addc_co_u32_e64 v21, s[30:31], v13, v19, s[30:31]
                                        ; implicit-def: $vgpr18_vgpr19
	s_and_saveexec_b64 s[30:31], s[28:29]
	s_cbranch_execz .LBB1842_185
; %bb.195:                              ;   in Loop: Header=BB1842_186 Depth=1
	v_mad_u64_u32 v[18:19], s[28:29], v4, 6, v[20:21]
	s_barrier
	flat_store_short v[20:21], v54
	s_waitcnt lgkmcnt(0)
	s_barrier
	flat_load_ushort v48, v[36:37]
	s_waitcnt lgkmcnt(0)
	s_barrier
	flat_store_dwordx2 v[18:19], v[34:35]
	s_waitcnt lgkmcnt(0)
	s_barrier
	flat_load_dwordx2 v[18:19], v[38:39]
	v_add_u32_e32 v53, -8, v53
	s_xor_b64 s[36:37], exec, -1
	s_waitcnt lgkmcnt(0)
	s_barrier
	s_branch .LBB1842_185
.LBB1842_196:
	s_or_b64 exec, exec, s[34:35]
	v_lshlrev_b32_e32 v5, 1, v26
	v_add_co_u32_e32 v10, vcc, v12, v5
	v_addc_co_u32_e32 v11, vcc, 0, v13, vcc
	v_mad_u64_u32 v[4:5], s[4:5], v4, 6, v[20:21]
	s_barrier
	flat_store_short v[20:21], v54
	s_waitcnt lgkmcnt(0)
	s_barrier
	flat_load_ushort v8, v[10:11]
	s_waitcnt lgkmcnt(0)
	s_barrier
	flat_store_dwordx2 v[4:5], v[34:35]
	v_mad_u64_u32 v[4:5], s[4:5], v26, 6, v[10:11]
	s_waitcnt lgkmcnt(0)
	s_barrier
	flat_load_dwordx2 v[4:5], v[4:5]
	v_mov_b32_e32 v23, 0
	v_cmp_lt_u32_e32 vcc, v22, v148
	s_waitcnt lgkmcnt(0)
	s_barrier
	s_and_saveexec_b64 s[4:5], vcc
	s_cbranch_execz .LBB1842_198
; %bb.197:
	v_add_co_u32_e32 v6, vcc, v6, v0
	v_addc_co_u32_e32 v7, vcc, v7, v1, vcc
	v_lshlrev_b64 v[0:1], 3, v[22:23]
	v_add_co_u32_e32 v0, vcc, v6, v0
	v_addc_co_u32_e32 v1, vcc, v7, v1, vcc
	v_mov_b32_e32 v6, 0xffff8000
	s_waitcnt vmcnt(0)
	v_cmp_lt_i16_e32 vcc, -1, v8
	v_cndmask_b32_e64 v6, v6, -1, vcc
	v_add_co_u32_e32 v7, vcc, v2, v24
	v_xor_b32_e32 v6, v6, v8
	v_addc_co_u32_e32 v8, vcc, v3, v25, vcc
	v_lshlrev_b64 v[2:3], 1, v[22:23]
	v_add_co_u32_e32 v2, vcc, v7, v2
	v_addc_co_u32_e32 v3, vcc, v8, v3, vcc
	flat_store_short v[2:3], v6
	flat_store_dwordx2 v[0:1], v[4:5]
.LBB1842_198:
	s_or_b64 exec, exec, s[4:5]
.LBB1842_199:
	s_or_b64 exec, exec, s[38:39]
	v_readlane_b32 s30, v40, 14
	v_readlane_b32 s31, v40, 15
	;; [unrolled: 1-line block ×16, first 2 shown]
	s_or_saveexec_b64 s[4:5], -1
	buffer_load_dword v40, off, s[0:3], s32 ; 4-byte Folded Reload
	s_mov_b64 exec, s[4:5]
	s_waitcnt vmcnt(0) lgkmcnt(0)
	s_setpc_b64 s[30:31]
.Lfunc_end1842:
	.size	_ZN7rocprim17ROCPRIM_400000_NS6detail40segmented_radix_sort_single_block_helperI6__halflLj256ELj8ELb0EE4sortIPKS3_PS3_PKlPlEEbT_T0_T1_T2_jjjjRNS4_12storage_typeE, .Lfunc_end1842-_ZN7rocprim17ROCPRIM_400000_NS6detail40segmented_radix_sort_single_block_helperI6__halflLj256ELj8ELb0EE4sortIPKS3_PS3_PKlPlEEbT_T0_T1_T2_jjjjRNS4_12storage_typeE
                                        ; -- End function
	.section	.AMDGPU.csdata,"",@progbits
; Function info:
; codeLenInByte = 17164
; NumSgprs: 52
; NumVgprs: 178
; NumAgprs: 0
; TotalNumVgprs: 178
; ScratchSize: 8
; MemoryBound: 1
	.section	.text._ZN7rocprim17ROCPRIM_400000_NS6detail17trampoline_kernelINS0_14default_configENS1_36segmented_radix_sort_config_selectorI6__halflEEZNS1_25segmented_radix_sort_implIS3_Lb0EPKS5_PS5_PKlPlN2at6native12_GLOBAL__N_18offset_tEEE10hipError_tPvRmT1_PNSt15iterator_traitsISL_E10value_typeET2_T3_PNSM_ISR_E10value_typeET4_jRbjT5_SX_jjP12ihipStream_tbEUlT_E_NS1_11comp_targetILNS1_3genE4ELNS1_11target_archE910ELNS1_3gpuE8ELNS1_3repE0EEENS1_30default_config_static_selectorELNS0_4arch9wavefront6targetE1EEEvSL_,"axG",@progbits,_ZN7rocprim17ROCPRIM_400000_NS6detail17trampoline_kernelINS0_14default_configENS1_36segmented_radix_sort_config_selectorI6__halflEEZNS1_25segmented_radix_sort_implIS3_Lb0EPKS5_PS5_PKlPlN2at6native12_GLOBAL__N_18offset_tEEE10hipError_tPvRmT1_PNSt15iterator_traitsISL_E10value_typeET2_T3_PNSM_ISR_E10value_typeET4_jRbjT5_SX_jjP12ihipStream_tbEUlT_E_NS1_11comp_targetILNS1_3genE4ELNS1_11target_archE910ELNS1_3gpuE8ELNS1_3repE0EEENS1_30default_config_static_selectorELNS0_4arch9wavefront6targetE1EEEvSL_,comdat
	.globl	_ZN7rocprim17ROCPRIM_400000_NS6detail17trampoline_kernelINS0_14default_configENS1_36segmented_radix_sort_config_selectorI6__halflEEZNS1_25segmented_radix_sort_implIS3_Lb0EPKS5_PS5_PKlPlN2at6native12_GLOBAL__N_18offset_tEEE10hipError_tPvRmT1_PNSt15iterator_traitsISL_E10value_typeET2_T3_PNSM_ISR_E10value_typeET4_jRbjT5_SX_jjP12ihipStream_tbEUlT_E_NS1_11comp_targetILNS1_3genE4ELNS1_11target_archE910ELNS1_3gpuE8ELNS1_3repE0EEENS1_30default_config_static_selectorELNS0_4arch9wavefront6targetE1EEEvSL_ ; -- Begin function _ZN7rocprim17ROCPRIM_400000_NS6detail17trampoline_kernelINS0_14default_configENS1_36segmented_radix_sort_config_selectorI6__halflEEZNS1_25segmented_radix_sort_implIS3_Lb0EPKS5_PS5_PKlPlN2at6native12_GLOBAL__N_18offset_tEEE10hipError_tPvRmT1_PNSt15iterator_traitsISL_E10value_typeET2_T3_PNSM_ISR_E10value_typeET4_jRbjT5_SX_jjP12ihipStream_tbEUlT_E_NS1_11comp_targetILNS1_3genE4ELNS1_11target_archE910ELNS1_3gpuE8ELNS1_3repE0EEENS1_30default_config_static_selectorELNS0_4arch9wavefront6targetE1EEEvSL_
	.p2align	8
	.type	_ZN7rocprim17ROCPRIM_400000_NS6detail17trampoline_kernelINS0_14default_configENS1_36segmented_radix_sort_config_selectorI6__halflEEZNS1_25segmented_radix_sort_implIS3_Lb0EPKS5_PS5_PKlPlN2at6native12_GLOBAL__N_18offset_tEEE10hipError_tPvRmT1_PNSt15iterator_traitsISL_E10value_typeET2_T3_PNSM_ISR_E10value_typeET4_jRbjT5_SX_jjP12ihipStream_tbEUlT_E_NS1_11comp_targetILNS1_3genE4ELNS1_11target_archE910ELNS1_3gpuE8ELNS1_3repE0EEENS1_30default_config_static_selectorELNS0_4arch9wavefront6targetE1EEEvSL_,@function
_ZN7rocprim17ROCPRIM_400000_NS6detail17trampoline_kernelINS0_14default_configENS1_36segmented_radix_sort_config_selectorI6__halflEEZNS1_25segmented_radix_sort_implIS3_Lb0EPKS5_PS5_PKlPlN2at6native12_GLOBAL__N_18offset_tEEE10hipError_tPvRmT1_PNSt15iterator_traitsISL_E10value_typeET2_T3_PNSM_ISR_E10value_typeET4_jRbjT5_SX_jjP12ihipStream_tbEUlT_E_NS1_11comp_targetILNS1_3genE4ELNS1_11target_archE910ELNS1_3gpuE8ELNS1_3repE0EEENS1_30default_config_static_selectorELNS0_4arch9wavefront6targetE1EEEvSL_: ; @_ZN7rocprim17ROCPRIM_400000_NS6detail17trampoline_kernelINS0_14default_configENS1_36segmented_radix_sort_config_selectorI6__halflEEZNS1_25segmented_radix_sort_implIS3_Lb0EPKS5_PS5_PKlPlN2at6native12_GLOBAL__N_18offset_tEEE10hipError_tPvRmT1_PNSt15iterator_traitsISL_E10value_typeET2_T3_PNSM_ISR_E10value_typeET4_jRbjT5_SX_jjP12ihipStream_tbEUlT_E_NS1_11comp_targetILNS1_3genE4ELNS1_11target_archE910ELNS1_3gpuE8ELNS1_3repE0EEENS1_30default_config_static_selectorELNS0_4arch9wavefront6targetE1EEEvSL_
; %bb.0:
	s_add_u32 flat_scratch_lo, s6, s10
	s_addc_u32 flat_scratch_hi, s7, 0
	s_mov_b32 s33, s9
	s_mov_b64 s[48:49], s[4:5]
	s_mov_b32 s50, s8
	s_load_dwordx2 s[8:9], s[4:5], 0x38
	s_nop 0
	s_load_dwordx4 s[4:7], s[4:5], 0x40
	s_add_u32 s0, s0, s10
	s_mov_b32 s11, 0
	s_mov_b32 s10, s50
	s_addc_u32 s1, s1, 0
	s_lshl_b64 s[10:11], s[10:11], 2
	s_waitcnt lgkmcnt(0)
	s_add_u32 s8, s8, s10
	s_addc_u32 s9, s9, s11
	s_load_dword s8, s[8:9], 0x0
	s_mov_b32 s32, 0
	s_waitcnt lgkmcnt(0)
	s_add_i32 s51, s8, s5
	s_add_i32 s76, s8, s7
	s_mul_i32 s51, s51, s4
	s_mul_i32 s76, s76, s6
	s_cmp_le_u32 s76, s51
	s_cbranch_scc1 .LBB1843_678
; %bb.1:
	s_load_dword s4, s[48:49], 0x30
	s_load_dwordx4 s[64:67], s[48:49], 0x20
	s_load_dwordx4 s[68:71], s[48:49], 0x50
	s_load_dwordx8 s[56:63], s[48:49], 0x0
	s_waitcnt lgkmcnt(0)
	s_bitcmp1_b32 s4, 0
	s_cselect_b64 s[54:55], -1, 0
	s_sub_i32 s71, s76, s51
	s_cmpk_lt_u32 s71, 0x801
	s_mov_b64 s[4:5], -1
	s_cbranch_scc0 .LBB1843_7
; %bb.2:
	s_and_b32 s4, s68, 1
	v_cndmask_b32_e64 v1, 0, 1, s[54:55]
	v_cmp_ne_u32_e32 vcc, s4, v1
	s_mov_b64 s[4:5], -1
	s_cbranch_vccnz .LBB1843_4
; %bb.3:
	s_add_u32 s8, s48, 0x60
	s_mov_b64 s[4:5], src_shared_base
	s_addc_u32 s9, s49, 0
	s_mov_b32 s12, s50
	s_mov_b32 s13, s33
	v_mov_b32_e32 v31, v0
	v_mov_b32_e32 v41, v0
	;; [unrolled: 1-line block ×16, first 2 shown]
	s_getpc_b64 s[6:7]
	s_add_u32 s6, s6, _ZN7rocprim17ROCPRIM_400000_NS6detail40segmented_radix_sort_single_block_helperI6__halflLj256ELj8ELb0EE4sortIPKS3_PS3_PKlPlEEbT_T0_T1_T2_jjjjRNS4_12storage_typeE@rel32@lo+4
	s_addc_u32 s7, s7, _ZN7rocprim17ROCPRIM_400000_NS6detail40segmented_radix_sort_single_block_helperI6__halflLj256ELj8ELb0EE4sortIPKS3_PS3_PKlPlEEbT_T0_T1_T2_jjjjRNS4_12storage_typeE@rel32@hi+12
	s_swappc_b64 s[30:31], s[6:7]
	v_mov_b32_e32 v0, v41
	s_mov_b64 s[4:5], 0
.LBB1843_4:
	s_andn2_b64 vcc, exec, s[4:5]
	s_cbranch_vccnz .LBB1843_6
; %bb.5:
	s_add_u32 s8, s48, 0x60
	s_mov_b64 s[4:5], src_shared_base
	s_addc_u32 s9, s49, 0
	s_mov_b32 s12, s50
	s_mov_b32 s13, s33
	v_mov_b32_e32 v31, v0
	v_mov_b32_e32 v41, v0
	v_mov_b32_e32 v0, s56
	v_mov_b32_e32 v1, s57
	v_mov_b32_e32 v2, s58
	v_mov_b32_e32 v3, s59
	v_mov_b32_e32 v4, s62
	v_mov_b32_e32 v5, s63
	v_mov_b32_e32 v6, s64
	v_mov_b32_e32 v7, s65
	v_mov_b32_e32 v8, s51
	v_mov_b32_e32 v9, s76
	v_mov_b32_e32 v10, s69
	v_mov_b32_e32 v11, s70
	v_mov_b32_e32 v12, 0
	v_mov_b32_e32 v13, s5
	s_getpc_b64 s[6:7]
	s_add_u32 s6, s6, _ZN7rocprim17ROCPRIM_400000_NS6detail40segmented_radix_sort_single_block_helperI6__halflLj256ELj8ELb0EE4sortIPKS3_PS3_PKlPlEEbT_T0_T1_T2_jjjjRNS4_12storage_typeE@rel32@lo+4
	s_addc_u32 s7, s7, _ZN7rocprim17ROCPRIM_400000_NS6detail40segmented_radix_sort_single_block_helperI6__halflLj256ELj8ELb0EE4sortIPKS3_PS3_PKlPlEEbT_T0_T1_T2_jjjjRNS4_12storage_typeE@rel32@hi+12
	s_swappc_b64 s[30:31], s[6:7]
	v_mov_b32_e32 v0, v41
.LBB1843_6:
	s_mov_b64 s[4:5], 0
.LBB1843_7:
	s_andn2_b64 vcc, exec, s[4:5]
	s_cbranch_vccnz .LBB1843_678
; %bb.8:
	s_cmp_ge_u32 s69, s70
	s_cbranch_scc1 .LBB1843_678
; %bb.9:
	v_and_b32_e32 v2, 0x3ff, v0
	v_lshlrev_b32_e32 v5, 1, v2
	v_mov_b32_e32 v6, s61
	v_add_co_u32_e32 v27, vcc, s60, v5
	v_addc_co_u32_e32 v28, vcc, 0, v6, vcc
	v_or_b32_e32 v6, 63, v2
	v_lshlrev_b32_e32 v3, 2, v2
	v_cmp_eq_u32_e64 s[6:7], v6, v2
	v_lshrrev_b32_e32 v6, 4, v2
	v_mad_u32_u24 v33, v2, 12, v3
	v_and_b32_e32 v34, 12, v6
	v_lshlrev_b32_e32 v6, 3, v2
	v_bfe_u32 v39, v0, 20, 10
	v_bfe_u32 v40, v0, 10, 10
	v_mul_u32_u24_e32 v0, 5, v2
	v_mov_b32_e32 v42, 0x410
	v_and_b32_e32 v38, 0x600, v6
	v_add_u32_e32 v41, v33, v3
	v_lshl_add_u32 v43, v0, 2, v42
	v_lshlrev_b32_e32 v0, 4, v2
	v_sub_u32_e32 v44, v41, v0
	v_lshlrev_b32_e32 v0, 3, v38
	v_mov_b32_e32 v6, s67
	v_add_co_u32_e32 v45, vcc, s66, v0
	v_addc_co_u32_e32 v46, vcc, 0, v6, vcc
	v_lshlrev_b32_e32 v6, 1, v38
	v_mov_b32_e32 v7, s61
	v_add_co_u32_e32 v47, vcc, s60, v6
	v_addc_co_u32_e32 v48, vcc, 0, v7, vcc
	v_mov_b32_e32 v7, s59
	v_add_co_u32_e32 v52, vcc, s58, v5
	v_addc_co_u32_e32 v53, vcc, 0, v7, vcc
	;; [unrolled: 3-line block ×5, first 2 shown]
	v_sub_u32_e32 v49, v44, v5
	v_add_u32_e32 v50, 0x400, v5
	v_mov_b32_e32 v5, s63
	v_add_co_u32_e32 v60, vcc, s62, v0
	v_addc_co_u32_e32 v61, vcc, 0, v5, vcc
	v_mov_b32_e32 v0, s57
	v_add_co_u32_e32 v62, vcc, s56, v6
	s_movk_i32 s4, 0x100
	v_and_b32_e32 v1, 3, v2
	s_add_u32 s74, s48, 0x60
	s_movk_i32 s14, 0xff
	v_addc_co_u32_e32 v63, vcc, 0, v0, vcc
	v_mbcnt_lo_u32_b32 v0, -1, 0
	s_mov_b32 s73, 0
	v_mov_b32_e32 v4, 0
	v_or_b32_e32 v24, 0x100, v2
	v_or_b32_e32 v25, 0x200, v2
	;; [unrolled: 1-line block ×7, first 2 shown]
	v_cmp_gt_u32_e64 s[4:5], s4, v2
	v_or_b32_e32 v35, 0x4400, v34
	v_cmp_gt_u32_e64 s[8:9], 4, v2
	v_add_u32_e32 v36, 0x4400, v3
	v_cmp_lt_u32_e64 s[10:11], 63, v2
	v_add_u32_e32 v37, 0x43fc, v34
	s_addc_u32 s75, s49, 0
	v_cmp_eq_u32_e64 s[12:13], 0, v2
	v_cmp_ne_u32_e64 s[14:15], s14, v2
	v_mul_u32_u24_e32 v51, 6, v2
	s_movk_i32 s68, 0x7fff
	v_mov_b32_e32 v64, 1
	v_lshlrev_b32_e32 v65, 1, v2
	v_mov_b32_e32 v66, 0xffff8000
	v_lshlrev_b32_e32 v67, 2, v1
	v_mbcnt_hi_u32_b32 v68, -1, v0
	s_mov_b32 s77, s69
	s_branch .LBB1843_12
.LBB1843_10:                            ;   in Loop: Header=BB1843_12 Depth=1
	s_waitcnt lgkmcnt(0)
	s_barrier
.LBB1843_11:                            ;   in Loop: Header=BB1843_12 Depth=1
	s_add_i32 s77, s77, 8
	s_cmp_ge_u32 s77, s70
	s_cbranch_scc1 .LBB1843_678
.LBB1843_12:                            ; =>This Loop Header: Depth=1
                                        ;     Child Loop BB1843_16 Depth 2
                                        ;     Child Loop BB1843_66 Depth 2
	;; [unrolled: 1-line block ×8, first 2 shown]
	s_sub_i32 s16, s70, s77
	s_min_u32 s16, s16, 8
	s_lshl_b32 s16, -1, s16
	s_xor_b64 s[54:55], s[54:55], -1
	s_not_b32 s78, s16
	s_cmp_lg_u32 s77, s69
	s_mov_b64 s[16:17], -1
	ds_write2st64_b32 v3, v4, v4 offset1:4
	ds_write2st64_b32 v3, v4, v4 offset0:8 offset1:12
	s_waitcnt lgkmcnt(0)
	s_cbranch_scc0 .LBB1843_346
; %bb.13:                               ;   in Loop: Header=BB1843_12 Depth=1
	s_and_b64 vcc, exec, s[54:55]
	s_cbranch_vccz .LBB1843_179
; %bb.14:                               ;   in Loop: Header=BB1843_12 Depth=1
	s_mov_b32 s22, s71
	s_mov_b32 s72, s51
	s_barrier
	s_waitcnt lgkmcnt(0)
                                        ; implicit-def: $vgpr12
                                        ; implicit-def: $vgpr5
                                        ; implicit-def: $vgpr6
                                        ; implicit-def: $vgpr7
                                        ; implicit-def: $vgpr8
                                        ; implicit-def: $vgpr9
                                        ; implicit-def: $vgpr10
                                        ; implicit-def: $vgpr11
	s_branch .LBB1843_16
.LBB1843_15:                            ;   in Loop: Header=BB1843_16 Depth=2
	s_or_b64 exec, exec, s[16:17]
	s_addk_i32 s22, 0xf800
	s_cmp_ge_u32 s23, s76
	s_mov_b32 s72, s23
	s_cbranch_scc1 .LBB1843_54
.LBB1843_16:                            ;   Parent Loop BB1843_12 Depth=1
                                        ; =>  This Inner Loop Header: Depth=2
	s_add_i32 s23, s72, 0x800
	s_cmp_gt_u32 s23, s76
	s_cbranch_scc1 .LBB1843_19
; %bb.17:                               ;   in Loop: Header=BB1843_16 Depth=2
	s_lshl_b64 s[16:17], s[72:73], 1
	v_mov_b32_e32 v1, s17
	v_add_co_u32_e32 v0, vcc, s16, v27
	v_addc_co_u32_e32 v1, vcc, v28, v1, vcc
	global_load_ushort v14, v[0:1], off
	global_load_ushort v15, v[0:1], off offset:512
	global_load_ushort v16, v[0:1], off offset:1024
	;; [unrolled: 1-line block ×6, first 2 shown]
	v_add_co_u32_e32 v0, vcc, 0xe00, v0
	v_addc_co_u32_e32 v1, vcc, 0, v1, vcc
	s_mov_b64 s[16:17], -1
	s_movk_i32 s24, 0x800
	s_cbranch_execz .LBB1843_20
; %bb.18:                               ;   in Loop: Header=BB1843_16 Depth=2
                                        ; implicit-def: $vgpr11
                                        ; implicit-def: $vgpr10
                                        ; implicit-def: $vgpr9
                                        ; implicit-def: $vgpr8
                                        ; implicit-def: $vgpr7
                                        ; implicit-def: $vgpr6
                                        ; implicit-def: $vgpr5
                                        ; implicit-def: $vgpr12
	v_mov_b32_e32 v13, s22
	s_and_saveexec_b64 s[18:19], s[16:17]
	s_cbranch_execnz .LBB1843_31
	s_branch .LBB1843_32
.LBB1843_19:                            ;   in Loop: Header=BB1843_16 Depth=2
	s_mov_b64 s[16:17], 0
                                        ; implicit-def: $sgpr24
                                        ; implicit-def: $vgpr14
                                        ; implicit-def: $vgpr15
                                        ; implicit-def: $vgpr16
                                        ; implicit-def: $vgpr17
                                        ; implicit-def: $vgpr18
                                        ; implicit-def: $vgpr19
                                        ; implicit-def: $vgpr20
                                        ; implicit-def: $vgpr0_vgpr1
.LBB1843_20:                            ;   in Loop: Header=BB1843_16 Depth=2
	s_lshl_b64 s[18:19], s[72:73], 1
	s_add_u32 s18, s60, s18
	s_addc_u32 s19, s61, s19
	v_cmp_gt_u32_e32 vcc, s22, v2
	s_and_saveexec_b64 s[20:21], vcc
	s_cbranch_execz .LBB1843_48
; %bb.21:                               ;   in Loop: Header=BB1843_16 Depth=2
	global_load_ushort v11, v65, s[18:19]
	s_or_b64 exec, exec, s[20:21]
	v_cmp_gt_u32_e32 vcc, s22, v24
	s_and_saveexec_b64 s[20:21], vcc
	s_cbranch_execnz .LBB1843_49
.LBB1843_22:                            ;   in Loop: Header=BB1843_16 Depth=2
	s_or_b64 exec, exec, s[20:21]
	v_cmp_gt_u32_e32 vcc, s22, v25
	s_and_saveexec_b64 s[20:21], vcc
	s_cbranch_execz .LBB1843_50
.LBB1843_23:                            ;   in Loop: Header=BB1843_16 Depth=2
	global_load_ushort v9, v65, s[18:19] offset:1024
	s_or_b64 exec, exec, s[20:21]
	v_cmp_gt_u32_e32 vcc, s22, v26
	s_and_saveexec_b64 s[20:21], vcc
	s_cbranch_execnz .LBB1843_51
.LBB1843_24:                            ;   in Loop: Header=BB1843_16 Depth=2
	s_or_b64 exec, exec, s[20:21]
	v_cmp_gt_u32_e32 vcc, s22, v29
	s_and_saveexec_b64 s[20:21], vcc
	s_cbranch_execz .LBB1843_52
.LBB1843_25:                            ;   in Loop: Header=BB1843_16 Depth=2
	global_load_ushort v7, v65, s[18:19] offset:2048
	s_or_b64 exec, exec, s[20:21]
	v_cmp_gt_u32_e32 vcc, s22, v30
	s_and_saveexec_b64 s[20:21], vcc
	s_cbranch_execnz .LBB1843_53
.LBB1843_26:                            ;   in Loop: Header=BB1843_16 Depth=2
	s_or_b64 exec, exec, s[20:21]
	v_cmp_gt_u32_e32 vcc, s22, v31
	s_and_saveexec_b64 s[20:21], vcc
	s_cbranch_execz .LBB1843_28
.LBB1843_27:                            ;   in Loop: Header=BB1843_16 Depth=2
	global_load_ushort v5, v65, s[18:19] offset:3072
.LBB1843_28:                            ;   in Loop: Header=BB1843_16 Depth=2
	s_or_b64 exec, exec, s[20:21]
	v_cmp_gt_u32_e32 vcc, s22, v32
                                        ; implicit-def: $sgpr24
                                        ; implicit-def: $vgpr0_vgpr1
	s_and_saveexec_b64 s[20:21], vcc
	s_cbranch_execz .LBB1843_30
; %bb.29:                               ;   in Loop: Header=BB1843_16 Depth=2
	v_mov_b32_e32 v0, s19
	v_add_co_u32_e32 v1, vcc, s18, v65
	s_waitcnt vmcnt(0)
	v_addc_co_u32_e32 v12, vcc, 0, v0, vcc
	v_add_co_u32_e32 v0, vcc, 0xe00, v1
	s_sub_i32 s24, s76, s72
	v_addc_co_u32_e32 v1, vcc, 0, v12, vcc
	s_or_b64 s[16:17], s[16:17], exec
                                        ; implicit-def: $vgpr12
.LBB1843_30:                            ;   in Loop: Header=BB1843_16 Depth=2
	s_or_b64 exec, exec, s[20:21]
	s_waitcnt vmcnt(0)
	v_mov_b32_e32 v14, v11
	v_mov_b32_e32 v15, v10
	;; [unrolled: 1-line block ×8, first 2 shown]
	s_and_saveexec_b64 s[18:19], s[16:17]
	s_cbranch_execz .LBB1843_32
.LBB1843_31:                            ;   in Loop: Header=BB1843_16 Depth=2
	global_load_ushort v12, v[0:1], off
	v_mov_b32_e32 v13, s24
	s_waitcnt vmcnt(1)
	v_mov_b32_e32 v5, v20
	v_mov_b32_e32 v6, v19
	;; [unrolled: 1-line block ×7, first 2 shown]
.LBB1843_32:                            ;   in Loop: Header=BB1843_16 Depth=2
	s_or_b64 exec, exec, s[18:19]
	v_cmp_lt_u32_e32 vcc, v2, v13
	s_and_saveexec_b64 s[16:17], vcc
	s_cbranch_execz .LBB1843_40
; %bb.33:                               ;   in Loop: Header=BB1843_16 Depth=2
	v_cmp_lt_i16_e32 vcc, -1, v11
	v_cndmask_b32_e32 v0, -1, v66, vcc
	v_xor_b32_e32 v0, v0, v11
	v_cmp_ne_u16_e32 vcc, s68, v0
	v_cndmask_b32_e32 v0, v66, v0, vcc
	v_lshrrev_b32_sdwa v0, s77, v0 dst_sel:DWORD dst_unused:UNUSED_PAD src0_sel:DWORD src1_sel:WORD_0
	v_and_b32_e32 v0, s78, v0
	v_lshl_or_b32 v0, v0, 4, v67
	ds_add_u32 v0, v64
	s_or_b64 exec, exec, s[16:17]
	v_cmp_lt_u32_e32 vcc, v24, v13
	s_and_saveexec_b64 s[16:17], vcc
	s_cbranch_execnz .LBB1843_41
.LBB1843_34:                            ;   in Loop: Header=BB1843_16 Depth=2
	s_or_b64 exec, exec, s[16:17]
	v_cmp_lt_u32_e32 vcc, v25, v13
	s_and_saveexec_b64 s[16:17], vcc
	s_cbranch_execz .LBB1843_42
.LBB1843_35:                            ;   in Loop: Header=BB1843_16 Depth=2
	v_cmp_lt_i16_e32 vcc, -1, v9
	v_cndmask_b32_e32 v0, -1, v66, vcc
	v_xor_b32_e32 v0, v0, v9
	v_cmp_ne_u16_e32 vcc, s68, v0
	v_cndmask_b32_e32 v0, v66, v0, vcc
	v_lshrrev_b32_sdwa v0, s77, v0 dst_sel:DWORD dst_unused:UNUSED_PAD src0_sel:DWORD src1_sel:WORD_0
	v_and_b32_e32 v0, s78, v0
	v_lshl_or_b32 v0, v0, 4, v67
	ds_add_u32 v0, v64
	s_or_b64 exec, exec, s[16:17]
	v_cmp_lt_u32_e32 vcc, v26, v13
	s_and_saveexec_b64 s[16:17], vcc
	s_cbranch_execnz .LBB1843_43
.LBB1843_36:                            ;   in Loop: Header=BB1843_16 Depth=2
	s_or_b64 exec, exec, s[16:17]
	v_cmp_lt_u32_e32 vcc, v29, v13
	s_and_saveexec_b64 s[16:17], vcc
	s_cbranch_execz .LBB1843_44
.LBB1843_37:                            ;   in Loop: Header=BB1843_16 Depth=2
	v_cmp_lt_i16_e32 vcc, -1, v7
	v_cndmask_b32_e32 v0, -1, v66, vcc
	v_xor_b32_e32 v0, v0, v7
	v_cmp_ne_u16_e32 vcc, s68, v0
	v_cndmask_b32_e32 v0, v66, v0, vcc
	v_lshrrev_b32_sdwa v0, s77, v0 dst_sel:DWORD dst_unused:UNUSED_PAD src0_sel:DWORD src1_sel:WORD_0
	v_and_b32_e32 v0, s78, v0
	v_lshl_or_b32 v0, v0, 4, v67
	ds_add_u32 v0, v64
	s_or_b64 exec, exec, s[16:17]
	v_cmp_lt_u32_e32 vcc, v30, v13
	s_and_saveexec_b64 s[16:17], vcc
	s_cbranch_execnz .LBB1843_45
.LBB1843_38:                            ;   in Loop: Header=BB1843_16 Depth=2
	s_or_b64 exec, exec, s[16:17]
	v_cmp_lt_u32_e32 vcc, v31, v13
	s_and_saveexec_b64 s[16:17], vcc
	s_cbranch_execz .LBB1843_46
.LBB1843_39:                            ;   in Loop: Header=BB1843_16 Depth=2
	v_cmp_lt_i16_e32 vcc, -1, v5
	v_cndmask_b32_e32 v0, -1, v66, vcc
	v_xor_b32_e32 v0, v0, v5
	v_cmp_ne_u16_e32 vcc, s68, v0
	v_cndmask_b32_e32 v0, v66, v0, vcc
	v_lshrrev_b32_sdwa v0, s77, v0 dst_sel:DWORD dst_unused:UNUSED_PAD src0_sel:DWORD src1_sel:WORD_0
	v_and_b32_e32 v0, s78, v0
	v_lshl_or_b32 v0, v0, 4, v67
	ds_add_u32 v0, v64
	s_or_b64 exec, exec, s[16:17]
	v_cmp_lt_u32_e32 vcc, v32, v13
	s_and_saveexec_b64 s[16:17], vcc
	s_cbranch_execz .LBB1843_15
	s_branch .LBB1843_47
.LBB1843_40:                            ;   in Loop: Header=BB1843_16 Depth=2
	s_or_b64 exec, exec, s[16:17]
	v_cmp_lt_u32_e32 vcc, v24, v13
	s_and_saveexec_b64 s[16:17], vcc
	s_cbranch_execz .LBB1843_34
.LBB1843_41:                            ;   in Loop: Header=BB1843_16 Depth=2
	v_cmp_lt_i16_e32 vcc, -1, v10
	v_cndmask_b32_e32 v0, -1, v66, vcc
	v_xor_b32_e32 v0, v0, v10
	v_cmp_ne_u16_e32 vcc, s68, v0
	v_cndmask_b32_e32 v0, v66, v0, vcc
	v_lshrrev_b32_sdwa v0, s77, v0 dst_sel:DWORD dst_unused:UNUSED_PAD src0_sel:DWORD src1_sel:WORD_0
	v_and_b32_e32 v0, s78, v0
	v_lshl_or_b32 v0, v0, 4, v67
	ds_add_u32 v0, v64
	s_or_b64 exec, exec, s[16:17]
	v_cmp_lt_u32_e32 vcc, v25, v13
	s_and_saveexec_b64 s[16:17], vcc
	s_cbranch_execnz .LBB1843_35
.LBB1843_42:                            ;   in Loop: Header=BB1843_16 Depth=2
	s_or_b64 exec, exec, s[16:17]
	v_cmp_lt_u32_e32 vcc, v26, v13
	s_and_saveexec_b64 s[16:17], vcc
	s_cbranch_execz .LBB1843_36
.LBB1843_43:                            ;   in Loop: Header=BB1843_16 Depth=2
	v_cmp_lt_i16_e32 vcc, -1, v8
	v_cndmask_b32_e32 v0, -1, v66, vcc
	v_xor_b32_e32 v0, v0, v8
	v_cmp_ne_u16_e32 vcc, s68, v0
	v_cndmask_b32_e32 v0, v66, v0, vcc
	v_lshrrev_b32_sdwa v0, s77, v0 dst_sel:DWORD dst_unused:UNUSED_PAD src0_sel:DWORD src1_sel:WORD_0
	v_and_b32_e32 v0, s78, v0
	v_lshl_or_b32 v0, v0, 4, v67
	ds_add_u32 v0, v64
	s_or_b64 exec, exec, s[16:17]
	v_cmp_lt_u32_e32 vcc, v29, v13
	s_and_saveexec_b64 s[16:17], vcc
	s_cbranch_execnz .LBB1843_37
.LBB1843_44:                            ;   in Loop: Header=BB1843_16 Depth=2
	s_or_b64 exec, exec, s[16:17]
	v_cmp_lt_u32_e32 vcc, v30, v13
	s_and_saveexec_b64 s[16:17], vcc
	s_cbranch_execz .LBB1843_38
.LBB1843_45:                            ;   in Loop: Header=BB1843_16 Depth=2
	v_cmp_lt_i16_e32 vcc, -1, v6
	v_cndmask_b32_e32 v0, -1, v66, vcc
	v_xor_b32_e32 v0, v0, v6
	v_cmp_ne_u16_e32 vcc, s68, v0
	v_cndmask_b32_e32 v0, v66, v0, vcc
	v_lshrrev_b32_sdwa v0, s77, v0 dst_sel:DWORD dst_unused:UNUSED_PAD src0_sel:DWORD src1_sel:WORD_0
	v_and_b32_e32 v0, s78, v0
	v_lshl_or_b32 v0, v0, 4, v67
	ds_add_u32 v0, v64
	s_or_b64 exec, exec, s[16:17]
	v_cmp_lt_u32_e32 vcc, v31, v13
	s_and_saveexec_b64 s[16:17], vcc
	s_cbranch_execnz .LBB1843_39
.LBB1843_46:                            ;   in Loop: Header=BB1843_16 Depth=2
	s_or_b64 exec, exec, s[16:17]
	v_cmp_lt_u32_e32 vcc, v32, v13
	s_and_saveexec_b64 s[16:17], vcc
	s_cbranch_execz .LBB1843_15
.LBB1843_47:                            ;   in Loop: Header=BB1843_16 Depth=2
	s_waitcnt vmcnt(0)
	v_cmp_lt_i16_e32 vcc, -1, v12
	v_cndmask_b32_e32 v0, -1, v66, vcc
	v_xor_b32_e32 v0, v0, v12
	v_cmp_ne_u16_e32 vcc, s68, v0
	v_cndmask_b32_e32 v0, v66, v0, vcc
	v_lshrrev_b32_sdwa v0, s77, v0 dst_sel:DWORD dst_unused:UNUSED_PAD src0_sel:DWORD src1_sel:WORD_0
	v_and_b32_e32 v0, s78, v0
	v_lshl_or_b32 v0, v0, 4, v67
	ds_add_u32 v0, v64
	s_branch .LBB1843_15
.LBB1843_48:                            ;   in Loop: Header=BB1843_16 Depth=2
	s_or_b64 exec, exec, s[20:21]
	v_cmp_gt_u32_e32 vcc, s22, v24
	s_and_saveexec_b64 s[20:21], vcc
	s_cbranch_execz .LBB1843_22
.LBB1843_49:                            ;   in Loop: Header=BB1843_16 Depth=2
	global_load_ushort v10, v65, s[18:19] offset:512
	s_or_b64 exec, exec, s[20:21]
	v_cmp_gt_u32_e32 vcc, s22, v25
	s_and_saveexec_b64 s[20:21], vcc
	s_cbranch_execnz .LBB1843_23
.LBB1843_50:                            ;   in Loop: Header=BB1843_16 Depth=2
	s_or_b64 exec, exec, s[20:21]
	v_cmp_gt_u32_e32 vcc, s22, v26
	s_and_saveexec_b64 s[20:21], vcc
	s_cbranch_execz .LBB1843_24
.LBB1843_51:                            ;   in Loop: Header=BB1843_16 Depth=2
	global_load_ushort v8, v65, s[18:19] offset:1536
	s_or_b64 exec, exec, s[20:21]
	v_cmp_gt_u32_e32 vcc, s22, v29
	s_and_saveexec_b64 s[20:21], vcc
	s_cbranch_execnz .LBB1843_25
.LBB1843_52:                            ;   in Loop: Header=BB1843_16 Depth=2
	s_or_b64 exec, exec, s[20:21]
	v_cmp_gt_u32_e32 vcc, s22, v30
	s_and_saveexec_b64 s[20:21], vcc
	s_cbranch_execz .LBB1843_26
.LBB1843_53:                            ;   in Loop: Header=BB1843_16 Depth=2
	global_load_ushort v6, v65, s[18:19] offset:2560
	s_or_b64 exec, exec, s[20:21]
	v_cmp_gt_u32_e32 vcc, s22, v31
	s_and_saveexec_b64 s[20:21], vcc
	s_cbranch_execz .LBB1843_28
	s_branch .LBB1843_27
.LBB1843_54:                            ;   in Loop: Header=BB1843_12 Depth=1
	v_mov_b32_e32 v0, 0
	s_waitcnt lgkmcnt(0)
	s_barrier
	s_and_saveexec_b64 s[16:17], s[4:5]
	s_cbranch_execz .LBB1843_56
; %bb.55:                               ;   in Loop: Header=BB1843_12 Depth=1
	ds_read2_b64 v[6:9], v33 offset1:1
	s_waitcnt lgkmcnt(0)
	v_add_u32_e32 v0, v7, v6
	v_add3_u32 v0, v0, v8, v9
.LBB1843_56:                            ;   in Loop: Header=BB1843_12 Depth=1
	s_or_b64 exec, exec, s[16:17]
	v_and_b32_e32 v1, 15, v68
	v_mov_b32_dpp v5, v0 row_shr:1 row_mask:0xf bank_mask:0xf
	v_cmp_eq_u32_e64 s[16:17], 0, v1
	v_cndmask_b32_e64 v5, v5, 0, s[16:17]
	v_add_u32_e32 v0, v5, v0
	v_cmp_lt_u32_e64 s[18:19], 1, v1
	v_cmp_lt_u32_e64 s[20:21], 3, v1
	v_mov_b32_dpp v5, v0 row_shr:2 row_mask:0xf bank_mask:0xf
	v_cndmask_b32_e64 v5, 0, v5, s[18:19]
	v_add_u32_e32 v0, v0, v5
	v_cmp_lt_u32_e64 s[22:23], 7, v1
	v_cmp_lt_u32_e64 s[26:27], 31, v68
	v_mov_b32_dpp v5, v0 row_shr:4 row_mask:0xf bank_mask:0xf
	v_cndmask_b32_e64 v5, 0, v5, s[20:21]
	v_add_u32_e32 v0, v0, v5
	v_and_b32_e32 v6, 16, v68
	v_cmp_eq_u32_e64 s[24:25], 0, v6
	v_mov_b32_dpp v5, v0 row_shr:8 row_mask:0xf bank_mask:0xf
	v_cndmask_b32_e64 v1, 0, v5, s[22:23]
	v_add_u32_e32 v0, v0, v1
	v_bfe_i32 v5, v68, 4, 1
	s_nop 0
	v_mov_b32_dpp v1, v0 row_bcast:15 row_mask:0xf bank_mask:0xf
	v_and_b32_e32 v1, v5, v1
	v_add_u32_e32 v0, v0, v1
	s_nop 1
	v_mov_b32_dpp v1, v0 row_bcast:31 row_mask:0xf bank_mask:0xf
	v_cndmask_b32_e64 v1, 0, v1, s[26:27]
	v_add_u32_e32 v1, v0, v1
	s_and_saveexec_b64 s[28:29], s[6:7]
	s_cbranch_execz .LBB1843_58
; %bb.57:                               ;   in Loop: Header=BB1843_12 Depth=1
	ds_write_b32 v35, v1
.LBB1843_58:                            ;   in Loop: Header=BB1843_12 Depth=1
	s_or_b64 exec, exec, s[28:29]
	v_and_b32_e32 v0, 3, v68
	s_waitcnt lgkmcnt(0)
	s_barrier
	s_and_saveexec_b64 s[28:29], s[8:9]
	s_cbranch_execz .LBB1843_60
; %bb.59:                               ;   in Loop: Header=BB1843_12 Depth=1
	ds_read_b32 v5, v36
	v_cmp_ne_u32_e32 vcc, 0, v0
	s_waitcnt lgkmcnt(0)
	v_mov_b32_dpp v6, v5 row_shr:1 row_mask:0xf bank_mask:0xf
	v_cndmask_b32_e32 v6, 0, v6, vcc
	v_add_u32_e32 v5, v6, v5
	v_cmp_lt_u32_e32 vcc, 1, v0
	s_nop 0
	v_mov_b32_dpp v6, v5 row_shr:2 row_mask:0xf bank_mask:0xf
	v_cndmask_b32_e32 v6, 0, v6, vcc
	v_add_u32_e32 v5, v5, v6
	ds_write_b32 v36, v5
.LBB1843_60:                            ;   in Loop: Header=BB1843_12 Depth=1
	s_or_b64 exec, exec, s[28:29]
	v_mov_b32_e32 v5, 0
	s_waitcnt lgkmcnt(0)
	s_barrier
	s_and_saveexec_b64 s[28:29], s[10:11]
	s_cbranch_execz .LBB1843_62
; %bb.61:                               ;   in Loop: Header=BB1843_12 Depth=1
	ds_read_b32 v5, v37
.LBB1843_62:                            ;   in Loop: Header=BB1843_12 Depth=1
	s_or_b64 exec, exec, s[28:29]
	v_add_u32_e32 v6, -1, v68
	v_and_b32_e32 v7, 64, v68
	v_cmp_lt_i32_e32 vcc, v6, v7
	v_cndmask_b32_e32 v6, v6, v68, vcc
	s_waitcnt lgkmcnt(0)
	v_add_u32_e32 v1, v5, v1
	v_lshlrev_b32_e32 v69, 2, v6
	ds_bpermute_b32 v1, v69, v1
	v_cmp_eq_u32_e64 s[28:29], 0, v68
	s_waitcnt lgkmcnt(0)
	s_barrier
	s_and_saveexec_b64 s[30:31], s[4:5]
	s_cbranch_execz .LBB1843_64
; %bb.63:                               ;   in Loop: Header=BB1843_12 Depth=1
	v_cndmask_b32_e64 v1, v1, v5, s[28:29]
	v_add_u32_e32 v1, s51, v1
	ds_write_b32 v3, v1
.LBB1843_64:                            ;   in Loop: Header=BB1843_12 Depth=1
	s_or_b64 exec, exec, s[30:31]
	s_load_dword s30, s[74:75], 0x4
	s_load_dword s36, s[74:75], 0xc
	s_waitcnt vmcnt(0)
	v_and_b32_e32 v20, 63, v68
	v_lshlrev_b32_e32 v21, 3, v20
	v_add_co_u32_e32 v77, vcc, v45, v21
	s_waitcnt lgkmcnt(0)
	s_cmp_lt_u32 s33, s30
	s_cselect_b32 s30, 14, 20
	s_add_u32 s30, s74, s30
	s_addc_u32 s31, s75, 0
	global_load_ushort v5, v4, s[30:31]
	v_or_b32_e32 v74, v20, v38
	v_lshlrev_b32_e32 v20, 1, v20
	v_addc_co_u32_e32 v79, vcc, 0, v46, vcc
	v_add_co_u32_e32 v88, vcc, v47, v20
	v_addc_co_u32_e32 v89, vcc, 0, v48, vcc
	s_and_b32 s36, s36, 0xffff
	v_add_co_u32_e32 v90, vcc, 0x380, v88
	v_cmp_eq_u32_e64 s[30:31], 0, v0
	v_cmp_lt_u32_e64 s[34:35], 1, v0
	s_mov_b32 s79, s71
	v_or_b32_e32 v81, 64, v74
	v_or_b32_e32 v82, 0x80, v74
	;; [unrolled: 1-line block ×7, first 2 shown]
	v_addc_co_u32_e32 v91, vcc, 0, v89, vcc
	s_mov_b32 s72, s51
                                        ; implicit-def: $vgpr0_vgpr1
                                        ; implicit-def: $vgpr6_vgpr7
                                        ; implicit-def: $vgpr8_vgpr9
                                        ; implicit-def: $vgpr10_vgpr11
                                        ; implicit-def: $vgpr12_vgpr13
                                        ; implicit-def: $vgpr14_vgpr15
                                        ; implicit-def: $vgpr16_vgpr17
                                        ; implicit-def: $vgpr18_vgpr19
                                        ; implicit-def: $vgpr70
                                        ; implicit-def: $vgpr71
                                        ; implicit-def: $vgpr72
                                        ; implicit-def: $vgpr73
                                        ; implicit-def: $vgpr75
                                        ; implicit-def: $vgpr76
                                        ; implicit-def: $vgpr78
                                        ; implicit-def: $vgpr80
	s_waitcnt vmcnt(0)
	v_mad_u32_u24 v5, v39, v5, v40
	v_mad_u64_u32 v[20:21], s[36:37], v5, s36, v[2:3]
	v_lshrrev_b32_e32 v92, 6, v20
	s_branch .LBB1843_66
.LBB1843_65:                            ;   in Loop: Header=BB1843_66 Depth=2
	s_or_b64 exec, exec, s[36:37]
	s_addk_i32 s79, 0xf800
	s_cmp_lt_u32 s80, s76
	s_mov_b32 s72, s80
	s_cbranch_scc0 .LBB1843_178
.LBB1843_66:                            ;   Parent Loop BB1843_12 Depth=1
                                        ; =>  This Inner Loop Header: Depth=2
	s_add_i32 s80, s72, 0x800
	s_cmp_gt_u32 s80, s76
	s_cbranch_scc1 .LBB1843_69
; %bb.67:                               ;   in Loop: Header=BB1843_66 Depth=2
	s_lshl_b64 s[36:37], s[72:73], 1
	v_mov_b32_e32 v5, s37
	v_add_co_u32_e32 v20, vcc, s36, v88
	v_addc_co_u32_e32 v21, vcc, v89, v5, vcc
	global_load_ushort v5, v[20:21], off
	global_load_ushort v97, v[20:21], off offset:128
	global_load_ushort v101, v[20:21], off offset:256
	;; [unrolled: 1-line block ×6, first 2 shown]
	s_mov_b64 s[36:37], -1
	s_movk_i32 s40, 0x800
	s_cbranch_execz .LBB1843_70
; %bb.68:                               ;   in Loop: Header=BB1843_66 Depth=2
                                        ; implicit-def: $sgpr38
	v_mov_b32_e32 v23, s38
	v_mov_b32_e32 v93, s79
	s_and_saveexec_b64 s[38:39], s[36:37]
	s_cbranch_execnz .LBB1843_85
	s_branch .LBB1843_86
.LBB1843_69:                            ;   in Loop: Header=BB1843_66 Depth=2
	s_mov_b64 s[36:37], 0
                                        ; implicit-def: $sgpr40
                                        ; implicit-def: $vgpr5
                                        ; implicit-def: $vgpr97
                                        ; implicit-def: $vgpr101
                                        ; implicit-def: $vgpr106
                                        ; implicit-def: $vgpr109
                                        ; implicit-def: $vgpr104
                                        ; implicit-def: $vgpr22
.LBB1843_70:                            ;   in Loop: Header=BB1843_66 Depth=2
	s_lshl_b64 s[36:37], s[72:73], 1
	s_waitcnt vmcnt(6)
	v_mov_b32_e32 v5, s37
	v_add_co_u32_e32 v20, vcc, s36, v88
	v_addc_co_u32_e32 v21, vcc, v89, v5, vcc
	v_cmp_gt_u32_e32 vcc, s79, v74
	s_waitcnt vmcnt(5)
	v_mov_b32_e32 v97, 0x7fff
	v_mov_b32_e32 v5, 0x7fff
	s_and_saveexec_b64 s[36:37], vcc
	s_cbranch_execz .LBB1843_72
; %bb.71:                               ;   in Loop: Header=BB1843_66 Depth=2
	global_load_ushort v5, v[20:21], off
.LBB1843_72:                            ;   in Loop: Header=BB1843_66 Depth=2
	s_or_b64 exec, exec, s[36:37]
	v_cmp_gt_u32_e32 vcc, s79, v81
	s_and_saveexec_b64 s[36:37], vcc
	s_cbranch_execz .LBB1843_74
; %bb.73:                               ;   in Loop: Header=BB1843_66 Depth=2
	global_load_ushort v97, v[20:21], off offset:128
.LBB1843_74:                            ;   in Loop: Header=BB1843_66 Depth=2
	s_or_b64 exec, exec, s[36:37]
	v_cmp_gt_u32_e32 vcc, s79, v82
	s_waitcnt vmcnt(3)
	v_mov_b32_e32 v106, 0x7fff
	v_mov_b32_e32 v101, 0x7fff
	s_and_saveexec_b64 s[36:37], vcc
	s_cbranch_execz .LBB1843_76
; %bb.75:                               ;   in Loop: Header=BB1843_66 Depth=2
	global_load_ushort v101, v[20:21], off offset:256
.LBB1843_76:                            ;   in Loop: Header=BB1843_66 Depth=2
	s_or_b64 exec, exec, s[36:37]
	v_cmp_gt_u32_e32 vcc, s79, v83
	s_and_saveexec_b64 s[36:37], vcc
	s_cbranch_execz .LBB1843_78
; %bb.77:                               ;   in Loop: Header=BB1843_66 Depth=2
	global_load_ushort v106, v[20:21], off offset:384
.LBB1843_78:                            ;   in Loop: Header=BB1843_66 Depth=2
	s_or_b64 exec, exec, s[36:37]
	v_cmp_gt_u32_e32 vcc, s79, v84
	s_waitcnt vmcnt(1)
	v_mov_b32_e32 v104, 0x7fff
	v_mov_b32_e32 v109, 0x7fff
	s_and_saveexec_b64 s[36:37], vcc
	s_cbranch_execz .LBB1843_80
; %bb.79:                               ;   in Loop: Header=BB1843_66 Depth=2
	global_load_ushort v109, v[20:21], off offset:512
.LBB1843_80:                            ;   in Loop: Header=BB1843_66 Depth=2
	s_or_b64 exec, exec, s[36:37]
	v_cmp_gt_u32_e32 vcc, s79, v85
	s_and_saveexec_b64 s[36:37], vcc
	s_cbranch_execz .LBB1843_82
; %bb.81:                               ;   in Loop: Header=BB1843_66 Depth=2
	global_load_ushort v104, v[20:21], off offset:640
.LBB1843_82:                            ;   in Loop: Header=BB1843_66 Depth=2
	s_or_b64 exec, exec, s[36:37]
	v_cmp_gt_u32_e32 vcc, s79, v86
	s_waitcnt vmcnt(0)
	v_mov_b32_e32 v22, 0x7fff
	s_and_saveexec_b64 s[36:37], vcc
	s_cbranch_execz .LBB1843_84
; %bb.83:                               ;   in Loop: Header=BB1843_66 Depth=2
	global_load_ushort v22, v[20:21], off offset:768
.LBB1843_84:                            ;   in Loop: Header=BB1843_66 Depth=2
	s_or_b64 exec, exec, s[36:37]
	s_sub_i32 s40, s76, s72
	v_cmp_gt_u32_e64 s[36:37], s79, v87
	s_movk_i32 s38, 0x7fff
	v_mov_b32_e32 v23, s38
	v_mov_b32_e32 v93, s79
	s_and_saveexec_b64 s[38:39], s[36:37]
	s_cbranch_execz .LBB1843_86
.LBB1843_85:                            ;   in Loop: Header=BB1843_66 Depth=2
	s_lshl_b64 s[36:37], s[72:73], 1
	v_mov_b32_e32 v21, s37
	v_add_co_u32_e32 v20, vcc, s36, v90
	v_addc_co_u32_e32 v21, vcc, v91, v21, vcc
	global_load_ushort v23, v[20:21], off
	v_mov_b32_e32 v93, s40
.LBB1843_86:                            ;   in Loop: Header=BB1843_66 Depth=2
	s_or_b64 exec, exec, s[38:39]
	s_waitcnt vmcnt(6)
	v_cmp_lt_i16_e32 vcc, -1, v5
	v_cndmask_b32_e32 v20, -1, v66, vcc
	v_xor_b32_e32 v94, v20, v5
	v_add_u32_e32 v5, 0x410, v41
	v_cmp_ne_u16_e32 vcc, s68, v94
	ds_write2_b32 v5, v4, v4 offset1:1
	ds_write2_b32 v43, v4, v4 offset0:2 offset1:3
	ds_write_b32 v43, v4 offset:16
	v_cndmask_b32_e32 v5, v66, v94, vcc
	v_lshrrev_b32_sdwa v5, s77, v5 dst_sel:DWORD dst_unused:UNUSED_PAD src0_sel:DWORD src1_sel:WORD_0
	v_and_b32_e32 v20, s78, v5
	v_mad_u32_u24 v5, v20, 5, v92
	v_lshl_add_u32 v95, v5, 2, v42
	v_and_b32_e32 v5, 1, v20
	v_add_co_u32_e32 v21, vcc, -1, v5
	v_addc_co_u32_e64 v96, s[36:37], 0, -1, vcc
	v_cmp_ne_u32_e32 vcc, 0, v5
	v_xor_b32_e32 v5, vcc_hi, v96
	v_and_b32_e32 v96, exec_hi, v5
	v_lshlrev_b32_e32 v5, 30, v20
	v_xor_b32_e32 v21, vcc_lo, v21
	v_cmp_gt_i64_e32 vcc, 0, v[4:5]
	v_not_b32_e32 v5, v5
	v_ashrrev_i32_e32 v5, 31, v5
	v_and_b32_e32 v21, exec_lo, v21
	v_xor_b32_e32 v98, vcc_hi, v5
	v_xor_b32_e32 v5, vcc_lo, v5
	v_and_b32_e32 v21, v21, v5
	v_lshlrev_b32_e32 v5, 29, v20
	v_cmp_gt_i64_e32 vcc, 0, v[4:5]
	v_not_b32_e32 v5, v5
	v_ashrrev_i32_e32 v5, 31, v5
	v_and_b32_e32 v96, v96, v98
	v_xor_b32_e32 v98, vcc_hi, v5
	v_xor_b32_e32 v5, vcc_lo, v5
	v_and_b32_e32 v21, v21, v5
	v_lshlrev_b32_e32 v5, 28, v20
	v_cmp_gt_i64_e32 vcc, 0, v[4:5]
	v_not_b32_e32 v5, v5
	v_ashrrev_i32_e32 v5, 31, v5
	v_and_b32_e32 v96, v96, v98
	;; [unrolled: 8-line block ×5, first 2 shown]
	v_xor_b32_e32 v98, vcc_hi, v5
	v_xor_b32_e32 v5, vcc_lo, v5
	v_and_b32_e32 v96, v96, v98
	v_and_b32_e32 v98, v21, v5
	v_lshlrev_b32_e32 v5, 24, v20
	v_cmp_gt_i64_e32 vcc, 0, v[4:5]
	v_not_b32_e32 v5, v5
	v_ashrrev_i32_e32 v5, 31, v5
	v_xor_b32_e32 v20, vcc_hi, v5
	v_xor_b32_e32 v5, vcc_lo, v5
	v_and_b32_e32 v21, v96, v20
	v_and_b32_e32 v20, v98, v5
	v_mbcnt_lo_u32_b32 v5, v20, 0
	v_mbcnt_hi_u32_b32 v96, v21, v5
	v_cmp_eq_u32_e32 vcc, 0, v96
	v_cmp_ne_u64_e64 s[36:37], 0, v[20:21]
	s_and_b64 s[38:39], s[36:37], vcc
	s_waitcnt lgkmcnt(0)
	s_barrier
	s_waitcnt lgkmcnt(0)
	; wave barrier
	s_and_saveexec_b64 s[36:37], s[38:39]
	s_cbranch_execz .LBB1843_88
; %bb.87:                               ;   in Loop: Header=BB1843_66 Depth=2
	v_bcnt_u32_b32 v5, v20, 0
	v_bcnt_u32_b32 v5, v21, v5
	ds_write_b32 v95, v5
.LBB1843_88:                            ;   in Loop: Header=BB1843_66 Depth=2
	s_or_b64 exec, exec, s[36:37]
	s_waitcnt vmcnt(5)
	v_cmp_lt_i16_e32 vcc, -1, v97
	v_cndmask_b32_e32 v5, -1, v66, vcc
	v_xor_b32_e32 v97, v5, v97
	v_cmp_ne_u16_e32 vcc, s68, v97
	v_cndmask_b32_e32 v5, v66, v97, vcc
	v_lshrrev_b32_sdwa v5, s77, v5 dst_sel:DWORD dst_unused:UNUSED_PAD src0_sel:DWORD src1_sel:WORD_0
	v_and_b32_e32 v20, s78, v5
	v_mul_u32_u24_e32 v5, 5, v20
	v_add_lshl_u32 v5, v5, v92, 2
	; wave barrier
	v_add_u32_e32 v99, 0x410, v5
	ds_read_b32 v98, v5 offset:1040
	v_and_b32_e32 v5, 1, v20
	v_add_co_u32_e32 v21, vcc, -1, v5
	v_addc_co_u32_e64 v100, s[36:37], 0, -1, vcc
	v_cmp_ne_u32_e32 vcc, 0, v5
	v_xor_b32_e32 v5, vcc_hi, v100
	v_and_b32_e32 v100, exec_hi, v5
	v_lshlrev_b32_e32 v5, 30, v20
	v_xor_b32_e32 v21, vcc_lo, v21
	v_cmp_gt_i64_e32 vcc, 0, v[4:5]
	v_not_b32_e32 v5, v5
	v_ashrrev_i32_e32 v5, 31, v5
	v_and_b32_e32 v21, exec_lo, v21
	v_xor_b32_e32 v102, vcc_hi, v5
	v_xor_b32_e32 v5, vcc_lo, v5
	v_and_b32_e32 v21, v21, v5
	v_lshlrev_b32_e32 v5, 29, v20
	v_cmp_gt_i64_e32 vcc, 0, v[4:5]
	v_not_b32_e32 v5, v5
	v_ashrrev_i32_e32 v5, 31, v5
	v_and_b32_e32 v100, v100, v102
	v_xor_b32_e32 v102, vcc_hi, v5
	v_xor_b32_e32 v5, vcc_lo, v5
	v_and_b32_e32 v21, v21, v5
	v_lshlrev_b32_e32 v5, 28, v20
	v_cmp_gt_i64_e32 vcc, 0, v[4:5]
	v_not_b32_e32 v5, v5
	v_ashrrev_i32_e32 v5, 31, v5
	v_and_b32_e32 v100, v100, v102
	;; [unrolled: 8-line block ×5, first 2 shown]
	v_xor_b32_e32 v102, vcc_hi, v5
	v_xor_b32_e32 v5, vcc_lo, v5
	v_and_b32_e32 v100, v100, v102
	v_and_b32_e32 v102, v21, v5
	v_lshlrev_b32_e32 v5, 24, v20
	v_cmp_gt_i64_e32 vcc, 0, v[4:5]
	v_not_b32_e32 v5, v5
	v_ashrrev_i32_e32 v5, 31, v5
	v_xor_b32_e32 v20, vcc_hi, v5
	v_xor_b32_e32 v5, vcc_lo, v5
	v_and_b32_e32 v21, v100, v20
	v_and_b32_e32 v20, v102, v5
	v_mbcnt_lo_u32_b32 v5, v20, 0
	v_mbcnt_hi_u32_b32 v100, v21, v5
	v_cmp_eq_u32_e32 vcc, 0, v100
	v_cmp_ne_u64_e64 s[36:37], 0, v[20:21]
	s_and_b64 s[38:39], s[36:37], vcc
	; wave barrier
	s_and_saveexec_b64 s[36:37], s[38:39]
	s_cbranch_execz .LBB1843_90
; %bb.89:                               ;   in Loop: Header=BB1843_66 Depth=2
	v_bcnt_u32_b32 v5, v20, 0
	v_bcnt_u32_b32 v5, v21, v5
	s_waitcnt lgkmcnt(0)
	v_add_u32_e32 v5, v98, v5
	ds_write_b32 v99, v5
.LBB1843_90:                            ;   in Loop: Header=BB1843_66 Depth=2
	s_or_b64 exec, exec, s[36:37]
	s_waitcnt vmcnt(4)
	v_cmp_lt_i16_e32 vcc, -1, v101
	v_cndmask_b32_e32 v5, -1, v66, vcc
	v_xor_b32_e32 v101, v5, v101
	v_cmp_ne_u16_e32 vcc, s68, v101
	v_cndmask_b32_e32 v5, v66, v101, vcc
	v_lshrrev_b32_sdwa v5, s77, v5 dst_sel:DWORD dst_unused:UNUSED_PAD src0_sel:DWORD src1_sel:WORD_0
	v_and_b32_e32 v20, s78, v5
	v_mul_u32_u24_e32 v5, 5, v20
	v_add_lshl_u32 v5, v5, v92, 2
	; wave barrier
	v_add_u32_e32 v103, 0x410, v5
	ds_read_b32 v102, v5 offset:1040
	v_and_b32_e32 v5, 1, v20
	v_add_co_u32_e32 v21, vcc, -1, v5
	v_addc_co_u32_e64 v105, s[36:37], 0, -1, vcc
	v_cmp_ne_u32_e32 vcc, 0, v5
	v_xor_b32_e32 v5, vcc_hi, v105
	v_and_b32_e32 v105, exec_hi, v5
	v_lshlrev_b32_e32 v5, 30, v20
	v_xor_b32_e32 v21, vcc_lo, v21
	v_cmp_gt_i64_e32 vcc, 0, v[4:5]
	v_not_b32_e32 v5, v5
	v_ashrrev_i32_e32 v5, 31, v5
	v_and_b32_e32 v21, exec_lo, v21
	v_xor_b32_e32 v107, vcc_hi, v5
	v_xor_b32_e32 v5, vcc_lo, v5
	v_and_b32_e32 v21, v21, v5
	v_lshlrev_b32_e32 v5, 29, v20
	v_cmp_gt_i64_e32 vcc, 0, v[4:5]
	v_not_b32_e32 v5, v5
	v_ashrrev_i32_e32 v5, 31, v5
	v_and_b32_e32 v105, v105, v107
	v_xor_b32_e32 v107, vcc_hi, v5
	v_xor_b32_e32 v5, vcc_lo, v5
	v_and_b32_e32 v21, v21, v5
	v_lshlrev_b32_e32 v5, 28, v20
	v_cmp_gt_i64_e32 vcc, 0, v[4:5]
	v_not_b32_e32 v5, v5
	v_ashrrev_i32_e32 v5, 31, v5
	v_and_b32_e32 v105, v105, v107
	;; [unrolled: 8-line block ×5, first 2 shown]
	v_xor_b32_e32 v107, vcc_hi, v5
	v_xor_b32_e32 v5, vcc_lo, v5
	v_and_b32_e32 v105, v105, v107
	v_and_b32_e32 v107, v21, v5
	v_lshlrev_b32_e32 v5, 24, v20
	v_cmp_gt_i64_e32 vcc, 0, v[4:5]
	v_not_b32_e32 v5, v5
	v_ashrrev_i32_e32 v5, 31, v5
	v_xor_b32_e32 v20, vcc_hi, v5
	v_xor_b32_e32 v5, vcc_lo, v5
	v_and_b32_e32 v21, v105, v20
	v_and_b32_e32 v20, v107, v5
	v_mbcnt_lo_u32_b32 v5, v20, 0
	v_mbcnt_hi_u32_b32 v105, v21, v5
	v_cmp_eq_u32_e32 vcc, 0, v105
	v_cmp_ne_u64_e64 s[36:37], 0, v[20:21]
	s_and_b64 s[38:39], s[36:37], vcc
	; wave barrier
	s_and_saveexec_b64 s[36:37], s[38:39]
	s_cbranch_execz .LBB1843_92
; %bb.91:                               ;   in Loop: Header=BB1843_66 Depth=2
	v_bcnt_u32_b32 v5, v20, 0
	v_bcnt_u32_b32 v5, v21, v5
	s_waitcnt lgkmcnt(0)
	v_add_u32_e32 v5, v102, v5
	ds_write_b32 v103, v5
.LBB1843_92:                            ;   in Loop: Header=BB1843_66 Depth=2
	s_or_b64 exec, exec, s[36:37]
	s_waitcnt vmcnt(3)
	v_cmp_lt_i16_e32 vcc, -1, v106
	v_cndmask_b32_e32 v5, -1, v66, vcc
	v_xor_b32_e32 v106, v5, v106
	v_cmp_ne_u16_e32 vcc, s68, v106
	v_cndmask_b32_e32 v5, v66, v106, vcc
	v_lshrrev_b32_sdwa v5, s77, v5 dst_sel:DWORD dst_unused:UNUSED_PAD src0_sel:DWORD src1_sel:WORD_0
	v_and_b32_e32 v20, s78, v5
	v_mul_u32_u24_e32 v5, 5, v20
	v_add_lshl_u32 v5, v5, v92, 2
	; wave barrier
	v_add_u32_e32 v108, 0x410, v5
	ds_read_b32 v107, v5 offset:1040
	v_and_b32_e32 v5, 1, v20
	v_add_co_u32_e32 v21, vcc, -1, v5
	v_addc_co_u32_e64 v110, s[36:37], 0, -1, vcc
	v_cmp_ne_u32_e32 vcc, 0, v5
	v_xor_b32_e32 v5, vcc_hi, v110
	v_and_b32_e32 v110, exec_hi, v5
	v_lshlrev_b32_e32 v5, 30, v20
	v_xor_b32_e32 v21, vcc_lo, v21
	v_cmp_gt_i64_e32 vcc, 0, v[4:5]
	v_not_b32_e32 v5, v5
	v_ashrrev_i32_e32 v5, 31, v5
	v_and_b32_e32 v21, exec_lo, v21
	v_xor_b32_e32 v111, vcc_hi, v5
	v_xor_b32_e32 v5, vcc_lo, v5
	v_and_b32_e32 v21, v21, v5
	v_lshlrev_b32_e32 v5, 29, v20
	v_cmp_gt_i64_e32 vcc, 0, v[4:5]
	v_not_b32_e32 v5, v5
	v_ashrrev_i32_e32 v5, 31, v5
	v_and_b32_e32 v110, v110, v111
	v_xor_b32_e32 v111, vcc_hi, v5
	v_xor_b32_e32 v5, vcc_lo, v5
	v_and_b32_e32 v21, v21, v5
	v_lshlrev_b32_e32 v5, 28, v20
	v_cmp_gt_i64_e32 vcc, 0, v[4:5]
	v_not_b32_e32 v5, v5
	v_ashrrev_i32_e32 v5, 31, v5
	v_and_b32_e32 v110, v110, v111
	v_xor_b32_e32 v111, vcc_hi, v5
	v_xor_b32_e32 v5, vcc_lo, v5
	v_and_b32_e32 v21, v21, v5
	v_lshlrev_b32_e32 v5, 27, v20
	v_cmp_gt_i64_e32 vcc, 0, v[4:5]
	v_not_b32_e32 v5, v5
	v_ashrrev_i32_e32 v5, 31, v5
	v_and_b32_e32 v110, v110, v111
	v_xor_b32_e32 v111, vcc_hi, v5
	v_xor_b32_e32 v5, vcc_lo, v5
	v_and_b32_e32 v21, v21, v5
	v_lshlrev_b32_e32 v5, 26, v20
	v_cmp_gt_i64_e32 vcc, 0, v[4:5]
	v_not_b32_e32 v5, v5
	v_ashrrev_i32_e32 v5, 31, v5
	v_and_b32_e32 v110, v110, v111
	v_xor_b32_e32 v111, vcc_hi, v5
	v_xor_b32_e32 v5, vcc_lo, v5
	v_and_b32_e32 v21, v21, v5
	v_lshlrev_b32_e32 v5, 25, v20
	v_cmp_gt_i64_e32 vcc, 0, v[4:5]
	v_not_b32_e32 v5, v5
	v_ashrrev_i32_e32 v5, 31, v5
	v_and_b32_e32 v110, v110, v111
	v_xor_b32_e32 v111, vcc_hi, v5
	v_xor_b32_e32 v5, vcc_lo, v5
	v_and_b32_e32 v110, v110, v111
	v_and_b32_e32 v111, v21, v5
	v_lshlrev_b32_e32 v5, 24, v20
	v_cmp_gt_i64_e32 vcc, 0, v[4:5]
	v_not_b32_e32 v5, v5
	v_ashrrev_i32_e32 v5, 31, v5
	v_xor_b32_e32 v20, vcc_hi, v5
	v_xor_b32_e32 v5, vcc_lo, v5
	v_and_b32_e32 v21, v110, v20
	v_and_b32_e32 v20, v111, v5
	v_mbcnt_lo_u32_b32 v5, v20, 0
	v_mbcnt_hi_u32_b32 v110, v21, v5
	v_cmp_eq_u32_e32 vcc, 0, v110
	v_cmp_ne_u64_e64 s[36:37], 0, v[20:21]
	s_and_b64 s[38:39], s[36:37], vcc
	; wave barrier
	s_and_saveexec_b64 s[36:37], s[38:39]
	s_cbranch_execz .LBB1843_94
; %bb.93:                               ;   in Loop: Header=BB1843_66 Depth=2
	v_bcnt_u32_b32 v5, v20, 0
	v_bcnt_u32_b32 v5, v21, v5
	s_waitcnt lgkmcnt(0)
	v_add_u32_e32 v5, v107, v5
	ds_write_b32 v108, v5
.LBB1843_94:                            ;   in Loop: Header=BB1843_66 Depth=2
	s_or_b64 exec, exec, s[36:37]
	s_waitcnt vmcnt(2)
	v_cmp_lt_i16_e32 vcc, -1, v109
	v_cndmask_b32_e32 v5, -1, v66, vcc
	v_xor_b32_e32 v109, v5, v109
	v_cmp_ne_u16_e32 vcc, s68, v109
	v_cndmask_b32_e32 v5, v66, v109, vcc
	v_lshrrev_b32_sdwa v5, s77, v5 dst_sel:DWORD dst_unused:UNUSED_PAD src0_sel:DWORD src1_sel:WORD_0
	v_and_b32_e32 v20, s78, v5
	v_mul_u32_u24_e32 v5, 5, v20
	v_add_lshl_u32 v5, v5, v92, 2
	; wave barrier
	v_add_u32_e32 v112, 0x410, v5
	ds_read_b32 v111, v5 offset:1040
	v_and_b32_e32 v5, 1, v20
	v_add_co_u32_e32 v21, vcc, -1, v5
	v_addc_co_u32_e64 v113, s[36:37], 0, -1, vcc
	v_cmp_ne_u32_e32 vcc, 0, v5
	v_xor_b32_e32 v5, vcc_hi, v113
	v_and_b32_e32 v113, exec_hi, v5
	v_lshlrev_b32_e32 v5, 30, v20
	v_xor_b32_e32 v21, vcc_lo, v21
	v_cmp_gt_i64_e32 vcc, 0, v[4:5]
	v_not_b32_e32 v5, v5
	v_ashrrev_i32_e32 v5, 31, v5
	v_and_b32_e32 v21, exec_lo, v21
	v_xor_b32_e32 v114, vcc_hi, v5
	v_xor_b32_e32 v5, vcc_lo, v5
	v_and_b32_e32 v21, v21, v5
	v_lshlrev_b32_e32 v5, 29, v20
	v_cmp_gt_i64_e32 vcc, 0, v[4:5]
	v_not_b32_e32 v5, v5
	v_ashrrev_i32_e32 v5, 31, v5
	v_and_b32_e32 v113, v113, v114
	v_xor_b32_e32 v114, vcc_hi, v5
	v_xor_b32_e32 v5, vcc_lo, v5
	v_and_b32_e32 v21, v21, v5
	v_lshlrev_b32_e32 v5, 28, v20
	v_cmp_gt_i64_e32 vcc, 0, v[4:5]
	v_not_b32_e32 v5, v5
	v_ashrrev_i32_e32 v5, 31, v5
	v_and_b32_e32 v113, v113, v114
	;; [unrolled: 8-line block ×5, first 2 shown]
	v_xor_b32_e32 v114, vcc_hi, v5
	v_xor_b32_e32 v5, vcc_lo, v5
	v_and_b32_e32 v113, v113, v114
	v_and_b32_e32 v114, v21, v5
	v_lshlrev_b32_e32 v5, 24, v20
	v_cmp_gt_i64_e32 vcc, 0, v[4:5]
	v_not_b32_e32 v5, v5
	v_ashrrev_i32_e32 v5, 31, v5
	v_xor_b32_e32 v20, vcc_hi, v5
	v_xor_b32_e32 v5, vcc_lo, v5
	v_and_b32_e32 v21, v113, v20
	v_and_b32_e32 v20, v114, v5
	v_mbcnt_lo_u32_b32 v5, v20, 0
	v_mbcnt_hi_u32_b32 v113, v21, v5
	v_cmp_eq_u32_e32 vcc, 0, v113
	v_cmp_ne_u64_e64 s[36:37], 0, v[20:21]
	s_and_b64 s[38:39], s[36:37], vcc
	; wave barrier
	s_and_saveexec_b64 s[36:37], s[38:39]
	s_cbranch_execz .LBB1843_96
; %bb.95:                               ;   in Loop: Header=BB1843_66 Depth=2
	v_bcnt_u32_b32 v5, v20, 0
	v_bcnt_u32_b32 v5, v21, v5
	s_waitcnt lgkmcnt(0)
	v_add_u32_e32 v5, v111, v5
	ds_write_b32 v112, v5
.LBB1843_96:                            ;   in Loop: Header=BB1843_66 Depth=2
	s_or_b64 exec, exec, s[36:37]
	s_waitcnt vmcnt(1)
	v_cmp_lt_i16_e32 vcc, -1, v104
	v_cndmask_b32_e32 v5, -1, v66, vcc
	v_xor_b32_e32 v104, v5, v104
	v_cmp_ne_u16_e32 vcc, s68, v104
	v_cndmask_b32_e32 v5, v66, v104, vcc
	v_lshrrev_b32_sdwa v5, s77, v5 dst_sel:DWORD dst_unused:UNUSED_PAD src0_sel:DWORD src1_sel:WORD_0
	v_and_b32_e32 v20, s78, v5
	v_mul_u32_u24_e32 v5, 5, v20
	v_add_lshl_u32 v5, v5, v92, 2
	; wave barrier
	v_add_u32_e32 v115, 0x410, v5
	ds_read_b32 v114, v5 offset:1040
	v_and_b32_e32 v5, 1, v20
	v_add_co_u32_e32 v21, vcc, -1, v5
	v_addc_co_u32_e64 v116, s[36:37], 0, -1, vcc
	v_cmp_ne_u32_e32 vcc, 0, v5
	v_xor_b32_e32 v5, vcc_hi, v116
	v_and_b32_e32 v116, exec_hi, v5
	v_lshlrev_b32_e32 v5, 30, v20
	v_xor_b32_e32 v21, vcc_lo, v21
	v_cmp_gt_i64_e32 vcc, 0, v[4:5]
	v_not_b32_e32 v5, v5
	v_ashrrev_i32_e32 v5, 31, v5
	v_and_b32_e32 v21, exec_lo, v21
	v_xor_b32_e32 v117, vcc_hi, v5
	v_xor_b32_e32 v5, vcc_lo, v5
	v_and_b32_e32 v21, v21, v5
	v_lshlrev_b32_e32 v5, 29, v20
	v_cmp_gt_i64_e32 vcc, 0, v[4:5]
	v_not_b32_e32 v5, v5
	v_ashrrev_i32_e32 v5, 31, v5
	v_and_b32_e32 v116, v116, v117
	v_xor_b32_e32 v117, vcc_hi, v5
	v_xor_b32_e32 v5, vcc_lo, v5
	v_and_b32_e32 v21, v21, v5
	v_lshlrev_b32_e32 v5, 28, v20
	v_cmp_gt_i64_e32 vcc, 0, v[4:5]
	v_not_b32_e32 v5, v5
	v_ashrrev_i32_e32 v5, 31, v5
	v_and_b32_e32 v116, v116, v117
	;; [unrolled: 8-line block ×5, first 2 shown]
	v_xor_b32_e32 v117, vcc_hi, v5
	v_xor_b32_e32 v5, vcc_lo, v5
	v_and_b32_e32 v116, v116, v117
	v_and_b32_e32 v117, v21, v5
	v_lshlrev_b32_e32 v5, 24, v20
	v_cmp_gt_i64_e32 vcc, 0, v[4:5]
	v_not_b32_e32 v5, v5
	v_ashrrev_i32_e32 v5, 31, v5
	v_xor_b32_e32 v20, vcc_hi, v5
	v_xor_b32_e32 v5, vcc_lo, v5
	v_and_b32_e32 v21, v116, v20
	v_and_b32_e32 v20, v117, v5
	v_mbcnt_lo_u32_b32 v5, v20, 0
	v_mbcnt_hi_u32_b32 v116, v21, v5
	v_cmp_eq_u32_e32 vcc, 0, v116
	v_cmp_ne_u64_e64 s[36:37], 0, v[20:21]
	s_and_b64 s[38:39], s[36:37], vcc
	; wave barrier
	s_and_saveexec_b64 s[36:37], s[38:39]
	s_cbranch_execz .LBB1843_98
; %bb.97:                               ;   in Loop: Header=BB1843_66 Depth=2
	v_bcnt_u32_b32 v5, v20, 0
	v_bcnt_u32_b32 v5, v21, v5
	s_waitcnt lgkmcnt(0)
	v_add_u32_e32 v5, v114, v5
	ds_write_b32 v115, v5
.LBB1843_98:                            ;   in Loop: Header=BB1843_66 Depth=2
	s_or_b64 exec, exec, s[36:37]
	s_waitcnt vmcnt(0)
	v_cmp_lt_i16_e32 vcc, -1, v22
	v_cndmask_b32_e32 v5, -1, v66, vcc
	v_xor_b32_e32 v117, v5, v22
	v_cmp_ne_u16_e32 vcc, s68, v117
	v_cndmask_b32_e32 v5, v66, v117, vcc
	v_lshrrev_b32_sdwa v5, s77, v5 dst_sel:DWORD dst_unused:UNUSED_PAD src0_sel:DWORD src1_sel:WORD_0
	v_and_b32_e32 v20, s78, v5
	v_mul_u32_u24_e32 v5, 5, v20
	v_add_lshl_u32 v5, v5, v92, 2
	; wave barrier
	v_add_u32_e32 v119, 0x410, v5
	ds_read_b32 v118, v5 offset:1040
	v_and_b32_e32 v5, 1, v20
	v_add_co_u32_e32 v21, vcc, -1, v5
	v_addc_co_u32_e64 v22, s[36:37], 0, -1, vcc
	v_cmp_ne_u32_e32 vcc, 0, v5
	v_xor_b32_e32 v5, vcc_hi, v22
	v_and_b32_e32 v22, exec_hi, v5
	v_lshlrev_b32_e32 v5, 30, v20
	v_xor_b32_e32 v21, vcc_lo, v21
	v_cmp_gt_i64_e32 vcc, 0, v[4:5]
	v_not_b32_e32 v5, v5
	v_ashrrev_i32_e32 v5, 31, v5
	v_and_b32_e32 v21, exec_lo, v21
	v_xor_b32_e32 v120, vcc_hi, v5
	v_xor_b32_e32 v5, vcc_lo, v5
	v_and_b32_e32 v21, v21, v5
	v_lshlrev_b32_e32 v5, 29, v20
	v_cmp_gt_i64_e32 vcc, 0, v[4:5]
	v_not_b32_e32 v5, v5
	v_ashrrev_i32_e32 v5, 31, v5
	v_and_b32_e32 v22, v22, v120
	v_xor_b32_e32 v120, vcc_hi, v5
	v_xor_b32_e32 v5, vcc_lo, v5
	v_and_b32_e32 v21, v21, v5
	v_lshlrev_b32_e32 v5, 28, v20
	v_cmp_gt_i64_e32 vcc, 0, v[4:5]
	v_not_b32_e32 v5, v5
	v_ashrrev_i32_e32 v5, 31, v5
	v_and_b32_e32 v22, v22, v120
	;; [unrolled: 8-line block ×5, first 2 shown]
	v_xor_b32_e32 v120, vcc_hi, v5
	v_xor_b32_e32 v5, vcc_lo, v5
	v_and_b32_e32 v22, v22, v120
	v_and_b32_e32 v120, v21, v5
	v_lshlrev_b32_e32 v5, 24, v20
	v_cmp_gt_i64_e32 vcc, 0, v[4:5]
	v_not_b32_e32 v5, v5
	v_ashrrev_i32_e32 v5, 31, v5
	v_xor_b32_e32 v20, vcc_hi, v5
	v_xor_b32_e32 v5, vcc_lo, v5
	v_and_b32_e32 v21, v22, v20
	v_and_b32_e32 v20, v120, v5
	v_mbcnt_lo_u32_b32 v5, v20, 0
	v_mbcnt_hi_u32_b32 v120, v21, v5
	v_cmp_eq_u32_e32 vcc, 0, v120
	v_cmp_ne_u64_e64 s[36:37], 0, v[20:21]
	s_and_b64 s[38:39], s[36:37], vcc
	; wave barrier
	s_and_saveexec_b64 s[36:37], s[38:39]
	s_cbranch_execz .LBB1843_100
; %bb.99:                               ;   in Loop: Header=BB1843_66 Depth=2
	v_bcnt_u32_b32 v5, v20, 0
	v_bcnt_u32_b32 v5, v21, v5
	s_waitcnt lgkmcnt(0)
	v_add_u32_e32 v5, v118, v5
	ds_write_b32 v119, v5
.LBB1843_100:                           ;   in Loop: Header=BB1843_66 Depth=2
	s_or_b64 exec, exec, s[36:37]
	v_cmp_lt_i16_e32 vcc, -1, v23
	v_cndmask_b32_e32 v5, -1, v66, vcc
	v_xor_b32_e32 v121, v5, v23
	v_cmp_ne_u16_e32 vcc, s68, v121
	v_cndmask_b32_e32 v5, v66, v121, vcc
	v_lshrrev_b32_sdwa v5, s77, v5 dst_sel:DWORD dst_unused:UNUSED_PAD src0_sel:DWORD src1_sel:WORD_0
	v_and_b32_e32 v20, s78, v5
	v_mul_u32_u24_e32 v5, 5, v20
	v_add_lshl_u32 v5, v5, v92, 2
	; wave barrier
	v_add_u32_e32 v123, 0x410, v5
	ds_read_b32 v122, v5 offset:1040
	v_and_b32_e32 v5, 1, v20
	v_add_co_u32_e32 v21, vcc, -1, v5
	v_addc_co_u32_e64 v22, s[36:37], 0, -1, vcc
	v_cmp_ne_u32_e32 vcc, 0, v5
	v_xor_b32_e32 v5, vcc_hi, v22
	v_and_b32_e32 v22, exec_hi, v5
	v_lshlrev_b32_e32 v5, 30, v20
	v_xor_b32_e32 v21, vcc_lo, v21
	v_cmp_gt_i64_e32 vcc, 0, v[4:5]
	v_not_b32_e32 v5, v5
	v_ashrrev_i32_e32 v5, 31, v5
	v_and_b32_e32 v21, exec_lo, v21
	v_xor_b32_e32 v23, vcc_hi, v5
	v_xor_b32_e32 v5, vcc_lo, v5
	v_and_b32_e32 v21, v21, v5
	v_lshlrev_b32_e32 v5, 29, v20
	v_cmp_gt_i64_e32 vcc, 0, v[4:5]
	v_not_b32_e32 v5, v5
	v_ashrrev_i32_e32 v5, 31, v5
	v_and_b32_e32 v22, v22, v23
	v_xor_b32_e32 v23, vcc_hi, v5
	v_xor_b32_e32 v5, vcc_lo, v5
	v_and_b32_e32 v21, v21, v5
	v_lshlrev_b32_e32 v5, 28, v20
	v_cmp_gt_i64_e32 vcc, 0, v[4:5]
	v_not_b32_e32 v5, v5
	v_ashrrev_i32_e32 v5, 31, v5
	v_and_b32_e32 v22, v22, v23
	;; [unrolled: 8-line block ×5, first 2 shown]
	v_xor_b32_e32 v23, vcc_hi, v5
	v_xor_b32_e32 v5, vcc_lo, v5
	v_and_b32_e32 v22, v22, v23
	v_and_b32_e32 v23, v21, v5
	v_lshlrev_b32_e32 v5, 24, v20
	v_cmp_gt_i64_e32 vcc, 0, v[4:5]
	v_not_b32_e32 v5, v5
	v_ashrrev_i32_e32 v5, 31, v5
	v_xor_b32_e32 v20, vcc_hi, v5
	v_xor_b32_e32 v5, vcc_lo, v5
	v_and_b32_e32 v21, v22, v20
	v_and_b32_e32 v20, v23, v5
	v_mbcnt_lo_u32_b32 v5, v20, 0
	v_mbcnt_hi_u32_b32 v124, v21, v5
	v_cmp_eq_u32_e32 vcc, 0, v124
	v_cmp_ne_u64_e64 s[36:37], 0, v[20:21]
	s_and_b64 s[38:39], s[36:37], vcc
	; wave barrier
	s_and_saveexec_b64 s[36:37], s[38:39]
	s_cbranch_execz .LBB1843_102
; %bb.101:                              ;   in Loop: Header=BB1843_66 Depth=2
	v_bcnt_u32_b32 v5, v20, 0
	v_bcnt_u32_b32 v5, v21, v5
	s_waitcnt lgkmcnt(0)
	v_add_u32_e32 v5, v122, v5
	ds_write_b32 v123, v5
.LBB1843_102:                           ;   in Loop: Header=BB1843_66 Depth=2
	s_or_b64 exec, exec, s[36:37]
	; wave barrier
	s_waitcnt lgkmcnt(0)
	s_barrier
	ds_read_b32 v5, v41 offset:1040
	ds_read2_b32 v[22:23], v43 offset0:1 offset1:2
	ds_read2_b32 v[20:21], v43 offset0:3 offset1:4
	s_waitcnt lgkmcnt(1)
	v_add3_u32 v125, v22, v5, v23
	s_waitcnt lgkmcnt(0)
	v_add3_u32 v21, v125, v20, v21
	s_nop 1
	v_mov_b32_dpp v125, v21 row_shr:1 row_mask:0xf bank_mask:0xf
	v_cndmask_b32_e64 v125, v125, 0, s[16:17]
	v_add_u32_e32 v21, v125, v21
	s_nop 1
	v_mov_b32_dpp v125, v21 row_shr:2 row_mask:0xf bank_mask:0xf
	v_cndmask_b32_e64 v125, 0, v125, s[18:19]
	v_add_u32_e32 v21, v21, v125
	s_nop 1
	v_mov_b32_dpp v125, v21 row_shr:4 row_mask:0xf bank_mask:0xf
	v_cndmask_b32_e64 v125, 0, v125, s[20:21]
	v_add_u32_e32 v21, v21, v125
	s_nop 1
	v_mov_b32_dpp v125, v21 row_shr:8 row_mask:0xf bank_mask:0xf
	v_cndmask_b32_e64 v125, 0, v125, s[22:23]
	v_add_u32_e32 v21, v21, v125
	s_nop 1
	v_mov_b32_dpp v125, v21 row_bcast:15 row_mask:0xf bank_mask:0xf
	v_cndmask_b32_e64 v125, v125, 0, s[24:25]
	v_add_u32_e32 v21, v21, v125
	s_nop 1
	v_mov_b32_dpp v125, v21 row_bcast:31 row_mask:0xf bank_mask:0xf
	v_cndmask_b32_e64 v125, 0, v125, s[26:27]
	v_add_u32_e32 v21, v21, v125
	s_and_saveexec_b64 s[36:37], s[6:7]
	s_cbranch_execz .LBB1843_104
; %bb.103:                              ;   in Loop: Header=BB1843_66 Depth=2
	ds_write_b32 v34, v21 offset:1024
.LBB1843_104:                           ;   in Loop: Header=BB1843_66 Depth=2
	s_or_b64 exec, exec, s[36:37]
	s_waitcnt lgkmcnt(0)
	s_barrier
	s_and_saveexec_b64 s[36:37], s[8:9]
	s_cbranch_execz .LBB1843_106
; %bb.105:                              ;   in Loop: Header=BB1843_66 Depth=2
	ds_read_b32 v125, v44 offset:1024
	s_waitcnt lgkmcnt(0)
	s_nop 0
	v_mov_b32_dpp v126, v125 row_shr:1 row_mask:0xf bank_mask:0xf
	v_cndmask_b32_e64 v126, v126, 0, s[30:31]
	v_add_u32_e32 v125, v126, v125
	s_nop 1
	v_mov_b32_dpp v126, v125 row_shr:2 row_mask:0xf bank_mask:0xf
	v_cndmask_b32_e64 v126, 0, v126, s[34:35]
	v_add_u32_e32 v125, v125, v126
	ds_write_b32 v44, v125 offset:1024
.LBB1843_106:                           ;   in Loop: Header=BB1843_66 Depth=2
	s_or_b64 exec, exec, s[36:37]
	v_mov_b32_e32 v125, 0
	s_waitcnt lgkmcnt(0)
	s_barrier
	s_and_saveexec_b64 s[36:37], s[10:11]
	s_cbranch_execz .LBB1843_108
; %bb.107:                              ;   in Loop: Header=BB1843_66 Depth=2
	ds_read_b32 v125, v34 offset:1020
.LBB1843_108:                           ;   in Loop: Header=BB1843_66 Depth=2
	s_or_b64 exec, exec, s[36:37]
	s_waitcnt lgkmcnt(0)
	v_add_u32_e32 v21, v125, v21
	ds_bpermute_b32 v21, v69, v21
	s_waitcnt lgkmcnt(0)
	v_cndmask_b32_e64 v21, v21, v125, s[28:29]
	v_cndmask_b32_e64 v21, v21, 0, s[12:13]
	v_add_u32_e32 v5, v21, v5
	ds_write_b32 v41, v21 offset:1040
	v_add_u32_e32 v21, v5, v22
	v_add_u32_e32 v22, v21, v23
	ds_write2_b32 v43, v5, v21 offset0:1 offset1:2
	v_add_u32_e32 v5, v22, v20
	ds_write2_b32 v43, v22, v5 offset0:3 offset1:4
	s_waitcnt lgkmcnt(0)
	s_barrier
	ds_read_b32 v20, v99
	ds_read_b32 v21, v103
	;; [unrolled: 1-line block ×8, first 2 shown]
	ds_read_b32 v99, v41 offset:1040
	v_mov_b32_e32 v5, 0x800
	s_and_saveexec_b64 s[36:37], s[14:15]
	s_cbranch_execz .LBB1843_110
; %bb.109:                              ;   in Loop: Header=BB1843_66 Depth=2
	ds_read_b32 v5, v41 offset:1060
.LBB1843_110:                           ;   in Loop: Header=BB1843_66 Depth=2
	s_or_b64 exec, exec, s[36:37]
	s_waitcnt lgkmcnt(0)
	s_barrier
	s_and_saveexec_b64 s[36:37], s[4:5]
	s_cbranch_execz .LBB1843_112
; %bb.111:                              ;   in Loop: Header=BB1843_66 Depth=2
	ds_read_b32 v103, v3
	s_waitcnt lgkmcnt(0)
	v_sub_u32_e32 v99, v103, v99
	ds_write_b32 v3, v99
.LBB1843_112:                           ;   in Loop: Header=BB1843_66 Depth=2
	s_or_b64 exec, exec, s[36:37]
	v_add_u32_e32 v103, v95, v96
	v_add3_u32 v100, v100, v98, v20
	v_lshlrev_b32_e32 v20, 1, v103
	v_add3_u32 v99, v105, v102, v21
	ds_write_b16 v20, v94 offset:1024
	v_lshlrev_b32_e32 v20, 1, v100
	v_add3_u32 v98, v110, v107, v22
	ds_write_b16 v20, v97 offset:1024
	;; [unrolled: 3-line block ×6, first 2 shown]
	v_lshlrev_b32_e32 v20, 1, v23
	ds_write_b16 v20, v117 offset:1024
	v_lshlrev_b32_e32 v20, 1, v22
	v_cmp_lt_u32_e32 vcc, v2, v93
	ds_write_b16 v20, v121 offset:1024
	s_waitcnt lgkmcnt(0)
	s_barrier
	s_and_saveexec_b64 s[38:39], vcc
	s_cbranch_execz .LBB1843_120
; %bb.113:                              ;   in Loop: Header=BB1843_66 Depth=2
	ds_read_u16 v20, v49 offset:1024
	v_mov_b32_e32 v21, v4
	v_mov_b32_e32 v97, s59
	s_waitcnt lgkmcnt(0)
	v_cmp_ne_u16_e64 s[36:37], s68, v20
	v_cndmask_b32_e64 v94, v66, v20, s[36:37]
	v_lshrrev_b32_sdwa v94, s77, v94 dst_sel:DWORD dst_unused:UNUSED_PAD src0_sel:DWORD src1_sel:WORD_0
	v_and_b32_e32 v94, s78, v94
	v_lshlrev_b32_e32 v94, 2, v94
	ds_read_b32 v94, v94
	v_cmp_lt_i16_e64 s[36:37], -1, v20
	v_cndmask_b32_e64 v101, v66, -1, s[36:37]
	v_xor_b32_e32 v101, v101, v20
	s_waitcnt lgkmcnt(0)
	v_add_u32_e32 v20, v94, v2
	v_lshlrev_b64 v[20:21], 1, v[20:21]
	v_add_co_u32_e64 v20, s[36:37], s58, v20
	v_addc_co_u32_e64 v21, s[36:37], v97, v21, s[36:37]
	global_store_short v[20:21], v101, off
	s_or_b64 exec, exec, s[38:39]
	v_cmp_lt_u32_e64 s[36:37], v24, v93
	s_and_saveexec_b64 s[40:41], s[36:37]
	s_cbranch_execnz .LBB1843_121
.LBB1843_114:                           ;   in Loop: Header=BB1843_66 Depth=2
	s_or_b64 exec, exec, s[40:41]
	v_cmp_lt_u32_e64 s[38:39], v25, v93
	s_and_saveexec_b64 s[42:43], s[38:39]
	s_cbranch_execz .LBB1843_122
.LBB1843_115:                           ;   in Loop: Header=BB1843_66 Depth=2
	ds_read_u16 v20, v50 offset:1024
	v_mov_b32_e32 v21, v4
	v_mov_b32_e32 v97, s59
	s_waitcnt lgkmcnt(0)
	v_cmp_ne_u16_e64 s[40:41], s68, v20
	v_cndmask_b32_e64 v94, v66, v20, s[40:41]
	v_lshrrev_b32_sdwa v94, s77, v94 dst_sel:DWORD dst_unused:UNUSED_PAD src0_sel:DWORD src1_sel:WORD_0
	v_and_b32_e32 v94, s78, v94
	v_lshlrev_b32_e32 v94, 2, v94
	ds_read_b32 v94, v94
	v_cmp_lt_i16_e64 s[40:41], -1, v20
	v_cndmask_b32_e64 v101, v66, -1, s[40:41]
	v_xor_b32_e32 v101, v101, v20
	s_waitcnt lgkmcnt(0)
	v_add_u32_e32 v20, v94, v25
	v_lshlrev_b64 v[20:21], 1, v[20:21]
	v_add_co_u32_e64 v20, s[40:41], s58, v20
	v_addc_co_u32_e64 v21, s[40:41], v97, v21, s[40:41]
	global_store_short v[20:21], v101, off
	s_or_b64 exec, exec, s[42:43]
	v_cmp_lt_u32_e64 s[40:41], v26, v93
	s_and_saveexec_b64 s[44:45], s[40:41]
	s_cbranch_execnz .LBB1843_123
.LBB1843_116:                           ;   in Loop: Header=BB1843_66 Depth=2
	s_or_b64 exec, exec, s[44:45]
	v_cmp_lt_u32_e64 s[42:43], v29, v93
	s_and_saveexec_b64 s[46:47], s[42:43]
	s_cbranch_execz .LBB1843_124
.LBB1843_117:                           ;   in Loop: Header=BB1843_66 Depth=2
	ds_read_u16 v20, v50 offset:2048
	v_mov_b32_e32 v21, v4
	v_mov_b32_e32 v97, s59
	s_waitcnt lgkmcnt(0)
	v_cmp_ne_u16_e64 s[44:45], s68, v20
	v_cndmask_b32_e64 v94, v66, v20, s[44:45]
	v_lshrrev_b32_sdwa v94, s77, v94 dst_sel:DWORD dst_unused:UNUSED_PAD src0_sel:DWORD src1_sel:WORD_0
	v_and_b32_e32 v94, s78, v94
	v_lshlrev_b32_e32 v94, 2, v94
	ds_read_b32 v94, v94
	v_cmp_lt_i16_e64 s[44:45], -1, v20
	v_cndmask_b32_e64 v101, v66, -1, s[44:45]
	v_xor_b32_e32 v101, v101, v20
	s_waitcnt lgkmcnt(0)
	v_add_u32_e32 v20, v94, v29
	v_lshlrev_b64 v[20:21], 1, v[20:21]
	v_add_co_u32_e64 v20, s[44:45], s58, v20
	v_addc_co_u32_e64 v21, s[44:45], v97, v21, s[44:45]
	global_store_short v[20:21], v101, off
	s_or_b64 exec, exec, s[46:47]
	v_cmp_lt_u32_e64 s[44:45], v30, v93
	s_and_saveexec_b64 s[48:49], s[44:45]
	s_cbranch_execnz .LBB1843_125
.LBB1843_118:                           ;   in Loop: Header=BB1843_66 Depth=2
	s_or_b64 exec, exec, s[48:49]
	v_cmp_lt_u32_e64 s[46:47], v31, v93
	s_and_saveexec_b64 s[52:53], s[46:47]
	s_cbranch_execz .LBB1843_126
.LBB1843_119:                           ;   in Loop: Header=BB1843_66 Depth=2
	ds_read_u16 v20, v50 offset:3072
	v_mov_b32_e32 v21, v4
	v_mov_b32_e32 v97, s59
	s_waitcnt lgkmcnt(0)
	v_cmp_ne_u16_e64 s[48:49], s68, v20
	v_cndmask_b32_e64 v94, v66, v20, s[48:49]
	v_lshrrev_b32_sdwa v94, s77, v94 dst_sel:DWORD dst_unused:UNUSED_PAD src0_sel:DWORD src1_sel:WORD_0
	v_and_b32_e32 v94, s78, v94
	v_lshlrev_b32_e32 v94, 2, v94
	ds_read_b32 v94, v94
	v_cmp_lt_i16_e64 s[48:49], -1, v20
	v_cndmask_b32_e64 v101, v66, -1, s[48:49]
	v_xor_b32_e32 v101, v101, v20
	s_waitcnt lgkmcnt(0)
	v_add_u32_e32 v20, v94, v31
	v_lshlrev_b64 v[20:21], 1, v[20:21]
	v_add_co_u32_e64 v20, s[48:49], s58, v20
	v_addc_co_u32_e64 v21, s[48:49], v97, v21, s[48:49]
	global_store_short v[20:21], v101, off
	s_or_b64 exec, exec, s[52:53]
	v_cmp_lt_u32_e64 s[48:49], v32, v93
	s_and_saveexec_b64 s[62:63], s[48:49]
	s_cbranch_execnz .LBB1843_127
	s_branch .LBB1843_128
.LBB1843_120:                           ;   in Loop: Header=BB1843_66 Depth=2
	s_or_b64 exec, exec, s[38:39]
	v_cmp_lt_u32_e64 s[36:37], v24, v93
	s_and_saveexec_b64 s[40:41], s[36:37]
	s_cbranch_execz .LBB1843_114
.LBB1843_121:                           ;   in Loop: Header=BB1843_66 Depth=2
	ds_read_u16 v20, v50 offset:512
	v_mov_b32_e32 v21, v4
	v_mov_b32_e32 v97, s59
	s_waitcnt lgkmcnt(0)
	v_cmp_ne_u16_e64 s[38:39], s68, v20
	v_cndmask_b32_e64 v94, v66, v20, s[38:39]
	v_lshrrev_b32_sdwa v94, s77, v94 dst_sel:DWORD dst_unused:UNUSED_PAD src0_sel:DWORD src1_sel:WORD_0
	v_and_b32_e32 v94, s78, v94
	v_lshlrev_b32_e32 v94, 2, v94
	ds_read_b32 v94, v94
	v_cmp_lt_i16_e64 s[38:39], -1, v20
	v_cndmask_b32_e64 v101, v66, -1, s[38:39]
	v_xor_b32_e32 v101, v101, v20
	s_waitcnt lgkmcnt(0)
	v_add_u32_e32 v20, v94, v24
	v_lshlrev_b64 v[20:21], 1, v[20:21]
	v_add_co_u32_e64 v20, s[38:39], s58, v20
	v_addc_co_u32_e64 v21, s[38:39], v97, v21, s[38:39]
	global_store_short v[20:21], v101, off
	s_or_b64 exec, exec, s[40:41]
	v_cmp_lt_u32_e64 s[38:39], v25, v93
	s_and_saveexec_b64 s[42:43], s[38:39]
	s_cbranch_execnz .LBB1843_115
.LBB1843_122:                           ;   in Loop: Header=BB1843_66 Depth=2
	s_or_b64 exec, exec, s[42:43]
	v_cmp_lt_u32_e64 s[40:41], v26, v93
	s_and_saveexec_b64 s[44:45], s[40:41]
	s_cbranch_execz .LBB1843_116
.LBB1843_123:                           ;   in Loop: Header=BB1843_66 Depth=2
	ds_read_u16 v20, v50 offset:1536
	v_mov_b32_e32 v21, v4
	v_mov_b32_e32 v97, s59
	s_waitcnt lgkmcnt(0)
	v_cmp_ne_u16_e64 s[42:43], s68, v20
	v_cndmask_b32_e64 v94, v66, v20, s[42:43]
	v_lshrrev_b32_sdwa v94, s77, v94 dst_sel:DWORD dst_unused:UNUSED_PAD src0_sel:DWORD src1_sel:WORD_0
	v_and_b32_e32 v94, s78, v94
	v_lshlrev_b32_e32 v94, 2, v94
	ds_read_b32 v94, v94
	v_cmp_lt_i16_e64 s[42:43], -1, v20
	v_cndmask_b32_e64 v101, v66, -1, s[42:43]
	v_xor_b32_e32 v101, v101, v20
	s_waitcnt lgkmcnt(0)
	v_add_u32_e32 v20, v94, v26
	v_lshlrev_b64 v[20:21], 1, v[20:21]
	v_add_co_u32_e64 v20, s[42:43], s58, v20
	v_addc_co_u32_e64 v21, s[42:43], v97, v21, s[42:43]
	global_store_short v[20:21], v101, off
	s_or_b64 exec, exec, s[44:45]
	v_cmp_lt_u32_e64 s[42:43], v29, v93
	s_and_saveexec_b64 s[46:47], s[42:43]
	s_cbranch_execnz .LBB1843_117
.LBB1843_124:                           ;   in Loop: Header=BB1843_66 Depth=2
	s_or_b64 exec, exec, s[46:47]
	v_cmp_lt_u32_e64 s[44:45], v30, v93
	s_and_saveexec_b64 s[48:49], s[44:45]
	s_cbranch_execz .LBB1843_118
.LBB1843_125:                           ;   in Loop: Header=BB1843_66 Depth=2
	ds_read_u16 v20, v50 offset:2560
	v_mov_b32_e32 v21, v4
	v_mov_b32_e32 v97, s59
	s_waitcnt lgkmcnt(0)
	v_cmp_ne_u16_e64 s[46:47], s68, v20
	v_cndmask_b32_e64 v94, v66, v20, s[46:47]
	v_lshrrev_b32_sdwa v94, s77, v94 dst_sel:DWORD dst_unused:UNUSED_PAD src0_sel:DWORD src1_sel:WORD_0
	v_and_b32_e32 v94, s78, v94
	v_lshlrev_b32_e32 v94, 2, v94
	ds_read_b32 v94, v94
	v_cmp_lt_i16_e64 s[46:47], -1, v20
	v_cndmask_b32_e64 v101, v66, -1, s[46:47]
	v_xor_b32_e32 v101, v101, v20
	s_waitcnt lgkmcnt(0)
	v_add_u32_e32 v20, v94, v30
	v_lshlrev_b64 v[20:21], 1, v[20:21]
	v_add_co_u32_e64 v20, s[46:47], s58, v20
	v_addc_co_u32_e64 v21, s[46:47], v97, v21, s[46:47]
	global_store_short v[20:21], v101, off
	s_or_b64 exec, exec, s[48:49]
	v_cmp_lt_u32_e64 s[46:47], v31, v93
	s_and_saveexec_b64 s[52:53], s[46:47]
	s_cbranch_execnz .LBB1843_119
.LBB1843_126:                           ;   in Loop: Header=BB1843_66 Depth=2
	s_or_b64 exec, exec, s[52:53]
	v_cmp_lt_u32_e64 s[48:49], v32, v93
	s_and_saveexec_b64 s[62:63], s[48:49]
	s_cbranch_execz .LBB1843_128
.LBB1843_127:                           ;   in Loop: Header=BB1843_66 Depth=2
	ds_read_u16 v20, v50 offset:3584
	v_mov_b32_e32 v21, v4
	v_mov_b32_e32 v97, s59
	s_waitcnt lgkmcnt(0)
	v_cmp_ne_u16_e64 s[52:53], s68, v20
	v_cndmask_b32_e64 v94, v66, v20, s[52:53]
	v_lshrrev_b32_sdwa v94, s77, v94 dst_sel:DWORD dst_unused:UNUSED_PAD src0_sel:DWORD src1_sel:WORD_0
	v_and_b32_e32 v94, s78, v94
	v_lshlrev_b32_e32 v94, 2, v94
	ds_read_b32 v94, v94
	v_cmp_lt_i16_e64 s[52:53], -1, v20
	v_cndmask_b32_e64 v101, v66, -1, s[52:53]
	v_xor_b32_e32 v101, v101, v20
	s_waitcnt lgkmcnt(0)
	v_add_u32_e32 v20, v94, v32
	v_lshlrev_b64 v[20:21], 1, v[20:21]
	v_add_co_u32_e64 v20, s[52:53], s58, v20
	v_addc_co_u32_e64 v21, s[52:53], v97, v21, s[52:53]
	global_store_short v[20:21], v101, off
.LBB1843_128:                           ;   in Loop: Header=BB1843_66 Depth=2
	s_or_b64 exec, exec, s[62:63]
	s_lshl_b64 s[52:53], s[72:73], 3
	v_mov_b32_e32 v21, s53
	v_add_co_u32_e64 v20, s[52:53], s52, v77
	v_addc_co_u32_e64 v21, s[52:53], v79, v21, s[52:53]
	v_cmp_lt_u32_e64 s[52:53], v74, v93
	s_and_saveexec_b64 s[62:63], s[52:53]
	s_xor_b64 s[52:53], exec, s[62:63]
	s_cbranch_execz .LBB1843_144
; %bb.129:                              ;   in Loop: Header=BB1843_66 Depth=2
	global_load_dwordx2 v[18:19], v[20:21], off
	s_or_b64 exec, exec, s[52:53]
	v_cmp_lt_u32_e64 s[52:53], v81, v93
	s_and_saveexec_b64 s[62:63], s[52:53]
	s_cbranch_execnz .LBB1843_145
.LBB1843_130:                           ;   in Loop: Header=BB1843_66 Depth=2
	s_or_b64 exec, exec, s[62:63]
	v_cmp_lt_u32_e64 s[52:53], v82, v93
	s_and_saveexec_b64 s[62:63], s[52:53]
	s_cbranch_execz .LBB1843_146
.LBB1843_131:                           ;   in Loop: Header=BB1843_66 Depth=2
	global_load_dwordx2 v[14:15], v[20:21], off offset:1024
	s_or_b64 exec, exec, s[62:63]
	v_cmp_lt_u32_e64 s[52:53], v83, v93
	s_and_saveexec_b64 s[62:63], s[52:53]
	s_cbranch_execnz .LBB1843_147
.LBB1843_132:                           ;   in Loop: Header=BB1843_66 Depth=2
	s_or_b64 exec, exec, s[62:63]
	v_cmp_lt_u32_e64 s[52:53], v84, v93
	s_and_saveexec_b64 s[62:63], s[52:53]
	s_cbranch_execz .LBB1843_148
.LBB1843_133:                           ;   in Loop: Header=BB1843_66 Depth=2
	global_load_dwordx2 v[10:11], v[20:21], off offset:2048
	s_or_b64 exec, exec, s[62:63]
	v_cmp_lt_u32_e64 s[52:53], v85, v93
	s_and_saveexec_b64 s[62:63], s[52:53]
	s_cbranch_execnz .LBB1843_149
.LBB1843_134:                           ;   in Loop: Header=BB1843_66 Depth=2
	s_or_b64 exec, exec, s[62:63]
	v_cmp_lt_u32_e64 s[52:53], v86, v93
	s_and_saveexec_b64 s[62:63], s[52:53]
	s_cbranch_execz .LBB1843_150
.LBB1843_135:                           ;   in Loop: Header=BB1843_66 Depth=2
	global_load_dwordx2 v[6:7], v[20:21], off offset:3072
	s_or_b64 exec, exec, s[62:63]
	v_cmp_lt_u32_e64 s[52:53], v87, v93
	s_and_saveexec_b64 s[62:63], s[52:53]
	s_cbranch_execnz .LBB1843_151
.LBB1843_136:                           ;   in Loop: Header=BB1843_66 Depth=2
	s_or_b64 exec, exec, s[62:63]
	s_and_saveexec_b64 s[62:63], vcc
	s_cbranch_execz .LBB1843_152
.LBB1843_137:                           ;   in Loop: Header=BB1843_66 Depth=2
	ds_read_u16 v20, v49 offset:1024
	s_waitcnt lgkmcnt(0)
	v_cmp_ne_u16_e64 s[52:53], s68, v20
	v_cndmask_b32_e64 v20, v66, v20, s[52:53]
	v_lshrrev_b32_sdwa v20, s77, v20 dst_sel:DWORD dst_unused:UNUSED_PAD src0_sel:DWORD src1_sel:WORD_0
	v_and_b32_e32 v80, s78, v20
	s_or_b64 exec, exec, s[62:63]
	s_and_saveexec_b64 s[62:63], s[36:37]
	s_cbranch_execnz .LBB1843_153
.LBB1843_138:                           ;   in Loop: Header=BB1843_66 Depth=2
	s_or_b64 exec, exec, s[62:63]
	s_and_saveexec_b64 s[62:63], s[38:39]
	s_cbranch_execz .LBB1843_154
.LBB1843_139:                           ;   in Loop: Header=BB1843_66 Depth=2
	ds_read_u16 v20, v50 offset:1024
	s_waitcnt lgkmcnt(0)
	v_cmp_ne_u16_e64 s[52:53], s68, v20
	v_cndmask_b32_e64 v20, v66, v20, s[52:53]
	v_lshrrev_b32_sdwa v20, s77, v20 dst_sel:DWORD dst_unused:UNUSED_PAD src0_sel:DWORD src1_sel:WORD_0
	v_and_b32_e32 v76, s78, v20
	s_or_b64 exec, exec, s[62:63]
	s_and_saveexec_b64 s[62:63], s[40:41]
	s_cbranch_execnz .LBB1843_155
.LBB1843_140:                           ;   in Loop: Header=BB1843_66 Depth=2
	s_or_b64 exec, exec, s[62:63]
	s_and_saveexec_b64 s[62:63], s[42:43]
	s_cbranch_execz .LBB1843_156
.LBB1843_141:                           ;   in Loop: Header=BB1843_66 Depth=2
	ds_read_u16 v20, v50 offset:2048
	s_waitcnt lgkmcnt(0)
	v_cmp_ne_u16_e64 s[52:53], s68, v20
	v_cndmask_b32_e64 v20, v66, v20, s[52:53]
	v_lshrrev_b32_sdwa v20, s77, v20 dst_sel:DWORD dst_unused:UNUSED_PAD src0_sel:DWORD src1_sel:WORD_0
	v_and_b32_e32 v73, s78, v20
	s_or_b64 exec, exec, s[62:63]
	s_and_saveexec_b64 s[62:63], s[44:45]
	s_cbranch_execnz .LBB1843_157
.LBB1843_142:                           ;   in Loop: Header=BB1843_66 Depth=2
	s_or_b64 exec, exec, s[62:63]
	s_and_saveexec_b64 s[62:63], s[46:47]
	s_cbranch_execz .LBB1843_158
.LBB1843_143:                           ;   in Loop: Header=BB1843_66 Depth=2
	ds_read_u16 v20, v50 offset:3072
	s_waitcnt lgkmcnt(0)
	v_cmp_ne_u16_e64 s[52:53], s68, v20
	v_cndmask_b32_e64 v20, v66, v20, s[52:53]
	v_lshrrev_b32_sdwa v20, s77, v20 dst_sel:DWORD dst_unused:UNUSED_PAD src0_sel:DWORD src1_sel:WORD_0
	v_and_b32_e32 v71, s78, v20
	s_or_b64 exec, exec, s[62:63]
	s_and_saveexec_b64 s[62:63], s[48:49]
	s_cbranch_execnz .LBB1843_159
	s_branch .LBB1843_160
.LBB1843_144:                           ;   in Loop: Header=BB1843_66 Depth=2
	s_or_b64 exec, exec, s[52:53]
	v_cmp_lt_u32_e64 s[52:53], v81, v93
	s_and_saveexec_b64 s[62:63], s[52:53]
	s_cbranch_execz .LBB1843_130
.LBB1843_145:                           ;   in Loop: Header=BB1843_66 Depth=2
	global_load_dwordx2 v[16:17], v[20:21], off offset:512
	s_or_b64 exec, exec, s[62:63]
	v_cmp_lt_u32_e64 s[52:53], v82, v93
	s_and_saveexec_b64 s[62:63], s[52:53]
	s_cbranch_execnz .LBB1843_131
.LBB1843_146:                           ;   in Loop: Header=BB1843_66 Depth=2
	s_or_b64 exec, exec, s[62:63]
	v_cmp_lt_u32_e64 s[52:53], v83, v93
	s_and_saveexec_b64 s[62:63], s[52:53]
	s_cbranch_execz .LBB1843_132
.LBB1843_147:                           ;   in Loop: Header=BB1843_66 Depth=2
	global_load_dwordx2 v[12:13], v[20:21], off offset:1536
	s_or_b64 exec, exec, s[62:63]
	v_cmp_lt_u32_e64 s[52:53], v84, v93
	s_and_saveexec_b64 s[62:63], s[52:53]
	s_cbranch_execnz .LBB1843_133
.LBB1843_148:                           ;   in Loop: Header=BB1843_66 Depth=2
	s_or_b64 exec, exec, s[62:63]
	v_cmp_lt_u32_e64 s[52:53], v85, v93
	s_and_saveexec_b64 s[62:63], s[52:53]
	s_cbranch_execz .LBB1843_134
.LBB1843_149:                           ;   in Loop: Header=BB1843_66 Depth=2
	global_load_dwordx2 v[8:9], v[20:21], off offset:2560
	s_or_b64 exec, exec, s[62:63]
	v_cmp_lt_u32_e64 s[52:53], v86, v93
	s_and_saveexec_b64 s[62:63], s[52:53]
	s_cbranch_execnz .LBB1843_135
.LBB1843_150:                           ;   in Loop: Header=BB1843_66 Depth=2
	s_or_b64 exec, exec, s[62:63]
	v_cmp_lt_u32_e64 s[52:53], v87, v93
	s_and_saveexec_b64 s[62:63], s[52:53]
	s_cbranch_execz .LBB1843_136
.LBB1843_151:                           ;   in Loop: Header=BB1843_66 Depth=2
	global_load_dwordx2 v[0:1], v[20:21], off offset:3584
	s_or_b64 exec, exec, s[62:63]
	s_and_saveexec_b64 s[62:63], vcc
	s_cbranch_execnz .LBB1843_137
.LBB1843_152:                           ;   in Loop: Header=BB1843_66 Depth=2
	s_or_b64 exec, exec, s[62:63]
	s_and_saveexec_b64 s[62:63], s[36:37]
	s_cbranch_execz .LBB1843_138
.LBB1843_153:                           ;   in Loop: Header=BB1843_66 Depth=2
	ds_read_u16 v20, v50 offset:512
	s_waitcnt lgkmcnt(0)
	v_cmp_ne_u16_e64 s[52:53], s68, v20
	v_cndmask_b32_e64 v20, v66, v20, s[52:53]
	v_lshrrev_b32_sdwa v20, s77, v20 dst_sel:DWORD dst_unused:UNUSED_PAD src0_sel:DWORD src1_sel:WORD_0
	v_and_b32_e32 v78, s78, v20
	s_or_b64 exec, exec, s[62:63]
	s_and_saveexec_b64 s[62:63], s[38:39]
	s_cbranch_execnz .LBB1843_139
.LBB1843_154:                           ;   in Loop: Header=BB1843_66 Depth=2
	s_or_b64 exec, exec, s[62:63]
	s_and_saveexec_b64 s[62:63], s[40:41]
	s_cbranch_execz .LBB1843_140
.LBB1843_155:                           ;   in Loop: Header=BB1843_66 Depth=2
	ds_read_u16 v20, v50 offset:1536
	s_waitcnt lgkmcnt(0)
	v_cmp_ne_u16_e64 s[52:53], s68, v20
	v_cndmask_b32_e64 v20, v66, v20, s[52:53]
	v_lshrrev_b32_sdwa v20, s77, v20 dst_sel:DWORD dst_unused:UNUSED_PAD src0_sel:DWORD src1_sel:WORD_0
	v_and_b32_e32 v75, s78, v20
	s_or_b64 exec, exec, s[62:63]
	s_and_saveexec_b64 s[62:63], s[42:43]
	s_cbranch_execnz .LBB1843_141
.LBB1843_156:                           ;   in Loop: Header=BB1843_66 Depth=2
	s_or_b64 exec, exec, s[62:63]
	s_and_saveexec_b64 s[62:63], s[44:45]
	s_cbranch_execz .LBB1843_142
.LBB1843_157:                           ;   in Loop: Header=BB1843_66 Depth=2
	ds_read_u16 v20, v50 offset:2560
	s_waitcnt lgkmcnt(0)
	v_cmp_ne_u16_e64 s[52:53], s68, v20
	v_cndmask_b32_e64 v20, v66, v20, s[52:53]
	v_lshrrev_b32_sdwa v20, s77, v20 dst_sel:DWORD dst_unused:UNUSED_PAD src0_sel:DWORD src1_sel:WORD_0
	v_and_b32_e32 v72, s78, v20
	s_or_b64 exec, exec, s[62:63]
	s_and_saveexec_b64 s[62:63], s[46:47]
	s_cbranch_execnz .LBB1843_143
.LBB1843_158:                           ;   in Loop: Header=BB1843_66 Depth=2
	s_or_b64 exec, exec, s[62:63]
	s_and_saveexec_b64 s[62:63], s[48:49]
	s_cbranch_execz .LBB1843_160
.LBB1843_159:                           ;   in Loop: Header=BB1843_66 Depth=2
	ds_read_u16 v20, v50 offset:3584
	s_waitcnt lgkmcnt(0)
	v_cmp_ne_u16_e64 s[52:53], s68, v20
	v_cndmask_b32_e64 v20, v66, v20, s[52:53]
	v_lshrrev_b32_sdwa v20, s77, v20 dst_sel:DWORD dst_unused:UNUSED_PAD src0_sel:DWORD src1_sel:WORD_0
	v_and_b32_e32 v70, s78, v20
.LBB1843_160:                           ;   in Loop: Header=BB1843_66 Depth=2
	s_or_b64 exec, exec, s[62:63]
	v_lshlrev_b32_e32 v20, 3, v103
	s_barrier
	s_waitcnt vmcnt(0)
	ds_write_b64 v20, v[18:19] offset:1024
	v_lshlrev_b32_e32 v20, 3, v100
	ds_write_b64 v20, v[16:17] offset:1024
	v_lshlrev_b32_e32 v20, 3, v99
	;; [unrolled: 2-line block ×7, first 2 shown]
	ds_write_b64 v20, v[0:1] offset:1024
	s_waitcnt lgkmcnt(0)
	s_barrier
	s_and_saveexec_b64 s[52:53], vcc
	s_cbranch_execz .LBB1843_168
; %bb.161:                              ;   in Loop: Header=BB1843_66 Depth=2
	v_lshlrev_b32_e32 v20, 2, v80
	ds_read_b32 v20, v20
	v_add_u32_e32 v22, v49, v51
	ds_read_b64 v[22:23], v22 offset:1024
	v_mov_b32_e32 v21, v4
	v_mov_b32_e32 v93, s65
	s_waitcnt lgkmcnt(1)
	v_add_u32_e32 v20, v20, v2
	v_lshlrev_b64 v[20:21], 3, v[20:21]
	v_add_co_u32_e32 v20, vcc, s64, v20
	v_addc_co_u32_e32 v21, vcc, v93, v21, vcc
	s_waitcnt lgkmcnt(0)
	global_store_dwordx2 v[20:21], v[22:23], off
	s_or_b64 exec, exec, s[52:53]
	s_and_saveexec_b64 s[52:53], s[36:37]
	s_cbranch_execnz .LBB1843_169
.LBB1843_162:                           ;   in Loop: Header=BB1843_66 Depth=2
	s_or_b64 exec, exec, s[52:53]
	s_and_saveexec_b64 s[36:37], s[38:39]
	s_cbranch_execz .LBB1843_170
.LBB1843_163:                           ;   in Loop: Header=BB1843_66 Depth=2
	v_lshlrev_b32_e32 v20, 2, v76
	ds_read_b32 v22, v20
	v_add_u32_e32 v20, v50, v51
	ds_read_b64 v[20:21], v20 offset:4096
	v_mov_b32_e32 v23, v4
	v_mov_b32_e32 v93, s65
	s_waitcnt lgkmcnt(1)
	v_add_u32_e32 v22, v22, v25
	v_lshlrev_b64 v[22:23], 3, v[22:23]
	v_add_co_u32_e32 v22, vcc, s64, v22
	v_addc_co_u32_e32 v23, vcc, v93, v23, vcc
	s_waitcnt lgkmcnt(0)
	global_store_dwordx2 v[22:23], v[20:21], off
	s_or_b64 exec, exec, s[36:37]
	s_and_saveexec_b64 s[36:37], s[40:41]
	s_cbranch_execnz .LBB1843_171
.LBB1843_164:                           ;   in Loop: Header=BB1843_66 Depth=2
	s_or_b64 exec, exec, s[36:37]
	s_and_saveexec_b64 s[36:37], s[42:43]
	s_cbranch_execz .LBB1843_172
.LBB1843_165:                           ;   in Loop: Header=BB1843_66 Depth=2
	v_lshlrev_b32_e32 v20, 2, v73
	ds_read_b32 v22, v20
	v_add_u32_e32 v20, v50, v51
	ds_read_b64 v[20:21], v20 offset:8192
	v_mov_b32_e32 v23, v4
	v_mov_b32_e32 v93, s65
	s_waitcnt lgkmcnt(1)
	v_add_u32_e32 v22, v22, v29
	v_lshlrev_b64 v[22:23], 3, v[22:23]
	v_add_co_u32_e32 v22, vcc, s64, v22
	v_addc_co_u32_e32 v23, vcc, v93, v23, vcc
	s_waitcnt lgkmcnt(0)
	global_store_dwordx2 v[22:23], v[20:21], off
	s_or_b64 exec, exec, s[36:37]
	s_and_saveexec_b64 s[36:37], s[44:45]
	s_cbranch_execnz .LBB1843_173
.LBB1843_166:                           ;   in Loop: Header=BB1843_66 Depth=2
	s_or_b64 exec, exec, s[36:37]
	s_and_saveexec_b64 s[36:37], s[46:47]
	s_cbranch_execz .LBB1843_174
.LBB1843_167:                           ;   in Loop: Header=BB1843_66 Depth=2
	v_lshlrev_b32_e32 v20, 2, v71
	ds_read_b32 v22, v20
	v_add_u32_e32 v20, v50, v51
	ds_read_b64 v[20:21], v20 offset:12288
	v_mov_b32_e32 v23, v4
	v_mov_b32_e32 v93, s65
	s_waitcnt lgkmcnt(1)
	v_add_u32_e32 v22, v22, v31
	v_lshlrev_b64 v[22:23], 3, v[22:23]
	v_add_co_u32_e32 v22, vcc, s64, v22
	v_addc_co_u32_e32 v23, vcc, v93, v23, vcc
	s_waitcnt lgkmcnt(0)
	global_store_dwordx2 v[22:23], v[20:21], off
	s_or_b64 exec, exec, s[36:37]
	s_and_saveexec_b64 s[36:37], s[48:49]
	s_cbranch_execnz .LBB1843_175
	s_branch .LBB1843_176
.LBB1843_168:                           ;   in Loop: Header=BB1843_66 Depth=2
	s_or_b64 exec, exec, s[52:53]
	s_and_saveexec_b64 s[52:53], s[36:37]
	s_cbranch_execz .LBB1843_162
.LBB1843_169:                           ;   in Loop: Header=BB1843_66 Depth=2
	v_lshlrev_b32_e32 v20, 2, v78
	ds_read_b32 v22, v20
	v_add_u32_e32 v20, v50, v51
	ds_read_b64 v[20:21], v20 offset:2048
	v_mov_b32_e32 v23, v4
	v_mov_b32_e32 v93, s65
	s_waitcnt lgkmcnt(1)
	v_add_u32_e32 v22, v22, v24
	v_lshlrev_b64 v[22:23], 3, v[22:23]
	v_add_co_u32_e32 v22, vcc, s64, v22
	v_addc_co_u32_e32 v23, vcc, v93, v23, vcc
	s_waitcnt lgkmcnt(0)
	global_store_dwordx2 v[22:23], v[20:21], off
	s_or_b64 exec, exec, s[52:53]
	s_and_saveexec_b64 s[36:37], s[38:39]
	s_cbranch_execnz .LBB1843_163
.LBB1843_170:                           ;   in Loop: Header=BB1843_66 Depth=2
	s_or_b64 exec, exec, s[36:37]
	s_and_saveexec_b64 s[36:37], s[40:41]
	s_cbranch_execz .LBB1843_164
.LBB1843_171:                           ;   in Loop: Header=BB1843_66 Depth=2
	v_lshlrev_b32_e32 v20, 2, v75
	ds_read_b32 v22, v20
	v_add_u32_e32 v20, v50, v51
	ds_read_b64 v[20:21], v20 offset:6144
	v_mov_b32_e32 v23, v4
	v_mov_b32_e32 v93, s65
	s_waitcnt lgkmcnt(1)
	v_add_u32_e32 v22, v22, v26
	v_lshlrev_b64 v[22:23], 3, v[22:23]
	v_add_co_u32_e32 v22, vcc, s64, v22
	v_addc_co_u32_e32 v23, vcc, v93, v23, vcc
	s_waitcnt lgkmcnt(0)
	global_store_dwordx2 v[22:23], v[20:21], off
	s_or_b64 exec, exec, s[36:37]
	s_and_saveexec_b64 s[36:37], s[42:43]
	s_cbranch_execnz .LBB1843_165
.LBB1843_172:                           ;   in Loop: Header=BB1843_66 Depth=2
	s_or_b64 exec, exec, s[36:37]
	s_and_saveexec_b64 s[36:37], s[44:45]
	s_cbranch_execz .LBB1843_166
.LBB1843_173:                           ;   in Loop: Header=BB1843_66 Depth=2
	v_lshlrev_b32_e32 v20, 2, v72
	ds_read_b32 v22, v20
	v_add_u32_e32 v20, v50, v51
	ds_read_b64 v[20:21], v20 offset:10240
	v_mov_b32_e32 v23, v4
	v_mov_b32_e32 v93, s65
	s_waitcnt lgkmcnt(1)
	v_add_u32_e32 v22, v22, v30
	v_lshlrev_b64 v[22:23], 3, v[22:23]
	v_add_co_u32_e32 v22, vcc, s64, v22
	v_addc_co_u32_e32 v23, vcc, v93, v23, vcc
	s_waitcnt lgkmcnt(0)
	global_store_dwordx2 v[22:23], v[20:21], off
	s_or_b64 exec, exec, s[36:37]
	s_and_saveexec_b64 s[36:37], s[46:47]
	s_cbranch_execnz .LBB1843_167
.LBB1843_174:                           ;   in Loop: Header=BB1843_66 Depth=2
	s_or_b64 exec, exec, s[36:37]
	s_and_saveexec_b64 s[36:37], s[48:49]
	s_cbranch_execz .LBB1843_176
.LBB1843_175:                           ;   in Loop: Header=BB1843_66 Depth=2
	v_lshlrev_b32_e32 v20, 2, v70
	ds_read_b32 v22, v20
	v_add_u32_e32 v20, v50, v51
	ds_read_b64 v[20:21], v20 offset:14336
	v_mov_b32_e32 v23, v4
	v_mov_b32_e32 v93, s65
	s_waitcnt lgkmcnt(1)
	v_add_u32_e32 v22, v22, v32
	v_lshlrev_b64 v[22:23], 3, v[22:23]
	v_add_co_u32_e32 v22, vcc, s64, v22
	v_addc_co_u32_e32 v23, vcc, v93, v23, vcc
	s_waitcnt lgkmcnt(0)
	global_store_dwordx2 v[22:23], v[20:21], off
.LBB1843_176:                           ;   in Loop: Header=BB1843_66 Depth=2
	s_or_b64 exec, exec, s[36:37]
	s_barrier
	s_and_saveexec_b64 s[36:37], s[4:5]
	s_cbranch_execz .LBB1843_65
; %bb.177:                              ;   in Loop: Header=BB1843_66 Depth=2
	ds_read_b32 v20, v3
	s_waitcnt lgkmcnt(0)
	v_add_u32_e32 v5, v20, v5
	ds_write_b32 v3, v5
	s_branch .LBB1843_65
.LBB1843_178:                           ;   in Loop: Header=BB1843_12 Depth=1
	s_waitcnt lgkmcnt(0)
	s_barrier
	s_mov_b64 s[16:17], 0
.LBB1843_179:                           ;   in Loop: Header=BB1843_12 Depth=1
	s_and_b64 vcc, exec, s[16:17]
	s_cbranch_vccz .LBB1843_345
; %bb.180:                              ;   in Loop: Header=BB1843_12 Depth=1
	s_mov_b32 s22, s71
	s_mov_b32 s72, s51
	s_barrier
	s_waitcnt lgkmcnt(0)
                                        ; implicit-def: $vgpr12
                                        ; implicit-def: $vgpr5
                                        ; implicit-def: $vgpr6
                                        ; implicit-def: $vgpr7
                                        ; implicit-def: $vgpr8
                                        ; implicit-def: $vgpr9
                                        ; implicit-def: $vgpr10
                                        ; implicit-def: $vgpr11
	s_branch .LBB1843_182
.LBB1843_181:                           ;   in Loop: Header=BB1843_182 Depth=2
	s_or_b64 exec, exec, s[16:17]
	s_addk_i32 s22, 0xf800
	s_cmp_ge_u32 s23, s76
	s_mov_b32 s72, s23
	s_cbranch_scc1 .LBB1843_220
.LBB1843_182:                           ;   Parent Loop BB1843_12 Depth=1
                                        ; =>  This Inner Loop Header: Depth=2
	s_add_i32 s23, s72, 0x800
	s_cmp_gt_u32 s23, s76
	s_cbranch_scc1 .LBB1843_185
; %bb.183:                              ;   in Loop: Header=BB1843_182 Depth=2
	s_lshl_b64 s[16:17], s[72:73], 1
	v_mov_b32_e32 v1, s17
	v_add_co_u32_e32 v0, vcc, s16, v52
	v_addc_co_u32_e32 v1, vcc, v53, v1, vcc
	global_load_ushort v14, v[0:1], off
	global_load_ushort v15, v[0:1], off offset:512
	global_load_ushort v16, v[0:1], off offset:1024
	;; [unrolled: 1-line block ×6, first 2 shown]
	v_add_co_u32_e32 v0, vcc, 0xe00, v0
	v_addc_co_u32_e32 v1, vcc, 0, v1, vcc
	s_mov_b64 s[16:17], -1
	s_movk_i32 s24, 0x800
	s_cbranch_execz .LBB1843_186
; %bb.184:                              ;   in Loop: Header=BB1843_182 Depth=2
                                        ; implicit-def: $vgpr11
                                        ; implicit-def: $vgpr10
                                        ; implicit-def: $vgpr9
                                        ; implicit-def: $vgpr8
                                        ; implicit-def: $vgpr7
                                        ; implicit-def: $vgpr6
                                        ; implicit-def: $vgpr5
                                        ; implicit-def: $vgpr12
	v_mov_b32_e32 v13, s22
	s_and_saveexec_b64 s[18:19], s[16:17]
	s_cbranch_execnz .LBB1843_197
	s_branch .LBB1843_198
.LBB1843_185:                           ;   in Loop: Header=BB1843_182 Depth=2
	s_mov_b64 s[16:17], 0
                                        ; implicit-def: $sgpr24
                                        ; implicit-def: $vgpr14
                                        ; implicit-def: $vgpr15
                                        ; implicit-def: $vgpr16
                                        ; implicit-def: $vgpr17
                                        ; implicit-def: $vgpr18
                                        ; implicit-def: $vgpr19
                                        ; implicit-def: $vgpr20
                                        ; implicit-def: $vgpr0_vgpr1
.LBB1843_186:                           ;   in Loop: Header=BB1843_182 Depth=2
	s_lshl_b64 s[18:19], s[72:73], 1
	s_add_u32 s18, s58, s18
	s_addc_u32 s19, s59, s19
	v_cmp_gt_u32_e32 vcc, s22, v2
	s_and_saveexec_b64 s[20:21], vcc
	s_cbranch_execz .LBB1843_214
; %bb.187:                              ;   in Loop: Header=BB1843_182 Depth=2
	global_load_ushort v11, v65, s[18:19]
	s_or_b64 exec, exec, s[20:21]
	v_cmp_gt_u32_e32 vcc, s22, v24
	s_and_saveexec_b64 s[20:21], vcc
	s_cbranch_execnz .LBB1843_215
.LBB1843_188:                           ;   in Loop: Header=BB1843_182 Depth=2
	s_or_b64 exec, exec, s[20:21]
	v_cmp_gt_u32_e32 vcc, s22, v25
	s_and_saveexec_b64 s[20:21], vcc
	s_cbranch_execz .LBB1843_216
.LBB1843_189:                           ;   in Loop: Header=BB1843_182 Depth=2
	global_load_ushort v9, v65, s[18:19] offset:1024
	s_or_b64 exec, exec, s[20:21]
	v_cmp_gt_u32_e32 vcc, s22, v26
	s_and_saveexec_b64 s[20:21], vcc
	s_cbranch_execnz .LBB1843_217
.LBB1843_190:                           ;   in Loop: Header=BB1843_182 Depth=2
	s_or_b64 exec, exec, s[20:21]
	v_cmp_gt_u32_e32 vcc, s22, v29
	s_and_saveexec_b64 s[20:21], vcc
	s_cbranch_execz .LBB1843_218
.LBB1843_191:                           ;   in Loop: Header=BB1843_182 Depth=2
	global_load_ushort v7, v65, s[18:19] offset:2048
	s_or_b64 exec, exec, s[20:21]
	v_cmp_gt_u32_e32 vcc, s22, v30
	s_and_saveexec_b64 s[20:21], vcc
	s_cbranch_execnz .LBB1843_219
.LBB1843_192:                           ;   in Loop: Header=BB1843_182 Depth=2
	s_or_b64 exec, exec, s[20:21]
	v_cmp_gt_u32_e32 vcc, s22, v31
	s_and_saveexec_b64 s[20:21], vcc
	s_cbranch_execz .LBB1843_194
.LBB1843_193:                           ;   in Loop: Header=BB1843_182 Depth=2
	global_load_ushort v5, v65, s[18:19] offset:3072
.LBB1843_194:                           ;   in Loop: Header=BB1843_182 Depth=2
	s_or_b64 exec, exec, s[20:21]
	v_cmp_gt_u32_e32 vcc, s22, v32
                                        ; implicit-def: $sgpr24
                                        ; implicit-def: $vgpr0_vgpr1
	s_and_saveexec_b64 s[20:21], vcc
	s_cbranch_execz .LBB1843_196
; %bb.195:                              ;   in Loop: Header=BB1843_182 Depth=2
	v_mov_b32_e32 v0, s19
	v_add_co_u32_e32 v1, vcc, s18, v65
	s_waitcnt vmcnt(0)
	v_addc_co_u32_e32 v12, vcc, 0, v0, vcc
	v_add_co_u32_e32 v0, vcc, 0xe00, v1
	s_sub_i32 s24, s76, s72
	v_addc_co_u32_e32 v1, vcc, 0, v12, vcc
	s_or_b64 s[16:17], s[16:17], exec
                                        ; implicit-def: $vgpr12
.LBB1843_196:                           ;   in Loop: Header=BB1843_182 Depth=2
	s_or_b64 exec, exec, s[20:21]
	s_waitcnt vmcnt(0)
	v_mov_b32_e32 v14, v11
	v_mov_b32_e32 v15, v10
	;; [unrolled: 1-line block ×8, first 2 shown]
	s_and_saveexec_b64 s[18:19], s[16:17]
	s_cbranch_execz .LBB1843_198
.LBB1843_197:                           ;   in Loop: Header=BB1843_182 Depth=2
	global_load_ushort v12, v[0:1], off
	v_mov_b32_e32 v13, s24
	s_waitcnt vmcnt(1)
	v_mov_b32_e32 v5, v20
	v_mov_b32_e32 v6, v19
	;; [unrolled: 1-line block ×7, first 2 shown]
.LBB1843_198:                           ;   in Loop: Header=BB1843_182 Depth=2
	s_or_b64 exec, exec, s[18:19]
	v_cmp_lt_u32_e32 vcc, v2, v13
	s_and_saveexec_b64 s[16:17], vcc
	s_cbranch_execz .LBB1843_206
; %bb.199:                              ;   in Loop: Header=BB1843_182 Depth=2
	v_cmp_lt_i16_e32 vcc, -1, v11
	v_cndmask_b32_e32 v0, -1, v66, vcc
	v_xor_b32_e32 v0, v0, v11
	v_cmp_ne_u16_e32 vcc, s68, v0
	v_cndmask_b32_e32 v0, v66, v0, vcc
	v_lshrrev_b32_sdwa v0, s77, v0 dst_sel:DWORD dst_unused:UNUSED_PAD src0_sel:DWORD src1_sel:WORD_0
	v_and_b32_e32 v0, s78, v0
	v_lshl_or_b32 v0, v0, 4, v67
	ds_add_u32 v0, v64
	s_or_b64 exec, exec, s[16:17]
	v_cmp_lt_u32_e32 vcc, v24, v13
	s_and_saveexec_b64 s[16:17], vcc
	s_cbranch_execnz .LBB1843_207
.LBB1843_200:                           ;   in Loop: Header=BB1843_182 Depth=2
	s_or_b64 exec, exec, s[16:17]
	v_cmp_lt_u32_e32 vcc, v25, v13
	s_and_saveexec_b64 s[16:17], vcc
	s_cbranch_execz .LBB1843_208
.LBB1843_201:                           ;   in Loop: Header=BB1843_182 Depth=2
	v_cmp_lt_i16_e32 vcc, -1, v9
	v_cndmask_b32_e32 v0, -1, v66, vcc
	v_xor_b32_e32 v0, v0, v9
	v_cmp_ne_u16_e32 vcc, s68, v0
	v_cndmask_b32_e32 v0, v66, v0, vcc
	v_lshrrev_b32_sdwa v0, s77, v0 dst_sel:DWORD dst_unused:UNUSED_PAD src0_sel:DWORD src1_sel:WORD_0
	v_and_b32_e32 v0, s78, v0
	v_lshl_or_b32 v0, v0, 4, v67
	ds_add_u32 v0, v64
	s_or_b64 exec, exec, s[16:17]
	v_cmp_lt_u32_e32 vcc, v26, v13
	s_and_saveexec_b64 s[16:17], vcc
	s_cbranch_execnz .LBB1843_209
.LBB1843_202:                           ;   in Loop: Header=BB1843_182 Depth=2
	s_or_b64 exec, exec, s[16:17]
	v_cmp_lt_u32_e32 vcc, v29, v13
	s_and_saveexec_b64 s[16:17], vcc
	s_cbranch_execz .LBB1843_210
.LBB1843_203:                           ;   in Loop: Header=BB1843_182 Depth=2
	v_cmp_lt_i16_e32 vcc, -1, v7
	v_cndmask_b32_e32 v0, -1, v66, vcc
	v_xor_b32_e32 v0, v0, v7
	v_cmp_ne_u16_e32 vcc, s68, v0
	v_cndmask_b32_e32 v0, v66, v0, vcc
	v_lshrrev_b32_sdwa v0, s77, v0 dst_sel:DWORD dst_unused:UNUSED_PAD src0_sel:DWORD src1_sel:WORD_0
	v_and_b32_e32 v0, s78, v0
	v_lshl_or_b32 v0, v0, 4, v67
	ds_add_u32 v0, v64
	s_or_b64 exec, exec, s[16:17]
	v_cmp_lt_u32_e32 vcc, v30, v13
	s_and_saveexec_b64 s[16:17], vcc
	s_cbranch_execnz .LBB1843_211
.LBB1843_204:                           ;   in Loop: Header=BB1843_182 Depth=2
	s_or_b64 exec, exec, s[16:17]
	v_cmp_lt_u32_e32 vcc, v31, v13
	s_and_saveexec_b64 s[16:17], vcc
	s_cbranch_execz .LBB1843_212
.LBB1843_205:                           ;   in Loop: Header=BB1843_182 Depth=2
	v_cmp_lt_i16_e32 vcc, -1, v5
	v_cndmask_b32_e32 v0, -1, v66, vcc
	v_xor_b32_e32 v0, v0, v5
	v_cmp_ne_u16_e32 vcc, s68, v0
	v_cndmask_b32_e32 v0, v66, v0, vcc
	v_lshrrev_b32_sdwa v0, s77, v0 dst_sel:DWORD dst_unused:UNUSED_PAD src0_sel:DWORD src1_sel:WORD_0
	v_and_b32_e32 v0, s78, v0
	v_lshl_or_b32 v0, v0, 4, v67
	ds_add_u32 v0, v64
	s_or_b64 exec, exec, s[16:17]
	v_cmp_lt_u32_e32 vcc, v32, v13
	s_and_saveexec_b64 s[16:17], vcc
	s_cbranch_execz .LBB1843_181
	s_branch .LBB1843_213
.LBB1843_206:                           ;   in Loop: Header=BB1843_182 Depth=2
	s_or_b64 exec, exec, s[16:17]
	v_cmp_lt_u32_e32 vcc, v24, v13
	s_and_saveexec_b64 s[16:17], vcc
	s_cbranch_execz .LBB1843_200
.LBB1843_207:                           ;   in Loop: Header=BB1843_182 Depth=2
	v_cmp_lt_i16_e32 vcc, -1, v10
	v_cndmask_b32_e32 v0, -1, v66, vcc
	v_xor_b32_e32 v0, v0, v10
	v_cmp_ne_u16_e32 vcc, s68, v0
	v_cndmask_b32_e32 v0, v66, v0, vcc
	v_lshrrev_b32_sdwa v0, s77, v0 dst_sel:DWORD dst_unused:UNUSED_PAD src0_sel:DWORD src1_sel:WORD_0
	v_and_b32_e32 v0, s78, v0
	v_lshl_or_b32 v0, v0, 4, v67
	ds_add_u32 v0, v64
	s_or_b64 exec, exec, s[16:17]
	v_cmp_lt_u32_e32 vcc, v25, v13
	s_and_saveexec_b64 s[16:17], vcc
	s_cbranch_execnz .LBB1843_201
.LBB1843_208:                           ;   in Loop: Header=BB1843_182 Depth=2
	s_or_b64 exec, exec, s[16:17]
	v_cmp_lt_u32_e32 vcc, v26, v13
	s_and_saveexec_b64 s[16:17], vcc
	s_cbranch_execz .LBB1843_202
.LBB1843_209:                           ;   in Loop: Header=BB1843_182 Depth=2
	v_cmp_lt_i16_e32 vcc, -1, v8
	v_cndmask_b32_e32 v0, -1, v66, vcc
	v_xor_b32_e32 v0, v0, v8
	v_cmp_ne_u16_e32 vcc, s68, v0
	v_cndmask_b32_e32 v0, v66, v0, vcc
	v_lshrrev_b32_sdwa v0, s77, v0 dst_sel:DWORD dst_unused:UNUSED_PAD src0_sel:DWORD src1_sel:WORD_0
	v_and_b32_e32 v0, s78, v0
	v_lshl_or_b32 v0, v0, 4, v67
	ds_add_u32 v0, v64
	s_or_b64 exec, exec, s[16:17]
	v_cmp_lt_u32_e32 vcc, v29, v13
	s_and_saveexec_b64 s[16:17], vcc
	s_cbranch_execnz .LBB1843_203
.LBB1843_210:                           ;   in Loop: Header=BB1843_182 Depth=2
	s_or_b64 exec, exec, s[16:17]
	v_cmp_lt_u32_e32 vcc, v30, v13
	s_and_saveexec_b64 s[16:17], vcc
	s_cbranch_execz .LBB1843_204
.LBB1843_211:                           ;   in Loop: Header=BB1843_182 Depth=2
	v_cmp_lt_i16_e32 vcc, -1, v6
	v_cndmask_b32_e32 v0, -1, v66, vcc
	v_xor_b32_e32 v0, v0, v6
	v_cmp_ne_u16_e32 vcc, s68, v0
	v_cndmask_b32_e32 v0, v66, v0, vcc
	v_lshrrev_b32_sdwa v0, s77, v0 dst_sel:DWORD dst_unused:UNUSED_PAD src0_sel:DWORD src1_sel:WORD_0
	v_and_b32_e32 v0, s78, v0
	v_lshl_or_b32 v0, v0, 4, v67
	ds_add_u32 v0, v64
	s_or_b64 exec, exec, s[16:17]
	v_cmp_lt_u32_e32 vcc, v31, v13
	s_and_saveexec_b64 s[16:17], vcc
	s_cbranch_execnz .LBB1843_205
.LBB1843_212:                           ;   in Loop: Header=BB1843_182 Depth=2
	s_or_b64 exec, exec, s[16:17]
	v_cmp_lt_u32_e32 vcc, v32, v13
	s_and_saveexec_b64 s[16:17], vcc
	s_cbranch_execz .LBB1843_181
.LBB1843_213:                           ;   in Loop: Header=BB1843_182 Depth=2
	s_waitcnt vmcnt(0)
	v_cmp_lt_i16_e32 vcc, -1, v12
	v_cndmask_b32_e32 v0, -1, v66, vcc
	v_xor_b32_e32 v0, v0, v12
	v_cmp_ne_u16_e32 vcc, s68, v0
	v_cndmask_b32_e32 v0, v66, v0, vcc
	v_lshrrev_b32_sdwa v0, s77, v0 dst_sel:DWORD dst_unused:UNUSED_PAD src0_sel:DWORD src1_sel:WORD_0
	v_and_b32_e32 v0, s78, v0
	v_lshl_or_b32 v0, v0, 4, v67
	ds_add_u32 v0, v64
	s_branch .LBB1843_181
.LBB1843_214:                           ;   in Loop: Header=BB1843_182 Depth=2
	s_or_b64 exec, exec, s[20:21]
	v_cmp_gt_u32_e32 vcc, s22, v24
	s_and_saveexec_b64 s[20:21], vcc
	s_cbranch_execz .LBB1843_188
.LBB1843_215:                           ;   in Loop: Header=BB1843_182 Depth=2
	global_load_ushort v10, v65, s[18:19] offset:512
	s_or_b64 exec, exec, s[20:21]
	v_cmp_gt_u32_e32 vcc, s22, v25
	s_and_saveexec_b64 s[20:21], vcc
	s_cbranch_execnz .LBB1843_189
.LBB1843_216:                           ;   in Loop: Header=BB1843_182 Depth=2
	s_or_b64 exec, exec, s[20:21]
	v_cmp_gt_u32_e32 vcc, s22, v26
	s_and_saveexec_b64 s[20:21], vcc
	s_cbranch_execz .LBB1843_190
.LBB1843_217:                           ;   in Loop: Header=BB1843_182 Depth=2
	global_load_ushort v8, v65, s[18:19] offset:1536
	s_or_b64 exec, exec, s[20:21]
	v_cmp_gt_u32_e32 vcc, s22, v29
	s_and_saveexec_b64 s[20:21], vcc
	s_cbranch_execnz .LBB1843_191
.LBB1843_218:                           ;   in Loop: Header=BB1843_182 Depth=2
	s_or_b64 exec, exec, s[20:21]
	v_cmp_gt_u32_e32 vcc, s22, v30
	s_and_saveexec_b64 s[20:21], vcc
	s_cbranch_execz .LBB1843_192
.LBB1843_219:                           ;   in Loop: Header=BB1843_182 Depth=2
	global_load_ushort v6, v65, s[18:19] offset:2560
	s_or_b64 exec, exec, s[20:21]
	v_cmp_gt_u32_e32 vcc, s22, v31
	s_and_saveexec_b64 s[20:21], vcc
	s_cbranch_execz .LBB1843_194
	s_branch .LBB1843_193
.LBB1843_220:                           ;   in Loop: Header=BB1843_12 Depth=1
	v_mov_b32_e32 v0, 0
	s_waitcnt lgkmcnt(0)
	s_barrier
	s_and_saveexec_b64 s[16:17], s[4:5]
	s_cbranch_execz .LBB1843_222
; %bb.221:                              ;   in Loop: Header=BB1843_12 Depth=1
	ds_read2_b64 v[6:9], v33 offset1:1
	s_waitcnt lgkmcnt(0)
	v_add_u32_e32 v0, v7, v6
	v_add3_u32 v0, v0, v8, v9
.LBB1843_222:                           ;   in Loop: Header=BB1843_12 Depth=1
	s_or_b64 exec, exec, s[16:17]
	v_and_b32_e32 v1, 15, v68
	v_mov_b32_dpp v5, v0 row_shr:1 row_mask:0xf bank_mask:0xf
	v_cmp_eq_u32_e64 s[16:17], 0, v1
	v_cndmask_b32_e64 v5, v5, 0, s[16:17]
	v_add_u32_e32 v0, v5, v0
	v_cmp_lt_u32_e64 s[18:19], 1, v1
	v_cmp_lt_u32_e64 s[20:21], 3, v1
	v_mov_b32_dpp v5, v0 row_shr:2 row_mask:0xf bank_mask:0xf
	v_cndmask_b32_e64 v5, 0, v5, s[18:19]
	v_add_u32_e32 v0, v0, v5
	v_cmp_lt_u32_e64 s[22:23], 7, v1
	v_cmp_lt_u32_e64 s[26:27], 31, v68
	v_mov_b32_dpp v5, v0 row_shr:4 row_mask:0xf bank_mask:0xf
	v_cndmask_b32_e64 v5, 0, v5, s[20:21]
	v_add_u32_e32 v0, v0, v5
	v_and_b32_e32 v6, 16, v68
	v_cmp_eq_u32_e64 s[24:25], 0, v6
	v_mov_b32_dpp v5, v0 row_shr:8 row_mask:0xf bank_mask:0xf
	v_cndmask_b32_e64 v1, 0, v5, s[22:23]
	v_add_u32_e32 v0, v0, v1
	v_bfe_i32 v5, v68, 4, 1
	s_nop 0
	v_mov_b32_dpp v1, v0 row_bcast:15 row_mask:0xf bank_mask:0xf
	v_and_b32_e32 v1, v5, v1
	v_add_u32_e32 v0, v0, v1
	s_nop 1
	v_mov_b32_dpp v1, v0 row_bcast:31 row_mask:0xf bank_mask:0xf
	v_cndmask_b32_e64 v1, 0, v1, s[26:27]
	v_add_u32_e32 v1, v0, v1
	s_and_saveexec_b64 s[28:29], s[6:7]
	s_cbranch_execz .LBB1843_224
; %bb.223:                              ;   in Loop: Header=BB1843_12 Depth=1
	ds_write_b32 v35, v1
.LBB1843_224:                           ;   in Loop: Header=BB1843_12 Depth=1
	s_or_b64 exec, exec, s[28:29]
	v_and_b32_e32 v0, 3, v68
	s_waitcnt lgkmcnt(0)
	s_barrier
	s_and_saveexec_b64 s[28:29], s[8:9]
	s_cbranch_execz .LBB1843_226
; %bb.225:                              ;   in Loop: Header=BB1843_12 Depth=1
	ds_read_b32 v5, v36
	v_cmp_ne_u32_e32 vcc, 0, v0
	s_waitcnt lgkmcnt(0)
	v_mov_b32_dpp v6, v5 row_shr:1 row_mask:0xf bank_mask:0xf
	v_cndmask_b32_e32 v6, 0, v6, vcc
	v_add_u32_e32 v5, v6, v5
	v_cmp_lt_u32_e32 vcc, 1, v0
	s_nop 0
	v_mov_b32_dpp v6, v5 row_shr:2 row_mask:0xf bank_mask:0xf
	v_cndmask_b32_e32 v6, 0, v6, vcc
	v_add_u32_e32 v5, v5, v6
	ds_write_b32 v36, v5
.LBB1843_226:                           ;   in Loop: Header=BB1843_12 Depth=1
	s_or_b64 exec, exec, s[28:29]
	v_mov_b32_e32 v5, 0
	s_waitcnt lgkmcnt(0)
	s_barrier
	s_and_saveexec_b64 s[28:29], s[10:11]
	s_cbranch_execz .LBB1843_228
; %bb.227:                              ;   in Loop: Header=BB1843_12 Depth=1
	ds_read_b32 v5, v37
.LBB1843_228:                           ;   in Loop: Header=BB1843_12 Depth=1
	s_or_b64 exec, exec, s[28:29]
	v_add_u32_e32 v6, -1, v68
	v_and_b32_e32 v7, 64, v68
	v_cmp_lt_i32_e32 vcc, v6, v7
	v_cndmask_b32_e32 v6, v6, v68, vcc
	s_waitcnt lgkmcnt(0)
	v_add_u32_e32 v1, v5, v1
	v_lshlrev_b32_e32 v69, 2, v6
	ds_bpermute_b32 v1, v69, v1
	v_cmp_eq_u32_e64 s[28:29], 0, v68
	s_waitcnt lgkmcnt(0)
	s_barrier
	s_and_saveexec_b64 s[30:31], s[4:5]
	s_cbranch_execz .LBB1843_230
; %bb.229:                              ;   in Loop: Header=BB1843_12 Depth=1
	v_cndmask_b32_e64 v1, v1, v5, s[28:29]
	v_add_u32_e32 v1, s51, v1
	ds_write_b32 v3, v1
.LBB1843_230:                           ;   in Loop: Header=BB1843_12 Depth=1
	s_or_b64 exec, exec, s[30:31]
	s_load_dwordx2 s[30:31], s[74:75], 0x0
	v_and_b32_e32 v21, 63, v68
	v_lshlrev_b32_e32 v22, 3, v21
	v_add_co_u32_e32 v77, vcc, v54, v22
	s_waitcnt lgkmcnt(0)
	s_cmp_lt_u32 s50, s30
	s_cselect_b32 s34, 12, 18
	s_cmp_lt_u32 s33, s31
	s_cselect_b32 s30, 14, 20
	s_add_u32 s30, s74, s30
	s_addc_u32 s31, s75, 0
	s_add_u32 s34, s74, s34
	global_load_ushort v5, v4, s[30:31]
	s_addc_u32 s35, s75, 0
	global_load_ushort v20, v4, s[34:35]
	v_or_b32_e32 v74, v21, v38
	v_lshlrev_b32_e32 v21, 1, v21
	v_addc_co_u32_e32 v79, vcc, 0, v55, vcc
	v_add_co_u32_e32 v88, vcc, v56, v21
	v_addc_co_u32_e32 v89, vcc, 0, v57, vcc
	v_add_co_u32_e32 v90, vcc, 0x380, v88
	v_cmp_eq_u32_e64 s[30:31], 0, v0
	v_cmp_lt_u32_e64 s[34:35], 1, v0
	s_mov_b32 s79, s71
	v_or_b32_e32 v81, 64, v74
	v_or_b32_e32 v82, 0x80, v74
	;; [unrolled: 1-line block ×7, first 2 shown]
	v_addc_co_u32_e32 v91, vcc, 0, v89, vcc
	s_mov_b32 s72, s51
                                        ; implicit-def: $vgpr0_vgpr1
                                        ; implicit-def: $vgpr6_vgpr7
                                        ; implicit-def: $vgpr8_vgpr9
                                        ; implicit-def: $vgpr10_vgpr11
                                        ; implicit-def: $vgpr12_vgpr13
                                        ; implicit-def: $vgpr14_vgpr15
                                        ; implicit-def: $vgpr16_vgpr17
                                        ; implicit-def: $vgpr18_vgpr19
                                        ; implicit-def: $vgpr70
                                        ; implicit-def: $vgpr71
                                        ; implicit-def: $vgpr72
                                        ; implicit-def: $vgpr73
                                        ; implicit-def: $vgpr75
                                        ; implicit-def: $vgpr76
                                        ; implicit-def: $vgpr78
                                        ; implicit-def: $vgpr80
	s_waitcnt vmcnt(1)
	v_mad_u32_u24 v5, v39, v5, v40
	s_waitcnt vmcnt(0)
	v_mad_u64_u32 v[20:21], s[36:37], v5, v20, v[2:3]
	v_lshrrev_b32_e32 v92, 6, v20
	s_branch .LBB1843_232
.LBB1843_231:                           ;   in Loop: Header=BB1843_232 Depth=2
	s_or_b64 exec, exec, s[36:37]
	s_addk_i32 s79, 0xf800
	s_cmp_lt_u32 s80, s76
	s_mov_b32 s72, s80
	s_cbranch_scc0 .LBB1843_344
.LBB1843_232:                           ;   Parent Loop BB1843_12 Depth=1
                                        ; =>  This Inner Loop Header: Depth=2
	s_add_i32 s80, s72, 0x800
	s_cmp_gt_u32 s80, s76
	s_cbranch_scc1 .LBB1843_235
; %bb.233:                              ;   in Loop: Header=BB1843_232 Depth=2
	s_lshl_b64 s[36:37], s[72:73], 1
	v_mov_b32_e32 v5, s37
	v_add_co_u32_e32 v20, vcc, s36, v88
	v_addc_co_u32_e32 v21, vcc, v89, v5, vcc
	global_load_ushort v5, v[20:21], off
	global_load_ushort v97, v[20:21], off offset:128
	global_load_ushort v101, v[20:21], off offset:256
	;; [unrolled: 1-line block ×6, first 2 shown]
	s_mov_b64 s[36:37], -1
	s_movk_i32 s40, 0x800
	s_cbranch_execz .LBB1843_236
; %bb.234:                              ;   in Loop: Header=BB1843_232 Depth=2
                                        ; implicit-def: $sgpr38
	v_mov_b32_e32 v23, s38
	v_mov_b32_e32 v93, s79
	s_and_saveexec_b64 s[38:39], s[36:37]
	s_cbranch_execnz .LBB1843_251
	s_branch .LBB1843_252
.LBB1843_235:                           ;   in Loop: Header=BB1843_232 Depth=2
	s_mov_b64 s[36:37], 0
                                        ; implicit-def: $sgpr40
                                        ; implicit-def: $vgpr5
                                        ; implicit-def: $vgpr97
                                        ; implicit-def: $vgpr101
                                        ; implicit-def: $vgpr106
                                        ; implicit-def: $vgpr109
                                        ; implicit-def: $vgpr104
                                        ; implicit-def: $vgpr22
.LBB1843_236:                           ;   in Loop: Header=BB1843_232 Depth=2
	s_lshl_b64 s[36:37], s[72:73], 1
	s_waitcnt vmcnt(6)
	v_mov_b32_e32 v5, s37
	v_add_co_u32_e32 v20, vcc, s36, v88
	v_addc_co_u32_e32 v21, vcc, v89, v5, vcc
	v_cmp_gt_u32_e32 vcc, s79, v74
	s_waitcnt vmcnt(5)
	v_mov_b32_e32 v97, 0x7fff
	v_mov_b32_e32 v5, 0x7fff
	s_and_saveexec_b64 s[36:37], vcc
	s_cbranch_execz .LBB1843_238
; %bb.237:                              ;   in Loop: Header=BB1843_232 Depth=2
	global_load_ushort v5, v[20:21], off
.LBB1843_238:                           ;   in Loop: Header=BB1843_232 Depth=2
	s_or_b64 exec, exec, s[36:37]
	v_cmp_gt_u32_e32 vcc, s79, v81
	s_and_saveexec_b64 s[36:37], vcc
	s_cbranch_execz .LBB1843_240
; %bb.239:                              ;   in Loop: Header=BB1843_232 Depth=2
	global_load_ushort v97, v[20:21], off offset:128
.LBB1843_240:                           ;   in Loop: Header=BB1843_232 Depth=2
	s_or_b64 exec, exec, s[36:37]
	v_cmp_gt_u32_e32 vcc, s79, v82
	s_waitcnt vmcnt(3)
	v_mov_b32_e32 v106, 0x7fff
	v_mov_b32_e32 v101, 0x7fff
	s_and_saveexec_b64 s[36:37], vcc
	s_cbranch_execz .LBB1843_242
; %bb.241:                              ;   in Loop: Header=BB1843_232 Depth=2
	global_load_ushort v101, v[20:21], off offset:256
.LBB1843_242:                           ;   in Loop: Header=BB1843_232 Depth=2
	s_or_b64 exec, exec, s[36:37]
	v_cmp_gt_u32_e32 vcc, s79, v83
	s_and_saveexec_b64 s[36:37], vcc
	s_cbranch_execz .LBB1843_244
; %bb.243:                              ;   in Loop: Header=BB1843_232 Depth=2
	global_load_ushort v106, v[20:21], off offset:384
.LBB1843_244:                           ;   in Loop: Header=BB1843_232 Depth=2
	s_or_b64 exec, exec, s[36:37]
	v_cmp_gt_u32_e32 vcc, s79, v84
	s_waitcnt vmcnt(1)
	v_mov_b32_e32 v104, 0x7fff
	v_mov_b32_e32 v109, 0x7fff
	s_and_saveexec_b64 s[36:37], vcc
	s_cbranch_execz .LBB1843_246
; %bb.245:                              ;   in Loop: Header=BB1843_232 Depth=2
	global_load_ushort v109, v[20:21], off offset:512
.LBB1843_246:                           ;   in Loop: Header=BB1843_232 Depth=2
	s_or_b64 exec, exec, s[36:37]
	v_cmp_gt_u32_e32 vcc, s79, v85
	s_and_saveexec_b64 s[36:37], vcc
	s_cbranch_execz .LBB1843_248
; %bb.247:                              ;   in Loop: Header=BB1843_232 Depth=2
	global_load_ushort v104, v[20:21], off offset:640
.LBB1843_248:                           ;   in Loop: Header=BB1843_232 Depth=2
	s_or_b64 exec, exec, s[36:37]
	v_cmp_gt_u32_e32 vcc, s79, v86
	s_waitcnt vmcnt(0)
	v_mov_b32_e32 v22, 0x7fff
	s_and_saveexec_b64 s[36:37], vcc
	s_cbranch_execz .LBB1843_250
; %bb.249:                              ;   in Loop: Header=BB1843_232 Depth=2
	global_load_ushort v22, v[20:21], off offset:768
.LBB1843_250:                           ;   in Loop: Header=BB1843_232 Depth=2
	s_or_b64 exec, exec, s[36:37]
	s_sub_i32 s40, s76, s72
	v_cmp_gt_u32_e64 s[36:37], s79, v87
	s_movk_i32 s38, 0x7fff
	v_mov_b32_e32 v23, s38
	v_mov_b32_e32 v93, s79
	s_and_saveexec_b64 s[38:39], s[36:37]
	s_cbranch_execz .LBB1843_252
.LBB1843_251:                           ;   in Loop: Header=BB1843_232 Depth=2
	s_lshl_b64 s[36:37], s[72:73], 1
	v_mov_b32_e32 v21, s37
	v_add_co_u32_e32 v20, vcc, s36, v90
	v_addc_co_u32_e32 v21, vcc, v91, v21, vcc
	global_load_ushort v23, v[20:21], off
	v_mov_b32_e32 v93, s40
.LBB1843_252:                           ;   in Loop: Header=BB1843_232 Depth=2
	s_or_b64 exec, exec, s[38:39]
	s_waitcnt vmcnt(6)
	v_cmp_lt_i16_e32 vcc, -1, v5
	v_cndmask_b32_e32 v20, -1, v66, vcc
	v_xor_b32_e32 v94, v20, v5
	v_add_u32_e32 v5, 0x410, v41
	v_cmp_ne_u16_e32 vcc, s68, v94
	ds_write2_b32 v5, v4, v4 offset1:1
	ds_write2_b32 v43, v4, v4 offset0:2 offset1:3
	ds_write_b32 v43, v4 offset:16
	v_cndmask_b32_e32 v5, v66, v94, vcc
	v_lshrrev_b32_sdwa v5, s77, v5 dst_sel:DWORD dst_unused:UNUSED_PAD src0_sel:DWORD src1_sel:WORD_0
	v_and_b32_e32 v20, s78, v5
	v_mad_u32_u24 v5, v20, 5, v92
	v_lshl_add_u32 v95, v5, 2, v42
	v_and_b32_e32 v5, 1, v20
	v_add_co_u32_e32 v21, vcc, -1, v5
	v_addc_co_u32_e64 v96, s[36:37], 0, -1, vcc
	v_cmp_ne_u32_e32 vcc, 0, v5
	v_xor_b32_e32 v5, vcc_hi, v96
	v_and_b32_e32 v96, exec_hi, v5
	v_lshlrev_b32_e32 v5, 30, v20
	v_xor_b32_e32 v21, vcc_lo, v21
	v_cmp_gt_i64_e32 vcc, 0, v[4:5]
	v_not_b32_e32 v5, v5
	v_ashrrev_i32_e32 v5, 31, v5
	v_and_b32_e32 v21, exec_lo, v21
	v_xor_b32_e32 v98, vcc_hi, v5
	v_xor_b32_e32 v5, vcc_lo, v5
	v_and_b32_e32 v21, v21, v5
	v_lshlrev_b32_e32 v5, 29, v20
	v_cmp_gt_i64_e32 vcc, 0, v[4:5]
	v_not_b32_e32 v5, v5
	v_ashrrev_i32_e32 v5, 31, v5
	v_and_b32_e32 v96, v96, v98
	v_xor_b32_e32 v98, vcc_hi, v5
	v_xor_b32_e32 v5, vcc_lo, v5
	v_and_b32_e32 v21, v21, v5
	v_lshlrev_b32_e32 v5, 28, v20
	v_cmp_gt_i64_e32 vcc, 0, v[4:5]
	v_not_b32_e32 v5, v5
	v_ashrrev_i32_e32 v5, 31, v5
	v_and_b32_e32 v96, v96, v98
	;; [unrolled: 8-line block ×5, first 2 shown]
	v_xor_b32_e32 v98, vcc_hi, v5
	v_xor_b32_e32 v5, vcc_lo, v5
	v_and_b32_e32 v96, v96, v98
	v_and_b32_e32 v98, v21, v5
	v_lshlrev_b32_e32 v5, 24, v20
	v_cmp_gt_i64_e32 vcc, 0, v[4:5]
	v_not_b32_e32 v5, v5
	v_ashrrev_i32_e32 v5, 31, v5
	v_xor_b32_e32 v20, vcc_hi, v5
	v_xor_b32_e32 v5, vcc_lo, v5
	v_and_b32_e32 v21, v96, v20
	v_and_b32_e32 v20, v98, v5
	v_mbcnt_lo_u32_b32 v5, v20, 0
	v_mbcnt_hi_u32_b32 v96, v21, v5
	v_cmp_eq_u32_e32 vcc, 0, v96
	v_cmp_ne_u64_e64 s[36:37], 0, v[20:21]
	s_and_b64 s[38:39], s[36:37], vcc
	s_waitcnt lgkmcnt(0)
	s_barrier
	s_waitcnt lgkmcnt(0)
	; wave barrier
	s_and_saveexec_b64 s[36:37], s[38:39]
	s_cbranch_execz .LBB1843_254
; %bb.253:                              ;   in Loop: Header=BB1843_232 Depth=2
	v_bcnt_u32_b32 v5, v20, 0
	v_bcnt_u32_b32 v5, v21, v5
	ds_write_b32 v95, v5
.LBB1843_254:                           ;   in Loop: Header=BB1843_232 Depth=2
	s_or_b64 exec, exec, s[36:37]
	s_waitcnt vmcnt(5)
	v_cmp_lt_i16_e32 vcc, -1, v97
	v_cndmask_b32_e32 v5, -1, v66, vcc
	v_xor_b32_e32 v97, v5, v97
	v_cmp_ne_u16_e32 vcc, s68, v97
	v_cndmask_b32_e32 v5, v66, v97, vcc
	v_lshrrev_b32_sdwa v5, s77, v5 dst_sel:DWORD dst_unused:UNUSED_PAD src0_sel:DWORD src1_sel:WORD_0
	v_and_b32_e32 v20, s78, v5
	v_mul_u32_u24_e32 v5, 5, v20
	v_add_lshl_u32 v5, v5, v92, 2
	; wave barrier
	v_add_u32_e32 v99, 0x410, v5
	ds_read_b32 v98, v5 offset:1040
	v_and_b32_e32 v5, 1, v20
	v_add_co_u32_e32 v21, vcc, -1, v5
	v_addc_co_u32_e64 v100, s[36:37], 0, -1, vcc
	v_cmp_ne_u32_e32 vcc, 0, v5
	v_xor_b32_e32 v5, vcc_hi, v100
	v_and_b32_e32 v100, exec_hi, v5
	v_lshlrev_b32_e32 v5, 30, v20
	v_xor_b32_e32 v21, vcc_lo, v21
	v_cmp_gt_i64_e32 vcc, 0, v[4:5]
	v_not_b32_e32 v5, v5
	v_ashrrev_i32_e32 v5, 31, v5
	v_and_b32_e32 v21, exec_lo, v21
	v_xor_b32_e32 v102, vcc_hi, v5
	v_xor_b32_e32 v5, vcc_lo, v5
	v_and_b32_e32 v21, v21, v5
	v_lshlrev_b32_e32 v5, 29, v20
	v_cmp_gt_i64_e32 vcc, 0, v[4:5]
	v_not_b32_e32 v5, v5
	v_ashrrev_i32_e32 v5, 31, v5
	v_and_b32_e32 v100, v100, v102
	v_xor_b32_e32 v102, vcc_hi, v5
	v_xor_b32_e32 v5, vcc_lo, v5
	v_and_b32_e32 v21, v21, v5
	v_lshlrev_b32_e32 v5, 28, v20
	v_cmp_gt_i64_e32 vcc, 0, v[4:5]
	v_not_b32_e32 v5, v5
	v_ashrrev_i32_e32 v5, 31, v5
	v_and_b32_e32 v100, v100, v102
	;; [unrolled: 8-line block ×5, first 2 shown]
	v_xor_b32_e32 v102, vcc_hi, v5
	v_xor_b32_e32 v5, vcc_lo, v5
	v_and_b32_e32 v100, v100, v102
	v_and_b32_e32 v102, v21, v5
	v_lshlrev_b32_e32 v5, 24, v20
	v_cmp_gt_i64_e32 vcc, 0, v[4:5]
	v_not_b32_e32 v5, v5
	v_ashrrev_i32_e32 v5, 31, v5
	v_xor_b32_e32 v20, vcc_hi, v5
	v_xor_b32_e32 v5, vcc_lo, v5
	v_and_b32_e32 v21, v100, v20
	v_and_b32_e32 v20, v102, v5
	v_mbcnt_lo_u32_b32 v5, v20, 0
	v_mbcnt_hi_u32_b32 v100, v21, v5
	v_cmp_eq_u32_e32 vcc, 0, v100
	v_cmp_ne_u64_e64 s[36:37], 0, v[20:21]
	s_and_b64 s[38:39], s[36:37], vcc
	; wave barrier
	s_and_saveexec_b64 s[36:37], s[38:39]
	s_cbranch_execz .LBB1843_256
; %bb.255:                              ;   in Loop: Header=BB1843_232 Depth=2
	v_bcnt_u32_b32 v5, v20, 0
	v_bcnt_u32_b32 v5, v21, v5
	s_waitcnt lgkmcnt(0)
	v_add_u32_e32 v5, v98, v5
	ds_write_b32 v99, v5
.LBB1843_256:                           ;   in Loop: Header=BB1843_232 Depth=2
	s_or_b64 exec, exec, s[36:37]
	s_waitcnt vmcnt(4)
	v_cmp_lt_i16_e32 vcc, -1, v101
	v_cndmask_b32_e32 v5, -1, v66, vcc
	v_xor_b32_e32 v101, v5, v101
	v_cmp_ne_u16_e32 vcc, s68, v101
	v_cndmask_b32_e32 v5, v66, v101, vcc
	v_lshrrev_b32_sdwa v5, s77, v5 dst_sel:DWORD dst_unused:UNUSED_PAD src0_sel:DWORD src1_sel:WORD_0
	v_and_b32_e32 v20, s78, v5
	v_mul_u32_u24_e32 v5, 5, v20
	v_add_lshl_u32 v5, v5, v92, 2
	; wave barrier
	v_add_u32_e32 v103, 0x410, v5
	ds_read_b32 v102, v5 offset:1040
	v_and_b32_e32 v5, 1, v20
	v_add_co_u32_e32 v21, vcc, -1, v5
	v_addc_co_u32_e64 v105, s[36:37], 0, -1, vcc
	v_cmp_ne_u32_e32 vcc, 0, v5
	v_xor_b32_e32 v5, vcc_hi, v105
	v_and_b32_e32 v105, exec_hi, v5
	v_lshlrev_b32_e32 v5, 30, v20
	v_xor_b32_e32 v21, vcc_lo, v21
	v_cmp_gt_i64_e32 vcc, 0, v[4:5]
	v_not_b32_e32 v5, v5
	v_ashrrev_i32_e32 v5, 31, v5
	v_and_b32_e32 v21, exec_lo, v21
	v_xor_b32_e32 v107, vcc_hi, v5
	v_xor_b32_e32 v5, vcc_lo, v5
	v_and_b32_e32 v21, v21, v5
	v_lshlrev_b32_e32 v5, 29, v20
	v_cmp_gt_i64_e32 vcc, 0, v[4:5]
	v_not_b32_e32 v5, v5
	v_ashrrev_i32_e32 v5, 31, v5
	v_and_b32_e32 v105, v105, v107
	v_xor_b32_e32 v107, vcc_hi, v5
	v_xor_b32_e32 v5, vcc_lo, v5
	v_and_b32_e32 v21, v21, v5
	v_lshlrev_b32_e32 v5, 28, v20
	v_cmp_gt_i64_e32 vcc, 0, v[4:5]
	v_not_b32_e32 v5, v5
	v_ashrrev_i32_e32 v5, 31, v5
	v_and_b32_e32 v105, v105, v107
	;; [unrolled: 8-line block ×5, first 2 shown]
	v_xor_b32_e32 v107, vcc_hi, v5
	v_xor_b32_e32 v5, vcc_lo, v5
	v_and_b32_e32 v105, v105, v107
	v_and_b32_e32 v107, v21, v5
	v_lshlrev_b32_e32 v5, 24, v20
	v_cmp_gt_i64_e32 vcc, 0, v[4:5]
	v_not_b32_e32 v5, v5
	v_ashrrev_i32_e32 v5, 31, v5
	v_xor_b32_e32 v20, vcc_hi, v5
	v_xor_b32_e32 v5, vcc_lo, v5
	v_and_b32_e32 v21, v105, v20
	v_and_b32_e32 v20, v107, v5
	v_mbcnt_lo_u32_b32 v5, v20, 0
	v_mbcnt_hi_u32_b32 v105, v21, v5
	v_cmp_eq_u32_e32 vcc, 0, v105
	v_cmp_ne_u64_e64 s[36:37], 0, v[20:21]
	s_and_b64 s[38:39], s[36:37], vcc
	; wave barrier
	s_and_saveexec_b64 s[36:37], s[38:39]
	s_cbranch_execz .LBB1843_258
; %bb.257:                              ;   in Loop: Header=BB1843_232 Depth=2
	v_bcnt_u32_b32 v5, v20, 0
	v_bcnt_u32_b32 v5, v21, v5
	s_waitcnt lgkmcnt(0)
	v_add_u32_e32 v5, v102, v5
	ds_write_b32 v103, v5
.LBB1843_258:                           ;   in Loop: Header=BB1843_232 Depth=2
	s_or_b64 exec, exec, s[36:37]
	s_waitcnt vmcnt(3)
	v_cmp_lt_i16_e32 vcc, -1, v106
	v_cndmask_b32_e32 v5, -1, v66, vcc
	v_xor_b32_e32 v106, v5, v106
	v_cmp_ne_u16_e32 vcc, s68, v106
	v_cndmask_b32_e32 v5, v66, v106, vcc
	v_lshrrev_b32_sdwa v5, s77, v5 dst_sel:DWORD dst_unused:UNUSED_PAD src0_sel:DWORD src1_sel:WORD_0
	v_and_b32_e32 v20, s78, v5
	v_mul_u32_u24_e32 v5, 5, v20
	v_add_lshl_u32 v5, v5, v92, 2
	; wave barrier
	v_add_u32_e32 v108, 0x410, v5
	ds_read_b32 v107, v5 offset:1040
	v_and_b32_e32 v5, 1, v20
	v_add_co_u32_e32 v21, vcc, -1, v5
	v_addc_co_u32_e64 v110, s[36:37], 0, -1, vcc
	v_cmp_ne_u32_e32 vcc, 0, v5
	v_xor_b32_e32 v5, vcc_hi, v110
	v_and_b32_e32 v110, exec_hi, v5
	v_lshlrev_b32_e32 v5, 30, v20
	v_xor_b32_e32 v21, vcc_lo, v21
	v_cmp_gt_i64_e32 vcc, 0, v[4:5]
	v_not_b32_e32 v5, v5
	v_ashrrev_i32_e32 v5, 31, v5
	v_and_b32_e32 v21, exec_lo, v21
	v_xor_b32_e32 v111, vcc_hi, v5
	v_xor_b32_e32 v5, vcc_lo, v5
	v_and_b32_e32 v21, v21, v5
	v_lshlrev_b32_e32 v5, 29, v20
	v_cmp_gt_i64_e32 vcc, 0, v[4:5]
	v_not_b32_e32 v5, v5
	v_ashrrev_i32_e32 v5, 31, v5
	v_and_b32_e32 v110, v110, v111
	v_xor_b32_e32 v111, vcc_hi, v5
	v_xor_b32_e32 v5, vcc_lo, v5
	v_and_b32_e32 v21, v21, v5
	v_lshlrev_b32_e32 v5, 28, v20
	v_cmp_gt_i64_e32 vcc, 0, v[4:5]
	v_not_b32_e32 v5, v5
	v_ashrrev_i32_e32 v5, 31, v5
	v_and_b32_e32 v110, v110, v111
	v_xor_b32_e32 v111, vcc_hi, v5
	v_xor_b32_e32 v5, vcc_lo, v5
	v_and_b32_e32 v21, v21, v5
	v_lshlrev_b32_e32 v5, 27, v20
	v_cmp_gt_i64_e32 vcc, 0, v[4:5]
	v_not_b32_e32 v5, v5
	v_ashrrev_i32_e32 v5, 31, v5
	v_and_b32_e32 v110, v110, v111
	v_xor_b32_e32 v111, vcc_hi, v5
	v_xor_b32_e32 v5, vcc_lo, v5
	v_and_b32_e32 v21, v21, v5
	v_lshlrev_b32_e32 v5, 26, v20
	v_cmp_gt_i64_e32 vcc, 0, v[4:5]
	v_not_b32_e32 v5, v5
	v_ashrrev_i32_e32 v5, 31, v5
	v_and_b32_e32 v110, v110, v111
	v_xor_b32_e32 v111, vcc_hi, v5
	v_xor_b32_e32 v5, vcc_lo, v5
	v_and_b32_e32 v21, v21, v5
	v_lshlrev_b32_e32 v5, 25, v20
	v_cmp_gt_i64_e32 vcc, 0, v[4:5]
	v_not_b32_e32 v5, v5
	v_ashrrev_i32_e32 v5, 31, v5
	v_and_b32_e32 v110, v110, v111
	v_xor_b32_e32 v111, vcc_hi, v5
	v_xor_b32_e32 v5, vcc_lo, v5
	v_and_b32_e32 v110, v110, v111
	v_and_b32_e32 v111, v21, v5
	v_lshlrev_b32_e32 v5, 24, v20
	v_cmp_gt_i64_e32 vcc, 0, v[4:5]
	v_not_b32_e32 v5, v5
	v_ashrrev_i32_e32 v5, 31, v5
	v_xor_b32_e32 v20, vcc_hi, v5
	v_xor_b32_e32 v5, vcc_lo, v5
	v_and_b32_e32 v21, v110, v20
	v_and_b32_e32 v20, v111, v5
	v_mbcnt_lo_u32_b32 v5, v20, 0
	v_mbcnt_hi_u32_b32 v110, v21, v5
	v_cmp_eq_u32_e32 vcc, 0, v110
	v_cmp_ne_u64_e64 s[36:37], 0, v[20:21]
	s_and_b64 s[38:39], s[36:37], vcc
	; wave barrier
	s_and_saveexec_b64 s[36:37], s[38:39]
	s_cbranch_execz .LBB1843_260
; %bb.259:                              ;   in Loop: Header=BB1843_232 Depth=2
	v_bcnt_u32_b32 v5, v20, 0
	v_bcnt_u32_b32 v5, v21, v5
	s_waitcnt lgkmcnt(0)
	v_add_u32_e32 v5, v107, v5
	ds_write_b32 v108, v5
.LBB1843_260:                           ;   in Loop: Header=BB1843_232 Depth=2
	s_or_b64 exec, exec, s[36:37]
	s_waitcnt vmcnt(2)
	v_cmp_lt_i16_e32 vcc, -1, v109
	v_cndmask_b32_e32 v5, -1, v66, vcc
	v_xor_b32_e32 v109, v5, v109
	v_cmp_ne_u16_e32 vcc, s68, v109
	v_cndmask_b32_e32 v5, v66, v109, vcc
	v_lshrrev_b32_sdwa v5, s77, v5 dst_sel:DWORD dst_unused:UNUSED_PAD src0_sel:DWORD src1_sel:WORD_0
	v_and_b32_e32 v20, s78, v5
	v_mul_u32_u24_e32 v5, 5, v20
	v_add_lshl_u32 v5, v5, v92, 2
	; wave barrier
	v_add_u32_e32 v112, 0x410, v5
	ds_read_b32 v111, v5 offset:1040
	v_and_b32_e32 v5, 1, v20
	v_add_co_u32_e32 v21, vcc, -1, v5
	v_addc_co_u32_e64 v113, s[36:37], 0, -1, vcc
	v_cmp_ne_u32_e32 vcc, 0, v5
	v_xor_b32_e32 v5, vcc_hi, v113
	v_and_b32_e32 v113, exec_hi, v5
	v_lshlrev_b32_e32 v5, 30, v20
	v_xor_b32_e32 v21, vcc_lo, v21
	v_cmp_gt_i64_e32 vcc, 0, v[4:5]
	v_not_b32_e32 v5, v5
	v_ashrrev_i32_e32 v5, 31, v5
	v_and_b32_e32 v21, exec_lo, v21
	v_xor_b32_e32 v114, vcc_hi, v5
	v_xor_b32_e32 v5, vcc_lo, v5
	v_and_b32_e32 v21, v21, v5
	v_lshlrev_b32_e32 v5, 29, v20
	v_cmp_gt_i64_e32 vcc, 0, v[4:5]
	v_not_b32_e32 v5, v5
	v_ashrrev_i32_e32 v5, 31, v5
	v_and_b32_e32 v113, v113, v114
	v_xor_b32_e32 v114, vcc_hi, v5
	v_xor_b32_e32 v5, vcc_lo, v5
	v_and_b32_e32 v21, v21, v5
	v_lshlrev_b32_e32 v5, 28, v20
	v_cmp_gt_i64_e32 vcc, 0, v[4:5]
	v_not_b32_e32 v5, v5
	v_ashrrev_i32_e32 v5, 31, v5
	v_and_b32_e32 v113, v113, v114
	v_xor_b32_e32 v114, vcc_hi, v5
	v_xor_b32_e32 v5, vcc_lo, v5
	v_and_b32_e32 v21, v21, v5
	v_lshlrev_b32_e32 v5, 27, v20
	v_cmp_gt_i64_e32 vcc, 0, v[4:5]
	v_not_b32_e32 v5, v5
	v_ashrrev_i32_e32 v5, 31, v5
	v_and_b32_e32 v113, v113, v114
	v_xor_b32_e32 v114, vcc_hi, v5
	v_xor_b32_e32 v5, vcc_lo, v5
	v_and_b32_e32 v21, v21, v5
	v_lshlrev_b32_e32 v5, 26, v20
	v_cmp_gt_i64_e32 vcc, 0, v[4:5]
	v_not_b32_e32 v5, v5
	v_ashrrev_i32_e32 v5, 31, v5
	v_and_b32_e32 v113, v113, v114
	v_xor_b32_e32 v114, vcc_hi, v5
	v_xor_b32_e32 v5, vcc_lo, v5
	v_and_b32_e32 v21, v21, v5
	v_lshlrev_b32_e32 v5, 25, v20
	v_cmp_gt_i64_e32 vcc, 0, v[4:5]
	v_not_b32_e32 v5, v5
	v_ashrrev_i32_e32 v5, 31, v5
	v_and_b32_e32 v113, v113, v114
	v_xor_b32_e32 v114, vcc_hi, v5
	v_xor_b32_e32 v5, vcc_lo, v5
	v_and_b32_e32 v113, v113, v114
	v_and_b32_e32 v114, v21, v5
	v_lshlrev_b32_e32 v5, 24, v20
	v_cmp_gt_i64_e32 vcc, 0, v[4:5]
	v_not_b32_e32 v5, v5
	v_ashrrev_i32_e32 v5, 31, v5
	v_xor_b32_e32 v20, vcc_hi, v5
	v_xor_b32_e32 v5, vcc_lo, v5
	v_and_b32_e32 v21, v113, v20
	v_and_b32_e32 v20, v114, v5
	v_mbcnt_lo_u32_b32 v5, v20, 0
	v_mbcnt_hi_u32_b32 v113, v21, v5
	v_cmp_eq_u32_e32 vcc, 0, v113
	v_cmp_ne_u64_e64 s[36:37], 0, v[20:21]
	s_and_b64 s[38:39], s[36:37], vcc
	; wave barrier
	s_and_saveexec_b64 s[36:37], s[38:39]
	s_cbranch_execz .LBB1843_262
; %bb.261:                              ;   in Loop: Header=BB1843_232 Depth=2
	v_bcnt_u32_b32 v5, v20, 0
	v_bcnt_u32_b32 v5, v21, v5
	s_waitcnt lgkmcnt(0)
	v_add_u32_e32 v5, v111, v5
	ds_write_b32 v112, v5
.LBB1843_262:                           ;   in Loop: Header=BB1843_232 Depth=2
	s_or_b64 exec, exec, s[36:37]
	s_waitcnt vmcnt(1)
	v_cmp_lt_i16_e32 vcc, -1, v104
	v_cndmask_b32_e32 v5, -1, v66, vcc
	v_xor_b32_e32 v104, v5, v104
	v_cmp_ne_u16_e32 vcc, s68, v104
	v_cndmask_b32_e32 v5, v66, v104, vcc
	v_lshrrev_b32_sdwa v5, s77, v5 dst_sel:DWORD dst_unused:UNUSED_PAD src0_sel:DWORD src1_sel:WORD_0
	v_and_b32_e32 v20, s78, v5
	v_mul_u32_u24_e32 v5, 5, v20
	v_add_lshl_u32 v5, v5, v92, 2
	; wave barrier
	v_add_u32_e32 v115, 0x410, v5
	ds_read_b32 v114, v5 offset:1040
	v_and_b32_e32 v5, 1, v20
	v_add_co_u32_e32 v21, vcc, -1, v5
	v_addc_co_u32_e64 v116, s[36:37], 0, -1, vcc
	v_cmp_ne_u32_e32 vcc, 0, v5
	v_xor_b32_e32 v5, vcc_hi, v116
	v_and_b32_e32 v116, exec_hi, v5
	v_lshlrev_b32_e32 v5, 30, v20
	v_xor_b32_e32 v21, vcc_lo, v21
	v_cmp_gt_i64_e32 vcc, 0, v[4:5]
	v_not_b32_e32 v5, v5
	v_ashrrev_i32_e32 v5, 31, v5
	v_and_b32_e32 v21, exec_lo, v21
	v_xor_b32_e32 v117, vcc_hi, v5
	v_xor_b32_e32 v5, vcc_lo, v5
	v_and_b32_e32 v21, v21, v5
	v_lshlrev_b32_e32 v5, 29, v20
	v_cmp_gt_i64_e32 vcc, 0, v[4:5]
	v_not_b32_e32 v5, v5
	v_ashrrev_i32_e32 v5, 31, v5
	v_and_b32_e32 v116, v116, v117
	v_xor_b32_e32 v117, vcc_hi, v5
	v_xor_b32_e32 v5, vcc_lo, v5
	v_and_b32_e32 v21, v21, v5
	v_lshlrev_b32_e32 v5, 28, v20
	v_cmp_gt_i64_e32 vcc, 0, v[4:5]
	v_not_b32_e32 v5, v5
	v_ashrrev_i32_e32 v5, 31, v5
	v_and_b32_e32 v116, v116, v117
	;; [unrolled: 8-line block ×5, first 2 shown]
	v_xor_b32_e32 v117, vcc_hi, v5
	v_xor_b32_e32 v5, vcc_lo, v5
	v_and_b32_e32 v116, v116, v117
	v_and_b32_e32 v117, v21, v5
	v_lshlrev_b32_e32 v5, 24, v20
	v_cmp_gt_i64_e32 vcc, 0, v[4:5]
	v_not_b32_e32 v5, v5
	v_ashrrev_i32_e32 v5, 31, v5
	v_xor_b32_e32 v20, vcc_hi, v5
	v_xor_b32_e32 v5, vcc_lo, v5
	v_and_b32_e32 v21, v116, v20
	v_and_b32_e32 v20, v117, v5
	v_mbcnt_lo_u32_b32 v5, v20, 0
	v_mbcnt_hi_u32_b32 v116, v21, v5
	v_cmp_eq_u32_e32 vcc, 0, v116
	v_cmp_ne_u64_e64 s[36:37], 0, v[20:21]
	s_and_b64 s[38:39], s[36:37], vcc
	; wave barrier
	s_and_saveexec_b64 s[36:37], s[38:39]
	s_cbranch_execz .LBB1843_264
; %bb.263:                              ;   in Loop: Header=BB1843_232 Depth=2
	v_bcnt_u32_b32 v5, v20, 0
	v_bcnt_u32_b32 v5, v21, v5
	s_waitcnt lgkmcnt(0)
	v_add_u32_e32 v5, v114, v5
	ds_write_b32 v115, v5
.LBB1843_264:                           ;   in Loop: Header=BB1843_232 Depth=2
	s_or_b64 exec, exec, s[36:37]
	s_waitcnt vmcnt(0)
	v_cmp_lt_i16_e32 vcc, -1, v22
	v_cndmask_b32_e32 v5, -1, v66, vcc
	v_xor_b32_e32 v117, v5, v22
	v_cmp_ne_u16_e32 vcc, s68, v117
	v_cndmask_b32_e32 v5, v66, v117, vcc
	v_lshrrev_b32_sdwa v5, s77, v5 dst_sel:DWORD dst_unused:UNUSED_PAD src0_sel:DWORD src1_sel:WORD_0
	v_and_b32_e32 v20, s78, v5
	v_mul_u32_u24_e32 v5, 5, v20
	v_add_lshl_u32 v5, v5, v92, 2
	; wave barrier
	v_add_u32_e32 v119, 0x410, v5
	ds_read_b32 v118, v5 offset:1040
	v_and_b32_e32 v5, 1, v20
	v_add_co_u32_e32 v21, vcc, -1, v5
	v_addc_co_u32_e64 v22, s[36:37], 0, -1, vcc
	v_cmp_ne_u32_e32 vcc, 0, v5
	v_xor_b32_e32 v5, vcc_hi, v22
	v_and_b32_e32 v22, exec_hi, v5
	v_lshlrev_b32_e32 v5, 30, v20
	v_xor_b32_e32 v21, vcc_lo, v21
	v_cmp_gt_i64_e32 vcc, 0, v[4:5]
	v_not_b32_e32 v5, v5
	v_ashrrev_i32_e32 v5, 31, v5
	v_and_b32_e32 v21, exec_lo, v21
	v_xor_b32_e32 v120, vcc_hi, v5
	v_xor_b32_e32 v5, vcc_lo, v5
	v_and_b32_e32 v21, v21, v5
	v_lshlrev_b32_e32 v5, 29, v20
	v_cmp_gt_i64_e32 vcc, 0, v[4:5]
	v_not_b32_e32 v5, v5
	v_ashrrev_i32_e32 v5, 31, v5
	v_and_b32_e32 v22, v22, v120
	v_xor_b32_e32 v120, vcc_hi, v5
	v_xor_b32_e32 v5, vcc_lo, v5
	v_and_b32_e32 v21, v21, v5
	v_lshlrev_b32_e32 v5, 28, v20
	v_cmp_gt_i64_e32 vcc, 0, v[4:5]
	v_not_b32_e32 v5, v5
	v_ashrrev_i32_e32 v5, 31, v5
	v_and_b32_e32 v22, v22, v120
	;; [unrolled: 8-line block ×5, first 2 shown]
	v_xor_b32_e32 v120, vcc_hi, v5
	v_xor_b32_e32 v5, vcc_lo, v5
	v_and_b32_e32 v22, v22, v120
	v_and_b32_e32 v120, v21, v5
	v_lshlrev_b32_e32 v5, 24, v20
	v_cmp_gt_i64_e32 vcc, 0, v[4:5]
	v_not_b32_e32 v5, v5
	v_ashrrev_i32_e32 v5, 31, v5
	v_xor_b32_e32 v20, vcc_hi, v5
	v_xor_b32_e32 v5, vcc_lo, v5
	v_and_b32_e32 v21, v22, v20
	v_and_b32_e32 v20, v120, v5
	v_mbcnt_lo_u32_b32 v5, v20, 0
	v_mbcnt_hi_u32_b32 v120, v21, v5
	v_cmp_eq_u32_e32 vcc, 0, v120
	v_cmp_ne_u64_e64 s[36:37], 0, v[20:21]
	s_and_b64 s[38:39], s[36:37], vcc
	; wave barrier
	s_and_saveexec_b64 s[36:37], s[38:39]
	s_cbranch_execz .LBB1843_266
; %bb.265:                              ;   in Loop: Header=BB1843_232 Depth=2
	v_bcnt_u32_b32 v5, v20, 0
	v_bcnt_u32_b32 v5, v21, v5
	s_waitcnt lgkmcnt(0)
	v_add_u32_e32 v5, v118, v5
	ds_write_b32 v119, v5
.LBB1843_266:                           ;   in Loop: Header=BB1843_232 Depth=2
	s_or_b64 exec, exec, s[36:37]
	v_cmp_lt_i16_e32 vcc, -1, v23
	v_cndmask_b32_e32 v5, -1, v66, vcc
	v_xor_b32_e32 v121, v5, v23
	v_cmp_ne_u16_e32 vcc, s68, v121
	v_cndmask_b32_e32 v5, v66, v121, vcc
	v_lshrrev_b32_sdwa v5, s77, v5 dst_sel:DWORD dst_unused:UNUSED_PAD src0_sel:DWORD src1_sel:WORD_0
	v_and_b32_e32 v20, s78, v5
	v_mul_u32_u24_e32 v5, 5, v20
	v_add_lshl_u32 v5, v5, v92, 2
	; wave barrier
	v_add_u32_e32 v123, 0x410, v5
	ds_read_b32 v122, v5 offset:1040
	v_and_b32_e32 v5, 1, v20
	v_add_co_u32_e32 v21, vcc, -1, v5
	v_addc_co_u32_e64 v22, s[36:37], 0, -1, vcc
	v_cmp_ne_u32_e32 vcc, 0, v5
	v_xor_b32_e32 v5, vcc_hi, v22
	v_and_b32_e32 v22, exec_hi, v5
	v_lshlrev_b32_e32 v5, 30, v20
	v_xor_b32_e32 v21, vcc_lo, v21
	v_cmp_gt_i64_e32 vcc, 0, v[4:5]
	v_not_b32_e32 v5, v5
	v_ashrrev_i32_e32 v5, 31, v5
	v_and_b32_e32 v21, exec_lo, v21
	v_xor_b32_e32 v23, vcc_hi, v5
	v_xor_b32_e32 v5, vcc_lo, v5
	v_and_b32_e32 v21, v21, v5
	v_lshlrev_b32_e32 v5, 29, v20
	v_cmp_gt_i64_e32 vcc, 0, v[4:5]
	v_not_b32_e32 v5, v5
	v_ashrrev_i32_e32 v5, 31, v5
	v_and_b32_e32 v22, v22, v23
	v_xor_b32_e32 v23, vcc_hi, v5
	v_xor_b32_e32 v5, vcc_lo, v5
	v_and_b32_e32 v21, v21, v5
	v_lshlrev_b32_e32 v5, 28, v20
	v_cmp_gt_i64_e32 vcc, 0, v[4:5]
	v_not_b32_e32 v5, v5
	v_ashrrev_i32_e32 v5, 31, v5
	v_and_b32_e32 v22, v22, v23
	;; [unrolled: 8-line block ×5, first 2 shown]
	v_xor_b32_e32 v23, vcc_hi, v5
	v_xor_b32_e32 v5, vcc_lo, v5
	v_and_b32_e32 v22, v22, v23
	v_and_b32_e32 v23, v21, v5
	v_lshlrev_b32_e32 v5, 24, v20
	v_cmp_gt_i64_e32 vcc, 0, v[4:5]
	v_not_b32_e32 v5, v5
	v_ashrrev_i32_e32 v5, 31, v5
	v_xor_b32_e32 v20, vcc_hi, v5
	v_xor_b32_e32 v5, vcc_lo, v5
	v_and_b32_e32 v21, v22, v20
	v_and_b32_e32 v20, v23, v5
	v_mbcnt_lo_u32_b32 v5, v20, 0
	v_mbcnt_hi_u32_b32 v124, v21, v5
	v_cmp_eq_u32_e32 vcc, 0, v124
	v_cmp_ne_u64_e64 s[36:37], 0, v[20:21]
	s_and_b64 s[38:39], s[36:37], vcc
	; wave barrier
	s_and_saveexec_b64 s[36:37], s[38:39]
	s_cbranch_execz .LBB1843_268
; %bb.267:                              ;   in Loop: Header=BB1843_232 Depth=2
	v_bcnt_u32_b32 v5, v20, 0
	v_bcnt_u32_b32 v5, v21, v5
	s_waitcnt lgkmcnt(0)
	v_add_u32_e32 v5, v122, v5
	ds_write_b32 v123, v5
.LBB1843_268:                           ;   in Loop: Header=BB1843_232 Depth=2
	s_or_b64 exec, exec, s[36:37]
	; wave barrier
	s_waitcnt lgkmcnt(0)
	s_barrier
	ds_read_b32 v5, v41 offset:1040
	ds_read2_b32 v[22:23], v43 offset0:1 offset1:2
	ds_read2_b32 v[20:21], v43 offset0:3 offset1:4
	s_waitcnt lgkmcnt(1)
	v_add3_u32 v125, v22, v5, v23
	s_waitcnt lgkmcnt(0)
	v_add3_u32 v21, v125, v20, v21
	s_nop 1
	v_mov_b32_dpp v125, v21 row_shr:1 row_mask:0xf bank_mask:0xf
	v_cndmask_b32_e64 v125, v125, 0, s[16:17]
	v_add_u32_e32 v21, v125, v21
	s_nop 1
	v_mov_b32_dpp v125, v21 row_shr:2 row_mask:0xf bank_mask:0xf
	v_cndmask_b32_e64 v125, 0, v125, s[18:19]
	v_add_u32_e32 v21, v21, v125
	;; [unrolled: 4-line block ×4, first 2 shown]
	s_nop 1
	v_mov_b32_dpp v125, v21 row_bcast:15 row_mask:0xf bank_mask:0xf
	v_cndmask_b32_e64 v125, v125, 0, s[24:25]
	v_add_u32_e32 v21, v21, v125
	s_nop 1
	v_mov_b32_dpp v125, v21 row_bcast:31 row_mask:0xf bank_mask:0xf
	v_cndmask_b32_e64 v125, 0, v125, s[26:27]
	v_add_u32_e32 v21, v21, v125
	s_and_saveexec_b64 s[36:37], s[6:7]
	s_cbranch_execz .LBB1843_270
; %bb.269:                              ;   in Loop: Header=BB1843_232 Depth=2
	ds_write_b32 v34, v21 offset:1024
.LBB1843_270:                           ;   in Loop: Header=BB1843_232 Depth=2
	s_or_b64 exec, exec, s[36:37]
	s_waitcnt lgkmcnt(0)
	s_barrier
	s_and_saveexec_b64 s[36:37], s[8:9]
	s_cbranch_execz .LBB1843_272
; %bb.271:                              ;   in Loop: Header=BB1843_232 Depth=2
	ds_read_b32 v125, v44 offset:1024
	s_waitcnt lgkmcnt(0)
	s_nop 0
	v_mov_b32_dpp v126, v125 row_shr:1 row_mask:0xf bank_mask:0xf
	v_cndmask_b32_e64 v126, v126, 0, s[30:31]
	v_add_u32_e32 v125, v126, v125
	s_nop 1
	v_mov_b32_dpp v126, v125 row_shr:2 row_mask:0xf bank_mask:0xf
	v_cndmask_b32_e64 v126, 0, v126, s[34:35]
	v_add_u32_e32 v125, v125, v126
	ds_write_b32 v44, v125 offset:1024
.LBB1843_272:                           ;   in Loop: Header=BB1843_232 Depth=2
	s_or_b64 exec, exec, s[36:37]
	v_mov_b32_e32 v125, 0
	s_waitcnt lgkmcnt(0)
	s_barrier
	s_and_saveexec_b64 s[36:37], s[10:11]
	s_cbranch_execz .LBB1843_274
; %bb.273:                              ;   in Loop: Header=BB1843_232 Depth=2
	ds_read_b32 v125, v34 offset:1020
.LBB1843_274:                           ;   in Loop: Header=BB1843_232 Depth=2
	s_or_b64 exec, exec, s[36:37]
	s_waitcnt lgkmcnt(0)
	v_add_u32_e32 v21, v125, v21
	ds_bpermute_b32 v21, v69, v21
	s_waitcnt lgkmcnt(0)
	v_cndmask_b32_e64 v21, v21, v125, s[28:29]
	v_cndmask_b32_e64 v21, v21, 0, s[12:13]
	v_add_u32_e32 v5, v21, v5
	ds_write_b32 v41, v21 offset:1040
	v_add_u32_e32 v21, v5, v22
	v_add_u32_e32 v22, v21, v23
	ds_write2_b32 v43, v5, v21 offset0:1 offset1:2
	v_add_u32_e32 v5, v22, v20
	ds_write2_b32 v43, v22, v5 offset0:3 offset1:4
	s_waitcnt lgkmcnt(0)
	s_barrier
	ds_read_b32 v20, v99
	ds_read_b32 v21, v103
	;; [unrolled: 1-line block ×8, first 2 shown]
	ds_read_b32 v99, v41 offset:1040
	v_mov_b32_e32 v5, 0x800
	s_and_saveexec_b64 s[36:37], s[14:15]
	s_cbranch_execz .LBB1843_276
; %bb.275:                              ;   in Loop: Header=BB1843_232 Depth=2
	ds_read_b32 v5, v41 offset:1060
.LBB1843_276:                           ;   in Loop: Header=BB1843_232 Depth=2
	s_or_b64 exec, exec, s[36:37]
	s_waitcnt lgkmcnt(0)
	s_barrier
	s_and_saveexec_b64 s[36:37], s[4:5]
	s_cbranch_execz .LBB1843_278
; %bb.277:                              ;   in Loop: Header=BB1843_232 Depth=2
	ds_read_b32 v103, v3
	s_waitcnt lgkmcnt(0)
	v_sub_u32_e32 v99, v103, v99
	ds_write_b32 v3, v99
.LBB1843_278:                           ;   in Loop: Header=BB1843_232 Depth=2
	s_or_b64 exec, exec, s[36:37]
	v_add_u32_e32 v103, v95, v96
	v_add3_u32 v100, v100, v98, v20
	v_lshlrev_b32_e32 v20, 1, v103
	v_add3_u32 v99, v105, v102, v21
	ds_write_b16 v20, v94 offset:1024
	v_lshlrev_b32_e32 v20, 1, v100
	v_add3_u32 v98, v110, v107, v22
	ds_write_b16 v20, v97 offset:1024
	;; [unrolled: 3-line block ×6, first 2 shown]
	v_lshlrev_b32_e32 v20, 1, v23
	ds_write_b16 v20, v117 offset:1024
	v_lshlrev_b32_e32 v20, 1, v22
	v_cmp_lt_u32_e32 vcc, v2, v93
	ds_write_b16 v20, v121 offset:1024
	s_waitcnt lgkmcnt(0)
	s_barrier
	s_and_saveexec_b64 s[38:39], vcc
	s_cbranch_execz .LBB1843_286
; %bb.279:                              ;   in Loop: Header=BB1843_232 Depth=2
	ds_read_u16 v20, v49 offset:1024
	v_mov_b32_e32 v21, v4
	v_mov_b32_e32 v97, s61
	s_waitcnt lgkmcnt(0)
	v_cmp_ne_u16_e64 s[36:37], s68, v20
	v_cndmask_b32_e64 v94, v66, v20, s[36:37]
	v_lshrrev_b32_sdwa v94, s77, v94 dst_sel:DWORD dst_unused:UNUSED_PAD src0_sel:DWORD src1_sel:WORD_0
	v_and_b32_e32 v94, s78, v94
	v_lshlrev_b32_e32 v94, 2, v94
	ds_read_b32 v94, v94
	v_cmp_lt_i16_e64 s[36:37], -1, v20
	v_cndmask_b32_e64 v101, v66, -1, s[36:37]
	v_xor_b32_e32 v101, v101, v20
	s_waitcnt lgkmcnt(0)
	v_add_u32_e32 v20, v94, v2
	v_lshlrev_b64 v[20:21], 1, v[20:21]
	v_add_co_u32_e64 v20, s[36:37], s60, v20
	v_addc_co_u32_e64 v21, s[36:37], v97, v21, s[36:37]
	global_store_short v[20:21], v101, off
	s_or_b64 exec, exec, s[38:39]
	v_cmp_lt_u32_e64 s[36:37], v24, v93
	s_and_saveexec_b64 s[40:41], s[36:37]
	s_cbranch_execnz .LBB1843_287
.LBB1843_280:                           ;   in Loop: Header=BB1843_232 Depth=2
	s_or_b64 exec, exec, s[40:41]
	v_cmp_lt_u32_e64 s[38:39], v25, v93
	s_and_saveexec_b64 s[42:43], s[38:39]
	s_cbranch_execz .LBB1843_288
.LBB1843_281:                           ;   in Loop: Header=BB1843_232 Depth=2
	ds_read_u16 v20, v50 offset:1024
	v_mov_b32_e32 v21, v4
	v_mov_b32_e32 v97, s61
	s_waitcnt lgkmcnt(0)
	v_cmp_ne_u16_e64 s[40:41], s68, v20
	v_cndmask_b32_e64 v94, v66, v20, s[40:41]
	v_lshrrev_b32_sdwa v94, s77, v94 dst_sel:DWORD dst_unused:UNUSED_PAD src0_sel:DWORD src1_sel:WORD_0
	v_and_b32_e32 v94, s78, v94
	v_lshlrev_b32_e32 v94, 2, v94
	ds_read_b32 v94, v94
	v_cmp_lt_i16_e64 s[40:41], -1, v20
	v_cndmask_b32_e64 v101, v66, -1, s[40:41]
	v_xor_b32_e32 v101, v101, v20
	s_waitcnt lgkmcnt(0)
	v_add_u32_e32 v20, v94, v25
	v_lshlrev_b64 v[20:21], 1, v[20:21]
	v_add_co_u32_e64 v20, s[40:41], s60, v20
	v_addc_co_u32_e64 v21, s[40:41], v97, v21, s[40:41]
	global_store_short v[20:21], v101, off
	s_or_b64 exec, exec, s[42:43]
	v_cmp_lt_u32_e64 s[40:41], v26, v93
	s_and_saveexec_b64 s[44:45], s[40:41]
	s_cbranch_execnz .LBB1843_289
.LBB1843_282:                           ;   in Loop: Header=BB1843_232 Depth=2
	s_or_b64 exec, exec, s[44:45]
	v_cmp_lt_u32_e64 s[42:43], v29, v93
	s_and_saveexec_b64 s[46:47], s[42:43]
	s_cbranch_execz .LBB1843_290
.LBB1843_283:                           ;   in Loop: Header=BB1843_232 Depth=2
	ds_read_u16 v20, v50 offset:2048
	v_mov_b32_e32 v21, v4
	v_mov_b32_e32 v97, s61
	s_waitcnt lgkmcnt(0)
	v_cmp_ne_u16_e64 s[44:45], s68, v20
	v_cndmask_b32_e64 v94, v66, v20, s[44:45]
	v_lshrrev_b32_sdwa v94, s77, v94 dst_sel:DWORD dst_unused:UNUSED_PAD src0_sel:DWORD src1_sel:WORD_0
	v_and_b32_e32 v94, s78, v94
	v_lshlrev_b32_e32 v94, 2, v94
	ds_read_b32 v94, v94
	v_cmp_lt_i16_e64 s[44:45], -1, v20
	v_cndmask_b32_e64 v101, v66, -1, s[44:45]
	v_xor_b32_e32 v101, v101, v20
	s_waitcnt lgkmcnt(0)
	v_add_u32_e32 v20, v94, v29
	v_lshlrev_b64 v[20:21], 1, v[20:21]
	v_add_co_u32_e64 v20, s[44:45], s60, v20
	v_addc_co_u32_e64 v21, s[44:45], v97, v21, s[44:45]
	global_store_short v[20:21], v101, off
	s_or_b64 exec, exec, s[46:47]
	v_cmp_lt_u32_e64 s[44:45], v30, v93
	s_and_saveexec_b64 s[48:49], s[44:45]
	s_cbranch_execnz .LBB1843_291
.LBB1843_284:                           ;   in Loop: Header=BB1843_232 Depth=2
	s_or_b64 exec, exec, s[48:49]
	v_cmp_lt_u32_e64 s[46:47], v31, v93
	s_and_saveexec_b64 s[52:53], s[46:47]
	s_cbranch_execz .LBB1843_292
.LBB1843_285:                           ;   in Loop: Header=BB1843_232 Depth=2
	ds_read_u16 v20, v50 offset:3072
	v_mov_b32_e32 v21, v4
	v_mov_b32_e32 v97, s61
	s_waitcnt lgkmcnt(0)
	v_cmp_ne_u16_e64 s[48:49], s68, v20
	v_cndmask_b32_e64 v94, v66, v20, s[48:49]
	v_lshrrev_b32_sdwa v94, s77, v94 dst_sel:DWORD dst_unused:UNUSED_PAD src0_sel:DWORD src1_sel:WORD_0
	v_and_b32_e32 v94, s78, v94
	v_lshlrev_b32_e32 v94, 2, v94
	ds_read_b32 v94, v94
	v_cmp_lt_i16_e64 s[48:49], -1, v20
	v_cndmask_b32_e64 v101, v66, -1, s[48:49]
	v_xor_b32_e32 v101, v101, v20
	s_waitcnt lgkmcnt(0)
	v_add_u32_e32 v20, v94, v31
	v_lshlrev_b64 v[20:21], 1, v[20:21]
	v_add_co_u32_e64 v20, s[48:49], s60, v20
	v_addc_co_u32_e64 v21, s[48:49], v97, v21, s[48:49]
	global_store_short v[20:21], v101, off
	s_or_b64 exec, exec, s[52:53]
	v_cmp_lt_u32_e64 s[48:49], v32, v93
	s_and_saveexec_b64 s[62:63], s[48:49]
	s_cbranch_execnz .LBB1843_293
	s_branch .LBB1843_294
.LBB1843_286:                           ;   in Loop: Header=BB1843_232 Depth=2
	s_or_b64 exec, exec, s[38:39]
	v_cmp_lt_u32_e64 s[36:37], v24, v93
	s_and_saveexec_b64 s[40:41], s[36:37]
	s_cbranch_execz .LBB1843_280
.LBB1843_287:                           ;   in Loop: Header=BB1843_232 Depth=2
	ds_read_u16 v20, v50 offset:512
	v_mov_b32_e32 v21, v4
	v_mov_b32_e32 v97, s61
	s_waitcnt lgkmcnt(0)
	v_cmp_ne_u16_e64 s[38:39], s68, v20
	v_cndmask_b32_e64 v94, v66, v20, s[38:39]
	v_lshrrev_b32_sdwa v94, s77, v94 dst_sel:DWORD dst_unused:UNUSED_PAD src0_sel:DWORD src1_sel:WORD_0
	v_and_b32_e32 v94, s78, v94
	v_lshlrev_b32_e32 v94, 2, v94
	ds_read_b32 v94, v94
	v_cmp_lt_i16_e64 s[38:39], -1, v20
	v_cndmask_b32_e64 v101, v66, -1, s[38:39]
	v_xor_b32_e32 v101, v101, v20
	s_waitcnt lgkmcnt(0)
	v_add_u32_e32 v20, v94, v24
	v_lshlrev_b64 v[20:21], 1, v[20:21]
	v_add_co_u32_e64 v20, s[38:39], s60, v20
	v_addc_co_u32_e64 v21, s[38:39], v97, v21, s[38:39]
	global_store_short v[20:21], v101, off
	s_or_b64 exec, exec, s[40:41]
	v_cmp_lt_u32_e64 s[38:39], v25, v93
	s_and_saveexec_b64 s[42:43], s[38:39]
	s_cbranch_execnz .LBB1843_281
.LBB1843_288:                           ;   in Loop: Header=BB1843_232 Depth=2
	s_or_b64 exec, exec, s[42:43]
	v_cmp_lt_u32_e64 s[40:41], v26, v93
	s_and_saveexec_b64 s[44:45], s[40:41]
	s_cbranch_execz .LBB1843_282
.LBB1843_289:                           ;   in Loop: Header=BB1843_232 Depth=2
	ds_read_u16 v20, v50 offset:1536
	v_mov_b32_e32 v21, v4
	v_mov_b32_e32 v97, s61
	s_waitcnt lgkmcnt(0)
	v_cmp_ne_u16_e64 s[42:43], s68, v20
	v_cndmask_b32_e64 v94, v66, v20, s[42:43]
	v_lshrrev_b32_sdwa v94, s77, v94 dst_sel:DWORD dst_unused:UNUSED_PAD src0_sel:DWORD src1_sel:WORD_0
	v_and_b32_e32 v94, s78, v94
	v_lshlrev_b32_e32 v94, 2, v94
	ds_read_b32 v94, v94
	v_cmp_lt_i16_e64 s[42:43], -1, v20
	v_cndmask_b32_e64 v101, v66, -1, s[42:43]
	v_xor_b32_e32 v101, v101, v20
	s_waitcnt lgkmcnt(0)
	v_add_u32_e32 v20, v94, v26
	v_lshlrev_b64 v[20:21], 1, v[20:21]
	v_add_co_u32_e64 v20, s[42:43], s60, v20
	v_addc_co_u32_e64 v21, s[42:43], v97, v21, s[42:43]
	global_store_short v[20:21], v101, off
	s_or_b64 exec, exec, s[44:45]
	v_cmp_lt_u32_e64 s[42:43], v29, v93
	s_and_saveexec_b64 s[46:47], s[42:43]
	s_cbranch_execnz .LBB1843_283
.LBB1843_290:                           ;   in Loop: Header=BB1843_232 Depth=2
	s_or_b64 exec, exec, s[46:47]
	v_cmp_lt_u32_e64 s[44:45], v30, v93
	s_and_saveexec_b64 s[48:49], s[44:45]
	s_cbranch_execz .LBB1843_284
.LBB1843_291:                           ;   in Loop: Header=BB1843_232 Depth=2
	ds_read_u16 v20, v50 offset:2560
	v_mov_b32_e32 v21, v4
	v_mov_b32_e32 v97, s61
	s_waitcnt lgkmcnt(0)
	v_cmp_ne_u16_e64 s[46:47], s68, v20
	v_cndmask_b32_e64 v94, v66, v20, s[46:47]
	v_lshrrev_b32_sdwa v94, s77, v94 dst_sel:DWORD dst_unused:UNUSED_PAD src0_sel:DWORD src1_sel:WORD_0
	v_and_b32_e32 v94, s78, v94
	v_lshlrev_b32_e32 v94, 2, v94
	ds_read_b32 v94, v94
	v_cmp_lt_i16_e64 s[46:47], -1, v20
	v_cndmask_b32_e64 v101, v66, -1, s[46:47]
	v_xor_b32_e32 v101, v101, v20
	s_waitcnt lgkmcnt(0)
	v_add_u32_e32 v20, v94, v30
	v_lshlrev_b64 v[20:21], 1, v[20:21]
	v_add_co_u32_e64 v20, s[46:47], s60, v20
	v_addc_co_u32_e64 v21, s[46:47], v97, v21, s[46:47]
	global_store_short v[20:21], v101, off
	s_or_b64 exec, exec, s[48:49]
	v_cmp_lt_u32_e64 s[46:47], v31, v93
	s_and_saveexec_b64 s[52:53], s[46:47]
	s_cbranch_execnz .LBB1843_285
.LBB1843_292:                           ;   in Loop: Header=BB1843_232 Depth=2
	s_or_b64 exec, exec, s[52:53]
	v_cmp_lt_u32_e64 s[48:49], v32, v93
	s_and_saveexec_b64 s[62:63], s[48:49]
	s_cbranch_execz .LBB1843_294
.LBB1843_293:                           ;   in Loop: Header=BB1843_232 Depth=2
	ds_read_u16 v20, v50 offset:3584
	v_mov_b32_e32 v21, v4
	v_mov_b32_e32 v97, s61
	s_waitcnt lgkmcnt(0)
	v_cmp_ne_u16_e64 s[52:53], s68, v20
	v_cndmask_b32_e64 v94, v66, v20, s[52:53]
	v_lshrrev_b32_sdwa v94, s77, v94 dst_sel:DWORD dst_unused:UNUSED_PAD src0_sel:DWORD src1_sel:WORD_0
	v_and_b32_e32 v94, s78, v94
	v_lshlrev_b32_e32 v94, 2, v94
	ds_read_b32 v94, v94
	v_cmp_lt_i16_e64 s[52:53], -1, v20
	v_cndmask_b32_e64 v101, v66, -1, s[52:53]
	v_xor_b32_e32 v101, v101, v20
	s_waitcnt lgkmcnt(0)
	v_add_u32_e32 v20, v94, v32
	v_lshlrev_b64 v[20:21], 1, v[20:21]
	v_add_co_u32_e64 v20, s[52:53], s60, v20
	v_addc_co_u32_e64 v21, s[52:53], v97, v21, s[52:53]
	global_store_short v[20:21], v101, off
.LBB1843_294:                           ;   in Loop: Header=BB1843_232 Depth=2
	s_or_b64 exec, exec, s[62:63]
	s_lshl_b64 s[52:53], s[72:73], 3
	v_mov_b32_e32 v21, s53
	v_add_co_u32_e64 v20, s[52:53], s52, v77
	v_addc_co_u32_e64 v21, s[52:53], v79, v21, s[52:53]
	v_cmp_lt_u32_e64 s[52:53], v74, v93
	s_and_saveexec_b64 s[62:63], s[52:53]
	s_xor_b64 s[52:53], exec, s[62:63]
	s_cbranch_execz .LBB1843_310
; %bb.295:                              ;   in Loop: Header=BB1843_232 Depth=2
	global_load_dwordx2 v[18:19], v[20:21], off
	s_or_b64 exec, exec, s[52:53]
	v_cmp_lt_u32_e64 s[52:53], v81, v93
	s_and_saveexec_b64 s[62:63], s[52:53]
	s_cbranch_execnz .LBB1843_311
.LBB1843_296:                           ;   in Loop: Header=BB1843_232 Depth=2
	s_or_b64 exec, exec, s[62:63]
	v_cmp_lt_u32_e64 s[52:53], v82, v93
	s_and_saveexec_b64 s[62:63], s[52:53]
	s_cbranch_execz .LBB1843_312
.LBB1843_297:                           ;   in Loop: Header=BB1843_232 Depth=2
	global_load_dwordx2 v[14:15], v[20:21], off offset:1024
	s_or_b64 exec, exec, s[62:63]
	v_cmp_lt_u32_e64 s[52:53], v83, v93
	s_and_saveexec_b64 s[62:63], s[52:53]
	s_cbranch_execnz .LBB1843_313
.LBB1843_298:                           ;   in Loop: Header=BB1843_232 Depth=2
	s_or_b64 exec, exec, s[62:63]
	v_cmp_lt_u32_e64 s[52:53], v84, v93
	s_and_saveexec_b64 s[62:63], s[52:53]
	s_cbranch_execz .LBB1843_314
.LBB1843_299:                           ;   in Loop: Header=BB1843_232 Depth=2
	global_load_dwordx2 v[10:11], v[20:21], off offset:2048
	s_or_b64 exec, exec, s[62:63]
	v_cmp_lt_u32_e64 s[52:53], v85, v93
	s_and_saveexec_b64 s[62:63], s[52:53]
	s_cbranch_execnz .LBB1843_315
.LBB1843_300:                           ;   in Loop: Header=BB1843_232 Depth=2
	s_or_b64 exec, exec, s[62:63]
	v_cmp_lt_u32_e64 s[52:53], v86, v93
	s_and_saveexec_b64 s[62:63], s[52:53]
	s_cbranch_execz .LBB1843_316
.LBB1843_301:                           ;   in Loop: Header=BB1843_232 Depth=2
	global_load_dwordx2 v[6:7], v[20:21], off offset:3072
	s_or_b64 exec, exec, s[62:63]
	v_cmp_lt_u32_e64 s[52:53], v87, v93
	s_and_saveexec_b64 s[62:63], s[52:53]
	s_cbranch_execnz .LBB1843_317
.LBB1843_302:                           ;   in Loop: Header=BB1843_232 Depth=2
	s_or_b64 exec, exec, s[62:63]
	s_and_saveexec_b64 s[62:63], vcc
	s_cbranch_execz .LBB1843_318
.LBB1843_303:                           ;   in Loop: Header=BB1843_232 Depth=2
	ds_read_u16 v20, v49 offset:1024
	s_waitcnt lgkmcnt(0)
	v_cmp_ne_u16_e64 s[52:53], s68, v20
	v_cndmask_b32_e64 v20, v66, v20, s[52:53]
	v_lshrrev_b32_sdwa v20, s77, v20 dst_sel:DWORD dst_unused:UNUSED_PAD src0_sel:DWORD src1_sel:WORD_0
	v_and_b32_e32 v80, s78, v20
	s_or_b64 exec, exec, s[62:63]
	s_and_saveexec_b64 s[62:63], s[36:37]
	s_cbranch_execnz .LBB1843_319
.LBB1843_304:                           ;   in Loop: Header=BB1843_232 Depth=2
	s_or_b64 exec, exec, s[62:63]
	s_and_saveexec_b64 s[62:63], s[38:39]
	s_cbranch_execz .LBB1843_320
.LBB1843_305:                           ;   in Loop: Header=BB1843_232 Depth=2
	ds_read_u16 v20, v50 offset:1024
	s_waitcnt lgkmcnt(0)
	v_cmp_ne_u16_e64 s[52:53], s68, v20
	v_cndmask_b32_e64 v20, v66, v20, s[52:53]
	v_lshrrev_b32_sdwa v20, s77, v20 dst_sel:DWORD dst_unused:UNUSED_PAD src0_sel:DWORD src1_sel:WORD_0
	v_and_b32_e32 v76, s78, v20
	s_or_b64 exec, exec, s[62:63]
	s_and_saveexec_b64 s[62:63], s[40:41]
	s_cbranch_execnz .LBB1843_321
.LBB1843_306:                           ;   in Loop: Header=BB1843_232 Depth=2
	s_or_b64 exec, exec, s[62:63]
	s_and_saveexec_b64 s[62:63], s[42:43]
	s_cbranch_execz .LBB1843_322
.LBB1843_307:                           ;   in Loop: Header=BB1843_232 Depth=2
	ds_read_u16 v20, v50 offset:2048
	s_waitcnt lgkmcnt(0)
	v_cmp_ne_u16_e64 s[52:53], s68, v20
	v_cndmask_b32_e64 v20, v66, v20, s[52:53]
	v_lshrrev_b32_sdwa v20, s77, v20 dst_sel:DWORD dst_unused:UNUSED_PAD src0_sel:DWORD src1_sel:WORD_0
	v_and_b32_e32 v73, s78, v20
	s_or_b64 exec, exec, s[62:63]
	s_and_saveexec_b64 s[62:63], s[44:45]
	s_cbranch_execnz .LBB1843_323
.LBB1843_308:                           ;   in Loop: Header=BB1843_232 Depth=2
	s_or_b64 exec, exec, s[62:63]
	s_and_saveexec_b64 s[62:63], s[46:47]
	s_cbranch_execz .LBB1843_324
.LBB1843_309:                           ;   in Loop: Header=BB1843_232 Depth=2
	ds_read_u16 v20, v50 offset:3072
	s_waitcnt lgkmcnt(0)
	v_cmp_ne_u16_e64 s[52:53], s68, v20
	v_cndmask_b32_e64 v20, v66, v20, s[52:53]
	v_lshrrev_b32_sdwa v20, s77, v20 dst_sel:DWORD dst_unused:UNUSED_PAD src0_sel:DWORD src1_sel:WORD_0
	v_and_b32_e32 v71, s78, v20
	s_or_b64 exec, exec, s[62:63]
	s_and_saveexec_b64 s[62:63], s[48:49]
	s_cbranch_execnz .LBB1843_325
	s_branch .LBB1843_326
.LBB1843_310:                           ;   in Loop: Header=BB1843_232 Depth=2
	s_or_b64 exec, exec, s[52:53]
	v_cmp_lt_u32_e64 s[52:53], v81, v93
	s_and_saveexec_b64 s[62:63], s[52:53]
	s_cbranch_execz .LBB1843_296
.LBB1843_311:                           ;   in Loop: Header=BB1843_232 Depth=2
	global_load_dwordx2 v[16:17], v[20:21], off offset:512
	s_or_b64 exec, exec, s[62:63]
	v_cmp_lt_u32_e64 s[52:53], v82, v93
	s_and_saveexec_b64 s[62:63], s[52:53]
	s_cbranch_execnz .LBB1843_297
.LBB1843_312:                           ;   in Loop: Header=BB1843_232 Depth=2
	s_or_b64 exec, exec, s[62:63]
	v_cmp_lt_u32_e64 s[52:53], v83, v93
	s_and_saveexec_b64 s[62:63], s[52:53]
	s_cbranch_execz .LBB1843_298
.LBB1843_313:                           ;   in Loop: Header=BB1843_232 Depth=2
	global_load_dwordx2 v[12:13], v[20:21], off offset:1536
	s_or_b64 exec, exec, s[62:63]
	v_cmp_lt_u32_e64 s[52:53], v84, v93
	s_and_saveexec_b64 s[62:63], s[52:53]
	s_cbranch_execnz .LBB1843_299
.LBB1843_314:                           ;   in Loop: Header=BB1843_232 Depth=2
	s_or_b64 exec, exec, s[62:63]
	v_cmp_lt_u32_e64 s[52:53], v85, v93
	s_and_saveexec_b64 s[62:63], s[52:53]
	s_cbranch_execz .LBB1843_300
.LBB1843_315:                           ;   in Loop: Header=BB1843_232 Depth=2
	global_load_dwordx2 v[8:9], v[20:21], off offset:2560
	s_or_b64 exec, exec, s[62:63]
	v_cmp_lt_u32_e64 s[52:53], v86, v93
	s_and_saveexec_b64 s[62:63], s[52:53]
	s_cbranch_execnz .LBB1843_301
.LBB1843_316:                           ;   in Loop: Header=BB1843_232 Depth=2
	s_or_b64 exec, exec, s[62:63]
	v_cmp_lt_u32_e64 s[52:53], v87, v93
	s_and_saveexec_b64 s[62:63], s[52:53]
	s_cbranch_execz .LBB1843_302
.LBB1843_317:                           ;   in Loop: Header=BB1843_232 Depth=2
	global_load_dwordx2 v[0:1], v[20:21], off offset:3584
	s_or_b64 exec, exec, s[62:63]
	s_and_saveexec_b64 s[62:63], vcc
	s_cbranch_execnz .LBB1843_303
.LBB1843_318:                           ;   in Loop: Header=BB1843_232 Depth=2
	s_or_b64 exec, exec, s[62:63]
	s_and_saveexec_b64 s[62:63], s[36:37]
	s_cbranch_execz .LBB1843_304
.LBB1843_319:                           ;   in Loop: Header=BB1843_232 Depth=2
	ds_read_u16 v20, v50 offset:512
	s_waitcnt lgkmcnt(0)
	v_cmp_ne_u16_e64 s[52:53], s68, v20
	v_cndmask_b32_e64 v20, v66, v20, s[52:53]
	v_lshrrev_b32_sdwa v20, s77, v20 dst_sel:DWORD dst_unused:UNUSED_PAD src0_sel:DWORD src1_sel:WORD_0
	v_and_b32_e32 v78, s78, v20
	s_or_b64 exec, exec, s[62:63]
	s_and_saveexec_b64 s[62:63], s[38:39]
	s_cbranch_execnz .LBB1843_305
.LBB1843_320:                           ;   in Loop: Header=BB1843_232 Depth=2
	s_or_b64 exec, exec, s[62:63]
	s_and_saveexec_b64 s[62:63], s[40:41]
	s_cbranch_execz .LBB1843_306
.LBB1843_321:                           ;   in Loop: Header=BB1843_232 Depth=2
	ds_read_u16 v20, v50 offset:1536
	s_waitcnt lgkmcnt(0)
	v_cmp_ne_u16_e64 s[52:53], s68, v20
	v_cndmask_b32_e64 v20, v66, v20, s[52:53]
	v_lshrrev_b32_sdwa v20, s77, v20 dst_sel:DWORD dst_unused:UNUSED_PAD src0_sel:DWORD src1_sel:WORD_0
	v_and_b32_e32 v75, s78, v20
	s_or_b64 exec, exec, s[62:63]
	s_and_saveexec_b64 s[62:63], s[42:43]
	s_cbranch_execnz .LBB1843_307
.LBB1843_322:                           ;   in Loop: Header=BB1843_232 Depth=2
	s_or_b64 exec, exec, s[62:63]
	s_and_saveexec_b64 s[62:63], s[44:45]
	s_cbranch_execz .LBB1843_308
.LBB1843_323:                           ;   in Loop: Header=BB1843_232 Depth=2
	ds_read_u16 v20, v50 offset:2560
	s_waitcnt lgkmcnt(0)
	v_cmp_ne_u16_e64 s[52:53], s68, v20
	v_cndmask_b32_e64 v20, v66, v20, s[52:53]
	v_lshrrev_b32_sdwa v20, s77, v20 dst_sel:DWORD dst_unused:UNUSED_PAD src0_sel:DWORD src1_sel:WORD_0
	v_and_b32_e32 v72, s78, v20
	s_or_b64 exec, exec, s[62:63]
	s_and_saveexec_b64 s[62:63], s[46:47]
	s_cbranch_execnz .LBB1843_309
.LBB1843_324:                           ;   in Loop: Header=BB1843_232 Depth=2
	s_or_b64 exec, exec, s[62:63]
	s_and_saveexec_b64 s[62:63], s[48:49]
	s_cbranch_execz .LBB1843_326
.LBB1843_325:                           ;   in Loop: Header=BB1843_232 Depth=2
	ds_read_u16 v20, v50 offset:3584
	s_waitcnt lgkmcnt(0)
	v_cmp_ne_u16_e64 s[52:53], s68, v20
	v_cndmask_b32_e64 v20, v66, v20, s[52:53]
	v_lshrrev_b32_sdwa v20, s77, v20 dst_sel:DWORD dst_unused:UNUSED_PAD src0_sel:DWORD src1_sel:WORD_0
	v_and_b32_e32 v70, s78, v20
.LBB1843_326:                           ;   in Loop: Header=BB1843_232 Depth=2
	s_or_b64 exec, exec, s[62:63]
	v_lshlrev_b32_e32 v20, 3, v103
	s_barrier
	s_waitcnt vmcnt(0)
	ds_write_b64 v20, v[18:19] offset:1024
	v_lshlrev_b32_e32 v20, 3, v100
	ds_write_b64 v20, v[16:17] offset:1024
	v_lshlrev_b32_e32 v20, 3, v99
	;; [unrolled: 2-line block ×7, first 2 shown]
	ds_write_b64 v20, v[0:1] offset:1024
	s_waitcnt lgkmcnt(0)
	s_barrier
	s_and_saveexec_b64 s[52:53], vcc
	s_cbranch_execz .LBB1843_334
; %bb.327:                              ;   in Loop: Header=BB1843_232 Depth=2
	v_lshlrev_b32_e32 v20, 2, v80
	ds_read_b32 v20, v20
	v_add_u32_e32 v22, v49, v51
	ds_read_b64 v[22:23], v22 offset:1024
	v_mov_b32_e32 v21, v4
	v_mov_b32_e32 v93, s67
	s_waitcnt lgkmcnt(1)
	v_add_u32_e32 v20, v20, v2
	v_lshlrev_b64 v[20:21], 3, v[20:21]
	v_add_co_u32_e32 v20, vcc, s66, v20
	v_addc_co_u32_e32 v21, vcc, v93, v21, vcc
	s_waitcnt lgkmcnt(0)
	global_store_dwordx2 v[20:21], v[22:23], off
	s_or_b64 exec, exec, s[52:53]
	s_and_saveexec_b64 s[52:53], s[36:37]
	s_cbranch_execnz .LBB1843_335
.LBB1843_328:                           ;   in Loop: Header=BB1843_232 Depth=2
	s_or_b64 exec, exec, s[52:53]
	s_and_saveexec_b64 s[36:37], s[38:39]
	s_cbranch_execz .LBB1843_336
.LBB1843_329:                           ;   in Loop: Header=BB1843_232 Depth=2
	v_lshlrev_b32_e32 v20, 2, v76
	ds_read_b32 v22, v20
	v_add_u32_e32 v20, v50, v51
	ds_read_b64 v[20:21], v20 offset:4096
	v_mov_b32_e32 v23, v4
	v_mov_b32_e32 v93, s67
	s_waitcnt lgkmcnt(1)
	v_add_u32_e32 v22, v22, v25
	v_lshlrev_b64 v[22:23], 3, v[22:23]
	v_add_co_u32_e32 v22, vcc, s66, v22
	v_addc_co_u32_e32 v23, vcc, v93, v23, vcc
	s_waitcnt lgkmcnt(0)
	global_store_dwordx2 v[22:23], v[20:21], off
	s_or_b64 exec, exec, s[36:37]
	s_and_saveexec_b64 s[36:37], s[40:41]
	s_cbranch_execnz .LBB1843_337
.LBB1843_330:                           ;   in Loop: Header=BB1843_232 Depth=2
	s_or_b64 exec, exec, s[36:37]
	s_and_saveexec_b64 s[36:37], s[42:43]
	s_cbranch_execz .LBB1843_338
.LBB1843_331:                           ;   in Loop: Header=BB1843_232 Depth=2
	v_lshlrev_b32_e32 v20, 2, v73
	ds_read_b32 v22, v20
	v_add_u32_e32 v20, v50, v51
	ds_read_b64 v[20:21], v20 offset:8192
	v_mov_b32_e32 v23, v4
	v_mov_b32_e32 v93, s67
	s_waitcnt lgkmcnt(1)
	v_add_u32_e32 v22, v22, v29
	v_lshlrev_b64 v[22:23], 3, v[22:23]
	v_add_co_u32_e32 v22, vcc, s66, v22
	v_addc_co_u32_e32 v23, vcc, v93, v23, vcc
	s_waitcnt lgkmcnt(0)
	global_store_dwordx2 v[22:23], v[20:21], off
	s_or_b64 exec, exec, s[36:37]
	s_and_saveexec_b64 s[36:37], s[44:45]
	s_cbranch_execnz .LBB1843_339
.LBB1843_332:                           ;   in Loop: Header=BB1843_232 Depth=2
	s_or_b64 exec, exec, s[36:37]
	s_and_saveexec_b64 s[36:37], s[46:47]
	s_cbranch_execz .LBB1843_340
.LBB1843_333:                           ;   in Loop: Header=BB1843_232 Depth=2
	v_lshlrev_b32_e32 v20, 2, v71
	ds_read_b32 v22, v20
	v_add_u32_e32 v20, v50, v51
	ds_read_b64 v[20:21], v20 offset:12288
	v_mov_b32_e32 v23, v4
	v_mov_b32_e32 v93, s67
	s_waitcnt lgkmcnt(1)
	v_add_u32_e32 v22, v22, v31
	v_lshlrev_b64 v[22:23], 3, v[22:23]
	v_add_co_u32_e32 v22, vcc, s66, v22
	v_addc_co_u32_e32 v23, vcc, v93, v23, vcc
	s_waitcnt lgkmcnt(0)
	global_store_dwordx2 v[22:23], v[20:21], off
	s_or_b64 exec, exec, s[36:37]
	s_and_saveexec_b64 s[36:37], s[48:49]
	s_cbranch_execnz .LBB1843_341
	s_branch .LBB1843_342
.LBB1843_334:                           ;   in Loop: Header=BB1843_232 Depth=2
	s_or_b64 exec, exec, s[52:53]
	s_and_saveexec_b64 s[52:53], s[36:37]
	s_cbranch_execz .LBB1843_328
.LBB1843_335:                           ;   in Loop: Header=BB1843_232 Depth=2
	v_lshlrev_b32_e32 v20, 2, v78
	ds_read_b32 v22, v20
	v_add_u32_e32 v20, v50, v51
	ds_read_b64 v[20:21], v20 offset:2048
	v_mov_b32_e32 v23, v4
	v_mov_b32_e32 v93, s67
	s_waitcnt lgkmcnt(1)
	v_add_u32_e32 v22, v22, v24
	v_lshlrev_b64 v[22:23], 3, v[22:23]
	v_add_co_u32_e32 v22, vcc, s66, v22
	v_addc_co_u32_e32 v23, vcc, v93, v23, vcc
	s_waitcnt lgkmcnt(0)
	global_store_dwordx2 v[22:23], v[20:21], off
	s_or_b64 exec, exec, s[52:53]
	s_and_saveexec_b64 s[36:37], s[38:39]
	s_cbranch_execnz .LBB1843_329
.LBB1843_336:                           ;   in Loop: Header=BB1843_232 Depth=2
	s_or_b64 exec, exec, s[36:37]
	s_and_saveexec_b64 s[36:37], s[40:41]
	s_cbranch_execz .LBB1843_330
.LBB1843_337:                           ;   in Loop: Header=BB1843_232 Depth=2
	v_lshlrev_b32_e32 v20, 2, v75
	ds_read_b32 v22, v20
	v_add_u32_e32 v20, v50, v51
	ds_read_b64 v[20:21], v20 offset:6144
	v_mov_b32_e32 v23, v4
	v_mov_b32_e32 v93, s67
	s_waitcnt lgkmcnt(1)
	v_add_u32_e32 v22, v22, v26
	v_lshlrev_b64 v[22:23], 3, v[22:23]
	v_add_co_u32_e32 v22, vcc, s66, v22
	v_addc_co_u32_e32 v23, vcc, v93, v23, vcc
	s_waitcnt lgkmcnt(0)
	global_store_dwordx2 v[22:23], v[20:21], off
	s_or_b64 exec, exec, s[36:37]
	s_and_saveexec_b64 s[36:37], s[42:43]
	s_cbranch_execnz .LBB1843_331
.LBB1843_338:                           ;   in Loop: Header=BB1843_232 Depth=2
	s_or_b64 exec, exec, s[36:37]
	s_and_saveexec_b64 s[36:37], s[44:45]
	s_cbranch_execz .LBB1843_332
.LBB1843_339:                           ;   in Loop: Header=BB1843_232 Depth=2
	v_lshlrev_b32_e32 v20, 2, v72
	ds_read_b32 v22, v20
	v_add_u32_e32 v20, v50, v51
	ds_read_b64 v[20:21], v20 offset:10240
	v_mov_b32_e32 v23, v4
	v_mov_b32_e32 v93, s67
	s_waitcnt lgkmcnt(1)
	v_add_u32_e32 v22, v22, v30
	v_lshlrev_b64 v[22:23], 3, v[22:23]
	v_add_co_u32_e32 v22, vcc, s66, v22
	v_addc_co_u32_e32 v23, vcc, v93, v23, vcc
	s_waitcnt lgkmcnt(0)
	global_store_dwordx2 v[22:23], v[20:21], off
	s_or_b64 exec, exec, s[36:37]
	s_and_saveexec_b64 s[36:37], s[46:47]
	s_cbranch_execnz .LBB1843_333
.LBB1843_340:                           ;   in Loop: Header=BB1843_232 Depth=2
	s_or_b64 exec, exec, s[36:37]
	s_and_saveexec_b64 s[36:37], s[48:49]
	s_cbranch_execz .LBB1843_342
.LBB1843_341:                           ;   in Loop: Header=BB1843_232 Depth=2
	v_lshlrev_b32_e32 v20, 2, v70
	ds_read_b32 v22, v20
	v_add_u32_e32 v20, v50, v51
	ds_read_b64 v[20:21], v20 offset:14336
	v_mov_b32_e32 v23, v4
	v_mov_b32_e32 v93, s67
	s_waitcnt lgkmcnt(1)
	v_add_u32_e32 v22, v22, v32
	v_lshlrev_b64 v[22:23], 3, v[22:23]
	v_add_co_u32_e32 v22, vcc, s66, v22
	v_addc_co_u32_e32 v23, vcc, v93, v23, vcc
	s_waitcnt lgkmcnt(0)
	global_store_dwordx2 v[22:23], v[20:21], off
.LBB1843_342:                           ;   in Loop: Header=BB1843_232 Depth=2
	s_or_b64 exec, exec, s[36:37]
	s_barrier
	s_and_saveexec_b64 s[36:37], s[4:5]
	s_cbranch_execz .LBB1843_231
; %bb.343:                              ;   in Loop: Header=BB1843_232 Depth=2
	ds_read_b32 v20, v3
	s_waitcnt lgkmcnt(0)
	v_add_u32_e32 v5, v20, v5
	ds_write_b32 v3, v5
	s_branch .LBB1843_231
.LBB1843_344:                           ;   in Loop: Header=BB1843_12 Depth=1
	s_waitcnt lgkmcnt(0)
	s_barrier
.LBB1843_345:                           ;   in Loop: Header=BB1843_12 Depth=1
	s_mov_b64 s[16:17], 0
.LBB1843_346:                           ;   in Loop: Header=BB1843_12 Depth=1
	s_andn2_b64 vcc, exec, s[16:17]
	s_cbranch_vccnz .LBB1843_11
; %bb.347:                              ;   in Loop: Header=BB1843_12 Depth=1
	s_mov_b64 s[16:17], -1
	s_and_b64 vcc, exec, s[54:55]
	s_cbranch_vccz .LBB1843_513
; %bb.348:                              ;   in Loop: Header=BB1843_12 Depth=1
	s_mov_b32 s22, s71
	s_mov_b32 s72, s51
	s_barrier
	s_waitcnt lgkmcnt(0)
                                        ; implicit-def: $vgpr12
                                        ; implicit-def: $vgpr5
                                        ; implicit-def: $vgpr6
                                        ; implicit-def: $vgpr7
                                        ; implicit-def: $vgpr8
                                        ; implicit-def: $vgpr9
                                        ; implicit-def: $vgpr10
                                        ; implicit-def: $vgpr11
	s_branch .LBB1843_350
.LBB1843_349:                           ;   in Loop: Header=BB1843_350 Depth=2
	s_or_b64 exec, exec, s[16:17]
	s_addk_i32 s22, 0xf800
	s_cmp_ge_u32 s23, s76
	s_mov_b32 s72, s23
	s_cbranch_scc1 .LBB1843_388
.LBB1843_350:                           ;   Parent Loop BB1843_12 Depth=1
                                        ; =>  This Inner Loop Header: Depth=2
	s_add_i32 s23, s72, 0x800
	s_cmp_gt_u32 s23, s76
	s_cbranch_scc1 .LBB1843_353
; %bb.351:                              ;   in Loop: Header=BB1843_350 Depth=2
	s_lshl_b64 s[16:17], s[72:73], 1
	v_mov_b32_e32 v1, s17
	v_add_co_u32_e32 v0, vcc, s16, v58
	v_addc_co_u32_e32 v1, vcc, v59, v1, vcc
	global_load_ushort v14, v[0:1], off
	global_load_ushort v15, v[0:1], off offset:512
	global_load_ushort v16, v[0:1], off offset:1024
	;; [unrolled: 1-line block ×6, first 2 shown]
	v_add_co_u32_e32 v0, vcc, 0xe00, v0
	v_addc_co_u32_e32 v1, vcc, 0, v1, vcc
	s_mov_b64 s[16:17], -1
	s_movk_i32 s24, 0x800
	s_cbranch_execz .LBB1843_354
; %bb.352:                              ;   in Loop: Header=BB1843_350 Depth=2
                                        ; implicit-def: $vgpr11
                                        ; implicit-def: $vgpr10
                                        ; implicit-def: $vgpr9
                                        ; implicit-def: $vgpr8
                                        ; implicit-def: $vgpr7
                                        ; implicit-def: $vgpr6
                                        ; implicit-def: $vgpr5
                                        ; implicit-def: $vgpr12
	v_mov_b32_e32 v13, s22
	s_and_saveexec_b64 s[18:19], s[16:17]
	s_cbranch_execnz .LBB1843_365
	s_branch .LBB1843_366
.LBB1843_353:                           ;   in Loop: Header=BB1843_350 Depth=2
	s_mov_b64 s[16:17], 0
                                        ; implicit-def: $sgpr24
                                        ; implicit-def: $vgpr14
                                        ; implicit-def: $vgpr15
                                        ; implicit-def: $vgpr16
                                        ; implicit-def: $vgpr17
                                        ; implicit-def: $vgpr18
                                        ; implicit-def: $vgpr19
                                        ; implicit-def: $vgpr20
                                        ; implicit-def: $vgpr0_vgpr1
.LBB1843_354:                           ;   in Loop: Header=BB1843_350 Depth=2
	s_lshl_b64 s[18:19], s[72:73], 1
	s_add_u32 s18, s56, s18
	s_addc_u32 s19, s57, s19
	v_cmp_gt_u32_e32 vcc, s22, v2
	s_and_saveexec_b64 s[20:21], vcc
	s_cbranch_execz .LBB1843_382
; %bb.355:                              ;   in Loop: Header=BB1843_350 Depth=2
	global_load_ushort v11, v65, s[18:19]
	s_or_b64 exec, exec, s[20:21]
	v_cmp_gt_u32_e32 vcc, s22, v24
	s_and_saveexec_b64 s[20:21], vcc
	s_cbranch_execnz .LBB1843_383
.LBB1843_356:                           ;   in Loop: Header=BB1843_350 Depth=2
	s_or_b64 exec, exec, s[20:21]
	v_cmp_gt_u32_e32 vcc, s22, v25
	s_and_saveexec_b64 s[20:21], vcc
	s_cbranch_execz .LBB1843_384
.LBB1843_357:                           ;   in Loop: Header=BB1843_350 Depth=2
	global_load_ushort v9, v65, s[18:19] offset:1024
	s_or_b64 exec, exec, s[20:21]
	v_cmp_gt_u32_e32 vcc, s22, v26
	s_and_saveexec_b64 s[20:21], vcc
	s_cbranch_execnz .LBB1843_385
.LBB1843_358:                           ;   in Loop: Header=BB1843_350 Depth=2
	s_or_b64 exec, exec, s[20:21]
	v_cmp_gt_u32_e32 vcc, s22, v29
	s_and_saveexec_b64 s[20:21], vcc
	s_cbranch_execz .LBB1843_386
.LBB1843_359:                           ;   in Loop: Header=BB1843_350 Depth=2
	global_load_ushort v7, v65, s[18:19] offset:2048
	s_or_b64 exec, exec, s[20:21]
	v_cmp_gt_u32_e32 vcc, s22, v30
	s_and_saveexec_b64 s[20:21], vcc
	s_cbranch_execnz .LBB1843_387
.LBB1843_360:                           ;   in Loop: Header=BB1843_350 Depth=2
	s_or_b64 exec, exec, s[20:21]
	v_cmp_gt_u32_e32 vcc, s22, v31
	s_and_saveexec_b64 s[20:21], vcc
	s_cbranch_execz .LBB1843_362
.LBB1843_361:                           ;   in Loop: Header=BB1843_350 Depth=2
	global_load_ushort v5, v65, s[18:19] offset:3072
.LBB1843_362:                           ;   in Loop: Header=BB1843_350 Depth=2
	s_or_b64 exec, exec, s[20:21]
	v_cmp_gt_u32_e32 vcc, s22, v32
                                        ; implicit-def: $sgpr24
                                        ; implicit-def: $vgpr0_vgpr1
	s_and_saveexec_b64 s[20:21], vcc
	s_cbranch_execz .LBB1843_364
; %bb.363:                              ;   in Loop: Header=BB1843_350 Depth=2
	v_mov_b32_e32 v0, s19
	v_add_co_u32_e32 v1, vcc, s18, v65
	s_waitcnt vmcnt(0)
	v_addc_co_u32_e32 v12, vcc, 0, v0, vcc
	v_add_co_u32_e32 v0, vcc, 0xe00, v1
	s_sub_i32 s24, s76, s72
	v_addc_co_u32_e32 v1, vcc, 0, v12, vcc
	s_or_b64 s[16:17], s[16:17], exec
                                        ; implicit-def: $vgpr12
.LBB1843_364:                           ;   in Loop: Header=BB1843_350 Depth=2
	s_or_b64 exec, exec, s[20:21]
	s_waitcnt vmcnt(0)
	v_mov_b32_e32 v14, v11
	v_mov_b32_e32 v15, v10
	;; [unrolled: 1-line block ×8, first 2 shown]
	s_and_saveexec_b64 s[18:19], s[16:17]
	s_cbranch_execz .LBB1843_366
.LBB1843_365:                           ;   in Loop: Header=BB1843_350 Depth=2
	global_load_ushort v12, v[0:1], off
	v_mov_b32_e32 v13, s24
	s_waitcnt vmcnt(1)
	v_mov_b32_e32 v5, v20
	v_mov_b32_e32 v6, v19
	;; [unrolled: 1-line block ×7, first 2 shown]
.LBB1843_366:                           ;   in Loop: Header=BB1843_350 Depth=2
	s_or_b64 exec, exec, s[18:19]
	v_cmp_lt_u32_e32 vcc, v2, v13
	s_and_saveexec_b64 s[16:17], vcc
	s_cbranch_execz .LBB1843_374
; %bb.367:                              ;   in Loop: Header=BB1843_350 Depth=2
	v_cmp_lt_i16_e32 vcc, -1, v11
	v_cndmask_b32_e32 v0, -1, v66, vcc
	v_xor_b32_e32 v0, v0, v11
	v_cmp_ne_u16_e32 vcc, s68, v0
	v_cndmask_b32_e32 v0, v66, v0, vcc
	v_lshrrev_b32_sdwa v0, s69, v0 dst_sel:DWORD dst_unused:UNUSED_PAD src0_sel:DWORD src1_sel:WORD_0
	v_and_b32_e32 v0, s78, v0
	v_lshl_or_b32 v0, v0, 4, v67
	ds_add_u32 v0, v64
	s_or_b64 exec, exec, s[16:17]
	v_cmp_lt_u32_e32 vcc, v24, v13
	s_and_saveexec_b64 s[16:17], vcc
	s_cbranch_execnz .LBB1843_375
.LBB1843_368:                           ;   in Loop: Header=BB1843_350 Depth=2
	s_or_b64 exec, exec, s[16:17]
	v_cmp_lt_u32_e32 vcc, v25, v13
	s_and_saveexec_b64 s[16:17], vcc
	s_cbranch_execz .LBB1843_376
.LBB1843_369:                           ;   in Loop: Header=BB1843_350 Depth=2
	v_cmp_lt_i16_e32 vcc, -1, v9
	v_cndmask_b32_e32 v0, -1, v66, vcc
	v_xor_b32_e32 v0, v0, v9
	v_cmp_ne_u16_e32 vcc, s68, v0
	v_cndmask_b32_e32 v0, v66, v0, vcc
	v_lshrrev_b32_sdwa v0, s69, v0 dst_sel:DWORD dst_unused:UNUSED_PAD src0_sel:DWORD src1_sel:WORD_0
	v_and_b32_e32 v0, s78, v0
	v_lshl_or_b32 v0, v0, 4, v67
	ds_add_u32 v0, v64
	s_or_b64 exec, exec, s[16:17]
	v_cmp_lt_u32_e32 vcc, v26, v13
	s_and_saveexec_b64 s[16:17], vcc
	s_cbranch_execnz .LBB1843_377
.LBB1843_370:                           ;   in Loop: Header=BB1843_350 Depth=2
	s_or_b64 exec, exec, s[16:17]
	v_cmp_lt_u32_e32 vcc, v29, v13
	s_and_saveexec_b64 s[16:17], vcc
	s_cbranch_execz .LBB1843_378
.LBB1843_371:                           ;   in Loop: Header=BB1843_350 Depth=2
	v_cmp_lt_i16_e32 vcc, -1, v7
	v_cndmask_b32_e32 v0, -1, v66, vcc
	v_xor_b32_e32 v0, v0, v7
	v_cmp_ne_u16_e32 vcc, s68, v0
	v_cndmask_b32_e32 v0, v66, v0, vcc
	v_lshrrev_b32_sdwa v0, s69, v0 dst_sel:DWORD dst_unused:UNUSED_PAD src0_sel:DWORD src1_sel:WORD_0
	v_and_b32_e32 v0, s78, v0
	v_lshl_or_b32 v0, v0, 4, v67
	ds_add_u32 v0, v64
	s_or_b64 exec, exec, s[16:17]
	v_cmp_lt_u32_e32 vcc, v30, v13
	s_and_saveexec_b64 s[16:17], vcc
	s_cbranch_execnz .LBB1843_379
.LBB1843_372:                           ;   in Loop: Header=BB1843_350 Depth=2
	s_or_b64 exec, exec, s[16:17]
	v_cmp_lt_u32_e32 vcc, v31, v13
	s_and_saveexec_b64 s[16:17], vcc
	s_cbranch_execz .LBB1843_380
.LBB1843_373:                           ;   in Loop: Header=BB1843_350 Depth=2
	v_cmp_lt_i16_e32 vcc, -1, v5
	v_cndmask_b32_e32 v0, -1, v66, vcc
	v_xor_b32_e32 v0, v0, v5
	v_cmp_ne_u16_e32 vcc, s68, v0
	v_cndmask_b32_e32 v0, v66, v0, vcc
	v_lshrrev_b32_sdwa v0, s69, v0 dst_sel:DWORD dst_unused:UNUSED_PAD src0_sel:DWORD src1_sel:WORD_0
	v_and_b32_e32 v0, s78, v0
	v_lshl_or_b32 v0, v0, 4, v67
	ds_add_u32 v0, v64
	s_or_b64 exec, exec, s[16:17]
	v_cmp_lt_u32_e32 vcc, v32, v13
	s_and_saveexec_b64 s[16:17], vcc
	s_cbranch_execz .LBB1843_349
	s_branch .LBB1843_381
.LBB1843_374:                           ;   in Loop: Header=BB1843_350 Depth=2
	s_or_b64 exec, exec, s[16:17]
	v_cmp_lt_u32_e32 vcc, v24, v13
	s_and_saveexec_b64 s[16:17], vcc
	s_cbranch_execz .LBB1843_368
.LBB1843_375:                           ;   in Loop: Header=BB1843_350 Depth=2
	v_cmp_lt_i16_e32 vcc, -1, v10
	v_cndmask_b32_e32 v0, -1, v66, vcc
	v_xor_b32_e32 v0, v0, v10
	v_cmp_ne_u16_e32 vcc, s68, v0
	v_cndmask_b32_e32 v0, v66, v0, vcc
	v_lshrrev_b32_sdwa v0, s69, v0 dst_sel:DWORD dst_unused:UNUSED_PAD src0_sel:DWORD src1_sel:WORD_0
	v_and_b32_e32 v0, s78, v0
	v_lshl_or_b32 v0, v0, 4, v67
	ds_add_u32 v0, v64
	s_or_b64 exec, exec, s[16:17]
	v_cmp_lt_u32_e32 vcc, v25, v13
	s_and_saveexec_b64 s[16:17], vcc
	s_cbranch_execnz .LBB1843_369
.LBB1843_376:                           ;   in Loop: Header=BB1843_350 Depth=2
	s_or_b64 exec, exec, s[16:17]
	v_cmp_lt_u32_e32 vcc, v26, v13
	s_and_saveexec_b64 s[16:17], vcc
	s_cbranch_execz .LBB1843_370
.LBB1843_377:                           ;   in Loop: Header=BB1843_350 Depth=2
	v_cmp_lt_i16_e32 vcc, -1, v8
	v_cndmask_b32_e32 v0, -1, v66, vcc
	v_xor_b32_e32 v0, v0, v8
	v_cmp_ne_u16_e32 vcc, s68, v0
	v_cndmask_b32_e32 v0, v66, v0, vcc
	v_lshrrev_b32_sdwa v0, s69, v0 dst_sel:DWORD dst_unused:UNUSED_PAD src0_sel:DWORD src1_sel:WORD_0
	v_and_b32_e32 v0, s78, v0
	v_lshl_or_b32 v0, v0, 4, v67
	ds_add_u32 v0, v64
	s_or_b64 exec, exec, s[16:17]
	v_cmp_lt_u32_e32 vcc, v29, v13
	s_and_saveexec_b64 s[16:17], vcc
	s_cbranch_execnz .LBB1843_371
.LBB1843_378:                           ;   in Loop: Header=BB1843_350 Depth=2
	s_or_b64 exec, exec, s[16:17]
	v_cmp_lt_u32_e32 vcc, v30, v13
	s_and_saveexec_b64 s[16:17], vcc
	s_cbranch_execz .LBB1843_372
.LBB1843_379:                           ;   in Loop: Header=BB1843_350 Depth=2
	v_cmp_lt_i16_e32 vcc, -1, v6
	v_cndmask_b32_e32 v0, -1, v66, vcc
	v_xor_b32_e32 v0, v0, v6
	v_cmp_ne_u16_e32 vcc, s68, v0
	v_cndmask_b32_e32 v0, v66, v0, vcc
	v_lshrrev_b32_sdwa v0, s69, v0 dst_sel:DWORD dst_unused:UNUSED_PAD src0_sel:DWORD src1_sel:WORD_0
	v_and_b32_e32 v0, s78, v0
	v_lshl_or_b32 v0, v0, 4, v67
	ds_add_u32 v0, v64
	s_or_b64 exec, exec, s[16:17]
	v_cmp_lt_u32_e32 vcc, v31, v13
	s_and_saveexec_b64 s[16:17], vcc
	s_cbranch_execnz .LBB1843_373
.LBB1843_380:                           ;   in Loop: Header=BB1843_350 Depth=2
	s_or_b64 exec, exec, s[16:17]
	v_cmp_lt_u32_e32 vcc, v32, v13
	s_and_saveexec_b64 s[16:17], vcc
	s_cbranch_execz .LBB1843_349
.LBB1843_381:                           ;   in Loop: Header=BB1843_350 Depth=2
	s_waitcnt vmcnt(0)
	v_cmp_lt_i16_e32 vcc, -1, v12
	v_cndmask_b32_e32 v0, -1, v66, vcc
	v_xor_b32_e32 v0, v0, v12
	v_cmp_ne_u16_e32 vcc, s68, v0
	v_cndmask_b32_e32 v0, v66, v0, vcc
	v_lshrrev_b32_sdwa v0, s69, v0 dst_sel:DWORD dst_unused:UNUSED_PAD src0_sel:DWORD src1_sel:WORD_0
	v_and_b32_e32 v0, s78, v0
	v_lshl_or_b32 v0, v0, 4, v67
	ds_add_u32 v0, v64
	s_branch .LBB1843_349
.LBB1843_382:                           ;   in Loop: Header=BB1843_350 Depth=2
	s_or_b64 exec, exec, s[20:21]
	v_cmp_gt_u32_e32 vcc, s22, v24
	s_and_saveexec_b64 s[20:21], vcc
	s_cbranch_execz .LBB1843_356
.LBB1843_383:                           ;   in Loop: Header=BB1843_350 Depth=2
	global_load_ushort v10, v65, s[18:19] offset:512
	s_or_b64 exec, exec, s[20:21]
	v_cmp_gt_u32_e32 vcc, s22, v25
	s_and_saveexec_b64 s[20:21], vcc
	s_cbranch_execnz .LBB1843_357
.LBB1843_384:                           ;   in Loop: Header=BB1843_350 Depth=2
	s_or_b64 exec, exec, s[20:21]
	v_cmp_gt_u32_e32 vcc, s22, v26
	s_and_saveexec_b64 s[20:21], vcc
	s_cbranch_execz .LBB1843_358
.LBB1843_385:                           ;   in Loop: Header=BB1843_350 Depth=2
	global_load_ushort v8, v65, s[18:19] offset:1536
	s_or_b64 exec, exec, s[20:21]
	v_cmp_gt_u32_e32 vcc, s22, v29
	s_and_saveexec_b64 s[20:21], vcc
	s_cbranch_execnz .LBB1843_359
.LBB1843_386:                           ;   in Loop: Header=BB1843_350 Depth=2
	s_or_b64 exec, exec, s[20:21]
	v_cmp_gt_u32_e32 vcc, s22, v30
	s_and_saveexec_b64 s[20:21], vcc
	s_cbranch_execz .LBB1843_360
.LBB1843_387:                           ;   in Loop: Header=BB1843_350 Depth=2
	global_load_ushort v6, v65, s[18:19] offset:2560
	s_or_b64 exec, exec, s[20:21]
	v_cmp_gt_u32_e32 vcc, s22, v31
	s_and_saveexec_b64 s[20:21], vcc
	s_cbranch_execz .LBB1843_362
	s_branch .LBB1843_361
.LBB1843_388:                           ;   in Loop: Header=BB1843_12 Depth=1
	v_mov_b32_e32 v0, 0
	s_waitcnt lgkmcnt(0)
	s_barrier
	s_and_saveexec_b64 s[16:17], s[4:5]
	s_cbranch_execz .LBB1843_390
; %bb.389:                              ;   in Loop: Header=BB1843_12 Depth=1
	ds_read2_b64 v[6:9], v33 offset1:1
	s_waitcnt lgkmcnt(0)
	v_add_u32_e32 v0, v7, v6
	v_add3_u32 v0, v0, v8, v9
.LBB1843_390:                           ;   in Loop: Header=BB1843_12 Depth=1
	s_or_b64 exec, exec, s[16:17]
	v_and_b32_e32 v1, 15, v68
	v_mov_b32_dpp v5, v0 row_shr:1 row_mask:0xf bank_mask:0xf
	v_cmp_eq_u32_e64 s[16:17], 0, v1
	v_cndmask_b32_e64 v5, v5, 0, s[16:17]
	v_add_u32_e32 v0, v5, v0
	v_cmp_lt_u32_e64 s[18:19], 1, v1
	v_cmp_lt_u32_e64 s[20:21], 3, v1
	v_mov_b32_dpp v5, v0 row_shr:2 row_mask:0xf bank_mask:0xf
	v_cndmask_b32_e64 v5, 0, v5, s[18:19]
	v_add_u32_e32 v0, v0, v5
	v_cmp_lt_u32_e64 s[22:23], 7, v1
	v_cmp_lt_u32_e64 s[26:27], 31, v68
	v_mov_b32_dpp v5, v0 row_shr:4 row_mask:0xf bank_mask:0xf
	v_cndmask_b32_e64 v5, 0, v5, s[20:21]
	v_add_u32_e32 v0, v0, v5
	v_and_b32_e32 v6, 16, v68
	v_cmp_eq_u32_e64 s[24:25], 0, v6
	v_mov_b32_dpp v5, v0 row_shr:8 row_mask:0xf bank_mask:0xf
	v_cndmask_b32_e64 v1, 0, v5, s[22:23]
	v_add_u32_e32 v0, v0, v1
	v_bfe_i32 v5, v68, 4, 1
	s_nop 0
	v_mov_b32_dpp v1, v0 row_bcast:15 row_mask:0xf bank_mask:0xf
	v_and_b32_e32 v1, v5, v1
	v_add_u32_e32 v0, v0, v1
	s_nop 1
	v_mov_b32_dpp v1, v0 row_bcast:31 row_mask:0xf bank_mask:0xf
	v_cndmask_b32_e64 v1, 0, v1, s[26:27]
	v_add_u32_e32 v1, v0, v1
	s_and_saveexec_b64 s[28:29], s[6:7]
	s_cbranch_execz .LBB1843_392
; %bb.391:                              ;   in Loop: Header=BB1843_12 Depth=1
	ds_write_b32 v35, v1
.LBB1843_392:                           ;   in Loop: Header=BB1843_12 Depth=1
	s_or_b64 exec, exec, s[28:29]
	v_and_b32_e32 v0, 3, v68
	s_waitcnt lgkmcnt(0)
	s_barrier
	s_and_saveexec_b64 s[28:29], s[8:9]
	s_cbranch_execz .LBB1843_394
; %bb.393:                              ;   in Loop: Header=BB1843_12 Depth=1
	ds_read_b32 v5, v36
	v_cmp_ne_u32_e32 vcc, 0, v0
	s_waitcnt lgkmcnt(0)
	v_mov_b32_dpp v6, v5 row_shr:1 row_mask:0xf bank_mask:0xf
	v_cndmask_b32_e32 v6, 0, v6, vcc
	v_add_u32_e32 v5, v6, v5
	v_cmp_lt_u32_e32 vcc, 1, v0
	s_nop 0
	v_mov_b32_dpp v6, v5 row_shr:2 row_mask:0xf bank_mask:0xf
	v_cndmask_b32_e32 v6, 0, v6, vcc
	v_add_u32_e32 v5, v5, v6
	ds_write_b32 v36, v5
.LBB1843_394:                           ;   in Loop: Header=BB1843_12 Depth=1
	s_or_b64 exec, exec, s[28:29]
	v_mov_b32_e32 v5, 0
	s_waitcnt lgkmcnt(0)
	s_barrier
	s_and_saveexec_b64 s[28:29], s[10:11]
	s_cbranch_execz .LBB1843_396
; %bb.395:                              ;   in Loop: Header=BB1843_12 Depth=1
	ds_read_b32 v5, v37
.LBB1843_396:                           ;   in Loop: Header=BB1843_12 Depth=1
	s_or_b64 exec, exec, s[28:29]
	v_add_u32_e32 v6, -1, v68
	v_and_b32_e32 v7, 64, v68
	v_cmp_lt_i32_e32 vcc, v6, v7
	v_cndmask_b32_e32 v6, v6, v68, vcc
	s_waitcnt lgkmcnt(0)
	v_add_u32_e32 v1, v5, v1
	v_lshlrev_b32_e32 v69, 2, v6
	ds_bpermute_b32 v1, v69, v1
	v_cmp_eq_u32_e64 s[28:29], 0, v68
	s_waitcnt lgkmcnt(0)
	s_barrier
	s_and_saveexec_b64 s[30:31], s[4:5]
	s_cbranch_execz .LBB1843_398
; %bb.397:                              ;   in Loop: Header=BB1843_12 Depth=1
	v_cndmask_b32_e64 v1, v1, v5, s[28:29]
	v_add_u32_e32 v1, s51, v1
	ds_write_b32 v3, v1
.LBB1843_398:                           ;   in Loop: Header=BB1843_12 Depth=1
	s_or_b64 exec, exec, s[30:31]
	s_load_dwordx2 s[30:31], s[74:75], 0x0
	v_and_b32_e32 v21, 63, v68
	v_lshlrev_b32_e32 v22, 3, v21
	v_add_co_u32_e32 v77, vcc, v60, v22
	s_waitcnt lgkmcnt(0)
	s_cmp_lt_u32 s50, s30
	s_cselect_b32 s34, 12, 18
	s_cmp_lt_u32 s33, s31
	s_cselect_b32 s30, 14, 20
	s_add_u32 s30, s74, s30
	s_addc_u32 s31, s75, 0
	s_add_u32 s34, s74, s34
	global_load_ushort v5, v4, s[30:31]
	s_addc_u32 s35, s75, 0
	global_load_ushort v20, v4, s[34:35]
	v_or_b32_e32 v74, v21, v38
	v_lshlrev_b32_e32 v21, 1, v21
	v_addc_co_u32_e32 v79, vcc, 0, v61, vcc
	v_add_co_u32_e32 v88, vcc, v62, v21
	v_addc_co_u32_e32 v89, vcc, 0, v63, vcc
	v_add_co_u32_e32 v90, vcc, 0x380, v88
	v_cmp_eq_u32_e64 s[30:31], 0, v0
	v_cmp_lt_u32_e64 s[34:35], 1, v0
	s_mov_b32 s79, s71
	v_or_b32_e32 v81, 64, v74
	v_or_b32_e32 v82, 0x80, v74
	;; [unrolled: 1-line block ×7, first 2 shown]
	v_addc_co_u32_e32 v91, vcc, 0, v89, vcc
	s_mov_b32 s72, s51
                                        ; implicit-def: $vgpr0_vgpr1
                                        ; implicit-def: $vgpr6_vgpr7
                                        ; implicit-def: $vgpr8_vgpr9
                                        ; implicit-def: $vgpr10_vgpr11
                                        ; implicit-def: $vgpr12_vgpr13
                                        ; implicit-def: $vgpr14_vgpr15
                                        ; implicit-def: $vgpr16_vgpr17
                                        ; implicit-def: $vgpr18_vgpr19
                                        ; implicit-def: $vgpr70
                                        ; implicit-def: $vgpr71
                                        ; implicit-def: $vgpr72
                                        ; implicit-def: $vgpr73
                                        ; implicit-def: $vgpr75
                                        ; implicit-def: $vgpr76
                                        ; implicit-def: $vgpr78
                                        ; implicit-def: $vgpr80
	s_waitcnt vmcnt(1)
	v_mad_u32_u24 v5, v39, v5, v40
	s_waitcnt vmcnt(0)
	v_mad_u64_u32 v[20:21], s[36:37], v5, v20, v[2:3]
	v_lshrrev_b32_e32 v92, 6, v20
	s_branch .LBB1843_400
.LBB1843_399:                           ;   in Loop: Header=BB1843_400 Depth=2
	s_or_b64 exec, exec, s[36:37]
	s_addk_i32 s79, 0xf800
	s_cmp_lt_u32 s80, s76
	s_mov_b32 s72, s80
	s_cbranch_scc0 .LBB1843_512
.LBB1843_400:                           ;   Parent Loop BB1843_12 Depth=1
                                        ; =>  This Inner Loop Header: Depth=2
	s_add_i32 s80, s72, 0x800
	s_cmp_gt_u32 s80, s76
	s_cbranch_scc1 .LBB1843_403
; %bb.401:                              ;   in Loop: Header=BB1843_400 Depth=2
	s_lshl_b64 s[36:37], s[72:73], 1
	v_mov_b32_e32 v5, s37
	v_add_co_u32_e32 v20, vcc, s36, v88
	v_addc_co_u32_e32 v21, vcc, v89, v5, vcc
	global_load_ushort v5, v[20:21], off
	global_load_ushort v97, v[20:21], off offset:128
	global_load_ushort v101, v[20:21], off offset:256
	;; [unrolled: 1-line block ×6, first 2 shown]
	s_mov_b64 s[36:37], -1
	s_movk_i32 s40, 0x800
	s_cbranch_execz .LBB1843_404
; %bb.402:                              ;   in Loop: Header=BB1843_400 Depth=2
                                        ; implicit-def: $sgpr38
	v_mov_b32_e32 v23, s38
	v_mov_b32_e32 v93, s79
	s_and_saveexec_b64 s[38:39], s[36:37]
	s_cbranch_execnz .LBB1843_419
	s_branch .LBB1843_420
.LBB1843_403:                           ;   in Loop: Header=BB1843_400 Depth=2
	s_mov_b64 s[36:37], 0
                                        ; implicit-def: $sgpr40
                                        ; implicit-def: $vgpr5
                                        ; implicit-def: $vgpr97
                                        ; implicit-def: $vgpr101
                                        ; implicit-def: $vgpr106
                                        ; implicit-def: $vgpr109
                                        ; implicit-def: $vgpr104
                                        ; implicit-def: $vgpr22
.LBB1843_404:                           ;   in Loop: Header=BB1843_400 Depth=2
	s_lshl_b64 s[36:37], s[72:73], 1
	s_waitcnt vmcnt(6)
	v_mov_b32_e32 v5, s37
	v_add_co_u32_e32 v20, vcc, s36, v88
	v_addc_co_u32_e32 v21, vcc, v89, v5, vcc
	v_cmp_gt_u32_e32 vcc, s79, v74
	s_waitcnt vmcnt(5)
	v_mov_b32_e32 v97, 0x7fff
	v_mov_b32_e32 v5, 0x7fff
	s_and_saveexec_b64 s[36:37], vcc
	s_cbranch_execz .LBB1843_406
; %bb.405:                              ;   in Loop: Header=BB1843_400 Depth=2
	global_load_ushort v5, v[20:21], off
.LBB1843_406:                           ;   in Loop: Header=BB1843_400 Depth=2
	s_or_b64 exec, exec, s[36:37]
	v_cmp_gt_u32_e32 vcc, s79, v81
	s_and_saveexec_b64 s[36:37], vcc
	s_cbranch_execz .LBB1843_408
; %bb.407:                              ;   in Loop: Header=BB1843_400 Depth=2
	global_load_ushort v97, v[20:21], off offset:128
.LBB1843_408:                           ;   in Loop: Header=BB1843_400 Depth=2
	s_or_b64 exec, exec, s[36:37]
	v_cmp_gt_u32_e32 vcc, s79, v82
	s_waitcnt vmcnt(3)
	v_mov_b32_e32 v106, 0x7fff
	v_mov_b32_e32 v101, 0x7fff
	s_and_saveexec_b64 s[36:37], vcc
	s_cbranch_execz .LBB1843_410
; %bb.409:                              ;   in Loop: Header=BB1843_400 Depth=2
	global_load_ushort v101, v[20:21], off offset:256
.LBB1843_410:                           ;   in Loop: Header=BB1843_400 Depth=2
	s_or_b64 exec, exec, s[36:37]
	v_cmp_gt_u32_e32 vcc, s79, v83
	s_and_saveexec_b64 s[36:37], vcc
	s_cbranch_execz .LBB1843_412
; %bb.411:                              ;   in Loop: Header=BB1843_400 Depth=2
	global_load_ushort v106, v[20:21], off offset:384
.LBB1843_412:                           ;   in Loop: Header=BB1843_400 Depth=2
	s_or_b64 exec, exec, s[36:37]
	v_cmp_gt_u32_e32 vcc, s79, v84
	s_waitcnt vmcnt(1)
	v_mov_b32_e32 v104, 0x7fff
	v_mov_b32_e32 v109, 0x7fff
	s_and_saveexec_b64 s[36:37], vcc
	s_cbranch_execz .LBB1843_414
; %bb.413:                              ;   in Loop: Header=BB1843_400 Depth=2
	global_load_ushort v109, v[20:21], off offset:512
.LBB1843_414:                           ;   in Loop: Header=BB1843_400 Depth=2
	s_or_b64 exec, exec, s[36:37]
	v_cmp_gt_u32_e32 vcc, s79, v85
	s_and_saveexec_b64 s[36:37], vcc
	s_cbranch_execz .LBB1843_416
; %bb.415:                              ;   in Loop: Header=BB1843_400 Depth=2
	global_load_ushort v104, v[20:21], off offset:640
.LBB1843_416:                           ;   in Loop: Header=BB1843_400 Depth=2
	s_or_b64 exec, exec, s[36:37]
	v_cmp_gt_u32_e32 vcc, s79, v86
	s_waitcnt vmcnt(0)
	v_mov_b32_e32 v22, 0x7fff
	s_and_saveexec_b64 s[36:37], vcc
	s_cbranch_execz .LBB1843_418
; %bb.417:                              ;   in Loop: Header=BB1843_400 Depth=2
	global_load_ushort v22, v[20:21], off offset:768
.LBB1843_418:                           ;   in Loop: Header=BB1843_400 Depth=2
	s_or_b64 exec, exec, s[36:37]
	s_sub_i32 s40, s76, s72
	v_cmp_gt_u32_e64 s[36:37], s79, v87
	s_movk_i32 s38, 0x7fff
	v_mov_b32_e32 v23, s38
	v_mov_b32_e32 v93, s79
	s_and_saveexec_b64 s[38:39], s[36:37]
	s_cbranch_execz .LBB1843_420
.LBB1843_419:                           ;   in Loop: Header=BB1843_400 Depth=2
	s_lshl_b64 s[36:37], s[72:73], 1
	v_mov_b32_e32 v21, s37
	v_add_co_u32_e32 v20, vcc, s36, v90
	v_addc_co_u32_e32 v21, vcc, v91, v21, vcc
	global_load_ushort v23, v[20:21], off
	v_mov_b32_e32 v93, s40
.LBB1843_420:                           ;   in Loop: Header=BB1843_400 Depth=2
	s_or_b64 exec, exec, s[38:39]
	s_waitcnt vmcnt(6)
	v_cmp_lt_i16_e32 vcc, -1, v5
	v_cndmask_b32_e32 v20, -1, v66, vcc
	v_xor_b32_e32 v94, v20, v5
	v_add_u32_e32 v5, 0x410, v41
	v_cmp_ne_u16_e32 vcc, s68, v94
	ds_write2_b32 v5, v4, v4 offset1:1
	ds_write2_b32 v43, v4, v4 offset0:2 offset1:3
	ds_write_b32 v43, v4 offset:16
	v_cndmask_b32_e32 v5, v66, v94, vcc
	v_lshrrev_b32_sdwa v5, s69, v5 dst_sel:DWORD dst_unused:UNUSED_PAD src0_sel:DWORD src1_sel:WORD_0
	v_and_b32_e32 v20, s78, v5
	v_mad_u32_u24 v5, v20, 5, v92
	v_lshl_add_u32 v95, v5, 2, v42
	v_and_b32_e32 v5, 1, v20
	v_add_co_u32_e32 v21, vcc, -1, v5
	v_addc_co_u32_e64 v96, s[36:37], 0, -1, vcc
	v_cmp_ne_u32_e32 vcc, 0, v5
	v_xor_b32_e32 v5, vcc_hi, v96
	v_and_b32_e32 v96, exec_hi, v5
	v_lshlrev_b32_e32 v5, 30, v20
	v_xor_b32_e32 v21, vcc_lo, v21
	v_cmp_gt_i64_e32 vcc, 0, v[4:5]
	v_not_b32_e32 v5, v5
	v_ashrrev_i32_e32 v5, 31, v5
	v_and_b32_e32 v21, exec_lo, v21
	v_xor_b32_e32 v98, vcc_hi, v5
	v_xor_b32_e32 v5, vcc_lo, v5
	v_and_b32_e32 v21, v21, v5
	v_lshlrev_b32_e32 v5, 29, v20
	v_cmp_gt_i64_e32 vcc, 0, v[4:5]
	v_not_b32_e32 v5, v5
	v_ashrrev_i32_e32 v5, 31, v5
	v_and_b32_e32 v96, v96, v98
	v_xor_b32_e32 v98, vcc_hi, v5
	v_xor_b32_e32 v5, vcc_lo, v5
	v_and_b32_e32 v21, v21, v5
	v_lshlrev_b32_e32 v5, 28, v20
	v_cmp_gt_i64_e32 vcc, 0, v[4:5]
	v_not_b32_e32 v5, v5
	v_ashrrev_i32_e32 v5, 31, v5
	v_and_b32_e32 v96, v96, v98
	;; [unrolled: 8-line block ×5, first 2 shown]
	v_xor_b32_e32 v98, vcc_hi, v5
	v_xor_b32_e32 v5, vcc_lo, v5
	v_and_b32_e32 v96, v96, v98
	v_and_b32_e32 v98, v21, v5
	v_lshlrev_b32_e32 v5, 24, v20
	v_cmp_gt_i64_e32 vcc, 0, v[4:5]
	v_not_b32_e32 v5, v5
	v_ashrrev_i32_e32 v5, 31, v5
	v_xor_b32_e32 v20, vcc_hi, v5
	v_xor_b32_e32 v5, vcc_lo, v5
	v_and_b32_e32 v21, v96, v20
	v_and_b32_e32 v20, v98, v5
	v_mbcnt_lo_u32_b32 v5, v20, 0
	v_mbcnt_hi_u32_b32 v96, v21, v5
	v_cmp_eq_u32_e32 vcc, 0, v96
	v_cmp_ne_u64_e64 s[36:37], 0, v[20:21]
	s_and_b64 s[38:39], s[36:37], vcc
	s_waitcnt lgkmcnt(0)
	s_barrier
	s_waitcnt lgkmcnt(0)
	; wave barrier
	s_and_saveexec_b64 s[36:37], s[38:39]
	s_cbranch_execz .LBB1843_422
; %bb.421:                              ;   in Loop: Header=BB1843_400 Depth=2
	v_bcnt_u32_b32 v5, v20, 0
	v_bcnt_u32_b32 v5, v21, v5
	ds_write_b32 v95, v5
.LBB1843_422:                           ;   in Loop: Header=BB1843_400 Depth=2
	s_or_b64 exec, exec, s[36:37]
	s_waitcnt vmcnt(5)
	v_cmp_lt_i16_e32 vcc, -1, v97
	v_cndmask_b32_e32 v5, -1, v66, vcc
	v_xor_b32_e32 v97, v5, v97
	v_cmp_ne_u16_e32 vcc, s68, v97
	v_cndmask_b32_e32 v5, v66, v97, vcc
	v_lshrrev_b32_sdwa v5, s69, v5 dst_sel:DWORD dst_unused:UNUSED_PAD src0_sel:DWORD src1_sel:WORD_0
	v_and_b32_e32 v20, s78, v5
	v_mul_u32_u24_e32 v5, 5, v20
	v_add_lshl_u32 v5, v5, v92, 2
	; wave barrier
	v_add_u32_e32 v99, 0x410, v5
	ds_read_b32 v98, v5 offset:1040
	v_and_b32_e32 v5, 1, v20
	v_add_co_u32_e32 v21, vcc, -1, v5
	v_addc_co_u32_e64 v100, s[36:37], 0, -1, vcc
	v_cmp_ne_u32_e32 vcc, 0, v5
	v_xor_b32_e32 v5, vcc_hi, v100
	v_and_b32_e32 v100, exec_hi, v5
	v_lshlrev_b32_e32 v5, 30, v20
	v_xor_b32_e32 v21, vcc_lo, v21
	v_cmp_gt_i64_e32 vcc, 0, v[4:5]
	v_not_b32_e32 v5, v5
	v_ashrrev_i32_e32 v5, 31, v5
	v_and_b32_e32 v21, exec_lo, v21
	v_xor_b32_e32 v102, vcc_hi, v5
	v_xor_b32_e32 v5, vcc_lo, v5
	v_and_b32_e32 v21, v21, v5
	v_lshlrev_b32_e32 v5, 29, v20
	v_cmp_gt_i64_e32 vcc, 0, v[4:5]
	v_not_b32_e32 v5, v5
	v_ashrrev_i32_e32 v5, 31, v5
	v_and_b32_e32 v100, v100, v102
	v_xor_b32_e32 v102, vcc_hi, v5
	v_xor_b32_e32 v5, vcc_lo, v5
	v_and_b32_e32 v21, v21, v5
	v_lshlrev_b32_e32 v5, 28, v20
	v_cmp_gt_i64_e32 vcc, 0, v[4:5]
	v_not_b32_e32 v5, v5
	v_ashrrev_i32_e32 v5, 31, v5
	v_and_b32_e32 v100, v100, v102
	v_xor_b32_e32 v102, vcc_hi, v5
	v_xor_b32_e32 v5, vcc_lo, v5
	v_and_b32_e32 v21, v21, v5
	v_lshlrev_b32_e32 v5, 27, v20
	v_cmp_gt_i64_e32 vcc, 0, v[4:5]
	v_not_b32_e32 v5, v5
	v_ashrrev_i32_e32 v5, 31, v5
	v_and_b32_e32 v100, v100, v102
	v_xor_b32_e32 v102, vcc_hi, v5
	v_xor_b32_e32 v5, vcc_lo, v5
	v_and_b32_e32 v21, v21, v5
	v_lshlrev_b32_e32 v5, 26, v20
	v_cmp_gt_i64_e32 vcc, 0, v[4:5]
	v_not_b32_e32 v5, v5
	v_ashrrev_i32_e32 v5, 31, v5
	v_and_b32_e32 v100, v100, v102
	v_xor_b32_e32 v102, vcc_hi, v5
	v_xor_b32_e32 v5, vcc_lo, v5
	v_and_b32_e32 v21, v21, v5
	v_lshlrev_b32_e32 v5, 25, v20
	v_cmp_gt_i64_e32 vcc, 0, v[4:5]
	v_not_b32_e32 v5, v5
	v_ashrrev_i32_e32 v5, 31, v5
	v_and_b32_e32 v100, v100, v102
	v_xor_b32_e32 v102, vcc_hi, v5
	v_xor_b32_e32 v5, vcc_lo, v5
	v_and_b32_e32 v100, v100, v102
	v_and_b32_e32 v102, v21, v5
	v_lshlrev_b32_e32 v5, 24, v20
	v_cmp_gt_i64_e32 vcc, 0, v[4:5]
	v_not_b32_e32 v5, v5
	v_ashrrev_i32_e32 v5, 31, v5
	v_xor_b32_e32 v20, vcc_hi, v5
	v_xor_b32_e32 v5, vcc_lo, v5
	v_and_b32_e32 v21, v100, v20
	v_and_b32_e32 v20, v102, v5
	v_mbcnt_lo_u32_b32 v5, v20, 0
	v_mbcnt_hi_u32_b32 v100, v21, v5
	v_cmp_eq_u32_e32 vcc, 0, v100
	v_cmp_ne_u64_e64 s[36:37], 0, v[20:21]
	s_and_b64 s[38:39], s[36:37], vcc
	; wave barrier
	s_and_saveexec_b64 s[36:37], s[38:39]
	s_cbranch_execz .LBB1843_424
; %bb.423:                              ;   in Loop: Header=BB1843_400 Depth=2
	v_bcnt_u32_b32 v5, v20, 0
	v_bcnt_u32_b32 v5, v21, v5
	s_waitcnt lgkmcnt(0)
	v_add_u32_e32 v5, v98, v5
	ds_write_b32 v99, v5
.LBB1843_424:                           ;   in Loop: Header=BB1843_400 Depth=2
	s_or_b64 exec, exec, s[36:37]
	s_waitcnt vmcnt(4)
	v_cmp_lt_i16_e32 vcc, -1, v101
	v_cndmask_b32_e32 v5, -1, v66, vcc
	v_xor_b32_e32 v101, v5, v101
	v_cmp_ne_u16_e32 vcc, s68, v101
	v_cndmask_b32_e32 v5, v66, v101, vcc
	v_lshrrev_b32_sdwa v5, s69, v5 dst_sel:DWORD dst_unused:UNUSED_PAD src0_sel:DWORD src1_sel:WORD_0
	v_and_b32_e32 v20, s78, v5
	v_mul_u32_u24_e32 v5, 5, v20
	v_add_lshl_u32 v5, v5, v92, 2
	; wave barrier
	v_add_u32_e32 v103, 0x410, v5
	ds_read_b32 v102, v5 offset:1040
	v_and_b32_e32 v5, 1, v20
	v_add_co_u32_e32 v21, vcc, -1, v5
	v_addc_co_u32_e64 v105, s[36:37], 0, -1, vcc
	v_cmp_ne_u32_e32 vcc, 0, v5
	v_xor_b32_e32 v5, vcc_hi, v105
	v_and_b32_e32 v105, exec_hi, v5
	v_lshlrev_b32_e32 v5, 30, v20
	v_xor_b32_e32 v21, vcc_lo, v21
	v_cmp_gt_i64_e32 vcc, 0, v[4:5]
	v_not_b32_e32 v5, v5
	v_ashrrev_i32_e32 v5, 31, v5
	v_and_b32_e32 v21, exec_lo, v21
	v_xor_b32_e32 v107, vcc_hi, v5
	v_xor_b32_e32 v5, vcc_lo, v5
	v_and_b32_e32 v21, v21, v5
	v_lshlrev_b32_e32 v5, 29, v20
	v_cmp_gt_i64_e32 vcc, 0, v[4:5]
	v_not_b32_e32 v5, v5
	v_ashrrev_i32_e32 v5, 31, v5
	v_and_b32_e32 v105, v105, v107
	v_xor_b32_e32 v107, vcc_hi, v5
	v_xor_b32_e32 v5, vcc_lo, v5
	v_and_b32_e32 v21, v21, v5
	v_lshlrev_b32_e32 v5, 28, v20
	v_cmp_gt_i64_e32 vcc, 0, v[4:5]
	v_not_b32_e32 v5, v5
	v_ashrrev_i32_e32 v5, 31, v5
	v_and_b32_e32 v105, v105, v107
	;; [unrolled: 8-line block ×5, first 2 shown]
	v_xor_b32_e32 v107, vcc_hi, v5
	v_xor_b32_e32 v5, vcc_lo, v5
	v_and_b32_e32 v105, v105, v107
	v_and_b32_e32 v107, v21, v5
	v_lshlrev_b32_e32 v5, 24, v20
	v_cmp_gt_i64_e32 vcc, 0, v[4:5]
	v_not_b32_e32 v5, v5
	v_ashrrev_i32_e32 v5, 31, v5
	v_xor_b32_e32 v20, vcc_hi, v5
	v_xor_b32_e32 v5, vcc_lo, v5
	v_and_b32_e32 v21, v105, v20
	v_and_b32_e32 v20, v107, v5
	v_mbcnt_lo_u32_b32 v5, v20, 0
	v_mbcnt_hi_u32_b32 v105, v21, v5
	v_cmp_eq_u32_e32 vcc, 0, v105
	v_cmp_ne_u64_e64 s[36:37], 0, v[20:21]
	s_and_b64 s[38:39], s[36:37], vcc
	; wave barrier
	s_and_saveexec_b64 s[36:37], s[38:39]
	s_cbranch_execz .LBB1843_426
; %bb.425:                              ;   in Loop: Header=BB1843_400 Depth=2
	v_bcnt_u32_b32 v5, v20, 0
	v_bcnt_u32_b32 v5, v21, v5
	s_waitcnt lgkmcnt(0)
	v_add_u32_e32 v5, v102, v5
	ds_write_b32 v103, v5
.LBB1843_426:                           ;   in Loop: Header=BB1843_400 Depth=2
	s_or_b64 exec, exec, s[36:37]
	s_waitcnt vmcnt(3)
	v_cmp_lt_i16_e32 vcc, -1, v106
	v_cndmask_b32_e32 v5, -1, v66, vcc
	v_xor_b32_e32 v106, v5, v106
	v_cmp_ne_u16_e32 vcc, s68, v106
	v_cndmask_b32_e32 v5, v66, v106, vcc
	v_lshrrev_b32_sdwa v5, s69, v5 dst_sel:DWORD dst_unused:UNUSED_PAD src0_sel:DWORD src1_sel:WORD_0
	v_and_b32_e32 v20, s78, v5
	v_mul_u32_u24_e32 v5, 5, v20
	v_add_lshl_u32 v5, v5, v92, 2
	; wave barrier
	v_add_u32_e32 v108, 0x410, v5
	ds_read_b32 v107, v5 offset:1040
	v_and_b32_e32 v5, 1, v20
	v_add_co_u32_e32 v21, vcc, -1, v5
	v_addc_co_u32_e64 v110, s[36:37], 0, -1, vcc
	v_cmp_ne_u32_e32 vcc, 0, v5
	v_xor_b32_e32 v5, vcc_hi, v110
	v_and_b32_e32 v110, exec_hi, v5
	v_lshlrev_b32_e32 v5, 30, v20
	v_xor_b32_e32 v21, vcc_lo, v21
	v_cmp_gt_i64_e32 vcc, 0, v[4:5]
	v_not_b32_e32 v5, v5
	v_ashrrev_i32_e32 v5, 31, v5
	v_and_b32_e32 v21, exec_lo, v21
	v_xor_b32_e32 v111, vcc_hi, v5
	v_xor_b32_e32 v5, vcc_lo, v5
	v_and_b32_e32 v21, v21, v5
	v_lshlrev_b32_e32 v5, 29, v20
	v_cmp_gt_i64_e32 vcc, 0, v[4:5]
	v_not_b32_e32 v5, v5
	v_ashrrev_i32_e32 v5, 31, v5
	v_and_b32_e32 v110, v110, v111
	v_xor_b32_e32 v111, vcc_hi, v5
	v_xor_b32_e32 v5, vcc_lo, v5
	v_and_b32_e32 v21, v21, v5
	v_lshlrev_b32_e32 v5, 28, v20
	v_cmp_gt_i64_e32 vcc, 0, v[4:5]
	v_not_b32_e32 v5, v5
	v_ashrrev_i32_e32 v5, 31, v5
	v_and_b32_e32 v110, v110, v111
	;; [unrolled: 8-line block ×5, first 2 shown]
	v_xor_b32_e32 v111, vcc_hi, v5
	v_xor_b32_e32 v5, vcc_lo, v5
	v_and_b32_e32 v110, v110, v111
	v_and_b32_e32 v111, v21, v5
	v_lshlrev_b32_e32 v5, 24, v20
	v_cmp_gt_i64_e32 vcc, 0, v[4:5]
	v_not_b32_e32 v5, v5
	v_ashrrev_i32_e32 v5, 31, v5
	v_xor_b32_e32 v20, vcc_hi, v5
	v_xor_b32_e32 v5, vcc_lo, v5
	v_and_b32_e32 v21, v110, v20
	v_and_b32_e32 v20, v111, v5
	v_mbcnt_lo_u32_b32 v5, v20, 0
	v_mbcnt_hi_u32_b32 v110, v21, v5
	v_cmp_eq_u32_e32 vcc, 0, v110
	v_cmp_ne_u64_e64 s[36:37], 0, v[20:21]
	s_and_b64 s[38:39], s[36:37], vcc
	; wave barrier
	s_and_saveexec_b64 s[36:37], s[38:39]
	s_cbranch_execz .LBB1843_428
; %bb.427:                              ;   in Loop: Header=BB1843_400 Depth=2
	v_bcnt_u32_b32 v5, v20, 0
	v_bcnt_u32_b32 v5, v21, v5
	s_waitcnt lgkmcnt(0)
	v_add_u32_e32 v5, v107, v5
	ds_write_b32 v108, v5
.LBB1843_428:                           ;   in Loop: Header=BB1843_400 Depth=2
	s_or_b64 exec, exec, s[36:37]
	s_waitcnt vmcnt(2)
	v_cmp_lt_i16_e32 vcc, -1, v109
	v_cndmask_b32_e32 v5, -1, v66, vcc
	v_xor_b32_e32 v109, v5, v109
	v_cmp_ne_u16_e32 vcc, s68, v109
	v_cndmask_b32_e32 v5, v66, v109, vcc
	v_lshrrev_b32_sdwa v5, s69, v5 dst_sel:DWORD dst_unused:UNUSED_PAD src0_sel:DWORD src1_sel:WORD_0
	v_and_b32_e32 v20, s78, v5
	v_mul_u32_u24_e32 v5, 5, v20
	v_add_lshl_u32 v5, v5, v92, 2
	; wave barrier
	v_add_u32_e32 v112, 0x410, v5
	ds_read_b32 v111, v5 offset:1040
	v_and_b32_e32 v5, 1, v20
	v_add_co_u32_e32 v21, vcc, -1, v5
	v_addc_co_u32_e64 v113, s[36:37], 0, -1, vcc
	v_cmp_ne_u32_e32 vcc, 0, v5
	v_xor_b32_e32 v5, vcc_hi, v113
	v_and_b32_e32 v113, exec_hi, v5
	v_lshlrev_b32_e32 v5, 30, v20
	v_xor_b32_e32 v21, vcc_lo, v21
	v_cmp_gt_i64_e32 vcc, 0, v[4:5]
	v_not_b32_e32 v5, v5
	v_ashrrev_i32_e32 v5, 31, v5
	v_and_b32_e32 v21, exec_lo, v21
	v_xor_b32_e32 v114, vcc_hi, v5
	v_xor_b32_e32 v5, vcc_lo, v5
	v_and_b32_e32 v21, v21, v5
	v_lshlrev_b32_e32 v5, 29, v20
	v_cmp_gt_i64_e32 vcc, 0, v[4:5]
	v_not_b32_e32 v5, v5
	v_ashrrev_i32_e32 v5, 31, v5
	v_and_b32_e32 v113, v113, v114
	v_xor_b32_e32 v114, vcc_hi, v5
	v_xor_b32_e32 v5, vcc_lo, v5
	v_and_b32_e32 v21, v21, v5
	v_lshlrev_b32_e32 v5, 28, v20
	v_cmp_gt_i64_e32 vcc, 0, v[4:5]
	v_not_b32_e32 v5, v5
	v_ashrrev_i32_e32 v5, 31, v5
	v_and_b32_e32 v113, v113, v114
	;; [unrolled: 8-line block ×5, first 2 shown]
	v_xor_b32_e32 v114, vcc_hi, v5
	v_xor_b32_e32 v5, vcc_lo, v5
	v_and_b32_e32 v113, v113, v114
	v_and_b32_e32 v114, v21, v5
	v_lshlrev_b32_e32 v5, 24, v20
	v_cmp_gt_i64_e32 vcc, 0, v[4:5]
	v_not_b32_e32 v5, v5
	v_ashrrev_i32_e32 v5, 31, v5
	v_xor_b32_e32 v20, vcc_hi, v5
	v_xor_b32_e32 v5, vcc_lo, v5
	v_and_b32_e32 v21, v113, v20
	v_and_b32_e32 v20, v114, v5
	v_mbcnt_lo_u32_b32 v5, v20, 0
	v_mbcnt_hi_u32_b32 v113, v21, v5
	v_cmp_eq_u32_e32 vcc, 0, v113
	v_cmp_ne_u64_e64 s[36:37], 0, v[20:21]
	s_and_b64 s[38:39], s[36:37], vcc
	; wave barrier
	s_and_saveexec_b64 s[36:37], s[38:39]
	s_cbranch_execz .LBB1843_430
; %bb.429:                              ;   in Loop: Header=BB1843_400 Depth=2
	v_bcnt_u32_b32 v5, v20, 0
	v_bcnt_u32_b32 v5, v21, v5
	s_waitcnt lgkmcnt(0)
	v_add_u32_e32 v5, v111, v5
	ds_write_b32 v112, v5
.LBB1843_430:                           ;   in Loop: Header=BB1843_400 Depth=2
	s_or_b64 exec, exec, s[36:37]
	s_waitcnt vmcnt(1)
	v_cmp_lt_i16_e32 vcc, -1, v104
	v_cndmask_b32_e32 v5, -1, v66, vcc
	v_xor_b32_e32 v104, v5, v104
	v_cmp_ne_u16_e32 vcc, s68, v104
	v_cndmask_b32_e32 v5, v66, v104, vcc
	v_lshrrev_b32_sdwa v5, s69, v5 dst_sel:DWORD dst_unused:UNUSED_PAD src0_sel:DWORD src1_sel:WORD_0
	v_and_b32_e32 v20, s78, v5
	v_mul_u32_u24_e32 v5, 5, v20
	v_add_lshl_u32 v5, v5, v92, 2
	; wave barrier
	v_add_u32_e32 v115, 0x410, v5
	ds_read_b32 v114, v5 offset:1040
	v_and_b32_e32 v5, 1, v20
	v_add_co_u32_e32 v21, vcc, -1, v5
	v_addc_co_u32_e64 v116, s[36:37], 0, -1, vcc
	v_cmp_ne_u32_e32 vcc, 0, v5
	v_xor_b32_e32 v5, vcc_hi, v116
	v_and_b32_e32 v116, exec_hi, v5
	v_lshlrev_b32_e32 v5, 30, v20
	v_xor_b32_e32 v21, vcc_lo, v21
	v_cmp_gt_i64_e32 vcc, 0, v[4:5]
	v_not_b32_e32 v5, v5
	v_ashrrev_i32_e32 v5, 31, v5
	v_and_b32_e32 v21, exec_lo, v21
	v_xor_b32_e32 v117, vcc_hi, v5
	v_xor_b32_e32 v5, vcc_lo, v5
	v_and_b32_e32 v21, v21, v5
	v_lshlrev_b32_e32 v5, 29, v20
	v_cmp_gt_i64_e32 vcc, 0, v[4:5]
	v_not_b32_e32 v5, v5
	v_ashrrev_i32_e32 v5, 31, v5
	v_and_b32_e32 v116, v116, v117
	v_xor_b32_e32 v117, vcc_hi, v5
	v_xor_b32_e32 v5, vcc_lo, v5
	v_and_b32_e32 v21, v21, v5
	v_lshlrev_b32_e32 v5, 28, v20
	v_cmp_gt_i64_e32 vcc, 0, v[4:5]
	v_not_b32_e32 v5, v5
	v_ashrrev_i32_e32 v5, 31, v5
	v_and_b32_e32 v116, v116, v117
	v_xor_b32_e32 v117, vcc_hi, v5
	v_xor_b32_e32 v5, vcc_lo, v5
	v_and_b32_e32 v21, v21, v5
	v_lshlrev_b32_e32 v5, 27, v20
	v_cmp_gt_i64_e32 vcc, 0, v[4:5]
	v_not_b32_e32 v5, v5
	v_ashrrev_i32_e32 v5, 31, v5
	v_and_b32_e32 v116, v116, v117
	v_xor_b32_e32 v117, vcc_hi, v5
	v_xor_b32_e32 v5, vcc_lo, v5
	v_and_b32_e32 v21, v21, v5
	v_lshlrev_b32_e32 v5, 26, v20
	v_cmp_gt_i64_e32 vcc, 0, v[4:5]
	v_not_b32_e32 v5, v5
	v_ashrrev_i32_e32 v5, 31, v5
	v_and_b32_e32 v116, v116, v117
	v_xor_b32_e32 v117, vcc_hi, v5
	v_xor_b32_e32 v5, vcc_lo, v5
	v_and_b32_e32 v21, v21, v5
	v_lshlrev_b32_e32 v5, 25, v20
	v_cmp_gt_i64_e32 vcc, 0, v[4:5]
	v_not_b32_e32 v5, v5
	v_ashrrev_i32_e32 v5, 31, v5
	v_and_b32_e32 v116, v116, v117
	v_xor_b32_e32 v117, vcc_hi, v5
	v_xor_b32_e32 v5, vcc_lo, v5
	v_and_b32_e32 v116, v116, v117
	v_and_b32_e32 v117, v21, v5
	v_lshlrev_b32_e32 v5, 24, v20
	v_cmp_gt_i64_e32 vcc, 0, v[4:5]
	v_not_b32_e32 v5, v5
	v_ashrrev_i32_e32 v5, 31, v5
	v_xor_b32_e32 v20, vcc_hi, v5
	v_xor_b32_e32 v5, vcc_lo, v5
	v_and_b32_e32 v21, v116, v20
	v_and_b32_e32 v20, v117, v5
	v_mbcnt_lo_u32_b32 v5, v20, 0
	v_mbcnt_hi_u32_b32 v116, v21, v5
	v_cmp_eq_u32_e32 vcc, 0, v116
	v_cmp_ne_u64_e64 s[36:37], 0, v[20:21]
	s_and_b64 s[38:39], s[36:37], vcc
	; wave barrier
	s_and_saveexec_b64 s[36:37], s[38:39]
	s_cbranch_execz .LBB1843_432
; %bb.431:                              ;   in Loop: Header=BB1843_400 Depth=2
	v_bcnt_u32_b32 v5, v20, 0
	v_bcnt_u32_b32 v5, v21, v5
	s_waitcnt lgkmcnt(0)
	v_add_u32_e32 v5, v114, v5
	ds_write_b32 v115, v5
.LBB1843_432:                           ;   in Loop: Header=BB1843_400 Depth=2
	s_or_b64 exec, exec, s[36:37]
	s_waitcnt vmcnt(0)
	v_cmp_lt_i16_e32 vcc, -1, v22
	v_cndmask_b32_e32 v5, -1, v66, vcc
	v_xor_b32_e32 v117, v5, v22
	v_cmp_ne_u16_e32 vcc, s68, v117
	v_cndmask_b32_e32 v5, v66, v117, vcc
	v_lshrrev_b32_sdwa v5, s69, v5 dst_sel:DWORD dst_unused:UNUSED_PAD src0_sel:DWORD src1_sel:WORD_0
	v_and_b32_e32 v20, s78, v5
	v_mul_u32_u24_e32 v5, 5, v20
	v_add_lshl_u32 v5, v5, v92, 2
	; wave barrier
	v_add_u32_e32 v119, 0x410, v5
	ds_read_b32 v118, v5 offset:1040
	v_and_b32_e32 v5, 1, v20
	v_add_co_u32_e32 v21, vcc, -1, v5
	v_addc_co_u32_e64 v22, s[36:37], 0, -1, vcc
	v_cmp_ne_u32_e32 vcc, 0, v5
	v_xor_b32_e32 v5, vcc_hi, v22
	v_and_b32_e32 v22, exec_hi, v5
	v_lshlrev_b32_e32 v5, 30, v20
	v_xor_b32_e32 v21, vcc_lo, v21
	v_cmp_gt_i64_e32 vcc, 0, v[4:5]
	v_not_b32_e32 v5, v5
	v_ashrrev_i32_e32 v5, 31, v5
	v_and_b32_e32 v21, exec_lo, v21
	v_xor_b32_e32 v120, vcc_hi, v5
	v_xor_b32_e32 v5, vcc_lo, v5
	v_and_b32_e32 v21, v21, v5
	v_lshlrev_b32_e32 v5, 29, v20
	v_cmp_gt_i64_e32 vcc, 0, v[4:5]
	v_not_b32_e32 v5, v5
	v_ashrrev_i32_e32 v5, 31, v5
	v_and_b32_e32 v22, v22, v120
	v_xor_b32_e32 v120, vcc_hi, v5
	v_xor_b32_e32 v5, vcc_lo, v5
	v_and_b32_e32 v21, v21, v5
	v_lshlrev_b32_e32 v5, 28, v20
	v_cmp_gt_i64_e32 vcc, 0, v[4:5]
	v_not_b32_e32 v5, v5
	v_ashrrev_i32_e32 v5, 31, v5
	v_and_b32_e32 v22, v22, v120
	;; [unrolled: 8-line block ×5, first 2 shown]
	v_xor_b32_e32 v120, vcc_hi, v5
	v_xor_b32_e32 v5, vcc_lo, v5
	v_and_b32_e32 v22, v22, v120
	v_and_b32_e32 v120, v21, v5
	v_lshlrev_b32_e32 v5, 24, v20
	v_cmp_gt_i64_e32 vcc, 0, v[4:5]
	v_not_b32_e32 v5, v5
	v_ashrrev_i32_e32 v5, 31, v5
	v_xor_b32_e32 v20, vcc_hi, v5
	v_xor_b32_e32 v5, vcc_lo, v5
	v_and_b32_e32 v21, v22, v20
	v_and_b32_e32 v20, v120, v5
	v_mbcnt_lo_u32_b32 v5, v20, 0
	v_mbcnt_hi_u32_b32 v120, v21, v5
	v_cmp_eq_u32_e32 vcc, 0, v120
	v_cmp_ne_u64_e64 s[36:37], 0, v[20:21]
	s_and_b64 s[38:39], s[36:37], vcc
	; wave barrier
	s_and_saveexec_b64 s[36:37], s[38:39]
	s_cbranch_execz .LBB1843_434
; %bb.433:                              ;   in Loop: Header=BB1843_400 Depth=2
	v_bcnt_u32_b32 v5, v20, 0
	v_bcnt_u32_b32 v5, v21, v5
	s_waitcnt lgkmcnt(0)
	v_add_u32_e32 v5, v118, v5
	ds_write_b32 v119, v5
.LBB1843_434:                           ;   in Loop: Header=BB1843_400 Depth=2
	s_or_b64 exec, exec, s[36:37]
	v_cmp_lt_i16_e32 vcc, -1, v23
	v_cndmask_b32_e32 v5, -1, v66, vcc
	v_xor_b32_e32 v121, v5, v23
	v_cmp_ne_u16_e32 vcc, s68, v121
	v_cndmask_b32_e32 v5, v66, v121, vcc
	v_lshrrev_b32_sdwa v5, s69, v5 dst_sel:DWORD dst_unused:UNUSED_PAD src0_sel:DWORD src1_sel:WORD_0
	v_and_b32_e32 v20, s78, v5
	v_mul_u32_u24_e32 v5, 5, v20
	v_add_lshl_u32 v5, v5, v92, 2
	; wave barrier
	v_add_u32_e32 v123, 0x410, v5
	ds_read_b32 v122, v5 offset:1040
	v_and_b32_e32 v5, 1, v20
	v_add_co_u32_e32 v21, vcc, -1, v5
	v_addc_co_u32_e64 v22, s[36:37], 0, -1, vcc
	v_cmp_ne_u32_e32 vcc, 0, v5
	v_xor_b32_e32 v5, vcc_hi, v22
	v_and_b32_e32 v22, exec_hi, v5
	v_lshlrev_b32_e32 v5, 30, v20
	v_xor_b32_e32 v21, vcc_lo, v21
	v_cmp_gt_i64_e32 vcc, 0, v[4:5]
	v_not_b32_e32 v5, v5
	v_ashrrev_i32_e32 v5, 31, v5
	v_and_b32_e32 v21, exec_lo, v21
	v_xor_b32_e32 v23, vcc_hi, v5
	v_xor_b32_e32 v5, vcc_lo, v5
	v_and_b32_e32 v21, v21, v5
	v_lshlrev_b32_e32 v5, 29, v20
	v_cmp_gt_i64_e32 vcc, 0, v[4:5]
	v_not_b32_e32 v5, v5
	v_ashrrev_i32_e32 v5, 31, v5
	v_and_b32_e32 v22, v22, v23
	v_xor_b32_e32 v23, vcc_hi, v5
	v_xor_b32_e32 v5, vcc_lo, v5
	v_and_b32_e32 v21, v21, v5
	v_lshlrev_b32_e32 v5, 28, v20
	v_cmp_gt_i64_e32 vcc, 0, v[4:5]
	v_not_b32_e32 v5, v5
	v_ashrrev_i32_e32 v5, 31, v5
	v_and_b32_e32 v22, v22, v23
	;; [unrolled: 8-line block ×5, first 2 shown]
	v_xor_b32_e32 v23, vcc_hi, v5
	v_xor_b32_e32 v5, vcc_lo, v5
	v_and_b32_e32 v22, v22, v23
	v_and_b32_e32 v23, v21, v5
	v_lshlrev_b32_e32 v5, 24, v20
	v_cmp_gt_i64_e32 vcc, 0, v[4:5]
	v_not_b32_e32 v5, v5
	v_ashrrev_i32_e32 v5, 31, v5
	v_xor_b32_e32 v20, vcc_hi, v5
	v_xor_b32_e32 v5, vcc_lo, v5
	v_and_b32_e32 v21, v22, v20
	v_and_b32_e32 v20, v23, v5
	v_mbcnt_lo_u32_b32 v5, v20, 0
	v_mbcnt_hi_u32_b32 v124, v21, v5
	v_cmp_eq_u32_e32 vcc, 0, v124
	v_cmp_ne_u64_e64 s[36:37], 0, v[20:21]
	s_and_b64 s[38:39], s[36:37], vcc
	; wave barrier
	s_and_saveexec_b64 s[36:37], s[38:39]
	s_cbranch_execz .LBB1843_436
; %bb.435:                              ;   in Loop: Header=BB1843_400 Depth=2
	v_bcnt_u32_b32 v5, v20, 0
	v_bcnt_u32_b32 v5, v21, v5
	s_waitcnt lgkmcnt(0)
	v_add_u32_e32 v5, v122, v5
	ds_write_b32 v123, v5
.LBB1843_436:                           ;   in Loop: Header=BB1843_400 Depth=2
	s_or_b64 exec, exec, s[36:37]
	; wave barrier
	s_waitcnt lgkmcnt(0)
	s_barrier
	ds_read_b32 v5, v41 offset:1040
	ds_read2_b32 v[22:23], v43 offset0:1 offset1:2
	ds_read2_b32 v[20:21], v43 offset0:3 offset1:4
	s_waitcnt lgkmcnt(1)
	v_add3_u32 v125, v22, v5, v23
	s_waitcnt lgkmcnt(0)
	v_add3_u32 v21, v125, v20, v21
	s_nop 1
	v_mov_b32_dpp v125, v21 row_shr:1 row_mask:0xf bank_mask:0xf
	v_cndmask_b32_e64 v125, v125, 0, s[16:17]
	v_add_u32_e32 v21, v125, v21
	s_nop 1
	v_mov_b32_dpp v125, v21 row_shr:2 row_mask:0xf bank_mask:0xf
	v_cndmask_b32_e64 v125, 0, v125, s[18:19]
	v_add_u32_e32 v21, v21, v125
	;; [unrolled: 4-line block ×4, first 2 shown]
	s_nop 1
	v_mov_b32_dpp v125, v21 row_bcast:15 row_mask:0xf bank_mask:0xf
	v_cndmask_b32_e64 v125, v125, 0, s[24:25]
	v_add_u32_e32 v21, v21, v125
	s_nop 1
	v_mov_b32_dpp v125, v21 row_bcast:31 row_mask:0xf bank_mask:0xf
	v_cndmask_b32_e64 v125, 0, v125, s[26:27]
	v_add_u32_e32 v21, v21, v125
	s_and_saveexec_b64 s[36:37], s[6:7]
	s_cbranch_execz .LBB1843_438
; %bb.437:                              ;   in Loop: Header=BB1843_400 Depth=2
	ds_write_b32 v34, v21 offset:1024
.LBB1843_438:                           ;   in Loop: Header=BB1843_400 Depth=2
	s_or_b64 exec, exec, s[36:37]
	s_waitcnt lgkmcnt(0)
	s_barrier
	s_and_saveexec_b64 s[36:37], s[8:9]
	s_cbranch_execz .LBB1843_440
; %bb.439:                              ;   in Loop: Header=BB1843_400 Depth=2
	ds_read_b32 v125, v44 offset:1024
	s_waitcnt lgkmcnt(0)
	s_nop 0
	v_mov_b32_dpp v126, v125 row_shr:1 row_mask:0xf bank_mask:0xf
	v_cndmask_b32_e64 v126, v126, 0, s[30:31]
	v_add_u32_e32 v125, v126, v125
	s_nop 1
	v_mov_b32_dpp v126, v125 row_shr:2 row_mask:0xf bank_mask:0xf
	v_cndmask_b32_e64 v126, 0, v126, s[34:35]
	v_add_u32_e32 v125, v125, v126
	ds_write_b32 v44, v125 offset:1024
.LBB1843_440:                           ;   in Loop: Header=BB1843_400 Depth=2
	s_or_b64 exec, exec, s[36:37]
	v_mov_b32_e32 v125, 0
	s_waitcnt lgkmcnt(0)
	s_barrier
	s_and_saveexec_b64 s[36:37], s[10:11]
	s_cbranch_execz .LBB1843_442
; %bb.441:                              ;   in Loop: Header=BB1843_400 Depth=2
	ds_read_b32 v125, v34 offset:1020
.LBB1843_442:                           ;   in Loop: Header=BB1843_400 Depth=2
	s_or_b64 exec, exec, s[36:37]
	s_waitcnt lgkmcnt(0)
	v_add_u32_e32 v21, v125, v21
	ds_bpermute_b32 v21, v69, v21
	s_waitcnt lgkmcnt(0)
	v_cndmask_b32_e64 v21, v21, v125, s[28:29]
	v_cndmask_b32_e64 v21, v21, 0, s[12:13]
	v_add_u32_e32 v5, v21, v5
	ds_write_b32 v41, v21 offset:1040
	v_add_u32_e32 v21, v5, v22
	v_add_u32_e32 v22, v21, v23
	ds_write2_b32 v43, v5, v21 offset0:1 offset1:2
	v_add_u32_e32 v5, v22, v20
	ds_write2_b32 v43, v22, v5 offset0:3 offset1:4
	s_waitcnt lgkmcnt(0)
	s_barrier
	ds_read_b32 v20, v99
	ds_read_b32 v21, v103
	;; [unrolled: 1-line block ×8, first 2 shown]
	ds_read_b32 v99, v41 offset:1040
	v_mov_b32_e32 v5, 0x800
	s_and_saveexec_b64 s[36:37], s[14:15]
	s_cbranch_execz .LBB1843_444
; %bb.443:                              ;   in Loop: Header=BB1843_400 Depth=2
	ds_read_b32 v5, v41 offset:1060
.LBB1843_444:                           ;   in Loop: Header=BB1843_400 Depth=2
	s_or_b64 exec, exec, s[36:37]
	s_waitcnt lgkmcnt(0)
	s_barrier
	s_and_saveexec_b64 s[36:37], s[4:5]
	s_cbranch_execz .LBB1843_446
; %bb.445:                              ;   in Loop: Header=BB1843_400 Depth=2
	ds_read_b32 v103, v3
	s_waitcnt lgkmcnt(0)
	v_sub_u32_e32 v99, v103, v99
	ds_write_b32 v3, v99
.LBB1843_446:                           ;   in Loop: Header=BB1843_400 Depth=2
	s_or_b64 exec, exec, s[36:37]
	v_add_u32_e32 v103, v95, v96
	v_add3_u32 v100, v100, v98, v20
	v_lshlrev_b32_e32 v20, 1, v103
	v_add3_u32 v99, v105, v102, v21
	ds_write_b16 v20, v94 offset:1024
	v_lshlrev_b32_e32 v20, 1, v100
	v_add3_u32 v98, v110, v107, v22
	ds_write_b16 v20, v97 offset:1024
	;; [unrolled: 3-line block ×6, first 2 shown]
	v_lshlrev_b32_e32 v20, 1, v23
	ds_write_b16 v20, v117 offset:1024
	v_lshlrev_b32_e32 v20, 1, v22
	v_cmp_lt_u32_e32 vcc, v2, v93
	ds_write_b16 v20, v121 offset:1024
	s_waitcnt lgkmcnt(0)
	s_barrier
	s_and_saveexec_b64 s[38:39], vcc
	s_cbranch_execz .LBB1843_454
; %bb.447:                              ;   in Loop: Header=BB1843_400 Depth=2
	ds_read_u16 v20, v49 offset:1024
	v_mov_b32_e32 v21, v4
	v_mov_b32_e32 v97, s59
	s_waitcnt lgkmcnt(0)
	v_cmp_ne_u16_e64 s[36:37], s68, v20
	v_cndmask_b32_e64 v94, v66, v20, s[36:37]
	v_lshrrev_b32_sdwa v94, s69, v94 dst_sel:DWORD dst_unused:UNUSED_PAD src0_sel:DWORD src1_sel:WORD_0
	v_and_b32_e32 v94, s78, v94
	v_lshlrev_b32_e32 v94, 2, v94
	ds_read_b32 v94, v94
	v_cmp_lt_i16_e64 s[36:37], -1, v20
	v_cndmask_b32_e64 v101, v66, -1, s[36:37]
	v_xor_b32_e32 v101, v101, v20
	s_waitcnt lgkmcnt(0)
	v_add_u32_e32 v20, v94, v2
	v_lshlrev_b64 v[20:21], 1, v[20:21]
	v_add_co_u32_e64 v20, s[36:37], s58, v20
	v_addc_co_u32_e64 v21, s[36:37], v97, v21, s[36:37]
	global_store_short v[20:21], v101, off
	s_or_b64 exec, exec, s[38:39]
	v_cmp_lt_u32_e64 s[36:37], v24, v93
	s_and_saveexec_b64 s[40:41], s[36:37]
	s_cbranch_execnz .LBB1843_455
.LBB1843_448:                           ;   in Loop: Header=BB1843_400 Depth=2
	s_or_b64 exec, exec, s[40:41]
	v_cmp_lt_u32_e64 s[38:39], v25, v93
	s_and_saveexec_b64 s[42:43], s[38:39]
	s_cbranch_execz .LBB1843_456
.LBB1843_449:                           ;   in Loop: Header=BB1843_400 Depth=2
	ds_read_u16 v20, v50 offset:1024
	v_mov_b32_e32 v21, v4
	v_mov_b32_e32 v97, s59
	s_waitcnt lgkmcnt(0)
	v_cmp_ne_u16_e64 s[40:41], s68, v20
	v_cndmask_b32_e64 v94, v66, v20, s[40:41]
	v_lshrrev_b32_sdwa v94, s69, v94 dst_sel:DWORD dst_unused:UNUSED_PAD src0_sel:DWORD src1_sel:WORD_0
	v_and_b32_e32 v94, s78, v94
	v_lshlrev_b32_e32 v94, 2, v94
	ds_read_b32 v94, v94
	v_cmp_lt_i16_e64 s[40:41], -1, v20
	v_cndmask_b32_e64 v101, v66, -1, s[40:41]
	v_xor_b32_e32 v101, v101, v20
	s_waitcnt lgkmcnt(0)
	v_add_u32_e32 v20, v94, v25
	v_lshlrev_b64 v[20:21], 1, v[20:21]
	v_add_co_u32_e64 v20, s[40:41], s58, v20
	v_addc_co_u32_e64 v21, s[40:41], v97, v21, s[40:41]
	global_store_short v[20:21], v101, off
	s_or_b64 exec, exec, s[42:43]
	v_cmp_lt_u32_e64 s[40:41], v26, v93
	s_and_saveexec_b64 s[44:45], s[40:41]
	s_cbranch_execnz .LBB1843_457
.LBB1843_450:                           ;   in Loop: Header=BB1843_400 Depth=2
	s_or_b64 exec, exec, s[44:45]
	v_cmp_lt_u32_e64 s[42:43], v29, v93
	s_and_saveexec_b64 s[46:47], s[42:43]
	s_cbranch_execz .LBB1843_458
.LBB1843_451:                           ;   in Loop: Header=BB1843_400 Depth=2
	ds_read_u16 v20, v50 offset:2048
	v_mov_b32_e32 v21, v4
	v_mov_b32_e32 v97, s59
	s_waitcnt lgkmcnt(0)
	v_cmp_ne_u16_e64 s[44:45], s68, v20
	v_cndmask_b32_e64 v94, v66, v20, s[44:45]
	v_lshrrev_b32_sdwa v94, s69, v94 dst_sel:DWORD dst_unused:UNUSED_PAD src0_sel:DWORD src1_sel:WORD_0
	v_and_b32_e32 v94, s78, v94
	v_lshlrev_b32_e32 v94, 2, v94
	ds_read_b32 v94, v94
	v_cmp_lt_i16_e64 s[44:45], -1, v20
	v_cndmask_b32_e64 v101, v66, -1, s[44:45]
	v_xor_b32_e32 v101, v101, v20
	s_waitcnt lgkmcnt(0)
	v_add_u32_e32 v20, v94, v29
	v_lshlrev_b64 v[20:21], 1, v[20:21]
	v_add_co_u32_e64 v20, s[44:45], s58, v20
	v_addc_co_u32_e64 v21, s[44:45], v97, v21, s[44:45]
	global_store_short v[20:21], v101, off
	s_or_b64 exec, exec, s[46:47]
	v_cmp_lt_u32_e64 s[44:45], v30, v93
	s_and_saveexec_b64 s[48:49], s[44:45]
	s_cbranch_execnz .LBB1843_459
.LBB1843_452:                           ;   in Loop: Header=BB1843_400 Depth=2
	s_or_b64 exec, exec, s[48:49]
	v_cmp_lt_u32_e64 s[46:47], v31, v93
	s_and_saveexec_b64 s[52:53], s[46:47]
	s_cbranch_execz .LBB1843_460
.LBB1843_453:                           ;   in Loop: Header=BB1843_400 Depth=2
	ds_read_u16 v20, v50 offset:3072
	v_mov_b32_e32 v21, v4
	v_mov_b32_e32 v97, s59
	s_waitcnt lgkmcnt(0)
	v_cmp_ne_u16_e64 s[48:49], s68, v20
	v_cndmask_b32_e64 v94, v66, v20, s[48:49]
	v_lshrrev_b32_sdwa v94, s69, v94 dst_sel:DWORD dst_unused:UNUSED_PAD src0_sel:DWORD src1_sel:WORD_0
	v_and_b32_e32 v94, s78, v94
	v_lshlrev_b32_e32 v94, 2, v94
	ds_read_b32 v94, v94
	v_cmp_lt_i16_e64 s[48:49], -1, v20
	v_cndmask_b32_e64 v101, v66, -1, s[48:49]
	v_xor_b32_e32 v101, v101, v20
	s_waitcnt lgkmcnt(0)
	v_add_u32_e32 v20, v94, v31
	v_lshlrev_b64 v[20:21], 1, v[20:21]
	v_add_co_u32_e64 v20, s[48:49], s58, v20
	v_addc_co_u32_e64 v21, s[48:49], v97, v21, s[48:49]
	global_store_short v[20:21], v101, off
	s_or_b64 exec, exec, s[52:53]
	v_cmp_lt_u32_e64 s[48:49], v32, v93
	s_and_saveexec_b64 s[62:63], s[48:49]
	s_cbranch_execnz .LBB1843_461
	s_branch .LBB1843_462
.LBB1843_454:                           ;   in Loop: Header=BB1843_400 Depth=2
	s_or_b64 exec, exec, s[38:39]
	v_cmp_lt_u32_e64 s[36:37], v24, v93
	s_and_saveexec_b64 s[40:41], s[36:37]
	s_cbranch_execz .LBB1843_448
.LBB1843_455:                           ;   in Loop: Header=BB1843_400 Depth=2
	ds_read_u16 v20, v50 offset:512
	v_mov_b32_e32 v21, v4
	v_mov_b32_e32 v97, s59
	s_waitcnt lgkmcnt(0)
	v_cmp_ne_u16_e64 s[38:39], s68, v20
	v_cndmask_b32_e64 v94, v66, v20, s[38:39]
	v_lshrrev_b32_sdwa v94, s69, v94 dst_sel:DWORD dst_unused:UNUSED_PAD src0_sel:DWORD src1_sel:WORD_0
	v_and_b32_e32 v94, s78, v94
	v_lshlrev_b32_e32 v94, 2, v94
	ds_read_b32 v94, v94
	v_cmp_lt_i16_e64 s[38:39], -1, v20
	v_cndmask_b32_e64 v101, v66, -1, s[38:39]
	v_xor_b32_e32 v101, v101, v20
	s_waitcnt lgkmcnt(0)
	v_add_u32_e32 v20, v94, v24
	v_lshlrev_b64 v[20:21], 1, v[20:21]
	v_add_co_u32_e64 v20, s[38:39], s58, v20
	v_addc_co_u32_e64 v21, s[38:39], v97, v21, s[38:39]
	global_store_short v[20:21], v101, off
	s_or_b64 exec, exec, s[40:41]
	v_cmp_lt_u32_e64 s[38:39], v25, v93
	s_and_saveexec_b64 s[42:43], s[38:39]
	s_cbranch_execnz .LBB1843_449
.LBB1843_456:                           ;   in Loop: Header=BB1843_400 Depth=2
	s_or_b64 exec, exec, s[42:43]
	v_cmp_lt_u32_e64 s[40:41], v26, v93
	s_and_saveexec_b64 s[44:45], s[40:41]
	s_cbranch_execz .LBB1843_450
.LBB1843_457:                           ;   in Loop: Header=BB1843_400 Depth=2
	ds_read_u16 v20, v50 offset:1536
	v_mov_b32_e32 v21, v4
	v_mov_b32_e32 v97, s59
	s_waitcnt lgkmcnt(0)
	v_cmp_ne_u16_e64 s[42:43], s68, v20
	v_cndmask_b32_e64 v94, v66, v20, s[42:43]
	v_lshrrev_b32_sdwa v94, s69, v94 dst_sel:DWORD dst_unused:UNUSED_PAD src0_sel:DWORD src1_sel:WORD_0
	v_and_b32_e32 v94, s78, v94
	v_lshlrev_b32_e32 v94, 2, v94
	ds_read_b32 v94, v94
	v_cmp_lt_i16_e64 s[42:43], -1, v20
	v_cndmask_b32_e64 v101, v66, -1, s[42:43]
	v_xor_b32_e32 v101, v101, v20
	s_waitcnt lgkmcnt(0)
	v_add_u32_e32 v20, v94, v26
	v_lshlrev_b64 v[20:21], 1, v[20:21]
	v_add_co_u32_e64 v20, s[42:43], s58, v20
	v_addc_co_u32_e64 v21, s[42:43], v97, v21, s[42:43]
	global_store_short v[20:21], v101, off
	s_or_b64 exec, exec, s[44:45]
	v_cmp_lt_u32_e64 s[42:43], v29, v93
	s_and_saveexec_b64 s[46:47], s[42:43]
	s_cbranch_execnz .LBB1843_451
.LBB1843_458:                           ;   in Loop: Header=BB1843_400 Depth=2
	s_or_b64 exec, exec, s[46:47]
	v_cmp_lt_u32_e64 s[44:45], v30, v93
	s_and_saveexec_b64 s[48:49], s[44:45]
	s_cbranch_execz .LBB1843_452
.LBB1843_459:                           ;   in Loop: Header=BB1843_400 Depth=2
	ds_read_u16 v20, v50 offset:2560
	v_mov_b32_e32 v21, v4
	v_mov_b32_e32 v97, s59
	s_waitcnt lgkmcnt(0)
	v_cmp_ne_u16_e64 s[46:47], s68, v20
	v_cndmask_b32_e64 v94, v66, v20, s[46:47]
	v_lshrrev_b32_sdwa v94, s69, v94 dst_sel:DWORD dst_unused:UNUSED_PAD src0_sel:DWORD src1_sel:WORD_0
	v_and_b32_e32 v94, s78, v94
	v_lshlrev_b32_e32 v94, 2, v94
	ds_read_b32 v94, v94
	v_cmp_lt_i16_e64 s[46:47], -1, v20
	v_cndmask_b32_e64 v101, v66, -1, s[46:47]
	v_xor_b32_e32 v101, v101, v20
	s_waitcnt lgkmcnt(0)
	v_add_u32_e32 v20, v94, v30
	v_lshlrev_b64 v[20:21], 1, v[20:21]
	v_add_co_u32_e64 v20, s[46:47], s58, v20
	v_addc_co_u32_e64 v21, s[46:47], v97, v21, s[46:47]
	global_store_short v[20:21], v101, off
	s_or_b64 exec, exec, s[48:49]
	v_cmp_lt_u32_e64 s[46:47], v31, v93
	s_and_saveexec_b64 s[52:53], s[46:47]
	s_cbranch_execnz .LBB1843_453
.LBB1843_460:                           ;   in Loop: Header=BB1843_400 Depth=2
	s_or_b64 exec, exec, s[52:53]
	v_cmp_lt_u32_e64 s[48:49], v32, v93
	s_and_saveexec_b64 s[62:63], s[48:49]
	s_cbranch_execz .LBB1843_462
.LBB1843_461:                           ;   in Loop: Header=BB1843_400 Depth=2
	ds_read_u16 v20, v50 offset:3584
	v_mov_b32_e32 v21, v4
	v_mov_b32_e32 v97, s59
	s_waitcnt lgkmcnt(0)
	v_cmp_ne_u16_e64 s[52:53], s68, v20
	v_cndmask_b32_e64 v94, v66, v20, s[52:53]
	v_lshrrev_b32_sdwa v94, s69, v94 dst_sel:DWORD dst_unused:UNUSED_PAD src0_sel:DWORD src1_sel:WORD_0
	v_and_b32_e32 v94, s78, v94
	v_lshlrev_b32_e32 v94, 2, v94
	ds_read_b32 v94, v94
	v_cmp_lt_i16_e64 s[52:53], -1, v20
	v_cndmask_b32_e64 v101, v66, -1, s[52:53]
	v_xor_b32_e32 v101, v101, v20
	s_waitcnt lgkmcnt(0)
	v_add_u32_e32 v20, v94, v32
	v_lshlrev_b64 v[20:21], 1, v[20:21]
	v_add_co_u32_e64 v20, s[52:53], s58, v20
	v_addc_co_u32_e64 v21, s[52:53], v97, v21, s[52:53]
	global_store_short v[20:21], v101, off
.LBB1843_462:                           ;   in Loop: Header=BB1843_400 Depth=2
	s_or_b64 exec, exec, s[62:63]
	s_lshl_b64 s[52:53], s[72:73], 3
	v_mov_b32_e32 v21, s53
	v_add_co_u32_e64 v20, s[52:53], s52, v77
	v_addc_co_u32_e64 v21, s[52:53], v79, v21, s[52:53]
	v_cmp_lt_u32_e64 s[52:53], v74, v93
	s_and_saveexec_b64 s[62:63], s[52:53]
	s_xor_b64 s[52:53], exec, s[62:63]
	s_cbranch_execz .LBB1843_478
; %bb.463:                              ;   in Loop: Header=BB1843_400 Depth=2
	global_load_dwordx2 v[18:19], v[20:21], off
	s_or_b64 exec, exec, s[52:53]
	v_cmp_lt_u32_e64 s[52:53], v81, v93
	s_and_saveexec_b64 s[62:63], s[52:53]
	s_cbranch_execnz .LBB1843_479
.LBB1843_464:                           ;   in Loop: Header=BB1843_400 Depth=2
	s_or_b64 exec, exec, s[62:63]
	v_cmp_lt_u32_e64 s[52:53], v82, v93
	s_and_saveexec_b64 s[62:63], s[52:53]
	s_cbranch_execz .LBB1843_480
.LBB1843_465:                           ;   in Loop: Header=BB1843_400 Depth=2
	global_load_dwordx2 v[14:15], v[20:21], off offset:1024
	s_or_b64 exec, exec, s[62:63]
	v_cmp_lt_u32_e64 s[52:53], v83, v93
	s_and_saveexec_b64 s[62:63], s[52:53]
	s_cbranch_execnz .LBB1843_481
.LBB1843_466:                           ;   in Loop: Header=BB1843_400 Depth=2
	s_or_b64 exec, exec, s[62:63]
	v_cmp_lt_u32_e64 s[52:53], v84, v93
	s_and_saveexec_b64 s[62:63], s[52:53]
	s_cbranch_execz .LBB1843_482
.LBB1843_467:                           ;   in Loop: Header=BB1843_400 Depth=2
	global_load_dwordx2 v[10:11], v[20:21], off offset:2048
	s_or_b64 exec, exec, s[62:63]
	v_cmp_lt_u32_e64 s[52:53], v85, v93
	s_and_saveexec_b64 s[62:63], s[52:53]
	s_cbranch_execnz .LBB1843_483
.LBB1843_468:                           ;   in Loop: Header=BB1843_400 Depth=2
	s_or_b64 exec, exec, s[62:63]
	v_cmp_lt_u32_e64 s[52:53], v86, v93
	s_and_saveexec_b64 s[62:63], s[52:53]
	s_cbranch_execz .LBB1843_484
.LBB1843_469:                           ;   in Loop: Header=BB1843_400 Depth=2
	global_load_dwordx2 v[6:7], v[20:21], off offset:3072
	s_or_b64 exec, exec, s[62:63]
	v_cmp_lt_u32_e64 s[52:53], v87, v93
	s_and_saveexec_b64 s[62:63], s[52:53]
	s_cbranch_execnz .LBB1843_485
.LBB1843_470:                           ;   in Loop: Header=BB1843_400 Depth=2
	s_or_b64 exec, exec, s[62:63]
	s_and_saveexec_b64 s[62:63], vcc
	s_cbranch_execz .LBB1843_486
.LBB1843_471:                           ;   in Loop: Header=BB1843_400 Depth=2
	ds_read_u16 v20, v49 offset:1024
	s_waitcnt lgkmcnt(0)
	v_cmp_ne_u16_e64 s[52:53], s68, v20
	v_cndmask_b32_e64 v20, v66, v20, s[52:53]
	v_lshrrev_b32_sdwa v20, s69, v20 dst_sel:DWORD dst_unused:UNUSED_PAD src0_sel:DWORD src1_sel:WORD_0
	v_and_b32_e32 v80, s78, v20
	s_or_b64 exec, exec, s[62:63]
	s_and_saveexec_b64 s[62:63], s[36:37]
	s_cbranch_execnz .LBB1843_487
.LBB1843_472:                           ;   in Loop: Header=BB1843_400 Depth=2
	s_or_b64 exec, exec, s[62:63]
	s_and_saveexec_b64 s[62:63], s[38:39]
	s_cbranch_execz .LBB1843_488
.LBB1843_473:                           ;   in Loop: Header=BB1843_400 Depth=2
	ds_read_u16 v20, v50 offset:1024
	s_waitcnt lgkmcnt(0)
	v_cmp_ne_u16_e64 s[52:53], s68, v20
	v_cndmask_b32_e64 v20, v66, v20, s[52:53]
	v_lshrrev_b32_sdwa v20, s69, v20 dst_sel:DWORD dst_unused:UNUSED_PAD src0_sel:DWORD src1_sel:WORD_0
	v_and_b32_e32 v76, s78, v20
	s_or_b64 exec, exec, s[62:63]
	s_and_saveexec_b64 s[62:63], s[40:41]
	s_cbranch_execnz .LBB1843_489
.LBB1843_474:                           ;   in Loop: Header=BB1843_400 Depth=2
	s_or_b64 exec, exec, s[62:63]
	s_and_saveexec_b64 s[62:63], s[42:43]
	s_cbranch_execz .LBB1843_490
.LBB1843_475:                           ;   in Loop: Header=BB1843_400 Depth=2
	ds_read_u16 v20, v50 offset:2048
	s_waitcnt lgkmcnt(0)
	v_cmp_ne_u16_e64 s[52:53], s68, v20
	v_cndmask_b32_e64 v20, v66, v20, s[52:53]
	v_lshrrev_b32_sdwa v20, s69, v20 dst_sel:DWORD dst_unused:UNUSED_PAD src0_sel:DWORD src1_sel:WORD_0
	v_and_b32_e32 v73, s78, v20
	s_or_b64 exec, exec, s[62:63]
	s_and_saveexec_b64 s[62:63], s[44:45]
	s_cbranch_execnz .LBB1843_491
.LBB1843_476:                           ;   in Loop: Header=BB1843_400 Depth=2
	s_or_b64 exec, exec, s[62:63]
	s_and_saveexec_b64 s[62:63], s[46:47]
	s_cbranch_execz .LBB1843_492
.LBB1843_477:                           ;   in Loop: Header=BB1843_400 Depth=2
	ds_read_u16 v20, v50 offset:3072
	s_waitcnt lgkmcnt(0)
	v_cmp_ne_u16_e64 s[52:53], s68, v20
	v_cndmask_b32_e64 v20, v66, v20, s[52:53]
	v_lshrrev_b32_sdwa v20, s69, v20 dst_sel:DWORD dst_unused:UNUSED_PAD src0_sel:DWORD src1_sel:WORD_0
	v_and_b32_e32 v71, s78, v20
	s_or_b64 exec, exec, s[62:63]
	s_and_saveexec_b64 s[62:63], s[48:49]
	s_cbranch_execnz .LBB1843_493
	s_branch .LBB1843_494
.LBB1843_478:                           ;   in Loop: Header=BB1843_400 Depth=2
	s_or_b64 exec, exec, s[52:53]
	v_cmp_lt_u32_e64 s[52:53], v81, v93
	s_and_saveexec_b64 s[62:63], s[52:53]
	s_cbranch_execz .LBB1843_464
.LBB1843_479:                           ;   in Loop: Header=BB1843_400 Depth=2
	global_load_dwordx2 v[16:17], v[20:21], off offset:512
	s_or_b64 exec, exec, s[62:63]
	v_cmp_lt_u32_e64 s[52:53], v82, v93
	s_and_saveexec_b64 s[62:63], s[52:53]
	s_cbranch_execnz .LBB1843_465
.LBB1843_480:                           ;   in Loop: Header=BB1843_400 Depth=2
	s_or_b64 exec, exec, s[62:63]
	v_cmp_lt_u32_e64 s[52:53], v83, v93
	s_and_saveexec_b64 s[62:63], s[52:53]
	s_cbranch_execz .LBB1843_466
.LBB1843_481:                           ;   in Loop: Header=BB1843_400 Depth=2
	global_load_dwordx2 v[12:13], v[20:21], off offset:1536
	s_or_b64 exec, exec, s[62:63]
	v_cmp_lt_u32_e64 s[52:53], v84, v93
	s_and_saveexec_b64 s[62:63], s[52:53]
	s_cbranch_execnz .LBB1843_467
.LBB1843_482:                           ;   in Loop: Header=BB1843_400 Depth=2
	s_or_b64 exec, exec, s[62:63]
	v_cmp_lt_u32_e64 s[52:53], v85, v93
	s_and_saveexec_b64 s[62:63], s[52:53]
	s_cbranch_execz .LBB1843_468
.LBB1843_483:                           ;   in Loop: Header=BB1843_400 Depth=2
	global_load_dwordx2 v[8:9], v[20:21], off offset:2560
	s_or_b64 exec, exec, s[62:63]
	v_cmp_lt_u32_e64 s[52:53], v86, v93
	s_and_saveexec_b64 s[62:63], s[52:53]
	s_cbranch_execnz .LBB1843_469
.LBB1843_484:                           ;   in Loop: Header=BB1843_400 Depth=2
	s_or_b64 exec, exec, s[62:63]
	v_cmp_lt_u32_e64 s[52:53], v87, v93
	s_and_saveexec_b64 s[62:63], s[52:53]
	s_cbranch_execz .LBB1843_470
.LBB1843_485:                           ;   in Loop: Header=BB1843_400 Depth=2
	global_load_dwordx2 v[0:1], v[20:21], off offset:3584
	s_or_b64 exec, exec, s[62:63]
	s_and_saveexec_b64 s[62:63], vcc
	s_cbranch_execnz .LBB1843_471
.LBB1843_486:                           ;   in Loop: Header=BB1843_400 Depth=2
	s_or_b64 exec, exec, s[62:63]
	s_and_saveexec_b64 s[62:63], s[36:37]
	s_cbranch_execz .LBB1843_472
.LBB1843_487:                           ;   in Loop: Header=BB1843_400 Depth=2
	ds_read_u16 v20, v50 offset:512
	s_waitcnt lgkmcnt(0)
	v_cmp_ne_u16_e64 s[52:53], s68, v20
	v_cndmask_b32_e64 v20, v66, v20, s[52:53]
	v_lshrrev_b32_sdwa v20, s69, v20 dst_sel:DWORD dst_unused:UNUSED_PAD src0_sel:DWORD src1_sel:WORD_0
	v_and_b32_e32 v78, s78, v20
	s_or_b64 exec, exec, s[62:63]
	s_and_saveexec_b64 s[62:63], s[38:39]
	s_cbranch_execnz .LBB1843_473
.LBB1843_488:                           ;   in Loop: Header=BB1843_400 Depth=2
	s_or_b64 exec, exec, s[62:63]
	s_and_saveexec_b64 s[62:63], s[40:41]
	s_cbranch_execz .LBB1843_474
.LBB1843_489:                           ;   in Loop: Header=BB1843_400 Depth=2
	ds_read_u16 v20, v50 offset:1536
	s_waitcnt lgkmcnt(0)
	v_cmp_ne_u16_e64 s[52:53], s68, v20
	v_cndmask_b32_e64 v20, v66, v20, s[52:53]
	v_lshrrev_b32_sdwa v20, s69, v20 dst_sel:DWORD dst_unused:UNUSED_PAD src0_sel:DWORD src1_sel:WORD_0
	v_and_b32_e32 v75, s78, v20
	s_or_b64 exec, exec, s[62:63]
	s_and_saveexec_b64 s[62:63], s[42:43]
	s_cbranch_execnz .LBB1843_475
.LBB1843_490:                           ;   in Loop: Header=BB1843_400 Depth=2
	s_or_b64 exec, exec, s[62:63]
	s_and_saveexec_b64 s[62:63], s[44:45]
	s_cbranch_execz .LBB1843_476
.LBB1843_491:                           ;   in Loop: Header=BB1843_400 Depth=2
	ds_read_u16 v20, v50 offset:2560
	s_waitcnt lgkmcnt(0)
	v_cmp_ne_u16_e64 s[52:53], s68, v20
	v_cndmask_b32_e64 v20, v66, v20, s[52:53]
	v_lshrrev_b32_sdwa v20, s69, v20 dst_sel:DWORD dst_unused:UNUSED_PAD src0_sel:DWORD src1_sel:WORD_0
	v_and_b32_e32 v72, s78, v20
	s_or_b64 exec, exec, s[62:63]
	s_and_saveexec_b64 s[62:63], s[46:47]
	s_cbranch_execnz .LBB1843_477
.LBB1843_492:                           ;   in Loop: Header=BB1843_400 Depth=2
	s_or_b64 exec, exec, s[62:63]
	s_and_saveexec_b64 s[62:63], s[48:49]
	s_cbranch_execz .LBB1843_494
.LBB1843_493:                           ;   in Loop: Header=BB1843_400 Depth=2
	ds_read_u16 v20, v50 offset:3584
	s_waitcnt lgkmcnt(0)
	v_cmp_ne_u16_e64 s[52:53], s68, v20
	v_cndmask_b32_e64 v20, v66, v20, s[52:53]
	v_lshrrev_b32_sdwa v20, s69, v20 dst_sel:DWORD dst_unused:UNUSED_PAD src0_sel:DWORD src1_sel:WORD_0
	v_and_b32_e32 v70, s78, v20
.LBB1843_494:                           ;   in Loop: Header=BB1843_400 Depth=2
	s_or_b64 exec, exec, s[62:63]
	v_lshlrev_b32_e32 v20, 3, v103
	s_barrier
	s_waitcnt vmcnt(0)
	ds_write_b64 v20, v[18:19] offset:1024
	v_lshlrev_b32_e32 v20, 3, v100
	ds_write_b64 v20, v[16:17] offset:1024
	v_lshlrev_b32_e32 v20, 3, v99
	;; [unrolled: 2-line block ×7, first 2 shown]
	ds_write_b64 v20, v[0:1] offset:1024
	s_waitcnt lgkmcnt(0)
	s_barrier
	s_and_saveexec_b64 s[52:53], vcc
	s_cbranch_execz .LBB1843_502
; %bb.495:                              ;   in Loop: Header=BB1843_400 Depth=2
	v_lshlrev_b32_e32 v20, 2, v80
	ds_read_b32 v20, v20
	v_add_u32_e32 v22, v49, v51
	ds_read_b64 v[22:23], v22 offset:1024
	v_mov_b32_e32 v21, v4
	v_mov_b32_e32 v93, s65
	s_waitcnt lgkmcnt(1)
	v_add_u32_e32 v20, v20, v2
	v_lshlrev_b64 v[20:21], 3, v[20:21]
	v_add_co_u32_e32 v20, vcc, s64, v20
	v_addc_co_u32_e32 v21, vcc, v93, v21, vcc
	s_waitcnt lgkmcnt(0)
	global_store_dwordx2 v[20:21], v[22:23], off
	s_or_b64 exec, exec, s[52:53]
	s_and_saveexec_b64 s[52:53], s[36:37]
	s_cbranch_execnz .LBB1843_503
.LBB1843_496:                           ;   in Loop: Header=BB1843_400 Depth=2
	s_or_b64 exec, exec, s[52:53]
	s_and_saveexec_b64 s[36:37], s[38:39]
	s_cbranch_execz .LBB1843_504
.LBB1843_497:                           ;   in Loop: Header=BB1843_400 Depth=2
	v_lshlrev_b32_e32 v20, 2, v76
	ds_read_b32 v22, v20
	v_add_u32_e32 v20, v50, v51
	ds_read_b64 v[20:21], v20 offset:4096
	v_mov_b32_e32 v23, v4
	v_mov_b32_e32 v93, s65
	s_waitcnt lgkmcnt(1)
	v_add_u32_e32 v22, v22, v25
	v_lshlrev_b64 v[22:23], 3, v[22:23]
	v_add_co_u32_e32 v22, vcc, s64, v22
	v_addc_co_u32_e32 v23, vcc, v93, v23, vcc
	s_waitcnt lgkmcnt(0)
	global_store_dwordx2 v[22:23], v[20:21], off
	s_or_b64 exec, exec, s[36:37]
	s_and_saveexec_b64 s[36:37], s[40:41]
	s_cbranch_execnz .LBB1843_505
.LBB1843_498:                           ;   in Loop: Header=BB1843_400 Depth=2
	s_or_b64 exec, exec, s[36:37]
	s_and_saveexec_b64 s[36:37], s[42:43]
	s_cbranch_execz .LBB1843_506
.LBB1843_499:                           ;   in Loop: Header=BB1843_400 Depth=2
	v_lshlrev_b32_e32 v20, 2, v73
	ds_read_b32 v22, v20
	v_add_u32_e32 v20, v50, v51
	ds_read_b64 v[20:21], v20 offset:8192
	v_mov_b32_e32 v23, v4
	v_mov_b32_e32 v93, s65
	s_waitcnt lgkmcnt(1)
	v_add_u32_e32 v22, v22, v29
	v_lshlrev_b64 v[22:23], 3, v[22:23]
	v_add_co_u32_e32 v22, vcc, s64, v22
	v_addc_co_u32_e32 v23, vcc, v93, v23, vcc
	s_waitcnt lgkmcnt(0)
	global_store_dwordx2 v[22:23], v[20:21], off
	s_or_b64 exec, exec, s[36:37]
	s_and_saveexec_b64 s[36:37], s[44:45]
	s_cbranch_execnz .LBB1843_507
.LBB1843_500:                           ;   in Loop: Header=BB1843_400 Depth=2
	s_or_b64 exec, exec, s[36:37]
	s_and_saveexec_b64 s[36:37], s[46:47]
	s_cbranch_execz .LBB1843_508
.LBB1843_501:                           ;   in Loop: Header=BB1843_400 Depth=2
	v_lshlrev_b32_e32 v20, 2, v71
	ds_read_b32 v22, v20
	v_add_u32_e32 v20, v50, v51
	ds_read_b64 v[20:21], v20 offset:12288
	v_mov_b32_e32 v23, v4
	v_mov_b32_e32 v93, s65
	s_waitcnt lgkmcnt(1)
	v_add_u32_e32 v22, v22, v31
	v_lshlrev_b64 v[22:23], 3, v[22:23]
	v_add_co_u32_e32 v22, vcc, s64, v22
	v_addc_co_u32_e32 v23, vcc, v93, v23, vcc
	s_waitcnt lgkmcnt(0)
	global_store_dwordx2 v[22:23], v[20:21], off
	s_or_b64 exec, exec, s[36:37]
	s_and_saveexec_b64 s[36:37], s[48:49]
	s_cbranch_execnz .LBB1843_509
	s_branch .LBB1843_510
.LBB1843_502:                           ;   in Loop: Header=BB1843_400 Depth=2
	s_or_b64 exec, exec, s[52:53]
	s_and_saveexec_b64 s[52:53], s[36:37]
	s_cbranch_execz .LBB1843_496
.LBB1843_503:                           ;   in Loop: Header=BB1843_400 Depth=2
	v_lshlrev_b32_e32 v20, 2, v78
	ds_read_b32 v22, v20
	v_add_u32_e32 v20, v50, v51
	ds_read_b64 v[20:21], v20 offset:2048
	v_mov_b32_e32 v23, v4
	v_mov_b32_e32 v93, s65
	s_waitcnt lgkmcnt(1)
	v_add_u32_e32 v22, v22, v24
	v_lshlrev_b64 v[22:23], 3, v[22:23]
	v_add_co_u32_e32 v22, vcc, s64, v22
	v_addc_co_u32_e32 v23, vcc, v93, v23, vcc
	s_waitcnt lgkmcnt(0)
	global_store_dwordx2 v[22:23], v[20:21], off
	s_or_b64 exec, exec, s[52:53]
	s_and_saveexec_b64 s[36:37], s[38:39]
	s_cbranch_execnz .LBB1843_497
.LBB1843_504:                           ;   in Loop: Header=BB1843_400 Depth=2
	s_or_b64 exec, exec, s[36:37]
	s_and_saveexec_b64 s[36:37], s[40:41]
	s_cbranch_execz .LBB1843_498
.LBB1843_505:                           ;   in Loop: Header=BB1843_400 Depth=2
	v_lshlrev_b32_e32 v20, 2, v75
	ds_read_b32 v22, v20
	v_add_u32_e32 v20, v50, v51
	ds_read_b64 v[20:21], v20 offset:6144
	v_mov_b32_e32 v23, v4
	v_mov_b32_e32 v93, s65
	s_waitcnt lgkmcnt(1)
	v_add_u32_e32 v22, v22, v26
	v_lshlrev_b64 v[22:23], 3, v[22:23]
	v_add_co_u32_e32 v22, vcc, s64, v22
	v_addc_co_u32_e32 v23, vcc, v93, v23, vcc
	s_waitcnt lgkmcnt(0)
	global_store_dwordx2 v[22:23], v[20:21], off
	s_or_b64 exec, exec, s[36:37]
	s_and_saveexec_b64 s[36:37], s[42:43]
	s_cbranch_execnz .LBB1843_499
.LBB1843_506:                           ;   in Loop: Header=BB1843_400 Depth=2
	s_or_b64 exec, exec, s[36:37]
	s_and_saveexec_b64 s[36:37], s[44:45]
	s_cbranch_execz .LBB1843_500
.LBB1843_507:                           ;   in Loop: Header=BB1843_400 Depth=2
	v_lshlrev_b32_e32 v20, 2, v72
	ds_read_b32 v22, v20
	v_add_u32_e32 v20, v50, v51
	ds_read_b64 v[20:21], v20 offset:10240
	v_mov_b32_e32 v23, v4
	v_mov_b32_e32 v93, s65
	s_waitcnt lgkmcnt(1)
	v_add_u32_e32 v22, v22, v30
	v_lshlrev_b64 v[22:23], 3, v[22:23]
	v_add_co_u32_e32 v22, vcc, s64, v22
	v_addc_co_u32_e32 v23, vcc, v93, v23, vcc
	s_waitcnt lgkmcnt(0)
	global_store_dwordx2 v[22:23], v[20:21], off
	s_or_b64 exec, exec, s[36:37]
	s_and_saveexec_b64 s[36:37], s[46:47]
	s_cbranch_execnz .LBB1843_501
.LBB1843_508:                           ;   in Loop: Header=BB1843_400 Depth=2
	s_or_b64 exec, exec, s[36:37]
	s_and_saveexec_b64 s[36:37], s[48:49]
	s_cbranch_execz .LBB1843_510
.LBB1843_509:                           ;   in Loop: Header=BB1843_400 Depth=2
	v_lshlrev_b32_e32 v20, 2, v70
	ds_read_b32 v22, v20
	v_add_u32_e32 v20, v50, v51
	ds_read_b64 v[20:21], v20 offset:14336
	v_mov_b32_e32 v23, v4
	v_mov_b32_e32 v93, s65
	s_waitcnt lgkmcnt(1)
	v_add_u32_e32 v22, v22, v32
	v_lshlrev_b64 v[22:23], 3, v[22:23]
	v_add_co_u32_e32 v22, vcc, s64, v22
	v_addc_co_u32_e32 v23, vcc, v93, v23, vcc
	s_waitcnt lgkmcnt(0)
	global_store_dwordx2 v[22:23], v[20:21], off
.LBB1843_510:                           ;   in Loop: Header=BB1843_400 Depth=2
	s_or_b64 exec, exec, s[36:37]
	s_barrier
	s_and_saveexec_b64 s[36:37], s[4:5]
	s_cbranch_execz .LBB1843_399
; %bb.511:                              ;   in Loop: Header=BB1843_400 Depth=2
	ds_read_b32 v20, v3
	s_waitcnt lgkmcnt(0)
	v_add_u32_e32 v5, v20, v5
	ds_write_b32 v3, v5
	s_branch .LBB1843_399
.LBB1843_512:                           ;   in Loop: Header=BB1843_12 Depth=1
	s_waitcnt lgkmcnt(0)
	s_barrier
	s_mov_b64 s[16:17], 0
.LBB1843_513:                           ;   in Loop: Header=BB1843_12 Depth=1
	s_and_b64 vcc, exec, s[16:17]
	s_cbranch_vccz .LBB1843_11
; %bb.514:                              ;   in Loop: Header=BB1843_12 Depth=1
	s_mov_b32 s22, s71
	s_mov_b32 s72, s51
	s_barrier
	s_waitcnt lgkmcnt(0)
                                        ; implicit-def: $vgpr12
                                        ; implicit-def: $vgpr5
                                        ; implicit-def: $vgpr6
                                        ; implicit-def: $vgpr7
                                        ; implicit-def: $vgpr8
                                        ; implicit-def: $vgpr9
                                        ; implicit-def: $vgpr10
                                        ; implicit-def: $vgpr11
	s_branch .LBB1843_516
.LBB1843_515:                           ;   in Loop: Header=BB1843_516 Depth=2
	s_or_b64 exec, exec, s[16:17]
	s_addk_i32 s22, 0xf800
	s_cmp_ge_u32 s23, s76
	s_mov_b32 s72, s23
	s_cbranch_scc1 .LBB1843_554
.LBB1843_516:                           ;   Parent Loop BB1843_12 Depth=1
                                        ; =>  This Inner Loop Header: Depth=2
	s_add_i32 s23, s72, 0x800
	s_cmp_gt_u32 s23, s76
	s_cbranch_scc1 .LBB1843_519
; %bb.517:                              ;   in Loop: Header=BB1843_516 Depth=2
	s_lshl_b64 s[16:17], s[72:73], 1
	v_mov_b32_e32 v1, s17
	v_add_co_u32_e32 v0, vcc, s16, v58
	v_addc_co_u32_e32 v1, vcc, v59, v1, vcc
	global_load_ushort v14, v[0:1], off
	global_load_ushort v15, v[0:1], off offset:512
	global_load_ushort v16, v[0:1], off offset:1024
	;; [unrolled: 1-line block ×6, first 2 shown]
	v_add_co_u32_e32 v0, vcc, 0xe00, v0
	v_addc_co_u32_e32 v1, vcc, 0, v1, vcc
	s_mov_b64 s[16:17], -1
	s_movk_i32 s24, 0x800
	s_cbranch_execz .LBB1843_520
; %bb.518:                              ;   in Loop: Header=BB1843_516 Depth=2
                                        ; implicit-def: $vgpr11
                                        ; implicit-def: $vgpr10
                                        ; implicit-def: $vgpr9
                                        ; implicit-def: $vgpr8
                                        ; implicit-def: $vgpr7
                                        ; implicit-def: $vgpr6
                                        ; implicit-def: $vgpr5
                                        ; implicit-def: $vgpr12
	v_mov_b32_e32 v13, s22
	s_and_saveexec_b64 s[18:19], s[16:17]
	s_cbranch_execnz .LBB1843_531
	s_branch .LBB1843_532
.LBB1843_519:                           ;   in Loop: Header=BB1843_516 Depth=2
	s_mov_b64 s[16:17], 0
                                        ; implicit-def: $sgpr24
                                        ; implicit-def: $vgpr14
                                        ; implicit-def: $vgpr15
                                        ; implicit-def: $vgpr16
                                        ; implicit-def: $vgpr17
                                        ; implicit-def: $vgpr18
                                        ; implicit-def: $vgpr19
                                        ; implicit-def: $vgpr20
                                        ; implicit-def: $vgpr0_vgpr1
.LBB1843_520:                           ;   in Loop: Header=BB1843_516 Depth=2
	s_lshl_b64 s[18:19], s[72:73], 1
	s_add_u32 s18, s56, s18
	s_addc_u32 s19, s57, s19
	v_cmp_gt_u32_e32 vcc, s22, v2
	s_and_saveexec_b64 s[20:21], vcc
	s_cbranch_execz .LBB1843_548
; %bb.521:                              ;   in Loop: Header=BB1843_516 Depth=2
	global_load_ushort v11, v65, s[18:19]
	s_or_b64 exec, exec, s[20:21]
	v_cmp_gt_u32_e32 vcc, s22, v24
	s_and_saveexec_b64 s[20:21], vcc
	s_cbranch_execnz .LBB1843_549
.LBB1843_522:                           ;   in Loop: Header=BB1843_516 Depth=2
	s_or_b64 exec, exec, s[20:21]
	v_cmp_gt_u32_e32 vcc, s22, v25
	s_and_saveexec_b64 s[20:21], vcc
	s_cbranch_execz .LBB1843_550
.LBB1843_523:                           ;   in Loop: Header=BB1843_516 Depth=2
	global_load_ushort v9, v65, s[18:19] offset:1024
	s_or_b64 exec, exec, s[20:21]
	v_cmp_gt_u32_e32 vcc, s22, v26
	s_and_saveexec_b64 s[20:21], vcc
	s_cbranch_execnz .LBB1843_551
.LBB1843_524:                           ;   in Loop: Header=BB1843_516 Depth=2
	s_or_b64 exec, exec, s[20:21]
	v_cmp_gt_u32_e32 vcc, s22, v29
	s_and_saveexec_b64 s[20:21], vcc
	s_cbranch_execz .LBB1843_552
.LBB1843_525:                           ;   in Loop: Header=BB1843_516 Depth=2
	global_load_ushort v7, v65, s[18:19] offset:2048
	s_or_b64 exec, exec, s[20:21]
	v_cmp_gt_u32_e32 vcc, s22, v30
	s_and_saveexec_b64 s[20:21], vcc
	s_cbranch_execnz .LBB1843_553
.LBB1843_526:                           ;   in Loop: Header=BB1843_516 Depth=2
	s_or_b64 exec, exec, s[20:21]
	v_cmp_gt_u32_e32 vcc, s22, v31
	s_and_saveexec_b64 s[20:21], vcc
	s_cbranch_execz .LBB1843_528
.LBB1843_527:                           ;   in Loop: Header=BB1843_516 Depth=2
	global_load_ushort v5, v65, s[18:19] offset:3072
.LBB1843_528:                           ;   in Loop: Header=BB1843_516 Depth=2
	s_or_b64 exec, exec, s[20:21]
	v_cmp_gt_u32_e32 vcc, s22, v32
                                        ; implicit-def: $sgpr24
                                        ; implicit-def: $vgpr0_vgpr1
	s_and_saveexec_b64 s[20:21], vcc
	s_cbranch_execz .LBB1843_530
; %bb.529:                              ;   in Loop: Header=BB1843_516 Depth=2
	v_mov_b32_e32 v0, s19
	v_add_co_u32_e32 v1, vcc, s18, v65
	s_waitcnt vmcnt(0)
	v_addc_co_u32_e32 v12, vcc, 0, v0, vcc
	v_add_co_u32_e32 v0, vcc, 0xe00, v1
	s_sub_i32 s24, s76, s72
	v_addc_co_u32_e32 v1, vcc, 0, v12, vcc
	s_or_b64 s[16:17], s[16:17], exec
                                        ; implicit-def: $vgpr12
.LBB1843_530:                           ;   in Loop: Header=BB1843_516 Depth=2
	s_or_b64 exec, exec, s[20:21]
	s_waitcnt vmcnt(0)
	v_mov_b32_e32 v14, v11
	v_mov_b32_e32 v15, v10
	;; [unrolled: 1-line block ×8, first 2 shown]
	s_and_saveexec_b64 s[18:19], s[16:17]
	s_cbranch_execz .LBB1843_532
.LBB1843_531:                           ;   in Loop: Header=BB1843_516 Depth=2
	global_load_ushort v12, v[0:1], off
	v_mov_b32_e32 v13, s24
	s_waitcnt vmcnt(1)
	v_mov_b32_e32 v5, v20
	v_mov_b32_e32 v6, v19
	v_mov_b32_e32 v7, v18
	v_mov_b32_e32 v8, v17
	v_mov_b32_e32 v9, v16
	v_mov_b32_e32 v10, v15
	v_mov_b32_e32 v11, v14
.LBB1843_532:                           ;   in Loop: Header=BB1843_516 Depth=2
	s_or_b64 exec, exec, s[18:19]
	v_cmp_lt_u32_e32 vcc, v2, v13
	s_and_saveexec_b64 s[16:17], vcc
	s_cbranch_execz .LBB1843_540
; %bb.533:                              ;   in Loop: Header=BB1843_516 Depth=2
	v_cmp_lt_i16_e32 vcc, -1, v11
	v_cndmask_b32_e32 v0, -1, v66, vcc
	v_xor_b32_e32 v0, v0, v11
	v_cmp_ne_u16_e32 vcc, s68, v0
	v_cndmask_b32_e32 v0, v66, v0, vcc
	v_lshrrev_b32_sdwa v0, s69, v0 dst_sel:DWORD dst_unused:UNUSED_PAD src0_sel:DWORD src1_sel:WORD_0
	v_and_b32_e32 v0, s78, v0
	v_lshl_or_b32 v0, v0, 4, v67
	ds_add_u32 v0, v64
	s_or_b64 exec, exec, s[16:17]
	v_cmp_lt_u32_e32 vcc, v24, v13
	s_and_saveexec_b64 s[16:17], vcc
	s_cbranch_execnz .LBB1843_541
.LBB1843_534:                           ;   in Loop: Header=BB1843_516 Depth=2
	s_or_b64 exec, exec, s[16:17]
	v_cmp_lt_u32_e32 vcc, v25, v13
	s_and_saveexec_b64 s[16:17], vcc
	s_cbranch_execz .LBB1843_542
.LBB1843_535:                           ;   in Loop: Header=BB1843_516 Depth=2
	v_cmp_lt_i16_e32 vcc, -1, v9
	v_cndmask_b32_e32 v0, -1, v66, vcc
	v_xor_b32_e32 v0, v0, v9
	v_cmp_ne_u16_e32 vcc, s68, v0
	v_cndmask_b32_e32 v0, v66, v0, vcc
	v_lshrrev_b32_sdwa v0, s69, v0 dst_sel:DWORD dst_unused:UNUSED_PAD src0_sel:DWORD src1_sel:WORD_0
	v_and_b32_e32 v0, s78, v0
	v_lshl_or_b32 v0, v0, 4, v67
	ds_add_u32 v0, v64
	s_or_b64 exec, exec, s[16:17]
	v_cmp_lt_u32_e32 vcc, v26, v13
	s_and_saveexec_b64 s[16:17], vcc
	s_cbranch_execnz .LBB1843_543
.LBB1843_536:                           ;   in Loop: Header=BB1843_516 Depth=2
	s_or_b64 exec, exec, s[16:17]
	v_cmp_lt_u32_e32 vcc, v29, v13
	s_and_saveexec_b64 s[16:17], vcc
	s_cbranch_execz .LBB1843_544
.LBB1843_537:                           ;   in Loop: Header=BB1843_516 Depth=2
	v_cmp_lt_i16_e32 vcc, -1, v7
	v_cndmask_b32_e32 v0, -1, v66, vcc
	v_xor_b32_e32 v0, v0, v7
	v_cmp_ne_u16_e32 vcc, s68, v0
	v_cndmask_b32_e32 v0, v66, v0, vcc
	v_lshrrev_b32_sdwa v0, s69, v0 dst_sel:DWORD dst_unused:UNUSED_PAD src0_sel:DWORD src1_sel:WORD_0
	v_and_b32_e32 v0, s78, v0
	v_lshl_or_b32 v0, v0, 4, v67
	ds_add_u32 v0, v64
	s_or_b64 exec, exec, s[16:17]
	v_cmp_lt_u32_e32 vcc, v30, v13
	s_and_saveexec_b64 s[16:17], vcc
	s_cbranch_execnz .LBB1843_545
.LBB1843_538:                           ;   in Loop: Header=BB1843_516 Depth=2
	s_or_b64 exec, exec, s[16:17]
	v_cmp_lt_u32_e32 vcc, v31, v13
	s_and_saveexec_b64 s[16:17], vcc
	s_cbranch_execz .LBB1843_546
.LBB1843_539:                           ;   in Loop: Header=BB1843_516 Depth=2
	v_cmp_lt_i16_e32 vcc, -1, v5
	v_cndmask_b32_e32 v0, -1, v66, vcc
	v_xor_b32_e32 v0, v0, v5
	v_cmp_ne_u16_e32 vcc, s68, v0
	v_cndmask_b32_e32 v0, v66, v0, vcc
	v_lshrrev_b32_sdwa v0, s69, v0 dst_sel:DWORD dst_unused:UNUSED_PAD src0_sel:DWORD src1_sel:WORD_0
	v_and_b32_e32 v0, s78, v0
	v_lshl_or_b32 v0, v0, 4, v67
	ds_add_u32 v0, v64
	s_or_b64 exec, exec, s[16:17]
	v_cmp_lt_u32_e32 vcc, v32, v13
	s_and_saveexec_b64 s[16:17], vcc
	s_cbranch_execz .LBB1843_515
	s_branch .LBB1843_547
.LBB1843_540:                           ;   in Loop: Header=BB1843_516 Depth=2
	s_or_b64 exec, exec, s[16:17]
	v_cmp_lt_u32_e32 vcc, v24, v13
	s_and_saveexec_b64 s[16:17], vcc
	s_cbranch_execz .LBB1843_534
.LBB1843_541:                           ;   in Loop: Header=BB1843_516 Depth=2
	v_cmp_lt_i16_e32 vcc, -1, v10
	v_cndmask_b32_e32 v0, -1, v66, vcc
	v_xor_b32_e32 v0, v0, v10
	v_cmp_ne_u16_e32 vcc, s68, v0
	v_cndmask_b32_e32 v0, v66, v0, vcc
	v_lshrrev_b32_sdwa v0, s69, v0 dst_sel:DWORD dst_unused:UNUSED_PAD src0_sel:DWORD src1_sel:WORD_0
	v_and_b32_e32 v0, s78, v0
	v_lshl_or_b32 v0, v0, 4, v67
	ds_add_u32 v0, v64
	s_or_b64 exec, exec, s[16:17]
	v_cmp_lt_u32_e32 vcc, v25, v13
	s_and_saveexec_b64 s[16:17], vcc
	s_cbranch_execnz .LBB1843_535
.LBB1843_542:                           ;   in Loop: Header=BB1843_516 Depth=2
	s_or_b64 exec, exec, s[16:17]
	v_cmp_lt_u32_e32 vcc, v26, v13
	s_and_saveexec_b64 s[16:17], vcc
	s_cbranch_execz .LBB1843_536
.LBB1843_543:                           ;   in Loop: Header=BB1843_516 Depth=2
	v_cmp_lt_i16_e32 vcc, -1, v8
	v_cndmask_b32_e32 v0, -1, v66, vcc
	v_xor_b32_e32 v0, v0, v8
	v_cmp_ne_u16_e32 vcc, s68, v0
	v_cndmask_b32_e32 v0, v66, v0, vcc
	v_lshrrev_b32_sdwa v0, s69, v0 dst_sel:DWORD dst_unused:UNUSED_PAD src0_sel:DWORD src1_sel:WORD_0
	v_and_b32_e32 v0, s78, v0
	v_lshl_or_b32 v0, v0, 4, v67
	ds_add_u32 v0, v64
	s_or_b64 exec, exec, s[16:17]
	v_cmp_lt_u32_e32 vcc, v29, v13
	s_and_saveexec_b64 s[16:17], vcc
	s_cbranch_execnz .LBB1843_537
.LBB1843_544:                           ;   in Loop: Header=BB1843_516 Depth=2
	s_or_b64 exec, exec, s[16:17]
	v_cmp_lt_u32_e32 vcc, v30, v13
	s_and_saveexec_b64 s[16:17], vcc
	s_cbranch_execz .LBB1843_538
.LBB1843_545:                           ;   in Loop: Header=BB1843_516 Depth=2
	v_cmp_lt_i16_e32 vcc, -1, v6
	v_cndmask_b32_e32 v0, -1, v66, vcc
	v_xor_b32_e32 v0, v0, v6
	v_cmp_ne_u16_e32 vcc, s68, v0
	v_cndmask_b32_e32 v0, v66, v0, vcc
	v_lshrrev_b32_sdwa v0, s69, v0 dst_sel:DWORD dst_unused:UNUSED_PAD src0_sel:DWORD src1_sel:WORD_0
	v_and_b32_e32 v0, s78, v0
	v_lshl_or_b32 v0, v0, 4, v67
	ds_add_u32 v0, v64
	s_or_b64 exec, exec, s[16:17]
	v_cmp_lt_u32_e32 vcc, v31, v13
	s_and_saveexec_b64 s[16:17], vcc
	s_cbranch_execnz .LBB1843_539
.LBB1843_546:                           ;   in Loop: Header=BB1843_516 Depth=2
	s_or_b64 exec, exec, s[16:17]
	v_cmp_lt_u32_e32 vcc, v32, v13
	s_and_saveexec_b64 s[16:17], vcc
	s_cbranch_execz .LBB1843_515
.LBB1843_547:                           ;   in Loop: Header=BB1843_516 Depth=2
	s_waitcnt vmcnt(0)
	v_cmp_lt_i16_e32 vcc, -1, v12
	v_cndmask_b32_e32 v0, -1, v66, vcc
	v_xor_b32_e32 v0, v0, v12
	v_cmp_ne_u16_e32 vcc, s68, v0
	v_cndmask_b32_e32 v0, v66, v0, vcc
	v_lshrrev_b32_sdwa v0, s69, v0 dst_sel:DWORD dst_unused:UNUSED_PAD src0_sel:DWORD src1_sel:WORD_0
	v_and_b32_e32 v0, s78, v0
	v_lshl_or_b32 v0, v0, 4, v67
	ds_add_u32 v0, v64
	s_branch .LBB1843_515
.LBB1843_548:                           ;   in Loop: Header=BB1843_516 Depth=2
	s_or_b64 exec, exec, s[20:21]
	v_cmp_gt_u32_e32 vcc, s22, v24
	s_and_saveexec_b64 s[20:21], vcc
	s_cbranch_execz .LBB1843_522
.LBB1843_549:                           ;   in Loop: Header=BB1843_516 Depth=2
	global_load_ushort v10, v65, s[18:19] offset:512
	s_or_b64 exec, exec, s[20:21]
	v_cmp_gt_u32_e32 vcc, s22, v25
	s_and_saveexec_b64 s[20:21], vcc
	s_cbranch_execnz .LBB1843_523
.LBB1843_550:                           ;   in Loop: Header=BB1843_516 Depth=2
	s_or_b64 exec, exec, s[20:21]
	v_cmp_gt_u32_e32 vcc, s22, v26
	s_and_saveexec_b64 s[20:21], vcc
	s_cbranch_execz .LBB1843_524
.LBB1843_551:                           ;   in Loop: Header=BB1843_516 Depth=2
	global_load_ushort v8, v65, s[18:19] offset:1536
	s_or_b64 exec, exec, s[20:21]
	v_cmp_gt_u32_e32 vcc, s22, v29
	s_and_saveexec_b64 s[20:21], vcc
	s_cbranch_execnz .LBB1843_525
.LBB1843_552:                           ;   in Loop: Header=BB1843_516 Depth=2
	s_or_b64 exec, exec, s[20:21]
	v_cmp_gt_u32_e32 vcc, s22, v30
	s_and_saveexec_b64 s[20:21], vcc
	s_cbranch_execz .LBB1843_526
.LBB1843_553:                           ;   in Loop: Header=BB1843_516 Depth=2
	global_load_ushort v6, v65, s[18:19] offset:2560
	s_or_b64 exec, exec, s[20:21]
	v_cmp_gt_u32_e32 vcc, s22, v31
	s_and_saveexec_b64 s[20:21], vcc
	s_cbranch_execz .LBB1843_528
	s_branch .LBB1843_527
.LBB1843_554:                           ;   in Loop: Header=BB1843_12 Depth=1
	v_mov_b32_e32 v0, 0
	s_waitcnt lgkmcnt(0)
	s_barrier
	s_and_saveexec_b64 s[16:17], s[4:5]
	s_cbranch_execz .LBB1843_556
; %bb.555:                              ;   in Loop: Header=BB1843_12 Depth=1
	ds_read2_b64 v[6:9], v33 offset1:1
	s_waitcnt lgkmcnt(0)
	v_add_u32_e32 v0, v7, v6
	v_add3_u32 v0, v0, v8, v9
.LBB1843_556:                           ;   in Loop: Header=BB1843_12 Depth=1
	s_or_b64 exec, exec, s[16:17]
	v_and_b32_e32 v1, 15, v68
	v_mov_b32_dpp v5, v0 row_shr:1 row_mask:0xf bank_mask:0xf
	v_cmp_eq_u32_e64 s[16:17], 0, v1
	v_cndmask_b32_e64 v5, v5, 0, s[16:17]
	v_add_u32_e32 v0, v5, v0
	v_cmp_lt_u32_e64 s[18:19], 1, v1
	v_cmp_lt_u32_e64 s[20:21], 3, v1
	v_mov_b32_dpp v5, v0 row_shr:2 row_mask:0xf bank_mask:0xf
	v_cndmask_b32_e64 v5, 0, v5, s[18:19]
	v_add_u32_e32 v0, v0, v5
	v_cmp_lt_u32_e64 s[22:23], 7, v1
	v_cmp_lt_u32_e64 s[26:27], 31, v68
	v_mov_b32_dpp v5, v0 row_shr:4 row_mask:0xf bank_mask:0xf
	v_cndmask_b32_e64 v5, 0, v5, s[20:21]
	v_add_u32_e32 v0, v0, v5
	v_and_b32_e32 v6, 16, v68
	v_cmp_eq_u32_e64 s[24:25], 0, v6
	v_mov_b32_dpp v5, v0 row_shr:8 row_mask:0xf bank_mask:0xf
	v_cndmask_b32_e64 v1, 0, v5, s[22:23]
	v_add_u32_e32 v0, v0, v1
	v_bfe_i32 v5, v68, 4, 1
	s_nop 0
	v_mov_b32_dpp v1, v0 row_bcast:15 row_mask:0xf bank_mask:0xf
	v_and_b32_e32 v1, v5, v1
	v_add_u32_e32 v0, v0, v1
	s_nop 1
	v_mov_b32_dpp v1, v0 row_bcast:31 row_mask:0xf bank_mask:0xf
	v_cndmask_b32_e64 v1, 0, v1, s[26:27]
	v_add_u32_e32 v1, v0, v1
	s_and_saveexec_b64 s[28:29], s[6:7]
	s_cbranch_execz .LBB1843_558
; %bb.557:                              ;   in Loop: Header=BB1843_12 Depth=1
	ds_write_b32 v35, v1
.LBB1843_558:                           ;   in Loop: Header=BB1843_12 Depth=1
	s_or_b64 exec, exec, s[28:29]
	v_and_b32_e32 v0, 3, v68
	s_waitcnt lgkmcnt(0)
	s_barrier
	s_and_saveexec_b64 s[28:29], s[8:9]
	s_cbranch_execz .LBB1843_560
; %bb.559:                              ;   in Loop: Header=BB1843_12 Depth=1
	ds_read_b32 v5, v36
	v_cmp_ne_u32_e32 vcc, 0, v0
	s_waitcnt lgkmcnt(0)
	v_mov_b32_dpp v6, v5 row_shr:1 row_mask:0xf bank_mask:0xf
	v_cndmask_b32_e32 v6, 0, v6, vcc
	v_add_u32_e32 v5, v6, v5
	v_cmp_lt_u32_e32 vcc, 1, v0
	s_nop 0
	v_mov_b32_dpp v6, v5 row_shr:2 row_mask:0xf bank_mask:0xf
	v_cndmask_b32_e32 v6, 0, v6, vcc
	v_add_u32_e32 v5, v5, v6
	ds_write_b32 v36, v5
.LBB1843_560:                           ;   in Loop: Header=BB1843_12 Depth=1
	s_or_b64 exec, exec, s[28:29]
	v_mov_b32_e32 v5, 0
	s_waitcnt lgkmcnt(0)
	s_barrier
	s_and_saveexec_b64 s[28:29], s[10:11]
	s_cbranch_execz .LBB1843_562
; %bb.561:                              ;   in Loop: Header=BB1843_12 Depth=1
	ds_read_b32 v5, v37
.LBB1843_562:                           ;   in Loop: Header=BB1843_12 Depth=1
	s_or_b64 exec, exec, s[28:29]
	v_add_u32_e32 v6, -1, v68
	v_and_b32_e32 v7, 64, v68
	v_cmp_lt_i32_e32 vcc, v6, v7
	v_cndmask_b32_e32 v6, v6, v68, vcc
	s_waitcnt lgkmcnt(0)
	v_add_u32_e32 v1, v5, v1
	v_lshlrev_b32_e32 v69, 2, v6
	ds_bpermute_b32 v1, v69, v1
	v_cmp_eq_u32_e64 s[28:29], 0, v68
	s_waitcnt lgkmcnt(0)
	s_barrier
	s_and_saveexec_b64 s[30:31], s[4:5]
	s_cbranch_execz .LBB1843_564
; %bb.563:                              ;   in Loop: Header=BB1843_12 Depth=1
	v_cndmask_b32_e64 v1, v1, v5, s[28:29]
	v_add_u32_e32 v1, s51, v1
	ds_write_b32 v3, v1
.LBB1843_564:                           ;   in Loop: Header=BB1843_12 Depth=1
	s_or_b64 exec, exec, s[30:31]
	s_load_dwordx2 s[30:31], s[74:75], 0x0
	v_and_b32_e32 v21, 63, v68
	v_lshlrev_b32_e32 v22, 3, v21
	v_add_co_u32_e32 v77, vcc, v60, v22
	s_waitcnt lgkmcnt(0)
	s_cmp_lt_u32 s50, s30
	s_cselect_b32 s34, 12, 18
	s_cmp_lt_u32 s33, s31
	s_cselect_b32 s30, 14, 20
	s_add_u32 s30, s74, s30
	s_addc_u32 s31, s75, 0
	s_add_u32 s34, s74, s34
	global_load_ushort v5, v4, s[30:31]
	s_addc_u32 s35, s75, 0
	global_load_ushort v20, v4, s[34:35]
	v_or_b32_e32 v74, v21, v38
	v_lshlrev_b32_e32 v21, 1, v21
	v_addc_co_u32_e32 v79, vcc, 0, v61, vcc
	v_add_co_u32_e32 v88, vcc, v62, v21
	v_addc_co_u32_e32 v89, vcc, 0, v63, vcc
	v_add_co_u32_e32 v90, vcc, 0x380, v88
	v_cmp_eq_u32_e64 s[30:31], 0, v0
	v_cmp_lt_u32_e64 s[34:35], 1, v0
	s_mov_b32 s79, s71
	v_or_b32_e32 v81, 64, v74
	v_or_b32_e32 v82, 0x80, v74
	;; [unrolled: 1-line block ×7, first 2 shown]
	v_addc_co_u32_e32 v91, vcc, 0, v89, vcc
	s_mov_b32 s72, s51
                                        ; implicit-def: $vgpr0_vgpr1
                                        ; implicit-def: $vgpr6_vgpr7
                                        ; implicit-def: $vgpr8_vgpr9
                                        ; implicit-def: $vgpr10_vgpr11
                                        ; implicit-def: $vgpr12_vgpr13
                                        ; implicit-def: $vgpr14_vgpr15
                                        ; implicit-def: $vgpr16_vgpr17
                                        ; implicit-def: $vgpr18_vgpr19
                                        ; implicit-def: $vgpr70
                                        ; implicit-def: $vgpr71
                                        ; implicit-def: $vgpr72
                                        ; implicit-def: $vgpr73
                                        ; implicit-def: $vgpr75
                                        ; implicit-def: $vgpr76
                                        ; implicit-def: $vgpr78
                                        ; implicit-def: $vgpr80
	s_waitcnt vmcnt(1)
	v_mad_u32_u24 v5, v39, v5, v40
	s_waitcnt vmcnt(0)
	v_mad_u64_u32 v[20:21], s[36:37], v5, v20, v[2:3]
	v_lshrrev_b32_e32 v92, 6, v20
	s_branch .LBB1843_566
.LBB1843_565:                           ;   in Loop: Header=BB1843_566 Depth=2
	s_or_b64 exec, exec, s[36:37]
	s_addk_i32 s79, 0xf800
	s_cmp_lt_u32 s80, s76
	s_mov_b32 s72, s80
	s_cbranch_scc0 .LBB1843_10
.LBB1843_566:                           ;   Parent Loop BB1843_12 Depth=1
                                        ; =>  This Inner Loop Header: Depth=2
	s_add_i32 s80, s72, 0x800
	s_cmp_gt_u32 s80, s76
	s_cbranch_scc1 .LBB1843_569
; %bb.567:                              ;   in Loop: Header=BB1843_566 Depth=2
	s_lshl_b64 s[36:37], s[72:73], 1
	v_mov_b32_e32 v5, s37
	v_add_co_u32_e32 v20, vcc, s36, v88
	v_addc_co_u32_e32 v21, vcc, v89, v5, vcc
	global_load_ushort v5, v[20:21], off
	global_load_ushort v97, v[20:21], off offset:128
	global_load_ushort v101, v[20:21], off offset:256
	;; [unrolled: 1-line block ×6, first 2 shown]
	s_mov_b64 s[36:37], -1
	s_movk_i32 s40, 0x800
	s_cbranch_execz .LBB1843_570
; %bb.568:                              ;   in Loop: Header=BB1843_566 Depth=2
                                        ; implicit-def: $sgpr38
	v_mov_b32_e32 v23, s38
	v_mov_b32_e32 v93, s79
	s_and_saveexec_b64 s[38:39], s[36:37]
	s_cbranch_execnz .LBB1843_585
	s_branch .LBB1843_586
.LBB1843_569:                           ;   in Loop: Header=BB1843_566 Depth=2
	s_mov_b64 s[36:37], 0
                                        ; implicit-def: $sgpr40
                                        ; implicit-def: $vgpr5
                                        ; implicit-def: $vgpr97
                                        ; implicit-def: $vgpr101
                                        ; implicit-def: $vgpr106
                                        ; implicit-def: $vgpr109
                                        ; implicit-def: $vgpr104
                                        ; implicit-def: $vgpr22
.LBB1843_570:                           ;   in Loop: Header=BB1843_566 Depth=2
	s_lshl_b64 s[36:37], s[72:73], 1
	s_waitcnt vmcnt(6)
	v_mov_b32_e32 v5, s37
	v_add_co_u32_e32 v20, vcc, s36, v88
	v_addc_co_u32_e32 v21, vcc, v89, v5, vcc
	v_cmp_gt_u32_e32 vcc, s79, v74
	s_waitcnt vmcnt(5)
	v_mov_b32_e32 v97, 0x7fff
	v_mov_b32_e32 v5, 0x7fff
	s_and_saveexec_b64 s[36:37], vcc
	s_cbranch_execz .LBB1843_572
; %bb.571:                              ;   in Loop: Header=BB1843_566 Depth=2
	global_load_ushort v5, v[20:21], off
.LBB1843_572:                           ;   in Loop: Header=BB1843_566 Depth=2
	s_or_b64 exec, exec, s[36:37]
	v_cmp_gt_u32_e32 vcc, s79, v81
	s_and_saveexec_b64 s[36:37], vcc
	s_cbranch_execz .LBB1843_574
; %bb.573:                              ;   in Loop: Header=BB1843_566 Depth=2
	global_load_ushort v97, v[20:21], off offset:128
.LBB1843_574:                           ;   in Loop: Header=BB1843_566 Depth=2
	s_or_b64 exec, exec, s[36:37]
	v_cmp_gt_u32_e32 vcc, s79, v82
	s_waitcnt vmcnt(3)
	v_mov_b32_e32 v106, 0x7fff
	v_mov_b32_e32 v101, 0x7fff
	s_and_saveexec_b64 s[36:37], vcc
	s_cbranch_execz .LBB1843_576
; %bb.575:                              ;   in Loop: Header=BB1843_566 Depth=2
	global_load_ushort v101, v[20:21], off offset:256
.LBB1843_576:                           ;   in Loop: Header=BB1843_566 Depth=2
	s_or_b64 exec, exec, s[36:37]
	v_cmp_gt_u32_e32 vcc, s79, v83
	s_and_saveexec_b64 s[36:37], vcc
	s_cbranch_execz .LBB1843_578
; %bb.577:                              ;   in Loop: Header=BB1843_566 Depth=2
	global_load_ushort v106, v[20:21], off offset:384
.LBB1843_578:                           ;   in Loop: Header=BB1843_566 Depth=2
	s_or_b64 exec, exec, s[36:37]
	v_cmp_gt_u32_e32 vcc, s79, v84
	s_waitcnt vmcnt(1)
	v_mov_b32_e32 v104, 0x7fff
	v_mov_b32_e32 v109, 0x7fff
	s_and_saveexec_b64 s[36:37], vcc
	s_cbranch_execz .LBB1843_580
; %bb.579:                              ;   in Loop: Header=BB1843_566 Depth=2
	global_load_ushort v109, v[20:21], off offset:512
.LBB1843_580:                           ;   in Loop: Header=BB1843_566 Depth=2
	s_or_b64 exec, exec, s[36:37]
	v_cmp_gt_u32_e32 vcc, s79, v85
	s_and_saveexec_b64 s[36:37], vcc
	s_cbranch_execz .LBB1843_582
; %bb.581:                              ;   in Loop: Header=BB1843_566 Depth=2
	global_load_ushort v104, v[20:21], off offset:640
.LBB1843_582:                           ;   in Loop: Header=BB1843_566 Depth=2
	s_or_b64 exec, exec, s[36:37]
	v_cmp_gt_u32_e32 vcc, s79, v86
	s_waitcnt vmcnt(0)
	v_mov_b32_e32 v22, 0x7fff
	s_and_saveexec_b64 s[36:37], vcc
	s_cbranch_execz .LBB1843_584
; %bb.583:                              ;   in Loop: Header=BB1843_566 Depth=2
	global_load_ushort v22, v[20:21], off offset:768
.LBB1843_584:                           ;   in Loop: Header=BB1843_566 Depth=2
	s_or_b64 exec, exec, s[36:37]
	s_sub_i32 s40, s76, s72
	v_cmp_gt_u32_e64 s[36:37], s79, v87
	s_movk_i32 s38, 0x7fff
	v_mov_b32_e32 v23, s38
	v_mov_b32_e32 v93, s79
	s_and_saveexec_b64 s[38:39], s[36:37]
	s_cbranch_execz .LBB1843_586
.LBB1843_585:                           ;   in Loop: Header=BB1843_566 Depth=2
	s_lshl_b64 s[36:37], s[72:73], 1
	v_mov_b32_e32 v21, s37
	v_add_co_u32_e32 v20, vcc, s36, v90
	v_addc_co_u32_e32 v21, vcc, v91, v21, vcc
	global_load_ushort v23, v[20:21], off
	v_mov_b32_e32 v93, s40
.LBB1843_586:                           ;   in Loop: Header=BB1843_566 Depth=2
	s_or_b64 exec, exec, s[38:39]
	s_waitcnt vmcnt(6)
	v_cmp_lt_i16_e32 vcc, -1, v5
	v_cndmask_b32_e32 v20, -1, v66, vcc
	v_xor_b32_e32 v94, v20, v5
	v_add_u32_e32 v5, 0x410, v41
	v_cmp_ne_u16_e32 vcc, s68, v94
	ds_write2_b32 v5, v4, v4 offset1:1
	ds_write2_b32 v43, v4, v4 offset0:2 offset1:3
	ds_write_b32 v43, v4 offset:16
	v_cndmask_b32_e32 v5, v66, v94, vcc
	v_lshrrev_b32_sdwa v5, s69, v5 dst_sel:DWORD dst_unused:UNUSED_PAD src0_sel:DWORD src1_sel:WORD_0
	v_and_b32_e32 v20, s78, v5
	v_mad_u32_u24 v5, v20, 5, v92
	v_lshl_add_u32 v95, v5, 2, v42
	v_and_b32_e32 v5, 1, v20
	v_add_co_u32_e32 v21, vcc, -1, v5
	v_addc_co_u32_e64 v96, s[36:37], 0, -1, vcc
	v_cmp_ne_u32_e32 vcc, 0, v5
	v_xor_b32_e32 v5, vcc_hi, v96
	v_and_b32_e32 v96, exec_hi, v5
	v_lshlrev_b32_e32 v5, 30, v20
	v_xor_b32_e32 v21, vcc_lo, v21
	v_cmp_gt_i64_e32 vcc, 0, v[4:5]
	v_not_b32_e32 v5, v5
	v_ashrrev_i32_e32 v5, 31, v5
	v_and_b32_e32 v21, exec_lo, v21
	v_xor_b32_e32 v98, vcc_hi, v5
	v_xor_b32_e32 v5, vcc_lo, v5
	v_and_b32_e32 v21, v21, v5
	v_lshlrev_b32_e32 v5, 29, v20
	v_cmp_gt_i64_e32 vcc, 0, v[4:5]
	v_not_b32_e32 v5, v5
	v_ashrrev_i32_e32 v5, 31, v5
	v_and_b32_e32 v96, v96, v98
	v_xor_b32_e32 v98, vcc_hi, v5
	v_xor_b32_e32 v5, vcc_lo, v5
	v_and_b32_e32 v21, v21, v5
	v_lshlrev_b32_e32 v5, 28, v20
	v_cmp_gt_i64_e32 vcc, 0, v[4:5]
	v_not_b32_e32 v5, v5
	v_ashrrev_i32_e32 v5, 31, v5
	v_and_b32_e32 v96, v96, v98
	;; [unrolled: 8-line block ×5, first 2 shown]
	v_xor_b32_e32 v98, vcc_hi, v5
	v_xor_b32_e32 v5, vcc_lo, v5
	v_and_b32_e32 v96, v96, v98
	v_and_b32_e32 v98, v21, v5
	v_lshlrev_b32_e32 v5, 24, v20
	v_cmp_gt_i64_e32 vcc, 0, v[4:5]
	v_not_b32_e32 v5, v5
	v_ashrrev_i32_e32 v5, 31, v5
	v_xor_b32_e32 v20, vcc_hi, v5
	v_xor_b32_e32 v5, vcc_lo, v5
	v_and_b32_e32 v21, v96, v20
	v_and_b32_e32 v20, v98, v5
	v_mbcnt_lo_u32_b32 v5, v20, 0
	v_mbcnt_hi_u32_b32 v96, v21, v5
	v_cmp_eq_u32_e32 vcc, 0, v96
	v_cmp_ne_u64_e64 s[36:37], 0, v[20:21]
	s_and_b64 s[38:39], s[36:37], vcc
	s_waitcnt lgkmcnt(0)
	s_barrier
	s_waitcnt lgkmcnt(0)
	; wave barrier
	s_and_saveexec_b64 s[36:37], s[38:39]
	s_cbranch_execz .LBB1843_588
; %bb.587:                              ;   in Loop: Header=BB1843_566 Depth=2
	v_bcnt_u32_b32 v5, v20, 0
	v_bcnt_u32_b32 v5, v21, v5
	ds_write_b32 v95, v5
.LBB1843_588:                           ;   in Loop: Header=BB1843_566 Depth=2
	s_or_b64 exec, exec, s[36:37]
	s_waitcnt vmcnt(5)
	v_cmp_lt_i16_e32 vcc, -1, v97
	v_cndmask_b32_e32 v5, -1, v66, vcc
	v_xor_b32_e32 v97, v5, v97
	v_cmp_ne_u16_e32 vcc, s68, v97
	v_cndmask_b32_e32 v5, v66, v97, vcc
	v_lshrrev_b32_sdwa v5, s69, v5 dst_sel:DWORD dst_unused:UNUSED_PAD src0_sel:DWORD src1_sel:WORD_0
	v_and_b32_e32 v20, s78, v5
	v_mul_u32_u24_e32 v5, 5, v20
	v_add_lshl_u32 v5, v5, v92, 2
	; wave barrier
	v_add_u32_e32 v99, 0x410, v5
	ds_read_b32 v98, v5 offset:1040
	v_and_b32_e32 v5, 1, v20
	v_add_co_u32_e32 v21, vcc, -1, v5
	v_addc_co_u32_e64 v100, s[36:37], 0, -1, vcc
	v_cmp_ne_u32_e32 vcc, 0, v5
	v_xor_b32_e32 v5, vcc_hi, v100
	v_and_b32_e32 v100, exec_hi, v5
	v_lshlrev_b32_e32 v5, 30, v20
	v_xor_b32_e32 v21, vcc_lo, v21
	v_cmp_gt_i64_e32 vcc, 0, v[4:5]
	v_not_b32_e32 v5, v5
	v_ashrrev_i32_e32 v5, 31, v5
	v_and_b32_e32 v21, exec_lo, v21
	v_xor_b32_e32 v102, vcc_hi, v5
	v_xor_b32_e32 v5, vcc_lo, v5
	v_and_b32_e32 v21, v21, v5
	v_lshlrev_b32_e32 v5, 29, v20
	v_cmp_gt_i64_e32 vcc, 0, v[4:5]
	v_not_b32_e32 v5, v5
	v_ashrrev_i32_e32 v5, 31, v5
	v_and_b32_e32 v100, v100, v102
	v_xor_b32_e32 v102, vcc_hi, v5
	v_xor_b32_e32 v5, vcc_lo, v5
	v_and_b32_e32 v21, v21, v5
	v_lshlrev_b32_e32 v5, 28, v20
	v_cmp_gt_i64_e32 vcc, 0, v[4:5]
	v_not_b32_e32 v5, v5
	v_ashrrev_i32_e32 v5, 31, v5
	v_and_b32_e32 v100, v100, v102
	v_xor_b32_e32 v102, vcc_hi, v5
	v_xor_b32_e32 v5, vcc_lo, v5
	v_and_b32_e32 v21, v21, v5
	v_lshlrev_b32_e32 v5, 27, v20
	v_cmp_gt_i64_e32 vcc, 0, v[4:5]
	v_not_b32_e32 v5, v5
	v_ashrrev_i32_e32 v5, 31, v5
	v_and_b32_e32 v100, v100, v102
	v_xor_b32_e32 v102, vcc_hi, v5
	v_xor_b32_e32 v5, vcc_lo, v5
	v_and_b32_e32 v21, v21, v5
	v_lshlrev_b32_e32 v5, 26, v20
	v_cmp_gt_i64_e32 vcc, 0, v[4:5]
	v_not_b32_e32 v5, v5
	v_ashrrev_i32_e32 v5, 31, v5
	v_and_b32_e32 v100, v100, v102
	v_xor_b32_e32 v102, vcc_hi, v5
	v_xor_b32_e32 v5, vcc_lo, v5
	v_and_b32_e32 v21, v21, v5
	v_lshlrev_b32_e32 v5, 25, v20
	v_cmp_gt_i64_e32 vcc, 0, v[4:5]
	v_not_b32_e32 v5, v5
	v_ashrrev_i32_e32 v5, 31, v5
	v_and_b32_e32 v100, v100, v102
	v_xor_b32_e32 v102, vcc_hi, v5
	v_xor_b32_e32 v5, vcc_lo, v5
	v_and_b32_e32 v100, v100, v102
	v_and_b32_e32 v102, v21, v5
	v_lshlrev_b32_e32 v5, 24, v20
	v_cmp_gt_i64_e32 vcc, 0, v[4:5]
	v_not_b32_e32 v5, v5
	v_ashrrev_i32_e32 v5, 31, v5
	v_xor_b32_e32 v20, vcc_hi, v5
	v_xor_b32_e32 v5, vcc_lo, v5
	v_and_b32_e32 v21, v100, v20
	v_and_b32_e32 v20, v102, v5
	v_mbcnt_lo_u32_b32 v5, v20, 0
	v_mbcnt_hi_u32_b32 v100, v21, v5
	v_cmp_eq_u32_e32 vcc, 0, v100
	v_cmp_ne_u64_e64 s[36:37], 0, v[20:21]
	s_and_b64 s[38:39], s[36:37], vcc
	; wave barrier
	s_and_saveexec_b64 s[36:37], s[38:39]
	s_cbranch_execz .LBB1843_590
; %bb.589:                              ;   in Loop: Header=BB1843_566 Depth=2
	v_bcnt_u32_b32 v5, v20, 0
	v_bcnt_u32_b32 v5, v21, v5
	s_waitcnt lgkmcnt(0)
	v_add_u32_e32 v5, v98, v5
	ds_write_b32 v99, v5
.LBB1843_590:                           ;   in Loop: Header=BB1843_566 Depth=2
	s_or_b64 exec, exec, s[36:37]
	s_waitcnt vmcnt(4)
	v_cmp_lt_i16_e32 vcc, -1, v101
	v_cndmask_b32_e32 v5, -1, v66, vcc
	v_xor_b32_e32 v101, v5, v101
	v_cmp_ne_u16_e32 vcc, s68, v101
	v_cndmask_b32_e32 v5, v66, v101, vcc
	v_lshrrev_b32_sdwa v5, s69, v5 dst_sel:DWORD dst_unused:UNUSED_PAD src0_sel:DWORD src1_sel:WORD_0
	v_and_b32_e32 v20, s78, v5
	v_mul_u32_u24_e32 v5, 5, v20
	v_add_lshl_u32 v5, v5, v92, 2
	; wave barrier
	v_add_u32_e32 v103, 0x410, v5
	ds_read_b32 v102, v5 offset:1040
	v_and_b32_e32 v5, 1, v20
	v_add_co_u32_e32 v21, vcc, -1, v5
	v_addc_co_u32_e64 v105, s[36:37], 0, -1, vcc
	v_cmp_ne_u32_e32 vcc, 0, v5
	v_xor_b32_e32 v5, vcc_hi, v105
	v_and_b32_e32 v105, exec_hi, v5
	v_lshlrev_b32_e32 v5, 30, v20
	v_xor_b32_e32 v21, vcc_lo, v21
	v_cmp_gt_i64_e32 vcc, 0, v[4:5]
	v_not_b32_e32 v5, v5
	v_ashrrev_i32_e32 v5, 31, v5
	v_and_b32_e32 v21, exec_lo, v21
	v_xor_b32_e32 v107, vcc_hi, v5
	v_xor_b32_e32 v5, vcc_lo, v5
	v_and_b32_e32 v21, v21, v5
	v_lshlrev_b32_e32 v5, 29, v20
	v_cmp_gt_i64_e32 vcc, 0, v[4:5]
	v_not_b32_e32 v5, v5
	v_ashrrev_i32_e32 v5, 31, v5
	v_and_b32_e32 v105, v105, v107
	v_xor_b32_e32 v107, vcc_hi, v5
	v_xor_b32_e32 v5, vcc_lo, v5
	v_and_b32_e32 v21, v21, v5
	v_lshlrev_b32_e32 v5, 28, v20
	v_cmp_gt_i64_e32 vcc, 0, v[4:5]
	v_not_b32_e32 v5, v5
	v_ashrrev_i32_e32 v5, 31, v5
	v_and_b32_e32 v105, v105, v107
	;; [unrolled: 8-line block ×5, first 2 shown]
	v_xor_b32_e32 v107, vcc_hi, v5
	v_xor_b32_e32 v5, vcc_lo, v5
	v_and_b32_e32 v105, v105, v107
	v_and_b32_e32 v107, v21, v5
	v_lshlrev_b32_e32 v5, 24, v20
	v_cmp_gt_i64_e32 vcc, 0, v[4:5]
	v_not_b32_e32 v5, v5
	v_ashrrev_i32_e32 v5, 31, v5
	v_xor_b32_e32 v20, vcc_hi, v5
	v_xor_b32_e32 v5, vcc_lo, v5
	v_and_b32_e32 v21, v105, v20
	v_and_b32_e32 v20, v107, v5
	v_mbcnt_lo_u32_b32 v5, v20, 0
	v_mbcnt_hi_u32_b32 v105, v21, v5
	v_cmp_eq_u32_e32 vcc, 0, v105
	v_cmp_ne_u64_e64 s[36:37], 0, v[20:21]
	s_and_b64 s[38:39], s[36:37], vcc
	; wave barrier
	s_and_saveexec_b64 s[36:37], s[38:39]
	s_cbranch_execz .LBB1843_592
; %bb.591:                              ;   in Loop: Header=BB1843_566 Depth=2
	v_bcnt_u32_b32 v5, v20, 0
	v_bcnt_u32_b32 v5, v21, v5
	s_waitcnt lgkmcnt(0)
	v_add_u32_e32 v5, v102, v5
	ds_write_b32 v103, v5
.LBB1843_592:                           ;   in Loop: Header=BB1843_566 Depth=2
	s_or_b64 exec, exec, s[36:37]
	s_waitcnt vmcnt(3)
	v_cmp_lt_i16_e32 vcc, -1, v106
	v_cndmask_b32_e32 v5, -1, v66, vcc
	v_xor_b32_e32 v106, v5, v106
	v_cmp_ne_u16_e32 vcc, s68, v106
	v_cndmask_b32_e32 v5, v66, v106, vcc
	v_lshrrev_b32_sdwa v5, s69, v5 dst_sel:DWORD dst_unused:UNUSED_PAD src0_sel:DWORD src1_sel:WORD_0
	v_and_b32_e32 v20, s78, v5
	v_mul_u32_u24_e32 v5, 5, v20
	v_add_lshl_u32 v5, v5, v92, 2
	; wave barrier
	v_add_u32_e32 v108, 0x410, v5
	ds_read_b32 v107, v5 offset:1040
	v_and_b32_e32 v5, 1, v20
	v_add_co_u32_e32 v21, vcc, -1, v5
	v_addc_co_u32_e64 v110, s[36:37], 0, -1, vcc
	v_cmp_ne_u32_e32 vcc, 0, v5
	v_xor_b32_e32 v5, vcc_hi, v110
	v_and_b32_e32 v110, exec_hi, v5
	v_lshlrev_b32_e32 v5, 30, v20
	v_xor_b32_e32 v21, vcc_lo, v21
	v_cmp_gt_i64_e32 vcc, 0, v[4:5]
	v_not_b32_e32 v5, v5
	v_ashrrev_i32_e32 v5, 31, v5
	v_and_b32_e32 v21, exec_lo, v21
	v_xor_b32_e32 v111, vcc_hi, v5
	v_xor_b32_e32 v5, vcc_lo, v5
	v_and_b32_e32 v21, v21, v5
	v_lshlrev_b32_e32 v5, 29, v20
	v_cmp_gt_i64_e32 vcc, 0, v[4:5]
	v_not_b32_e32 v5, v5
	v_ashrrev_i32_e32 v5, 31, v5
	v_and_b32_e32 v110, v110, v111
	v_xor_b32_e32 v111, vcc_hi, v5
	v_xor_b32_e32 v5, vcc_lo, v5
	v_and_b32_e32 v21, v21, v5
	v_lshlrev_b32_e32 v5, 28, v20
	v_cmp_gt_i64_e32 vcc, 0, v[4:5]
	v_not_b32_e32 v5, v5
	v_ashrrev_i32_e32 v5, 31, v5
	v_and_b32_e32 v110, v110, v111
	;; [unrolled: 8-line block ×5, first 2 shown]
	v_xor_b32_e32 v111, vcc_hi, v5
	v_xor_b32_e32 v5, vcc_lo, v5
	v_and_b32_e32 v110, v110, v111
	v_and_b32_e32 v111, v21, v5
	v_lshlrev_b32_e32 v5, 24, v20
	v_cmp_gt_i64_e32 vcc, 0, v[4:5]
	v_not_b32_e32 v5, v5
	v_ashrrev_i32_e32 v5, 31, v5
	v_xor_b32_e32 v20, vcc_hi, v5
	v_xor_b32_e32 v5, vcc_lo, v5
	v_and_b32_e32 v21, v110, v20
	v_and_b32_e32 v20, v111, v5
	v_mbcnt_lo_u32_b32 v5, v20, 0
	v_mbcnt_hi_u32_b32 v110, v21, v5
	v_cmp_eq_u32_e32 vcc, 0, v110
	v_cmp_ne_u64_e64 s[36:37], 0, v[20:21]
	s_and_b64 s[38:39], s[36:37], vcc
	; wave barrier
	s_and_saveexec_b64 s[36:37], s[38:39]
	s_cbranch_execz .LBB1843_594
; %bb.593:                              ;   in Loop: Header=BB1843_566 Depth=2
	v_bcnt_u32_b32 v5, v20, 0
	v_bcnt_u32_b32 v5, v21, v5
	s_waitcnt lgkmcnt(0)
	v_add_u32_e32 v5, v107, v5
	ds_write_b32 v108, v5
.LBB1843_594:                           ;   in Loop: Header=BB1843_566 Depth=2
	s_or_b64 exec, exec, s[36:37]
	s_waitcnt vmcnt(2)
	v_cmp_lt_i16_e32 vcc, -1, v109
	v_cndmask_b32_e32 v5, -1, v66, vcc
	v_xor_b32_e32 v109, v5, v109
	v_cmp_ne_u16_e32 vcc, s68, v109
	v_cndmask_b32_e32 v5, v66, v109, vcc
	v_lshrrev_b32_sdwa v5, s69, v5 dst_sel:DWORD dst_unused:UNUSED_PAD src0_sel:DWORD src1_sel:WORD_0
	v_and_b32_e32 v20, s78, v5
	v_mul_u32_u24_e32 v5, 5, v20
	v_add_lshl_u32 v5, v5, v92, 2
	; wave barrier
	v_add_u32_e32 v112, 0x410, v5
	ds_read_b32 v111, v5 offset:1040
	v_and_b32_e32 v5, 1, v20
	v_add_co_u32_e32 v21, vcc, -1, v5
	v_addc_co_u32_e64 v113, s[36:37], 0, -1, vcc
	v_cmp_ne_u32_e32 vcc, 0, v5
	v_xor_b32_e32 v5, vcc_hi, v113
	v_and_b32_e32 v113, exec_hi, v5
	v_lshlrev_b32_e32 v5, 30, v20
	v_xor_b32_e32 v21, vcc_lo, v21
	v_cmp_gt_i64_e32 vcc, 0, v[4:5]
	v_not_b32_e32 v5, v5
	v_ashrrev_i32_e32 v5, 31, v5
	v_and_b32_e32 v21, exec_lo, v21
	v_xor_b32_e32 v114, vcc_hi, v5
	v_xor_b32_e32 v5, vcc_lo, v5
	v_and_b32_e32 v21, v21, v5
	v_lshlrev_b32_e32 v5, 29, v20
	v_cmp_gt_i64_e32 vcc, 0, v[4:5]
	v_not_b32_e32 v5, v5
	v_ashrrev_i32_e32 v5, 31, v5
	v_and_b32_e32 v113, v113, v114
	v_xor_b32_e32 v114, vcc_hi, v5
	v_xor_b32_e32 v5, vcc_lo, v5
	v_and_b32_e32 v21, v21, v5
	v_lshlrev_b32_e32 v5, 28, v20
	v_cmp_gt_i64_e32 vcc, 0, v[4:5]
	v_not_b32_e32 v5, v5
	v_ashrrev_i32_e32 v5, 31, v5
	v_and_b32_e32 v113, v113, v114
	;; [unrolled: 8-line block ×5, first 2 shown]
	v_xor_b32_e32 v114, vcc_hi, v5
	v_xor_b32_e32 v5, vcc_lo, v5
	v_and_b32_e32 v113, v113, v114
	v_and_b32_e32 v114, v21, v5
	v_lshlrev_b32_e32 v5, 24, v20
	v_cmp_gt_i64_e32 vcc, 0, v[4:5]
	v_not_b32_e32 v5, v5
	v_ashrrev_i32_e32 v5, 31, v5
	v_xor_b32_e32 v20, vcc_hi, v5
	v_xor_b32_e32 v5, vcc_lo, v5
	v_and_b32_e32 v21, v113, v20
	v_and_b32_e32 v20, v114, v5
	v_mbcnt_lo_u32_b32 v5, v20, 0
	v_mbcnt_hi_u32_b32 v113, v21, v5
	v_cmp_eq_u32_e32 vcc, 0, v113
	v_cmp_ne_u64_e64 s[36:37], 0, v[20:21]
	s_and_b64 s[38:39], s[36:37], vcc
	; wave barrier
	s_and_saveexec_b64 s[36:37], s[38:39]
	s_cbranch_execz .LBB1843_596
; %bb.595:                              ;   in Loop: Header=BB1843_566 Depth=2
	v_bcnt_u32_b32 v5, v20, 0
	v_bcnt_u32_b32 v5, v21, v5
	s_waitcnt lgkmcnt(0)
	v_add_u32_e32 v5, v111, v5
	ds_write_b32 v112, v5
.LBB1843_596:                           ;   in Loop: Header=BB1843_566 Depth=2
	s_or_b64 exec, exec, s[36:37]
	s_waitcnt vmcnt(1)
	v_cmp_lt_i16_e32 vcc, -1, v104
	v_cndmask_b32_e32 v5, -1, v66, vcc
	v_xor_b32_e32 v104, v5, v104
	v_cmp_ne_u16_e32 vcc, s68, v104
	v_cndmask_b32_e32 v5, v66, v104, vcc
	v_lshrrev_b32_sdwa v5, s69, v5 dst_sel:DWORD dst_unused:UNUSED_PAD src0_sel:DWORD src1_sel:WORD_0
	v_and_b32_e32 v20, s78, v5
	v_mul_u32_u24_e32 v5, 5, v20
	v_add_lshl_u32 v5, v5, v92, 2
	; wave barrier
	v_add_u32_e32 v115, 0x410, v5
	ds_read_b32 v114, v5 offset:1040
	v_and_b32_e32 v5, 1, v20
	v_add_co_u32_e32 v21, vcc, -1, v5
	v_addc_co_u32_e64 v116, s[36:37], 0, -1, vcc
	v_cmp_ne_u32_e32 vcc, 0, v5
	v_xor_b32_e32 v5, vcc_hi, v116
	v_and_b32_e32 v116, exec_hi, v5
	v_lshlrev_b32_e32 v5, 30, v20
	v_xor_b32_e32 v21, vcc_lo, v21
	v_cmp_gt_i64_e32 vcc, 0, v[4:5]
	v_not_b32_e32 v5, v5
	v_ashrrev_i32_e32 v5, 31, v5
	v_and_b32_e32 v21, exec_lo, v21
	v_xor_b32_e32 v117, vcc_hi, v5
	v_xor_b32_e32 v5, vcc_lo, v5
	v_and_b32_e32 v21, v21, v5
	v_lshlrev_b32_e32 v5, 29, v20
	v_cmp_gt_i64_e32 vcc, 0, v[4:5]
	v_not_b32_e32 v5, v5
	v_ashrrev_i32_e32 v5, 31, v5
	v_and_b32_e32 v116, v116, v117
	v_xor_b32_e32 v117, vcc_hi, v5
	v_xor_b32_e32 v5, vcc_lo, v5
	v_and_b32_e32 v21, v21, v5
	v_lshlrev_b32_e32 v5, 28, v20
	v_cmp_gt_i64_e32 vcc, 0, v[4:5]
	v_not_b32_e32 v5, v5
	v_ashrrev_i32_e32 v5, 31, v5
	v_and_b32_e32 v116, v116, v117
	;; [unrolled: 8-line block ×5, first 2 shown]
	v_xor_b32_e32 v117, vcc_hi, v5
	v_xor_b32_e32 v5, vcc_lo, v5
	v_and_b32_e32 v116, v116, v117
	v_and_b32_e32 v117, v21, v5
	v_lshlrev_b32_e32 v5, 24, v20
	v_cmp_gt_i64_e32 vcc, 0, v[4:5]
	v_not_b32_e32 v5, v5
	v_ashrrev_i32_e32 v5, 31, v5
	v_xor_b32_e32 v20, vcc_hi, v5
	v_xor_b32_e32 v5, vcc_lo, v5
	v_and_b32_e32 v21, v116, v20
	v_and_b32_e32 v20, v117, v5
	v_mbcnt_lo_u32_b32 v5, v20, 0
	v_mbcnt_hi_u32_b32 v116, v21, v5
	v_cmp_eq_u32_e32 vcc, 0, v116
	v_cmp_ne_u64_e64 s[36:37], 0, v[20:21]
	s_and_b64 s[38:39], s[36:37], vcc
	; wave barrier
	s_and_saveexec_b64 s[36:37], s[38:39]
	s_cbranch_execz .LBB1843_598
; %bb.597:                              ;   in Loop: Header=BB1843_566 Depth=2
	v_bcnt_u32_b32 v5, v20, 0
	v_bcnt_u32_b32 v5, v21, v5
	s_waitcnt lgkmcnt(0)
	v_add_u32_e32 v5, v114, v5
	ds_write_b32 v115, v5
.LBB1843_598:                           ;   in Loop: Header=BB1843_566 Depth=2
	s_or_b64 exec, exec, s[36:37]
	s_waitcnt vmcnt(0)
	v_cmp_lt_i16_e32 vcc, -1, v22
	v_cndmask_b32_e32 v5, -1, v66, vcc
	v_xor_b32_e32 v117, v5, v22
	v_cmp_ne_u16_e32 vcc, s68, v117
	v_cndmask_b32_e32 v5, v66, v117, vcc
	v_lshrrev_b32_sdwa v5, s69, v5 dst_sel:DWORD dst_unused:UNUSED_PAD src0_sel:DWORD src1_sel:WORD_0
	v_and_b32_e32 v20, s78, v5
	v_mul_u32_u24_e32 v5, 5, v20
	v_add_lshl_u32 v5, v5, v92, 2
	; wave barrier
	v_add_u32_e32 v119, 0x410, v5
	ds_read_b32 v118, v5 offset:1040
	v_and_b32_e32 v5, 1, v20
	v_add_co_u32_e32 v21, vcc, -1, v5
	v_addc_co_u32_e64 v22, s[36:37], 0, -1, vcc
	v_cmp_ne_u32_e32 vcc, 0, v5
	v_xor_b32_e32 v5, vcc_hi, v22
	v_and_b32_e32 v22, exec_hi, v5
	v_lshlrev_b32_e32 v5, 30, v20
	v_xor_b32_e32 v21, vcc_lo, v21
	v_cmp_gt_i64_e32 vcc, 0, v[4:5]
	v_not_b32_e32 v5, v5
	v_ashrrev_i32_e32 v5, 31, v5
	v_and_b32_e32 v21, exec_lo, v21
	v_xor_b32_e32 v120, vcc_hi, v5
	v_xor_b32_e32 v5, vcc_lo, v5
	v_and_b32_e32 v21, v21, v5
	v_lshlrev_b32_e32 v5, 29, v20
	v_cmp_gt_i64_e32 vcc, 0, v[4:5]
	v_not_b32_e32 v5, v5
	v_ashrrev_i32_e32 v5, 31, v5
	v_and_b32_e32 v22, v22, v120
	v_xor_b32_e32 v120, vcc_hi, v5
	v_xor_b32_e32 v5, vcc_lo, v5
	v_and_b32_e32 v21, v21, v5
	v_lshlrev_b32_e32 v5, 28, v20
	v_cmp_gt_i64_e32 vcc, 0, v[4:5]
	v_not_b32_e32 v5, v5
	v_ashrrev_i32_e32 v5, 31, v5
	v_and_b32_e32 v22, v22, v120
	v_xor_b32_e32 v120, vcc_hi, v5
	v_xor_b32_e32 v5, vcc_lo, v5
	v_and_b32_e32 v21, v21, v5
	v_lshlrev_b32_e32 v5, 27, v20
	v_cmp_gt_i64_e32 vcc, 0, v[4:5]
	v_not_b32_e32 v5, v5
	v_ashrrev_i32_e32 v5, 31, v5
	v_and_b32_e32 v22, v22, v120
	v_xor_b32_e32 v120, vcc_hi, v5
	v_xor_b32_e32 v5, vcc_lo, v5
	v_and_b32_e32 v21, v21, v5
	v_lshlrev_b32_e32 v5, 26, v20
	v_cmp_gt_i64_e32 vcc, 0, v[4:5]
	v_not_b32_e32 v5, v5
	v_ashrrev_i32_e32 v5, 31, v5
	v_and_b32_e32 v22, v22, v120
	v_xor_b32_e32 v120, vcc_hi, v5
	v_xor_b32_e32 v5, vcc_lo, v5
	v_and_b32_e32 v21, v21, v5
	v_lshlrev_b32_e32 v5, 25, v20
	v_cmp_gt_i64_e32 vcc, 0, v[4:5]
	v_not_b32_e32 v5, v5
	v_ashrrev_i32_e32 v5, 31, v5
	v_and_b32_e32 v22, v22, v120
	v_xor_b32_e32 v120, vcc_hi, v5
	v_xor_b32_e32 v5, vcc_lo, v5
	v_and_b32_e32 v22, v22, v120
	v_and_b32_e32 v120, v21, v5
	v_lshlrev_b32_e32 v5, 24, v20
	v_cmp_gt_i64_e32 vcc, 0, v[4:5]
	v_not_b32_e32 v5, v5
	v_ashrrev_i32_e32 v5, 31, v5
	v_xor_b32_e32 v20, vcc_hi, v5
	v_xor_b32_e32 v5, vcc_lo, v5
	v_and_b32_e32 v21, v22, v20
	v_and_b32_e32 v20, v120, v5
	v_mbcnt_lo_u32_b32 v5, v20, 0
	v_mbcnt_hi_u32_b32 v120, v21, v5
	v_cmp_eq_u32_e32 vcc, 0, v120
	v_cmp_ne_u64_e64 s[36:37], 0, v[20:21]
	s_and_b64 s[38:39], s[36:37], vcc
	; wave barrier
	s_and_saveexec_b64 s[36:37], s[38:39]
	s_cbranch_execz .LBB1843_600
; %bb.599:                              ;   in Loop: Header=BB1843_566 Depth=2
	v_bcnt_u32_b32 v5, v20, 0
	v_bcnt_u32_b32 v5, v21, v5
	s_waitcnt lgkmcnt(0)
	v_add_u32_e32 v5, v118, v5
	ds_write_b32 v119, v5
.LBB1843_600:                           ;   in Loop: Header=BB1843_566 Depth=2
	s_or_b64 exec, exec, s[36:37]
	v_cmp_lt_i16_e32 vcc, -1, v23
	v_cndmask_b32_e32 v5, -1, v66, vcc
	v_xor_b32_e32 v121, v5, v23
	v_cmp_ne_u16_e32 vcc, s68, v121
	v_cndmask_b32_e32 v5, v66, v121, vcc
	v_lshrrev_b32_sdwa v5, s69, v5 dst_sel:DWORD dst_unused:UNUSED_PAD src0_sel:DWORD src1_sel:WORD_0
	v_and_b32_e32 v20, s78, v5
	v_mul_u32_u24_e32 v5, 5, v20
	v_add_lshl_u32 v5, v5, v92, 2
	; wave barrier
	v_add_u32_e32 v123, 0x410, v5
	ds_read_b32 v122, v5 offset:1040
	v_and_b32_e32 v5, 1, v20
	v_add_co_u32_e32 v21, vcc, -1, v5
	v_addc_co_u32_e64 v22, s[36:37], 0, -1, vcc
	v_cmp_ne_u32_e32 vcc, 0, v5
	v_xor_b32_e32 v5, vcc_hi, v22
	v_and_b32_e32 v22, exec_hi, v5
	v_lshlrev_b32_e32 v5, 30, v20
	v_xor_b32_e32 v21, vcc_lo, v21
	v_cmp_gt_i64_e32 vcc, 0, v[4:5]
	v_not_b32_e32 v5, v5
	v_ashrrev_i32_e32 v5, 31, v5
	v_and_b32_e32 v21, exec_lo, v21
	v_xor_b32_e32 v23, vcc_hi, v5
	v_xor_b32_e32 v5, vcc_lo, v5
	v_and_b32_e32 v21, v21, v5
	v_lshlrev_b32_e32 v5, 29, v20
	v_cmp_gt_i64_e32 vcc, 0, v[4:5]
	v_not_b32_e32 v5, v5
	v_ashrrev_i32_e32 v5, 31, v5
	v_and_b32_e32 v22, v22, v23
	v_xor_b32_e32 v23, vcc_hi, v5
	v_xor_b32_e32 v5, vcc_lo, v5
	v_and_b32_e32 v21, v21, v5
	v_lshlrev_b32_e32 v5, 28, v20
	v_cmp_gt_i64_e32 vcc, 0, v[4:5]
	v_not_b32_e32 v5, v5
	v_ashrrev_i32_e32 v5, 31, v5
	v_and_b32_e32 v22, v22, v23
	;; [unrolled: 8-line block ×5, first 2 shown]
	v_xor_b32_e32 v23, vcc_hi, v5
	v_xor_b32_e32 v5, vcc_lo, v5
	v_and_b32_e32 v22, v22, v23
	v_and_b32_e32 v23, v21, v5
	v_lshlrev_b32_e32 v5, 24, v20
	v_cmp_gt_i64_e32 vcc, 0, v[4:5]
	v_not_b32_e32 v5, v5
	v_ashrrev_i32_e32 v5, 31, v5
	v_xor_b32_e32 v20, vcc_hi, v5
	v_xor_b32_e32 v5, vcc_lo, v5
	v_and_b32_e32 v21, v22, v20
	v_and_b32_e32 v20, v23, v5
	v_mbcnt_lo_u32_b32 v5, v20, 0
	v_mbcnt_hi_u32_b32 v124, v21, v5
	v_cmp_eq_u32_e32 vcc, 0, v124
	v_cmp_ne_u64_e64 s[36:37], 0, v[20:21]
	s_and_b64 s[38:39], s[36:37], vcc
	; wave barrier
	s_and_saveexec_b64 s[36:37], s[38:39]
	s_cbranch_execz .LBB1843_602
; %bb.601:                              ;   in Loop: Header=BB1843_566 Depth=2
	v_bcnt_u32_b32 v5, v20, 0
	v_bcnt_u32_b32 v5, v21, v5
	s_waitcnt lgkmcnt(0)
	v_add_u32_e32 v5, v122, v5
	ds_write_b32 v123, v5
.LBB1843_602:                           ;   in Loop: Header=BB1843_566 Depth=2
	s_or_b64 exec, exec, s[36:37]
	; wave barrier
	s_waitcnt lgkmcnt(0)
	s_barrier
	ds_read_b32 v5, v41 offset:1040
	ds_read2_b32 v[22:23], v43 offset0:1 offset1:2
	ds_read2_b32 v[20:21], v43 offset0:3 offset1:4
	s_waitcnt lgkmcnt(1)
	v_add3_u32 v125, v22, v5, v23
	s_waitcnt lgkmcnt(0)
	v_add3_u32 v21, v125, v20, v21
	s_nop 1
	v_mov_b32_dpp v125, v21 row_shr:1 row_mask:0xf bank_mask:0xf
	v_cndmask_b32_e64 v125, v125, 0, s[16:17]
	v_add_u32_e32 v21, v125, v21
	s_nop 1
	v_mov_b32_dpp v125, v21 row_shr:2 row_mask:0xf bank_mask:0xf
	v_cndmask_b32_e64 v125, 0, v125, s[18:19]
	v_add_u32_e32 v21, v21, v125
	s_nop 1
	v_mov_b32_dpp v125, v21 row_shr:4 row_mask:0xf bank_mask:0xf
	v_cndmask_b32_e64 v125, 0, v125, s[20:21]
	v_add_u32_e32 v21, v21, v125
	s_nop 1
	v_mov_b32_dpp v125, v21 row_shr:8 row_mask:0xf bank_mask:0xf
	v_cndmask_b32_e64 v125, 0, v125, s[22:23]
	v_add_u32_e32 v21, v21, v125
	s_nop 1
	v_mov_b32_dpp v125, v21 row_bcast:15 row_mask:0xf bank_mask:0xf
	v_cndmask_b32_e64 v125, v125, 0, s[24:25]
	v_add_u32_e32 v21, v21, v125
	s_nop 1
	v_mov_b32_dpp v125, v21 row_bcast:31 row_mask:0xf bank_mask:0xf
	v_cndmask_b32_e64 v125, 0, v125, s[26:27]
	v_add_u32_e32 v21, v21, v125
	s_and_saveexec_b64 s[36:37], s[6:7]
	s_cbranch_execz .LBB1843_604
; %bb.603:                              ;   in Loop: Header=BB1843_566 Depth=2
	ds_write_b32 v34, v21 offset:1024
.LBB1843_604:                           ;   in Loop: Header=BB1843_566 Depth=2
	s_or_b64 exec, exec, s[36:37]
	s_waitcnt lgkmcnt(0)
	s_barrier
	s_and_saveexec_b64 s[36:37], s[8:9]
	s_cbranch_execz .LBB1843_606
; %bb.605:                              ;   in Loop: Header=BB1843_566 Depth=2
	ds_read_b32 v125, v44 offset:1024
	s_waitcnt lgkmcnt(0)
	s_nop 0
	v_mov_b32_dpp v126, v125 row_shr:1 row_mask:0xf bank_mask:0xf
	v_cndmask_b32_e64 v126, v126, 0, s[30:31]
	v_add_u32_e32 v125, v126, v125
	s_nop 1
	v_mov_b32_dpp v126, v125 row_shr:2 row_mask:0xf bank_mask:0xf
	v_cndmask_b32_e64 v126, 0, v126, s[34:35]
	v_add_u32_e32 v125, v125, v126
	ds_write_b32 v44, v125 offset:1024
.LBB1843_606:                           ;   in Loop: Header=BB1843_566 Depth=2
	s_or_b64 exec, exec, s[36:37]
	v_mov_b32_e32 v125, 0
	s_waitcnt lgkmcnt(0)
	s_barrier
	s_and_saveexec_b64 s[36:37], s[10:11]
	s_cbranch_execz .LBB1843_608
; %bb.607:                              ;   in Loop: Header=BB1843_566 Depth=2
	ds_read_b32 v125, v34 offset:1020
.LBB1843_608:                           ;   in Loop: Header=BB1843_566 Depth=2
	s_or_b64 exec, exec, s[36:37]
	s_waitcnt lgkmcnt(0)
	v_add_u32_e32 v21, v125, v21
	ds_bpermute_b32 v21, v69, v21
	s_waitcnt lgkmcnt(0)
	v_cndmask_b32_e64 v21, v21, v125, s[28:29]
	v_cndmask_b32_e64 v21, v21, 0, s[12:13]
	v_add_u32_e32 v5, v21, v5
	ds_write_b32 v41, v21 offset:1040
	v_add_u32_e32 v21, v5, v22
	v_add_u32_e32 v22, v21, v23
	ds_write2_b32 v43, v5, v21 offset0:1 offset1:2
	v_add_u32_e32 v5, v22, v20
	ds_write2_b32 v43, v22, v5 offset0:3 offset1:4
	s_waitcnt lgkmcnt(0)
	s_barrier
	ds_read_b32 v20, v99
	ds_read_b32 v21, v103
	;; [unrolled: 1-line block ×8, first 2 shown]
	ds_read_b32 v99, v41 offset:1040
	v_mov_b32_e32 v5, 0x800
	s_and_saveexec_b64 s[36:37], s[14:15]
	s_cbranch_execz .LBB1843_610
; %bb.609:                              ;   in Loop: Header=BB1843_566 Depth=2
	ds_read_b32 v5, v41 offset:1060
.LBB1843_610:                           ;   in Loop: Header=BB1843_566 Depth=2
	s_or_b64 exec, exec, s[36:37]
	s_waitcnt lgkmcnt(0)
	s_barrier
	s_and_saveexec_b64 s[36:37], s[4:5]
	s_cbranch_execz .LBB1843_612
; %bb.611:                              ;   in Loop: Header=BB1843_566 Depth=2
	ds_read_b32 v103, v3
	s_waitcnt lgkmcnt(0)
	v_sub_u32_e32 v99, v103, v99
	ds_write_b32 v3, v99
.LBB1843_612:                           ;   in Loop: Header=BB1843_566 Depth=2
	s_or_b64 exec, exec, s[36:37]
	v_add_u32_e32 v103, v95, v96
	v_add3_u32 v100, v100, v98, v20
	v_lshlrev_b32_e32 v20, 1, v103
	v_add3_u32 v99, v105, v102, v21
	ds_write_b16 v20, v94 offset:1024
	v_lshlrev_b32_e32 v20, 1, v100
	v_add3_u32 v98, v110, v107, v22
	ds_write_b16 v20, v97 offset:1024
	v_lshlrev_b32_e32 v20, 1, v99
	v_add3_u32 v96, v113, v111, v23
	ds_write_b16 v20, v101 offset:1024
	v_lshlrev_b32_e32 v20, 1, v98
	v_add3_u32 v95, v116, v114, v108
	ds_write_b16 v20, v106 offset:1024
	v_lshlrev_b32_e32 v20, 1, v96
	v_add3_u32 v23, v120, v118, v112
	ds_write_b16 v20, v109 offset:1024
	v_lshlrev_b32_e32 v20, 1, v95
	v_add3_u32 v22, v124, v122, v115
	ds_write_b16 v20, v104 offset:1024
	v_lshlrev_b32_e32 v20, 1, v23
	ds_write_b16 v20, v117 offset:1024
	v_lshlrev_b32_e32 v20, 1, v22
	v_cmp_lt_u32_e32 vcc, v2, v93
	ds_write_b16 v20, v121 offset:1024
	s_waitcnt lgkmcnt(0)
	s_barrier
	s_and_saveexec_b64 s[38:39], vcc
	s_cbranch_execz .LBB1843_620
; %bb.613:                              ;   in Loop: Header=BB1843_566 Depth=2
	ds_read_u16 v20, v49 offset:1024
	v_mov_b32_e32 v21, v4
	v_mov_b32_e32 v97, s61
	s_waitcnt lgkmcnt(0)
	v_cmp_ne_u16_e64 s[36:37], s68, v20
	v_cndmask_b32_e64 v94, v66, v20, s[36:37]
	v_lshrrev_b32_sdwa v94, s69, v94 dst_sel:DWORD dst_unused:UNUSED_PAD src0_sel:DWORD src1_sel:WORD_0
	v_and_b32_e32 v94, s78, v94
	v_lshlrev_b32_e32 v94, 2, v94
	ds_read_b32 v94, v94
	v_cmp_lt_i16_e64 s[36:37], -1, v20
	v_cndmask_b32_e64 v101, v66, -1, s[36:37]
	v_xor_b32_e32 v101, v101, v20
	s_waitcnt lgkmcnt(0)
	v_add_u32_e32 v20, v94, v2
	v_lshlrev_b64 v[20:21], 1, v[20:21]
	v_add_co_u32_e64 v20, s[36:37], s60, v20
	v_addc_co_u32_e64 v21, s[36:37], v97, v21, s[36:37]
	global_store_short v[20:21], v101, off
	s_or_b64 exec, exec, s[38:39]
	v_cmp_lt_u32_e64 s[36:37], v24, v93
	s_and_saveexec_b64 s[40:41], s[36:37]
	s_cbranch_execnz .LBB1843_621
.LBB1843_614:                           ;   in Loop: Header=BB1843_566 Depth=2
	s_or_b64 exec, exec, s[40:41]
	v_cmp_lt_u32_e64 s[38:39], v25, v93
	s_and_saveexec_b64 s[42:43], s[38:39]
	s_cbranch_execz .LBB1843_622
.LBB1843_615:                           ;   in Loop: Header=BB1843_566 Depth=2
	ds_read_u16 v20, v50 offset:1024
	v_mov_b32_e32 v21, v4
	v_mov_b32_e32 v97, s61
	s_waitcnt lgkmcnt(0)
	v_cmp_ne_u16_e64 s[40:41], s68, v20
	v_cndmask_b32_e64 v94, v66, v20, s[40:41]
	v_lshrrev_b32_sdwa v94, s69, v94 dst_sel:DWORD dst_unused:UNUSED_PAD src0_sel:DWORD src1_sel:WORD_0
	v_and_b32_e32 v94, s78, v94
	v_lshlrev_b32_e32 v94, 2, v94
	ds_read_b32 v94, v94
	v_cmp_lt_i16_e64 s[40:41], -1, v20
	v_cndmask_b32_e64 v101, v66, -1, s[40:41]
	v_xor_b32_e32 v101, v101, v20
	s_waitcnt lgkmcnt(0)
	v_add_u32_e32 v20, v94, v25
	v_lshlrev_b64 v[20:21], 1, v[20:21]
	v_add_co_u32_e64 v20, s[40:41], s60, v20
	v_addc_co_u32_e64 v21, s[40:41], v97, v21, s[40:41]
	global_store_short v[20:21], v101, off
	s_or_b64 exec, exec, s[42:43]
	v_cmp_lt_u32_e64 s[40:41], v26, v93
	s_and_saveexec_b64 s[44:45], s[40:41]
	s_cbranch_execnz .LBB1843_623
.LBB1843_616:                           ;   in Loop: Header=BB1843_566 Depth=2
	s_or_b64 exec, exec, s[44:45]
	v_cmp_lt_u32_e64 s[42:43], v29, v93
	s_and_saveexec_b64 s[46:47], s[42:43]
	s_cbranch_execz .LBB1843_624
.LBB1843_617:                           ;   in Loop: Header=BB1843_566 Depth=2
	ds_read_u16 v20, v50 offset:2048
	v_mov_b32_e32 v21, v4
	v_mov_b32_e32 v97, s61
	s_waitcnt lgkmcnt(0)
	v_cmp_ne_u16_e64 s[44:45], s68, v20
	v_cndmask_b32_e64 v94, v66, v20, s[44:45]
	v_lshrrev_b32_sdwa v94, s69, v94 dst_sel:DWORD dst_unused:UNUSED_PAD src0_sel:DWORD src1_sel:WORD_0
	v_and_b32_e32 v94, s78, v94
	v_lshlrev_b32_e32 v94, 2, v94
	ds_read_b32 v94, v94
	v_cmp_lt_i16_e64 s[44:45], -1, v20
	v_cndmask_b32_e64 v101, v66, -1, s[44:45]
	v_xor_b32_e32 v101, v101, v20
	s_waitcnt lgkmcnt(0)
	v_add_u32_e32 v20, v94, v29
	v_lshlrev_b64 v[20:21], 1, v[20:21]
	v_add_co_u32_e64 v20, s[44:45], s60, v20
	v_addc_co_u32_e64 v21, s[44:45], v97, v21, s[44:45]
	global_store_short v[20:21], v101, off
	s_or_b64 exec, exec, s[46:47]
	v_cmp_lt_u32_e64 s[44:45], v30, v93
	s_and_saveexec_b64 s[48:49], s[44:45]
	s_cbranch_execnz .LBB1843_625
.LBB1843_618:                           ;   in Loop: Header=BB1843_566 Depth=2
	s_or_b64 exec, exec, s[48:49]
	v_cmp_lt_u32_e64 s[46:47], v31, v93
	s_and_saveexec_b64 s[52:53], s[46:47]
	s_cbranch_execz .LBB1843_626
.LBB1843_619:                           ;   in Loop: Header=BB1843_566 Depth=2
	ds_read_u16 v20, v50 offset:3072
	v_mov_b32_e32 v21, v4
	v_mov_b32_e32 v97, s61
	s_waitcnt lgkmcnt(0)
	v_cmp_ne_u16_e64 s[48:49], s68, v20
	v_cndmask_b32_e64 v94, v66, v20, s[48:49]
	v_lshrrev_b32_sdwa v94, s69, v94 dst_sel:DWORD dst_unused:UNUSED_PAD src0_sel:DWORD src1_sel:WORD_0
	v_and_b32_e32 v94, s78, v94
	v_lshlrev_b32_e32 v94, 2, v94
	ds_read_b32 v94, v94
	v_cmp_lt_i16_e64 s[48:49], -1, v20
	v_cndmask_b32_e64 v101, v66, -1, s[48:49]
	v_xor_b32_e32 v101, v101, v20
	s_waitcnt lgkmcnt(0)
	v_add_u32_e32 v20, v94, v31
	v_lshlrev_b64 v[20:21], 1, v[20:21]
	v_add_co_u32_e64 v20, s[48:49], s60, v20
	v_addc_co_u32_e64 v21, s[48:49], v97, v21, s[48:49]
	global_store_short v[20:21], v101, off
	s_or_b64 exec, exec, s[52:53]
	v_cmp_lt_u32_e64 s[48:49], v32, v93
	s_and_saveexec_b64 s[62:63], s[48:49]
	s_cbranch_execnz .LBB1843_627
	s_branch .LBB1843_628
.LBB1843_620:                           ;   in Loop: Header=BB1843_566 Depth=2
	s_or_b64 exec, exec, s[38:39]
	v_cmp_lt_u32_e64 s[36:37], v24, v93
	s_and_saveexec_b64 s[40:41], s[36:37]
	s_cbranch_execz .LBB1843_614
.LBB1843_621:                           ;   in Loop: Header=BB1843_566 Depth=2
	ds_read_u16 v20, v50 offset:512
	v_mov_b32_e32 v21, v4
	v_mov_b32_e32 v97, s61
	s_waitcnt lgkmcnt(0)
	v_cmp_ne_u16_e64 s[38:39], s68, v20
	v_cndmask_b32_e64 v94, v66, v20, s[38:39]
	v_lshrrev_b32_sdwa v94, s69, v94 dst_sel:DWORD dst_unused:UNUSED_PAD src0_sel:DWORD src1_sel:WORD_0
	v_and_b32_e32 v94, s78, v94
	v_lshlrev_b32_e32 v94, 2, v94
	ds_read_b32 v94, v94
	v_cmp_lt_i16_e64 s[38:39], -1, v20
	v_cndmask_b32_e64 v101, v66, -1, s[38:39]
	v_xor_b32_e32 v101, v101, v20
	s_waitcnt lgkmcnt(0)
	v_add_u32_e32 v20, v94, v24
	v_lshlrev_b64 v[20:21], 1, v[20:21]
	v_add_co_u32_e64 v20, s[38:39], s60, v20
	v_addc_co_u32_e64 v21, s[38:39], v97, v21, s[38:39]
	global_store_short v[20:21], v101, off
	s_or_b64 exec, exec, s[40:41]
	v_cmp_lt_u32_e64 s[38:39], v25, v93
	s_and_saveexec_b64 s[42:43], s[38:39]
	s_cbranch_execnz .LBB1843_615
.LBB1843_622:                           ;   in Loop: Header=BB1843_566 Depth=2
	s_or_b64 exec, exec, s[42:43]
	v_cmp_lt_u32_e64 s[40:41], v26, v93
	s_and_saveexec_b64 s[44:45], s[40:41]
	s_cbranch_execz .LBB1843_616
.LBB1843_623:                           ;   in Loop: Header=BB1843_566 Depth=2
	ds_read_u16 v20, v50 offset:1536
	v_mov_b32_e32 v21, v4
	v_mov_b32_e32 v97, s61
	s_waitcnt lgkmcnt(0)
	v_cmp_ne_u16_e64 s[42:43], s68, v20
	v_cndmask_b32_e64 v94, v66, v20, s[42:43]
	v_lshrrev_b32_sdwa v94, s69, v94 dst_sel:DWORD dst_unused:UNUSED_PAD src0_sel:DWORD src1_sel:WORD_0
	v_and_b32_e32 v94, s78, v94
	v_lshlrev_b32_e32 v94, 2, v94
	ds_read_b32 v94, v94
	v_cmp_lt_i16_e64 s[42:43], -1, v20
	v_cndmask_b32_e64 v101, v66, -1, s[42:43]
	v_xor_b32_e32 v101, v101, v20
	s_waitcnt lgkmcnt(0)
	v_add_u32_e32 v20, v94, v26
	v_lshlrev_b64 v[20:21], 1, v[20:21]
	v_add_co_u32_e64 v20, s[42:43], s60, v20
	v_addc_co_u32_e64 v21, s[42:43], v97, v21, s[42:43]
	global_store_short v[20:21], v101, off
	s_or_b64 exec, exec, s[44:45]
	v_cmp_lt_u32_e64 s[42:43], v29, v93
	s_and_saveexec_b64 s[46:47], s[42:43]
	s_cbranch_execnz .LBB1843_617
.LBB1843_624:                           ;   in Loop: Header=BB1843_566 Depth=2
	s_or_b64 exec, exec, s[46:47]
	v_cmp_lt_u32_e64 s[44:45], v30, v93
	s_and_saveexec_b64 s[48:49], s[44:45]
	s_cbranch_execz .LBB1843_618
.LBB1843_625:                           ;   in Loop: Header=BB1843_566 Depth=2
	ds_read_u16 v20, v50 offset:2560
	v_mov_b32_e32 v21, v4
	v_mov_b32_e32 v97, s61
	s_waitcnt lgkmcnt(0)
	v_cmp_ne_u16_e64 s[46:47], s68, v20
	v_cndmask_b32_e64 v94, v66, v20, s[46:47]
	v_lshrrev_b32_sdwa v94, s69, v94 dst_sel:DWORD dst_unused:UNUSED_PAD src0_sel:DWORD src1_sel:WORD_0
	v_and_b32_e32 v94, s78, v94
	v_lshlrev_b32_e32 v94, 2, v94
	ds_read_b32 v94, v94
	v_cmp_lt_i16_e64 s[46:47], -1, v20
	v_cndmask_b32_e64 v101, v66, -1, s[46:47]
	v_xor_b32_e32 v101, v101, v20
	s_waitcnt lgkmcnt(0)
	v_add_u32_e32 v20, v94, v30
	v_lshlrev_b64 v[20:21], 1, v[20:21]
	v_add_co_u32_e64 v20, s[46:47], s60, v20
	v_addc_co_u32_e64 v21, s[46:47], v97, v21, s[46:47]
	global_store_short v[20:21], v101, off
	s_or_b64 exec, exec, s[48:49]
	v_cmp_lt_u32_e64 s[46:47], v31, v93
	s_and_saveexec_b64 s[52:53], s[46:47]
	s_cbranch_execnz .LBB1843_619
.LBB1843_626:                           ;   in Loop: Header=BB1843_566 Depth=2
	s_or_b64 exec, exec, s[52:53]
	v_cmp_lt_u32_e64 s[48:49], v32, v93
	s_and_saveexec_b64 s[62:63], s[48:49]
	s_cbranch_execz .LBB1843_628
.LBB1843_627:                           ;   in Loop: Header=BB1843_566 Depth=2
	ds_read_u16 v20, v50 offset:3584
	v_mov_b32_e32 v21, v4
	v_mov_b32_e32 v97, s61
	s_waitcnt lgkmcnt(0)
	v_cmp_ne_u16_e64 s[52:53], s68, v20
	v_cndmask_b32_e64 v94, v66, v20, s[52:53]
	v_lshrrev_b32_sdwa v94, s69, v94 dst_sel:DWORD dst_unused:UNUSED_PAD src0_sel:DWORD src1_sel:WORD_0
	v_and_b32_e32 v94, s78, v94
	v_lshlrev_b32_e32 v94, 2, v94
	ds_read_b32 v94, v94
	v_cmp_lt_i16_e64 s[52:53], -1, v20
	v_cndmask_b32_e64 v101, v66, -1, s[52:53]
	v_xor_b32_e32 v101, v101, v20
	s_waitcnt lgkmcnt(0)
	v_add_u32_e32 v20, v94, v32
	v_lshlrev_b64 v[20:21], 1, v[20:21]
	v_add_co_u32_e64 v20, s[52:53], s60, v20
	v_addc_co_u32_e64 v21, s[52:53], v97, v21, s[52:53]
	global_store_short v[20:21], v101, off
.LBB1843_628:                           ;   in Loop: Header=BB1843_566 Depth=2
	s_or_b64 exec, exec, s[62:63]
	s_lshl_b64 s[52:53], s[72:73], 3
	v_mov_b32_e32 v21, s53
	v_add_co_u32_e64 v20, s[52:53], s52, v77
	v_addc_co_u32_e64 v21, s[52:53], v79, v21, s[52:53]
	v_cmp_lt_u32_e64 s[52:53], v74, v93
	s_and_saveexec_b64 s[62:63], s[52:53]
	s_xor_b64 s[52:53], exec, s[62:63]
	s_cbranch_execz .LBB1843_644
; %bb.629:                              ;   in Loop: Header=BB1843_566 Depth=2
	global_load_dwordx2 v[18:19], v[20:21], off
	s_or_b64 exec, exec, s[52:53]
	v_cmp_lt_u32_e64 s[52:53], v81, v93
	s_and_saveexec_b64 s[62:63], s[52:53]
	s_cbranch_execnz .LBB1843_645
.LBB1843_630:                           ;   in Loop: Header=BB1843_566 Depth=2
	s_or_b64 exec, exec, s[62:63]
	v_cmp_lt_u32_e64 s[52:53], v82, v93
	s_and_saveexec_b64 s[62:63], s[52:53]
	s_cbranch_execz .LBB1843_646
.LBB1843_631:                           ;   in Loop: Header=BB1843_566 Depth=2
	global_load_dwordx2 v[14:15], v[20:21], off offset:1024
	s_or_b64 exec, exec, s[62:63]
	v_cmp_lt_u32_e64 s[52:53], v83, v93
	s_and_saveexec_b64 s[62:63], s[52:53]
	s_cbranch_execnz .LBB1843_647
.LBB1843_632:                           ;   in Loop: Header=BB1843_566 Depth=2
	s_or_b64 exec, exec, s[62:63]
	v_cmp_lt_u32_e64 s[52:53], v84, v93
	s_and_saveexec_b64 s[62:63], s[52:53]
	s_cbranch_execz .LBB1843_648
.LBB1843_633:                           ;   in Loop: Header=BB1843_566 Depth=2
	global_load_dwordx2 v[10:11], v[20:21], off offset:2048
	s_or_b64 exec, exec, s[62:63]
	v_cmp_lt_u32_e64 s[52:53], v85, v93
	s_and_saveexec_b64 s[62:63], s[52:53]
	s_cbranch_execnz .LBB1843_649
.LBB1843_634:                           ;   in Loop: Header=BB1843_566 Depth=2
	s_or_b64 exec, exec, s[62:63]
	v_cmp_lt_u32_e64 s[52:53], v86, v93
	s_and_saveexec_b64 s[62:63], s[52:53]
	s_cbranch_execz .LBB1843_650
.LBB1843_635:                           ;   in Loop: Header=BB1843_566 Depth=2
	global_load_dwordx2 v[6:7], v[20:21], off offset:3072
	s_or_b64 exec, exec, s[62:63]
	v_cmp_lt_u32_e64 s[52:53], v87, v93
	s_and_saveexec_b64 s[62:63], s[52:53]
	s_cbranch_execnz .LBB1843_651
.LBB1843_636:                           ;   in Loop: Header=BB1843_566 Depth=2
	s_or_b64 exec, exec, s[62:63]
	s_and_saveexec_b64 s[62:63], vcc
	s_cbranch_execz .LBB1843_652
.LBB1843_637:                           ;   in Loop: Header=BB1843_566 Depth=2
	ds_read_u16 v20, v49 offset:1024
	s_waitcnt lgkmcnt(0)
	v_cmp_ne_u16_e64 s[52:53], s68, v20
	v_cndmask_b32_e64 v20, v66, v20, s[52:53]
	v_lshrrev_b32_sdwa v20, s69, v20 dst_sel:DWORD dst_unused:UNUSED_PAD src0_sel:DWORD src1_sel:WORD_0
	v_and_b32_e32 v80, s78, v20
	s_or_b64 exec, exec, s[62:63]
	s_and_saveexec_b64 s[62:63], s[36:37]
	s_cbranch_execnz .LBB1843_653
.LBB1843_638:                           ;   in Loop: Header=BB1843_566 Depth=2
	s_or_b64 exec, exec, s[62:63]
	s_and_saveexec_b64 s[62:63], s[38:39]
	s_cbranch_execz .LBB1843_654
.LBB1843_639:                           ;   in Loop: Header=BB1843_566 Depth=2
	ds_read_u16 v20, v50 offset:1024
	s_waitcnt lgkmcnt(0)
	v_cmp_ne_u16_e64 s[52:53], s68, v20
	v_cndmask_b32_e64 v20, v66, v20, s[52:53]
	v_lshrrev_b32_sdwa v20, s69, v20 dst_sel:DWORD dst_unused:UNUSED_PAD src0_sel:DWORD src1_sel:WORD_0
	v_and_b32_e32 v76, s78, v20
	s_or_b64 exec, exec, s[62:63]
	s_and_saveexec_b64 s[62:63], s[40:41]
	s_cbranch_execnz .LBB1843_655
.LBB1843_640:                           ;   in Loop: Header=BB1843_566 Depth=2
	s_or_b64 exec, exec, s[62:63]
	s_and_saveexec_b64 s[62:63], s[42:43]
	s_cbranch_execz .LBB1843_656
.LBB1843_641:                           ;   in Loop: Header=BB1843_566 Depth=2
	ds_read_u16 v20, v50 offset:2048
	s_waitcnt lgkmcnt(0)
	v_cmp_ne_u16_e64 s[52:53], s68, v20
	v_cndmask_b32_e64 v20, v66, v20, s[52:53]
	v_lshrrev_b32_sdwa v20, s69, v20 dst_sel:DWORD dst_unused:UNUSED_PAD src0_sel:DWORD src1_sel:WORD_0
	v_and_b32_e32 v73, s78, v20
	s_or_b64 exec, exec, s[62:63]
	s_and_saveexec_b64 s[62:63], s[44:45]
	s_cbranch_execnz .LBB1843_657
.LBB1843_642:                           ;   in Loop: Header=BB1843_566 Depth=2
	s_or_b64 exec, exec, s[62:63]
	s_and_saveexec_b64 s[62:63], s[46:47]
	s_cbranch_execz .LBB1843_658
.LBB1843_643:                           ;   in Loop: Header=BB1843_566 Depth=2
	ds_read_u16 v20, v50 offset:3072
	s_waitcnt lgkmcnt(0)
	v_cmp_ne_u16_e64 s[52:53], s68, v20
	v_cndmask_b32_e64 v20, v66, v20, s[52:53]
	v_lshrrev_b32_sdwa v20, s69, v20 dst_sel:DWORD dst_unused:UNUSED_PAD src0_sel:DWORD src1_sel:WORD_0
	v_and_b32_e32 v71, s78, v20
	s_or_b64 exec, exec, s[62:63]
	s_and_saveexec_b64 s[62:63], s[48:49]
	s_cbranch_execnz .LBB1843_659
	s_branch .LBB1843_660
.LBB1843_644:                           ;   in Loop: Header=BB1843_566 Depth=2
	s_or_b64 exec, exec, s[52:53]
	v_cmp_lt_u32_e64 s[52:53], v81, v93
	s_and_saveexec_b64 s[62:63], s[52:53]
	s_cbranch_execz .LBB1843_630
.LBB1843_645:                           ;   in Loop: Header=BB1843_566 Depth=2
	global_load_dwordx2 v[16:17], v[20:21], off offset:512
	s_or_b64 exec, exec, s[62:63]
	v_cmp_lt_u32_e64 s[52:53], v82, v93
	s_and_saveexec_b64 s[62:63], s[52:53]
	s_cbranch_execnz .LBB1843_631
.LBB1843_646:                           ;   in Loop: Header=BB1843_566 Depth=2
	s_or_b64 exec, exec, s[62:63]
	v_cmp_lt_u32_e64 s[52:53], v83, v93
	s_and_saveexec_b64 s[62:63], s[52:53]
	s_cbranch_execz .LBB1843_632
.LBB1843_647:                           ;   in Loop: Header=BB1843_566 Depth=2
	global_load_dwordx2 v[12:13], v[20:21], off offset:1536
	s_or_b64 exec, exec, s[62:63]
	v_cmp_lt_u32_e64 s[52:53], v84, v93
	s_and_saveexec_b64 s[62:63], s[52:53]
	s_cbranch_execnz .LBB1843_633
.LBB1843_648:                           ;   in Loop: Header=BB1843_566 Depth=2
	s_or_b64 exec, exec, s[62:63]
	v_cmp_lt_u32_e64 s[52:53], v85, v93
	s_and_saveexec_b64 s[62:63], s[52:53]
	s_cbranch_execz .LBB1843_634
.LBB1843_649:                           ;   in Loop: Header=BB1843_566 Depth=2
	global_load_dwordx2 v[8:9], v[20:21], off offset:2560
	s_or_b64 exec, exec, s[62:63]
	v_cmp_lt_u32_e64 s[52:53], v86, v93
	s_and_saveexec_b64 s[62:63], s[52:53]
	s_cbranch_execnz .LBB1843_635
.LBB1843_650:                           ;   in Loop: Header=BB1843_566 Depth=2
	s_or_b64 exec, exec, s[62:63]
	v_cmp_lt_u32_e64 s[52:53], v87, v93
	s_and_saveexec_b64 s[62:63], s[52:53]
	s_cbranch_execz .LBB1843_636
.LBB1843_651:                           ;   in Loop: Header=BB1843_566 Depth=2
	global_load_dwordx2 v[0:1], v[20:21], off offset:3584
	s_or_b64 exec, exec, s[62:63]
	s_and_saveexec_b64 s[62:63], vcc
	s_cbranch_execnz .LBB1843_637
.LBB1843_652:                           ;   in Loop: Header=BB1843_566 Depth=2
	s_or_b64 exec, exec, s[62:63]
	s_and_saveexec_b64 s[62:63], s[36:37]
	s_cbranch_execz .LBB1843_638
.LBB1843_653:                           ;   in Loop: Header=BB1843_566 Depth=2
	ds_read_u16 v20, v50 offset:512
	s_waitcnt lgkmcnt(0)
	v_cmp_ne_u16_e64 s[52:53], s68, v20
	v_cndmask_b32_e64 v20, v66, v20, s[52:53]
	v_lshrrev_b32_sdwa v20, s69, v20 dst_sel:DWORD dst_unused:UNUSED_PAD src0_sel:DWORD src1_sel:WORD_0
	v_and_b32_e32 v78, s78, v20
	s_or_b64 exec, exec, s[62:63]
	s_and_saveexec_b64 s[62:63], s[38:39]
	s_cbranch_execnz .LBB1843_639
.LBB1843_654:                           ;   in Loop: Header=BB1843_566 Depth=2
	s_or_b64 exec, exec, s[62:63]
	s_and_saveexec_b64 s[62:63], s[40:41]
	s_cbranch_execz .LBB1843_640
.LBB1843_655:                           ;   in Loop: Header=BB1843_566 Depth=2
	ds_read_u16 v20, v50 offset:1536
	s_waitcnt lgkmcnt(0)
	v_cmp_ne_u16_e64 s[52:53], s68, v20
	v_cndmask_b32_e64 v20, v66, v20, s[52:53]
	v_lshrrev_b32_sdwa v20, s69, v20 dst_sel:DWORD dst_unused:UNUSED_PAD src0_sel:DWORD src1_sel:WORD_0
	v_and_b32_e32 v75, s78, v20
	s_or_b64 exec, exec, s[62:63]
	s_and_saveexec_b64 s[62:63], s[42:43]
	s_cbranch_execnz .LBB1843_641
.LBB1843_656:                           ;   in Loop: Header=BB1843_566 Depth=2
	s_or_b64 exec, exec, s[62:63]
	s_and_saveexec_b64 s[62:63], s[44:45]
	s_cbranch_execz .LBB1843_642
.LBB1843_657:                           ;   in Loop: Header=BB1843_566 Depth=2
	ds_read_u16 v20, v50 offset:2560
	s_waitcnt lgkmcnt(0)
	v_cmp_ne_u16_e64 s[52:53], s68, v20
	v_cndmask_b32_e64 v20, v66, v20, s[52:53]
	v_lshrrev_b32_sdwa v20, s69, v20 dst_sel:DWORD dst_unused:UNUSED_PAD src0_sel:DWORD src1_sel:WORD_0
	v_and_b32_e32 v72, s78, v20
	s_or_b64 exec, exec, s[62:63]
	s_and_saveexec_b64 s[62:63], s[46:47]
	s_cbranch_execnz .LBB1843_643
.LBB1843_658:                           ;   in Loop: Header=BB1843_566 Depth=2
	s_or_b64 exec, exec, s[62:63]
	s_and_saveexec_b64 s[62:63], s[48:49]
	s_cbranch_execz .LBB1843_660
.LBB1843_659:                           ;   in Loop: Header=BB1843_566 Depth=2
	ds_read_u16 v20, v50 offset:3584
	s_waitcnt lgkmcnt(0)
	v_cmp_ne_u16_e64 s[52:53], s68, v20
	v_cndmask_b32_e64 v20, v66, v20, s[52:53]
	v_lshrrev_b32_sdwa v20, s69, v20 dst_sel:DWORD dst_unused:UNUSED_PAD src0_sel:DWORD src1_sel:WORD_0
	v_and_b32_e32 v70, s78, v20
.LBB1843_660:                           ;   in Loop: Header=BB1843_566 Depth=2
	s_or_b64 exec, exec, s[62:63]
	v_lshlrev_b32_e32 v20, 3, v103
	s_barrier
	s_waitcnt vmcnt(0)
	ds_write_b64 v20, v[18:19] offset:1024
	v_lshlrev_b32_e32 v20, 3, v100
	ds_write_b64 v20, v[16:17] offset:1024
	v_lshlrev_b32_e32 v20, 3, v99
	;; [unrolled: 2-line block ×7, first 2 shown]
	ds_write_b64 v20, v[0:1] offset:1024
	s_waitcnt lgkmcnt(0)
	s_barrier
	s_and_saveexec_b64 s[52:53], vcc
	s_cbranch_execz .LBB1843_668
; %bb.661:                              ;   in Loop: Header=BB1843_566 Depth=2
	v_lshlrev_b32_e32 v20, 2, v80
	ds_read_b32 v20, v20
	v_add_u32_e32 v22, v49, v51
	ds_read_b64 v[22:23], v22 offset:1024
	v_mov_b32_e32 v21, v4
	v_mov_b32_e32 v93, s67
	s_waitcnt lgkmcnt(1)
	v_add_u32_e32 v20, v20, v2
	v_lshlrev_b64 v[20:21], 3, v[20:21]
	v_add_co_u32_e32 v20, vcc, s66, v20
	v_addc_co_u32_e32 v21, vcc, v93, v21, vcc
	s_waitcnt lgkmcnt(0)
	global_store_dwordx2 v[20:21], v[22:23], off
	s_or_b64 exec, exec, s[52:53]
	v_add_u32_e32 v20, v50, v51
	s_and_saveexec_b64 s[52:53], s[36:37]
	s_cbranch_execnz .LBB1843_669
.LBB1843_662:                           ;   in Loop: Header=BB1843_566 Depth=2
	s_or_b64 exec, exec, s[52:53]
	s_and_saveexec_b64 s[36:37], s[38:39]
	s_cbranch_execz .LBB1843_670
.LBB1843_663:                           ;   in Loop: Header=BB1843_566 Depth=2
	v_lshlrev_b32_e32 v21, 2, v76
	ds_read_b32 v21, v21
	ds_read_b64 v[22:23], v20 offset:4096
	v_mov_b32_e32 v95, v4
	v_mov_b32_e32 v93, s67
	s_waitcnt lgkmcnt(1)
	v_add_u32_e32 v94, v21, v25
	v_lshlrev_b64 v[94:95], 3, v[94:95]
	v_add_co_u32_e32 v94, vcc, s66, v94
	v_addc_co_u32_e32 v95, vcc, v93, v95, vcc
	s_waitcnt lgkmcnt(0)
	global_store_dwordx2 v[94:95], v[22:23], off
	s_or_b64 exec, exec, s[36:37]
	s_and_saveexec_b64 s[36:37], s[40:41]
	s_cbranch_execnz .LBB1843_671
.LBB1843_664:                           ;   in Loop: Header=BB1843_566 Depth=2
	s_or_b64 exec, exec, s[36:37]
	s_and_saveexec_b64 s[36:37], s[42:43]
	s_cbranch_execz .LBB1843_672
.LBB1843_665:                           ;   in Loop: Header=BB1843_566 Depth=2
	v_lshlrev_b32_e32 v21, 2, v73
	ds_read_b32 v21, v21
	ds_read_b64 v[22:23], v20 offset:8192
	v_mov_b32_e32 v95, v4
	v_mov_b32_e32 v93, s67
	s_waitcnt lgkmcnt(1)
	v_add_u32_e32 v94, v21, v29
	v_lshlrev_b64 v[94:95], 3, v[94:95]
	v_add_co_u32_e32 v94, vcc, s66, v94
	v_addc_co_u32_e32 v95, vcc, v93, v95, vcc
	s_waitcnt lgkmcnt(0)
	global_store_dwordx2 v[94:95], v[22:23], off
	s_or_b64 exec, exec, s[36:37]
	s_and_saveexec_b64 s[36:37], s[44:45]
	s_cbranch_execnz .LBB1843_673
.LBB1843_666:                           ;   in Loop: Header=BB1843_566 Depth=2
	s_or_b64 exec, exec, s[36:37]
	s_and_saveexec_b64 s[36:37], s[46:47]
	s_cbranch_execz .LBB1843_674
.LBB1843_667:                           ;   in Loop: Header=BB1843_566 Depth=2
	v_lshlrev_b32_e32 v21, 2, v71
	ds_read_b32 v21, v21
	ds_read_b64 v[22:23], v20 offset:12288
	v_mov_b32_e32 v95, v4
	v_mov_b32_e32 v93, s67
	s_waitcnt lgkmcnt(1)
	v_add_u32_e32 v94, v21, v31
	v_lshlrev_b64 v[94:95], 3, v[94:95]
	v_add_co_u32_e32 v94, vcc, s66, v94
	v_addc_co_u32_e32 v95, vcc, v93, v95, vcc
	s_waitcnt lgkmcnt(0)
	global_store_dwordx2 v[94:95], v[22:23], off
	s_or_b64 exec, exec, s[36:37]
	s_and_saveexec_b64 s[36:37], s[48:49]
	s_cbranch_execnz .LBB1843_675
	s_branch .LBB1843_676
.LBB1843_668:                           ;   in Loop: Header=BB1843_566 Depth=2
	s_or_b64 exec, exec, s[52:53]
	v_add_u32_e32 v20, v50, v51
	s_and_saveexec_b64 s[52:53], s[36:37]
	s_cbranch_execz .LBB1843_662
.LBB1843_669:                           ;   in Loop: Header=BB1843_566 Depth=2
	v_lshlrev_b32_e32 v21, 2, v78
	ds_read_b32 v21, v21
	ds_read_b64 v[22:23], v20 offset:2048
	v_mov_b32_e32 v95, v4
	v_mov_b32_e32 v93, s67
	s_waitcnt lgkmcnt(1)
	v_add_u32_e32 v94, v21, v24
	v_lshlrev_b64 v[94:95], 3, v[94:95]
	v_add_co_u32_e32 v94, vcc, s66, v94
	v_addc_co_u32_e32 v95, vcc, v93, v95, vcc
	s_waitcnt lgkmcnt(0)
	global_store_dwordx2 v[94:95], v[22:23], off
	s_or_b64 exec, exec, s[52:53]
	s_and_saveexec_b64 s[36:37], s[38:39]
	s_cbranch_execnz .LBB1843_663
.LBB1843_670:                           ;   in Loop: Header=BB1843_566 Depth=2
	s_or_b64 exec, exec, s[36:37]
	s_and_saveexec_b64 s[36:37], s[40:41]
	s_cbranch_execz .LBB1843_664
.LBB1843_671:                           ;   in Loop: Header=BB1843_566 Depth=2
	v_lshlrev_b32_e32 v21, 2, v75
	ds_read_b32 v21, v21
	ds_read_b64 v[22:23], v20 offset:6144
	v_mov_b32_e32 v95, v4
	v_mov_b32_e32 v93, s67
	s_waitcnt lgkmcnt(1)
	v_add_u32_e32 v94, v21, v26
	v_lshlrev_b64 v[94:95], 3, v[94:95]
	v_add_co_u32_e32 v94, vcc, s66, v94
	v_addc_co_u32_e32 v95, vcc, v93, v95, vcc
	s_waitcnt lgkmcnt(0)
	global_store_dwordx2 v[94:95], v[22:23], off
	s_or_b64 exec, exec, s[36:37]
	s_and_saveexec_b64 s[36:37], s[42:43]
	s_cbranch_execnz .LBB1843_665
.LBB1843_672:                           ;   in Loop: Header=BB1843_566 Depth=2
	s_or_b64 exec, exec, s[36:37]
	s_and_saveexec_b64 s[36:37], s[44:45]
	s_cbranch_execz .LBB1843_666
.LBB1843_673:                           ;   in Loop: Header=BB1843_566 Depth=2
	v_lshlrev_b32_e32 v21, 2, v72
	ds_read_b32 v21, v21
	ds_read_b64 v[22:23], v20 offset:10240
	v_mov_b32_e32 v95, v4
	v_mov_b32_e32 v93, s67
	s_waitcnt lgkmcnt(1)
	v_add_u32_e32 v94, v21, v30
	v_lshlrev_b64 v[94:95], 3, v[94:95]
	v_add_co_u32_e32 v94, vcc, s66, v94
	v_addc_co_u32_e32 v95, vcc, v93, v95, vcc
	s_waitcnt lgkmcnt(0)
	global_store_dwordx2 v[94:95], v[22:23], off
	s_or_b64 exec, exec, s[36:37]
	s_and_saveexec_b64 s[36:37], s[46:47]
	s_cbranch_execnz .LBB1843_667
.LBB1843_674:                           ;   in Loop: Header=BB1843_566 Depth=2
	s_or_b64 exec, exec, s[36:37]
	s_and_saveexec_b64 s[36:37], s[48:49]
	s_cbranch_execz .LBB1843_676
.LBB1843_675:                           ;   in Loop: Header=BB1843_566 Depth=2
	v_lshlrev_b32_e32 v21, 2, v70
	ds_read_b32 v22, v21
	ds_read_b64 v[20:21], v20 offset:14336
	v_mov_b32_e32 v23, v4
	v_mov_b32_e32 v93, s67
	s_waitcnt lgkmcnt(1)
	v_add_u32_e32 v22, v22, v32
	v_lshlrev_b64 v[22:23], 3, v[22:23]
	v_add_co_u32_e32 v22, vcc, s66, v22
	v_addc_co_u32_e32 v23, vcc, v93, v23, vcc
	s_waitcnt lgkmcnt(0)
	global_store_dwordx2 v[22:23], v[20:21], off
.LBB1843_676:                           ;   in Loop: Header=BB1843_566 Depth=2
	s_or_b64 exec, exec, s[36:37]
	s_barrier
	s_and_saveexec_b64 s[36:37], s[4:5]
	s_cbranch_execz .LBB1843_565
; %bb.677:                              ;   in Loop: Header=BB1843_566 Depth=2
	ds_read_b32 v20, v3
	s_waitcnt lgkmcnt(0)
	v_add_u32_e32 v5, v20, v5
	ds_write_b32 v3, v5
	s_branch .LBB1843_565
.LBB1843_678:
	s_endpgm
	.section	.rodata,"a",@progbits
	.p2align	6, 0x0
	.amdhsa_kernel _ZN7rocprim17ROCPRIM_400000_NS6detail17trampoline_kernelINS0_14default_configENS1_36segmented_radix_sort_config_selectorI6__halflEEZNS1_25segmented_radix_sort_implIS3_Lb0EPKS5_PS5_PKlPlN2at6native12_GLOBAL__N_18offset_tEEE10hipError_tPvRmT1_PNSt15iterator_traitsISL_E10value_typeET2_T3_PNSM_ISR_E10value_typeET4_jRbjT5_SX_jjP12ihipStream_tbEUlT_E_NS1_11comp_targetILNS1_3genE4ELNS1_11target_archE910ELNS1_3gpuE8ELNS1_3repE0EEENS1_30default_config_static_selectorELNS0_4arch9wavefront6targetE1EEEvSL_
		.amdhsa_group_segment_fixed_size 17424
		.amdhsa_private_segment_fixed_size 8
		.amdhsa_kernarg_size 352
		.amdhsa_user_sgpr_count 8
		.amdhsa_user_sgpr_private_segment_buffer 1
		.amdhsa_user_sgpr_dispatch_ptr 0
		.amdhsa_user_sgpr_queue_ptr 0
		.amdhsa_user_sgpr_kernarg_segment_ptr 1
		.amdhsa_user_sgpr_dispatch_id 0
		.amdhsa_user_sgpr_flat_scratch_init 1
		.amdhsa_user_sgpr_kernarg_preload_length 0
		.amdhsa_user_sgpr_kernarg_preload_offset 0
		.amdhsa_user_sgpr_private_segment_size 0
		.amdhsa_uses_dynamic_stack 0
		.amdhsa_system_sgpr_private_segment_wavefront_offset 1
		.amdhsa_system_sgpr_workgroup_id_x 1
		.amdhsa_system_sgpr_workgroup_id_y 1
		.amdhsa_system_sgpr_workgroup_id_z 0
		.amdhsa_system_sgpr_workgroup_info 0
		.amdhsa_system_vgpr_workitem_id 2
		.amdhsa_next_free_vgpr 178
		.amdhsa_next_free_sgpr 81
		.amdhsa_accum_offset 180
		.amdhsa_reserve_vcc 1
		.amdhsa_reserve_flat_scratch 1
		.amdhsa_float_round_mode_32 0
		.amdhsa_float_round_mode_16_64 0
		.amdhsa_float_denorm_mode_32 3
		.amdhsa_float_denorm_mode_16_64 3
		.amdhsa_dx10_clamp 1
		.amdhsa_ieee_mode 1
		.amdhsa_fp16_overflow 0
		.amdhsa_tg_split 0
		.amdhsa_exception_fp_ieee_invalid_op 0
		.amdhsa_exception_fp_denorm_src 0
		.amdhsa_exception_fp_ieee_div_zero 0
		.amdhsa_exception_fp_ieee_overflow 0
		.amdhsa_exception_fp_ieee_underflow 0
		.amdhsa_exception_fp_ieee_inexact 0
		.amdhsa_exception_int_div_zero 0
	.end_amdhsa_kernel
	.section	.text._ZN7rocprim17ROCPRIM_400000_NS6detail17trampoline_kernelINS0_14default_configENS1_36segmented_radix_sort_config_selectorI6__halflEEZNS1_25segmented_radix_sort_implIS3_Lb0EPKS5_PS5_PKlPlN2at6native12_GLOBAL__N_18offset_tEEE10hipError_tPvRmT1_PNSt15iterator_traitsISL_E10value_typeET2_T3_PNSM_ISR_E10value_typeET4_jRbjT5_SX_jjP12ihipStream_tbEUlT_E_NS1_11comp_targetILNS1_3genE4ELNS1_11target_archE910ELNS1_3gpuE8ELNS1_3repE0EEENS1_30default_config_static_selectorELNS0_4arch9wavefront6targetE1EEEvSL_,"axG",@progbits,_ZN7rocprim17ROCPRIM_400000_NS6detail17trampoline_kernelINS0_14default_configENS1_36segmented_radix_sort_config_selectorI6__halflEEZNS1_25segmented_radix_sort_implIS3_Lb0EPKS5_PS5_PKlPlN2at6native12_GLOBAL__N_18offset_tEEE10hipError_tPvRmT1_PNSt15iterator_traitsISL_E10value_typeET2_T3_PNSM_ISR_E10value_typeET4_jRbjT5_SX_jjP12ihipStream_tbEUlT_E_NS1_11comp_targetILNS1_3genE4ELNS1_11target_archE910ELNS1_3gpuE8ELNS1_3repE0EEENS1_30default_config_static_selectorELNS0_4arch9wavefront6targetE1EEEvSL_,comdat
.Lfunc_end1843:
	.size	_ZN7rocprim17ROCPRIM_400000_NS6detail17trampoline_kernelINS0_14default_configENS1_36segmented_radix_sort_config_selectorI6__halflEEZNS1_25segmented_radix_sort_implIS3_Lb0EPKS5_PS5_PKlPlN2at6native12_GLOBAL__N_18offset_tEEE10hipError_tPvRmT1_PNSt15iterator_traitsISL_E10value_typeET2_T3_PNSM_ISR_E10value_typeET4_jRbjT5_SX_jjP12ihipStream_tbEUlT_E_NS1_11comp_targetILNS1_3genE4ELNS1_11target_archE910ELNS1_3gpuE8ELNS1_3repE0EEENS1_30default_config_static_selectorELNS0_4arch9wavefront6targetE1EEEvSL_, .Lfunc_end1843-_ZN7rocprim17ROCPRIM_400000_NS6detail17trampoline_kernelINS0_14default_configENS1_36segmented_radix_sort_config_selectorI6__halflEEZNS1_25segmented_radix_sort_implIS3_Lb0EPKS5_PS5_PKlPlN2at6native12_GLOBAL__N_18offset_tEEE10hipError_tPvRmT1_PNSt15iterator_traitsISL_E10value_typeET2_T3_PNSM_ISR_E10value_typeET4_jRbjT5_SX_jjP12ihipStream_tbEUlT_E_NS1_11comp_targetILNS1_3genE4ELNS1_11target_archE910ELNS1_3gpuE8ELNS1_3repE0EEENS1_30default_config_static_selectorELNS0_4arch9wavefront6targetE1EEEvSL_
                                        ; -- End function
	.section	.AMDGPU.csdata,"",@progbits
; Kernel info:
; codeLenInByte = 38496
; NumSgprs: 87
; NumVgprs: 178
; NumAgprs: 0
; TotalNumVgprs: 178
; ScratchSize: 8
; MemoryBound: 0
; FloatMode: 240
; IeeeMode: 1
; LDSByteSize: 17424 bytes/workgroup (compile time only)
; SGPRBlocks: 10
; VGPRBlocks: 22
; NumSGPRsForWavesPerEU: 87
; NumVGPRsForWavesPerEU: 178
; AccumOffset: 180
; Occupancy: 2
; WaveLimiterHint : 1
; COMPUTE_PGM_RSRC2:SCRATCH_EN: 1
; COMPUTE_PGM_RSRC2:USER_SGPR: 8
; COMPUTE_PGM_RSRC2:TRAP_HANDLER: 0
; COMPUTE_PGM_RSRC2:TGID_X_EN: 1
; COMPUTE_PGM_RSRC2:TGID_Y_EN: 1
; COMPUTE_PGM_RSRC2:TGID_Z_EN: 0
; COMPUTE_PGM_RSRC2:TIDIG_COMP_CNT: 2
; COMPUTE_PGM_RSRC3_GFX90A:ACCUM_OFFSET: 44
; COMPUTE_PGM_RSRC3_GFX90A:TG_SPLIT: 0
	.section	.text._ZN7rocprim17ROCPRIM_400000_NS6detail17trampoline_kernelINS0_14default_configENS1_36segmented_radix_sort_config_selectorI6__halflEEZNS1_25segmented_radix_sort_implIS3_Lb0EPKS5_PS5_PKlPlN2at6native12_GLOBAL__N_18offset_tEEE10hipError_tPvRmT1_PNSt15iterator_traitsISL_E10value_typeET2_T3_PNSM_ISR_E10value_typeET4_jRbjT5_SX_jjP12ihipStream_tbEUlT_E_NS1_11comp_targetILNS1_3genE3ELNS1_11target_archE908ELNS1_3gpuE7ELNS1_3repE0EEENS1_30default_config_static_selectorELNS0_4arch9wavefront6targetE1EEEvSL_,"axG",@progbits,_ZN7rocprim17ROCPRIM_400000_NS6detail17trampoline_kernelINS0_14default_configENS1_36segmented_radix_sort_config_selectorI6__halflEEZNS1_25segmented_radix_sort_implIS3_Lb0EPKS5_PS5_PKlPlN2at6native12_GLOBAL__N_18offset_tEEE10hipError_tPvRmT1_PNSt15iterator_traitsISL_E10value_typeET2_T3_PNSM_ISR_E10value_typeET4_jRbjT5_SX_jjP12ihipStream_tbEUlT_E_NS1_11comp_targetILNS1_3genE3ELNS1_11target_archE908ELNS1_3gpuE7ELNS1_3repE0EEENS1_30default_config_static_selectorELNS0_4arch9wavefront6targetE1EEEvSL_,comdat
	.globl	_ZN7rocprim17ROCPRIM_400000_NS6detail17trampoline_kernelINS0_14default_configENS1_36segmented_radix_sort_config_selectorI6__halflEEZNS1_25segmented_radix_sort_implIS3_Lb0EPKS5_PS5_PKlPlN2at6native12_GLOBAL__N_18offset_tEEE10hipError_tPvRmT1_PNSt15iterator_traitsISL_E10value_typeET2_T3_PNSM_ISR_E10value_typeET4_jRbjT5_SX_jjP12ihipStream_tbEUlT_E_NS1_11comp_targetILNS1_3genE3ELNS1_11target_archE908ELNS1_3gpuE7ELNS1_3repE0EEENS1_30default_config_static_selectorELNS0_4arch9wavefront6targetE1EEEvSL_ ; -- Begin function _ZN7rocprim17ROCPRIM_400000_NS6detail17trampoline_kernelINS0_14default_configENS1_36segmented_radix_sort_config_selectorI6__halflEEZNS1_25segmented_radix_sort_implIS3_Lb0EPKS5_PS5_PKlPlN2at6native12_GLOBAL__N_18offset_tEEE10hipError_tPvRmT1_PNSt15iterator_traitsISL_E10value_typeET2_T3_PNSM_ISR_E10value_typeET4_jRbjT5_SX_jjP12ihipStream_tbEUlT_E_NS1_11comp_targetILNS1_3genE3ELNS1_11target_archE908ELNS1_3gpuE7ELNS1_3repE0EEENS1_30default_config_static_selectorELNS0_4arch9wavefront6targetE1EEEvSL_
	.p2align	8
	.type	_ZN7rocprim17ROCPRIM_400000_NS6detail17trampoline_kernelINS0_14default_configENS1_36segmented_radix_sort_config_selectorI6__halflEEZNS1_25segmented_radix_sort_implIS3_Lb0EPKS5_PS5_PKlPlN2at6native12_GLOBAL__N_18offset_tEEE10hipError_tPvRmT1_PNSt15iterator_traitsISL_E10value_typeET2_T3_PNSM_ISR_E10value_typeET4_jRbjT5_SX_jjP12ihipStream_tbEUlT_E_NS1_11comp_targetILNS1_3genE3ELNS1_11target_archE908ELNS1_3gpuE7ELNS1_3repE0EEENS1_30default_config_static_selectorELNS0_4arch9wavefront6targetE1EEEvSL_,@function
_ZN7rocprim17ROCPRIM_400000_NS6detail17trampoline_kernelINS0_14default_configENS1_36segmented_radix_sort_config_selectorI6__halflEEZNS1_25segmented_radix_sort_implIS3_Lb0EPKS5_PS5_PKlPlN2at6native12_GLOBAL__N_18offset_tEEE10hipError_tPvRmT1_PNSt15iterator_traitsISL_E10value_typeET2_T3_PNSM_ISR_E10value_typeET4_jRbjT5_SX_jjP12ihipStream_tbEUlT_E_NS1_11comp_targetILNS1_3genE3ELNS1_11target_archE908ELNS1_3gpuE7ELNS1_3repE0EEENS1_30default_config_static_selectorELNS0_4arch9wavefront6targetE1EEEvSL_: ; @_ZN7rocprim17ROCPRIM_400000_NS6detail17trampoline_kernelINS0_14default_configENS1_36segmented_radix_sort_config_selectorI6__halflEEZNS1_25segmented_radix_sort_implIS3_Lb0EPKS5_PS5_PKlPlN2at6native12_GLOBAL__N_18offset_tEEE10hipError_tPvRmT1_PNSt15iterator_traitsISL_E10value_typeET2_T3_PNSM_ISR_E10value_typeET4_jRbjT5_SX_jjP12ihipStream_tbEUlT_E_NS1_11comp_targetILNS1_3genE3ELNS1_11target_archE908ELNS1_3gpuE7ELNS1_3repE0EEENS1_30default_config_static_selectorELNS0_4arch9wavefront6targetE1EEEvSL_
; %bb.0:
	.section	.rodata,"a",@progbits
	.p2align	6, 0x0
	.amdhsa_kernel _ZN7rocprim17ROCPRIM_400000_NS6detail17trampoline_kernelINS0_14default_configENS1_36segmented_radix_sort_config_selectorI6__halflEEZNS1_25segmented_radix_sort_implIS3_Lb0EPKS5_PS5_PKlPlN2at6native12_GLOBAL__N_18offset_tEEE10hipError_tPvRmT1_PNSt15iterator_traitsISL_E10value_typeET2_T3_PNSM_ISR_E10value_typeET4_jRbjT5_SX_jjP12ihipStream_tbEUlT_E_NS1_11comp_targetILNS1_3genE3ELNS1_11target_archE908ELNS1_3gpuE7ELNS1_3repE0EEENS1_30default_config_static_selectorELNS0_4arch9wavefront6targetE1EEEvSL_
		.amdhsa_group_segment_fixed_size 0
		.amdhsa_private_segment_fixed_size 0
		.amdhsa_kernarg_size 96
		.amdhsa_user_sgpr_count 6
		.amdhsa_user_sgpr_private_segment_buffer 1
		.amdhsa_user_sgpr_dispatch_ptr 0
		.amdhsa_user_sgpr_queue_ptr 0
		.amdhsa_user_sgpr_kernarg_segment_ptr 1
		.amdhsa_user_sgpr_dispatch_id 0
		.amdhsa_user_sgpr_flat_scratch_init 0
		.amdhsa_user_sgpr_kernarg_preload_length 0
		.amdhsa_user_sgpr_kernarg_preload_offset 0
		.amdhsa_user_sgpr_private_segment_size 0
		.amdhsa_uses_dynamic_stack 0
		.amdhsa_system_sgpr_private_segment_wavefront_offset 0
		.amdhsa_system_sgpr_workgroup_id_x 1
		.amdhsa_system_sgpr_workgroup_id_y 0
		.amdhsa_system_sgpr_workgroup_id_z 0
		.amdhsa_system_sgpr_workgroup_info 0
		.amdhsa_system_vgpr_workitem_id 0
		.amdhsa_next_free_vgpr 1
		.amdhsa_next_free_sgpr 0
		.amdhsa_accum_offset 4
		.amdhsa_reserve_vcc 0
		.amdhsa_reserve_flat_scratch 0
		.amdhsa_float_round_mode_32 0
		.amdhsa_float_round_mode_16_64 0
		.amdhsa_float_denorm_mode_32 3
		.amdhsa_float_denorm_mode_16_64 3
		.amdhsa_dx10_clamp 1
		.amdhsa_ieee_mode 1
		.amdhsa_fp16_overflow 0
		.amdhsa_tg_split 0
		.amdhsa_exception_fp_ieee_invalid_op 0
		.amdhsa_exception_fp_denorm_src 0
		.amdhsa_exception_fp_ieee_div_zero 0
		.amdhsa_exception_fp_ieee_overflow 0
		.amdhsa_exception_fp_ieee_underflow 0
		.amdhsa_exception_fp_ieee_inexact 0
		.amdhsa_exception_int_div_zero 0
	.end_amdhsa_kernel
	.section	.text._ZN7rocprim17ROCPRIM_400000_NS6detail17trampoline_kernelINS0_14default_configENS1_36segmented_radix_sort_config_selectorI6__halflEEZNS1_25segmented_radix_sort_implIS3_Lb0EPKS5_PS5_PKlPlN2at6native12_GLOBAL__N_18offset_tEEE10hipError_tPvRmT1_PNSt15iterator_traitsISL_E10value_typeET2_T3_PNSM_ISR_E10value_typeET4_jRbjT5_SX_jjP12ihipStream_tbEUlT_E_NS1_11comp_targetILNS1_3genE3ELNS1_11target_archE908ELNS1_3gpuE7ELNS1_3repE0EEENS1_30default_config_static_selectorELNS0_4arch9wavefront6targetE1EEEvSL_,"axG",@progbits,_ZN7rocprim17ROCPRIM_400000_NS6detail17trampoline_kernelINS0_14default_configENS1_36segmented_radix_sort_config_selectorI6__halflEEZNS1_25segmented_radix_sort_implIS3_Lb0EPKS5_PS5_PKlPlN2at6native12_GLOBAL__N_18offset_tEEE10hipError_tPvRmT1_PNSt15iterator_traitsISL_E10value_typeET2_T3_PNSM_ISR_E10value_typeET4_jRbjT5_SX_jjP12ihipStream_tbEUlT_E_NS1_11comp_targetILNS1_3genE3ELNS1_11target_archE908ELNS1_3gpuE7ELNS1_3repE0EEENS1_30default_config_static_selectorELNS0_4arch9wavefront6targetE1EEEvSL_,comdat
.Lfunc_end1844:
	.size	_ZN7rocprim17ROCPRIM_400000_NS6detail17trampoline_kernelINS0_14default_configENS1_36segmented_radix_sort_config_selectorI6__halflEEZNS1_25segmented_radix_sort_implIS3_Lb0EPKS5_PS5_PKlPlN2at6native12_GLOBAL__N_18offset_tEEE10hipError_tPvRmT1_PNSt15iterator_traitsISL_E10value_typeET2_T3_PNSM_ISR_E10value_typeET4_jRbjT5_SX_jjP12ihipStream_tbEUlT_E_NS1_11comp_targetILNS1_3genE3ELNS1_11target_archE908ELNS1_3gpuE7ELNS1_3repE0EEENS1_30default_config_static_selectorELNS0_4arch9wavefront6targetE1EEEvSL_, .Lfunc_end1844-_ZN7rocprim17ROCPRIM_400000_NS6detail17trampoline_kernelINS0_14default_configENS1_36segmented_radix_sort_config_selectorI6__halflEEZNS1_25segmented_radix_sort_implIS3_Lb0EPKS5_PS5_PKlPlN2at6native12_GLOBAL__N_18offset_tEEE10hipError_tPvRmT1_PNSt15iterator_traitsISL_E10value_typeET2_T3_PNSM_ISR_E10value_typeET4_jRbjT5_SX_jjP12ihipStream_tbEUlT_E_NS1_11comp_targetILNS1_3genE3ELNS1_11target_archE908ELNS1_3gpuE7ELNS1_3repE0EEENS1_30default_config_static_selectorELNS0_4arch9wavefront6targetE1EEEvSL_
                                        ; -- End function
	.section	.AMDGPU.csdata,"",@progbits
; Kernel info:
; codeLenInByte = 0
; NumSgprs: 4
; NumVgprs: 0
; NumAgprs: 0
; TotalNumVgprs: 0
; ScratchSize: 0
; MemoryBound: 0
; FloatMode: 240
; IeeeMode: 1
; LDSByteSize: 0 bytes/workgroup (compile time only)
; SGPRBlocks: 0
; VGPRBlocks: 0
; NumSGPRsForWavesPerEU: 4
; NumVGPRsForWavesPerEU: 1
; AccumOffset: 4
; Occupancy: 8
; WaveLimiterHint : 0
; COMPUTE_PGM_RSRC2:SCRATCH_EN: 0
; COMPUTE_PGM_RSRC2:USER_SGPR: 6
; COMPUTE_PGM_RSRC2:TRAP_HANDLER: 0
; COMPUTE_PGM_RSRC2:TGID_X_EN: 1
; COMPUTE_PGM_RSRC2:TGID_Y_EN: 0
; COMPUTE_PGM_RSRC2:TGID_Z_EN: 0
; COMPUTE_PGM_RSRC2:TIDIG_COMP_CNT: 0
; COMPUTE_PGM_RSRC3_GFX90A:ACCUM_OFFSET: 0
; COMPUTE_PGM_RSRC3_GFX90A:TG_SPLIT: 0
	.section	.text._ZN7rocprim17ROCPRIM_400000_NS6detail17trampoline_kernelINS0_14default_configENS1_36segmented_radix_sort_config_selectorI6__halflEEZNS1_25segmented_radix_sort_implIS3_Lb0EPKS5_PS5_PKlPlN2at6native12_GLOBAL__N_18offset_tEEE10hipError_tPvRmT1_PNSt15iterator_traitsISL_E10value_typeET2_T3_PNSM_ISR_E10value_typeET4_jRbjT5_SX_jjP12ihipStream_tbEUlT_E_NS1_11comp_targetILNS1_3genE2ELNS1_11target_archE906ELNS1_3gpuE6ELNS1_3repE0EEENS1_30default_config_static_selectorELNS0_4arch9wavefront6targetE1EEEvSL_,"axG",@progbits,_ZN7rocprim17ROCPRIM_400000_NS6detail17trampoline_kernelINS0_14default_configENS1_36segmented_radix_sort_config_selectorI6__halflEEZNS1_25segmented_radix_sort_implIS3_Lb0EPKS5_PS5_PKlPlN2at6native12_GLOBAL__N_18offset_tEEE10hipError_tPvRmT1_PNSt15iterator_traitsISL_E10value_typeET2_T3_PNSM_ISR_E10value_typeET4_jRbjT5_SX_jjP12ihipStream_tbEUlT_E_NS1_11comp_targetILNS1_3genE2ELNS1_11target_archE906ELNS1_3gpuE6ELNS1_3repE0EEENS1_30default_config_static_selectorELNS0_4arch9wavefront6targetE1EEEvSL_,comdat
	.globl	_ZN7rocprim17ROCPRIM_400000_NS6detail17trampoline_kernelINS0_14default_configENS1_36segmented_radix_sort_config_selectorI6__halflEEZNS1_25segmented_radix_sort_implIS3_Lb0EPKS5_PS5_PKlPlN2at6native12_GLOBAL__N_18offset_tEEE10hipError_tPvRmT1_PNSt15iterator_traitsISL_E10value_typeET2_T3_PNSM_ISR_E10value_typeET4_jRbjT5_SX_jjP12ihipStream_tbEUlT_E_NS1_11comp_targetILNS1_3genE2ELNS1_11target_archE906ELNS1_3gpuE6ELNS1_3repE0EEENS1_30default_config_static_selectorELNS0_4arch9wavefront6targetE1EEEvSL_ ; -- Begin function _ZN7rocprim17ROCPRIM_400000_NS6detail17trampoline_kernelINS0_14default_configENS1_36segmented_radix_sort_config_selectorI6__halflEEZNS1_25segmented_radix_sort_implIS3_Lb0EPKS5_PS5_PKlPlN2at6native12_GLOBAL__N_18offset_tEEE10hipError_tPvRmT1_PNSt15iterator_traitsISL_E10value_typeET2_T3_PNSM_ISR_E10value_typeET4_jRbjT5_SX_jjP12ihipStream_tbEUlT_E_NS1_11comp_targetILNS1_3genE2ELNS1_11target_archE906ELNS1_3gpuE6ELNS1_3repE0EEENS1_30default_config_static_selectorELNS0_4arch9wavefront6targetE1EEEvSL_
	.p2align	8
	.type	_ZN7rocprim17ROCPRIM_400000_NS6detail17trampoline_kernelINS0_14default_configENS1_36segmented_radix_sort_config_selectorI6__halflEEZNS1_25segmented_radix_sort_implIS3_Lb0EPKS5_PS5_PKlPlN2at6native12_GLOBAL__N_18offset_tEEE10hipError_tPvRmT1_PNSt15iterator_traitsISL_E10value_typeET2_T3_PNSM_ISR_E10value_typeET4_jRbjT5_SX_jjP12ihipStream_tbEUlT_E_NS1_11comp_targetILNS1_3genE2ELNS1_11target_archE906ELNS1_3gpuE6ELNS1_3repE0EEENS1_30default_config_static_selectorELNS0_4arch9wavefront6targetE1EEEvSL_,@function
_ZN7rocprim17ROCPRIM_400000_NS6detail17trampoline_kernelINS0_14default_configENS1_36segmented_radix_sort_config_selectorI6__halflEEZNS1_25segmented_radix_sort_implIS3_Lb0EPKS5_PS5_PKlPlN2at6native12_GLOBAL__N_18offset_tEEE10hipError_tPvRmT1_PNSt15iterator_traitsISL_E10value_typeET2_T3_PNSM_ISR_E10value_typeET4_jRbjT5_SX_jjP12ihipStream_tbEUlT_E_NS1_11comp_targetILNS1_3genE2ELNS1_11target_archE906ELNS1_3gpuE6ELNS1_3repE0EEENS1_30default_config_static_selectorELNS0_4arch9wavefront6targetE1EEEvSL_: ; @_ZN7rocprim17ROCPRIM_400000_NS6detail17trampoline_kernelINS0_14default_configENS1_36segmented_radix_sort_config_selectorI6__halflEEZNS1_25segmented_radix_sort_implIS3_Lb0EPKS5_PS5_PKlPlN2at6native12_GLOBAL__N_18offset_tEEE10hipError_tPvRmT1_PNSt15iterator_traitsISL_E10value_typeET2_T3_PNSM_ISR_E10value_typeET4_jRbjT5_SX_jjP12ihipStream_tbEUlT_E_NS1_11comp_targetILNS1_3genE2ELNS1_11target_archE906ELNS1_3gpuE6ELNS1_3repE0EEENS1_30default_config_static_selectorELNS0_4arch9wavefront6targetE1EEEvSL_
; %bb.0:
	.section	.rodata,"a",@progbits
	.p2align	6, 0x0
	.amdhsa_kernel _ZN7rocprim17ROCPRIM_400000_NS6detail17trampoline_kernelINS0_14default_configENS1_36segmented_radix_sort_config_selectorI6__halflEEZNS1_25segmented_radix_sort_implIS3_Lb0EPKS5_PS5_PKlPlN2at6native12_GLOBAL__N_18offset_tEEE10hipError_tPvRmT1_PNSt15iterator_traitsISL_E10value_typeET2_T3_PNSM_ISR_E10value_typeET4_jRbjT5_SX_jjP12ihipStream_tbEUlT_E_NS1_11comp_targetILNS1_3genE2ELNS1_11target_archE906ELNS1_3gpuE6ELNS1_3repE0EEENS1_30default_config_static_selectorELNS0_4arch9wavefront6targetE1EEEvSL_
		.amdhsa_group_segment_fixed_size 0
		.amdhsa_private_segment_fixed_size 0
		.amdhsa_kernarg_size 96
		.amdhsa_user_sgpr_count 6
		.amdhsa_user_sgpr_private_segment_buffer 1
		.amdhsa_user_sgpr_dispatch_ptr 0
		.amdhsa_user_sgpr_queue_ptr 0
		.amdhsa_user_sgpr_kernarg_segment_ptr 1
		.amdhsa_user_sgpr_dispatch_id 0
		.amdhsa_user_sgpr_flat_scratch_init 0
		.amdhsa_user_sgpr_kernarg_preload_length 0
		.amdhsa_user_sgpr_kernarg_preload_offset 0
		.amdhsa_user_sgpr_private_segment_size 0
		.amdhsa_uses_dynamic_stack 0
		.amdhsa_system_sgpr_private_segment_wavefront_offset 0
		.amdhsa_system_sgpr_workgroup_id_x 1
		.amdhsa_system_sgpr_workgroup_id_y 0
		.amdhsa_system_sgpr_workgroup_id_z 0
		.amdhsa_system_sgpr_workgroup_info 0
		.amdhsa_system_vgpr_workitem_id 0
		.amdhsa_next_free_vgpr 1
		.amdhsa_next_free_sgpr 0
		.amdhsa_accum_offset 4
		.amdhsa_reserve_vcc 0
		.amdhsa_reserve_flat_scratch 0
		.amdhsa_float_round_mode_32 0
		.amdhsa_float_round_mode_16_64 0
		.amdhsa_float_denorm_mode_32 3
		.amdhsa_float_denorm_mode_16_64 3
		.amdhsa_dx10_clamp 1
		.amdhsa_ieee_mode 1
		.amdhsa_fp16_overflow 0
		.amdhsa_tg_split 0
		.amdhsa_exception_fp_ieee_invalid_op 0
		.amdhsa_exception_fp_denorm_src 0
		.amdhsa_exception_fp_ieee_div_zero 0
		.amdhsa_exception_fp_ieee_overflow 0
		.amdhsa_exception_fp_ieee_underflow 0
		.amdhsa_exception_fp_ieee_inexact 0
		.amdhsa_exception_int_div_zero 0
	.end_amdhsa_kernel
	.section	.text._ZN7rocprim17ROCPRIM_400000_NS6detail17trampoline_kernelINS0_14default_configENS1_36segmented_radix_sort_config_selectorI6__halflEEZNS1_25segmented_radix_sort_implIS3_Lb0EPKS5_PS5_PKlPlN2at6native12_GLOBAL__N_18offset_tEEE10hipError_tPvRmT1_PNSt15iterator_traitsISL_E10value_typeET2_T3_PNSM_ISR_E10value_typeET4_jRbjT5_SX_jjP12ihipStream_tbEUlT_E_NS1_11comp_targetILNS1_3genE2ELNS1_11target_archE906ELNS1_3gpuE6ELNS1_3repE0EEENS1_30default_config_static_selectorELNS0_4arch9wavefront6targetE1EEEvSL_,"axG",@progbits,_ZN7rocprim17ROCPRIM_400000_NS6detail17trampoline_kernelINS0_14default_configENS1_36segmented_radix_sort_config_selectorI6__halflEEZNS1_25segmented_radix_sort_implIS3_Lb0EPKS5_PS5_PKlPlN2at6native12_GLOBAL__N_18offset_tEEE10hipError_tPvRmT1_PNSt15iterator_traitsISL_E10value_typeET2_T3_PNSM_ISR_E10value_typeET4_jRbjT5_SX_jjP12ihipStream_tbEUlT_E_NS1_11comp_targetILNS1_3genE2ELNS1_11target_archE906ELNS1_3gpuE6ELNS1_3repE0EEENS1_30default_config_static_selectorELNS0_4arch9wavefront6targetE1EEEvSL_,comdat
.Lfunc_end1845:
	.size	_ZN7rocprim17ROCPRIM_400000_NS6detail17trampoline_kernelINS0_14default_configENS1_36segmented_radix_sort_config_selectorI6__halflEEZNS1_25segmented_radix_sort_implIS3_Lb0EPKS5_PS5_PKlPlN2at6native12_GLOBAL__N_18offset_tEEE10hipError_tPvRmT1_PNSt15iterator_traitsISL_E10value_typeET2_T3_PNSM_ISR_E10value_typeET4_jRbjT5_SX_jjP12ihipStream_tbEUlT_E_NS1_11comp_targetILNS1_3genE2ELNS1_11target_archE906ELNS1_3gpuE6ELNS1_3repE0EEENS1_30default_config_static_selectorELNS0_4arch9wavefront6targetE1EEEvSL_, .Lfunc_end1845-_ZN7rocprim17ROCPRIM_400000_NS6detail17trampoline_kernelINS0_14default_configENS1_36segmented_radix_sort_config_selectorI6__halflEEZNS1_25segmented_radix_sort_implIS3_Lb0EPKS5_PS5_PKlPlN2at6native12_GLOBAL__N_18offset_tEEE10hipError_tPvRmT1_PNSt15iterator_traitsISL_E10value_typeET2_T3_PNSM_ISR_E10value_typeET4_jRbjT5_SX_jjP12ihipStream_tbEUlT_E_NS1_11comp_targetILNS1_3genE2ELNS1_11target_archE906ELNS1_3gpuE6ELNS1_3repE0EEENS1_30default_config_static_selectorELNS0_4arch9wavefront6targetE1EEEvSL_
                                        ; -- End function
	.section	.AMDGPU.csdata,"",@progbits
; Kernel info:
; codeLenInByte = 0
; NumSgprs: 4
; NumVgprs: 0
; NumAgprs: 0
; TotalNumVgprs: 0
; ScratchSize: 0
; MemoryBound: 0
; FloatMode: 240
; IeeeMode: 1
; LDSByteSize: 0 bytes/workgroup (compile time only)
; SGPRBlocks: 0
; VGPRBlocks: 0
; NumSGPRsForWavesPerEU: 4
; NumVGPRsForWavesPerEU: 1
; AccumOffset: 4
; Occupancy: 8
; WaveLimiterHint : 0
; COMPUTE_PGM_RSRC2:SCRATCH_EN: 0
; COMPUTE_PGM_RSRC2:USER_SGPR: 6
; COMPUTE_PGM_RSRC2:TRAP_HANDLER: 0
; COMPUTE_PGM_RSRC2:TGID_X_EN: 1
; COMPUTE_PGM_RSRC2:TGID_Y_EN: 0
; COMPUTE_PGM_RSRC2:TGID_Z_EN: 0
; COMPUTE_PGM_RSRC2:TIDIG_COMP_CNT: 0
; COMPUTE_PGM_RSRC3_GFX90A:ACCUM_OFFSET: 0
; COMPUTE_PGM_RSRC3_GFX90A:TG_SPLIT: 0
	.section	.text._ZN7rocprim17ROCPRIM_400000_NS6detail17trampoline_kernelINS0_14default_configENS1_36segmented_radix_sort_config_selectorI6__halflEEZNS1_25segmented_radix_sort_implIS3_Lb0EPKS5_PS5_PKlPlN2at6native12_GLOBAL__N_18offset_tEEE10hipError_tPvRmT1_PNSt15iterator_traitsISL_E10value_typeET2_T3_PNSM_ISR_E10value_typeET4_jRbjT5_SX_jjP12ihipStream_tbEUlT_E_NS1_11comp_targetILNS1_3genE10ELNS1_11target_archE1201ELNS1_3gpuE5ELNS1_3repE0EEENS1_30default_config_static_selectorELNS0_4arch9wavefront6targetE1EEEvSL_,"axG",@progbits,_ZN7rocprim17ROCPRIM_400000_NS6detail17trampoline_kernelINS0_14default_configENS1_36segmented_radix_sort_config_selectorI6__halflEEZNS1_25segmented_radix_sort_implIS3_Lb0EPKS5_PS5_PKlPlN2at6native12_GLOBAL__N_18offset_tEEE10hipError_tPvRmT1_PNSt15iterator_traitsISL_E10value_typeET2_T3_PNSM_ISR_E10value_typeET4_jRbjT5_SX_jjP12ihipStream_tbEUlT_E_NS1_11comp_targetILNS1_3genE10ELNS1_11target_archE1201ELNS1_3gpuE5ELNS1_3repE0EEENS1_30default_config_static_selectorELNS0_4arch9wavefront6targetE1EEEvSL_,comdat
	.globl	_ZN7rocprim17ROCPRIM_400000_NS6detail17trampoline_kernelINS0_14default_configENS1_36segmented_radix_sort_config_selectorI6__halflEEZNS1_25segmented_radix_sort_implIS3_Lb0EPKS5_PS5_PKlPlN2at6native12_GLOBAL__N_18offset_tEEE10hipError_tPvRmT1_PNSt15iterator_traitsISL_E10value_typeET2_T3_PNSM_ISR_E10value_typeET4_jRbjT5_SX_jjP12ihipStream_tbEUlT_E_NS1_11comp_targetILNS1_3genE10ELNS1_11target_archE1201ELNS1_3gpuE5ELNS1_3repE0EEENS1_30default_config_static_selectorELNS0_4arch9wavefront6targetE1EEEvSL_ ; -- Begin function _ZN7rocprim17ROCPRIM_400000_NS6detail17trampoline_kernelINS0_14default_configENS1_36segmented_radix_sort_config_selectorI6__halflEEZNS1_25segmented_radix_sort_implIS3_Lb0EPKS5_PS5_PKlPlN2at6native12_GLOBAL__N_18offset_tEEE10hipError_tPvRmT1_PNSt15iterator_traitsISL_E10value_typeET2_T3_PNSM_ISR_E10value_typeET4_jRbjT5_SX_jjP12ihipStream_tbEUlT_E_NS1_11comp_targetILNS1_3genE10ELNS1_11target_archE1201ELNS1_3gpuE5ELNS1_3repE0EEENS1_30default_config_static_selectorELNS0_4arch9wavefront6targetE1EEEvSL_
	.p2align	8
	.type	_ZN7rocprim17ROCPRIM_400000_NS6detail17trampoline_kernelINS0_14default_configENS1_36segmented_radix_sort_config_selectorI6__halflEEZNS1_25segmented_radix_sort_implIS3_Lb0EPKS5_PS5_PKlPlN2at6native12_GLOBAL__N_18offset_tEEE10hipError_tPvRmT1_PNSt15iterator_traitsISL_E10value_typeET2_T3_PNSM_ISR_E10value_typeET4_jRbjT5_SX_jjP12ihipStream_tbEUlT_E_NS1_11comp_targetILNS1_3genE10ELNS1_11target_archE1201ELNS1_3gpuE5ELNS1_3repE0EEENS1_30default_config_static_selectorELNS0_4arch9wavefront6targetE1EEEvSL_,@function
_ZN7rocprim17ROCPRIM_400000_NS6detail17trampoline_kernelINS0_14default_configENS1_36segmented_radix_sort_config_selectorI6__halflEEZNS1_25segmented_radix_sort_implIS3_Lb0EPKS5_PS5_PKlPlN2at6native12_GLOBAL__N_18offset_tEEE10hipError_tPvRmT1_PNSt15iterator_traitsISL_E10value_typeET2_T3_PNSM_ISR_E10value_typeET4_jRbjT5_SX_jjP12ihipStream_tbEUlT_E_NS1_11comp_targetILNS1_3genE10ELNS1_11target_archE1201ELNS1_3gpuE5ELNS1_3repE0EEENS1_30default_config_static_selectorELNS0_4arch9wavefront6targetE1EEEvSL_: ; @_ZN7rocprim17ROCPRIM_400000_NS6detail17trampoline_kernelINS0_14default_configENS1_36segmented_radix_sort_config_selectorI6__halflEEZNS1_25segmented_radix_sort_implIS3_Lb0EPKS5_PS5_PKlPlN2at6native12_GLOBAL__N_18offset_tEEE10hipError_tPvRmT1_PNSt15iterator_traitsISL_E10value_typeET2_T3_PNSM_ISR_E10value_typeET4_jRbjT5_SX_jjP12ihipStream_tbEUlT_E_NS1_11comp_targetILNS1_3genE10ELNS1_11target_archE1201ELNS1_3gpuE5ELNS1_3repE0EEENS1_30default_config_static_selectorELNS0_4arch9wavefront6targetE1EEEvSL_
; %bb.0:
	.section	.rodata,"a",@progbits
	.p2align	6, 0x0
	.amdhsa_kernel _ZN7rocprim17ROCPRIM_400000_NS6detail17trampoline_kernelINS0_14default_configENS1_36segmented_radix_sort_config_selectorI6__halflEEZNS1_25segmented_radix_sort_implIS3_Lb0EPKS5_PS5_PKlPlN2at6native12_GLOBAL__N_18offset_tEEE10hipError_tPvRmT1_PNSt15iterator_traitsISL_E10value_typeET2_T3_PNSM_ISR_E10value_typeET4_jRbjT5_SX_jjP12ihipStream_tbEUlT_E_NS1_11comp_targetILNS1_3genE10ELNS1_11target_archE1201ELNS1_3gpuE5ELNS1_3repE0EEENS1_30default_config_static_selectorELNS0_4arch9wavefront6targetE1EEEvSL_
		.amdhsa_group_segment_fixed_size 0
		.amdhsa_private_segment_fixed_size 0
		.amdhsa_kernarg_size 96
		.amdhsa_user_sgpr_count 6
		.amdhsa_user_sgpr_private_segment_buffer 1
		.amdhsa_user_sgpr_dispatch_ptr 0
		.amdhsa_user_sgpr_queue_ptr 0
		.amdhsa_user_sgpr_kernarg_segment_ptr 1
		.amdhsa_user_sgpr_dispatch_id 0
		.amdhsa_user_sgpr_flat_scratch_init 0
		.amdhsa_user_sgpr_kernarg_preload_length 0
		.amdhsa_user_sgpr_kernarg_preload_offset 0
		.amdhsa_user_sgpr_private_segment_size 0
		.amdhsa_uses_dynamic_stack 0
		.amdhsa_system_sgpr_private_segment_wavefront_offset 0
		.amdhsa_system_sgpr_workgroup_id_x 1
		.amdhsa_system_sgpr_workgroup_id_y 0
		.amdhsa_system_sgpr_workgroup_id_z 0
		.amdhsa_system_sgpr_workgroup_info 0
		.amdhsa_system_vgpr_workitem_id 0
		.amdhsa_next_free_vgpr 1
		.amdhsa_next_free_sgpr 0
		.amdhsa_accum_offset 4
		.amdhsa_reserve_vcc 0
		.amdhsa_reserve_flat_scratch 0
		.amdhsa_float_round_mode_32 0
		.amdhsa_float_round_mode_16_64 0
		.amdhsa_float_denorm_mode_32 3
		.amdhsa_float_denorm_mode_16_64 3
		.amdhsa_dx10_clamp 1
		.amdhsa_ieee_mode 1
		.amdhsa_fp16_overflow 0
		.amdhsa_tg_split 0
		.amdhsa_exception_fp_ieee_invalid_op 0
		.amdhsa_exception_fp_denorm_src 0
		.amdhsa_exception_fp_ieee_div_zero 0
		.amdhsa_exception_fp_ieee_overflow 0
		.amdhsa_exception_fp_ieee_underflow 0
		.amdhsa_exception_fp_ieee_inexact 0
		.amdhsa_exception_int_div_zero 0
	.end_amdhsa_kernel
	.section	.text._ZN7rocprim17ROCPRIM_400000_NS6detail17trampoline_kernelINS0_14default_configENS1_36segmented_radix_sort_config_selectorI6__halflEEZNS1_25segmented_radix_sort_implIS3_Lb0EPKS5_PS5_PKlPlN2at6native12_GLOBAL__N_18offset_tEEE10hipError_tPvRmT1_PNSt15iterator_traitsISL_E10value_typeET2_T3_PNSM_ISR_E10value_typeET4_jRbjT5_SX_jjP12ihipStream_tbEUlT_E_NS1_11comp_targetILNS1_3genE10ELNS1_11target_archE1201ELNS1_3gpuE5ELNS1_3repE0EEENS1_30default_config_static_selectorELNS0_4arch9wavefront6targetE1EEEvSL_,"axG",@progbits,_ZN7rocprim17ROCPRIM_400000_NS6detail17trampoline_kernelINS0_14default_configENS1_36segmented_radix_sort_config_selectorI6__halflEEZNS1_25segmented_radix_sort_implIS3_Lb0EPKS5_PS5_PKlPlN2at6native12_GLOBAL__N_18offset_tEEE10hipError_tPvRmT1_PNSt15iterator_traitsISL_E10value_typeET2_T3_PNSM_ISR_E10value_typeET4_jRbjT5_SX_jjP12ihipStream_tbEUlT_E_NS1_11comp_targetILNS1_3genE10ELNS1_11target_archE1201ELNS1_3gpuE5ELNS1_3repE0EEENS1_30default_config_static_selectorELNS0_4arch9wavefront6targetE1EEEvSL_,comdat
.Lfunc_end1846:
	.size	_ZN7rocprim17ROCPRIM_400000_NS6detail17trampoline_kernelINS0_14default_configENS1_36segmented_radix_sort_config_selectorI6__halflEEZNS1_25segmented_radix_sort_implIS3_Lb0EPKS5_PS5_PKlPlN2at6native12_GLOBAL__N_18offset_tEEE10hipError_tPvRmT1_PNSt15iterator_traitsISL_E10value_typeET2_T3_PNSM_ISR_E10value_typeET4_jRbjT5_SX_jjP12ihipStream_tbEUlT_E_NS1_11comp_targetILNS1_3genE10ELNS1_11target_archE1201ELNS1_3gpuE5ELNS1_3repE0EEENS1_30default_config_static_selectorELNS0_4arch9wavefront6targetE1EEEvSL_, .Lfunc_end1846-_ZN7rocprim17ROCPRIM_400000_NS6detail17trampoline_kernelINS0_14default_configENS1_36segmented_radix_sort_config_selectorI6__halflEEZNS1_25segmented_radix_sort_implIS3_Lb0EPKS5_PS5_PKlPlN2at6native12_GLOBAL__N_18offset_tEEE10hipError_tPvRmT1_PNSt15iterator_traitsISL_E10value_typeET2_T3_PNSM_ISR_E10value_typeET4_jRbjT5_SX_jjP12ihipStream_tbEUlT_E_NS1_11comp_targetILNS1_3genE10ELNS1_11target_archE1201ELNS1_3gpuE5ELNS1_3repE0EEENS1_30default_config_static_selectorELNS0_4arch9wavefront6targetE1EEEvSL_
                                        ; -- End function
	.section	.AMDGPU.csdata,"",@progbits
; Kernel info:
; codeLenInByte = 0
; NumSgprs: 4
; NumVgprs: 0
; NumAgprs: 0
; TotalNumVgprs: 0
; ScratchSize: 0
; MemoryBound: 0
; FloatMode: 240
; IeeeMode: 1
; LDSByteSize: 0 bytes/workgroup (compile time only)
; SGPRBlocks: 0
; VGPRBlocks: 0
; NumSGPRsForWavesPerEU: 4
; NumVGPRsForWavesPerEU: 1
; AccumOffset: 4
; Occupancy: 8
; WaveLimiterHint : 0
; COMPUTE_PGM_RSRC2:SCRATCH_EN: 0
; COMPUTE_PGM_RSRC2:USER_SGPR: 6
; COMPUTE_PGM_RSRC2:TRAP_HANDLER: 0
; COMPUTE_PGM_RSRC2:TGID_X_EN: 1
; COMPUTE_PGM_RSRC2:TGID_Y_EN: 0
; COMPUTE_PGM_RSRC2:TGID_Z_EN: 0
; COMPUTE_PGM_RSRC2:TIDIG_COMP_CNT: 0
; COMPUTE_PGM_RSRC3_GFX90A:ACCUM_OFFSET: 0
; COMPUTE_PGM_RSRC3_GFX90A:TG_SPLIT: 0
	.section	.text._ZN7rocprim17ROCPRIM_400000_NS6detail17trampoline_kernelINS0_14default_configENS1_36segmented_radix_sort_config_selectorI6__halflEEZNS1_25segmented_radix_sort_implIS3_Lb0EPKS5_PS5_PKlPlN2at6native12_GLOBAL__N_18offset_tEEE10hipError_tPvRmT1_PNSt15iterator_traitsISL_E10value_typeET2_T3_PNSM_ISR_E10value_typeET4_jRbjT5_SX_jjP12ihipStream_tbEUlT_E_NS1_11comp_targetILNS1_3genE10ELNS1_11target_archE1200ELNS1_3gpuE4ELNS1_3repE0EEENS1_30default_config_static_selectorELNS0_4arch9wavefront6targetE1EEEvSL_,"axG",@progbits,_ZN7rocprim17ROCPRIM_400000_NS6detail17trampoline_kernelINS0_14default_configENS1_36segmented_radix_sort_config_selectorI6__halflEEZNS1_25segmented_radix_sort_implIS3_Lb0EPKS5_PS5_PKlPlN2at6native12_GLOBAL__N_18offset_tEEE10hipError_tPvRmT1_PNSt15iterator_traitsISL_E10value_typeET2_T3_PNSM_ISR_E10value_typeET4_jRbjT5_SX_jjP12ihipStream_tbEUlT_E_NS1_11comp_targetILNS1_3genE10ELNS1_11target_archE1200ELNS1_3gpuE4ELNS1_3repE0EEENS1_30default_config_static_selectorELNS0_4arch9wavefront6targetE1EEEvSL_,comdat
	.globl	_ZN7rocprim17ROCPRIM_400000_NS6detail17trampoline_kernelINS0_14default_configENS1_36segmented_radix_sort_config_selectorI6__halflEEZNS1_25segmented_radix_sort_implIS3_Lb0EPKS5_PS5_PKlPlN2at6native12_GLOBAL__N_18offset_tEEE10hipError_tPvRmT1_PNSt15iterator_traitsISL_E10value_typeET2_T3_PNSM_ISR_E10value_typeET4_jRbjT5_SX_jjP12ihipStream_tbEUlT_E_NS1_11comp_targetILNS1_3genE10ELNS1_11target_archE1200ELNS1_3gpuE4ELNS1_3repE0EEENS1_30default_config_static_selectorELNS0_4arch9wavefront6targetE1EEEvSL_ ; -- Begin function _ZN7rocprim17ROCPRIM_400000_NS6detail17trampoline_kernelINS0_14default_configENS1_36segmented_radix_sort_config_selectorI6__halflEEZNS1_25segmented_radix_sort_implIS3_Lb0EPKS5_PS5_PKlPlN2at6native12_GLOBAL__N_18offset_tEEE10hipError_tPvRmT1_PNSt15iterator_traitsISL_E10value_typeET2_T3_PNSM_ISR_E10value_typeET4_jRbjT5_SX_jjP12ihipStream_tbEUlT_E_NS1_11comp_targetILNS1_3genE10ELNS1_11target_archE1200ELNS1_3gpuE4ELNS1_3repE0EEENS1_30default_config_static_selectorELNS0_4arch9wavefront6targetE1EEEvSL_
	.p2align	8
	.type	_ZN7rocprim17ROCPRIM_400000_NS6detail17trampoline_kernelINS0_14default_configENS1_36segmented_radix_sort_config_selectorI6__halflEEZNS1_25segmented_radix_sort_implIS3_Lb0EPKS5_PS5_PKlPlN2at6native12_GLOBAL__N_18offset_tEEE10hipError_tPvRmT1_PNSt15iterator_traitsISL_E10value_typeET2_T3_PNSM_ISR_E10value_typeET4_jRbjT5_SX_jjP12ihipStream_tbEUlT_E_NS1_11comp_targetILNS1_3genE10ELNS1_11target_archE1200ELNS1_3gpuE4ELNS1_3repE0EEENS1_30default_config_static_selectorELNS0_4arch9wavefront6targetE1EEEvSL_,@function
_ZN7rocprim17ROCPRIM_400000_NS6detail17trampoline_kernelINS0_14default_configENS1_36segmented_radix_sort_config_selectorI6__halflEEZNS1_25segmented_radix_sort_implIS3_Lb0EPKS5_PS5_PKlPlN2at6native12_GLOBAL__N_18offset_tEEE10hipError_tPvRmT1_PNSt15iterator_traitsISL_E10value_typeET2_T3_PNSM_ISR_E10value_typeET4_jRbjT5_SX_jjP12ihipStream_tbEUlT_E_NS1_11comp_targetILNS1_3genE10ELNS1_11target_archE1200ELNS1_3gpuE4ELNS1_3repE0EEENS1_30default_config_static_selectorELNS0_4arch9wavefront6targetE1EEEvSL_: ; @_ZN7rocprim17ROCPRIM_400000_NS6detail17trampoline_kernelINS0_14default_configENS1_36segmented_radix_sort_config_selectorI6__halflEEZNS1_25segmented_radix_sort_implIS3_Lb0EPKS5_PS5_PKlPlN2at6native12_GLOBAL__N_18offset_tEEE10hipError_tPvRmT1_PNSt15iterator_traitsISL_E10value_typeET2_T3_PNSM_ISR_E10value_typeET4_jRbjT5_SX_jjP12ihipStream_tbEUlT_E_NS1_11comp_targetILNS1_3genE10ELNS1_11target_archE1200ELNS1_3gpuE4ELNS1_3repE0EEENS1_30default_config_static_selectorELNS0_4arch9wavefront6targetE1EEEvSL_
; %bb.0:
	.section	.rodata,"a",@progbits
	.p2align	6, 0x0
	.amdhsa_kernel _ZN7rocprim17ROCPRIM_400000_NS6detail17trampoline_kernelINS0_14default_configENS1_36segmented_radix_sort_config_selectorI6__halflEEZNS1_25segmented_radix_sort_implIS3_Lb0EPKS5_PS5_PKlPlN2at6native12_GLOBAL__N_18offset_tEEE10hipError_tPvRmT1_PNSt15iterator_traitsISL_E10value_typeET2_T3_PNSM_ISR_E10value_typeET4_jRbjT5_SX_jjP12ihipStream_tbEUlT_E_NS1_11comp_targetILNS1_3genE10ELNS1_11target_archE1200ELNS1_3gpuE4ELNS1_3repE0EEENS1_30default_config_static_selectorELNS0_4arch9wavefront6targetE1EEEvSL_
		.amdhsa_group_segment_fixed_size 0
		.amdhsa_private_segment_fixed_size 0
		.amdhsa_kernarg_size 96
		.amdhsa_user_sgpr_count 6
		.amdhsa_user_sgpr_private_segment_buffer 1
		.amdhsa_user_sgpr_dispatch_ptr 0
		.amdhsa_user_sgpr_queue_ptr 0
		.amdhsa_user_sgpr_kernarg_segment_ptr 1
		.amdhsa_user_sgpr_dispatch_id 0
		.amdhsa_user_sgpr_flat_scratch_init 0
		.amdhsa_user_sgpr_kernarg_preload_length 0
		.amdhsa_user_sgpr_kernarg_preload_offset 0
		.amdhsa_user_sgpr_private_segment_size 0
		.amdhsa_uses_dynamic_stack 0
		.amdhsa_system_sgpr_private_segment_wavefront_offset 0
		.amdhsa_system_sgpr_workgroup_id_x 1
		.amdhsa_system_sgpr_workgroup_id_y 0
		.amdhsa_system_sgpr_workgroup_id_z 0
		.amdhsa_system_sgpr_workgroup_info 0
		.amdhsa_system_vgpr_workitem_id 0
		.amdhsa_next_free_vgpr 1
		.amdhsa_next_free_sgpr 0
		.amdhsa_accum_offset 4
		.amdhsa_reserve_vcc 0
		.amdhsa_reserve_flat_scratch 0
		.amdhsa_float_round_mode_32 0
		.amdhsa_float_round_mode_16_64 0
		.amdhsa_float_denorm_mode_32 3
		.amdhsa_float_denorm_mode_16_64 3
		.amdhsa_dx10_clamp 1
		.amdhsa_ieee_mode 1
		.amdhsa_fp16_overflow 0
		.amdhsa_tg_split 0
		.amdhsa_exception_fp_ieee_invalid_op 0
		.amdhsa_exception_fp_denorm_src 0
		.amdhsa_exception_fp_ieee_div_zero 0
		.amdhsa_exception_fp_ieee_overflow 0
		.amdhsa_exception_fp_ieee_underflow 0
		.amdhsa_exception_fp_ieee_inexact 0
		.amdhsa_exception_int_div_zero 0
	.end_amdhsa_kernel
	.section	.text._ZN7rocprim17ROCPRIM_400000_NS6detail17trampoline_kernelINS0_14default_configENS1_36segmented_radix_sort_config_selectorI6__halflEEZNS1_25segmented_radix_sort_implIS3_Lb0EPKS5_PS5_PKlPlN2at6native12_GLOBAL__N_18offset_tEEE10hipError_tPvRmT1_PNSt15iterator_traitsISL_E10value_typeET2_T3_PNSM_ISR_E10value_typeET4_jRbjT5_SX_jjP12ihipStream_tbEUlT_E_NS1_11comp_targetILNS1_3genE10ELNS1_11target_archE1200ELNS1_3gpuE4ELNS1_3repE0EEENS1_30default_config_static_selectorELNS0_4arch9wavefront6targetE1EEEvSL_,"axG",@progbits,_ZN7rocprim17ROCPRIM_400000_NS6detail17trampoline_kernelINS0_14default_configENS1_36segmented_radix_sort_config_selectorI6__halflEEZNS1_25segmented_radix_sort_implIS3_Lb0EPKS5_PS5_PKlPlN2at6native12_GLOBAL__N_18offset_tEEE10hipError_tPvRmT1_PNSt15iterator_traitsISL_E10value_typeET2_T3_PNSM_ISR_E10value_typeET4_jRbjT5_SX_jjP12ihipStream_tbEUlT_E_NS1_11comp_targetILNS1_3genE10ELNS1_11target_archE1200ELNS1_3gpuE4ELNS1_3repE0EEENS1_30default_config_static_selectorELNS0_4arch9wavefront6targetE1EEEvSL_,comdat
.Lfunc_end1847:
	.size	_ZN7rocprim17ROCPRIM_400000_NS6detail17trampoline_kernelINS0_14default_configENS1_36segmented_radix_sort_config_selectorI6__halflEEZNS1_25segmented_radix_sort_implIS3_Lb0EPKS5_PS5_PKlPlN2at6native12_GLOBAL__N_18offset_tEEE10hipError_tPvRmT1_PNSt15iterator_traitsISL_E10value_typeET2_T3_PNSM_ISR_E10value_typeET4_jRbjT5_SX_jjP12ihipStream_tbEUlT_E_NS1_11comp_targetILNS1_3genE10ELNS1_11target_archE1200ELNS1_3gpuE4ELNS1_3repE0EEENS1_30default_config_static_selectorELNS0_4arch9wavefront6targetE1EEEvSL_, .Lfunc_end1847-_ZN7rocprim17ROCPRIM_400000_NS6detail17trampoline_kernelINS0_14default_configENS1_36segmented_radix_sort_config_selectorI6__halflEEZNS1_25segmented_radix_sort_implIS3_Lb0EPKS5_PS5_PKlPlN2at6native12_GLOBAL__N_18offset_tEEE10hipError_tPvRmT1_PNSt15iterator_traitsISL_E10value_typeET2_T3_PNSM_ISR_E10value_typeET4_jRbjT5_SX_jjP12ihipStream_tbEUlT_E_NS1_11comp_targetILNS1_3genE10ELNS1_11target_archE1200ELNS1_3gpuE4ELNS1_3repE0EEENS1_30default_config_static_selectorELNS0_4arch9wavefront6targetE1EEEvSL_
                                        ; -- End function
	.section	.AMDGPU.csdata,"",@progbits
; Kernel info:
; codeLenInByte = 0
; NumSgprs: 4
; NumVgprs: 0
; NumAgprs: 0
; TotalNumVgprs: 0
; ScratchSize: 0
; MemoryBound: 0
; FloatMode: 240
; IeeeMode: 1
; LDSByteSize: 0 bytes/workgroup (compile time only)
; SGPRBlocks: 0
; VGPRBlocks: 0
; NumSGPRsForWavesPerEU: 4
; NumVGPRsForWavesPerEU: 1
; AccumOffset: 4
; Occupancy: 8
; WaveLimiterHint : 0
; COMPUTE_PGM_RSRC2:SCRATCH_EN: 0
; COMPUTE_PGM_RSRC2:USER_SGPR: 6
; COMPUTE_PGM_RSRC2:TRAP_HANDLER: 0
; COMPUTE_PGM_RSRC2:TGID_X_EN: 1
; COMPUTE_PGM_RSRC2:TGID_Y_EN: 0
; COMPUTE_PGM_RSRC2:TGID_Z_EN: 0
; COMPUTE_PGM_RSRC2:TIDIG_COMP_CNT: 0
; COMPUTE_PGM_RSRC3_GFX90A:ACCUM_OFFSET: 0
; COMPUTE_PGM_RSRC3_GFX90A:TG_SPLIT: 0
	.section	.text._ZN7rocprim17ROCPRIM_400000_NS6detail17trampoline_kernelINS0_14default_configENS1_36segmented_radix_sort_config_selectorI6__halflEEZNS1_25segmented_radix_sort_implIS3_Lb0EPKS5_PS5_PKlPlN2at6native12_GLOBAL__N_18offset_tEEE10hipError_tPvRmT1_PNSt15iterator_traitsISL_E10value_typeET2_T3_PNSM_ISR_E10value_typeET4_jRbjT5_SX_jjP12ihipStream_tbEUlT_E_NS1_11comp_targetILNS1_3genE9ELNS1_11target_archE1100ELNS1_3gpuE3ELNS1_3repE0EEENS1_30default_config_static_selectorELNS0_4arch9wavefront6targetE1EEEvSL_,"axG",@progbits,_ZN7rocprim17ROCPRIM_400000_NS6detail17trampoline_kernelINS0_14default_configENS1_36segmented_radix_sort_config_selectorI6__halflEEZNS1_25segmented_radix_sort_implIS3_Lb0EPKS5_PS5_PKlPlN2at6native12_GLOBAL__N_18offset_tEEE10hipError_tPvRmT1_PNSt15iterator_traitsISL_E10value_typeET2_T3_PNSM_ISR_E10value_typeET4_jRbjT5_SX_jjP12ihipStream_tbEUlT_E_NS1_11comp_targetILNS1_3genE9ELNS1_11target_archE1100ELNS1_3gpuE3ELNS1_3repE0EEENS1_30default_config_static_selectorELNS0_4arch9wavefront6targetE1EEEvSL_,comdat
	.globl	_ZN7rocprim17ROCPRIM_400000_NS6detail17trampoline_kernelINS0_14default_configENS1_36segmented_radix_sort_config_selectorI6__halflEEZNS1_25segmented_radix_sort_implIS3_Lb0EPKS5_PS5_PKlPlN2at6native12_GLOBAL__N_18offset_tEEE10hipError_tPvRmT1_PNSt15iterator_traitsISL_E10value_typeET2_T3_PNSM_ISR_E10value_typeET4_jRbjT5_SX_jjP12ihipStream_tbEUlT_E_NS1_11comp_targetILNS1_3genE9ELNS1_11target_archE1100ELNS1_3gpuE3ELNS1_3repE0EEENS1_30default_config_static_selectorELNS0_4arch9wavefront6targetE1EEEvSL_ ; -- Begin function _ZN7rocprim17ROCPRIM_400000_NS6detail17trampoline_kernelINS0_14default_configENS1_36segmented_radix_sort_config_selectorI6__halflEEZNS1_25segmented_radix_sort_implIS3_Lb0EPKS5_PS5_PKlPlN2at6native12_GLOBAL__N_18offset_tEEE10hipError_tPvRmT1_PNSt15iterator_traitsISL_E10value_typeET2_T3_PNSM_ISR_E10value_typeET4_jRbjT5_SX_jjP12ihipStream_tbEUlT_E_NS1_11comp_targetILNS1_3genE9ELNS1_11target_archE1100ELNS1_3gpuE3ELNS1_3repE0EEENS1_30default_config_static_selectorELNS0_4arch9wavefront6targetE1EEEvSL_
	.p2align	8
	.type	_ZN7rocprim17ROCPRIM_400000_NS6detail17trampoline_kernelINS0_14default_configENS1_36segmented_radix_sort_config_selectorI6__halflEEZNS1_25segmented_radix_sort_implIS3_Lb0EPKS5_PS5_PKlPlN2at6native12_GLOBAL__N_18offset_tEEE10hipError_tPvRmT1_PNSt15iterator_traitsISL_E10value_typeET2_T3_PNSM_ISR_E10value_typeET4_jRbjT5_SX_jjP12ihipStream_tbEUlT_E_NS1_11comp_targetILNS1_3genE9ELNS1_11target_archE1100ELNS1_3gpuE3ELNS1_3repE0EEENS1_30default_config_static_selectorELNS0_4arch9wavefront6targetE1EEEvSL_,@function
_ZN7rocprim17ROCPRIM_400000_NS6detail17trampoline_kernelINS0_14default_configENS1_36segmented_radix_sort_config_selectorI6__halflEEZNS1_25segmented_radix_sort_implIS3_Lb0EPKS5_PS5_PKlPlN2at6native12_GLOBAL__N_18offset_tEEE10hipError_tPvRmT1_PNSt15iterator_traitsISL_E10value_typeET2_T3_PNSM_ISR_E10value_typeET4_jRbjT5_SX_jjP12ihipStream_tbEUlT_E_NS1_11comp_targetILNS1_3genE9ELNS1_11target_archE1100ELNS1_3gpuE3ELNS1_3repE0EEENS1_30default_config_static_selectorELNS0_4arch9wavefront6targetE1EEEvSL_: ; @_ZN7rocprim17ROCPRIM_400000_NS6detail17trampoline_kernelINS0_14default_configENS1_36segmented_radix_sort_config_selectorI6__halflEEZNS1_25segmented_radix_sort_implIS3_Lb0EPKS5_PS5_PKlPlN2at6native12_GLOBAL__N_18offset_tEEE10hipError_tPvRmT1_PNSt15iterator_traitsISL_E10value_typeET2_T3_PNSM_ISR_E10value_typeET4_jRbjT5_SX_jjP12ihipStream_tbEUlT_E_NS1_11comp_targetILNS1_3genE9ELNS1_11target_archE1100ELNS1_3gpuE3ELNS1_3repE0EEENS1_30default_config_static_selectorELNS0_4arch9wavefront6targetE1EEEvSL_
; %bb.0:
	.section	.rodata,"a",@progbits
	.p2align	6, 0x0
	.amdhsa_kernel _ZN7rocprim17ROCPRIM_400000_NS6detail17trampoline_kernelINS0_14default_configENS1_36segmented_radix_sort_config_selectorI6__halflEEZNS1_25segmented_radix_sort_implIS3_Lb0EPKS5_PS5_PKlPlN2at6native12_GLOBAL__N_18offset_tEEE10hipError_tPvRmT1_PNSt15iterator_traitsISL_E10value_typeET2_T3_PNSM_ISR_E10value_typeET4_jRbjT5_SX_jjP12ihipStream_tbEUlT_E_NS1_11comp_targetILNS1_3genE9ELNS1_11target_archE1100ELNS1_3gpuE3ELNS1_3repE0EEENS1_30default_config_static_selectorELNS0_4arch9wavefront6targetE1EEEvSL_
		.amdhsa_group_segment_fixed_size 0
		.amdhsa_private_segment_fixed_size 0
		.amdhsa_kernarg_size 96
		.amdhsa_user_sgpr_count 6
		.amdhsa_user_sgpr_private_segment_buffer 1
		.amdhsa_user_sgpr_dispatch_ptr 0
		.amdhsa_user_sgpr_queue_ptr 0
		.amdhsa_user_sgpr_kernarg_segment_ptr 1
		.amdhsa_user_sgpr_dispatch_id 0
		.amdhsa_user_sgpr_flat_scratch_init 0
		.amdhsa_user_sgpr_kernarg_preload_length 0
		.amdhsa_user_sgpr_kernarg_preload_offset 0
		.amdhsa_user_sgpr_private_segment_size 0
		.amdhsa_uses_dynamic_stack 0
		.amdhsa_system_sgpr_private_segment_wavefront_offset 0
		.amdhsa_system_sgpr_workgroup_id_x 1
		.amdhsa_system_sgpr_workgroup_id_y 0
		.amdhsa_system_sgpr_workgroup_id_z 0
		.amdhsa_system_sgpr_workgroup_info 0
		.amdhsa_system_vgpr_workitem_id 0
		.amdhsa_next_free_vgpr 1
		.amdhsa_next_free_sgpr 0
		.amdhsa_accum_offset 4
		.amdhsa_reserve_vcc 0
		.amdhsa_reserve_flat_scratch 0
		.amdhsa_float_round_mode_32 0
		.amdhsa_float_round_mode_16_64 0
		.amdhsa_float_denorm_mode_32 3
		.amdhsa_float_denorm_mode_16_64 3
		.amdhsa_dx10_clamp 1
		.amdhsa_ieee_mode 1
		.amdhsa_fp16_overflow 0
		.amdhsa_tg_split 0
		.amdhsa_exception_fp_ieee_invalid_op 0
		.amdhsa_exception_fp_denorm_src 0
		.amdhsa_exception_fp_ieee_div_zero 0
		.amdhsa_exception_fp_ieee_overflow 0
		.amdhsa_exception_fp_ieee_underflow 0
		.amdhsa_exception_fp_ieee_inexact 0
		.amdhsa_exception_int_div_zero 0
	.end_amdhsa_kernel
	.section	.text._ZN7rocprim17ROCPRIM_400000_NS6detail17trampoline_kernelINS0_14default_configENS1_36segmented_radix_sort_config_selectorI6__halflEEZNS1_25segmented_radix_sort_implIS3_Lb0EPKS5_PS5_PKlPlN2at6native12_GLOBAL__N_18offset_tEEE10hipError_tPvRmT1_PNSt15iterator_traitsISL_E10value_typeET2_T3_PNSM_ISR_E10value_typeET4_jRbjT5_SX_jjP12ihipStream_tbEUlT_E_NS1_11comp_targetILNS1_3genE9ELNS1_11target_archE1100ELNS1_3gpuE3ELNS1_3repE0EEENS1_30default_config_static_selectorELNS0_4arch9wavefront6targetE1EEEvSL_,"axG",@progbits,_ZN7rocprim17ROCPRIM_400000_NS6detail17trampoline_kernelINS0_14default_configENS1_36segmented_radix_sort_config_selectorI6__halflEEZNS1_25segmented_radix_sort_implIS3_Lb0EPKS5_PS5_PKlPlN2at6native12_GLOBAL__N_18offset_tEEE10hipError_tPvRmT1_PNSt15iterator_traitsISL_E10value_typeET2_T3_PNSM_ISR_E10value_typeET4_jRbjT5_SX_jjP12ihipStream_tbEUlT_E_NS1_11comp_targetILNS1_3genE9ELNS1_11target_archE1100ELNS1_3gpuE3ELNS1_3repE0EEENS1_30default_config_static_selectorELNS0_4arch9wavefront6targetE1EEEvSL_,comdat
.Lfunc_end1848:
	.size	_ZN7rocprim17ROCPRIM_400000_NS6detail17trampoline_kernelINS0_14default_configENS1_36segmented_radix_sort_config_selectorI6__halflEEZNS1_25segmented_radix_sort_implIS3_Lb0EPKS5_PS5_PKlPlN2at6native12_GLOBAL__N_18offset_tEEE10hipError_tPvRmT1_PNSt15iterator_traitsISL_E10value_typeET2_T3_PNSM_ISR_E10value_typeET4_jRbjT5_SX_jjP12ihipStream_tbEUlT_E_NS1_11comp_targetILNS1_3genE9ELNS1_11target_archE1100ELNS1_3gpuE3ELNS1_3repE0EEENS1_30default_config_static_selectorELNS0_4arch9wavefront6targetE1EEEvSL_, .Lfunc_end1848-_ZN7rocprim17ROCPRIM_400000_NS6detail17trampoline_kernelINS0_14default_configENS1_36segmented_radix_sort_config_selectorI6__halflEEZNS1_25segmented_radix_sort_implIS3_Lb0EPKS5_PS5_PKlPlN2at6native12_GLOBAL__N_18offset_tEEE10hipError_tPvRmT1_PNSt15iterator_traitsISL_E10value_typeET2_T3_PNSM_ISR_E10value_typeET4_jRbjT5_SX_jjP12ihipStream_tbEUlT_E_NS1_11comp_targetILNS1_3genE9ELNS1_11target_archE1100ELNS1_3gpuE3ELNS1_3repE0EEENS1_30default_config_static_selectorELNS0_4arch9wavefront6targetE1EEEvSL_
                                        ; -- End function
	.section	.AMDGPU.csdata,"",@progbits
; Kernel info:
; codeLenInByte = 0
; NumSgprs: 4
; NumVgprs: 0
; NumAgprs: 0
; TotalNumVgprs: 0
; ScratchSize: 0
; MemoryBound: 0
; FloatMode: 240
; IeeeMode: 1
; LDSByteSize: 0 bytes/workgroup (compile time only)
; SGPRBlocks: 0
; VGPRBlocks: 0
; NumSGPRsForWavesPerEU: 4
; NumVGPRsForWavesPerEU: 1
; AccumOffset: 4
; Occupancy: 8
; WaveLimiterHint : 0
; COMPUTE_PGM_RSRC2:SCRATCH_EN: 0
; COMPUTE_PGM_RSRC2:USER_SGPR: 6
; COMPUTE_PGM_RSRC2:TRAP_HANDLER: 0
; COMPUTE_PGM_RSRC2:TGID_X_EN: 1
; COMPUTE_PGM_RSRC2:TGID_Y_EN: 0
; COMPUTE_PGM_RSRC2:TGID_Z_EN: 0
; COMPUTE_PGM_RSRC2:TIDIG_COMP_CNT: 0
; COMPUTE_PGM_RSRC3_GFX90A:ACCUM_OFFSET: 0
; COMPUTE_PGM_RSRC3_GFX90A:TG_SPLIT: 0
	.section	.text._ZN7rocprim17ROCPRIM_400000_NS6detail17trampoline_kernelINS0_14default_configENS1_36segmented_radix_sort_config_selectorI6__halflEEZNS1_25segmented_radix_sort_implIS3_Lb0EPKS5_PS5_PKlPlN2at6native12_GLOBAL__N_18offset_tEEE10hipError_tPvRmT1_PNSt15iterator_traitsISL_E10value_typeET2_T3_PNSM_ISR_E10value_typeET4_jRbjT5_SX_jjP12ihipStream_tbEUlT_E_NS1_11comp_targetILNS1_3genE8ELNS1_11target_archE1030ELNS1_3gpuE2ELNS1_3repE0EEENS1_30default_config_static_selectorELNS0_4arch9wavefront6targetE1EEEvSL_,"axG",@progbits,_ZN7rocprim17ROCPRIM_400000_NS6detail17trampoline_kernelINS0_14default_configENS1_36segmented_radix_sort_config_selectorI6__halflEEZNS1_25segmented_radix_sort_implIS3_Lb0EPKS5_PS5_PKlPlN2at6native12_GLOBAL__N_18offset_tEEE10hipError_tPvRmT1_PNSt15iterator_traitsISL_E10value_typeET2_T3_PNSM_ISR_E10value_typeET4_jRbjT5_SX_jjP12ihipStream_tbEUlT_E_NS1_11comp_targetILNS1_3genE8ELNS1_11target_archE1030ELNS1_3gpuE2ELNS1_3repE0EEENS1_30default_config_static_selectorELNS0_4arch9wavefront6targetE1EEEvSL_,comdat
	.globl	_ZN7rocprim17ROCPRIM_400000_NS6detail17trampoline_kernelINS0_14default_configENS1_36segmented_radix_sort_config_selectorI6__halflEEZNS1_25segmented_radix_sort_implIS3_Lb0EPKS5_PS5_PKlPlN2at6native12_GLOBAL__N_18offset_tEEE10hipError_tPvRmT1_PNSt15iterator_traitsISL_E10value_typeET2_T3_PNSM_ISR_E10value_typeET4_jRbjT5_SX_jjP12ihipStream_tbEUlT_E_NS1_11comp_targetILNS1_3genE8ELNS1_11target_archE1030ELNS1_3gpuE2ELNS1_3repE0EEENS1_30default_config_static_selectorELNS0_4arch9wavefront6targetE1EEEvSL_ ; -- Begin function _ZN7rocprim17ROCPRIM_400000_NS6detail17trampoline_kernelINS0_14default_configENS1_36segmented_radix_sort_config_selectorI6__halflEEZNS1_25segmented_radix_sort_implIS3_Lb0EPKS5_PS5_PKlPlN2at6native12_GLOBAL__N_18offset_tEEE10hipError_tPvRmT1_PNSt15iterator_traitsISL_E10value_typeET2_T3_PNSM_ISR_E10value_typeET4_jRbjT5_SX_jjP12ihipStream_tbEUlT_E_NS1_11comp_targetILNS1_3genE8ELNS1_11target_archE1030ELNS1_3gpuE2ELNS1_3repE0EEENS1_30default_config_static_selectorELNS0_4arch9wavefront6targetE1EEEvSL_
	.p2align	8
	.type	_ZN7rocprim17ROCPRIM_400000_NS6detail17trampoline_kernelINS0_14default_configENS1_36segmented_radix_sort_config_selectorI6__halflEEZNS1_25segmented_radix_sort_implIS3_Lb0EPKS5_PS5_PKlPlN2at6native12_GLOBAL__N_18offset_tEEE10hipError_tPvRmT1_PNSt15iterator_traitsISL_E10value_typeET2_T3_PNSM_ISR_E10value_typeET4_jRbjT5_SX_jjP12ihipStream_tbEUlT_E_NS1_11comp_targetILNS1_3genE8ELNS1_11target_archE1030ELNS1_3gpuE2ELNS1_3repE0EEENS1_30default_config_static_selectorELNS0_4arch9wavefront6targetE1EEEvSL_,@function
_ZN7rocprim17ROCPRIM_400000_NS6detail17trampoline_kernelINS0_14default_configENS1_36segmented_radix_sort_config_selectorI6__halflEEZNS1_25segmented_radix_sort_implIS3_Lb0EPKS5_PS5_PKlPlN2at6native12_GLOBAL__N_18offset_tEEE10hipError_tPvRmT1_PNSt15iterator_traitsISL_E10value_typeET2_T3_PNSM_ISR_E10value_typeET4_jRbjT5_SX_jjP12ihipStream_tbEUlT_E_NS1_11comp_targetILNS1_3genE8ELNS1_11target_archE1030ELNS1_3gpuE2ELNS1_3repE0EEENS1_30default_config_static_selectorELNS0_4arch9wavefront6targetE1EEEvSL_: ; @_ZN7rocprim17ROCPRIM_400000_NS6detail17trampoline_kernelINS0_14default_configENS1_36segmented_radix_sort_config_selectorI6__halflEEZNS1_25segmented_radix_sort_implIS3_Lb0EPKS5_PS5_PKlPlN2at6native12_GLOBAL__N_18offset_tEEE10hipError_tPvRmT1_PNSt15iterator_traitsISL_E10value_typeET2_T3_PNSM_ISR_E10value_typeET4_jRbjT5_SX_jjP12ihipStream_tbEUlT_E_NS1_11comp_targetILNS1_3genE8ELNS1_11target_archE1030ELNS1_3gpuE2ELNS1_3repE0EEENS1_30default_config_static_selectorELNS0_4arch9wavefront6targetE1EEEvSL_
; %bb.0:
	.section	.rodata,"a",@progbits
	.p2align	6, 0x0
	.amdhsa_kernel _ZN7rocprim17ROCPRIM_400000_NS6detail17trampoline_kernelINS0_14default_configENS1_36segmented_radix_sort_config_selectorI6__halflEEZNS1_25segmented_radix_sort_implIS3_Lb0EPKS5_PS5_PKlPlN2at6native12_GLOBAL__N_18offset_tEEE10hipError_tPvRmT1_PNSt15iterator_traitsISL_E10value_typeET2_T3_PNSM_ISR_E10value_typeET4_jRbjT5_SX_jjP12ihipStream_tbEUlT_E_NS1_11comp_targetILNS1_3genE8ELNS1_11target_archE1030ELNS1_3gpuE2ELNS1_3repE0EEENS1_30default_config_static_selectorELNS0_4arch9wavefront6targetE1EEEvSL_
		.amdhsa_group_segment_fixed_size 0
		.amdhsa_private_segment_fixed_size 0
		.amdhsa_kernarg_size 96
		.amdhsa_user_sgpr_count 6
		.amdhsa_user_sgpr_private_segment_buffer 1
		.amdhsa_user_sgpr_dispatch_ptr 0
		.amdhsa_user_sgpr_queue_ptr 0
		.amdhsa_user_sgpr_kernarg_segment_ptr 1
		.amdhsa_user_sgpr_dispatch_id 0
		.amdhsa_user_sgpr_flat_scratch_init 0
		.amdhsa_user_sgpr_kernarg_preload_length 0
		.amdhsa_user_sgpr_kernarg_preload_offset 0
		.amdhsa_user_sgpr_private_segment_size 0
		.amdhsa_uses_dynamic_stack 0
		.amdhsa_system_sgpr_private_segment_wavefront_offset 0
		.amdhsa_system_sgpr_workgroup_id_x 1
		.amdhsa_system_sgpr_workgroup_id_y 0
		.amdhsa_system_sgpr_workgroup_id_z 0
		.amdhsa_system_sgpr_workgroup_info 0
		.amdhsa_system_vgpr_workitem_id 0
		.amdhsa_next_free_vgpr 1
		.amdhsa_next_free_sgpr 0
		.amdhsa_accum_offset 4
		.amdhsa_reserve_vcc 0
		.amdhsa_reserve_flat_scratch 0
		.amdhsa_float_round_mode_32 0
		.amdhsa_float_round_mode_16_64 0
		.amdhsa_float_denorm_mode_32 3
		.amdhsa_float_denorm_mode_16_64 3
		.amdhsa_dx10_clamp 1
		.amdhsa_ieee_mode 1
		.amdhsa_fp16_overflow 0
		.amdhsa_tg_split 0
		.amdhsa_exception_fp_ieee_invalid_op 0
		.amdhsa_exception_fp_denorm_src 0
		.amdhsa_exception_fp_ieee_div_zero 0
		.amdhsa_exception_fp_ieee_overflow 0
		.amdhsa_exception_fp_ieee_underflow 0
		.amdhsa_exception_fp_ieee_inexact 0
		.amdhsa_exception_int_div_zero 0
	.end_amdhsa_kernel
	.section	.text._ZN7rocprim17ROCPRIM_400000_NS6detail17trampoline_kernelINS0_14default_configENS1_36segmented_radix_sort_config_selectorI6__halflEEZNS1_25segmented_radix_sort_implIS3_Lb0EPKS5_PS5_PKlPlN2at6native12_GLOBAL__N_18offset_tEEE10hipError_tPvRmT1_PNSt15iterator_traitsISL_E10value_typeET2_T3_PNSM_ISR_E10value_typeET4_jRbjT5_SX_jjP12ihipStream_tbEUlT_E_NS1_11comp_targetILNS1_3genE8ELNS1_11target_archE1030ELNS1_3gpuE2ELNS1_3repE0EEENS1_30default_config_static_selectorELNS0_4arch9wavefront6targetE1EEEvSL_,"axG",@progbits,_ZN7rocprim17ROCPRIM_400000_NS6detail17trampoline_kernelINS0_14default_configENS1_36segmented_radix_sort_config_selectorI6__halflEEZNS1_25segmented_radix_sort_implIS3_Lb0EPKS5_PS5_PKlPlN2at6native12_GLOBAL__N_18offset_tEEE10hipError_tPvRmT1_PNSt15iterator_traitsISL_E10value_typeET2_T3_PNSM_ISR_E10value_typeET4_jRbjT5_SX_jjP12ihipStream_tbEUlT_E_NS1_11comp_targetILNS1_3genE8ELNS1_11target_archE1030ELNS1_3gpuE2ELNS1_3repE0EEENS1_30default_config_static_selectorELNS0_4arch9wavefront6targetE1EEEvSL_,comdat
.Lfunc_end1849:
	.size	_ZN7rocprim17ROCPRIM_400000_NS6detail17trampoline_kernelINS0_14default_configENS1_36segmented_radix_sort_config_selectorI6__halflEEZNS1_25segmented_radix_sort_implIS3_Lb0EPKS5_PS5_PKlPlN2at6native12_GLOBAL__N_18offset_tEEE10hipError_tPvRmT1_PNSt15iterator_traitsISL_E10value_typeET2_T3_PNSM_ISR_E10value_typeET4_jRbjT5_SX_jjP12ihipStream_tbEUlT_E_NS1_11comp_targetILNS1_3genE8ELNS1_11target_archE1030ELNS1_3gpuE2ELNS1_3repE0EEENS1_30default_config_static_selectorELNS0_4arch9wavefront6targetE1EEEvSL_, .Lfunc_end1849-_ZN7rocprim17ROCPRIM_400000_NS6detail17trampoline_kernelINS0_14default_configENS1_36segmented_radix_sort_config_selectorI6__halflEEZNS1_25segmented_radix_sort_implIS3_Lb0EPKS5_PS5_PKlPlN2at6native12_GLOBAL__N_18offset_tEEE10hipError_tPvRmT1_PNSt15iterator_traitsISL_E10value_typeET2_T3_PNSM_ISR_E10value_typeET4_jRbjT5_SX_jjP12ihipStream_tbEUlT_E_NS1_11comp_targetILNS1_3genE8ELNS1_11target_archE1030ELNS1_3gpuE2ELNS1_3repE0EEENS1_30default_config_static_selectorELNS0_4arch9wavefront6targetE1EEEvSL_
                                        ; -- End function
	.section	.AMDGPU.csdata,"",@progbits
; Kernel info:
; codeLenInByte = 0
; NumSgprs: 4
; NumVgprs: 0
; NumAgprs: 0
; TotalNumVgprs: 0
; ScratchSize: 0
; MemoryBound: 0
; FloatMode: 240
; IeeeMode: 1
; LDSByteSize: 0 bytes/workgroup (compile time only)
; SGPRBlocks: 0
; VGPRBlocks: 0
; NumSGPRsForWavesPerEU: 4
; NumVGPRsForWavesPerEU: 1
; AccumOffset: 4
; Occupancy: 8
; WaveLimiterHint : 0
; COMPUTE_PGM_RSRC2:SCRATCH_EN: 0
; COMPUTE_PGM_RSRC2:USER_SGPR: 6
; COMPUTE_PGM_RSRC2:TRAP_HANDLER: 0
; COMPUTE_PGM_RSRC2:TGID_X_EN: 1
; COMPUTE_PGM_RSRC2:TGID_Y_EN: 0
; COMPUTE_PGM_RSRC2:TGID_Z_EN: 0
; COMPUTE_PGM_RSRC2:TIDIG_COMP_CNT: 0
; COMPUTE_PGM_RSRC3_GFX90A:ACCUM_OFFSET: 0
; COMPUTE_PGM_RSRC3_GFX90A:TG_SPLIT: 0
	.section	.text._ZN7rocprim17ROCPRIM_400000_NS6detail17trampoline_kernelINS0_14default_configENS1_36segmented_radix_sort_config_selectorI6__halflEEZNS1_25segmented_radix_sort_implIS3_Lb0EPKS5_PS5_PKlPlN2at6native12_GLOBAL__N_18offset_tEEE10hipError_tPvRmT1_PNSt15iterator_traitsISL_E10value_typeET2_T3_PNSM_ISR_E10value_typeET4_jRbjT5_SX_jjP12ihipStream_tbEUlT_E0_NS1_11comp_targetILNS1_3genE0ELNS1_11target_archE4294967295ELNS1_3gpuE0ELNS1_3repE0EEENS1_60segmented_radix_sort_warp_sort_medium_config_static_selectorELNS0_4arch9wavefront6targetE1EEEvSL_,"axG",@progbits,_ZN7rocprim17ROCPRIM_400000_NS6detail17trampoline_kernelINS0_14default_configENS1_36segmented_radix_sort_config_selectorI6__halflEEZNS1_25segmented_radix_sort_implIS3_Lb0EPKS5_PS5_PKlPlN2at6native12_GLOBAL__N_18offset_tEEE10hipError_tPvRmT1_PNSt15iterator_traitsISL_E10value_typeET2_T3_PNSM_ISR_E10value_typeET4_jRbjT5_SX_jjP12ihipStream_tbEUlT_E0_NS1_11comp_targetILNS1_3genE0ELNS1_11target_archE4294967295ELNS1_3gpuE0ELNS1_3repE0EEENS1_60segmented_radix_sort_warp_sort_medium_config_static_selectorELNS0_4arch9wavefront6targetE1EEEvSL_,comdat
	.globl	_ZN7rocprim17ROCPRIM_400000_NS6detail17trampoline_kernelINS0_14default_configENS1_36segmented_radix_sort_config_selectorI6__halflEEZNS1_25segmented_radix_sort_implIS3_Lb0EPKS5_PS5_PKlPlN2at6native12_GLOBAL__N_18offset_tEEE10hipError_tPvRmT1_PNSt15iterator_traitsISL_E10value_typeET2_T3_PNSM_ISR_E10value_typeET4_jRbjT5_SX_jjP12ihipStream_tbEUlT_E0_NS1_11comp_targetILNS1_3genE0ELNS1_11target_archE4294967295ELNS1_3gpuE0ELNS1_3repE0EEENS1_60segmented_radix_sort_warp_sort_medium_config_static_selectorELNS0_4arch9wavefront6targetE1EEEvSL_ ; -- Begin function _ZN7rocprim17ROCPRIM_400000_NS6detail17trampoline_kernelINS0_14default_configENS1_36segmented_radix_sort_config_selectorI6__halflEEZNS1_25segmented_radix_sort_implIS3_Lb0EPKS5_PS5_PKlPlN2at6native12_GLOBAL__N_18offset_tEEE10hipError_tPvRmT1_PNSt15iterator_traitsISL_E10value_typeET2_T3_PNSM_ISR_E10value_typeET4_jRbjT5_SX_jjP12ihipStream_tbEUlT_E0_NS1_11comp_targetILNS1_3genE0ELNS1_11target_archE4294967295ELNS1_3gpuE0ELNS1_3repE0EEENS1_60segmented_radix_sort_warp_sort_medium_config_static_selectorELNS0_4arch9wavefront6targetE1EEEvSL_
	.p2align	8
	.type	_ZN7rocprim17ROCPRIM_400000_NS6detail17trampoline_kernelINS0_14default_configENS1_36segmented_radix_sort_config_selectorI6__halflEEZNS1_25segmented_radix_sort_implIS3_Lb0EPKS5_PS5_PKlPlN2at6native12_GLOBAL__N_18offset_tEEE10hipError_tPvRmT1_PNSt15iterator_traitsISL_E10value_typeET2_T3_PNSM_ISR_E10value_typeET4_jRbjT5_SX_jjP12ihipStream_tbEUlT_E0_NS1_11comp_targetILNS1_3genE0ELNS1_11target_archE4294967295ELNS1_3gpuE0ELNS1_3repE0EEENS1_60segmented_radix_sort_warp_sort_medium_config_static_selectorELNS0_4arch9wavefront6targetE1EEEvSL_,@function
_ZN7rocprim17ROCPRIM_400000_NS6detail17trampoline_kernelINS0_14default_configENS1_36segmented_radix_sort_config_selectorI6__halflEEZNS1_25segmented_radix_sort_implIS3_Lb0EPKS5_PS5_PKlPlN2at6native12_GLOBAL__N_18offset_tEEE10hipError_tPvRmT1_PNSt15iterator_traitsISL_E10value_typeET2_T3_PNSM_ISR_E10value_typeET4_jRbjT5_SX_jjP12ihipStream_tbEUlT_E0_NS1_11comp_targetILNS1_3genE0ELNS1_11target_archE4294967295ELNS1_3gpuE0ELNS1_3repE0EEENS1_60segmented_radix_sort_warp_sort_medium_config_static_selectorELNS0_4arch9wavefront6targetE1EEEvSL_: ; @_ZN7rocprim17ROCPRIM_400000_NS6detail17trampoline_kernelINS0_14default_configENS1_36segmented_radix_sort_config_selectorI6__halflEEZNS1_25segmented_radix_sort_implIS3_Lb0EPKS5_PS5_PKlPlN2at6native12_GLOBAL__N_18offset_tEEE10hipError_tPvRmT1_PNSt15iterator_traitsISL_E10value_typeET2_T3_PNSM_ISR_E10value_typeET4_jRbjT5_SX_jjP12ihipStream_tbEUlT_E0_NS1_11comp_targetILNS1_3genE0ELNS1_11target_archE4294967295ELNS1_3gpuE0ELNS1_3repE0EEENS1_60segmented_radix_sort_warp_sort_medium_config_static_selectorELNS0_4arch9wavefront6targetE1EEEvSL_
; %bb.0:
	.section	.rodata,"a",@progbits
	.p2align	6, 0x0
	.amdhsa_kernel _ZN7rocprim17ROCPRIM_400000_NS6detail17trampoline_kernelINS0_14default_configENS1_36segmented_radix_sort_config_selectorI6__halflEEZNS1_25segmented_radix_sort_implIS3_Lb0EPKS5_PS5_PKlPlN2at6native12_GLOBAL__N_18offset_tEEE10hipError_tPvRmT1_PNSt15iterator_traitsISL_E10value_typeET2_T3_PNSM_ISR_E10value_typeET4_jRbjT5_SX_jjP12ihipStream_tbEUlT_E0_NS1_11comp_targetILNS1_3genE0ELNS1_11target_archE4294967295ELNS1_3gpuE0ELNS1_3repE0EEENS1_60segmented_radix_sort_warp_sort_medium_config_static_selectorELNS0_4arch9wavefront6targetE1EEEvSL_
		.amdhsa_group_segment_fixed_size 0
		.amdhsa_private_segment_fixed_size 0
		.amdhsa_kernarg_size 88
		.amdhsa_user_sgpr_count 6
		.amdhsa_user_sgpr_private_segment_buffer 1
		.amdhsa_user_sgpr_dispatch_ptr 0
		.amdhsa_user_sgpr_queue_ptr 0
		.amdhsa_user_sgpr_kernarg_segment_ptr 1
		.amdhsa_user_sgpr_dispatch_id 0
		.amdhsa_user_sgpr_flat_scratch_init 0
		.amdhsa_user_sgpr_kernarg_preload_length 0
		.amdhsa_user_sgpr_kernarg_preload_offset 0
		.amdhsa_user_sgpr_private_segment_size 0
		.amdhsa_uses_dynamic_stack 0
		.amdhsa_system_sgpr_private_segment_wavefront_offset 0
		.amdhsa_system_sgpr_workgroup_id_x 1
		.amdhsa_system_sgpr_workgroup_id_y 0
		.amdhsa_system_sgpr_workgroup_id_z 0
		.amdhsa_system_sgpr_workgroup_info 0
		.amdhsa_system_vgpr_workitem_id 0
		.amdhsa_next_free_vgpr 1
		.amdhsa_next_free_sgpr 0
		.amdhsa_accum_offset 4
		.amdhsa_reserve_vcc 0
		.amdhsa_reserve_flat_scratch 0
		.amdhsa_float_round_mode_32 0
		.amdhsa_float_round_mode_16_64 0
		.amdhsa_float_denorm_mode_32 3
		.amdhsa_float_denorm_mode_16_64 3
		.amdhsa_dx10_clamp 1
		.amdhsa_ieee_mode 1
		.amdhsa_fp16_overflow 0
		.amdhsa_tg_split 0
		.amdhsa_exception_fp_ieee_invalid_op 0
		.amdhsa_exception_fp_denorm_src 0
		.amdhsa_exception_fp_ieee_div_zero 0
		.amdhsa_exception_fp_ieee_overflow 0
		.amdhsa_exception_fp_ieee_underflow 0
		.amdhsa_exception_fp_ieee_inexact 0
		.amdhsa_exception_int_div_zero 0
	.end_amdhsa_kernel
	.section	.text._ZN7rocprim17ROCPRIM_400000_NS6detail17trampoline_kernelINS0_14default_configENS1_36segmented_radix_sort_config_selectorI6__halflEEZNS1_25segmented_radix_sort_implIS3_Lb0EPKS5_PS5_PKlPlN2at6native12_GLOBAL__N_18offset_tEEE10hipError_tPvRmT1_PNSt15iterator_traitsISL_E10value_typeET2_T3_PNSM_ISR_E10value_typeET4_jRbjT5_SX_jjP12ihipStream_tbEUlT_E0_NS1_11comp_targetILNS1_3genE0ELNS1_11target_archE4294967295ELNS1_3gpuE0ELNS1_3repE0EEENS1_60segmented_radix_sort_warp_sort_medium_config_static_selectorELNS0_4arch9wavefront6targetE1EEEvSL_,"axG",@progbits,_ZN7rocprim17ROCPRIM_400000_NS6detail17trampoline_kernelINS0_14default_configENS1_36segmented_radix_sort_config_selectorI6__halflEEZNS1_25segmented_radix_sort_implIS3_Lb0EPKS5_PS5_PKlPlN2at6native12_GLOBAL__N_18offset_tEEE10hipError_tPvRmT1_PNSt15iterator_traitsISL_E10value_typeET2_T3_PNSM_ISR_E10value_typeET4_jRbjT5_SX_jjP12ihipStream_tbEUlT_E0_NS1_11comp_targetILNS1_3genE0ELNS1_11target_archE4294967295ELNS1_3gpuE0ELNS1_3repE0EEENS1_60segmented_radix_sort_warp_sort_medium_config_static_selectorELNS0_4arch9wavefront6targetE1EEEvSL_,comdat
.Lfunc_end1850:
	.size	_ZN7rocprim17ROCPRIM_400000_NS6detail17trampoline_kernelINS0_14default_configENS1_36segmented_radix_sort_config_selectorI6__halflEEZNS1_25segmented_radix_sort_implIS3_Lb0EPKS5_PS5_PKlPlN2at6native12_GLOBAL__N_18offset_tEEE10hipError_tPvRmT1_PNSt15iterator_traitsISL_E10value_typeET2_T3_PNSM_ISR_E10value_typeET4_jRbjT5_SX_jjP12ihipStream_tbEUlT_E0_NS1_11comp_targetILNS1_3genE0ELNS1_11target_archE4294967295ELNS1_3gpuE0ELNS1_3repE0EEENS1_60segmented_radix_sort_warp_sort_medium_config_static_selectorELNS0_4arch9wavefront6targetE1EEEvSL_, .Lfunc_end1850-_ZN7rocprim17ROCPRIM_400000_NS6detail17trampoline_kernelINS0_14default_configENS1_36segmented_radix_sort_config_selectorI6__halflEEZNS1_25segmented_radix_sort_implIS3_Lb0EPKS5_PS5_PKlPlN2at6native12_GLOBAL__N_18offset_tEEE10hipError_tPvRmT1_PNSt15iterator_traitsISL_E10value_typeET2_T3_PNSM_ISR_E10value_typeET4_jRbjT5_SX_jjP12ihipStream_tbEUlT_E0_NS1_11comp_targetILNS1_3genE0ELNS1_11target_archE4294967295ELNS1_3gpuE0ELNS1_3repE0EEENS1_60segmented_radix_sort_warp_sort_medium_config_static_selectorELNS0_4arch9wavefront6targetE1EEEvSL_
                                        ; -- End function
	.section	.AMDGPU.csdata,"",@progbits
; Kernel info:
; codeLenInByte = 0
; NumSgprs: 4
; NumVgprs: 0
; NumAgprs: 0
; TotalNumVgprs: 0
; ScratchSize: 0
; MemoryBound: 0
; FloatMode: 240
; IeeeMode: 1
; LDSByteSize: 0 bytes/workgroup (compile time only)
; SGPRBlocks: 0
; VGPRBlocks: 0
; NumSGPRsForWavesPerEU: 4
; NumVGPRsForWavesPerEU: 1
; AccumOffset: 4
; Occupancy: 8
; WaveLimiterHint : 0
; COMPUTE_PGM_RSRC2:SCRATCH_EN: 0
; COMPUTE_PGM_RSRC2:USER_SGPR: 6
; COMPUTE_PGM_RSRC2:TRAP_HANDLER: 0
; COMPUTE_PGM_RSRC2:TGID_X_EN: 1
; COMPUTE_PGM_RSRC2:TGID_Y_EN: 0
; COMPUTE_PGM_RSRC2:TGID_Z_EN: 0
; COMPUTE_PGM_RSRC2:TIDIG_COMP_CNT: 0
; COMPUTE_PGM_RSRC3_GFX90A:ACCUM_OFFSET: 0
; COMPUTE_PGM_RSRC3_GFX90A:TG_SPLIT: 0
	.section	.text._ZN7rocprim17ROCPRIM_400000_NS6detail17trampoline_kernelINS0_14default_configENS1_36segmented_radix_sort_config_selectorI6__halflEEZNS1_25segmented_radix_sort_implIS3_Lb0EPKS5_PS5_PKlPlN2at6native12_GLOBAL__N_18offset_tEEE10hipError_tPvRmT1_PNSt15iterator_traitsISL_E10value_typeET2_T3_PNSM_ISR_E10value_typeET4_jRbjT5_SX_jjP12ihipStream_tbEUlT_E0_NS1_11comp_targetILNS1_3genE5ELNS1_11target_archE942ELNS1_3gpuE9ELNS1_3repE0EEENS1_60segmented_radix_sort_warp_sort_medium_config_static_selectorELNS0_4arch9wavefront6targetE1EEEvSL_,"axG",@progbits,_ZN7rocprim17ROCPRIM_400000_NS6detail17trampoline_kernelINS0_14default_configENS1_36segmented_radix_sort_config_selectorI6__halflEEZNS1_25segmented_radix_sort_implIS3_Lb0EPKS5_PS5_PKlPlN2at6native12_GLOBAL__N_18offset_tEEE10hipError_tPvRmT1_PNSt15iterator_traitsISL_E10value_typeET2_T3_PNSM_ISR_E10value_typeET4_jRbjT5_SX_jjP12ihipStream_tbEUlT_E0_NS1_11comp_targetILNS1_3genE5ELNS1_11target_archE942ELNS1_3gpuE9ELNS1_3repE0EEENS1_60segmented_radix_sort_warp_sort_medium_config_static_selectorELNS0_4arch9wavefront6targetE1EEEvSL_,comdat
	.globl	_ZN7rocprim17ROCPRIM_400000_NS6detail17trampoline_kernelINS0_14default_configENS1_36segmented_radix_sort_config_selectorI6__halflEEZNS1_25segmented_radix_sort_implIS3_Lb0EPKS5_PS5_PKlPlN2at6native12_GLOBAL__N_18offset_tEEE10hipError_tPvRmT1_PNSt15iterator_traitsISL_E10value_typeET2_T3_PNSM_ISR_E10value_typeET4_jRbjT5_SX_jjP12ihipStream_tbEUlT_E0_NS1_11comp_targetILNS1_3genE5ELNS1_11target_archE942ELNS1_3gpuE9ELNS1_3repE0EEENS1_60segmented_radix_sort_warp_sort_medium_config_static_selectorELNS0_4arch9wavefront6targetE1EEEvSL_ ; -- Begin function _ZN7rocprim17ROCPRIM_400000_NS6detail17trampoline_kernelINS0_14default_configENS1_36segmented_radix_sort_config_selectorI6__halflEEZNS1_25segmented_radix_sort_implIS3_Lb0EPKS5_PS5_PKlPlN2at6native12_GLOBAL__N_18offset_tEEE10hipError_tPvRmT1_PNSt15iterator_traitsISL_E10value_typeET2_T3_PNSM_ISR_E10value_typeET4_jRbjT5_SX_jjP12ihipStream_tbEUlT_E0_NS1_11comp_targetILNS1_3genE5ELNS1_11target_archE942ELNS1_3gpuE9ELNS1_3repE0EEENS1_60segmented_radix_sort_warp_sort_medium_config_static_selectorELNS0_4arch9wavefront6targetE1EEEvSL_
	.p2align	8
	.type	_ZN7rocprim17ROCPRIM_400000_NS6detail17trampoline_kernelINS0_14default_configENS1_36segmented_radix_sort_config_selectorI6__halflEEZNS1_25segmented_radix_sort_implIS3_Lb0EPKS5_PS5_PKlPlN2at6native12_GLOBAL__N_18offset_tEEE10hipError_tPvRmT1_PNSt15iterator_traitsISL_E10value_typeET2_T3_PNSM_ISR_E10value_typeET4_jRbjT5_SX_jjP12ihipStream_tbEUlT_E0_NS1_11comp_targetILNS1_3genE5ELNS1_11target_archE942ELNS1_3gpuE9ELNS1_3repE0EEENS1_60segmented_radix_sort_warp_sort_medium_config_static_selectorELNS0_4arch9wavefront6targetE1EEEvSL_,@function
_ZN7rocprim17ROCPRIM_400000_NS6detail17trampoline_kernelINS0_14default_configENS1_36segmented_radix_sort_config_selectorI6__halflEEZNS1_25segmented_radix_sort_implIS3_Lb0EPKS5_PS5_PKlPlN2at6native12_GLOBAL__N_18offset_tEEE10hipError_tPvRmT1_PNSt15iterator_traitsISL_E10value_typeET2_T3_PNSM_ISR_E10value_typeET4_jRbjT5_SX_jjP12ihipStream_tbEUlT_E0_NS1_11comp_targetILNS1_3genE5ELNS1_11target_archE942ELNS1_3gpuE9ELNS1_3repE0EEENS1_60segmented_radix_sort_warp_sort_medium_config_static_selectorELNS0_4arch9wavefront6targetE1EEEvSL_: ; @_ZN7rocprim17ROCPRIM_400000_NS6detail17trampoline_kernelINS0_14default_configENS1_36segmented_radix_sort_config_selectorI6__halflEEZNS1_25segmented_radix_sort_implIS3_Lb0EPKS5_PS5_PKlPlN2at6native12_GLOBAL__N_18offset_tEEE10hipError_tPvRmT1_PNSt15iterator_traitsISL_E10value_typeET2_T3_PNSM_ISR_E10value_typeET4_jRbjT5_SX_jjP12ihipStream_tbEUlT_E0_NS1_11comp_targetILNS1_3genE5ELNS1_11target_archE942ELNS1_3gpuE9ELNS1_3repE0EEENS1_60segmented_radix_sort_warp_sort_medium_config_static_selectorELNS0_4arch9wavefront6targetE1EEEvSL_
; %bb.0:
	.section	.rodata,"a",@progbits
	.p2align	6, 0x0
	.amdhsa_kernel _ZN7rocprim17ROCPRIM_400000_NS6detail17trampoline_kernelINS0_14default_configENS1_36segmented_radix_sort_config_selectorI6__halflEEZNS1_25segmented_radix_sort_implIS3_Lb0EPKS5_PS5_PKlPlN2at6native12_GLOBAL__N_18offset_tEEE10hipError_tPvRmT1_PNSt15iterator_traitsISL_E10value_typeET2_T3_PNSM_ISR_E10value_typeET4_jRbjT5_SX_jjP12ihipStream_tbEUlT_E0_NS1_11comp_targetILNS1_3genE5ELNS1_11target_archE942ELNS1_3gpuE9ELNS1_3repE0EEENS1_60segmented_radix_sort_warp_sort_medium_config_static_selectorELNS0_4arch9wavefront6targetE1EEEvSL_
		.amdhsa_group_segment_fixed_size 0
		.amdhsa_private_segment_fixed_size 0
		.amdhsa_kernarg_size 88
		.amdhsa_user_sgpr_count 6
		.amdhsa_user_sgpr_private_segment_buffer 1
		.amdhsa_user_sgpr_dispatch_ptr 0
		.amdhsa_user_sgpr_queue_ptr 0
		.amdhsa_user_sgpr_kernarg_segment_ptr 1
		.amdhsa_user_sgpr_dispatch_id 0
		.amdhsa_user_sgpr_flat_scratch_init 0
		.amdhsa_user_sgpr_kernarg_preload_length 0
		.amdhsa_user_sgpr_kernarg_preload_offset 0
		.amdhsa_user_sgpr_private_segment_size 0
		.amdhsa_uses_dynamic_stack 0
		.amdhsa_system_sgpr_private_segment_wavefront_offset 0
		.amdhsa_system_sgpr_workgroup_id_x 1
		.amdhsa_system_sgpr_workgroup_id_y 0
		.amdhsa_system_sgpr_workgroup_id_z 0
		.amdhsa_system_sgpr_workgroup_info 0
		.amdhsa_system_vgpr_workitem_id 0
		.amdhsa_next_free_vgpr 1
		.amdhsa_next_free_sgpr 0
		.amdhsa_accum_offset 4
		.amdhsa_reserve_vcc 0
		.amdhsa_reserve_flat_scratch 0
		.amdhsa_float_round_mode_32 0
		.amdhsa_float_round_mode_16_64 0
		.amdhsa_float_denorm_mode_32 3
		.amdhsa_float_denorm_mode_16_64 3
		.amdhsa_dx10_clamp 1
		.amdhsa_ieee_mode 1
		.amdhsa_fp16_overflow 0
		.amdhsa_tg_split 0
		.amdhsa_exception_fp_ieee_invalid_op 0
		.amdhsa_exception_fp_denorm_src 0
		.amdhsa_exception_fp_ieee_div_zero 0
		.amdhsa_exception_fp_ieee_overflow 0
		.amdhsa_exception_fp_ieee_underflow 0
		.amdhsa_exception_fp_ieee_inexact 0
		.amdhsa_exception_int_div_zero 0
	.end_amdhsa_kernel
	.section	.text._ZN7rocprim17ROCPRIM_400000_NS6detail17trampoline_kernelINS0_14default_configENS1_36segmented_radix_sort_config_selectorI6__halflEEZNS1_25segmented_radix_sort_implIS3_Lb0EPKS5_PS5_PKlPlN2at6native12_GLOBAL__N_18offset_tEEE10hipError_tPvRmT1_PNSt15iterator_traitsISL_E10value_typeET2_T3_PNSM_ISR_E10value_typeET4_jRbjT5_SX_jjP12ihipStream_tbEUlT_E0_NS1_11comp_targetILNS1_3genE5ELNS1_11target_archE942ELNS1_3gpuE9ELNS1_3repE0EEENS1_60segmented_radix_sort_warp_sort_medium_config_static_selectorELNS0_4arch9wavefront6targetE1EEEvSL_,"axG",@progbits,_ZN7rocprim17ROCPRIM_400000_NS6detail17trampoline_kernelINS0_14default_configENS1_36segmented_radix_sort_config_selectorI6__halflEEZNS1_25segmented_radix_sort_implIS3_Lb0EPKS5_PS5_PKlPlN2at6native12_GLOBAL__N_18offset_tEEE10hipError_tPvRmT1_PNSt15iterator_traitsISL_E10value_typeET2_T3_PNSM_ISR_E10value_typeET4_jRbjT5_SX_jjP12ihipStream_tbEUlT_E0_NS1_11comp_targetILNS1_3genE5ELNS1_11target_archE942ELNS1_3gpuE9ELNS1_3repE0EEENS1_60segmented_radix_sort_warp_sort_medium_config_static_selectorELNS0_4arch9wavefront6targetE1EEEvSL_,comdat
.Lfunc_end1851:
	.size	_ZN7rocprim17ROCPRIM_400000_NS6detail17trampoline_kernelINS0_14default_configENS1_36segmented_radix_sort_config_selectorI6__halflEEZNS1_25segmented_radix_sort_implIS3_Lb0EPKS5_PS5_PKlPlN2at6native12_GLOBAL__N_18offset_tEEE10hipError_tPvRmT1_PNSt15iterator_traitsISL_E10value_typeET2_T3_PNSM_ISR_E10value_typeET4_jRbjT5_SX_jjP12ihipStream_tbEUlT_E0_NS1_11comp_targetILNS1_3genE5ELNS1_11target_archE942ELNS1_3gpuE9ELNS1_3repE0EEENS1_60segmented_radix_sort_warp_sort_medium_config_static_selectorELNS0_4arch9wavefront6targetE1EEEvSL_, .Lfunc_end1851-_ZN7rocprim17ROCPRIM_400000_NS6detail17trampoline_kernelINS0_14default_configENS1_36segmented_radix_sort_config_selectorI6__halflEEZNS1_25segmented_radix_sort_implIS3_Lb0EPKS5_PS5_PKlPlN2at6native12_GLOBAL__N_18offset_tEEE10hipError_tPvRmT1_PNSt15iterator_traitsISL_E10value_typeET2_T3_PNSM_ISR_E10value_typeET4_jRbjT5_SX_jjP12ihipStream_tbEUlT_E0_NS1_11comp_targetILNS1_3genE5ELNS1_11target_archE942ELNS1_3gpuE9ELNS1_3repE0EEENS1_60segmented_radix_sort_warp_sort_medium_config_static_selectorELNS0_4arch9wavefront6targetE1EEEvSL_
                                        ; -- End function
	.section	.AMDGPU.csdata,"",@progbits
; Kernel info:
; codeLenInByte = 0
; NumSgprs: 4
; NumVgprs: 0
; NumAgprs: 0
; TotalNumVgprs: 0
; ScratchSize: 0
; MemoryBound: 0
; FloatMode: 240
; IeeeMode: 1
; LDSByteSize: 0 bytes/workgroup (compile time only)
; SGPRBlocks: 0
; VGPRBlocks: 0
; NumSGPRsForWavesPerEU: 4
; NumVGPRsForWavesPerEU: 1
; AccumOffset: 4
; Occupancy: 8
; WaveLimiterHint : 0
; COMPUTE_PGM_RSRC2:SCRATCH_EN: 0
; COMPUTE_PGM_RSRC2:USER_SGPR: 6
; COMPUTE_PGM_RSRC2:TRAP_HANDLER: 0
; COMPUTE_PGM_RSRC2:TGID_X_EN: 1
; COMPUTE_PGM_RSRC2:TGID_Y_EN: 0
; COMPUTE_PGM_RSRC2:TGID_Z_EN: 0
; COMPUTE_PGM_RSRC2:TIDIG_COMP_CNT: 0
; COMPUTE_PGM_RSRC3_GFX90A:ACCUM_OFFSET: 0
; COMPUTE_PGM_RSRC3_GFX90A:TG_SPLIT: 0
	.text
	.p2align	2                               ; -- Begin function _ZN7rocprim17ROCPRIM_400000_NS6detail26segmented_warp_sort_helperINS1_20WarpSortHelperConfigILj16ELj8ELj256EEE6__halflLi256ELb0EvE4sortIPKS5_PS5_PKlPlEEvT_T0_T1_T2_jjjjRNS6_12storage_typeE
	.type	_ZN7rocprim17ROCPRIM_400000_NS6detail26segmented_warp_sort_helperINS1_20WarpSortHelperConfigILj16ELj8ELj256EEE6__halflLi256ELb0EvE4sortIPKS5_PS5_PKlPlEEvT_T0_T1_T2_jjjjRNS6_12storage_typeE,@function
_ZN7rocprim17ROCPRIM_400000_NS6detail26segmented_warp_sort_helperINS1_20WarpSortHelperConfigILj16ELj8ELj256EEE6__halflLi256ELb0EvE4sortIPKS5_PS5_PKlPlEEvT_T0_T1_T2_jjjjRNS6_12storage_typeE: ; @_ZN7rocprim17ROCPRIM_400000_NS6detail26segmented_warp_sort_helperINS1_20WarpSortHelperConfigILj16ELj8ELj256EEE6__halflLi256ELb0EvE4sortIPKS5_PS5_PKlPlEEvT_T0_T1_T2_jjjjRNS6_12storage_typeE
; %bb.0:
	s_waitcnt vmcnt(0) expcnt(0) lgkmcnt(0)
	s_or_saveexec_b64 s[4:5], -1
	buffer_store_dword v40, off, s[0:3], s32 ; 4-byte Folded Spill
	s_mov_b64 exec, s[4:5]
	v_writelane_b32 v40, s34, 0
	v_writelane_b32 v40, s35, 1
	;; [unrolled: 1-line block ×12, first 2 shown]
	v_mbcnt_lo_u32_b32 v13, -1, 0
	v_sub_u32_e32 v12, v9, v8
	v_mov_b32_e32 v9, 0
	v_mbcnt_hi_u32_b32 v13, -1, v13
	v_lshlrev_b64 v[10:11], 1, v[8:9]
	v_lshlrev_b32_e32 v35, 3, v13
	v_add_co_u32_e32 v0, vcc, v0, v10
	v_and_b32_e32 v34, 0x78, v35
	v_addc_co_u32_e32 v1, vcc, v1, v11, vcc
	v_lshlrev_b32_e32 v32, 1, v34
	v_add_co_u32_e32 v0, vcc, v0, v32
	v_addc_co_u32_e32 v1, vcc, 0, v1, vcc
	v_cmp_lt_u32_e32 vcc, v34, v12
	v_mov_b32_e32 v48, 0x7fff
	v_mov_b32_e32 v36, 0x7fff
	s_and_saveexec_b64 s[4:5], vcc
	s_cbranch_execz .LBB1852_2
; %bb.1:
	flat_load_ushort v36, v[0:1]
.LBB1852_2:
	s_or_b64 exec, exec, s[4:5]
	v_or_b32_e32 v13, 1, v34
	v_cmp_lt_u32_e64 s[4:5], v13, v12
	s_and_saveexec_b64 s[6:7], s[4:5]
	s_cbranch_execz .LBB1852_4
; %bb.3:
	flat_load_ushort v48, v[0:1] offset:2
.LBB1852_4:
	s_or_b64 exec, exec, s[6:7]
	v_or_b32_e32 v13, 2, v34
	v_cmp_lt_u32_e64 s[6:7], v13, v12
	v_mov_b32_e32 v51, 0x7fff
	v_mov_b32_e32 v49, 0x7fff
	s_and_saveexec_b64 s[10:11], s[6:7]
	s_cbranch_execz .LBB1852_6
; %bb.5:
	flat_load_ushort v49, v[0:1] offset:4
.LBB1852_6:
	s_or_b64 exec, exec, s[10:11]
	v_or_b32_e32 v13, 3, v34
	v_cmp_lt_u32_e64 s[18:19], v13, v12
	s_and_saveexec_b64 s[10:11], s[18:19]
	s_cbranch_execz .LBB1852_8
; %bb.7:
	flat_load_ushort v51, v[0:1] offset:6
.LBB1852_8:
	s_or_b64 exec, exec, s[10:11]
	v_or_b32_e32 v13, 4, v34
	v_cmp_lt_u32_e64 s[10:11], v13, v12
	v_mov_b32_e32 v38, 0x7fff
	v_mov_b32_e32 v39, 0x7fff
	s_and_saveexec_b64 s[14:15], s[10:11]
	s_cbranch_execz .LBB1852_10
; %bb.9:
	flat_load_ushort v39, v[0:1] offset:8
.LBB1852_10:
	;; [unrolled: 18-line block ×3, first 2 shown]
	s_or_b64 exec, exec, s[16:17]
	v_or_b32_e32 v13, 7, v34
	v_cmp_lt_u32_e64 s[16:17], v13, v12
	s_and_saveexec_b64 s[22:23], s[16:17]
	s_cbranch_execz .LBB1852_16
; %bb.15:
	flat_load_ushort v37, v[0:1] offset:14
.LBB1852_16:
	s_or_b64 exec, exec, s[22:23]
	v_lshlrev_b64 v[0:1], 3, v[8:9]
	v_add_co_u32_e64 v4, s[22:23], v4, v0
	v_addc_co_u32_e64 v5, s[22:23], v5, v1, s[22:23]
	v_lshlrev_b32_e32 v33, 3, v34
	v_add_co_u32_e64 v12, s[22:23], v4, v33
	v_addc_co_u32_e64 v13, s[22:23], 0, v5, s[22:23]
	; wave barrier
                                        ; implicit-def: $vgpr4_vgpr5
	s_and_saveexec_b64 s[22:23], vcc
	s_cbranch_execnz .LBB1852_262
; %bb.17:
	s_or_b64 exec, exec, s[22:23]
                                        ; implicit-def: $vgpr8_vgpr9
	s_and_saveexec_b64 s[22:23], s[4:5]
	s_cbranch_execnz .LBB1852_263
.LBB1852_18:
	s_or_b64 exec, exec, s[22:23]
                                        ; implicit-def: $vgpr16_vgpr17
	s_and_saveexec_b64 s[22:23], s[6:7]
	s_cbranch_execnz .LBB1852_264
.LBB1852_19:
	s_or_b64 exec, exec, s[22:23]
                                        ; implicit-def: $vgpr18_vgpr19
	s_and_saveexec_b64 s[22:23], s[18:19]
	s_cbranch_execnz .LBB1852_265
.LBB1852_20:
	s_or_b64 exec, exec, s[22:23]
                                        ; implicit-def: $vgpr20_vgpr21
	s_and_saveexec_b64 s[22:23], s[10:11]
	s_cbranch_execnz .LBB1852_266
.LBB1852_21:
	s_or_b64 exec, exec, s[22:23]
                                        ; implicit-def: $vgpr24_vgpr25
	s_and_saveexec_b64 s[22:23], s[20:21]
	s_cbranch_execnz .LBB1852_267
.LBB1852_22:
	s_or_b64 exec, exec, s[22:23]
                                        ; implicit-def: $vgpr22_vgpr23
	s_and_saveexec_b64 s[22:23], s[14:15]
	s_cbranch_execnz .LBB1852_268
.LBB1852_23:
	s_or_b64 exec, exec, s[22:23]
                                        ; implicit-def: $vgpr26_vgpr27
	s_and_saveexec_b64 s[22:23], s[16:17]
	s_cbranch_execz .LBB1852_25
.LBB1852_24:
	flat_load_dwordx2 v[26:27], v[12:13] offset:56
.LBB1852_25:
	s_or_b64 exec, exec, s[22:23]
	; wave barrier
	s_load_dwordx2 s[22:23], s[8:9], 0x0
	v_mov_b32_e32 v12, 0
	v_bfe_u32 v15, v31, 20, 10
	v_and_b32_e32 v28, 0x3ff, v31
	s_waitcnt lgkmcnt(0)
	s_cmp_lt_u32 s12, s22
	s_cselect_b32 s22, 12, 18
	s_cmp_lt_u32 s13, s23
	s_cselect_b32 s12, 14, 20
	s_add_u32 s12, s8, s12
	s_addc_u32 s13, s9, 0
	s_add_u32 s8, s8, s22
	s_addc_u32 s9, s9, 0
	global_load_ushort v13, v12, s[12:13]
	global_load_ushort v14, v12, s[8:9]
	v_bfe_u32 v12, v31, 10, 10
	s_movk_i32 s8, 0x800
	s_waitcnt vmcnt(0)
	v_mad_u32_u24 v12, v15, v13, v12
	v_mul_lo_u32 v12, v12, v14
	v_add_lshl_u32 v52, v12, v28, 3
	v_cmp_gt_u32_e64 s[8:9], s8, v52
	s_and_saveexec_b64 s[12:13], s[8:9]
	s_cbranch_execz .LBB1852_83
; %bb.26:
	v_add_f16_e32 v13, 0, v36
	v_add_f16_e32 v14, 0, v48
	v_mov_b32_e32 v12, 0xffff8000
	v_cmp_lt_i16_e64 s[8:9], -1, v13
	v_cndmask_b32_e64 v15, -1, v12, s[8:9]
	v_cmp_lt_i16_e64 s[8:9], -1, v14
	v_xor_b32_e32 v13, v15, v13
	v_cndmask_b32_e64 v15, -1, v12, s[8:9]
	v_xor_b32_e32 v14, v15, v14
	v_cmp_gt_u16_e64 s[8:9], v13, v14
	v_mov_b32_e32 v31, v48
	v_pk_mov_b32 v[28:29], v[8:9], v[8:9] op_sel:[0,1]
	s_and_saveexec_b64 s[22:23], s[8:9]
; %bb.27:
	v_mov_b32_e32 v31, v36
	v_mov_b32_e32 v36, v48
	v_pk_mov_b32 v[28:29], v[4:5], v[4:5] op_sel:[0,1]
	v_pk_mov_b32 v[4:5], v[8:9], v[8:9] op_sel:[0,1]
; %bb.28:
	s_or_b64 exec, exec, s[22:23]
	v_add_f16_e32 v8, 0, v49
	v_add_f16_e32 v9, 0, v51
	v_cmp_lt_i16_e64 s[8:9], -1, v8
	v_cndmask_b32_e64 v13, -1, v12, s[8:9]
	v_cmp_lt_i16_e64 s[8:9], -1, v9
	v_cndmask_b32_e64 v12, -1, v12, s[8:9]
	v_xor_b32_e32 v8, v13, v8
	v_xor_b32_e32 v9, v12, v9
	v_cmp_gt_u16_e64 s[8:9], v8, v9
	v_mov_b32_e32 v30, v51
	v_pk_mov_b32 v[12:13], v[18:19], v[18:19] op_sel:[0,1]
	s_and_saveexec_b64 s[22:23], s[8:9]
; %bb.29:
	v_mov_b32_e32 v30, v49
	v_mov_b32_e32 v49, v51
	v_pk_mov_b32 v[12:13], v[16:17], v[16:17] op_sel:[0,1]
	v_pk_mov_b32 v[16:17], v[18:19], v[18:19] op_sel:[0,1]
; %bb.30:
	s_or_b64 exec, exec, s[22:23]
	v_add_f16_e32 v9, 0, v39
	v_add_f16_e32 v14, 0, v38
	v_mov_b32_e32 v8, 0xffff8000
	v_cmp_lt_i16_e64 s[8:9], -1, v9
	v_cndmask_b32_e64 v15, -1, v8, s[8:9]
	v_cmp_lt_i16_e64 s[8:9], -1, v14
	v_xor_b32_e32 v9, v15, v9
	v_cndmask_b32_e64 v15, -1, v8, s[8:9]
	v_xor_b32_e32 v14, v15, v14
	v_cmp_gt_u16_e64 s[8:9], v9, v14
	v_pk_mov_b32 v[14:15], v[24:25], v[24:25] op_sel:[0,1]
	v_mov_b32_e32 v51, v39
	s_and_saveexec_b64 s[22:23], s[8:9]
; %bb.31:
	v_pk_mov_b32 v[14:15], v[20:21], v[20:21] op_sel:[0,1]
	v_pk_mov_b32 v[20:21], v[24:25], v[24:25] op_sel:[0,1]
	v_mov_b32_e32 v51, v38
	v_mov_b32_e32 v38, v39
; %bb.32:
	s_or_b64 exec, exec, s[22:23]
	v_add_f16_e32 v9, 0, v50
	v_add_f16_e32 v18, 0, v37
	v_cmp_lt_i16_e64 s[8:9], -1, v9
	v_cndmask_b32_e64 v19, -1, v8, s[8:9]
	v_cmp_lt_i16_e64 s[8:9], -1, v18
	v_cndmask_b32_e64 v8, -1, v8, s[8:9]
	v_xor_b32_e32 v9, v19, v9
	v_xor_b32_e32 v8, v8, v18
	v_cmp_gt_u16_e64 s[8:9], v9, v8
	v_pk_mov_b32 v[8:9], v[26:27], v[26:27] op_sel:[0,1]
	v_mov_b32_e32 v39, v50
	s_and_saveexec_b64 s[22:23], s[8:9]
; %bb.33:
	v_pk_mov_b32 v[8:9], v[22:23], v[22:23] op_sel:[0,1]
	v_pk_mov_b32 v[22:23], v[26:27], v[26:27] op_sel:[0,1]
	v_mov_b32_e32 v39, v37
	v_mov_b32_e32 v37, v50
; %bb.34:
	s_or_b64 exec, exec, s[22:23]
	v_add_f16_e32 v19, 0, v31
	v_add_f16_e32 v24, 0, v49
	v_mov_b32_e32 v18, 0xffff8000
	v_cmp_lt_i16_e64 s[8:9], -1, v19
	v_cndmask_b32_e64 v25, -1, v18, s[8:9]
	v_cmp_lt_i16_e64 s[8:9], -1, v24
	v_xor_b32_e32 v19, v25, v19
	v_cndmask_b32_e64 v25, -1, v18, s[8:9]
	v_xor_b32_e32 v24, v25, v24
	v_cmp_gt_u16_e64 s[8:9], v19, v24
	v_mov_b32_e32 v48, v49
	v_pk_mov_b32 v[24:25], v[16:17], v[16:17] op_sel:[0,1]
	s_and_saveexec_b64 s[22:23], s[8:9]
	s_xor_b64 s[8:9], exec, s[22:23]
; %bb.35:
	v_mov_b32_e32 v48, v31
	v_mov_b32_e32 v31, v49
	v_pk_mov_b32 v[24:25], v[28:29], v[28:29] op_sel:[0,1]
	v_pk_mov_b32 v[28:29], v[16:17], v[16:17] op_sel:[0,1]
; %bb.36:
	s_or_b64 exec, exec, s[8:9]
	v_add_f16_e32 v16, 0, v30
	v_add_f16_e32 v17, 0, v51
	v_cmp_lt_i16_e64 s[8:9], -1, v16
	v_cndmask_b32_e64 v19, -1, v18, s[8:9]
	v_cmp_lt_i16_e64 s[8:9], -1, v17
	v_cndmask_b32_e64 v18, -1, v18, s[8:9]
	v_xor_b32_e32 v16, v19, v16
	v_xor_b32_e32 v17, v18, v17
	v_cmp_gt_u16_e64 s[8:9], v16, v17
	v_mov_b32_e32 v50, v30
	v_pk_mov_b32 v[16:17], v[20:21], v[20:21] op_sel:[0,1]
	s_and_saveexec_b64 s[22:23], s[8:9]
; %bb.37:
	v_mov_b32_e32 v50, v51
	v_pk_mov_b32 v[16:17], v[12:13], v[12:13] op_sel:[0,1]
	v_pk_mov_b32 v[12:13], v[20:21], v[20:21] op_sel:[0,1]
	v_mov_b32_e32 v51, v30
; %bb.38:
	s_or_b64 exec, exec, s[22:23]
	v_add_f16_e32 v18, 0, v38
	v_add_f16_e32 v19, 0, v39
	v_mov_b32_e32 v20, 0xffff8000
	v_cmp_lt_i16_e64 s[8:9], -1, v18
	v_cndmask_b32_e64 v21, -1, v20, s[8:9]
	v_cmp_lt_i16_e64 s[8:9], -1, v19
	v_xor_b32_e32 v18, v21, v18
	v_cndmask_b32_e64 v21, -1, v20, s[8:9]
	v_xor_b32_e32 v19, v21, v19
	v_cmp_gt_u16_e64 s[8:9], v18, v19
	v_pk_mov_b32 v[18:19], v[22:23], v[22:23] op_sel:[0,1]
	v_mov_b32_e32 v49, v38
	s_and_saveexec_b64 s[22:23], s[8:9]
; %bb.39:
	v_pk_mov_b32 v[18:19], v[14:15], v[14:15] op_sel:[0,1]
	v_pk_mov_b32 v[14:15], v[22:23], v[22:23] op_sel:[0,1]
	v_mov_b32_e32 v49, v39
	v_mov_b32_e32 v39, v38
; %bb.40:
	s_or_b64 exec, exec, s[22:23]
	v_add_f16_e32 v21, 0, v36
	v_add_f16_e32 v22, 0, v31
	v_cmp_lt_i16_e64 s[8:9], -1, v21
	v_cndmask_b32_e64 v23, -1, v20, s[8:9]
	v_cmp_lt_i16_e64 s[8:9], -1, v22
	v_cndmask_b32_e64 v20, -1, v20, s[8:9]
	v_xor_b32_e32 v21, v23, v21
	v_xor_b32_e32 v20, v20, v22
	v_cmp_gt_u16_e64 s[8:9], v21, v20
	v_mov_b32_e32 v30, v31
	v_pk_mov_b32 v[20:21], v[28:29], v[28:29] op_sel:[0,1]
	s_and_saveexec_b64 s[22:23], s[8:9]
; %bb.41:
	v_mov_b32_e32 v30, v36
	v_mov_b32_e32 v36, v31
	v_pk_mov_b32 v[20:21], v[4:5], v[4:5] op_sel:[0,1]
	v_pk_mov_b32 v[4:5], v[28:29], v[28:29] op_sel:[0,1]
; %bb.42:
	s_or_b64 exec, exec, s[22:23]
	v_add_f16_e32 v23, 0, v48
	v_add_f16_e32 v26, 0, v50
	v_mov_b32_e32 v22, 0xffff8000
	v_cmp_lt_i16_e64 s[8:9], -1, v23
	v_cndmask_b32_e64 v27, -1, v22, s[8:9]
	v_cmp_lt_i16_e64 s[8:9], -1, v26
	v_xor_b32_e32 v23, v27, v23
	v_cndmask_b32_e64 v27, -1, v22, s[8:9]
	v_xor_b32_e32 v26, v27, v26
	v_cmp_gt_u16_e64 s[8:9], v23, v26
	v_mov_b32_e32 v38, v50
	v_pk_mov_b32 v[26:27], v[12:13], v[12:13] op_sel:[0,1]
	s_and_saveexec_b64 s[22:23], s[8:9]
; %bb.43:
	v_mov_b32_e32 v38, v48
	v_mov_b32_e32 v48, v50
	v_pk_mov_b32 v[26:27], v[24:25], v[24:25] op_sel:[0,1]
	v_pk_mov_b32 v[24:25], v[12:13], v[12:13] op_sel:[0,1]
; %bb.44:
	s_or_b64 exec, exec, s[22:23]
	v_add_f16_e32 v12, 0, v51
	v_add_f16_e32 v13, 0, v49
	v_cmp_lt_i16_e64 s[8:9], -1, v12
	v_cndmask_b32_e64 v23, -1, v22, s[8:9]
	v_cmp_lt_i16_e64 s[8:9], -1, v13
	v_cndmask_b32_e64 v22, -1, v22, s[8:9]
	v_xor_b32_e32 v12, v23, v12
	v_xor_b32_e32 v13, v22, v13
	v_cmp_gt_u16_e64 s[8:9], v12, v13
	v_pk_mov_b32 v[12:13], v[14:15], v[14:15] op_sel:[0,1]
	v_mov_b32_e32 v28, v51
	s_and_saveexec_b64 s[22:23], s[8:9]
; %bb.45:
	v_pk_mov_b32 v[12:13], v[16:17], v[16:17] op_sel:[0,1]
	v_pk_mov_b32 v[16:17], v[14:15], v[14:15] op_sel:[0,1]
	v_mov_b32_e32 v28, v49
	v_mov_b32_e32 v49, v51
; %bb.46:
	s_or_b64 exec, exec, s[22:23]
	v_add_f16_e32 v14, 0, v39
	v_add_f16_e32 v15, 0, v37
	v_mov_b32_e32 v22, 0xffff8000
	v_cmp_lt_i16_e64 s[8:9], -1, v14
	v_cndmask_b32_e64 v23, -1, v22, s[8:9]
	v_cmp_lt_i16_e64 s[8:9], -1, v15
	v_xor_b32_e32 v14, v23, v14
	v_cndmask_b32_e64 v23, -1, v22, s[8:9]
	v_xor_b32_e32 v15, v23, v15
	v_cmp_gt_u16_e64 s[8:9], v14, v15
	v_pk_mov_b32 v[14:15], v[8:9], v[8:9] op_sel:[0,1]
	v_mov_b32_e32 v29, v39
	s_and_saveexec_b64 s[22:23], s[8:9]
; %bb.47:
	v_pk_mov_b32 v[14:15], v[18:19], v[18:19] op_sel:[0,1]
	v_pk_mov_b32 v[18:19], v[8:9], v[8:9] op_sel:[0,1]
	v_mov_b32_e32 v29, v37
	v_mov_b32_e32 v37, v39
; %bb.48:
	s_or_b64 exec, exec, s[22:23]
	v_add_f16_e32 v8, 0, v30
	v_add_f16_e32 v9, 0, v48
	v_cmp_lt_i16_e64 s[8:9], -1, v8
	v_cndmask_b32_e64 v23, -1, v22, s[8:9]
	v_cmp_lt_i16_e64 s[8:9], -1, v9
	v_cndmask_b32_e64 v22, -1, v22, s[8:9]
	v_xor_b32_e32 v8, v23, v8
	v_xor_b32_e32 v9, v22, v9
	v_cmp_gt_u16_e64 s[8:9], v8, v9
	v_mov_b32_e32 v31, v48
	v_pk_mov_b32 v[22:23], v[24:25], v[24:25] op_sel:[0,1]
	s_and_saveexec_b64 s[22:23], s[8:9]
; %bb.49:
	v_mov_b32_e32 v31, v30
	v_mov_b32_e32 v30, v48
	v_pk_mov_b32 v[22:23], v[20:21], v[20:21] op_sel:[0,1]
	v_pk_mov_b32 v[20:21], v[24:25], v[24:25] op_sel:[0,1]
; %bb.50:
	s_or_b64 exec, exec, s[22:23]
	v_add_f16_e32 v9, 0, v38
	v_add_f16_e32 v24, 0, v28
	v_mov_b32_e32 v8, 0xffff8000
	v_cmp_lt_i16_e64 s[8:9], -1, v9
	v_cndmask_b32_e64 v25, -1, v8, s[8:9]
	v_cmp_lt_i16_e64 s[8:9], -1, v24
	v_xor_b32_e32 v9, v25, v9
	v_cndmask_b32_e64 v25, -1, v8, s[8:9]
	v_xor_b32_e32 v24, v25, v24
	v_cmp_gt_u16_e64 s[8:9], v9, v24
	v_mov_b32_e32 v48, v38
	v_pk_mov_b32 v[24:25], v[16:17], v[16:17] op_sel:[0,1]
	s_and_saveexec_b64 s[22:23], s[8:9]
; %bb.51:
	v_mov_b32_e32 v48, v28
	v_pk_mov_b32 v[24:25], v[26:27], v[26:27] op_sel:[0,1]
	v_pk_mov_b32 v[26:27], v[16:17], v[16:17] op_sel:[0,1]
	v_mov_b32_e32 v28, v38
; %bb.52:
	s_or_b64 exec, exec, s[22:23]
	v_add_f16_e32 v9, 0, v49
	v_add_f16_e32 v16, 0, v29
	v_cmp_lt_i16_e64 s[8:9], -1, v9
	v_cndmask_b32_e64 v17, -1, v8, s[8:9]
	v_cmp_lt_i16_e64 s[8:9], -1, v16
	v_cndmask_b32_e64 v8, -1, v8, s[8:9]
	v_xor_b32_e32 v9, v17, v9
	v_xor_b32_e32 v8, v8, v16
	v_cmp_gt_u16_e64 s[8:9], v9, v8
	v_pk_mov_b32 v[8:9], v[18:19], v[18:19] op_sel:[0,1]
	v_mov_b32_e32 v39, v49
	s_and_saveexec_b64 s[22:23], s[8:9]
; %bb.53:
	v_pk_mov_b32 v[8:9], v[12:13], v[12:13] op_sel:[0,1]
	v_pk_mov_b32 v[12:13], v[18:19], v[18:19] op_sel:[0,1]
	v_mov_b32_e32 v39, v29
	v_mov_b32_e32 v29, v49
; %bb.54:
	s_or_b64 exec, exec, s[22:23]
	v_add_f16_e32 v17, 0, v36
	v_add_f16_e32 v18, 0, v30
	v_mov_b32_e32 v16, 0xffff8000
	v_cmp_lt_i16_e64 s[8:9], -1, v17
	v_cndmask_b32_e64 v19, -1, v16, s[8:9]
	v_cmp_lt_i16_e64 s[8:9], -1, v18
	v_xor_b32_e32 v17, v19, v17
	v_cndmask_b32_e64 v19, -1, v16, s[8:9]
	v_xor_b32_e32 v18, v19, v18
	v_cmp_gt_u16_e64 s[8:9], v17, v18
	v_mov_b32_e32 v49, v30
	v_pk_mov_b32 v[18:19], v[20:21], v[20:21] op_sel:[0,1]
	s_and_saveexec_b64 s[22:23], s[8:9]
; %bb.55:
	v_mov_b32_e32 v49, v36
	v_mov_b32_e32 v36, v30
	v_pk_mov_b32 v[18:19], v[4:5], v[4:5] op_sel:[0,1]
	v_pk_mov_b32 v[4:5], v[20:21], v[20:21] op_sel:[0,1]
; %bb.56:
	s_or_b64 exec, exec, s[22:23]
	v_add_f16_e32 v17, 0, v31
	v_add_f16_e32 v20, 0, v48
	v_cmp_lt_i16_e64 s[8:9], -1, v17
	v_cndmask_b32_e64 v21, -1, v16, s[8:9]
	v_cmp_lt_i16_e64 s[8:9], -1, v20
	v_cndmask_b32_e64 v16, -1, v16, s[8:9]
	v_xor_b32_e32 v17, v21, v17
	v_xor_b32_e32 v16, v16, v20
	v_cmp_gt_u16_e64 s[8:9], v17, v16
	v_mov_b32_e32 v30, v48
	v_pk_mov_b32 v[16:17], v[26:27], v[26:27] op_sel:[0,1]
	s_and_saveexec_b64 s[22:23], s[8:9]
; %bb.57:
	v_mov_b32_e32 v30, v31
	v_mov_b32_e32 v31, v48
	v_pk_mov_b32 v[16:17], v[22:23], v[22:23] op_sel:[0,1]
	v_pk_mov_b32 v[22:23], v[26:27], v[26:27] op_sel:[0,1]
; %bb.58:
	s_or_b64 exec, exec, s[22:23]
	v_add_f16_e32 v20, 0, v28
	v_add_f16_e32 v21, 0, v39
	v_mov_b32_e32 v27, 0xffff8000
	v_cmp_lt_i16_e64 s[8:9], -1, v20
	v_cndmask_b32_e64 v26, -1, v27, s[8:9]
	v_cmp_lt_i16_e64 s[8:9], -1, v21
	v_xor_b32_e32 v20, v26, v20
	v_cndmask_b32_e64 v26, -1, v27, s[8:9]
	v_xor_b32_e32 v21, v26, v21
	v_cmp_gt_u16_e64 s[8:9], v20, v21
	v_pk_mov_b32 v[20:21], v[12:13], v[12:13] op_sel:[0,1]
	v_mov_b32_e32 v26, v28
	s_and_saveexec_b64 s[22:23], s[8:9]
; %bb.59:
	v_pk_mov_b32 v[20:21], v[24:25], v[24:25] op_sel:[0,1]
	v_pk_mov_b32 v[24:25], v[12:13], v[12:13] op_sel:[0,1]
	v_mov_b32_e32 v26, v39
	v_mov_b32_e32 v39, v28
; %bb.60:
	s_or_b64 exec, exec, s[22:23]
	v_add_f16_e32 v12, 0, v29
	v_add_f16_e32 v13, 0, v37
	v_cmp_lt_i16_e64 s[8:9], -1, v12
	v_cndmask_b32_e64 v28, -1, v27, s[8:9]
	v_cmp_lt_i16_e64 s[8:9], -1, v13
	v_cndmask_b32_e64 v27, -1, v27, s[8:9]
	v_xor_b32_e32 v12, v28, v12
	v_xor_b32_e32 v13, v27, v13
	v_cmp_gt_u16_e64 s[8:9], v12, v13
	v_pk_mov_b32 v[12:13], v[14:15], v[14:15] op_sel:[0,1]
	v_mov_b32_e32 v50, v29
	s_and_saveexec_b64 s[22:23], s[8:9]
; %bb.61:
	v_pk_mov_b32 v[12:13], v[8:9], v[8:9] op_sel:[0,1]
	v_pk_mov_b32 v[8:9], v[14:15], v[14:15] op_sel:[0,1]
	v_mov_b32_e32 v50, v37
	v_mov_b32_e32 v37, v29
; %bb.62:
	s_or_b64 exec, exec, s[22:23]
	v_add_f16_e32 v15, 0, v49
	v_add_f16_e32 v27, 0, v31
	v_mov_b32_e32 v14, 0xffff8000
	v_cmp_lt_i16_e64 s[8:9], -1, v15
	v_cndmask_b32_e64 v28, -1, v14, s[8:9]
	v_cmp_lt_i16_e64 s[8:9], -1, v27
	v_xor_b32_e32 v15, v28, v15
	v_cndmask_b32_e64 v28, -1, v14, s[8:9]
	v_xor_b32_e32 v27, v28, v27
	v_cmp_gt_u16_e64 s[8:9], v15, v27
	v_mov_b32_e32 v51, v31
	v_pk_mov_b32 v[28:29], v[22:23], v[22:23] op_sel:[0,1]
	s_and_saveexec_b64 s[22:23], s[8:9]
; %bb.63:
	v_mov_b32_e32 v51, v49
	v_mov_b32_e32 v49, v31
	v_pk_mov_b32 v[28:29], v[18:19], v[18:19] op_sel:[0,1]
	v_pk_mov_b32 v[18:19], v[22:23], v[22:23] op_sel:[0,1]
; %bb.64:
	s_or_b64 exec, exec, s[22:23]
	v_add_f16_e32 v15, 0, v30
	v_add_f16_e32 v22, 0, v26
	v_cmp_lt_i16_e64 s[8:9], -1, v15
	v_cndmask_b32_e64 v23, -1, v14, s[8:9]
	v_cmp_lt_i16_e64 s[8:9], -1, v22
	v_cndmask_b32_e64 v14, -1, v14, s[8:9]
	v_xor_b32_e32 v15, v23, v15
	v_xor_b32_e32 v14, v14, v22
	v_cmp_gt_u16_e64 s[8:9], v15, v14
	v_mov_b32_e32 v27, v30
	v_pk_mov_b32 v[14:15], v[24:25], v[24:25] op_sel:[0,1]
	s_and_saveexec_b64 s[22:23], s[8:9]
; %bb.65:
	v_mov_b32_e32 v27, v26
	v_pk_mov_b32 v[14:15], v[16:17], v[16:17] op_sel:[0,1]
	v_pk_mov_b32 v[16:17], v[24:25], v[24:25] op_sel:[0,1]
	v_mov_b32_e32 v26, v30
; %bb.66:
	s_or_b64 exec, exec, s[22:23]
	v_add_f16_e32 v22, 0, v39
	v_add_f16_e32 v23, 0, v50
	v_mov_b32_e32 v24, 0xffff8000
	v_cmp_lt_i16_e64 s[8:9], -1, v22
	v_cndmask_b32_e64 v25, -1, v24, s[8:9]
	v_cmp_lt_i16_e64 s[8:9], -1, v23
	v_xor_b32_e32 v22, v25, v22
	v_cndmask_b32_e64 v25, -1, v24, s[8:9]
	v_xor_b32_e32 v23, v25, v23
	v_cmp_gt_u16_e64 s[8:9], v22, v23
	v_pk_mov_b32 v[22:23], v[8:9], v[8:9] op_sel:[0,1]
	v_mov_b32_e32 v38, v39
	s_and_saveexec_b64 s[22:23], s[8:9]
; %bb.67:
	v_pk_mov_b32 v[22:23], v[20:21], v[20:21] op_sel:[0,1]
	v_pk_mov_b32 v[20:21], v[8:9], v[8:9] op_sel:[0,1]
	v_mov_b32_e32 v38, v50
	v_mov_b32_e32 v50, v39
; %bb.68:
	s_or_b64 exec, exec, s[22:23]
	v_add_f16_e32 v8, 0, v36
	v_add_f16_e32 v9, 0, v49
	v_cmp_lt_i16_e64 s[8:9], -1, v8
	v_cndmask_b32_e64 v25, -1, v24, s[8:9]
	v_cmp_lt_i16_e64 s[8:9], -1, v9
	v_cndmask_b32_e64 v24, -1, v24, s[8:9]
	v_xor_b32_e32 v8, v25, v8
	v_xor_b32_e32 v9, v24, v9
	v_cmp_gt_u16_e64 s[8:9], v8, v9
	v_mov_b32_e32 v48, v49
	v_pk_mov_b32 v[8:9], v[18:19], v[18:19] op_sel:[0,1]
	s_and_saveexec_b64 s[22:23], s[8:9]
; %bb.69:
	v_mov_b32_e32 v48, v36
	v_mov_b32_e32 v36, v49
	v_pk_mov_b32 v[8:9], v[4:5], v[4:5] op_sel:[0,1]
	v_pk_mov_b32 v[4:5], v[18:19], v[18:19] op_sel:[0,1]
; %bb.70:
	s_or_b64 exec, exec, s[22:23]
	v_add_f16_e32 v18, 0, v51
	v_add_f16_e32 v19, 0, v27
	v_mov_b32_e32 v25, 0xffff8000
	v_cmp_lt_i16_e64 s[8:9], -1, v18
	v_cndmask_b32_e64 v24, -1, v25, s[8:9]
	v_cmp_lt_i16_e64 s[8:9], -1, v19
	v_xor_b32_e32 v18, v24, v18
	v_cndmask_b32_e64 v24, -1, v25, s[8:9]
	v_xor_b32_e32 v19, v24, v19
	v_cmp_gt_u16_e64 s[8:9], v18, v19
	v_mov_b32_e32 v24, v27
	v_pk_mov_b32 v[18:19], v[16:17], v[16:17] op_sel:[0,1]
	s_and_saveexec_b64 s[22:23], s[8:9]
; %bb.71:
	v_mov_b32_e32 v24, v51
	v_mov_b32_e32 v51, v27
	v_pk_mov_b32 v[18:19], v[28:29], v[28:29] op_sel:[0,1]
	v_pk_mov_b32 v[28:29], v[16:17], v[16:17] op_sel:[0,1]
; %bb.72:
	s_or_b64 exec, exec, s[22:23]
	v_add_f16_e32 v16, 0, v26
	v_add_f16_e32 v17, 0, v38
	v_cmp_lt_i16_e64 s[8:9], -1, v16
	v_cndmask_b32_e64 v27, -1, v25, s[8:9]
	v_cmp_lt_i16_e64 s[8:9], -1, v17
	v_cndmask_b32_e64 v25, -1, v25, s[8:9]
	v_xor_b32_e32 v16, v27, v16
	v_xor_b32_e32 v17, v25, v17
	v_cmp_gt_u16_e64 s[8:9], v16, v17
	v_pk_mov_b32 v[30:31], v[20:21], v[20:21] op_sel:[0,1]
	v_mov_b32_e32 v39, v26
	s_and_saveexec_b64 s[22:23], s[8:9]
; %bb.73:
	v_pk_mov_b32 v[30:31], v[14:15], v[14:15] op_sel:[0,1]
	v_pk_mov_b32 v[14:15], v[20:21], v[20:21] op_sel:[0,1]
	v_mov_b32_e32 v39, v38
	v_mov_b32_e32 v38, v26
; %bb.74:
	s_or_b64 exec, exec, s[22:23]
	v_add_f16_e32 v17, 0, v50
	v_add_f16_e32 v20, 0, v37
	v_mov_b32_e32 v16, 0xffff8000
	v_cmp_lt_i16_e64 s[8:9], -1, v17
	v_cndmask_b32_e64 v21, -1, v16, s[8:9]
	v_cmp_lt_i16_e64 s[8:9], -1, v20
	v_xor_b32_e32 v17, v21, v17
	v_cndmask_b32_e64 v21, -1, v16, s[8:9]
	v_xor_b32_e32 v20, v21, v20
	v_cmp_gt_u16_e64 s[8:9], v17, v20
	v_pk_mov_b32 v[26:27], v[12:13], v[12:13] op_sel:[0,1]
	v_mov_b32_e32 v53, v50
	s_and_saveexec_b64 s[22:23], s[8:9]
; %bb.75:
	v_pk_mov_b32 v[26:27], v[22:23], v[22:23] op_sel:[0,1]
	v_pk_mov_b32 v[22:23], v[12:13], v[12:13] op_sel:[0,1]
	v_mov_b32_e32 v53, v37
	v_mov_b32_e32 v37, v50
; %bb.76:
	s_or_b64 exec, exec, s[22:23]
	v_add_f16_e32 v12, 0, v48
	v_add_f16_e32 v13, 0, v51
	v_cmp_lt_i16_e64 s[8:9], -1, v12
	v_cndmask_b32_e64 v17, -1, v16, s[8:9]
	v_cmp_lt_i16_e64 s[8:9], -1, v13
	v_cndmask_b32_e64 v16, -1, v16, s[8:9]
	v_xor_b32_e32 v12, v17, v12
	v_xor_b32_e32 v13, v16, v13
	v_cmp_gt_u16_e64 s[8:9], v12, v13
	v_mov_b32_e32 v49, v51
	v_pk_mov_b32 v[16:17], v[28:29], v[28:29] op_sel:[0,1]
	s_and_saveexec_b64 s[22:23], s[8:9]
; %bb.77:
	v_mov_b32_e32 v49, v48
	v_mov_b32_e32 v48, v51
	v_pk_mov_b32 v[16:17], v[8:9], v[8:9] op_sel:[0,1]
	v_pk_mov_b32 v[8:9], v[28:29], v[28:29] op_sel:[0,1]
; %bb.78:
	s_or_b64 exec, exec, s[22:23]
	v_add_f16_e32 v13, 0, v24
	v_add_f16_e32 v20, 0, v39
	v_mov_b32_e32 v12, 0xffff8000
	v_cmp_lt_i16_e64 s[8:9], -1, v13
	v_cndmask_b32_e64 v21, -1, v12, s[8:9]
	v_cmp_lt_i16_e64 s[8:9], -1, v20
	v_xor_b32_e32 v13, v21, v13
	v_cndmask_b32_e64 v21, -1, v12, s[8:9]
	v_xor_b32_e32 v20, v21, v20
	v_cmp_gt_u16_e64 s[8:9], v13, v20
	v_mov_b32_e32 v51, v24
	v_pk_mov_b32 v[20:21], v[14:15], v[14:15] op_sel:[0,1]
	s_and_saveexec_b64 s[22:23], s[8:9]
; %bb.79:
	v_mov_b32_e32 v51, v39
	v_pk_mov_b32 v[20:21], v[18:19], v[18:19] op_sel:[0,1]
	v_pk_mov_b32 v[18:19], v[14:15], v[14:15] op_sel:[0,1]
	v_mov_b32_e32 v39, v24
; %bb.80:
	s_or_b64 exec, exec, s[22:23]
	v_add_f16_e32 v13, 0, v38
	v_add_f16_e32 v14, 0, v53
	v_cmp_lt_i16_e64 s[8:9], -1, v13
	v_cndmask_b32_e64 v15, -1, v12, s[8:9]
	v_cmp_lt_i16_e64 s[8:9], -1, v14
	v_cndmask_b32_e64 v12, -1, v12, s[8:9]
	v_xor_b32_e32 v13, v15, v13
	v_xor_b32_e32 v12, v12, v14
	v_cmp_gt_u16_e64 s[8:9], v13, v12
	v_mov_b32_e32 v50, v53
	v_pk_mov_b32 v[24:25], v[30:31], v[30:31] op_sel:[0,1]
	s_and_saveexec_b64 s[22:23], s[8:9]
; %bb.81:
	v_mov_b32_e32 v50, v38
	v_mov_b32_e32 v38, v53
	v_pk_mov_b32 v[24:25], v[22:23], v[22:23] op_sel:[0,1]
	v_pk_mov_b32 v[22:23], v[30:31], v[30:31] op_sel:[0,1]
; %bb.82:
	s_or_b64 exec, exec, s[22:23]
.LBB1852_83:
	s_or_b64 exec, exec, s[12:13]
	v_and_b32_e32 v12, 0xfffffe00, v52
	s_movk_i32 s8, 0x800
	v_sub_u32_e64 v15, s8, v12 clamp
	v_or_b32_e32 v29, 8, v35
	v_min_u32_e32 v30, v15, v29
	v_add_u32_e32 v29, 8, v30
	v_and_b32_e32 v54, 0x3f0, v35
	v_min_u32_e32 v31, v15, v29
	v_and_b32_e32 v29, 8, v35
	v_lshlrev_b32_e32 v14, 1, v12
	v_min_u32_e32 v55, v15, v29
	v_sub_u32_e32 v29, v30, v54
	v_sub_u32_e32 v53, v31, v30
	v_mad_u64_u32 v[12:13], s[8:9], v12, 6, v[14:15]
	v_sub_u32_e64 v53, v55, v53 clamp
	v_min_u32_e32 v29, v55, v29
	v_lshl_add_u32 v13, v35, 1, v14
	v_lshl_add_u32 v28, v35, 3, v12
	;; [unrolled: 1-line block ×3, first 2 shown]
	v_cmp_lt_u32_e64 s[8:9], v53, v29
	ds_write_b16 v13, v36
	ds_write_b64 v28, v[4:5] offset:4096
	ds_write_b16 v13, v48 offset:2
	ds_write_b64 v28, v[8:9] offset:4104
	ds_write_b16 v13, v49 offset:4
	;; [unrolled: 2-line block ×7, first 2 shown]
	ds_write_b64 v28, v[26:27] offset:4152
	; wave barrier
	s_and_saveexec_b64 s[12:13], s[8:9]
	s_cbranch_execz .LBB1852_87
; %bb.84:
	v_lshlrev_b32_e32 v64, 1, v30
	v_lshlrev_b32_e32 v65, 1, v55
	v_add3_u32 v64, v14, v64, v65
	s_mov_b64 s[22:23], 0
	v_mov_b32_e32 v65, 0xffff8000
.LBB1852_85:                            ; =>This Inner Loop Header: Depth=1
	v_add_u32_e32 v66, v29, v53
	v_lshrrev_b32_e32 v67, 1, v66
	v_and_b32_e32 v66, -2, v66
	v_not_b32_e32 v68, v67
	v_add_u32_e32 v66, v52, v66
	v_lshl_add_u32 v68, v68, 1, v64
	ds_read_u16 v66, v66
	ds_read_u16 v68, v68
	v_add_u32_e32 v69, 1, v67
	s_waitcnt lgkmcnt(1)
	v_add_f16_e32 v66, 0, v66
	s_waitcnt lgkmcnt(0)
	v_add_f16_e32 v68, 0, v68
	v_cmp_lt_i16_e64 s[8:9], -1, v66
	v_cndmask_b32_e64 v70, -1, v65, s[8:9]
	v_cmp_lt_i16_e64 s[8:9], -1, v68
	v_xor_b32_e32 v66, v70, v66
	v_cndmask_b32_e64 v70, -1, v65, s[8:9]
	v_xor_b32_e32 v68, v70, v68
	v_cmp_gt_u16_e64 s[8:9], v66, v68
	v_cndmask_b32_e64 v29, v29, v67, s[8:9]
	v_cndmask_b32_e64 v53, v69, v53, s[8:9]
	v_cmp_ge_u32_e64 s[8:9], v53, v29
	s_or_b64 s[22:23], s[8:9], s[22:23]
	s_andn2_b64 exec, exec, s[22:23]
	s_cbranch_execnz .LBB1852_85
; %bb.86:
	s_or_b64 exec, exec, s[22:23]
.LBB1852_87:
	s_or_b64 exec, exec, s[12:13]
	v_add_u32_e32 v55, v30, v55
	v_add_u32_e32 v54, v53, v54
	v_sub_u32_e32 v55, v55, v53
	v_cmp_le_u32_e64 s[8:9], v54, v30
	v_cmp_le_u32_e64 s[12:13], v55, v31
	v_add_u32_e32 v29, 0x1000, v28
	s_or_b64 s[8:9], s[8:9], s[12:13]
	s_and_saveexec_b64 s[22:23], s[8:9]
	s_cbranch_execz .LBB1852_123
; %bb.88:
	v_cmp_ge_u32_e64 s[8:9], v54, v30
	v_cmp_lt_u32_e64 s[12:13], v54, v30
                                        ; implicit-def: $vgpr36
	s_and_saveexec_b64 s[24:25], s[12:13]
	s_cbranch_execz .LBB1852_90
; %bb.89:
	v_lshl_add_u32 v4, v53, 1, v52
	ds_read_u16 v36, v4
.LBB1852_90:
	s_or_b64 exec, exec, s[24:25]
	v_cmp_ge_u32_e64 s[24:25], v55, v31
	v_cmp_lt_u32_e64 s[12:13], v55, v31
                                        ; implicit-def: $vgpr37
	s_and_saveexec_b64 s[26:27], s[12:13]
	s_cbranch_execz .LBB1852_92
; %bb.91:
	v_lshl_add_u32 v4, v55, 1, v14
	ds_read_u16 v37, v4
.LBB1852_92:
	s_or_b64 exec, exec, s[26:27]
	s_or_b64 s[8:9], s[8:9], s[24:25]
	s_mov_b64 s[12:13], -1
	s_xor_b64 s[8:9], s[8:9], -1
	s_and_saveexec_b64 s[26:27], s[8:9]
	s_cbranch_execz .LBB1852_94
; %bb.93:
	s_waitcnt lgkmcnt(0)
	v_add_f16_e32 v4, 0, v36
	v_add_f16_e32 v5, 0, v37
	v_mov_b32_e32 v8, 0xffff8000
	v_cmp_lt_i16_e64 s[8:9], -1, v4
	v_cndmask_b32_e64 v9, -1, v8, s[8:9]
	v_cmp_lt_i16_e64 s[8:9], -1, v5
	v_cndmask_b32_e64 v8, -1, v8, s[8:9]
	v_xor_b32_e32 v4, v9, v4
	v_xor_b32_e32 v5, v8, v5
	v_cmp_le_u16_e64 s[8:9], v4, v5
	s_andn2_b64 s[24:25], s[24:25], exec
	s_and_b64 s[8:9], s[8:9], exec
	s_or_b64 s[24:25], s[24:25], s[8:9]
.LBB1852_94:
	s_or_b64 exec, exec, s[26:27]
	v_cndmask_b32_e64 v4, v55, v54, s[24:25]
	v_cndmask_b32_e64 v5, v31, v30, s[24:25]
	v_add_u32_e32 v8, 1, v4
	v_add_u32_e32 v5, -1, v5
	v_min_u32_e32 v5, v8, v5
	v_lshl_add_u32 v5, v5, 1, v14
	ds_read_u16 v9, v5
	v_lshl_add_u32 v4, v4, 3, v12
	ds_read_b64 v[4:5], v4 offset:4096
	v_cndmask_b32_e64 v16, v8, v55, s[24:25]
	v_cndmask_b32_e64 v17, v54, v8, s[24:25]
	s_waitcnt lgkmcnt(1)
	v_cndmask_b32_e64 v48, v9, v37, s[24:25]
	v_cndmask_b32_e64 v52, v36, v9, s[24:25]
	v_cmp_lt_u32_e64 s[8:9], v16, v31
	s_and_saveexec_b64 s[26:27], s[8:9]
	s_cbranch_execz .LBB1852_98
; %bb.95:
	v_cmp_lt_u32_e64 s[8:9], v17, v30
	s_mov_b64 s[28:29], 0
	s_and_saveexec_b64 s[12:13], s[8:9]
; %bb.96:
	v_add_f16_e32 v8, 0, v52
	v_add_f16_e32 v9, 0, v48
	v_mov_b32_e32 v18, 0xffff8000
	v_cmp_lt_i16_e64 s[8:9], -1, v8
	v_cndmask_b32_e64 v19, -1, v18, s[8:9]
	v_cmp_lt_i16_e64 s[8:9], -1, v9
	v_cndmask_b32_e64 v18, -1, v18, s[8:9]
	v_xor_b32_e32 v8, v19, v8
	v_xor_b32_e32 v9, v18, v9
	v_cmp_le_u16_e64 s[8:9], v8, v9
	s_and_b64 s[28:29], s[8:9], exec
; %bb.97:
	s_or_b64 exec, exec, s[12:13]
	s_orn2_b64 s[12:13], s[28:29], exec
.LBB1852_98:
	s_or_b64 exec, exec, s[26:27]
	v_cndmask_b32_e64 v8, v16, v17, s[12:13]
	v_cndmask_b32_e64 v9, v31, v30, s[12:13]
	v_add_u32_e32 v19, 1, v8
	v_add_u32_e32 v9, -1, v9
	v_min_u32_e32 v9, v19, v9
	v_lshl_add_u32 v9, v9, 1, v14
	ds_read_u16 v18, v9
	v_lshl_add_u32 v8, v8, 3, v12
	ds_read_b64 v[8:9], v8 offset:4096
	s_mov_b64 s[28:29], -1
	s_mov_b64 s[26:27], -1
	s_waitcnt lgkmcnt(1)
	v_cndmask_b32_e64 v49, v18, v48, s[12:13]
	v_cndmask_b32_e64 v53, v52, v18, s[12:13]
	v_cndmask_b32_e64 v18, v19, v16, s[12:13]
	v_cndmask_b32_e64 v19, v17, v19, s[12:13]
	v_cmp_lt_u32_e64 s[8:9], v18, v31
	s_and_saveexec_b64 s[30:31], s[8:9]
	s_cbranch_execz .LBB1852_102
; %bb.99:
	v_cmp_lt_u32_e64 s[8:9], v19, v30
	s_mov_b64 s[34:35], 0
	s_and_saveexec_b64 s[26:27], s[8:9]
; %bb.100:
	v_add_f16_e32 v16, 0, v53
	v_add_f16_e32 v17, 0, v49
	v_mov_b32_e32 v20, 0xffff8000
	v_cmp_lt_i16_e64 s[8:9], -1, v16
	v_cndmask_b32_e64 v21, -1, v20, s[8:9]
	v_cmp_lt_i16_e64 s[8:9], -1, v17
	v_cndmask_b32_e64 v20, -1, v20, s[8:9]
	v_xor_b32_e32 v16, v21, v16
	v_xor_b32_e32 v17, v20, v17
	v_cmp_le_u16_e64 s[8:9], v16, v17
	s_and_b64 s[34:35], s[8:9], exec
; %bb.101:
	s_or_b64 exec, exec, s[26:27]
	s_orn2_b64 s[26:27], s[34:35], exec
.LBB1852_102:
	s_or_b64 exec, exec, s[30:31]
	v_cndmask_b32_e64 v16, v18, v19, s[26:27]
	v_cndmask_b32_e64 v17, v31, v30, s[26:27]
	v_add_u32_e32 v21, 1, v16
	v_add_u32_e32 v17, -1, v17
	v_min_u32_e32 v17, v21, v17
	v_lshl_add_u32 v17, v17, 1, v14
	ds_read_u16 v20, v17
	v_lshl_add_u32 v16, v16, 3, v12
	ds_read_b64 v[16:17], v16 offset:4096
	s_waitcnt lgkmcnt(1)
	v_cndmask_b32_e64 v26, v20, v49, s[26:27]
	v_cndmask_b32_e64 v27, v53, v20, s[26:27]
	;; [unrolled: 1-line block ×4, first 2 shown]
	v_cmp_lt_u32_e64 s[8:9], v20, v31
	s_and_saveexec_b64 s[30:31], s[8:9]
	s_cbranch_execz .LBB1852_106
; %bb.103:
	v_cmp_lt_u32_e64 s[8:9], v21, v30
	s_mov_b64 s[34:35], 0
	s_and_saveexec_b64 s[28:29], s[8:9]
; %bb.104:
	v_add_f16_e32 v18, 0, v27
	v_add_f16_e32 v19, 0, v26
	v_mov_b32_e32 v22, 0xffff8000
	v_cmp_lt_i16_e64 s[8:9], -1, v18
	v_cndmask_b32_e64 v23, -1, v22, s[8:9]
	v_cmp_lt_i16_e64 s[8:9], -1, v19
	v_cndmask_b32_e64 v22, -1, v22, s[8:9]
	v_xor_b32_e32 v18, v23, v18
	v_xor_b32_e32 v19, v22, v19
	v_cmp_le_u16_e64 s[8:9], v18, v19
	s_and_b64 s[34:35], s[8:9], exec
; %bb.105:
	s_or_b64 exec, exec, s[28:29]
	s_orn2_b64 s[28:29], s[34:35], exec
.LBB1852_106:
	s_or_b64 exec, exec, s[30:31]
	v_cndmask_b32_e64 v18, v20, v21, s[28:29]
	v_cndmask_b32_e64 v19, v31, v30, s[28:29]
	v_add_u32_e32 v23, 1, v18
	v_add_u32_e32 v19, -1, v19
	v_min_u32_e32 v19, v23, v19
	v_lshl_add_u32 v19, v19, 1, v14
	ds_read_u16 v22, v19
	v_lshl_add_u32 v18, v18, 3, v12
	ds_read_b64 v[18:19], v18 offset:4096
	s_mov_b64 s[34:35], -1
	s_mov_b64 s[30:31], -1
	s_waitcnt lgkmcnt(1)
	v_cndmask_b32_e64 v39, v22, v26, s[28:29]
	v_cndmask_b32_e64 v51, v27, v22, s[28:29]
	;; [unrolled: 1-line block ×4, first 2 shown]
	v_cmp_lt_u32_e64 s[8:9], v22, v31
	s_and_saveexec_b64 s[36:37], s[8:9]
	s_cbranch_execz .LBB1852_110
; %bb.107:
	v_cmp_lt_u32_e64 s[8:9], v23, v30
	s_mov_b64 s[38:39], 0
	s_and_saveexec_b64 s[30:31], s[8:9]
; %bb.108:
	v_add_f16_e32 v20, 0, v51
	v_add_f16_e32 v21, 0, v39
	v_mov_b32_e32 v24, 0xffff8000
	v_cmp_lt_i16_e64 s[8:9], -1, v20
	v_cndmask_b32_e64 v25, -1, v24, s[8:9]
	v_cmp_lt_i16_e64 s[8:9], -1, v21
	v_cndmask_b32_e64 v24, -1, v24, s[8:9]
	v_xor_b32_e32 v20, v25, v20
	v_xor_b32_e32 v21, v24, v21
	v_cmp_le_u16_e64 s[8:9], v20, v21
	s_and_b64 s[38:39], s[8:9], exec
; %bb.109:
	s_or_b64 exec, exec, s[30:31]
	s_orn2_b64 s[30:31], s[38:39], exec
.LBB1852_110:
	s_or_b64 exec, exec, s[36:37]
	v_cndmask_b32_e64 v20, v22, v23, s[30:31]
	v_cndmask_b32_e64 v21, v31, v30, s[30:31]
	v_add_u32_e32 v24, 1, v20
	v_add_u32_e32 v21, -1, v21
	v_min_u32_e32 v21, v24, v21
	v_lshl_add_u32 v21, v21, 1, v14
	ds_read_u16 v25, v21
	v_lshl_add_u32 v20, v20, 3, v12
	ds_read_b64 v[20:21], v20 offset:4096
	v_cndmask_b32_e64 v22, v24, v22, s[30:31]
	v_cndmask_b32_e64 v23, v23, v24, s[30:31]
	s_waitcnt lgkmcnt(1)
	v_cndmask_b32_e64 v38, v25, v39, s[30:31]
	v_cndmask_b32_e64 v54, v51, v25, s[30:31]
	v_cmp_lt_u32_e64 s[8:9], v22, v31
	s_and_saveexec_b64 s[36:37], s[8:9]
	s_cbranch_execz .LBB1852_114
; %bb.111:
	v_cmp_lt_u32_e64 s[8:9], v23, v30
	s_mov_b64 s[38:39], 0
	s_and_saveexec_b64 s[34:35], s[8:9]
; %bb.112:
	v_add_f16_e32 v24, 0, v54
	v_add_f16_e32 v25, 0, v38
	v_mov_b32_e32 v50, 0xffff8000
	v_cmp_lt_i16_e64 s[8:9], -1, v24
	v_cndmask_b32_e64 v55, -1, v50, s[8:9]
	v_cmp_lt_i16_e64 s[8:9], -1, v25
	v_cndmask_b32_e64 v50, -1, v50, s[8:9]
	v_xor_b32_e32 v24, v55, v24
	v_xor_b32_e32 v25, v50, v25
	v_cmp_le_u16_e64 s[8:9], v24, v25
	s_and_b64 s[38:39], s[8:9], exec
; %bb.113:
	s_or_b64 exec, exec, s[34:35]
	s_orn2_b64 s[34:35], s[38:39], exec
.LBB1852_114:
	s_or_b64 exec, exec, s[36:37]
	v_cndmask_b32_e64 v24, v22, v23, s[34:35]
	v_cndmask_b32_e64 v25, v31, v30, s[34:35]
	v_add_u32_e32 v64, 1, v24
	v_add_u32_e32 v25, -1, v25
	v_min_u32_e32 v25, v64, v25
	v_lshl_add_u32 v25, v25, 1, v14
	ds_read_u16 v55, v25
	v_lshl_add_u32 v24, v24, 3, v12
	ds_read_b64 v[24:25], v24 offset:4096
	v_cndmask_b32_e64 v66, v64, v22, s[34:35]
	v_cndmask_b32_e64 v67, v23, v64, s[34:35]
	s_waitcnt lgkmcnt(1)
	v_cndmask_b32_e64 v50, v55, v38, s[34:35]
	v_cndmask_b32_e64 v55, v54, v55, s[34:35]
	v_cmp_lt_u32_e64 s[8:9], v66, v31
	s_mov_b64 s[36:37], -1
	s_mov_b64 s[38:39], -1
	s_and_saveexec_b64 s[40:41], s[8:9]
	s_cbranch_execz .LBB1852_118
; %bb.115:
	v_cmp_lt_u32_e64 s[8:9], v67, v30
	s_mov_b64 s[42:43], 0
	s_and_saveexec_b64 s[38:39], s[8:9]
; %bb.116:
	v_add_f16_e32 v22, 0, v55
	v_add_f16_e32 v23, 0, v50
	v_mov_b32_e32 v64, 0xffff8000
	v_cmp_lt_i16_e64 s[8:9], -1, v22
	v_cndmask_b32_e64 v65, -1, v64, s[8:9]
	v_cmp_lt_i16_e64 s[8:9], -1, v23
	v_cndmask_b32_e64 v64, -1, v64, s[8:9]
	v_xor_b32_e32 v22, v65, v22
	v_xor_b32_e32 v23, v64, v23
	v_cmp_le_u16_e64 s[8:9], v22, v23
	s_and_b64 s[42:43], s[8:9], exec
; %bb.117:
	s_or_b64 exec, exec, s[38:39]
	s_orn2_b64 s[38:39], s[42:43], exec
.LBB1852_118:
	s_or_b64 exec, exec, s[40:41]
	v_cndmask_b32_e64 v22, v66, v67, s[38:39]
	v_cndmask_b32_e64 v23, v31, v30, s[38:39]
	v_add_u32_e32 v68, 1, v22
	v_add_u32_e32 v23, -1, v23
	v_min_u32_e32 v23, v68, v23
	v_lshl_add_u32 v23, v23, 1, v14
	ds_read_u16 v65, v23
	v_lshl_add_u32 v22, v22, 3, v12
	ds_read_b64 v[22:23], v22 offset:4096
	v_cndmask_b32_e64 v66, v68, v66, s[38:39]
	v_cndmask_b32_e64 v67, v67, v68, s[38:39]
	s_waitcnt lgkmcnt(1)
	v_cndmask_b32_e64 v64, v65, v50, s[38:39]
	v_cndmask_b32_e64 v65, v55, v65, s[38:39]
	v_cmp_lt_u32_e64 s[8:9], v66, v31
	s_and_saveexec_b64 s[40:41], s[8:9]
	s_cbranch_execz .LBB1852_122
; %bb.119:
	v_cmp_lt_u32_e64 s[8:9], v67, v30
	s_mov_b64 s[42:43], 0
	s_and_saveexec_b64 s[36:37], s[8:9]
; %bb.120:
	v_add_f16_e32 v30, 0, v65
	v_add_f16_e32 v31, 0, v64
	v_mov_b32_e32 v68, 0xffff8000
	v_cmp_lt_i16_e64 s[8:9], -1, v30
	v_cndmask_b32_e64 v69, -1, v68, s[8:9]
	v_cmp_lt_i16_e64 s[8:9], -1, v31
	v_cndmask_b32_e64 v68, -1, v68, s[8:9]
	v_xor_b32_e32 v30, v69, v30
	v_xor_b32_e32 v31, v68, v31
	v_cmp_le_u16_e64 s[8:9], v30, v31
	s_and_b64 s[42:43], s[8:9], exec
; %bb.121:
	s_or_b64 exec, exec, s[36:37]
	s_orn2_b64 s[36:37], s[42:43], exec
.LBB1852_122:
	s_or_b64 exec, exec, s[40:41]
	v_cndmask_b32_e64 v39, v39, v51, s[30:31]
	v_cndmask_b32_e64 v51, v26, v27, s[28:29]
	v_cndmask_b32_e64 v26, v66, v67, s[36:37]
	v_lshl_add_u32 v26, v26, 3, v12
	ds_read_b64 v[26:27], v26 offset:4096
	v_cndmask_b32_e64 v50, v50, v55, s[38:39]
	v_cndmask_b32_e64 v38, v38, v54, s[34:35]
	;; [unrolled: 1-line block ×6, first 2 shown]
.LBB1852_123:
	s_or_b64 exec, exec, s[22:23]
	v_and_b32_e32 v54, 0x3e0, v35
	v_or_b32_e32 v30, 16, v54
	v_min_u32_e32 v30, v15, v30
	v_add_u32_e32 v31, 16, v30
	v_min_u32_e32 v31, v15, v31
	v_and_b32_e32 v52, 24, v35
	v_min_u32_e32 v55, v15, v52
	v_sub_u32_e32 v64, v30, v54
	v_sub_u32_e32 v53, v31, v30
	v_sub_u32_e64 v53, v55, v53 clamp
	v_min_u32_e32 v64, v55, v64
	v_lshl_add_u32 v52, v54, 1, v14
	v_cmp_lt_u32_e64 s[8:9], v53, v64
	; wave barrier
	ds_write_b16 v13, v36
	ds_write_b64 v28, v[4:5] offset:4096
	ds_write_b16 v13, v48 offset:2
	ds_write_b64 v29, v[8:9] offset:8
	ds_write_b16 v13, v49 offset:4
	;; [unrolled: 2-line block ×6, first 2 shown]
	s_waitcnt lgkmcnt(14)
	ds_write_b64 v29, v[22:23] offset:48
	ds_write_b16 v13, v37 offset:14
	s_waitcnt lgkmcnt(14)
	ds_write_b64 v29, v[26:27] offset:56
	; wave barrier
	s_and_saveexec_b64 s[12:13], s[8:9]
	s_cbranch_execz .LBB1852_127
; %bb.124:
	v_lshlrev_b32_e32 v65, 1, v30
	v_lshlrev_b32_e32 v66, 1, v55
	v_add3_u32 v65, v14, v65, v66
	s_mov_b64 s[22:23], 0
	v_mov_b32_e32 v66, 0xffff8000
.LBB1852_125:                           ; =>This Inner Loop Header: Depth=1
	v_add_u32_e32 v67, v64, v53
	v_lshrrev_b32_e32 v68, 1, v67
	v_and_b32_e32 v67, -2, v67
	v_not_b32_e32 v69, v68
	v_add_u32_e32 v67, v52, v67
	v_lshl_add_u32 v69, v69, 1, v65
	ds_read_u16 v67, v67
	ds_read_u16 v69, v69
	v_add_u32_e32 v70, 1, v68
	s_waitcnt lgkmcnt(1)
	v_add_f16_e32 v67, 0, v67
	s_waitcnt lgkmcnt(0)
	v_add_f16_e32 v69, 0, v69
	v_cmp_lt_i16_e64 s[8:9], -1, v67
	v_cndmask_b32_e64 v71, -1, v66, s[8:9]
	v_cmp_lt_i16_e64 s[8:9], -1, v69
	v_xor_b32_e32 v67, v71, v67
	v_cndmask_b32_e64 v71, -1, v66, s[8:9]
	v_xor_b32_e32 v69, v71, v69
	v_cmp_gt_u16_e64 s[8:9], v67, v69
	v_cndmask_b32_e64 v64, v64, v68, s[8:9]
	v_cndmask_b32_e64 v53, v70, v53, s[8:9]
	v_cmp_ge_u32_e64 s[8:9], v53, v64
	s_or_b64 s[22:23], s[8:9], s[22:23]
	s_andn2_b64 exec, exec, s[22:23]
	s_cbranch_execnz .LBB1852_125
; %bb.126:
	s_or_b64 exec, exec, s[22:23]
.LBB1852_127:
	s_or_b64 exec, exec, s[12:13]
	v_add_u32_e32 v55, v30, v55
	v_add_u32_e32 v54, v53, v54
	v_sub_u32_e32 v55, v55, v53
	v_cmp_le_u32_e64 s[8:9], v54, v30
	v_cmp_le_u32_e64 s[12:13], v55, v31
	s_or_b64 s[8:9], s[8:9], s[12:13]
	s_and_saveexec_b64 s[22:23], s[8:9]
	s_cbranch_execz .LBB1852_163
; %bb.128:
	v_cmp_ge_u32_e64 s[8:9], v54, v30
	v_cmp_lt_u32_e64 s[12:13], v54, v30
                                        ; implicit-def: $vgpr36
	s_and_saveexec_b64 s[24:25], s[12:13]
	s_cbranch_execz .LBB1852_130
; %bb.129:
	v_lshl_add_u32 v4, v53, 1, v52
	ds_read_u16 v36, v4
.LBB1852_130:
	s_or_b64 exec, exec, s[24:25]
	v_cmp_ge_u32_e64 s[24:25], v55, v31
	v_cmp_lt_u32_e64 s[12:13], v55, v31
                                        ; implicit-def: $vgpr37
	s_and_saveexec_b64 s[26:27], s[12:13]
	s_cbranch_execz .LBB1852_132
; %bb.131:
	v_lshl_add_u32 v4, v55, 1, v14
	ds_read_u16 v37, v4
.LBB1852_132:
	s_or_b64 exec, exec, s[26:27]
	s_or_b64 s[8:9], s[8:9], s[24:25]
	s_mov_b64 s[12:13], -1
	s_xor_b64 s[8:9], s[8:9], -1
	s_and_saveexec_b64 s[26:27], s[8:9]
	s_cbranch_execz .LBB1852_134
; %bb.133:
	s_waitcnt lgkmcnt(0)
	v_add_f16_e32 v4, 0, v36
	v_add_f16_e32 v5, 0, v37
	v_mov_b32_e32 v8, 0xffff8000
	v_cmp_lt_i16_e64 s[8:9], -1, v4
	v_cndmask_b32_e64 v9, -1, v8, s[8:9]
	v_cmp_lt_i16_e64 s[8:9], -1, v5
	v_cndmask_b32_e64 v8, -1, v8, s[8:9]
	v_xor_b32_e32 v4, v9, v4
	v_xor_b32_e32 v5, v8, v5
	v_cmp_le_u16_e64 s[8:9], v4, v5
	s_andn2_b64 s[24:25], s[24:25], exec
	s_and_b64 s[8:9], s[8:9], exec
	s_or_b64 s[24:25], s[24:25], s[8:9]
.LBB1852_134:
	s_or_b64 exec, exec, s[26:27]
	v_cndmask_b32_e64 v4, v55, v54, s[24:25]
	v_cndmask_b32_e64 v5, v31, v30, s[24:25]
	v_add_u32_e32 v8, 1, v4
	v_add_u32_e32 v5, -1, v5
	v_min_u32_e32 v5, v8, v5
	v_lshl_add_u32 v5, v5, 1, v14
	ds_read_u16 v9, v5
	v_lshl_add_u32 v4, v4, 3, v12
	ds_read_b64 v[4:5], v4 offset:4096
	v_cndmask_b32_e64 v16, v8, v55, s[24:25]
	v_cndmask_b32_e64 v17, v54, v8, s[24:25]
	s_waitcnt lgkmcnt(1)
	v_cndmask_b32_e64 v48, v9, v37, s[24:25]
	v_cndmask_b32_e64 v52, v36, v9, s[24:25]
	v_cmp_lt_u32_e64 s[8:9], v16, v31
	s_and_saveexec_b64 s[26:27], s[8:9]
	s_cbranch_execz .LBB1852_138
; %bb.135:
	v_cmp_lt_u32_e64 s[8:9], v17, v30
	s_mov_b64 s[28:29], 0
	s_and_saveexec_b64 s[12:13], s[8:9]
; %bb.136:
	v_add_f16_e32 v8, 0, v52
	v_add_f16_e32 v9, 0, v48
	v_mov_b32_e32 v18, 0xffff8000
	v_cmp_lt_i16_e64 s[8:9], -1, v8
	v_cndmask_b32_e64 v19, -1, v18, s[8:9]
	v_cmp_lt_i16_e64 s[8:9], -1, v9
	v_cndmask_b32_e64 v18, -1, v18, s[8:9]
	v_xor_b32_e32 v8, v19, v8
	v_xor_b32_e32 v9, v18, v9
	v_cmp_le_u16_e64 s[8:9], v8, v9
	s_and_b64 s[28:29], s[8:9], exec
; %bb.137:
	s_or_b64 exec, exec, s[12:13]
	s_orn2_b64 s[12:13], s[28:29], exec
.LBB1852_138:
	s_or_b64 exec, exec, s[26:27]
	v_cndmask_b32_e64 v8, v16, v17, s[12:13]
	v_cndmask_b32_e64 v9, v31, v30, s[12:13]
	v_add_u32_e32 v19, 1, v8
	v_add_u32_e32 v9, -1, v9
	v_min_u32_e32 v9, v19, v9
	v_lshl_add_u32 v9, v9, 1, v14
	ds_read_u16 v18, v9
	v_lshl_add_u32 v8, v8, 3, v12
	ds_read_b64 v[8:9], v8 offset:4096
	s_mov_b64 s[28:29], -1
	s_mov_b64 s[26:27], -1
	s_waitcnt lgkmcnt(1)
	v_cndmask_b32_e64 v49, v18, v48, s[12:13]
	v_cndmask_b32_e64 v53, v52, v18, s[12:13]
	;; [unrolled: 1-line block ×4, first 2 shown]
	v_cmp_lt_u32_e64 s[8:9], v18, v31
	s_and_saveexec_b64 s[30:31], s[8:9]
	s_cbranch_execz .LBB1852_142
; %bb.139:
	v_cmp_lt_u32_e64 s[8:9], v19, v30
	s_mov_b64 s[34:35], 0
	s_and_saveexec_b64 s[26:27], s[8:9]
; %bb.140:
	v_add_f16_e32 v16, 0, v53
	v_add_f16_e32 v17, 0, v49
	v_mov_b32_e32 v20, 0xffff8000
	v_cmp_lt_i16_e64 s[8:9], -1, v16
	v_cndmask_b32_e64 v21, -1, v20, s[8:9]
	v_cmp_lt_i16_e64 s[8:9], -1, v17
	v_cndmask_b32_e64 v20, -1, v20, s[8:9]
	v_xor_b32_e32 v16, v21, v16
	v_xor_b32_e32 v17, v20, v17
	v_cmp_le_u16_e64 s[8:9], v16, v17
	s_and_b64 s[34:35], s[8:9], exec
; %bb.141:
	s_or_b64 exec, exec, s[26:27]
	s_orn2_b64 s[26:27], s[34:35], exec
.LBB1852_142:
	s_or_b64 exec, exec, s[30:31]
	v_cndmask_b32_e64 v16, v18, v19, s[26:27]
	v_cndmask_b32_e64 v17, v31, v30, s[26:27]
	v_add_u32_e32 v21, 1, v16
	v_add_u32_e32 v17, -1, v17
	v_min_u32_e32 v17, v21, v17
	v_lshl_add_u32 v17, v17, 1, v14
	ds_read_u16 v20, v17
	v_lshl_add_u32 v16, v16, 3, v12
	ds_read_b64 v[16:17], v16 offset:4096
	s_waitcnt lgkmcnt(1)
	v_cndmask_b32_e64 v26, v20, v49, s[26:27]
	v_cndmask_b32_e64 v27, v53, v20, s[26:27]
	;; [unrolled: 1-line block ×4, first 2 shown]
	v_cmp_lt_u32_e64 s[8:9], v20, v31
	s_and_saveexec_b64 s[30:31], s[8:9]
	s_cbranch_execz .LBB1852_146
; %bb.143:
	v_cmp_lt_u32_e64 s[8:9], v21, v30
	s_mov_b64 s[34:35], 0
	s_and_saveexec_b64 s[28:29], s[8:9]
; %bb.144:
	v_add_f16_e32 v18, 0, v27
	v_add_f16_e32 v19, 0, v26
	v_mov_b32_e32 v22, 0xffff8000
	v_cmp_lt_i16_e64 s[8:9], -1, v18
	v_cndmask_b32_e64 v23, -1, v22, s[8:9]
	v_cmp_lt_i16_e64 s[8:9], -1, v19
	v_cndmask_b32_e64 v22, -1, v22, s[8:9]
	v_xor_b32_e32 v18, v23, v18
	v_xor_b32_e32 v19, v22, v19
	v_cmp_le_u16_e64 s[8:9], v18, v19
	s_and_b64 s[34:35], s[8:9], exec
; %bb.145:
	s_or_b64 exec, exec, s[28:29]
	s_orn2_b64 s[28:29], s[34:35], exec
.LBB1852_146:
	s_or_b64 exec, exec, s[30:31]
	v_cndmask_b32_e64 v18, v20, v21, s[28:29]
	v_cndmask_b32_e64 v19, v31, v30, s[28:29]
	v_add_u32_e32 v23, 1, v18
	v_add_u32_e32 v19, -1, v19
	v_min_u32_e32 v19, v23, v19
	v_lshl_add_u32 v19, v19, 1, v14
	ds_read_u16 v22, v19
	v_lshl_add_u32 v18, v18, 3, v12
	ds_read_b64 v[18:19], v18 offset:4096
	s_mov_b64 s[34:35], -1
	s_mov_b64 s[30:31], -1
	s_waitcnt lgkmcnt(1)
	v_cndmask_b32_e64 v39, v22, v26, s[28:29]
	v_cndmask_b32_e64 v51, v27, v22, s[28:29]
	;; [unrolled: 1-line block ×4, first 2 shown]
	v_cmp_lt_u32_e64 s[8:9], v22, v31
	s_and_saveexec_b64 s[36:37], s[8:9]
	s_cbranch_execz .LBB1852_150
; %bb.147:
	v_cmp_lt_u32_e64 s[8:9], v23, v30
	s_mov_b64 s[38:39], 0
	s_and_saveexec_b64 s[30:31], s[8:9]
; %bb.148:
	v_add_f16_e32 v20, 0, v51
	v_add_f16_e32 v21, 0, v39
	v_mov_b32_e32 v24, 0xffff8000
	v_cmp_lt_i16_e64 s[8:9], -1, v20
	v_cndmask_b32_e64 v25, -1, v24, s[8:9]
	v_cmp_lt_i16_e64 s[8:9], -1, v21
	v_cndmask_b32_e64 v24, -1, v24, s[8:9]
	v_xor_b32_e32 v20, v25, v20
	v_xor_b32_e32 v21, v24, v21
	v_cmp_le_u16_e64 s[8:9], v20, v21
	s_and_b64 s[38:39], s[8:9], exec
; %bb.149:
	s_or_b64 exec, exec, s[30:31]
	s_orn2_b64 s[30:31], s[38:39], exec
.LBB1852_150:
	s_or_b64 exec, exec, s[36:37]
	v_cndmask_b32_e64 v20, v22, v23, s[30:31]
	v_cndmask_b32_e64 v21, v31, v30, s[30:31]
	v_add_u32_e32 v24, 1, v20
	v_add_u32_e32 v21, -1, v21
	v_min_u32_e32 v21, v24, v21
	v_lshl_add_u32 v21, v21, 1, v14
	ds_read_u16 v25, v21
	v_lshl_add_u32 v20, v20, 3, v12
	ds_read_b64 v[20:21], v20 offset:4096
	v_cndmask_b32_e64 v22, v24, v22, s[30:31]
	v_cndmask_b32_e64 v23, v23, v24, s[30:31]
	s_waitcnt lgkmcnt(1)
	v_cndmask_b32_e64 v38, v25, v39, s[30:31]
	v_cndmask_b32_e64 v54, v51, v25, s[30:31]
	v_cmp_lt_u32_e64 s[8:9], v22, v31
	s_and_saveexec_b64 s[36:37], s[8:9]
	s_cbranch_execz .LBB1852_154
; %bb.151:
	v_cmp_lt_u32_e64 s[8:9], v23, v30
	s_mov_b64 s[38:39], 0
	s_and_saveexec_b64 s[34:35], s[8:9]
; %bb.152:
	v_add_f16_e32 v24, 0, v54
	v_add_f16_e32 v25, 0, v38
	v_mov_b32_e32 v50, 0xffff8000
	v_cmp_lt_i16_e64 s[8:9], -1, v24
	v_cndmask_b32_e64 v55, -1, v50, s[8:9]
	v_cmp_lt_i16_e64 s[8:9], -1, v25
	v_cndmask_b32_e64 v50, -1, v50, s[8:9]
	v_xor_b32_e32 v24, v55, v24
	v_xor_b32_e32 v25, v50, v25
	v_cmp_le_u16_e64 s[8:9], v24, v25
	s_and_b64 s[38:39], s[8:9], exec
; %bb.153:
	s_or_b64 exec, exec, s[34:35]
	s_orn2_b64 s[34:35], s[38:39], exec
.LBB1852_154:
	s_or_b64 exec, exec, s[36:37]
	v_cndmask_b32_e64 v24, v22, v23, s[34:35]
	v_cndmask_b32_e64 v25, v31, v30, s[34:35]
	v_add_u32_e32 v64, 1, v24
	v_add_u32_e32 v25, -1, v25
	v_min_u32_e32 v25, v64, v25
	v_lshl_add_u32 v25, v25, 1, v14
	ds_read_u16 v55, v25
	v_lshl_add_u32 v24, v24, 3, v12
	ds_read_b64 v[24:25], v24 offset:4096
	v_cndmask_b32_e64 v66, v64, v22, s[34:35]
	v_cndmask_b32_e64 v67, v23, v64, s[34:35]
	s_waitcnt lgkmcnt(1)
	v_cndmask_b32_e64 v50, v55, v38, s[34:35]
	v_cndmask_b32_e64 v55, v54, v55, s[34:35]
	v_cmp_lt_u32_e64 s[8:9], v66, v31
	s_mov_b64 s[36:37], -1
	s_mov_b64 s[38:39], -1
	s_and_saveexec_b64 s[40:41], s[8:9]
	s_cbranch_execz .LBB1852_158
; %bb.155:
	v_cmp_lt_u32_e64 s[8:9], v67, v30
	s_mov_b64 s[42:43], 0
	s_and_saveexec_b64 s[38:39], s[8:9]
; %bb.156:
	v_add_f16_e32 v22, 0, v55
	v_add_f16_e32 v23, 0, v50
	v_mov_b32_e32 v64, 0xffff8000
	v_cmp_lt_i16_e64 s[8:9], -1, v22
	v_cndmask_b32_e64 v65, -1, v64, s[8:9]
	v_cmp_lt_i16_e64 s[8:9], -1, v23
	v_cndmask_b32_e64 v64, -1, v64, s[8:9]
	v_xor_b32_e32 v22, v65, v22
	v_xor_b32_e32 v23, v64, v23
	v_cmp_le_u16_e64 s[8:9], v22, v23
	s_and_b64 s[42:43], s[8:9], exec
; %bb.157:
	s_or_b64 exec, exec, s[38:39]
	s_orn2_b64 s[38:39], s[42:43], exec
.LBB1852_158:
	s_or_b64 exec, exec, s[40:41]
	v_cndmask_b32_e64 v22, v66, v67, s[38:39]
	v_cndmask_b32_e64 v23, v31, v30, s[38:39]
	v_add_u32_e32 v68, 1, v22
	v_add_u32_e32 v23, -1, v23
	v_min_u32_e32 v23, v68, v23
	v_lshl_add_u32 v23, v23, 1, v14
	ds_read_u16 v65, v23
	v_lshl_add_u32 v22, v22, 3, v12
	ds_read_b64 v[22:23], v22 offset:4096
	v_cndmask_b32_e64 v66, v68, v66, s[38:39]
	v_cndmask_b32_e64 v67, v67, v68, s[38:39]
	s_waitcnt lgkmcnt(1)
	v_cndmask_b32_e64 v64, v65, v50, s[38:39]
	v_cndmask_b32_e64 v65, v55, v65, s[38:39]
	v_cmp_lt_u32_e64 s[8:9], v66, v31
	s_and_saveexec_b64 s[40:41], s[8:9]
	s_cbranch_execz .LBB1852_162
; %bb.159:
	v_cmp_lt_u32_e64 s[8:9], v67, v30
	s_mov_b64 s[42:43], 0
	s_and_saveexec_b64 s[36:37], s[8:9]
; %bb.160:
	v_add_f16_e32 v30, 0, v65
	v_add_f16_e32 v31, 0, v64
	v_mov_b32_e32 v68, 0xffff8000
	v_cmp_lt_i16_e64 s[8:9], -1, v30
	v_cndmask_b32_e64 v69, -1, v68, s[8:9]
	v_cmp_lt_i16_e64 s[8:9], -1, v31
	v_cndmask_b32_e64 v68, -1, v68, s[8:9]
	v_xor_b32_e32 v30, v69, v30
	v_xor_b32_e32 v31, v68, v31
	v_cmp_le_u16_e64 s[8:9], v30, v31
	s_and_b64 s[42:43], s[8:9], exec
; %bb.161:
	s_or_b64 exec, exec, s[36:37]
	s_orn2_b64 s[36:37], s[42:43], exec
.LBB1852_162:
	s_or_b64 exec, exec, s[40:41]
	v_cndmask_b32_e64 v39, v39, v51, s[30:31]
	v_cndmask_b32_e64 v51, v26, v27, s[28:29]
	;; [unrolled: 1-line block ×3, first 2 shown]
	v_lshl_add_u32 v26, v26, 3, v12
	ds_read_b64 v[26:27], v26 offset:4096
	v_cndmask_b32_e64 v50, v50, v55, s[38:39]
	v_cndmask_b32_e64 v38, v38, v54, s[34:35]
	;; [unrolled: 1-line block ×6, first 2 shown]
.LBB1852_163:
	s_or_b64 exec, exec, s[22:23]
	v_and_b32_e32 v54, 0x3c0, v35
	v_or_b32_e32 v30, 32, v54
	v_min_u32_e32 v30, v15, v30
	v_add_u32_e32 v31, 32, v30
	v_min_u32_e32 v31, v15, v31
	v_and_b32_e32 v52, 56, v35
	v_min_u32_e32 v55, v15, v52
	v_sub_u32_e32 v64, v30, v54
	v_sub_u32_e32 v53, v31, v30
	v_sub_u32_e64 v53, v55, v53 clamp
	v_min_u32_e32 v64, v55, v64
	v_lshl_add_u32 v52, v54, 1, v14
	v_cmp_lt_u32_e64 s[8:9], v53, v64
	; wave barrier
	ds_write_b16 v13, v36
	ds_write_b64 v28, v[4:5] offset:4096
	ds_write_b16 v13, v48 offset:2
	ds_write_b64 v29, v[8:9] offset:8
	ds_write_b16 v13, v49 offset:4
	;; [unrolled: 2-line block ×6, first 2 shown]
	s_waitcnt lgkmcnt(14)
	ds_write_b64 v29, v[22:23] offset:48
	ds_write_b16 v13, v37 offset:14
	s_waitcnt lgkmcnt(14)
	ds_write_b64 v29, v[26:27] offset:56
	; wave barrier
	s_and_saveexec_b64 s[12:13], s[8:9]
	s_cbranch_execz .LBB1852_167
; %bb.164:
	v_lshlrev_b32_e32 v65, 1, v30
	v_lshlrev_b32_e32 v66, 1, v55
	v_add3_u32 v65, v14, v65, v66
	s_mov_b64 s[22:23], 0
	v_mov_b32_e32 v66, 0xffff8000
.LBB1852_165:                           ; =>This Inner Loop Header: Depth=1
	v_add_u32_e32 v67, v64, v53
	v_lshrrev_b32_e32 v68, 1, v67
	v_and_b32_e32 v67, -2, v67
	v_not_b32_e32 v69, v68
	v_add_u32_e32 v67, v52, v67
	v_lshl_add_u32 v69, v69, 1, v65
	ds_read_u16 v67, v67
	ds_read_u16 v69, v69
	v_add_u32_e32 v70, 1, v68
	s_waitcnt lgkmcnt(1)
	v_add_f16_e32 v67, 0, v67
	s_waitcnt lgkmcnt(0)
	v_add_f16_e32 v69, 0, v69
	v_cmp_lt_i16_e64 s[8:9], -1, v67
	v_cndmask_b32_e64 v71, -1, v66, s[8:9]
	v_cmp_lt_i16_e64 s[8:9], -1, v69
	v_xor_b32_e32 v67, v71, v67
	v_cndmask_b32_e64 v71, -1, v66, s[8:9]
	v_xor_b32_e32 v69, v71, v69
	v_cmp_gt_u16_e64 s[8:9], v67, v69
	v_cndmask_b32_e64 v64, v64, v68, s[8:9]
	v_cndmask_b32_e64 v53, v70, v53, s[8:9]
	v_cmp_ge_u32_e64 s[8:9], v53, v64
	s_or_b64 s[22:23], s[8:9], s[22:23]
	s_andn2_b64 exec, exec, s[22:23]
	s_cbranch_execnz .LBB1852_165
; %bb.166:
	s_or_b64 exec, exec, s[22:23]
.LBB1852_167:
	s_or_b64 exec, exec, s[12:13]
	v_add_u32_e32 v55, v30, v55
	v_add_u32_e32 v54, v53, v54
	v_sub_u32_e32 v55, v55, v53
	v_cmp_le_u32_e64 s[8:9], v54, v30
	v_cmp_le_u32_e64 s[12:13], v55, v31
	s_or_b64 s[8:9], s[8:9], s[12:13]
	s_and_saveexec_b64 s[22:23], s[8:9]
	s_cbranch_execz .LBB1852_203
; %bb.168:
	v_cmp_ge_u32_e64 s[8:9], v54, v30
	v_cmp_lt_u32_e64 s[12:13], v54, v30
                                        ; implicit-def: $vgpr36
	s_and_saveexec_b64 s[24:25], s[12:13]
	s_cbranch_execz .LBB1852_170
; %bb.169:
	v_lshl_add_u32 v4, v53, 1, v52
	ds_read_u16 v36, v4
.LBB1852_170:
	s_or_b64 exec, exec, s[24:25]
	v_cmp_ge_u32_e64 s[24:25], v55, v31
	v_cmp_lt_u32_e64 s[12:13], v55, v31
                                        ; implicit-def: $vgpr37
	s_and_saveexec_b64 s[26:27], s[12:13]
	s_cbranch_execz .LBB1852_172
; %bb.171:
	v_lshl_add_u32 v4, v55, 1, v14
	ds_read_u16 v37, v4
.LBB1852_172:
	s_or_b64 exec, exec, s[26:27]
	s_or_b64 s[8:9], s[8:9], s[24:25]
	s_mov_b64 s[12:13], -1
	s_xor_b64 s[8:9], s[8:9], -1
	s_and_saveexec_b64 s[26:27], s[8:9]
	s_cbranch_execz .LBB1852_174
; %bb.173:
	s_waitcnt lgkmcnt(0)
	v_add_f16_e32 v4, 0, v36
	v_add_f16_e32 v5, 0, v37
	v_mov_b32_e32 v8, 0xffff8000
	v_cmp_lt_i16_e64 s[8:9], -1, v4
	v_cndmask_b32_e64 v9, -1, v8, s[8:9]
	v_cmp_lt_i16_e64 s[8:9], -1, v5
	v_cndmask_b32_e64 v8, -1, v8, s[8:9]
	v_xor_b32_e32 v4, v9, v4
	v_xor_b32_e32 v5, v8, v5
	v_cmp_le_u16_e64 s[8:9], v4, v5
	s_andn2_b64 s[24:25], s[24:25], exec
	s_and_b64 s[8:9], s[8:9], exec
	s_or_b64 s[24:25], s[24:25], s[8:9]
.LBB1852_174:
	s_or_b64 exec, exec, s[26:27]
	v_cndmask_b32_e64 v4, v55, v54, s[24:25]
	v_cndmask_b32_e64 v5, v31, v30, s[24:25]
	v_add_u32_e32 v8, 1, v4
	v_add_u32_e32 v5, -1, v5
	v_min_u32_e32 v5, v8, v5
	v_lshl_add_u32 v5, v5, 1, v14
	ds_read_u16 v9, v5
	v_lshl_add_u32 v4, v4, 3, v12
	ds_read_b64 v[4:5], v4 offset:4096
	v_cndmask_b32_e64 v16, v8, v55, s[24:25]
	v_cndmask_b32_e64 v17, v54, v8, s[24:25]
	s_waitcnt lgkmcnt(1)
	v_cndmask_b32_e64 v48, v9, v37, s[24:25]
	v_cndmask_b32_e64 v52, v36, v9, s[24:25]
	v_cmp_lt_u32_e64 s[8:9], v16, v31
	s_and_saveexec_b64 s[26:27], s[8:9]
	s_cbranch_execz .LBB1852_178
; %bb.175:
	v_cmp_lt_u32_e64 s[8:9], v17, v30
	s_mov_b64 s[28:29], 0
	s_and_saveexec_b64 s[12:13], s[8:9]
; %bb.176:
	v_add_f16_e32 v8, 0, v52
	v_add_f16_e32 v9, 0, v48
	v_mov_b32_e32 v18, 0xffff8000
	v_cmp_lt_i16_e64 s[8:9], -1, v8
	v_cndmask_b32_e64 v19, -1, v18, s[8:9]
	v_cmp_lt_i16_e64 s[8:9], -1, v9
	v_cndmask_b32_e64 v18, -1, v18, s[8:9]
	v_xor_b32_e32 v8, v19, v8
	v_xor_b32_e32 v9, v18, v9
	v_cmp_le_u16_e64 s[8:9], v8, v9
	s_and_b64 s[28:29], s[8:9], exec
; %bb.177:
	s_or_b64 exec, exec, s[12:13]
	s_orn2_b64 s[12:13], s[28:29], exec
.LBB1852_178:
	s_or_b64 exec, exec, s[26:27]
	v_cndmask_b32_e64 v8, v16, v17, s[12:13]
	v_cndmask_b32_e64 v9, v31, v30, s[12:13]
	v_add_u32_e32 v19, 1, v8
	v_add_u32_e32 v9, -1, v9
	v_min_u32_e32 v9, v19, v9
	v_lshl_add_u32 v9, v9, 1, v14
	ds_read_u16 v18, v9
	v_lshl_add_u32 v8, v8, 3, v12
	ds_read_b64 v[8:9], v8 offset:4096
	s_mov_b64 s[28:29], -1
	s_mov_b64 s[26:27], -1
	s_waitcnt lgkmcnt(1)
	v_cndmask_b32_e64 v49, v18, v48, s[12:13]
	v_cndmask_b32_e64 v53, v52, v18, s[12:13]
	v_cndmask_b32_e64 v18, v19, v16, s[12:13]
	v_cndmask_b32_e64 v19, v17, v19, s[12:13]
	v_cmp_lt_u32_e64 s[8:9], v18, v31
	s_and_saveexec_b64 s[30:31], s[8:9]
	s_cbranch_execz .LBB1852_182
; %bb.179:
	v_cmp_lt_u32_e64 s[8:9], v19, v30
	s_mov_b64 s[34:35], 0
	s_and_saveexec_b64 s[26:27], s[8:9]
; %bb.180:
	v_add_f16_e32 v16, 0, v53
	v_add_f16_e32 v17, 0, v49
	v_mov_b32_e32 v20, 0xffff8000
	v_cmp_lt_i16_e64 s[8:9], -1, v16
	v_cndmask_b32_e64 v21, -1, v20, s[8:9]
	v_cmp_lt_i16_e64 s[8:9], -1, v17
	v_cndmask_b32_e64 v20, -1, v20, s[8:9]
	v_xor_b32_e32 v16, v21, v16
	v_xor_b32_e32 v17, v20, v17
	v_cmp_le_u16_e64 s[8:9], v16, v17
	s_and_b64 s[34:35], s[8:9], exec
; %bb.181:
	s_or_b64 exec, exec, s[26:27]
	s_orn2_b64 s[26:27], s[34:35], exec
.LBB1852_182:
	s_or_b64 exec, exec, s[30:31]
	v_cndmask_b32_e64 v16, v18, v19, s[26:27]
	v_cndmask_b32_e64 v17, v31, v30, s[26:27]
	v_add_u32_e32 v21, 1, v16
	v_add_u32_e32 v17, -1, v17
	v_min_u32_e32 v17, v21, v17
	v_lshl_add_u32 v17, v17, 1, v14
	ds_read_u16 v20, v17
	v_lshl_add_u32 v16, v16, 3, v12
	ds_read_b64 v[16:17], v16 offset:4096
	s_waitcnt lgkmcnt(1)
	v_cndmask_b32_e64 v26, v20, v49, s[26:27]
	v_cndmask_b32_e64 v27, v53, v20, s[26:27]
	;; [unrolled: 1-line block ×4, first 2 shown]
	v_cmp_lt_u32_e64 s[8:9], v20, v31
	s_and_saveexec_b64 s[30:31], s[8:9]
	s_cbranch_execz .LBB1852_186
; %bb.183:
	v_cmp_lt_u32_e64 s[8:9], v21, v30
	s_mov_b64 s[34:35], 0
	s_and_saveexec_b64 s[28:29], s[8:9]
; %bb.184:
	v_add_f16_e32 v18, 0, v27
	v_add_f16_e32 v19, 0, v26
	v_mov_b32_e32 v22, 0xffff8000
	v_cmp_lt_i16_e64 s[8:9], -1, v18
	v_cndmask_b32_e64 v23, -1, v22, s[8:9]
	v_cmp_lt_i16_e64 s[8:9], -1, v19
	v_cndmask_b32_e64 v22, -1, v22, s[8:9]
	v_xor_b32_e32 v18, v23, v18
	v_xor_b32_e32 v19, v22, v19
	v_cmp_le_u16_e64 s[8:9], v18, v19
	s_and_b64 s[34:35], s[8:9], exec
; %bb.185:
	s_or_b64 exec, exec, s[28:29]
	s_orn2_b64 s[28:29], s[34:35], exec
.LBB1852_186:
	s_or_b64 exec, exec, s[30:31]
	v_cndmask_b32_e64 v18, v20, v21, s[28:29]
	v_cndmask_b32_e64 v19, v31, v30, s[28:29]
	v_add_u32_e32 v23, 1, v18
	v_add_u32_e32 v19, -1, v19
	v_min_u32_e32 v19, v23, v19
	v_lshl_add_u32 v19, v19, 1, v14
	ds_read_u16 v22, v19
	v_lshl_add_u32 v18, v18, 3, v12
	ds_read_b64 v[18:19], v18 offset:4096
	s_mov_b64 s[34:35], -1
	s_mov_b64 s[30:31], -1
	s_waitcnt lgkmcnt(1)
	v_cndmask_b32_e64 v39, v22, v26, s[28:29]
	v_cndmask_b32_e64 v51, v27, v22, s[28:29]
	;; [unrolled: 1-line block ×4, first 2 shown]
	v_cmp_lt_u32_e64 s[8:9], v22, v31
	s_and_saveexec_b64 s[36:37], s[8:9]
	s_cbranch_execz .LBB1852_190
; %bb.187:
	v_cmp_lt_u32_e64 s[8:9], v23, v30
	s_mov_b64 s[38:39], 0
	s_and_saveexec_b64 s[30:31], s[8:9]
; %bb.188:
	v_add_f16_e32 v20, 0, v51
	v_add_f16_e32 v21, 0, v39
	v_mov_b32_e32 v24, 0xffff8000
	v_cmp_lt_i16_e64 s[8:9], -1, v20
	v_cndmask_b32_e64 v25, -1, v24, s[8:9]
	v_cmp_lt_i16_e64 s[8:9], -1, v21
	v_cndmask_b32_e64 v24, -1, v24, s[8:9]
	v_xor_b32_e32 v20, v25, v20
	v_xor_b32_e32 v21, v24, v21
	v_cmp_le_u16_e64 s[8:9], v20, v21
	s_and_b64 s[38:39], s[8:9], exec
; %bb.189:
	s_or_b64 exec, exec, s[30:31]
	s_orn2_b64 s[30:31], s[38:39], exec
.LBB1852_190:
	s_or_b64 exec, exec, s[36:37]
	v_cndmask_b32_e64 v20, v22, v23, s[30:31]
	v_cndmask_b32_e64 v21, v31, v30, s[30:31]
	v_add_u32_e32 v24, 1, v20
	v_add_u32_e32 v21, -1, v21
	v_min_u32_e32 v21, v24, v21
	v_lshl_add_u32 v21, v21, 1, v14
	ds_read_u16 v25, v21
	v_lshl_add_u32 v20, v20, 3, v12
	ds_read_b64 v[20:21], v20 offset:4096
	v_cndmask_b32_e64 v22, v24, v22, s[30:31]
	v_cndmask_b32_e64 v23, v23, v24, s[30:31]
	s_waitcnt lgkmcnt(1)
	v_cndmask_b32_e64 v38, v25, v39, s[30:31]
	v_cndmask_b32_e64 v54, v51, v25, s[30:31]
	v_cmp_lt_u32_e64 s[8:9], v22, v31
	s_and_saveexec_b64 s[36:37], s[8:9]
	s_cbranch_execz .LBB1852_194
; %bb.191:
	v_cmp_lt_u32_e64 s[8:9], v23, v30
	s_mov_b64 s[38:39], 0
	s_and_saveexec_b64 s[34:35], s[8:9]
; %bb.192:
	v_add_f16_e32 v24, 0, v54
	v_add_f16_e32 v25, 0, v38
	v_mov_b32_e32 v50, 0xffff8000
	v_cmp_lt_i16_e64 s[8:9], -1, v24
	v_cndmask_b32_e64 v55, -1, v50, s[8:9]
	v_cmp_lt_i16_e64 s[8:9], -1, v25
	v_cndmask_b32_e64 v50, -1, v50, s[8:9]
	v_xor_b32_e32 v24, v55, v24
	v_xor_b32_e32 v25, v50, v25
	v_cmp_le_u16_e64 s[8:9], v24, v25
	s_and_b64 s[38:39], s[8:9], exec
; %bb.193:
	s_or_b64 exec, exec, s[34:35]
	s_orn2_b64 s[34:35], s[38:39], exec
.LBB1852_194:
	s_or_b64 exec, exec, s[36:37]
	v_cndmask_b32_e64 v24, v22, v23, s[34:35]
	v_cndmask_b32_e64 v25, v31, v30, s[34:35]
	v_add_u32_e32 v64, 1, v24
	v_add_u32_e32 v25, -1, v25
	v_min_u32_e32 v25, v64, v25
	v_lshl_add_u32 v25, v25, 1, v14
	ds_read_u16 v55, v25
	v_lshl_add_u32 v24, v24, 3, v12
	ds_read_b64 v[24:25], v24 offset:4096
	v_cndmask_b32_e64 v66, v64, v22, s[34:35]
	v_cndmask_b32_e64 v67, v23, v64, s[34:35]
	s_waitcnt lgkmcnt(1)
	v_cndmask_b32_e64 v50, v55, v38, s[34:35]
	v_cndmask_b32_e64 v55, v54, v55, s[34:35]
	v_cmp_lt_u32_e64 s[8:9], v66, v31
	s_mov_b64 s[36:37], -1
	s_mov_b64 s[38:39], -1
	s_and_saveexec_b64 s[40:41], s[8:9]
	s_cbranch_execz .LBB1852_198
; %bb.195:
	v_cmp_lt_u32_e64 s[8:9], v67, v30
	s_mov_b64 s[42:43], 0
	s_and_saveexec_b64 s[38:39], s[8:9]
; %bb.196:
	v_add_f16_e32 v22, 0, v55
	v_add_f16_e32 v23, 0, v50
	v_mov_b32_e32 v64, 0xffff8000
	v_cmp_lt_i16_e64 s[8:9], -1, v22
	v_cndmask_b32_e64 v65, -1, v64, s[8:9]
	v_cmp_lt_i16_e64 s[8:9], -1, v23
	v_cndmask_b32_e64 v64, -1, v64, s[8:9]
	v_xor_b32_e32 v22, v65, v22
	v_xor_b32_e32 v23, v64, v23
	v_cmp_le_u16_e64 s[8:9], v22, v23
	s_and_b64 s[42:43], s[8:9], exec
; %bb.197:
	s_or_b64 exec, exec, s[38:39]
	s_orn2_b64 s[38:39], s[42:43], exec
.LBB1852_198:
	s_or_b64 exec, exec, s[40:41]
	v_cndmask_b32_e64 v22, v66, v67, s[38:39]
	v_cndmask_b32_e64 v23, v31, v30, s[38:39]
	v_add_u32_e32 v68, 1, v22
	v_add_u32_e32 v23, -1, v23
	v_min_u32_e32 v23, v68, v23
	v_lshl_add_u32 v23, v23, 1, v14
	ds_read_u16 v65, v23
	v_lshl_add_u32 v22, v22, 3, v12
	ds_read_b64 v[22:23], v22 offset:4096
	v_cndmask_b32_e64 v66, v68, v66, s[38:39]
	v_cndmask_b32_e64 v67, v67, v68, s[38:39]
	s_waitcnt lgkmcnt(1)
	v_cndmask_b32_e64 v64, v65, v50, s[38:39]
	v_cndmask_b32_e64 v65, v55, v65, s[38:39]
	v_cmp_lt_u32_e64 s[8:9], v66, v31
	s_and_saveexec_b64 s[40:41], s[8:9]
	s_cbranch_execz .LBB1852_202
; %bb.199:
	v_cmp_lt_u32_e64 s[8:9], v67, v30
	s_mov_b64 s[42:43], 0
	s_and_saveexec_b64 s[36:37], s[8:9]
; %bb.200:
	v_add_f16_e32 v30, 0, v65
	v_add_f16_e32 v31, 0, v64
	v_mov_b32_e32 v68, 0xffff8000
	v_cmp_lt_i16_e64 s[8:9], -1, v30
	v_cndmask_b32_e64 v69, -1, v68, s[8:9]
	v_cmp_lt_i16_e64 s[8:9], -1, v31
	v_cndmask_b32_e64 v68, -1, v68, s[8:9]
	v_xor_b32_e32 v30, v69, v30
	v_xor_b32_e32 v31, v68, v31
	v_cmp_le_u16_e64 s[8:9], v30, v31
	s_and_b64 s[42:43], s[8:9], exec
; %bb.201:
	s_or_b64 exec, exec, s[36:37]
	s_orn2_b64 s[36:37], s[42:43], exec
.LBB1852_202:
	s_or_b64 exec, exec, s[40:41]
	v_cndmask_b32_e64 v39, v39, v51, s[30:31]
	v_cndmask_b32_e64 v51, v26, v27, s[28:29]
	;; [unrolled: 1-line block ×3, first 2 shown]
	v_lshl_add_u32 v26, v26, 3, v12
	ds_read_b64 v[26:27], v26 offset:4096
	v_cndmask_b32_e64 v50, v50, v55, s[38:39]
	v_cndmask_b32_e64 v38, v38, v54, s[34:35]
	;; [unrolled: 1-line block ×6, first 2 shown]
.LBB1852_203:
	s_or_b64 exec, exec, s[22:23]
	v_and_b32_e32 v31, 0x380, v35
	; wave barrier
	ds_write_b16 v13, v36
	ds_write_b64 v28, v[4:5] offset:4096
	ds_write_b16 v13, v48 offset:2
	ds_write_b64 v29, v[8:9] offset:8
	ds_write_b16 v13, v49 offset:4
	ds_write_b64 v29, v[16:17] offset:16
	ds_write_b16 v13, v51 offset:6
	ds_write_b64 v29, v[18:19] offset:24
	ds_write_b16 v13, v39 offset:8
	ds_write_b64 v29, v[20:21] offset:32
	ds_write_b16 v13, v38 offset:10
	ds_write_b64 v29, v[24:25] offset:40
	ds_write_b16 v13, v50 offset:12
	s_waitcnt lgkmcnt(14)
	ds_write_b64 v29, v[22:23] offset:48
	ds_write_b16 v13, v37 offset:14
	s_waitcnt lgkmcnt(14)
	ds_write_b64 v29, v[26:27] offset:56
	v_or_b32_e32 v13, 64, v31
	v_min_u32_e32 v13, v15, v13
	v_add_u32_e32 v28, 64, v13
	v_min_u32_e32 v28, v15, v28
	v_min_u32_e32 v15, v15, v34
	v_sub_u32_e32 v34, v13, v31
	v_sub_u32_e32 v30, v28, v13
	v_sub_u32_e64 v30, v15, v30 clamp
	v_min_u32_e32 v34, v15, v34
	v_lshl_add_u32 v29, v31, 1, v14
	v_cmp_lt_u32_e64 s[8:9], v30, v34
	; wave barrier
	s_and_saveexec_b64 s[12:13], s[8:9]
	s_cbranch_execz .LBB1852_207
; %bb.204:
	v_lshlrev_b32_e32 v35, 1, v13
	v_lshlrev_b32_e32 v52, 1, v15
	v_add3_u32 v35, v14, v35, v52
	s_mov_b64 s[22:23], 0
	v_mov_b32_e32 v52, 0xffff8000
.LBB1852_205:                           ; =>This Inner Loop Header: Depth=1
	v_add_u32_e32 v53, v34, v30
	v_lshrrev_b32_e32 v54, 1, v53
	v_and_b32_e32 v53, -2, v53
	v_not_b32_e32 v55, v54
	v_add_u32_e32 v53, v29, v53
	v_lshl_add_u32 v55, v55, 1, v35
	ds_read_u16 v53, v53
	ds_read_u16 v55, v55
	v_add_u32_e32 v64, 1, v54
	s_waitcnt lgkmcnt(1)
	v_add_f16_e32 v53, 0, v53
	s_waitcnt lgkmcnt(0)
	v_add_f16_e32 v55, 0, v55
	v_cmp_lt_i16_e64 s[8:9], -1, v53
	v_cndmask_b32_e64 v65, -1, v52, s[8:9]
	v_cmp_lt_i16_e64 s[8:9], -1, v55
	v_xor_b32_e32 v53, v65, v53
	v_cndmask_b32_e64 v65, -1, v52, s[8:9]
	v_xor_b32_e32 v55, v65, v55
	v_cmp_gt_u16_e64 s[8:9], v53, v55
	v_cndmask_b32_e64 v34, v34, v54, s[8:9]
	v_cndmask_b32_e64 v30, v64, v30, s[8:9]
	v_cmp_ge_u32_e64 s[8:9], v30, v34
	s_or_b64 s[22:23], s[8:9], s[22:23]
	s_andn2_b64 exec, exec, s[22:23]
	s_cbranch_execnz .LBB1852_205
; %bb.206:
	s_or_b64 exec, exec, s[22:23]
.LBB1852_207:
	s_or_b64 exec, exec, s[12:13]
	v_add_u32_e32 v15, v13, v15
	v_add_u32_e32 v34, v30, v31
	v_sub_u32_e32 v35, v15, v30
	v_cmp_le_u32_e64 s[8:9], v34, v13
	v_cmp_le_u32_e64 s[12:13], v35, v28
	s_or_b64 s[8:9], s[8:9], s[12:13]
	s_and_saveexec_b64 s[22:23], s[8:9]
	s_cbranch_execz .LBB1852_243
; %bb.208:
	v_cmp_ge_u32_e64 s[8:9], v34, v13
	v_cmp_lt_u32_e64 s[12:13], v34, v13
                                        ; implicit-def: $vgpr15
	s_and_saveexec_b64 s[24:25], s[12:13]
	s_cbranch_execz .LBB1852_210
; %bb.209:
	v_lshl_add_u32 v4, v30, 1, v29
	ds_read_u16 v15, v4
.LBB1852_210:
	s_or_b64 exec, exec, s[24:25]
	v_cmp_ge_u32_e64 s[24:25], v35, v28
	v_cmp_lt_u32_e64 s[12:13], v35, v28
                                        ; implicit-def: $vgpr29
	s_and_saveexec_b64 s[26:27], s[12:13]
	s_cbranch_execz .LBB1852_212
; %bb.211:
	v_lshl_add_u32 v4, v35, 1, v14
	ds_read_u16 v29, v4
.LBB1852_212:
	s_or_b64 exec, exec, s[26:27]
	s_or_b64 s[8:9], s[8:9], s[24:25]
	s_mov_b64 s[12:13], -1
	s_xor_b64 s[8:9], s[8:9], -1
	s_and_saveexec_b64 s[26:27], s[8:9]
	s_cbranch_execz .LBB1852_214
; %bb.213:
	s_waitcnt lgkmcnt(0)
	v_add_f16_e32 v4, 0, v15
	v_add_f16_e32 v5, 0, v29
	v_mov_b32_e32 v8, 0xffff8000
	v_cmp_lt_i16_e64 s[8:9], -1, v4
	v_cndmask_b32_e64 v9, -1, v8, s[8:9]
	v_cmp_lt_i16_e64 s[8:9], -1, v5
	v_cndmask_b32_e64 v8, -1, v8, s[8:9]
	v_xor_b32_e32 v4, v9, v4
	v_xor_b32_e32 v5, v8, v5
	v_cmp_le_u16_e64 s[8:9], v4, v5
	s_andn2_b64 s[24:25], s[24:25], exec
	s_and_b64 s[8:9], s[8:9], exec
	s_or_b64 s[24:25], s[24:25], s[8:9]
.LBB1852_214:
	s_or_b64 exec, exec, s[26:27]
	v_cndmask_b32_e64 v4, v35, v34, s[24:25]
	v_cndmask_b32_e64 v5, v28, v13, s[24:25]
	v_add_u32_e32 v8, 1, v4
	v_add_u32_e32 v5, -1, v5
	v_min_u32_e32 v5, v8, v5
	v_lshl_add_u32 v5, v5, 1, v14
	ds_read_u16 v9, v5
	v_lshl_add_u32 v4, v4, 3, v12
	ds_read_b64 v[4:5], v4 offset:4096
	v_cndmask_b32_e64 v16, v8, v35, s[24:25]
	v_cndmask_b32_e64 v17, v34, v8, s[24:25]
	s_waitcnt lgkmcnt(1)
	v_cndmask_b32_e64 v30, v9, v29, s[24:25]
	v_cndmask_b32_e64 v31, v15, v9, s[24:25]
	v_cmp_lt_u32_e64 s[8:9], v16, v28
	s_and_saveexec_b64 s[26:27], s[8:9]
	s_cbranch_execz .LBB1852_218
; %bb.215:
	v_cmp_lt_u32_e64 s[8:9], v17, v13
	s_mov_b64 s[28:29], 0
	s_and_saveexec_b64 s[12:13], s[8:9]
; %bb.216:
	v_add_f16_e32 v8, 0, v31
	v_add_f16_e32 v9, 0, v30
	v_mov_b32_e32 v18, 0xffff8000
	v_cmp_lt_i16_e64 s[8:9], -1, v8
	v_cndmask_b32_e64 v19, -1, v18, s[8:9]
	v_cmp_lt_i16_e64 s[8:9], -1, v9
	v_cndmask_b32_e64 v18, -1, v18, s[8:9]
	v_xor_b32_e32 v8, v19, v8
	v_xor_b32_e32 v9, v18, v9
	v_cmp_le_u16_e64 s[8:9], v8, v9
	s_and_b64 s[28:29], s[8:9], exec
; %bb.217:
	s_or_b64 exec, exec, s[12:13]
	s_orn2_b64 s[12:13], s[28:29], exec
.LBB1852_218:
	s_or_b64 exec, exec, s[26:27]
	v_cndmask_b32_e64 v8, v16, v17, s[12:13]
	v_cndmask_b32_e64 v9, v28, v13, s[12:13]
	v_add_u32_e32 v19, 1, v8
	v_add_u32_e32 v9, -1, v9
	v_min_u32_e32 v9, v19, v9
	v_lshl_add_u32 v9, v9, 1, v14
	ds_read_u16 v18, v9
	v_lshl_add_u32 v8, v8, 3, v12
	ds_read_b64 v[8:9], v8 offset:4096
	s_mov_b64 s[28:29], -1
	s_mov_b64 s[26:27], -1
	s_waitcnt lgkmcnt(1)
	v_cndmask_b32_e64 v34, v18, v30, s[12:13]
	v_cndmask_b32_e64 v35, v31, v18, s[12:13]
	;; [unrolled: 1-line block ×4, first 2 shown]
	v_cmp_lt_u32_e64 s[8:9], v18, v28
	s_and_saveexec_b64 s[30:31], s[8:9]
	s_cbranch_execz .LBB1852_222
; %bb.219:
	v_cmp_lt_u32_e64 s[8:9], v19, v13
	s_mov_b64 s[34:35], 0
	s_and_saveexec_b64 s[26:27], s[8:9]
; %bb.220:
	v_add_f16_e32 v16, 0, v35
	v_add_f16_e32 v17, 0, v34
	v_mov_b32_e32 v20, 0xffff8000
	v_cmp_lt_i16_e64 s[8:9], -1, v16
	v_cndmask_b32_e64 v21, -1, v20, s[8:9]
	v_cmp_lt_i16_e64 s[8:9], -1, v17
	v_cndmask_b32_e64 v20, -1, v20, s[8:9]
	v_xor_b32_e32 v16, v21, v16
	v_xor_b32_e32 v17, v20, v17
	v_cmp_le_u16_e64 s[8:9], v16, v17
	s_and_b64 s[34:35], s[8:9], exec
; %bb.221:
	s_or_b64 exec, exec, s[26:27]
	s_orn2_b64 s[26:27], s[34:35], exec
.LBB1852_222:
	s_or_b64 exec, exec, s[30:31]
	v_cndmask_b32_e64 v16, v18, v19, s[26:27]
	v_cndmask_b32_e64 v17, v28, v13, s[26:27]
	v_add_u32_e32 v21, 1, v16
	v_add_u32_e32 v17, -1, v17
	v_min_u32_e32 v17, v21, v17
	v_lshl_add_u32 v17, v17, 1, v14
	ds_read_u16 v20, v17
	v_lshl_add_u32 v16, v16, 3, v12
	ds_read_b64 v[16:17], v16 offset:4096
	s_waitcnt lgkmcnt(1)
	v_cndmask_b32_e64 v26, v20, v34, s[26:27]
	v_cndmask_b32_e64 v27, v35, v20, s[26:27]
	;; [unrolled: 1-line block ×4, first 2 shown]
	v_cmp_lt_u32_e64 s[8:9], v20, v28
	s_and_saveexec_b64 s[30:31], s[8:9]
	s_cbranch_execz .LBB1852_226
; %bb.223:
	v_cmp_lt_u32_e64 s[8:9], v21, v13
	s_mov_b64 s[34:35], 0
	s_and_saveexec_b64 s[28:29], s[8:9]
; %bb.224:
	v_add_f16_e32 v18, 0, v27
	v_add_f16_e32 v19, 0, v26
	v_mov_b32_e32 v22, 0xffff8000
	v_cmp_lt_i16_e64 s[8:9], -1, v18
	v_cndmask_b32_e64 v23, -1, v22, s[8:9]
	v_cmp_lt_i16_e64 s[8:9], -1, v19
	v_cndmask_b32_e64 v22, -1, v22, s[8:9]
	v_xor_b32_e32 v18, v23, v18
	v_xor_b32_e32 v19, v22, v19
	v_cmp_le_u16_e64 s[8:9], v18, v19
	s_and_b64 s[34:35], s[8:9], exec
; %bb.225:
	s_or_b64 exec, exec, s[28:29]
	s_orn2_b64 s[28:29], s[34:35], exec
.LBB1852_226:
	s_or_b64 exec, exec, s[30:31]
	v_cndmask_b32_e64 v18, v20, v21, s[28:29]
	v_cndmask_b32_e64 v19, v28, v13, s[28:29]
	v_add_u32_e32 v23, 1, v18
	v_add_u32_e32 v19, -1, v19
	v_min_u32_e32 v19, v23, v19
	v_lshl_add_u32 v19, v19, 1, v14
	ds_read_u16 v22, v19
	v_lshl_add_u32 v18, v18, 3, v12
	ds_read_b64 v[18:19], v18 offset:4096
	s_mov_b64 s[34:35], -1
	s_mov_b64 s[30:31], -1
	s_waitcnt lgkmcnt(1)
	v_cndmask_b32_e64 v36, v22, v26, s[28:29]
	v_cndmask_b32_e64 v37, v27, v22, s[28:29]
	;; [unrolled: 1-line block ×4, first 2 shown]
	v_cmp_lt_u32_e64 s[8:9], v22, v28
	s_and_saveexec_b64 s[36:37], s[8:9]
	s_cbranch_execz .LBB1852_230
; %bb.227:
	v_cmp_lt_u32_e64 s[8:9], v23, v13
	s_mov_b64 s[38:39], 0
	s_and_saveexec_b64 s[30:31], s[8:9]
; %bb.228:
	v_add_f16_e32 v20, 0, v37
	v_add_f16_e32 v21, 0, v36
	v_mov_b32_e32 v24, 0xffff8000
	v_cmp_lt_i16_e64 s[8:9], -1, v20
	v_cndmask_b32_e64 v25, -1, v24, s[8:9]
	v_cmp_lt_i16_e64 s[8:9], -1, v21
	v_cndmask_b32_e64 v24, -1, v24, s[8:9]
	v_xor_b32_e32 v20, v25, v20
	v_xor_b32_e32 v21, v24, v21
	v_cmp_le_u16_e64 s[8:9], v20, v21
	s_and_b64 s[38:39], s[8:9], exec
; %bb.229:
	s_or_b64 exec, exec, s[30:31]
	s_orn2_b64 s[30:31], s[38:39], exec
.LBB1852_230:
	s_or_b64 exec, exec, s[36:37]
	v_cndmask_b32_e64 v20, v22, v23, s[30:31]
	v_cndmask_b32_e64 v21, v28, v13, s[30:31]
	v_add_u32_e32 v24, 1, v20
	v_add_u32_e32 v21, -1, v21
	v_min_u32_e32 v21, v24, v21
	v_lshl_add_u32 v21, v21, 1, v14
	ds_read_u16 v25, v21
	v_lshl_add_u32 v20, v20, 3, v12
	ds_read_b64 v[20:21], v20 offset:4096
	v_cndmask_b32_e64 v22, v24, v22, s[30:31]
	v_cndmask_b32_e64 v23, v23, v24, s[30:31]
	s_waitcnt lgkmcnt(1)
	v_cndmask_b32_e64 v38, v25, v36, s[30:31]
	v_cndmask_b32_e64 v39, v37, v25, s[30:31]
	v_cmp_lt_u32_e64 s[8:9], v22, v28
	s_and_saveexec_b64 s[36:37], s[8:9]
	s_cbranch_execz .LBB1852_234
; %bb.231:
	v_cmp_lt_u32_e64 s[8:9], v23, v13
	s_mov_b64 s[38:39], 0
	s_and_saveexec_b64 s[34:35], s[8:9]
; %bb.232:
	v_add_f16_e32 v24, 0, v39
	v_add_f16_e32 v25, 0, v38
	v_mov_b32_e32 v48, 0xffff8000
	v_cmp_lt_i16_e64 s[8:9], -1, v24
	v_cndmask_b32_e64 v49, -1, v48, s[8:9]
	v_cmp_lt_i16_e64 s[8:9], -1, v25
	v_cndmask_b32_e64 v48, -1, v48, s[8:9]
	v_xor_b32_e32 v24, v49, v24
	v_xor_b32_e32 v25, v48, v25
	v_cmp_le_u16_e64 s[8:9], v24, v25
	s_and_b64 s[38:39], s[8:9], exec
; %bb.233:
	s_or_b64 exec, exec, s[34:35]
	s_orn2_b64 s[34:35], s[38:39], exec
.LBB1852_234:
	s_or_b64 exec, exec, s[36:37]
	v_cndmask_b32_e64 v24, v22, v23, s[34:35]
	v_cndmask_b32_e64 v25, v28, v13, s[34:35]
	v_add_u32_e32 v51, 1, v24
	v_add_u32_e32 v25, -1, v25
	v_min_u32_e32 v25, v51, v25
	v_lshl_add_u32 v25, v25, 1, v14
	ds_read_u16 v49, v25
	v_lshl_add_u32 v24, v24, 3, v12
	ds_read_b64 v[24:25], v24 offset:4096
	v_cndmask_b32_e64 v50, v51, v22, s[34:35]
	v_cndmask_b32_e64 v51, v23, v51, s[34:35]
	s_waitcnt lgkmcnt(1)
	v_cndmask_b32_e64 v48, v49, v38, s[34:35]
	v_cndmask_b32_e64 v49, v39, v49, s[34:35]
	v_cmp_lt_u32_e64 s[8:9], v50, v28
	s_mov_b64 s[36:37], -1
	s_mov_b64 s[38:39], -1
	s_and_saveexec_b64 s[40:41], s[8:9]
	s_cbranch_execz .LBB1852_238
; %bb.235:
	v_cmp_lt_u32_e64 s[8:9], v51, v13
	s_mov_b64 s[42:43], 0
	s_and_saveexec_b64 s[38:39], s[8:9]
; %bb.236:
	v_add_f16_e32 v22, 0, v49
	v_add_f16_e32 v23, 0, v48
	v_mov_b32_e32 v52, 0xffff8000
	v_cmp_lt_i16_e64 s[8:9], -1, v22
	v_cndmask_b32_e64 v53, -1, v52, s[8:9]
	v_cmp_lt_i16_e64 s[8:9], -1, v23
	v_cndmask_b32_e64 v52, -1, v52, s[8:9]
	v_xor_b32_e32 v22, v53, v22
	v_xor_b32_e32 v23, v52, v23
	v_cmp_le_u16_e64 s[8:9], v22, v23
	s_and_b64 s[42:43], s[8:9], exec
; %bb.237:
	s_or_b64 exec, exec, s[38:39]
	s_orn2_b64 s[38:39], s[42:43], exec
.LBB1852_238:
	s_or_b64 exec, exec, s[40:41]
	v_cndmask_b32_e64 v22, v50, v51, s[38:39]
	v_cndmask_b32_e64 v23, v28, v13, s[38:39]
	v_add_u32_e32 v54, 1, v22
	v_add_u32_e32 v23, -1, v23
	v_min_u32_e32 v23, v54, v23
	v_lshl_add_u32 v14, v23, 1, v14
	ds_read_u16 v52, v14
	v_lshl_add_u32 v14, v22, 3, v12
	ds_read_b64 v[22:23], v14 offset:4096
	v_cndmask_b32_e64 v53, v54, v50, s[38:39]
	v_cndmask_b32_e64 v54, v51, v54, s[38:39]
	s_waitcnt lgkmcnt(1)
	v_cndmask_b32_e64 v14, v52, v48, s[38:39]
	v_cndmask_b32_e64 v52, v49, v52, s[38:39]
	v_cmp_lt_u32_e64 s[8:9], v53, v28
	s_and_saveexec_b64 s[40:41], s[8:9]
	s_cbranch_execz .LBB1852_242
; %bb.239:
	v_cmp_lt_u32_e64 s[8:9], v54, v13
	s_mov_b64 s[42:43], 0
	s_and_saveexec_b64 s[36:37], s[8:9]
; %bb.240:
	v_add_f16_e32 v13, 0, v52
	v_add_f16_e32 v28, 0, v14
	v_mov_b32_e32 v50, 0xffff8000
	v_cmp_lt_i16_e64 s[8:9], -1, v13
	v_cndmask_b32_e64 v51, -1, v50, s[8:9]
	v_cmp_lt_i16_e64 s[8:9], -1, v28
	v_cndmask_b32_e64 v50, -1, v50, s[8:9]
	v_xor_b32_e32 v13, v51, v13
	v_xor_b32_e32 v28, v50, v28
	v_cmp_le_u16_e64 s[8:9], v13, v28
	s_and_b64 s[42:43], s[8:9], exec
; %bb.241:
	s_or_b64 exec, exec, s[36:37]
	s_orn2_b64 s[36:37], s[42:43], exec
.LBB1852_242:
	s_or_b64 exec, exec, s[40:41]
	v_cndmask_b32_e64 v13, v53, v54, s[36:37]
	v_lshl_add_u32 v12, v13, 3, v12
	v_cndmask_b32_e64 v51, v26, v27, s[28:29]
	ds_read_b64 v[26:27], v12 offset:4096
	v_cndmask_b32_e64 v50, v48, v49, s[38:39]
	v_cndmask_b32_e64 v38, v38, v39, s[34:35]
	;; [unrolled: 1-line block ×7, first 2 shown]
.LBB1852_243:
	s_or_b64 exec, exec, s[22:23]
	v_add_co_u32_e64 v2, s[8:9], v2, v10
	v_addc_co_u32_e64 v3, s[8:9], v3, v11, s[8:9]
	v_add_co_u32_e64 v2, s[8:9], v2, v32
	v_addc_co_u32_e64 v3, s[8:9], 0, v3, s[8:9]
	; wave barrier
	s_waitcnt lgkmcnt(0)
	s_barrier
	s_waitcnt lgkmcnt(0)
	; wave barrier
	s_and_saveexec_b64 s[8:9], vcc
	s_cbranch_execnz .LBB1852_269
; %bb.244:
	s_or_b64 exec, exec, s[8:9]
	s_and_saveexec_b64 s[8:9], s[4:5]
	s_cbranch_execnz .LBB1852_270
.LBB1852_245:
	s_or_b64 exec, exec, s[8:9]
	s_and_saveexec_b64 s[8:9], s[6:7]
	s_cbranch_execnz .LBB1852_271
.LBB1852_246:
	s_or_b64 exec, exec, s[8:9]
	s_and_saveexec_b64 s[8:9], s[18:19]
	s_cbranch_execnz .LBB1852_272
.LBB1852_247:
	s_or_b64 exec, exec, s[8:9]
	s_and_saveexec_b64 s[8:9], s[10:11]
	s_cbranch_execnz .LBB1852_273
.LBB1852_248:
	s_or_b64 exec, exec, s[8:9]
	s_and_saveexec_b64 s[8:9], s[20:21]
	s_cbranch_execnz .LBB1852_274
.LBB1852_249:
	s_or_b64 exec, exec, s[8:9]
	s_and_saveexec_b64 s[8:9], s[14:15]
	s_cbranch_execnz .LBB1852_275
.LBB1852_250:
	s_or_b64 exec, exec, s[8:9]
	s_and_saveexec_b64 s[8:9], s[16:17]
	s_cbranch_execz .LBB1852_252
.LBB1852_251:
	flat_store_short v[2:3], v37 offset:14
.LBB1852_252:
	s_or_b64 exec, exec, s[8:9]
	v_add_co_u32_e64 v0, s[8:9], v6, v0
	v_addc_co_u32_e64 v1, s[8:9], v7, v1, s[8:9]
	v_add_co_u32_e64 v0, s[8:9], v0, v33
	v_addc_co_u32_e64 v1, s[8:9], 0, v1, s[8:9]
	; wave barrier
	s_and_saveexec_b64 s[8:9], vcc
	s_cbranch_execnz .LBB1852_276
; %bb.253:
	s_or_b64 exec, exec, s[8:9]
	s_and_saveexec_b64 s[8:9], s[4:5]
	s_cbranch_execnz .LBB1852_277
.LBB1852_254:
	s_or_b64 exec, exec, s[8:9]
	s_and_saveexec_b64 s[4:5], s[6:7]
	s_cbranch_execnz .LBB1852_278
.LBB1852_255:
	s_or_b64 exec, exec, s[4:5]
	s_and_saveexec_b64 s[4:5], s[18:19]
	s_cbranch_execnz .LBB1852_279
.LBB1852_256:
	s_or_b64 exec, exec, s[4:5]
	s_and_saveexec_b64 s[4:5], s[10:11]
	s_cbranch_execnz .LBB1852_280
.LBB1852_257:
	s_or_b64 exec, exec, s[4:5]
	s_and_saveexec_b64 s[4:5], s[20:21]
	s_cbranch_execnz .LBB1852_281
.LBB1852_258:
	s_or_b64 exec, exec, s[4:5]
	s_and_saveexec_b64 s[4:5], s[14:15]
	s_cbranch_execnz .LBB1852_282
.LBB1852_259:
	s_or_b64 exec, exec, s[4:5]
	s_and_saveexec_b64 s[4:5], s[16:17]
	s_cbranch_execz .LBB1852_261
.LBB1852_260:
	flat_store_dwordx2 v[0:1], v[26:27] offset:56
.LBB1852_261:
	s_or_b64 exec, exec, s[4:5]
	v_readlane_b32 s30, v40, 10
	v_readlane_b32 s31, v40, 11
	;; [unrolled: 1-line block ×12, first 2 shown]
	s_or_saveexec_b64 s[4:5], -1
	buffer_load_dword v40, off, s[0:3], s32 ; 4-byte Folded Reload
	s_mov_b64 exec, s[4:5]
	s_waitcnt vmcnt(0) lgkmcnt(0)
	s_setpc_b64 s[30:31]
.LBB1852_262:
	flat_load_dwordx2 v[4:5], v[12:13]
	s_or_b64 exec, exec, s[22:23]
                                        ; implicit-def: $vgpr8_vgpr9
	s_and_saveexec_b64 s[22:23], s[4:5]
	s_cbranch_execz .LBB1852_18
.LBB1852_263:
	flat_load_dwordx2 v[8:9], v[12:13] offset:8
	s_or_b64 exec, exec, s[22:23]
                                        ; implicit-def: $vgpr16_vgpr17
	s_and_saveexec_b64 s[22:23], s[6:7]
	s_cbranch_execz .LBB1852_19
.LBB1852_264:
	flat_load_dwordx2 v[16:17], v[12:13] offset:16
	s_or_b64 exec, exec, s[22:23]
                                        ; implicit-def: $vgpr18_vgpr19
	s_and_saveexec_b64 s[22:23], s[18:19]
	s_cbranch_execz .LBB1852_20
.LBB1852_265:
	flat_load_dwordx2 v[18:19], v[12:13] offset:24
	s_or_b64 exec, exec, s[22:23]
                                        ; implicit-def: $vgpr20_vgpr21
	s_and_saveexec_b64 s[22:23], s[10:11]
	s_cbranch_execz .LBB1852_21
.LBB1852_266:
	flat_load_dwordx2 v[20:21], v[12:13] offset:32
	s_or_b64 exec, exec, s[22:23]
                                        ; implicit-def: $vgpr24_vgpr25
	s_and_saveexec_b64 s[22:23], s[20:21]
	s_cbranch_execz .LBB1852_22
.LBB1852_267:
	flat_load_dwordx2 v[24:25], v[12:13] offset:40
	s_or_b64 exec, exec, s[22:23]
                                        ; implicit-def: $vgpr22_vgpr23
	s_and_saveexec_b64 s[22:23], s[14:15]
	s_cbranch_execz .LBB1852_23
.LBB1852_268:
	flat_load_dwordx2 v[22:23], v[12:13] offset:48
	s_or_b64 exec, exec, s[22:23]
                                        ; implicit-def: $vgpr26_vgpr27
	s_and_saveexec_b64 s[22:23], s[16:17]
	s_cbranch_execnz .LBB1852_24
	s_branch .LBB1852_25
.LBB1852_269:
	flat_store_short v[2:3], v36
	s_or_b64 exec, exec, s[8:9]
	s_and_saveexec_b64 s[8:9], s[4:5]
	s_cbranch_execz .LBB1852_245
.LBB1852_270:
	flat_store_short v[2:3], v48 offset:2
	s_or_b64 exec, exec, s[8:9]
	s_and_saveexec_b64 s[8:9], s[6:7]
	s_cbranch_execz .LBB1852_246
.LBB1852_271:
	flat_store_short v[2:3], v49 offset:4
	s_or_b64 exec, exec, s[8:9]
	s_and_saveexec_b64 s[8:9], s[18:19]
	s_cbranch_execz .LBB1852_247
.LBB1852_272:
	flat_store_short v[2:3], v51 offset:6
	s_or_b64 exec, exec, s[8:9]
	s_and_saveexec_b64 s[8:9], s[10:11]
	s_cbranch_execz .LBB1852_248
.LBB1852_273:
	flat_store_short v[2:3], v39 offset:8
	s_or_b64 exec, exec, s[8:9]
	s_and_saveexec_b64 s[8:9], s[20:21]
	s_cbranch_execz .LBB1852_249
.LBB1852_274:
	flat_store_short v[2:3], v38 offset:10
	s_or_b64 exec, exec, s[8:9]
	s_and_saveexec_b64 s[8:9], s[14:15]
	s_cbranch_execz .LBB1852_250
.LBB1852_275:
	flat_store_short v[2:3], v50 offset:12
	s_or_b64 exec, exec, s[8:9]
	s_and_saveexec_b64 s[8:9], s[16:17]
	s_cbranch_execnz .LBB1852_251
	s_branch .LBB1852_252
.LBB1852_276:
	flat_store_dwordx2 v[0:1], v[4:5]
	s_or_b64 exec, exec, s[8:9]
	s_and_saveexec_b64 s[8:9], s[4:5]
	s_cbranch_execz .LBB1852_254
.LBB1852_277:
	flat_store_dwordx2 v[0:1], v[8:9] offset:8
	s_or_b64 exec, exec, s[8:9]
	s_and_saveexec_b64 s[4:5], s[6:7]
	s_cbranch_execz .LBB1852_255
.LBB1852_278:
	flat_store_dwordx2 v[0:1], v[16:17] offset:16
	s_or_b64 exec, exec, s[4:5]
	s_and_saveexec_b64 s[4:5], s[18:19]
	s_cbranch_execz .LBB1852_256
.LBB1852_279:
	flat_store_dwordx2 v[0:1], v[18:19] offset:24
	s_or_b64 exec, exec, s[4:5]
	s_and_saveexec_b64 s[4:5], s[10:11]
	s_cbranch_execz .LBB1852_257
.LBB1852_280:
	flat_store_dwordx2 v[0:1], v[20:21] offset:32
	s_or_b64 exec, exec, s[4:5]
	s_and_saveexec_b64 s[4:5], s[20:21]
	s_cbranch_execz .LBB1852_258
.LBB1852_281:
	flat_store_dwordx2 v[0:1], v[24:25] offset:40
	s_or_b64 exec, exec, s[4:5]
	s_and_saveexec_b64 s[4:5], s[14:15]
	s_cbranch_execz .LBB1852_259
.LBB1852_282:
	flat_store_dwordx2 v[0:1], v[22:23] offset:48
	s_or_b64 exec, exec, s[4:5]
	s_and_saveexec_b64 s[4:5], s[16:17]
	s_cbranch_execnz .LBB1852_260
	s_branch .LBB1852_261
.Lfunc_end1852:
	.size	_ZN7rocprim17ROCPRIM_400000_NS6detail26segmented_warp_sort_helperINS1_20WarpSortHelperConfigILj16ELj8ELj256EEE6__halflLi256ELb0EvE4sortIPKS5_PS5_PKlPlEEvT_T0_T1_T2_jjjjRNS6_12storage_typeE, .Lfunc_end1852-_ZN7rocprim17ROCPRIM_400000_NS6detail26segmented_warp_sort_helperINS1_20WarpSortHelperConfigILj16ELj8ELj256EEE6__halflLi256ELb0EvE4sortIPKS5_PS5_PKlPlEEvT_T0_T1_T2_jjjjRNS6_12storage_typeE
                                        ; -- End function
	.section	.AMDGPU.csdata,"",@progbits
; Function info:
; codeLenInByte = 13376
; NumSgprs: 48
; NumVgprs: 72
; NumAgprs: 0
; TotalNumVgprs: 72
; ScratchSize: 8
; MemoryBound: 0
	.section	.text._ZN7rocprim17ROCPRIM_400000_NS6detail17trampoline_kernelINS0_14default_configENS1_36segmented_radix_sort_config_selectorI6__halflEEZNS1_25segmented_radix_sort_implIS3_Lb0EPKS5_PS5_PKlPlN2at6native12_GLOBAL__N_18offset_tEEE10hipError_tPvRmT1_PNSt15iterator_traitsISL_E10value_typeET2_T3_PNSM_ISR_E10value_typeET4_jRbjT5_SX_jjP12ihipStream_tbEUlT_E0_NS1_11comp_targetILNS1_3genE4ELNS1_11target_archE910ELNS1_3gpuE8ELNS1_3repE0EEENS1_60segmented_radix_sort_warp_sort_medium_config_static_selectorELNS0_4arch9wavefront6targetE1EEEvSL_,"axG",@progbits,_ZN7rocprim17ROCPRIM_400000_NS6detail17trampoline_kernelINS0_14default_configENS1_36segmented_radix_sort_config_selectorI6__halflEEZNS1_25segmented_radix_sort_implIS3_Lb0EPKS5_PS5_PKlPlN2at6native12_GLOBAL__N_18offset_tEEE10hipError_tPvRmT1_PNSt15iterator_traitsISL_E10value_typeET2_T3_PNSM_ISR_E10value_typeET4_jRbjT5_SX_jjP12ihipStream_tbEUlT_E0_NS1_11comp_targetILNS1_3genE4ELNS1_11target_archE910ELNS1_3gpuE8ELNS1_3repE0EEENS1_60segmented_radix_sort_warp_sort_medium_config_static_selectorELNS0_4arch9wavefront6targetE1EEEvSL_,comdat
	.globl	_ZN7rocprim17ROCPRIM_400000_NS6detail17trampoline_kernelINS0_14default_configENS1_36segmented_radix_sort_config_selectorI6__halflEEZNS1_25segmented_radix_sort_implIS3_Lb0EPKS5_PS5_PKlPlN2at6native12_GLOBAL__N_18offset_tEEE10hipError_tPvRmT1_PNSt15iterator_traitsISL_E10value_typeET2_T3_PNSM_ISR_E10value_typeET4_jRbjT5_SX_jjP12ihipStream_tbEUlT_E0_NS1_11comp_targetILNS1_3genE4ELNS1_11target_archE910ELNS1_3gpuE8ELNS1_3repE0EEENS1_60segmented_radix_sort_warp_sort_medium_config_static_selectorELNS0_4arch9wavefront6targetE1EEEvSL_ ; -- Begin function _ZN7rocprim17ROCPRIM_400000_NS6detail17trampoline_kernelINS0_14default_configENS1_36segmented_radix_sort_config_selectorI6__halflEEZNS1_25segmented_radix_sort_implIS3_Lb0EPKS5_PS5_PKlPlN2at6native12_GLOBAL__N_18offset_tEEE10hipError_tPvRmT1_PNSt15iterator_traitsISL_E10value_typeET2_T3_PNSM_ISR_E10value_typeET4_jRbjT5_SX_jjP12ihipStream_tbEUlT_E0_NS1_11comp_targetILNS1_3genE4ELNS1_11target_archE910ELNS1_3gpuE8ELNS1_3repE0EEENS1_60segmented_radix_sort_warp_sort_medium_config_static_selectorELNS0_4arch9wavefront6targetE1EEEvSL_
	.p2align	8
	.type	_ZN7rocprim17ROCPRIM_400000_NS6detail17trampoline_kernelINS0_14default_configENS1_36segmented_radix_sort_config_selectorI6__halflEEZNS1_25segmented_radix_sort_implIS3_Lb0EPKS5_PS5_PKlPlN2at6native12_GLOBAL__N_18offset_tEEE10hipError_tPvRmT1_PNSt15iterator_traitsISL_E10value_typeET2_T3_PNSM_ISR_E10value_typeET4_jRbjT5_SX_jjP12ihipStream_tbEUlT_E0_NS1_11comp_targetILNS1_3genE4ELNS1_11target_archE910ELNS1_3gpuE8ELNS1_3repE0EEENS1_60segmented_radix_sort_warp_sort_medium_config_static_selectorELNS0_4arch9wavefront6targetE1EEEvSL_,@function
_ZN7rocprim17ROCPRIM_400000_NS6detail17trampoline_kernelINS0_14default_configENS1_36segmented_radix_sort_config_selectorI6__halflEEZNS1_25segmented_radix_sort_implIS3_Lb0EPKS5_PS5_PKlPlN2at6native12_GLOBAL__N_18offset_tEEE10hipError_tPvRmT1_PNSt15iterator_traitsISL_E10value_typeET2_T3_PNSM_ISR_E10value_typeET4_jRbjT5_SX_jjP12ihipStream_tbEUlT_E0_NS1_11comp_targetILNS1_3genE4ELNS1_11target_archE910ELNS1_3gpuE8ELNS1_3repE0EEENS1_60segmented_radix_sort_warp_sort_medium_config_static_selectorELNS0_4arch9wavefront6targetE1EEEvSL_: ; @_ZN7rocprim17ROCPRIM_400000_NS6detail17trampoline_kernelINS0_14default_configENS1_36segmented_radix_sort_config_selectorI6__halflEEZNS1_25segmented_radix_sort_implIS3_Lb0EPKS5_PS5_PKlPlN2at6native12_GLOBAL__N_18offset_tEEE10hipError_tPvRmT1_PNSt15iterator_traitsISL_E10value_typeET2_T3_PNSM_ISR_E10value_typeET4_jRbjT5_SX_jjP12ihipStream_tbEUlT_E0_NS1_11comp_targetILNS1_3genE4ELNS1_11target_archE910ELNS1_3gpuE8ELNS1_3repE0EEENS1_60segmented_radix_sort_warp_sort_medium_config_static_selectorELNS0_4arch9wavefront6targetE1EEEvSL_
; %bb.0:
	s_add_u32 flat_scratch_lo, s6, s10
	s_addc_u32 flat_scratch_hi, s7, 0
	s_add_u32 s0, s0, s10
	s_load_dword s6, s[4:5], 0x64
	s_load_dword s10, s[4:5], 0x34
	s_addc_u32 s1, s1, 0
	v_bfe_u32 v1, v0, 10, 10
	v_bfe_u32 v2, v0, 20, 10
	s_waitcnt lgkmcnt(0)
	s_lshr_b32 s7, s6, 16
	s_and_b32 s6, s6, 0xffff
	v_mad_u32_u24 v1, v2, s7, v1
	v_and_b32_e32 v2, 0x3ff, v0
	v_mad_u64_u32 v[2:3], s[6:7], v1, s6, v[2:3]
	v_lshrrev_b32_e32 v1, 4, v2
	v_lshl_add_u32 v2, s8, 4, v1
	v_cmp_gt_u32_e32 vcc, s10, v2
	s_mov_b32 s32, 0
	s_and_saveexec_b64 s[6:7], vcc
	s_cbranch_execz .LBB1853_6
; %bb.1:
	s_load_dwordx2 s[6:7], s[4:5], 0x38
	s_load_dwordx4 s[12:15], s[4:5], 0x40
	v_mov_b32_e32 v3, 0
	v_lshlrev_b64 v[2:3], 2, v[2:3]
	s_waitcnt lgkmcnt(0)
	v_mov_b32_e32 v1, s7
	v_add_co_u32_e32 v2, vcc, s6, v2
	v_addc_co_u32_e32 v3, vcc, v1, v3, vcc
	global_load_dword v1, v[2:3], off
	s_waitcnt vmcnt(0)
	v_add_u32_e32 v2, s13, v1
	v_add_u32_e32 v1, s15, v1
	v_mul_lo_u32 v41, v2, s12
	v_mul_lo_u32 v42, v1, s14
	v_cmp_gt_u32_e32 vcc, v42, v41
	s_and_b64 exec, exec, vcc
	s_cbranch_execz .LBB1853_6
; %bb.2:
	s_load_dword s6, s[4:5], 0x30
	s_load_dwordx4 s[56:59], s[4:5], 0x20
	s_load_dwordx8 s[48:55], s[4:5], 0x0
	s_mov_b32 s44, s8
	s_mov_b32 s33, s9
	s_waitcnt lgkmcnt(0)
	s_bitcmp0_b32 s6, 0
	s_mov_b64 s[6:7], -1
	s_cbranch_scc0 .LBB1853_4
; %bb.3:
	s_add_u32 s8, s4, 0x58
	s_addc_u32 s9, s5, 0
	s_mov_b32 s12, s44
	s_mov_b32 s13, s33
	v_mov_b32_e32 v31, v0
	v_mov_b32_e32 v43, v0
	v_mov_b32_e32 v0, s48
	v_mov_b32_e32 v1, s49
	v_mov_b32_e32 v2, s50
	v_mov_b32_e32 v3, s51
	v_mov_b32_e32 v4, s54
	v_mov_b32_e32 v5, s55
	v_mov_b32_e32 v6, s56
	v_mov_b32_e32 v7, s57
	v_mov_b32_e32 v8, v41
	v_mov_b32_e32 v9, v42
	s_getpc_b64 s[6:7]
	s_add_u32 s6, s6, _ZN7rocprim17ROCPRIM_400000_NS6detail26segmented_warp_sort_helperINS1_20WarpSortHelperConfigILj16ELj8ELj256EEE6__halflLi256ELb0EvE4sortIPKS5_PS5_PKlPlEEvT_T0_T1_T2_jjjjRNS6_12storage_typeE@rel32@lo+4
	s_addc_u32 s7, s7, _ZN7rocprim17ROCPRIM_400000_NS6detail26segmented_warp_sort_helperINS1_20WarpSortHelperConfigILj16ELj8ELj256EEE6__halflLi256ELb0EvE4sortIPKS5_PS5_PKlPlEEvT_T0_T1_T2_jjjjRNS6_12storage_typeE@rel32@hi+12
	s_mov_b64 s[46:47], s[4:5]
	s_swappc_b64 s[30:31], s[6:7]
	v_mov_b32_e32 v0, v43
	s_mov_b64 s[4:5], s[46:47]
	s_mov_b64 s[6:7], 0
.LBB1853_4:
	s_andn2_b64 vcc, exec, s[6:7]
	s_cbranch_vccnz .LBB1853_6
; %bb.5:
	s_add_u32 s8, s4, 0x58
	s_addc_u32 s9, s5, 0
	s_mov_b32 s12, s44
	s_mov_b32 s13, s33
	v_mov_b32_e32 v31, v0
	v_mov_b32_e32 v0, s48
	;; [unrolled: 1-line block ×11, first 2 shown]
	s_getpc_b64 s[4:5]
	s_add_u32 s4, s4, _ZN7rocprim17ROCPRIM_400000_NS6detail26segmented_warp_sort_helperINS1_20WarpSortHelperConfigILj16ELj8ELj256EEE6__halflLi256ELb0EvE4sortIPKS5_PS5_PKlPlEEvT_T0_T1_T2_jjjjRNS6_12storage_typeE@rel32@lo+4
	s_addc_u32 s5, s5, _ZN7rocprim17ROCPRIM_400000_NS6detail26segmented_warp_sort_helperINS1_20WarpSortHelperConfigILj16ELj8ELj256EEE6__halflLi256ELb0EvE4sortIPKS5_PS5_PKlPlEEvT_T0_T1_T2_jjjjRNS6_12storage_typeE@rel32@hi+12
	s_swappc_b64 s[30:31], s[4:5]
.LBB1853_6:
	s_endpgm
	.section	.rodata,"a",@progbits
	.p2align	6, 0x0
	.amdhsa_kernel _ZN7rocprim17ROCPRIM_400000_NS6detail17trampoline_kernelINS0_14default_configENS1_36segmented_radix_sort_config_selectorI6__halflEEZNS1_25segmented_radix_sort_implIS3_Lb0EPKS5_PS5_PKlPlN2at6native12_GLOBAL__N_18offset_tEEE10hipError_tPvRmT1_PNSt15iterator_traitsISL_E10value_typeET2_T3_PNSM_ISR_E10value_typeET4_jRbjT5_SX_jjP12ihipStream_tbEUlT_E0_NS1_11comp_targetILNS1_3genE4ELNS1_11target_archE910ELNS1_3gpuE8ELNS1_3repE0EEENS1_60segmented_radix_sort_warp_sort_medium_config_static_selectorELNS0_4arch9wavefront6targetE1EEEvSL_
		.amdhsa_group_segment_fixed_size 20480
		.amdhsa_private_segment_fixed_size 8
		.amdhsa_kernarg_size 344
		.amdhsa_user_sgpr_count 8
		.amdhsa_user_sgpr_private_segment_buffer 1
		.amdhsa_user_sgpr_dispatch_ptr 0
		.amdhsa_user_sgpr_queue_ptr 0
		.amdhsa_user_sgpr_kernarg_segment_ptr 1
		.amdhsa_user_sgpr_dispatch_id 0
		.amdhsa_user_sgpr_flat_scratch_init 1
		.amdhsa_user_sgpr_kernarg_preload_length 0
		.amdhsa_user_sgpr_kernarg_preload_offset 0
		.amdhsa_user_sgpr_private_segment_size 0
		.amdhsa_uses_dynamic_stack 0
		.amdhsa_system_sgpr_private_segment_wavefront_offset 1
		.amdhsa_system_sgpr_workgroup_id_x 1
		.amdhsa_system_sgpr_workgroup_id_y 1
		.amdhsa_system_sgpr_workgroup_id_z 0
		.amdhsa_system_sgpr_workgroup_info 0
		.amdhsa_system_vgpr_workitem_id 2
		.amdhsa_next_free_vgpr 72
		.amdhsa_next_free_sgpr 60
		.amdhsa_accum_offset 72
		.amdhsa_reserve_vcc 1
		.amdhsa_reserve_flat_scratch 1
		.amdhsa_float_round_mode_32 0
		.amdhsa_float_round_mode_16_64 0
		.amdhsa_float_denorm_mode_32 3
		.amdhsa_float_denorm_mode_16_64 3
		.amdhsa_dx10_clamp 1
		.amdhsa_ieee_mode 1
		.amdhsa_fp16_overflow 0
		.amdhsa_tg_split 0
		.amdhsa_exception_fp_ieee_invalid_op 0
		.amdhsa_exception_fp_denorm_src 0
		.amdhsa_exception_fp_ieee_div_zero 0
		.amdhsa_exception_fp_ieee_overflow 0
		.amdhsa_exception_fp_ieee_underflow 0
		.amdhsa_exception_fp_ieee_inexact 0
		.amdhsa_exception_int_div_zero 0
	.end_amdhsa_kernel
	.section	.text._ZN7rocprim17ROCPRIM_400000_NS6detail17trampoline_kernelINS0_14default_configENS1_36segmented_radix_sort_config_selectorI6__halflEEZNS1_25segmented_radix_sort_implIS3_Lb0EPKS5_PS5_PKlPlN2at6native12_GLOBAL__N_18offset_tEEE10hipError_tPvRmT1_PNSt15iterator_traitsISL_E10value_typeET2_T3_PNSM_ISR_E10value_typeET4_jRbjT5_SX_jjP12ihipStream_tbEUlT_E0_NS1_11comp_targetILNS1_3genE4ELNS1_11target_archE910ELNS1_3gpuE8ELNS1_3repE0EEENS1_60segmented_radix_sort_warp_sort_medium_config_static_selectorELNS0_4arch9wavefront6targetE1EEEvSL_,"axG",@progbits,_ZN7rocprim17ROCPRIM_400000_NS6detail17trampoline_kernelINS0_14default_configENS1_36segmented_radix_sort_config_selectorI6__halflEEZNS1_25segmented_radix_sort_implIS3_Lb0EPKS5_PS5_PKlPlN2at6native12_GLOBAL__N_18offset_tEEE10hipError_tPvRmT1_PNSt15iterator_traitsISL_E10value_typeET2_T3_PNSM_ISR_E10value_typeET4_jRbjT5_SX_jjP12ihipStream_tbEUlT_E0_NS1_11comp_targetILNS1_3genE4ELNS1_11target_archE910ELNS1_3gpuE8ELNS1_3repE0EEENS1_60segmented_radix_sort_warp_sort_medium_config_static_selectorELNS0_4arch9wavefront6targetE1EEEvSL_,comdat
.Lfunc_end1853:
	.size	_ZN7rocprim17ROCPRIM_400000_NS6detail17trampoline_kernelINS0_14default_configENS1_36segmented_radix_sort_config_selectorI6__halflEEZNS1_25segmented_radix_sort_implIS3_Lb0EPKS5_PS5_PKlPlN2at6native12_GLOBAL__N_18offset_tEEE10hipError_tPvRmT1_PNSt15iterator_traitsISL_E10value_typeET2_T3_PNSM_ISR_E10value_typeET4_jRbjT5_SX_jjP12ihipStream_tbEUlT_E0_NS1_11comp_targetILNS1_3genE4ELNS1_11target_archE910ELNS1_3gpuE8ELNS1_3repE0EEENS1_60segmented_radix_sort_warp_sort_medium_config_static_selectorELNS0_4arch9wavefront6targetE1EEEvSL_, .Lfunc_end1853-_ZN7rocprim17ROCPRIM_400000_NS6detail17trampoline_kernelINS0_14default_configENS1_36segmented_radix_sort_config_selectorI6__halflEEZNS1_25segmented_radix_sort_implIS3_Lb0EPKS5_PS5_PKlPlN2at6native12_GLOBAL__N_18offset_tEEE10hipError_tPvRmT1_PNSt15iterator_traitsISL_E10value_typeET2_T3_PNSM_ISR_E10value_typeET4_jRbjT5_SX_jjP12ihipStream_tbEUlT_E0_NS1_11comp_targetILNS1_3genE4ELNS1_11target_archE910ELNS1_3gpuE8ELNS1_3repE0EEENS1_60segmented_radix_sort_warp_sort_medium_config_static_selectorELNS0_4arch9wavefront6targetE1EEEvSL_
                                        ; -- End function
	.section	.AMDGPU.csdata,"",@progbits
; Kernel info:
; codeLenInByte = 464
; NumSgprs: 66
; NumVgprs: 72
; NumAgprs: 0
; TotalNumVgprs: 72
; ScratchSize: 8
; MemoryBound: 0
; FloatMode: 240
; IeeeMode: 1
; LDSByteSize: 20480 bytes/workgroup (compile time only)
; SGPRBlocks: 8
; VGPRBlocks: 8
; NumSGPRsForWavesPerEU: 66
; NumVGPRsForWavesPerEU: 72
; AccumOffset: 72
; Occupancy: 3
; WaveLimiterHint : 0
; COMPUTE_PGM_RSRC2:SCRATCH_EN: 1
; COMPUTE_PGM_RSRC2:USER_SGPR: 8
; COMPUTE_PGM_RSRC2:TRAP_HANDLER: 0
; COMPUTE_PGM_RSRC2:TGID_X_EN: 1
; COMPUTE_PGM_RSRC2:TGID_Y_EN: 1
; COMPUTE_PGM_RSRC2:TGID_Z_EN: 0
; COMPUTE_PGM_RSRC2:TIDIG_COMP_CNT: 2
; COMPUTE_PGM_RSRC3_GFX90A:ACCUM_OFFSET: 17
; COMPUTE_PGM_RSRC3_GFX90A:TG_SPLIT: 0
	.section	.text._ZN7rocprim17ROCPRIM_400000_NS6detail17trampoline_kernelINS0_14default_configENS1_36segmented_radix_sort_config_selectorI6__halflEEZNS1_25segmented_radix_sort_implIS3_Lb0EPKS5_PS5_PKlPlN2at6native12_GLOBAL__N_18offset_tEEE10hipError_tPvRmT1_PNSt15iterator_traitsISL_E10value_typeET2_T3_PNSM_ISR_E10value_typeET4_jRbjT5_SX_jjP12ihipStream_tbEUlT_E0_NS1_11comp_targetILNS1_3genE3ELNS1_11target_archE908ELNS1_3gpuE7ELNS1_3repE0EEENS1_60segmented_radix_sort_warp_sort_medium_config_static_selectorELNS0_4arch9wavefront6targetE1EEEvSL_,"axG",@progbits,_ZN7rocprim17ROCPRIM_400000_NS6detail17trampoline_kernelINS0_14default_configENS1_36segmented_radix_sort_config_selectorI6__halflEEZNS1_25segmented_radix_sort_implIS3_Lb0EPKS5_PS5_PKlPlN2at6native12_GLOBAL__N_18offset_tEEE10hipError_tPvRmT1_PNSt15iterator_traitsISL_E10value_typeET2_T3_PNSM_ISR_E10value_typeET4_jRbjT5_SX_jjP12ihipStream_tbEUlT_E0_NS1_11comp_targetILNS1_3genE3ELNS1_11target_archE908ELNS1_3gpuE7ELNS1_3repE0EEENS1_60segmented_radix_sort_warp_sort_medium_config_static_selectorELNS0_4arch9wavefront6targetE1EEEvSL_,comdat
	.globl	_ZN7rocprim17ROCPRIM_400000_NS6detail17trampoline_kernelINS0_14default_configENS1_36segmented_radix_sort_config_selectorI6__halflEEZNS1_25segmented_radix_sort_implIS3_Lb0EPKS5_PS5_PKlPlN2at6native12_GLOBAL__N_18offset_tEEE10hipError_tPvRmT1_PNSt15iterator_traitsISL_E10value_typeET2_T3_PNSM_ISR_E10value_typeET4_jRbjT5_SX_jjP12ihipStream_tbEUlT_E0_NS1_11comp_targetILNS1_3genE3ELNS1_11target_archE908ELNS1_3gpuE7ELNS1_3repE0EEENS1_60segmented_radix_sort_warp_sort_medium_config_static_selectorELNS0_4arch9wavefront6targetE1EEEvSL_ ; -- Begin function _ZN7rocprim17ROCPRIM_400000_NS6detail17trampoline_kernelINS0_14default_configENS1_36segmented_radix_sort_config_selectorI6__halflEEZNS1_25segmented_radix_sort_implIS3_Lb0EPKS5_PS5_PKlPlN2at6native12_GLOBAL__N_18offset_tEEE10hipError_tPvRmT1_PNSt15iterator_traitsISL_E10value_typeET2_T3_PNSM_ISR_E10value_typeET4_jRbjT5_SX_jjP12ihipStream_tbEUlT_E0_NS1_11comp_targetILNS1_3genE3ELNS1_11target_archE908ELNS1_3gpuE7ELNS1_3repE0EEENS1_60segmented_radix_sort_warp_sort_medium_config_static_selectorELNS0_4arch9wavefront6targetE1EEEvSL_
	.p2align	8
	.type	_ZN7rocprim17ROCPRIM_400000_NS6detail17trampoline_kernelINS0_14default_configENS1_36segmented_radix_sort_config_selectorI6__halflEEZNS1_25segmented_radix_sort_implIS3_Lb0EPKS5_PS5_PKlPlN2at6native12_GLOBAL__N_18offset_tEEE10hipError_tPvRmT1_PNSt15iterator_traitsISL_E10value_typeET2_T3_PNSM_ISR_E10value_typeET4_jRbjT5_SX_jjP12ihipStream_tbEUlT_E0_NS1_11comp_targetILNS1_3genE3ELNS1_11target_archE908ELNS1_3gpuE7ELNS1_3repE0EEENS1_60segmented_radix_sort_warp_sort_medium_config_static_selectorELNS0_4arch9wavefront6targetE1EEEvSL_,@function
_ZN7rocprim17ROCPRIM_400000_NS6detail17trampoline_kernelINS0_14default_configENS1_36segmented_radix_sort_config_selectorI6__halflEEZNS1_25segmented_radix_sort_implIS3_Lb0EPKS5_PS5_PKlPlN2at6native12_GLOBAL__N_18offset_tEEE10hipError_tPvRmT1_PNSt15iterator_traitsISL_E10value_typeET2_T3_PNSM_ISR_E10value_typeET4_jRbjT5_SX_jjP12ihipStream_tbEUlT_E0_NS1_11comp_targetILNS1_3genE3ELNS1_11target_archE908ELNS1_3gpuE7ELNS1_3repE0EEENS1_60segmented_radix_sort_warp_sort_medium_config_static_selectorELNS0_4arch9wavefront6targetE1EEEvSL_: ; @_ZN7rocprim17ROCPRIM_400000_NS6detail17trampoline_kernelINS0_14default_configENS1_36segmented_radix_sort_config_selectorI6__halflEEZNS1_25segmented_radix_sort_implIS3_Lb0EPKS5_PS5_PKlPlN2at6native12_GLOBAL__N_18offset_tEEE10hipError_tPvRmT1_PNSt15iterator_traitsISL_E10value_typeET2_T3_PNSM_ISR_E10value_typeET4_jRbjT5_SX_jjP12ihipStream_tbEUlT_E0_NS1_11comp_targetILNS1_3genE3ELNS1_11target_archE908ELNS1_3gpuE7ELNS1_3repE0EEENS1_60segmented_radix_sort_warp_sort_medium_config_static_selectorELNS0_4arch9wavefront6targetE1EEEvSL_
; %bb.0:
	.section	.rodata,"a",@progbits
	.p2align	6, 0x0
	.amdhsa_kernel _ZN7rocprim17ROCPRIM_400000_NS6detail17trampoline_kernelINS0_14default_configENS1_36segmented_radix_sort_config_selectorI6__halflEEZNS1_25segmented_radix_sort_implIS3_Lb0EPKS5_PS5_PKlPlN2at6native12_GLOBAL__N_18offset_tEEE10hipError_tPvRmT1_PNSt15iterator_traitsISL_E10value_typeET2_T3_PNSM_ISR_E10value_typeET4_jRbjT5_SX_jjP12ihipStream_tbEUlT_E0_NS1_11comp_targetILNS1_3genE3ELNS1_11target_archE908ELNS1_3gpuE7ELNS1_3repE0EEENS1_60segmented_radix_sort_warp_sort_medium_config_static_selectorELNS0_4arch9wavefront6targetE1EEEvSL_
		.amdhsa_group_segment_fixed_size 0
		.amdhsa_private_segment_fixed_size 0
		.amdhsa_kernarg_size 88
		.amdhsa_user_sgpr_count 6
		.amdhsa_user_sgpr_private_segment_buffer 1
		.amdhsa_user_sgpr_dispatch_ptr 0
		.amdhsa_user_sgpr_queue_ptr 0
		.amdhsa_user_sgpr_kernarg_segment_ptr 1
		.amdhsa_user_sgpr_dispatch_id 0
		.amdhsa_user_sgpr_flat_scratch_init 0
		.amdhsa_user_sgpr_kernarg_preload_length 0
		.amdhsa_user_sgpr_kernarg_preload_offset 0
		.amdhsa_user_sgpr_private_segment_size 0
		.amdhsa_uses_dynamic_stack 0
		.amdhsa_system_sgpr_private_segment_wavefront_offset 0
		.amdhsa_system_sgpr_workgroup_id_x 1
		.amdhsa_system_sgpr_workgroup_id_y 0
		.amdhsa_system_sgpr_workgroup_id_z 0
		.amdhsa_system_sgpr_workgroup_info 0
		.amdhsa_system_vgpr_workitem_id 0
		.amdhsa_next_free_vgpr 1
		.amdhsa_next_free_sgpr 0
		.amdhsa_accum_offset 4
		.amdhsa_reserve_vcc 0
		.amdhsa_reserve_flat_scratch 0
		.amdhsa_float_round_mode_32 0
		.amdhsa_float_round_mode_16_64 0
		.amdhsa_float_denorm_mode_32 3
		.amdhsa_float_denorm_mode_16_64 3
		.amdhsa_dx10_clamp 1
		.amdhsa_ieee_mode 1
		.amdhsa_fp16_overflow 0
		.amdhsa_tg_split 0
		.amdhsa_exception_fp_ieee_invalid_op 0
		.amdhsa_exception_fp_denorm_src 0
		.amdhsa_exception_fp_ieee_div_zero 0
		.amdhsa_exception_fp_ieee_overflow 0
		.amdhsa_exception_fp_ieee_underflow 0
		.amdhsa_exception_fp_ieee_inexact 0
		.amdhsa_exception_int_div_zero 0
	.end_amdhsa_kernel
	.section	.text._ZN7rocprim17ROCPRIM_400000_NS6detail17trampoline_kernelINS0_14default_configENS1_36segmented_radix_sort_config_selectorI6__halflEEZNS1_25segmented_radix_sort_implIS3_Lb0EPKS5_PS5_PKlPlN2at6native12_GLOBAL__N_18offset_tEEE10hipError_tPvRmT1_PNSt15iterator_traitsISL_E10value_typeET2_T3_PNSM_ISR_E10value_typeET4_jRbjT5_SX_jjP12ihipStream_tbEUlT_E0_NS1_11comp_targetILNS1_3genE3ELNS1_11target_archE908ELNS1_3gpuE7ELNS1_3repE0EEENS1_60segmented_radix_sort_warp_sort_medium_config_static_selectorELNS0_4arch9wavefront6targetE1EEEvSL_,"axG",@progbits,_ZN7rocprim17ROCPRIM_400000_NS6detail17trampoline_kernelINS0_14default_configENS1_36segmented_radix_sort_config_selectorI6__halflEEZNS1_25segmented_radix_sort_implIS3_Lb0EPKS5_PS5_PKlPlN2at6native12_GLOBAL__N_18offset_tEEE10hipError_tPvRmT1_PNSt15iterator_traitsISL_E10value_typeET2_T3_PNSM_ISR_E10value_typeET4_jRbjT5_SX_jjP12ihipStream_tbEUlT_E0_NS1_11comp_targetILNS1_3genE3ELNS1_11target_archE908ELNS1_3gpuE7ELNS1_3repE0EEENS1_60segmented_radix_sort_warp_sort_medium_config_static_selectorELNS0_4arch9wavefront6targetE1EEEvSL_,comdat
.Lfunc_end1854:
	.size	_ZN7rocprim17ROCPRIM_400000_NS6detail17trampoline_kernelINS0_14default_configENS1_36segmented_radix_sort_config_selectorI6__halflEEZNS1_25segmented_radix_sort_implIS3_Lb0EPKS5_PS5_PKlPlN2at6native12_GLOBAL__N_18offset_tEEE10hipError_tPvRmT1_PNSt15iterator_traitsISL_E10value_typeET2_T3_PNSM_ISR_E10value_typeET4_jRbjT5_SX_jjP12ihipStream_tbEUlT_E0_NS1_11comp_targetILNS1_3genE3ELNS1_11target_archE908ELNS1_3gpuE7ELNS1_3repE0EEENS1_60segmented_radix_sort_warp_sort_medium_config_static_selectorELNS0_4arch9wavefront6targetE1EEEvSL_, .Lfunc_end1854-_ZN7rocprim17ROCPRIM_400000_NS6detail17trampoline_kernelINS0_14default_configENS1_36segmented_radix_sort_config_selectorI6__halflEEZNS1_25segmented_radix_sort_implIS3_Lb0EPKS5_PS5_PKlPlN2at6native12_GLOBAL__N_18offset_tEEE10hipError_tPvRmT1_PNSt15iterator_traitsISL_E10value_typeET2_T3_PNSM_ISR_E10value_typeET4_jRbjT5_SX_jjP12ihipStream_tbEUlT_E0_NS1_11comp_targetILNS1_3genE3ELNS1_11target_archE908ELNS1_3gpuE7ELNS1_3repE0EEENS1_60segmented_radix_sort_warp_sort_medium_config_static_selectorELNS0_4arch9wavefront6targetE1EEEvSL_
                                        ; -- End function
	.section	.AMDGPU.csdata,"",@progbits
; Kernel info:
; codeLenInByte = 0
; NumSgprs: 4
; NumVgprs: 0
; NumAgprs: 0
; TotalNumVgprs: 0
; ScratchSize: 0
; MemoryBound: 0
; FloatMode: 240
; IeeeMode: 1
; LDSByteSize: 0 bytes/workgroup (compile time only)
; SGPRBlocks: 0
; VGPRBlocks: 0
; NumSGPRsForWavesPerEU: 4
; NumVGPRsForWavesPerEU: 1
; AccumOffset: 4
; Occupancy: 8
; WaveLimiterHint : 0
; COMPUTE_PGM_RSRC2:SCRATCH_EN: 0
; COMPUTE_PGM_RSRC2:USER_SGPR: 6
; COMPUTE_PGM_RSRC2:TRAP_HANDLER: 0
; COMPUTE_PGM_RSRC2:TGID_X_EN: 1
; COMPUTE_PGM_RSRC2:TGID_Y_EN: 0
; COMPUTE_PGM_RSRC2:TGID_Z_EN: 0
; COMPUTE_PGM_RSRC2:TIDIG_COMP_CNT: 0
; COMPUTE_PGM_RSRC3_GFX90A:ACCUM_OFFSET: 0
; COMPUTE_PGM_RSRC3_GFX90A:TG_SPLIT: 0
	.section	.text._ZN7rocprim17ROCPRIM_400000_NS6detail17trampoline_kernelINS0_14default_configENS1_36segmented_radix_sort_config_selectorI6__halflEEZNS1_25segmented_radix_sort_implIS3_Lb0EPKS5_PS5_PKlPlN2at6native12_GLOBAL__N_18offset_tEEE10hipError_tPvRmT1_PNSt15iterator_traitsISL_E10value_typeET2_T3_PNSM_ISR_E10value_typeET4_jRbjT5_SX_jjP12ihipStream_tbEUlT_E0_NS1_11comp_targetILNS1_3genE2ELNS1_11target_archE906ELNS1_3gpuE6ELNS1_3repE0EEENS1_60segmented_radix_sort_warp_sort_medium_config_static_selectorELNS0_4arch9wavefront6targetE1EEEvSL_,"axG",@progbits,_ZN7rocprim17ROCPRIM_400000_NS6detail17trampoline_kernelINS0_14default_configENS1_36segmented_radix_sort_config_selectorI6__halflEEZNS1_25segmented_radix_sort_implIS3_Lb0EPKS5_PS5_PKlPlN2at6native12_GLOBAL__N_18offset_tEEE10hipError_tPvRmT1_PNSt15iterator_traitsISL_E10value_typeET2_T3_PNSM_ISR_E10value_typeET4_jRbjT5_SX_jjP12ihipStream_tbEUlT_E0_NS1_11comp_targetILNS1_3genE2ELNS1_11target_archE906ELNS1_3gpuE6ELNS1_3repE0EEENS1_60segmented_radix_sort_warp_sort_medium_config_static_selectorELNS0_4arch9wavefront6targetE1EEEvSL_,comdat
	.globl	_ZN7rocprim17ROCPRIM_400000_NS6detail17trampoline_kernelINS0_14default_configENS1_36segmented_radix_sort_config_selectorI6__halflEEZNS1_25segmented_radix_sort_implIS3_Lb0EPKS5_PS5_PKlPlN2at6native12_GLOBAL__N_18offset_tEEE10hipError_tPvRmT1_PNSt15iterator_traitsISL_E10value_typeET2_T3_PNSM_ISR_E10value_typeET4_jRbjT5_SX_jjP12ihipStream_tbEUlT_E0_NS1_11comp_targetILNS1_3genE2ELNS1_11target_archE906ELNS1_3gpuE6ELNS1_3repE0EEENS1_60segmented_radix_sort_warp_sort_medium_config_static_selectorELNS0_4arch9wavefront6targetE1EEEvSL_ ; -- Begin function _ZN7rocprim17ROCPRIM_400000_NS6detail17trampoline_kernelINS0_14default_configENS1_36segmented_radix_sort_config_selectorI6__halflEEZNS1_25segmented_radix_sort_implIS3_Lb0EPKS5_PS5_PKlPlN2at6native12_GLOBAL__N_18offset_tEEE10hipError_tPvRmT1_PNSt15iterator_traitsISL_E10value_typeET2_T3_PNSM_ISR_E10value_typeET4_jRbjT5_SX_jjP12ihipStream_tbEUlT_E0_NS1_11comp_targetILNS1_3genE2ELNS1_11target_archE906ELNS1_3gpuE6ELNS1_3repE0EEENS1_60segmented_radix_sort_warp_sort_medium_config_static_selectorELNS0_4arch9wavefront6targetE1EEEvSL_
	.p2align	8
	.type	_ZN7rocprim17ROCPRIM_400000_NS6detail17trampoline_kernelINS0_14default_configENS1_36segmented_radix_sort_config_selectorI6__halflEEZNS1_25segmented_radix_sort_implIS3_Lb0EPKS5_PS5_PKlPlN2at6native12_GLOBAL__N_18offset_tEEE10hipError_tPvRmT1_PNSt15iterator_traitsISL_E10value_typeET2_T3_PNSM_ISR_E10value_typeET4_jRbjT5_SX_jjP12ihipStream_tbEUlT_E0_NS1_11comp_targetILNS1_3genE2ELNS1_11target_archE906ELNS1_3gpuE6ELNS1_3repE0EEENS1_60segmented_radix_sort_warp_sort_medium_config_static_selectorELNS0_4arch9wavefront6targetE1EEEvSL_,@function
_ZN7rocprim17ROCPRIM_400000_NS6detail17trampoline_kernelINS0_14default_configENS1_36segmented_radix_sort_config_selectorI6__halflEEZNS1_25segmented_radix_sort_implIS3_Lb0EPKS5_PS5_PKlPlN2at6native12_GLOBAL__N_18offset_tEEE10hipError_tPvRmT1_PNSt15iterator_traitsISL_E10value_typeET2_T3_PNSM_ISR_E10value_typeET4_jRbjT5_SX_jjP12ihipStream_tbEUlT_E0_NS1_11comp_targetILNS1_3genE2ELNS1_11target_archE906ELNS1_3gpuE6ELNS1_3repE0EEENS1_60segmented_radix_sort_warp_sort_medium_config_static_selectorELNS0_4arch9wavefront6targetE1EEEvSL_: ; @_ZN7rocprim17ROCPRIM_400000_NS6detail17trampoline_kernelINS0_14default_configENS1_36segmented_radix_sort_config_selectorI6__halflEEZNS1_25segmented_radix_sort_implIS3_Lb0EPKS5_PS5_PKlPlN2at6native12_GLOBAL__N_18offset_tEEE10hipError_tPvRmT1_PNSt15iterator_traitsISL_E10value_typeET2_T3_PNSM_ISR_E10value_typeET4_jRbjT5_SX_jjP12ihipStream_tbEUlT_E0_NS1_11comp_targetILNS1_3genE2ELNS1_11target_archE906ELNS1_3gpuE6ELNS1_3repE0EEENS1_60segmented_radix_sort_warp_sort_medium_config_static_selectorELNS0_4arch9wavefront6targetE1EEEvSL_
; %bb.0:
	.section	.rodata,"a",@progbits
	.p2align	6, 0x0
	.amdhsa_kernel _ZN7rocprim17ROCPRIM_400000_NS6detail17trampoline_kernelINS0_14default_configENS1_36segmented_radix_sort_config_selectorI6__halflEEZNS1_25segmented_radix_sort_implIS3_Lb0EPKS5_PS5_PKlPlN2at6native12_GLOBAL__N_18offset_tEEE10hipError_tPvRmT1_PNSt15iterator_traitsISL_E10value_typeET2_T3_PNSM_ISR_E10value_typeET4_jRbjT5_SX_jjP12ihipStream_tbEUlT_E0_NS1_11comp_targetILNS1_3genE2ELNS1_11target_archE906ELNS1_3gpuE6ELNS1_3repE0EEENS1_60segmented_radix_sort_warp_sort_medium_config_static_selectorELNS0_4arch9wavefront6targetE1EEEvSL_
		.amdhsa_group_segment_fixed_size 0
		.amdhsa_private_segment_fixed_size 0
		.amdhsa_kernarg_size 88
		.amdhsa_user_sgpr_count 6
		.amdhsa_user_sgpr_private_segment_buffer 1
		.amdhsa_user_sgpr_dispatch_ptr 0
		.amdhsa_user_sgpr_queue_ptr 0
		.amdhsa_user_sgpr_kernarg_segment_ptr 1
		.amdhsa_user_sgpr_dispatch_id 0
		.amdhsa_user_sgpr_flat_scratch_init 0
		.amdhsa_user_sgpr_kernarg_preload_length 0
		.amdhsa_user_sgpr_kernarg_preload_offset 0
		.amdhsa_user_sgpr_private_segment_size 0
		.amdhsa_uses_dynamic_stack 0
		.amdhsa_system_sgpr_private_segment_wavefront_offset 0
		.amdhsa_system_sgpr_workgroup_id_x 1
		.amdhsa_system_sgpr_workgroup_id_y 0
		.amdhsa_system_sgpr_workgroup_id_z 0
		.amdhsa_system_sgpr_workgroup_info 0
		.amdhsa_system_vgpr_workitem_id 0
		.amdhsa_next_free_vgpr 1
		.amdhsa_next_free_sgpr 0
		.amdhsa_accum_offset 4
		.amdhsa_reserve_vcc 0
		.amdhsa_reserve_flat_scratch 0
		.amdhsa_float_round_mode_32 0
		.amdhsa_float_round_mode_16_64 0
		.amdhsa_float_denorm_mode_32 3
		.amdhsa_float_denorm_mode_16_64 3
		.amdhsa_dx10_clamp 1
		.amdhsa_ieee_mode 1
		.amdhsa_fp16_overflow 0
		.amdhsa_tg_split 0
		.amdhsa_exception_fp_ieee_invalid_op 0
		.amdhsa_exception_fp_denorm_src 0
		.amdhsa_exception_fp_ieee_div_zero 0
		.amdhsa_exception_fp_ieee_overflow 0
		.amdhsa_exception_fp_ieee_underflow 0
		.amdhsa_exception_fp_ieee_inexact 0
		.amdhsa_exception_int_div_zero 0
	.end_amdhsa_kernel
	.section	.text._ZN7rocprim17ROCPRIM_400000_NS6detail17trampoline_kernelINS0_14default_configENS1_36segmented_radix_sort_config_selectorI6__halflEEZNS1_25segmented_radix_sort_implIS3_Lb0EPKS5_PS5_PKlPlN2at6native12_GLOBAL__N_18offset_tEEE10hipError_tPvRmT1_PNSt15iterator_traitsISL_E10value_typeET2_T3_PNSM_ISR_E10value_typeET4_jRbjT5_SX_jjP12ihipStream_tbEUlT_E0_NS1_11comp_targetILNS1_3genE2ELNS1_11target_archE906ELNS1_3gpuE6ELNS1_3repE0EEENS1_60segmented_radix_sort_warp_sort_medium_config_static_selectorELNS0_4arch9wavefront6targetE1EEEvSL_,"axG",@progbits,_ZN7rocprim17ROCPRIM_400000_NS6detail17trampoline_kernelINS0_14default_configENS1_36segmented_radix_sort_config_selectorI6__halflEEZNS1_25segmented_radix_sort_implIS3_Lb0EPKS5_PS5_PKlPlN2at6native12_GLOBAL__N_18offset_tEEE10hipError_tPvRmT1_PNSt15iterator_traitsISL_E10value_typeET2_T3_PNSM_ISR_E10value_typeET4_jRbjT5_SX_jjP12ihipStream_tbEUlT_E0_NS1_11comp_targetILNS1_3genE2ELNS1_11target_archE906ELNS1_3gpuE6ELNS1_3repE0EEENS1_60segmented_radix_sort_warp_sort_medium_config_static_selectorELNS0_4arch9wavefront6targetE1EEEvSL_,comdat
.Lfunc_end1855:
	.size	_ZN7rocprim17ROCPRIM_400000_NS6detail17trampoline_kernelINS0_14default_configENS1_36segmented_radix_sort_config_selectorI6__halflEEZNS1_25segmented_radix_sort_implIS3_Lb0EPKS5_PS5_PKlPlN2at6native12_GLOBAL__N_18offset_tEEE10hipError_tPvRmT1_PNSt15iterator_traitsISL_E10value_typeET2_T3_PNSM_ISR_E10value_typeET4_jRbjT5_SX_jjP12ihipStream_tbEUlT_E0_NS1_11comp_targetILNS1_3genE2ELNS1_11target_archE906ELNS1_3gpuE6ELNS1_3repE0EEENS1_60segmented_radix_sort_warp_sort_medium_config_static_selectorELNS0_4arch9wavefront6targetE1EEEvSL_, .Lfunc_end1855-_ZN7rocprim17ROCPRIM_400000_NS6detail17trampoline_kernelINS0_14default_configENS1_36segmented_radix_sort_config_selectorI6__halflEEZNS1_25segmented_radix_sort_implIS3_Lb0EPKS5_PS5_PKlPlN2at6native12_GLOBAL__N_18offset_tEEE10hipError_tPvRmT1_PNSt15iterator_traitsISL_E10value_typeET2_T3_PNSM_ISR_E10value_typeET4_jRbjT5_SX_jjP12ihipStream_tbEUlT_E0_NS1_11comp_targetILNS1_3genE2ELNS1_11target_archE906ELNS1_3gpuE6ELNS1_3repE0EEENS1_60segmented_radix_sort_warp_sort_medium_config_static_selectorELNS0_4arch9wavefront6targetE1EEEvSL_
                                        ; -- End function
	.section	.AMDGPU.csdata,"",@progbits
; Kernel info:
; codeLenInByte = 0
; NumSgprs: 4
; NumVgprs: 0
; NumAgprs: 0
; TotalNumVgprs: 0
; ScratchSize: 0
; MemoryBound: 0
; FloatMode: 240
; IeeeMode: 1
; LDSByteSize: 0 bytes/workgroup (compile time only)
; SGPRBlocks: 0
; VGPRBlocks: 0
; NumSGPRsForWavesPerEU: 4
; NumVGPRsForWavesPerEU: 1
; AccumOffset: 4
; Occupancy: 8
; WaveLimiterHint : 0
; COMPUTE_PGM_RSRC2:SCRATCH_EN: 0
; COMPUTE_PGM_RSRC2:USER_SGPR: 6
; COMPUTE_PGM_RSRC2:TRAP_HANDLER: 0
; COMPUTE_PGM_RSRC2:TGID_X_EN: 1
; COMPUTE_PGM_RSRC2:TGID_Y_EN: 0
; COMPUTE_PGM_RSRC2:TGID_Z_EN: 0
; COMPUTE_PGM_RSRC2:TIDIG_COMP_CNT: 0
; COMPUTE_PGM_RSRC3_GFX90A:ACCUM_OFFSET: 0
; COMPUTE_PGM_RSRC3_GFX90A:TG_SPLIT: 0
	.section	.text._ZN7rocprim17ROCPRIM_400000_NS6detail17trampoline_kernelINS0_14default_configENS1_36segmented_radix_sort_config_selectorI6__halflEEZNS1_25segmented_radix_sort_implIS3_Lb0EPKS5_PS5_PKlPlN2at6native12_GLOBAL__N_18offset_tEEE10hipError_tPvRmT1_PNSt15iterator_traitsISL_E10value_typeET2_T3_PNSM_ISR_E10value_typeET4_jRbjT5_SX_jjP12ihipStream_tbEUlT_E0_NS1_11comp_targetILNS1_3genE10ELNS1_11target_archE1201ELNS1_3gpuE5ELNS1_3repE0EEENS1_60segmented_radix_sort_warp_sort_medium_config_static_selectorELNS0_4arch9wavefront6targetE1EEEvSL_,"axG",@progbits,_ZN7rocprim17ROCPRIM_400000_NS6detail17trampoline_kernelINS0_14default_configENS1_36segmented_radix_sort_config_selectorI6__halflEEZNS1_25segmented_radix_sort_implIS3_Lb0EPKS5_PS5_PKlPlN2at6native12_GLOBAL__N_18offset_tEEE10hipError_tPvRmT1_PNSt15iterator_traitsISL_E10value_typeET2_T3_PNSM_ISR_E10value_typeET4_jRbjT5_SX_jjP12ihipStream_tbEUlT_E0_NS1_11comp_targetILNS1_3genE10ELNS1_11target_archE1201ELNS1_3gpuE5ELNS1_3repE0EEENS1_60segmented_radix_sort_warp_sort_medium_config_static_selectorELNS0_4arch9wavefront6targetE1EEEvSL_,comdat
	.globl	_ZN7rocprim17ROCPRIM_400000_NS6detail17trampoline_kernelINS0_14default_configENS1_36segmented_radix_sort_config_selectorI6__halflEEZNS1_25segmented_radix_sort_implIS3_Lb0EPKS5_PS5_PKlPlN2at6native12_GLOBAL__N_18offset_tEEE10hipError_tPvRmT1_PNSt15iterator_traitsISL_E10value_typeET2_T3_PNSM_ISR_E10value_typeET4_jRbjT5_SX_jjP12ihipStream_tbEUlT_E0_NS1_11comp_targetILNS1_3genE10ELNS1_11target_archE1201ELNS1_3gpuE5ELNS1_3repE0EEENS1_60segmented_radix_sort_warp_sort_medium_config_static_selectorELNS0_4arch9wavefront6targetE1EEEvSL_ ; -- Begin function _ZN7rocprim17ROCPRIM_400000_NS6detail17trampoline_kernelINS0_14default_configENS1_36segmented_radix_sort_config_selectorI6__halflEEZNS1_25segmented_radix_sort_implIS3_Lb0EPKS5_PS5_PKlPlN2at6native12_GLOBAL__N_18offset_tEEE10hipError_tPvRmT1_PNSt15iterator_traitsISL_E10value_typeET2_T3_PNSM_ISR_E10value_typeET4_jRbjT5_SX_jjP12ihipStream_tbEUlT_E0_NS1_11comp_targetILNS1_3genE10ELNS1_11target_archE1201ELNS1_3gpuE5ELNS1_3repE0EEENS1_60segmented_radix_sort_warp_sort_medium_config_static_selectorELNS0_4arch9wavefront6targetE1EEEvSL_
	.p2align	8
	.type	_ZN7rocprim17ROCPRIM_400000_NS6detail17trampoline_kernelINS0_14default_configENS1_36segmented_radix_sort_config_selectorI6__halflEEZNS1_25segmented_radix_sort_implIS3_Lb0EPKS5_PS5_PKlPlN2at6native12_GLOBAL__N_18offset_tEEE10hipError_tPvRmT1_PNSt15iterator_traitsISL_E10value_typeET2_T3_PNSM_ISR_E10value_typeET4_jRbjT5_SX_jjP12ihipStream_tbEUlT_E0_NS1_11comp_targetILNS1_3genE10ELNS1_11target_archE1201ELNS1_3gpuE5ELNS1_3repE0EEENS1_60segmented_radix_sort_warp_sort_medium_config_static_selectorELNS0_4arch9wavefront6targetE1EEEvSL_,@function
_ZN7rocprim17ROCPRIM_400000_NS6detail17trampoline_kernelINS0_14default_configENS1_36segmented_radix_sort_config_selectorI6__halflEEZNS1_25segmented_radix_sort_implIS3_Lb0EPKS5_PS5_PKlPlN2at6native12_GLOBAL__N_18offset_tEEE10hipError_tPvRmT1_PNSt15iterator_traitsISL_E10value_typeET2_T3_PNSM_ISR_E10value_typeET4_jRbjT5_SX_jjP12ihipStream_tbEUlT_E0_NS1_11comp_targetILNS1_3genE10ELNS1_11target_archE1201ELNS1_3gpuE5ELNS1_3repE0EEENS1_60segmented_radix_sort_warp_sort_medium_config_static_selectorELNS0_4arch9wavefront6targetE1EEEvSL_: ; @_ZN7rocprim17ROCPRIM_400000_NS6detail17trampoline_kernelINS0_14default_configENS1_36segmented_radix_sort_config_selectorI6__halflEEZNS1_25segmented_radix_sort_implIS3_Lb0EPKS5_PS5_PKlPlN2at6native12_GLOBAL__N_18offset_tEEE10hipError_tPvRmT1_PNSt15iterator_traitsISL_E10value_typeET2_T3_PNSM_ISR_E10value_typeET4_jRbjT5_SX_jjP12ihipStream_tbEUlT_E0_NS1_11comp_targetILNS1_3genE10ELNS1_11target_archE1201ELNS1_3gpuE5ELNS1_3repE0EEENS1_60segmented_radix_sort_warp_sort_medium_config_static_selectorELNS0_4arch9wavefront6targetE1EEEvSL_
; %bb.0:
	.section	.rodata,"a",@progbits
	.p2align	6, 0x0
	.amdhsa_kernel _ZN7rocprim17ROCPRIM_400000_NS6detail17trampoline_kernelINS0_14default_configENS1_36segmented_radix_sort_config_selectorI6__halflEEZNS1_25segmented_radix_sort_implIS3_Lb0EPKS5_PS5_PKlPlN2at6native12_GLOBAL__N_18offset_tEEE10hipError_tPvRmT1_PNSt15iterator_traitsISL_E10value_typeET2_T3_PNSM_ISR_E10value_typeET4_jRbjT5_SX_jjP12ihipStream_tbEUlT_E0_NS1_11comp_targetILNS1_3genE10ELNS1_11target_archE1201ELNS1_3gpuE5ELNS1_3repE0EEENS1_60segmented_radix_sort_warp_sort_medium_config_static_selectorELNS0_4arch9wavefront6targetE1EEEvSL_
		.amdhsa_group_segment_fixed_size 0
		.amdhsa_private_segment_fixed_size 0
		.amdhsa_kernarg_size 88
		.amdhsa_user_sgpr_count 6
		.amdhsa_user_sgpr_private_segment_buffer 1
		.amdhsa_user_sgpr_dispatch_ptr 0
		.amdhsa_user_sgpr_queue_ptr 0
		.amdhsa_user_sgpr_kernarg_segment_ptr 1
		.amdhsa_user_sgpr_dispatch_id 0
		.amdhsa_user_sgpr_flat_scratch_init 0
		.amdhsa_user_sgpr_kernarg_preload_length 0
		.amdhsa_user_sgpr_kernarg_preload_offset 0
		.amdhsa_user_sgpr_private_segment_size 0
		.amdhsa_uses_dynamic_stack 0
		.amdhsa_system_sgpr_private_segment_wavefront_offset 0
		.amdhsa_system_sgpr_workgroup_id_x 1
		.amdhsa_system_sgpr_workgroup_id_y 0
		.amdhsa_system_sgpr_workgroup_id_z 0
		.amdhsa_system_sgpr_workgroup_info 0
		.amdhsa_system_vgpr_workitem_id 0
		.amdhsa_next_free_vgpr 1
		.amdhsa_next_free_sgpr 0
		.amdhsa_accum_offset 4
		.amdhsa_reserve_vcc 0
		.amdhsa_reserve_flat_scratch 0
		.amdhsa_float_round_mode_32 0
		.amdhsa_float_round_mode_16_64 0
		.amdhsa_float_denorm_mode_32 3
		.amdhsa_float_denorm_mode_16_64 3
		.amdhsa_dx10_clamp 1
		.amdhsa_ieee_mode 1
		.amdhsa_fp16_overflow 0
		.amdhsa_tg_split 0
		.amdhsa_exception_fp_ieee_invalid_op 0
		.amdhsa_exception_fp_denorm_src 0
		.amdhsa_exception_fp_ieee_div_zero 0
		.amdhsa_exception_fp_ieee_overflow 0
		.amdhsa_exception_fp_ieee_underflow 0
		.amdhsa_exception_fp_ieee_inexact 0
		.amdhsa_exception_int_div_zero 0
	.end_amdhsa_kernel
	.section	.text._ZN7rocprim17ROCPRIM_400000_NS6detail17trampoline_kernelINS0_14default_configENS1_36segmented_radix_sort_config_selectorI6__halflEEZNS1_25segmented_radix_sort_implIS3_Lb0EPKS5_PS5_PKlPlN2at6native12_GLOBAL__N_18offset_tEEE10hipError_tPvRmT1_PNSt15iterator_traitsISL_E10value_typeET2_T3_PNSM_ISR_E10value_typeET4_jRbjT5_SX_jjP12ihipStream_tbEUlT_E0_NS1_11comp_targetILNS1_3genE10ELNS1_11target_archE1201ELNS1_3gpuE5ELNS1_3repE0EEENS1_60segmented_radix_sort_warp_sort_medium_config_static_selectorELNS0_4arch9wavefront6targetE1EEEvSL_,"axG",@progbits,_ZN7rocprim17ROCPRIM_400000_NS6detail17trampoline_kernelINS0_14default_configENS1_36segmented_radix_sort_config_selectorI6__halflEEZNS1_25segmented_radix_sort_implIS3_Lb0EPKS5_PS5_PKlPlN2at6native12_GLOBAL__N_18offset_tEEE10hipError_tPvRmT1_PNSt15iterator_traitsISL_E10value_typeET2_T3_PNSM_ISR_E10value_typeET4_jRbjT5_SX_jjP12ihipStream_tbEUlT_E0_NS1_11comp_targetILNS1_3genE10ELNS1_11target_archE1201ELNS1_3gpuE5ELNS1_3repE0EEENS1_60segmented_radix_sort_warp_sort_medium_config_static_selectorELNS0_4arch9wavefront6targetE1EEEvSL_,comdat
.Lfunc_end1856:
	.size	_ZN7rocprim17ROCPRIM_400000_NS6detail17trampoline_kernelINS0_14default_configENS1_36segmented_radix_sort_config_selectorI6__halflEEZNS1_25segmented_radix_sort_implIS3_Lb0EPKS5_PS5_PKlPlN2at6native12_GLOBAL__N_18offset_tEEE10hipError_tPvRmT1_PNSt15iterator_traitsISL_E10value_typeET2_T3_PNSM_ISR_E10value_typeET4_jRbjT5_SX_jjP12ihipStream_tbEUlT_E0_NS1_11comp_targetILNS1_3genE10ELNS1_11target_archE1201ELNS1_3gpuE5ELNS1_3repE0EEENS1_60segmented_radix_sort_warp_sort_medium_config_static_selectorELNS0_4arch9wavefront6targetE1EEEvSL_, .Lfunc_end1856-_ZN7rocprim17ROCPRIM_400000_NS6detail17trampoline_kernelINS0_14default_configENS1_36segmented_radix_sort_config_selectorI6__halflEEZNS1_25segmented_radix_sort_implIS3_Lb0EPKS5_PS5_PKlPlN2at6native12_GLOBAL__N_18offset_tEEE10hipError_tPvRmT1_PNSt15iterator_traitsISL_E10value_typeET2_T3_PNSM_ISR_E10value_typeET4_jRbjT5_SX_jjP12ihipStream_tbEUlT_E0_NS1_11comp_targetILNS1_3genE10ELNS1_11target_archE1201ELNS1_3gpuE5ELNS1_3repE0EEENS1_60segmented_radix_sort_warp_sort_medium_config_static_selectorELNS0_4arch9wavefront6targetE1EEEvSL_
                                        ; -- End function
	.section	.AMDGPU.csdata,"",@progbits
; Kernel info:
; codeLenInByte = 0
; NumSgprs: 4
; NumVgprs: 0
; NumAgprs: 0
; TotalNumVgprs: 0
; ScratchSize: 0
; MemoryBound: 0
; FloatMode: 240
; IeeeMode: 1
; LDSByteSize: 0 bytes/workgroup (compile time only)
; SGPRBlocks: 0
; VGPRBlocks: 0
; NumSGPRsForWavesPerEU: 4
; NumVGPRsForWavesPerEU: 1
; AccumOffset: 4
; Occupancy: 8
; WaveLimiterHint : 0
; COMPUTE_PGM_RSRC2:SCRATCH_EN: 0
; COMPUTE_PGM_RSRC2:USER_SGPR: 6
; COMPUTE_PGM_RSRC2:TRAP_HANDLER: 0
; COMPUTE_PGM_RSRC2:TGID_X_EN: 1
; COMPUTE_PGM_RSRC2:TGID_Y_EN: 0
; COMPUTE_PGM_RSRC2:TGID_Z_EN: 0
; COMPUTE_PGM_RSRC2:TIDIG_COMP_CNT: 0
; COMPUTE_PGM_RSRC3_GFX90A:ACCUM_OFFSET: 0
; COMPUTE_PGM_RSRC3_GFX90A:TG_SPLIT: 0
	.section	.text._ZN7rocprim17ROCPRIM_400000_NS6detail17trampoline_kernelINS0_14default_configENS1_36segmented_radix_sort_config_selectorI6__halflEEZNS1_25segmented_radix_sort_implIS3_Lb0EPKS5_PS5_PKlPlN2at6native12_GLOBAL__N_18offset_tEEE10hipError_tPvRmT1_PNSt15iterator_traitsISL_E10value_typeET2_T3_PNSM_ISR_E10value_typeET4_jRbjT5_SX_jjP12ihipStream_tbEUlT_E0_NS1_11comp_targetILNS1_3genE10ELNS1_11target_archE1200ELNS1_3gpuE4ELNS1_3repE0EEENS1_60segmented_radix_sort_warp_sort_medium_config_static_selectorELNS0_4arch9wavefront6targetE1EEEvSL_,"axG",@progbits,_ZN7rocprim17ROCPRIM_400000_NS6detail17trampoline_kernelINS0_14default_configENS1_36segmented_radix_sort_config_selectorI6__halflEEZNS1_25segmented_radix_sort_implIS3_Lb0EPKS5_PS5_PKlPlN2at6native12_GLOBAL__N_18offset_tEEE10hipError_tPvRmT1_PNSt15iterator_traitsISL_E10value_typeET2_T3_PNSM_ISR_E10value_typeET4_jRbjT5_SX_jjP12ihipStream_tbEUlT_E0_NS1_11comp_targetILNS1_3genE10ELNS1_11target_archE1200ELNS1_3gpuE4ELNS1_3repE0EEENS1_60segmented_radix_sort_warp_sort_medium_config_static_selectorELNS0_4arch9wavefront6targetE1EEEvSL_,comdat
	.globl	_ZN7rocprim17ROCPRIM_400000_NS6detail17trampoline_kernelINS0_14default_configENS1_36segmented_radix_sort_config_selectorI6__halflEEZNS1_25segmented_radix_sort_implIS3_Lb0EPKS5_PS5_PKlPlN2at6native12_GLOBAL__N_18offset_tEEE10hipError_tPvRmT1_PNSt15iterator_traitsISL_E10value_typeET2_T3_PNSM_ISR_E10value_typeET4_jRbjT5_SX_jjP12ihipStream_tbEUlT_E0_NS1_11comp_targetILNS1_3genE10ELNS1_11target_archE1200ELNS1_3gpuE4ELNS1_3repE0EEENS1_60segmented_radix_sort_warp_sort_medium_config_static_selectorELNS0_4arch9wavefront6targetE1EEEvSL_ ; -- Begin function _ZN7rocprim17ROCPRIM_400000_NS6detail17trampoline_kernelINS0_14default_configENS1_36segmented_radix_sort_config_selectorI6__halflEEZNS1_25segmented_radix_sort_implIS3_Lb0EPKS5_PS5_PKlPlN2at6native12_GLOBAL__N_18offset_tEEE10hipError_tPvRmT1_PNSt15iterator_traitsISL_E10value_typeET2_T3_PNSM_ISR_E10value_typeET4_jRbjT5_SX_jjP12ihipStream_tbEUlT_E0_NS1_11comp_targetILNS1_3genE10ELNS1_11target_archE1200ELNS1_3gpuE4ELNS1_3repE0EEENS1_60segmented_radix_sort_warp_sort_medium_config_static_selectorELNS0_4arch9wavefront6targetE1EEEvSL_
	.p2align	8
	.type	_ZN7rocprim17ROCPRIM_400000_NS6detail17trampoline_kernelINS0_14default_configENS1_36segmented_radix_sort_config_selectorI6__halflEEZNS1_25segmented_radix_sort_implIS3_Lb0EPKS5_PS5_PKlPlN2at6native12_GLOBAL__N_18offset_tEEE10hipError_tPvRmT1_PNSt15iterator_traitsISL_E10value_typeET2_T3_PNSM_ISR_E10value_typeET4_jRbjT5_SX_jjP12ihipStream_tbEUlT_E0_NS1_11comp_targetILNS1_3genE10ELNS1_11target_archE1200ELNS1_3gpuE4ELNS1_3repE0EEENS1_60segmented_radix_sort_warp_sort_medium_config_static_selectorELNS0_4arch9wavefront6targetE1EEEvSL_,@function
_ZN7rocprim17ROCPRIM_400000_NS6detail17trampoline_kernelINS0_14default_configENS1_36segmented_radix_sort_config_selectorI6__halflEEZNS1_25segmented_radix_sort_implIS3_Lb0EPKS5_PS5_PKlPlN2at6native12_GLOBAL__N_18offset_tEEE10hipError_tPvRmT1_PNSt15iterator_traitsISL_E10value_typeET2_T3_PNSM_ISR_E10value_typeET4_jRbjT5_SX_jjP12ihipStream_tbEUlT_E0_NS1_11comp_targetILNS1_3genE10ELNS1_11target_archE1200ELNS1_3gpuE4ELNS1_3repE0EEENS1_60segmented_radix_sort_warp_sort_medium_config_static_selectorELNS0_4arch9wavefront6targetE1EEEvSL_: ; @_ZN7rocprim17ROCPRIM_400000_NS6detail17trampoline_kernelINS0_14default_configENS1_36segmented_radix_sort_config_selectorI6__halflEEZNS1_25segmented_radix_sort_implIS3_Lb0EPKS5_PS5_PKlPlN2at6native12_GLOBAL__N_18offset_tEEE10hipError_tPvRmT1_PNSt15iterator_traitsISL_E10value_typeET2_T3_PNSM_ISR_E10value_typeET4_jRbjT5_SX_jjP12ihipStream_tbEUlT_E0_NS1_11comp_targetILNS1_3genE10ELNS1_11target_archE1200ELNS1_3gpuE4ELNS1_3repE0EEENS1_60segmented_radix_sort_warp_sort_medium_config_static_selectorELNS0_4arch9wavefront6targetE1EEEvSL_
; %bb.0:
	.section	.rodata,"a",@progbits
	.p2align	6, 0x0
	.amdhsa_kernel _ZN7rocprim17ROCPRIM_400000_NS6detail17trampoline_kernelINS0_14default_configENS1_36segmented_radix_sort_config_selectorI6__halflEEZNS1_25segmented_radix_sort_implIS3_Lb0EPKS5_PS5_PKlPlN2at6native12_GLOBAL__N_18offset_tEEE10hipError_tPvRmT1_PNSt15iterator_traitsISL_E10value_typeET2_T3_PNSM_ISR_E10value_typeET4_jRbjT5_SX_jjP12ihipStream_tbEUlT_E0_NS1_11comp_targetILNS1_3genE10ELNS1_11target_archE1200ELNS1_3gpuE4ELNS1_3repE0EEENS1_60segmented_radix_sort_warp_sort_medium_config_static_selectorELNS0_4arch9wavefront6targetE1EEEvSL_
		.amdhsa_group_segment_fixed_size 0
		.amdhsa_private_segment_fixed_size 0
		.amdhsa_kernarg_size 88
		.amdhsa_user_sgpr_count 6
		.amdhsa_user_sgpr_private_segment_buffer 1
		.amdhsa_user_sgpr_dispatch_ptr 0
		.amdhsa_user_sgpr_queue_ptr 0
		.amdhsa_user_sgpr_kernarg_segment_ptr 1
		.amdhsa_user_sgpr_dispatch_id 0
		.amdhsa_user_sgpr_flat_scratch_init 0
		.amdhsa_user_sgpr_kernarg_preload_length 0
		.amdhsa_user_sgpr_kernarg_preload_offset 0
		.amdhsa_user_sgpr_private_segment_size 0
		.amdhsa_uses_dynamic_stack 0
		.amdhsa_system_sgpr_private_segment_wavefront_offset 0
		.amdhsa_system_sgpr_workgroup_id_x 1
		.amdhsa_system_sgpr_workgroup_id_y 0
		.amdhsa_system_sgpr_workgroup_id_z 0
		.amdhsa_system_sgpr_workgroup_info 0
		.amdhsa_system_vgpr_workitem_id 0
		.amdhsa_next_free_vgpr 1
		.amdhsa_next_free_sgpr 0
		.amdhsa_accum_offset 4
		.amdhsa_reserve_vcc 0
		.amdhsa_reserve_flat_scratch 0
		.amdhsa_float_round_mode_32 0
		.amdhsa_float_round_mode_16_64 0
		.amdhsa_float_denorm_mode_32 3
		.amdhsa_float_denorm_mode_16_64 3
		.amdhsa_dx10_clamp 1
		.amdhsa_ieee_mode 1
		.amdhsa_fp16_overflow 0
		.amdhsa_tg_split 0
		.amdhsa_exception_fp_ieee_invalid_op 0
		.amdhsa_exception_fp_denorm_src 0
		.amdhsa_exception_fp_ieee_div_zero 0
		.amdhsa_exception_fp_ieee_overflow 0
		.amdhsa_exception_fp_ieee_underflow 0
		.amdhsa_exception_fp_ieee_inexact 0
		.amdhsa_exception_int_div_zero 0
	.end_amdhsa_kernel
	.section	.text._ZN7rocprim17ROCPRIM_400000_NS6detail17trampoline_kernelINS0_14default_configENS1_36segmented_radix_sort_config_selectorI6__halflEEZNS1_25segmented_radix_sort_implIS3_Lb0EPKS5_PS5_PKlPlN2at6native12_GLOBAL__N_18offset_tEEE10hipError_tPvRmT1_PNSt15iterator_traitsISL_E10value_typeET2_T3_PNSM_ISR_E10value_typeET4_jRbjT5_SX_jjP12ihipStream_tbEUlT_E0_NS1_11comp_targetILNS1_3genE10ELNS1_11target_archE1200ELNS1_3gpuE4ELNS1_3repE0EEENS1_60segmented_radix_sort_warp_sort_medium_config_static_selectorELNS0_4arch9wavefront6targetE1EEEvSL_,"axG",@progbits,_ZN7rocprim17ROCPRIM_400000_NS6detail17trampoline_kernelINS0_14default_configENS1_36segmented_radix_sort_config_selectorI6__halflEEZNS1_25segmented_radix_sort_implIS3_Lb0EPKS5_PS5_PKlPlN2at6native12_GLOBAL__N_18offset_tEEE10hipError_tPvRmT1_PNSt15iterator_traitsISL_E10value_typeET2_T3_PNSM_ISR_E10value_typeET4_jRbjT5_SX_jjP12ihipStream_tbEUlT_E0_NS1_11comp_targetILNS1_3genE10ELNS1_11target_archE1200ELNS1_3gpuE4ELNS1_3repE0EEENS1_60segmented_radix_sort_warp_sort_medium_config_static_selectorELNS0_4arch9wavefront6targetE1EEEvSL_,comdat
.Lfunc_end1857:
	.size	_ZN7rocprim17ROCPRIM_400000_NS6detail17trampoline_kernelINS0_14default_configENS1_36segmented_radix_sort_config_selectorI6__halflEEZNS1_25segmented_radix_sort_implIS3_Lb0EPKS5_PS5_PKlPlN2at6native12_GLOBAL__N_18offset_tEEE10hipError_tPvRmT1_PNSt15iterator_traitsISL_E10value_typeET2_T3_PNSM_ISR_E10value_typeET4_jRbjT5_SX_jjP12ihipStream_tbEUlT_E0_NS1_11comp_targetILNS1_3genE10ELNS1_11target_archE1200ELNS1_3gpuE4ELNS1_3repE0EEENS1_60segmented_radix_sort_warp_sort_medium_config_static_selectorELNS0_4arch9wavefront6targetE1EEEvSL_, .Lfunc_end1857-_ZN7rocprim17ROCPRIM_400000_NS6detail17trampoline_kernelINS0_14default_configENS1_36segmented_radix_sort_config_selectorI6__halflEEZNS1_25segmented_radix_sort_implIS3_Lb0EPKS5_PS5_PKlPlN2at6native12_GLOBAL__N_18offset_tEEE10hipError_tPvRmT1_PNSt15iterator_traitsISL_E10value_typeET2_T3_PNSM_ISR_E10value_typeET4_jRbjT5_SX_jjP12ihipStream_tbEUlT_E0_NS1_11comp_targetILNS1_3genE10ELNS1_11target_archE1200ELNS1_3gpuE4ELNS1_3repE0EEENS1_60segmented_radix_sort_warp_sort_medium_config_static_selectorELNS0_4arch9wavefront6targetE1EEEvSL_
                                        ; -- End function
	.section	.AMDGPU.csdata,"",@progbits
; Kernel info:
; codeLenInByte = 0
; NumSgprs: 4
; NumVgprs: 0
; NumAgprs: 0
; TotalNumVgprs: 0
; ScratchSize: 0
; MemoryBound: 0
; FloatMode: 240
; IeeeMode: 1
; LDSByteSize: 0 bytes/workgroup (compile time only)
; SGPRBlocks: 0
; VGPRBlocks: 0
; NumSGPRsForWavesPerEU: 4
; NumVGPRsForWavesPerEU: 1
; AccumOffset: 4
; Occupancy: 8
; WaveLimiterHint : 0
; COMPUTE_PGM_RSRC2:SCRATCH_EN: 0
; COMPUTE_PGM_RSRC2:USER_SGPR: 6
; COMPUTE_PGM_RSRC2:TRAP_HANDLER: 0
; COMPUTE_PGM_RSRC2:TGID_X_EN: 1
; COMPUTE_PGM_RSRC2:TGID_Y_EN: 0
; COMPUTE_PGM_RSRC2:TGID_Z_EN: 0
; COMPUTE_PGM_RSRC2:TIDIG_COMP_CNT: 0
; COMPUTE_PGM_RSRC3_GFX90A:ACCUM_OFFSET: 0
; COMPUTE_PGM_RSRC3_GFX90A:TG_SPLIT: 0
	.section	.text._ZN7rocprim17ROCPRIM_400000_NS6detail17trampoline_kernelINS0_14default_configENS1_36segmented_radix_sort_config_selectorI6__halflEEZNS1_25segmented_radix_sort_implIS3_Lb0EPKS5_PS5_PKlPlN2at6native12_GLOBAL__N_18offset_tEEE10hipError_tPvRmT1_PNSt15iterator_traitsISL_E10value_typeET2_T3_PNSM_ISR_E10value_typeET4_jRbjT5_SX_jjP12ihipStream_tbEUlT_E0_NS1_11comp_targetILNS1_3genE9ELNS1_11target_archE1100ELNS1_3gpuE3ELNS1_3repE0EEENS1_60segmented_radix_sort_warp_sort_medium_config_static_selectorELNS0_4arch9wavefront6targetE1EEEvSL_,"axG",@progbits,_ZN7rocprim17ROCPRIM_400000_NS6detail17trampoline_kernelINS0_14default_configENS1_36segmented_radix_sort_config_selectorI6__halflEEZNS1_25segmented_radix_sort_implIS3_Lb0EPKS5_PS5_PKlPlN2at6native12_GLOBAL__N_18offset_tEEE10hipError_tPvRmT1_PNSt15iterator_traitsISL_E10value_typeET2_T3_PNSM_ISR_E10value_typeET4_jRbjT5_SX_jjP12ihipStream_tbEUlT_E0_NS1_11comp_targetILNS1_3genE9ELNS1_11target_archE1100ELNS1_3gpuE3ELNS1_3repE0EEENS1_60segmented_radix_sort_warp_sort_medium_config_static_selectorELNS0_4arch9wavefront6targetE1EEEvSL_,comdat
	.globl	_ZN7rocprim17ROCPRIM_400000_NS6detail17trampoline_kernelINS0_14default_configENS1_36segmented_radix_sort_config_selectorI6__halflEEZNS1_25segmented_radix_sort_implIS3_Lb0EPKS5_PS5_PKlPlN2at6native12_GLOBAL__N_18offset_tEEE10hipError_tPvRmT1_PNSt15iterator_traitsISL_E10value_typeET2_T3_PNSM_ISR_E10value_typeET4_jRbjT5_SX_jjP12ihipStream_tbEUlT_E0_NS1_11comp_targetILNS1_3genE9ELNS1_11target_archE1100ELNS1_3gpuE3ELNS1_3repE0EEENS1_60segmented_radix_sort_warp_sort_medium_config_static_selectorELNS0_4arch9wavefront6targetE1EEEvSL_ ; -- Begin function _ZN7rocprim17ROCPRIM_400000_NS6detail17trampoline_kernelINS0_14default_configENS1_36segmented_radix_sort_config_selectorI6__halflEEZNS1_25segmented_radix_sort_implIS3_Lb0EPKS5_PS5_PKlPlN2at6native12_GLOBAL__N_18offset_tEEE10hipError_tPvRmT1_PNSt15iterator_traitsISL_E10value_typeET2_T3_PNSM_ISR_E10value_typeET4_jRbjT5_SX_jjP12ihipStream_tbEUlT_E0_NS1_11comp_targetILNS1_3genE9ELNS1_11target_archE1100ELNS1_3gpuE3ELNS1_3repE0EEENS1_60segmented_radix_sort_warp_sort_medium_config_static_selectorELNS0_4arch9wavefront6targetE1EEEvSL_
	.p2align	8
	.type	_ZN7rocprim17ROCPRIM_400000_NS6detail17trampoline_kernelINS0_14default_configENS1_36segmented_radix_sort_config_selectorI6__halflEEZNS1_25segmented_radix_sort_implIS3_Lb0EPKS5_PS5_PKlPlN2at6native12_GLOBAL__N_18offset_tEEE10hipError_tPvRmT1_PNSt15iterator_traitsISL_E10value_typeET2_T3_PNSM_ISR_E10value_typeET4_jRbjT5_SX_jjP12ihipStream_tbEUlT_E0_NS1_11comp_targetILNS1_3genE9ELNS1_11target_archE1100ELNS1_3gpuE3ELNS1_3repE0EEENS1_60segmented_radix_sort_warp_sort_medium_config_static_selectorELNS0_4arch9wavefront6targetE1EEEvSL_,@function
_ZN7rocprim17ROCPRIM_400000_NS6detail17trampoline_kernelINS0_14default_configENS1_36segmented_radix_sort_config_selectorI6__halflEEZNS1_25segmented_radix_sort_implIS3_Lb0EPKS5_PS5_PKlPlN2at6native12_GLOBAL__N_18offset_tEEE10hipError_tPvRmT1_PNSt15iterator_traitsISL_E10value_typeET2_T3_PNSM_ISR_E10value_typeET4_jRbjT5_SX_jjP12ihipStream_tbEUlT_E0_NS1_11comp_targetILNS1_3genE9ELNS1_11target_archE1100ELNS1_3gpuE3ELNS1_3repE0EEENS1_60segmented_radix_sort_warp_sort_medium_config_static_selectorELNS0_4arch9wavefront6targetE1EEEvSL_: ; @_ZN7rocprim17ROCPRIM_400000_NS6detail17trampoline_kernelINS0_14default_configENS1_36segmented_radix_sort_config_selectorI6__halflEEZNS1_25segmented_radix_sort_implIS3_Lb0EPKS5_PS5_PKlPlN2at6native12_GLOBAL__N_18offset_tEEE10hipError_tPvRmT1_PNSt15iterator_traitsISL_E10value_typeET2_T3_PNSM_ISR_E10value_typeET4_jRbjT5_SX_jjP12ihipStream_tbEUlT_E0_NS1_11comp_targetILNS1_3genE9ELNS1_11target_archE1100ELNS1_3gpuE3ELNS1_3repE0EEENS1_60segmented_radix_sort_warp_sort_medium_config_static_selectorELNS0_4arch9wavefront6targetE1EEEvSL_
; %bb.0:
	.section	.rodata,"a",@progbits
	.p2align	6, 0x0
	.amdhsa_kernel _ZN7rocprim17ROCPRIM_400000_NS6detail17trampoline_kernelINS0_14default_configENS1_36segmented_radix_sort_config_selectorI6__halflEEZNS1_25segmented_radix_sort_implIS3_Lb0EPKS5_PS5_PKlPlN2at6native12_GLOBAL__N_18offset_tEEE10hipError_tPvRmT1_PNSt15iterator_traitsISL_E10value_typeET2_T3_PNSM_ISR_E10value_typeET4_jRbjT5_SX_jjP12ihipStream_tbEUlT_E0_NS1_11comp_targetILNS1_3genE9ELNS1_11target_archE1100ELNS1_3gpuE3ELNS1_3repE0EEENS1_60segmented_radix_sort_warp_sort_medium_config_static_selectorELNS0_4arch9wavefront6targetE1EEEvSL_
		.amdhsa_group_segment_fixed_size 0
		.amdhsa_private_segment_fixed_size 0
		.amdhsa_kernarg_size 88
		.amdhsa_user_sgpr_count 6
		.amdhsa_user_sgpr_private_segment_buffer 1
		.amdhsa_user_sgpr_dispatch_ptr 0
		.amdhsa_user_sgpr_queue_ptr 0
		.amdhsa_user_sgpr_kernarg_segment_ptr 1
		.amdhsa_user_sgpr_dispatch_id 0
		.amdhsa_user_sgpr_flat_scratch_init 0
		.amdhsa_user_sgpr_kernarg_preload_length 0
		.amdhsa_user_sgpr_kernarg_preload_offset 0
		.amdhsa_user_sgpr_private_segment_size 0
		.amdhsa_uses_dynamic_stack 0
		.amdhsa_system_sgpr_private_segment_wavefront_offset 0
		.amdhsa_system_sgpr_workgroup_id_x 1
		.amdhsa_system_sgpr_workgroup_id_y 0
		.amdhsa_system_sgpr_workgroup_id_z 0
		.amdhsa_system_sgpr_workgroup_info 0
		.amdhsa_system_vgpr_workitem_id 0
		.amdhsa_next_free_vgpr 1
		.amdhsa_next_free_sgpr 0
		.amdhsa_accum_offset 4
		.amdhsa_reserve_vcc 0
		.amdhsa_reserve_flat_scratch 0
		.amdhsa_float_round_mode_32 0
		.amdhsa_float_round_mode_16_64 0
		.amdhsa_float_denorm_mode_32 3
		.amdhsa_float_denorm_mode_16_64 3
		.amdhsa_dx10_clamp 1
		.amdhsa_ieee_mode 1
		.amdhsa_fp16_overflow 0
		.amdhsa_tg_split 0
		.amdhsa_exception_fp_ieee_invalid_op 0
		.amdhsa_exception_fp_denorm_src 0
		.amdhsa_exception_fp_ieee_div_zero 0
		.amdhsa_exception_fp_ieee_overflow 0
		.amdhsa_exception_fp_ieee_underflow 0
		.amdhsa_exception_fp_ieee_inexact 0
		.amdhsa_exception_int_div_zero 0
	.end_amdhsa_kernel
	.section	.text._ZN7rocprim17ROCPRIM_400000_NS6detail17trampoline_kernelINS0_14default_configENS1_36segmented_radix_sort_config_selectorI6__halflEEZNS1_25segmented_radix_sort_implIS3_Lb0EPKS5_PS5_PKlPlN2at6native12_GLOBAL__N_18offset_tEEE10hipError_tPvRmT1_PNSt15iterator_traitsISL_E10value_typeET2_T3_PNSM_ISR_E10value_typeET4_jRbjT5_SX_jjP12ihipStream_tbEUlT_E0_NS1_11comp_targetILNS1_3genE9ELNS1_11target_archE1100ELNS1_3gpuE3ELNS1_3repE0EEENS1_60segmented_radix_sort_warp_sort_medium_config_static_selectorELNS0_4arch9wavefront6targetE1EEEvSL_,"axG",@progbits,_ZN7rocprim17ROCPRIM_400000_NS6detail17trampoline_kernelINS0_14default_configENS1_36segmented_radix_sort_config_selectorI6__halflEEZNS1_25segmented_radix_sort_implIS3_Lb0EPKS5_PS5_PKlPlN2at6native12_GLOBAL__N_18offset_tEEE10hipError_tPvRmT1_PNSt15iterator_traitsISL_E10value_typeET2_T3_PNSM_ISR_E10value_typeET4_jRbjT5_SX_jjP12ihipStream_tbEUlT_E0_NS1_11comp_targetILNS1_3genE9ELNS1_11target_archE1100ELNS1_3gpuE3ELNS1_3repE0EEENS1_60segmented_radix_sort_warp_sort_medium_config_static_selectorELNS0_4arch9wavefront6targetE1EEEvSL_,comdat
.Lfunc_end1858:
	.size	_ZN7rocprim17ROCPRIM_400000_NS6detail17trampoline_kernelINS0_14default_configENS1_36segmented_radix_sort_config_selectorI6__halflEEZNS1_25segmented_radix_sort_implIS3_Lb0EPKS5_PS5_PKlPlN2at6native12_GLOBAL__N_18offset_tEEE10hipError_tPvRmT1_PNSt15iterator_traitsISL_E10value_typeET2_T3_PNSM_ISR_E10value_typeET4_jRbjT5_SX_jjP12ihipStream_tbEUlT_E0_NS1_11comp_targetILNS1_3genE9ELNS1_11target_archE1100ELNS1_3gpuE3ELNS1_3repE0EEENS1_60segmented_radix_sort_warp_sort_medium_config_static_selectorELNS0_4arch9wavefront6targetE1EEEvSL_, .Lfunc_end1858-_ZN7rocprim17ROCPRIM_400000_NS6detail17trampoline_kernelINS0_14default_configENS1_36segmented_radix_sort_config_selectorI6__halflEEZNS1_25segmented_radix_sort_implIS3_Lb0EPKS5_PS5_PKlPlN2at6native12_GLOBAL__N_18offset_tEEE10hipError_tPvRmT1_PNSt15iterator_traitsISL_E10value_typeET2_T3_PNSM_ISR_E10value_typeET4_jRbjT5_SX_jjP12ihipStream_tbEUlT_E0_NS1_11comp_targetILNS1_3genE9ELNS1_11target_archE1100ELNS1_3gpuE3ELNS1_3repE0EEENS1_60segmented_radix_sort_warp_sort_medium_config_static_selectorELNS0_4arch9wavefront6targetE1EEEvSL_
                                        ; -- End function
	.section	.AMDGPU.csdata,"",@progbits
; Kernel info:
; codeLenInByte = 0
; NumSgprs: 4
; NumVgprs: 0
; NumAgprs: 0
; TotalNumVgprs: 0
; ScratchSize: 0
; MemoryBound: 0
; FloatMode: 240
; IeeeMode: 1
; LDSByteSize: 0 bytes/workgroup (compile time only)
; SGPRBlocks: 0
; VGPRBlocks: 0
; NumSGPRsForWavesPerEU: 4
; NumVGPRsForWavesPerEU: 1
; AccumOffset: 4
; Occupancy: 8
; WaveLimiterHint : 0
; COMPUTE_PGM_RSRC2:SCRATCH_EN: 0
; COMPUTE_PGM_RSRC2:USER_SGPR: 6
; COMPUTE_PGM_RSRC2:TRAP_HANDLER: 0
; COMPUTE_PGM_RSRC2:TGID_X_EN: 1
; COMPUTE_PGM_RSRC2:TGID_Y_EN: 0
; COMPUTE_PGM_RSRC2:TGID_Z_EN: 0
; COMPUTE_PGM_RSRC2:TIDIG_COMP_CNT: 0
; COMPUTE_PGM_RSRC3_GFX90A:ACCUM_OFFSET: 0
; COMPUTE_PGM_RSRC3_GFX90A:TG_SPLIT: 0
	.section	.text._ZN7rocprim17ROCPRIM_400000_NS6detail17trampoline_kernelINS0_14default_configENS1_36segmented_radix_sort_config_selectorI6__halflEEZNS1_25segmented_radix_sort_implIS3_Lb0EPKS5_PS5_PKlPlN2at6native12_GLOBAL__N_18offset_tEEE10hipError_tPvRmT1_PNSt15iterator_traitsISL_E10value_typeET2_T3_PNSM_ISR_E10value_typeET4_jRbjT5_SX_jjP12ihipStream_tbEUlT_E0_NS1_11comp_targetILNS1_3genE8ELNS1_11target_archE1030ELNS1_3gpuE2ELNS1_3repE0EEENS1_60segmented_radix_sort_warp_sort_medium_config_static_selectorELNS0_4arch9wavefront6targetE1EEEvSL_,"axG",@progbits,_ZN7rocprim17ROCPRIM_400000_NS6detail17trampoline_kernelINS0_14default_configENS1_36segmented_radix_sort_config_selectorI6__halflEEZNS1_25segmented_radix_sort_implIS3_Lb0EPKS5_PS5_PKlPlN2at6native12_GLOBAL__N_18offset_tEEE10hipError_tPvRmT1_PNSt15iterator_traitsISL_E10value_typeET2_T3_PNSM_ISR_E10value_typeET4_jRbjT5_SX_jjP12ihipStream_tbEUlT_E0_NS1_11comp_targetILNS1_3genE8ELNS1_11target_archE1030ELNS1_3gpuE2ELNS1_3repE0EEENS1_60segmented_radix_sort_warp_sort_medium_config_static_selectorELNS0_4arch9wavefront6targetE1EEEvSL_,comdat
	.globl	_ZN7rocprim17ROCPRIM_400000_NS6detail17trampoline_kernelINS0_14default_configENS1_36segmented_radix_sort_config_selectorI6__halflEEZNS1_25segmented_radix_sort_implIS3_Lb0EPKS5_PS5_PKlPlN2at6native12_GLOBAL__N_18offset_tEEE10hipError_tPvRmT1_PNSt15iterator_traitsISL_E10value_typeET2_T3_PNSM_ISR_E10value_typeET4_jRbjT5_SX_jjP12ihipStream_tbEUlT_E0_NS1_11comp_targetILNS1_3genE8ELNS1_11target_archE1030ELNS1_3gpuE2ELNS1_3repE0EEENS1_60segmented_radix_sort_warp_sort_medium_config_static_selectorELNS0_4arch9wavefront6targetE1EEEvSL_ ; -- Begin function _ZN7rocprim17ROCPRIM_400000_NS6detail17trampoline_kernelINS0_14default_configENS1_36segmented_radix_sort_config_selectorI6__halflEEZNS1_25segmented_radix_sort_implIS3_Lb0EPKS5_PS5_PKlPlN2at6native12_GLOBAL__N_18offset_tEEE10hipError_tPvRmT1_PNSt15iterator_traitsISL_E10value_typeET2_T3_PNSM_ISR_E10value_typeET4_jRbjT5_SX_jjP12ihipStream_tbEUlT_E0_NS1_11comp_targetILNS1_3genE8ELNS1_11target_archE1030ELNS1_3gpuE2ELNS1_3repE0EEENS1_60segmented_radix_sort_warp_sort_medium_config_static_selectorELNS0_4arch9wavefront6targetE1EEEvSL_
	.p2align	8
	.type	_ZN7rocprim17ROCPRIM_400000_NS6detail17trampoline_kernelINS0_14default_configENS1_36segmented_radix_sort_config_selectorI6__halflEEZNS1_25segmented_radix_sort_implIS3_Lb0EPKS5_PS5_PKlPlN2at6native12_GLOBAL__N_18offset_tEEE10hipError_tPvRmT1_PNSt15iterator_traitsISL_E10value_typeET2_T3_PNSM_ISR_E10value_typeET4_jRbjT5_SX_jjP12ihipStream_tbEUlT_E0_NS1_11comp_targetILNS1_3genE8ELNS1_11target_archE1030ELNS1_3gpuE2ELNS1_3repE0EEENS1_60segmented_radix_sort_warp_sort_medium_config_static_selectorELNS0_4arch9wavefront6targetE1EEEvSL_,@function
_ZN7rocprim17ROCPRIM_400000_NS6detail17trampoline_kernelINS0_14default_configENS1_36segmented_radix_sort_config_selectorI6__halflEEZNS1_25segmented_radix_sort_implIS3_Lb0EPKS5_PS5_PKlPlN2at6native12_GLOBAL__N_18offset_tEEE10hipError_tPvRmT1_PNSt15iterator_traitsISL_E10value_typeET2_T3_PNSM_ISR_E10value_typeET4_jRbjT5_SX_jjP12ihipStream_tbEUlT_E0_NS1_11comp_targetILNS1_3genE8ELNS1_11target_archE1030ELNS1_3gpuE2ELNS1_3repE0EEENS1_60segmented_radix_sort_warp_sort_medium_config_static_selectorELNS0_4arch9wavefront6targetE1EEEvSL_: ; @_ZN7rocprim17ROCPRIM_400000_NS6detail17trampoline_kernelINS0_14default_configENS1_36segmented_radix_sort_config_selectorI6__halflEEZNS1_25segmented_radix_sort_implIS3_Lb0EPKS5_PS5_PKlPlN2at6native12_GLOBAL__N_18offset_tEEE10hipError_tPvRmT1_PNSt15iterator_traitsISL_E10value_typeET2_T3_PNSM_ISR_E10value_typeET4_jRbjT5_SX_jjP12ihipStream_tbEUlT_E0_NS1_11comp_targetILNS1_3genE8ELNS1_11target_archE1030ELNS1_3gpuE2ELNS1_3repE0EEENS1_60segmented_radix_sort_warp_sort_medium_config_static_selectorELNS0_4arch9wavefront6targetE1EEEvSL_
; %bb.0:
	.section	.rodata,"a",@progbits
	.p2align	6, 0x0
	.amdhsa_kernel _ZN7rocprim17ROCPRIM_400000_NS6detail17trampoline_kernelINS0_14default_configENS1_36segmented_radix_sort_config_selectorI6__halflEEZNS1_25segmented_radix_sort_implIS3_Lb0EPKS5_PS5_PKlPlN2at6native12_GLOBAL__N_18offset_tEEE10hipError_tPvRmT1_PNSt15iterator_traitsISL_E10value_typeET2_T3_PNSM_ISR_E10value_typeET4_jRbjT5_SX_jjP12ihipStream_tbEUlT_E0_NS1_11comp_targetILNS1_3genE8ELNS1_11target_archE1030ELNS1_3gpuE2ELNS1_3repE0EEENS1_60segmented_radix_sort_warp_sort_medium_config_static_selectorELNS0_4arch9wavefront6targetE1EEEvSL_
		.amdhsa_group_segment_fixed_size 0
		.amdhsa_private_segment_fixed_size 0
		.amdhsa_kernarg_size 88
		.amdhsa_user_sgpr_count 6
		.amdhsa_user_sgpr_private_segment_buffer 1
		.amdhsa_user_sgpr_dispatch_ptr 0
		.amdhsa_user_sgpr_queue_ptr 0
		.amdhsa_user_sgpr_kernarg_segment_ptr 1
		.amdhsa_user_sgpr_dispatch_id 0
		.amdhsa_user_sgpr_flat_scratch_init 0
		.amdhsa_user_sgpr_kernarg_preload_length 0
		.amdhsa_user_sgpr_kernarg_preload_offset 0
		.amdhsa_user_sgpr_private_segment_size 0
		.amdhsa_uses_dynamic_stack 0
		.amdhsa_system_sgpr_private_segment_wavefront_offset 0
		.amdhsa_system_sgpr_workgroup_id_x 1
		.amdhsa_system_sgpr_workgroup_id_y 0
		.amdhsa_system_sgpr_workgroup_id_z 0
		.amdhsa_system_sgpr_workgroup_info 0
		.amdhsa_system_vgpr_workitem_id 0
		.amdhsa_next_free_vgpr 1
		.amdhsa_next_free_sgpr 0
		.amdhsa_accum_offset 4
		.amdhsa_reserve_vcc 0
		.amdhsa_reserve_flat_scratch 0
		.amdhsa_float_round_mode_32 0
		.amdhsa_float_round_mode_16_64 0
		.amdhsa_float_denorm_mode_32 3
		.amdhsa_float_denorm_mode_16_64 3
		.amdhsa_dx10_clamp 1
		.amdhsa_ieee_mode 1
		.amdhsa_fp16_overflow 0
		.amdhsa_tg_split 0
		.amdhsa_exception_fp_ieee_invalid_op 0
		.amdhsa_exception_fp_denorm_src 0
		.amdhsa_exception_fp_ieee_div_zero 0
		.amdhsa_exception_fp_ieee_overflow 0
		.amdhsa_exception_fp_ieee_underflow 0
		.amdhsa_exception_fp_ieee_inexact 0
		.amdhsa_exception_int_div_zero 0
	.end_amdhsa_kernel
	.section	.text._ZN7rocprim17ROCPRIM_400000_NS6detail17trampoline_kernelINS0_14default_configENS1_36segmented_radix_sort_config_selectorI6__halflEEZNS1_25segmented_radix_sort_implIS3_Lb0EPKS5_PS5_PKlPlN2at6native12_GLOBAL__N_18offset_tEEE10hipError_tPvRmT1_PNSt15iterator_traitsISL_E10value_typeET2_T3_PNSM_ISR_E10value_typeET4_jRbjT5_SX_jjP12ihipStream_tbEUlT_E0_NS1_11comp_targetILNS1_3genE8ELNS1_11target_archE1030ELNS1_3gpuE2ELNS1_3repE0EEENS1_60segmented_radix_sort_warp_sort_medium_config_static_selectorELNS0_4arch9wavefront6targetE1EEEvSL_,"axG",@progbits,_ZN7rocprim17ROCPRIM_400000_NS6detail17trampoline_kernelINS0_14default_configENS1_36segmented_radix_sort_config_selectorI6__halflEEZNS1_25segmented_radix_sort_implIS3_Lb0EPKS5_PS5_PKlPlN2at6native12_GLOBAL__N_18offset_tEEE10hipError_tPvRmT1_PNSt15iterator_traitsISL_E10value_typeET2_T3_PNSM_ISR_E10value_typeET4_jRbjT5_SX_jjP12ihipStream_tbEUlT_E0_NS1_11comp_targetILNS1_3genE8ELNS1_11target_archE1030ELNS1_3gpuE2ELNS1_3repE0EEENS1_60segmented_radix_sort_warp_sort_medium_config_static_selectorELNS0_4arch9wavefront6targetE1EEEvSL_,comdat
.Lfunc_end1859:
	.size	_ZN7rocprim17ROCPRIM_400000_NS6detail17trampoline_kernelINS0_14default_configENS1_36segmented_radix_sort_config_selectorI6__halflEEZNS1_25segmented_radix_sort_implIS3_Lb0EPKS5_PS5_PKlPlN2at6native12_GLOBAL__N_18offset_tEEE10hipError_tPvRmT1_PNSt15iterator_traitsISL_E10value_typeET2_T3_PNSM_ISR_E10value_typeET4_jRbjT5_SX_jjP12ihipStream_tbEUlT_E0_NS1_11comp_targetILNS1_3genE8ELNS1_11target_archE1030ELNS1_3gpuE2ELNS1_3repE0EEENS1_60segmented_radix_sort_warp_sort_medium_config_static_selectorELNS0_4arch9wavefront6targetE1EEEvSL_, .Lfunc_end1859-_ZN7rocprim17ROCPRIM_400000_NS6detail17trampoline_kernelINS0_14default_configENS1_36segmented_radix_sort_config_selectorI6__halflEEZNS1_25segmented_radix_sort_implIS3_Lb0EPKS5_PS5_PKlPlN2at6native12_GLOBAL__N_18offset_tEEE10hipError_tPvRmT1_PNSt15iterator_traitsISL_E10value_typeET2_T3_PNSM_ISR_E10value_typeET4_jRbjT5_SX_jjP12ihipStream_tbEUlT_E0_NS1_11comp_targetILNS1_3genE8ELNS1_11target_archE1030ELNS1_3gpuE2ELNS1_3repE0EEENS1_60segmented_radix_sort_warp_sort_medium_config_static_selectorELNS0_4arch9wavefront6targetE1EEEvSL_
                                        ; -- End function
	.section	.AMDGPU.csdata,"",@progbits
; Kernel info:
; codeLenInByte = 0
; NumSgprs: 4
; NumVgprs: 0
; NumAgprs: 0
; TotalNumVgprs: 0
; ScratchSize: 0
; MemoryBound: 0
; FloatMode: 240
; IeeeMode: 1
; LDSByteSize: 0 bytes/workgroup (compile time only)
; SGPRBlocks: 0
; VGPRBlocks: 0
; NumSGPRsForWavesPerEU: 4
; NumVGPRsForWavesPerEU: 1
; AccumOffset: 4
; Occupancy: 8
; WaveLimiterHint : 0
; COMPUTE_PGM_RSRC2:SCRATCH_EN: 0
; COMPUTE_PGM_RSRC2:USER_SGPR: 6
; COMPUTE_PGM_RSRC2:TRAP_HANDLER: 0
; COMPUTE_PGM_RSRC2:TGID_X_EN: 1
; COMPUTE_PGM_RSRC2:TGID_Y_EN: 0
; COMPUTE_PGM_RSRC2:TGID_Z_EN: 0
; COMPUTE_PGM_RSRC2:TIDIG_COMP_CNT: 0
; COMPUTE_PGM_RSRC3_GFX90A:ACCUM_OFFSET: 0
; COMPUTE_PGM_RSRC3_GFX90A:TG_SPLIT: 0
	.section	.text._ZN7rocprim17ROCPRIM_400000_NS6detail17trampoline_kernelINS0_14default_configENS1_36segmented_radix_sort_config_selectorI6__halflEEZNS1_25segmented_radix_sort_implIS3_Lb0EPKS5_PS5_PKlPlN2at6native12_GLOBAL__N_18offset_tEEE10hipError_tPvRmT1_PNSt15iterator_traitsISL_E10value_typeET2_T3_PNSM_ISR_E10value_typeET4_jRbjT5_SX_jjP12ihipStream_tbEUlT_E1_NS1_11comp_targetILNS1_3genE0ELNS1_11target_archE4294967295ELNS1_3gpuE0ELNS1_3repE0EEENS1_59segmented_radix_sort_warp_sort_small_config_static_selectorELNS0_4arch9wavefront6targetE1EEEvSL_,"axG",@progbits,_ZN7rocprim17ROCPRIM_400000_NS6detail17trampoline_kernelINS0_14default_configENS1_36segmented_radix_sort_config_selectorI6__halflEEZNS1_25segmented_radix_sort_implIS3_Lb0EPKS5_PS5_PKlPlN2at6native12_GLOBAL__N_18offset_tEEE10hipError_tPvRmT1_PNSt15iterator_traitsISL_E10value_typeET2_T3_PNSM_ISR_E10value_typeET4_jRbjT5_SX_jjP12ihipStream_tbEUlT_E1_NS1_11comp_targetILNS1_3genE0ELNS1_11target_archE4294967295ELNS1_3gpuE0ELNS1_3repE0EEENS1_59segmented_radix_sort_warp_sort_small_config_static_selectorELNS0_4arch9wavefront6targetE1EEEvSL_,comdat
	.globl	_ZN7rocprim17ROCPRIM_400000_NS6detail17trampoline_kernelINS0_14default_configENS1_36segmented_radix_sort_config_selectorI6__halflEEZNS1_25segmented_radix_sort_implIS3_Lb0EPKS5_PS5_PKlPlN2at6native12_GLOBAL__N_18offset_tEEE10hipError_tPvRmT1_PNSt15iterator_traitsISL_E10value_typeET2_T3_PNSM_ISR_E10value_typeET4_jRbjT5_SX_jjP12ihipStream_tbEUlT_E1_NS1_11comp_targetILNS1_3genE0ELNS1_11target_archE4294967295ELNS1_3gpuE0ELNS1_3repE0EEENS1_59segmented_radix_sort_warp_sort_small_config_static_selectorELNS0_4arch9wavefront6targetE1EEEvSL_ ; -- Begin function _ZN7rocprim17ROCPRIM_400000_NS6detail17trampoline_kernelINS0_14default_configENS1_36segmented_radix_sort_config_selectorI6__halflEEZNS1_25segmented_radix_sort_implIS3_Lb0EPKS5_PS5_PKlPlN2at6native12_GLOBAL__N_18offset_tEEE10hipError_tPvRmT1_PNSt15iterator_traitsISL_E10value_typeET2_T3_PNSM_ISR_E10value_typeET4_jRbjT5_SX_jjP12ihipStream_tbEUlT_E1_NS1_11comp_targetILNS1_3genE0ELNS1_11target_archE4294967295ELNS1_3gpuE0ELNS1_3repE0EEENS1_59segmented_radix_sort_warp_sort_small_config_static_selectorELNS0_4arch9wavefront6targetE1EEEvSL_
	.p2align	8
	.type	_ZN7rocprim17ROCPRIM_400000_NS6detail17trampoline_kernelINS0_14default_configENS1_36segmented_radix_sort_config_selectorI6__halflEEZNS1_25segmented_radix_sort_implIS3_Lb0EPKS5_PS5_PKlPlN2at6native12_GLOBAL__N_18offset_tEEE10hipError_tPvRmT1_PNSt15iterator_traitsISL_E10value_typeET2_T3_PNSM_ISR_E10value_typeET4_jRbjT5_SX_jjP12ihipStream_tbEUlT_E1_NS1_11comp_targetILNS1_3genE0ELNS1_11target_archE4294967295ELNS1_3gpuE0ELNS1_3repE0EEENS1_59segmented_radix_sort_warp_sort_small_config_static_selectorELNS0_4arch9wavefront6targetE1EEEvSL_,@function
_ZN7rocprim17ROCPRIM_400000_NS6detail17trampoline_kernelINS0_14default_configENS1_36segmented_radix_sort_config_selectorI6__halflEEZNS1_25segmented_radix_sort_implIS3_Lb0EPKS5_PS5_PKlPlN2at6native12_GLOBAL__N_18offset_tEEE10hipError_tPvRmT1_PNSt15iterator_traitsISL_E10value_typeET2_T3_PNSM_ISR_E10value_typeET4_jRbjT5_SX_jjP12ihipStream_tbEUlT_E1_NS1_11comp_targetILNS1_3genE0ELNS1_11target_archE4294967295ELNS1_3gpuE0ELNS1_3repE0EEENS1_59segmented_radix_sort_warp_sort_small_config_static_selectorELNS0_4arch9wavefront6targetE1EEEvSL_: ; @_ZN7rocprim17ROCPRIM_400000_NS6detail17trampoline_kernelINS0_14default_configENS1_36segmented_radix_sort_config_selectorI6__halflEEZNS1_25segmented_radix_sort_implIS3_Lb0EPKS5_PS5_PKlPlN2at6native12_GLOBAL__N_18offset_tEEE10hipError_tPvRmT1_PNSt15iterator_traitsISL_E10value_typeET2_T3_PNSM_ISR_E10value_typeET4_jRbjT5_SX_jjP12ihipStream_tbEUlT_E1_NS1_11comp_targetILNS1_3genE0ELNS1_11target_archE4294967295ELNS1_3gpuE0ELNS1_3repE0EEENS1_59segmented_radix_sort_warp_sort_small_config_static_selectorELNS0_4arch9wavefront6targetE1EEEvSL_
; %bb.0:
	.section	.rodata,"a",@progbits
	.p2align	6, 0x0
	.amdhsa_kernel _ZN7rocprim17ROCPRIM_400000_NS6detail17trampoline_kernelINS0_14default_configENS1_36segmented_radix_sort_config_selectorI6__halflEEZNS1_25segmented_radix_sort_implIS3_Lb0EPKS5_PS5_PKlPlN2at6native12_GLOBAL__N_18offset_tEEE10hipError_tPvRmT1_PNSt15iterator_traitsISL_E10value_typeET2_T3_PNSM_ISR_E10value_typeET4_jRbjT5_SX_jjP12ihipStream_tbEUlT_E1_NS1_11comp_targetILNS1_3genE0ELNS1_11target_archE4294967295ELNS1_3gpuE0ELNS1_3repE0EEENS1_59segmented_radix_sort_warp_sort_small_config_static_selectorELNS0_4arch9wavefront6targetE1EEEvSL_
		.amdhsa_group_segment_fixed_size 0
		.amdhsa_private_segment_fixed_size 0
		.amdhsa_kernarg_size 88
		.amdhsa_user_sgpr_count 6
		.amdhsa_user_sgpr_private_segment_buffer 1
		.amdhsa_user_sgpr_dispatch_ptr 0
		.amdhsa_user_sgpr_queue_ptr 0
		.amdhsa_user_sgpr_kernarg_segment_ptr 1
		.amdhsa_user_sgpr_dispatch_id 0
		.amdhsa_user_sgpr_flat_scratch_init 0
		.amdhsa_user_sgpr_kernarg_preload_length 0
		.amdhsa_user_sgpr_kernarg_preload_offset 0
		.amdhsa_user_sgpr_private_segment_size 0
		.amdhsa_uses_dynamic_stack 0
		.amdhsa_system_sgpr_private_segment_wavefront_offset 0
		.amdhsa_system_sgpr_workgroup_id_x 1
		.amdhsa_system_sgpr_workgroup_id_y 0
		.amdhsa_system_sgpr_workgroup_id_z 0
		.amdhsa_system_sgpr_workgroup_info 0
		.amdhsa_system_vgpr_workitem_id 0
		.amdhsa_next_free_vgpr 1
		.amdhsa_next_free_sgpr 0
		.amdhsa_accum_offset 4
		.amdhsa_reserve_vcc 0
		.amdhsa_reserve_flat_scratch 0
		.amdhsa_float_round_mode_32 0
		.amdhsa_float_round_mode_16_64 0
		.amdhsa_float_denorm_mode_32 3
		.amdhsa_float_denorm_mode_16_64 3
		.amdhsa_dx10_clamp 1
		.amdhsa_ieee_mode 1
		.amdhsa_fp16_overflow 0
		.amdhsa_tg_split 0
		.amdhsa_exception_fp_ieee_invalid_op 0
		.amdhsa_exception_fp_denorm_src 0
		.amdhsa_exception_fp_ieee_div_zero 0
		.amdhsa_exception_fp_ieee_overflow 0
		.amdhsa_exception_fp_ieee_underflow 0
		.amdhsa_exception_fp_ieee_inexact 0
		.amdhsa_exception_int_div_zero 0
	.end_amdhsa_kernel
	.section	.text._ZN7rocprim17ROCPRIM_400000_NS6detail17trampoline_kernelINS0_14default_configENS1_36segmented_radix_sort_config_selectorI6__halflEEZNS1_25segmented_radix_sort_implIS3_Lb0EPKS5_PS5_PKlPlN2at6native12_GLOBAL__N_18offset_tEEE10hipError_tPvRmT1_PNSt15iterator_traitsISL_E10value_typeET2_T3_PNSM_ISR_E10value_typeET4_jRbjT5_SX_jjP12ihipStream_tbEUlT_E1_NS1_11comp_targetILNS1_3genE0ELNS1_11target_archE4294967295ELNS1_3gpuE0ELNS1_3repE0EEENS1_59segmented_radix_sort_warp_sort_small_config_static_selectorELNS0_4arch9wavefront6targetE1EEEvSL_,"axG",@progbits,_ZN7rocprim17ROCPRIM_400000_NS6detail17trampoline_kernelINS0_14default_configENS1_36segmented_radix_sort_config_selectorI6__halflEEZNS1_25segmented_radix_sort_implIS3_Lb0EPKS5_PS5_PKlPlN2at6native12_GLOBAL__N_18offset_tEEE10hipError_tPvRmT1_PNSt15iterator_traitsISL_E10value_typeET2_T3_PNSM_ISR_E10value_typeET4_jRbjT5_SX_jjP12ihipStream_tbEUlT_E1_NS1_11comp_targetILNS1_3genE0ELNS1_11target_archE4294967295ELNS1_3gpuE0ELNS1_3repE0EEENS1_59segmented_radix_sort_warp_sort_small_config_static_selectorELNS0_4arch9wavefront6targetE1EEEvSL_,comdat
.Lfunc_end1860:
	.size	_ZN7rocprim17ROCPRIM_400000_NS6detail17trampoline_kernelINS0_14default_configENS1_36segmented_radix_sort_config_selectorI6__halflEEZNS1_25segmented_radix_sort_implIS3_Lb0EPKS5_PS5_PKlPlN2at6native12_GLOBAL__N_18offset_tEEE10hipError_tPvRmT1_PNSt15iterator_traitsISL_E10value_typeET2_T3_PNSM_ISR_E10value_typeET4_jRbjT5_SX_jjP12ihipStream_tbEUlT_E1_NS1_11comp_targetILNS1_3genE0ELNS1_11target_archE4294967295ELNS1_3gpuE0ELNS1_3repE0EEENS1_59segmented_radix_sort_warp_sort_small_config_static_selectorELNS0_4arch9wavefront6targetE1EEEvSL_, .Lfunc_end1860-_ZN7rocprim17ROCPRIM_400000_NS6detail17trampoline_kernelINS0_14default_configENS1_36segmented_radix_sort_config_selectorI6__halflEEZNS1_25segmented_radix_sort_implIS3_Lb0EPKS5_PS5_PKlPlN2at6native12_GLOBAL__N_18offset_tEEE10hipError_tPvRmT1_PNSt15iterator_traitsISL_E10value_typeET2_T3_PNSM_ISR_E10value_typeET4_jRbjT5_SX_jjP12ihipStream_tbEUlT_E1_NS1_11comp_targetILNS1_3genE0ELNS1_11target_archE4294967295ELNS1_3gpuE0ELNS1_3repE0EEENS1_59segmented_radix_sort_warp_sort_small_config_static_selectorELNS0_4arch9wavefront6targetE1EEEvSL_
                                        ; -- End function
	.section	.AMDGPU.csdata,"",@progbits
; Kernel info:
; codeLenInByte = 0
; NumSgprs: 4
; NumVgprs: 0
; NumAgprs: 0
; TotalNumVgprs: 0
; ScratchSize: 0
; MemoryBound: 0
; FloatMode: 240
; IeeeMode: 1
; LDSByteSize: 0 bytes/workgroup (compile time only)
; SGPRBlocks: 0
; VGPRBlocks: 0
; NumSGPRsForWavesPerEU: 4
; NumVGPRsForWavesPerEU: 1
; AccumOffset: 4
; Occupancy: 8
; WaveLimiterHint : 0
; COMPUTE_PGM_RSRC2:SCRATCH_EN: 0
; COMPUTE_PGM_RSRC2:USER_SGPR: 6
; COMPUTE_PGM_RSRC2:TRAP_HANDLER: 0
; COMPUTE_PGM_RSRC2:TGID_X_EN: 1
; COMPUTE_PGM_RSRC2:TGID_Y_EN: 0
; COMPUTE_PGM_RSRC2:TGID_Z_EN: 0
; COMPUTE_PGM_RSRC2:TIDIG_COMP_CNT: 0
; COMPUTE_PGM_RSRC3_GFX90A:ACCUM_OFFSET: 0
; COMPUTE_PGM_RSRC3_GFX90A:TG_SPLIT: 0
	.section	.text._ZN7rocprim17ROCPRIM_400000_NS6detail17trampoline_kernelINS0_14default_configENS1_36segmented_radix_sort_config_selectorI6__halflEEZNS1_25segmented_radix_sort_implIS3_Lb0EPKS5_PS5_PKlPlN2at6native12_GLOBAL__N_18offset_tEEE10hipError_tPvRmT1_PNSt15iterator_traitsISL_E10value_typeET2_T3_PNSM_ISR_E10value_typeET4_jRbjT5_SX_jjP12ihipStream_tbEUlT_E1_NS1_11comp_targetILNS1_3genE5ELNS1_11target_archE942ELNS1_3gpuE9ELNS1_3repE0EEENS1_59segmented_radix_sort_warp_sort_small_config_static_selectorELNS0_4arch9wavefront6targetE1EEEvSL_,"axG",@progbits,_ZN7rocprim17ROCPRIM_400000_NS6detail17trampoline_kernelINS0_14default_configENS1_36segmented_radix_sort_config_selectorI6__halflEEZNS1_25segmented_radix_sort_implIS3_Lb0EPKS5_PS5_PKlPlN2at6native12_GLOBAL__N_18offset_tEEE10hipError_tPvRmT1_PNSt15iterator_traitsISL_E10value_typeET2_T3_PNSM_ISR_E10value_typeET4_jRbjT5_SX_jjP12ihipStream_tbEUlT_E1_NS1_11comp_targetILNS1_3genE5ELNS1_11target_archE942ELNS1_3gpuE9ELNS1_3repE0EEENS1_59segmented_radix_sort_warp_sort_small_config_static_selectorELNS0_4arch9wavefront6targetE1EEEvSL_,comdat
	.globl	_ZN7rocprim17ROCPRIM_400000_NS6detail17trampoline_kernelINS0_14default_configENS1_36segmented_radix_sort_config_selectorI6__halflEEZNS1_25segmented_radix_sort_implIS3_Lb0EPKS5_PS5_PKlPlN2at6native12_GLOBAL__N_18offset_tEEE10hipError_tPvRmT1_PNSt15iterator_traitsISL_E10value_typeET2_T3_PNSM_ISR_E10value_typeET4_jRbjT5_SX_jjP12ihipStream_tbEUlT_E1_NS1_11comp_targetILNS1_3genE5ELNS1_11target_archE942ELNS1_3gpuE9ELNS1_3repE0EEENS1_59segmented_radix_sort_warp_sort_small_config_static_selectorELNS0_4arch9wavefront6targetE1EEEvSL_ ; -- Begin function _ZN7rocprim17ROCPRIM_400000_NS6detail17trampoline_kernelINS0_14default_configENS1_36segmented_radix_sort_config_selectorI6__halflEEZNS1_25segmented_radix_sort_implIS3_Lb0EPKS5_PS5_PKlPlN2at6native12_GLOBAL__N_18offset_tEEE10hipError_tPvRmT1_PNSt15iterator_traitsISL_E10value_typeET2_T3_PNSM_ISR_E10value_typeET4_jRbjT5_SX_jjP12ihipStream_tbEUlT_E1_NS1_11comp_targetILNS1_3genE5ELNS1_11target_archE942ELNS1_3gpuE9ELNS1_3repE0EEENS1_59segmented_radix_sort_warp_sort_small_config_static_selectorELNS0_4arch9wavefront6targetE1EEEvSL_
	.p2align	8
	.type	_ZN7rocprim17ROCPRIM_400000_NS6detail17trampoline_kernelINS0_14default_configENS1_36segmented_radix_sort_config_selectorI6__halflEEZNS1_25segmented_radix_sort_implIS3_Lb0EPKS5_PS5_PKlPlN2at6native12_GLOBAL__N_18offset_tEEE10hipError_tPvRmT1_PNSt15iterator_traitsISL_E10value_typeET2_T3_PNSM_ISR_E10value_typeET4_jRbjT5_SX_jjP12ihipStream_tbEUlT_E1_NS1_11comp_targetILNS1_3genE5ELNS1_11target_archE942ELNS1_3gpuE9ELNS1_3repE0EEENS1_59segmented_radix_sort_warp_sort_small_config_static_selectorELNS0_4arch9wavefront6targetE1EEEvSL_,@function
_ZN7rocprim17ROCPRIM_400000_NS6detail17trampoline_kernelINS0_14default_configENS1_36segmented_radix_sort_config_selectorI6__halflEEZNS1_25segmented_radix_sort_implIS3_Lb0EPKS5_PS5_PKlPlN2at6native12_GLOBAL__N_18offset_tEEE10hipError_tPvRmT1_PNSt15iterator_traitsISL_E10value_typeET2_T3_PNSM_ISR_E10value_typeET4_jRbjT5_SX_jjP12ihipStream_tbEUlT_E1_NS1_11comp_targetILNS1_3genE5ELNS1_11target_archE942ELNS1_3gpuE9ELNS1_3repE0EEENS1_59segmented_radix_sort_warp_sort_small_config_static_selectorELNS0_4arch9wavefront6targetE1EEEvSL_: ; @_ZN7rocprim17ROCPRIM_400000_NS6detail17trampoline_kernelINS0_14default_configENS1_36segmented_radix_sort_config_selectorI6__halflEEZNS1_25segmented_radix_sort_implIS3_Lb0EPKS5_PS5_PKlPlN2at6native12_GLOBAL__N_18offset_tEEE10hipError_tPvRmT1_PNSt15iterator_traitsISL_E10value_typeET2_T3_PNSM_ISR_E10value_typeET4_jRbjT5_SX_jjP12ihipStream_tbEUlT_E1_NS1_11comp_targetILNS1_3genE5ELNS1_11target_archE942ELNS1_3gpuE9ELNS1_3repE0EEENS1_59segmented_radix_sort_warp_sort_small_config_static_selectorELNS0_4arch9wavefront6targetE1EEEvSL_
; %bb.0:
	.section	.rodata,"a",@progbits
	.p2align	6, 0x0
	.amdhsa_kernel _ZN7rocprim17ROCPRIM_400000_NS6detail17trampoline_kernelINS0_14default_configENS1_36segmented_radix_sort_config_selectorI6__halflEEZNS1_25segmented_radix_sort_implIS3_Lb0EPKS5_PS5_PKlPlN2at6native12_GLOBAL__N_18offset_tEEE10hipError_tPvRmT1_PNSt15iterator_traitsISL_E10value_typeET2_T3_PNSM_ISR_E10value_typeET4_jRbjT5_SX_jjP12ihipStream_tbEUlT_E1_NS1_11comp_targetILNS1_3genE5ELNS1_11target_archE942ELNS1_3gpuE9ELNS1_3repE0EEENS1_59segmented_radix_sort_warp_sort_small_config_static_selectorELNS0_4arch9wavefront6targetE1EEEvSL_
		.amdhsa_group_segment_fixed_size 0
		.amdhsa_private_segment_fixed_size 0
		.amdhsa_kernarg_size 88
		.amdhsa_user_sgpr_count 6
		.amdhsa_user_sgpr_private_segment_buffer 1
		.amdhsa_user_sgpr_dispatch_ptr 0
		.amdhsa_user_sgpr_queue_ptr 0
		.amdhsa_user_sgpr_kernarg_segment_ptr 1
		.amdhsa_user_sgpr_dispatch_id 0
		.amdhsa_user_sgpr_flat_scratch_init 0
		.amdhsa_user_sgpr_kernarg_preload_length 0
		.amdhsa_user_sgpr_kernarg_preload_offset 0
		.amdhsa_user_sgpr_private_segment_size 0
		.amdhsa_uses_dynamic_stack 0
		.amdhsa_system_sgpr_private_segment_wavefront_offset 0
		.amdhsa_system_sgpr_workgroup_id_x 1
		.amdhsa_system_sgpr_workgroup_id_y 0
		.amdhsa_system_sgpr_workgroup_id_z 0
		.amdhsa_system_sgpr_workgroup_info 0
		.amdhsa_system_vgpr_workitem_id 0
		.amdhsa_next_free_vgpr 1
		.amdhsa_next_free_sgpr 0
		.amdhsa_accum_offset 4
		.amdhsa_reserve_vcc 0
		.amdhsa_reserve_flat_scratch 0
		.amdhsa_float_round_mode_32 0
		.amdhsa_float_round_mode_16_64 0
		.amdhsa_float_denorm_mode_32 3
		.amdhsa_float_denorm_mode_16_64 3
		.amdhsa_dx10_clamp 1
		.amdhsa_ieee_mode 1
		.amdhsa_fp16_overflow 0
		.amdhsa_tg_split 0
		.amdhsa_exception_fp_ieee_invalid_op 0
		.amdhsa_exception_fp_denorm_src 0
		.amdhsa_exception_fp_ieee_div_zero 0
		.amdhsa_exception_fp_ieee_overflow 0
		.amdhsa_exception_fp_ieee_underflow 0
		.amdhsa_exception_fp_ieee_inexact 0
		.amdhsa_exception_int_div_zero 0
	.end_amdhsa_kernel
	.section	.text._ZN7rocprim17ROCPRIM_400000_NS6detail17trampoline_kernelINS0_14default_configENS1_36segmented_radix_sort_config_selectorI6__halflEEZNS1_25segmented_radix_sort_implIS3_Lb0EPKS5_PS5_PKlPlN2at6native12_GLOBAL__N_18offset_tEEE10hipError_tPvRmT1_PNSt15iterator_traitsISL_E10value_typeET2_T3_PNSM_ISR_E10value_typeET4_jRbjT5_SX_jjP12ihipStream_tbEUlT_E1_NS1_11comp_targetILNS1_3genE5ELNS1_11target_archE942ELNS1_3gpuE9ELNS1_3repE0EEENS1_59segmented_radix_sort_warp_sort_small_config_static_selectorELNS0_4arch9wavefront6targetE1EEEvSL_,"axG",@progbits,_ZN7rocprim17ROCPRIM_400000_NS6detail17trampoline_kernelINS0_14default_configENS1_36segmented_radix_sort_config_selectorI6__halflEEZNS1_25segmented_radix_sort_implIS3_Lb0EPKS5_PS5_PKlPlN2at6native12_GLOBAL__N_18offset_tEEE10hipError_tPvRmT1_PNSt15iterator_traitsISL_E10value_typeET2_T3_PNSM_ISR_E10value_typeET4_jRbjT5_SX_jjP12ihipStream_tbEUlT_E1_NS1_11comp_targetILNS1_3genE5ELNS1_11target_archE942ELNS1_3gpuE9ELNS1_3repE0EEENS1_59segmented_radix_sort_warp_sort_small_config_static_selectorELNS0_4arch9wavefront6targetE1EEEvSL_,comdat
.Lfunc_end1861:
	.size	_ZN7rocprim17ROCPRIM_400000_NS6detail17trampoline_kernelINS0_14default_configENS1_36segmented_radix_sort_config_selectorI6__halflEEZNS1_25segmented_radix_sort_implIS3_Lb0EPKS5_PS5_PKlPlN2at6native12_GLOBAL__N_18offset_tEEE10hipError_tPvRmT1_PNSt15iterator_traitsISL_E10value_typeET2_T3_PNSM_ISR_E10value_typeET4_jRbjT5_SX_jjP12ihipStream_tbEUlT_E1_NS1_11comp_targetILNS1_3genE5ELNS1_11target_archE942ELNS1_3gpuE9ELNS1_3repE0EEENS1_59segmented_radix_sort_warp_sort_small_config_static_selectorELNS0_4arch9wavefront6targetE1EEEvSL_, .Lfunc_end1861-_ZN7rocprim17ROCPRIM_400000_NS6detail17trampoline_kernelINS0_14default_configENS1_36segmented_radix_sort_config_selectorI6__halflEEZNS1_25segmented_radix_sort_implIS3_Lb0EPKS5_PS5_PKlPlN2at6native12_GLOBAL__N_18offset_tEEE10hipError_tPvRmT1_PNSt15iterator_traitsISL_E10value_typeET2_T3_PNSM_ISR_E10value_typeET4_jRbjT5_SX_jjP12ihipStream_tbEUlT_E1_NS1_11comp_targetILNS1_3genE5ELNS1_11target_archE942ELNS1_3gpuE9ELNS1_3repE0EEENS1_59segmented_radix_sort_warp_sort_small_config_static_selectorELNS0_4arch9wavefront6targetE1EEEvSL_
                                        ; -- End function
	.section	.AMDGPU.csdata,"",@progbits
; Kernel info:
; codeLenInByte = 0
; NumSgprs: 4
; NumVgprs: 0
; NumAgprs: 0
; TotalNumVgprs: 0
; ScratchSize: 0
; MemoryBound: 0
; FloatMode: 240
; IeeeMode: 1
; LDSByteSize: 0 bytes/workgroup (compile time only)
; SGPRBlocks: 0
; VGPRBlocks: 0
; NumSGPRsForWavesPerEU: 4
; NumVGPRsForWavesPerEU: 1
; AccumOffset: 4
; Occupancy: 8
; WaveLimiterHint : 0
; COMPUTE_PGM_RSRC2:SCRATCH_EN: 0
; COMPUTE_PGM_RSRC2:USER_SGPR: 6
; COMPUTE_PGM_RSRC2:TRAP_HANDLER: 0
; COMPUTE_PGM_RSRC2:TGID_X_EN: 1
; COMPUTE_PGM_RSRC2:TGID_Y_EN: 0
; COMPUTE_PGM_RSRC2:TGID_Z_EN: 0
; COMPUTE_PGM_RSRC2:TIDIG_COMP_CNT: 0
; COMPUTE_PGM_RSRC3_GFX90A:ACCUM_OFFSET: 0
; COMPUTE_PGM_RSRC3_GFX90A:TG_SPLIT: 0
	.text
	.p2align	2                               ; -- Begin function _ZN7rocprim17ROCPRIM_400000_NS6detail26segmented_warp_sort_helperINS1_20WarpSortHelperConfigILj8ELj4ELj256EEE6__halflLi256ELb0EvE4sortIPKS5_PS5_PKlPlEEvT_SA_T0_T1_SD_T2_bjjjjRNS6_12storage_typeE
	.type	_ZN7rocprim17ROCPRIM_400000_NS6detail26segmented_warp_sort_helperINS1_20WarpSortHelperConfigILj8ELj4ELj256EEE6__halflLi256ELb0EvE4sortIPKS5_PS5_PKlPlEEvT_SA_T0_T1_SD_T2_bjjjjRNS6_12storage_typeE,@function
_ZN7rocprim17ROCPRIM_400000_NS6detail26segmented_warp_sort_helperINS1_20WarpSortHelperConfigILj8ELj4ELj256EEE6__halflLi256ELb0EvE4sortIPKS5_PS5_PKlPlEEvT_SA_T0_T1_SD_T2_bjjjjRNS6_12storage_typeE: ; @_ZN7rocprim17ROCPRIM_400000_NS6detail26segmented_warp_sort_helperINS1_20WarpSortHelperConfigILj8ELj4ELj256EEE6__halflLi256ELb0EvE4sortIPKS5_PS5_PKlPlEEvT_SA_T0_T1_SD_T2_bjjjjRNS6_12storage_typeE
; %bb.0:
	s_waitcnt vmcnt(0) expcnt(0) lgkmcnt(0)
	s_or_saveexec_b64 s[4:5], -1
	buffer_store_dword v40, off, s[0:3], s32 ; 4-byte Folded Spill
	s_mov_b64 exec, s[4:5]
	v_writelane_b32 v40, s30, 0
	v_writelane_b32 v40, s31, 1
	v_mbcnt_lo_u32_b32 v17, -1, 0
	v_mov_b32_e32 v34, v13
	v_and_b32_e32 v12, 1, v12
	v_mov_b32_e32 v35, 0
	v_mbcnt_hi_u32_b32 v17, -1, v17
	v_cmp_eq_u32_e32 vcc, 1, v12
	v_lshlrev_b64 v[12:13], 1, v[34:35]
	v_lshlrev_b32_e32 v38, 2, v17
	s_xor_b64 s[4:5], vcc, -1
	v_add_co_u32_e32 v0, vcc, v0, v12
	v_and_b32_e32 v36, 28, v38
	v_addc_co_u32_e32 v1, vcc, v1, v13, vcc
	v_lshlrev_b32_e32 v37, 1, v36
	v_add_co_u32_e32 v0, vcc, v0, v37
	v_sub_u32_e32 v14, v14, v34
	v_addc_co_u32_e32 v1, vcc, 0, v1, vcc
	v_cmp_lt_u32_e32 vcc, v36, v14
	s_mov_b64 s[16:17], 0
                                        ; implicit-def: $vgpr18_vgpr19_vgpr20_vgpr21_vgpr22_vgpr23_vgpr24_vgpr25
	s_and_saveexec_b64 s[6:7], s[4:5]
	s_xor_b64 s[18:19], exec, s[6:7]
	s_cbranch_execnz .LBB1862_5
; %bb.1:
	s_andn2_saveexec_b64 s[18:19], s[18:19]
	s_cbranch_execnz .LBB1862_110
.LBB1862_2:
	s_or_b64 exec, exec, s[18:19]
	s_and_saveexec_b64 s[4:5], s[16:17]
	s_cbranch_execz .LBB1862_4
.LBB1862_3:
	v_lshlrev_b64 v[0:1], 3, v[34:35]
	v_add_co_u32_e32 v0, vcc, v8, v0
	v_addc_co_u32_e32 v1, vcc, v9, v1, vcc
	v_lshlrev_b32_e32 v2, 3, v36
	v_add_co_u32_e32 v0, vcc, v0, v2
	v_addc_co_u32_e32 v1, vcc, 0, v1, vcc
	s_waitcnt vmcnt(0)
	flat_store_dwordx2 v[0:1], v[24:25] offset:24
.LBB1862_4:
	s_or_b64 exec, exec, s[4:5]
	v_readlane_b32 s30, v40, 0
	v_readlane_b32 s31, v40, 1
	s_or_saveexec_b64 s[4:5], -1
	buffer_load_dword v40, off, s[0:3], s32 ; 4-byte Folded Reload
	s_mov_b64 exec, s[4:5]
	s_waitcnt vmcnt(0) lgkmcnt(0)
	s_setpc_b64 s[30:31]
.LBB1862_5:
	v_mov_b32_e32 v49, 0x7fff
	v_mov_b32_e32 v50, 0x7fff
	s_and_saveexec_b64 s[4:5], vcc
	s_cbranch_execz .LBB1862_7
; %bb.6:
	flat_load_ushort v50, v[0:1]
.LBB1862_7:
	s_or_b64 exec, exec, s[4:5]
	v_or_b32_e32 v4, 1, v36
	v_cmp_lt_u32_e64 s[4:5], v4, v14
	s_and_saveexec_b64 s[6:7], s[4:5]
	s_cbranch_execz .LBB1862_9
; %bb.8:
	flat_load_ushort v49, v[0:1] offset:2
.LBB1862_9:
	s_or_b64 exec, exec, s[6:7]
	v_or_b32_e32 v4, 2, v36
	v_cmp_lt_u32_e64 s[6:7], v4, v14
	v_mov_b32_e32 v48, 0x7fff
	v_mov_b32_e32 v51, 0x7fff
	s_and_saveexec_b64 s[10:11], s[6:7]
	s_cbranch_execz .LBB1862_11
; %bb.10:
	flat_load_ushort v51, v[0:1] offset:4
.LBB1862_11:
	s_or_b64 exec, exec, s[10:11]
	v_or_b32_e32 v4, 3, v36
	v_cmp_lt_u32_e64 s[10:11], v4, v14
	s_and_saveexec_b64 s[14:15], s[10:11]
	s_cbranch_execz .LBB1862_13
; %bb.12:
	flat_load_ushort v48, v[0:1] offset:6
.LBB1862_13:
	s_or_b64 exec, exec, s[14:15]
	v_lshlrev_b64 v[0:1], 3, v[34:35]
	v_add_co_u32_e64 v4, s[14:15], v6, v0
	v_addc_co_u32_e64 v5, s[14:15], v7, v1, s[14:15]
	v_lshlrev_b32_e32 v39, 3, v36
	v_add_co_u32_e64 v4, s[14:15], v4, v39
	v_addc_co_u32_e64 v5, s[14:15], 0, v5, s[14:15]
	; wave barrier
                                        ; implicit-def: $vgpr18_vgpr19_vgpr20_vgpr21_vgpr22_vgpr23_vgpr24_vgpr25
	s_and_saveexec_b64 s[14:15], vcc
	s_cbranch_execnz .LBB1862_215
; %bb.14:
	s_or_b64 exec, exec, s[14:15]
	s_and_saveexec_b64 s[14:15], s[4:5]
	s_cbranch_execnz .LBB1862_216
.LBB1862_15:
	s_or_b64 exec, exec, s[14:15]
	s_and_saveexec_b64 s[14:15], s[6:7]
	s_cbranch_execnz .LBB1862_217
.LBB1862_16:
	s_or_b64 exec, exec, s[14:15]
	s_and_saveexec_b64 s[14:15], s[10:11]
	s_cbranch_execz .LBB1862_18
.LBB1862_17:
	flat_load_dwordx2 v[24:25], v[4:5] offset:24
.LBB1862_18:
	s_or_b64 exec, exec, s[14:15]
	; wave barrier
	s_load_dwordx2 s[14:15], s[8:9], 0x0
	v_mov_b32_e32 v4, 0
	v_bfe_u32 v7, v31, 20, 10
	v_and_b32_e32 v10, 0x3ff, v31
	s_waitcnt lgkmcnt(0)
	s_cmp_lt_u32 s12, s14
	s_cselect_b32 s16, 12, 18
	s_cmp_lt_u32 s13, s15
	s_cselect_b32 s14, 14, 20
	s_add_u32 s14, s8, s14
	s_addc_u32 s15, s9, 0
	s_add_u32 s16, s8, s16
	s_addc_u32 s17, s9, 0
	global_load_ushort v5, v4, s[14:15]
	global_load_ushort v6, v4, s[16:17]
	v_bfe_u32 v4, v31, 10, 10
	s_movk_i32 s14, 0x400
	s_waitcnt vmcnt(0)
	v_mad_u32_u24 v4, v7, v5, v4
	v_mul_lo_u32 v4, v4, v6
	v_add_lshl_u32 v4, v4, v10, 2
	v_cmp_gt_u32_e64 s[14:15], s14, v4
	s_and_saveexec_b64 s[20:21], s[14:15]
	s_cbranch_execz .LBB1862_28
; %bb.19:
	v_add_f16_e32 v5, 0, v50
	v_add_f16_e32 v7, 0, v49
	v_mov_b32_e32 v6, 0xffff8000
	v_cmp_lt_i16_e64 s[14:15], -1, v5
	v_cndmask_b32_e64 v10, -1, v6, s[14:15]
	v_cmp_lt_i16_e64 s[14:15], -1, v7
	v_xor_b32_e32 v5, v10, v5
	v_cndmask_b32_e64 v10, -1, v6, s[14:15]
	v_xor_b32_e32 v7, v10, v7
	v_cmp_gt_u16_e64 s[14:15], v5, v7
	v_add_f16_e32 v7, 0, v51
	v_add_f16_e32 v11, 0, v48
	v_cmp_lt_i16_e64 s[16:17], -1, v7
	v_cndmask_b32_e64 v5, -1, v6, s[16:17]
	v_cmp_lt_i16_e64 s[16:17], -1, v11
	v_xor_b32_e32 v10, v5, v7
	v_cndmask_b32_e64 v5, -1, v6, s[16:17]
	v_xor_b32_e32 v14, v5, v11
	v_cndmask_b32_e64 v29, v21, v19, s[14:15]
	v_cndmask_b32_e64 v28, v20, v18, s[14:15]
	;; [unrolled: 1-line block ×4, first 2 shown]
	v_cmp_gt_u16_e64 s[16:17], v10, v14
	v_mov_b32_e32 v5, v51
	v_pk_mov_b32 v[30:31], v[22:23], v[22:23] op_sel:[0,1]
	v_pk_mov_b32 v[32:33], v[24:25], v[24:25] op_sel:[0,1]
	s_and_saveexec_b64 s[22:23], s[16:17]
; %bb.20:
	v_mov_b32_e32 v7, v11
	v_mov_b32_e32 v10, v14
	;; [unrolled: 1-line block ×4, first 2 shown]
	v_pk_mov_b32 v[30:31], v[24:25], v[24:25] op_sel:[0,1]
	v_pk_mov_b32 v[32:33], v[22:23], v[22:23] op_sel:[0,1]
; %bb.21:
	s_or_b64 exec, exec, s[22:23]
	v_cndmask_b32_e64 v11, v49, v50, s[14:15]
	v_add_f16_e32 v14, 0, v11
	v_cmp_lt_i16_e64 s[16:17], -1, v14
	v_cndmask_b32_e64 v6, -1, v6, s[16:17]
	v_xor_b32_e32 v6, v6, v14
	v_cmp_gt_u16_e64 s[16:17], v6, v10
	v_mov_b32_e32 v17, v7
	v_mov_b32_e32 v6, v11
	s_and_saveexec_b64 s[22:23], s[16:17]
	s_xor_b64 s[16:17], exec, s[22:23]
	s_cbranch_execz .LBB1862_23
; %bb.22:
	v_pk_mov_b32 v[18:19], v[26:27], v[26:27] op_sel:[0,1]
	v_pk_mov_b32 v[24:25], v[32:33], v[32:33] op_sel:[0,1]
	;; [unrolled: 1-line block ×4, first 2 shown]
	v_mov_b32_e32 v24, v32
	v_mov_b32_e32 v25, v33
	;; [unrolled: 1-line block ×6, first 2 shown]
	v_pk_mov_b32 v[32:33], v[24:25], v[24:25] op_sel:[0,1]
	v_pk_mov_b32 v[30:31], v[22:23], v[22:23] op_sel:[0,1]
	;; [unrolled: 1-line block ×4, first 2 shown]
	v_mov_b32_e32 v17, v14
	v_mov_b32_e32 v6, v5
	;; [unrolled: 1-line block ×4, first 2 shown]
.LBB1862_23:
	s_or_b64 exec, exec, s[16:17]
	v_cndmask_b32_e64 v7, v50, v49, s[14:15]
	v_add_f16_e32 v11, 0, v7
	v_mov_b32_e32 v10, 0xffff8000
	v_cmp_lt_i16_e64 s[14:15], -1, v11
	v_cndmask_b32_e64 v18, -1, v10, s[14:15]
	v_cmp_lt_i16_e64 s[14:15], -1, v14
	v_xor_b32_e32 v11, v18, v11
	v_cndmask_b32_e64 v18, -1, v10, s[14:15]
	v_xor_b32_e32 v14, v18, v14
	v_cmp_gt_u16_e64 s[14:15], v11, v14
	v_add_f16_e32 v11, 0, v48
	v_cmp_lt_i16_e64 s[16:17], -1, v17
	v_cndmask_b32_e64 v14, -1, v10, s[16:17]
	v_cmp_lt_i16_e64 s[16:17], -1, v11
	v_xor_b32_e32 v14, v14, v17
	v_cndmask_b32_e64 v17, -1, v10, s[16:17]
	v_xor_b32_e32 v17, v17, v11
	v_cndmask_b32_e64 v21, v29, v27, s[14:15]
	v_cndmask_b32_e64 v20, v28, v26, s[14:15]
	;; [unrolled: 1-line block ×4, first 2 shown]
	v_mov_b32_e32 v22, v30
	v_mov_b32_e32 v23, v31
	;; [unrolled: 1-line block ×4, first 2 shown]
	v_cmp_gt_u16_e64 s[16:17], v14, v17
	v_mov_b32_e32 v11, v5
	s_and_saveexec_b64 s[22:23], s[16:17]
	s_cbranch_execz .LBB1862_25
; %bb.24:
	v_mov_b32_e32 v26, v18
	v_mov_b32_e32 v27, v19
	;; [unrolled: 1-line block ×8, first 2 shown]
	v_pk_mov_b32 v[18:19], v[26:27], v[26:27] op_sel:[0,1]
	v_mov_b32_e32 v14, v17
	v_mov_b32_e32 v11, v48
	v_mov_b32_e32 v48, v5
	v_pk_mov_b32 v[20:21], v[28:29], v[28:29] op_sel:[0,1]
	v_pk_mov_b32 v[22:23], v[30:31], v[30:31] op_sel:[0,1]
	;; [unrolled: 1-line block ×3, first 2 shown]
.LBB1862_25:
	s_or_b64 exec, exec, s[22:23]
	v_cndmask_b32_e64 v49, v6, v7, s[14:15]
	v_add_f16_e32 v5, 0, v49
	v_cmp_lt_i16_e64 s[16:17], -1, v5
	v_cndmask_b32_e64 v10, -1, v10, s[16:17]
	v_xor_b32_e32 v5, v10, v5
	v_cmp_gt_u16_e64 s[16:17], v5, v14
	v_mov_b32_e32 v51, v11
	s_and_saveexec_b64 s[22:23], s[16:17]
	s_cbranch_execz .LBB1862_27
; %bb.26:
	v_mov_b32_e32 v26, v18
	v_mov_b32_e32 v27, v19
	v_mov_b32_e32 v28, v22
	v_mov_b32_e32 v29, v23
	v_mov_b32_e32 v30, v20
	v_mov_b32_e32 v31, v21
	v_mov_b32_e32 v32, v24
	v_mov_b32_e32 v33, v25
	v_pk_mov_b32 v[18:19], v[26:27], v[26:27] op_sel:[0,1]
	v_pk_mov_b32 v[20:21], v[28:29], v[28:29] op_sel:[0,1]
	;; [unrolled: 1-line block ×4, first 2 shown]
	v_mov_b32_e32 v51, v49
	v_mov_b32_e32 v49, v11
.LBB1862_27:
	s_or_b64 exec, exec, s[22:23]
	v_cndmask_b32_e64 v50, v7, v6, s[14:15]
.LBB1862_28:
	s_or_b64 exec, exec, s[20:21]
	v_and_b32_e32 v26, 0xffffff00, v4
	v_mov_b32_e32 v27, 0
	s_movk_i32 s14, 0x400
	v_lshlrev_b64 v[4:5], 1, v[26:27]
	v_sub_u32_e64 v30, s14, v26 clamp
	v_add_co_u32_e64 v6, s[14:15], v15, v4
	v_addc_co_u32_e64 v7, s[14:15], v16, v5, s[14:15]
	v_mad_u64_u32 v[4:5], s[14:15], v26, 6, v[6:7]
	v_lshlrev_b32_e32 v10, 1, v38
	v_add_co_u32_e64 v10, s[14:15], v6, v10
	v_addc_co_u32_e64 v11, s[14:15], 0, v7, s[14:15]
	v_lshlrev_b32_e32 v14, 3, v38
	v_add_co_u32_e64 v16, s[14:15], v4, v14
	v_addc_co_u32_e64 v17, s[14:15], 0, v5, s[14:15]
	s_movk_i32 s14, 0x800
	v_add_co_u32_e64 v14, s[14:15], s14, v16
	v_addc_co_u32_e64 v15, s[14:15], 0, v17, s[14:15]
	v_or_b32_e32 v26, 4, v38
	s_mov_b32 s14, 0x5040100
	v_min_u32_e32 v31, v30, v26
	v_perm_b32 v29, v48, v51, s14
	v_perm_b32 v28, v49, v50, s14
	v_add_u32_e32 v26, 4, v31
	flat_store_dwordx4 v[16:17], v[18:21] offset:2048
	flat_store_dwordx2 v[10:11], v[28:29]
	flat_store_dwordx4 v[16:17], v[22:25] offset:2064
	v_and_b32_e32 v28, 0x1f8, v38
	v_min_u32_e32 v32, v30, v26
	v_and_b32_e32 v26, 4, v38
	v_min_u32_e32 v29, v30, v26
	v_sub_u32_e32 v26, v31, v28
	v_sub_u32_e32 v33, v32, v31
	v_sub_u32_e64 v33, v29, v33 clamp
	v_min_u32_e32 v52, v29, v26
	v_cmp_lt_u32_e64 s[14:15], v33, v52
	; wave barrier
	s_and_saveexec_b64 s[16:17], s[14:15]
	s_cbranch_execz .LBB1862_32
; %bb.29:
	v_lshlrev_b32_e32 v26, 1, v28
	v_add_co_u32_e64 v53, s[14:15], v6, v26
	v_addc_co_u32_e64 v54, s[14:15], 0, v7, s[14:15]
	v_lshlrev_b32_e32 v26, 1, v31
	v_add_co_u32_e64 v55, s[14:15], v6, v26
	v_addc_co_u32_e64 v64, s[14:15], 0, v7, s[14:15]
	s_mov_b64 s[20:21], 0
	v_mov_b32_e32 v65, 0xffff8000
.LBB1862_30:                            ; =>This Inner Loop Header: Depth=1
	v_add_u32_e32 v26, v52, v33
	v_and_b32_e32 v66, -2, v26
	v_lshrrev_b32_e32 v68, 1, v26
	v_add_co_u32_e64 v66, s[14:15], v53, v66
	v_xad_u32 v26, v68, -1, v29
	v_addc_co_u32_e64 v67, s[14:15], 0, v54, s[14:15]
	flat_load_ushort v69, v[66:67]
	v_lshlrev_b64 v[66:67], 1, v[26:27]
	v_add_co_u32_e64 v66, s[14:15], v55, v66
	v_addc_co_u32_e64 v67, s[14:15], v64, v67, s[14:15]
	flat_load_ushort v26, v[66:67]
	v_add_u32_e32 v66, 1, v68
	s_waitcnt vmcnt(0) lgkmcnt(0)
	v_add_f16_e32 v67, 0, v69
	v_cmp_lt_i16_e64 s[14:15], -1, v67
	v_cndmask_b32_e64 v69, -1, v65, s[14:15]
	v_xor_b32_e32 v67, v69, v67
	v_add_f16_e32 v26, 0, v26
	v_cmp_lt_i16_e64 s[14:15], -1, v26
	v_cndmask_b32_e64 v69, -1, v65, s[14:15]
	v_xor_b32_e32 v26, v69, v26
	v_cmp_gt_u16_e64 s[14:15], v67, v26
	v_cndmask_b32_e64 v52, v52, v68, s[14:15]
	v_cndmask_b32_e64 v33, v66, v33, s[14:15]
	v_cmp_ge_u32_e64 s[14:15], v33, v52
	s_or_b64 s[20:21], s[14:15], s[20:21]
	s_andn2_b64 exec, exec, s[20:21]
	s_cbranch_execnz .LBB1862_30
; %bb.31:
	s_or_b64 exec, exec, s[20:21]
.LBB1862_32:
	s_or_b64 exec, exec, s[16:17]
	v_add_u32_e32 v27, v31, v29
	v_add_u32_e32 v26, v33, v28
	v_sub_u32_e32 v28, v27, v33
	v_cmp_le_u32_e64 s[14:15], v26, v31
	v_cmp_le_u32_e64 s[16:17], v28, v32
	s_or_b64 s[14:15], s[14:15], s[16:17]
	s_and_saveexec_b64 s[20:21], s[14:15]
	s_cbranch_execz .LBB1862_52
; %bb.33:
	v_cmp_ge_u32_e64 s[14:15], v26, v31
	v_cmp_lt_u32_e64 s[16:17], v26, v31
                                        ; implicit-def: $vgpr27
	s_and_saveexec_b64 s[22:23], s[16:17]
	s_cbranch_execz .LBB1862_35
; %bb.34:
	v_mov_b32_e32 v27, 0
	v_lshlrev_b64 v[18:19], 1, v[26:27]
	v_add_co_u32_e64 v18, s[16:17], v6, v18
	v_addc_co_u32_e64 v19, s[16:17], v7, v19, s[16:17]
	flat_load_ushort v27, v[18:19]
.LBB1862_35:
	s_or_b64 exec, exec, s[22:23]
	v_cmp_ge_u32_e64 s[22:23], v28, v32
	v_cmp_lt_u32_e64 s[16:17], v28, v32
                                        ; implicit-def: $vgpr29
	s_and_saveexec_b64 s[24:25], s[16:17]
	s_cbranch_execz .LBB1862_37
; %bb.36:
	v_mov_b32_e32 v29, 0
	v_lshlrev_b64 v[18:19], 1, v[28:29]
	v_add_co_u32_e64 v18, s[16:17], v6, v18
	v_addc_co_u32_e64 v19, s[16:17], v7, v19, s[16:17]
	flat_load_ushort v29, v[18:19]
.LBB1862_37:
	s_or_b64 exec, exec, s[24:25]
	s_or_b64 s[14:15], s[14:15], s[22:23]
	s_mov_b64 s[16:17], -1
	s_xor_b64 s[14:15], s[14:15], -1
	s_and_saveexec_b64 s[24:25], s[14:15]
	s_cbranch_execz .LBB1862_39
; %bb.38:
	s_waitcnt vmcnt(0) lgkmcnt(0)
	v_add_f16_e32 v18, 0, v27
	v_add_f16_e32 v19, 0, v29
	v_mov_b32_e32 v20, 0xffff8000
	v_cmp_lt_i16_e64 s[14:15], -1, v18
	v_cndmask_b32_e64 v21, -1, v20, s[14:15]
	v_cmp_lt_i16_e64 s[14:15], -1, v19
	v_cndmask_b32_e64 v20, -1, v20, s[14:15]
	v_xor_b32_e32 v18, v21, v18
	v_xor_b32_e32 v19, v20, v19
	v_cmp_le_u16_e64 s[14:15], v18, v19
	s_andn2_b64 s[22:23], s[22:23], exec
	s_and_b64 s[14:15], s[14:15], exec
	s_or_b64 s[22:23], s[22:23], s[14:15]
.LBB1862_39:
	s_or_b64 exec, exec, s[24:25]
	v_cndmask_b32_e64 v20, v28, v26, s[22:23]
	v_cndmask_b32_e64 v22, v32, v31, s[22:23]
	v_mov_b32_e32 v21, 0
	v_lshlrev_b64 v[18:19], 3, v[20:21]
	v_add_u32_e32 v24, 1, v20
	v_add_u32_e32 v20, -1, v22
	v_min_u32_e32 v20, v24, v20
	v_lshlrev_b64 v[22:23], 1, v[20:21]
	v_add_co_u32_e64 v22, s[14:15], v6, v22
	v_addc_co_u32_e64 v23, s[14:15], v7, v23, s[14:15]
	v_add_co_u32_e64 v18, s[14:15], v4, v18
	flat_load_ushort v20, v[22:23]
	v_addc_co_u32_e64 v19, s[14:15], v5, v19, s[14:15]
	flat_load_dwordx2 v[18:19], v[18:19] offset:2048
	v_cndmask_b32_e64 v22, v24, v28, s[22:23]
	v_cndmask_b32_e64 v23, v26, v24, s[22:23]
	v_cmp_lt_u32_e64 s[14:15], v22, v32
	s_waitcnt vmcnt(0) lgkmcnt(0)
	v_cndmask_b32_e64 v26, v20, v29, s[22:23]
	v_cndmask_b32_e64 v28, v27, v20, s[22:23]
	s_and_saveexec_b64 s[24:25], s[14:15]
	s_cbranch_execz .LBB1862_43
; %bb.40:
	v_cmp_lt_u32_e64 s[14:15], v23, v31
	s_mov_b64 s[26:27], 0
	s_and_saveexec_b64 s[16:17], s[14:15]
; %bb.41:
	v_add_f16_e32 v20, 0, v28
	v_add_f16_e32 v24, 0, v26
	v_mov_b32_e32 v25, 0xffff8000
	v_cmp_lt_i16_e64 s[14:15], -1, v20
	v_cndmask_b32_e64 v33, -1, v25, s[14:15]
	v_cmp_lt_i16_e64 s[14:15], -1, v24
	v_cndmask_b32_e64 v25, -1, v25, s[14:15]
	v_xor_b32_e32 v20, v33, v20
	v_xor_b32_e32 v24, v25, v24
	v_cmp_le_u16_e64 s[14:15], v20, v24
	s_and_b64 s[26:27], s[14:15], exec
; %bb.42:
	s_or_b64 exec, exec, s[16:17]
	s_orn2_b64 s[16:17], s[26:27], exec
.LBB1862_43:
	s_or_b64 exec, exec, s[24:25]
	v_cndmask_b32_e64 v20, v22, v23, s[16:17]
	v_cndmask_b32_e64 v33, v32, v31, s[16:17]
	v_lshlrev_b64 v[24:25], 3, v[20:21]
	v_add_u32_e32 v48, 1, v20
	v_add_u32_e32 v20, -1, v33
	v_min_u32_e32 v20, v48, v20
	v_lshlrev_b64 v[20:21], 1, v[20:21]
	v_add_co_u32_e64 v20, s[14:15], v6, v20
	v_addc_co_u32_e64 v21, s[14:15], v7, v21, s[14:15]
	flat_load_ushort v51, v[20:21]
	v_add_co_u32_e64 v20, s[14:15], v4, v24
	v_addc_co_u32_e64 v21, s[14:15], v5, v25, s[14:15]
	flat_load_dwordx2 v[20:21], v[20:21] offset:2048
	v_cndmask_b32_e64 v49, v48, v22, s[16:17]
	s_mov_b64 s[24:25], -1
	v_cndmask_b32_e64 v50, v23, v48, s[16:17]
	v_cmp_lt_u32_e64 s[14:15], v49, v32
	s_mov_b64 s[26:27], -1
	s_waitcnt vmcnt(0) lgkmcnt(0)
	v_cndmask_b32_e64 v33, v51, v26, s[16:17]
	v_cndmask_b32_e64 v48, v28, v51, s[16:17]
	s_and_saveexec_b64 s[28:29], s[14:15]
	s_cbranch_execz .LBB1862_47
; %bb.44:
	v_cmp_lt_u32_e64 s[14:15], v50, v31
	s_mov_b64 s[30:31], 0
	s_and_saveexec_b64 s[26:27], s[14:15]
; %bb.45:
	v_add_f16_e32 v22, 0, v48
	v_add_f16_e32 v23, 0, v33
	v_mov_b32_e32 v24, 0xffff8000
	v_cmp_lt_i16_e64 s[14:15], -1, v22
	v_cndmask_b32_e64 v25, -1, v24, s[14:15]
	v_cmp_lt_i16_e64 s[14:15], -1, v23
	v_cndmask_b32_e64 v24, -1, v24, s[14:15]
	v_xor_b32_e32 v22, v25, v22
	v_xor_b32_e32 v23, v24, v23
	v_cmp_le_u16_e64 s[14:15], v22, v23
	s_and_b64 s[30:31], s[14:15], exec
; %bb.46:
	s_or_b64 exec, exec, s[26:27]
	s_orn2_b64 s[26:27], s[30:31], exec
.LBB1862_47:
	s_or_b64 exec, exec, s[28:29]
	v_cndmask_b32_e64 v24, v49, v50, s[26:27]
	v_cndmask_b32_e64 v51, v32, v31, s[26:27]
	v_mov_b32_e32 v25, 0
	v_lshlrev_b64 v[22:23], 3, v[24:25]
	v_add_u32_e32 v54, 1, v24
	v_add_u32_e32 v24, -1, v51
	v_min_u32_e32 v24, v54, v24
	v_lshlrev_b64 v[52:53], 1, v[24:25]
	v_add_co_u32_e64 v52, s[14:15], v6, v52
	v_addc_co_u32_e64 v53, s[14:15], v7, v53, s[14:15]
	v_add_co_u32_e64 v22, s[14:15], v4, v22
	flat_load_ushort v51, v[52:53]
	v_addc_co_u32_e64 v23, s[14:15], v5, v23, s[14:15]
	flat_load_dwordx2 v[22:23], v[22:23] offset:2048
	v_cndmask_b32_e64 v24, v54, v49, s[26:27]
	v_cndmask_b32_e64 v49, v50, v54, s[26:27]
	v_cmp_lt_u32_e64 s[14:15], v24, v32
	s_waitcnt vmcnt(0) lgkmcnt(0)
	v_cndmask_b32_e64 v52, v51, v33, s[26:27]
	v_cndmask_b32_e64 v53, v48, v51, s[26:27]
	s_and_saveexec_b64 s[28:29], s[14:15]
	s_cbranch_execz .LBB1862_51
; %bb.48:
	v_cmp_lt_u32_e64 s[14:15], v49, v31
	s_mov_b64 s[30:31], 0
	s_and_saveexec_b64 s[24:25], s[14:15]
; %bb.49:
	v_add_f16_e32 v31, 0, v53
	v_add_f16_e32 v32, 0, v52
	v_mov_b32_e32 v50, 0xffff8000
	v_cmp_lt_i16_e64 s[14:15], -1, v31
	v_cndmask_b32_e64 v51, -1, v50, s[14:15]
	v_cmp_lt_i16_e64 s[14:15], -1, v32
	v_cndmask_b32_e64 v50, -1, v50, s[14:15]
	v_xor_b32_e32 v31, v51, v31
	v_xor_b32_e32 v32, v50, v32
	v_cmp_le_u16_e64 s[14:15], v31, v32
	s_and_b64 s[30:31], s[14:15], exec
; %bb.50:
	s_or_b64 exec, exec, s[24:25]
	s_orn2_b64 s[24:25], s[30:31], exec
.LBB1862_51:
	s_or_b64 exec, exec, s[28:29]
	v_cndmask_b32_e64 v24, v24, v49, s[24:25]
	v_lshlrev_b64 v[24:25], 3, v[24:25]
	v_add_co_u32_e64 v24, s[14:15], v4, v24
	v_addc_co_u32_e64 v25, s[14:15], v5, v25, s[14:15]
	flat_load_dwordx2 v[24:25], v[24:25] offset:2048
	v_cndmask_b32_e64 v51, v33, v48, s[26:27]
	v_cndmask_b32_e64 v49, v26, v28, s[16:17]
	;; [unrolled: 1-line block ×4, first 2 shown]
.LBB1862_52:
	s_or_b64 exec, exec, s[20:21]
	s_mov_b32 s14, 0x5040100
	v_perm_b32 v27, v48, v51, s14
	v_perm_b32 v26, v49, v50, s14
	v_and_b32_e32 v28, 0x1f0, v38
	; wave barrier
	flat_store_dwordx4 v[16:17], v[18:21] offset:2048
	flat_store_dwordx2 v[10:11], v[26:27]
	s_waitcnt vmcnt(0) lgkmcnt(0)
	flat_store_dwordx4 v[14:15], v[22:25] offset:16
	v_or_b32_e32 v26, 8, v28
	v_min_u32_e32 v31, v30, v26
	v_add_u32_e32 v26, 8, v31
	v_min_u32_e32 v32, v30, v26
	v_and_b32_e32 v26, 12, v38
	v_min_u32_e32 v29, v30, v26
	v_sub_u32_e32 v26, v31, v28
	v_sub_u32_e32 v27, v32, v31
	v_sub_u32_e64 v33, v29, v27 clamp
	v_min_u32_e32 v52, v29, v26
	v_cmp_lt_u32_e64 s[14:15], v33, v52
	; wave barrier
	s_and_saveexec_b64 s[16:17], s[14:15]
	s_cbranch_execz .LBB1862_56
; %bb.53:
	v_lshlrev_b32_e32 v26, 1, v28
	v_add_co_u32_e64 v53, s[14:15], v6, v26
	v_addc_co_u32_e64 v54, s[14:15], 0, v7, s[14:15]
	v_lshlrev_b32_e32 v26, 1, v31
	v_add_co_u32_e64 v55, s[14:15], v6, v26
	v_addc_co_u32_e64 v64, s[14:15], 0, v7, s[14:15]
	s_mov_b64 s[20:21], 0
	v_mov_b32_e32 v65, 0xffff8000
	v_mov_b32_e32 v27, 0
.LBB1862_54:                            ; =>This Inner Loop Header: Depth=1
	v_add_u32_e32 v26, v52, v33
	v_and_b32_e32 v66, -2, v26
	v_lshrrev_b32_e32 v68, 1, v26
	v_add_co_u32_e64 v66, s[14:15], v53, v66
	v_xad_u32 v26, v68, -1, v29
	v_addc_co_u32_e64 v67, s[14:15], 0, v54, s[14:15]
	flat_load_ushort v69, v[66:67]
	v_lshlrev_b64 v[66:67], 1, v[26:27]
	v_add_co_u32_e64 v66, s[14:15], v55, v66
	v_addc_co_u32_e64 v67, s[14:15], v64, v67, s[14:15]
	flat_load_ushort v26, v[66:67]
	v_add_u32_e32 v66, 1, v68
	s_waitcnt vmcnt(0) lgkmcnt(0)
	v_add_f16_e32 v67, 0, v69
	v_cmp_lt_i16_e64 s[14:15], -1, v67
	v_cndmask_b32_e64 v69, -1, v65, s[14:15]
	v_xor_b32_e32 v67, v69, v67
	v_add_f16_e32 v26, 0, v26
	v_cmp_lt_i16_e64 s[14:15], -1, v26
	v_cndmask_b32_e64 v69, -1, v65, s[14:15]
	v_xor_b32_e32 v26, v69, v26
	v_cmp_gt_u16_e64 s[14:15], v67, v26
	v_cndmask_b32_e64 v52, v52, v68, s[14:15]
	v_cndmask_b32_e64 v33, v66, v33, s[14:15]
	v_cmp_ge_u32_e64 s[14:15], v33, v52
	s_or_b64 s[20:21], s[14:15], s[20:21]
	s_andn2_b64 exec, exec, s[20:21]
	s_cbranch_execnz .LBB1862_54
; %bb.55:
	s_or_b64 exec, exec, s[20:21]
.LBB1862_56:
	s_or_b64 exec, exec, s[16:17]
	v_add_u32_e32 v27, v31, v29
	v_add_u32_e32 v26, v33, v28
	v_sub_u32_e32 v28, v27, v33
	v_cmp_le_u32_e64 s[14:15], v26, v31
	v_cmp_le_u32_e64 s[16:17], v28, v32
	s_or_b64 s[14:15], s[14:15], s[16:17]
	s_and_saveexec_b64 s[20:21], s[14:15]
	s_cbranch_execz .LBB1862_76
; %bb.57:
	v_cmp_ge_u32_e64 s[14:15], v26, v31
	v_cmp_lt_u32_e64 s[16:17], v26, v31
                                        ; implicit-def: $vgpr27
	s_and_saveexec_b64 s[22:23], s[16:17]
	s_cbranch_execz .LBB1862_59
; %bb.58:
	v_mov_b32_e32 v27, 0
	v_lshlrev_b64 v[18:19], 1, v[26:27]
	v_add_co_u32_e64 v18, s[16:17], v6, v18
	v_addc_co_u32_e64 v19, s[16:17], v7, v19, s[16:17]
	flat_load_ushort v27, v[18:19]
.LBB1862_59:
	s_or_b64 exec, exec, s[22:23]
	v_cmp_ge_u32_e64 s[22:23], v28, v32
	v_cmp_lt_u32_e64 s[16:17], v28, v32
                                        ; implicit-def: $vgpr29
	s_and_saveexec_b64 s[24:25], s[16:17]
	s_cbranch_execz .LBB1862_61
; %bb.60:
	v_mov_b32_e32 v29, 0
	v_lshlrev_b64 v[18:19], 1, v[28:29]
	v_add_co_u32_e64 v18, s[16:17], v6, v18
	v_addc_co_u32_e64 v19, s[16:17], v7, v19, s[16:17]
	flat_load_ushort v29, v[18:19]
.LBB1862_61:
	s_or_b64 exec, exec, s[24:25]
	s_or_b64 s[14:15], s[14:15], s[22:23]
	s_mov_b64 s[16:17], -1
	s_xor_b64 s[14:15], s[14:15], -1
	s_and_saveexec_b64 s[24:25], s[14:15]
	s_cbranch_execz .LBB1862_63
; %bb.62:
	s_waitcnt vmcnt(0) lgkmcnt(0)
	v_add_f16_e32 v18, 0, v27
	v_add_f16_e32 v19, 0, v29
	v_mov_b32_e32 v20, 0xffff8000
	v_cmp_lt_i16_e64 s[14:15], -1, v18
	v_cndmask_b32_e64 v21, -1, v20, s[14:15]
	v_cmp_lt_i16_e64 s[14:15], -1, v19
	v_cndmask_b32_e64 v20, -1, v20, s[14:15]
	v_xor_b32_e32 v18, v21, v18
	v_xor_b32_e32 v19, v20, v19
	v_cmp_le_u16_e64 s[14:15], v18, v19
	s_andn2_b64 s[22:23], s[22:23], exec
	s_and_b64 s[14:15], s[14:15], exec
	s_or_b64 s[22:23], s[22:23], s[14:15]
.LBB1862_63:
	s_or_b64 exec, exec, s[24:25]
	v_cndmask_b32_e64 v20, v28, v26, s[22:23]
	v_cndmask_b32_e64 v22, v32, v31, s[22:23]
	v_mov_b32_e32 v21, 0
	v_lshlrev_b64 v[18:19], 3, v[20:21]
	v_add_u32_e32 v24, 1, v20
	v_add_u32_e32 v20, -1, v22
	v_min_u32_e32 v20, v24, v20
	v_lshlrev_b64 v[22:23], 1, v[20:21]
	v_add_co_u32_e64 v22, s[14:15], v6, v22
	v_addc_co_u32_e64 v23, s[14:15], v7, v23, s[14:15]
	v_add_co_u32_e64 v18, s[14:15], v4, v18
	flat_load_ushort v20, v[22:23]
	v_addc_co_u32_e64 v19, s[14:15], v5, v19, s[14:15]
	flat_load_dwordx2 v[18:19], v[18:19] offset:2048
	v_cndmask_b32_e64 v22, v24, v28, s[22:23]
	v_cndmask_b32_e64 v23, v26, v24, s[22:23]
	v_cmp_lt_u32_e64 s[14:15], v22, v32
	s_waitcnt vmcnt(0) lgkmcnt(0)
	v_cndmask_b32_e64 v26, v20, v29, s[22:23]
	v_cndmask_b32_e64 v28, v27, v20, s[22:23]
	s_and_saveexec_b64 s[24:25], s[14:15]
	s_cbranch_execz .LBB1862_67
; %bb.64:
	v_cmp_lt_u32_e64 s[14:15], v23, v31
	s_mov_b64 s[26:27], 0
	s_and_saveexec_b64 s[16:17], s[14:15]
; %bb.65:
	v_add_f16_e32 v20, 0, v28
	v_add_f16_e32 v24, 0, v26
	v_mov_b32_e32 v25, 0xffff8000
	v_cmp_lt_i16_e64 s[14:15], -1, v20
	v_cndmask_b32_e64 v33, -1, v25, s[14:15]
	v_cmp_lt_i16_e64 s[14:15], -1, v24
	v_cndmask_b32_e64 v25, -1, v25, s[14:15]
	v_xor_b32_e32 v20, v33, v20
	v_xor_b32_e32 v24, v25, v24
	v_cmp_le_u16_e64 s[14:15], v20, v24
	s_and_b64 s[26:27], s[14:15], exec
; %bb.66:
	s_or_b64 exec, exec, s[16:17]
	s_orn2_b64 s[16:17], s[26:27], exec
.LBB1862_67:
	s_or_b64 exec, exec, s[24:25]
	v_cndmask_b32_e64 v20, v22, v23, s[16:17]
	v_cndmask_b32_e64 v33, v32, v31, s[16:17]
	v_lshlrev_b64 v[24:25], 3, v[20:21]
	v_add_u32_e32 v48, 1, v20
	v_add_u32_e32 v20, -1, v33
	v_min_u32_e32 v20, v48, v20
	v_lshlrev_b64 v[20:21], 1, v[20:21]
	v_add_co_u32_e64 v20, s[14:15], v6, v20
	v_addc_co_u32_e64 v21, s[14:15], v7, v21, s[14:15]
	flat_load_ushort v51, v[20:21]
	v_add_co_u32_e64 v20, s[14:15], v4, v24
	v_addc_co_u32_e64 v21, s[14:15], v5, v25, s[14:15]
	flat_load_dwordx2 v[20:21], v[20:21] offset:2048
	v_cndmask_b32_e64 v49, v48, v22, s[16:17]
	s_mov_b64 s[24:25], -1
	v_cndmask_b32_e64 v50, v23, v48, s[16:17]
	v_cmp_lt_u32_e64 s[14:15], v49, v32
	s_mov_b64 s[26:27], -1
	s_waitcnt vmcnt(0) lgkmcnt(0)
	v_cndmask_b32_e64 v33, v51, v26, s[16:17]
	v_cndmask_b32_e64 v48, v28, v51, s[16:17]
	s_and_saveexec_b64 s[28:29], s[14:15]
	s_cbranch_execz .LBB1862_71
; %bb.68:
	v_cmp_lt_u32_e64 s[14:15], v50, v31
	s_mov_b64 s[30:31], 0
	s_and_saveexec_b64 s[26:27], s[14:15]
; %bb.69:
	v_add_f16_e32 v22, 0, v48
	v_add_f16_e32 v23, 0, v33
	v_mov_b32_e32 v24, 0xffff8000
	v_cmp_lt_i16_e64 s[14:15], -1, v22
	v_cndmask_b32_e64 v25, -1, v24, s[14:15]
	v_cmp_lt_i16_e64 s[14:15], -1, v23
	v_cndmask_b32_e64 v24, -1, v24, s[14:15]
	v_xor_b32_e32 v22, v25, v22
	v_xor_b32_e32 v23, v24, v23
	v_cmp_le_u16_e64 s[14:15], v22, v23
	s_and_b64 s[30:31], s[14:15], exec
; %bb.70:
	s_or_b64 exec, exec, s[26:27]
	s_orn2_b64 s[26:27], s[30:31], exec
.LBB1862_71:
	s_or_b64 exec, exec, s[28:29]
	v_cndmask_b32_e64 v24, v49, v50, s[26:27]
	v_cndmask_b32_e64 v51, v32, v31, s[26:27]
	v_mov_b32_e32 v25, 0
	v_lshlrev_b64 v[22:23], 3, v[24:25]
	v_add_u32_e32 v54, 1, v24
	v_add_u32_e32 v24, -1, v51
	v_min_u32_e32 v24, v54, v24
	v_lshlrev_b64 v[52:53], 1, v[24:25]
	v_add_co_u32_e64 v52, s[14:15], v6, v52
	v_addc_co_u32_e64 v53, s[14:15], v7, v53, s[14:15]
	v_add_co_u32_e64 v22, s[14:15], v4, v22
	flat_load_ushort v51, v[52:53]
	v_addc_co_u32_e64 v23, s[14:15], v5, v23, s[14:15]
	flat_load_dwordx2 v[22:23], v[22:23] offset:2048
	v_cndmask_b32_e64 v24, v54, v49, s[26:27]
	v_cndmask_b32_e64 v49, v50, v54, s[26:27]
	v_cmp_lt_u32_e64 s[14:15], v24, v32
	s_waitcnt vmcnt(0) lgkmcnt(0)
	v_cndmask_b32_e64 v52, v51, v33, s[26:27]
	v_cndmask_b32_e64 v53, v48, v51, s[26:27]
	s_and_saveexec_b64 s[28:29], s[14:15]
	s_cbranch_execz .LBB1862_75
; %bb.72:
	v_cmp_lt_u32_e64 s[14:15], v49, v31
	s_mov_b64 s[30:31], 0
	s_and_saveexec_b64 s[24:25], s[14:15]
; %bb.73:
	v_add_f16_e32 v31, 0, v53
	v_add_f16_e32 v32, 0, v52
	v_mov_b32_e32 v50, 0xffff8000
	v_cmp_lt_i16_e64 s[14:15], -1, v31
	v_cndmask_b32_e64 v51, -1, v50, s[14:15]
	v_cmp_lt_i16_e64 s[14:15], -1, v32
	v_cndmask_b32_e64 v50, -1, v50, s[14:15]
	v_xor_b32_e32 v31, v51, v31
	v_xor_b32_e32 v32, v50, v32
	v_cmp_le_u16_e64 s[14:15], v31, v32
	s_and_b64 s[30:31], s[14:15], exec
; %bb.74:
	s_or_b64 exec, exec, s[24:25]
	s_orn2_b64 s[24:25], s[30:31], exec
.LBB1862_75:
	s_or_b64 exec, exec, s[28:29]
	v_cndmask_b32_e64 v24, v24, v49, s[24:25]
	v_lshlrev_b64 v[24:25], 3, v[24:25]
	v_add_co_u32_e64 v24, s[14:15], v4, v24
	v_addc_co_u32_e64 v25, s[14:15], v5, v25, s[14:15]
	flat_load_dwordx2 v[24:25], v[24:25] offset:2048
	v_cndmask_b32_e64 v51, v33, v48, s[26:27]
	v_cndmask_b32_e64 v49, v26, v28, s[16:17]
	;; [unrolled: 1-line block ×4, first 2 shown]
.LBB1862_76:
	s_or_b64 exec, exec, s[20:21]
	s_mov_b32 s14, 0x5040100
	; wave barrier
	flat_store_dwordx4 v[16:17], v[18:21] offset:2048
	v_perm_b32 v17, v48, v51, s14
	v_perm_b32 v16, v49, v50, s14
	flat_store_dwordx2 v[10:11], v[16:17]
	s_waitcnt vmcnt(0) lgkmcnt(0)
	flat_store_dwordx4 v[14:15], v[22:25] offset:16
	v_and_b32_e32 v14, 0x1e0, v38
	v_or_b32_e32 v10, 16, v14
	v_min_u32_e32 v26, v30, v10
	v_add_u32_e32 v10, 16, v26
	v_min_u32_e32 v27, v30, v10
	v_min_u32_e32 v15, v30, v36
	v_sub_u32_e32 v10, v26, v14
	v_sub_u32_e32 v11, v27, v26
	v_sub_u32_e64 v16, v15, v11 clamp
	v_min_u32_e32 v17, v15, v10
	v_cmp_lt_u32_e64 s[14:15], v16, v17
	; wave barrier
	s_and_saveexec_b64 s[16:17], s[14:15]
	s_cbranch_execz .LBB1862_80
; %bb.77:
	v_lshlrev_b32_e32 v10, 1, v14
	v_add_co_u32_e64 v28, s[14:15], v6, v10
	v_addc_co_u32_e64 v29, s[14:15], 0, v7, s[14:15]
	v_lshlrev_b32_e32 v10, 1, v26
	v_add_co_u32_e64 v30, s[14:15], v6, v10
	v_addc_co_u32_e64 v31, s[14:15], 0, v7, s[14:15]
	s_mov_b64 s[20:21], 0
	v_mov_b32_e32 v32, 0xffff8000
	v_mov_b32_e32 v11, 0
.LBB1862_78:                            ; =>This Inner Loop Header: Depth=1
	v_add_u32_e32 v10, v17, v16
	v_and_b32_e32 v38, -2, v10
	v_lshrrev_b32_e32 v33, 1, v10
	v_add_co_u32_e64 v52, s[14:15], v28, v38
	v_xad_u32 v10, v33, -1, v15
	v_addc_co_u32_e64 v53, s[14:15], 0, v29, s[14:15]
	flat_load_ushort v38, v[52:53]
	v_lshlrev_b64 v[52:53], 1, v[10:11]
	v_add_co_u32_e64 v52, s[14:15], v30, v52
	v_addc_co_u32_e64 v53, s[14:15], v31, v53, s[14:15]
	flat_load_ushort v10, v[52:53]
	v_add_u32_e32 v52, 1, v33
	s_waitcnt vmcnt(0) lgkmcnt(0)
	v_add_f16_e32 v38, 0, v38
	v_cmp_lt_i16_e64 s[14:15], -1, v38
	v_cndmask_b32_e64 v53, -1, v32, s[14:15]
	v_xor_b32_e32 v38, v53, v38
	v_add_f16_e32 v10, 0, v10
	v_cmp_lt_i16_e64 s[14:15], -1, v10
	v_cndmask_b32_e64 v53, -1, v32, s[14:15]
	v_xor_b32_e32 v10, v53, v10
	v_cmp_gt_u16_e64 s[14:15], v38, v10
	v_cndmask_b32_e64 v17, v17, v33, s[14:15]
	v_cndmask_b32_e64 v16, v52, v16, s[14:15]
	v_cmp_ge_u32_e64 s[14:15], v16, v17
	s_or_b64 s[20:21], s[14:15], s[20:21]
	s_andn2_b64 exec, exec, s[20:21]
	s_cbranch_execnz .LBB1862_78
; %bb.79:
	s_or_b64 exec, exec, s[20:21]
.LBB1862_80:
	s_or_b64 exec, exec, s[16:17]
	v_add_u32_e32 v11, v26, v15
	v_add_u32_e32 v10, v16, v14
	v_sub_u32_e32 v14, v11, v16
	v_cmp_le_u32_e64 s[14:15], v10, v26
	v_cmp_le_u32_e64 s[16:17], v14, v27
	s_or_b64 s[14:15], s[14:15], s[16:17]
	s_and_saveexec_b64 s[20:21], s[14:15]
	s_cbranch_execz .LBB1862_100
; %bb.81:
	v_cmp_ge_u32_e64 s[14:15], v10, v26
	v_cmp_lt_u32_e64 s[16:17], v10, v26
                                        ; implicit-def: $vgpr28
	s_and_saveexec_b64 s[22:23], s[16:17]
	s_cbranch_execz .LBB1862_83
; %bb.82:
	v_mov_b32_e32 v11, 0
	v_lshlrev_b64 v[16:17], 1, v[10:11]
	v_add_co_u32_e64 v16, s[16:17], v6, v16
	v_addc_co_u32_e64 v17, s[16:17], v7, v17, s[16:17]
	flat_load_ushort v28, v[16:17]
.LBB1862_83:
	s_or_b64 exec, exec, s[22:23]
	v_cmp_ge_u32_e64 s[22:23], v14, v27
	v_cmp_lt_u32_e64 s[16:17], v14, v27
                                        ; implicit-def: $vgpr15
	s_and_saveexec_b64 s[24:25], s[16:17]
	s_cbranch_execz .LBB1862_85
; %bb.84:
	v_mov_b32_e32 v15, 0
	v_lshlrev_b64 v[16:17], 1, v[14:15]
	v_add_co_u32_e64 v16, s[16:17], v6, v16
	v_addc_co_u32_e64 v17, s[16:17], v7, v17, s[16:17]
	flat_load_ushort v15, v[16:17]
.LBB1862_85:
	s_or_b64 exec, exec, s[24:25]
	s_or_b64 s[14:15], s[14:15], s[22:23]
	s_mov_b64 s[16:17], -1
	s_xor_b64 s[14:15], s[14:15], -1
	s_and_saveexec_b64 s[24:25], s[14:15]
	s_cbranch_execz .LBB1862_87
; %bb.86:
	s_waitcnt vmcnt(0) lgkmcnt(0)
	v_add_f16_e32 v11, 0, v28
	v_add_f16_e32 v16, 0, v15
	v_mov_b32_e32 v17, 0xffff8000
	v_cmp_lt_i16_e64 s[14:15], -1, v11
	v_cndmask_b32_e64 v18, -1, v17, s[14:15]
	v_cmp_lt_i16_e64 s[14:15], -1, v16
	v_cndmask_b32_e64 v17, -1, v17, s[14:15]
	v_xor_b32_e32 v11, v18, v11
	v_xor_b32_e32 v16, v17, v16
	v_cmp_le_u16_e64 s[14:15], v11, v16
	s_andn2_b64 s[22:23], s[22:23], exec
	s_and_b64 s[14:15], s[14:15], exec
	s_or_b64 s[22:23], s[22:23], s[14:15]
.LBB1862_87:
	s_or_b64 exec, exec, s[24:25]
	v_cndmask_b32_e64 v16, v14, v10, s[22:23]
	v_cndmask_b32_e64 v11, v27, v26, s[22:23]
	v_mov_b32_e32 v17, 0
	v_add_u32_e32 v22, 1, v16
	v_add_u32_e32 v11, -1, v11
	v_lshlrev_b64 v[18:19], 3, v[16:17]
	v_min_u32_e32 v16, v22, v11
	v_lshlrev_b64 v[20:21], 1, v[16:17]
	v_add_co_u32_e64 v20, s[14:15], v6, v20
	v_addc_co_u32_e64 v21, s[14:15], v7, v21, s[14:15]
	v_add_co_u32_e64 v18, s[14:15], v4, v18
	flat_load_ushort v16, v[20:21]
	v_addc_co_u32_e64 v19, s[14:15], v5, v19, s[14:15]
	flat_load_dwordx2 v[18:19], v[18:19] offset:2048
	v_cndmask_b32_e64 v11, v22, v14, s[22:23]
	v_cndmask_b32_e64 v10, v10, v22, s[22:23]
	v_cmp_lt_u32_e64 s[14:15], v11, v27
	s_waitcnt vmcnt(0) lgkmcnt(0)
	v_cndmask_b32_e64 v14, v16, v15, s[22:23]
	v_cndmask_b32_e64 v29, v28, v16, s[22:23]
	s_and_saveexec_b64 s[24:25], s[14:15]
	s_cbranch_execz .LBB1862_91
; %bb.88:
	v_cmp_lt_u32_e64 s[14:15], v10, v26
	s_mov_b64 s[26:27], 0
	s_and_saveexec_b64 s[16:17], s[14:15]
; %bb.89:
	v_add_f16_e32 v16, 0, v29
	v_add_f16_e32 v20, 0, v14
	v_mov_b32_e32 v21, 0xffff8000
	v_cmp_lt_i16_e64 s[14:15], -1, v16
	v_cndmask_b32_e64 v22, -1, v21, s[14:15]
	v_cmp_lt_i16_e64 s[14:15], -1, v20
	v_cndmask_b32_e64 v21, -1, v21, s[14:15]
	v_xor_b32_e32 v16, v22, v16
	v_xor_b32_e32 v20, v21, v20
	v_cmp_le_u16_e64 s[14:15], v16, v20
	s_and_b64 s[26:27], s[14:15], exec
; %bb.90:
	s_or_b64 exec, exec, s[16:17]
	s_orn2_b64 s[16:17], s[26:27], exec
.LBB1862_91:
	s_or_b64 exec, exec, s[24:25]
	v_cndmask_b32_e64 v16, v11, v10, s[16:17]
	v_cndmask_b32_e64 v22, v27, v26, s[16:17]
	v_lshlrev_b64 v[20:21], 3, v[16:17]
	v_add_u32_e32 v23, 1, v16
	v_add_u32_e32 v16, -1, v22
	v_min_u32_e32 v16, v23, v16
	v_lshlrev_b64 v[16:17], 1, v[16:17]
	v_add_co_u32_e64 v16, s[14:15], v6, v16
	v_addc_co_u32_e64 v17, s[14:15], v7, v17, s[14:15]
	flat_load_ushort v22, v[16:17]
	v_add_co_u32_e64 v16, s[14:15], v4, v20
	v_addc_co_u32_e64 v17, s[14:15], v5, v21, s[14:15]
	flat_load_dwordx2 v[20:21], v[16:17] offset:2048
	v_cndmask_b32_e64 v24, v23, v11, s[16:17]
	s_mov_b64 s[24:25], -1
	v_cndmask_b32_e64 v25, v10, v23, s[16:17]
	v_cmp_lt_u32_e64 s[14:15], v24, v27
	s_mov_b64 s[26:27], -1
	s_waitcnt vmcnt(0) lgkmcnt(0)
	v_cndmask_b32_e64 v16, v22, v14, s[16:17]
	v_cndmask_b32_e64 v17, v29, v22, s[16:17]
	s_and_saveexec_b64 s[28:29], s[14:15]
	s_cbranch_execz .LBB1862_95
; %bb.92:
	v_cmp_lt_u32_e64 s[14:15], v25, v26
	s_mov_b64 s[30:31], 0
	s_and_saveexec_b64 s[26:27], s[14:15]
; %bb.93:
	v_add_f16_e32 v10, 0, v17
	v_add_f16_e32 v11, 0, v16
	v_mov_b32_e32 v22, 0xffff8000
	v_cmp_lt_i16_e64 s[14:15], -1, v10
	v_cndmask_b32_e64 v23, -1, v22, s[14:15]
	v_cmp_lt_i16_e64 s[14:15], -1, v11
	v_cndmask_b32_e64 v22, -1, v22, s[14:15]
	v_xor_b32_e32 v10, v23, v10
	v_xor_b32_e32 v11, v22, v11
	v_cmp_le_u16_e64 s[14:15], v10, v11
	s_and_b64 s[30:31], s[14:15], exec
; %bb.94:
	s_or_b64 exec, exec, s[26:27]
	s_orn2_b64 s[26:27], s[30:31], exec
.LBB1862_95:
	s_or_b64 exec, exec, s[28:29]
	v_cndmask_b32_e64 v10, v24, v25, s[26:27]
	v_cndmask_b32_e64 v30, v27, v26, s[26:27]
	v_mov_b32_e32 v11, 0
	v_lshlrev_b64 v[22:23], 3, v[10:11]
	v_add_u32_e32 v32, 1, v10
	v_add_u32_e32 v10, -1, v30
	v_min_u32_e32 v10, v32, v10
	v_lshlrev_b64 v[30:31], 1, v[10:11]
	v_add_co_u32_e64 v6, s[14:15], v6, v30
	v_addc_co_u32_e64 v7, s[14:15], v7, v31, s[14:15]
	flat_load_ushort v30, v[6:7]
	v_add_co_u32_e64 v6, s[14:15], v4, v22
	v_addc_co_u32_e64 v7, s[14:15], v5, v23, s[14:15]
	flat_load_dwordx2 v[22:23], v[6:7] offset:2048
	v_cndmask_b32_e64 v10, v32, v24, s[26:27]
	v_cndmask_b32_e64 v24, v25, v32, s[26:27]
	v_cmp_lt_u32_e64 s[14:15], v10, v27
	s_waitcnt vmcnt(0) lgkmcnt(0)
	v_cndmask_b32_e64 v6, v30, v16, s[26:27]
	v_cndmask_b32_e64 v7, v17, v30, s[26:27]
	s_and_saveexec_b64 s[28:29], s[14:15]
	s_cbranch_execz .LBB1862_99
; %bb.96:
	v_cmp_lt_u32_e64 s[14:15], v24, v26
	s_mov_b64 s[30:31], 0
	s_and_saveexec_b64 s[24:25], s[14:15]
; %bb.97:
	v_add_f16_e32 v25, 0, v7
	v_add_f16_e32 v26, 0, v6
	v_mov_b32_e32 v27, 0xffff8000
	v_cmp_lt_i16_e64 s[14:15], -1, v25
	v_cndmask_b32_e64 v30, -1, v27, s[14:15]
	v_cmp_lt_i16_e64 s[14:15], -1, v26
	v_cndmask_b32_e64 v27, -1, v27, s[14:15]
	v_xor_b32_e32 v25, v30, v25
	v_xor_b32_e32 v26, v27, v26
	v_cmp_le_u16_e64 s[14:15], v25, v26
	s_and_b64 s[30:31], s[14:15], exec
; %bb.98:
	s_or_b64 exec, exec, s[24:25]
	s_orn2_b64 s[24:25], s[30:31], exec
.LBB1862_99:
	s_or_b64 exec, exec, s[28:29]
	v_cndmask_b32_e64 v10, v10, v24, s[24:25]
	v_lshlrev_b64 v[10:11], 3, v[10:11]
	v_add_co_u32_e64 v4, s[14:15], v4, v10
	v_addc_co_u32_e64 v5, s[14:15], v5, v11, s[14:15]
	flat_load_dwordx2 v[24:25], v[4:5] offset:2048
	v_cndmask_b32_e64 v51, v16, v17, s[26:27]
	v_cndmask_b32_e64 v49, v14, v29, s[16:17]
	;; [unrolled: 1-line block ×4, first 2 shown]
.LBB1862_100:
	s_or_b64 exec, exec, s[20:21]
	v_add_co_u32_e64 v2, s[14:15], v2, v12
	v_addc_co_u32_e64 v3, s[14:15], v3, v13, s[14:15]
	v_add_co_u32_e64 v2, s[14:15], v2, v37
	v_addc_co_u32_e64 v3, s[14:15], 0, v3, s[14:15]
	; wave barrier
	s_waitcnt lgkmcnt(0)
	s_barrier
	s_waitcnt lgkmcnt(0)
	; wave barrier
	s_and_saveexec_b64 s[14:15], vcc
	s_cbranch_execnz .LBB1862_218
; %bb.101:
	s_or_b64 exec, exec, s[14:15]
	s_and_saveexec_b64 s[14:15], s[4:5]
	s_cbranch_execnz .LBB1862_219
.LBB1862_102:
	s_or_b64 exec, exec, s[14:15]
	s_and_saveexec_b64 s[14:15], s[6:7]
	s_cbranch_execnz .LBB1862_220
.LBB1862_103:
	s_or_b64 exec, exec, s[14:15]
	s_and_saveexec_b64 s[14:15], s[10:11]
	s_cbranch_execz .LBB1862_105
.LBB1862_104:
	flat_store_short v[2:3], v48 offset:6
.LBB1862_105:
	s_or_b64 exec, exec, s[14:15]
	v_add_co_u32_e64 v0, s[14:15], v8, v0
	v_addc_co_u32_e64 v1, s[14:15], v9, v1, s[14:15]
	v_add_co_u32_e64 v0, s[14:15], v0, v39
	v_addc_co_u32_e64 v1, s[14:15], 0, v1, s[14:15]
	; wave barrier
	s_and_saveexec_b64 s[14:15], vcc
	s_cbranch_execnz .LBB1862_221
; %bb.106:
	s_or_b64 exec, exec, s[14:15]
	s_and_saveexec_b64 s[14:15], s[4:5]
	s_cbranch_execnz .LBB1862_222
.LBB1862_107:
	s_or_b64 exec, exec, s[14:15]
	s_and_saveexec_b64 s[4:5], s[6:7]
	s_cbranch_execz .LBB1862_109
.LBB1862_108:
	flat_store_dwordx2 v[0:1], v[22:23] offset:16
.LBB1862_109:
	s_or_b64 exec, exec, s[4:5]
	s_and_b64 s[16:17], s[10:11], exec
                                        ; implicit-def: $vgpr14
                                        ; implicit-def: $vgpr38
                                        ; implicit-def: $vgpr0_vgpr1
                                        ; implicit-def: $vgpr4
                                        ; implicit-def: $vgpr5
                                        ; implicit-def: $vgpr6
                                        ; implicit-def: $vgpr7
                                        ; implicit-def: $vgpr10
                                        ; implicit-def: $vgpr15
                                        ; implicit-def: $vgpr16
                                        ; implicit-def: $vgpr12_vgpr13
                                        ; implicit-def: $vgpr37
                                        ; implicit-def: $vgpr31
	s_andn2_saveexec_b64 s[18:19], s[18:19]
	s_cbranch_execz .LBB1862_2
.LBB1862_110:
	v_mov_b32_e32 v49, 0x7fff
	v_mov_b32_e32 v50, 0x7fff
	s_and_saveexec_b64 s[4:5], vcc
	s_cbranch_execz .LBB1862_112
; %bb.111:
	flat_load_ushort v50, v[0:1]
.LBB1862_112:
	s_or_b64 exec, exec, s[4:5]
	v_or_b32_e32 v2, 1, v36
	v_cmp_lt_u32_e64 s[4:5], v2, v14
	s_and_saveexec_b64 s[6:7], s[4:5]
	s_cbranch_execz .LBB1862_114
; %bb.113:
	flat_load_ushort v49, v[0:1] offset:2
.LBB1862_114:
	s_or_b64 exec, exec, s[6:7]
	v_or_b32_e32 v2, 2, v36
	v_cmp_lt_u32_e64 s[6:7], v2, v14
	v_mov_b32_e32 v48, 0x7fff
	v_mov_b32_e32 v51, 0x7fff
	s_and_saveexec_b64 s[10:11], s[6:7]
	s_cbranch_execz .LBB1862_116
; %bb.115:
	flat_load_ushort v51, v[0:1] offset:4
.LBB1862_116:
	s_or_b64 exec, exec, s[10:11]
	v_or_b32_e32 v2, 3, v36
	v_cmp_lt_u32_e64 s[10:11], v2, v14
	s_and_saveexec_b64 s[14:15], s[10:11]
	s_cbranch_execz .LBB1862_118
; %bb.117:
	flat_load_ushort v48, v[0:1] offset:6
.LBB1862_118:
	s_or_b64 exec, exec, s[14:15]
	v_lshlrev_b64 v[0:1], 3, v[34:35]
	v_add_co_u32_e64 v2, s[14:15], v6, v0
	v_addc_co_u32_e64 v3, s[14:15], v7, v1, s[14:15]
	v_lshlrev_b32_e32 v39, 3, v36
	v_add_co_u32_e64 v2, s[14:15], v2, v39
	v_addc_co_u32_e64 v3, s[14:15], 0, v3, s[14:15]
	; wave barrier
                                        ; implicit-def: $vgpr18_vgpr19_vgpr20_vgpr21_vgpr22_vgpr23_vgpr24_vgpr25
	s_and_saveexec_b64 s[14:15], vcc
	s_cbranch_execnz .LBB1862_223
; %bb.119:
	s_or_b64 exec, exec, s[14:15]
	s_and_saveexec_b64 s[14:15], s[4:5]
	s_cbranch_execnz .LBB1862_224
.LBB1862_120:
	s_or_b64 exec, exec, s[14:15]
	s_and_saveexec_b64 s[14:15], s[6:7]
	s_cbranch_execnz .LBB1862_225
.LBB1862_121:
	s_or_b64 exec, exec, s[14:15]
	s_and_saveexec_b64 s[14:15], s[10:11]
	s_cbranch_execz .LBB1862_123
.LBB1862_122:
	s_waitcnt vmcnt(0)
	flat_load_dwordx2 v[24:25], v[2:3] offset:24
.LBB1862_123:
	s_or_b64 exec, exec, s[14:15]
	; wave barrier
	s_load_dwordx2 s[14:15], s[8:9], 0x0
	v_mov_b32_e32 v2, 0
	v_bfe_u32 v7, v31, 20, 10
	v_and_b32_e32 v8, 0x3ff, v31
	s_waitcnt lgkmcnt(0)
	s_cmp_lt_u32 s12, s14
	s_cselect_b32 s14, 12, 18
	s_cmp_lt_u32 s13, s15
	s_cselect_b32 s12, 14, 20
	s_add_u32 s12, s8, s12
	s_addc_u32 s13, s9, 0
	s_add_u32 s8, s8, s14
	s_addc_u32 s9, s9, 0
	global_load_ushort v3, v2, s[12:13]
	global_load_ushort v6, v2, s[8:9]
	v_bfe_u32 v2, v31, 10, 10
	s_movk_i32 s8, 0x400
	s_waitcnt vmcnt(0)
	v_mad_u32_u24 v2, v7, v3, v2
	v_mul_lo_u32 v2, v2, v6
	v_add_lshl_u32 v2, v2, v8, 2
	v_cmp_gt_u32_e64 s[8:9], s8, v2
	s_and_saveexec_b64 s[14:15], s[8:9]
	s_cbranch_execz .LBB1862_133
; %bb.124:
	v_add_f16_e32 v3, 0, v50
	v_add_f16_e32 v7, 0, v49
	v_mov_b32_e32 v6, 0xffff8000
	v_cmp_lt_i16_e64 s[8:9], -1, v3
	v_cndmask_b32_e64 v8, -1, v6, s[8:9]
	v_cmp_lt_i16_e64 s[8:9], -1, v7
	v_xor_b32_e32 v3, v8, v3
	v_cndmask_b32_e64 v8, -1, v6, s[8:9]
	v_xor_b32_e32 v7, v8, v7
	v_cmp_gt_u16_e64 s[8:9], v3, v7
	v_add_f16_e32 v7, 0, v51
	v_add_f16_e32 v9, 0, v48
	v_cmp_lt_i16_e64 s[12:13], -1, v7
	v_cndmask_b32_e64 v3, -1, v6, s[12:13]
	v_cmp_lt_i16_e64 s[12:13], -1, v9
	v_xor_b32_e32 v8, v3, v7
	v_cndmask_b32_e64 v3, -1, v6, s[12:13]
	v_xor_b32_e32 v14, v3, v9
	v_cndmask_b32_e64 v29, v21, v19, s[8:9]
	v_cndmask_b32_e64 v28, v20, v18, s[8:9]
	;; [unrolled: 1-line block ×4, first 2 shown]
	v_cmp_gt_u16_e64 s[12:13], v8, v14
	v_mov_b32_e32 v3, v51
	v_pk_mov_b32 v[30:31], v[22:23], v[22:23] op_sel:[0,1]
	v_pk_mov_b32 v[32:33], v[24:25], v[24:25] op_sel:[0,1]
	s_and_saveexec_b64 s[20:21], s[12:13]
; %bb.125:
	v_mov_b32_e32 v7, v9
	v_mov_b32_e32 v8, v14
	;; [unrolled: 1-line block ×4, first 2 shown]
	v_pk_mov_b32 v[30:31], v[24:25], v[24:25] op_sel:[0,1]
	v_pk_mov_b32 v[32:33], v[22:23], v[22:23] op_sel:[0,1]
; %bb.126:
	s_or_b64 exec, exec, s[20:21]
	v_cndmask_b32_e64 v9, v49, v50, s[8:9]
	v_add_f16_e32 v14, 0, v9
	v_cmp_lt_i16_e64 s[12:13], -1, v14
	v_cndmask_b32_e64 v6, -1, v6, s[12:13]
	v_xor_b32_e32 v6, v6, v14
	v_cmp_gt_u16_e64 s[12:13], v6, v8
	v_mov_b32_e32 v17, v7
	v_mov_b32_e32 v6, v9
	s_and_saveexec_b64 s[20:21], s[12:13]
	s_xor_b64 s[12:13], exec, s[20:21]
	s_cbranch_execz .LBB1862_128
; %bb.127:
	v_pk_mov_b32 v[18:19], v[26:27], v[26:27] op_sel:[0,1]
	v_pk_mov_b32 v[24:25], v[32:33], v[32:33] op_sel:[0,1]
	;; [unrolled: 1-line block ×4, first 2 shown]
	v_mov_b32_e32 v24, v32
	v_mov_b32_e32 v25, v33
	;; [unrolled: 1-line block ×6, first 2 shown]
	v_pk_mov_b32 v[32:33], v[24:25], v[24:25] op_sel:[0,1]
	v_pk_mov_b32 v[30:31], v[22:23], v[22:23] op_sel:[0,1]
	v_pk_mov_b32 v[28:29], v[20:21], v[20:21] op_sel:[0,1]
	v_pk_mov_b32 v[26:27], v[18:19], v[18:19] op_sel:[0,1]
	v_mov_b32_e32 v17, v14
	v_mov_b32_e32 v6, v3
	;; [unrolled: 1-line block ×4, first 2 shown]
.LBB1862_128:
	s_or_b64 exec, exec, s[12:13]
	v_cndmask_b32_e64 v7, v50, v49, s[8:9]
	v_add_f16_e32 v9, 0, v7
	v_mov_b32_e32 v8, 0xffff8000
	v_cmp_lt_i16_e64 s[8:9], -1, v9
	v_cndmask_b32_e64 v18, -1, v8, s[8:9]
	v_cmp_lt_i16_e64 s[8:9], -1, v14
	v_xor_b32_e32 v9, v18, v9
	v_cndmask_b32_e64 v18, -1, v8, s[8:9]
	v_xor_b32_e32 v14, v18, v14
	v_cmp_gt_u16_e64 s[8:9], v9, v14
	v_add_f16_e32 v9, 0, v48
	v_cmp_lt_i16_e64 s[12:13], -1, v17
	v_cndmask_b32_e64 v14, -1, v8, s[12:13]
	v_cmp_lt_i16_e64 s[12:13], -1, v9
	v_xor_b32_e32 v14, v14, v17
	v_cndmask_b32_e64 v17, -1, v8, s[12:13]
	v_xor_b32_e32 v17, v17, v9
	v_cndmask_b32_e64 v21, v29, v27, s[8:9]
	v_cndmask_b32_e64 v20, v28, v26, s[8:9]
	;; [unrolled: 1-line block ×4, first 2 shown]
	v_mov_b32_e32 v22, v30
	v_mov_b32_e32 v23, v31
	;; [unrolled: 1-line block ×4, first 2 shown]
	v_cmp_gt_u16_e64 s[12:13], v14, v17
	v_mov_b32_e32 v9, v3
	s_and_saveexec_b64 s[20:21], s[12:13]
	s_cbranch_execz .LBB1862_130
; %bb.129:
	v_mov_b32_e32 v26, v18
	v_mov_b32_e32 v27, v19
	;; [unrolled: 1-line block ×8, first 2 shown]
	v_pk_mov_b32 v[18:19], v[26:27], v[26:27] op_sel:[0,1]
	v_mov_b32_e32 v14, v17
	v_mov_b32_e32 v9, v48
	;; [unrolled: 1-line block ×3, first 2 shown]
	v_pk_mov_b32 v[20:21], v[28:29], v[28:29] op_sel:[0,1]
	v_pk_mov_b32 v[22:23], v[30:31], v[30:31] op_sel:[0,1]
	;; [unrolled: 1-line block ×3, first 2 shown]
.LBB1862_130:
	s_or_b64 exec, exec, s[20:21]
	v_cndmask_b32_e64 v49, v6, v7, s[8:9]
	v_add_f16_e32 v3, 0, v49
	v_cmp_lt_i16_e64 s[12:13], -1, v3
	v_cndmask_b32_e64 v8, -1, v8, s[12:13]
	v_xor_b32_e32 v3, v8, v3
	v_cmp_gt_u16_e64 s[12:13], v3, v14
	v_mov_b32_e32 v51, v9
	s_and_saveexec_b64 s[20:21], s[12:13]
	s_cbranch_execz .LBB1862_132
; %bb.131:
	v_mov_b32_e32 v26, v18
	v_mov_b32_e32 v27, v19
	;; [unrolled: 1-line block ×8, first 2 shown]
	v_pk_mov_b32 v[18:19], v[26:27], v[26:27] op_sel:[0,1]
	v_pk_mov_b32 v[20:21], v[28:29], v[28:29] op_sel:[0,1]
	;; [unrolled: 1-line block ×4, first 2 shown]
	v_mov_b32_e32 v51, v49
	v_mov_b32_e32 v49, v9
.LBB1862_132:
	s_or_b64 exec, exec, s[20:21]
	v_cndmask_b32_e64 v50, v7, v6, s[8:9]
.LBB1862_133:
	s_or_b64 exec, exec, s[14:15]
	v_and_b32_e32 v26, 0xffffff00, v2
	v_mov_b32_e32 v27, 0
	s_movk_i32 s8, 0x400
	v_lshlrev_b64 v[2:3], 1, v[26:27]
	v_sub_u32_e64 v30, s8, v26 clamp
	v_add_co_u32_e64 v6, s[8:9], v15, v2
	v_addc_co_u32_e64 v7, s[8:9], v16, v3, s[8:9]
	v_mad_u64_u32 v[2:3], s[8:9], v26, 6, v[6:7]
	v_lshlrev_b32_e32 v8, 1, v38
	v_add_co_u32_e64 v8, s[8:9], v6, v8
	v_addc_co_u32_e64 v9, s[8:9], 0, v7, s[8:9]
	v_lshlrev_b32_e32 v14, 3, v38
	v_add_co_u32_e64 v16, s[8:9], v2, v14
	v_addc_co_u32_e64 v17, s[8:9], 0, v3, s[8:9]
	s_movk_i32 s8, 0x800
	v_add_co_u32_e64 v14, s[8:9], s8, v16
	v_addc_co_u32_e64 v15, s[8:9], 0, v17, s[8:9]
	v_or_b32_e32 v26, 4, v38
	s_mov_b32 s8, 0x5040100
	v_min_u32_e32 v31, v30, v26
	v_perm_b32 v29, v48, v51, s8
	v_perm_b32 v28, v49, v50, s8
	v_add_u32_e32 v26, 4, v31
	flat_store_dwordx4 v[16:17], v[18:21] offset:2048
	flat_store_dwordx2 v[8:9], v[28:29]
	flat_store_dwordx4 v[16:17], v[22:25] offset:2064
	v_and_b32_e32 v28, 0x1f8, v38
	v_min_u32_e32 v32, v30, v26
	v_and_b32_e32 v26, 4, v38
	v_min_u32_e32 v29, v30, v26
	v_sub_u32_e32 v26, v31, v28
	v_sub_u32_e32 v33, v32, v31
	v_sub_u32_e64 v33, v29, v33 clamp
	v_min_u32_e32 v52, v29, v26
	v_cmp_lt_u32_e64 s[8:9], v33, v52
	; wave barrier
	s_and_saveexec_b64 s[12:13], s[8:9]
	s_cbranch_execz .LBB1862_137
; %bb.134:
	v_lshlrev_b32_e32 v26, 1, v28
	v_add_co_u32_e64 v53, s[8:9], v6, v26
	v_addc_co_u32_e64 v54, s[8:9], 0, v7, s[8:9]
	v_lshlrev_b32_e32 v26, 1, v31
	v_add_co_u32_e64 v55, s[8:9], v6, v26
	v_addc_co_u32_e64 v64, s[8:9], 0, v7, s[8:9]
	s_mov_b64 s[14:15], 0
	v_mov_b32_e32 v65, 0xffff8000
.LBB1862_135:                           ; =>This Inner Loop Header: Depth=1
	v_add_u32_e32 v26, v52, v33
	v_and_b32_e32 v66, -2, v26
	v_lshrrev_b32_e32 v68, 1, v26
	v_add_co_u32_e64 v66, s[8:9], v53, v66
	v_xad_u32 v26, v68, -1, v29
	v_addc_co_u32_e64 v67, s[8:9], 0, v54, s[8:9]
	flat_load_ushort v69, v[66:67]
	v_lshlrev_b64 v[66:67], 1, v[26:27]
	v_add_co_u32_e64 v66, s[8:9], v55, v66
	v_addc_co_u32_e64 v67, s[8:9], v64, v67, s[8:9]
	flat_load_ushort v26, v[66:67]
	v_add_u32_e32 v66, 1, v68
	s_waitcnt vmcnt(0) lgkmcnt(0)
	v_add_f16_e32 v67, 0, v69
	v_cmp_lt_i16_e64 s[8:9], -1, v67
	v_cndmask_b32_e64 v69, -1, v65, s[8:9]
	v_xor_b32_e32 v67, v69, v67
	v_add_f16_e32 v26, 0, v26
	v_cmp_lt_i16_e64 s[8:9], -1, v26
	v_cndmask_b32_e64 v69, -1, v65, s[8:9]
	v_xor_b32_e32 v26, v69, v26
	v_cmp_gt_u16_e64 s[8:9], v67, v26
	v_cndmask_b32_e64 v52, v52, v68, s[8:9]
	v_cndmask_b32_e64 v33, v66, v33, s[8:9]
	v_cmp_ge_u32_e64 s[8:9], v33, v52
	s_or_b64 s[14:15], s[8:9], s[14:15]
	s_andn2_b64 exec, exec, s[14:15]
	s_cbranch_execnz .LBB1862_135
; %bb.136:
	s_or_b64 exec, exec, s[14:15]
.LBB1862_137:
	s_or_b64 exec, exec, s[12:13]
	v_add_u32_e32 v27, v31, v29
	v_add_u32_e32 v26, v33, v28
	v_sub_u32_e32 v28, v27, v33
	v_cmp_le_u32_e64 s[8:9], v26, v31
	v_cmp_le_u32_e64 s[12:13], v28, v32
	s_or_b64 s[8:9], s[8:9], s[12:13]
	s_and_saveexec_b64 s[14:15], s[8:9]
	s_cbranch_execz .LBB1862_157
; %bb.138:
	v_cmp_ge_u32_e64 s[8:9], v26, v31
	v_cmp_lt_u32_e64 s[12:13], v26, v31
                                        ; implicit-def: $vgpr27
	s_and_saveexec_b64 s[20:21], s[12:13]
	s_cbranch_execz .LBB1862_140
; %bb.139:
	v_mov_b32_e32 v27, 0
	v_lshlrev_b64 v[18:19], 1, v[26:27]
	v_add_co_u32_e64 v18, s[12:13], v6, v18
	v_addc_co_u32_e64 v19, s[12:13], v7, v19, s[12:13]
	flat_load_ushort v27, v[18:19]
.LBB1862_140:
	s_or_b64 exec, exec, s[20:21]
	v_cmp_ge_u32_e64 s[20:21], v28, v32
	v_cmp_lt_u32_e64 s[12:13], v28, v32
                                        ; implicit-def: $vgpr29
	s_and_saveexec_b64 s[22:23], s[12:13]
	s_cbranch_execz .LBB1862_142
; %bb.141:
	v_mov_b32_e32 v29, 0
	v_lshlrev_b64 v[18:19], 1, v[28:29]
	v_add_co_u32_e64 v18, s[12:13], v6, v18
	v_addc_co_u32_e64 v19, s[12:13], v7, v19, s[12:13]
	flat_load_ushort v29, v[18:19]
.LBB1862_142:
	s_or_b64 exec, exec, s[22:23]
	s_or_b64 s[8:9], s[8:9], s[20:21]
	s_mov_b64 s[12:13], -1
	s_xor_b64 s[8:9], s[8:9], -1
	s_and_saveexec_b64 s[22:23], s[8:9]
	s_cbranch_execz .LBB1862_144
; %bb.143:
	s_waitcnt vmcnt(0) lgkmcnt(0)
	v_add_f16_e32 v18, 0, v27
	v_add_f16_e32 v19, 0, v29
	v_mov_b32_e32 v20, 0xffff8000
	v_cmp_lt_i16_e64 s[8:9], -1, v18
	v_cndmask_b32_e64 v21, -1, v20, s[8:9]
	v_cmp_lt_i16_e64 s[8:9], -1, v19
	v_cndmask_b32_e64 v20, -1, v20, s[8:9]
	v_xor_b32_e32 v18, v21, v18
	v_xor_b32_e32 v19, v20, v19
	v_cmp_le_u16_e64 s[8:9], v18, v19
	s_andn2_b64 s[20:21], s[20:21], exec
	s_and_b64 s[8:9], s[8:9], exec
	s_or_b64 s[20:21], s[20:21], s[8:9]
.LBB1862_144:
	s_or_b64 exec, exec, s[22:23]
	v_cndmask_b32_e64 v20, v28, v26, s[20:21]
	v_cndmask_b32_e64 v22, v32, v31, s[20:21]
	v_mov_b32_e32 v21, 0
	v_lshlrev_b64 v[18:19], 3, v[20:21]
	v_add_u32_e32 v24, 1, v20
	v_add_u32_e32 v20, -1, v22
	v_min_u32_e32 v20, v24, v20
	v_lshlrev_b64 v[22:23], 1, v[20:21]
	v_add_co_u32_e64 v22, s[8:9], v6, v22
	v_addc_co_u32_e64 v23, s[8:9], v7, v23, s[8:9]
	v_add_co_u32_e64 v18, s[8:9], v2, v18
	flat_load_ushort v20, v[22:23]
	v_addc_co_u32_e64 v19, s[8:9], v3, v19, s[8:9]
	flat_load_dwordx2 v[18:19], v[18:19] offset:2048
	v_cndmask_b32_e64 v22, v24, v28, s[20:21]
	v_cndmask_b32_e64 v23, v26, v24, s[20:21]
	v_cmp_lt_u32_e64 s[8:9], v22, v32
	s_waitcnt vmcnt(0) lgkmcnt(0)
	v_cndmask_b32_e64 v26, v20, v29, s[20:21]
	v_cndmask_b32_e64 v28, v27, v20, s[20:21]
	s_and_saveexec_b64 s[22:23], s[8:9]
	s_cbranch_execz .LBB1862_148
; %bb.145:
	v_cmp_lt_u32_e64 s[8:9], v23, v31
	s_mov_b64 s[24:25], 0
	s_and_saveexec_b64 s[12:13], s[8:9]
; %bb.146:
	v_add_f16_e32 v20, 0, v28
	v_add_f16_e32 v24, 0, v26
	v_mov_b32_e32 v25, 0xffff8000
	v_cmp_lt_i16_e64 s[8:9], -1, v20
	v_cndmask_b32_e64 v33, -1, v25, s[8:9]
	v_cmp_lt_i16_e64 s[8:9], -1, v24
	v_cndmask_b32_e64 v25, -1, v25, s[8:9]
	v_xor_b32_e32 v20, v33, v20
	v_xor_b32_e32 v24, v25, v24
	v_cmp_le_u16_e64 s[8:9], v20, v24
	s_and_b64 s[24:25], s[8:9], exec
; %bb.147:
	s_or_b64 exec, exec, s[12:13]
	s_orn2_b64 s[12:13], s[24:25], exec
.LBB1862_148:
	s_or_b64 exec, exec, s[22:23]
	v_cndmask_b32_e64 v20, v22, v23, s[12:13]
	v_cndmask_b32_e64 v33, v32, v31, s[12:13]
	v_lshlrev_b64 v[24:25], 3, v[20:21]
	v_add_u32_e32 v48, 1, v20
	v_add_u32_e32 v20, -1, v33
	v_min_u32_e32 v20, v48, v20
	v_lshlrev_b64 v[20:21], 1, v[20:21]
	v_add_co_u32_e64 v20, s[8:9], v6, v20
	v_addc_co_u32_e64 v21, s[8:9], v7, v21, s[8:9]
	flat_load_ushort v51, v[20:21]
	v_add_co_u32_e64 v20, s[8:9], v2, v24
	v_addc_co_u32_e64 v21, s[8:9], v3, v25, s[8:9]
	flat_load_dwordx2 v[20:21], v[20:21] offset:2048
	v_cndmask_b32_e64 v49, v48, v22, s[12:13]
	s_mov_b64 s[22:23], -1
	v_cndmask_b32_e64 v50, v23, v48, s[12:13]
	v_cmp_lt_u32_e64 s[8:9], v49, v32
	s_mov_b64 s[24:25], -1
	s_waitcnt vmcnt(0) lgkmcnt(0)
	v_cndmask_b32_e64 v33, v51, v26, s[12:13]
	v_cndmask_b32_e64 v48, v28, v51, s[12:13]
	s_and_saveexec_b64 s[26:27], s[8:9]
	s_cbranch_execz .LBB1862_152
; %bb.149:
	v_cmp_lt_u32_e64 s[8:9], v50, v31
	s_mov_b64 s[28:29], 0
	s_and_saveexec_b64 s[24:25], s[8:9]
; %bb.150:
	v_add_f16_e32 v22, 0, v48
	v_add_f16_e32 v23, 0, v33
	v_mov_b32_e32 v24, 0xffff8000
	v_cmp_lt_i16_e64 s[8:9], -1, v22
	v_cndmask_b32_e64 v25, -1, v24, s[8:9]
	v_cmp_lt_i16_e64 s[8:9], -1, v23
	v_cndmask_b32_e64 v24, -1, v24, s[8:9]
	v_xor_b32_e32 v22, v25, v22
	v_xor_b32_e32 v23, v24, v23
	v_cmp_le_u16_e64 s[8:9], v22, v23
	s_and_b64 s[28:29], s[8:9], exec
; %bb.151:
	s_or_b64 exec, exec, s[24:25]
	s_orn2_b64 s[24:25], s[28:29], exec
.LBB1862_152:
	s_or_b64 exec, exec, s[26:27]
	v_cndmask_b32_e64 v24, v49, v50, s[24:25]
	v_cndmask_b32_e64 v51, v32, v31, s[24:25]
	v_mov_b32_e32 v25, 0
	v_lshlrev_b64 v[22:23], 3, v[24:25]
	v_add_u32_e32 v54, 1, v24
	v_add_u32_e32 v24, -1, v51
	v_min_u32_e32 v24, v54, v24
	v_lshlrev_b64 v[52:53], 1, v[24:25]
	v_add_co_u32_e64 v52, s[8:9], v6, v52
	v_addc_co_u32_e64 v53, s[8:9], v7, v53, s[8:9]
	v_add_co_u32_e64 v22, s[8:9], v2, v22
	flat_load_ushort v51, v[52:53]
	v_addc_co_u32_e64 v23, s[8:9], v3, v23, s[8:9]
	flat_load_dwordx2 v[22:23], v[22:23] offset:2048
	v_cndmask_b32_e64 v24, v54, v49, s[24:25]
	v_cndmask_b32_e64 v49, v50, v54, s[24:25]
	v_cmp_lt_u32_e64 s[8:9], v24, v32
	s_waitcnt vmcnt(0) lgkmcnt(0)
	v_cndmask_b32_e64 v52, v51, v33, s[24:25]
	v_cndmask_b32_e64 v53, v48, v51, s[24:25]
	s_and_saveexec_b64 s[26:27], s[8:9]
	s_cbranch_execz .LBB1862_156
; %bb.153:
	v_cmp_lt_u32_e64 s[8:9], v49, v31
	s_mov_b64 s[28:29], 0
	s_and_saveexec_b64 s[22:23], s[8:9]
; %bb.154:
	v_add_f16_e32 v31, 0, v53
	v_add_f16_e32 v32, 0, v52
	v_mov_b32_e32 v50, 0xffff8000
	v_cmp_lt_i16_e64 s[8:9], -1, v31
	v_cndmask_b32_e64 v51, -1, v50, s[8:9]
	v_cmp_lt_i16_e64 s[8:9], -1, v32
	v_cndmask_b32_e64 v50, -1, v50, s[8:9]
	v_xor_b32_e32 v31, v51, v31
	v_xor_b32_e32 v32, v50, v32
	v_cmp_le_u16_e64 s[8:9], v31, v32
	s_and_b64 s[28:29], s[8:9], exec
; %bb.155:
	s_or_b64 exec, exec, s[22:23]
	s_orn2_b64 s[22:23], s[28:29], exec
.LBB1862_156:
	s_or_b64 exec, exec, s[26:27]
	v_cndmask_b32_e64 v24, v24, v49, s[22:23]
	v_lshlrev_b64 v[24:25], 3, v[24:25]
	v_add_co_u32_e64 v24, s[8:9], v2, v24
	v_addc_co_u32_e64 v25, s[8:9], v3, v25, s[8:9]
	flat_load_dwordx2 v[24:25], v[24:25] offset:2048
	v_cndmask_b32_e64 v51, v33, v48, s[24:25]
	v_cndmask_b32_e64 v49, v26, v28, s[12:13]
	;; [unrolled: 1-line block ×4, first 2 shown]
.LBB1862_157:
	s_or_b64 exec, exec, s[14:15]
	s_mov_b32 s8, 0x5040100
	v_perm_b32 v27, v48, v51, s8
	v_perm_b32 v26, v49, v50, s8
	v_and_b32_e32 v28, 0x1f0, v38
	; wave barrier
	flat_store_dwordx4 v[16:17], v[18:21] offset:2048
	flat_store_dwordx2 v[8:9], v[26:27]
	s_waitcnt vmcnt(0) lgkmcnt(0)
	flat_store_dwordx4 v[14:15], v[22:25] offset:16
	v_or_b32_e32 v26, 8, v28
	v_min_u32_e32 v31, v30, v26
	v_add_u32_e32 v26, 8, v31
	v_min_u32_e32 v32, v30, v26
	v_and_b32_e32 v26, 12, v38
	v_min_u32_e32 v29, v30, v26
	v_sub_u32_e32 v26, v31, v28
	v_sub_u32_e32 v27, v32, v31
	v_sub_u32_e64 v33, v29, v27 clamp
	v_min_u32_e32 v52, v29, v26
	v_cmp_lt_u32_e64 s[8:9], v33, v52
	; wave barrier
	s_and_saveexec_b64 s[12:13], s[8:9]
	s_cbranch_execz .LBB1862_161
; %bb.158:
	v_lshlrev_b32_e32 v26, 1, v28
	v_add_co_u32_e64 v53, s[8:9], v6, v26
	v_addc_co_u32_e64 v54, s[8:9], 0, v7, s[8:9]
	v_lshlrev_b32_e32 v26, 1, v31
	v_add_co_u32_e64 v55, s[8:9], v6, v26
	v_addc_co_u32_e64 v64, s[8:9], 0, v7, s[8:9]
	s_mov_b64 s[14:15], 0
	v_mov_b32_e32 v65, 0xffff8000
	v_mov_b32_e32 v27, 0
.LBB1862_159:                           ; =>This Inner Loop Header: Depth=1
	v_add_u32_e32 v26, v52, v33
	v_and_b32_e32 v66, -2, v26
	v_lshrrev_b32_e32 v68, 1, v26
	v_add_co_u32_e64 v66, s[8:9], v53, v66
	v_xad_u32 v26, v68, -1, v29
	v_addc_co_u32_e64 v67, s[8:9], 0, v54, s[8:9]
	flat_load_ushort v69, v[66:67]
	v_lshlrev_b64 v[66:67], 1, v[26:27]
	v_add_co_u32_e64 v66, s[8:9], v55, v66
	v_addc_co_u32_e64 v67, s[8:9], v64, v67, s[8:9]
	flat_load_ushort v26, v[66:67]
	v_add_u32_e32 v66, 1, v68
	s_waitcnt vmcnt(0) lgkmcnt(0)
	v_add_f16_e32 v67, 0, v69
	v_cmp_lt_i16_e64 s[8:9], -1, v67
	v_cndmask_b32_e64 v69, -1, v65, s[8:9]
	v_xor_b32_e32 v67, v69, v67
	v_add_f16_e32 v26, 0, v26
	v_cmp_lt_i16_e64 s[8:9], -1, v26
	v_cndmask_b32_e64 v69, -1, v65, s[8:9]
	v_xor_b32_e32 v26, v69, v26
	v_cmp_gt_u16_e64 s[8:9], v67, v26
	v_cndmask_b32_e64 v52, v52, v68, s[8:9]
	v_cndmask_b32_e64 v33, v66, v33, s[8:9]
	v_cmp_ge_u32_e64 s[8:9], v33, v52
	s_or_b64 s[14:15], s[8:9], s[14:15]
	s_andn2_b64 exec, exec, s[14:15]
	s_cbranch_execnz .LBB1862_159
; %bb.160:
	s_or_b64 exec, exec, s[14:15]
.LBB1862_161:
	s_or_b64 exec, exec, s[12:13]
	v_add_u32_e32 v27, v31, v29
	v_add_u32_e32 v26, v33, v28
	v_sub_u32_e32 v28, v27, v33
	v_cmp_le_u32_e64 s[8:9], v26, v31
	v_cmp_le_u32_e64 s[12:13], v28, v32
	s_or_b64 s[8:9], s[8:9], s[12:13]
	s_and_saveexec_b64 s[14:15], s[8:9]
	s_cbranch_execz .LBB1862_181
; %bb.162:
	v_cmp_ge_u32_e64 s[8:9], v26, v31
	v_cmp_lt_u32_e64 s[12:13], v26, v31
                                        ; implicit-def: $vgpr27
	s_and_saveexec_b64 s[20:21], s[12:13]
	s_cbranch_execz .LBB1862_164
; %bb.163:
	v_mov_b32_e32 v27, 0
	v_lshlrev_b64 v[18:19], 1, v[26:27]
	v_add_co_u32_e64 v18, s[12:13], v6, v18
	v_addc_co_u32_e64 v19, s[12:13], v7, v19, s[12:13]
	flat_load_ushort v27, v[18:19]
.LBB1862_164:
	s_or_b64 exec, exec, s[20:21]
	v_cmp_ge_u32_e64 s[20:21], v28, v32
	v_cmp_lt_u32_e64 s[12:13], v28, v32
                                        ; implicit-def: $vgpr29
	s_and_saveexec_b64 s[22:23], s[12:13]
	s_cbranch_execz .LBB1862_166
; %bb.165:
	v_mov_b32_e32 v29, 0
	v_lshlrev_b64 v[18:19], 1, v[28:29]
	v_add_co_u32_e64 v18, s[12:13], v6, v18
	v_addc_co_u32_e64 v19, s[12:13], v7, v19, s[12:13]
	flat_load_ushort v29, v[18:19]
.LBB1862_166:
	s_or_b64 exec, exec, s[22:23]
	s_or_b64 s[8:9], s[8:9], s[20:21]
	s_mov_b64 s[12:13], -1
	s_xor_b64 s[8:9], s[8:9], -1
	s_and_saveexec_b64 s[22:23], s[8:9]
	s_cbranch_execz .LBB1862_168
; %bb.167:
	s_waitcnt vmcnt(0) lgkmcnt(0)
	v_add_f16_e32 v18, 0, v27
	v_add_f16_e32 v19, 0, v29
	v_mov_b32_e32 v20, 0xffff8000
	v_cmp_lt_i16_e64 s[8:9], -1, v18
	v_cndmask_b32_e64 v21, -1, v20, s[8:9]
	v_cmp_lt_i16_e64 s[8:9], -1, v19
	v_cndmask_b32_e64 v20, -1, v20, s[8:9]
	v_xor_b32_e32 v18, v21, v18
	v_xor_b32_e32 v19, v20, v19
	v_cmp_le_u16_e64 s[8:9], v18, v19
	s_andn2_b64 s[20:21], s[20:21], exec
	s_and_b64 s[8:9], s[8:9], exec
	s_or_b64 s[20:21], s[20:21], s[8:9]
.LBB1862_168:
	s_or_b64 exec, exec, s[22:23]
	v_cndmask_b32_e64 v20, v28, v26, s[20:21]
	v_cndmask_b32_e64 v22, v32, v31, s[20:21]
	v_mov_b32_e32 v21, 0
	v_lshlrev_b64 v[18:19], 3, v[20:21]
	v_add_u32_e32 v24, 1, v20
	v_add_u32_e32 v20, -1, v22
	v_min_u32_e32 v20, v24, v20
	v_lshlrev_b64 v[22:23], 1, v[20:21]
	v_add_co_u32_e64 v22, s[8:9], v6, v22
	v_addc_co_u32_e64 v23, s[8:9], v7, v23, s[8:9]
	v_add_co_u32_e64 v18, s[8:9], v2, v18
	flat_load_ushort v20, v[22:23]
	v_addc_co_u32_e64 v19, s[8:9], v3, v19, s[8:9]
	flat_load_dwordx2 v[18:19], v[18:19] offset:2048
	v_cndmask_b32_e64 v22, v24, v28, s[20:21]
	v_cndmask_b32_e64 v23, v26, v24, s[20:21]
	v_cmp_lt_u32_e64 s[8:9], v22, v32
	s_waitcnt vmcnt(0) lgkmcnt(0)
	v_cndmask_b32_e64 v26, v20, v29, s[20:21]
	v_cndmask_b32_e64 v28, v27, v20, s[20:21]
	s_and_saveexec_b64 s[22:23], s[8:9]
	s_cbranch_execz .LBB1862_172
; %bb.169:
	v_cmp_lt_u32_e64 s[8:9], v23, v31
	s_mov_b64 s[24:25], 0
	s_and_saveexec_b64 s[12:13], s[8:9]
; %bb.170:
	v_add_f16_e32 v20, 0, v28
	v_add_f16_e32 v24, 0, v26
	v_mov_b32_e32 v25, 0xffff8000
	v_cmp_lt_i16_e64 s[8:9], -1, v20
	v_cndmask_b32_e64 v33, -1, v25, s[8:9]
	v_cmp_lt_i16_e64 s[8:9], -1, v24
	v_cndmask_b32_e64 v25, -1, v25, s[8:9]
	v_xor_b32_e32 v20, v33, v20
	v_xor_b32_e32 v24, v25, v24
	v_cmp_le_u16_e64 s[8:9], v20, v24
	s_and_b64 s[24:25], s[8:9], exec
; %bb.171:
	s_or_b64 exec, exec, s[12:13]
	s_orn2_b64 s[12:13], s[24:25], exec
.LBB1862_172:
	s_or_b64 exec, exec, s[22:23]
	v_cndmask_b32_e64 v20, v22, v23, s[12:13]
	v_cndmask_b32_e64 v33, v32, v31, s[12:13]
	v_lshlrev_b64 v[24:25], 3, v[20:21]
	v_add_u32_e32 v48, 1, v20
	v_add_u32_e32 v20, -1, v33
	v_min_u32_e32 v20, v48, v20
	v_lshlrev_b64 v[20:21], 1, v[20:21]
	v_add_co_u32_e64 v20, s[8:9], v6, v20
	v_addc_co_u32_e64 v21, s[8:9], v7, v21, s[8:9]
	flat_load_ushort v51, v[20:21]
	v_add_co_u32_e64 v20, s[8:9], v2, v24
	v_addc_co_u32_e64 v21, s[8:9], v3, v25, s[8:9]
	flat_load_dwordx2 v[20:21], v[20:21] offset:2048
	v_cndmask_b32_e64 v49, v48, v22, s[12:13]
	s_mov_b64 s[22:23], -1
	v_cndmask_b32_e64 v50, v23, v48, s[12:13]
	v_cmp_lt_u32_e64 s[8:9], v49, v32
	s_mov_b64 s[24:25], -1
	s_waitcnt vmcnt(0) lgkmcnt(0)
	v_cndmask_b32_e64 v33, v51, v26, s[12:13]
	v_cndmask_b32_e64 v48, v28, v51, s[12:13]
	s_and_saveexec_b64 s[26:27], s[8:9]
	s_cbranch_execz .LBB1862_176
; %bb.173:
	v_cmp_lt_u32_e64 s[8:9], v50, v31
	s_mov_b64 s[28:29], 0
	s_and_saveexec_b64 s[24:25], s[8:9]
; %bb.174:
	v_add_f16_e32 v22, 0, v48
	v_add_f16_e32 v23, 0, v33
	v_mov_b32_e32 v24, 0xffff8000
	v_cmp_lt_i16_e64 s[8:9], -1, v22
	v_cndmask_b32_e64 v25, -1, v24, s[8:9]
	v_cmp_lt_i16_e64 s[8:9], -1, v23
	v_cndmask_b32_e64 v24, -1, v24, s[8:9]
	v_xor_b32_e32 v22, v25, v22
	v_xor_b32_e32 v23, v24, v23
	v_cmp_le_u16_e64 s[8:9], v22, v23
	s_and_b64 s[28:29], s[8:9], exec
; %bb.175:
	s_or_b64 exec, exec, s[24:25]
	s_orn2_b64 s[24:25], s[28:29], exec
.LBB1862_176:
	s_or_b64 exec, exec, s[26:27]
	v_cndmask_b32_e64 v24, v49, v50, s[24:25]
	v_cndmask_b32_e64 v51, v32, v31, s[24:25]
	v_mov_b32_e32 v25, 0
	v_lshlrev_b64 v[22:23], 3, v[24:25]
	v_add_u32_e32 v54, 1, v24
	v_add_u32_e32 v24, -1, v51
	v_min_u32_e32 v24, v54, v24
	v_lshlrev_b64 v[52:53], 1, v[24:25]
	v_add_co_u32_e64 v52, s[8:9], v6, v52
	v_addc_co_u32_e64 v53, s[8:9], v7, v53, s[8:9]
	v_add_co_u32_e64 v22, s[8:9], v2, v22
	flat_load_ushort v51, v[52:53]
	v_addc_co_u32_e64 v23, s[8:9], v3, v23, s[8:9]
	flat_load_dwordx2 v[22:23], v[22:23] offset:2048
	v_cndmask_b32_e64 v24, v54, v49, s[24:25]
	v_cndmask_b32_e64 v49, v50, v54, s[24:25]
	v_cmp_lt_u32_e64 s[8:9], v24, v32
	s_waitcnt vmcnt(0) lgkmcnt(0)
	v_cndmask_b32_e64 v52, v51, v33, s[24:25]
	v_cndmask_b32_e64 v53, v48, v51, s[24:25]
	s_and_saveexec_b64 s[26:27], s[8:9]
	s_cbranch_execz .LBB1862_180
; %bb.177:
	v_cmp_lt_u32_e64 s[8:9], v49, v31
	s_mov_b64 s[28:29], 0
	s_and_saveexec_b64 s[22:23], s[8:9]
; %bb.178:
	v_add_f16_e32 v31, 0, v53
	v_add_f16_e32 v32, 0, v52
	v_mov_b32_e32 v50, 0xffff8000
	v_cmp_lt_i16_e64 s[8:9], -1, v31
	v_cndmask_b32_e64 v51, -1, v50, s[8:9]
	v_cmp_lt_i16_e64 s[8:9], -1, v32
	v_cndmask_b32_e64 v50, -1, v50, s[8:9]
	v_xor_b32_e32 v31, v51, v31
	v_xor_b32_e32 v32, v50, v32
	v_cmp_le_u16_e64 s[8:9], v31, v32
	s_and_b64 s[28:29], s[8:9], exec
; %bb.179:
	s_or_b64 exec, exec, s[22:23]
	s_orn2_b64 s[22:23], s[28:29], exec
.LBB1862_180:
	s_or_b64 exec, exec, s[26:27]
	v_cndmask_b32_e64 v24, v24, v49, s[22:23]
	v_lshlrev_b64 v[24:25], 3, v[24:25]
	v_add_co_u32_e64 v24, s[8:9], v2, v24
	v_addc_co_u32_e64 v25, s[8:9], v3, v25, s[8:9]
	flat_load_dwordx2 v[24:25], v[24:25] offset:2048
	v_cndmask_b32_e64 v51, v33, v48, s[24:25]
	v_cndmask_b32_e64 v49, v26, v28, s[12:13]
	v_cndmask_b32_e64 v50, v29, v27, s[20:21]
	v_cndmask_b32_e64 v48, v52, v53, s[22:23]
.LBB1862_181:
	s_or_b64 exec, exec, s[14:15]
	s_mov_b32 s8, 0x5040100
	; wave barrier
	flat_store_dwordx4 v[16:17], v[18:21] offset:2048
	v_perm_b32 v17, v48, v51, s8
	v_perm_b32 v16, v49, v50, s8
	flat_store_dwordx2 v[8:9], v[16:17]
	s_waitcnt vmcnt(0) lgkmcnt(0)
	flat_store_dwordx4 v[14:15], v[22:25] offset:16
	v_and_b32_e32 v14, 0x1e0, v38
	v_or_b32_e32 v8, 16, v14
	v_min_u32_e32 v26, v30, v8
	v_add_u32_e32 v8, 16, v26
	v_min_u32_e32 v27, v30, v8
	v_min_u32_e32 v15, v30, v36
	v_sub_u32_e32 v8, v26, v14
	v_sub_u32_e32 v9, v27, v26
	v_sub_u32_e64 v16, v15, v9 clamp
	v_min_u32_e32 v17, v15, v8
	v_cmp_lt_u32_e64 s[8:9], v16, v17
	; wave barrier
	s_and_saveexec_b64 s[12:13], s[8:9]
	s_cbranch_execz .LBB1862_185
; %bb.182:
	v_lshlrev_b32_e32 v8, 1, v14
	v_add_co_u32_e64 v28, s[8:9], v6, v8
	v_addc_co_u32_e64 v29, s[8:9], 0, v7, s[8:9]
	v_lshlrev_b32_e32 v8, 1, v26
	v_add_co_u32_e64 v30, s[8:9], v6, v8
	v_addc_co_u32_e64 v31, s[8:9], 0, v7, s[8:9]
	s_mov_b64 s[14:15], 0
	v_mov_b32_e32 v32, 0xffff8000
	v_mov_b32_e32 v9, 0
.LBB1862_183:                           ; =>This Inner Loop Header: Depth=1
	v_add_u32_e32 v8, v17, v16
	v_and_b32_e32 v38, -2, v8
	v_lshrrev_b32_e32 v33, 1, v8
	v_add_co_u32_e64 v52, s[8:9], v28, v38
	v_xad_u32 v8, v33, -1, v15
	v_addc_co_u32_e64 v53, s[8:9], 0, v29, s[8:9]
	flat_load_ushort v38, v[52:53]
	v_lshlrev_b64 v[52:53], 1, v[8:9]
	v_add_co_u32_e64 v52, s[8:9], v30, v52
	v_addc_co_u32_e64 v53, s[8:9], v31, v53, s[8:9]
	flat_load_ushort v8, v[52:53]
	v_add_u32_e32 v52, 1, v33
	s_waitcnt vmcnt(0) lgkmcnt(0)
	v_add_f16_e32 v38, 0, v38
	v_cmp_lt_i16_e64 s[8:9], -1, v38
	v_cndmask_b32_e64 v53, -1, v32, s[8:9]
	v_xor_b32_e32 v38, v53, v38
	v_add_f16_e32 v8, 0, v8
	v_cmp_lt_i16_e64 s[8:9], -1, v8
	v_cndmask_b32_e64 v53, -1, v32, s[8:9]
	v_xor_b32_e32 v8, v53, v8
	v_cmp_gt_u16_e64 s[8:9], v38, v8
	v_cndmask_b32_e64 v17, v17, v33, s[8:9]
	v_cndmask_b32_e64 v16, v52, v16, s[8:9]
	v_cmp_ge_u32_e64 s[8:9], v16, v17
	s_or_b64 s[14:15], s[8:9], s[14:15]
	s_andn2_b64 exec, exec, s[14:15]
	s_cbranch_execnz .LBB1862_183
; %bb.184:
	s_or_b64 exec, exec, s[14:15]
.LBB1862_185:
	s_or_b64 exec, exec, s[12:13]
	v_add_u32_e32 v9, v26, v15
	v_add_u32_e32 v8, v16, v14
	v_sub_u32_e32 v14, v9, v16
	v_cmp_le_u32_e64 s[8:9], v8, v26
	v_cmp_le_u32_e64 s[12:13], v14, v27
	s_or_b64 s[8:9], s[8:9], s[12:13]
	s_and_saveexec_b64 s[14:15], s[8:9]
	s_cbranch_execz .LBB1862_205
; %bb.186:
	v_cmp_ge_u32_e64 s[8:9], v8, v26
	v_cmp_lt_u32_e64 s[12:13], v8, v26
                                        ; implicit-def: $vgpr28
	s_and_saveexec_b64 s[20:21], s[12:13]
	s_cbranch_execz .LBB1862_188
; %bb.187:
	v_mov_b32_e32 v9, 0
	v_lshlrev_b64 v[16:17], 1, v[8:9]
	v_add_co_u32_e64 v16, s[12:13], v6, v16
	v_addc_co_u32_e64 v17, s[12:13], v7, v17, s[12:13]
	flat_load_ushort v28, v[16:17]
.LBB1862_188:
	s_or_b64 exec, exec, s[20:21]
	v_cmp_ge_u32_e64 s[20:21], v14, v27
	v_cmp_lt_u32_e64 s[12:13], v14, v27
                                        ; implicit-def: $vgpr15
	s_and_saveexec_b64 s[22:23], s[12:13]
	s_cbranch_execz .LBB1862_190
; %bb.189:
	v_mov_b32_e32 v15, 0
	v_lshlrev_b64 v[16:17], 1, v[14:15]
	v_add_co_u32_e64 v16, s[12:13], v6, v16
	v_addc_co_u32_e64 v17, s[12:13], v7, v17, s[12:13]
	flat_load_ushort v15, v[16:17]
.LBB1862_190:
	s_or_b64 exec, exec, s[22:23]
	s_or_b64 s[8:9], s[8:9], s[20:21]
	s_mov_b64 s[12:13], -1
	s_xor_b64 s[8:9], s[8:9], -1
	s_and_saveexec_b64 s[22:23], s[8:9]
	s_cbranch_execz .LBB1862_192
; %bb.191:
	s_waitcnt vmcnt(0) lgkmcnt(0)
	v_add_f16_e32 v9, 0, v28
	v_add_f16_e32 v16, 0, v15
	v_mov_b32_e32 v17, 0xffff8000
	v_cmp_lt_i16_e64 s[8:9], -1, v9
	v_cndmask_b32_e64 v18, -1, v17, s[8:9]
	v_cmp_lt_i16_e64 s[8:9], -1, v16
	v_cndmask_b32_e64 v17, -1, v17, s[8:9]
	v_xor_b32_e32 v9, v18, v9
	v_xor_b32_e32 v16, v17, v16
	v_cmp_le_u16_e64 s[8:9], v9, v16
	s_andn2_b64 s[20:21], s[20:21], exec
	s_and_b64 s[8:9], s[8:9], exec
	s_or_b64 s[20:21], s[20:21], s[8:9]
.LBB1862_192:
	s_or_b64 exec, exec, s[22:23]
	v_cndmask_b32_e64 v16, v14, v8, s[20:21]
	v_cndmask_b32_e64 v9, v27, v26, s[20:21]
	v_mov_b32_e32 v17, 0
	v_add_u32_e32 v22, 1, v16
	v_add_u32_e32 v9, -1, v9
	v_lshlrev_b64 v[18:19], 3, v[16:17]
	v_min_u32_e32 v16, v22, v9
	v_lshlrev_b64 v[20:21], 1, v[16:17]
	v_add_co_u32_e64 v20, s[8:9], v6, v20
	v_addc_co_u32_e64 v21, s[8:9], v7, v21, s[8:9]
	v_add_co_u32_e64 v18, s[8:9], v2, v18
	flat_load_ushort v16, v[20:21]
	v_addc_co_u32_e64 v19, s[8:9], v3, v19, s[8:9]
	flat_load_dwordx2 v[18:19], v[18:19] offset:2048
	v_cndmask_b32_e64 v9, v22, v14, s[20:21]
	v_cndmask_b32_e64 v8, v8, v22, s[20:21]
	v_cmp_lt_u32_e64 s[8:9], v9, v27
	s_waitcnt vmcnt(0) lgkmcnt(0)
	v_cndmask_b32_e64 v14, v16, v15, s[20:21]
	v_cndmask_b32_e64 v29, v28, v16, s[20:21]
	s_and_saveexec_b64 s[22:23], s[8:9]
	s_cbranch_execz .LBB1862_196
; %bb.193:
	v_cmp_lt_u32_e64 s[8:9], v8, v26
	s_mov_b64 s[24:25], 0
	s_and_saveexec_b64 s[12:13], s[8:9]
; %bb.194:
	v_add_f16_e32 v16, 0, v29
	v_add_f16_e32 v20, 0, v14
	v_mov_b32_e32 v21, 0xffff8000
	v_cmp_lt_i16_e64 s[8:9], -1, v16
	v_cndmask_b32_e64 v22, -1, v21, s[8:9]
	v_cmp_lt_i16_e64 s[8:9], -1, v20
	v_cndmask_b32_e64 v21, -1, v21, s[8:9]
	v_xor_b32_e32 v16, v22, v16
	v_xor_b32_e32 v20, v21, v20
	v_cmp_le_u16_e64 s[8:9], v16, v20
	s_and_b64 s[24:25], s[8:9], exec
; %bb.195:
	s_or_b64 exec, exec, s[12:13]
	s_orn2_b64 s[12:13], s[24:25], exec
.LBB1862_196:
	s_or_b64 exec, exec, s[22:23]
	v_cndmask_b32_e64 v16, v9, v8, s[12:13]
	v_cndmask_b32_e64 v22, v27, v26, s[12:13]
	v_lshlrev_b64 v[20:21], 3, v[16:17]
	v_add_u32_e32 v23, 1, v16
	v_add_u32_e32 v16, -1, v22
	v_min_u32_e32 v16, v23, v16
	v_lshlrev_b64 v[16:17], 1, v[16:17]
	v_add_co_u32_e64 v16, s[8:9], v6, v16
	v_addc_co_u32_e64 v17, s[8:9], v7, v17, s[8:9]
	flat_load_ushort v22, v[16:17]
	v_add_co_u32_e64 v16, s[8:9], v2, v20
	v_addc_co_u32_e64 v17, s[8:9], v3, v21, s[8:9]
	flat_load_dwordx2 v[20:21], v[16:17] offset:2048
	v_cndmask_b32_e64 v24, v23, v9, s[12:13]
	s_mov_b64 s[22:23], -1
	v_cndmask_b32_e64 v25, v8, v23, s[12:13]
	v_cmp_lt_u32_e64 s[8:9], v24, v27
	s_mov_b64 s[24:25], -1
	s_waitcnt vmcnt(0) lgkmcnt(0)
	v_cndmask_b32_e64 v16, v22, v14, s[12:13]
	v_cndmask_b32_e64 v17, v29, v22, s[12:13]
	s_and_saveexec_b64 s[26:27], s[8:9]
	s_cbranch_execz .LBB1862_200
; %bb.197:
	v_cmp_lt_u32_e64 s[8:9], v25, v26
	s_mov_b64 s[28:29], 0
	s_and_saveexec_b64 s[24:25], s[8:9]
; %bb.198:
	v_add_f16_e32 v8, 0, v17
	v_add_f16_e32 v9, 0, v16
	v_mov_b32_e32 v22, 0xffff8000
	v_cmp_lt_i16_e64 s[8:9], -1, v8
	v_cndmask_b32_e64 v23, -1, v22, s[8:9]
	v_cmp_lt_i16_e64 s[8:9], -1, v9
	v_cndmask_b32_e64 v22, -1, v22, s[8:9]
	v_xor_b32_e32 v8, v23, v8
	v_xor_b32_e32 v9, v22, v9
	v_cmp_le_u16_e64 s[8:9], v8, v9
	s_and_b64 s[28:29], s[8:9], exec
; %bb.199:
	s_or_b64 exec, exec, s[24:25]
	s_orn2_b64 s[24:25], s[28:29], exec
.LBB1862_200:
	s_or_b64 exec, exec, s[26:27]
	v_cndmask_b32_e64 v8, v24, v25, s[24:25]
	v_cndmask_b32_e64 v30, v27, v26, s[24:25]
	v_mov_b32_e32 v9, 0
	v_lshlrev_b64 v[22:23], 3, v[8:9]
	v_add_u32_e32 v32, 1, v8
	v_add_u32_e32 v8, -1, v30
	v_min_u32_e32 v8, v32, v8
	v_lshlrev_b64 v[30:31], 1, v[8:9]
	v_add_co_u32_e64 v6, s[8:9], v6, v30
	v_addc_co_u32_e64 v7, s[8:9], v7, v31, s[8:9]
	flat_load_ushort v30, v[6:7]
	v_add_co_u32_e64 v6, s[8:9], v2, v22
	v_addc_co_u32_e64 v7, s[8:9], v3, v23, s[8:9]
	flat_load_dwordx2 v[22:23], v[6:7] offset:2048
	v_cndmask_b32_e64 v8, v32, v24, s[24:25]
	v_cndmask_b32_e64 v24, v25, v32, s[24:25]
	v_cmp_lt_u32_e64 s[8:9], v8, v27
	s_waitcnt vmcnt(0) lgkmcnt(0)
	v_cndmask_b32_e64 v6, v30, v16, s[24:25]
	v_cndmask_b32_e64 v7, v17, v30, s[24:25]
	s_and_saveexec_b64 s[26:27], s[8:9]
	s_cbranch_execz .LBB1862_204
; %bb.201:
	v_cmp_lt_u32_e64 s[8:9], v24, v26
	s_mov_b64 s[28:29], 0
	s_and_saveexec_b64 s[22:23], s[8:9]
; %bb.202:
	v_add_f16_e32 v25, 0, v7
	v_add_f16_e32 v26, 0, v6
	v_mov_b32_e32 v27, 0xffff8000
	v_cmp_lt_i16_e64 s[8:9], -1, v25
	v_cndmask_b32_e64 v30, -1, v27, s[8:9]
	v_cmp_lt_i16_e64 s[8:9], -1, v26
	v_cndmask_b32_e64 v27, -1, v27, s[8:9]
	v_xor_b32_e32 v25, v30, v25
	v_xor_b32_e32 v26, v27, v26
	v_cmp_le_u16_e64 s[8:9], v25, v26
	s_and_b64 s[28:29], s[8:9], exec
; %bb.203:
	s_or_b64 exec, exec, s[22:23]
	s_orn2_b64 s[22:23], s[28:29], exec
.LBB1862_204:
	s_or_b64 exec, exec, s[26:27]
	v_cndmask_b32_e64 v8, v8, v24, s[22:23]
	v_lshlrev_b64 v[8:9], 3, v[8:9]
	v_add_co_u32_e64 v2, s[8:9], v2, v8
	v_addc_co_u32_e64 v3, s[8:9], v3, v9, s[8:9]
	flat_load_dwordx2 v[24:25], v[2:3] offset:2048
	v_cndmask_b32_e64 v51, v16, v17, s[24:25]
	v_cndmask_b32_e64 v49, v14, v29, s[12:13]
	v_cndmask_b32_e64 v50, v15, v28, s[20:21]
	v_cndmask_b32_e64 v48, v6, v7, s[22:23]
.LBB1862_205:
	s_or_b64 exec, exec, s[14:15]
	v_add_co_u32_e64 v2, s[8:9], v4, v12
	v_addc_co_u32_e64 v3, s[8:9], v5, v13, s[8:9]
	v_add_co_u32_e64 v2, s[8:9], v2, v37
	v_addc_co_u32_e64 v3, s[8:9], 0, v3, s[8:9]
	; wave barrier
	s_waitcnt lgkmcnt(0)
	s_barrier
	s_waitcnt lgkmcnt(0)
	; wave barrier
	s_and_saveexec_b64 s[8:9], vcc
	s_cbranch_execnz .LBB1862_226
; %bb.206:
	s_or_b64 exec, exec, s[8:9]
	s_and_saveexec_b64 s[8:9], s[4:5]
	s_cbranch_execnz .LBB1862_227
.LBB1862_207:
	s_or_b64 exec, exec, s[8:9]
	s_and_saveexec_b64 s[8:9], s[6:7]
	s_cbranch_execnz .LBB1862_228
.LBB1862_208:
	s_or_b64 exec, exec, s[8:9]
	s_and_saveexec_b64 s[8:9], s[10:11]
	s_cbranch_execz .LBB1862_210
.LBB1862_209:
	flat_store_short v[2:3], v48 offset:6
.LBB1862_210:
	s_or_b64 exec, exec, s[8:9]
	v_add_co_u32_e64 v0, s[8:9], v10, v0
	v_addc_co_u32_e64 v1, s[8:9], v11, v1, s[8:9]
	v_add_co_u32_e64 v0, s[8:9], v0, v39
	v_addc_co_u32_e64 v1, s[8:9], 0, v1, s[8:9]
	; wave barrier
	s_and_saveexec_b64 s[8:9], vcc
	s_cbranch_execnz .LBB1862_229
; %bb.211:
	s_or_b64 exec, exec, s[8:9]
	s_and_saveexec_b64 s[8:9], s[4:5]
	s_cbranch_execnz .LBB1862_230
.LBB1862_212:
	s_or_b64 exec, exec, s[8:9]
	s_and_saveexec_b64 s[4:5], s[6:7]
	s_cbranch_execz .LBB1862_214
.LBB1862_213:
	flat_store_dwordx2 v[0:1], v[22:23] offset:16
.LBB1862_214:
	s_or_b64 exec, exec, s[4:5]
	s_andn2_b64 s[4:5], s[16:17], exec
	s_and_b64 s[6:7], s[10:11], exec
	s_or_b64 s[16:17], s[4:5], s[6:7]
	v_pk_mov_b32 v[8:9], v[10:11], v[10:11] op_sel:[0,1]
	s_or_b64 exec, exec, s[18:19]
	s_and_saveexec_b64 s[4:5], s[16:17]
	s_cbranch_execnz .LBB1862_3
	s_branch .LBB1862_4
.LBB1862_215:
	flat_load_dwordx2 v[18:19], v[4:5]
	s_or_b64 exec, exec, s[14:15]
	s_and_saveexec_b64 s[14:15], s[4:5]
	s_cbranch_execz .LBB1862_15
.LBB1862_216:
	flat_load_dwordx2 v[20:21], v[4:5] offset:8
	s_or_b64 exec, exec, s[14:15]
	s_and_saveexec_b64 s[14:15], s[6:7]
	s_cbranch_execz .LBB1862_16
.LBB1862_217:
	flat_load_dwordx2 v[22:23], v[4:5] offset:16
	s_or_b64 exec, exec, s[14:15]
	s_and_saveexec_b64 s[14:15], s[10:11]
	s_cbranch_execnz .LBB1862_17
	s_branch .LBB1862_18
.LBB1862_218:
	flat_store_short v[2:3], v50
	s_or_b64 exec, exec, s[14:15]
	s_and_saveexec_b64 s[14:15], s[4:5]
	s_cbranch_execz .LBB1862_102
.LBB1862_219:
	flat_store_short v[2:3], v49 offset:2
	s_or_b64 exec, exec, s[14:15]
	s_and_saveexec_b64 s[14:15], s[6:7]
	s_cbranch_execz .LBB1862_103
.LBB1862_220:
	flat_store_short v[2:3], v51 offset:4
	s_or_b64 exec, exec, s[14:15]
	s_and_saveexec_b64 s[14:15], s[10:11]
	s_cbranch_execnz .LBB1862_104
	s_branch .LBB1862_105
.LBB1862_221:
	flat_store_dwordx2 v[0:1], v[18:19]
	s_or_b64 exec, exec, s[14:15]
	s_and_saveexec_b64 s[14:15], s[4:5]
	s_cbranch_execz .LBB1862_107
.LBB1862_222:
	flat_store_dwordx2 v[0:1], v[20:21] offset:8
	s_or_b64 exec, exec, s[14:15]
	s_and_saveexec_b64 s[4:5], s[6:7]
	s_cbranch_execnz .LBB1862_108
	s_branch .LBB1862_109
.LBB1862_223:
	flat_load_dwordx2 v[18:19], v[2:3]
	s_or_b64 exec, exec, s[14:15]
	s_and_saveexec_b64 s[14:15], s[4:5]
	s_cbranch_execz .LBB1862_120
.LBB1862_224:
	flat_load_dwordx2 v[20:21], v[2:3] offset:8
	s_or_b64 exec, exec, s[14:15]
	s_and_saveexec_b64 s[14:15], s[6:7]
	s_cbranch_execz .LBB1862_121
.LBB1862_225:
	flat_load_dwordx2 v[22:23], v[2:3] offset:16
	s_or_b64 exec, exec, s[14:15]
	s_and_saveexec_b64 s[14:15], s[10:11]
	s_cbranch_execnz .LBB1862_122
	s_branch .LBB1862_123
.LBB1862_226:
	flat_store_short v[2:3], v50
	s_or_b64 exec, exec, s[8:9]
	s_and_saveexec_b64 s[8:9], s[4:5]
	s_cbranch_execz .LBB1862_207
.LBB1862_227:
	flat_store_short v[2:3], v49 offset:2
	s_or_b64 exec, exec, s[8:9]
	s_and_saveexec_b64 s[8:9], s[6:7]
	s_cbranch_execz .LBB1862_208
.LBB1862_228:
	flat_store_short v[2:3], v51 offset:4
	s_or_b64 exec, exec, s[8:9]
	s_and_saveexec_b64 s[8:9], s[10:11]
	s_cbranch_execnz .LBB1862_209
	s_branch .LBB1862_210
.LBB1862_229:
	flat_store_dwordx2 v[0:1], v[18:19]
	s_or_b64 exec, exec, s[8:9]
	s_and_saveexec_b64 s[8:9], s[4:5]
	s_cbranch_execz .LBB1862_212
.LBB1862_230:
	flat_store_dwordx2 v[0:1], v[20:21] offset:8
	s_or_b64 exec, exec, s[8:9]
	s_and_saveexec_b64 s[4:5], s[6:7]
	s_cbranch_execnz .LBB1862_213
	s_branch .LBB1862_214
.Lfunc_end1862:
	.size	_ZN7rocprim17ROCPRIM_400000_NS6detail26segmented_warp_sort_helperINS1_20WarpSortHelperConfigILj8ELj4ELj256EEE6__halflLi256ELb0EvE4sortIPKS5_PS5_PKlPlEEvT_SA_T0_T1_SD_T2_bjjjjRNS6_12storage_typeE, .Lfunc_end1862-_ZN7rocprim17ROCPRIM_400000_NS6detail26segmented_warp_sort_helperINS1_20WarpSortHelperConfigILj8ELj4ELj256EEE6__halflLi256ELb0EvE4sortIPKS5_PS5_PKlPlEEvT_SA_T0_T1_SD_T2_bjjjjRNS6_12storage_typeE
                                        ; -- End function
	.section	.AMDGPU.csdata,"",@progbits
; Function info:
; codeLenInByte = 12184
; NumSgprs: 37
; NumVgprs: 70
; NumAgprs: 0
; TotalNumVgprs: 70
; ScratchSize: 8
; MemoryBound: 1
	.section	.text._ZN7rocprim17ROCPRIM_400000_NS6detail17trampoline_kernelINS0_14default_configENS1_36segmented_radix_sort_config_selectorI6__halflEEZNS1_25segmented_radix_sort_implIS3_Lb0EPKS5_PS5_PKlPlN2at6native12_GLOBAL__N_18offset_tEEE10hipError_tPvRmT1_PNSt15iterator_traitsISL_E10value_typeET2_T3_PNSM_ISR_E10value_typeET4_jRbjT5_SX_jjP12ihipStream_tbEUlT_E1_NS1_11comp_targetILNS1_3genE4ELNS1_11target_archE910ELNS1_3gpuE8ELNS1_3repE0EEENS1_59segmented_radix_sort_warp_sort_small_config_static_selectorELNS0_4arch9wavefront6targetE1EEEvSL_,"axG",@progbits,_ZN7rocprim17ROCPRIM_400000_NS6detail17trampoline_kernelINS0_14default_configENS1_36segmented_radix_sort_config_selectorI6__halflEEZNS1_25segmented_radix_sort_implIS3_Lb0EPKS5_PS5_PKlPlN2at6native12_GLOBAL__N_18offset_tEEE10hipError_tPvRmT1_PNSt15iterator_traitsISL_E10value_typeET2_T3_PNSM_ISR_E10value_typeET4_jRbjT5_SX_jjP12ihipStream_tbEUlT_E1_NS1_11comp_targetILNS1_3genE4ELNS1_11target_archE910ELNS1_3gpuE8ELNS1_3repE0EEENS1_59segmented_radix_sort_warp_sort_small_config_static_selectorELNS0_4arch9wavefront6targetE1EEEvSL_,comdat
	.globl	_ZN7rocprim17ROCPRIM_400000_NS6detail17trampoline_kernelINS0_14default_configENS1_36segmented_radix_sort_config_selectorI6__halflEEZNS1_25segmented_radix_sort_implIS3_Lb0EPKS5_PS5_PKlPlN2at6native12_GLOBAL__N_18offset_tEEE10hipError_tPvRmT1_PNSt15iterator_traitsISL_E10value_typeET2_T3_PNSM_ISR_E10value_typeET4_jRbjT5_SX_jjP12ihipStream_tbEUlT_E1_NS1_11comp_targetILNS1_3genE4ELNS1_11target_archE910ELNS1_3gpuE8ELNS1_3repE0EEENS1_59segmented_radix_sort_warp_sort_small_config_static_selectorELNS0_4arch9wavefront6targetE1EEEvSL_ ; -- Begin function _ZN7rocprim17ROCPRIM_400000_NS6detail17trampoline_kernelINS0_14default_configENS1_36segmented_radix_sort_config_selectorI6__halflEEZNS1_25segmented_radix_sort_implIS3_Lb0EPKS5_PS5_PKlPlN2at6native12_GLOBAL__N_18offset_tEEE10hipError_tPvRmT1_PNSt15iterator_traitsISL_E10value_typeET2_T3_PNSM_ISR_E10value_typeET4_jRbjT5_SX_jjP12ihipStream_tbEUlT_E1_NS1_11comp_targetILNS1_3genE4ELNS1_11target_archE910ELNS1_3gpuE8ELNS1_3repE0EEENS1_59segmented_radix_sort_warp_sort_small_config_static_selectorELNS0_4arch9wavefront6targetE1EEEvSL_
	.p2align	8
	.type	_ZN7rocprim17ROCPRIM_400000_NS6detail17trampoline_kernelINS0_14default_configENS1_36segmented_radix_sort_config_selectorI6__halflEEZNS1_25segmented_radix_sort_implIS3_Lb0EPKS5_PS5_PKlPlN2at6native12_GLOBAL__N_18offset_tEEE10hipError_tPvRmT1_PNSt15iterator_traitsISL_E10value_typeET2_T3_PNSM_ISR_E10value_typeET4_jRbjT5_SX_jjP12ihipStream_tbEUlT_E1_NS1_11comp_targetILNS1_3genE4ELNS1_11target_archE910ELNS1_3gpuE8ELNS1_3repE0EEENS1_59segmented_radix_sort_warp_sort_small_config_static_selectorELNS0_4arch9wavefront6targetE1EEEvSL_,@function
_ZN7rocprim17ROCPRIM_400000_NS6detail17trampoline_kernelINS0_14default_configENS1_36segmented_radix_sort_config_selectorI6__halflEEZNS1_25segmented_radix_sort_implIS3_Lb0EPKS5_PS5_PKlPlN2at6native12_GLOBAL__N_18offset_tEEE10hipError_tPvRmT1_PNSt15iterator_traitsISL_E10value_typeET2_T3_PNSM_ISR_E10value_typeET4_jRbjT5_SX_jjP12ihipStream_tbEUlT_E1_NS1_11comp_targetILNS1_3genE4ELNS1_11target_archE910ELNS1_3gpuE8ELNS1_3repE0EEENS1_59segmented_radix_sort_warp_sort_small_config_static_selectorELNS0_4arch9wavefront6targetE1EEEvSL_: ; @_ZN7rocprim17ROCPRIM_400000_NS6detail17trampoline_kernelINS0_14default_configENS1_36segmented_radix_sort_config_selectorI6__halflEEZNS1_25segmented_radix_sort_implIS3_Lb0EPKS5_PS5_PKlPlN2at6native12_GLOBAL__N_18offset_tEEE10hipError_tPvRmT1_PNSt15iterator_traitsISL_E10value_typeET2_T3_PNSM_ISR_E10value_typeET4_jRbjT5_SX_jjP12ihipStream_tbEUlT_E1_NS1_11comp_targetILNS1_3genE4ELNS1_11target_archE910ELNS1_3gpuE8ELNS1_3repE0EEENS1_59segmented_radix_sort_warp_sort_small_config_static_selectorELNS0_4arch9wavefront6targetE1EEEvSL_
; %bb.0:
	s_add_u32 flat_scratch_lo, s6, s10
	s_mov_b32 s12, s8
	s_load_dword s6, s[4:5], 0x64
	s_load_dword s8, s[4:5], 0x34
	s_addc_u32 flat_scratch_hi, s7, 0
	s_add_u32 s0, s0, s10
	s_addc_u32 s1, s1, 0
	s_waitcnt lgkmcnt(0)
	s_lshr_b32 s7, s6, 16
	v_bfe_u32 v1, v0, 10, 10
	v_bfe_u32 v2, v0, 20, 10
	s_and_b32 s6, s6, 0xffff
	v_mad_u32_u24 v1, v2, s7, v1
	v_and_b32_e32 v2, 0x3ff, v0
	v_mad_u64_u32 v[2:3], s[6:7], v1, s6, v[2:3]
	v_lshrrev_b32_e32 v1, 3, v2
	v_lshl_add_u32 v2, s12, 5, v1
	v_cmp_gt_u32_e32 vcc, s8, v2
	s_mov_b32 s32, 0
	s_and_saveexec_b64 s[6:7], vcc
	s_cbranch_execz .LBB1863_3
; %bb.1:
	s_mov_b32 s13, s9
	s_load_dwordx2 s[6:7], s[4:5], 0x38
	s_load_dwordx4 s[8:11], s[4:5], 0x40
	v_mov_b32_e32 v3, 0
	v_lshlrev_b64 v[2:3], 2, v[2:3]
	s_waitcnt lgkmcnt(0)
	v_mov_b32_e32 v1, s7
	v_sub_co_u32_e32 v2, vcc, s6, v2
	v_subb_co_u32_e32 v3, vcc, v1, v3, vcc
	global_load_dword v1, v[2:3], off offset:-4
	s_waitcnt vmcnt(0)
	v_add_u32_e32 v2, s9, v1
	v_add_u32_e32 v1, s11, v1
	v_mul_lo_u32 v13, v2, s8
	v_mul_lo_u32 v14, v1, s10
	v_cmp_gt_u32_e32 vcc, v14, v13
	s_and_b64 exec, exec, vcc
	s_cbranch_execz .LBB1863_3
; %bb.2:
	s_load_dword s6, s[4:5], 0x30
	s_load_dwordx4 s[24:27], s[4:5], 0x20
	s_load_dwordx8 s[16:23], s[4:5], 0x0
	s_add_u32 s8, s4, 0x58
	s_addc_u32 s9, s5, 0
	s_waitcnt lgkmcnt(0)
	s_and_b32 s10, s6, 1
	s_mov_b64 s[4:5], src_shared_base
	v_mov_b32_e32 v31, v0
	v_mov_b32_e32 v0, s16
	;; [unrolled: 1-line block ×16, first 2 shown]
	s_getpc_b64 s[6:7]
	s_add_u32 s6, s6, _ZN7rocprim17ROCPRIM_400000_NS6detail26segmented_warp_sort_helperINS1_20WarpSortHelperConfigILj8ELj4ELj256EEE6__halflLi256ELb0EvE4sortIPKS5_PS5_PKlPlEEvT_SA_T0_T1_SD_T2_bjjjjRNS6_12storage_typeE@rel32@lo+4
	s_addc_u32 s7, s7, _ZN7rocprim17ROCPRIM_400000_NS6detail26segmented_warp_sort_helperINS1_20WarpSortHelperConfigILj8ELj4ELj256EEE6__halflLi256ELb0EvE4sortIPKS5_PS5_PKlPlEEvT_SA_T0_T1_SD_T2_bjjjjRNS6_12storage_typeE@rel32@hi+12
	s_swappc_b64 s[30:31], s[6:7]
.LBB1863_3:
	s_endpgm
	.section	.rodata,"a",@progbits
	.p2align	6, 0x0
	.amdhsa_kernel _ZN7rocprim17ROCPRIM_400000_NS6detail17trampoline_kernelINS0_14default_configENS1_36segmented_radix_sort_config_selectorI6__halflEEZNS1_25segmented_radix_sort_implIS3_Lb0EPKS5_PS5_PKlPlN2at6native12_GLOBAL__N_18offset_tEEE10hipError_tPvRmT1_PNSt15iterator_traitsISL_E10value_typeET2_T3_PNSM_ISR_E10value_typeET4_jRbjT5_SX_jjP12ihipStream_tbEUlT_E1_NS1_11comp_targetILNS1_3genE4ELNS1_11target_archE910ELNS1_3gpuE8ELNS1_3repE0EEENS1_59segmented_radix_sort_warp_sort_small_config_static_selectorELNS0_4arch9wavefront6targetE1EEEvSL_
		.amdhsa_group_segment_fixed_size 10240
		.amdhsa_private_segment_fixed_size 8
		.amdhsa_kernarg_size 344
		.amdhsa_user_sgpr_count 8
		.amdhsa_user_sgpr_private_segment_buffer 1
		.amdhsa_user_sgpr_dispatch_ptr 0
		.amdhsa_user_sgpr_queue_ptr 0
		.amdhsa_user_sgpr_kernarg_segment_ptr 1
		.amdhsa_user_sgpr_dispatch_id 0
		.amdhsa_user_sgpr_flat_scratch_init 1
		.amdhsa_user_sgpr_kernarg_preload_length 0
		.amdhsa_user_sgpr_kernarg_preload_offset 0
		.amdhsa_user_sgpr_private_segment_size 0
		.amdhsa_uses_dynamic_stack 0
		.amdhsa_system_sgpr_private_segment_wavefront_offset 1
		.amdhsa_system_sgpr_workgroup_id_x 1
		.amdhsa_system_sgpr_workgroup_id_y 1
		.amdhsa_system_sgpr_workgroup_id_z 0
		.amdhsa_system_sgpr_workgroup_info 0
		.amdhsa_system_vgpr_workitem_id 2
		.amdhsa_next_free_vgpr 70
		.amdhsa_next_free_sgpr 33
		.amdhsa_accum_offset 72
		.amdhsa_reserve_vcc 1
		.amdhsa_reserve_flat_scratch 1
		.amdhsa_float_round_mode_32 0
		.amdhsa_float_round_mode_16_64 0
		.amdhsa_float_denorm_mode_32 3
		.amdhsa_float_denorm_mode_16_64 3
		.amdhsa_dx10_clamp 1
		.amdhsa_ieee_mode 1
		.amdhsa_fp16_overflow 0
		.amdhsa_tg_split 0
		.amdhsa_exception_fp_ieee_invalid_op 0
		.amdhsa_exception_fp_denorm_src 0
		.amdhsa_exception_fp_ieee_div_zero 0
		.amdhsa_exception_fp_ieee_overflow 0
		.amdhsa_exception_fp_ieee_underflow 0
		.amdhsa_exception_fp_ieee_inexact 0
		.amdhsa_exception_int_div_zero 0
	.end_amdhsa_kernel
	.section	.text._ZN7rocprim17ROCPRIM_400000_NS6detail17trampoline_kernelINS0_14default_configENS1_36segmented_radix_sort_config_selectorI6__halflEEZNS1_25segmented_radix_sort_implIS3_Lb0EPKS5_PS5_PKlPlN2at6native12_GLOBAL__N_18offset_tEEE10hipError_tPvRmT1_PNSt15iterator_traitsISL_E10value_typeET2_T3_PNSM_ISR_E10value_typeET4_jRbjT5_SX_jjP12ihipStream_tbEUlT_E1_NS1_11comp_targetILNS1_3genE4ELNS1_11target_archE910ELNS1_3gpuE8ELNS1_3repE0EEENS1_59segmented_radix_sort_warp_sort_small_config_static_selectorELNS0_4arch9wavefront6targetE1EEEvSL_,"axG",@progbits,_ZN7rocprim17ROCPRIM_400000_NS6detail17trampoline_kernelINS0_14default_configENS1_36segmented_radix_sort_config_selectorI6__halflEEZNS1_25segmented_radix_sort_implIS3_Lb0EPKS5_PS5_PKlPlN2at6native12_GLOBAL__N_18offset_tEEE10hipError_tPvRmT1_PNSt15iterator_traitsISL_E10value_typeET2_T3_PNSM_ISR_E10value_typeET4_jRbjT5_SX_jjP12ihipStream_tbEUlT_E1_NS1_11comp_targetILNS1_3genE4ELNS1_11target_archE910ELNS1_3gpuE8ELNS1_3repE0EEENS1_59segmented_radix_sort_warp_sort_small_config_static_selectorELNS0_4arch9wavefront6targetE1EEEvSL_,comdat
.Lfunc_end1863:
	.size	_ZN7rocprim17ROCPRIM_400000_NS6detail17trampoline_kernelINS0_14default_configENS1_36segmented_radix_sort_config_selectorI6__halflEEZNS1_25segmented_radix_sort_implIS3_Lb0EPKS5_PS5_PKlPlN2at6native12_GLOBAL__N_18offset_tEEE10hipError_tPvRmT1_PNSt15iterator_traitsISL_E10value_typeET2_T3_PNSM_ISR_E10value_typeET4_jRbjT5_SX_jjP12ihipStream_tbEUlT_E1_NS1_11comp_targetILNS1_3genE4ELNS1_11target_archE910ELNS1_3gpuE8ELNS1_3repE0EEENS1_59segmented_radix_sort_warp_sort_small_config_static_selectorELNS0_4arch9wavefront6targetE1EEEvSL_, .Lfunc_end1863-_ZN7rocprim17ROCPRIM_400000_NS6detail17trampoline_kernelINS0_14default_configENS1_36segmented_radix_sort_config_selectorI6__halflEEZNS1_25segmented_radix_sort_implIS3_Lb0EPKS5_PS5_PKlPlN2at6native12_GLOBAL__N_18offset_tEEE10hipError_tPvRmT1_PNSt15iterator_traitsISL_E10value_typeET2_T3_PNSM_ISR_E10value_typeET4_jRbjT5_SX_jjP12ihipStream_tbEUlT_E1_NS1_11comp_targetILNS1_3genE4ELNS1_11target_archE910ELNS1_3gpuE8ELNS1_3repE0EEENS1_59segmented_radix_sort_warp_sort_small_config_static_selectorELNS0_4arch9wavefront6targetE1EEEvSL_
                                        ; -- End function
	.section	.AMDGPU.csdata,"",@progbits
; Kernel info:
; codeLenInByte = 356
; NumSgprs: 39
; NumVgprs: 70
; NumAgprs: 0
; TotalNumVgprs: 70
; ScratchSize: 8
; MemoryBound: 0
; FloatMode: 240
; IeeeMode: 1
; LDSByteSize: 10240 bytes/workgroup (compile time only)
; SGPRBlocks: 4
; VGPRBlocks: 8
; NumSGPRsForWavesPerEU: 39
; NumVGPRsForWavesPerEU: 70
; AccumOffset: 72
; Occupancy: 6
; WaveLimiterHint : 0
; COMPUTE_PGM_RSRC2:SCRATCH_EN: 1
; COMPUTE_PGM_RSRC2:USER_SGPR: 8
; COMPUTE_PGM_RSRC2:TRAP_HANDLER: 0
; COMPUTE_PGM_RSRC2:TGID_X_EN: 1
; COMPUTE_PGM_RSRC2:TGID_Y_EN: 1
; COMPUTE_PGM_RSRC2:TGID_Z_EN: 0
; COMPUTE_PGM_RSRC2:TIDIG_COMP_CNT: 2
; COMPUTE_PGM_RSRC3_GFX90A:ACCUM_OFFSET: 17
; COMPUTE_PGM_RSRC3_GFX90A:TG_SPLIT: 0
	.section	.text._ZN7rocprim17ROCPRIM_400000_NS6detail17trampoline_kernelINS0_14default_configENS1_36segmented_radix_sort_config_selectorI6__halflEEZNS1_25segmented_radix_sort_implIS3_Lb0EPKS5_PS5_PKlPlN2at6native12_GLOBAL__N_18offset_tEEE10hipError_tPvRmT1_PNSt15iterator_traitsISL_E10value_typeET2_T3_PNSM_ISR_E10value_typeET4_jRbjT5_SX_jjP12ihipStream_tbEUlT_E1_NS1_11comp_targetILNS1_3genE3ELNS1_11target_archE908ELNS1_3gpuE7ELNS1_3repE0EEENS1_59segmented_radix_sort_warp_sort_small_config_static_selectorELNS0_4arch9wavefront6targetE1EEEvSL_,"axG",@progbits,_ZN7rocprim17ROCPRIM_400000_NS6detail17trampoline_kernelINS0_14default_configENS1_36segmented_radix_sort_config_selectorI6__halflEEZNS1_25segmented_radix_sort_implIS3_Lb0EPKS5_PS5_PKlPlN2at6native12_GLOBAL__N_18offset_tEEE10hipError_tPvRmT1_PNSt15iterator_traitsISL_E10value_typeET2_T3_PNSM_ISR_E10value_typeET4_jRbjT5_SX_jjP12ihipStream_tbEUlT_E1_NS1_11comp_targetILNS1_3genE3ELNS1_11target_archE908ELNS1_3gpuE7ELNS1_3repE0EEENS1_59segmented_radix_sort_warp_sort_small_config_static_selectorELNS0_4arch9wavefront6targetE1EEEvSL_,comdat
	.globl	_ZN7rocprim17ROCPRIM_400000_NS6detail17trampoline_kernelINS0_14default_configENS1_36segmented_radix_sort_config_selectorI6__halflEEZNS1_25segmented_radix_sort_implIS3_Lb0EPKS5_PS5_PKlPlN2at6native12_GLOBAL__N_18offset_tEEE10hipError_tPvRmT1_PNSt15iterator_traitsISL_E10value_typeET2_T3_PNSM_ISR_E10value_typeET4_jRbjT5_SX_jjP12ihipStream_tbEUlT_E1_NS1_11comp_targetILNS1_3genE3ELNS1_11target_archE908ELNS1_3gpuE7ELNS1_3repE0EEENS1_59segmented_radix_sort_warp_sort_small_config_static_selectorELNS0_4arch9wavefront6targetE1EEEvSL_ ; -- Begin function _ZN7rocprim17ROCPRIM_400000_NS6detail17trampoline_kernelINS0_14default_configENS1_36segmented_radix_sort_config_selectorI6__halflEEZNS1_25segmented_radix_sort_implIS3_Lb0EPKS5_PS5_PKlPlN2at6native12_GLOBAL__N_18offset_tEEE10hipError_tPvRmT1_PNSt15iterator_traitsISL_E10value_typeET2_T3_PNSM_ISR_E10value_typeET4_jRbjT5_SX_jjP12ihipStream_tbEUlT_E1_NS1_11comp_targetILNS1_3genE3ELNS1_11target_archE908ELNS1_3gpuE7ELNS1_3repE0EEENS1_59segmented_radix_sort_warp_sort_small_config_static_selectorELNS0_4arch9wavefront6targetE1EEEvSL_
	.p2align	8
	.type	_ZN7rocprim17ROCPRIM_400000_NS6detail17trampoline_kernelINS0_14default_configENS1_36segmented_radix_sort_config_selectorI6__halflEEZNS1_25segmented_radix_sort_implIS3_Lb0EPKS5_PS5_PKlPlN2at6native12_GLOBAL__N_18offset_tEEE10hipError_tPvRmT1_PNSt15iterator_traitsISL_E10value_typeET2_T3_PNSM_ISR_E10value_typeET4_jRbjT5_SX_jjP12ihipStream_tbEUlT_E1_NS1_11comp_targetILNS1_3genE3ELNS1_11target_archE908ELNS1_3gpuE7ELNS1_3repE0EEENS1_59segmented_radix_sort_warp_sort_small_config_static_selectorELNS0_4arch9wavefront6targetE1EEEvSL_,@function
_ZN7rocprim17ROCPRIM_400000_NS6detail17trampoline_kernelINS0_14default_configENS1_36segmented_radix_sort_config_selectorI6__halflEEZNS1_25segmented_radix_sort_implIS3_Lb0EPKS5_PS5_PKlPlN2at6native12_GLOBAL__N_18offset_tEEE10hipError_tPvRmT1_PNSt15iterator_traitsISL_E10value_typeET2_T3_PNSM_ISR_E10value_typeET4_jRbjT5_SX_jjP12ihipStream_tbEUlT_E1_NS1_11comp_targetILNS1_3genE3ELNS1_11target_archE908ELNS1_3gpuE7ELNS1_3repE0EEENS1_59segmented_radix_sort_warp_sort_small_config_static_selectorELNS0_4arch9wavefront6targetE1EEEvSL_: ; @_ZN7rocprim17ROCPRIM_400000_NS6detail17trampoline_kernelINS0_14default_configENS1_36segmented_radix_sort_config_selectorI6__halflEEZNS1_25segmented_radix_sort_implIS3_Lb0EPKS5_PS5_PKlPlN2at6native12_GLOBAL__N_18offset_tEEE10hipError_tPvRmT1_PNSt15iterator_traitsISL_E10value_typeET2_T3_PNSM_ISR_E10value_typeET4_jRbjT5_SX_jjP12ihipStream_tbEUlT_E1_NS1_11comp_targetILNS1_3genE3ELNS1_11target_archE908ELNS1_3gpuE7ELNS1_3repE0EEENS1_59segmented_radix_sort_warp_sort_small_config_static_selectorELNS0_4arch9wavefront6targetE1EEEvSL_
; %bb.0:
	.section	.rodata,"a",@progbits
	.p2align	6, 0x0
	.amdhsa_kernel _ZN7rocprim17ROCPRIM_400000_NS6detail17trampoline_kernelINS0_14default_configENS1_36segmented_radix_sort_config_selectorI6__halflEEZNS1_25segmented_radix_sort_implIS3_Lb0EPKS5_PS5_PKlPlN2at6native12_GLOBAL__N_18offset_tEEE10hipError_tPvRmT1_PNSt15iterator_traitsISL_E10value_typeET2_T3_PNSM_ISR_E10value_typeET4_jRbjT5_SX_jjP12ihipStream_tbEUlT_E1_NS1_11comp_targetILNS1_3genE3ELNS1_11target_archE908ELNS1_3gpuE7ELNS1_3repE0EEENS1_59segmented_radix_sort_warp_sort_small_config_static_selectorELNS0_4arch9wavefront6targetE1EEEvSL_
		.amdhsa_group_segment_fixed_size 0
		.amdhsa_private_segment_fixed_size 0
		.amdhsa_kernarg_size 88
		.amdhsa_user_sgpr_count 6
		.amdhsa_user_sgpr_private_segment_buffer 1
		.amdhsa_user_sgpr_dispatch_ptr 0
		.amdhsa_user_sgpr_queue_ptr 0
		.amdhsa_user_sgpr_kernarg_segment_ptr 1
		.amdhsa_user_sgpr_dispatch_id 0
		.amdhsa_user_sgpr_flat_scratch_init 0
		.amdhsa_user_sgpr_kernarg_preload_length 0
		.amdhsa_user_sgpr_kernarg_preload_offset 0
		.amdhsa_user_sgpr_private_segment_size 0
		.amdhsa_uses_dynamic_stack 0
		.amdhsa_system_sgpr_private_segment_wavefront_offset 0
		.amdhsa_system_sgpr_workgroup_id_x 1
		.amdhsa_system_sgpr_workgroup_id_y 0
		.amdhsa_system_sgpr_workgroup_id_z 0
		.amdhsa_system_sgpr_workgroup_info 0
		.amdhsa_system_vgpr_workitem_id 0
		.amdhsa_next_free_vgpr 1
		.amdhsa_next_free_sgpr 0
		.amdhsa_accum_offset 4
		.amdhsa_reserve_vcc 0
		.amdhsa_reserve_flat_scratch 0
		.amdhsa_float_round_mode_32 0
		.amdhsa_float_round_mode_16_64 0
		.amdhsa_float_denorm_mode_32 3
		.amdhsa_float_denorm_mode_16_64 3
		.amdhsa_dx10_clamp 1
		.amdhsa_ieee_mode 1
		.amdhsa_fp16_overflow 0
		.amdhsa_tg_split 0
		.amdhsa_exception_fp_ieee_invalid_op 0
		.amdhsa_exception_fp_denorm_src 0
		.amdhsa_exception_fp_ieee_div_zero 0
		.amdhsa_exception_fp_ieee_overflow 0
		.amdhsa_exception_fp_ieee_underflow 0
		.amdhsa_exception_fp_ieee_inexact 0
		.amdhsa_exception_int_div_zero 0
	.end_amdhsa_kernel
	.section	.text._ZN7rocprim17ROCPRIM_400000_NS6detail17trampoline_kernelINS0_14default_configENS1_36segmented_radix_sort_config_selectorI6__halflEEZNS1_25segmented_radix_sort_implIS3_Lb0EPKS5_PS5_PKlPlN2at6native12_GLOBAL__N_18offset_tEEE10hipError_tPvRmT1_PNSt15iterator_traitsISL_E10value_typeET2_T3_PNSM_ISR_E10value_typeET4_jRbjT5_SX_jjP12ihipStream_tbEUlT_E1_NS1_11comp_targetILNS1_3genE3ELNS1_11target_archE908ELNS1_3gpuE7ELNS1_3repE0EEENS1_59segmented_radix_sort_warp_sort_small_config_static_selectorELNS0_4arch9wavefront6targetE1EEEvSL_,"axG",@progbits,_ZN7rocprim17ROCPRIM_400000_NS6detail17trampoline_kernelINS0_14default_configENS1_36segmented_radix_sort_config_selectorI6__halflEEZNS1_25segmented_radix_sort_implIS3_Lb0EPKS5_PS5_PKlPlN2at6native12_GLOBAL__N_18offset_tEEE10hipError_tPvRmT1_PNSt15iterator_traitsISL_E10value_typeET2_T3_PNSM_ISR_E10value_typeET4_jRbjT5_SX_jjP12ihipStream_tbEUlT_E1_NS1_11comp_targetILNS1_3genE3ELNS1_11target_archE908ELNS1_3gpuE7ELNS1_3repE0EEENS1_59segmented_radix_sort_warp_sort_small_config_static_selectorELNS0_4arch9wavefront6targetE1EEEvSL_,comdat
.Lfunc_end1864:
	.size	_ZN7rocprim17ROCPRIM_400000_NS6detail17trampoline_kernelINS0_14default_configENS1_36segmented_radix_sort_config_selectorI6__halflEEZNS1_25segmented_radix_sort_implIS3_Lb0EPKS5_PS5_PKlPlN2at6native12_GLOBAL__N_18offset_tEEE10hipError_tPvRmT1_PNSt15iterator_traitsISL_E10value_typeET2_T3_PNSM_ISR_E10value_typeET4_jRbjT5_SX_jjP12ihipStream_tbEUlT_E1_NS1_11comp_targetILNS1_3genE3ELNS1_11target_archE908ELNS1_3gpuE7ELNS1_3repE0EEENS1_59segmented_radix_sort_warp_sort_small_config_static_selectorELNS0_4arch9wavefront6targetE1EEEvSL_, .Lfunc_end1864-_ZN7rocprim17ROCPRIM_400000_NS6detail17trampoline_kernelINS0_14default_configENS1_36segmented_radix_sort_config_selectorI6__halflEEZNS1_25segmented_radix_sort_implIS3_Lb0EPKS5_PS5_PKlPlN2at6native12_GLOBAL__N_18offset_tEEE10hipError_tPvRmT1_PNSt15iterator_traitsISL_E10value_typeET2_T3_PNSM_ISR_E10value_typeET4_jRbjT5_SX_jjP12ihipStream_tbEUlT_E1_NS1_11comp_targetILNS1_3genE3ELNS1_11target_archE908ELNS1_3gpuE7ELNS1_3repE0EEENS1_59segmented_radix_sort_warp_sort_small_config_static_selectorELNS0_4arch9wavefront6targetE1EEEvSL_
                                        ; -- End function
	.section	.AMDGPU.csdata,"",@progbits
; Kernel info:
; codeLenInByte = 0
; NumSgprs: 4
; NumVgprs: 0
; NumAgprs: 0
; TotalNumVgprs: 0
; ScratchSize: 0
; MemoryBound: 0
; FloatMode: 240
; IeeeMode: 1
; LDSByteSize: 0 bytes/workgroup (compile time only)
; SGPRBlocks: 0
; VGPRBlocks: 0
; NumSGPRsForWavesPerEU: 4
; NumVGPRsForWavesPerEU: 1
; AccumOffset: 4
; Occupancy: 8
; WaveLimiterHint : 0
; COMPUTE_PGM_RSRC2:SCRATCH_EN: 0
; COMPUTE_PGM_RSRC2:USER_SGPR: 6
; COMPUTE_PGM_RSRC2:TRAP_HANDLER: 0
; COMPUTE_PGM_RSRC2:TGID_X_EN: 1
; COMPUTE_PGM_RSRC2:TGID_Y_EN: 0
; COMPUTE_PGM_RSRC2:TGID_Z_EN: 0
; COMPUTE_PGM_RSRC2:TIDIG_COMP_CNT: 0
; COMPUTE_PGM_RSRC3_GFX90A:ACCUM_OFFSET: 0
; COMPUTE_PGM_RSRC3_GFX90A:TG_SPLIT: 0
	.section	.text._ZN7rocprim17ROCPRIM_400000_NS6detail17trampoline_kernelINS0_14default_configENS1_36segmented_radix_sort_config_selectorI6__halflEEZNS1_25segmented_radix_sort_implIS3_Lb0EPKS5_PS5_PKlPlN2at6native12_GLOBAL__N_18offset_tEEE10hipError_tPvRmT1_PNSt15iterator_traitsISL_E10value_typeET2_T3_PNSM_ISR_E10value_typeET4_jRbjT5_SX_jjP12ihipStream_tbEUlT_E1_NS1_11comp_targetILNS1_3genE2ELNS1_11target_archE906ELNS1_3gpuE6ELNS1_3repE0EEENS1_59segmented_radix_sort_warp_sort_small_config_static_selectorELNS0_4arch9wavefront6targetE1EEEvSL_,"axG",@progbits,_ZN7rocprim17ROCPRIM_400000_NS6detail17trampoline_kernelINS0_14default_configENS1_36segmented_radix_sort_config_selectorI6__halflEEZNS1_25segmented_radix_sort_implIS3_Lb0EPKS5_PS5_PKlPlN2at6native12_GLOBAL__N_18offset_tEEE10hipError_tPvRmT1_PNSt15iterator_traitsISL_E10value_typeET2_T3_PNSM_ISR_E10value_typeET4_jRbjT5_SX_jjP12ihipStream_tbEUlT_E1_NS1_11comp_targetILNS1_3genE2ELNS1_11target_archE906ELNS1_3gpuE6ELNS1_3repE0EEENS1_59segmented_radix_sort_warp_sort_small_config_static_selectorELNS0_4arch9wavefront6targetE1EEEvSL_,comdat
	.globl	_ZN7rocprim17ROCPRIM_400000_NS6detail17trampoline_kernelINS0_14default_configENS1_36segmented_radix_sort_config_selectorI6__halflEEZNS1_25segmented_radix_sort_implIS3_Lb0EPKS5_PS5_PKlPlN2at6native12_GLOBAL__N_18offset_tEEE10hipError_tPvRmT1_PNSt15iterator_traitsISL_E10value_typeET2_T3_PNSM_ISR_E10value_typeET4_jRbjT5_SX_jjP12ihipStream_tbEUlT_E1_NS1_11comp_targetILNS1_3genE2ELNS1_11target_archE906ELNS1_3gpuE6ELNS1_3repE0EEENS1_59segmented_radix_sort_warp_sort_small_config_static_selectorELNS0_4arch9wavefront6targetE1EEEvSL_ ; -- Begin function _ZN7rocprim17ROCPRIM_400000_NS6detail17trampoline_kernelINS0_14default_configENS1_36segmented_radix_sort_config_selectorI6__halflEEZNS1_25segmented_radix_sort_implIS3_Lb0EPKS5_PS5_PKlPlN2at6native12_GLOBAL__N_18offset_tEEE10hipError_tPvRmT1_PNSt15iterator_traitsISL_E10value_typeET2_T3_PNSM_ISR_E10value_typeET4_jRbjT5_SX_jjP12ihipStream_tbEUlT_E1_NS1_11comp_targetILNS1_3genE2ELNS1_11target_archE906ELNS1_3gpuE6ELNS1_3repE0EEENS1_59segmented_radix_sort_warp_sort_small_config_static_selectorELNS0_4arch9wavefront6targetE1EEEvSL_
	.p2align	8
	.type	_ZN7rocprim17ROCPRIM_400000_NS6detail17trampoline_kernelINS0_14default_configENS1_36segmented_radix_sort_config_selectorI6__halflEEZNS1_25segmented_radix_sort_implIS3_Lb0EPKS5_PS5_PKlPlN2at6native12_GLOBAL__N_18offset_tEEE10hipError_tPvRmT1_PNSt15iterator_traitsISL_E10value_typeET2_T3_PNSM_ISR_E10value_typeET4_jRbjT5_SX_jjP12ihipStream_tbEUlT_E1_NS1_11comp_targetILNS1_3genE2ELNS1_11target_archE906ELNS1_3gpuE6ELNS1_3repE0EEENS1_59segmented_radix_sort_warp_sort_small_config_static_selectorELNS0_4arch9wavefront6targetE1EEEvSL_,@function
_ZN7rocprim17ROCPRIM_400000_NS6detail17trampoline_kernelINS0_14default_configENS1_36segmented_radix_sort_config_selectorI6__halflEEZNS1_25segmented_radix_sort_implIS3_Lb0EPKS5_PS5_PKlPlN2at6native12_GLOBAL__N_18offset_tEEE10hipError_tPvRmT1_PNSt15iterator_traitsISL_E10value_typeET2_T3_PNSM_ISR_E10value_typeET4_jRbjT5_SX_jjP12ihipStream_tbEUlT_E1_NS1_11comp_targetILNS1_3genE2ELNS1_11target_archE906ELNS1_3gpuE6ELNS1_3repE0EEENS1_59segmented_radix_sort_warp_sort_small_config_static_selectorELNS0_4arch9wavefront6targetE1EEEvSL_: ; @_ZN7rocprim17ROCPRIM_400000_NS6detail17trampoline_kernelINS0_14default_configENS1_36segmented_radix_sort_config_selectorI6__halflEEZNS1_25segmented_radix_sort_implIS3_Lb0EPKS5_PS5_PKlPlN2at6native12_GLOBAL__N_18offset_tEEE10hipError_tPvRmT1_PNSt15iterator_traitsISL_E10value_typeET2_T3_PNSM_ISR_E10value_typeET4_jRbjT5_SX_jjP12ihipStream_tbEUlT_E1_NS1_11comp_targetILNS1_3genE2ELNS1_11target_archE906ELNS1_3gpuE6ELNS1_3repE0EEENS1_59segmented_radix_sort_warp_sort_small_config_static_selectorELNS0_4arch9wavefront6targetE1EEEvSL_
; %bb.0:
	.section	.rodata,"a",@progbits
	.p2align	6, 0x0
	.amdhsa_kernel _ZN7rocprim17ROCPRIM_400000_NS6detail17trampoline_kernelINS0_14default_configENS1_36segmented_radix_sort_config_selectorI6__halflEEZNS1_25segmented_radix_sort_implIS3_Lb0EPKS5_PS5_PKlPlN2at6native12_GLOBAL__N_18offset_tEEE10hipError_tPvRmT1_PNSt15iterator_traitsISL_E10value_typeET2_T3_PNSM_ISR_E10value_typeET4_jRbjT5_SX_jjP12ihipStream_tbEUlT_E1_NS1_11comp_targetILNS1_3genE2ELNS1_11target_archE906ELNS1_3gpuE6ELNS1_3repE0EEENS1_59segmented_radix_sort_warp_sort_small_config_static_selectorELNS0_4arch9wavefront6targetE1EEEvSL_
		.amdhsa_group_segment_fixed_size 0
		.amdhsa_private_segment_fixed_size 0
		.amdhsa_kernarg_size 88
		.amdhsa_user_sgpr_count 6
		.amdhsa_user_sgpr_private_segment_buffer 1
		.amdhsa_user_sgpr_dispatch_ptr 0
		.amdhsa_user_sgpr_queue_ptr 0
		.amdhsa_user_sgpr_kernarg_segment_ptr 1
		.amdhsa_user_sgpr_dispatch_id 0
		.amdhsa_user_sgpr_flat_scratch_init 0
		.amdhsa_user_sgpr_kernarg_preload_length 0
		.amdhsa_user_sgpr_kernarg_preload_offset 0
		.amdhsa_user_sgpr_private_segment_size 0
		.amdhsa_uses_dynamic_stack 0
		.amdhsa_system_sgpr_private_segment_wavefront_offset 0
		.amdhsa_system_sgpr_workgroup_id_x 1
		.amdhsa_system_sgpr_workgroup_id_y 0
		.amdhsa_system_sgpr_workgroup_id_z 0
		.amdhsa_system_sgpr_workgroup_info 0
		.amdhsa_system_vgpr_workitem_id 0
		.amdhsa_next_free_vgpr 1
		.amdhsa_next_free_sgpr 0
		.amdhsa_accum_offset 4
		.amdhsa_reserve_vcc 0
		.amdhsa_reserve_flat_scratch 0
		.amdhsa_float_round_mode_32 0
		.amdhsa_float_round_mode_16_64 0
		.amdhsa_float_denorm_mode_32 3
		.amdhsa_float_denorm_mode_16_64 3
		.amdhsa_dx10_clamp 1
		.amdhsa_ieee_mode 1
		.amdhsa_fp16_overflow 0
		.amdhsa_tg_split 0
		.amdhsa_exception_fp_ieee_invalid_op 0
		.amdhsa_exception_fp_denorm_src 0
		.amdhsa_exception_fp_ieee_div_zero 0
		.amdhsa_exception_fp_ieee_overflow 0
		.amdhsa_exception_fp_ieee_underflow 0
		.amdhsa_exception_fp_ieee_inexact 0
		.amdhsa_exception_int_div_zero 0
	.end_amdhsa_kernel
	.section	.text._ZN7rocprim17ROCPRIM_400000_NS6detail17trampoline_kernelINS0_14default_configENS1_36segmented_radix_sort_config_selectorI6__halflEEZNS1_25segmented_radix_sort_implIS3_Lb0EPKS5_PS5_PKlPlN2at6native12_GLOBAL__N_18offset_tEEE10hipError_tPvRmT1_PNSt15iterator_traitsISL_E10value_typeET2_T3_PNSM_ISR_E10value_typeET4_jRbjT5_SX_jjP12ihipStream_tbEUlT_E1_NS1_11comp_targetILNS1_3genE2ELNS1_11target_archE906ELNS1_3gpuE6ELNS1_3repE0EEENS1_59segmented_radix_sort_warp_sort_small_config_static_selectorELNS0_4arch9wavefront6targetE1EEEvSL_,"axG",@progbits,_ZN7rocprim17ROCPRIM_400000_NS6detail17trampoline_kernelINS0_14default_configENS1_36segmented_radix_sort_config_selectorI6__halflEEZNS1_25segmented_radix_sort_implIS3_Lb0EPKS5_PS5_PKlPlN2at6native12_GLOBAL__N_18offset_tEEE10hipError_tPvRmT1_PNSt15iterator_traitsISL_E10value_typeET2_T3_PNSM_ISR_E10value_typeET4_jRbjT5_SX_jjP12ihipStream_tbEUlT_E1_NS1_11comp_targetILNS1_3genE2ELNS1_11target_archE906ELNS1_3gpuE6ELNS1_3repE0EEENS1_59segmented_radix_sort_warp_sort_small_config_static_selectorELNS0_4arch9wavefront6targetE1EEEvSL_,comdat
.Lfunc_end1865:
	.size	_ZN7rocprim17ROCPRIM_400000_NS6detail17trampoline_kernelINS0_14default_configENS1_36segmented_radix_sort_config_selectorI6__halflEEZNS1_25segmented_radix_sort_implIS3_Lb0EPKS5_PS5_PKlPlN2at6native12_GLOBAL__N_18offset_tEEE10hipError_tPvRmT1_PNSt15iterator_traitsISL_E10value_typeET2_T3_PNSM_ISR_E10value_typeET4_jRbjT5_SX_jjP12ihipStream_tbEUlT_E1_NS1_11comp_targetILNS1_3genE2ELNS1_11target_archE906ELNS1_3gpuE6ELNS1_3repE0EEENS1_59segmented_radix_sort_warp_sort_small_config_static_selectorELNS0_4arch9wavefront6targetE1EEEvSL_, .Lfunc_end1865-_ZN7rocprim17ROCPRIM_400000_NS6detail17trampoline_kernelINS0_14default_configENS1_36segmented_radix_sort_config_selectorI6__halflEEZNS1_25segmented_radix_sort_implIS3_Lb0EPKS5_PS5_PKlPlN2at6native12_GLOBAL__N_18offset_tEEE10hipError_tPvRmT1_PNSt15iterator_traitsISL_E10value_typeET2_T3_PNSM_ISR_E10value_typeET4_jRbjT5_SX_jjP12ihipStream_tbEUlT_E1_NS1_11comp_targetILNS1_3genE2ELNS1_11target_archE906ELNS1_3gpuE6ELNS1_3repE0EEENS1_59segmented_radix_sort_warp_sort_small_config_static_selectorELNS0_4arch9wavefront6targetE1EEEvSL_
                                        ; -- End function
	.section	.AMDGPU.csdata,"",@progbits
; Kernel info:
; codeLenInByte = 0
; NumSgprs: 4
; NumVgprs: 0
; NumAgprs: 0
; TotalNumVgprs: 0
; ScratchSize: 0
; MemoryBound: 0
; FloatMode: 240
; IeeeMode: 1
; LDSByteSize: 0 bytes/workgroup (compile time only)
; SGPRBlocks: 0
; VGPRBlocks: 0
; NumSGPRsForWavesPerEU: 4
; NumVGPRsForWavesPerEU: 1
; AccumOffset: 4
; Occupancy: 8
; WaveLimiterHint : 0
; COMPUTE_PGM_RSRC2:SCRATCH_EN: 0
; COMPUTE_PGM_RSRC2:USER_SGPR: 6
; COMPUTE_PGM_RSRC2:TRAP_HANDLER: 0
; COMPUTE_PGM_RSRC2:TGID_X_EN: 1
; COMPUTE_PGM_RSRC2:TGID_Y_EN: 0
; COMPUTE_PGM_RSRC2:TGID_Z_EN: 0
; COMPUTE_PGM_RSRC2:TIDIG_COMP_CNT: 0
; COMPUTE_PGM_RSRC3_GFX90A:ACCUM_OFFSET: 0
; COMPUTE_PGM_RSRC3_GFX90A:TG_SPLIT: 0
	.section	.text._ZN7rocprim17ROCPRIM_400000_NS6detail17trampoline_kernelINS0_14default_configENS1_36segmented_radix_sort_config_selectorI6__halflEEZNS1_25segmented_radix_sort_implIS3_Lb0EPKS5_PS5_PKlPlN2at6native12_GLOBAL__N_18offset_tEEE10hipError_tPvRmT1_PNSt15iterator_traitsISL_E10value_typeET2_T3_PNSM_ISR_E10value_typeET4_jRbjT5_SX_jjP12ihipStream_tbEUlT_E1_NS1_11comp_targetILNS1_3genE10ELNS1_11target_archE1201ELNS1_3gpuE5ELNS1_3repE0EEENS1_59segmented_radix_sort_warp_sort_small_config_static_selectorELNS0_4arch9wavefront6targetE1EEEvSL_,"axG",@progbits,_ZN7rocprim17ROCPRIM_400000_NS6detail17trampoline_kernelINS0_14default_configENS1_36segmented_radix_sort_config_selectorI6__halflEEZNS1_25segmented_radix_sort_implIS3_Lb0EPKS5_PS5_PKlPlN2at6native12_GLOBAL__N_18offset_tEEE10hipError_tPvRmT1_PNSt15iterator_traitsISL_E10value_typeET2_T3_PNSM_ISR_E10value_typeET4_jRbjT5_SX_jjP12ihipStream_tbEUlT_E1_NS1_11comp_targetILNS1_3genE10ELNS1_11target_archE1201ELNS1_3gpuE5ELNS1_3repE0EEENS1_59segmented_radix_sort_warp_sort_small_config_static_selectorELNS0_4arch9wavefront6targetE1EEEvSL_,comdat
	.globl	_ZN7rocprim17ROCPRIM_400000_NS6detail17trampoline_kernelINS0_14default_configENS1_36segmented_radix_sort_config_selectorI6__halflEEZNS1_25segmented_radix_sort_implIS3_Lb0EPKS5_PS5_PKlPlN2at6native12_GLOBAL__N_18offset_tEEE10hipError_tPvRmT1_PNSt15iterator_traitsISL_E10value_typeET2_T3_PNSM_ISR_E10value_typeET4_jRbjT5_SX_jjP12ihipStream_tbEUlT_E1_NS1_11comp_targetILNS1_3genE10ELNS1_11target_archE1201ELNS1_3gpuE5ELNS1_3repE0EEENS1_59segmented_radix_sort_warp_sort_small_config_static_selectorELNS0_4arch9wavefront6targetE1EEEvSL_ ; -- Begin function _ZN7rocprim17ROCPRIM_400000_NS6detail17trampoline_kernelINS0_14default_configENS1_36segmented_radix_sort_config_selectorI6__halflEEZNS1_25segmented_radix_sort_implIS3_Lb0EPKS5_PS5_PKlPlN2at6native12_GLOBAL__N_18offset_tEEE10hipError_tPvRmT1_PNSt15iterator_traitsISL_E10value_typeET2_T3_PNSM_ISR_E10value_typeET4_jRbjT5_SX_jjP12ihipStream_tbEUlT_E1_NS1_11comp_targetILNS1_3genE10ELNS1_11target_archE1201ELNS1_3gpuE5ELNS1_3repE0EEENS1_59segmented_radix_sort_warp_sort_small_config_static_selectorELNS0_4arch9wavefront6targetE1EEEvSL_
	.p2align	8
	.type	_ZN7rocprim17ROCPRIM_400000_NS6detail17trampoline_kernelINS0_14default_configENS1_36segmented_radix_sort_config_selectorI6__halflEEZNS1_25segmented_radix_sort_implIS3_Lb0EPKS5_PS5_PKlPlN2at6native12_GLOBAL__N_18offset_tEEE10hipError_tPvRmT1_PNSt15iterator_traitsISL_E10value_typeET2_T3_PNSM_ISR_E10value_typeET4_jRbjT5_SX_jjP12ihipStream_tbEUlT_E1_NS1_11comp_targetILNS1_3genE10ELNS1_11target_archE1201ELNS1_3gpuE5ELNS1_3repE0EEENS1_59segmented_radix_sort_warp_sort_small_config_static_selectorELNS0_4arch9wavefront6targetE1EEEvSL_,@function
_ZN7rocprim17ROCPRIM_400000_NS6detail17trampoline_kernelINS0_14default_configENS1_36segmented_radix_sort_config_selectorI6__halflEEZNS1_25segmented_radix_sort_implIS3_Lb0EPKS5_PS5_PKlPlN2at6native12_GLOBAL__N_18offset_tEEE10hipError_tPvRmT1_PNSt15iterator_traitsISL_E10value_typeET2_T3_PNSM_ISR_E10value_typeET4_jRbjT5_SX_jjP12ihipStream_tbEUlT_E1_NS1_11comp_targetILNS1_3genE10ELNS1_11target_archE1201ELNS1_3gpuE5ELNS1_3repE0EEENS1_59segmented_radix_sort_warp_sort_small_config_static_selectorELNS0_4arch9wavefront6targetE1EEEvSL_: ; @_ZN7rocprim17ROCPRIM_400000_NS6detail17trampoline_kernelINS0_14default_configENS1_36segmented_radix_sort_config_selectorI6__halflEEZNS1_25segmented_radix_sort_implIS3_Lb0EPKS5_PS5_PKlPlN2at6native12_GLOBAL__N_18offset_tEEE10hipError_tPvRmT1_PNSt15iterator_traitsISL_E10value_typeET2_T3_PNSM_ISR_E10value_typeET4_jRbjT5_SX_jjP12ihipStream_tbEUlT_E1_NS1_11comp_targetILNS1_3genE10ELNS1_11target_archE1201ELNS1_3gpuE5ELNS1_3repE0EEENS1_59segmented_radix_sort_warp_sort_small_config_static_selectorELNS0_4arch9wavefront6targetE1EEEvSL_
; %bb.0:
	.section	.rodata,"a",@progbits
	.p2align	6, 0x0
	.amdhsa_kernel _ZN7rocprim17ROCPRIM_400000_NS6detail17trampoline_kernelINS0_14default_configENS1_36segmented_radix_sort_config_selectorI6__halflEEZNS1_25segmented_radix_sort_implIS3_Lb0EPKS5_PS5_PKlPlN2at6native12_GLOBAL__N_18offset_tEEE10hipError_tPvRmT1_PNSt15iterator_traitsISL_E10value_typeET2_T3_PNSM_ISR_E10value_typeET4_jRbjT5_SX_jjP12ihipStream_tbEUlT_E1_NS1_11comp_targetILNS1_3genE10ELNS1_11target_archE1201ELNS1_3gpuE5ELNS1_3repE0EEENS1_59segmented_radix_sort_warp_sort_small_config_static_selectorELNS0_4arch9wavefront6targetE1EEEvSL_
		.amdhsa_group_segment_fixed_size 0
		.amdhsa_private_segment_fixed_size 0
		.amdhsa_kernarg_size 88
		.amdhsa_user_sgpr_count 6
		.amdhsa_user_sgpr_private_segment_buffer 1
		.amdhsa_user_sgpr_dispatch_ptr 0
		.amdhsa_user_sgpr_queue_ptr 0
		.amdhsa_user_sgpr_kernarg_segment_ptr 1
		.amdhsa_user_sgpr_dispatch_id 0
		.amdhsa_user_sgpr_flat_scratch_init 0
		.amdhsa_user_sgpr_kernarg_preload_length 0
		.amdhsa_user_sgpr_kernarg_preload_offset 0
		.amdhsa_user_sgpr_private_segment_size 0
		.amdhsa_uses_dynamic_stack 0
		.amdhsa_system_sgpr_private_segment_wavefront_offset 0
		.amdhsa_system_sgpr_workgroup_id_x 1
		.amdhsa_system_sgpr_workgroup_id_y 0
		.amdhsa_system_sgpr_workgroup_id_z 0
		.amdhsa_system_sgpr_workgroup_info 0
		.amdhsa_system_vgpr_workitem_id 0
		.amdhsa_next_free_vgpr 1
		.amdhsa_next_free_sgpr 0
		.amdhsa_accum_offset 4
		.amdhsa_reserve_vcc 0
		.amdhsa_reserve_flat_scratch 0
		.amdhsa_float_round_mode_32 0
		.amdhsa_float_round_mode_16_64 0
		.amdhsa_float_denorm_mode_32 3
		.amdhsa_float_denorm_mode_16_64 3
		.amdhsa_dx10_clamp 1
		.amdhsa_ieee_mode 1
		.amdhsa_fp16_overflow 0
		.amdhsa_tg_split 0
		.amdhsa_exception_fp_ieee_invalid_op 0
		.amdhsa_exception_fp_denorm_src 0
		.amdhsa_exception_fp_ieee_div_zero 0
		.amdhsa_exception_fp_ieee_overflow 0
		.amdhsa_exception_fp_ieee_underflow 0
		.amdhsa_exception_fp_ieee_inexact 0
		.amdhsa_exception_int_div_zero 0
	.end_amdhsa_kernel
	.section	.text._ZN7rocprim17ROCPRIM_400000_NS6detail17trampoline_kernelINS0_14default_configENS1_36segmented_radix_sort_config_selectorI6__halflEEZNS1_25segmented_radix_sort_implIS3_Lb0EPKS5_PS5_PKlPlN2at6native12_GLOBAL__N_18offset_tEEE10hipError_tPvRmT1_PNSt15iterator_traitsISL_E10value_typeET2_T3_PNSM_ISR_E10value_typeET4_jRbjT5_SX_jjP12ihipStream_tbEUlT_E1_NS1_11comp_targetILNS1_3genE10ELNS1_11target_archE1201ELNS1_3gpuE5ELNS1_3repE0EEENS1_59segmented_radix_sort_warp_sort_small_config_static_selectorELNS0_4arch9wavefront6targetE1EEEvSL_,"axG",@progbits,_ZN7rocprim17ROCPRIM_400000_NS6detail17trampoline_kernelINS0_14default_configENS1_36segmented_radix_sort_config_selectorI6__halflEEZNS1_25segmented_radix_sort_implIS3_Lb0EPKS5_PS5_PKlPlN2at6native12_GLOBAL__N_18offset_tEEE10hipError_tPvRmT1_PNSt15iterator_traitsISL_E10value_typeET2_T3_PNSM_ISR_E10value_typeET4_jRbjT5_SX_jjP12ihipStream_tbEUlT_E1_NS1_11comp_targetILNS1_3genE10ELNS1_11target_archE1201ELNS1_3gpuE5ELNS1_3repE0EEENS1_59segmented_radix_sort_warp_sort_small_config_static_selectorELNS0_4arch9wavefront6targetE1EEEvSL_,comdat
.Lfunc_end1866:
	.size	_ZN7rocprim17ROCPRIM_400000_NS6detail17trampoline_kernelINS0_14default_configENS1_36segmented_radix_sort_config_selectorI6__halflEEZNS1_25segmented_radix_sort_implIS3_Lb0EPKS5_PS5_PKlPlN2at6native12_GLOBAL__N_18offset_tEEE10hipError_tPvRmT1_PNSt15iterator_traitsISL_E10value_typeET2_T3_PNSM_ISR_E10value_typeET4_jRbjT5_SX_jjP12ihipStream_tbEUlT_E1_NS1_11comp_targetILNS1_3genE10ELNS1_11target_archE1201ELNS1_3gpuE5ELNS1_3repE0EEENS1_59segmented_radix_sort_warp_sort_small_config_static_selectorELNS0_4arch9wavefront6targetE1EEEvSL_, .Lfunc_end1866-_ZN7rocprim17ROCPRIM_400000_NS6detail17trampoline_kernelINS0_14default_configENS1_36segmented_radix_sort_config_selectorI6__halflEEZNS1_25segmented_radix_sort_implIS3_Lb0EPKS5_PS5_PKlPlN2at6native12_GLOBAL__N_18offset_tEEE10hipError_tPvRmT1_PNSt15iterator_traitsISL_E10value_typeET2_T3_PNSM_ISR_E10value_typeET4_jRbjT5_SX_jjP12ihipStream_tbEUlT_E1_NS1_11comp_targetILNS1_3genE10ELNS1_11target_archE1201ELNS1_3gpuE5ELNS1_3repE0EEENS1_59segmented_radix_sort_warp_sort_small_config_static_selectorELNS0_4arch9wavefront6targetE1EEEvSL_
                                        ; -- End function
	.section	.AMDGPU.csdata,"",@progbits
; Kernel info:
; codeLenInByte = 0
; NumSgprs: 4
; NumVgprs: 0
; NumAgprs: 0
; TotalNumVgprs: 0
; ScratchSize: 0
; MemoryBound: 0
; FloatMode: 240
; IeeeMode: 1
; LDSByteSize: 0 bytes/workgroup (compile time only)
; SGPRBlocks: 0
; VGPRBlocks: 0
; NumSGPRsForWavesPerEU: 4
; NumVGPRsForWavesPerEU: 1
; AccumOffset: 4
; Occupancy: 8
; WaveLimiterHint : 0
; COMPUTE_PGM_RSRC2:SCRATCH_EN: 0
; COMPUTE_PGM_RSRC2:USER_SGPR: 6
; COMPUTE_PGM_RSRC2:TRAP_HANDLER: 0
; COMPUTE_PGM_RSRC2:TGID_X_EN: 1
; COMPUTE_PGM_RSRC2:TGID_Y_EN: 0
; COMPUTE_PGM_RSRC2:TGID_Z_EN: 0
; COMPUTE_PGM_RSRC2:TIDIG_COMP_CNT: 0
; COMPUTE_PGM_RSRC3_GFX90A:ACCUM_OFFSET: 0
; COMPUTE_PGM_RSRC3_GFX90A:TG_SPLIT: 0
	.section	.text._ZN7rocprim17ROCPRIM_400000_NS6detail17trampoline_kernelINS0_14default_configENS1_36segmented_radix_sort_config_selectorI6__halflEEZNS1_25segmented_radix_sort_implIS3_Lb0EPKS5_PS5_PKlPlN2at6native12_GLOBAL__N_18offset_tEEE10hipError_tPvRmT1_PNSt15iterator_traitsISL_E10value_typeET2_T3_PNSM_ISR_E10value_typeET4_jRbjT5_SX_jjP12ihipStream_tbEUlT_E1_NS1_11comp_targetILNS1_3genE10ELNS1_11target_archE1200ELNS1_3gpuE4ELNS1_3repE0EEENS1_59segmented_radix_sort_warp_sort_small_config_static_selectorELNS0_4arch9wavefront6targetE1EEEvSL_,"axG",@progbits,_ZN7rocprim17ROCPRIM_400000_NS6detail17trampoline_kernelINS0_14default_configENS1_36segmented_radix_sort_config_selectorI6__halflEEZNS1_25segmented_radix_sort_implIS3_Lb0EPKS5_PS5_PKlPlN2at6native12_GLOBAL__N_18offset_tEEE10hipError_tPvRmT1_PNSt15iterator_traitsISL_E10value_typeET2_T3_PNSM_ISR_E10value_typeET4_jRbjT5_SX_jjP12ihipStream_tbEUlT_E1_NS1_11comp_targetILNS1_3genE10ELNS1_11target_archE1200ELNS1_3gpuE4ELNS1_3repE0EEENS1_59segmented_radix_sort_warp_sort_small_config_static_selectorELNS0_4arch9wavefront6targetE1EEEvSL_,comdat
	.globl	_ZN7rocprim17ROCPRIM_400000_NS6detail17trampoline_kernelINS0_14default_configENS1_36segmented_radix_sort_config_selectorI6__halflEEZNS1_25segmented_radix_sort_implIS3_Lb0EPKS5_PS5_PKlPlN2at6native12_GLOBAL__N_18offset_tEEE10hipError_tPvRmT1_PNSt15iterator_traitsISL_E10value_typeET2_T3_PNSM_ISR_E10value_typeET4_jRbjT5_SX_jjP12ihipStream_tbEUlT_E1_NS1_11comp_targetILNS1_3genE10ELNS1_11target_archE1200ELNS1_3gpuE4ELNS1_3repE0EEENS1_59segmented_radix_sort_warp_sort_small_config_static_selectorELNS0_4arch9wavefront6targetE1EEEvSL_ ; -- Begin function _ZN7rocprim17ROCPRIM_400000_NS6detail17trampoline_kernelINS0_14default_configENS1_36segmented_radix_sort_config_selectorI6__halflEEZNS1_25segmented_radix_sort_implIS3_Lb0EPKS5_PS5_PKlPlN2at6native12_GLOBAL__N_18offset_tEEE10hipError_tPvRmT1_PNSt15iterator_traitsISL_E10value_typeET2_T3_PNSM_ISR_E10value_typeET4_jRbjT5_SX_jjP12ihipStream_tbEUlT_E1_NS1_11comp_targetILNS1_3genE10ELNS1_11target_archE1200ELNS1_3gpuE4ELNS1_3repE0EEENS1_59segmented_radix_sort_warp_sort_small_config_static_selectorELNS0_4arch9wavefront6targetE1EEEvSL_
	.p2align	8
	.type	_ZN7rocprim17ROCPRIM_400000_NS6detail17trampoline_kernelINS0_14default_configENS1_36segmented_radix_sort_config_selectorI6__halflEEZNS1_25segmented_radix_sort_implIS3_Lb0EPKS5_PS5_PKlPlN2at6native12_GLOBAL__N_18offset_tEEE10hipError_tPvRmT1_PNSt15iterator_traitsISL_E10value_typeET2_T3_PNSM_ISR_E10value_typeET4_jRbjT5_SX_jjP12ihipStream_tbEUlT_E1_NS1_11comp_targetILNS1_3genE10ELNS1_11target_archE1200ELNS1_3gpuE4ELNS1_3repE0EEENS1_59segmented_radix_sort_warp_sort_small_config_static_selectorELNS0_4arch9wavefront6targetE1EEEvSL_,@function
_ZN7rocprim17ROCPRIM_400000_NS6detail17trampoline_kernelINS0_14default_configENS1_36segmented_radix_sort_config_selectorI6__halflEEZNS1_25segmented_radix_sort_implIS3_Lb0EPKS5_PS5_PKlPlN2at6native12_GLOBAL__N_18offset_tEEE10hipError_tPvRmT1_PNSt15iterator_traitsISL_E10value_typeET2_T3_PNSM_ISR_E10value_typeET4_jRbjT5_SX_jjP12ihipStream_tbEUlT_E1_NS1_11comp_targetILNS1_3genE10ELNS1_11target_archE1200ELNS1_3gpuE4ELNS1_3repE0EEENS1_59segmented_radix_sort_warp_sort_small_config_static_selectorELNS0_4arch9wavefront6targetE1EEEvSL_: ; @_ZN7rocprim17ROCPRIM_400000_NS6detail17trampoline_kernelINS0_14default_configENS1_36segmented_radix_sort_config_selectorI6__halflEEZNS1_25segmented_radix_sort_implIS3_Lb0EPKS5_PS5_PKlPlN2at6native12_GLOBAL__N_18offset_tEEE10hipError_tPvRmT1_PNSt15iterator_traitsISL_E10value_typeET2_T3_PNSM_ISR_E10value_typeET4_jRbjT5_SX_jjP12ihipStream_tbEUlT_E1_NS1_11comp_targetILNS1_3genE10ELNS1_11target_archE1200ELNS1_3gpuE4ELNS1_3repE0EEENS1_59segmented_radix_sort_warp_sort_small_config_static_selectorELNS0_4arch9wavefront6targetE1EEEvSL_
; %bb.0:
	.section	.rodata,"a",@progbits
	.p2align	6, 0x0
	.amdhsa_kernel _ZN7rocprim17ROCPRIM_400000_NS6detail17trampoline_kernelINS0_14default_configENS1_36segmented_radix_sort_config_selectorI6__halflEEZNS1_25segmented_radix_sort_implIS3_Lb0EPKS5_PS5_PKlPlN2at6native12_GLOBAL__N_18offset_tEEE10hipError_tPvRmT1_PNSt15iterator_traitsISL_E10value_typeET2_T3_PNSM_ISR_E10value_typeET4_jRbjT5_SX_jjP12ihipStream_tbEUlT_E1_NS1_11comp_targetILNS1_3genE10ELNS1_11target_archE1200ELNS1_3gpuE4ELNS1_3repE0EEENS1_59segmented_radix_sort_warp_sort_small_config_static_selectorELNS0_4arch9wavefront6targetE1EEEvSL_
		.amdhsa_group_segment_fixed_size 0
		.amdhsa_private_segment_fixed_size 0
		.amdhsa_kernarg_size 88
		.amdhsa_user_sgpr_count 6
		.amdhsa_user_sgpr_private_segment_buffer 1
		.amdhsa_user_sgpr_dispatch_ptr 0
		.amdhsa_user_sgpr_queue_ptr 0
		.amdhsa_user_sgpr_kernarg_segment_ptr 1
		.amdhsa_user_sgpr_dispatch_id 0
		.amdhsa_user_sgpr_flat_scratch_init 0
		.amdhsa_user_sgpr_kernarg_preload_length 0
		.amdhsa_user_sgpr_kernarg_preload_offset 0
		.amdhsa_user_sgpr_private_segment_size 0
		.amdhsa_uses_dynamic_stack 0
		.amdhsa_system_sgpr_private_segment_wavefront_offset 0
		.amdhsa_system_sgpr_workgroup_id_x 1
		.amdhsa_system_sgpr_workgroup_id_y 0
		.amdhsa_system_sgpr_workgroup_id_z 0
		.amdhsa_system_sgpr_workgroup_info 0
		.amdhsa_system_vgpr_workitem_id 0
		.amdhsa_next_free_vgpr 1
		.amdhsa_next_free_sgpr 0
		.amdhsa_accum_offset 4
		.amdhsa_reserve_vcc 0
		.amdhsa_reserve_flat_scratch 0
		.amdhsa_float_round_mode_32 0
		.amdhsa_float_round_mode_16_64 0
		.amdhsa_float_denorm_mode_32 3
		.amdhsa_float_denorm_mode_16_64 3
		.amdhsa_dx10_clamp 1
		.amdhsa_ieee_mode 1
		.amdhsa_fp16_overflow 0
		.amdhsa_tg_split 0
		.amdhsa_exception_fp_ieee_invalid_op 0
		.amdhsa_exception_fp_denorm_src 0
		.amdhsa_exception_fp_ieee_div_zero 0
		.amdhsa_exception_fp_ieee_overflow 0
		.amdhsa_exception_fp_ieee_underflow 0
		.amdhsa_exception_fp_ieee_inexact 0
		.amdhsa_exception_int_div_zero 0
	.end_amdhsa_kernel
	.section	.text._ZN7rocprim17ROCPRIM_400000_NS6detail17trampoline_kernelINS0_14default_configENS1_36segmented_radix_sort_config_selectorI6__halflEEZNS1_25segmented_radix_sort_implIS3_Lb0EPKS5_PS5_PKlPlN2at6native12_GLOBAL__N_18offset_tEEE10hipError_tPvRmT1_PNSt15iterator_traitsISL_E10value_typeET2_T3_PNSM_ISR_E10value_typeET4_jRbjT5_SX_jjP12ihipStream_tbEUlT_E1_NS1_11comp_targetILNS1_3genE10ELNS1_11target_archE1200ELNS1_3gpuE4ELNS1_3repE0EEENS1_59segmented_radix_sort_warp_sort_small_config_static_selectorELNS0_4arch9wavefront6targetE1EEEvSL_,"axG",@progbits,_ZN7rocprim17ROCPRIM_400000_NS6detail17trampoline_kernelINS0_14default_configENS1_36segmented_radix_sort_config_selectorI6__halflEEZNS1_25segmented_radix_sort_implIS3_Lb0EPKS5_PS5_PKlPlN2at6native12_GLOBAL__N_18offset_tEEE10hipError_tPvRmT1_PNSt15iterator_traitsISL_E10value_typeET2_T3_PNSM_ISR_E10value_typeET4_jRbjT5_SX_jjP12ihipStream_tbEUlT_E1_NS1_11comp_targetILNS1_3genE10ELNS1_11target_archE1200ELNS1_3gpuE4ELNS1_3repE0EEENS1_59segmented_radix_sort_warp_sort_small_config_static_selectorELNS0_4arch9wavefront6targetE1EEEvSL_,comdat
.Lfunc_end1867:
	.size	_ZN7rocprim17ROCPRIM_400000_NS6detail17trampoline_kernelINS0_14default_configENS1_36segmented_radix_sort_config_selectorI6__halflEEZNS1_25segmented_radix_sort_implIS3_Lb0EPKS5_PS5_PKlPlN2at6native12_GLOBAL__N_18offset_tEEE10hipError_tPvRmT1_PNSt15iterator_traitsISL_E10value_typeET2_T3_PNSM_ISR_E10value_typeET4_jRbjT5_SX_jjP12ihipStream_tbEUlT_E1_NS1_11comp_targetILNS1_3genE10ELNS1_11target_archE1200ELNS1_3gpuE4ELNS1_3repE0EEENS1_59segmented_radix_sort_warp_sort_small_config_static_selectorELNS0_4arch9wavefront6targetE1EEEvSL_, .Lfunc_end1867-_ZN7rocprim17ROCPRIM_400000_NS6detail17trampoline_kernelINS0_14default_configENS1_36segmented_radix_sort_config_selectorI6__halflEEZNS1_25segmented_radix_sort_implIS3_Lb0EPKS5_PS5_PKlPlN2at6native12_GLOBAL__N_18offset_tEEE10hipError_tPvRmT1_PNSt15iterator_traitsISL_E10value_typeET2_T3_PNSM_ISR_E10value_typeET4_jRbjT5_SX_jjP12ihipStream_tbEUlT_E1_NS1_11comp_targetILNS1_3genE10ELNS1_11target_archE1200ELNS1_3gpuE4ELNS1_3repE0EEENS1_59segmented_radix_sort_warp_sort_small_config_static_selectorELNS0_4arch9wavefront6targetE1EEEvSL_
                                        ; -- End function
	.section	.AMDGPU.csdata,"",@progbits
; Kernel info:
; codeLenInByte = 0
; NumSgprs: 4
; NumVgprs: 0
; NumAgprs: 0
; TotalNumVgprs: 0
; ScratchSize: 0
; MemoryBound: 0
; FloatMode: 240
; IeeeMode: 1
; LDSByteSize: 0 bytes/workgroup (compile time only)
; SGPRBlocks: 0
; VGPRBlocks: 0
; NumSGPRsForWavesPerEU: 4
; NumVGPRsForWavesPerEU: 1
; AccumOffset: 4
; Occupancy: 8
; WaveLimiterHint : 0
; COMPUTE_PGM_RSRC2:SCRATCH_EN: 0
; COMPUTE_PGM_RSRC2:USER_SGPR: 6
; COMPUTE_PGM_RSRC2:TRAP_HANDLER: 0
; COMPUTE_PGM_RSRC2:TGID_X_EN: 1
; COMPUTE_PGM_RSRC2:TGID_Y_EN: 0
; COMPUTE_PGM_RSRC2:TGID_Z_EN: 0
; COMPUTE_PGM_RSRC2:TIDIG_COMP_CNT: 0
; COMPUTE_PGM_RSRC3_GFX90A:ACCUM_OFFSET: 0
; COMPUTE_PGM_RSRC3_GFX90A:TG_SPLIT: 0
	.section	.text._ZN7rocprim17ROCPRIM_400000_NS6detail17trampoline_kernelINS0_14default_configENS1_36segmented_radix_sort_config_selectorI6__halflEEZNS1_25segmented_radix_sort_implIS3_Lb0EPKS5_PS5_PKlPlN2at6native12_GLOBAL__N_18offset_tEEE10hipError_tPvRmT1_PNSt15iterator_traitsISL_E10value_typeET2_T3_PNSM_ISR_E10value_typeET4_jRbjT5_SX_jjP12ihipStream_tbEUlT_E1_NS1_11comp_targetILNS1_3genE9ELNS1_11target_archE1100ELNS1_3gpuE3ELNS1_3repE0EEENS1_59segmented_radix_sort_warp_sort_small_config_static_selectorELNS0_4arch9wavefront6targetE1EEEvSL_,"axG",@progbits,_ZN7rocprim17ROCPRIM_400000_NS6detail17trampoline_kernelINS0_14default_configENS1_36segmented_radix_sort_config_selectorI6__halflEEZNS1_25segmented_radix_sort_implIS3_Lb0EPKS5_PS5_PKlPlN2at6native12_GLOBAL__N_18offset_tEEE10hipError_tPvRmT1_PNSt15iterator_traitsISL_E10value_typeET2_T3_PNSM_ISR_E10value_typeET4_jRbjT5_SX_jjP12ihipStream_tbEUlT_E1_NS1_11comp_targetILNS1_3genE9ELNS1_11target_archE1100ELNS1_3gpuE3ELNS1_3repE0EEENS1_59segmented_radix_sort_warp_sort_small_config_static_selectorELNS0_4arch9wavefront6targetE1EEEvSL_,comdat
	.globl	_ZN7rocprim17ROCPRIM_400000_NS6detail17trampoline_kernelINS0_14default_configENS1_36segmented_radix_sort_config_selectorI6__halflEEZNS1_25segmented_radix_sort_implIS3_Lb0EPKS5_PS5_PKlPlN2at6native12_GLOBAL__N_18offset_tEEE10hipError_tPvRmT1_PNSt15iterator_traitsISL_E10value_typeET2_T3_PNSM_ISR_E10value_typeET4_jRbjT5_SX_jjP12ihipStream_tbEUlT_E1_NS1_11comp_targetILNS1_3genE9ELNS1_11target_archE1100ELNS1_3gpuE3ELNS1_3repE0EEENS1_59segmented_radix_sort_warp_sort_small_config_static_selectorELNS0_4arch9wavefront6targetE1EEEvSL_ ; -- Begin function _ZN7rocprim17ROCPRIM_400000_NS6detail17trampoline_kernelINS0_14default_configENS1_36segmented_radix_sort_config_selectorI6__halflEEZNS1_25segmented_radix_sort_implIS3_Lb0EPKS5_PS5_PKlPlN2at6native12_GLOBAL__N_18offset_tEEE10hipError_tPvRmT1_PNSt15iterator_traitsISL_E10value_typeET2_T3_PNSM_ISR_E10value_typeET4_jRbjT5_SX_jjP12ihipStream_tbEUlT_E1_NS1_11comp_targetILNS1_3genE9ELNS1_11target_archE1100ELNS1_3gpuE3ELNS1_3repE0EEENS1_59segmented_radix_sort_warp_sort_small_config_static_selectorELNS0_4arch9wavefront6targetE1EEEvSL_
	.p2align	8
	.type	_ZN7rocprim17ROCPRIM_400000_NS6detail17trampoline_kernelINS0_14default_configENS1_36segmented_radix_sort_config_selectorI6__halflEEZNS1_25segmented_radix_sort_implIS3_Lb0EPKS5_PS5_PKlPlN2at6native12_GLOBAL__N_18offset_tEEE10hipError_tPvRmT1_PNSt15iterator_traitsISL_E10value_typeET2_T3_PNSM_ISR_E10value_typeET4_jRbjT5_SX_jjP12ihipStream_tbEUlT_E1_NS1_11comp_targetILNS1_3genE9ELNS1_11target_archE1100ELNS1_3gpuE3ELNS1_3repE0EEENS1_59segmented_radix_sort_warp_sort_small_config_static_selectorELNS0_4arch9wavefront6targetE1EEEvSL_,@function
_ZN7rocprim17ROCPRIM_400000_NS6detail17trampoline_kernelINS0_14default_configENS1_36segmented_radix_sort_config_selectorI6__halflEEZNS1_25segmented_radix_sort_implIS3_Lb0EPKS5_PS5_PKlPlN2at6native12_GLOBAL__N_18offset_tEEE10hipError_tPvRmT1_PNSt15iterator_traitsISL_E10value_typeET2_T3_PNSM_ISR_E10value_typeET4_jRbjT5_SX_jjP12ihipStream_tbEUlT_E1_NS1_11comp_targetILNS1_3genE9ELNS1_11target_archE1100ELNS1_3gpuE3ELNS1_3repE0EEENS1_59segmented_radix_sort_warp_sort_small_config_static_selectorELNS0_4arch9wavefront6targetE1EEEvSL_: ; @_ZN7rocprim17ROCPRIM_400000_NS6detail17trampoline_kernelINS0_14default_configENS1_36segmented_radix_sort_config_selectorI6__halflEEZNS1_25segmented_radix_sort_implIS3_Lb0EPKS5_PS5_PKlPlN2at6native12_GLOBAL__N_18offset_tEEE10hipError_tPvRmT1_PNSt15iterator_traitsISL_E10value_typeET2_T3_PNSM_ISR_E10value_typeET4_jRbjT5_SX_jjP12ihipStream_tbEUlT_E1_NS1_11comp_targetILNS1_3genE9ELNS1_11target_archE1100ELNS1_3gpuE3ELNS1_3repE0EEENS1_59segmented_radix_sort_warp_sort_small_config_static_selectorELNS0_4arch9wavefront6targetE1EEEvSL_
; %bb.0:
	.section	.rodata,"a",@progbits
	.p2align	6, 0x0
	.amdhsa_kernel _ZN7rocprim17ROCPRIM_400000_NS6detail17trampoline_kernelINS0_14default_configENS1_36segmented_radix_sort_config_selectorI6__halflEEZNS1_25segmented_radix_sort_implIS3_Lb0EPKS5_PS5_PKlPlN2at6native12_GLOBAL__N_18offset_tEEE10hipError_tPvRmT1_PNSt15iterator_traitsISL_E10value_typeET2_T3_PNSM_ISR_E10value_typeET4_jRbjT5_SX_jjP12ihipStream_tbEUlT_E1_NS1_11comp_targetILNS1_3genE9ELNS1_11target_archE1100ELNS1_3gpuE3ELNS1_3repE0EEENS1_59segmented_radix_sort_warp_sort_small_config_static_selectorELNS0_4arch9wavefront6targetE1EEEvSL_
		.amdhsa_group_segment_fixed_size 0
		.amdhsa_private_segment_fixed_size 0
		.amdhsa_kernarg_size 88
		.amdhsa_user_sgpr_count 6
		.amdhsa_user_sgpr_private_segment_buffer 1
		.amdhsa_user_sgpr_dispatch_ptr 0
		.amdhsa_user_sgpr_queue_ptr 0
		.amdhsa_user_sgpr_kernarg_segment_ptr 1
		.amdhsa_user_sgpr_dispatch_id 0
		.amdhsa_user_sgpr_flat_scratch_init 0
		.amdhsa_user_sgpr_kernarg_preload_length 0
		.amdhsa_user_sgpr_kernarg_preload_offset 0
		.amdhsa_user_sgpr_private_segment_size 0
		.amdhsa_uses_dynamic_stack 0
		.amdhsa_system_sgpr_private_segment_wavefront_offset 0
		.amdhsa_system_sgpr_workgroup_id_x 1
		.amdhsa_system_sgpr_workgroup_id_y 0
		.amdhsa_system_sgpr_workgroup_id_z 0
		.amdhsa_system_sgpr_workgroup_info 0
		.amdhsa_system_vgpr_workitem_id 0
		.amdhsa_next_free_vgpr 1
		.amdhsa_next_free_sgpr 0
		.amdhsa_accum_offset 4
		.amdhsa_reserve_vcc 0
		.amdhsa_reserve_flat_scratch 0
		.amdhsa_float_round_mode_32 0
		.amdhsa_float_round_mode_16_64 0
		.amdhsa_float_denorm_mode_32 3
		.amdhsa_float_denorm_mode_16_64 3
		.amdhsa_dx10_clamp 1
		.amdhsa_ieee_mode 1
		.amdhsa_fp16_overflow 0
		.amdhsa_tg_split 0
		.amdhsa_exception_fp_ieee_invalid_op 0
		.amdhsa_exception_fp_denorm_src 0
		.amdhsa_exception_fp_ieee_div_zero 0
		.amdhsa_exception_fp_ieee_overflow 0
		.amdhsa_exception_fp_ieee_underflow 0
		.amdhsa_exception_fp_ieee_inexact 0
		.amdhsa_exception_int_div_zero 0
	.end_amdhsa_kernel
	.section	.text._ZN7rocprim17ROCPRIM_400000_NS6detail17trampoline_kernelINS0_14default_configENS1_36segmented_radix_sort_config_selectorI6__halflEEZNS1_25segmented_radix_sort_implIS3_Lb0EPKS5_PS5_PKlPlN2at6native12_GLOBAL__N_18offset_tEEE10hipError_tPvRmT1_PNSt15iterator_traitsISL_E10value_typeET2_T3_PNSM_ISR_E10value_typeET4_jRbjT5_SX_jjP12ihipStream_tbEUlT_E1_NS1_11comp_targetILNS1_3genE9ELNS1_11target_archE1100ELNS1_3gpuE3ELNS1_3repE0EEENS1_59segmented_radix_sort_warp_sort_small_config_static_selectorELNS0_4arch9wavefront6targetE1EEEvSL_,"axG",@progbits,_ZN7rocprim17ROCPRIM_400000_NS6detail17trampoline_kernelINS0_14default_configENS1_36segmented_radix_sort_config_selectorI6__halflEEZNS1_25segmented_radix_sort_implIS3_Lb0EPKS5_PS5_PKlPlN2at6native12_GLOBAL__N_18offset_tEEE10hipError_tPvRmT1_PNSt15iterator_traitsISL_E10value_typeET2_T3_PNSM_ISR_E10value_typeET4_jRbjT5_SX_jjP12ihipStream_tbEUlT_E1_NS1_11comp_targetILNS1_3genE9ELNS1_11target_archE1100ELNS1_3gpuE3ELNS1_3repE0EEENS1_59segmented_radix_sort_warp_sort_small_config_static_selectorELNS0_4arch9wavefront6targetE1EEEvSL_,comdat
.Lfunc_end1868:
	.size	_ZN7rocprim17ROCPRIM_400000_NS6detail17trampoline_kernelINS0_14default_configENS1_36segmented_radix_sort_config_selectorI6__halflEEZNS1_25segmented_radix_sort_implIS3_Lb0EPKS5_PS5_PKlPlN2at6native12_GLOBAL__N_18offset_tEEE10hipError_tPvRmT1_PNSt15iterator_traitsISL_E10value_typeET2_T3_PNSM_ISR_E10value_typeET4_jRbjT5_SX_jjP12ihipStream_tbEUlT_E1_NS1_11comp_targetILNS1_3genE9ELNS1_11target_archE1100ELNS1_3gpuE3ELNS1_3repE0EEENS1_59segmented_radix_sort_warp_sort_small_config_static_selectorELNS0_4arch9wavefront6targetE1EEEvSL_, .Lfunc_end1868-_ZN7rocprim17ROCPRIM_400000_NS6detail17trampoline_kernelINS0_14default_configENS1_36segmented_radix_sort_config_selectorI6__halflEEZNS1_25segmented_radix_sort_implIS3_Lb0EPKS5_PS5_PKlPlN2at6native12_GLOBAL__N_18offset_tEEE10hipError_tPvRmT1_PNSt15iterator_traitsISL_E10value_typeET2_T3_PNSM_ISR_E10value_typeET4_jRbjT5_SX_jjP12ihipStream_tbEUlT_E1_NS1_11comp_targetILNS1_3genE9ELNS1_11target_archE1100ELNS1_3gpuE3ELNS1_3repE0EEENS1_59segmented_radix_sort_warp_sort_small_config_static_selectorELNS0_4arch9wavefront6targetE1EEEvSL_
                                        ; -- End function
	.section	.AMDGPU.csdata,"",@progbits
; Kernel info:
; codeLenInByte = 0
; NumSgprs: 4
; NumVgprs: 0
; NumAgprs: 0
; TotalNumVgprs: 0
; ScratchSize: 0
; MemoryBound: 0
; FloatMode: 240
; IeeeMode: 1
; LDSByteSize: 0 bytes/workgroup (compile time only)
; SGPRBlocks: 0
; VGPRBlocks: 0
; NumSGPRsForWavesPerEU: 4
; NumVGPRsForWavesPerEU: 1
; AccumOffset: 4
; Occupancy: 8
; WaveLimiterHint : 0
; COMPUTE_PGM_RSRC2:SCRATCH_EN: 0
; COMPUTE_PGM_RSRC2:USER_SGPR: 6
; COMPUTE_PGM_RSRC2:TRAP_HANDLER: 0
; COMPUTE_PGM_RSRC2:TGID_X_EN: 1
; COMPUTE_PGM_RSRC2:TGID_Y_EN: 0
; COMPUTE_PGM_RSRC2:TGID_Z_EN: 0
; COMPUTE_PGM_RSRC2:TIDIG_COMP_CNT: 0
; COMPUTE_PGM_RSRC3_GFX90A:ACCUM_OFFSET: 0
; COMPUTE_PGM_RSRC3_GFX90A:TG_SPLIT: 0
	.section	.text._ZN7rocprim17ROCPRIM_400000_NS6detail17trampoline_kernelINS0_14default_configENS1_36segmented_radix_sort_config_selectorI6__halflEEZNS1_25segmented_radix_sort_implIS3_Lb0EPKS5_PS5_PKlPlN2at6native12_GLOBAL__N_18offset_tEEE10hipError_tPvRmT1_PNSt15iterator_traitsISL_E10value_typeET2_T3_PNSM_ISR_E10value_typeET4_jRbjT5_SX_jjP12ihipStream_tbEUlT_E1_NS1_11comp_targetILNS1_3genE8ELNS1_11target_archE1030ELNS1_3gpuE2ELNS1_3repE0EEENS1_59segmented_radix_sort_warp_sort_small_config_static_selectorELNS0_4arch9wavefront6targetE1EEEvSL_,"axG",@progbits,_ZN7rocprim17ROCPRIM_400000_NS6detail17trampoline_kernelINS0_14default_configENS1_36segmented_radix_sort_config_selectorI6__halflEEZNS1_25segmented_radix_sort_implIS3_Lb0EPKS5_PS5_PKlPlN2at6native12_GLOBAL__N_18offset_tEEE10hipError_tPvRmT1_PNSt15iterator_traitsISL_E10value_typeET2_T3_PNSM_ISR_E10value_typeET4_jRbjT5_SX_jjP12ihipStream_tbEUlT_E1_NS1_11comp_targetILNS1_3genE8ELNS1_11target_archE1030ELNS1_3gpuE2ELNS1_3repE0EEENS1_59segmented_radix_sort_warp_sort_small_config_static_selectorELNS0_4arch9wavefront6targetE1EEEvSL_,comdat
	.globl	_ZN7rocprim17ROCPRIM_400000_NS6detail17trampoline_kernelINS0_14default_configENS1_36segmented_radix_sort_config_selectorI6__halflEEZNS1_25segmented_radix_sort_implIS3_Lb0EPKS5_PS5_PKlPlN2at6native12_GLOBAL__N_18offset_tEEE10hipError_tPvRmT1_PNSt15iterator_traitsISL_E10value_typeET2_T3_PNSM_ISR_E10value_typeET4_jRbjT5_SX_jjP12ihipStream_tbEUlT_E1_NS1_11comp_targetILNS1_3genE8ELNS1_11target_archE1030ELNS1_3gpuE2ELNS1_3repE0EEENS1_59segmented_radix_sort_warp_sort_small_config_static_selectorELNS0_4arch9wavefront6targetE1EEEvSL_ ; -- Begin function _ZN7rocprim17ROCPRIM_400000_NS6detail17trampoline_kernelINS0_14default_configENS1_36segmented_radix_sort_config_selectorI6__halflEEZNS1_25segmented_radix_sort_implIS3_Lb0EPKS5_PS5_PKlPlN2at6native12_GLOBAL__N_18offset_tEEE10hipError_tPvRmT1_PNSt15iterator_traitsISL_E10value_typeET2_T3_PNSM_ISR_E10value_typeET4_jRbjT5_SX_jjP12ihipStream_tbEUlT_E1_NS1_11comp_targetILNS1_3genE8ELNS1_11target_archE1030ELNS1_3gpuE2ELNS1_3repE0EEENS1_59segmented_radix_sort_warp_sort_small_config_static_selectorELNS0_4arch9wavefront6targetE1EEEvSL_
	.p2align	8
	.type	_ZN7rocprim17ROCPRIM_400000_NS6detail17trampoline_kernelINS0_14default_configENS1_36segmented_radix_sort_config_selectorI6__halflEEZNS1_25segmented_radix_sort_implIS3_Lb0EPKS5_PS5_PKlPlN2at6native12_GLOBAL__N_18offset_tEEE10hipError_tPvRmT1_PNSt15iterator_traitsISL_E10value_typeET2_T3_PNSM_ISR_E10value_typeET4_jRbjT5_SX_jjP12ihipStream_tbEUlT_E1_NS1_11comp_targetILNS1_3genE8ELNS1_11target_archE1030ELNS1_3gpuE2ELNS1_3repE0EEENS1_59segmented_radix_sort_warp_sort_small_config_static_selectorELNS0_4arch9wavefront6targetE1EEEvSL_,@function
_ZN7rocprim17ROCPRIM_400000_NS6detail17trampoline_kernelINS0_14default_configENS1_36segmented_radix_sort_config_selectorI6__halflEEZNS1_25segmented_radix_sort_implIS3_Lb0EPKS5_PS5_PKlPlN2at6native12_GLOBAL__N_18offset_tEEE10hipError_tPvRmT1_PNSt15iterator_traitsISL_E10value_typeET2_T3_PNSM_ISR_E10value_typeET4_jRbjT5_SX_jjP12ihipStream_tbEUlT_E1_NS1_11comp_targetILNS1_3genE8ELNS1_11target_archE1030ELNS1_3gpuE2ELNS1_3repE0EEENS1_59segmented_radix_sort_warp_sort_small_config_static_selectorELNS0_4arch9wavefront6targetE1EEEvSL_: ; @_ZN7rocprim17ROCPRIM_400000_NS6detail17trampoline_kernelINS0_14default_configENS1_36segmented_radix_sort_config_selectorI6__halflEEZNS1_25segmented_radix_sort_implIS3_Lb0EPKS5_PS5_PKlPlN2at6native12_GLOBAL__N_18offset_tEEE10hipError_tPvRmT1_PNSt15iterator_traitsISL_E10value_typeET2_T3_PNSM_ISR_E10value_typeET4_jRbjT5_SX_jjP12ihipStream_tbEUlT_E1_NS1_11comp_targetILNS1_3genE8ELNS1_11target_archE1030ELNS1_3gpuE2ELNS1_3repE0EEENS1_59segmented_radix_sort_warp_sort_small_config_static_selectorELNS0_4arch9wavefront6targetE1EEEvSL_
; %bb.0:
	.section	.rodata,"a",@progbits
	.p2align	6, 0x0
	.amdhsa_kernel _ZN7rocprim17ROCPRIM_400000_NS6detail17trampoline_kernelINS0_14default_configENS1_36segmented_radix_sort_config_selectorI6__halflEEZNS1_25segmented_radix_sort_implIS3_Lb0EPKS5_PS5_PKlPlN2at6native12_GLOBAL__N_18offset_tEEE10hipError_tPvRmT1_PNSt15iterator_traitsISL_E10value_typeET2_T3_PNSM_ISR_E10value_typeET4_jRbjT5_SX_jjP12ihipStream_tbEUlT_E1_NS1_11comp_targetILNS1_3genE8ELNS1_11target_archE1030ELNS1_3gpuE2ELNS1_3repE0EEENS1_59segmented_radix_sort_warp_sort_small_config_static_selectorELNS0_4arch9wavefront6targetE1EEEvSL_
		.amdhsa_group_segment_fixed_size 0
		.amdhsa_private_segment_fixed_size 0
		.amdhsa_kernarg_size 88
		.amdhsa_user_sgpr_count 6
		.amdhsa_user_sgpr_private_segment_buffer 1
		.amdhsa_user_sgpr_dispatch_ptr 0
		.amdhsa_user_sgpr_queue_ptr 0
		.amdhsa_user_sgpr_kernarg_segment_ptr 1
		.amdhsa_user_sgpr_dispatch_id 0
		.amdhsa_user_sgpr_flat_scratch_init 0
		.amdhsa_user_sgpr_kernarg_preload_length 0
		.amdhsa_user_sgpr_kernarg_preload_offset 0
		.amdhsa_user_sgpr_private_segment_size 0
		.amdhsa_uses_dynamic_stack 0
		.amdhsa_system_sgpr_private_segment_wavefront_offset 0
		.amdhsa_system_sgpr_workgroup_id_x 1
		.amdhsa_system_sgpr_workgroup_id_y 0
		.amdhsa_system_sgpr_workgroup_id_z 0
		.amdhsa_system_sgpr_workgroup_info 0
		.amdhsa_system_vgpr_workitem_id 0
		.amdhsa_next_free_vgpr 1
		.amdhsa_next_free_sgpr 0
		.amdhsa_accum_offset 4
		.amdhsa_reserve_vcc 0
		.amdhsa_reserve_flat_scratch 0
		.amdhsa_float_round_mode_32 0
		.amdhsa_float_round_mode_16_64 0
		.amdhsa_float_denorm_mode_32 3
		.amdhsa_float_denorm_mode_16_64 3
		.amdhsa_dx10_clamp 1
		.amdhsa_ieee_mode 1
		.amdhsa_fp16_overflow 0
		.amdhsa_tg_split 0
		.amdhsa_exception_fp_ieee_invalid_op 0
		.amdhsa_exception_fp_denorm_src 0
		.amdhsa_exception_fp_ieee_div_zero 0
		.amdhsa_exception_fp_ieee_overflow 0
		.amdhsa_exception_fp_ieee_underflow 0
		.amdhsa_exception_fp_ieee_inexact 0
		.amdhsa_exception_int_div_zero 0
	.end_amdhsa_kernel
	.section	.text._ZN7rocprim17ROCPRIM_400000_NS6detail17trampoline_kernelINS0_14default_configENS1_36segmented_radix_sort_config_selectorI6__halflEEZNS1_25segmented_radix_sort_implIS3_Lb0EPKS5_PS5_PKlPlN2at6native12_GLOBAL__N_18offset_tEEE10hipError_tPvRmT1_PNSt15iterator_traitsISL_E10value_typeET2_T3_PNSM_ISR_E10value_typeET4_jRbjT5_SX_jjP12ihipStream_tbEUlT_E1_NS1_11comp_targetILNS1_3genE8ELNS1_11target_archE1030ELNS1_3gpuE2ELNS1_3repE0EEENS1_59segmented_radix_sort_warp_sort_small_config_static_selectorELNS0_4arch9wavefront6targetE1EEEvSL_,"axG",@progbits,_ZN7rocprim17ROCPRIM_400000_NS6detail17trampoline_kernelINS0_14default_configENS1_36segmented_radix_sort_config_selectorI6__halflEEZNS1_25segmented_radix_sort_implIS3_Lb0EPKS5_PS5_PKlPlN2at6native12_GLOBAL__N_18offset_tEEE10hipError_tPvRmT1_PNSt15iterator_traitsISL_E10value_typeET2_T3_PNSM_ISR_E10value_typeET4_jRbjT5_SX_jjP12ihipStream_tbEUlT_E1_NS1_11comp_targetILNS1_3genE8ELNS1_11target_archE1030ELNS1_3gpuE2ELNS1_3repE0EEENS1_59segmented_radix_sort_warp_sort_small_config_static_selectorELNS0_4arch9wavefront6targetE1EEEvSL_,comdat
.Lfunc_end1869:
	.size	_ZN7rocprim17ROCPRIM_400000_NS6detail17trampoline_kernelINS0_14default_configENS1_36segmented_radix_sort_config_selectorI6__halflEEZNS1_25segmented_radix_sort_implIS3_Lb0EPKS5_PS5_PKlPlN2at6native12_GLOBAL__N_18offset_tEEE10hipError_tPvRmT1_PNSt15iterator_traitsISL_E10value_typeET2_T3_PNSM_ISR_E10value_typeET4_jRbjT5_SX_jjP12ihipStream_tbEUlT_E1_NS1_11comp_targetILNS1_3genE8ELNS1_11target_archE1030ELNS1_3gpuE2ELNS1_3repE0EEENS1_59segmented_radix_sort_warp_sort_small_config_static_selectorELNS0_4arch9wavefront6targetE1EEEvSL_, .Lfunc_end1869-_ZN7rocprim17ROCPRIM_400000_NS6detail17trampoline_kernelINS0_14default_configENS1_36segmented_radix_sort_config_selectorI6__halflEEZNS1_25segmented_radix_sort_implIS3_Lb0EPKS5_PS5_PKlPlN2at6native12_GLOBAL__N_18offset_tEEE10hipError_tPvRmT1_PNSt15iterator_traitsISL_E10value_typeET2_T3_PNSM_ISR_E10value_typeET4_jRbjT5_SX_jjP12ihipStream_tbEUlT_E1_NS1_11comp_targetILNS1_3genE8ELNS1_11target_archE1030ELNS1_3gpuE2ELNS1_3repE0EEENS1_59segmented_radix_sort_warp_sort_small_config_static_selectorELNS0_4arch9wavefront6targetE1EEEvSL_
                                        ; -- End function
	.section	.AMDGPU.csdata,"",@progbits
; Kernel info:
; codeLenInByte = 0
; NumSgprs: 4
; NumVgprs: 0
; NumAgprs: 0
; TotalNumVgprs: 0
; ScratchSize: 0
; MemoryBound: 0
; FloatMode: 240
; IeeeMode: 1
; LDSByteSize: 0 bytes/workgroup (compile time only)
; SGPRBlocks: 0
; VGPRBlocks: 0
; NumSGPRsForWavesPerEU: 4
; NumVGPRsForWavesPerEU: 1
; AccumOffset: 4
; Occupancy: 8
; WaveLimiterHint : 0
; COMPUTE_PGM_RSRC2:SCRATCH_EN: 0
; COMPUTE_PGM_RSRC2:USER_SGPR: 6
; COMPUTE_PGM_RSRC2:TRAP_HANDLER: 0
; COMPUTE_PGM_RSRC2:TGID_X_EN: 1
; COMPUTE_PGM_RSRC2:TGID_Y_EN: 0
; COMPUTE_PGM_RSRC2:TGID_Z_EN: 0
; COMPUTE_PGM_RSRC2:TIDIG_COMP_CNT: 0
; COMPUTE_PGM_RSRC3_GFX90A:ACCUM_OFFSET: 0
; COMPUTE_PGM_RSRC3_GFX90A:TG_SPLIT: 0
	.section	.text._ZN7rocprim17ROCPRIM_400000_NS6detail17trampoline_kernelINS0_14default_configENS1_36segmented_radix_sort_config_selectorI6__halflEEZNS1_25segmented_radix_sort_implIS3_Lb0EPKS5_PS5_PKlPlN2at6native12_GLOBAL__N_18offset_tEEE10hipError_tPvRmT1_PNSt15iterator_traitsISL_E10value_typeET2_T3_PNSM_ISR_E10value_typeET4_jRbjT5_SX_jjP12ihipStream_tbEUlT_E2_NS1_11comp_targetILNS1_3genE0ELNS1_11target_archE4294967295ELNS1_3gpuE0ELNS1_3repE0EEENS1_30default_config_static_selectorELNS0_4arch9wavefront6targetE1EEEvSL_,"axG",@progbits,_ZN7rocprim17ROCPRIM_400000_NS6detail17trampoline_kernelINS0_14default_configENS1_36segmented_radix_sort_config_selectorI6__halflEEZNS1_25segmented_radix_sort_implIS3_Lb0EPKS5_PS5_PKlPlN2at6native12_GLOBAL__N_18offset_tEEE10hipError_tPvRmT1_PNSt15iterator_traitsISL_E10value_typeET2_T3_PNSM_ISR_E10value_typeET4_jRbjT5_SX_jjP12ihipStream_tbEUlT_E2_NS1_11comp_targetILNS1_3genE0ELNS1_11target_archE4294967295ELNS1_3gpuE0ELNS1_3repE0EEENS1_30default_config_static_selectorELNS0_4arch9wavefront6targetE1EEEvSL_,comdat
	.globl	_ZN7rocprim17ROCPRIM_400000_NS6detail17trampoline_kernelINS0_14default_configENS1_36segmented_radix_sort_config_selectorI6__halflEEZNS1_25segmented_radix_sort_implIS3_Lb0EPKS5_PS5_PKlPlN2at6native12_GLOBAL__N_18offset_tEEE10hipError_tPvRmT1_PNSt15iterator_traitsISL_E10value_typeET2_T3_PNSM_ISR_E10value_typeET4_jRbjT5_SX_jjP12ihipStream_tbEUlT_E2_NS1_11comp_targetILNS1_3genE0ELNS1_11target_archE4294967295ELNS1_3gpuE0ELNS1_3repE0EEENS1_30default_config_static_selectorELNS0_4arch9wavefront6targetE1EEEvSL_ ; -- Begin function _ZN7rocprim17ROCPRIM_400000_NS6detail17trampoline_kernelINS0_14default_configENS1_36segmented_radix_sort_config_selectorI6__halflEEZNS1_25segmented_radix_sort_implIS3_Lb0EPKS5_PS5_PKlPlN2at6native12_GLOBAL__N_18offset_tEEE10hipError_tPvRmT1_PNSt15iterator_traitsISL_E10value_typeET2_T3_PNSM_ISR_E10value_typeET4_jRbjT5_SX_jjP12ihipStream_tbEUlT_E2_NS1_11comp_targetILNS1_3genE0ELNS1_11target_archE4294967295ELNS1_3gpuE0ELNS1_3repE0EEENS1_30default_config_static_selectorELNS0_4arch9wavefront6targetE1EEEvSL_
	.p2align	8
	.type	_ZN7rocprim17ROCPRIM_400000_NS6detail17trampoline_kernelINS0_14default_configENS1_36segmented_radix_sort_config_selectorI6__halflEEZNS1_25segmented_radix_sort_implIS3_Lb0EPKS5_PS5_PKlPlN2at6native12_GLOBAL__N_18offset_tEEE10hipError_tPvRmT1_PNSt15iterator_traitsISL_E10value_typeET2_T3_PNSM_ISR_E10value_typeET4_jRbjT5_SX_jjP12ihipStream_tbEUlT_E2_NS1_11comp_targetILNS1_3genE0ELNS1_11target_archE4294967295ELNS1_3gpuE0ELNS1_3repE0EEENS1_30default_config_static_selectorELNS0_4arch9wavefront6targetE1EEEvSL_,@function
_ZN7rocprim17ROCPRIM_400000_NS6detail17trampoline_kernelINS0_14default_configENS1_36segmented_radix_sort_config_selectorI6__halflEEZNS1_25segmented_radix_sort_implIS3_Lb0EPKS5_PS5_PKlPlN2at6native12_GLOBAL__N_18offset_tEEE10hipError_tPvRmT1_PNSt15iterator_traitsISL_E10value_typeET2_T3_PNSM_ISR_E10value_typeET4_jRbjT5_SX_jjP12ihipStream_tbEUlT_E2_NS1_11comp_targetILNS1_3genE0ELNS1_11target_archE4294967295ELNS1_3gpuE0ELNS1_3repE0EEENS1_30default_config_static_selectorELNS0_4arch9wavefront6targetE1EEEvSL_: ; @_ZN7rocprim17ROCPRIM_400000_NS6detail17trampoline_kernelINS0_14default_configENS1_36segmented_radix_sort_config_selectorI6__halflEEZNS1_25segmented_radix_sort_implIS3_Lb0EPKS5_PS5_PKlPlN2at6native12_GLOBAL__N_18offset_tEEE10hipError_tPvRmT1_PNSt15iterator_traitsISL_E10value_typeET2_T3_PNSM_ISR_E10value_typeET4_jRbjT5_SX_jjP12ihipStream_tbEUlT_E2_NS1_11comp_targetILNS1_3genE0ELNS1_11target_archE4294967295ELNS1_3gpuE0ELNS1_3repE0EEENS1_30default_config_static_selectorELNS0_4arch9wavefront6targetE1EEEvSL_
; %bb.0:
	.section	.rodata,"a",@progbits
	.p2align	6, 0x0
	.amdhsa_kernel _ZN7rocprim17ROCPRIM_400000_NS6detail17trampoline_kernelINS0_14default_configENS1_36segmented_radix_sort_config_selectorI6__halflEEZNS1_25segmented_radix_sort_implIS3_Lb0EPKS5_PS5_PKlPlN2at6native12_GLOBAL__N_18offset_tEEE10hipError_tPvRmT1_PNSt15iterator_traitsISL_E10value_typeET2_T3_PNSM_ISR_E10value_typeET4_jRbjT5_SX_jjP12ihipStream_tbEUlT_E2_NS1_11comp_targetILNS1_3genE0ELNS1_11target_archE4294967295ELNS1_3gpuE0ELNS1_3repE0EEENS1_30default_config_static_selectorELNS0_4arch9wavefront6targetE1EEEvSL_
		.amdhsa_group_segment_fixed_size 0
		.amdhsa_private_segment_fixed_size 0
		.amdhsa_kernarg_size 80
		.amdhsa_user_sgpr_count 6
		.amdhsa_user_sgpr_private_segment_buffer 1
		.amdhsa_user_sgpr_dispatch_ptr 0
		.amdhsa_user_sgpr_queue_ptr 0
		.amdhsa_user_sgpr_kernarg_segment_ptr 1
		.amdhsa_user_sgpr_dispatch_id 0
		.amdhsa_user_sgpr_flat_scratch_init 0
		.amdhsa_user_sgpr_kernarg_preload_length 0
		.amdhsa_user_sgpr_kernarg_preload_offset 0
		.amdhsa_user_sgpr_private_segment_size 0
		.amdhsa_uses_dynamic_stack 0
		.amdhsa_system_sgpr_private_segment_wavefront_offset 0
		.amdhsa_system_sgpr_workgroup_id_x 1
		.amdhsa_system_sgpr_workgroup_id_y 0
		.amdhsa_system_sgpr_workgroup_id_z 0
		.amdhsa_system_sgpr_workgroup_info 0
		.amdhsa_system_vgpr_workitem_id 0
		.amdhsa_next_free_vgpr 1
		.amdhsa_next_free_sgpr 0
		.amdhsa_accum_offset 4
		.amdhsa_reserve_vcc 0
		.amdhsa_reserve_flat_scratch 0
		.amdhsa_float_round_mode_32 0
		.amdhsa_float_round_mode_16_64 0
		.amdhsa_float_denorm_mode_32 3
		.amdhsa_float_denorm_mode_16_64 3
		.amdhsa_dx10_clamp 1
		.amdhsa_ieee_mode 1
		.amdhsa_fp16_overflow 0
		.amdhsa_tg_split 0
		.amdhsa_exception_fp_ieee_invalid_op 0
		.amdhsa_exception_fp_denorm_src 0
		.amdhsa_exception_fp_ieee_div_zero 0
		.amdhsa_exception_fp_ieee_overflow 0
		.amdhsa_exception_fp_ieee_underflow 0
		.amdhsa_exception_fp_ieee_inexact 0
		.amdhsa_exception_int_div_zero 0
	.end_amdhsa_kernel
	.section	.text._ZN7rocprim17ROCPRIM_400000_NS6detail17trampoline_kernelINS0_14default_configENS1_36segmented_radix_sort_config_selectorI6__halflEEZNS1_25segmented_radix_sort_implIS3_Lb0EPKS5_PS5_PKlPlN2at6native12_GLOBAL__N_18offset_tEEE10hipError_tPvRmT1_PNSt15iterator_traitsISL_E10value_typeET2_T3_PNSM_ISR_E10value_typeET4_jRbjT5_SX_jjP12ihipStream_tbEUlT_E2_NS1_11comp_targetILNS1_3genE0ELNS1_11target_archE4294967295ELNS1_3gpuE0ELNS1_3repE0EEENS1_30default_config_static_selectorELNS0_4arch9wavefront6targetE1EEEvSL_,"axG",@progbits,_ZN7rocprim17ROCPRIM_400000_NS6detail17trampoline_kernelINS0_14default_configENS1_36segmented_radix_sort_config_selectorI6__halflEEZNS1_25segmented_radix_sort_implIS3_Lb0EPKS5_PS5_PKlPlN2at6native12_GLOBAL__N_18offset_tEEE10hipError_tPvRmT1_PNSt15iterator_traitsISL_E10value_typeET2_T3_PNSM_ISR_E10value_typeET4_jRbjT5_SX_jjP12ihipStream_tbEUlT_E2_NS1_11comp_targetILNS1_3genE0ELNS1_11target_archE4294967295ELNS1_3gpuE0ELNS1_3repE0EEENS1_30default_config_static_selectorELNS0_4arch9wavefront6targetE1EEEvSL_,comdat
.Lfunc_end1870:
	.size	_ZN7rocprim17ROCPRIM_400000_NS6detail17trampoline_kernelINS0_14default_configENS1_36segmented_radix_sort_config_selectorI6__halflEEZNS1_25segmented_radix_sort_implIS3_Lb0EPKS5_PS5_PKlPlN2at6native12_GLOBAL__N_18offset_tEEE10hipError_tPvRmT1_PNSt15iterator_traitsISL_E10value_typeET2_T3_PNSM_ISR_E10value_typeET4_jRbjT5_SX_jjP12ihipStream_tbEUlT_E2_NS1_11comp_targetILNS1_3genE0ELNS1_11target_archE4294967295ELNS1_3gpuE0ELNS1_3repE0EEENS1_30default_config_static_selectorELNS0_4arch9wavefront6targetE1EEEvSL_, .Lfunc_end1870-_ZN7rocprim17ROCPRIM_400000_NS6detail17trampoline_kernelINS0_14default_configENS1_36segmented_radix_sort_config_selectorI6__halflEEZNS1_25segmented_radix_sort_implIS3_Lb0EPKS5_PS5_PKlPlN2at6native12_GLOBAL__N_18offset_tEEE10hipError_tPvRmT1_PNSt15iterator_traitsISL_E10value_typeET2_T3_PNSM_ISR_E10value_typeET4_jRbjT5_SX_jjP12ihipStream_tbEUlT_E2_NS1_11comp_targetILNS1_3genE0ELNS1_11target_archE4294967295ELNS1_3gpuE0ELNS1_3repE0EEENS1_30default_config_static_selectorELNS0_4arch9wavefront6targetE1EEEvSL_
                                        ; -- End function
	.section	.AMDGPU.csdata,"",@progbits
; Kernel info:
; codeLenInByte = 0
; NumSgprs: 4
; NumVgprs: 0
; NumAgprs: 0
; TotalNumVgprs: 0
; ScratchSize: 0
; MemoryBound: 0
; FloatMode: 240
; IeeeMode: 1
; LDSByteSize: 0 bytes/workgroup (compile time only)
; SGPRBlocks: 0
; VGPRBlocks: 0
; NumSGPRsForWavesPerEU: 4
; NumVGPRsForWavesPerEU: 1
; AccumOffset: 4
; Occupancy: 8
; WaveLimiterHint : 0
; COMPUTE_PGM_RSRC2:SCRATCH_EN: 0
; COMPUTE_PGM_RSRC2:USER_SGPR: 6
; COMPUTE_PGM_RSRC2:TRAP_HANDLER: 0
; COMPUTE_PGM_RSRC2:TGID_X_EN: 1
; COMPUTE_PGM_RSRC2:TGID_Y_EN: 0
; COMPUTE_PGM_RSRC2:TGID_Z_EN: 0
; COMPUTE_PGM_RSRC2:TIDIG_COMP_CNT: 0
; COMPUTE_PGM_RSRC3_GFX90A:ACCUM_OFFSET: 0
; COMPUTE_PGM_RSRC3_GFX90A:TG_SPLIT: 0
	.section	.text._ZN7rocprim17ROCPRIM_400000_NS6detail17trampoline_kernelINS0_14default_configENS1_36segmented_radix_sort_config_selectorI6__halflEEZNS1_25segmented_radix_sort_implIS3_Lb0EPKS5_PS5_PKlPlN2at6native12_GLOBAL__N_18offset_tEEE10hipError_tPvRmT1_PNSt15iterator_traitsISL_E10value_typeET2_T3_PNSM_ISR_E10value_typeET4_jRbjT5_SX_jjP12ihipStream_tbEUlT_E2_NS1_11comp_targetILNS1_3genE5ELNS1_11target_archE942ELNS1_3gpuE9ELNS1_3repE0EEENS1_30default_config_static_selectorELNS0_4arch9wavefront6targetE1EEEvSL_,"axG",@progbits,_ZN7rocprim17ROCPRIM_400000_NS6detail17trampoline_kernelINS0_14default_configENS1_36segmented_radix_sort_config_selectorI6__halflEEZNS1_25segmented_radix_sort_implIS3_Lb0EPKS5_PS5_PKlPlN2at6native12_GLOBAL__N_18offset_tEEE10hipError_tPvRmT1_PNSt15iterator_traitsISL_E10value_typeET2_T3_PNSM_ISR_E10value_typeET4_jRbjT5_SX_jjP12ihipStream_tbEUlT_E2_NS1_11comp_targetILNS1_3genE5ELNS1_11target_archE942ELNS1_3gpuE9ELNS1_3repE0EEENS1_30default_config_static_selectorELNS0_4arch9wavefront6targetE1EEEvSL_,comdat
	.globl	_ZN7rocprim17ROCPRIM_400000_NS6detail17trampoline_kernelINS0_14default_configENS1_36segmented_radix_sort_config_selectorI6__halflEEZNS1_25segmented_radix_sort_implIS3_Lb0EPKS5_PS5_PKlPlN2at6native12_GLOBAL__N_18offset_tEEE10hipError_tPvRmT1_PNSt15iterator_traitsISL_E10value_typeET2_T3_PNSM_ISR_E10value_typeET4_jRbjT5_SX_jjP12ihipStream_tbEUlT_E2_NS1_11comp_targetILNS1_3genE5ELNS1_11target_archE942ELNS1_3gpuE9ELNS1_3repE0EEENS1_30default_config_static_selectorELNS0_4arch9wavefront6targetE1EEEvSL_ ; -- Begin function _ZN7rocprim17ROCPRIM_400000_NS6detail17trampoline_kernelINS0_14default_configENS1_36segmented_radix_sort_config_selectorI6__halflEEZNS1_25segmented_radix_sort_implIS3_Lb0EPKS5_PS5_PKlPlN2at6native12_GLOBAL__N_18offset_tEEE10hipError_tPvRmT1_PNSt15iterator_traitsISL_E10value_typeET2_T3_PNSM_ISR_E10value_typeET4_jRbjT5_SX_jjP12ihipStream_tbEUlT_E2_NS1_11comp_targetILNS1_3genE5ELNS1_11target_archE942ELNS1_3gpuE9ELNS1_3repE0EEENS1_30default_config_static_selectorELNS0_4arch9wavefront6targetE1EEEvSL_
	.p2align	8
	.type	_ZN7rocprim17ROCPRIM_400000_NS6detail17trampoline_kernelINS0_14default_configENS1_36segmented_radix_sort_config_selectorI6__halflEEZNS1_25segmented_radix_sort_implIS3_Lb0EPKS5_PS5_PKlPlN2at6native12_GLOBAL__N_18offset_tEEE10hipError_tPvRmT1_PNSt15iterator_traitsISL_E10value_typeET2_T3_PNSM_ISR_E10value_typeET4_jRbjT5_SX_jjP12ihipStream_tbEUlT_E2_NS1_11comp_targetILNS1_3genE5ELNS1_11target_archE942ELNS1_3gpuE9ELNS1_3repE0EEENS1_30default_config_static_selectorELNS0_4arch9wavefront6targetE1EEEvSL_,@function
_ZN7rocprim17ROCPRIM_400000_NS6detail17trampoline_kernelINS0_14default_configENS1_36segmented_radix_sort_config_selectorI6__halflEEZNS1_25segmented_radix_sort_implIS3_Lb0EPKS5_PS5_PKlPlN2at6native12_GLOBAL__N_18offset_tEEE10hipError_tPvRmT1_PNSt15iterator_traitsISL_E10value_typeET2_T3_PNSM_ISR_E10value_typeET4_jRbjT5_SX_jjP12ihipStream_tbEUlT_E2_NS1_11comp_targetILNS1_3genE5ELNS1_11target_archE942ELNS1_3gpuE9ELNS1_3repE0EEENS1_30default_config_static_selectorELNS0_4arch9wavefront6targetE1EEEvSL_: ; @_ZN7rocprim17ROCPRIM_400000_NS6detail17trampoline_kernelINS0_14default_configENS1_36segmented_radix_sort_config_selectorI6__halflEEZNS1_25segmented_radix_sort_implIS3_Lb0EPKS5_PS5_PKlPlN2at6native12_GLOBAL__N_18offset_tEEE10hipError_tPvRmT1_PNSt15iterator_traitsISL_E10value_typeET2_T3_PNSM_ISR_E10value_typeET4_jRbjT5_SX_jjP12ihipStream_tbEUlT_E2_NS1_11comp_targetILNS1_3genE5ELNS1_11target_archE942ELNS1_3gpuE9ELNS1_3repE0EEENS1_30default_config_static_selectorELNS0_4arch9wavefront6targetE1EEEvSL_
; %bb.0:
	.section	.rodata,"a",@progbits
	.p2align	6, 0x0
	.amdhsa_kernel _ZN7rocprim17ROCPRIM_400000_NS6detail17trampoline_kernelINS0_14default_configENS1_36segmented_radix_sort_config_selectorI6__halflEEZNS1_25segmented_radix_sort_implIS3_Lb0EPKS5_PS5_PKlPlN2at6native12_GLOBAL__N_18offset_tEEE10hipError_tPvRmT1_PNSt15iterator_traitsISL_E10value_typeET2_T3_PNSM_ISR_E10value_typeET4_jRbjT5_SX_jjP12ihipStream_tbEUlT_E2_NS1_11comp_targetILNS1_3genE5ELNS1_11target_archE942ELNS1_3gpuE9ELNS1_3repE0EEENS1_30default_config_static_selectorELNS0_4arch9wavefront6targetE1EEEvSL_
		.amdhsa_group_segment_fixed_size 0
		.amdhsa_private_segment_fixed_size 0
		.amdhsa_kernarg_size 80
		.amdhsa_user_sgpr_count 6
		.amdhsa_user_sgpr_private_segment_buffer 1
		.amdhsa_user_sgpr_dispatch_ptr 0
		.amdhsa_user_sgpr_queue_ptr 0
		.amdhsa_user_sgpr_kernarg_segment_ptr 1
		.amdhsa_user_sgpr_dispatch_id 0
		.amdhsa_user_sgpr_flat_scratch_init 0
		.amdhsa_user_sgpr_kernarg_preload_length 0
		.amdhsa_user_sgpr_kernarg_preload_offset 0
		.amdhsa_user_sgpr_private_segment_size 0
		.amdhsa_uses_dynamic_stack 0
		.amdhsa_system_sgpr_private_segment_wavefront_offset 0
		.amdhsa_system_sgpr_workgroup_id_x 1
		.amdhsa_system_sgpr_workgroup_id_y 0
		.amdhsa_system_sgpr_workgroup_id_z 0
		.amdhsa_system_sgpr_workgroup_info 0
		.amdhsa_system_vgpr_workitem_id 0
		.amdhsa_next_free_vgpr 1
		.amdhsa_next_free_sgpr 0
		.amdhsa_accum_offset 4
		.amdhsa_reserve_vcc 0
		.amdhsa_reserve_flat_scratch 0
		.amdhsa_float_round_mode_32 0
		.amdhsa_float_round_mode_16_64 0
		.amdhsa_float_denorm_mode_32 3
		.amdhsa_float_denorm_mode_16_64 3
		.amdhsa_dx10_clamp 1
		.amdhsa_ieee_mode 1
		.amdhsa_fp16_overflow 0
		.amdhsa_tg_split 0
		.amdhsa_exception_fp_ieee_invalid_op 0
		.amdhsa_exception_fp_denorm_src 0
		.amdhsa_exception_fp_ieee_div_zero 0
		.amdhsa_exception_fp_ieee_overflow 0
		.amdhsa_exception_fp_ieee_underflow 0
		.amdhsa_exception_fp_ieee_inexact 0
		.amdhsa_exception_int_div_zero 0
	.end_amdhsa_kernel
	.section	.text._ZN7rocprim17ROCPRIM_400000_NS6detail17trampoline_kernelINS0_14default_configENS1_36segmented_radix_sort_config_selectorI6__halflEEZNS1_25segmented_radix_sort_implIS3_Lb0EPKS5_PS5_PKlPlN2at6native12_GLOBAL__N_18offset_tEEE10hipError_tPvRmT1_PNSt15iterator_traitsISL_E10value_typeET2_T3_PNSM_ISR_E10value_typeET4_jRbjT5_SX_jjP12ihipStream_tbEUlT_E2_NS1_11comp_targetILNS1_3genE5ELNS1_11target_archE942ELNS1_3gpuE9ELNS1_3repE0EEENS1_30default_config_static_selectorELNS0_4arch9wavefront6targetE1EEEvSL_,"axG",@progbits,_ZN7rocprim17ROCPRIM_400000_NS6detail17trampoline_kernelINS0_14default_configENS1_36segmented_radix_sort_config_selectorI6__halflEEZNS1_25segmented_radix_sort_implIS3_Lb0EPKS5_PS5_PKlPlN2at6native12_GLOBAL__N_18offset_tEEE10hipError_tPvRmT1_PNSt15iterator_traitsISL_E10value_typeET2_T3_PNSM_ISR_E10value_typeET4_jRbjT5_SX_jjP12ihipStream_tbEUlT_E2_NS1_11comp_targetILNS1_3genE5ELNS1_11target_archE942ELNS1_3gpuE9ELNS1_3repE0EEENS1_30default_config_static_selectorELNS0_4arch9wavefront6targetE1EEEvSL_,comdat
.Lfunc_end1871:
	.size	_ZN7rocprim17ROCPRIM_400000_NS6detail17trampoline_kernelINS0_14default_configENS1_36segmented_radix_sort_config_selectorI6__halflEEZNS1_25segmented_radix_sort_implIS3_Lb0EPKS5_PS5_PKlPlN2at6native12_GLOBAL__N_18offset_tEEE10hipError_tPvRmT1_PNSt15iterator_traitsISL_E10value_typeET2_T3_PNSM_ISR_E10value_typeET4_jRbjT5_SX_jjP12ihipStream_tbEUlT_E2_NS1_11comp_targetILNS1_3genE5ELNS1_11target_archE942ELNS1_3gpuE9ELNS1_3repE0EEENS1_30default_config_static_selectorELNS0_4arch9wavefront6targetE1EEEvSL_, .Lfunc_end1871-_ZN7rocprim17ROCPRIM_400000_NS6detail17trampoline_kernelINS0_14default_configENS1_36segmented_radix_sort_config_selectorI6__halflEEZNS1_25segmented_radix_sort_implIS3_Lb0EPKS5_PS5_PKlPlN2at6native12_GLOBAL__N_18offset_tEEE10hipError_tPvRmT1_PNSt15iterator_traitsISL_E10value_typeET2_T3_PNSM_ISR_E10value_typeET4_jRbjT5_SX_jjP12ihipStream_tbEUlT_E2_NS1_11comp_targetILNS1_3genE5ELNS1_11target_archE942ELNS1_3gpuE9ELNS1_3repE0EEENS1_30default_config_static_selectorELNS0_4arch9wavefront6targetE1EEEvSL_
                                        ; -- End function
	.section	.AMDGPU.csdata,"",@progbits
; Kernel info:
; codeLenInByte = 0
; NumSgprs: 4
; NumVgprs: 0
; NumAgprs: 0
; TotalNumVgprs: 0
; ScratchSize: 0
; MemoryBound: 0
; FloatMode: 240
; IeeeMode: 1
; LDSByteSize: 0 bytes/workgroup (compile time only)
; SGPRBlocks: 0
; VGPRBlocks: 0
; NumSGPRsForWavesPerEU: 4
; NumVGPRsForWavesPerEU: 1
; AccumOffset: 4
; Occupancy: 8
; WaveLimiterHint : 0
; COMPUTE_PGM_RSRC2:SCRATCH_EN: 0
; COMPUTE_PGM_RSRC2:USER_SGPR: 6
; COMPUTE_PGM_RSRC2:TRAP_HANDLER: 0
; COMPUTE_PGM_RSRC2:TGID_X_EN: 1
; COMPUTE_PGM_RSRC2:TGID_Y_EN: 0
; COMPUTE_PGM_RSRC2:TGID_Z_EN: 0
; COMPUTE_PGM_RSRC2:TIDIG_COMP_CNT: 0
; COMPUTE_PGM_RSRC3_GFX90A:ACCUM_OFFSET: 0
; COMPUTE_PGM_RSRC3_GFX90A:TG_SPLIT: 0
	.section	.text._ZN7rocprim17ROCPRIM_400000_NS6detail17trampoline_kernelINS0_14default_configENS1_36segmented_radix_sort_config_selectorI6__halflEEZNS1_25segmented_radix_sort_implIS3_Lb0EPKS5_PS5_PKlPlN2at6native12_GLOBAL__N_18offset_tEEE10hipError_tPvRmT1_PNSt15iterator_traitsISL_E10value_typeET2_T3_PNSM_ISR_E10value_typeET4_jRbjT5_SX_jjP12ihipStream_tbEUlT_E2_NS1_11comp_targetILNS1_3genE4ELNS1_11target_archE910ELNS1_3gpuE8ELNS1_3repE0EEENS1_30default_config_static_selectorELNS0_4arch9wavefront6targetE1EEEvSL_,"axG",@progbits,_ZN7rocprim17ROCPRIM_400000_NS6detail17trampoline_kernelINS0_14default_configENS1_36segmented_radix_sort_config_selectorI6__halflEEZNS1_25segmented_radix_sort_implIS3_Lb0EPKS5_PS5_PKlPlN2at6native12_GLOBAL__N_18offset_tEEE10hipError_tPvRmT1_PNSt15iterator_traitsISL_E10value_typeET2_T3_PNSM_ISR_E10value_typeET4_jRbjT5_SX_jjP12ihipStream_tbEUlT_E2_NS1_11comp_targetILNS1_3genE4ELNS1_11target_archE910ELNS1_3gpuE8ELNS1_3repE0EEENS1_30default_config_static_selectorELNS0_4arch9wavefront6targetE1EEEvSL_,comdat
	.globl	_ZN7rocprim17ROCPRIM_400000_NS6detail17trampoline_kernelINS0_14default_configENS1_36segmented_radix_sort_config_selectorI6__halflEEZNS1_25segmented_radix_sort_implIS3_Lb0EPKS5_PS5_PKlPlN2at6native12_GLOBAL__N_18offset_tEEE10hipError_tPvRmT1_PNSt15iterator_traitsISL_E10value_typeET2_T3_PNSM_ISR_E10value_typeET4_jRbjT5_SX_jjP12ihipStream_tbEUlT_E2_NS1_11comp_targetILNS1_3genE4ELNS1_11target_archE910ELNS1_3gpuE8ELNS1_3repE0EEENS1_30default_config_static_selectorELNS0_4arch9wavefront6targetE1EEEvSL_ ; -- Begin function _ZN7rocprim17ROCPRIM_400000_NS6detail17trampoline_kernelINS0_14default_configENS1_36segmented_radix_sort_config_selectorI6__halflEEZNS1_25segmented_radix_sort_implIS3_Lb0EPKS5_PS5_PKlPlN2at6native12_GLOBAL__N_18offset_tEEE10hipError_tPvRmT1_PNSt15iterator_traitsISL_E10value_typeET2_T3_PNSM_ISR_E10value_typeET4_jRbjT5_SX_jjP12ihipStream_tbEUlT_E2_NS1_11comp_targetILNS1_3genE4ELNS1_11target_archE910ELNS1_3gpuE8ELNS1_3repE0EEENS1_30default_config_static_selectorELNS0_4arch9wavefront6targetE1EEEvSL_
	.p2align	8
	.type	_ZN7rocprim17ROCPRIM_400000_NS6detail17trampoline_kernelINS0_14default_configENS1_36segmented_radix_sort_config_selectorI6__halflEEZNS1_25segmented_radix_sort_implIS3_Lb0EPKS5_PS5_PKlPlN2at6native12_GLOBAL__N_18offset_tEEE10hipError_tPvRmT1_PNSt15iterator_traitsISL_E10value_typeET2_T3_PNSM_ISR_E10value_typeET4_jRbjT5_SX_jjP12ihipStream_tbEUlT_E2_NS1_11comp_targetILNS1_3genE4ELNS1_11target_archE910ELNS1_3gpuE8ELNS1_3repE0EEENS1_30default_config_static_selectorELNS0_4arch9wavefront6targetE1EEEvSL_,@function
_ZN7rocprim17ROCPRIM_400000_NS6detail17trampoline_kernelINS0_14default_configENS1_36segmented_radix_sort_config_selectorI6__halflEEZNS1_25segmented_radix_sort_implIS3_Lb0EPKS5_PS5_PKlPlN2at6native12_GLOBAL__N_18offset_tEEE10hipError_tPvRmT1_PNSt15iterator_traitsISL_E10value_typeET2_T3_PNSM_ISR_E10value_typeET4_jRbjT5_SX_jjP12ihipStream_tbEUlT_E2_NS1_11comp_targetILNS1_3genE4ELNS1_11target_archE910ELNS1_3gpuE8ELNS1_3repE0EEENS1_30default_config_static_selectorELNS0_4arch9wavefront6targetE1EEEvSL_: ; @_ZN7rocprim17ROCPRIM_400000_NS6detail17trampoline_kernelINS0_14default_configENS1_36segmented_radix_sort_config_selectorI6__halflEEZNS1_25segmented_radix_sort_implIS3_Lb0EPKS5_PS5_PKlPlN2at6native12_GLOBAL__N_18offset_tEEE10hipError_tPvRmT1_PNSt15iterator_traitsISL_E10value_typeET2_T3_PNSM_ISR_E10value_typeET4_jRbjT5_SX_jjP12ihipStream_tbEUlT_E2_NS1_11comp_targetILNS1_3genE4ELNS1_11target_archE910ELNS1_3gpuE8ELNS1_3repE0EEENS1_30default_config_static_selectorELNS0_4arch9wavefront6targetE1EEEvSL_
; %bb.0:
	s_add_u32 flat_scratch_lo, s6, s10
	s_addc_u32 flat_scratch_hi, s7, 0
	s_add_u32 s0, s0, s10
	s_mov_b32 s33, s9
	s_mov_b32 s50, s8
	s_load_dwordx4 s[8:11], s[4:5], 0x34
	s_addc_u32 s1, s1, 0
	s_mov_b32 s32, 0
	s_waitcnt lgkmcnt(0)
	s_add_i32 s51, s9, s50
	s_add_i32 s76, s11, s50
	s_mul_i32 s51, s51, s8
	s_mul_i32 s76, s76, s10
	s_cmp_le_u32 s76, s51
	s_cbranch_scc1 .LBB1872_683
; %bb.1:
	s_load_dword s6, s[4:5], 0x30
	s_load_dwordx4 s[64:67], s[4:5], 0x20
	s_load_dwordx4 s[68:71], s[4:5], 0x44
	s_load_dwordx8 s[56:63], s[4:5], 0x0
	s_waitcnt lgkmcnt(0)
	s_bitcmp1_b32 s6, 0
	s_cselect_b64 s[54:55], -1, 0
	s_sub_i32 s71, s76, s51
	s_cmpk_lt_u32 s71, 0x801
	s_mov_b64 s[6:7], -1
	s_cbranch_scc0 .LBB1872_12
; %bb.2:
	s_cmp_lt_u32 s71, 33
	s_cbranch_scc0 .LBB1872_6
; %bb.3:
	s_load_dword s6, s[4:5], 0x5c
	v_bfe_u32 v1, v0, 10, 10
	v_bfe_u32 v3, v0, 20, 10
	v_and_b32_e32 v2, 0x3ff, v0
	s_waitcnt lgkmcnt(0)
	s_lshr_b32 s7, s6, 16
	s_and_b32 s6, s6, 0xffff
	v_mad_u32_u24 v1, v3, s7, v1
	v_mad_u64_u32 v[2:3], s[6:7], v1, s6, v[2:3]
	v_cmp_gt_u32_e32 vcc, 8, v2
	s_and_saveexec_b64 s[34:35], vcc
	s_cbranch_execz .LBB1872_5
; %bb.4:
	s_bitcmp1_b32 s68, 0
	s_cselect_b64 s[6:7], -1, 0
	s_xor_b64 s[6:7], s[54:55], s[6:7]
	s_xor_b64 s[6:7], s[6:7], -1
	v_cndmask_b32_e64 v12, 0, 1, s[6:7]
	s_add_u32 s8, s4, 0x50
	s_mov_b64 s[6:7], src_shared_base
	s_addc_u32 s9, s5, 0
	s_mov_b32 s12, s50
	s_mov_b32 s13, s33
	v_mov_b32_e32 v31, v0
	v_mov_b32_e32 v41, v0
	;; [unrolled: 1-line block ×18, first 2 shown]
	s_getpc_b64 s[10:11]
	s_add_u32 s10, s10, _ZN7rocprim17ROCPRIM_400000_NS6detail26segmented_warp_sort_helperINS1_20WarpSortHelperConfigILj8ELj4ELj256EEE6__halflLi256ELb0EvE4sortIPKS5_PS5_PKlPlEEvT_SA_T0_T1_SD_T2_bjjjjRNS6_12storage_typeE@rel32@lo+4
	s_addc_u32 s11, s11, _ZN7rocprim17ROCPRIM_400000_NS6detail26segmented_warp_sort_helperINS1_20WarpSortHelperConfigILj8ELj4ELj256EEE6__halflLi256ELb0EvE4sortIPKS5_PS5_PKlPlEEvT_SA_T0_T1_SD_T2_bjjjjRNS6_12storage_typeE@rel32@hi+12
	s_mov_b64 s[36:37], s[4:5]
	s_swappc_b64 s[30:31], s[10:11]
	v_mov_b32_e32 v0, v41
	s_mov_b64 s[4:5], s[36:37]
.LBB1872_5:
	s_or_b64 exec, exec, s[34:35]
	s_mov_b64 s[6:7], 0
.LBB1872_6:
	s_andn2_b64 vcc, exec, s[6:7]
	s_cbranch_vccnz .LBB1872_11
; %bb.7:
	s_and_b32 s6, s68, 1
	v_cndmask_b32_e64 v1, 0, 1, s[54:55]
	v_cmp_ne_u32_e32 vcc, s6, v1
	s_mov_b64 s[6:7], -1
	s_cbranch_vccnz .LBB1872_9
; %bb.8:
	s_add_u32 s8, s4, 0x50
	s_mov_b64 s[6:7], src_shared_base
	s_addc_u32 s9, s5, 0
	s_mov_b32 s12, s50
	s_mov_b32 s13, s33
	v_mov_b32_e32 v31, v0
	v_mov_b32_e32 v41, v0
	;; [unrolled: 1-line block ×16, first 2 shown]
	s_getpc_b64 s[10:11]
	s_add_u32 s10, s10, _ZN7rocprim17ROCPRIM_400000_NS6detail40segmented_radix_sort_single_block_helperI6__halflLj256ELj8ELb0EE4sortIPKS3_PS3_PKlPlEEbT_T0_T1_T2_jjjjRNS4_12storage_typeE@rel32@lo+4
	s_addc_u32 s11, s11, _ZN7rocprim17ROCPRIM_400000_NS6detail40segmented_radix_sort_single_block_helperI6__halflLj256ELj8ELb0EE4sortIPKS3_PS3_PKlPlEEbT_T0_T1_T2_jjjjRNS4_12storage_typeE@rel32@hi+12
	s_mov_b64 s[48:49], s[4:5]
	s_swappc_b64 s[30:31], s[10:11]
	v_mov_b32_e32 v0, v41
	s_mov_b64 s[4:5], s[48:49]
	s_mov_b64 s[6:7], 0
.LBB1872_9:
	s_andn2_b64 vcc, exec, s[6:7]
	s_cbranch_vccnz .LBB1872_11
; %bb.10:
	s_add_u32 s8, s4, 0x50
	s_mov_b64 s[6:7], src_shared_base
	s_addc_u32 s9, s5, 0
	s_mov_b32 s12, s50
	s_mov_b32 s13, s33
	v_mov_b32_e32 v31, v0
	v_mov_b32_e32 v41, v0
	;; [unrolled: 1-line block ×16, first 2 shown]
	s_getpc_b64 s[10:11]
	s_add_u32 s10, s10, _ZN7rocprim17ROCPRIM_400000_NS6detail40segmented_radix_sort_single_block_helperI6__halflLj256ELj8ELb0EE4sortIPKS3_PS3_PKlPlEEbT_T0_T1_T2_jjjjRNS4_12storage_typeE@rel32@lo+4
	s_addc_u32 s11, s11, _ZN7rocprim17ROCPRIM_400000_NS6detail40segmented_radix_sort_single_block_helperI6__halflLj256ELj8ELb0EE4sortIPKS3_PS3_PKlPlEEbT_T0_T1_T2_jjjjRNS4_12storage_typeE@rel32@hi+12
	s_mov_b64 s[48:49], s[4:5]
	s_swappc_b64 s[30:31], s[10:11]
	v_mov_b32_e32 v0, v41
	s_mov_b64 s[4:5], s[48:49]
.LBB1872_11:
	s_mov_b64 s[6:7], 0
.LBB1872_12:
	s_andn2_b64 vcc, exec, s[6:7]
	s_cbranch_vccnz .LBB1872_683
; %bb.13:
	s_cmp_ge_u32 s69, s70
	s_cbranch_scc1 .LBB1872_683
; %bb.14:
	v_and_b32_e32 v2, 0x3ff, v0
	v_lshlrev_b32_e32 v5, 1, v2
	v_mov_b32_e32 v6, s61
	v_add_co_u32_e32 v27, vcc, s60, v5
	s_movk_i32 s6, 0x100
	v_addc_co_u32_e32 v28, vcc, 0, v6, vcc
	v_or_b32_e32 v6, 63, v2
	v_lshlrev_b32_e32 v3, 2, v2
	s_mov_b64 s[12:13], s[4:5]
	v_cmp_gt_u32_e64 s[4:5], s6, v2
	v_cmp_eq_u32_e64 s[6:7], v6, v2
	v_lshrrev_b32_e32 v6, 4, v2
	v_mad_u32_u24 v33, v2, 12, v3
	v_and_b32_e32 v34, 12, v6
	v_lshlrev_b32_e32 v6, 3, v2
	v_bfe_u32 v39, v0, 20, 10
	v_bfe_u32 v40, v0, 10, 10
	v_mul_u32_u24_e32 v0, 5, v2
	v_mov_b32_e32 v42, 0x410
	v_and_b32_e32 v38, 0x600, v6
	v_add_u32_e32 v41, v33, v3
	v_lshl_add_u32 v43, v0, 2, v42
	v_lshlrev_b32_e32 v0, 4, v2
	v_sub_u32_e32 v44, v41, v0
	v_lshlrev_b32_e32 v0, 3, v38
	v_mov_b32_e32 v6, s67
	v_add_co_u32_e32 v45, vcc, s66, v0
	v_addc_co_u32_e32 v46, vcc, 0, v6, vcc
	v_lshlrev_b32_e32 v6, 1, v38
	v_mov_b32_e32 v7, s61
	v_add_co_u32_e32 v47, vcc, s60, v6
	v_addc_co_u32_e32 v48, vcc, 0, v7, vcc
	v_mov_b32_e32 v7, s59
	v_add_co_u32_e32 v52, vcc, s58, v5
	v_addc_co_u32_e32 v53, vcc, 0, v7, vcc
	;; [unrolled: 3-line block ×5, first 2 shown]
	v_sub_u32_e32 v49, v44, v5
	v_add_u32_e32 v50, 0x400, v5
	v_mov_b32_e32 v5, s63
	v_add_co_u32_e32 v60, vcc, s62, v0
	v_addc_co_u32_e32 v61, vcc, 0, v5, vcc
	v_mov_b32_e32 v0, s57
	v_add_co_u32_e32 v62, vcc, s56, v6
	v_and_b32_e32 v1, 3, v2
	s_add_u32 s74, s12, 0x50
	s_movk_i32 s14, 0xff
	v_addc_co_u32_e32 v63, vcc, 0, v0, vcc
	v_mbcnt_lo_u32_b32 v0, -1, 0
	s_mov_b32 s73, 0
	v_mov_b32_e32 v4, 0
	v_or_b32_e32 v24, 0x100, v2
	v_or_b32_e32 v25, 0x200, v2
	;; [unrolled: 1-line block ×8, first 2 shown]
	v_cmp_gt_u32_e64 s[8:9], 4, v2
	v_add_u32_e32 v36, 0x4400, v3
	v_cmp_lt_u32_e64 s[10:11], 63, v2
	v_add_u32_e32 v37, 0x43fc, v34
	s_addc_u32 s75, s13, 0
	v_cmp_eq_u32_e64 s[12:13], 0, v2
	v_cmp_ne_u32_e64 s[14:15], s14, v2
	v_mul_u32_u24_e32 v51, 6, v2
	s_movk_i32 s68, 0x7fff
	v_mov_b32_e32 v64, 1
	v_lshlrev_b32_e32 v65, 1, v2
	v_mov_b32_e32 v66, 0xffff8000
	v_lshlrev_b32_e32 v67, 2, v1
	v_mbcnt_hi_u32_b32 v68, -1, v0
	s_mov_b32 s77, s69
	s_branch .LBB1872_17
.LBB1872_15:                            ;   in Loop: Header=BB1872_17 Depth=1
	s_waitcnt lgkmcnt(0)
	s_barrier
.LBB1872_16:                            ;   in Loop: Header=BB1872_17 Depth=1
	s_add_i32 s77, s77, 8
	s_cmp_ge_u32 s77, s70
	s_cbranch_scc1 .LBB1872_683
.LBB1872_17:                            ; =>This Loop Header: Depth=1
                                        ;     Child Loop BB1872_21 Depth 2
                                        ;     Child Loop BB1872_71 Depth 2
	;; [unrolled: 1-line block ×8, first 2 shown]
	s_sub_i32 s16, s70, s77
	s_min_u32 s16, s16, 8
	s_lshl_b32 s16, -1, s16
	s_xor_b64 s[54:55], s[54:55], -1
	s_not_b32 s78, s16
	s_cmp_lg_u32 s77, s69
	s_mov_b64 s[16:17], -1
	ds_write2st64_b32 v3, v4, v4 offset1:4
	ds_write2st64_b32 v3, v4, v4 offset0:8 offset1:12
	s_waitcnt lgkmcnt(0)
	s_cbranch_scc0 .LBB1872_351
; %bb.18:                               ;   in Loop: Header=BB1872_17 Depth=1
	s_and_b64 vcc, exec, s[54:55]
	s_cbranch_vccz .LBB1872_184
; %bb.19:                               ;   in Loop: Header=BB1872_17 Depth=1
	s_mov_b32 s22, s71
	s_mov_b32 s72, s51
	s_barrier
	s_waitcnt lgkmcnt(0)
                                        ; implicit-def: $vgpr12
                                        ; implicit-def: $vgpr5
                                        ; implicit-def: $vgpr6
                                        ; implicit-def: $vgpr7
                                        ; implicit-def: $vgpr8
                                        ; implicit-def: $vgpr9
                                        ; implicit-def: $vgpr10
                                        ; implicit-def: $vgpr11
	s_branch .LBB1872_21
.LBB1872_20:                            ;   in Loop: Header=BB1872_21 Depth=2
	s_or_b64 exec, exec, s[16:17]
	s_addk_i32 s22, 0xf800
	s_cmp_ge_u32 s23, s76
	s_mov_b32 s72, s23
	s_cbranch_scc1 .LBB1872_59
.LBB1872_21:                            ;   Parent Loop BB1872_17 Depth=1
                                        ; =>  This Inner Loop Header: Depth=2
	s_add_i32 s23, s72, 0x800
	s_cmp_gt_u32 s23, s76
	s_cbranch_scc1 .LBB1872_24
; %bb.22:                               ;   in Loop: Header=BB1872_21 Depth=2
	s_lshl_b64 s[16:17], s[72:73], 1
	v_mov_b32_e32 v1, s17
	v_add_co_u32_e32 v0, vcc, s16, v27
	v_addc_co_u32_e32 v1, vcc, v28, v1, vcc
	global_load_ushort v14, v[0:1], off
	global_load_ushort v15, v[0:1], off offset:512
	global_load_ushort v16, v[0:1], off offset:1024
	;; [unrolled: 1-line block ×6, first 2 shown]
	v_add_co_u32_e32 v0, vcc, 0xe00, v0
	v_addc_co_u32_e32 v1, vcc, 0, v1, vcc
	s_mov_b64 s[16:17], -1
	s_movk_i32 s24, 0x800
	s_cbranch_execz .LBB1872_25
; %bb.23:                               ;   in Loop: Header=BB1872_21 Depth=2
                                        ; implicit-def: $vgpr11
                                        ; implicit-def: $vgpr10
                                        ; implicit-def: $vgpr9
                                        ; implicit-def: $vgpr8
                                        ; implicit-def: $vgpr7
                                        ; implicit-def: $vgpr6
                                        ; implicit-def: $vgpr5
                                        ; implicit-def: $vgpr12
	v_mov_b32_e32 v13, s22
	s_and_saveexec_b64 s[18:19], s[16:17]
	s_cbranch_execnz .LBB1872_36
	s_branch .LBB1872_37
.LBB1872_24:                            ;   in Loop: Header=BB1872_21 Depth=2
	s_mov_b64 s[16:17], 0
                                        ; implicit-def: $sgpr24
                                        ; implicit-def: $vgpr14
                                        ; implicit-def: $vgpr15
                                        ; implicit-def: $vgpr16
                                        ; implicit-def: $vgpr17
                                        ; implicit-def: $vgpr18
                                        ; implicit-def: $vgpr19
                                        ; implicit-def: $vgpr20
                                        ; implicit-def: $vgpr0_vgpr1
.LBB1872_25:                            ;   in Loop: Header=BB1872_21 Depth=2
	s_lshl_b64 s[18:19], s[72:73], 1
	s_add_u32 s18, s60, s18
	s_addc_u32 s19, s61, s19
	v_cmp_gt_u32_e32 vcc, s22, v2
	s_and_saveexec_b64 s[20:21], vcc
	s_cbranch_execz .LBB1872_53
; %bb.26:                               ;   in Loop: Header=BB1872_21 Depth=2
	global_load_ushort v11, v65, s[18:19]
	s_or_b64 exec, exec, s[20:21]
	v_cmp_gt_u32_e32 vcc, s22, v24
	s_and_saveexec_b64 s[20:21], vcc
	s_cbranch_execnz .LBB1872_54
.LBB1872_27:                            ;   in Loop: Header=BB1872_21 Depth=2
	s_or_b64 exec, exec, s[20:21]
	v_cmp_gt_u32_e32 vcc, s22, v25
	s_and_saveexec_b64 s[20:21], vcc
	s_cbranch_execz .LBB1872_55
.LBB1872_28:                            ;   in Loop: Header=BB1872_21 Depth=2
	global_load_ushort v9, v65, s[18:19] offset:1024
	s_or_b64 exec, exec, s[20:21]
	v_cmp_gt_u32_e32 vcc, s22, v26
	s_and_saveexec_b64 s[20:21], vcc
	s_cbranch_execnz .LBB1872_56
.LBB1872_29:                            ;   in Loop: Header=BB1872_21 Depth=2
	s_or_b64 exec, exec, s[20:21]
	v_cmp_gt_u32_e32 vcc, s22, v29
	s_and_saveexec_b64 s[20:21], vcc
	s_cbranch_execz .LBB1872_57
.LBB1872_30:                            ;   in Loop: Header=BB1872_21 Depth=2
	global_load_ushort v7, v65, s[18:19] offset:2048
	s_or_b64 exec, exec, s[20:21]
	v_cmp_gt_u32_e32 vcc, s22, v30
	s_and_saveexec_b64 s[20:21], vcc
	s_cbranch_execnz .LBB1872_58
.LBB1872_31:                            ;   in Loop: Header=BB1872_21 Depth=2
	s_or_b64 exec, exec, s[20:21]
	v_cmp_gt_u32_e32 vcc, s22, v31
	s_and_saveexec_b64 s[20:21], vcc
	s_cbranch_execz .LBB1872_33
.LBB1872_32:                            ;   in Loop: Header=BB1872_21 Depth=2
	global_load_ushort v5, v65, s[18:19] offset:3072
.LBB1872_33:                            ;   in Loop: Header=BB1872_21 Depth=2
	s_or_b64 exec, exec, s[20:21]
	v_cmp_gt_u32_e32 vcc, s22, v32
                                        ; implicit-def: $sgpr24
                                        ; implicit-def: $vgpr0_vgpr1
	s_and_saveexec_b64 s[20:21], vcc
	s_cbranch_execz .LBB1872_35
; %bb.34:                               ;   in Loop: Header=BB1872_21 Depth=2
	v_mov_b32_e32 v0, s19
	v_add_co_u32_e32 v1, vcc, s18, v65
	s_waitcnt vmcnt(0)
	v_addc_co_u32_e32 v12, vcc, 0, v0, vcc
	v_add_co_u32_e32 v0, vcc, 0xe00, v1
	s_sub_i32 s24, s76, s72
	v_addc_co_u32_e32 v1, vcc, 0, v12, vcc
	s_or_b64 s[16:17], s[16:17], exec
                                        ; implicit-def: $vgpr12
.LBB1872_35:                            ;   in Loop: Header=BB1872_21 Depth=2
	s_or_b64 exec, exec, s[20:21]
	s_waitcnt vmcnt(0)
	v_mov_b32_e32 v14, v11
	v_mov_b32_e32 v15, v10
	;; [unrolled: 1-line block ×8, first 2 shown]
	s_and_saveexec_b64 s[18:19], s[16:17]
	s_cbranch_execz .LBB1872_37
.LBB1872_36:                            ;   in Loop: Header=BB1872_21 Depth=2
	global_load_ushort v12, v[0:1], off
	v_mov_b32_e32 v13, s24
	s_waitcnt vmcnt(1)
	v_mov_b32_e32 v5, v20
	v_mov_b32_e32 v6, v19
	;; [unrolled: 1-line block ×7, first 2 shown]
.LBB1872_37:                            ;   in Loop: Header=BB1872_21 Depth=2
	s_or_b64 exec, exec, s[18:19]
	v_cmp_lt_u32_e32 vcc, v2, v13
	s_and_saveexec_b64 s[16:17], vcc
	s_cbranch_execz .LBB1872_45
; %bb.38:                               ;   in Loop: Header=BB1872_21 Depth=2
	v_cmp_lt_i16_e32 vcc, -1, v11
	v_cndmask_b32_e32 v0, -1, v66, vcc
	v_xor_b32_e32 v0, v0, v11
	v_cmp_ne_u16_e32 vcc, s68, v0
	v_cndmask_b32_e32 v0, v66, v0, vcc
	v_lshrrev_b32_sdwa v0, s77, v0 dst_sel:DWORD dst_unused:UNUSED_PAD src0_sel:DWORD src1_sel:WORD_0
	v_and_b32_e32 v0, s78, v0
	v_lshl_or_b32 v0, v0, 4, v67
	ds_add_u32 v0, v64
	s_or_b64 exec, exec, s[16:17]
	v_cmp_lt_u32_e32 vcc, v24, v13
	s_and_saveexec_b64 s[16:17], vcc
	s_cbranch_execnz .LBB1872_46
.LBB1872_39:                            ;   in Loop: Header=BB1872_21 Depth=2
	s_or_b64 exec, exec, s[16:17]
	v_cmp_lt_u32_e32 vcc, v25, v13
	s_and_saveexec_b64 s[16:17], vcc
	s_cbranch_execz .LBB1872_47
.LBB1872_40:                            ;   in Loop: Header=BB1872_21 Depth=2
	v_cmp_lt_i16_e32 vcc, -1, v9
	v_cndmask_b32_e32 v0, -1, v66, vcc
	v_xor_b32_e32 v0, v0, v9
	v_cmp_ne_u16_e32 vcc, s68, v0
	v_cndmask_b32_e32 v0, v66, v0, vcc
	v_lshrrev_b32_sdwa v0, s77, v0 dst_sel:DWORD dst_unused:UNUSED_PAD src0_sel:DWORD src1_sel:WORD_0
	v_and_b32_e32 v0, s78, v0
	v_lshl_or_b32 v0, v0, 4, v67
	ds_add_u32 v0, v64
	s_or_b64 exec, exec, s[16:17]
	v_cmp_lt_u32_e32 vcc, v26, v13
	s_and_saveexec_b64 s[16:17], vcc
	s_cbranch_execnz .LBB1872_48
.LBB1872_41:                            ;   in Loop: Header=BB1872_21 Depth=2
	s_or_b64 exec, exec, s[16:17]
	v_cmp_lt_u32_e32 vcc, v29, v13
	s_and_saveexec_b64 s[16:17], vcc
	s_cbranch_execz .LBB1872_49
.LBB1872_42:                            ;   in Loop: Header=BB1872_21 Depth=2
	v_cmp_lt_i16_e32 vcc, -1, v7
	v_cndmask_b32_e32 v0, -1, v66, vcc
	v_xor_b32_e32 v0, v0, v7
	v_cmp_ne_u16_e32 vcc, s68, v0
	v_cndmask_b32_e32 v0, v66, v0, vcc
	v_lshrrev_b32_sdwa v0, s77, v0 dst_sel:DWORD dst_unused:UNUSED_PAD src0_sel:DWORD src1_sel:WORD_0
	v_and_b32_e32 v0, s78, v0
	v_lshl_or_b32 v0, v0, 4, v67
	ds_add_u32 v0, v64
	s_or_b64 exec, exec, s[16:17]
	v_cmp_lt_u32_e32 vcc, v30, v13
	s_and_saveexec_b64 s[16:17], vcc
	s_cbranch_execnz .LBB1872_50
.LBB1872_43:                            ;   in Loop: Header=BB1872_21 Depth=2
	s_or_b64 exec, exec, s[16:17]
	v_cmp_lt_u32_e32 vcc, v31, v13
	s_and_saveexec_b64 s[16:17], vcc
	s_cbranch_execz .LBB1872_51
.LBB1872_44:                            ;   in Loop: Header=BB1872_21 Depth=2
	v_cmp_lt_i16_e32 vcc, -1, v5
	v_cndmask_b32_e32 v0, -1, v66, vcc
	v_xor_b32_e32 v0, v0, v5
	v_cmp_ne_u16_e32 vcc, s68, v0
	v_cndmask_b32_e32 v0, v66, v0, vcc
	v_lshrrev_b32_sdwa v0, s77, v0 dst_sel:DWORD dst_unused:UNUSED_PAD src0_sel:DWORD src1_sel:WORD_0
	v_and_b32_e32 v0, s78, v0
	v_lshl_or_b32 v0, v0, 4, v67
	ds_add_u32 v0, v64
	s_or_b64 exec, exec, s[16:17]
	v_cmp_lt_u32_e32 vcc, v32, v13
	s_and_saveexec_b64 s[16:17], vcc
	s_cbranch_execz .LBB1872_20
	s_branch .LBB1872_52
.LBB1872_45:                            ;   in Loop: Header=BB1872_21 Depth=2
	s_or_b64 exec, exec, s[16:17]
	v_cmp_lt_u32_e32 vcc, v24, v13
	s_and_saveexec_b64 s[16:17], vcc
	s_cbranch_execz .LBB1872_39
.LBB1872_46:                            ;   in Loop: Header=BB1872_21 Depth=2
	v_cmp_lt_i16_e32 vcc, -1, v10
	v_cndmask_b32_e32 v0, -1, v66, vcc
	v_xor_b32_e32 v0, v0, v10
	v_cmp_ne_u16_e32 vcc, s68, v0
	v_cndmask_b32_e32 v0, v66, v0, vcc
	v_lshrrev_b32_sdwa v0, s77, v0 dst_sel:DWORD dst_unused:UNUSED_PAD src0_sel:DWORD src1_sel:WORD_0
	v_and_b32_e32 v0, s78, v0
	v_lshl_or_b32 v0, v0, 4, v67
	ds_add_u32 v0, v64
	s_or_b64 exec, exec, s[16:17]
	v_cmp_lt_u32_e32 vcc, v25, v13
	s_and_saveexec_b64 s[16:17], vcc
	s_cbranch_execnz .LBB1872_40
.LBB1872_47:                            ;   in Loop: Header=BB1872_21 Depth=2
	s_or_b64 exec, exec, s[16:17]
	v_cmp_lt_u32_e32 vcc, v26, v13
	s_and_saveexec_b64 s[16:17], vcc
	s_cbranch_execz .LBB1872_41
.LBB1872_48:                            ;   in Loop: Header=BB1872_21 Depth=2
	v_cmp_lt_i16_e32 vcc, -1, v8
	v_cndmask_b32_e32 v0, -1, v66, vcc
	v_xor_b32_e32 v0, v0, v8
	v_cmp_ne_u16_e32 vcc, s68, v0
	v_cndmask_b32_e32 v0, v66, v0, vcc
	v_lshrrev_b32_sdwa v0, s77, v0 dst_sel:DWORD dst_unused:UNUSED_PAD src0_sel:DWORD src1_sel:WORD_0
	v_and_b32_e32 v0, s78, v0
	v_lshl_or_b32 v0, v0, 4, v67
	ds_add_u32 v0, v64
	s_or_b64 exec, exec, s[16:17]
	v_cmp_lt_u32_e32 vcc, v29, v13
	s_and_saveexec_b64 s[16:17], vcc
	s_cbranch_execnz .LBB1872_42
.LBB1872_49:                            ;   in Loop: Header=BB1872_21 Depth=2
	s_or_b64 exec, exec, s[16:17]
	v_cmp_lt_u32_e32 vcc, v30, v13
	s_and_saveexec_b64 s[16:17], vcc
	s_cbranch_execz .LBB1872_43
.LBB1872_50:                            ;   in Loop: Header=BB1872_21 Depth=2
	v_cmp_lt_i16_e32 vcc, -1, v6
	v_cndmask_b32_e32 v0, -1, v66, vcc
	v_xor_b32_e32 v0, v0, v6
	v_cmp_ne_u16_e32 vcc, s68, v0
	v_cndmask_b32_e32 v0, v66, v0, vcc
	v_lshrrev_b32_sdwa v0, s77, v0 dst_sel:DWORD dst_unused:UNUSED_PAD src0_sel:DWORD src1_sel:WORD_0
	v_and_b32_e32 v0, s78, v0
	v_lshl_or_b32 v0, v0, 4, v67
	ds_add_u32 v0, v64
	s_or_b64 exec, exec, s[16:17]
	v_cmp_lt_u32_e32 vcc, v31, v13
	s_and_saveexec_b64 s[16:17], vcc
	s_cbranch_execnz .LBB1872_44
.LBB1872_51:                            ;   in Loop: Header=BB1872_21 Depth=2
	s_or_b64 exec, exec, s[16:17]
	v_cmp_lt_u32_e32 vcc, v32, v13
	s_and_saveexec_b64 s[16:17], vcc
	s_cbranch_execz .LBB1872_20
.LBB1872_52:                            ;   in Loop: Header=BB1872_21 Depth=2
	s_waitcnt vmcnt(0)
	v_cmp_lt_i16_e32 vcc, -1, v12
	v_cndmask_b32_e32 v0, -1, v66, vcc
	v_xor_b32_e32 v0, v0, v12
	v_cmp_ne_u16_e32 vcc, s68, v0
	v_cndmask_b32_e32 v0, v66, v0, vcc
	v_lshrrev_b32_sdwa v0, s77, v0 dst_sel:DWORD dst_unused:UNUSED_PAD src0_sel:DWORD src1_sel:WORD_0
	v_and_b32_e32 v0, s78, v0
	v_lshl_or_b32 v0, v0, 4, v67
	ds_add_u32 v0, v64
	s_branch .LBB1872_20
.LBB1872_53:                            ;   in Loop: Header=BB1872_21 Depth=2
	s_or_b64 exec, exec, s[20:21]
	v_cmp_gt_u32_e32 vcc, s22, v24
	s_and_saveexec_b64 s[20:21], vcc
	s_cbranch_execz .LBB1872_27
.LBB1872_54:                            ;   in Loop: Header=BB1872_21 Depth=2
	global_load_ushort v10, v65, s[18:19] offset:512
	s_or_b64 exec, exec, s[20:21]
	v_cmp_gt_u32_e32 vcc, s22, v25
	s_and_saveexec_b64 s[20:21], vcc
	s_cbranch_execnz .LBB1872_28
.LBB1872_55:                            ;   in Loop: Header=BB1872_21 Depth=2
	s_or_b64 exec, exec, s[20:21]
	v_cmp_gt_u32_e32 vcc, s22, v26
	s_and_saveexec_b64 s[20:21], vcc
	s_cbranch_execz .LBB1872_29
.LBB1872_56:                            ;   in Loop: Header=BB1872_21 Depth=2
	global_load_ushort v8, v65, s[18:19] offset:1536
	s_or_b64 exec, exec, s[20:21]
	v_cmp_gt_u32_e32 vcc, s22, v29
	s_and_saveexec_b64 s[20:21], vcc
	s_cbranch_execnz .LBB1872_30
.LBB1872_57:                            ;   in Loop: Header=BB1872_21 Depth=2
	s_or_b64 exec, exec, s[20:21]
	v_cmp_gt_u32_e32 vcc, s22, v30
	s_and_saveexec_b64 s[20:21], vcc
	s_cbranch_execz .LBB1872_31
.LBB1872_58:                            ;   in Loop: Header=BB1872_21 Depth=2
	global_load_ushort v6, v65, s[18:19] offset:2560
	s_or_b64 exec, exec, s[20:21]
	v_cmp_gt_u32_e32 vcc, s22, v31
	s_and_saveexec_b64 s[20:21], vcc
	s_cbranch_execz .LBB1872_33
	s_branch .LBB1872_32
.LBB1872_59:                            ;   in Loop: Header=BB1872_17 Depth=1
	v_mov_b32_e32 v0, 0
	s_waitcnt lgkmcnt(0)
	s_barrier
	s_and_saveexec_b64 s[16:17], s[4:5]
	s_cbranch_execz .LBB1872_61
; %bb.60:                               ;   in Loop: Header=BB1872_17 Depth=1
	ds_read2_b64 v[6:9], v33 offset1:1
	s_waitcnt lgkmcnt(0)
	v_add_u32_e32 v0, v7, v6
	v_add3_u32 v0, v0, v8, v9
.LBB1872_61:                            ;   in Loop: Header=BB1872_17 Depth=1
	s_or_b64 exec, exec, s[16:17]
	v_and_b32_e32 v1, 15, v68
	v_mov_b32_dpp v5, v0 row_shr:1 row_mask:0xf bank_mask:0xf
	v_cmp_eq_u32_e64 s[16:17], 0, v1
	v_cndmask_b32_e64 v5, v5, 0, s[16:17]
	v_add_u32_e32 v0, v5, v0
	v_cmp_lt_u32_e64 s[18:19], 1, v1
	v_cmp_lt_u32_e64 s[20:21], 3, v1
	v_mov_b32_dpp v5, v0 row_shr:2 row_mask:0xf bank_mask:0xf
	v_cndmask_b32_e64 v5, 0, v5, s[18:19]
	v_add_u32_e32 v0, v0, v5
	v_cmp_lt_u32_e64 s[22:23], 7, v1
	v_cmp_lt_u32_e64 s[26:27], 31, v68
	v_mov_b32_dpp v5, v0 row_shr:4 row_mask:0xf bank_mask:0xf
	v_cndmask_b32_e64 v5, 0, v5, s[20:21]
	v_add_u32_e32 v0, v0, v5
	v_and_b32_e32 v6, 16, v68
	v_cmp_eq_u32_e64 s[24:25], 0, v6
	v_mov_b32_dpp v5, v0 row_shr:8 row_mask:0xf bank_mask:0xf
	v_cndmask_b32_e64 v1, 0, v5, s[22:23]
	v_add_u32_e32 v0, v0, v1
	v_bfe_i32 v5, v68, 4, 1
	s_nop 0
	v_mov_b32_dpp v1, v0 row_bcast:15 row_mask:0xf bank_mask:0xf
	v_and_b32_e32 v1, v5, v1
	v_add_u32_e32 v0, v0, v1
	s_nop 1
	v_mov_b32_dpp v1, v0 row_bcast:31 row_mask:0xf bank_mask:0xf
	v_cndmask_b32_e64 v1, 0, v1, s[26:27]
	v_add_u32_e32 v1, v0, v1
	s_and_saveexec_b64 s[28:29], s[6:7]
	s_cbranch_execz .LBB1872_63
; %bb.62:                               ;   in Loop: Header=BB1872_17 Depth=1
	ds_write_b32 v35, v1
.LBB1872_63:                            ;   in Loop: Header=BB1872_17 Depth=1
	s_or_b64 exec, exec, s[28:29]
	v_and_b32_e32 v0, 3, v68
	s_waitcnt lgkmcnt(0)
	s_barrier
	s_and_saveexec_b64 s[28:29], s[8:9]
	s_cbranch_execz .LBB1872_65
; %bb.64:                               ;   in Loop: Header=BB1872_17 Depth=1
	ds_read_b32 v5, v36
	v_cmp_ne_u32_e32 vcc, 0, v0
	s_waitcnt lgkmcnt(0)
	v_mov_b32_dpp v6, v5 row_shr:1 row_mask:0xf bank_mask:0xf
	v_cndmask_b32_e32 v6, 0, v6, vcc
	v_add_u32_e32 v5, v6, v5
	v_cmp_lt_u32_e32 vcc, 1, v0
	s_nop 0
	v_mov_b32_dpp v6, v5 row_shr:2 row_mask:0xf bank_mask:0xf
	v_cndmask_b32_e32 v6, 0, v6, vcc
	v_add_u32_e32 v5, v5, v6
	ds_write_b32 v36, v5
.LBB1872_65:                            ;   in Loop: Header=BB1872_17 Depth=1
	s_or_b64 exec, exec, s[28:29]
	v_mov_b32_e32 v5, 0
	s_waitcnt lgkmcnt(0)
	s_barrier
	s_and_saveexec_b64 s[28:29], s[10:11]
	s_cbranch_execz .LBB1872_67
; %bb.66:                               ;   in Loop: Header=BB1872_17 Depth=1
	ds_read_b32 v5, v37
.LBB1872_67:                            ;   in Loop: Header=BB1872_17 Depth=1
	s_or_b64 exec, exec, s[28:29]
	v_add_u32_e32 v6, -1, v68
	v_and_b32_e32 v7, 64, v68
	v_cmp_lt_i32_e32 vcc, v6, v7
	v_cndmask_b32_e32 v6, v6, v68, vcc
	s_waitcnt lgkmcnt(0)
	v_add_u32_e32 v1, v5, v1
	v_lshlrev_b32_e32 v69, 2, v6
	ds_bpermute_b32 v1, v69, v1
	v_cmp_eq_u32_e64 s[28:29], 0, v68
	s_waitcnt lgkmcnt(0)
	s_barrier
	s_and_saveexec_b64 s[30:31], s[4:5]
	s_cbranch_execz .LBB1872_69
; %bb.68:                               ;   in Loop: Header=BB1872_17 Depth=1
	v_cndmask_b32_e64 v1, v1, v5, s[28:29]
	v_add_u32_e32 v1, s51, v1
	ds_write_b32 v3, v1
.LBB1872_69:                            ;   in Loop: Header=BB1872_17 Depth=1
	s_or_b64 exec, exec, s[30:31]
	s_load_dword s30, s[74:75], 0x4
	s_load_dword s36, s[74:75], 0xc
	s_waitcnt vmcnt(0)
	v_and_b32_e32 v20, 63, v68
	v_lshlrev_b32_e32 v21, 3, v20
	v_add_co_u32_e32 v77, vcc, v45, v21
	s_waitcnt lgkmcnt(0)
	s_cmp_lt_u32 s33, s30
	s_cselect_b32 s30, 14, 20
	s_add_u32 s30, s74, s30
	s_addc_u32 s31, s75, 0
	global_load_ushort v5, v4, s[30:31]
	v_or_b32_e32 v74, v20, v38
	v_lshlrev_b32_e32 v20, 1, v20
	v_addc_co_u32_e32 v79, vcc, 0, v46, vcc
	v_add_co_u32_e32 v88, vcc, v47, v20
	v_addc_co_u32_e32 v89, vcc, 0, v48, vcc
	s_and_b32 s36, s36, 0xffff
	v_add_co_u32_e32 v90, vcc, 0x380, v88
	v_cmp_eq_u32_e64 s[30:31], 0, v0
	v_cmp_lt_u32_e64 s[34:35], 1, v0
	s_mov_b32 s79, s71
	v_or_b32_e32 v81, 64, v74
	v_or_b32_e32 v82, 0x80, v74
	;; [unrolled: 1-line block ×7, first 2 shown]
	v_addc_co_u32_e32 v91, vcc, 0, v89, vcc
	s_mov_b32 s72, s51
                                        ; implicit-def: $vgpr0_vgpr1
                                        ; implicit-def: $vgpr6_vgpr7
                                        ; implicit-def: $vgpr8_vgpr9
                                        ; implicit-def: $vgpr10_vgpr11
                                        ; implicit-def: $vgpr12_vgpr13
                                        ; implicit-def: $vgpr14_vgpr15
                                        ; implicit-def: $vgpr16_vgpr17
                                        ; implicit-def: $vgpr18_vgpr19
                                        ; implicit-def: $vgpr70
                                        ; implicit-def: $vgpr71
                                        ; implicit-def: $vgpr72
                                        ; implicit-def: $vgpr73
                                        ; implicit-def: $vgpr75
                                        ; implicit-def: $vgpr76
                                        ; implicit-def: $vgpr78
                                        ; implicit-def: $vgpr80
	s_waitcnt vmcnt(0)
	v_mad_u32_u24 v5, v39, v5, v40
	v_mad_u64_u32 v[20:21], s[36:37], v5, s36, v[2:3]
	v_lshrrev_b32_e32 v92, 6, v20
	s_branch .LBB1872_71
.LBB1872_70:                            ;   in Loop: Header=BB1872_71 Depth=2
	s_or_b64 exec, exec, s[36:37]
	s_addk_i32 s79, 0xf800
	s_cmp_lt_u32 s80, s76
	s_mov_b32 s72, s80
	s_cbranch_scc0 .LBB1872_183
.LBB1872_71:                            ;   Parent Loop BB1872_17 Depth=1
                                        ; =>  This Inner Loop Header: Depth=2
	s_add_i32 s80, s72, 0x800
	s_cmp_gt_u32 s80, s76
	s_cbranch_scc1 .LBB1872_74
; %bb.72:                               ;   in Loop: Header=BB1872_71 Depth=2
	s_lshl_b64 s[36:37], s[72:73], 1
	v_mov_b32_e32 v5, s37
	v_add_co_u32_e32 v20, vcc, s36, v88
	v_addc_co_u32_e32 v21, vcc, v89, v5, vcc
	global_load_ushort v5, v[20:21], off
	global_load_ushort v97, v[20:21], off offset:128
	global_load_ushort v101, v[20:21], off offset:256
	global_load_ushort v106, v[20:21], off offset:384
	global_load_ushort v109, v[20:21], off offset:512
	global_load_ushort v104, v[20:21], off offset:640
	global_load_ushort v22, v[20:21], off offset:768
	s_mov_b64 s[36:37], -1
	s_movk_i32 s40, 0x800
	s_cbranch_execz .LBB1872_75
; %bb.73:                               ;   in Loop: Header=BB1872_71 Depth=2
                                        ; implicit-def: $sgpr38
	v_mov_b32_e32 v23, s38
	v_mov_b32_e32 v93, s79
	s_and_saveexec_b64 s[38:39], s[36:37]
	s_cbranch_execnz .LBB1872_90
	s_branch .LBB1872_91
.LBB1872_74:                            ;   in Loop: Header=BB1872_71 Depth=2
	s_mov_b64 s[36:37], 0
                                        ; implicit-def: $sgpr40
                                        ; implicit-def: $vgpr5
                                        ; implicit-def: $vgpr97
                                        ; implicit-def: $vgpr101
                                        ; implicit-def: $vgpr106
                                        ; implicit-def: $vgpr109
                                        ; implicit-def: $vgpr104
                                        ; implicit-def: $vgpr22
.LBB1872_75:                            ;   in Loop: Header=BB1872_71 Depth=2
	s_lshl_b64 s[36:37], s[72:73], 1
	s_waitcnt vmcnt(6)
	v_mov_b32_e32 v5, s37
	v_add_co_u32_e32 v20, vcc, s36, v88
	v_addc_co_u32_e32 v21, vcc, v89, v5, vcc
	v_cmp_gt_u32_e32 vcc, s79, v74
	s_waitcnt vmcnt(5)
	v_mov_b32_e32 v97, 0x7fff
	v_mov_b32_e32 v5, 0x7fff
	s_and_saveexec_b64 s[36:37], vcc
	s_cbranch_execz .LBB1872_77
; %bb.76:                               ;   in Loop: Header=BB1872_71 Depth=2
	global_load_ushort v5, v[20:21], off
.LBB1872_77:                            ;   in Loop: Header=BB1872_71 Depth=2
	s_or_b64 exec, exec, s[36:37]
	v_cmp_gt_u32_e32 vcc, s79, v81
	s_and_saveexec_b64 s[36:37], vcc
	s_cbranch_execz .LBB1872_79
; %bb.78:                               ;   in Loop: Header=BB1872_71 Depth=2
	global_load_ushort v97, v[20:21], off offset:128
.LBB1872_79:                            ;   in Loop: Header=BB1872_71 Depth=2
	s_or_b64 exec, exec, s[36:37]
	v_cmp_gt_u32_e32 vcc, s79, v82
	s_waitcnt vmcnt(3)
	v_mov_b32_e32 v106, 0x7fff
	v_mov_b32_e32 v101, 0x7fff
	s_and_saveexec_b64 s[36:37], vcc
	s_cbranch_execz .LBB1872_81
; %bb.80:                               ;   in Loop: Header=BB1872_71 Depth=2
	global_load_ushort v101, v[20:21], off offset:256
.LBB1872_81:                            ;   in Loop: Header=BB1872_71 Depth=2
	s_or_b64 exec, exec, s[36:37]
	v_cmp_gt_u32_e32 vcc, s79, v83
	s_and_saveexec_b64 s[36:37], vcc
	s_cbranch_execz .LBB1872_83
; %bb.82:                               ;   in Loop: Header=BB1872_71 Depth=2
	global_load_ushort v106, v[20:21], off offset:384
.LBB1872_83:                            ;   in Loop: Header=BB1872_71 Depth=2
	s_or_b64 exec, exec, s[36:37]
	v_cmp_gt_u32_e32 vcc, s79, v84
	s_waitcnt vmcnt(1)
	v_mov_b32_e32 v104, 0x7fff
	v_mov_b32_e32 v109, 0x7fff
	s_and_saveexec_b64 s[36:37], vcc
	s_cbranch_execz .LBB1872_85
; %bb.84:                               ;   in Loop: Header=BB1872_71 Depth=2
	global_load_ushort v109, v[20:21], off offset:512
.LBB1872_85:                            ;   in Loop: Header=BB1872_71 Depth=2
	s_or_b64 exec, exec, s[36:37]
	v_cmp_gt_u32_e32 vcc, s79, v85
	s_and_saveexec_b64 s[36:37], vcc
	s_cbranch_execz .LBB1872_87
; %bb.86:                               ;   in Loop: Header=BB1872_71 Depth=2
	global_load_ushort v104, v[20:21], off offset:640
.LBB1872_87:                            ;   in Loop: Header=BB1872_71 Depth=2
	s_or_b64 exec, exec, s[36:37]
	v_cmp_gt_u32_e32 vcc, s79, v86
	s_waitcnt vmcnt(0)
	v_mov_b32_e32 v22, 0x7fff
	s_and_saveexec_b64 s[36:37], vcc
	s_cbranch_execz .LBB1872_89
; %bb.88:                               ;   in Loop: Header=BB1872_71 Depth=2
	global_load_ushort v22, v[20:21], off offset:768
.LBB1872_89:                            ;   in Loop: Header=BB1872_71 Depth=2
	s_or_b64 exec, exec, s[36:37]
	s_sub_i32 s40, s76, s72
	v_cmp_gt_u32_e64 s[36:37], s79, v87
	s_movk_i32 s38, 0x7fff
	v_mov_b32_e32 v23, s38
	v_mov_b32_e32 v93, s79
	s_and_saveexec_b64 s[38:39], s[36:37]
	s_cbranch_execz .LBB1872_91
.LBB1872_90:                            ;   in Loop: Header=BB1872_71 Depth=2
	s_lshl_b64 s[36:37], s[72:73], 1
	v_mov_b32_e32 v21, s37
	v_add_co_u32_e32 v20, vcc, s36, v90
	v_addc_co_u32_e32 v21, vcc, v91, v21, vcc
	global_load_ushort v23, v[20:21], off
	v_mov_b32_e32 v93, s40
.LBB1872_91:                            ;   in Loop: Header=BB1872_71 Depth=2
	s_or_b64 exec, exec, s[38:39]
	s_waitcnt vmcnt(6)
	v_cmp_lt_i16_e32 vcc, -1, v5
	v_cndmask_b32_e32 v20, -1, v66, vcc
	v_xor_b32_e32 v94, v20, v5
	v_add_u32_e32 v5, 0x410, v41
	v_cmp_ne_u16_e32 vcc, s68, v94
	ds_write2_b32 v5, v4, v4 offset1:1
	ds_write2_b32 v43, v4, v4 offset0:2 offset1:3
	ds_write_b32 v43, v4 offset:16
	v_cndmask_b32_e32 v5, v66, v94, vcc
	v_lshrrev_b32_sdwa v5, s77, v5 dst_sel:DWORD dst_unused:UNUSED_PAD src0_sel:DWORD src1_sel:WORD_0
	v_and_b32_e32 v20, s78, v5
	v_mad_u32_u24 v5, v20, 5, v92
	v_lshl_add_u32 v95, v5, 2, v42
	v_and_b32_e32 v5, 1, v20
	v_add_co_u32_e32 v21, vcc, -1, v5
	v_addc_co_u32_e64 v96, s[36:37], 0, -1, vcc
	v_cmp_ne_u32_e32 vcc, 0, v5
	v_xor_b32_e32 v5, vcc_hi, v96
	v_and_b32_e32 v96, exec_hi, v5
	v_lshlrev_b32_e32 v5, 30, v20
	v_xor_b32_e32 v21, vcc_lo, v21
	v_cmp_gt_i64_e32 vcc, 0, v[4:5]
	v_not_b32_e32 v5, v5
	v_ashrrev_i32_e32 v5, 31, v5
	v_and_b32_e32 v21, exec_lo, v21
	v_xor_b32_e32 v98, vcc_hi, v5
	v_xor_b32_e32 v5, vcc_lo, v5
	v_and_b32_e32 v21, v21, v5
	v_lshlrev_b32_e32 v5, 29, v20
	v_cmp_gt_i64_e32 vcc, 0, v[4:5]
	v_not_b32_e32 v5, v5
	v_ashrrev_i32_e32 v5, 31, v5
	v_and_b32_e32 v96, v96, v98
	v_xor_b32_e32 v98, vcc_hi, v5
	v_xor_b32_e32 v5, vcc_lo, v5
	v_and_b32_e32 v21, v21, v5
	v_lshlrev_b32_e32 v5, 28, v20
	v_cmp_gt_i64_e32 vcc, 0, v[4:5]
	v_not_b32_e32 v5, v5
	v_ashrrev_i32_e32 v5, 31, v5
	v_and_b32_e32 v96, v96, v98
	;; [unrolled: 8-line block ×5, first 2 shown]
	v_xor_b32_e32 v98, vcc_hi, v5
	v_xor_b32_e32 v5, vcc_lo, v5
	v_and_b32_e32 v96, v96, v98
	v_and_b32_e32 v98, v21, v5
	v_lshlrev_b32_e32 v5, 24, v20
	v_cmp_gt_i64_e32 vcc, 0, v[4:5]
	v_not_b32_e32 v5, v5
	v_ashrrev_i32_e32 v5, 31, v5
	v_xor_b32_e32 v20, vcc_hi, v5
	v_xor_b32_e32 v5, vcc_lo, v5
	v_and_b32_e32 v21, v96, v20
	v_and_b32_e32 v20, v98, v5
	v_mbcnt_lo_u32_b32 v5, v20, 0
	v_mbcnt_hi_u32_b32 v96, v21, v5
	v_cmp_eq_u32_e32 vcc, 0, v96
	v_cmp_ne_u64_e64 s[36:37], 0, v[20:21]
	s_and_b64 s[38:39], s[36:37], vcc
	s_waitcnt lgkmcnt(0)
	s_barrier
	s_waitcnt lgkmcnt(0)
	; wave barrier
	s_and_saveexec_b64 s[36:37], s[38:39]
	s_cbranch_execz .LBB1872_93
; %bb.92:                               ;   in Loop: Header=BB1872_71 Depth=2
	v_bcnt_u32_b32 v5, v20, 0
	v_bcnt_u32_b32 v5, v21, v5
	ds_write_b32 v95, v5
.LBB1872_93:                            ;   in Loop: Header=BB1872_71 Depth=2
	s_or_b64 exec, exec, s[36:37]
	s_waitcnt vmcnt(5)
	v_cmp_lt_i16_e32 vcc, -1, v97
	v_cndmask_b32_e32 v5, -1, v66, vcc
	v_xor_b32_e32 v97, v5, v97
	v_cmp_ne_u16_e32 vcc, s68, v97
	v_cndmask_b32_e32 v5, v66, v97, vcc
	v_lshrrev_b32_sdwa v5, s77, v5 dst_sel:DWORD dst_unused:UNUSED_PAD src0_sel:DWORD src1_sel:WORD_0
	v_and_b32_e32 v20, s78, v5
	v_mul_u32_u24_e32 v5, 5, v20
	v_add_lshl_u32 v5, v5, v92, 2
	; wave barrier
	v_add_u32_e32 v99, 0x410, v5
	ds_read_b32 v98, v5 offset:1040
	v_and_b32_e32 v5, 1, v20
	v_add_co_u32_e32 v21, vcc, -1, v5
	v_addc_co_u32_e64 v100, s[36:37], 0, -1, vcc
	v_cmp_ne_u32_e32 vcc, 0, v5
	v_xor_b32_e32 v5, vcc_hi, v100
	v_and_b32_e32 v100, exec_hi, v5
	v_lshlrev_b32_e32 v5, 30, v20
	v_xor_b32_e32 v21, vcc_lo, v21
	v_cmp_gt_i64_e32 vcc, 0, v[4:5]
	v_not_b32_e32 v5, v5
	v_ashrrev_i32_e32 v5, 31, v5
	v_and_b32_e32 v21, exec_lo, v21
	v_xor_b32_e32 v102, vcc_hi, v5
	v_xor_b32_e32 v5, vcc_lo, v5
	v_and_b32_e32 v21, v21, v5
	v_lshlrev_b32_e32 v5, 29, v20
	v_cmp_gt_i64_e32 vcc, 0, v[4:5]
	v_not_b32_e32 v5, v5
	v_ashrrev_i32_e32 v5, 31, v5
	v_and_b32_e32 v100, v100, v102
	v_xor_b32_e32 v102, vcc_hi, v5
	v_xor_b32_e32 v5, vcc_lo, v5
	v_and_b32_e32 v21, v21, v5
	v_lshlrev_b32_e32 v5, 28, v20
	v_cmp_gt_i64_e32 vcc, 0, v[4:5]
	v_not_b32_e32 v5, v5
	v_ashrrev_i32_e32 v5, 31, v5
	v_and_b32_e32 v100, v100, v102
	v_xor_b32_e32 v102, vcc_hi, v5
	v_xor_b32_e32 v5, vcc_lo, v5
	v_and_b32_e32 v21, v21, v5
	v_lshlrev_b32_e32 v5, 27, v20
	v_cmp_gt_i64_e32 vcc, 0, v[4:5]
	v_not_b32_e32 v5, v5
	v_ashrrev_i32_e32 v5, 31, v5
	v_and_b32_e32 v100, v100, v102
	v_xor_b32_e32 v102, vcc_hi, v5
	v_xor_b32_e32 v5, vcc_lo, v5
	v_and_b32_e32 v21, v21, v5
	v_lshlrev_b32_e32 v5, 26, v20
	v_cmp_gt_i64_e32 vcc, 0, v[4:5]
	v_not_b32_e32 v5, v5
	v_ashrrev_i32_e32 v5, 31, v5
	v_and_b32_e32 v100, v100, v102
	v_xor_b32_e32 v102, vcc_hi, v5
	v_xor_b32_e32 v5, vcc_lo, v5
	v_and_b32_e32 v21, v21, v5
	v_lshlrev_b32_e32 v5, 25, v20
	v_cmp_gt_i64_e32 vcc, 0, v[4:5]
	v_not_b32_e32 v5, v5
	v_ashrrev_i32_e32 v5, 31, v5
	v_and_b32_e32 v100, v100, v102
	v_xor_b32_e32 v102, vcc_hi, v5
	v_xor_b32_e32 v5, vcc_lo, v5
	v_and_b32_e32 v100, v100, v102
	v_and_b32_e32 v102, v21, v5
	v_lshlrev_b32_e32 v5, 24, v20
	v_cmp_gt_i64_e32 vcc, 0, v[4:5]
	v_not_b32_e32 v5, v5
	v_ashrrev_i32_e32 v5, 31, v5
	v_xor_b32_e32 v20, vcc_hi, v5
	v_xor_b32_e32 v5, vcc_lo, v5
	v_and_b32_e32 v21, v100, v20
	v_and_b32_e32 v20, v102, v5
	v_mbcnt_lo_u32_b32 v5, v20, 0
	v_mbcnt_hi_u32_b32 v100, v21, v5
	v_cmp_eq_u32_e32 vcc, 0, v100
	v_cmp_ne_u64_e64 s[36:37], 0, v[20:21]
	s_and_b64 s[38:39], s[36:37], vcc
	; wave barrier
	s_and_saveexec_b64 s[36:37], s[38:39]
	s_cbranch_execz .LBB1872_95
; %bb.94:                               ;   in Loop: Header=BB1872_71 Depth=2
	v_bcnt_u32_b32 v5, v20, 0
	v_bcnt_u32_b32 v5, v21, v5
	s_waitcnt lgkmcnt(0)
	v_add_u32_e32 v5, v98, v5
	ds_write_b32 v99, v5
.LBB1872_95:                            ;   in Loop: Header=BB1872_71 Depth=2
	s_or_b64 exec, exec, s[36:37]
	s_waitcnt vmcnt(4)
	v_cmp_lt_i16_e32 vcc, -1, v101
	v_cndmask_b32_e32 v5, -1, v66, vcc
	v_xor_b32_e32 v101, v5, v101
	v_cmp_ne_u16_e32 vcc, s68, v101
	v_cndmask_b32_e32 v5, v66, v101, vcc
	v_lshrrev_b32_sdwa v5, s77, v5 dst_sel:DWORD dst_unused:UNUSED_PAD src0_sel:DWORD src1_sel:WORD_0
	v_and_b32_e32 v20, s78, v5
	v_mul_u32_u24_e32 v5, 5, v20
	v_add_lshl_u32 v5, v5, v92, 2
	; wave barrier
	v_add_u32_e32 v103, 0x410, v5
	ds_read_b32 v102, v5 offset:1040
	v_and_b32_e32 v5, 1, v20
	v_add_co_u32_e32 v21, vcc, -1, v5
	v_addc_co_u32_e64 v105, s[36:37], 0, -1, vcc
	v_cmp_ne_u32_e32 vcc, 0, v5
	v_xor_b32_e32 v5, vcc_hi, v105
	v_and_b32_e32 v105, exec_hi, v5
	v_lshlrev_b32_e32 v5, 30, v20
	v_xor_b32_e32 v21, vcc_lo, v21
	v_cmp_gt_i64_e32 vcc, 0, v[4:5]
	v_not_b32_e32 v5, v5
	v_ashrrev_i32_e32 v5, 31, v5
	v_and_b32_e32 v21, exec_lo, v21
	v_xor_b32_e32 v107, vcc_hi, v5
	v_xor_b32_e32 v5, vcc_lo, v5
	v_and_b32_e32 v21, v21, v5
	v_lshlrev_b32_e32 v5, 29, v20
	v_cmp_gt_i64_e32 vcc, 0, v[4:5]
	v_not_b32_e32 v5, v5
	v_ashrrev_i32_e32 v5, 31, v5
	v_and_b32_e32 v105, v105, v107
	v_xor_b32_e32 v107, vcc_hi, v5
	v_xor_b32_e32 v5, vcc_lo, v5
	v_and_b32_e32 v21, v21, v5
	v_lshlrev_b32_e32 v5, 28, v20
	v_cmp_gt_i64_e32 vcc, 0, v[4:5]
	v_not_b32_e32 v5, v5
	v_ashrrev_i32_e32 v5, 31, v5
	v_and_b32_e32 v105, v105, v107
	;; [unrolled: 8-line block ×5, first 2 shown]
	v_xor_b32_e32 v107, vcc_hi, v5
	v_xor_b32_e32 v5, vcc_lo, v5
	v_and_b32_e32 v105, v105, v107
	v_and_b32_e32 v107, v21, v5
	v_lshlrev_b32_e32 v5, 24, v20
	v_cmp_gt_i64_e32 vcc, 0, v[4:5]
	v_not_b32_e32 v5, v5
	v_ashrrev_i32_e32 v5, 31, v5
	v_xor_b32_e32 v20, vcc_hi, v5
	v_xor_b32_e32 v5, vcc_lo, v5
	v_and_b32_e32 v21, v105, v20
	v_and_b32_e32 v20, v107, v5
	v_mbcnt_lo_u32_b32 v5, v20, 0
	v_mbcnt_hi_u32_b32 v105, v21, v5
	v_cmp_eq_u32_e32 vcc, 0, v105
	v_cmp_ne_u64_e64 s[36:37], 0, v[20:21]
	s_and_b64 s[38:39], s[36:37], vcc
	; wave barrier
	s_and_saveexec_b64 s[36:37], s[38:39]
	s_cbranch_execz .LBB1872_97
; %bb.96:                               ;   in Loop: Header=BB1872_71 Depth=2
	v_bcnt_u32_b32 v5, v20, 0
	v_bcnt_u32_b32 v5, v21, v5
	s_waitcnt lgkmcnt(0)
	v_add_u32_e32 v5, v102, v5
	ds_write_b32 v103, v5
.LBB1872_97:                            ;   in Loop: Header=BB1872_71 Depth=2
	s_or_b64 exec, exec, s[36:37]
	s_waitcnt vmcnt(3)
	v_cmp_lt_i16_e32 vcc, -1, v106
	v_cndmask_b32_e32 v5, -1, v66, vcc
	v_xor_b32_e32 v106, v5, v106
	v_cmp_ne_u16_e32 vcc, s68, v106
	v_cndmask_b32_e32 v5, v66, v106, vcc
	v_lshrrev_b32_sdwa v5, s77, v5 dst_sel:DWORD dst_unused:UNUSED_PAD src0_sel:DWORD src1_sel:WORD_0
	v_and_b32_e32 v20, s78, v5
	v_mul_u32_u24_e32 v5, 5, v20
	v_add_lshl_u32 v5, v5, v92, 2
	; wave barrier
	v_add_u32_e32 v108, 0x410, v5
	ds_read_b32 v107, v5 offset:1040
	v_and_b32_e32 v5, 1, v20
	v_add_co_u32_e32 v21, vcc, -1, v5
	v_addc_co_u32_e64 v110, s[36:37], 0, -1, vcc
	v_cmp_ne_u32_e32 vcc, 0, v5
	v_xor_b32_e32 v5, vcc_hi, v110
	v_and_b32_e32 v110, exec_hi, v5
	v_lshlrev_b32_e32 v5, 30, v20
	v_xor_b32_e32 v21, vcc_lo, v21
	v_cmp_gt_i64_e32 vcc, 0, v[4:5]
	v_not_b32_e32 v5, v5
	v_ashrrev_i32_e32 v5, 31, v5
	v_and_b32_e32 v21, exec_lo, v21
	v_xor_b32_e32 v111, vcc_hi, v5
	v_xor_b32_e32 v5, vcc_lo, v5
	v_and_b32_e32 v21, v21, v5
	v_lshlrev_b32_e32 v5, 29, v20
	v_cmp_gt_i64_e32 vcc, 0, v[4:5]
	v_not_b32_e32 v5, v5
	v_ashrrev_i32_e32 v5, 31, v5
	v_and_b32_e32 v110, v110, v111
	v_xor_b32_e32 v111, vcc_hi, v5
	v_xor_b32_e32 v5, vcc_lo, v5
	v_and_b32_e32 v21, v21, v5
	v_lshlrev_b32_e32 v5, 28, v20
	v_cmp_gt_i64_e32 vcc, 0, v[4:5]
	v_not_b32_e32 v5, v5
	v_ashrrev_i32_e32 v5, 31, v5
	v_and_b32_e32 v110, v110, v111
	;; [unrolled: 8-line block ×5, first 2 shown]
	v_xor_b32_e32 v111, vcc_hi, v5
	v_xor_b32_e32 v5, vcc_lo, v5
	v_and_b32_e32 v110, v110, v111
	v_and_b32_e32 v111, v21, v5
	v_lshlrev_b32_e32 v5, 24, v20
	v_cmp_gt_i64_e32 vcc, 0, v[4:5]
	v_not_b32_e32 v5, v5
	v_ashrrev_i32_e32 v5, 31, v5
	v_xor_b32_e32 v20, vcc_hi, v5
	v_xor_b32_e32 v5, vcc_lo, v5
	v_and_b32_e32 v21, v110, v20
	v_and_b32_e32 v20, v111, v5
	v_mbcnt_lo_u32_b32 v5, v20, 0
	v_mbcnt_hi_u32_b32 v110, v21, v5
	v_cmp_eq_u32_e32 vcc, 0, v110
	v_cmp_ne_u64_e64 s[36:37], 0, v[20:21]
	s_and_b64 s[38:39], s[36:37], vcc
	; wave barrier
	s_and_saveexec_b64 s[36:37], s[38:39]
	s_cbranch_execz .LBB1872_99
; %bb.98:                               ;   in Loop: Header=BB1872_71 Depth=2
	v_bcnt_u32_b32 v5, v20, 0
	v_bcnt_u32_b32 v5, v21, v5
	s_waitcnt lgkmcnt(0)
	v_add_u32_e32 v5, v107, v5
	ds_write_b32 v108, v5
.LBB1872_99:                            ;   in Loop: Header=BB1872_71 Depth=2
	s_or_b64 exec, exec, s[36:37]
	s_waitcnt vmcnt(2)
	v_cmp_lt_i16_e32 vcc, -1, v109
	v_cndmask_b32_e32 v5, -1, v66, vcc
	v_xor_b32_e32 v109, v5, v109
	v_cmp_ne_u16_e32 vcc, s68, v109
	v_cndmask_b32_e32 v5, v66, v109, vcc
	v_lshrrev_b32_sdwa v5, s77, v5 dst_sel:DWORD dst_unused:UNUSED_PAD src0_sel:DWORD src1_sel:WORD_0
	v_and_b32_e32 v20, s78, v5
	v_mul_u32_u24_e32 v5, 5, v20
	v_add_lshl_u32 v5, v5, v92, 2
	; wave barrier
	v_add_u32_e32 v112, 0x410, v5
	ds_read_b32 v111, v5 offset:1040
	v_and_b32_e32 v5, 1, v20
	v_add_co_u32_e32 v21, vcc, -1, v5
	v_addc_co_u32_e64 v113, s[36:37], 0, -1, vcc
	v_cmp_ne_u32_e32 vcc, 0, v5
	v_xor_b32_e32 v5, vcc_hi, v113
	v_and_b32_e32 v113, exec_hi, v5
	v_lshlrev_b32_e32 v5, 30, v20
	v_xor_b32_e32 v21, vcc_lo, v21
	v_cmp_gt_i64_e32 vcc, 0, v[4:5]
	v_not_b32_e32 v5, v5
	v_ashrrev_i32_e32 v5, 31, v5
	v_and_b32_e32 v21, exec_lo, v21
	v_xor_b32_e32 v114, vcc_hi, v5
	v_xor_b32_e32 v5, vcc_lo, v5
	v_and_b32_e32 v21, v21, v5
	v_lshlrev_b32_e32 v5, 29, v20
	v_cmp_gt_i64_e32 vcc, 0, v[4:5]
	v_not_b32_e32 v5, v5
	v_ashrrev_i32_e32 v5, 31, v5
	v_and_b32_e32 v113, v113, v114
	v_xor_b32_e32 v114, vcc_hi, v5
	v_xor_b32_e32 v5, vcc_lo, v5
	v_and_b32_e32 v21, v21, v5
	v_lshlrev_b32_e32 v5, 28, v20
	v_cmp_gt_i64_e32 vcc, 0, v[4:5]
	v_not_b32_e32 v5, v5
	v_ashrrev_i32_e32 v5, 31, v5
	v_and_b32_e32 v113, v113, v114
	;; [unrolled: 8-line block ×5, first 2 shown]
	v_xor_b32_e32 v114, vcc_hi, v5
	v_xor_b32_e32 v5, vcc_lo, v5
	v_and_b32_e32 v113, v113, v114
	v_and_b32_e32 v114, v21, v5
	v_lshlrev_b32_e32 v5, 24, v20
	v_cmp_gt_i64_e32 vcc, 0, v[4:5]
	v_not_b32_e32 v5, v5
	v_ashrrev_i32_e32 v5, 31, v5
	v_xor_b32_e32 v20, vcc_hi, v5
	v_xor_b32_e32 v5, vcc_lo, v5
	v_and_b32_e32 v21, v113, v20
	v_and_b32_e32 v20, v114, v5
	v_mbcnt_lo_u32_b32 v5, v20, 0
	v_mbcnt_hi_u32_b32 v113, v21, v5
	v_cmp_eq_u32_e32 vcc, 0, v113
	v_cmp_ne_u64_e64 s[36:37], 0, v[20:21]
	s_and_b64 s[38:39], s[36:37], vcc
	; wave barrier
	s_and_saveexec_b64 s[36:37], s[38:39]
	s_cbranch_execz .LBB1872_101
; %bb.100:                              ;   in Loop: Header=BB1872_71 Depth=2
	v_bcnt_u32_b32 v5, v20, 0
	v_bcnt_u32_b32 v5, v21, v5
	s_waitcnt lgkmcnt(0)
	v_add_u32_e32 v5, v111, v5
	ds_write_b32 v112, v5
.LBB1872_101:                           ;   in Loop: Header=BB1872_71 Depth=2
	s_or_b64 exec, exec, s[36:37]
	s_waitcnt vmcnt(1)
	v_cmp_lt_i16_e32 vcc, -1, v104
	v_cndmask_b32_e32 v5, -1, v66, vcc
	v_xor_b32_e32 v104, v5, v104
	v_cmp_ne_u16_e32 vcc, s68, v104
	v_cndmask_b32_e32 v5, v66, v104, vcc
	v_lshrrev_b32_sdwa v5, s77, v5 dst_sel:DWORD dst_unused:UNUSED_PAD src0_sel:DWORD src1_sel:WORD_0
	v_and_b32_e32 v20, s78, v5
	v_mul_u32_u24_e32 v5, 5, v20
	v_add_lshl_u32 v5, v5, v92, 2
	; wave barrier
	v_add_u32_e32 v115, 0x410, v5
	ds_read_b32 v114, v5 offset:1040
	v_and_b32_e32 v5, 1, v20
	v_add_co_u32_e32 v21, vcc, -1, v5
	v_addc_co_u32_e64 v116, s[36:37], 0, -1, vcc
	v_cmp_ne_u32_e32 vcc, 0, v5
	v_xor_b32_e32 v5, vcc_hi, v116
	v_and_b32_e32 v116, exec_hi, v5
	v_lshlrev_b32_e32 v5, 30, v20
	v_xor_b32_e32 v21, vcc_lo, v21
	v_cmp_gt_i64_e32 vcc, 0, v[4:5]
	v_not_b32_e32 v5, v5
	v_ashrrev_i32_e32 v5, 31, v5
	v_and_b32_e32 v21, exec_lo, v21
	v_xor_b32_e32 v117, vcc_hi, v5
	v_xor_b32_e32 v5, vcc_lo, v5
	v_and_b32_e32 v21, v21, v5
	v_lshlrev_b32_e32 v5, 29, v20
	v_cmp_gt_i64_e32 vcc, 0, v[4:5]
	v_not_b32_e32 v5, v5
	v_ashrrev_i32_e32 v5, 31, v5
	v_and_b32_e32 v116, v116, v117
	v_xor_b32_e32 v117, vcc_hi, v5
	v_xor_b32_e32 v5, vcc_lo, v5
	v_and_b32_e32 v21, v21, v5
	v_lshlrev_b32_e32 v5, 28, v20
	v_cmp_gt_i64_e32 vcc, 0, v[4:5]
	v_not_b32_e32 v5, v5
	v_ashrrev_i32_e32 v5, 31, v5
	v_and_b32_e32 v116, v116, v117
	;; [unrolled: 8-line block ×5, first 2 shown]
	v_xor_b32_e32 v117, vcc_hi, v5
	v_xor_b32_e32 v5, vcc_lo, v5
	v_and_b32_e32 v116, v116, v117
	v_and_b32_e32 v117, v21, v5
	v_lshlrev_b32_e32 v5, 24, v20
	v_cmp_gt_i64_e32 vcc, 0, v[4:5]
	v_not_b32_e32 v5, v5
	v_ashrrev_i32_e32 v5, 31, v5
	v_xor_b32_e32 v20, vcc_hi, v5
	v_xor_b32_e32 v5, vcc_lo, v5
	v_and_b32_e32 v21, v116, v20
	v_and_b32_e32 v20, v117, v5
	v_mbcnt_lo_u32_b32 v5, v20, 0
	v_mbcnt_hi_u32_b32 v116, v21, v5
	v_cmp_eq_u32_e32 vcc, 0, v116
	v_cmp_ne_u64_e64 s[36:37], 0, v[20:21]
	s_and_b64 s[38:39], s[36:37], vcc
	; wave barrier
	s_and_saveexec_b64 s[36:37], s[38:39]
	s_cbranch_execz .LBB1872_103
; %bb.102:                              ;   in Loop: Header=BB1872_71 Depth=2
	v_bcnt_u32_b32 v5, v20, 0
	v_bcnt_u32_b32 v5, v21, v5
	s_waitcnt lgkmcnt(0)
	v_add_u32_e32 v5, v114, v5
	ds_write_b32 v115, v5
.LBB1872_103:                           ;   in Loop: Header=BB1872_71 Depth=2
	s_or_b64 exec, exec, s[36:37]
	s_waitcnt vmcnt(0)
	v_cmp_lt_i16_e32 vcc, -1, v22
	v_cndmask_b32_e32 v5, -1, v66, vcc
	v_xor_b32_e32 v117, v5, v22
	v_cmp_ne_u16_e32 vcc, s68, v117
	v_cndmask_b32_e32 v5, v66, v117, vcc
	v_lshrrev_b32_sdwa v5, s77, v5 dst_sel:DWORD dst_unused:UNUSED_PAD src0_sel:DWORD src1_sel:WORD_0
	v_and_b32_e32 v20, s78, v5
	v_mul_u32_u24_e32 v5, 5, v20
	v_add_lshl_u32 v5, v5, v92, 2
	; wave barrier
	v_add_u32_e32 v119, 0x410, v5
	ds_read_b32 v118, v5 offset:1040
	v_and_b32_e32 v5, 1, v20
	v_add_co_u32_e32 v21, vcc, -1, v5
	v_addc_co_u32_e64 v22, s[36:37], 0, -1, vcc
	v_cmp_ne_u32_e32 vcc, 0, v5
	v_xor_b32_e32 v5, vcc_hi, v22
	v_and_b32_e32 v22, exec_hi, v5
	v_lshlrev_b32_e32 v5, 30, v20
	v_xor_b32_e32 v21, vcc_lo, v21
	v_cmp_gt_i64_e32 vcc, 0, v[4:5]
	v_not_b32_e32 v5, v5
	v_ashrrev_i32_e32 v5, 31, v5
	v_and_b32_e32 v21, exec_lo, v21
	v_xor_b32_e32 v120, vcc_hi, v5
	v_xor_b32_e32 v5, vcc_lo, v5
	v_and_b32_e32 v21, v21, v5
	v_lshlrev_b32_e32 v5, 29, v20
	v_cmp_gt_i64_e32 vcc, 0, v[4:5]
	v_not_b32_e32 v5, v5
	v_ashrrev_i32_e32 v5, 31, v5
	v_and_b32_e32 v22, v22, v120
	v_xor_b32_e32 v120, vcc_hi, v5
	v_xor_b32_e32 v5, vcc_lo, v5
	v_and_b32_e32 v21, v21, v5
	v_lshlrev_b32_e32 v5, 28, v20
	v_cmp_gt_i64_e32 vcc, 0, v[4:5]
	v_not_b32_e32 v5, v5
	v_ashrrev_i32_e32 v5, 31, v5
	v_and_b32_e32 v22, v22, v120
	;; [unrolled: 8-line block ×5, first 2 shown]
	v_xor_b32_e32 v120, vcc_hi, v5
	v_xor_b32_e32 v5, vcc_lo, v5
	v_and_b32_e32 v22, v22, v120
	v_and_b32_e32 v120, v21, v5
	v_lshlrev_b32_e32 v5, 24, v20
	v_cmp_gt_i64_e32 vcc, 0, v[4:5]
	v_not_b32_e32 v5, v5
	v_ashrrev_i32_e32 v5, 31, v5
	v_xor_b32_e32 v20, vcc_hi, v5
	v_xor_b32_e32 v5, vcc_lo, v5
	v_and_b32_e32 v21, v22, v20
	v_and_b32_e32 v20, v120, v5
	v_mbcnt_lo_u32_b32 v5, v20, 0
	v_mbcnt_hi_u32_b32 v120, v21, v5
	v_cmp_eq_u32_e32 vcc, 0, v120
	v_cmp_ne_u64_e64 s[36:37], 0, v[20:21]
	s_and_b64 s[38:39], s[36:37], vcc
	; wave barrier
	s_and_saveexec_b64 s[36:37], s[38:39]
	s_cbranch_execz .LBB1872_105
; %bb.104:                              ;   in Loop: Header=BB1872_71 Depth=2
	v_bcnt_u32_b32 v5, v20, 0
	v_bcnt_u32_b32 v5, v21, v5
	s_waitcnt lgkmcnt(0)
	v_add_u32_e32 v5, v118, v5
	ds_write_b32 v119, v5
.LBB1872_105:                           ;   in Loop: Header=BB1872_71 Depth=2
	s_or_b64 exec, exec, s[36:37]
	v_cmp_lt_i16_e32 vcc, -1, v23
	v_cndmask_b32_e32 v5, -1, v66, vcc
	v_xor_b32_e32 v121, v5, v23
	v_cmp_ne_u16_e32 vcc, s68, v121
	v_cndmask_b32_e32 v5, v66, v121, vcc
	v_lshrrev_b32_sdwa v5, s77, v5 dst_sel:DWORD dst_unused:UNUSED_PAD src0_sel:DWORD src1_sel:WORD_0
	v_and_b32_e32 v20, s78, v5
	v_mul_u32_u24_e32 v5, 5, v20
	v_add_lshl_u32 v5, v5, v92, 2
	; wave barrier
	v_add_u32_e32 v123, 0x410, v5
	ds_read_b32 v122, v5 offset:1040
	v_and_b32_e32 v5, 1, v20
	v_add_co_u32_e32 v21, vcc, -1, v5
	v_addc_co_u32_e64 v22, s[36:37], 0, -1, vcc
	v_cmp_ne_u32_e32 vcc, 0, v5
	v_xor_b32_e32 v5, vcc_hi, v22
	v_and_b32_e32 v22, exec_hi, v5
	v_lshlrev_b32_e32 v5, 30, v20
	v_xor_b32_e32 v21, vcc_lo, v21
	v_cmp_gt_i64_e32 vcc, 0, v[4:5]
	v_not_b32_e32 v5, v5
	v_ashrrev_i32_e32 v5, 31, v5
	v_and_b32_e32 v21, exec_lo, v21
	v_xor_b32_e32 v23, vcc_hi, v5
	v_xor_b32_e32 v5, vcc_lo, v5
	v_and_b32_e32 v21, v21, v5
	v_lshlrev_b32_e32 v5, 29, v20
	v_cmp_gt_i64_e32 vcc, 0, v[4:5]
	v_not_b32_e32 v5, v5
	v_ashrrev_i32_e32 v5, 31, v5
	v_and_b32_e32 v22, v22, v23
	v_xor_b32_e32 v23, vcc_hi, v5
	v_xor_b32_e32 v5, vcc_lo, v5
	v_and_b32_e32 v21, v21, v5
	v_lshlrev_b32_e32 v5, 28, v20
	v_cmp_gt_i64_e32 vcc, 0, v[4:5]
	v_not_b32_e32 v5, v5
	v_ashrrev_i32_e32 v5, 31, v5
	v_and_b32_e32 v22, v22, v23
	;; [unrolled: 8-line block ×5, first 2 shown]
	v_xor_b32_e32 v23, vcc_hi, v5
	v_xor_b32_e32 v5, vcc_lo, v5
	v_and_b32_e32 v22, v22, v23
	v_and_b32_e32 v23, v21, v5
	v_lshlrev_b32_e32 v5, 24, v20
	v_cmp_gt_i64_e32 vcc, 0, v[4:5]
	v_not_b32_e32 v5, v5
	v_ashrrev_i32_e32 v5, 31, v5
	v_xor_b32_e32 v20, vcc_hi, v5
	v_xor_b32_e32 v5, vcc_lo, v5
	v_and_b32_e32 v21, v22, v20
	v_and_b32_e32 v20, v23, v5
	v_mbcnt_lo_u32_b32 v5, v20, 0
	v_mbcnt_hi_u32_b32 v124, v21, v5
	v_cmp_eq_u32_e32 vcc, 0, v124
	v_cmp_ne_u64_e64 s[36:37], 0, v[20:21]
	s_and_b64 s[38:39], s[36:37], vcc
	; wave barrier
	s_and_saveexec_b64 s[36:37], s[38:39]
	s_cbranch_execz .LBB1872_107
; %bb.106:                              ;   in Loop: Header=BB1872_71 Depth=2
	v_bcnt_u32_b32 v5, v20, 0
	v_bcnt_u32_b32 v5, v21, v5
	s_waitcnt lgkmcnt(0)
	v_add_u32_e32 v5, v122, v5
	ds_write_b32 v123, v5
.LBB1872_107:                           ;   in Loop: Header=BB1872_71 Depth=2
	s_or_b64 exec, exec, s[36:37]
	; wave barrier
	s_waitcnt lgkmcnt(0)
	s_barrier
	ds_read_b32 v5, v41 offset:1040
	ds_read2_b32 v[22:23], v43 offset0:1 offset1:2
	ds_read2_b32 v[20:21], v43 offset0:3 offset1:4
	s_waitcnt lgkmcnt(1)
	v_add3_u32 v125, v22, v5, v23
	s_waitcnt lgkmcnt(0)
	v_add3_u32 v21, v125, v20, v21
	s_nop 1
	v_mov_b32_dpp v125, v21 row_shr:1 row_mask:0xf bank_mask:0xf
	v_cndmask_b32_e64 v125, v125, 0, s[16:17]
	v_add_u32_e32 v21, v125, v21
	s_nop 1
	v_mov_b32_dpp v125, v21 row_shr:2 row_mask:0xf bank_mask:0xf
	v_cndmask_b32_e64 v125, 0, v125, s[18:19]
	v_add_u32_e32 v21, v21, v125
	;; [unrolled: 4-line block ×4, first 2 shown]
	s_nop 1
	v_mov_b32_dpp v125, v21 row_bcast:15 row_mask:0xf bank_mask:0xf
	v_cndmask_b32_e64 v125, v125, 0, s[24:25]
	v_add_u32_e32 v21, v21, v125
	s_nop 1
	v_mov_b32_dpp v125, v21 row_bcast:31 row_mask:0xf bank_mask:0xf
	v_cndmask_b32_e64 v125, 0, v125, s[26:27]
	v_add_u32_e32 v21, v21, v125
	s_and_saveexec_b64 s[36:37], s[6:7]
	s_cbranch_execz .LBB1872_109
; %bb.108:                              ;   in Loop: Header=BB1872_71 Depth=2
	ds_write_b32 v34, v21 offset:1024
.LBB1872_109:                           ;   in Loop: Header=BB1872_71 Depth=2
	s_or_b64 exec, exec, s[36:37]
	s_waitcnt lgkmcnt(0)
	s_barrier
	s_and_saveexec_b64 s[36:37], s[8:9]
	s_cbranch_execz .LBB1872_111
; %bb.110:                              ;   in Loop: Header=BB1872_71 Depth=2
	ds_read_b32 v125, v44 offset:1024
	s_waitcnt lgkmcnt(0)
	s_nop 0
	v_mov_b32_dpp v126, v125 row_shr:1 row_mask:0xf bank_mask:0xf
	v_cndmask_b32_e64 v126, v126, 0, s[30:31]
	v_add_u32_e32 v125, v126, v125
	s_nop 1
	v_mov_b32_dpp v126, v125 row_shr:2 row_mask:0xf bank_mask:0xf
	v_cndmask_b32_e64 v126, 0, v126, s[34:35]
	v_add_u32_e32 v125, v125, v126
	ds_write_b32 v44, v125 offset:1024
.LBB1872_111:                           ;   in Loop: Header=BB1872_71 Depth=2
	s_or_b64 exec, exec, s[36:37]
	v_mov_b32_e32 v125, 0
	s_waitcnt lgkmcnt(0)
	s_barrier
	s_and_saveexec_b64 s[36:37], s[10:11]
	s_cbranch_execz .LBB1872_113
; %bb.112:                              ;   in Loop: Header=BB1872_71 Depth=2
	ds_read_b32 v125, v34 offset:1020
.LBB1872_113:                           ;   in Loop: Header=BB1872_71 Depth=2
	s_or_b64 exec, exec, s[36:37]
	s_waitcnt lgkmcnt(0)
	v_add_u32_e32 v21, v125, v21
	ds_bpermute_b32 v21, v69, v21
	s_waitcnt lgkmcnt(0)
	v_cndmask_b32_e64 v21, v21, v125, s[28:29]
	v_cndmask_b32_e64 v21, v21, 0, s[12:13]
	v_add_u32_e32 v5, v21, v5
	ds_write_b32 v41, v21 offset:1040
	v_add_u32_e32 v21, v5, v22
	v_add_u32_e32 v22, v21, v23
	ds_write2_b32 v43, v5, v21 offset0:1 offset1:2
	v_add_u32_e32 v5, v22, v20
	ds_write2_b32 v43, v22, v5 offset0:3 offset1:4
	s_waitcnt lgkmcnt(0)
	s_barrier
	ds_read_b32 v20, v99
	ds_read_b32 v21, v103
	;; [unrolled: 1-line block ×8, first 2 shown]
	ds_read_b32 v99, v41 offset:1040
	v_mov_b32_e32 v5, 0x800
	s_and_saveexec_b64 s[36:37], s[14:15]
	s_cbranch_execz .LBB1872_115
; %bb.114:                              ;   in Loop: Header=BB1872_71 Depth=2
	ds_read_b32 v5, v41 offset:1060
.LBB1872_115:                           ;   in Loop: Header=BB1872_71 Depth=2
	s_or_b64 exec, exec, s[36:37]
	s_waitcnt lgkmcnt(0)
	s_barrier
	s_and_saveexec_b64 s[36:37], s[4:5]
	s_cbranch_execz .LBB1872_117
; %bb.116:                              ;   in Loop: Header=BB1872_71 Depth=2
	ds_read_b32 v103, v3
	s_waitcnt lgkmcnt(0)
	v_sub_u32_e32 v99, v103, v99
	ds_write_b32 v3, v99
.LBB1872_117:                           ;   in Loop: Header=BB1872_71 Depth=2
	s_or_b64 exec, exec, s[36:37]
	v_add_u32_e32 v103, v95, v96
	v_add3_u32 v100, v100, v98, v20
	v_lshlrev_b32_e32 v20, 1, v103
	v_add3_u32 v99, v105, v102, v21
	ds_write_b16 v20, v94 offset:1024
	v_lshlrev_b32_e32 v20, 1, v100
	v_add3_u32 v98, v110, v107, v22
	ds_write_b16 v20, v97 offset:1024
	v_lshlrev_b32_e32 v20, 1, v99
	v_add3_u32 v96, v113, v111, v23
	ds_write_b16 v20, v101 offset:1024
	v_lshlrev_b32_e32 v20, 1, v98
	v_add3_u32 v95, v116, v114, v108
	ds_write_b16 v20, v106 offset:1024
	v_lshlrev_b32_e32 v20, 1, v96
	v_add3_u32 v23, v120, v118, v112
	ds_write_b16 v20, v109 offset:1024
	v_lshlrev_b32_e32 v20, 1, v95
	v_add3_u32 v22, v124, v122, v115
	ds_write_b16 v20, v104 offset:1024
	v_lshlrev_b32_e32 v20, 1, v23
	ds_write_b16 v20, v117 offset:1024
	v_lshlrev_b32_e32 v20, 1, v22
	v_cmp_lt_u32_e32 vcc, v2, v93
	ds_write_b16 v20, v121 offset:1024
	s_waitcnt lgkmcnt(0)
	s_barrier
	s_and_saveexec_b64 s[38:39], vcc
	s_cbranch_execz .LBB1872_125
; %bb.118:                              ;   in Loop: Header=BB1872_71 Depth=2
	ds_read_u16 v20, v49 offset:1024
	v_mov_b32_e32 v21, v4
	v_mov_b32_e32 v97, s59
	s_waitcnt lgkmcnt(0)
	v_cmp_ne_u16_e64 s[36:37], s68, v20
	v_cndmask_b32_e64 v94, v66, v20, s[36:37]
	v_lshrrev_b32_sdwa v94, s77, v94 dst_sel:DWORD dst_unused:UNUSED_PAD src0_sel:DWORD src1_sel:WORD_0
	v_and_b32_e32 v94, s78, v94
	v_lshlrev_b32_e32 v94, 2, v94
	ds_read_b32 v94, v94
	v_cmp_lt_i16_e64 s[36:37], -1, v20
	v_cndmask_b32_e64 v101, v66, -1, s[36:37]
	v_xor_b32_e32 v101, v101, v20
	s_waitcnt lgkmcnt(0)
	v_add_u32_e32 v20, v94, v2
	v_lshlrev_b64 v[20:21], 1, v[20:21]
	v_add_co_u32_e64 v20, s[36:37], s58, v20
	v_addc_co_u32_e64 v21, s[36:37], v97, v21, s[36:37]
	global_store_short v[20:21], v101, off
	s_or_b64 exec, exec, s[38:39]
	v_cmp_lt_u32_e64 s[36:37], v24, v93
	s_and_saveexec_b64 s[40:41], s[36:37]
	s_cbranch_execnz .LBB1872_126
.LBB1872_119:                           ;   in Loop: Header=BB1872_71 Depth=2
	s_or_b64 exec, exec, s[40:41]
	v_cmp_lt_u32_e64 s[38:39], v25, v93
	s_and_saveexec_b64 s[42:43], s[38:39]
	s_cbranch_execz .LBB1872_127
.LBB1872_120:                           ;   in Loop: Header=BB1872_71 Depth=2
	ds_read_u16 v20, v50 offset:1024
	v_mov_b32_e32 v21, v4
	v_mov_b32_e32 v97, s59
	s_waitcnt lgkmcnt(0)
	v_cmp_ne_u16_e64 s[40:41], s68, v20
	v_cndmask_b32_e64 v94, v66, v20, s[40:41]
	v_lshrrev_b32_sdwa v94, s77, v94 dst_sel:DWORD dst_unused:UNUSED_PAD src0_sel:DWORD src1_sel:WORD_0
	v_and_b32_e32 v94, s78, v94
	v_lshlrev_b32_e32 v94, 2, v94
	ds_read_b32 v94, v94
	v_cmp_lt_i16_e64 s[40:41], -1, v20
	v_cndmask_b32_e64 v101, v66, -1, s[40:41]
	v_xor_b32_e32 v101, v101, v20
	s_waitcnt lgkmcnt(0)
	v_add_u32_e32 v20, v94, v25
	v_lshlrev_b64 v[20:21], 1, v[20:21]
	v_add_co_u32_e64 v20, s[40:41], s58, v20
	v_addc_co_u32_e64 v21, s[40:41], v97, v21, s[40:41]
	global_store_short v[20:21], v101, off
	s_or_b64 exec, exec, s[42:43]
	v_cmp_lt_u32_e64 s[40:41], v26, v93
	s_and_saveexec_b64 s[44:45], s[40:41]
	s_cbranch_execnz .LBB1872_128
.LBB1872_121:                           ;   in Loop: Header=BB1872_71 Depth=2
	s_or_b64 exec, exec, s[44:45]
	v_cmp_lt_u32_e64 s[42:43], v29, v93
	s_and_saveexec_b64 s[46:47], s[42:43]
	s_cbranch_execz .LBB1872_129
.LBB1872_122:                           ;   in Loop: Header=BB1872_71 Depth=2
	ds_read_u16 v20, v50 offset:2048
	v_mov_b32_e32 v21, v4
	v_mov_b32_e32 v97, s59
	s_waitcnt lgkmcnt(0)
	v_cmp_ne_u16_e64 s[44:45], s68, v20
	v_cndmask_b32_e64 v94, v66, v20, s[44:45]
	v_lshrrev_b32_sdwa v94, s77, v94 dst_sel:DWORD dst_unused:UNUSED_PAD src0_sel:DWORD src1_sel:WORD_0
	v_and_b32_e32 v94, s78, v94
	v_lshlrev_b32_e32 v94, 2, v94
	ds_read_b32 v94, v94
	v_cmp_lt_i16_e64 s[44:45], -1, v20
	v_cndmask_b32_e64 v101, v66, -1, s[44:45]
	v_xor_b32_e32 v101, v101, v20
	s_waitcnt lgkmcnt(0)
	v_add_u32_e32 v20, v94, v29
	v_lshlrev_b64 v[20:21], 1, v[20:21]
	v_add_co_u32_e64 v20, s[44:45], s58, v20
	v_addc_co_u32_e64 v21, s[44:45], v97, v21, s[44:45]
	global_store_short v[20:21], v101, off
	s_or_b64 exec, exec, s[46:47]
	v_cmp_lt_u32_e64 s[44:45], v30, v93
	s_and_saveexec_b64 s[48:49], s[44:45]
	s_cbranch_execnz .LBB1872_130
.LBB1872_123:                           ;   in Loop: Header=BB1872_71 Depth=2
	s_or_b64 exec, exec, s[48:49]
	v_cmp_lt_u32_e64 s[46:47], v31, v93
	s_and_saveexec_b64 s[52:53], s[46:47]
	s_cbranch_execz .LBB1872_131
.LBB1872_124:                           ;   in Loop: Header=BB1872_71 Depth=2
	ds_read_u16 v20, v50 offset:3072
	v_mov_b32_e32 v21, v4
	v_mov_b32_e32 v97, s59
	s_waitcnt lgkmcnt(0)
	v_cmp_ne_u16_e64 s[48:49], s68, v20
	v_cndmask_b32_e64 v94, v66, v20, s[48:49]
	v_lshrrev_b32_sdwa v94, s77, v94 dst_sel:DWORD dst_unused:UNUSED_PAD src0_sel:DWORD src1_sel:WORD_0
	v_and_b32_e32 v94, s78, v94
	v_lshlrev_b32_e32 v94, 2, v94
	ds_read_b32 v94, v94
	v_cmp_lt_i16_e64 s[48:49], -1, v20
	v_cndmask_b32_e64 v101, v66, -1, s[48:49]
	v_xor_b32_e32 v101, v101, v20
	s_waitcnt lgkmcnt(0)
	v_add_u32_e32 v20, v94, v31
	v_lshlrev_b64 v[20:21], 1, v[20:21]
	v_add_co_u32_e64 v20, s[48:49], s58, v20
	v_addc_co_u32_e64 v21, s[48:49], v97, v21, s[48:49]
	global_store_short v[20:21], v101, off
	s_or_b64 exec, exec, s[52:53]
	v_cmp_lt_u32_e64 s[48:49], v32, v93
	s_and_saveexec_b64 s[62:63], s[48:49]
	s_cbranch_execnz .LBB1872_132
	s_branch .LBB1872_133
.LBB1872_125:                           ;   in Loop: Header=BB1872_71 Depth=2
	s_or_b64 exec, exec, s[38:39]
	v_cmp_lt_u32_e64 s[36:37], v24, v93
	s_and_saveexec_b64 s[40:41], s[36:37]
	s_cbranch_execz .LBB1872_119
.LBB1872_126:                           ;   in Loop: Header=BB1872_71 Depth=2
	ds_read_u16 v20, v50 offset:512
	v_mov_b32_e32 v21, v4
	v_mov_b32_e32 v97, s59
	s_waitcnt lgkmcnt(0)
	v_cmp_ne_u16_e64 s[38:39], s68, v20
	v_cndmask_b32_e64 v94, v66, v20, s[38:39]
	v_lshrrev_b32_sdwa v94, s77, v94 dst_sel:DWORD dst_unused:UNUSED_PAD src0_sel:DWORD src1_sel:WORD_0
	v_and_b32_e32 v94, s78, v94
	v_lshlrev_b32_e32 v94, 2, v94
	ds_read_b32 v94, v94
	v_cmp_lt_i16_e64 s[38:39], -1, v20
	v_cndmask_b32_e64 v101, v66, -1, s[38:39]
	v_xor_b32_e32 v101, v101, v20
	s_waitcnt lgkmcnt(0)
	v_add_u32_e32 v20, v94, v24
	v_lshlrev_b64 v[20:21], 1, v[20:21]
	v_add_co_u32_e64 v20, s[38:39], s58, v20
	v_addc_co_u32_e64 v21, s[38:39], v97, v21, s[38:39]
	global_store_short v[20:21], v101, off
	s_or_b64 exec, exec, s[40:41]
	v_cmp_lt_u32_e64 s[38:39], v25, v93
	s_and_saveexec_b64 s[42:43], s[38:39]
	s_cbranch_execnz .LBB1872_120
.LBB1872_127:                           ;   in Loop: Header=BB1872_71 Depth=2
	s_or_b64 exec, exec, s[42:43]
	v_cmp_lt_u32_e64 s[40:41], v26, v93
	s_and_saveexec_b64 s[44:45], s[40:41]
	s_cbranch_execz .LBB1872_121
.LBB1872_128:                           ;   in Loop: Header=BB1872_71 Depth=2
	ds_read_u16 v20, v50 offset:1536
	v_mov_b32_e32 v21, v4
	v_mov_b32_e32 v97, s59
	s_waitcnt lgkmcnt(0)
	v_cmp_ne_u16_e64 s[42:43], s68, v20
	v_cndmask_b32_e64 v94, v66, v20, s[42:43]
	v_lshrrev_b32_sdwa v94, s77, v94 dst_sel:DWORD dst_unused:UNUSED_PAD src0_sel:DWORD src1_sel:WORD_0
	v_and_b32_e32 v94, s78, v94
	v_lshlrev_b32_e32 v94, 2, v94
	ds_read_b32 v94, v94
	v_cmp_lt_i16_e64 s[42:43], -1, v20
	v_cndmask_b32_e64 v101, v66, -1, s[42:43]
	v_xor_b32_e32 v101, v101, v20
	s_waitcnt lgkmcnt(0)
	v_add_u32_e32 v20, v94, v26
	v_lshlrev_b64 v[20:21], 1, v[20:21]
	v_add_co_u32_e64 v20, s[42:43], s58, v20
	v_addc_co_u32_e64 v21, s[42:43], v97, v21, s[42:43]
	global_store_short v[20:21], v101, off
	s_or_b64 exec, exec, s[44:45]
	v_cmp_lt_u32_e64 s[42:43], v29, v93
	s_and_saveexec_b64 s[46:47], s[42:43]
	s_cbranch_execnz .LBB1872_122
.LBB1872_129:                           ;   in Loop: Header=BB1872_71 Depth=2
	s_or_b64 exec, exec, s[46:47]
	v_cmp_lt_u32_e64 s[44:45], v30, v93
	s_and_saveexec_b64 s[48:49], s[44:45]
	s_cbranch_execz .LBB1872_123
.LBB1872_130:                           ;   in Loop: Header=BB1872_71 Depth=2
	ds_read_u16 v20, v50 offset:2560
	v_mov_b32_e32 v21, v4
	v_mov_b32_e32 v97, s59
	s_waitcnt lgkmcnt(0)
	v_cmp_ne_u16_e64 s[46:47], s68, v20
	v_cndmask_b32_e64 v94, v66, v20, s[46:47]
	v_lshrrev_b32_sdwa v94, s77, v94 dst_sel:DWORD dst_unused:UNUSED_PAD src0_sel:DWORD src1_sel:WORD_0
	v_and_b32_e32 v94, s78, v94
	v_lshlrev_b32_e32 v94, 2, v94
	ds_read_b32 v94, v94
	v_cmp_lt_i16_e64 s[46:47], -1, v20
	v_cndmask_b32_e64 v101, v66, -1, s[46:47]
	v_xor_b32_e32 v101, v101, v20
	s_waitcnt lgkmcnt(0)
	v_add_u32_e32 v20, v94, v30
	v_lshlrev_b64 v[20:21], 1, v[20:21]
	v_add_co_u32_e64 v20, s[46:47], s58, v20
	v_addc_co_u32_e64 v21, s[46:47], v97, v21, s[46:47]
	global_store_short v[20:21], v101, off
	s_or_b64 exec, exec, s[48:49]
	v_cmp_lt_u32_e64 s[46:47], v31, v93
	s_and_saveexec_b64 s[52:53], s[46:47]
	s_cbranch_execnz .LBB1872_124
.LBB1872_131:                           ;   in Loop: Header=BB1872_71 Depth=2
	s_or_b64 exec, exec, s[52:53]
	v_cmp_lt_u32_e64 s[48:49], v32, v93
	s_and_saveexec_b64 s[62:63], s[48:49]
	s_cbranch_execz .LBB1872_133
.LBB1872_132:                           ;   in Loop: Header=BB1872_71 Depth=2
	ds_read_u16 v20, v50 offset:3584
	v_mov_b32_e32 v21, v4
	v_mov_b32_e32 v97, s59
	s_waitcnt lgkmcnt(0)
	v_cmp_ne_u16_e64 s[52:53], s68, v20
	v_cndmask_b32_e64 v94, v66, v20, s[52:53]
	v_lshrrev_b32_sdwa v94, s77, v94 dst_sel:DWORD dst_unused:UNUSED_PAD src0_sel:DWORD src1_sel:WORD_0
	v_and_b32_e32 v94, s78, v94
	v_lshlrev_b32_e32 v94, 2, v94
	ds_read_b32 v94, v94
	v_cmp_lt_i16_e64 s[52:53], -1, v20
	v_cndmask_b32_e64 v101, v66, -1, s[52:53]
	v_xor_b32_e32 v101, v101, v20
	s_waitcnt lgkmcnt(0)
	v_add_u32_e32 v20, v94, v32
	v_lshlrev_b64 v[20:21], 1, v[20:21]
	v_add_co_u32_e64 v20, s[52:53], s58, v20
	v_addc_co_u32_e64 v21, s[52:53], v97, v21, s[52:53]
	global_store_short v[20:21], v101, off
.LBB1872_133:                           ;   in Loop: Header=BB1872_71 Depth=2
	s_or_b64 exec, exec, s[62:63]
	s_lshl_b64 s[52:53], s[72:73], 3
	v_mov_b32_e32 v21, s53
	v_add_co_u32_e64 v20, s[52:53], s52, v77
	v_addc_co_u32_e64 v21, s[52:53], v79, v21, s[52:53]
	v_cmp_lt_u32_e64 s[52:53], v74, v93
	s_and_saveexec_b64 s[62:63], s[52:53]
	s_xor_b64 s[52:53], exec, s[62:63]
	s_cbranch_execz .LBB1872_149
; %bb.134:                              ;   in Loop: Header=BB1872_71 Depth=2
	global_load_dwordx2 v[18:19], v[20:21], off
	s_or_b64 exec, exec, s[52:53]
	v_cmp_lt_u32_e64 s[52:53], v81, v93
	s_and_saveexec_b64 s[62:63], s[52:53]
	s_cbranch_execnz .LBB1872_150
.LBB1872_135:                           ;   in Loop: Header=BB1872_71 Depth=2
	s_or_b64 exec, exec, s[62:63]
	v_cmp_lt_u32_e64 s[52:53], v82, v93
	s_and_saveexec_b64 s[62:63], s[52:53]
	s_cbranch_execz .LBB1872_151
.LBB1872_136:                           ;   in Loop: Header=BB1872_71 Depth=2
	global_load_dwordx2 v[14:15], v[20:21], off offset:1024
	s_or_b64 exec, exec, s[62:63]
	v_cmp_lt_u32_e64 s[52:53], v83, v93
	s_and_saveexec_b64 s[62:63], s[52:53]
	s_cbranch_execnz .LBB1872_152
.LBB1872_137:                           ;   in Loop: Header=BB1872_71 Depth=2
	s_or_b64 exec, exec, s[62:63]
	v_cmp_lt_u32_e64 s[52:53], v84, v93
	s_and_saveexec_b64 s[62:63], s[52:53]
	s_cbranch_execz .LBB1872_153
.LBB1872_138:                           ;   in Loop: Header=BB1872_71 Depth=2
	global_load_dwordx2 v[10:11], v[20:21], off offset:2048
	s_or_b64 exec, exec, s[62:63]
	v_cmp_lt_u32_e64 s[52:53], v85, v93
	s_and_saveexec_b64 s[62:63], s[52:53]
	s_cbranch_execnz .LBB1872_154
.LBB1872_139:                           ;   in Loop: Header=BB1872_71 Depth=2
	s_or_b64 exec, exec, s[62:63]
	v_cmp_lt_u32_e64 s[52:53], v86, v93
	s_and_saveexec_b64 s[62:63], s[52:53]
	s_cbranch_execz .LBB1872_155
.LBB1872_140:                           ;   in Loop: Header=BB1872_71 Depth=2
	global_load_dwordx2 v[6:7], v[20:21], off offset:3072
	s_or_b64 exec, exec, s[62:63]
	v_cmp_lt_u32_e64 s[52:53], v87, v93
	s_and_saveexec_b64 s[62:63], s[52:53]
	s_cbranch_execnz .LBB1872_156
.LBB1872_141:                           ;   in Loop: Header=BB1872_71 Depth=2
	s_or_b64 exec, exec, s[62:63]
	s_and_saveexec_b64 s[62:63], vcc
	s_cbranch_execz .LBB1872_157
.LBB1872_142:                           ;   in Loop: Header=BB1872_71 Depth=2
	ds_read_u16 v20, v49 offset:1024
	s_waitcnt lgkmcnt(0)
	v_cmp_ne_u16_e64 s[52:53], s68, v20
	v_cndmask_b32_e64 v20, v66, v20, s[52:53]
	v_lshrrev_b32_sdwa v20, s77, v20 dst_sel:DWORD dst_unused:UNUSED_PAD src0_sel:DWORD src1_sel:WORD_0
	v_and_b32_e32 v80, s78, v20
	s_or_b64 exec, exec, s[62:63]
	s_and_saveexec_b64 s[62:63], s[36:37]
	s_cbranch_execnz .LBB1872_158
.LBB1872_143:                           ;   in Loop: Header=BB1872_71 Depth=2
	s_or_b64 exec, exec, s[62:63]
	s_and_saveexec_b64 s[62:63], s[38:39]
	s_cbranch_execz .LBB1872_159
.LBB1872_144:                           ;   in Loop: Header=BB1872_71 Depth=2
	ds_read_u16 v20, v50 offset:1024
	s_waitcnt lgkmcnt(0)
	v_cmp_ne_u16_e64 s[52:53], s68, v20
	v_cndmask_b32_e64 v20, v66, v20, s[52:53]
	v_lshrrev_b32_sdwa v20, s77, v20 dst_sel:DWORD dst_unused:UNUSED_PAD src0_sel:DWORD src1_sel:WORD_0
	v_and_b32_e32 v76, s78, v20
	s_or_b64 exec, exec, s[62:63]
	s_and_saveexec_b64 s[62:63], s[40:41]
	s_cbranch_execnz .LBB1872_160
.LBB1872_145:                           ;   in Loop: Header=BB1872_71 Depth=2
	s_or_b64 exec, exec, s[62:63]
	s_and_saveexec_b64 s[62:63], s[42:43]
	s_cbranch_execz .LBB1872_161
.LBB1872_146:                           ;   in Loop: Header=BB1872_71 Depth=2
	ds_read_u16 v20, v50 offset:2048
	s_waitcnt lgkmcnt(0)
	v_cmp_ne_u16_e64 s[52:53], s68, v20
	v_cndmask_b32_e64 v20, v66, v20, s[52:53]
	v_lshrrev_b32_sdwa v20, s77, v20 dst_sel:DWORD dst_unused:UNUSED_PAD src0_sel:DWORD src1_sel:WORD_0
	v_and_b32_e32 v73, s78, v20
	s_or_b64 exec, exec, s[62:63]
	s_and_saveexec_b64 s[62:63], s[44:45]
	s_cbranch_execnz .LBB1872_162
.LBB1872_147:                           ;   in Loop: Header=BB1872_71 Depth=2
	s_or_b64 exec, exec, s[62:63]
	s_and_saveexec_b64 s[62:63], s[46:47]
	s_cbranch_execz .LBB1872_163
.LBB1872_148:                           ;   in Loop: Header=BB1872_71 Depth=2
	ds_read_u16 v20, v50 offset:3072
	s_waitcnt lgkmcnt(0)
	v_cmp_ne_u16_e64 s[52:53], s68, v20
	v_cndmask_b32_e64 v20, v66, v20, s[52:53]
	v_lshrrev_b32_sdwa v20, s77, v20 dst_sel:DWORD dst_unused:UNUSED_PAD src0_sel:DWORD src1_sel:WORD_0
	v_and_b32_e32 v71, s78, v20
	s_or_b64 exec, exec, s[62:63]
	s_and_saveexec_b64 s[62:63], s[48:49]
	s_cbranch_execnz .LBB1872_164
	s_branch .LBB1872_165
.LBB1872_149:                           ;   in Loop: Header=BB1872_71 Depth=2
	s_or_b64 exec, exec, s[52:53]
	v_cmp_lt_u32_e64 s[52:53], v81, v93
	s_and_saveexec_b64 s[62:63], s[52:53]
	s_cbranch_execz .LBB1872_135
.LBB1872_150:                           ;   in Loop: Header=BB1872_71 Depth=2
	global_load_dwordx2 v[16:17], v[20:21], off offset:512
	s_or_b64 exec, exec, s[62:63]
	v_cmp_lt_u32_e64 s[52:53], v82, v93
	s_and_saveexec_b64 s[62:63], s[52:53]
	s_cbranch_execnz .LBB1872_136
.LBB1872_151:                           ;   in Loop: Header=BB1872_71 Depth=2
	s_or_b64 exec, exec, s[62:63]
	v_cmp_lt_u32_e64 s[52:53], v83, v93
	s_and_saveexec_b64 s[62:63], s[52:53]
	s_cbranch_execz .LBB1872_137
.LBB1872_152:                           ;   in Loop: Header=BB1872_71 Depth=2
	global_load_dwordx2 v[12:13], v[20:21], off offset:1536
	s_or_b64 exec, exec, s[62:63]
	v_cmp_lt_u32_e64 s[52:53], v84, v93
	s_and_saveexec_b64 s[62:63], s[52:53]
	s_cbranch_execnz .LBB1872_138
.LBB1872_153:                           ;   in Loop: Header=BB1872_71 Depth=2
	s_or_b64 exec, exec, s[62:63]
	v_cmp_lt_u32_e64 s[52:53], v85, v93
	s_and_saveexec_b64 s[62:63], s[52:53]
	s_cbranch_execz .LBB1872_139
.LBB1872_154:                           ;   in Loop: Header=BB1872_71 Depth=2
	global_load_dwordx2 v[8:9], v[20:21], off offset:2560
	s_or_b64 exec, exec, s[62:63]
	v_cmp_lt_u32_e64 s[52:53], v86, v93
	s_and_saveexec_b64 s[62:63], s[52:53]
	s_cbranch_execnz .LBB1872_140
.LBB1872_155:                           ;   in Loop: Header=BB1872_71 Depth=2
	s_or_b64 exec, exec, s[62:63]
	v_cmp_lt_u32_e64 s[52:53], v87, v93
	s_and_saveexec_b64 s[62:63], s[52:53]
	s_cbranch_execz .LBB1872_141
.LBB1872_156:                           ;   in Loop: Header=BB1872_71 Depth=2
	global_load_dwordx2 v[0:1], v[20:21], off offset:3584
	s_or_b64 exec, exec, s[62:63]
	s_and_saveexec_b64 s[62:63], vcc
	s_cbranch_execnz .LBB1872_142
.LBB1872_157:                           ;   in Loop: Header=BB1872_71 Depth=2
	s_or_b64 exec, exec, s[62:63]
	s_and_saveexec_b64 s[62:63], s[36:37]
	s_cbranch_execz .LBB1872_143
.LBB1872_158:                           ;   in Loop: Header=BB1872_71 Depth=2
	ds_read_u16 v20, v50 offset:512
	s_waitcnt lgkmcnt(0)
	v_cmp_ne_u16_e64 s[52:53], s68, v20
	v_cndmask_b32_e64 v20, v66, v20, s[52:53]
	v_lshrrev_b32_sdwa v20, s77, v20 dst_sel:DWORD dst_unused:UNUSED_PAD src0_sel:DWORD src1_sel:WORD_0
	v_and_b32_e32 v78, s78, v20
	s_or_b64 exec, exec, s[62:63]
	s_and_saveexec_b64 s[62:63], s[38:39]
	s_cbranch_execnz .LBB1872_144
.LBB1872_159:                           ;   in Loop: Header=BB1872_71 Depth=2
	s_or_b64 exec, exec, s[62:63]
	s_and_saveexec_b64 s[62:63], s[40:41]
	s_cbranch_execz .LBB1872_145
.LBB1872_160:                           ;   in Loop: Header=BB1872_71 Depth=2
	ds_read_u16 v20, v50 offset:1536
	s_waitcnt lgkmcnt(0)
	v_cmp_ne_u16_e64 s[52:53], s68, v20
	v_cndmask_b32_e64 v20, v66, v20, s[52:53]
	v_lshrrev_b32_sdwa v20, s77, v20 dst_sel:DWORD dst_unused:UNUSED_PAD src0_sel:DWORD src1_sel:WORD_0
	v_and_b32_e32 v75, s78, v20
	s_or_b64 exec, exec, s[62:63]
	s_and_saveexec_b64 s[62:63], s[42:43]
	s_cbranch_execnz .LBB1872_146
.LBB1872_161:                           ;   in Loop: Header=BB1872_71 Depth=2
	s_or_b64 exec, exec, s[62:63]
	s_and_saveexec_b64 s[62:63], s[44:45]
	s_cbranch_execz .LBB1872_147
.LBB1872_162:                           ;   in Loop: Header=BB1872_71 Depth=2
	ds_read_u16 v20, v50 offset:2560
	s_waitcnt lgkmcnt(0)
	v_cmp_ne_u16_e64 s[52:53], s68, v20
	v_cndmask_b32_e64 v20, v66, v20, s[52:53]
	v_lshrrev_b32_sdwa v20, s77, v20 dst_sel:DWORD dst_unused:UNUSED_PAD src0_sel:DWORD src1_sel:WORD_0
	v_and_b32_e32 v72, s78, v20
	s_or_b64 exec, exec, s[62:63]
	s_and_saveexec_b64 s[62:63], s[46:47]
	s_cbranch_execnz .LBB1872_148
.LBB1872_163:                           ;   in Loop: Header=BB1872_71 Depth=2
	s_or_b64 exec, exec, s[62:63]
	s_and_saveexec_b64 s[62:63], s[48:49]
	s_cbranch_execz .LBB1872_165
.LBB1872_164:                           ;   in Loop: Header=BB1872_71 Depth=2
	ds_read_u16 v20, v50 offset:3584
	s_waitcnt lgkmcnt(0)
	v_cmp_ne_u16_e64 s[52:53], s68, v20
	v_cndmask_b32_e64 v20, v66, v20, s[52:53]
	v_lshrrev_b32_sdwa v20, s77, v20 dst_sel:DWORD dst_unused:UNUSED_PAD src0_sel:DWORD src1_sel:WORD_0
	v_and_b32_e32 v70, s78, v20
.LBB1872_165:                           ;   in Loop: Header=BB1872_71 Depth=2
	s_or_b64 exec, exec, s[62:63]
	v_lshlrev_b32_e32 v20, 3, v103
	s_barrier
	s_waitcnt vmcnt(0)
	ds_write_b64 v20, v[18:19] offset:1024
	v_lshlrev_b32_e32 v20, 3, v100
	ds_write_b64 v20, v[16:17] offset:1024
	v_lshlrev_b32_e32 v20, 3, v99
	;; [unrolled: 2-line block ×7, first 2 shown]
	ds_write_b64 v20, v[0:1] offset:1024
	s_waitcnt lgkmcnt(0)
	s_barrier
	s_and_saveexec_b64 s[52:53], vcc
	s_cbranch_execz .LBB1872_173
; %bb.166:                              ;   in Loop: Header=BB1872_71 Depth=2
	v_lshlrev_b32_e32 v20, 2, v80
	ds_read_b32 v20, v20
	v_add_u32_e32 v22, v49, v51
	ds_read_b64 v[22:23], v22 offset:1024
	v_mov_b32_e32 v21, v4
	v_mov_b32_e32 v93, s65
	s_waitcnt lgkmcnt(1)
	v_add_u32_e32 v20, v20, v2
	v_lshlrev_b64 v[20:21], 3, v[20:21]
	v_add_co_u32_e32 v20, vcc, s64, v20
	v_addc_co_u32_e32 v21, vcc, v93, v21, vcc
	s_waitcnt lgkmcnt(0)
	global_store_dwordx2 v[20:21], v[22:23], off
	s_or_b64 exec, exec, s[52:53]
	s_and_saveexec_b64 s[52:53], s[36:37]
	s_cbranch_execnz .LBB1872_174
.LBB1872_167:                           ;   in Loop: Header=BB1872_71 Depth=2
	s_or_b64 exec, exec, s[52:53]
	s_and_saveexec_b64 s[36:37], s[38:39]
	s_cbranch_execz .LBB1872_175
.LBB1872_168:                           ;   in Loop: Header=BB1872_71 Depth=2
	v_lshlrev_b32_e32 v20, 2, v76
	ds_read_b32 v22, v20
	v_add_u32_e32 v20, v50, v51
	ds_read_b64 v[20:21], v20 offset:4096
	v_mov_b32_e32 v23, v4
	v_mov_b32_e32 v93, s65
	s_waitcnt lgkmcnt(1)
	v_add_u32_e32 v22, v22, v25
	v_lshlrev_b64 v[22:23], 3, v[22:23]
	v_add_co_u32_e32 v22, vcc, s64, v22
	v_addc_co_u32_e32 v23, vcc, v93, v23, vcc
	s_waitcnt lgkmcnt(0)
	global_store_dwordx2 v[22:23], v[20:21], off
	s_or_b64 exec, exec, s[36:37]
	s_and_saveexec_b64 s[36:37], s[40:41]
	s_cbranch_execnz .LBB1872_176
.LBB1872_169:                           ;   in Loop: Header=BB1872_71 Depth=2
	s_or_b64 exec, exec, s[36:37]
	s_and_saveexec_b64 s[36:37], s[42:43]
	s_cbranch_execz .LBB1872_177
.LBB1872_170:                           ;   in Loop: Header=BB1872_71 Depth=2
	v_lshlrev_b32_e32 v20, 2, v73
	ds_read_b32 v22, v20
	v_add_u32_e32 v20, v50, v51
	ds_read_b64 v[20:21], v20 offset:8192
	v_mov_b32_e32 v23, v4
	v_mov_b32_e32 v93, s65
	s_waitcnt lgkmcnt(1)
	v_add_u32_e32 v22, v22, v29
	v_lshlrev_b64 v[22:23], 3, v[22:23]
	v_add_co_u32_e32 v22, vcc, s64, v22
	v_addc_co_u32_e32 v23, vcc, v93, v23, vcc
	s_waitcnt lgkmcnt(0)
	global_store_dwordx2 v[22:23], v[20:21], off
	s_or_b64 exec, exec, s[36:37]
	s_and_saveexec_b64 s[36:37], s[44:45]
	s_cbranch_execnz .LBB1872_178
.LBB1872_171:                           ;   in Loop: Header=BB1872_71 Depth=2
	s_or_b64 exec, exec, s[36:37]
	s_and_saveexec_b64 s[36:37], s[46:47]
	s_cbranch_execz .LBB1872_179
.LBB1872_172:                           ;   in Loop: Header=BB1872_71 Depth=2
	v_lshlrev_b32_e32 v20, 2, v71
	ds_read_b32 v22, v20
	v_add_u32_e32 v20, v50, v51
	ds_read_b64 v[20:21], v20 offset:12288
	v_mov_b32_e32 v23, v4
	v_mov_b32_e32 v93, s65
	s_waitcnt lgkmcnt(1)
	v_add_u32_e32 v22, v22, v31
	v_lshlrev_b64 v[22:23], 3, v[22:23]
	v_add_co_u32_e32 v22, vcc, s64, v22
	v_addc_co_u32_e32 v23, vcc, v93, v23, vcc
	s_waitcnt lgkmcnt(0)
	global_store_dwordx2 v[22:23], v[20:21], off
	s_or_b64 exec, exec, s[36:37]
	s_and_saveexec_b64 s[36:37], s[48:49]
	s_cbranch_execnz .LBB1872_180
	s_branch .LBB1872_181
.LBB1872_173:                           ;   in Loop: Header=BB1872_71 Depth=2
	s_or_b64 exec, exec, s[52:53]
	s_and_saveexec_b64 s[52:53], s[36:37]
	s_cbranch_execz .LBB1872_167
.LBB1872_174:                           ;   in Loop: Header=BB1872_71 Depth=2
	v_lshlrev_b32_e32 v20, 2, v78
	ds_read_b32 v22, v20
	v_add_u32_e32 v20, v50, v51
	ds_read_b64 v[20:21], v20 offset:2048
	v_mov_b32_e32 v23, v4
	v_mov_b32_e32 v93, s65
	s_waitcnt lgkmcnt(1)
	v_add_u32_e32 v22, v22, v24
	v_lshlrev_b64 v[22:23], 3, v[22:23]
	v_add_co_u32_e32 v22, vcc, s64, v22
	v_addc_co_u32_e32 v23, vcc, v93, v23, vcc
	s_waitcnt lgkmcnt(0)
	global_store_dwordx2 v[22:23], v[20:21], off
	s_or_b64 exec, exec, s[52:53]
	s_and_saveexec_b64 s[36:37], s[38:39]
	s_cbranch_execnz .LBB1872_168
.LBB1872_175:                           ;   in Loop: Header=BB1872_71 Depth=2
	s_or_b64 exec, exec, s[36:37]
	s_and_saveexec_b64 s[36:37], s[40:41]
	s_cbranch_execz .LBB1872_169
.LBB1872_176:                           ;   in Loop: Header=BB1872_71 Depth=2
	v_lshlrev_b32_e32 v20, 2, v75
	ds_read_b32 v22, v20
	v_add_u32_e32 v20, v50, v51
	ds_read_b64 v[20:21], v20 offset:6144
	v_mov_b32_e32 v23, v4
	v_mov_b32_e32 v93, s65
	s_waitcnt lgkmcnt(1)
	v_add_u32_e32 v22, v22, v26
	v_lshlrev_b64 v[22:23], 3, v[22:23]
	v_add_co_u32_e32 v22, vcc, s64, v22
	v_addc_co_u32_e32 v23, vcc, v93, v23, vcc
	s_waitcnt lgkmcnt(0)
	global_store_dwordx2 v[22:23], v[20:21], off
	s_or_b64 exec, exec, s[36:37]
	s_and_saveexec_b64 s[36:37], s[42:43]
	s_cbranch_execnz .LBB1872_170
.LBB1872_177:                           ;   in Loop: Header=BB1872_71 Depth=2
	s_or_b64 exec, exec, s[36:37]
	s_and_saveexec_b64 s[36:37], s[44:45]
	s_cbranch_execz .LBB1872_171
.LBB1872_178:                           ;   in Loop: Header=BB1872_71 Depth=2
	v_lshlrev_b32_e32 v20, 2, v72
	ds_read_b32 v22, v20
	v_add_u32_e32 v20, v50, v51
	ds_read_b64 v[20:21], v20 offset:10240
	v_mov_b32_e32 v23, v4
	v_mov_b32_e32 v93, s65
	s_waitcnt lgkmcnt(1)
	v_add_u32_e32 v22, v22, v30
	v_lshlrev_b64 v[22:23], 3, v[22:23]
	v_add_co_u32_e32 v22, vcc, s64, v22
	v_addc_co_u32_e32 v23, vcc, v93, v23, vcc
	s_waitcnt lgkmcnt(0)
	global_store_dwordx2 v[22:23], v[20:21], off
	s_or_b64 exec, exec, s[36:37]
	s_and_saveexec_b64 s[36:37], s[46:47]
	s_cbranch_execnz .LBB1872_172
.LBB1872_179:                           ;   in Loop: Header=BB1872_71 Depth=2
	s_or_b64 exec, exec, s[36:37]
	s_and_saveexec_b64 s[36:37], s[48:49]
	s_cbranch_execz .LBB1872_181
.LBB1872_180:                           ;   in Loop: Header=BB1872_71 Depth=2
	v_lshlrev_b32_e32 v20, 2, v70
	ds_read_b32 v22, v20
	v_add_u32_e32 v20, v50, v51
	ds_read_b64 v[20:21], v20 offset:14336
	v_mov_b32_e32 v23, v4
	v_mov_b32_e32 v93, s65
	s_waitcnt lgkmcnt(1)
	v_add_u32_e32 v22, v22, v32
	v_lshlrev_b64 v[22:23], 3, v[22:23]
	v_add_co_u32_e32 v22, vcc, s64, v22
	v_addc_co_u32_e32 v23, vcc, v93, v23, vcc
	s_waitcnt lgkmcnt(0)
	global_store_dwordx2 v[22:23], v[20:21], off
.LBB1872_181:                           ;   in Loop: Header=BB1872_71 Depth=2
	s_or_b64 exec, exec, s[36:37]
	s_barrier
	s_and_saveexec_b64 s[36:37], s[4:5]
	s_cbranch_execz .LBB1872_70
; %bb.182:                              ;   in Loop: Header=BB1872_71 Depth=2
	ds_read_b32 v20, v3
	s_waitcnt lgkmcnt(0)
	v_add_u32_e32 v5, v20, v5
	ds_write_b32 v3, v5
	s_branch .LBB1872_70
.LBB1872_183:                           ;   in Loop: Header=BB1872_17 Depth=1
	s_waitcnt lgkmcnt(0)
	s_barrier
	s_mov_b64 s[16:17], 0
.LBB1872_184:                           ;   in Loop: Header=BB1872_17 Depth=1
	s_and_b64 vcc, exec, s[16:17]
	s_cbranch_vccz .LBB1872_350
; %bb.185:                              ;   in Loop: Header=BB1872_17 Depth=1
	s_mov_b32 s22, s71
	s_mov_b32 s72, s51
	s_barrier
	s_waitcnt lgkmcnt(0)
                                        ; implicit-def: $vgpr12
                                        ; implicit-def: $vgpr5
                                        ; implicit-def: $vgpr6
                                        ; implicit-def: $vgpr7
                                        ; implicit-def: $vgpr8
                                        ; implicit-def: $vgpr9
                                        ; implicit-def: $vgpr10
                                        ; implicit-def: $vgpr11
	s_branch .LBB1872_187
.LBB1872_186:                           ;   in Loop: Header=BB1872_187 Depth=2
	s_or_b64 exec, exec, s[16:17]
	s_addk_i32 s22, 0xf800
	s_cmp_ge_u32 s23, s76
	s_mov_b32 s72, s23
	s_cbranch_scc1 .LBB1872_225
.LBB1872_187:                           ;   Parent Loop BB1872_17 Depth=1
                                        ; =>  This Inner Loop Header: Depth=2
	s_add_i32 s23, s72, 0x800
	s_cmp_gt_u32 s23, s76
	s_cbranch_scc1 .LBB1872_190
; %bb.188:                              ;   in Loop: Header=BB1872_187 Depth=2
	s_lshl_b64 s[16:17], s[72:73], 1
	v_mov_b32_e32 v1, s17
	v_add_co_u32_e32 v0, vcc, s16, v52
	v_addc_co_u32_e32 v1, vcc, v53, v1, vcc
	global_load_ushort v14, v[0:1], off
	global_load_ushort v15, v[0:1], off offset:512
	global_load_ushort v16, v[0:1], off offset:1024
	;; [unrolled: 1-line block ×6, first 2 shown]
	v_add_co_u32_e32 v0, vcc, 0xe00, v0
	v_addc_co_u32_e32 v1, vcc, 0, v1, vcc
	s_mov_b64 s[16:17], -1
	s_movk_i32 s24, 0x800
	s_cbranch_execz .LBB1872_191
; %bb.189:                              ;   in Loop: Header=BB1872_187 Depth=2
                                        ; implicit-def: $vgpr11
                                        ; implicit-def: $vgpr10
                                        ; implicit-def: $vgpr9
                                        ; implicit-def: $vgpr8
                                        ; implicit-def: $vgpr7
                                        ; implicit-def: $vgpr6
                                        ; implicit-def: $vgpr5
                                        ; implicit-def: $vgpr12
	v_mov_b32_e32 v13, s22
	s_and_saveexec_b64 s[18:19], s[16:17]
	s_cbranch_execnz .LBB1872_202
	s_branch .LBB1872_203
.LBB1872_190:                           ;   in Loop: Header=BB1872_187 Depth=2
	s_mov_b64 s[16:17], 0
                                        ; implicit-def: $sgpr24
                                        ; implicit-def: $vgpr14
                                        ; implicit-def: $vgpr15
                                        ; implicit-def: $vgpr16
                                        ; implicit-def: $vgpr17
                                        ; implicit-def: $vgpr18
                                        ; implicit-def: $vgpr19
                                        ; implicit-def: $vgpr20
                                        ; implicit-def: $vgpr0_vgpr1
.LBB1872_191:                           ;   in Loop: Header=BB1872_187 Depth=2
	s_lshl_b64 s[18:19], s[72:73], 1
	s_add_u32 s18, s58, s18
	s_addc_u32 s19, s59, s19
	v_cmp_gt_u32_e32 vcc, s22, v2
	s_and_saveexec_b64 s[20:21], vcc
	s_cbranch_execz .LBB1872_219
; %bb.192:                              ;   in Loop: Header=BB1872_187 Depth=2
	global_load_ushort v11, v65, s[18:19]
	s_or_b64 exec, exec, s[20:21]
	v_cmp_gt_u32_e32 vcc, s22, v24
	s_and_saveexec_b64 s[20:21], vcc
	s_cbranch_execnz .LBB1872_220
.LBB1872_193:                           ;   in Loop: Header=BB1872_187 Depth=2
	s_or_b64 exec, exec, s[20:21]
	v_cmp_gt_u32_e32 vcc, s22, v25
	s_and_saveexec_b64 s[20:21], vcc
	s_cbranch_execz .LBB1872_221
.LBB1872_194:                           ;   in Loop: Header=BB1872_187 Depth=2
	global_load_ushort v9, v65, s[18:19] offset:1024
	s_or_b64 exec, exec, s[20:21]
	v_cmp_gt_u32_e32 vcc, s22, v26
	s_and_saveexec_b64 s[20:21], vcc
	s_cbranch_execnz .LBB1872_222
.LBB1872_195:                           ;   in Loop: Header=BB1872_187 Depth=2
	s_or_b64 exec, exec, s[20:21]
	v_cmp_gt_u32_e32 vcc, s22, v29
	s_and_saveexec_b64 s[20:21], vcc
	s_cbranch_execz .LBB1872_223
.LBB1872_196:                           ;   in Loop: Header=BB1872_187 Depth=2
	global_load_ushort v7, v65, s[18:19] offset:2048
	s_or_b64 exec, exec, s[20:21]
	v_cmp_gt_u32_e32 vcc, s22, v30
	s_and_saveexec_b64 s[20:21], vcc
	s_cbranch_execnz .LBB1872_224
.LBB1872_197:                           ;   in Loop: Header=BB1872_187 Depth=2
	s_or_b64 exec, exec, s[20:21]
	v_cmp_gt_u32_e32 vcc, s22, v31
	s_and_saveexec_b64 s[20:21], vcc
	s_cbranch_execz .LBB1872_199
.LBB1872_198:                           ;   in Loop: Header=BB1872_187 Depth=2
	global_load_ushort v5, v65, s[18:19] offset:3072
.LBB1872_199:                           ;   in Loop: Header=BB1872_187 Depth=2
	s_or_b64 exec, exec, s[20:21]
	v_cmp_gt_u32_e32 vcc, s22, v32
                                        ; implicit-def: $sgpr24
                                        ; implicit-def: $vgpr0_vgpr1
	s_and_saveexec_b64 s[20:21], vcc
	s_cbranch_execz .LBB1872_201
; %bb.200:                              ;   in Loop: Header=BB1872_187 Depth=2
	v_mov_b32_e32 v0, s19
	v_add_co_u32_e32 v1, vcc, s18, v65
	s_waitcnt vmcnt(0)
	v_addc_co_u32_e32 v12, vcc, 0, v0, vcc
	v_add_co_u32_e32 v0, vcc, 0xe00, v1
	s_sub_i32 s24, s76, s72
	v_addc_co_u32_e32 v1, vcc, 0, v12, vcc
	s_or_b64 s[16:17], s[16:17], exec
                                        ; implicit-def: $vgpr12
.LBB1872_201:                           ;   in Loop: Header=BB1872_187 Depth=2
	s_or_b64 exec, exec, s[20:21]
	s_waitcnt vmcnt(0)
	v_mov_b32_e32 v14, v11
	v_mov_b32_e32 v15, v10
	;; [unrolled: 1-line block ×8, first 2 shown]
	s_and_saveexec_b64 s[18:19], s[16:17]
	s_cbranch_execz .LBB1872_203
.LBB1872_202:                           ;   in Loop: Header=BB1872_187 Depth=2
	global_load_ushort v12, v[0:1], off
	v_mov_b32_e32 v13, s24
	s_waitcnt vmcnt(1)
	v_mov_b32_e32 v5, v20
	v_mov_b32_e32 v6, v19
	;; [unrolled: 1-line block ×7, first 2 shown]
.LBB1872_203:                           ;   in Loop: Header=BB1872_187 Depth=2
	s_or_b64 exec, exec, s[18:19]
	v_cmp_lt_u32_e32 vcc, v2, v13
	s_and_saveexec_b64 s[16:17], vcc
	s_cbranch_execz .LBB1872_211
; %bb.204:                              ;   in Loop: Header=BB1872_187 Depth=2
	v_cmp_lt_i16_e32 vcc, -1, v11
	v_cndmask_b32_e32 v0, -1, v66, vcc
	v_xor_b32_e32 v0, v0, v11
	v_cmp_ne_u16_e32 vcc, s68, v0
	v_cndmask_b32_e32 v0, v66, v0, vcc
	v_lshrrev_b32_sdwa v0, s77, v0 dst_sel:DWORD dst_unused:UNUSED_PAD src0_sel:DWORD src1_sel:WORD_0
	v_and_b32_e32 v0, s78, v0
	v_lshl_or_b32 v0, v0, 4, v67
	ds_add_u32 v0, v64
	s_or_b64 exec, exec, s[16:17]
	v_cmp_lt_u32_e32 vcc, v24, v13
	s_and_saveexec_b64 s[16:17], vcc
	s_cbranch_execnz .LBB1872_212
.LBB1872_205:                           ;   in Loop: Header=BB1872_187 Depth=2
	s_or_b64 exec, exec, s[16:17]
	v_cmp_lt_u32_e32 vcc, v25, v13
	s_and_saveexec_b64 s[16:17], vcc
	s_cbranch_execz .LBB1872_213
.LBB1872_206:                           ;   in Loop: Header=BB1872_187 Depth=2
	v_cmp_lt_i16_e32 vcc, -1, v9
	v_cndmask_b32_e32 v0, -1, v66, vcc
	v_xor_b32_e32 v0, v0, v9
	v_cmp_ne_u16_e32 vcc, s68, v0
	v_cndmask_b32_e32 v0, v66, v0, vcc
	v_lshrrev_b32_sdwa v0, s77, v0 dst_sel:DWORD dst_unused:UNUSED_PAD src0_sel:DWORD src1_sel:WORD_0
	v_and_b32_e32 v0, s78, v0
	v_lshl_or_b32 v0, v0, 4, v67
	ds_add_u32 v0, v64
	s_or_b64 exec, exec, s[16:17]
	v_cmp_lt_u32_e32 vcc, v26, v13
	s_and_saveexec_b64 s[16:17], vcc
	s_cbranch_execnz .LBB1872_214
.LBB1872_207:                           ;   in Loop: Header=BB1872_187 Depth=2
	s_or_b64 exec, exec, s[16:17]
	v_cmp_lt_u32_e32 vcc, v29, v13
	s_and_saveexec_b64 s[16:17], vcc
	s_cbranch_execz .LBB1872_215
.LBB1872_208:                           ;   in Loop: Header=BB1872_187 Depth=2
	v_cmp_lt_i16_e32 vcc, -1, v7
	v_cndmask_b32_e32 v0, -1, v66, vcc
	v_xor_b32_e32 v0, v0, v7
	v_cmp_ne_u16_e32 vcc, s68, v0
	v_cndmask_b32_e32 v0, v66, v0, vcc
	v_lshrrev_b32_sdwa v0, s77, v0 dst_sel:DWORD dst_unused:UNUSED_PAD src0_sel:DWORD src1_sel:WORD_0
	v_and_b32_e32 v0, s78, v0
	v_lshl_or_b32 v0, v0, 4, v67
	ds_add_u32 v0, v64
	s_or_b64 exec, exec, s[16:17]
	v_cmp_lt_u32_e32 vcc, v30, v13
	s_and_saveexec_b64 s[16:17], vcc
	s_cbranch_execnz .LBB1872_216
.LBB1872_209:                           ;   in Loop: Header=BB1872_187 Depth=2
	s_or_b64 exec, exec, s[16:17]
	v_cmp_lt_u32_e32 vcc, v31, v13
	s_and_saveexec_b64 s[16:17], vcc
	s_cbranch_execz .LBB1872_217
.LBB1872_210:                           ;   in Loop: Header=BB1872_187 Depth=2
	v_cmp_lt_i16_e32 vcc, -1, v5
	v_cndmask_b32_e32 v0, -1, v66, vcc
	v_xor_b32_e32 v0, v0, v5
	v_cmp_ne_u16_e32 vcc, s68, v0
	v_cndmask_b32_e32 v0, v66, v0, vcc
	v_lshrrev_b32_sdwa v0, s77, v0 dst_sel:DWORD dst_unused:UNUSED_PAD src0_sel:DWORD src1_sel:WORD_0
	v_and_b32_e32 v0, s78, v0
	v_lshl_or_b32 v0, v0, 4, v67
	ds_add_u32 v0, v64
	s_or_b64 exec, exec, s[16:17]
	v_cmp_lt_u32_e32 vcc, v32, v13
	s_and_saveexec_b64 s[16:17], vcc
	s_cbranch_execz .LBB1872_186
	s_branch .LBB1872_218
.LBB1872_211:                           ;   in Loop: Header=BB1872_187 Depth=2
	s_or_b64 exec, exec, s[16:17]
	v_cmp_lt_u32_e32 vcc, v24, v13
	s_and_saveexec_b64 s[16:17], vcc
	s_cbranch_execz .LBB1872_205
.LBB1872_212:                           ;   in Loop: Header=BB1872_187 Depth=2
	v_cmp_lt_i16_e32 vcc, -1, v10
	v_cndmask_b32_e32 v0, -1, v66, vcc
	v_xor_b32_e32 v0, v0, v10
	v_cmp_ne_u16_e32 vcc, s68, v0
	v_cndmask_b32_e32 v0, v66, v0, vcc
	v_lshrrev_b32_sdwa v0, s77, v0 dst_sel:DWORD dst_unused:UNUSED_PAD src0_sel:DWORD src1_sel:WORD_0
	v_and_b32_e32 v0, s78, v0
	v_lshl_or_b32 v0, v0, 4, v67
	ds_add_u32 v0, v64
	s_or_b64 exec, exec, s[16:17]
	v_cmp_lt_u32_e32 vcc, v25, v13
	s_and_saveexec_b64 s[16:17], vcc
	s_cbranch_execnz .LBB1872_206
.LBB1872_213:                           ;   in Loop: Header=BB1872_187 Depth=2
	s_or_b64 exec, exec, s[16:17]
	v_cmp_lt_u32_e32 vcc, v26, v13
	s_and_saveexec_b64 s[16:17], vcc
	s_cbranch_execz .LBB1872_207
.LBB1872_214:                           ;   in Loop: Header=BB1872_187 Depth=2
	v_cmp_lt_i16_e32 vcc, -1, v8
	v_cndmask_b32_e32 v0, -1, v66, vcc
	v_xor_b32_e32 v0, v0, v8
	v_cmp_ne_u16_e32 vcc, s68, v0
	v_cndmask_b32_e32 v0, v66, v0, vcc
	v_lshrrev_b32_sdwa v0, s77, v0 dst_sel:DWORD dst_unused:UNUSED_PAD src0_sel:DWORD src1_sel:WORD_0
	v_and_b32_e32 v0, s78, v0
	v_lshl_or_b32 v0, v0, 4, v67
	ds_add_u32 v0, v64
	s_or_b64 exec, exec, s[16:17]
	v_cmp_lt_u32_e32 vcc, v29, v13
	s_and_saveexec_b64 s[16:17], vcc
	s_cbranch_execnz .LBB1872_208
.LBB1872_215:                           ;   in Loop: Header=BB1872_187 Depth=2
	s_or_b64 exec, exec, s[16:17]
	v_cmp_lt_u32_e32 vcc, v30, v13
	s_and_saveexec_b64 s[16:17], vcc
	s_cbranch_execz .LBB1872_209
.LBB1872_216:                           ;   in Loop: Header=BB1872_187 Depth=2
	v_cmp_lt_i16_e32 vcc, -1, v6
	v_cndmask_b32_e32 v0, -1, v66, vcc
	v_xor_b32_e32 v0, v0, v6
	v_cmp_ne_u16_e32 vcc, s68, v0
	v_cndmask_b32_e32 v0, v66, v0, vcc
	v_lshrrev_b32_sdwa v0, s77, v0 dst_sel:DWORD dst_unused:UNUSED_PAD src0_sel:DWORD src1_sel:WORD_0
	v_and_b32_e32 v0, s78, v0
	v_lshl_or_b32 v0, v0, 4, v67
	ds_add_u32 v0, v64
	s_or_b64 exec, exec, s[16:17]
	v_cmp_lt_u32_e32 vcc, v31, v13
	s_and_saveexec_b64 s[16:17], vcc
	s_cbranch_execnz .LBB1872_210
.LBB1872_217:                           ;   in Loop: Header=BB1872_187 Depth=2
	s_or_b64 exec, exec, s[16:17]
	v_cmp_lt_u32_e32 vcc, v32, v13
	s_and_saveexec_b64 s[16:17], vcc
	s_cbranch_execz .LBB1872_186
.LBB1872_218:                           ;   in Loop: Header=BB1872_187 Depth=2
	s_waitcnt vmcnt(0)
	v_cmp_lt_i16_e32 vcc, -1, v12
	v_cndmask_b32_e32 v0, -1, v66, vcc
	v_xor_b32_e32 v0, v0, v12
	v_cmp_ne_u16_e32 vcc, s68, v0
	v_cndmask_b32_e32 v0, v66, v0, vcc
	v_lshrrev_b32_sdwa v0, s77, v0 dst_sel:DWORD dst_unused:UNUSED_PAD src0_sel:DWORD src1_sel:WORD_0
	v_and_b32_e32 v0, s78, v0
	v_lshl_or_b32 v0, v0, 4, v67
	ds_add_u32 v0, v64
	s_branch .LBB1872_186
.LBB1872_219:                           ;   in Loop: Header=BB1872_187 Depth=2
	s_or_b64 exec, exec, s[20:21]
	v_cmp_gt_u32_e32 vcc, s22, v24
	s_and_saveexec_b64 s[20:21], vcc
	s_cbranch_execz .LBB1872_193
.LBB1872_220:                           ;   in Loop: Header=BB1872_187 Depth=2
	global_load_ushort v10, v65, s[18:19] offset:512
	s_or_b64 exec, exec, s[20:21]
	v_cmp_gt_u32_e32 vcc, s22, v25
	s_and_saveexec_b64 s[20:21], vcc
	s_cbranch_execnz .LBB1872_194
.LBB1872_221:                           ;   in Loop: Header=BB1872_187 Depth=2
	s_or_b64 exec, exec, s[20:21]
	v_cmp_gt_u32_e32 vcc, s22, v26
	s_and_saveexec_b64 s[20:21], vcc
	s_cbranch_execz .LBB1872_195
.LBB1872_222:                           ;   in Loop: Header=BB1872_187 Depth=2
	global_load_ushort v8, v65, s[18:19] offset:1536
	s_or_b64 exec, exec, s[20:21]
	v_cmp_gt_u32_e32 vcc, s22, v29
	s_and_saveexec_b64 s[20:21], vcc
	s_cbranch_execnz .LBB1872_196
.LBB1872_223:                           ;   in Loop: Header=BB1872_187 Depth=2
	s_or_b64 exec, exec, s[20:21]
	v_cmp_gt_u32_e32 vcc, s22, v30
	s_and_saveexec_b64 s[20:21], vcc
	s_cbranch_execz .LBB1872_197
.LBB1872_224:                           ;   in Loop: Header=BB1872_187 Depth=2
	global_load_ushort v6, v65, s[18:19] offset:2560
	s_or_b64 exec, exec, s[20:21]
	v_cmp_gt_u32_e32 vcc, s22, v31
	s_and_saveexec_b64 s[20:21], vcc
	s_cbranch_execz .LBB1872_199
	s_branch .LBB1872_198
.LBB1872_225:                           ;   in Loop: Header=BB1872_17 Depth=1
	v_mov_b32_e32 v0, 0
	s_waitcnt lgkmcnt(0)
	s_barrier
	s_and_saveexec_b64 s[16:17], s[4:5]
	s_cbranch_execz .LBB1872_227
; %bb.226:                              ;   in Loop: Header=BB1872_17 Depth=1
	ds_read2_b64 v[6:9], v33 offset1:1
	s_waitcnt lgkmcnt(0)
	v_add_u32_e32 v0, v7, v6
	v_add3_u32 v0, v0, v8, v9
.LBB1872_227:                           ;   in Loop: Header=BB1872_17 Depth=1
	s_or_b64 exec, exec, s[16:17]
	v_and_b32_e32 v1, 15, v68
	v_mov_b32_dpp v5, v0 row_shr:1 row_mask:0xf bank_mask:0xf
	v_cmp_eq_u32_e64 s[16:17], 0, v1
	v_cndmask_b32_e64 v5, v5, 0, s[16:17]
	v_add_u32_e32 v0, v5, v0
	v_cmp_lt_u32_e64 s[18:19], 1, v1
	v_cmp_lt_u32_e64 s[20:21], 3, v1
	v_mov_b32_dpp v5, v0 row_shr:2 row_mask:0xf bank_mask:0xf
	v_cndmask_b32_e64 v5, 0, v5, s[18:19]
	v_add_u32_e32 v0, v0, v5
	v_cmp_lt_u32_e64 s[22:23], 7, v1
	v_cmp_lt_u32_e64 s[26:27], 31, v68
	v_mov_b32_dpp v5, v0 row_shr:4 row_mask:0xf bank_mask:0xf
	v_cndmask_b32_e64 v5, 0, v5, s[20:21]
	v_add_u32_e32 v0, v0, v5
	v_and_b32_e32 v6, 16, v68
	v_cmp_eq_u32_e64 s[24:25], 0, v6
	v_mov_b32_dpp v5, v0 row_shr:8 row_mask:0xf bank_mask:0xf
	v_cndmask_b32_e64 v1, 0, v5, s[22:23]
	v_add_u32_e32 v0, v0, v1
	v_bfe_i32 v5, v68, 4, 1
	s_nop 0
	v_mov_b32_dpp v1, v0 row_bcast:15 row_mask:0xf bank_mask:0xf
	v_and_b32_e32 v1, v5, v1
	v_add_u32_e32 v0, v0, v1
	s_nop 1
	v_mov_b32_dpp v1, v0 row_bcast:31 row_mask:0xf bank_mask:0xf
	v_cndmask_b32_e64 v1, 0, v1, s[26:27]
	v_add_u32_e32 v1, v0, v1
	s_and_saveexec_b64 s[28:29], s[6:7]
	s_cbranch_execz .LBB1872_229
; %bb.228:                              ;   in Loop: Header=BB1872_17 Depth=1
	ds_write_b32 v35, v1
.LBB1872_229:                           ;   in Loop: Header=BB1872_17 Depth=1
	s_or_b64 exec, exec, s[28:29]
	v_and_b32_e32 v0, 3, v68
	s_waitcnt lgkmcnt(0)
	s_barrier
	s_and_saveexec_b64 s[28:29], s[8:9]
	s_cbranch_execz .LBB1872_231
; %bb.230:                              ;   in Loop: Header=BB1872_17 Depth=1
	ds_read_b32 v5, v36
	v_cmp_ne_u32_e32 vcc, 0, v0
	s_waitcnt lgkmcnt(0)
	v_mov_b32_dpp v6, v5 row_shr:1 row_mask:0xf bank_mask:0xf
	v_cndmask_b32_e32 v6, 0, v6, vcc
	v_add_u32_e32 v5, v6, v5
	v_cmp_lt_u32_e32 vcc, 1, v0
	s_nop 0
	v_mov_b32_dpp v6, v5 row_shr:2 row_mask:0xf bank_mask:0xf
	v_cndmask_b32_e32 v6, 0, v6, vcc
	v_add_u32_e32 v5, v5, v6
	ds_write_b32 v36, v5
.LBB1872_231:                           ;   in Loop: Header=BB1872_17 Depth=1
	s_or_b64 exec, exec, s[28:29]
	v_mov_b32_e32 v5, 0
	s_waitcnt lgkmcnt(0)
	s_barrier
	s_and_saveexec_b64 s[28:29], s[10:11]
	s_cbranch_execz .LBB1872_233
; %bb.232:                              ;   in Loop: Header=BB1872_17 Depth=1
	ds_read_b32 v5, v37
.LBB1872_233:                           ;   in Loop: Header=BB1872_17 Depth=1
	s_or_b64 exec, exec, s[28:29]
	v_add_u32_e32 v6, -1, v68
	v_and_b32_e32 v7, 64, v68
	v_cmp_lt_i32_e32 vcc, v6, v7
	v_cndmask_b32_e32 v6, v6, v68, vcc
	s_waitcnt lgkmcnt(0)
	v_add_u32_e32 v1, v5, v1
	v_lshlrev_b32_e32 v69, 2, v6
	ds_bpermute_b32 v1, v69, v1
	v_cmp_eq_u32_e64 s[28:29], 0, v68
	s_waitcnt lgkmcnt(0)
	s_barrier
	s_and_saveexec_b64 s[30:31], s[4:5]
	s_cbranch_execz .LBB1872_235
; %bb.234:                              ;   in Loop: Header=BB1872_17 Depth=1
	v_cndmask_b32_e64 v1, v1, v5, s[28:29]
	v_add_u32_e32 v1, s51, v1
	ds_write_b32 v3, v1
.LBB1872_235:                           ;   in Loop: Header=BB1872_17 Depth=1
	s_or_b64 exec, exec, s[30:31]
	s_load_dwordx2 s[30:31], s[74:75], 0x0
	v_and_b32_e32 v21, 63, v68
	v_lshlrev_b32_e32 v22, 3, v21
	v_add_co_u32_e32 v77, vcc, v54, v22
	s_waitcnt lgkmcnt(0)
	s_cmp_lt_u32 s50, s30
	s_cselect_b32 s34, 12, 18
	s_cmp_lt_u32 s33, s31
	s_cselect_b32 s30, 14, 20
	s_add_u32 s30, s74, s30
	s_addc_u32 s31, s75, 0
	s_add_u32 s34, s74, s34
	global_load_ushort v5, v4, s[30:31]
	s_addc_u32 s35, s75, 0
	global_load_ushort v20, v4, s[34:35]
	v_or_b32_e32 v74, v21, v38
	v_lshlrev_b32_e32 v21, 1, v21
	v_addc_co_u32_e32 v79, vcc, 0, v55, vcc
	v_add_co_u32_e32 v88, vcc, v56, v21
	v_addc_co_u32_e32 v89, vcc, 0, v57, vcc
	v_add_co_u32_e32 v90, vcc, 0x380, v88
	v_cmp_eq_u32_e64 s[30:31], 0, v0
	v_cmp_lt_u32_e64 s[34:35], 1, v0
	s_mov_b32 s79, s71
	v_or_b32_e32 v81, 64, v74
	v_or_b32_e32 v82, 0x80, v74
	v_or_b32_e32 v83, 0xc0, v74
	v_or_b32_e32 v84, 0x100, v74
	v_or_b32_e32 v85, 0x140, v74
	v_or_b32_e32 v86, 0x180, v74
	v_or_b32_e32 v87, 0x1c0, v74
	v_addc_co_u32_e32 v91, vcc, 0, v89, vcc
	s_mov_b32 s72, s51
                                        ; implicit-def: $vgpr0_vgpr1
                                        ; implicit-def: $vgpr6_vgpr7
                                        ; implicit-def: $vgpr8_vgpr9
                                        ; implicit-def: $vgpr10_vgpr11
                                        ; implicit-def: $vgpr12_vgpr13
                                        ; implicit-def: $vgpr14_vgpr15
                                        ; implicit-def: $vgpr16_vgpr17
                                        ; implicit-def: $vgpr18_vgpr19
                                        ; implicit-def: $vgpr70
                                        ; implicit-def: $vgpr71
                                        ; implicit-def: $vgpr72
                                        ; implicit-def: $vgpr73
                                        ; implicit-def: $vgpr75
                                        ; implicit-def: $vgpr76
                                        ; implicit-def: $vgpr78
                                        ; implicit-def: $vgpr80
	s_waitcnt vmcnt(1)
	v_mad_u32_u24 v5, v39, v5, v40
	s_waitcnt vmcnt(0)
	v_mad_u64_u32 v[20:21], s[36:37], v5, v20, v[2:3]
	v_lshrrev_b32_e32 v92, 6, v20
	s_branch .LBB1872_237
.LBB1872_236:                           ;   in Loop: Header=BB1872_237 Depth=2
	s_or_b64 exec, exec, s[36:37]
	s_addk_i32 s79, 0xf800
	s_cmp_lt_u32 s80, s76
	s_mov_b32 s72, s80
	s_cbranch_scc0 .LBB1872_349
.LBB1872_237:                           ;   Parent Loop BB1872_17 Depth=1
                                        ; =>  This Inner Loop Header: Depth=2
	s_add_i32 s80, s72, 0x800
	s_cmp_gt_u32 s80, s76
	s_cbranch_scc1 .LBB1872_240
; %bb.238:                              ;   in Loop: Header=BB1872_237 Depth=2
	s_lshl_b64 s[36:37], s[72:73], 1
	v_mov_b32_e32 v5, s37
	v_add_co_u32_e32 v20, vcc, s36, v88
	v_addc_co_u32_e32 v21, vcc, v89, v5, vcc
	global_load_ushort v5, v[20:21], off
	global_load_ushort v97, v[20:21], off offset:128
	global_load_ushort v101, v[20:21], off offset:256
	;; [unrolled: 1-line block ×6, first 2 shown]
	s_mov_b64 s[36:37], -1
	s_movk_i32 s40, 0x800
	s_cbranch_execz .LBB1872_241
; %bb.239:                              ;   in Loop: Header=BB1872_237 Depth=2
                                        ; implicit-def: $sgpr38
	v_mov_b32_e32 v23, s38
	v_mov_b32_e32 v93, s79
	s_and_saveexec_b64 s[38:39], s[36:37]
	s_cbranch_execnz .LBB1872_256
	s_branch .LBB1872_257
.LBB1872_240:                           ;   in Loop: Header=BB1872_237 Depth=2
	s_mov_b64 s[36:37], 0
                                        ; implicit-def: $sgpr40
                                        ; implicit-def: $vgpr5
                                        ; implicit-def: $vgpr97
                                        ; implicit-def: $vgpr101
                                        ; implicit-def: $vgpr106
                                        ; implicit-def: $vgpr109
                                        ; implicit-def: $vgpr104
                                        ; implicit-def: $vgpr22
.LBB1872_241:                           ;   in Loop: Header=BB1872_237 Depth=2
	s_lshl_b64 s[36:37], s[72:73], 1
	s_waitcnt vmcnt(6)
	v_mov_b32_e32 v5, s37
	v_add_co_u32_e32 v20, vcc, s36, v88
	v_addc_co_u32_e32 v21, vcc, v89, v5, vcc
	v_cmp_gt_u32_e32 vcc, s79, v74
	s_waitcnt vmcnt(5)
	v_mov_b32_e32 v97, 0x7fff
	v_mov_b32_e32 v5, 0x7fff
	s_and_saveexec_b64 s[36:37], vcc
	s_cbranch_execz .LBB1872_243
; %bb.242:                              ;   in Loop: Header=BB1872_237 Depth=2
	global_load_ushort v5, v[20:21], off
.LBB1872_243:                           ;   in Loop: Header=BB1872_237 Depth=2
	s_or_b64 exec, exec, s[36:37]
	v_cmp_gt_u32_e32 vcc, s79, v81
	s_and_saveexec_b64 s[36:37], vcc
	s_cbranch_execz .LBB1872_245
; %bb.244:                              ;   in Loop: Header=BB1872_237 Depth=2
	global_load_ushort v97, v[20:21], off offset:128
.LBB1872_245:                           ;   in Loop: Header=BB1872_237 Depth=2
	s_or_b64 exec, exec, s[36:37]
	v_cmp_gt_u32_e32 vcc, s79, v82
	s_waitcnt vmcnt(3)
	v_mov_b32_e32 v106, 0x7fff
	v_mov_b32_e32 v101, 0x7fff
	s_and_saveexec_b64 s[36:37], vcc
	s_cbranch_execz .LBB1872_247
; %bb.246:                              ;   in Loop: Header=BB1872_237 Depth=2
	global_load_ushort v101, v[20:21], off offset:256
.LBB1872_247:                           ;   in Loop: Header=BB1872_237 Depth=2
	s_or_b64 exec, exec, s[36:37]
	v_cmp_gt_u32_e32 vcc, s79, v83
	s_and_saveexec_b64 s[36:37], vcc
	s_cbranch_execz .LBB1872_249
; %bb.248:                              ;   in Loop: Header=BB1872_237 Depth=2
	global_load_ushort v106, v[20:21], off offset:384
.LBB1872_249:                           ;   in Loop: Header=BB1872_237 Depth=2
	s_or_b64 exec, exec, s[36:37]
	v_cmp_gt_u32_e32 vcc, s79, v84
	s_waitcnt vmcnt(1)
	v_mov_b32_e32 v104, 0x7fff
	v_mov_b32_e32 v109, 0x7fff
	s_and_saveexec_b64 s[36:37], vcc
	s_cbranch_execz .LBB1872_251
; %bb.250:                              ;   in Loop: Header=BB1872_237 Depth=2
	global_load_ushort v109, v[20:21], off offset:512
.LBB1872_251:                           ;   in Loop: Header=BB1872_237 Depth=2
	s_or_b64 exec, exec, s[36:37]
	v_cmp_gt_u32_e32 vcc, s79, v85
	s_and_saveexec_b64 s[36:37], vcc
	s_cbranch_execz .LBB1872_253
; %bb.252:                              ;   in Loop: Header=BB1872_237 Depth=2
	global_load_ushort v104, v[20:21], off offset:640
.LBB1872_253:                           ;   in Loop: Header=BB1872_237 Depth=2
	s_or_b64 exec, exec, s[36:37]
	v_cmp_gt_u32_e32 vcc, s79, v86
	s_waitcnt vmcnt(0)
	v_mov_b32_e32 v22, 0x7fff
	s_and_saveexec_b64 s[36:37], vcc
	s_cbranch_execz .LBB1872_255
; %bb.254:                              ;   in Loop: Header=BB1872_237 Depth=2
	global_load_ushort v22, v[20:21], off offset:768
.LBB1872_255:                           ;   in Loop: Header=BB1872_237 Depth=2
	s_or_b64 exec, exec, s[36:37]
	s_sub_i32 s40, s76, s72
	v_cmp_gt_u32_e64 s[36:37], s79, v87
	s_movk_i32 s38, 0x7fff
	v_mov_b32_e32 v23, s38
	v_mov_b32_e32 v93, s79
	s_and_saveexec_b64 s[38:39], s[36:37]
	s_cbranch_execz .LBB1872_257
.LBB1872_256:                           ;   in Loop: Header=BB1872_237 Depth=2
	s_lshl_b64 s[36:37], s[72:73], 1
	v_mov_b32_e32 v21, s37
	v_add_co_u32_e32 v20, vcc, s36, v90
	v_addc_co_u32_e32 v21, vcc, v91, v21, vcc
	global_load_ushort v23, v[20:21], off
	v_mov_b32_e32 v93, s40
.LBB1872_257:                           ;   in Loop: Header=BB1872_237 Depth=2
	s_or_b64 exec, exec, s[38:39]
	s_waitcnt vmcnt(6)
	v_cmp_lt_i16_e32 vcc, -1, v5
	v_cndmask_b32_e32 v20, -1, v66, vcc
	v_xor_b32_e32 v94, v20, v5
	v_add_u32_e32 v5, 0x410, v41
	v_cmp_ne_u16_e32 vcc, s68, v94
	ds_write2_b32 v5, v4, v4 offset1:1
	ds_write2_b32 v43, v4, v4 offset0:2 offset1:3
	ds_write_b32 v43, v4 offset:16
	v_cndmask_b32_e32 v5, v66, v94, vcc
	v_lshrrev_b32_sdwa v5, s77, v5 dst_sel:DWORD dst_unused:UNUSED_PAD src0_sel:DWORD src1_sel:WORD_0
	v_and_b32_e32 v20, s78, v5
	v_mad_u32_u24 v5, v20, 5, v92
	v_lshl_add_u32 v95, v5, 2, v42
	v_and_b32_e32 v5, 1, v20
	v_add_co_u32_e32 v21, vcc, -1, v5
	v_addc_co_u32_e64 v96, s[36:37], 0, -1, vcc
	v_cmp_ne_u32_e32 vcc, 0, v5
	v_xor_b32_e32 v5, vcc_hi, v96
	v_and_b32_e32 v96, exec_hi, v5
	v_lshlrev_b32_e32 v5, 30, v20
	v_xor_b32_e32 v21, vcc_lo, v21
	v_cmp_gt_i64_e32 vcc, 0, v[4:5]
	v_not_b32_e32 v5, v5
	v_ashrrev_i32_e32 v5, 31, v5
	v_and_b32_e32 v21, exec_lo, v21
	v_xor_b32_e32 v98, vcc_hi, v5
	v_xor_b32_e32 v5, vcc_lo, v5
	v_and_b32_e32 v21, v21, v5
	v_lshlrev_b32_e32 v5, 29, v20
	v_cmp_gt_i64_e32 vcc, 0, v[4:5]
	v_not_b32_e32 v5, v5
	v_ashrrev_i32_e32 v5, 31, v5
	v_and_b32_e32 v96, v96, v98
	v_xor_b32_e32 v98, vcc_hi, v5
	v_xor_b32_e32 v5, vcc_lo, v5
	v_and_b32_e32 v21, v21, v5
	v_lshlrev_b32_e32 v5, 28, v20
	v_cmp_gt_i64_e32 vcc, 0, v[4:5]
	v_not_b32_e32 v5, v5
	v_ashrrev_i32_e32 v5, 31, v5
	v_and_b32_e32 v96, v96, v98
	v_xor_b32_e32 v98, vcc_hi, v5
	v_xor_b32_e32 v5, vcc_lo, v5
	v_and_b32_e32 v21, v21, v5
	v_lshlrev_b32_e32 v5, 27, v20
	v_cmp_gt_i64_e32 vcc, 0, v[4:5]
	v_not_b32_e32 v5, v5
	v_ashrrev_i32_e32 v5, 31, v5
	v_and_b32_e32 v96, v96, v98
	v_xor_b32_e32 v98, vcc_hi, v5
	v_xor_b32_e32 v5, vcc_lo, v5
	v_and_b32_e32 v21, v21, v5
	v_lshlrev_b32_e32 v5, 26, v20
	v_cmp_gt_i64_e32 vcc, 0, v[4:5]
	v_not_b32_e32 v5, v5
	v_ashrrev_i32_e32 v5, 31, v5
	v_and_b32_e32 v96, v96, v98
	v_xor_b32_e32 v98, vcc_hi, v5
	v_xor_b32_e32 v5, vcc_lo, v5
	v_and_b32_e32 v21, v21, v5
	v_lshlrev_b32_e32 v5, 25, v20
	v_cmp_gt_i64_e32 vcc, 0, v[4:5]
	v_not_b32_e32 v5, v5
	v_ashrrev_i32_e32 v5, 31, v5
	v_and_b32_e32 v96, v96, v98
	v_xor_b32_e32 v98, vcc_hi, v5
	v_xor_b32_e32 v5, vcc_lo, v5
	v_and_b32_e32 v96, v96, v98
	v_and_b32_e32 v98, v21, v5
	v_lshlrev_b32_e32 v5, 24, v20
	v_cmp_gt_i64_e32 vcc, 0, v[4:5]
	v_not_b32_e32 v5, v5
	v_ashrrev_i32_e32 v5, 31, v5
	v_xor_b32_e32 v20, vcc_hi, v5
	v_xor_b32_e32 v5, vcc_lo, v5
	v_and_b32_e32 v21, v96, v20
	v_and_b32_e32 v20, v98, v5
	v_mbcnt_lo_u32_b32 v5, v20, 0
	v_mbcnt_hi_u32_b32 v96, v21, v5
	v_cmp_eq_u32_e32 vcc, 0, v96
	v_cmp_ne_u64_e64 s[36:37], 0, v[20:21]
	s_and_b64 s[38:39], s[36:37], vcc
	s_waitcnt lgkmcnt(0)
	s_barrier
	s_waitcnt lgkmcnt(0)
	; wave barrier
	s_and_saveexec_b64 s[36:37], s[38:39]
	s_cbranch_execz .LBB1872_259
; %bb.258:                              ;   in Loop: Header=BB1872_237 Depth=2
	v_bcnt_u32_b32 v5, v20, 0
	v_bcnt_u32_b32 v5, v21, v5
	ds_write_b32 v95, v5
.LBB1872_259:                           ;   in Loop: Header=BB1872_237 Depth=2
	s_or_b64 exec, exec, s[36:37]
	s_waitcnt vmcnt(5)
	v_cmp_lt_i16_e32 vcc, -1, v97
	v_cndmask_b32_e32 v5, -1, v66, vcc
	v_xor_b32_e32 v97, v5, v97
	v_cmp_ne_u16_e32 vcc, s68, v97
	v_cndmask_b32_e32 v5, v66, v97, vcc
	v_lshrrev_b32_sdwa v5, s77, v5 dst_sel:DWORD dst_unused:UNUSED_PAD src0_sel:DWORD src1_sel:WORD_0
	v_and_b32_e32 v20, s78, v5
	v_mul_u32_u24_e32 v5, 5, v20
	v_add_lshl_u32 v5, v5, v92, 2
	; wave barrier
	v_add_u32_e32 v99, 0x410, v5
	ds_read_b32 v98, v5 offset:1040
	v_and_b32_e32 v5, 1, v20
	v_add_co_u32_e32 v21, vcc, -1, v5
	v_addc_co_u32_e64 v100, s[36:37], 0, -1, vcc
	v_cmp_ne_u32_e32 vcc, 0, v5
	v_xor_b32_e32 v5, vcc_hi, v100
	v_and_b32_e32 v100, exec_hi, v5
	v_lshlrev_b32_e32 v5, 30, v20
	v_xor_b32_e32 v21, vcc_lo, v21
	v_cmp_gt_i64_e32 vcc, 0, v[4:5]
	v_not_b32_e32 v5, v5
	v_ashrrev_i32_e32 v5, 31, v5
	v_and_b32_e32 v21, exec_lo, v21
	v_xor_b32_e32 v102, vcc_hi, v5
	v_xor_b32_e32 v5, vcc_lo, v5
	v_and_b32_e32 v21, v21, v5
	v_lshlrev_b32_e32 v5, 29, v20
	v_cmp_gt_i64_e32 vcc, 0, v[4:5]
	v_not_b32_e32 v5, v5
	v_ashrrev_i32_e32 v5, 31, v5
	v_and_b32_e32 v100, v100, v102
	v_xor_b32_e32 v102, vcc_hi, v5
	v_xor_b32_e32 v5, vcc_lo, v5
	v_and_b32_e32 v21, v21, v5
	v_lshlrev_b32_e32 v5, 28, v20
	v_cmp_gt_i64_e32 vcc, 0, v[4:5]
	v_not_b32_e32 v5, v5
	v_ashrrev_i32_e32 v5, 31, v5
	v_and_b32_e32 v100, v100, v102
	;; [unrolled: 8-line block ×5, first 2 shown]
	v_xor_b32_e32 v102, vcc_hi, v5
	v_xor_b32_e32 v5, vcc_lo, v5
	v_and_b32_e32 v100, v100, v102
	v_and_b32_e32 v102, v21, v5
	v_lshlrev_b32_e32 v5, 24, v20
	v_cmp_gt_i64_e32 vcc, 0, v[4:5]
	v_not_b32_e32 v5, v5
	v_ashrrev_i32_e32 v5, 31, v5
	v_xor_b32_e32 v20, vcc_hi, v5
	v_xor_b32_e32 v5, vcc_lo, v5
	v_and_b32_e32 v21, v100, v20
	v_and_b32_e32 v20, v102, v5
	v_mbcnt_lo_u32_b32 v5, v20, 0
	v_mbcnt_hi_u32_b32 v100, v21, v5
	v_cmp_eq_u32_e32 vcc, 0, v100
	v_cmp_ne_u64_e64 s[36:37], 0, v[20:21]
	s_and_b64 s[38:39], s[36:37], vcc
	; wave barrier
	s_and_saveexec_b64 s[36:37], s[38:39]
	s_cbranch_execz .LBB1872_261
; %bb.260:                              ;   in Loop: Header=BB1872_237 Depth=2
	v_bcnt_u32_b32 v5, v20, 0
	v_bcnt_u32_b32 v5, v21, v5
	s_waitcnt lgkmcnt(0)
	v_add_u32_e32 v5, v98, v5
	ds_write_b32 v99, v5
.LBB1872_261:                           ;   in Loop: Header=BB1872_237 Depth=2
	s_or_b64 exec, exec, s[36:37]
	s_waitcnt vmcnt(4)
	v_cmp_lt_i16_e32 vcc, -1, v101
	v_cndmask_b32_e32 v5, -1, v66, vcc
	v_xor_b32_e32 v101, v5, v101
	v_cmp_ne_u16_e32 vcc, s68, v101
	v_cndmask_b32_e32 v5, v66, v101, vcc
	v_lshrrev_b32_sdwa v5, s77, v5 dst_sel:DWORD dst_unused:UNUSED_PAD src0_sel:DWORD src1_sel:WORD_0
	v_and_b32_e32 v20, s78, v5
	v_mul_u32_u24_e32 v5, 5, v20
	v_add_lshl_u32 v5, v5, v92, 2
	; wave barrier
	v_add_u32_e32 v103, 0x410, v5
	ds_read_b32 v102, v5 offset:1040
	v_and_b32_e32 v5, 1, v20
	v_add_co_u32_e32 v21, vcc, -1, v5
	v_addc_co_u32_e64 v105, s[36:37], 0, -1, vcc
	v_cmp_ne_u32_e32 vcc, 0, v5
	v_xor_b32_e32 v5, vcc_hi, v105
	v_and_b32_e32 v105, exec_hi, v5
	v_lshlrev_b32_e32 v5, 30, v20
	v_xor_b32_e32 v21, vcc_lo, v21
	v_cmp_gt_i64_e32 vcc, 0, v[4:5]
	v_not_b32_e32 v5, v5
	v_ashrrev_i32_e32 v5, 31, v5
	v_and_b32_e32 v21, exec_lo, v21
	v_xor_b32_e32 v107, vcc_hi, v5
	v_xor_b32_e32 v5, vcc_lo, v5
	v_and_b32_e32 v21, v21, v5
	v_lshlrev_b32_e32 v5, 29, v20
	v_cmp_gt_i64_e32 vcc, 0, v[4:5]
	v_not_b32_e32 v5, v5
	v_ashrrev_i32_e32 v5, 31, v5
	v_and_b32_e32 v105, v105, v107
	v_xor_b32_e32 v107, vcc_hi, v5
	v_xor_b32_e32 v5, vcc_lo, v5
	v_and_b32_e32 v21, v21, v5
	v_lshlrev_b32_e32 v5, 28, v20
	v_cmp_gt_i64_e32 vcc, 0, v[4:5]
	v_not_b32_e32 v5, v5
	v_ashrrev_i32_e32 v5, 31, v5
	v_and_b32_e32 v105, v105, v107
	;; [unrolled: 8-line block ×5, first 2 shown]
	v_xor_b32_e32 v107, vcc_hi, v5
	v_xor_b32_e32 v5, vcc_lo, v5
	v_and_b32_e32 v105, v105, v107
	v_and_b32_e32 v107, v21, v5
	v_lshlrev_b32_e32 v5, 24, v20
	v_cmp_gt_i64_e32 vcc, 0, v[4:5]
	v_not_b32_e32 v5, v5
	v_ashrrev_i32_e32 v5, 31, v5
	v_xor_b32_e32 v20, vcc_hi, v5
	v_xor_b32_e32 v5, vcc_lo, v5
	v_and_b32_e32 v21, v105, v20
	v_and_b32_e32 v20, v107, v5
	v_mbcnt_lo_u32_b32 v5, v20, 0
	v_mbcnt_hi_u32_b32 v105, v21, v5
	v_cmp_eq_u32_e32 vcc, 0, v105
	v_cmp_ne_u64_e64 s[36:37], 0, v[20:21]
	s_and_b64 s[38:39], s[36:37], vcc
	; wave barrier
	s_and_saveexec_b64 s[36:37], s[38:39]
	s_cbranch_execz .LBB1872_263
; %bb.262:                              ;   in Loop: Header=BB1872_237 Depth=2
	v_bcnt_u32_b32 v5, v20, 0
	v_bcnt_u32_b32 v5, v21, v5
	s_waitcnt lgkmcnt(0)
	v_add_u32_e32 v5, v102, v5
	ds_write_b32 v103, v5
.LBB1872_263:                           ;   in Loop: Header=BB1872_237 Depth=2
	s_or_b64 exec, exec, s[36:37]
	s_waitcnt vmcnt(3)
	v_cmp_lt_i16_e32 vcc, -1, v106
	v_cndmask_b32_e32 v5, -1, v66, vcc
	v_xor_b32_e32 v106, v5, v106
	v_cmp_ne_u16_e32 vcc, s68, v106
	v_cndmask_b32_e32 v5, v66, v106, vcc
	v_lshrrev_b32_sdwa v5, s77, v5 dst_sel:DWORD dst_unused:UNUSED_PAD src0_sel:DWORD src1_sel:WORD_0
	v_and_b32_e32 v20, s78, v5
	v_mul_u32_u24_e32 v5, 5, v20
	v_add_lshl_u32 v5, v5, v92, 2
	; wave barrier
	v_add_u32_e32 v108, 0x410, v5
	ds_read_b32 v107, v5 offset:1040
	v_and_b32_e32 v5, 1, v20
	v_add_co_u32_e32 v21, vcc, -1, v5
	v_addc_co_u32_e64 v110, s[36:37], 0, -1, vcc
	v_cmp_ne_u32_e32 vcc, 0, v5
	v_xor_b32_e32 v5, vcc_hi, v110
	v_and_b32_e32 v110, exec_hi, v5
	v_lshlrev_b32_e32 v5, 30, v20
	v_xor_b32_e32 v21, vcc_lo, v21
	v_cmp_gt_i64_e32 vcc, 0, v[4:5]
	v_not_b32_e32 v5, v5
	v_ashrrev_i32_e32 v5, 31, v5
	v_and_b32_e32 v21, exec_lo, v21
	v_xor_b32_e32 v111, vcc_hi, v5
	v_xor_b32_e32 v5, vcc_lo, v5
	v_and_b32_e32 v21, v21, v5
	v_lshlrev_b32_e32 v5, 29, v20
	v_cmp_gt_i64_e32 vcc, 0, v[4:5]
	v_not_b32_e32 v5, v5
	v_ashrrev_i32_e32 v5, 31, v5
	v_and_b32_e32 v110, v110, v111
	v_xor_b32_e32 v111, vcc_hi, v5
	v_xor_b32_e32 v5, vcc_lo, v5
	v_and_b32_e32 v21, v21, v5
	v_lshlrev_b32_e32 v5, 28, v20
	v_cmp_gt_i64_e32 vcc, 0, v[4:5]
	v_not_b32_e32 v5, v5
	v_ashrrev_i32_e32 v5, 31, v5
	v_and_b32_e32 v110, v110, v111
	v_xor_b32_e32 v111, vcc_hi, v5
	v_xor_b32_e32 v5, vcc_lo, v5
	v_and_b32_e32 v21, v21, v5
	v_lshlrev_b32_e32 v5, 27, v20
	v_cmp_gt_i64_e32 vcc, 0, v[4:5]
	v_not_b32_e32 v5, v5
	v_ashrrev_i32_e32 v5, 31, v5
	v_and_b32_e32 v110, v110, v111
	v_xor_b32_e32 v111, vcc_hi, v5
	v_xor_b32_e32 v5, vcc_lo, v5
	v_and_b32_e32 v21, v21, v5
	v_lshlrev_b32_e32 v5, 26, v20
	v_cmp_gt_i64_e32 vcc, 0, v[4:5]
	v_not_b32_e32 v5, v5
	v_ashrrev_i32_e32 v5, 31, v5
	v_and_b32_e32 v110, v110, v111
	v_xor_b32_e32 v111, vcc_hi, v5
	v_xor_b32_e32 v5, vcc_lo, v5
	v_and_b32_e32 v21, v21, v5
	v_lshlrev_b32_e32 v5, 25, v20
	v_cmp_gt_i64_e32 vcc, 0, v[4:5]
	v_not_b32_e32 v5, v5
	v_ashrrev_i32_e32 v5, 31, v5
	v_and_b32_e32 v110, v110, v111
	v_xor_b32_e32 v111, vcc_hi, v5
	v_xor_b32_e32 v5, vcc_lo, v5
	v_and_b32_e32 v110, v110, v111
	v_and_b32_e32 v111, v21, v5
	v_lshlrev_b32_e32 v5, 24, v20
	v_cmp_gt_i64_e32 vcc, 0, v[4:5]
	v_not_b32_e32 v5, v5
	v_ashrrev_i32_e32 v5, 31, v5
	v_xor_b32_e32 v20, vcc_hi, v5
	v_xor_b32_e32 v5, vcc_lo, v5
	v_and_b32_e32 v21, v110, v20
	v_and_b32_e32 v20, v111, v5
	v_mbcnt_lo_u32_b32 v5, v20, 0
	v_mbcnt_hi_u32_b32 v110, v21, v5
	v_cmp_eq_u32_e32 vcc, 0, v110
	v_cmp_ne_u64_e64 s[36:37], 0, v[20:21]
	s_and_b64 s[38:39], s[36:37], vcc
	; wave barrier
	s_and_saveexec_b64 s[36:37], s[38:39]
	s_cbranch_execz .LBB1872_265
; %bb.264:                              ;   in Loop: Header=BB1872_237 Depth=2
	v_bcnt_u32_b32 v5, v20, 0
	v_bcnt_u32_b32 v5, v21, v5
	s_waitcnt lgkmcnt(0)
	v_add_u32_e32 v5, v107, v5
	ds_write_b32 v108, v5
.LBB1872_265:                           ;   in Loop: Header=BB1872_237 Depth=2
	s_or_b64 exec, exec, s[36:37]
	s_waitcnt vmcnt(2)
	v_cmp_lt_i16_e32 vcc, -1, v109
	v_cndmask_b32_e32 v5, -1, v66, vcc
	v_xor_b32_e32 v109, v5, v109
	v_cmp_ne_u16_e32 vcc, s68, v109
	v_cndmask_b32_e32 v5, v66, v109, vcc
	v_lshrrev_b32_sdwa v5, s77, v5 dst_sel:DWORD dst_unused:UNUSED_PAD src0_sel:DWORD src1_sel:WORD_0
	v_and_b32_e32 v20, s78, v5
	v_mul_u32_u24_e32 v5, 5, v20
	v_add_lshl_u32 v5, v5, v92, 2
	; wave barrier
	v_add_u32_e32 v112, 0x410, v5
	ds_read_b32 v111, v5 offset:1040
	v_and_b32_e32 v5, 1, v20
	v_add_co_u32_e32 v21, vcc, -1, v5
	v_addc_co_u32_e64 v113, s[36:37], 0, -1, vcc
	v_cmp_ne_u32_e32 vcc, 0, v5
	v_xor_b32_e32 v5, vcc_hi, v113
	v_and_b32_e32 v113, exec_hi, v5
	v_lshlrev_b32_e32 v5, 30, v20
	v_xor_b32_e32 v21, vcc_lo, v21
	v_cmp_gt_i64_e32 vcc, 0, v[4:5]
	v_not_b32_e32 v5, v5
	v_ashrrev_i32_e32 v5, 31, v5
	v_and_b32_e32 v21, exec_lo, v21
	v_xor_b32_e32 v114, vcc_hi, v5
	v_xor_b32_e32 v5, vcc_lo, v5
	v_and_b32_e32 v21, v21, v5
	v_lshlrev_b32_e32 v5, 29, v20
	v_cmp_gt_i64_e32 vcc, 0, v[4:5]
	v_not_b32_e32 v5, v5
	v_ashrrev_i32_e32 v5, 31, v5
	v_and_b32_e32 v113, v113, v114
	v_xor_b32_e32 v114, vcc_hi, v5
	v_xor_b32_e32 v5, vcc_lo, v5
	v_and_b32_e32 v21, v21, v5
	v_lshlrev_b32_e32 v5, 28, v20
	v_cmp_gt_i64_e32 vcc, 0, v[4:5]
	v_not_b32_e32 v5, v5
	v_ashrrev_i32_e32 v5, 31, v5
	v_and_b32_e32 v113, v113, v114
	;; [unrolled: 8-line block ×5, first 2 shown]
	v_xor_b32_e32 v114, vcc_hi, v5
	v_xor_b32_e32 v5, vcc_lo, v5
	v_and_b32_e32 v113, v113, v114
	v_and_b32_e32 v114, v21, v5
	v_lshlrev_b32_e32 v5, 24, v20
	v_cmp_gt_i64_e32 vcc, 0, v[4:5]
	v_not_b32_e32 v5, v5
	v_ashrrev_i32_e32 v5, 31, v5
	v_xor_b32_e32 v20, vcc_hi, v5
	v_xor_b32_e32 v5, vcc_lo, v5
	v_and_b32_e32 v21, v113, v20
	v_and_b32_e32 v20, v114, v5
	v_mbcnt_lo_u32_b32 v5, v20, 0
	v_mbcnt_hi_u32_b32 v113, v21, v5
	v_cmp_eq_u32_e32 vcc, 0, v113
	v_cmp_ne_u64_e64 s[36:37], 0, v[20:21]
	s_and_b64 s[38:39], s[36:37], vcc
	; wave barrier
	s_and_saveexec_b64 s[36:37], s[38:39]
	s_cbranch_execz .LBB1872_267
; %bb.266:                              ;   in Loop: Header=BB1872_237 Depth=2
	v_bcnt_u32_b32 v5, v20, 0
	v_bcnt_u32_b32 v5, v21, v5
	s_waitcnt lgkmcnt(0)
	v_add_u32_e32 v5, v111, v5
	ds_write_b32 v112, v5
.LBB1872_267:                           ;   in Loop: Header=BB1872_237 Depth=2
	s_or_b64 exec, exec, s[36:37]
	s_waitcnt vmcnt(1)
	v_cmp_lt_i16_e32 vcc, -1, v104
	v_cndmask_b32_e32 v5, -1, v66, vcc
	v_xor_b32_e32 v104, v5, v104
	v_cmp_ne_u16_e32 vcc, s68, v104
	v_cndmask_b32_e32 v5, v66, v104, vcc
	v_lshrrev_b32_sdwa v5, s77, v5 dst_sel:DWORD dst_unused:UNUSED_PAD src0_sel:DWORD src1_sel:WORD_0
	v_and_b32_e32 v20, s78, v5
	v_mul_u32_u24_e32 v5, 5, v20
	v_add_lshl_u32 v5, v5, v92, 2
	; wave barrier
	v_add_u32_e32 v115, 0x410, v5
	ds_read_b32 v114, v5 offset:1040
	v_and_b32_e32 v5, 1, v20
	v_add_co_u32_e32 v21, vcc, -1, v5
	v_addc_co_u32_e64 v116, s[36:37], 0, -1, vcc
	v_cmp_ne_u32_e32 vcc, 0, v5
	v_xor_b32_e32 v5, vcc_hi, v116
	v_and_b32_e32 v116, exec_hi, v5
	v_lshlrev_b32_e32 v5, 30, v20
	v_xor_b32_e32 v21, vcc_lo, v21
	v_cmp_gt_i64_e32 vcc, 0, v[4:5]
	v_not_b32_e32 v5, v5
	v_ashrrev_i32_e32 v5, 31, v5
	v_and_b32_e32 v21, exec_lo, v21
	v_xor_b32_e32 v117, vcc_hi, v5
	v_xor_b32_e32 v5, vcc_lo, v5
	v_and_b32_e32 v21, v21, v5
	v_lshlrev_b32_e32 v5, 29, v20
	v_cmp_gt_i64_e32 vcc, 0, v[4:5]
	v_not_b32_e32 v5, v5
	v_ashrrev_i32_e32 v5, 31, v5
	v_and_b32_e32 v116, v116, v117
	v_xor_b32_e32 v117, vcc_hi, v5
	v_xor_b32_e32 v5, vcc_lo, v5
	v_and_b32_e32 v21, v21, v5
	v_lshlrev_b32_e32 v5, 28, v20
	v_cmp_gt_i64_e32 vcc, 0, v[4:5]
	v_not_b32_e32 v5, v5
	v_ashrrev_i32_e32 v5, 31, v5
	v_and_b32_e32 v116, v116, v117
	;; [unrolled: 8-line block ×5, first 2 shown]
	v_xor_b32_e32 v117, vcc_hi, v5
	v_xor_b32_e32 v5, vcc_lo, v5
	v_and_b32_e32 v116, v116, v117
	v_and_b32_e32 v117, v21, v5
	v_lshlrev_b32_e32 v5, 24, v20
	v_cmp_gt_i64_e32 vcc, 0, v[4:5]
	v_not_b32_e32 v5, v5
	v_ashrrev_i32_e32 v5, 31, v5
	v_xor_b32_e32 v20, vcc_hi, v5
	v_xor_b32_e32 v5, vcc_lo, v5
	v_and_b32_e32 v21, v116, v20
	v_and_b32_e32 v20, v117, v5
	v_mbcnt_lo_u32_b32 v5, v20, 0
	v_mbcnt_hi_u32_b32 v116, v21, v5
	v_cmp_eq_u32_e32 vcc, 0, v116
	v_cmp_ne_u64_e64 s[36:37], 0, v[20:21]
	s_and_b64 s[38:39], s[36:37], vcc
	; wave barrier
	s_and_saveexec_b64 s[36:37], s[38:39]
	s_cbranch_execz .LBB1872_269
; %bb.268:                              ;   in Loop: Header=BB1872_237 Depth=2
	v_bcnt_u32_b32 v5, v20, 0
	v_bcnt_u32_b32 v5, v21, v5
	s_waitcnt lgkmcnt(0)
	v_add_u32_e32 v5, v114, v5
	ds_write_b32 v115, v5
.LBB1872_269:                           ;   in Loop: Header=BB1872_237 Depth=2
	s_or_b64 exec, exec, s[36:37]
	s_waitcnt vmcnt(0)
	v_cmp_lt_i16_e32 vcc, -1, v22
	v_cndmask_b32_e32 v5, -1, v66, vcc
	v_xor_b32_e32 v117, v5, v22
	v_cmp_ne_u16_e32 vcc, s68, v117
	v_cndmask_b32_e32 v5, v66, v117, vcc
	v_lshrrev_b32_sdwa v5, s77, v5 dst_sel:DWORD dst_unused:UNUSED_PAD src0_sel:DWORD src1_sel:WORD_0
	v_and_b32_e32 v20, s78, v5
	v_mul_u32_u24_e32 v5, 5, v20
	v_add_lshl_u32 v5, v5, v92, 2
	; wave barrier
	v_add_u32_e32 v119, 0x410, v5
	ds_read_b32 v118, v5 offset:1040
	v_and_b32_e32 v5, 1, v20
	v_add_co_u32_e32 v21, vcc, -1, v5
	v_addc_co_u32_e64 v22, s[36:37], 0, -1, vcc
	v_cmp_ne_u32_e32 vcc, 0, v5
	v_xor_b32_e32 v5, vcc_hi, v22
	v_and_b32_e32 v22, exec_hi, v5
	v_lshlrev_b32_e32 v5, 30, v20
	v_xor_b32_e32 v21, vcc_lo, v21
	v_cmp_gt_i64_e32 vcc, 0, v[4:5]
	v_not_b32_e32 v5, v5
	v_ashrrev_i32_e32 v5, 31, v5
	v_and_b32_e32 v21, exec_lo, v21
	v_xor_b32_e32 v120, vcc_hi, v5
	v_xor_b32_e32 v5, vcc_lo, v5
	v_and_b32_e32 v21, v21, v5
	v_lshlrev_b32_e32 v5, 29, v20
	v_cmp_gt_i64_e32 vcc, 0, v[4:5]
	v_not_b32_e32 v5, v5
	v_ashrrev_i32_e32 v5, 31, v5
	v_and_b32_e32 v22, v22, v120
	v_xor_b32_e32 v120, vcc_hi, v5
	v_xor_b32_e32 v5, vcc_lo, v5
	v_and_b32_e32 v21, v21, v5
	v_lshlrev_b32_e32 v5, 28, v20
	v_cmp_gt_i64_e32 vcc, 0, v[4:5]
	v_not_b32_e32 v5, v5
	v_ashrrev_i32_e32 v5, 31, v5
	v_and_b32_e32 v22, v22, v120
	;; [unrolled: 8-line block ×5, first 2 shown]
	v_xor_b32_e32 v120, vcc_hi, v5
	v_xor_b32_e32 v5, vcc_lo, v5
	v_and_b32_e32 v22, v22, v120
	v_and_b32_e32 v120, v21, v5
	v_lshlrev_b32_e32 v5, 24, v20
	v_cmp_gt_i64_e32 vcc, 0, v[4:5]
	v_not_b32_e32 v5, v5
	v_ashrrev_i32_e32 v5, 31, v5
	v_xor_b32_e32 v20, vcc_hi, v5
	v_xor_b32_e32 v5, vcc_lo, v5
	v_and_b32_e32 v21, v22, v20
	v_and_b32_e32 v20, v120, v5
	v_mbcnt_lo_u32_b32 v5, v20, 0
	v_mbcnt_hi_u32_b32 v120, v21, v5
	v_cmp_eq_u32_e32 vcc, 0, v120
	v_cmp_ne_u64_e64 s[36:37], 0, v[20:21]
	s_and_b64 s[38:39], s[36:37], vcc
	; wave barrier
	s_and_saveexec_b64 s[36:37], s[38:39]
	s_cbranch_execz .LBB1872_271
; %bb.270:                              ;   in Loop: Header=BB1872_237 Depth=2
	v_bcnt_u32_b32 v5, v20, 0
	v_bcnt_u32_b32 v5, v21, v5
	s_waitcnt lgkmcnt(0)
	v_add_u32_e32 v5, v118, v5
	ds_write_b32 v119, v5
.LBB1872_271:                           ;   in Loop: Header=BB1872_237 Depth=2
	s_or_b64 exec, exec, s[36:37]
	v_cmp_lt_i16_e32 vcc, -1, v23
	v_cndmask_b32_e32 v5, -1, v66, vcc
	v_xor_b32_e32 v121, v5, v23
	v_cmp_ne_u16_e32 vcc, s68, v121
	v_cndmask_b32_e32 v5, v66, v121, vcc
	v_lshrrev_b32_sdwa v5, s77, v5 dst_sel:DWORD dst_unused:UNUSED_PAD src0_sel:DWORD src1_sel:WORD_0
	v_and_b32_e32 v20, s78, v5
	v_mul_u32_u24_e32 v5, 5, v20
	v_add_lshl_u32 v5, v5, v92, 2
	; wave barrier
	v_add_u32_e32 v123, 0x410, v5
	ds_read_b32 v122, v5 offset:1040
	v_and_b32_e32 v5, 1, v20
	v_add_co_u32_e32 v21, vcc, -1, v5
	v_addc_co_u32_e64 v22, s[36:37], 0, -1, vcc
	v_cmp_ne_u32_e32 vcc, 0, v5
	v_xor_b32_e32 v5, vcc_hi, v22
	v_and_b32_e32 v22, exec_hi, v5
	v_lshlrev_b32_e32 v5, 30, v20
	v_xor_b32_e32 v21, vcc_lo, v21
	v_cmp_gt_i64_e32 vcc, 0, v[4:5]
	v_not_b32_e32 v5, v5
	v_ashrrev_i32_e32 v5, 31, v5
	v_and_b32_e32 v21, exec_lo, v21
	v_xor_b32_e32 v23, vcc_hi, v5
	v_xor_b32_e32 v5, vcc_lo, v5
	v_and_b32_e32 v21, v21, v5
	v_lshlrev_b32_e32 v5, 29, v20
	v_cmp_gt_i64_e32 vcc, 0, v[4:5]
	v_not_b32_e32 v5, v5
	v_ashrrev_i32_e32 v5, 31, v5
	v_and_b32_e32 v22, v22, v23
	v_xor_b32_e32 v23, vcc_hi, v5
	v_xor_b32_e32 v5, vcc_lo, v5
	v_and_b32_e32 v21, v21, v5
	v_lshlrev_b32_e32 v5, 28, v20
	v_cmp_gt_i64_e32 vcc, 0, v[4:5]
	v_not_b32_e32 v5, v5
	v_ashrrev_i32_e32 v5, 31, v5
	v_and_b32_e32 v22, v22, v23
	;; [unrolled: 8-line block ×5, first 2 shown]
	v_xor_b32_e32 v23, vcc_hi, v5
	v_xor_b32_e32 v5, vcc_lo, v5
	v_and_b32_e32 v22, v22, v23
	v_and_b32_e32 v23, v21, v5
	v_lshlrev_b32_e32 v5, 24, v20
	v_cmp_gt_i64_e32 vcc, 0, v[4:5]
	v_not_b32_e32 v5, v5
	v_ashrrev_i32_e32 v5, 31, v5
	v_xor_b32_e32 v20, vcc_hi, v5
	v_xor_b32_e32 v5, vcc_lo, v5
	v_and_b32_e32 v21, v22, v20
	v_and_b32_e32 v20, v23, v5
	v_mbcnt_lo_u32_b32 v5, v20, 0
	v_mbcnt_hi_u32_b32 v124, v21, v5
	v_cmp_eq_u32_e32 vcc, 0, v124
	v_cmp_ne_u64_e64 s[36:37], 0, v[20:21]
	s_and_b64 s[38:39], s[36:37], vcc
	; wave barrier
	s_and_saveexec_b64 s[36:37], s[38:39]
	s_cbranch_execz .LBB1872_273
; %bb.272:                              ;   in Loop: Header=BB1872_237 Depth=2
	v_bcnt_u32_b32 v5, v20, 0
	v_bcnt_u32_b32 v5, v21, v5
	s_waitcnt lgkmcnt(0)
	v_add_u32_e32 v5, v122, v5
	ds_write_b32 v123, v5
.LBB1872_273:                           ;   in Loop: Header=BB1872_237 Depth=2
	s_or_b64 exec, exec, s[36:37]
	; wave barrier
	s_waitcnt lgkmcnt(0)
	s_barrier
	ds_read_b32 v5, v41 offset:1040
	ds_read2_b32 v[22:23], v43 offset0:1 offset1:2
	ds_read2_b32 v[20:21], v43 offset0:3 offset1:4
	s_waitcnt lgkmcnt(1)
	v_add3_u32 v125, v22, v5, v23
	s_waitcnt lgkmcnt(0)
	v_add3_u32 v21, v125, v20, v21
	s_nop 1
	v_mov_b32_dpp v125, v21 row_shr:1 row_mask:0xf bank_mask:0xf
	v_cndmask_b32_e64 v125, v125, 0, s[16:17]
	v_add_u32_e32 v21, v125, v21
	s_nop 1
	v_mov_b32_dpp v125, v21 row_shr:2 row_mask:0xf bank_mask:0xf
	v_cndmask_b32_e64 v125, 0, v125, s[18:19]
	v_add_u32_e32 v21, v21, v125
	;; [unrolled: 4-line block ×4, first 2 shown]
	s_nop 1
	v_mov_b32_dpp v125, v21 row_bcast:15 row_mask:0xf bank_mask:0xf
	v_cndmask_b32_e64 v125, v125, 0, s[24:25]
	v_add_u32_e32 v21, v21, v125
	s_nop 1
	v_mov_b32_dpp v125, v21 row_bcast:31 row_mask:0xf bank_mask:0xf
	v_cndmask_b32_e64 v125, 0, v125, s[26:27]
	v_add_u32_e32 v21, v21, v125
	s_and_saveexec_b64 s[36:37], s[6:7]
	s_cbranch_execz .LBB1872_275
; %bb.274:                              ;   in Loop: Header=BB1872_237 Depth=2
	ds_write_b32 v34, v21 offset:1024
.LBB1872_275:                           ;   in Loop: Header=BB1872_237 Depth=2
	s_or_b64 exec, exec, s[36:37]
	s_waitcnt lgkmcnt(0)
	s_barrier
	s_and_saveexec_b64 s[36:37], s[8:9]
	s_cbranch_execz .LBB1872_277
; %bb.276:                              ;   in Loop: Header=BB1872_237 Depth=2
	ds_read_b32 v125, v44 offset:1024
	s_waitcnt lgkmcnt(0)
	s_nop 0
	v_mov_b32_dpp v126, v125 row_shr:1 row_mask:0xf bank_mask:0xf
	v_cndmask_b32_e64 v126, v126, 0, s[30:31]
	v_add_u32_e32 v125, v126, v125
	s_nop 1
	v_mov_b32_dpp v126, v125 row_shr:2 row_mask:0xf bank_mask:0xf
	v_cndmask_b32_e64 v126, 0, v126, s[34:35]
	v_add_u32_e32 v125, v125, v126
	ds_write_b32 v44, v125 offset:1024
.LBB1872_277:                           ;   in Loop: Header=BB1872_237 Depth=2
	s_or_b64 exec, exec, s[36:37]
	v_mov_b32_e32 v125, 0
	s_waitcnt lgkmcnt(0)
	s_barrier
	s_and_saveexec_b64 s[36:37], s[10:11]
	s_cbranch_execz .LBB1872_279
; %bb.278:                              ;   in Loop: Header=BB1872_237 Depth=2
	ds_read_b32 v125, v34 offset:1020
.LBB1872_279:                           ;   in Loop: Header=BB1872_237 Depth=2
	s_or_b64 exec, exec, s[36:37]
	s_waitcnt lgkmcnt(0)
	v_add_u32_e32 v21, v125, v21
	ds_bpermute_b32 v21, v69, v21
	s_waitcnt lgkmcnt(0)
	v_cndmask_b32_e64 v21, v21, v125, s[28:29]
	v_cndmask_b32_e64 v21, v21, 0, s[12:13]
	v_add_u32_e32 v5, v21, v5
	ds_write_b32 v41, v21 offset:1040
	v_add_u32_e32 v21, v5, v22
	v_add_u32_e32 v22, v21, v23
	ds_write2_b32 v43, v5, v21 offset0:1 offset1:2
	v_add_u32_e32 v5, v22, v20
	ds_write2_b32 v43, v22, v5 offset0:3 offset1:4
	s_waitcnt lgkmcnt(0)
	s_barrier
	ds_read_b32 v20, v99
	ds_read_b32 v21, v103
	;; [unrolled: 1-line block ×8, first 2 shown]
	ds_read_b32 v99, v41 offset:1040
	v_mov_b32_e32 v5, 0x800
	s_and_saveexec_b64 s[36:37], s[14:15]
	s_cbranch_execz .LBB1872_281
; %bb.280:                              ;   in Loop: Header=BB1872_237 Depth=2
	ds_read_b32 v5, v41 offset:1060
.LBB1872_281:                           ;   in Loop: Header=BB1872_237 Depth=2
	s_or_b64 exec, exec, s[36:37]
	s_waitcnt lgkmcnt(0)
	s_barrier
	s_and_saveexec_b64 s[36:37], s[4:5]
	s_cbranch_execz .LBB1872_283
; %bb.282:                              ;   in Loop: Header=BB1872_237 Depth=2
	ds_read_b32 v103, v3
	s_waitcnt lgkmcnt(0)
	v_sub_u32_e32 v99, v103, v99
	ds_write_b32 v3, v99
.LBB1872_283:                           ;   in Loop: Header=BB1872_237 Depth=2
	s_or_b64 exec, exec, s[36:37]
	v_add_u32_e32 v103, v95, v96
	v_add3_u32 v100, v100, v98, v20
	v_lshlrev_b32_e32 v20, 1, v103
	v_add3_u32 v99, v105, v102, v21
	ds_write_b16 v20, v94 offset:1024
	v_lshlrev_b32_e32 v20, 1, v100
	v_add3_u32 v98, v110, v107, v22
	ds_write_b16 v20, v97 offset:1024
	v_lshlrev_b32_e32 v20, 1, v99
	v_add3_u32 v96, v113, v111, v23
	ds_write_b16 v20, v101 offset:1024
	v_lshlrev_b32_e32 v20, 1, v98
	v_add3_u32 v95, v116, v114, v108
	ds_write_b16 v20, v106 offset:1024
	v_lshlrev_b32_e32 v20, 1, v96
	v_add3_u32 v23, v120, v118, v112
	ds_write_b16 v20, v109 offset:1024
	v_lshlrev_b32_e32 v20, 1, v95
	v_add3_u32 v22, v124, v122, v115
	ds_write_b16 v20, v104 offset:1024
	v_lshlrev_b32_e32 v20, 1, v23
	ds_write_b16 v20, v117 offset:1024
	v_lshlrev_b32_e32 v20, 1, v22
	v_cmp_lt_u32_e32 vcc, v2, v93
	ds_write_b16 v20, v121 offset:1024
	s_waitcnt lgkmcnt(0)
	s_barrier
	s_and_saveexec_b64 s[38:39], vcc
	s_cbranch_execz .LBB1872_291
; %bb.284:                              ;   in Loop: Header=BB1872_237 Depth=2
	ds_read_u16 v20, v49 offset:1024
	v_mov_b32_e32 v21, v4
	v_mov_b32_e32 v97, s61
	s_waitcnt lgkmcnt(0)
	v_cmp_ne_u16_e64 s[36:37], s68, v20
	v_cndmask_b32_e64 v94, v66, v20, s[36:37]
	v_lshrrev_b32_sdwa v94, s77, v94 dst_sel:DWORD dst_unused:UNUSED_PAD src0_sel:DWORD src1_sel:WORD_0
	v_and_b32_e32 v94, s78, v94
	v_lshlrev_b32_e32 v94, 2, v94
	ds_read_b32 v94, v94
	v_cmp_lt_i16_e64 s[36:37], -1, v20
	v_cndmask_b32_e64 v101, v66, -1, s[36:37]
	v_xor_b32_e32 v101, v101, v20
	s_waitcnt lgkmcnt(0)
	v_add_u32_e32 v20, v94, v2
	v_lshlrev_b64 v[20:21], 1, v[20:21]
	v_add_co_u32_e64 v20, s[36:37], s60, v20
	v_addc_co_u32_e64 v21, s[36:37], v97, v21, s[36:37]
	global_store_short v[20:21], v101, off
	s_or_b64 exec, exec, s[38:39]
	v_cmp_lt_u32_e64 s[36:37], v24, v93
	s_and_saveexec_b64 s[40:41], s[36:37]
	s_cbranch_execnz .LBB1872_292
.LBB1872_285:                           ;   in Loop: Header=BB1872_237 Depth=2
	s_or_b64 exec, exec, s[40:41]
	v_cmp_lt_u32_e64 s[38:39], v25, v93
	s_and_saveexec_b64 s[42:43], s[38:39]
	s_cbranch_execz .LBB1872_293
.LBB1872_286:                           ;   in Loop: Header=BB1872_237 Depth=2
	ds_read_u16 v20, v50 offset:1024
	v_mov_b32_e32 v21, v4
	v_mov_b32_e32 v97, s61
	s_waitcnt lgkmcnt(0)
	v_cmp_ne_u16_e64 s[40:41], s68, v20
	v_cndmask_b32_e64 v94, v66, v20, s[40:41]
	v_lshrrev_b32_sdwa v94, s77, v94 dst_sel:DWORD dst_unused:UNUSED_PAD src0_sel:DWORD src1_sel:WORD_0
	v_and_b32_e32 v94, s78, v94
	v_lshlrev_b32_e32 v94, 2, v94
	ds_read_b32 v94, v94
	v_cmp_lt_i16_e64 s[40:41], -1, v20
	v_cndmask_b32_e64 v101, v66, -1, s[40:41]
	v_xor_b32_e32 v101, v101, v20
	s_waitcnt lgkmcnt(0)
	v_add_u32_e32 v20, v94, v25
	v_lshlrev_b64 v[20:21], 1, v[20:21]
	v_add_co_u32_e64 v20, s[40:41], s60, v20
	v_addc_co_u32_e64 v21, s[40:41], v97, v21, s[40:41]
	global_store_short v[20:21], v101, off
	s_or_b64 exec, exec, s[42:43]
	v_cmp_lt_u32_e64 s[40:41], v26, v93
	s_and_saveexec_b64 s[44:45], s[40:41]
	s_cbranch_execnz .LBB1872_294
.LBB1872_287:                           ;   in Loop: Header=BB1872_237 Depth=2
	s_or_b64 exec, exec, s[44:45]
	v_cmp_lt_u32_e64 s[42:43], v29, v93
	s_and_saveexec_b64 s[46:47], s[42:43]
	s_cbranch_execz .LBB1872_295
.LBB1872_288:                           ;   in Loop: Header=BB1872_237 Depth=2
	ds_read_u16 v20, v50 offset:2048
	v_mov_b32_e32 v21, v4
	v_mov_b32_e32 v97, s61
	s_waitcnt lgkmcnt(0)
	v_cmp_ne_u16_e64 s[44:45], s68, v20
	v_cndmask_b32_e64 v94, v66, v20, s[44:45]
	v_lshrrev_b32_sdwa v94, s77, v94 dst_sel:DWORD dst_unused:UNUSED_PAD src0_sel:DWORD src1_sel:WORD_0
	v_and_b32_e32 v94, s78, v94
	v_lshlrev_b32_e32 v94, 2, v94
	ds_read_b32 v94, v94
	v_cmp_lt_i16_e64 s[44:45], -1, v20
	v_cndmask_b32_e64 v101, v66, -1, s[44:45]
	v_xor_b32_e32 v101, v101, v20
	s_waitcnt lgkmcnt(0)
	v_add_u32_e32 v20, v94, v29
	v_lshlrev_b64 v[20:21], 1, v[20:21]
	v_add_co_u32_e64 v20, s[44:45], s60, v20
	v_addc_co_u32_e64 v21, s[44:45], v97, v21, s[44:45]
	global_store_short v[20:21], v101, off
	s_or_b64 exec, exec, s[46:47]
	v_cmp_lt_u32_e64 s[44:45], v30, v93
	s_and_saveexec_b64 s[48:49], s[44:45]
	s_cbranch_execnz .LBB1872_296
.LBB1872_289:                           ;   in Loop: Header=BB1872_237 Depth=2
	s_or_b64 exec, exec, s[48:49]
	v_cmp_lt_u32_e64 s[46:47], v31, v93
	s_and_saveexec_b64 s[52:53], s[46:47]
	s_cbranch_execz .LBB1872_297
.LBB1872_290:                           ;   in Loop: Header=BB1872_237 Depth=2
	ds_read_u16 v20, v50 offset:3072
	v_mov_b32_e32 v21, v4
	v_mov_b32_e32 v97, s61
	s_waitcnt lgkmcnt(0)
	v_cmp_ne_u16_e64 s[48:49], s68, v20
	v_cndmask_b32_e64 v94, v66, v20, s[48:49]
	v_lshrrev_b32_sdwa v94, s77, v94 dst_sel:DWORD dst_unused:UNUSED_PAD src0_sel:DWORD src1_sel:WORD_0
	v_and_b32_e32 v94, s78, v94
	v_lshlrev_b32_e32 v94, 2, v94
	ds_read_b32 v94, v94
	v_cmp_lt_i16_e64 s[48:49], -1, v20
	v_cndmask_b32_e64 v101, v66, -1, s[48:49]
	v_xor_b32_e32 v101, v101, v20
	s_waitcnt lgkmcnt(0)
	v_add_u32_e32 v20, v94, v31
	v_lshlrev_b64 v[20:21], 1, v[20:21]
	v_add_co_u32_e64 v20, s[48:49], s60, v20
	v_addc_co_u32_e64 v21, s[48:49], v97, v21, s[48:49]
	global_store_short v[20:21], v101, off
	s_or_b64 exec, exec, s[52:53]
	v_cmp_lt_u32_e64 s[48:49], v32, v93
	s_and_saveexec_b64 s[62:63], s[48:49]
	s_cbranch_execnz .LBB1872_298
	s_branch .LBB1872_299
.LBB1872_291:                           ;   in Loop: Header=BB1872_237 Depth=2
	s_or_b64 exec, exec, s[38:39]
	v_cmp_lt_u32_e64 s[36:37], v24, v93
	s_and_saveexec_b64 s[40:41], s[36:37]
	s_cbranch_execz .LBB1872_285
.LBB1872_292:                           ;   in Loop: Header=BB1872_237 Depth=2
	ds_read_u16 v20, v50 offset:512
	v_mov_b32_e32 v21, v4
	v_mov_b32_e32 v97, s61
	s_waitcnt lgkmcnt(0)
	v_cmp_ne_u16_e64 s[38:39], s68, v20
	v_cndmask_b32_e64 v94, v66, v20, s[38:39]
	v_lshrrev_b32_sdwa v94, s77, v94 dst_sel:DWORD dst_unused:UNUSED_PAD src0_sel:DWORD src1_sel:WORD_0
	v_and_b32_e32 v94, s78, v94
	v_lshlrev_b32_e32 v94, 2, v94
	ds_read_b32 v94, v94
	v_cmp_lt_i16_e64 s[38:39], -1, v20
	v_cndmask_b32_e64 v101, v66, -1, s[38:39]
	v_xor_b32_e32 v101, v101, v20
	s_waitcnt lgkmcnt(0)
	v_add_u32_e32 v20, v94, v24
	v_lshlrev_b64 v[20:21], 1, v[20:21]
	v_add_co_u32_e64 v20, s[38:39], s60, v20
	v_addc_co_u32_e64 v21, s[38:39], v97, v21, s[38:39]
	global_store_short v[20:21], v101, off
	s_or_b64 exec, exec, s[40:41]
	v_cmp_lt_u32_e64 s[38:39], v25, v93
	s_and_saveexec_b64 s[42:43], s[38:39]
	s_cbranch_execnz .LBB1872_286
.LBB1872_293:                           ;   in Loop: Header=BB1872_237 Depth=2
	s_or_b64 exec, exec, s[42:43]
	v_cmp_lt_u32_e64 s[40:41], v26, v93
	s_and_saveexec_b64 s[44:45], s[40:41]
	s_cbranch_execz .LBB1872_287
.LBB1872_294:                           ;   in Loop: Header=BB1872_237 Depth=2
	ds_read_u16 v20, v50 offset:1536
	v_mov_b32_e32 v21, v4
	v_mov_b32_e32 v97, s61
	s_waitcnt lgkmcnt(0)
	v_cmp_ne_u16_e64 s[42:43], s68, v20
	v_cndmask_b32_e64 v94, v66, v20, s[42:43]
	v_lshrrev_b32_sdwa v94, s77, v94 dst_sel:DWORD dst_unused:UNUSED_PAD src0_sel:DWORD src1_sel:WORD_0
	v_and_b32_e32 v94, s78, v94
	v_lshlrev_b32_e32 v94, 2, v94
	ds_read_b32 v94, v94
	v_cmp_lt_i16_e64 s[42:43], -1, v20
	v_cndmask_b32_e64 v101, v66, -1, s[42:43]
	v_xor_b32_e32 v101, v101, v20
	s_waitcnt lgkmcnt(0)
	v_add_u32_e32 v20, v94, v26
	v_lshlrev_b64 v[20:21], 1, v[20:21]
	v_add_co_u32_e64 v20, s[42:43], s60, v20
	v_addc_co_u32_e64 v21, s[42:43], v97, v21, s[42:43]
	global_store_short v[20:21], v101, off
	s_or_b64 exec, exec, s[44:45]
	v_cmp_lt_u32_e64 s[42:43], v29, v93
	s_and_saveexec_b64 s[46:47], s[42:43]
	s_cbranch_execnz .LBB1872_288
.LBB1872_295:                           ;   in Loop: Header=BB1872_237 Depth=2
	s_or_b64 exec, exec, s[46:47]
	v_cmp_lt_u32_e64 s[44:45], v30, v93
	s_and_saveexec_b64 s[48:49], s[44:45]
	s_cbranch_execz .LBB1872_289
.LBB1872_296:                           ;   in Loop: Header=BB1872_237 Depth=2
	ds_read_u16 v20, v50 offset:2560
	v_mov_b32_e32 v21, v4
	v_mov_b32_e32 v97, s61
	s_waitcnt lgkmcnt(0)
	v_cmp_ne_u16_e64 s[46:47], s68, v20
	v_cndmask_b32_e64 v94, v66, v20, s[46:47]
	v_lshrrev_b32_sdwa v94, s77, v94 dst_sel:DWORD dst_unused:UNUSED_PAD src0_sel:DWORD src1_sel:WORD_0
	v_and_b32_e32 v94, s78, v94
	v_lshlrev_b32_e32 v94, 2, v94
	ds_read_b32 v94, v94
	v_cmp_lt_i16_e64 s[46:47], -1, v20
	v_cndmask_b32_e64 v101, v66, -1, s[46:47]
	v_xor_b32_e32 v101, v101, v20
	s_waitcnt lgkmcnt(0)
	v_add_u32_e32 v20, v94, v30
	v_lshlrev_b64 v[20:21], 1, v[20:21]
	v_add_co_u32_e64 v20, s[46:47], s60, v20
	v_addc_co_u32_e64 v21, s[46:47], v97, v21, s[46:47]
	global_store_short v[20:21], v101, off
	s_or_b64 exec, exec, s[48:49]
	v_cmp_lt_u32_e64 s[46:47], v31, v93
	s_and_saveexec_b64 s[52:53], s[46:47]
	s_cbranch_execnz .LBB1872_290
.LBB1872_297:                           ;   in Loop: Header=BB1872_237 Depth=2
	s_or_b64 exec, exec, s[52:53]
	v_cmp_lt_u32_e64 s[48:49], v32, v93
	s_and_saveexec_b64 s[62:63], s[48:49]
	s_cbranch_execz .LBB1872_299
.LBB1872_298:                           ;   in Loop: Header=BB1872_237 Depth=2
	ds_read_u16 v20, v50 offset:3584
	v_mov_b32_e32 v21, v4
	v_mov_b32_e32 v97, s61
	s_waitcnt lgkmcnt(0)
	v_cmp_ne_u16_e64 s[52:53], s68, v20
	v_cndmask_b32_e64 v94, v66, v20, s[52:53]
	v_lshrrev_b32_sdwa v94, s77, v94 dst_sel:DWORD dst_unused:UNUSED_PAD src0_sel:DWORD src1_sel:WORD_0
	v_and_b32_e32 v94, s78, v94
	v_lshlrev_b32_e32 v94, 2, v94
	ds_read_b32 v94, v94
	v_cmp_lt_i16_e64 s[52:53], -1, v20
	v_cndmask_b32_e64 v101, v66, -1, s[52:53]
	v_xor_b32_e32 v101, v101, v20
	s_waitcnt lgkmcnt(0)
	v_add_u32_e32 v20, v94, v32
	v_lshlrev_b64 v[20:21], 1, v[20:21]
	v_add_co_u32_e64 v20, s[52:53], s60, v20
	v_addc_co_u32_e64 v21, s[52:53], v97, v21, s[52:53]
	global_store_short v[20:21], v101, off
.LBB1872_299:                           ;   in Loop: Header=BB1872_237 Depth=2
	s_or_b64 exec, exec, s[62:63]
	s_lshl_b64 s[52:53], s[72:73], 3
	v_mov_b32_e32 v21, s53
	v_add_co_u32_e64 v20, s[52:53], s52, v77
	v_addc_co_u32_e64 v21, s[52:53], v79, v21, s[52:53]
	v_cmp_lt_u32_e64 s[52:53], v74, v93
	s_and_saveexec_b64 s[62:63], s[52:53]
	s_xor_b64 s[52:53], exec, s[62:63]
	s_cbranch_execz .LBB1872_315
; %bb.300:                              ;   in Loop: Header=BB1872_237 Depth=2
	global_load_dwordx2 v[18:19], v[20:21], off
	s_or_b64 exec, exec, s[52:53]
	v_cmp_lt_u32_e64 s[52:53], v81, v93
	s_and_saveexec_b64 s[62:63], s[52:53]
	s_cbranch_execnz .LBB1872_316
.LBB1872_301:                           ;   in Loop: Header=BB1872_237 Depth=2
	s_or_b64 exec, exec, s[62:63]
	v_cmp_lt_u32_e64 s[52:53], v82, v93
	s_and_saveexec_b64 s[62:63], s[52:53]
	s_cbranch_execz .LBB1872_317
.LBB1872_302:                           ;   in Loop: Header=BB1872_237 Depth=2
	global_load_dwordx2 v[14:15], v[20:21], off offset:1024
	s_or_b64 exec, exec, s[62:63]
	v_cmp_lt_u32_e64 s[52:53], v83, v93
	s_and_saveexec_b64 s[62:63], s[52:53]
	s_cbranch_execnz .LBB1872_318
.LBB1872_303:                           ;   in Loop: Header=BB1872_237 Depth=2
	s_or_b64 exec, exec, s[62:63]
	v_cmp_lt_u32_e64 s[52:53], v84, v93
	s_and_saveexec_b64 s[62:63], s[52:53]
	s_cbranch_execz .LBB1872_319
.LBB1872_304:                           ;   in Loop: Header=BB1872_237 Depth=2
	global_load_dwordx2 v[10:11], v[20:21], off offset:2048
	s_or_b64 exec, exec, s[62:63]
	v_cmp_lt_u32_e64 s[52:53], v85, v93
	s_and_saveexec_b64 s[62:63], s[52:53]
	s_cbranch_execnz .LBB1872_320
.LBB1872_305:                           ;   in Loop: Header=BB1872_237 Depth=2
	s_or_b64 exec, exec, s[62:63]
	v_cmp_lt_u32_e64 s[52:53], v86, v93
	s_and_saveexec_b64 s[62:63], s[52:53]
	s_cbranch_execz .LBB1872_321
.LBB1872_306:                           ;   in Loop: Header=BB1872_237 Depth=2
	global_load_dwordx2 v[6:7], v[20:21], off offset:3072
	s_or_b64 exec, exec, s[62:63]
	v_cmp_lt_u32_e64 s[52:53], v87, v93
	s_and_saveexec_b64 s[62:63], s[52:53]
	s_cbranch_execnz .LBB1872_322
.LBB1872_307:                           ;   in Loop: Header=BB1872_237 Depth=2
	s_or_b64 exec, exec, s[62:63]
	s_and_saveexec_b64 s[62:63], vcc
	s_cbranch_execz .LBB1872_323
.LBB1872_308:                           ;   in Loop: Header=BB1872_237 Depth=2
	ds_read_u16 v20, v49 offset:1024
	s_waitcnt lgkmcnt(0)
	v_cmp_ne_u16_e64 s[52:53], s68, v20
	v_cndmask_b32_e64 v20, v66, v20, s[52:53]
	v_lshrrev_b32_sdwa v20, s77, v20 dst_sel:DWORD dst_unused:UNUSED_PAD src0_sel:DWORD src1_sel:WORD_0
	v_and_b32_e32 v80, s78, v20
	s_or_b64 exec, exec, s[62:63]
	s_and_saveexec_b64 s[62:63], s[36:37]
	s_cbranch_execnz .LBB1872_324
.LBB1872_309:                           ;   in Loop: Header=BB1872_237 Depth=2
	s_or_b64 exec, exec, s[62:63]
	s_and_saveexec_b64 s[62:63], s[38:39]
	s_cbranch_execz .LBB1872_325
.LBB1872_310:                           ;   in Loop: Header=BB1872_237 Depth=2
	ds_read_u16 v20, v50 offset:1024
	s_waitcnt lgkmcnt(0)
	v_cmp_ne_u16_e64 s[52:53], s68, v20
	v_cndmask_b32_e64 v20, v66, v20, s[52:53]
	v_lshrrev_b32_sdwa v20, s77, v20 dst_sel:DWORD dst_unused:UNUSED_PAD src0_sel:DWORD src1_sel:WORD_0
	v_and_b32_e32 v76, s78, v20
	s_or_b64 exec, exec, s[62:63]
	s_and_saveexec_b64 s[62:63], s[40:41]
	s_cbranch_execnz .LBB1872_326
.LBB1872_311:                           ;   in Loop: Header=BB1872_237 Depth=2
	s_or_b64 exec, exec, s[62:63]
	s_and_saveexec_b64 s[62:63], s[42:43]
	s_cbranch_execz .LBB1872_327
.LBB1872_312:                           ;   in Loop: Header=BB1872_237 Depth=2
	ds_read_u16 v20, v50 offset:2048
	s_waitcnt lgkmcnt(0)
	v_cmp_ne_u16_e64 s[52:53], s68, v20
	v_cndmask_b32_e64 v20, v66, v20, s[52:53]
	v_lshrrev_b32_sdwa v20, s77, v20 dst_sel:DWORD dst_unused:UNUSED_PAD src0_sel:DWORD src1_sel:WORD_0
	v_and_b32_e32 v73, s78, v20
	s_or_b64 exec, exec, s[62:63]
	s_and_saveexec_b64 s[62:63], s[44:45]
	s_cbranch_execnz .LBB1872_328
.LBB1872_313:                           ;   in Loop: Header=BB1872_237 Depth=2
	s_or_b64 exec, exec, s[62:63]
	s_and_saveexec_b64 s[62:63], s[46:47]
	s_cbranch_execz .LBB1872_329
.LBB1872_314:                           ;   in Loop: Header=BB1872_237 Depth=2
	ds_read_u16 v20, v50 offset:3072
	s_waitcnt lgkmcnt(0)
	v_cmp_ne_u16_e64 s[52:53], s68, v20
	v_cndmask_b32_e64 v20, v66, v20, s[52:53]
	v_lshrrev_b32_sdwa v20, s77, v20 dst_sel:DWORD dst_unused:UNUSED_PAD src0_sel:DWORD src1_sel:WORD_0
	v_and_b32_e32 v71, s78, v20
	s_or_b64 exec, exec, s[62:63]
	s_and_saveexec_b64 s[62:63], s[48:49]
	s_cbranch_execnz .LBB1872_330
	s_branch .LBB1872_331
.LBB1872_315:                           ;   in Loop: Header=BB1872_237 Depth=2
	s_or_b64 exec, exec, s[52:53]
	v_cmp_lt_u32_e64 s[52:53], v81, v93
	s_and_saveexec_b64 s[62:63], s[52:53]
	s_cbranch_execz .LBB1872_301
.LBB1872_316:                           ;   in Loop: Header=BB1872_237 Depth=2
	global_load_dwordx2 v[16:17], v[20:21], off offset:512
	s_or_b64 exec, exec, s[62:63]
	v_cmp_lt_u32_e64 s[52:53], v82, v93
	s_and_saveexec_b64 s[62:63], s[52:53]
	s_cbranch_execnz .LBB1872_302
.LBB1872_317:                           ;   in Loop: Header=BB1872_237 Depth=2
	s_or_b64 exec, exec, s[62:63]
	v_cmp_lt_u32_e64 s[52:53], v83, v93
	s_and_saveexec_b64 s[62:63], s[52:53]
	s_cbranch_execz .LBB1872_303
.LBB1872_318:                           ;   in Loop: Header=BB1872_237 Depth=2
	global_load_dwordx2 v[12:13], v[20:21], off offset:1536
	s_or_b64 exec, exec, s[62:63]
	v_cmp_lt_u32_e64 s[52:53], v84, v93
	s_and_saveexec_b64 s[62:63], s[52:53]
	s_cbranch_execnz .LBB1872_304
.LBB1872_319:                           ;   in Loop: Header=BB1872_237 Depth=2
	s_or_b64 exec, exec, s[62:63]
	v_cmp_lt_u32_e64 s[52:53], v85, v93
	s_and_saveexec_b64 s[62:63], s[52:53]
	s_cbranch_execz .LBB1872_305
.LBB1872_320:                           ;   in Loop: Header=BB1872_237 Depth=2
	global_load_dwordx2 v[8:9], v[20:21], off offset:2560
	s_or_b64 exec, exec, s[62:63]
	v_cmp_lt_u32_e64 s[52:53], v86, v93
	s_and_saveexec_b64 s[62:63], s[52:53]
	s_cbranch_execnz .LBB1872_306
.LBB1872_321:                           ;   in Loop: Header=BB1872_237 Depth=2
	s_or_b64 exec, exec, s[62:63]
	v_cmp_lt_u32_e64 s[52:53], v87, v93
	s_and_saveexec_b64 s[62:63], s[52:53]
	s_cbranch_execz .LBB1872_307
.LBB1872_322:                           ;   in Loop: Header=BB1872_237 Depth=2
	global_load_dwordx2 v[0:1], v[20:21], off offset:3584
	s_or_b64 exec, exec, s[62:63]
	s_and_saveexec_b64 s[62:63], vcc
	s_cbranch_execnz .LBB1872_308
.LBB1872_323:                           ;   in Loop: Header=BB1872_237 Depth=2
	s_or_b64 exec, exec, s[62:63]
	s_and_saveexec_b64 s[62:63], s[36:37]
	s_cbranch_execz .LBB1872_309
.LBB1872_324:                           ;   in Loop: Header=BB1872_237 Depth=2
	ds_read_u16 v20, v50 offset:512
	s_waitcnt lgkmcnt(0)
	v_cmp_ne_u16_e64 s[52:53], s68, v20
	v_cndmask_b32_e64 v20, v66, v20, s[52:53]
	v_lshrrev_b32_sdwa v20, s77, v20 dst_sel:DWORD dst_unused:UNUSED_PAD src0_sel:DWORD src1_sel:WORD_0
	v_and_b32_e32 v78, s78, v20
	s_or_b64 exec, exec, s[62:63]
	s_and_saveexec_b64 s[62:63], s[38:39]
	s_cbranch_execnz .LBB1872_310
.LBB1872_325:                           ;   in Loop: Header=BB1872_237 Depth=2
	s_or_b64 exec, exec, s[62:63]
	s_and_saveexec_b64 s[62:63], s[40:41]
	s_cbranch_execz .LBB1872_311
.LBB1872_326:                           ;   in Loop: Header=BB1872_237 Depth=2
	ds_read_u16 v20, v50 offset:1536
	s_waitcnt lgkmcnt(0)
	v_cmp_ne_u16_e64 s[52:53], s68, v20
	v_cndmask_b32_e64 v20, v66, v20, s[52:53]
	v_lshrrev_b32_sdwa v20, s77, v20 dst_sel:DWORD dst_unused:UNUSED_PAD src0_sel:DWORD src1_sel:WORD_0
	v_and_b32_e32 v75, s78, v20
	s_or_b64 exec, exec, s[62:63]
	s_and_saveexec_b64 s[62:63], s[42:43]
	s_cbranch_execnz .LBB1872_312
.LBB1872_327:                           ;   in Loop: Header=BB1872_237 Depth=2
	s_or_b64 exec, exec, s[62:63]
	s_and_saveexec_b64 s[62:63], s[44:45]
	s_cbranch_execz .LBB1872_313
.LBB1872_328:                           ;   in Loop: Header=BB1872_237 Depth=2
	ds_read_u16 v20, v50 offset:2560
	s_waitcnt lgkmcnt(0)
	v_cmp_ne_u16_e64 s[52:53], s68, v20
	v_cndmask_b32_e64 v20, v66, v20, s[52:53]
	v_lshrrev_b32_sdwa v20, s77, v20 dst_sel:DWORD dst_unused:UNUSED_PAD src0_sel:DWORD src1_sel:WORD_0
	v_and_b32_e32 v72, s78, v20
	s_or_b64 exec, exec, s[62:63]
	s_and_saveexec_b64 s[62:63], s[46:47]
	s_cbranch_execnz .LBB1872_314
.LBB1872_329:                           ;   in Loop: Header=BB1872_237 Depth=2
	s_or_b64 exec, exec, s[62:63]
	s_and_saveexec_b64 s[62:63], s[48:49]
	s_cbranch_execz .LBB1872_331
.LBB1872_330:                           ;   in Loop: Header=BB1872_237 Depth=2
	ds_read_u16 v20, v50 offset:3584
	s_waitcnt lgkmcnt(0)
	v_cmp_ne_u16_e64 s[52:53], s68, v20
	v_cndmask_b32_e64 v20, v66, v20, s[52:53]
	v_lshrrev_b32_sdwa v20, s77, v20 dst_sel:DWORD dst_unused:UNUSED_PAD src0_sel:DWORD src1_sel:WORD_0
	v_and_b32_e32 v70, s78, v20
.LBB1872_331:                           ;   in Loop: Header=BB1872_237 Depth=2
	s_or_b64 exec, exec, s[62:63]
	v_lshlrev_b32_e32 v20, 3, v103
	s_barrier
	s_waitcnt vmcnt(0)
	ds_write_b64 v20, v[18:19] offset:1024
	v_lshlrev_b32_e32 v20, 3, v100
	ds_write_b64 v20, v[16:17] offset:1024
	v_lshlrev_b32_e32 v20, 3, v99
	;; [unrolled: 2-line block ×7, first 2 shown]
	ds_write_b64 v20, v[0:1] offset:1024
	s_waitcnt lgkmcnt(0)
	s_barrier
	s_and_saveexec_b64 s[52:53], vcc
	s_cbranch_execz .LBB1872_339
; %bb.332:                              ;   in Loop: Header=BB1872_237 Depth=2
	v_lshlrev_b32_e32 v20, 2, v80
	ds_read_b32 v20, v20
	v_add_u32_e32 v22, v49, v51
	ds_read_b64 v[22:23], v22 offset:1024
	v_mov_b32_e32 v21, v4
	v_mov_b32_e32 v93, s67
	s_waitcnt lgkmcnt(1)
	v_add_u32_e32 v20, v20, v2
	v_lshlrev_b64 v[20:21], 3, v[20:21]
	v_add_co_u32_e32 v20, vcc, s66, v20
	v_addc_co_u32_e32 v21, vcc, v93, v21, vcc
	s_waitcnt lgkmcnt(0)
	global_store_dwordx2 v[20:21], v[22:23], off
	s_or_b64 exec, exec, s[52:53]
	s_and_saveexec_b64 s[52:53], s[36:37]
	s_cbranch_execnz .LBB1872_340
.LBB1872_333:                           ;   in Loop: Header=BB1872_237 Depth=2
	s_or_b64 exec, exec, s[52:53]
	s_and_saveexec_b64 s[36:37], s[38:39]
	s_cbranch_execz .LBB1872_341
.LBB1872_334:                           ;   in Loop: Header=BB1872_237 Depth=2
	v_lshlrev_b32_e32 v20, 2, v76
	ds_read_b32 v22, v20
	v_add_u32_e32 v20, v50, v51
	ds_read_b64 v[20:21], v20 offset:4096
	v_mov_b32_e32 v23, v4
	v_mov_b32_e32 v93, s67
	s_waitcnt lgkmcnt(1)
	v_add_u32_e32 v22, v22, v25
	v_lshlrev_b64 v[22:23], 3, v[22:23]
	v_add_co_u32_e32 v22, vcc, s66, v22
	v_addc_co_u32_e32 v23, vcc, v93, v23, vcc
	s_waitcnt lgkmcnt(0)
	global_store_dwordx2 v[22:23], v[20:21], off
	s_or_b64 exec, exec, s[36:37]
	s_and_saveexec_b64 s[36:37], s[40:41]
	s_cbranch_execnz .LBB1872_342
.LBB1872_335:                           ;   in Loop: Header=BB1872_237 Depth=2
	s_or_b64 exec, exec, s[36:37]
	s_and_saveexec_b64 s[36:37], s[42:43]
	s_cbranch_execz .LBB1872_343
.LBB1872_336:                           ;   in Loop: Header=BB1872_237 Depth=2
	v_lshlrev_b32_e32 v20, 2, v73
	ds_read_b32 v22, v20
	v_add_u32_e32 v20, v50, v51
	ds_read_b64 v[20:21], v20 offset:8192
	v_mov_b32_e32 v23, v4
	v_mov_b32_e32 v93, s67
	s_waitcnt lgkmcnt(1)
	v_add_u32_e32 v22, v22, v29
	v_lshlrev_b64 v[22:23], 3, v[22:23]
	v_add_co_u32_e32 v22, vcc, s66, v22
	v_addc_co_u32_e32 v23, vcc, v93, v23, vcc
	s_waitcnt lgkmcnt(0)
	global_store_dwordx2 v[22:23], v[20:21], off
	s_or_b64 exec, exec, s[36:37]
	s_and_saveexec_b64 s[36:37], s[44:45]
	s_cbranch_execnz .LBB1872_344
.LBB1872_337:                           ;   in Loop: Header=BB1872_237 Depth=2
	s_or_b64 exec, exec, s[36:37]
	s_and_saveexec_b64 s[36:37], s[46:47]
	s_cbranch_execz .LBB1872_345
.LBB1872_338:                           ;   in Loop: Header=BB1872_237 Depth=2
	v_lshlrev_b32_e32 v20, 2, v71
	ds_read_b32 v22, v20
	v_add_u32_e32 v20, v50, v51
	ds_read_b64 v[20:21], v20 offset:12288
	v_mov_b32_e32 v23, v4
	v_mov_b32_e32 v93, s67
	s_waitcnt lgkmcnt(1)
	v_add_u32_e32 v22, v22, v31
	v_lshlrev_b64 v[22:23], 3, v[22:23]
	v_add_co_u32_e32 v22, vcc, s66, v22
	v_addc_co_u32_e32 v23, vcc, v93, v23, vcc
	s_waitcnt lgkmcnt(0)
	global_store_dwordx2 v[22:23], v[20:21], off
	s_or_b64 exec, exec, s[36:37]
	s_and_saveexec_b64 s[36:37], s[48:49]
	s_cbranch_execnz .LBB1872_346
	s_branch .LBB1872_347
.LBB1872_339:                           ;   in Loop: Header=BB1872_237 Depth=2
	s_or_b64 exec, exec, s[52:53]
	s_and_saveexec_b64 s[52:53], s[36:37]
	s_cbranch_execz .LBB1872_333
.LBB1872_340:                           ;   in Loop: Header=BB1872_237 Depth=2
	v_lshlrev_b32_e32 v20, 2, v78
	ds_read_b32 v22, v20
	v_add_u32_e32 v20, v50, v51
	ds_read_b64 v[20:21], v20 offset:2048
	v_mov_b32_e32 v23, v4
	v_mov_b32_e32 v93, s67
	s_waitcnt lgkmcnt(1)
	v_add_u32_e32 v22, v22, v24
	v_lshlrev_b64 v[22:23], 3, v[22:23]
	v_add_co_u32_e32 v22, vcc, s66, v22
	v_addc_co_u32_e32 v23, vcc, v93, v23, vcc
	s_waitcnt lgkmcnt(0)
	global_store_dwordx2 v[22:23], v[20:21], off
	s_or_b64 exec, exec, s[52:53]
	s_and_saveexec_b64 s[36:37], s[38:39]
	s_cbranch_execnz .LBB1872_334
.LBB1872_341:                           ;   in Loop: Header=BB1872_237 Depth=2
	s_or_b64 exec, exec, s[36:37]
	s_and_saveexec_b64 s[36:37], s[40:41]
	s_cbranch_execz .LBB1872_335
.LBB1872_342:                           ;   in Loop: Header=BB1872_237 Depth=2
	v_lshlrev_b32_e32 v20, 2, v75
	ds_read_b32 v22, v20
	v_add_u32_e32 v20, v50, v51
	ds_read_b64 v[20:21], v20 offset:6144
	v_mov_b32_e32 v23, v4
	v_mov_b32_e32 v93, s67
	s_waitcnt lgkmcnt(1)
	v_add_u32_e32 v22, v22, v26
	v_lshlrev_b64 v[22:23], 3, v[22:23]
	v_add_co_u32_e32 v22, vcc, s66, v22
	v_addc_co_u32_e32 v23, vcc, v93, v23, vcc
	s_waitcnt lgkmcnt(0)
	global_store_dwordx2 v[22:23], v[20:21], off
	s_or_b64 exec, exec, s[36:37]
	s_and_saveexec_b64 s[36:37], s[42:43]
	s_cbranch_execnz .LBB1872_336
.LBB1872_343:                           ;   in Loop: Header=BB1872_237 Depth=2
	s_or_b64 exec, exec, s[36:37]
	s_and_saveexec_b64 s[36:37], s[44:45]
	s_cbranch_execz .LBB1872_337
.LBB1872_344:                           ;   in Loop: Header=BB1872_237 Depth=2
	v_lshlrev_b32_e32 v20, 2, v72
	ds_read_b32 v22, v20
	v_add_u32_e32 v20, v50, v51
	ds_read_b64 v[20:21], v20 offset:10240
	v_mov_b32_e32 v23, v4
	v_mov_b32_e32 v93, s67
	s_waitcnt lgkmcnt(1)
	v_add_u32_e32 v22, v22, v30
	v_lshlrev_b64 v[22:23], 3, v[22:23]
	v_add_co_u32_e32 v22, vcc, s66, v22
	v_addc_co_u32_e32 v23, vcc, v93, v23, vcc
	s_waitcnt lgkmcnt(0)
	global_store_dwordx2 v[22:23], v[20:21], off
	s_or_b64 exec, exec, s[36:37]
	s_and_saveexec_b64 s[36:37], s[46:47]
	s_cbranch_execnz .LBB1872_338
.LBB1872_345:                           ;   in Loop: Header=BB1872_237 Depth=2
	s_or_b64 exec, exec, s[36:37]
	s_and_saveexec_b64 s[36:37], s[48:49]
	s_cbranch_execz .LBB1872_347
.LBB1872_346:                           ;   in Loop: Header=BB1872_237 Depth=2
	v_lshlrev_b32_e32 v20, 2, v70
	ds_read_b32 v22, v20
	v_add_u32_e32 v20, v50, v51
	ds_read_b64 v[20:21], v20 offset:14336
	v_mov_b32_e32 v23, v4
	v_mov_b32_e32 v93, s67
	s_waitcnt lgkmcnt(1)
	v_add_u32_e32 v22, v22, v32
	v_lshlrev_b64 v[22:23], 3, v[22:23]
	v_add_co_u32_e32 v22, vcc, s66, v22
	v_addc_co_u32_e32 v23, vcc, v93, v23, vcc
	s_waitcnt lgkmcnt(0)
	global_store_dwordx2 v[22:23], v[20:21], off
.LBB1872_347:                           ;   in Loop: Header=BB1872_237 Depth=2
	s_or_b64 exec, exec, s[36:37]
	s_barrier
	s_and_saveexec_b64 s[36:37], s[4:5]
	s_cbranch_execz .LBB1872_236
; %bb.348:                              ;   in Loop: Header=BB1872_237 Depth=2
	ds_read_b32 v20, v3
	s_waitcnt lgkmcnt(0)
	v_add_u32_e32 v5, v20, v5
	ds_write_b32 v3, v5
	s_branch .LBB1872_236
.LBB1872_349:                           ;   in Loop: Header=BB1872_17 Depth=1
	s_waitcnt lgkmcnt(0)
	s_barrier
.LBB1872_350:                           ;   in Loop: Header=BB1872_17 Depth=1
	s_mov_b64 s[16:17], 0
.LBB1872_351:                           ;   in Loop: Header=BB1872_17 Depth=1
	s_andn2_b64 vcc, exec, s[16:17]
	s_cbranch_vccnz .LBB1872_16
; %bb.352:                              ;   in Loop: Header=BB1872_17 Depth=1
	s_mov_b64 s[16:17], -1
	s_and_b64 vcc, exec, s[54:55]
	s_cbranch_vccz .LBB1872_518
; %bb.353:                              ;   in Loop: Header=BB1872_17 Depth=1
	s_mov_b32 s22, s71
	s_mov_b32 s72, s51
	s_barrier
	s_waitcnt lgkmcnt(0)
                                        ; implicit-def: $vgpr12
                                        ; implicit-def: $vgpr5
                                        ; implicit-def: $vgpr6
                                        ; implicit-def: $vgpr7
                                        ; implicit-def: $vgpr8
                                        ; implicit-def: $vgpr9
                                        ; implicit-def: $vgpr10
                                        ; implicit-def: $vgpr11
	s_branch .LBB1872_355
.LBB1872_354:                           ;   in Loop: Header=BB1872_355 Depth=2
	s_or_b64 exec, exec, s[16:17]
	s_addk_i32 s22, 0xf800
	s_cmp_ge_u32 s23, s76
	s_mov_b32 s72, s23
	s_cbranch_scc1 .LBB1872_393
.LBB1872_355:                           ;   Parent Loop BB1872_17 Depth=1
                                        ; =>  This Inner Loop Header: Depth=2
	s_add_i32 s23, s72, 0x800
	s_cmp_gt_u32 s23, s76
	s_cbranch_scc1 .LBB1872_358
; %bb.356:                              ;   in Loop: Header=BB1872_355 Depth=2
	s_lshl_b64 s[16:17], s[72:73], 1
	v_mov_b32_e32 v1, s17
	v_add_co_u32_e32 v0, vcc, s16, v58
	v_addc_co_u32_e32 v1, vcc, v59, v1, vcc
	global_load_ushort v14, v[0:1], off
	global_load_ushort v15, v[0:1], off offset:512
	global_load_ushort v16, v[0:1], off offset:1024
	global_load_ushort v17, v[0:1], off offset:1536
	global_load_ushort v18, v[0:1], off offset:2048
	global_load_ushort v19, v[0:1], off offset:2560
	global_load_ushort v20, v[0:1], off offset:3072
	v_add_co_u32_e32 v0, vcc, 0xe00, v0
	v_addc_co_u32_e32 v1, vcc, 0, v1, vcc
	s_mov_b64 s[16:17], -1
	s_movk_i32 s24, 0x800
	s_cbranch_execz .LBB1872_359
; %bb.357:                              ;   in Loop: Header=BB1872_355 Depth=2
                                        ; implicit-def: $vgpr11
                                        ; implicit-def: $vgpr10
                                        ; implicit-def: $vgpr9
                                        ; implicit-def: $vgpr8
                                        ; implicit-def: $vgpr7
                                        ; implicit-def: $vgpr6
                                        ; implicit-def: $vgpr5
                                        ; implicit-def: $vgpr12
	v_mov_b32_e32 v13, s22
	s_and_saveexec_b64 s[18:19], s[16:17]
	s_cbranch_execnz .LBB1872_370
	s_branch .LBB1872_371
.LBB1872_358:                           ;   in Loop: Header=BB1872_355 Depth=2
	s_mov_b64 s[16:17], 0
                                        ; implicit-def: $sgpr24
                                        ; implicit-def: $vgpr14
                                        ; implicit-def: $vgpr15
                                        ; implicit-def: $vgpr16
                                        ; implicit-def: $vgpr17
                                        ; implicit-def: $vgpr18
                                        ; implicit-def: $vgpr19
                                        ; implicit-def: $vgpr20
                                        ; implicit-def: $vgpr0_vgpr1
.LBB1872_359:                           ;   in Loop: Header=BB1872_355 Depth=2
	s_lshl_b64 s[18:19], s[72:73], 1
	s_add_u32 s18, s56, s18
	s_addc_u32 s19, s57, s19
	v_cmp_gt_u32_e32 vcc, s22, v2
	s_and_saveexec_b64 s[20:21], vcc
	s_cbranch_execz .LBB1872_387
; %bb.360:                              ;   in Loop: Header=BB1872_355 Depth=2
	global_load_ushort v11, v65, s[18:19]
	s_or_b64 exec, exec, s[20:21]
	v_cmp_gt_u32_e32 vcc, s22, v24
	s_and_saveexec_b64 s[20:21], vcc
	s_cbranch_execnz .LBB1872_388
.LBB1872_361:                           ;   in Loop: Header=BB1872_355 Depth=2
	s_or_b64 exec, exec, s[20:21]
	v_cmp_gt_u32_e32 vcc, s22, v25
	s_and_saveexec_b64 s[20:21], vcc
	s_cbranch_execz .LBB1872_389
.LBB1872_362:                           ;   in Loop: Header=BB1872_355 Depth=2
	global_load_ushort v9, v65, s[18:19] offset:1024
	s_or_b64 exec, exec, s[20:21]
	v_cmp_gt_u32_e32 vcc, s22, v26
	s_and_saveexec_b64 s[20:21], vcc
	s_cbranch_execnz .LBB1872_390
.LBB1872_363:                           ;   in Loop: Header=BB1872_355 Depth=2
	s_or_b64 exec, exec, s[20:21]
	v_cmp_gt_u32_e32 vcc, s22, v29
	s_and_saveexec_b64 s[20:21], vcc
	s_cbranch_execz .LBB1872_391
.LBB1872_364:                           ;   in Loop: Header=BB1872_355 Depth=2
	global_load_ushort v7, v65, s[18:19] offset:2048
	s_or_b64 exec, exec, s[20:21]
	v_cmp_gt_u32_e32 vcc, s22, v30
	s_and_saveexec_b64 s[20:21], vcc
	s_cbranch_execnz .LBB1872_392
.LBB1872_365:                           ;   in Loop: Header=BB1872_355 Depth=2
	s_or_b64 exec, exec, s[20:21]
	v_cmp_gt_u32_e32 vcc, s22, v31
	s_and_saveexec_b64 s[20:21], vcc
	s_cbranch_execz .LBB1872_367
.LBB1872_366:                           ;   in Loop: Header=BB1872_355 Depth=2
	global_load_ushort v5, v65, s[18:19] offset:3072
.LBB1872_367:                           ;   in Loop: Header=BB1872_355 Depth=2
	s_or_b64 exec, exec, s[20:21]
	v_cmp_gt_u32_e32 vcc, s22, v32
                                        ; implicit-def: $sgpr24
                                        ; implicit-def: $vgpr0_vgpr1
	s_and_saveexec_b64 s[20:21], vcc
	s_cbranch_execz .LBB1872_369
; %bb.368:                              ;   in Loop: Header=BB1872_355 Depth=2
	v_mov_b32_e32 v0, s19
	v_add_co_u32_e32 v1, vcc, s18, v65
	s_waitcnt vmcnt(0)
	v_addc_co_u32_e32 v12, vcc, 0, v0, vcc
	v_add_co_u32_e32 v0, vcc, 0xe00, v1
	s_sub_i32 s24, s76, s72
	v_addc_co_u32_e32 v1, vcc, 0, v12, vcc
	s_or_b64 s[16:17], s[16:17], exec
                                        ; implicit-def: $vgpr12
.LBB1872_369:                           ;   in Loop: Header=BB1872_355 Depth=2
	s_or_b64 exec, exec, s[20:21]
	s_waitcnt vmcnt(0)
	v_mov_b32_e32 v14, v11
	v_mov_b32_e32 v15, v10
	;; [unrolled: 1-line block ×8, first 2 shown]
	s_and_saveexec_b64 s[18:19], s[16:17]
	s_cbranch_execz .LBB1872_371
.LBB1872_370:                           ;   in Loop: Header=BB1872_355 Depth=2
	global_load_ushort v12, v[0:1], off
	v_mov_b32_e32 v13, s24
	s_waitcnt vmcnt(1)
	v_mov_b32_e32 v5, v20
	v_mov_b32_e32 v6, v19
	;; [unrolled: 1-line block ×7, first 2 shown]
.LBB1872_371:                           ;   in Loop: Header=BB1872_355 Depth=2
	s_or_b64 exec, exec, s[18:19]
	v_cmp_lt_u32_e32 vcc, v2, v13
	s_and_saveexec_b64 s[16:17], vcc
	s_cbranch_execz .LBB1872_379
; %bb.372:                              ;   in Loop: Header=BB1872_355 Depth=2
	v_cmp_lt_i16_e32 vcc, -1, v11
	v_cndmask_b32_e32 v0, -1, v66, vcc
	v_xor_b32_e32 v0, v0, v11
	v_cmp_ne_u16_e32 vcc, s68, v0
	v_cndmask_b32_e32 v0, v66, v0, vcc
	v_lshrrev_b32_sdwa v0, s69, v0 dst_sel:DWORD dst_unused:UNUSED_PAD src0_sel:DWORD src1_sel:WORD_0
	v_and_b32_e32 v0, s78, v0
	v_lshl_or_b32 v0, v0, 4, v67
	ds_add_u32 v0, v64
	s_or_b64 exec, exec, s[16:17]
	v_cmp_lt_u32_e32 vcc, v24, v13
	s_and_saveexec_b64 s[16:17], vcc
	s_cbranch_execnz .LBB1872_380
.LBB1872_373:                           ;   in Loop: Header=BB1872_355 Depth=2
	s_or_b64 exec, exec, s[16:17]
	v_cmp_lt_u32_e32 vcc, v25, v13
	s_and_saveexec_b64 s[16:17], vcc
	s_cbranch_execz .LBB1872_381
.LBB1872_374:                           ;   in Loop: Header=BB1872_355 Depth=2
	v_cmp_lt_i16_e32 vcc, -1, v9
	v_cndmask_b32_e32 v0, -1, v66, vcc
	v_xor_b32_e32 v0, v0, v9
	v_cmp_ne_u16_e32 vcc, s68, v0
	v_cndmask_b32_e32 v0, v66, v0, vcc
	v_lshrrev_b32_sdwa v0, s69, v0 dst_sel:DWORD dst_unused:UNUSED_PAD src0_sel:DWORD src1_sel:WORD_0
	v_and_b32_e32 v0, s78, v0
	v_lshl_or_b32 v0, v0, 4, v67
	ds_add_u32 v0, v64
	s_or_b64 exec, exec, s[16:17]
	v_cmp_lt_u32_e32 vcc, v26, v13
	s_and_saveexec_b64 s[16:17], vcc
	s_cbranch_execnz .LBB1872_382
.LBB1872_375:                           ;   in Loop: Header=BB1872_355 Depth=2
	s_or_b64 exec, exec, s[16:17]
	v_cmp_lt_u32_e32 vcc, v29, v13
	s_and_saveexec_b64 s[16:17], vcc
	s_cbranch_execz .LBB1872_383
.LBB1872_376:                           ;   in Loop: Header=BB1872_355 Depth=2
	v_cmp_lt_i16_e32 vcc, -1, v7
	v_cndmask_b32_e32 v0, -1, v66, vcc
	v_xor_b32_e32 v0, v0, v7
	v_cmp_ne_u16_e32 vcc, s68, v0
	v_cndmask_b32_e32 v0, v66, v0, vcc
	v_lshrrev_b32_sdwa v0, s69, v0 dst_sel:DWORD dst_unused:UNUSED_PAD src0_sel:DWORD src1_sel:WORD_0
	v_and_b32_e32 v0, s78, v0
	v_lshl_or_b32 v0, v0, 4, v67
	ds_add_u32 v0, v64
	s_or_b64 exec, exec, s[16:17]
	v_cmp_lt_u32_e32 vcc, v30, v13
	s_and_saveexec_b64 s[16:17], vcc
	s_cbranch_execnz .LBB1872_384
.LBB1872_377:                           ;   in Loop: Header=BB1872_355 Depth=2
	s_or_b64 exec, exec, s[16:17]
	v_cmp_lt_u32_e32 vcc, v31, v13
	s_and_saveexec_b64 s[16:17], vcc
	s_cbranch_execz .LBB1872_385
.LBB1872_378:                           ;   in Loop: Header=BB1872_355 Depth=2
	v_cmp_lt_i16_e32 vcc, -1, v5
	v_cndmask_b32_e32 v0, -1, v66, vcc
	v_xor_b32_e32 v0, v0, v5
	v_cmp_ne_u16_e32 vcc, s68, v0
	v_cndmask_b32_e32 v0, v66, v0, vcc
	v_lshrrev_b32_sdwa v0, s69, v0 dst_sel:DWORD dst_unused:UNUSED_PAD src0_sel:DWORD src1_sel:WORD_0
	v_and_b32_e32 v0, s78, v0
	v_lshl_or_b32 v0, v0, 4, v67
	ds_add_u32 v0, v64
	s_or_b64 exec, exec, s[16:17]
	v_cmp_lt_u32_e32 vcc, v32, v13
	s_and_saveexec_b64 s[16:17], vcc
	s_cbranch_execz .LBB1872_354
	s_branch .LBB1872_386
.LBB1872_379:                           ;   in Loop: Header=BB1872_355 Depth=2
	s_or_b64 exec, exec, s[16:17]
	v_cmp_lt_u32_e32 vcc, v24, v13
	s_and_saveexec_b64 s[16:17], vcc
	s_cbranch_execz .LBB1872_373
.LBB1872_380:                           ;   in Loop: Header=BB1872_355 Depth=2
	v_cmp_lt_i16_e32 vcc, -1, v10
	v_cndmask_b32_e32 v0, -1, v66, vcc
	v_xor_b32_e32 v0, v0, v10
	v_cmp_ne_u16_e32 vcc, s68, v0
	v_cndmask_b32_e32 v0, v66, v0, vcc
	v_lshrrev_b32_sdwa v0, s69, v0 dst_sel:DWORD dst_unused:UNUSED_PAD src0_sel:DWORD src1_sel:WORD_0
	v_and_b32_e32 v0, s78, v0
	v_lshl_or_b32 v0, v0, 4, v67
	ds_add_u32 v0, v64
	s_or_b64 exec, exec, s[16:17]
	v_cmp_lt_u32_e32 vcc, v25, v13
	s_and_saveexec_b64 s[16:17], vcc
	s_cbranch_execnz .LBB1872_374
.LBB1872_381:                           ;   in Loop: Header=BB1872_355 Depth=2
	s_or_b64 exec, exec, s[16:17]
	v_cmp_lt_u32_e32 vcc, v26, v13
	s_and_saveexec_b64 s[16:17], vcc
	s_cbranch_execz .LBB1872_375
.LBB1872_382:                           ;   in Loop: Header=BB1872_355 Depth=2
	v_cmp_lt_i16_e32 vcc, -1, v8
	v_cndmask_b32_e32 v0, -1, v66, vcc
	v_xor_b32_e32 v0, v0, v8
	v_cmp_ne_u16_e32 vcc, s68, v0
	v_cndmask_b32_e32 v0, v66, v0, vcc
	v_lshrrev_b32_sdwa v0, s69, v0 dst_sel:DWORD dst_unused:UNUSED_PAD src0_sel:DWORD src1_sel:WORD_0
	v_and_b32_e32 v0, s78, v0
	v_lshl_or_b32 v0, v0, 4, v67
	ds_add_u32 v0, v64
	s_or_b64 exec, exec, s[16:17]
	v_cmp_lt_u32_e32 vcc, v29, v13
	s_and_saveexec_b64 s[16:17], vcc
	s_cbranch_execnz .LBB1872_376
.LBB1872_383:                           ;   in Loop: Header=BB1872_355 Depth=2
	s_or_b64 exec, exec, s[16:17]
	v_cmp_lt_u32_e32 vcc, v30, v13
	s_and_saveexec_b64 s[16:17], vcc
	s_cbranch_execz .LBB1872_377
.LBB1872_384:                           ;   in Loop: Header=BB1872_355 Depth=2
	v_cmp_lt_i16_e32 vcc, -1, v6
	v_cndmask_b32_e32 v0, -1, v66, vcc
	v_xor_b32_e32 v0, v0, v6
	v_cmp_ne_u16_e32 vcc, s68, v0
	v_cndmask_b32_e32 v0, v66, v0, vcc
	v_lshrrev_b32_sdwa v0, s69, v0 dst_sel:DWORD dst_unused:UNUSED_PAD src0_sel:DWORD src1_sel:WORD_0
	v_and_b32_e32 v0, s78, v0
	v_lshl_or_b32 v0, v0, 4, v67
	ds_add_u32 v0, v64
	s_or_b64 exec, exec, s[16:17]
	v_cmp_lt_u32_e32 vcc, v31, v13
	s_and_saveexec_b64 s[16:17], vcc
	s_cbranch_execnz .LBB1872_378
.LBB1872_385:                           ;   in Loop: Header=BB1872_355 Depth=2
	s_or_b64 exec, exec, s[16:17]
	v_cmp_lt_u32_e32 vcc, v32, v13
	s_and_saveexec_b64 s[16:17], vcc
	s_cbranch_execz .LBB1872_354
.LBB1872_386:                           ;   in Loop: Header=BB1872_355 Depth=2
	s_waitcnt vmcnt(0)
	v_cmp_lt_i16_e32 vcc, -1, v12
	v_cndmask_b32_e32 v0, -1, v66, vcc
	v_xor_b32_e32 v0, v0, v12
	v_cmp_ne_u16_e32 vcc, s68, v0
	v_cndmask_b32_e32 v0, v66, v0, vcc
	v_lshrrev_b32_sdwa v0, s69, v0 dst_sel:DWORD dst_unused:UNUSED_PAD src0_sel:DWORD src1_sel:WORD_0
	v_and_b32_e32 v0, s78, v0
	v_lshl_or_b32 v0, v0, 4, v67
	ds_add_u32 v0, v64
	s_branch .LBB1872_354
.LBB1872_387:                           ;   in Loop: Header=BB1872_355 Depth=2
	s_or_b64 exec, exec, s[20:21]
	v_cmp_gt_u32_e32 vcc, s22, v24
	s_and_saveexec_b64 s[20:21], vcc
	s_cbranch_execz .LBB1872_361
.LBB1872_388:                           ;   in Loop: Header=BB1872_355 Depth=2
	global_load_ushort v10, v65, s[18:19] offset:512
	s_or_b64 exec, exec, s[20:21]
	v_cmp_gt_u32_e32 vcc, s22, v25
	s_and_saveexec_b64 s[20:21], vcc
	s_cbranch_execnz .LBB1872_362
.LBB1872_389:                           ;   in Loop: Header=BB1872_355 Depth=2
	s_or_b64 exec, exec, s[20:21]
	v_cmp_gt_u32_e32 vcc, s22, v26
	s_and_saveexec_b64 s[20:21], vcc
	s_cbranch_execz .LBB1872_363
.LBB1872_390:                           ;   in Loop: Header=BB1872_355 Depth=2
	global_load_ushort v8, v65, s[18:19] offset:1536
	s_or_b64 exec, exec, s[20:21]
	v_cmp_gt_u32_e32 vcc, s22, v29
	s_and_saveexec_b64 s[20:21], vcc
	s_cbranch_execnz .LBB1872_364
.LBB1872_391:                           ;   in Loop: Header=BB1872_355 Depth=2
	s_or_b64 exec, exec, s[20:21]
	v_cmp_gt_u32_e32 vcc, s22, v30
	s_and_saveexec_b64 s[20:21], vcc
	s_cbranch_execz .LBB1872_365
.LBB1872_392:                           ;   in Loop: Header=BB1872_355 Depth=2
	global_load_ushort v6, v65, s[18:19] offset:2560
	s_or_b64 exec, exec, s[20:21]
	v_cmp_gt_u32_e32 vcc, s22, v31
	s_and_saveexec_b64 s[20:21], vcc
	s_cbranch_execz .LBB1872_367
	s_branch .LBB1872_366
.LBB1872_393:                           ;   in Loop: Header=BB1872_17 Depth=1
	v_mov_b32_e32 v0, 0
	s_waitcnt lgkmcnt(0)
	s_barrier
	s_and_saveexec_b64 s[16:17], s[4:5]
	s_cbranch_execz .LBB1872_395
; %bb.394:                              ;   in Loop: Header=BB1872_17 Depth=1
	ds_read2_b64 v[6:9], v33 offset1:1
	s_waitcnt lgkmcnt(0)
	v_add_u32_e32 v0, v7, v6
	v_add3_u32 v0, v0, v8, v9
.LBB1872_395:                           ;   in Loop: Header=BB1872_17 Depth=1
	s_or_b64 exec, exec, s[16:17]
	v_and_b32_e32 v1, 15, v68
	v_mov_b32_dpp v5, v0 row_shr:1 row_mask:0xf bank_mask:0xf
	v_cmp_eq_u32_e64 s[16:17], 0, v1
	v_cndmask_b32_e64 v5, v5, 0, s[16:17]
	v_add_u32_e32 v0, v5, v0
	v_cmp_lt_u32_e64 s[18:19], 1, v1
	v_cmp_lt_u32_e64 s[20:21], 3, v1
	v_mov_b32_dpp v5, v0 row_shr:2 row_mask:0xf bank_mask:0xf
	v_cndmask_b32_e64 v5, 0, v5, s[18:19]
	v_add_u32_e32 v0, v0, v5
	v_cmp_lt_u32_e64 s[22:23], 7, v1
	v_cmp_lt_u32_e64 s[26:27], 31, v68
	v_mov_b32_dpp v5, v0 row_shr:4 row_mask:0xf bank_mask:0xf
	v_cndmask_b32_e64 v5, 0, v5, s[20:21]
	v_add_u32_e32 v0, v0, v5
	v_and_b32_e32 v6, 16, v68
	v_cmp_eq_u32_e64 s[24:25], 0, v6
	v_mov_b32_dpp v5, v0 row_shr:8 row_mask:0xf bank_mask:0xf
	v_cndmask_b32_e64 v1, 0, v5, s[22:23]
	v_add_u32_e32 v0, v0, v1
	v_bfe_i32 v5, v68, 4, 1
	s_nop 0
	v_mov_b32_dpp v1, v0 row_bcast:15 row_mask:0xf bank_mask:0xf
	v_and_b32_e32 v1, v5, v1
	v_add_u32_e32 v0, v0, v1
	s_nop 1
	v_mov_b32_dpp v1, v0 row_bcast:31 row_mask:0xf bank_mask:0xf
	v_cndmask_b32_e64 v1, 0, v1, s[26:27]
	v_add_u32_e32 v1, v0, v1
	s_and_saveexec_b64 s[28:29], s[6:7]
	s_cbranch_execz .LBB1872_397
; %bb.396:                              ;   in Loop: Header=BB1872_17 Depth=1
	ds_write_b32 v35, v1
.LBB1872_397:                           ;   in Loop: Header=BB1872_17 Depth=1
	s_or_b64 exec, exec, s[28:29]
	v_and_b32_e32 v0, 3, v68
	s_waitcnt lgkmcnt(0)
	s_barrier
	s_and_saveexec_b64 s[28:29], s[8:9]
	s_cbranch_execz .LBB1872_399
; %bb.398:                              ;   in Loop: Header=BB1872_17 Depth=1
	ds_read_b32 v5, v36
	v_cmp_ne_u32_e32 vcc, 0, v0
	s_waitcnt lgkmcnt(0)
	v_mov_b32_dpp v6, v5 row_shr:1 row_mask:0xf bank_mask:0xf
	v_cndmask_b32_e32 v6, 0, v6, vcc
	v_add_u32_e32 v5, v6, v5
	v_cmp_lt_u32_e32 vcc, 1, v0
	s_nop 0
	v_mov_b32_dpp v6, v5 row_shr:2 row_mask:0xf bank_mask:0xf
	v_cndmask_b32_e32 v6, 0, v6, vcc
	v_add_u32_e32 v5, v5, v6
	ds_write_b32 v36, v5
.LBB1872_399:                           ;   in Loop: Header=BB1872_17 Depth=1
	s_or_b64 exec, exec, s[28:29]
	v_mov_b32_e32 v5, 0
	s_waitcnt lgkmcnt(0)
	s_barrier
	s_and_saveexec_b64 s[28:29], s[10:11]
	s_cbranch_execz .LBB1872_401
; %bb.400:                              ;   in Loop: Header=BB1872_17 Depth=1
	ds_read_b32 v5, v37
.LBB1872_401:                           ;   in Loop: Header=BB1872_17 Depth=1
	s_or_b64 exec, exec, s[28:29]
	v_add_u32_e32 v6, -1, v68
	v_and_b32_e32 v7, 64, v68
	v_cmp_lt_i32_e32 vcc, v6, v7
	v_cndmask_b32_e32 v6, v6, v68, vcc
	s_waitcnt lgkmcnt(0)
	v_add_u32_e32 v1, v5, v1
	v_lshlrev_b32_e32 v69, 2, v6
	ds_bpermute_b32 v1, v69, v1
	v_cmp_eq_u32_e64 s[28:29], 0, v68
	s_waitcnt lgkmcnt(0)
	s_barrier
	s_and_saveexec_b64 s[30:31], s[4:5]
	s_cbranch_execz .LBB1872_403
; %bb.402:                              ;   in Loop: Header=BB1872_17 Depth=1
	v_cndmask_b32_e64 v1, v1, v5, s[28:29]
	v_add_u32_e32 v1, s51, v1
	ds_write_b32 v3, v1
.LBB1872_403:                           ;   in Loop: Header=BB1872_17 Depth=1
	s_or_b64 exec, exec, s[30:31]
	s_load_dwordx2 s[30:31], s[74:75], 0x0
	v_and_b32_e32 v21, 63, v68
	v_lshlrev_b32_e32 v22, 3, v21
	v_add_co_u32_e32 v77, vcc, v60, v22
	s_waitcnt lgkmcnt(0)
	s_cmp_lt_u32 s50, s30
	s_cselect_b32 s34, 12, 18
	s_cmp_lt_u32 s33, s31
	s_cselect_b32 s30, 14, 20
	s_add_u32 s30, s74, s30
	s_addc_u32 s31, s75, 0
	s_add_u32 s34, s74, s34
	global_load_ushort v5, v4, s[30:31]
	s_addc_u32 s35, s75, 0
	global_load_ushort v20, v4, s[34:35]
	v_or_b32_e32 v74, v21, v38
	v_lshlrev_b32_e32 v21, 1, v21
	v_addc_co_u32_e32 v79, vcc, 0, v61, vcc
	v_add_co_u32_e32 v88, vcc, v62, v21
	v_addc_co_u32_e32 v89, vcc, 0, v63, vcc
	v_add_co_u32_e32 v90, vcc, 0x380, v88
	v_cmp_eq_u32_e64 s[30:31], 0, v0
	v_cmp_lt_u32_e64 s[34:35], 1, v0
	s_mov_b32 s79, s71
	v_or_b32_e32 v81, 64, v74
	v_or_b32_e32 v82, 0x80, v74
	;; [unrolled: 1-line block ×7, first 2 shown]
	v_addc_co_u32_e32 v91, vcc, 0, v89, vcc
	s_mov_b32 s72, s51
                                        ; implicit-def: $vgpr0_vgpr1
                                        ; implicit-def: $vgpr6_vgpr7
                                        ; implicit-def: $vgpr8_vgpr9
                                        ; implicit-def: $vgpr10_vgpr11
                                        ; implicit-def: $vgpr12_vgpr13
                                        ; implicit-def: $vgpr14_vgpr15
                                        ; implicit-def: $vgpr16_vgpr17
                                        ; implicit-def: $vgpr18_vgpr19
                                        ; implicit-def: $vgpr70
                                        ; implicit-def: $vgpr71
                                        ; implicit-def: $vgpr72
                                        ; implicit-def: $vgpr73
                                        ; implicit-def: $vgpr75
                                        ; implicit-def: $vgpr76
                                        ; implicit-def: $vgpr78
                                        ; implicit-def: $vgpr80
	s_waitcnt vmcnt(1)
	v_mad_u32_u24 v5, v39, v5, v40
	s_waitcnt vmcnt(0)
	v_mad_u64_u32 v[20:21], s[36:37], v5, v20, v[2:3]
	v_lshrrev_b32_e32 v92, 6, v20
	s_branch .LBB1872_405
.LBB1872_404:                           ;   in Loop: Header=BB1872_405 Depth=2
	s_or_b64 exec, exec, s[36:37]
	s_addk_i32 s79, 0xf800
	s_cmp_lt_u32 s80, s76
	s_mov_b32 s72, s80
	s_cbranch_scc0 .LBB1872_517
.LBB1872_405:                           ;   Parent Loop BB1872_17 Depth=1
                                        ; =>  This Inner Loop Header: Depth=2
	s_add_i32 s80, s72, 0x800
	s_cmp_gt_u32 s80, s76
	s_cbranch_scc1 .LBB1872_408
; %bb.406:                              ;   in Loop: Header=BB1872_405 Depth=2
	s_lshl_b64 s[36:37], s[72:73], 1
	v_mov_b32_e32 v5, s37
	v_add_co_u32_e32 v20, vcc, s36, v88
	v_addc_co_u32_e32 v21, vcc, v89, v5, vcc
	global_load_ushort v5, v[20:21], off
	global_load_ushort v97, v[20:21], off offset:128
	global_load_ushort v101, v[20:21], off offset:256
	;; [unrolled: 1-line block ×6, first 2 shown]
	s_mov_b64 s[36:37], -1
	s_movk_i32 s40, 0x800
	s_cbranch_execz .LBB1872_409
; %bb.407:                              ;   in Loop: Header=BB1872_405 Depth=2
                                        ; implicit-def: $sgpr38
	v_mov_b32_e32 v23, s38
	v_mov_b32_e32 v93, s79
	s_and_saveexec_b64 s[38:39], s[36:37]
	s_cbranch_execnz .LBB1872_424
	s_branch .LBB1872_425
.LBB1872_408:                           ;   in Loop: Header=BB1872_405 Depth=2
	s_mov_b64 s[36:37], 0
                                        ; implicit-def: $sgpr40
                                        ; implicit-def: $vgpr5
                                        ; implicit-def: $vgpr97
                                        ; implicit-def: $vgpr101
                                        ; implicit-def: $vgpr106
                                        ; implicit-def: $vgpr109
                                        ; implicit-def: $vgpr104
                                        ; implicit-def: $vgpr22
.LBB1872_409:                           ;   in Loop: Header=BB1872_405 Depth=2
	s_lshl_b64 s[36:37], s[72:73], 1
	s_waitcnt vmcnt(6)
	v_mov_b32_e32 v5, s37
	v_add_co_u32_e32 v20, vcc, s36, v88
	v_addc_co_u32_e32 v21, vcc, v89, v5, vcc
	v_cmp_gt_u32_e32 vcc, s79, v74
	s_waitcnt vmcnt(5)
	v_mov_b32_e32 v97, 0x7fff
	v_mov_b32_e32 v5, 0x7fff
	s_and_saveexec_b64 s[36:37], vcc
	s_cbranch_execz .LBB1872_411
; %bb.410:                              ;   in Loop: Header=BB1872_405 Depth=2
	global_load_ushort v5, v[20:21], off
.LBB1872_411:                           ;   in Loop: Header=BB1872_405 Depth=2
	s_or_b64 exec, exec, s[36:37]
	v_cmp_gt_u32_e32 vcc, s79, v81
	s_and_saveexec_b64 s[36:37], vcc
	s_cbranch_execz .LBB1872_413
; %bb.412:                              ;   in Loop: Header=BB1872_405 Depth=2
	global_load_ushort v97, v[20:21], off offset:128
.LBB1872_413:                           ;   in Loop: Header=BB1872_405 Depth=2
	s_or_b64 exec, exec, s[36:37]
	v_cmp_gt_u32_e32 vcc, s79, v82
	s_waitcnt vmcnt(3)
	v_mov_b32_e32 v106, 0x7fff
	v_mov_b32_e32 v101, 0x7fff
	s_and_saveexec_b64 s[36:37], vcc
	s_cbranch_execz .LBB1872_415
; %bb.414:                              ;   in Loop: Header=BB1872_405 Depth=2
	global_load_ushort v101, v[20:21], off offset:256
.LBB1872_415:                           ;   in Loop: Header=BB1872_405 Depth=2
	s_or_b64 exec, exec, s[36:37]
	v_cmp_gt_u32_e32 vcc, s79, v83
	s_and_saveexec_b64 s[36:37], vcc
	s_cbranch_execz .LBB1872_417
; %bb.416:                              ;   in Loop: Header=BB1872_405 Depth=2
	global_load_ushort v106, v[20:21], off offset:384
.LBB1872_417:                           ;   in Loop: Header=BB1872_405 Depth=2
	s_or_b64 exec, exec, s[36:37]
	v_cmp_gt_u32_e32 vcc, s79, v84
	s_waitcnt vmcnt(1)
	v_mov_b32_e32 v104, 0x7fff
	v_mov_b32_e32 v109, 0x7fff
	s_and_saveexec_b64 s[36:37], vcc
	s_cbranch_execz .LBB1872_419
; %bb.418:                              ;   in Loop: Header=BB1872_405 Depth=2
	global_load_ushort v109, v[20:21], off offset:512
.LBB1872_419:                           ;   in Loop: Header=BB1872_405 Depth=2
	s_or_b64 exec, exec, s[36:37]
	v_cmp_gt_u32_e32 vcc, s79, v85
	s_and_saveexec_b64 s[36:37], vcc
	s_cbranch_execz .LBB1872_421
; %bb.420:                              ;   in Loop: Header=BB1872_405 Depth=2
	global_load_ushort v104, v[20:21], off offset:640
.LBB1872_421:                           ;   in Loop: Header=BB1872_405 Depth=2
	s_or_b64 exec, exec, s[36:37]
	v_cmp_gt_u32_e32 vcc, s79, v86
	s_waitcnt vmcnt(0)
	v_mov_b32_e32 v22, 0x7fff
	s_and_saveexec_b64 s[36:37], vcc
	s_cbranch_execz .LBB1872_423
; %bb.422:                              ;   in Loop: Header=BB1872_405 Depth=2
	global_load_ushort v22, v[20:21], off offset:768
.LBB1872_423:                           ;   in Loop: Header=BB1872_405 Depth=2
	s_or_b64 exec, exec, s[36:37]
	s_sub_i32 s40, s76, s72
	v_cmp_gt_u32_e64 s[36:37], s79, v87
	s_movk_i32 s38, 0x7fff
	v_mov_b32_e32 v23, s38
	v_mov_b32_e32 v93, s79
	s_and_saveexec_b64 s[38:39], s[36:37]
	s_cbranch_execz .LBB1872_425
.LBB1872_424:                           ;   in Loop: Header=BB1872_405 Depth=2
	s_lshl_b64 s[36:37], s[72:73], 1
	v_mov_b32_e32 v21, s37
	v_add_co_u32_e32 v20, vcc, s36, v90
	v_addc_co_u32_e32 v21, vcc, v91, v21, vcc
	global_load_ushort v23, v[20:21], off
	v_mov_b32_e32 v93, s40
.LBB1872_425:                           ;   in Loop: Header=BB1872_405 Depth=2
	s_or_b64 exec, exec, s[38:39]
	s_waitcnt vmcnt(6)
	v_cmp_lt_i16_e32 vcc, -1, v5
	v_cndmask_b32_e32 v20, -1, v66, vcc
	v_xor_b32_e32 v94, v20, v5
	v_add_u32_e32 v5, 0x410, v41
	v_cmp_ne_u16_e32 vcc, s68, v94
	ds_write2_b32 v5, v4, v4 offset1:1
	ds_write2_b32 v43, v4, v4 offset0:2 offset1:3
	ds_write_b32 v43, v4 offset:16
	v_cndmask_b32_e32 v5, v66, v94, vcc
	v_lshrrev_b32_sdwa v5, s69, v5 dst_sel:DWORD dst_unused:UNUSED_PAD src0_sel:DWORD src1_sel:WORD_0
	v_and_b32_e32 v20, s78, v5
	v_mad_u32_u24 v5, v20, 5, v92
	v_lshl_add_u32 v95, v5, 2, v42
	v_and_b32_e32 v5, 1, v20
	v_add_co_u32_e32 v21, vcc, -1, v5
	v_addc_co_u32_e64 v96, s[36:37], 0, -1, vcc
	v_cmp_ne_u32_e32 vcc, 0, v5
	v_xor_b32_e32 v5, vcc_hi, v96
	v_and_b32_e32 v96, exec_hi, v5
	v_lshlrev_b32_e32 v5, 30, v20
	v_xor_b32_e32 v21, vcc_lo, v21
	v_cmp_gt_i64_e32 vcc, 0, v[4:5]
	v_not_b32_e32 v5, v5
	v_ashrrev_i32_e32 v5, 31, v5
	v_and_b32_e32 v21, exec_lo, v21
	v_xor_b32_e32 v98, vcc_hi, v5
	v_xor_b32_e32 v5, vcc_lo, v5
	v_and_b32_e32 v21, v21, v5
	v_lshlrev_b32_e32 v5, 29, v20
	v_cmp_gt_i64_e32 vcc, 0, v[4:5]
	v_not_b32_e32 v5, v5
	v_ashrrev_i32_e32 v5, 31, v5
	v_and_b32_e32 v96, v96, v98
	v_xor_b32_e32 v98, vcc_hi, v5
	v_xor_b32_e32 v5, vcc_lo, v5
	v_and_b32_e32 v21, v21, v5
	v_lshlrev_b32_e32 v5, 28, v20
	v_cmp_gt_i64_e32 vcc, 0, v[4:5]
	v_not_b32_e32 v5, v5
	v_ashrrev_i32_e32 v5, 31, v5
	v_and_b32_e32 v96, v96, v98
	;; [unrolled: 8-line block ×5, first 2 shown]
	v_xor_b32_e32 v98, vcc_hi, v5
	v_xor_b32_e32 v5, vcc_lo, v5
	v_and_b32_e32 v96, v96, v98
	v_and_b32_e32 v98, v21, v5
	v_lshlrev_b32_e32 v5, 24, v20
	v_cmp_gt_i64_e32 vcc, 0, v[4:5]
	v_not_b32_e32 v5, v5
	v_ashrrev_i32_e32 v5, 31, v5
	v_xor_b32_e32 v20, vcc_hi, v5
	v_xor_b32_e32 v5, vcc_lo, v5
	v_and_b32_e32 v21, v96, v20
	v_and_b32_e32 v20, v98, v5
	v_mbcnt_lo_u32_b32 v5, v20, 0
	v_mbcnt_hi_u32_b32 v96, v21, v5
	v_cmp_eq_u32_e32 vcc, 0, v96
	v_cmp_ne_u64_e64 s[36:37], 0, v[20:21]
	s_and_b64 s[38:39], s[36:37], vcc
	s_waitcnt lgkmcnt(0)
	s_barrier
	s_waitcnt lgkmcnt(0)
	; wave barrier
	s_and_saveexec_b64 s[36:37], s[38:39]
	s_cbranch_execz .LBB1872_427
; %bb.426:                              ;   in Loop: Header=BB1872_405 Depth=2
	v_bcnt_u32_b32 v5, v20, 0
	v_bcnt_u32_b32 v5, v21, v5
	ds_write_b32 v95, v5
.LBB1872_427:                           ;   in Loop: Header=BB1872_405 Depth=2
	s_or_b64 exec, exec, s[36:37]
	s_waitcnt vmcnt(5)
	v_cmp_lt_i16_e32 vcc, -1, v97
	v_cndmask_b32_e32 v5, -1, v66, vcc
	v_xor_b32_e32 v97, v5, v97
	v_cmp_ne_u16_e32 vcc, s68, v97
	v_cndmask_b32_e32 v5, v66, v97, vcc
	v_lshrrev_b32_sdwa v5, s69, v5 dst_sel:DWORD dst_unused:UNUSED_PAD src0_sel:DWORD src1_sel:WORD_0
	v_and_b32_e32 v20, s78, v5
	v_mul_u32_u24_e32 v5, 5, v20
	v_add_lshl_u32 v5, v5, v92, 2
	; wave barrier
	v_add_u32_e32 v99, 0x410, v5
	ds_read_b32 v98, v5 offset:1040
	v_and_b32_e32 v5, 1, v20
	v_add_co_u32_e32 v21, vcc, -1, v5
	v_addc_co_u32_e64 v100, s[36:37], 0, -1, vcc
	v_cmp_ne_u32_e32 vcc, 0, v5
	v_xor_b32_e32 v5, vcc_hi, v100
	v_and_b32_e32 v100, exec_hi, v5
	v_lshlrev_b32_e32 v5, 30, v20
	v_xor_b32_e32 v21, vcc_lo, v21
	v_cmp_gt_i64_e32 vcc, 0, v[4:5]
	v_not_b32_e32 v5, v5
	v_ashrrev_i32_e32 v5, 31, v5
	v_and_b32_e32 v21, exec_lo, v21
	v_xor_b32_e32 v102, vcc_hi, v5
	v_xor_b32_e32 v5, vcc_lo, v5
	v_and_b32_e32 v21, v21, v5
	v_lshlrev_b32_e32 v5, 29, v20
	v_cmp_gt_i64_e32 vcc, 0, v[4:5]
	v_not_b32_e32 v5, v5
	v_ashrrev_i32_e32 v5, 31, v5
	v_and_b32_e32 v100, v100, v102
	v_xor_b32_e32 v102, vcc_hi, v5
	v_xor_b32_e32 v5, vcc_lo, v5
	v_and_b32_e32 v21, v21, v5
	v_lshlrev_b32_e32 v5, 28, v20
	v_cmp_gt_i64_e32 vcc, 0, v[4:5]
	v_not_b32_e32 v5, v5
	v_ashrrev_i32_e32 v5, 31, v5
	v_and_b32_e32 v100, v100, v102
	;; [unrolled: 8-line block ×5, first 2 shown]
	v_xor_b32_e32 v102, vcc_hi, v5
	v_xor_b32_e32 v5, vcc_lo, v5
	v_and_b32_e32 v100, v100, v102
	v_and_b32_e32 v102, v21, v5
	v_lshlrev_b32_e32 v5, 24, v20
	v_cmp_gt_i64_e32 vcc, 0, v[4:5]
	v_not_b32_e32 v5, v5
	v_ashrrev_i32_e32 v5, 31, v5
	v_xor_b32_e32 v20, vcc_hi, v5
	v_xor_b32_e32 v5, vcc_lo, v5
	v_and_b32_e32 v21, v100, v20
	v_and_b32_e32 v20, v102, v5
	v_mbcnt_lo_u32_b32 v5, v20, 0
	v_mbcnt_hi_u32_b32 v100, v21, v5
	v_cmp_eq_u32_e32 vcc, 0, v100
	v_cmp_ne_u64_e64 s[36:37], 0, v[20:21]
	s_and_b64 s[38:39], s[36:37], vcc
	; wave barrier
	s_and_saveexec_b64 s[36:37], s[38:39]
	s_cbranch_execz .LBB1872_429
; %bb.428:                              ;   in Loop: Header=BB1872_405 Depth=2
	v_bcnt_u32_b32 v5, v20, 0
	v_bcnt_u32_b32 v5, v21, v5
	s_waitcnt lgkmcnt(0)
	v_add_u32_e32 v5, v98, v5
	ds_write_b32 v99, v5
.LBB1872_429:                           ;   in Loop: Header=BB1872_405 Depth=2
	s_or_b64 exec, exec, s[36:37]
	s_waitcnt vmcnt(4)
	v_cmp_lt_i16_e32 vcc, -1, v101
	v_cndmask_b32_e32 v5, -1, v66, vcc
	v_xor_b32_e32 v101, v5, v101
	v_cmp_ne_u16_e32 vcc, s68, v101
	v_cndmask_b32_e32 v5, v66, v101, vcc
	v_lshrrev_b32_sdwa v5, s69, v5 dst_sel:DWORD dst_unused:UNUSED_PAD src0_sel:DWORD src1_sel:WORD_0
	v_and_b32_e32 v20, s78, v5
	v_mul_u32_u24_e32 v5, 5, v20
	v_add_lshl_u32 v5, v5, v92, 2
	; wave barrier
	v_add_u32_e32 v103, 0x410, v5
	ds_read_b32 v102, v5 offset:1040
	v_and_b32_e32 v5, 1, v20
	v_add_co_u32_e32 v21, vcc, -1, v5
	v_addc_co_u32_e64 v105, s[36:37], 0, -1, vcc
	v_cmp_ne_u32_e32 vcc, 0, v5
	v_xor_b32_e32 v5, vcc_hi, v105
	v_and_b32_e32 v105, exec_hi, v5
	v_lshlrev_b32_e32 v5, 30, v20
	v_xor_b32_e32 v21, vcc_lo, v21
	v_cmp_gt_i64_e32 vcc, 0, v[4:5]
	v_not_b32_e32 v5, v5
	v_ashrrev_i32_e32 v5, 31, v5
	v_and_b32_e32 v21, exec_lo, v21
	v_xor_b32_e32 v107, vcc_hi, v5
	v_xor_b32_e32 v5, vcc_lo, v5
	v_and_b32_e32 v21, v21, v5
	v_lshlrev_b32_e32 v5, 29, v20
	v_cmp_gt_i64_e32 vcc, 0, v[4:5]
	v_not_b32_e32 v5, v5
	v_ashrrev_i32_e32 v5, 31, v5
	v_and_b32_e32 v105, v105, v107
	v_xor_b32_e32 v107, vcc_hi, v5
	v_xor_b32_e32 v5, vcc_lo, v5
	v_and_b32_e32 v21, v21, v5
	v_lshlrev_b32_e32 v5, 28, v20
	v_cmp_gt_i64_e32 vcc, 0, v[4:5]
	v_not_b32_e32 v5, v5
	v_ashrrev_i32_e32 v5, 31, v5
	v_and_b32_e32 v105, v105, v107
	;; [unrolled: 8-line block ×5, first 2 shown]
	v_xor_b32_e32 v107, vcc_hi, v5
	v_xor_b32_e32 v5, vcc_lo, v5
	v_and_b32_e32 v105, v105, v107
	v_and_b32_e32 v107, v21, v5
	v_lshlrev_b32_e32 v5, 24, v20
	v_cmp_gt_i64_e32 vcc, 0, v[4:5]
	v_not_b32_e32 v5, v5
	v_ashrrev_i32_e32 v5, 31, v5
	v_xor_b32_e32 v20, vcc_hi, v5
	v_xor_b32_e32 v5, vcc_lo, v5
	v_and_b32_e32 v21, v105, v20
	v_and_b32_e32 v20, v107, v5
	v_mbcnt_lo_u32_b32 v5, v20, 0
	v_mbcnt_hi_u32_b32 v105, v21, v5
	v_cmp_eq_u32_e32 vcc, 0, v105
	v_cmp_ne_u64_e64 s[36:37], 0, v[20:21]
	s_and_b64 s[38:39], s[36:37], vcc
	; wave barrier
	s_and_saveexec_b64 s[36:37], s[38:39]
	s_cbranch_execz .LBB1872_431
; %bb.430:                              ;   in Loop: Header=BB1872_405 Depth=2
	v_bcnt_u32_b32 v5, v20, 0
	v_bcnt_u32_b32 v5, v21, v5
	s_waitcnt lgkmcnt(0)
	v_add_u32_e32 v5, v102, v5
	ds_write_b32 v103, v5
.LBB1872_431:                           ;   in Loop: Header=BB1872_405 Depth=2
	s_or_b64 exec, exec, s[36:37]
	s_waitcnt vmcnt(3)
	v_cmp_lt_i16_e32 vcc, -1, v106
	v_cndmask_b32_e32 v5, -1, v66, vcc
	v_xor_b32_e32 v106, v5, v106
	v_cmp_ne_u16_e32 vcc, s68, v106
	v_cndmask_b32_e32 v5, v66, v106, vcc
	v_lshrrev_b32_sdwa v5, s69, v5 dst_sel:DWORD dst_unused:UNUSED_PAD src0_sel:DWORD src1_sel:WORD_0
	v_and_b32_e32 v20, s78, v5
	v_mul_u32_u24_e32 v5, 5, v20
	v_add_lshl_u32 v5, v5, v92, 2
	; wave barrier
	v_add_u32_e32 v108, 0x410, v5
	ds_read_b32 v107, v5 offset:1040
	v_and_b32_e32 v5, 1, v20
	v_add_co_u32_e32 v21, vcc, -1, v5
	v_addc_co_u32_e64 v110, s[36:37], 0, -1, vcc
	v_cmp_ne_u32_e32 vcc, 0, v5
	v_xor_b32_e32 v5, vcc_hi, v110
	v_and_b32_e32 v110, exec_hi, v5
	v_lshlrev_b32_e32 v5, 30, v20
	v_xor_b32_e32 v21, vcc_lo, v21
	v_cmp_gt_i64_e32 vcc, 0, v[4:5]
	v_not_b32_e32 v5, v5
	v_ashrrev_i32_e32 v5, 31, v5
	v_and_b32_e32 v21, exec_lo, v21
	v_xor_b32_e32 v111, vcc_hi, v5
	v_xor_b32_e32 v5, vcc_lo, v5
	v_and_b32_e32 v21, v21, v5
	v_lshlrev_b32_e32 v5, 29, v20
	v_cmp_gt_i64_e32 vcc, 0, v[4:5]
	v_not_b32_e32 v5, v5
	v_ashrrev_i32_e32 v5, 31, v5
	v_and_b32_e32 v110, v110, v111
	v_xor_b32_e32 v111, vcc_hi, v5
	v_xor_b32_e32 v5, vcc_lo, v5
	v_and_b32_e32 v21, v21, v5
	v_lshlrev_b32_e32 v5, 28, v20
	v_cmp_gt_i64_e32 vcc, 0, v[4:5]
	v_not_b32_e32 v5, v5
	v_ashrrev_i32_e32 v5, 31, v5
	v_and_b32_e32 v110, v110, v111
	;; [unrolled: 8-line block ×5, first 2 shown]
	v_xor_b32_e32 v111, vcc_hi, v5
	v_xor_b32_e32 v5, vcc_lo, v5
	v_and_b32_e32 v110, v110, v111
	v_and_b32_e32 v111, v21, v5
	v_lshlrev_b32_e32 v5, 24, v20
	v_cmp_gt_i64_e32 vcc, 0, v[4:5]
	v_not_b32_e32 v5, v5
	v_ashrrev_i32_e32 v5, 31, v5
	v_xor_b32_e32 v20, vcc_hi, v5
	v_xor_b32_e32 v5, vcc_lo, v5
	v_and_b32_e32 v21, v110, v20
	v_and_b32_e32 v20, v111, v5
	v_mbcnt_lo_u32_b32 v5, v20, 0
	v_mbcnt_hi_u32_b32 v110, v21, v5
	v_cmp_eq_u32_e32 vcc, 0, v110
	v_cmp_ne_u64_e64 s[36:37], 0, v[20:21]
	s_and_b64 s[38:39], s[36:37], vcc
	; wave barrier
	s_and_saveexec_b64 s[36:37], s[38:39]
	s_cbranch_execz .LBB1872_433
; %bb.432:                              ;   in Loop: Header=BB1872_405 Depth=2
	v_bcnt_u32_b32 v5, v20, 0
	v_bcnt_u32_b32 v5, v21, v5
	s_waitcnt lgkmcnt(0)
	v_add_u32_e32 v5, v107, v5
	ds_write_b32 v108, v5
.LBB1872_433:                           ;   in Loop: Header=BB1872_405 Depth=2
	s_or_b64 exec, exec, s[36:37]
	s_waitcnt vmcnt(2)
	v_cmp_lt_i16_e32 vcc, -1, v109
	v_cndmask_b32_e32 v5, -1, v66, vcc
	v_xor_b32_e32 v109, v5, v109
	v_cmp_ne_u16_e32 vcc, s68, v109
	v_cndmask_b32_e32 v5, v66, v109, vcc
	v_lshrrev_b32_sdwa v5, s69, v5 dst_sel:DWORD dst_unused:UNUSED_PAD src0_sel:DWORD src1_sel:WORD_0
	v_and_b32_e32 v20, s78, v5
	v_mul_u32_u24_e32 v5, 5, v20
	v_add_lshl_u32 v5, v5, v92, 2
	; wave barrier
	v_add_u32_e32 v112, 0x410, v5
	ds_read_b32 v111, v5 offset:1040
	v_and_b32_e32 v5, 1, v20
	v_add_co_u32_e32 v21, vcc, -1, v5
	v_addc_co_u32_e64 v113, s[36:37], 0, -1, vcc
	v_cmp_ne_u32_e32 vcc, 0, v5
	v_xor_b32_e32 v5, vcc_hi, v113
	v_and_b32_e32 v113, exec_hi, v5
	v_lshlrev_b32_e32 v5, 30, v20
	v_xor_b32_e32 v21, vcc_lo, v21
	v_cmp_gt_i64_e32 vcc, 0, v[4:5]
	v_not_b32_e32 v5, v5
	v_ashrrev_i32_e32 v5, 31, v5
	v_and_b32_e32 v21, exec_lo, v21
	v_xor_b32_e32 v114, vcc_hi, v5
	v_xor_b32_e32 v5, vcc_lo, v5
	v_and_b32_e32 v21, v21, v5
	v_lshlrev_b32_e32 v5, 29, v20
	v_cmp_gt_i64_e32 vcc, 0, v[4:5]
	v_not_b32_e32 v5, v5
	v_ashrrev_i32_e32 v5, 31, v5
	v_and_b32_e32 v113, v113, v114
	v_xor_b32_e32 v114, vcc_hi, v5
	v_xor_b32_e32 v5, vcc_lo, v5
	v_and_b32_e32 v21, v21, v5
	v_lshlrev_b32_e32 v5, 28, v20
	v_cmp_gt_i64_e32 vcc, 0, v[4:5]
	v_not_b32_e32 v5, v5
	v_ashrrev_i32_e32 v5, 31, v5
	v_and_b32_e32 v113, v113, v114
	;; [unrolled: 8-line block ×5, first 2 shown]
	v_xor_b32_e32 v114, vcc_hi, v5
	v_xor_b32_e32 v5, vcc_lo, v5
	v_and_b32_e32 v113, v113, v114
	v_and_b32_e32 v114, v21, v5
	v_lshlrev_b32_e32 v5, 24, v20
	v_cmp_gt_i64_e32 vcc, 0, v[4:5]
	v_not_b32_e32 v5, v5
	v_ashrrev_i32_e32 v5, 31, v5
	v_xor_b32_e32 v20, vcc_hi, v5
	v_xor_b32_e32 v5, vcc_lo, v5
	v_and_b32_e32 v21, v113, v20
	v_and_b32_e32 v20, v114, v5
	v_mbcnt_lo_u32_b32 v5, v20, 0
	v_mbcnt_hi_u32_b32 v113, v21, v5
	v_cmp_eq_u32_e32 vcc, 0, v113
	v_cmp_ne_u64_e64 s[36:37], 0, v[20:21]
	s_and_b64 s[38:39], s[36:37], vcc
	; wave barrier
	s_and_saveexec_b64 s[36:37], s[38:39]
	s_cbranch_execz .LBB1872_435
; %bb.434:                              ;   in Loop: Header=BB1872_405 Depth=2
	v_bcnt_u32_b32 v5, v20, 0
	v_bcnt_u32_b32 v5, v21, v5
	s_waitcnt lgkmcnt(0)
	v_add_u32_e32 v5, v111, v5
	ds_write_b32 v112, v5
.LBB1872_435:                           ;   in Loop: Header=BB1872_405 Depth=2
	s_or_b64 exec, exec, s[36:37]
	s_waitcnt vmcnt(1)
	v_cmp_lt_i16_e32 vcc, -1, v104
	v_cndmask_b32_e32 v5, -1, v66, vcc
	v_xor_b32_e32 v104, v5, v104
	v_cmp_ne_u16_e32 vcc, s68, v104
	v_cndmask_b32_e32 v5, v66, v104, vcc
	v_lshrrev_b32_sdwa v5, s69, v5 dst_sel:DWORD dst_unused:UNUSED_PAD src0_sel:DWORD src1_sel:WORD_0
	v_and_b32_e32 v20, s78, v5
	v_mul_u32_u24_e32 v5, 5, v20
	v_add_lshl_u32 v5, v5, v92, 2
	; wave barrier
	v_add_u32_e32 v115, 0x410, v5
	ds_read_b32 v114, v5 offset:1040
	v_and_b32_e32 v5, 1, v20
	v_add_co_u32_e32 v21, vcc, -1, v5
	v_addc_co_u32_e64 v116, s[36:37], 0, -1, vcc
	v_cmp_ne_u32_e32 vcc, 0, v5
	v_xor_b32_e32 v5, vcc_hi, v116
	v_and_b32_e32 v116, exec_hi, v5
	v_lshlrev_b32_e32 v5, 30, v20
	v_xor_b32_e32 v21, vcc_lo, v21
	v_cmp_gt_i64_e32 vcc, 0, v[4:5]
	v_not_b32_e32 v5, v5
	v_ashrrev_i32_e32 v5, 31, v5
	v_and_b32_e32 v21, exec_lo, v21
	v_xor_b32_e32 v117, vcc_hi, v5
	v_xor_b32_e32 v5, vcc_lo, v5
	v_and_b32_e32 v21, v21, v5
	v_lshlrev_b32_e32 v5, 29, v20
	v_cmp_gt_i64_e32 vcc, 0, v[4:5]
	v_not_b32_e32 v5, v5
	v_ashrrev_i32_e32 v5, 31, v5
	v_and_b32_e32 v116, v116, v117
	v_xor_b32_e32 v117, vcc_hi, v5
	v_xor_b32_e32 v5, vcc_lo, v5
	v_and_b32_e32 v21, v21, v5
	v_lshlrev_b32_e32 v5, 28, v20
	v_cmp_gt_i64_e32 vcc, 0, v[4:5]
	v_not_b32_e32 v5, v5
	v_ashrrev_i32_e32 v5, 31, v5
	v_and_b32_e32 v116, v116, v117
	;; [unrolled: 8-line block ×5, first 2 shown]
	v_xor_b32_e32 v117, vcc_hi, v5
	v_xor_b32_e32 v5, vcc_lo, v5
	v_and_b32_e32 v116, v116, v117
	v_and_b32_e32 v117, v21, v5
	v_lshlrev_b32_e32 v5, 24, v20
	v_cmp_gt_i64_e32 vcc, 0, v[4:5]
	v_not_b32_e32 v5, v5
	v_ashrrev_i32_e32 v5, 31, v5
	v_xor_b32_e32 v20, vcc_hi, v5
	v_xor_b32_e32 v5, vcc_lo, v5
	v_and_b32_e32 v21, v116, v20
	v_and_b32_e32 v20, v117, v5
	v_mbcnt_lo_u32_b32 v5, v20, 0
	v_mbcnt_hi_u32_b32 v116, v21, v5
	v_cmp_eq_u32_e32 vcc, 0, v116
	v_cmp_ne_u64_e64 s[36:37], 0, v[20:21]
	s_and_b64 s[38:39], s[36:37], vcc
	; wave barrier
	s_and_saveexec_b64 s[36:37], s[38:39]
	s_cbranch_execz .LBB1872_437
; %bb.436:                              ;   in Loop: Header=BB1872_405 Depth=2
	v_bcnt_u32_b32 v5, v20, 0
	v_bcnt_u32_b32 v5, v21, v5
	s_waitcnt lgkmcnt(0)
	v_add_u32_e32 v5, v114, v5
	ds_write_b32 v115, v5
.LBB1872_437:                           ;   in Loop: Header=BB1872_405 Depth=2
	s_or_b64 exec, exec, s[36:37]
	s_waitcnt vmcnt(0)
	v_cmp_lt_i16_e32 vcc, -1, v22
	v_cndmask_b32_e32 v5, -1, v66, vcc
	v_xor_b32_e32 v117, v5, v22
	v_cmp_ne_u16_e32 vcc, s68, v117
	v_cndmask_b32_e32 v5, v66, v117, vcc
	v_lshrrev_b32_sdwa v5, s69, v5 dst_sel:DWORD dst_unused:UNUSED_PAD src0_sel:DWORD src1_sel:WORD_0
	v_and_b32_e32 v20, s78, v5
	v_mul_u32_u24_e32 v5, 5, v20
	v_add_lshl_u32 v5, v5, v92, 2
	; wave barrier
	v_add_u32_e32 v119, 0x410, v5
	ds_read_b32 v118, v5 offset:1040
	v_and_b32_e32 v5, 1, v20
	v_add_co_u32_e32 v21, vcc, -1, v5
	v_addc_co_u32_e64 v22, s[36:37], 0, -1, vcc
	v_cmp_ne_u32_e32 vcc, 0, v5
	v_xor_b32_e32 v5, vcc_hi, v22
	v_and_b32_e32 v22, exec_hi, v5
	v_lshlrev_b32_e32 v5, 30, v20
	v_xor_b32_e32 v21, vcc_lo, v21
	v_cmp_gt_i64_e32 vcc, 0, v[4:5]
	v_not_b32_e32 v5, v5
	v_ashrrev_i32_e32 v5, 31, v5
	v_and_b32_e32 v21, exec_lo, v21
	v_xor_b32_e32 v120, vcc_hi, v5
	v_xor_b32_e32 v5, vcc_lo, v5
	v_and_b32_e32 v21, v21, v5
	v_lshlrev_b32_e32 v5, 29, v20
	v_cmp_gt_i64_e32 vcc, 0, v[4:5]
	v_not_b32_e32 v5, v5
	v_ashrrev_i32_e32 v5, 31, v5
	v_and_b32_e32 v22, v22, v120
	v_xor_b32_e32 v120, vcc_hi, v5
	v_xor_b32_e32 v5, vcc_lo, v5
	v_and_b32_e32 v21, v21, v5
	v_lshlrev_b32_e32 v5, 28, v20
	v_cmp_gt_i64_e32 vcc, 0, v[4:5]
	v_not_b32_e32 v5, v5
	v_ashrrev_i32_e32 v5, 31, v5
	v_and_b32_e32 v22, v22, v120
	;; [unrolled: 8-line block ×5, first 2 shown]
	v_xor_b32_e32 v120, vcc_hi, v5
	v_xor_b32_e32 v5, vcc_lo, v5
	v_and_b32_e32 v22, v22, v120
	v_and_b32_e32 v120, v21, v5
	v_lshlrev_b32_e32 v5, 24, v20
	v_cmp_gt_i64_e32 vcc, 0, v[4:5]
	v_not_b32_e32 v5, v5
	v_ashrrev_i32_e32 v5, 31, v5
	v_xor_b32_e32 v20, vcc_hi, v5
	v_xor_b32_e32 v5, vcc_lo, v5
	v_and_b32_e32 v21, v22, v20
	v_and_b32_e32 v20, v120, v5
	v_mbcnt_lo_u32_b32 v5, v20, 0
	v_mbcnt_hi_u32_b32 v120, v21, v5
	v_cmp_eq_u32_e32 vcc, 0, v120
	v_cmp_ne_u64_e64 s[36:37], 0, v[20:21]
	s_and_b64 s[38:39], s[36:37], vcc
	; wave barrier
	s_and_saveexec_b64 s[36:37], s[38:39]
	s_cbranch_execz .LBB1872_439
; %bb.438:                              ;   in Loop: Header=BB1872_405 Depth=2
	v_bcnt_u32_b32 v5, v20, 0
	v_bcnt_u32_b32 v5, v21, v5
	s_waitcnt lgkmcnt(0)
	v_add_u32_e32 v5, v118, v5
	ds_write_b32 v119, v5
.LBB1872_439:                           ;   in Loop: Header=BB1872_405 Depth=2
	s_or_b64 exec, exec, s[36:37]
	v_cmp_lt_i16_e32 vcc, -1, v23
	v_cndmask_b32_e32 v5, -1, v66, vcc
	v_xor_b32_e32 v121, v5, v23
	v_cmp_ne_u16_e32 vcc, s68, v121
	v_cndmask_b32_e32 v5, v66, v121, vcc
	v_lshrrev_b32_sdwa v5, s69, v5 dst_sel:DWORD dst_unused:UNUSED_PAD src0_sel:DWORD src1_sel:WORD_0
	v_and_b32_e32 v20, s78, v5
	v_mul_u32_u24_e32 v5, 5, v20
	v_add_lshl_u32 v5, v5, v92, 2
	; wave barrier
	v_add_u32_e32 v123, 0x410, v5
	ds_read_b32 v122, v5 offset:1040
	v_and_b32_e32 v5, 1, v20
	v_add_co_u32_e32 v21, vcc, -1, v5
	v_addc_co_u32_e64 v22, s[36:37], 0, -1, vcc
	v_cmp_ne_u32_e32 vcc, 0, v5
	v_xor_b32_e32 v5, vcc_hi, v22
	v_and_b32_e32 v22, exec_hi, v5
	v_lshlrev_b32_e32 v5, 30, v20
	v_xor_b32_e32 v21, vcc_lo, v21
	v_cmp_gt_i64_e32 vcc, 0, v[4:5]
	v_not_b32_e32 v5, v5
	v_ashrrev_i32_e32 v5, 31, v5
	v_and_b32_e32 v21, exec_lo, v21
	v_xor_b32_e32 v23, vcc_hi, v5
	v_xor_b32_e32 v5, vcc_lo, v5
	v_and_b32_e32 v21, v21, v5
	v_lshlrev_b32_e32 v5, 29, v20
	v_cmp_gt_i64_e32 vcc, 0, v[4:5]
	v_not_b32_e32 v5, v5
	v_ashrrev_i32_e32 v5, 31, v5
	v_and_b32_e32 v22, v22, v23
	v_xor_b32_e32 v23, vcc_hi, v5
	v_xor_b32_e32 v5, vcc_lo, v5
	v_and_b32_e32 v21, v21, v5
	v_lshlrev_b32_e32 v5, 28, v20
	v_cmp_gt_i64_e32 vcc, 0, v[4:5]
	v_not_b32_e32 v5, v5
	v_ashrrev_i32_e32 v5, 31, v5
	v_and_b32_e32 v22, v22, v23
	;; [unrolled: 8-line block ×5, first 2 shown]
	v_xor_b32_e32 v23, vcc_hi, v5
	v_xor_b32_e32 v5, vcc_lo, v5
	v_and_b32_e32 v22, v22, v23
	v_and_b32_e32 v23, v21, v5
	v_lshlrev_b32_e32 v5, 24, v20
	v_cmp_gt_i64_e32 vcc, 0, v[4:5]
	v_not_b32_e32 v5, v5
	v_ashrrev_i32_e32 v5, 31, v5
	v_xor_b32_e32 v20, vcc_hi, v5
	v_xor_b32_e32 v5, vcc_lo, v5
	v_and_b32_e32 v21, v22, v20
	v_and_b32_e32 v20, v23, v5
	v_mbcnt_lo_u32_b32 v5, v20, 0
	v_mbcnt_hi_u32_b32 v124, v21, v5
	v_cmp_eq_u32_e32 vcc, 0, v124
	v_cmp_ne_u64_e64 s[36:37], 0, v[20:21]
	s_and_b64 s[38:39], s[36:37], vcc
	; wave barrier
	s_and_saveexec_b64 s[36:37], s[38:39]
	s_cbranch_execz .LBB1872_441
; %bb.440:                              ;   in Loop: Header=BB1872_405 Depth=2
	v_bcnt_u32_b32 v5, v20, 0
	v_bcnt_u32_b32 v5, v21, v5
	s_waitcnt lgkmcnt(0)
	v_add_u32_e32 v5, v122, v5
	ds_write_b32 v123, v5
.LBB1872_441:                           ;   in Loop: Header=BB1872_405 Depth=2
	s_or_b64 exec, exec, s[36:37]
	; wave barrier
	s_waitcnt lgkmcnt(0)
	s_barrier
	ds_read_b32 v5, v41 offset:1040
	ds_read2_b32 v[22:23], v43 offset0:1 offset1:2
	ds_read2_b32 v[20:21], v43 offset0:3 offset1:4
	s_waitcnt lgkmcnt(1)
	v_add3_u32 v125, v22, v5, v23
	s_waitcnt lgkmcnt(0)
	v_add3_u32 v21, v125, v20, v21
	s_nop 1
	v_mov_b32_dpp v125, v21 row_shr:1 row_mask:0xf bank_mask:0xf
	v_cndmask_b32_e64 v125, v125, 0, s[16:17]
	v_add_u32_e32 v21, v125, v21
	s_nop 1
	v_mov_b32_dpp v125, v21 row_shr:2 row_mask:0xf bank_mask:0xf
	v_cndmask_b32_e64 v125, 0, v125, s[18:19]
	v_add_u32_e32 v21, v21, v125
	;; [unrolled: 4-line block ×4, first 2 shown]
	s_nop 1
	v_mov_b32_dpp v125, v21 row_bcast:15 row_mask:0xf bank_mask:0xf
	v_cndmask_b32_e64 v125, v125, 0, s[24:25]
	v_add_u32_e32 v21, v21, v125
	s_nop 1
	v_mov_b32_dpp v125, v21 row_bcast:31 row_mask:0xf bank_mask:0xf
	v_cndmask_b32_e64 v125, 0, v125, s[26:27]
	v_add_u32_e32 v21, v21, v125
	s_and_saveexec_b64 s[36:37], s[6:7]
	s_cbranch_execz .LBB1872_443
; %bb.442:                              ;   in Loop: Header=BB1872_405 Depth=2
	ds_write_b32 v34, v21 offset:1024
.LBB1872_443:                           ;   in Loop: Header=BB1872_405 Depth=2
	s_or_b64 exec, exec, s[36:37]
	s_waitcnt lgkmcnt(0)
	s_barrier
	s_and_saveexec_b64 s[36:37], s[8:9]
	s_cbranch_execz .LBB1872_445
; %bb.444:                              ;   in Loop: Header=BB1872_405 Depth=2
	ds_read_b32 v125, v44 offset:1024
	s_waitcnt lgkmcnt(0)
	s_nop 0
	v_mov_b32_dpp v126, v125 row_shr:1 row_mask:0xf bank_mask:0xf
	v_cndmask_b32_e64 v126, v126, 0, s[30:31]
	v_add_u32_e32 v125, v126, v125
	s_nop 1
	v_mov_b32_dpp v126, v125 row_shr:2 row_mask:0xf bank_mask:0xf
	v_cndmask_b32_e64 v126, 0, v126, s[34:35]
	v_add_u32_e32 v125, v125, v126
	ds_write_b32 v44, v125 offset:1024
.LBB1872_445:                           ;   in Loop: Header=BB1872_405 Depth=2
	s_or_b64 exec, exec, s[36:37]
	v_mov_b32_e32 v125, 0
	s_waitcnt lgkmcnt(0)
	s_barrier
	s_and_saveexec_b64 s[36:37], s[10:11]
	s_cbranch_execz .LBB1872_447
; %bb.446:                              ;   in Loop: Header=BB1872_405 Depth=2
	ds_read_b32 v125, v34 offset:1020
.LBB1872_447:                           ;   in Loop: Header=BB1872_405 Depth=2
	s_or_b64 exec, exec, s[36:37]
	s_waitcnt lgkmcnt(0)
	v_add_u32_e32 v21, v125, v21
	ds_bpermute_b32 v21, v69, v21
	s_waitcnt lgkmcnt(0)
	v_cndmask_b32_e64 v21, v21, v125, s[28:29]
	v_cndmask_b32_e64 v21, v21, 0, s[12:13]
	v_add_u32_e32 v5, v21, v5
	ds_write_b32 v41, v21 offset:1040
	v_add_u32_e32 v21, v5, v22
	v_add_u32_e32 v22, v21, v23
	ds_write2_b32 v43, v5, v21 offset0:1 offset1:2
	v_add_u32_e32 v5, v22, v20
	ds_write2_b32 v43, v22, v5 offset0:3 offset1:4
	s_waitcnt lgkmcnt(0)
	s_barrier
	ds_read_b32 v20, v99
	ds_read_b32 v21, v103
	;; [unrolled: 1-line block ×8, first 2 shown]
	ds_read_b32 v99, v41 offset:1040
	v_mov_b32_e32 v5, 0x800
	s_and_saveexec_b64 s[36:37], s[14:15]
	s_cbranch_execz .LBB1872_449
; %bb.448:                              ;   in Loop: Header=BB1872_405 Depth=2
	ds_read_b32 v5, v41 offset:1060
.LBB1872_449:                           ;   in Loop: Header=BB1872_405 Depth=2
	s_or_b64 exec, exec, s[36:37]
	s_waitcnt lgkmcnt(0)
	s_barrier
	s_and_saveexec_b64 s[36:37], s[4:5]
	s_cbranch_execz .LBB1872_451
; %bb.450:                              ;   in Loop: Header=BB1872_405 Depth=2
	ds_read_b32 v103, v3
	s_waitcnt lgkmcnt(0)
	v_sub_u32_e32 v99, v103, v99
	ds_write_b32 v3, v99
.LBB1872_451:                           ;   in Loop: Header=BB1872_405 Depth=2
	s_or_b64 exec, exec, s[36:37]
	v_add_u32_e32 v103, v95, v96
	v_add3_u32 v100, v100, v98, v20
	v_lshlrev_b32_e32 v20, 1, v103
	v_add3_u32 v99, v105, v102, v21
	ds_write_b16 v20, v94 offset:1024
	v_lshlrev_b32_e32 v20, 1, v100
	v_add3_u32 v98, v110, v107, v22
	ds_write_b16 v20, v97 offset:1024
	;; [unrolled: 3-line block ×6, first 2 shown]
	v_lshlrev_b32_e32 v20, 1, v23
	ds_write_b16 v20, v117 offset:1024
	v_lshlrev_b32_e32 v20, 1, v22
	v_cmp_lt_u32_e32 vcc, v2, v93
	ds_write_b16 v20, v121 offset:1024
	s_waitcnt lgkmcnt(0)
	s_barrier
	s_and_saveexec_b64 s[38:39], vcc
	s_cbranch_execz .LBB1872_459
; %bb.452:                              ;   in Loop: Header=BB1872_405 Depth=2
	ds_read_u16 v20, v49 offset:1024
	v_mov_b32_e32 v21, v4
	v_mov_b32_e32 v97, s59
	s_waitcnt lgkmcnt(0)
	v_cmp_ne_u16_e64 s[36:37], s68, v20
	v_cndmask_b32_e64 v94, v66, v20, s[36:37]
	v_lshrrev_b32_sdwa v94, s69, v94 dst_sel:DWORD dst_unused:UNUSED_PAD src0_sel:DWORD src1_sel:WORD_0
	v_and_b32_e32 v94, s78, v94
	v_lshlrev_b32_e32 v94, 2, v94
	ds_read_b32 v94, v94
	v_cmp_lt_i16_e64 s[36:37], -1, v20
	v_cndmask_b32_e64 v101, v66, -1, s[36:37]
	v_xor_b32_e32 v101, v101, v20
	s_waitcnt lgkmcnt(0)
	v_add_u32_e32 v20, v94, v2
	v_lshlrev_b64 v[20:21], 1, v[20:21]
	v_add_co_u32_e64 v20, s[36:37], s58, v20
	v_addc_co_u32_e64 v21, s[36:37], v97, v21, s[36:37]
	global_store_short v[20:21], v101, off
	s_or_b64 exec, exec, s[38:39]
	v_cmp_lt_u32_e64 s[36:37], v24, v93
	s_and_saveexec_b64 s[40:41], s[36:37]
	s_cbranch_execnz .LBB1872_460
.LBB1872_453:                           ;   in Loop: Header=BB1872_405 Depth=2
	s_or_b64 exec, exec, s[40:41]
	v_cmp_lt_u32_e64 s[38:39], v25, v93
	s_and_saveexec_b64 s[42:43], s[38:39]
	s_cbranch_execz .LBB1872_461
.LBB1872_454:                           ;   in Loop: Header=BB1872_405 Depth=2
	ds_read_u16 v20, v50 offset:1024
	v_mov_b32_e32 v21, v4
	v_mov_b32_e32 v97, s59
	s_waitcnt lgkmcnt(0)
	v_cmp_ne_u16_e64 s[40:41], s68, v20
	v_cndmask_b32_e64 v94, v66, v20, s[40:41]
	v_lshrrev_b32_sdwa v94, s69, v94 dst_sel:DWORD dst_unused:UNUSED_PAD src0_sel:DWORD src1_sel:WORD_0
	v_and_b32_e32 v94, s78, v94
	v_lshlrev_b32_e32 v94, 2, v94
	ds_read_b32 v94, v94
	v_cmp_lt_i16_e64 s[40:41], -1, v20
	v_cndmask_b32_e64 v101, v66, -1, s[40:41]
	v_xor_b32_e32 v101, v101, v20
	s_waitcnt lgkmcnt(0)
	v_add_u32_e32 v20, v94, v25
	v_lshlrev_b64 v[20:21], 1, v[20:21]
	v_add_co_u32_e64 v20, s[40:41], s58, v20
	v_addc_co_u32_e64 v21, s[40:41], v97, v21, s[40:41]
	global_store_short v[20:21], v101, off
	s_or_b64 exec, exec, s[42:43]
	v_cmp_lt_u32_e64 s[40:41], v26, v93
	s_and_saveexec_b64 s[44:45], s[40:41]
	s_cbranch_execnz .LBB1872_462
.LBB1872_455:                           ;   in Loop: Header=BB1872_405 Depth=2
	s_or_b64 exec, exec, s[44:45]
	v_cmp_lt_u32_e64 s[42:43], v29, v93
	s_and_saveexec_b64 s[46:47], s[42:43]
	s_cbranch_execz .LBB1872_463
.LBB1872_456:                           ;   in Loop: Header=BB1872_405 Depth=2
	ds_read_u16 v20, v50 offset:2048
	v_mov_b32_e32 v21, v4
	v_mov_b32_e32 v97, s59
	s_waitcnt lgkmcnt(0)
	v_cmp_ne_u16_e64 s[44:45], s68, v20
	v_cndmask_b32_e64 v94, v66, v20, s[44:45]
	v_lshrrev_b32_sdwa v94, s69, v94 dst_sel:DWORD dst_unused:UNUSED_PAD src0_sel:DWORD src1_sel:WORD_0
	v_and_b32_e32 v94, s78, v94
	v_lshlrev_b32_e32 v94, 2, v94
	ds_read_b32 v94, v94
	v_cmp_lt_i16_e64 s[44:45], -1, v20
	v_cndmask_b32_e64 v101, v66, -1, s[44:45]
	v_xor_b32_e32 v101, v101, v20
	s_waitcnt lgkmcnt(0)
	v_add_u32_e32 v20, v94, v29
	v_lshlrev_b64 v[20:21], 1, v[20:21]
	v_add_co_u32_e64 v20, s[44:45], s58, v20
	v_addc_co_u32_e64 v21, s[44:45], v97, v21, s[44:45]
	global_store_short v[20:21], v101, off
	s_or_b64 exec, exec, s[46:47]
	v_cmp_lt_u32_e64 s[44:45], v30, v93
	s_and_saveexec_b64 s[48:49], s[44:45]
	s_cbranch_execnz .LBB1872_464
.LBB1872_457:                           ;   in Loop: Header=BB1872_405 Depth=2
	s_or_b64 exec, exec, s[48:49]
	v_cmp_lt_u32_e64 s[46:47], v31, v93
	s_and_saveexec_b64 s[52:53], s[46:47]
	s_cbranch_execz .LBB1872_465
.LBB1872_458:                           ;   in Loop: Header=BB1872_405 Depth=2
	ds_read_u16 v20, v50 offset:3072
	v_mov_b32_e32 v21, v4
	v_mov_b32_e32 v97, s59
	s_waitcnt lgkmcnt(0)
	v_cmp_ne_u16_e64 s[48:49], s68, v20
	v_cndmask_b32_e64 v94, v66, v20, s[48:49]
	v_lshrrev_b32_sdwa v94, s69, v94 dst_sel:DWORD dst_unused:UNUSED_PAD src0_sel:DWORD src1_sel:WORD_0
	v_and_b32_e32 v94, s78, v94
	v_lshlrev_b32_e32 v94, 2, v94
	ds_read_b32 v94, v94
	v_cmp_lt_i16_e64 s[48:49], -1, v20
	v_cndmask_b32_e64 v101, v66, -1, s[48:49]
	v_xor_b32_e32 v101, v101, v20
	s_waitcnt lgkmcnt(0)
	v_add_u32_e32 v20, v94, v31
	v_lshlrev_b64 v[20:21], 1, v[20:21]
	v_add_co_u32_e64 v20, s[48:49], s58, v20
	v_addc_co_u32_e64 v21, s[48:49], v97, v21, s[48:49]
	global_store_short v[20:21], v101, off
	s_or_b64 exec, exec, s[52:53]
	v_cmp_lt_u32_e64 s[48:49], v32, v93
	s_and_saveexec_b64 s[62:63], s[48:49]
	s_cbranch_execnz .LBB1872_466
	s_branch .LBB1872_467
.LBB1872_459:                           ;   in Loop: Header=BB1872_405 Depth=2
	s_or_b64 exec, exec, s[38:39]
	v_cmp_lt_u32_e64 s[36:37], v24, v93
	s_and_saveexec_b64 s[40:41], s[36:37]
	s_cbranch_execz .LBB1872_453
.LBB1872_460:                           ;   in Loop: Header=BB1872_405 Depth=2
	ds_read_u16 v20, v50 offset:512
	v_mov_b32_e32 v21, v4
	v_mov_b32_e32 v97, s59
	s_waitcnt lgkmcnt(0)
	v_cmp_ne_u16_e64 s[38:39], s68, v20
	v_cndmask_b32_e64 v94, v66, v20, s[38:39]
	v_lshrrev_b32_sdwa v94, s69, v94 dst_sel:DWORD dst_unused:UNUSED_PAD src0_sel:DWORD src1_sel:WORD_0
	v_and_b32_e32 v94, s78, v94
	v_lshlrev_b32_e32 v94, 2, v94
	ds_read_b32 v94, v94
	v_cmp_lt_i16_e64 s[38:39], -1, v20
	v_cndmask_b32_e64 v101, v66, -1, s[38:39]
	v_xor_b32_e32 v101, v101, v20
	s_waitcnt lgkmcnt(0)
	v_add_u32_e32 v20, v94, v24
	v_lshlrev_b64 v[20:21], 1, v[20:21]
	v_add_co_u32_e64 v20, s[38:39], s58, v20
	v_addc_co_u32_e64 v21, s[38:39], v97, v21, s[38:39]
	global_store_short v[20:21], v101, off
	s_or_b64 exec, exec, s[40:41]
	v_cmp_lt_u32_e64 s[38:39], v25, v93
	s_and_saveexec_b64 s[42:43], s[38:39]
	s_cbranch_execnz .LBB1872_454
.LBB1872_461:                           ;   in Loop: Header=BB1872_405 Depth=2
	s_or_b64 exec, exec, s[42:43]
	v_cmp_lt_u32_e64 s[40:41], v26, v93
	s_and_saveexec_b64 s[44:45], s[40:41]
	s_cbranch_execz .LBB1872_455
.LBB1872_462:                           ;   in Loop: Header=BB1872_405 Depth=2
	ds_read_u16 v20, v50 offset:1536
	v_mov_b32_e32 v21, v4
	v_mov_b32_e32 v97, s59
	s_waitcnt lgkmcnt(0)
	v_cmp_ne_u16_e64 s[42:43], s68, v20
	v_cndmask_b32_e64 v94, v66, v20, s[42:43]
	v_lshrrev_b32_sdwa v94, s69, v94 dst_sel:DWORD dst_unused:UNUSED_PAD src0_sel:DWORD src1_sel:WORD_0
	v_and_b32_e32 v94, s78, v94
	v_lshlrev_b32_e32 v94, 2, v94
	ds_read_b32 v94, v94
	v_cmp_lt_i16_e64 s[42:43], -1, v20
	v_cndmask_b32_e64 v101, v66, -1, s[42:43]
	v_xor_b32_e32 v101, v101, v20
	s_waitcnt lgkmcnt(0)
	v_add_u32_e32 v20, v94, v26
	v_lshlrev_b64 v[20:21], 1, v[20:21]
	v_add_co_u32_e64 v20, s[42:43], s58, v20
	v_addc_co_u32_e64 v21, s[42:43], v97, v21, s[42:43]
	global_store_short v[20:21], v101, off
	s_or_b64 exec, exec, s[44:45]
	v_cmp_lt_u32_e64 s[42:43], v29, v93
	s_and_saveexec_b64 s[46:47], s[42:43]
	s_cbranch_execnz .LBB1872_456
.LBB1872_463:                           ;   in Loop: Header=BB1872_405 Depth=2
	s_or_b64 exec, exec, s[46:47]
	v_cmp_lt_u32_e64 s[44:45], v30, v93
	s_and_saveexec_b64 s[48:49], s[44:45]
	s_cbranch_execz .LBB1872_457
.LBB1872_464:                           ;   in Loop: Header=BB1872_405 Depth=2
	ds_read_u16 v20, v50 offset:2560
	v_mov_b32_e32 v21, v4
	v_mov_b32_e32 v97, s59
	s_waitcnt lgkmcnt(0)
	v_cmp_ne_u16_e64 s[46:47], s68, v20
	v_cndmask_b32_e64 v94, v66, v20, s[46:47]
	v_lshrrev_b32_sdwa v94, s69, v94 dst_sel:DWORD dst_unused:UNUSED_PAD src0_sel:DWORD src1_sel:WORD_0
	v_and_b32_e32 v94, s78, v94
	v_lshlrev_b32_e32 v94, 2, v94
	ds_read_b32 v94, v94
	v_cmp_lt_i16_e64 s[46:47], -1, v20
	v_cndmask_b32_e64 v101, v66, -1, s[46:47]
	v_xor_b32_e32 v101, v101, v20
	s_waitcnt lgkmcnt(0)
	v_add_u32_e32 v20, v94, v30
	v_lshlrev_b64 v[20:21], 1, v[20:21]
	v_add_co_u32_e64 v20, s[46:47], s58, v20
	v_addc_co_u32_e64 v21, s[46:47], v97, v21, s[46:47]
	global_store_short v[20:21], v101, off
	s_or_b64 exec, exec, s[48:49]
	v_cmp_lt_u32_e64 s[46:47], v31, v93
	s_and_saveexec_b64 s[52:53], s[46:47]
	s_cbranch_execnz .LBB1872_458
.LBB1872_465:                           ;   in Loop: Header=BB1872_405 Depth=2
	s_or_b64 exec, exec, s[52:53]
	v_cmp_lt_u32_e64 s[48:49], v32, v93
	s_and_saveexec_b64 s[62:63], s[48:49]
	s_cbranch_execz .LBB1872_467
.LBB1872_466:                           ;   in Loop: Header=BB1872_405 Depth=2
	ds_read_u16 v20, v50 offset:3584
	v_mov_b32_e32 v21, v4
	v_mov_b32_e32 v97, s59
	s_waitcnt lgkmcnt(0)
	v_cmp_ne_u16_e64 s[52:53], s68, v20
	v_cndmask_b32_e64 v94, v66, v20, s[52:53]
	v_lshrrev_b32_sdwa v94, s69, v94 dst_sel:DWORD dst_unused:UNUSED_PAD src0_sel:DWORD src1_sel:WORD_0
	v_and_b32_e32 v94, s78, v94
	v_lshlrev_b32_e32 v94, 2, v94
	ds_read_b32 v94, v94
	v_cmp_lt_i16_e64 s[52:53], -1, v20
	v_cndmask_b32_e64 v101, v66, -1, s[52:53]
	v_xor_b32_e32 v101, v101, v20
	s_waitcnt lgkmcnt(0)
	v_add_u32_e32 v20, v94, v32
	v_lshlrev_b64 v[20:21], 1, v[20:21]
	v_add_co_u32_e64 v20, s[52:53], s58, v20
	v_addc_co_u32_e64 v21, s[52:53], v97, v21, s[52:53]
	global_store_short v[20:21], v101, off
.LBB1872_467:                           ;   in Loop: Header=BB1872_405 Depth=2
	s_or_b64 exec, exec, s[62:63]
	s_lshl_b64 s[52:53], s[72:73], 3
	v_mov_b32_e32 v21, s53
	v_add_co_u32_e64 v20, s[52:53], s52, v77
	v_addc_co_u32_e64 v21, s[52:53], v79, v21, s[52:53]
	v_cmp_lt_u32_e64 s[52:53], v74, v93
	s_and_saveexec_b64 s[62:63], s[52:53]
	s_xor_b64 s[52:53], exec, s[62:63]
	s_cbranch_execz .LBB1872_483
; %bb.468:                              ;   in Loop: Header=BB1872_405 Depth=2
	global_load_dwordx2 v[18:19], v[20:21], off
	s_or_b64 exec, exec, s[52:53]
	v_cmp_lt_u32_e64 s[52:53], v81, v93
	s_and_saveexec_b64 s[62:63], s[52:53]
	s_cbranch_execnz .LBB1872_484
.LBB1872_469:                           ;   in Loop: Header=BB1872_405 Depth=2
	s_or_b64 exec, exec, s[62:63]
	v_cmp_lt_u32_e64 s[52:53], v82, v93
	s_and_saveexec_b64 s[62:63], s[52:53]
	s_cbranch_execz .LBB1872_485
.LBB1872_470:                           ;   in Loop: Header=BB1872_405 Depth=2
	global_load_dwordx2 v[14:15], v[20:21], off offset:1024
	s_or_b64 exec, exec, s[62:63]
	v_cmp_lt_u32_e64 s[52:53], v83, v93
	s_and_saveexec_b64 s[62:63], s[52:53]
	s_cbranch_execnz .LBB1872_486
.LBB1872_471:                           ;   in Loop: Header=BB1872_405 Depth=2
	s_or_b64 exec, exec, s[62:63]
	v_cmp_lt_u32_e64 s[52:53], v84, v93
	s_and_saveexec_b64 s[62:63], s[52:53]
	s_cbranch_execz .LBB1872_487
.LBB1872_472:                           ;   in Loop: Header=BB1872_405 Depth=2
	global_load_dwordx2 v[10:11], v[20:21], off offset:2048
	s_or_b64 exec, exec, s[62:63]
	v_cmp_lt_u32_e64 s[52:53], v85, v93
	s_and_saveexec_b64 s[62:63], s[52:53]
	s_cbranch_execnz .LBB1872_488
.LBB1872_473:                           ;   in Loop: Header=BB1872_405 Depth=2
	s_or_b64 exec, exec, s[62:63]
	v_cmp_lt_u32_e64 s[52:53], v86, v93
	s_and_saveexec_b64 s[62:63], s[52:53]
	s_cbranch_execz .LBB1872_489
.LBB1872_474:                           ;   in Loop: Header=BB1872_405 Depth=2
	global_load_dwordx2 v[6:7], v[20:21], off offset:3072
	s_or_b64 exec, exec, s[62:63]
	v_cmp_lt_u32_e64 s[52:53], v87, v93
	s_and_saveexec_b64 s[62:63], s[52:53]
	s_cbranch_execnz .LBB1872_490
.LBB1872_475:                           ;   in Loop: Header=BB1872_405 Depth=2
	s_or_b64 exec, exec, s[62:63]
	s_and_saveexec_b64 s[62:63], vcc
	s_cbranch_execz .LBB1872_491
.LBB1872_476:                           ;   in Loop: Header=BB1872_405 Depth=2
	ds_read_u16 v20, v49 offset:1024
	s_waitcnt lgkmcnt(0)
	v_cmp_ne_u16_e64 s[52:53], s68, v20
	v_cndmask_b32_e64 v20, v66, v20, s[52:53]
	v_lshrrev_b32_sdwa v20, s69, v20 dst_sel:DWORD dst_unused:UNUSED_PAD src0_sel:DWORD src1_sel:WORD_0
	v_and_b32_e32 v80, s78, v20
	s_or_b64 exec, exec, s[62:63]
	s_and_saveexec_b64 s[62:63], s[36:37]
	s_cbranch_execnz .LBB1872_492
.LBB1872_477:                           ;   in Loop: Header=BB1872_405 Depth=2
	s_or_b64 exec, exec, s[62:63]
	s_and_saveexec_b64 s[62:63], s[38:39]
	s_cbranch_execz .LBB1872_493
.LBB1872_478:                           ;   in Loop: Header=BB1872_405 Depth=2
	ds_read_u16 v20, v50 offset:1024
	s_waitcnt lgkmcnt(0)
	v_cmp_ne_u16_e64 s[52:53], s68, v20
	v_cndmask_b32_e64 v20, v66, v20, s[52:53]
	v_lshrrev_b32_sdwa v20, s69, v20 dst_sel:DWORD dst_unused:UNUSED_PAD src0_sel:DWORD src1_sel:WORD_0
	v_and_b32_e32 v76, s78, v20
	s_or_b64 exec, exec, s[62:63]
	s_and_saveexec_b64 s[62:63], s[40:41]
	s_cbranch_execnz .LBB1872_494
.LBB1872_479:                           ;   in Loop: Header=BB1872_405 Depth=2
	s_or_b64 exec, exec, s[62:63]
	s_and_saveexec_b64 s[62:63], s[42:43]
	s_cbranch_execz .LBB1872_495
.LBB1872_480:                           ;   in Loop: Header=BB1872_405 Depth=2
	ds_read_u16 v20, v50 offset:2048
	s_waitcnt lgkmcnt(0)
	v_cmp_ne_u16_e64 s[52:53], s68, v20
	v_cndmask_b32_e64 v20, v66, v20, s[52:53]
	v_lshrrev_b32_sdwa v20, s69, v20 dst_sel:DWORD dst_unused:UNUSED_PAD src0_sel:DWORD src1_sel:WORD_0
	v_and_b32_e32 v73, s78, v20
	s_or_b64 exec, exec, s[62:63]
	s_and_saveexec_b64 s[62:63], s[44:45]
	s_cbranch_execnz .LBB1872_496
.LBB1872_481:                           ;   in Loop: Header=BB1872_405 Depth=2
	s_or_b64 exec, exec, s[62:63]
	s_and_saveexec_b64 s[62:63], s[46:47]
	s_cbranch_execz .LBB1872_497
.LBB1872_482:                           ;   in Loop: Header=BB1872_405 Depth=2
	ds_read_u16 v20, v50 offset:3072
	s_waitcnt lgkmcnt(0)
	v_cmp_ne_u16_e64 s[52:53], s68, v20
	v_cndmask_b32_e64 v20, v66, v20, s[52:53]
	v_lshrrev_b32_sdwa v20, s69, v20 dst_sel:DWORD dst_unused:UNUSED_PAD src0_sel:DWORD src1_sel:WORD_0
	v_and_b32_e32 v71, s78, v20
	s_or_b64 exec, exec, s[62:63]
	s_and_saveexec_b64 s[62:63], s[48:49]
	s_cbranch_execnz .LBB1872_498
	s_branch .LBB1872_499
.LBB1872_483:                           ;   in Loop: Header=BB1872_405 Depth=2
	s_or_b64 exec, exec, s[52:53]
	v_cmp_lt_u32_e64 s[52:53], v81, v93
	s_and_saveexec_b64 s[62:63], s[52:53]
	s_cbranch_execz .LBB1872_469
.LBB1872_484:                           ;   in Loop: Header=BB1872_405 Depth=2
	global_load_dwordx2 v[16:17], v[20:21], off offset:512
	s_or_b64 exec, exec, s[62:63]
	v_cmp_lt_u32_e64 s[52:53], v82, v93
	s_and_saveexec_b64 s[62:63], s[52:53]
	s_cbranch_execnz .LBB1872_470
.LBB1872_485:                           ;   in Loop: Header=BB1872_405 Depth=2
	s_or_b64 exec, exec, s[62:63]
	v_cmp_lt_u32_e64 s[52:53], v83, v93
	s_and_saveexec_b64 s[62:63], s[52:53]
	s_cbranch_execz .LBB1872_471
.LBB1872_486:                           ;   in Loop: Header=BB1872_405 Depth=2
	global_load_dwordx2 v[12:13], v[20:21], off offset:1536
	s_or_b64 exec, exec, s[62:63]
	v_cmp_lt_u32_e64 s[52:53], v84, v93
	s_and_saveexec_b64 s[62:63], s[52:53]
	s_cbranch_execnz .LBB1872_472
.LBB1872_487:                           ;   in Loop: Header=BB1872_405 Depth=2
	s_or_b64 exec, exec, s[62:63]
	v_cmp_lt_u32_e64 s[52:53], v85, v93
	s_and_saveexec_b64 s[62:63], s[52:53]
	s_cbranch_execz .LBB1872_473
.LBB1872_488:                           ;   in Loop: Header=BB1872_405 Depth=2
	global_load_dwordx2 v[8:9], v[20:21], off offset:2560
	s_or_b64 exec, exec, s[62:63]
	v_cmp_lt_u32_e64 s[52:53], v86, v93
	s_and_saveexec_b64 s[62:63], s[52:53]
	s_cbranch_execnz .LBB1872_474
.LBB1872_489:                           ;   in Loop: Header=BB1872_405 Depth=2
	s_or_b64 exec, exec, s[62:63]
	v_cmp_lt_u32_e64 s[52:53], v87, v93
	s_and_saveexec_b64 s[62:63], s[52:53]
	s_cbranch_execz .LBB1872_475
.LBB1872_490:                           ;   in Loop: Header=BB1872_405 Depth=2
	global_load_dwordx2 v[0:1], v[20:21], off offset:3584
	s_or_b64 exec, exec, s[62:63]
	s_and_saveexec_b64 s[62:63], vcc
	s_cbranch_execnz .LBB1872_476
.LBB1872_491:                           ;   in Loop: Header=BB1872_405 Depth=2
	s_or_b64 exec, exec, s[62:63]
	s_and_saveexec_b64 s[62:63], s[36:37]
	s_cbranch_execz .LBB1872_477
.LBB1872_492:                           ;   in Loop: Header=BB1872_405 Depth=2
	ds_read_u16 v20, v50 offset:512
	s_waitcnt lgkmcnt(0)
	v_cmp_ne_u16_e64 s[52:53], s68, v20
	v_cndmask_b32_e64 v20, v66, v20, s[52:53]
	v_lshrrev_b32_sdwa v20, s69, v20 dst_sel:DWORD dst_unused:UNUSED_PAD src0_sel:DWORD src1_sel:WORD_0
	v_and_b32_e32 v78, s78, v20
	s_or_b64 exec, exec, s[62:63]
	s_and_saveexec_b64 s[62:63], s[38:39]
	s_cbranch_execnz .LBB1872_478
.LBB1872_493:                           ;   in Loop: Header=BB1872_405 Depth=2
	s_or_b64 exec, exec, s[62:63]
	s_and_saveexec_b64 s[62:63], s[40:41]
	s_cbranch_execz .LBB1872_479
.LBB1872_494:                           ;   in Loop: Header=BB1872_405 Depth=2
	ds_read_u16 v20, v50 offset:1536
	s_waitcnt lgkmcnt(0)
	v_cmp_ne_u16_e64 s[52:53], s68, v20
	v_cndmask_b32_e64 v20, v66, v20, s[52:53]
	v_lshrrev_b32_sdwa v20, s69, v20 dst_sel:DWORD dst_unused:UNUSED_PAD src0_sel:DWORD src1_sel:WORD_0
	v_and_b32_e32 v75, s78, v20
	s_or_b64 exec, exec, s[62:63]
	s_and_saveexec_b64 s[62:63], s[42:43]
	s_cbranch_execnz .LBB1872_480
.LBB1872_495:                           ;   in Loop: Header=BB1872_405 Depth=2
	s_or_b64 exec, exec, s[62:63]
	s_and_saveexec_b64 s[62:63], s[44:45]
	s_cbranch_execz .LBB1872_481
.LBB1872_496:                           ;   in Loop: Header=BB1872_405 Depth=2
	ds_read_u16 v20, v50 offset:2560
	s_waitcnt lgkmcnt(0)
	v_cmp_ne_u16_e64 s[52:53], s68, v20
	v_cndmask_b32_e64 v20, v66, v20, s[52:53]
	v_lshrrev_b32_sdwa v20, s69, v20 dst_sel:DWORD dst_unused:UNUSED_PAD src0_sel:DWORD src1_sel:WORD_0
	v_and_b32_e32 v72, s78, v20
	s_or_b64 exec, exec, s[62:63]
	s_and_saveexec_b64 s[62:63], s[46:47]
	s_cbranch_execnz .LBB1872_482
.LBB1872_497:                           ;   in Loop: Header=BB1872_405 Depth=2
	s_or_b64 exec, exec, s[62:63]
	s_and_saveexec_b64 s[62:63], s[48:49]
	s_cbranch_execz .LBB1872_499
.LBB1872_498:                           ;   in Loop: Header=BB1872_405 Depth=2
	ds_read_u16 v20, v50 offset:3584
	s_waitcnt lgkmcnt(0)
	v_cmp_ne_u16_e64 s[52:53], s68, v20
	v_cndmask_b32_e64 v20, v66, v20, s[52:53]
	v_lshrrev_b32_sdwa v20, s69, v20 dst_sel:DWORD dst_unused:UNUSED_PAD src0_sel:DWORD src1_sel:WORD_0
	v_and_b32_e32 v70, s78, v20
.LBB1872_499:                           ;   in Loop: Header=BB1872_405 Depth=2
	s_or_b64 exec, exec, s[62:63]
	v_lshlrev_b32_e32 v20, 3, v103
	s_barrier
	s_waitcnt vmcnt(0)
	ds_write_b64 v20, v[18:19] offset:1024
	v_lshlrev_b32_e32 v20, 3, v100
	ds_write_b64 v20, v[16:17] offset:1024
	v_lshlrev_b32_e32 v20, 3, v99
	;; [unrolled: 2-line block ×7, first 2 shown]
	ds_write_b64 v20, v[0:1] offset:1024
	s_waitcnt lgkmcnt(0)
	s_barrier
	s_and_saveexec_b64 s[52:53], vcc
	s_cbranch_execz .LBB1872_507
; %bb.500:                              ;   in Loop: Header=BB1872_405 Depth=2
	v_lshlrev_b32_e32 v20, 2, v80
	ds_read_b32 v20, v20
	v_add_u32_e32 v22, v49, v51
	ds_read_b64 v[22:23], v22 offset:1024
	v_mov_b32_e32 v21, v4
	v_mov_b32_e32 v93, s65
	s_waitcnt lgkmcnt(1)
	v_add_u32_e32 v20, v20, v2
	v_lshlrev_b64 v[20:21], 3, v[20:21]
	v_add_co_u32_e32 v20, vcc, s64, v20
	v_addc_co_u32_e32 v21, vcc, v93, v21, vcc
	s_waitcnt lgkmcnt(0)
	global_store_dwordx2 v[20:21], v[22:23], off
	s_or_b64 exec, exec, s[52:53]
	s_and_saveexec_b64 s[52:53], s[36:37]
	s_cbranch_execnz .LBB1872_508
.LBB1872_501:                           ;   in Loop: Header=BB1872_405 Depth=2
	s_or_b64 exec, exec, s[52:53]
	s_and_saveexec_b64 s[36:37], s[38:39]
	s_cbranch_execz .LBB1872_509
.LBB1872_502:                           ;   in Loop: Header=BB1872_405 Depth=2
	v_lshlrev_b32_e32 v20, 2, v76
	ds_read_b32 v22, v20
	v_add_u32_e32 v20, v50, v51
	ds_read_b64 v[20:21], v20 offset:4096
	v_mov_b32_e32 v23, v4
	v_mov_b32_e32 v93, s65
	s_waitcnt lgkmcnt(1)
	v_add_u32_e32 v22, v22, v25
	v_lshlrev_b64 v[22:23], 3, v[22:23]
	v_add_co_u32_e32 v22, vcc, s64, v22
	v_addc_co_u32_e32 v23, vcc, v93, v23, vcc
	s_waitcnt lgkmcnt(0)
	global_store_dwordx2 v[22:23], v[20:21], off
	s_or_b64 exec, exec, s[36:37]
	s_and_saveexec_b64 s[36:37], s[40:41]
	s_cbranch_execnz .LBB1872_510
.LBB1872_503:                           ;   in Loop: Header=BB1872_405 Depth=2
	s_or_b64 exec, exec, s[36:37]
	s_and_saveexec_b64 s[36:37], s[42:43]
	s_cbranch_execz .LBB1872_511
.LBB1872_504:                           ;   in Loop: Header=BB1872_405 Depth=2
	v_lshlrev_b32_e32 v20, 2, v73
	ds_read_b32 v22, v20
	v_add_u32_e32 v20, v50, v51
	ds_read_b64 v[20:21], v20 offset:8192
	v_mov_b32_e32 v23, v4
	v_mov_b32_e32 v93, s65
	s_waitcnt lgkmcnt(1)
	v_add_u32_e32 v22, v22, v29
	v_lshlrev_b64 v[22:23], 3, v[22:23]
	v_add_co_u32_e32 v22, vcc, s64, v22
	v_addc_co_u32_e32 v23, vcc, v93, v23, vcc
	s_waitcnt lgkmcnt(0)
	global_store_dwordx2 v[22:23], v[20:21], off
	s_or_b64 exec, exec, s[36:37]
	s_and_saveexec_b64 s[36:37], s[44:45]
	s_cbranch_execnz .LBB1872_512
.LBB1872_505:                           ;   in Loop: Header=BB1872_405 Depth=2
	s_or_b64 exec, exec, s[36:37]
	s_and_saveexec_b64 s[36:37], s[46:47]
	s_cbranch_execz .LBB1872_513
.LBB1872_506:                           ;   in Loop: Header=BB1872_405 Depth=2
	v_lshlrev_b32_e32 v20, 2, v71
	ds_read_b32 v22, v20
	v_add_u32_e32 v20, v50, v51
	ds_read_b64 v[20:21], v20 offset:12288
	v_mov_b32_e32 v23, v4
	v_mov_b32_e32 v93, s65
	s_waitcnt lgkmcnt(1)
	v_add_u32_e32 v22, v22, v31
	v_lshlrev_b64 v[22:23], 3, v[22:23]
	v_add_co_u32_e32 v22, vcc, s64, v22
	v_addc_co_u32_e32 v23, vcc, v93, v23, vcc
	s_waitcnt lgkmcnt(0)
	global_store_dwordx2 v[22:23], v[20:21], off
	s_or_b64 exec, exec, s[36:37]
	s_and_saveexec_b64 s[36:37], s[48:49]
	s_cbranch_execnz .LBB1872_514
	s_branch .LBB1872_515
.LBB1872_507:                           ;   in Loop: Header=BB1872_405 Depth=2
	s_or_b64 exec, exec, s[52:53]
	s_and_saveexec_b64 s[52:53], s[36:37]
	s_cbranch_execz .LBB1872_501
.LBB1872_508:                           ;   in Loop: Header=BB1872_405 Depth=2
	v_lshlrev_b32_e32 v20, 2, v78
	ds_read_b32 v22, v20
	v_add_u32_e32 v20, v50, v51
	ds_read_b64 v[20:21], v20 offset:2048
	v_mov_b32_e32 v23, v4
	v_mov_b32_e32 v93, s65
	s_waitcnt lgkmcnt(1)
	v_add_u32_e32 v22, v22, v24
	v_lshlrev_b64 v[22:23], 3, v[22:23]
	v_add_co_u32_e32 v22, vcc, s64, v22
	v_addc_co_u32_e32 v23, vcc, v93, v23, vcc
	s_waitcnt lgkmcnt(0)
	global_store_dwordx2 v[22:23], v[20:21], off
	s_or_b64 exec, exec, s[52:53]
	s_and_saveexec_b64 s[36:37], s[38:39]
	s_cbranch_execnz .LBB1872_502
.LBB1872_509:                           ;   in Loop: Header=BB1872_405 Depth=2
	s_or_b64 exec, exec, s[36:37]
	s_and_saveexec_b64 s[36:37], s[40:41]
	s_cbranch_execz .LBB1872_503
.LBB1872_510:                           ;   in Loop: Header=BB1872_405 Depth=2
	v_lshlrev_b32_e32 v20, 2, v75
	ds_read_b32 v22, v20
	v_add_u32_e32 v20, v50, v51
	ds_read_b64 v[20:21], v20 offset:6144
	v_mov_b32_e32 v23, v4
	v_mov_b32_e32 v93, s65
	s_waitcnt lgkmcnt(1)
	v_add_u32_e32 v22, v22, v26
	v_lshlrev_b64 v[22:23], 3, v[22:23]
	v_add_co_u32_e32 v22, vcc, s64, v22
	v_addc_co_u32_e32 v23, vcc, v93, v23, vcc
	s_waitcnt lgkmcnt(0)
	global_store_dwordx2 v[22:23], v[20:21], off
	s_or_b64 exec, exec, s[36:37]
	s_and_saveexec_b64 s[36:37], s[42:43]
	s_cbranch_execnz .LBB1872_504
.LBB1872_511:                           ;   in Loop: Header=BB1872_405 Depth=2
	s_or_b64 exec, exec, s[36:37]
	s_and_saveexec_b64 s[36:37], s[44:45]
	s_cbranch_execz .LBB1872_505
.LBB1872_512:                           ;   in Loop: Header=BB1872_405 Depth=2
	v_lshlrev_b32_e32 v20, 2, v72
	ds_read_b32 v22, v20
	v_add_u32_e32 v20, v50, v51
	ds_read_b64 v[20:21], v20 offset:10240
	v_mov_b32_e32 v23, v4
	v_mov_b32_e32 v93, s65
	s_waitcnt lgkmcnt(1)
	v_add_u32_e32 v22, v22, v30
	v_lshlrev_b64 v[22:23], 3, v[22:23]
	v_add_co_u32_e32 v22, vcc, s64, v22
	v_addc_co_u32_e32 v23, vcc, v93, v23, vcc
	s_waitcnt lgkmcnt(0)
	global_store_dwordx2 v[22:23], v[20:21], off
	s_or_b64 exec, exec, s[36:37]
	s_and_saveexec_b64 s[36:37], s[46:47]
	s_cbranch_execnz .LBB1872_506
.LBB1872_513:                           ;   in Loop: Header=BB1872_405 Depth=2
	s_or_b64 exec, exec, s[36:37]
	s_and_saveexec_b64 s[36:37], s[48:49]
	s_cbranch_execz .LBB1872_515
.LBB1872_514:                           ;   in Loop: Header=BB1872_405 Depth=2
	v_lshlrev_b32_e32 v20, 2, v70
	ds_read_b32 v22, v20
	v_add_u32_e32 v20, v50, v51
	ds_read_b64 v[20:21], v20 offset:14336
	v_mov_b32_e32 v23, v4
	v_mov_b32_e32 v93, s65
	s_waitcnt lgkmcnt(1)
	v_add_u32_e32 v22, v22, v32
	v_lshlrev_b64 v[22:23], 3, v[22:23]
	v_add_co_u32_e32 v22, vcc, s64, v22
	v_addc_co_u32_e32 v23, vcc, v93, v23, vcc
	s_waitcnt lgkmcnt(0)
	global_store_dwordx2 v[22:23], v[20:21], off
.LBB1872_515:                           ;   in Loop: Header=BB1872_405 Depth=2
	s_or_b64 exec, exec, s[36:37]
	s_barrier
	s_and_saveexec_b64 s[36:37], s[4:5]
	s_cbranch_execz .LBB1872_404
; %bb.516:                              ;   in Loop: Header=BB1872_405 Depth=2
	ds_read_b32 v20, v3
	s_waitcnt lgkmcnt(0)
	v_add_u32_e32 v5, v20, v5
	ds_write_b32 v3, v5
	s_branch .LBB1872_404
.LBB1872_517:                           ;   in Loop: Header=BB1872_17 Depth=1
	s_waitcnt lgkmcnt(0)
	s_barrier
	s_mov_b64 s[16:17], 0
.LBB1872_518:                           ;   in Loop: Header=BB1872_17 Depth=1
	s_and_b64 vcc, exec, s[16:17]
	s_cbranch_vccz .LBB1872_16
; %bb.519:                              ;   in Loop: Header=BB1872_17 Depth=1
	s_mov_b32 s22, s71
	s_mov_b32 s72, s51
	s_barrier
	s_waitcnt lgkmcnt(0)
                                        ; implicit-def: $vgpr12
                                        ; implicit-def: $vgpr5
                                        ; implicit-def: $vgpr6
                                        ; implicit-def: $vgpr7
                                        ; implicit-def: $vgpr8
                                        ; implicit-def: $vgpr9
                                        ; implicit-def: $vgpr10
                                        ; implicit-def: $vgpr11
	s_branch .LBB1872_521
.LBB1872_520:                           ;   in Loop: Header=BB1872_521 Depth=2
	s_or_b64 exec, exec, s[16:17]
	s_addk_i32 s22, 0xf800
	s_cmp_ge_u32 s23, s76
	s_mov_b32 s72, s23
	s_cbranch_scc1 .LBB1872_559
.LBB1872_521:                           ;   Parent Loop BB1872_17 Depth=1
                                        ; =>  This Inner Loop Header: Depth=2
	s_add_i32 s23, s72, 0x800
	s_cmp_gt_u32 s23, s76
	s_cbranch_scc1 .LBB1872_524
; %bb.522:                              ;   in Loop: Header=BB1872_521 Depth=2
	s_lshl_b64 s[16:17], s[72:73], 1
	v_mov_b32_e32 v1, s17
	v_add_co_u32_e32 v0, vcc, s16, v58
	v_addc_co_u32_e32 v1, vcc, v59, v1, vcc
	global_load_ushort v14, v[0:1], off
	global_load_ushort v15, v[0:1], off offset:512
	global_load_ushort v16, v[0:1], off offset:1024
	;; [unrolled: 1-line block ×6, first 2 shown]
	v_add_co_u32_e32 v0, vcc, 0xe00, v0
	v_addc_co_u32_e32 v1, vcc, 0, v1, vcc
	s_mov_b64 s[16:17], -1
	s_movk_i32 s24, 0x800
	s_cbranch_execz .LBB1872_525
; %bb.523:                              ;   in Loop: Header=BB1872_521 Depth=2
                                        ; implicit-def: $vgpr11
                                        ; implicit-def: $vgpr10
                                        ; implicit-def: $vgpr9
                                        ; implicit-def: $vgpr8
                                        ; implicit-def: $vgpr7
                                        ; implicit-def: $vgpr6
                                        ; implicit-def: $vgpr5
                                        ; implicit-def: $vgpr12
	v_mov_b32_e32 v13, s22
	s_and_saveexec_b64 s[18:19], s[16:17]
	s_cbranch_execnz .LBB1872_536
	s_branch .LBB1872_537
.LBB1872_524:                           ;   in Loop: Header=BB1872_521 Depth=2
	s_mov_b64 s[16:17], 0
                                        ; implicit-def: $sgpr24
                                        ; implicit-def: $vgpr14
                                        ; implicit-def: $vgpr15
                                        ; implicit-def: $vgpr16
                                        ; implicit-def: $vgpr17
                                        ; implicit-def: $vgpr18
                                        ; implicit-def: $vgpr19
                                        ; implicit-def: $vgpr20
                                        ; implicit-def: $vgpr0_vgpr1
.LBB1872_525:                           ;   in Loop: Header=BB1872_521 Depth=2
	s_lshl_b64 s[18:19], s[72:73], 1
	s_add_u32 s18, s56, s18
	s_addc_u32 s19, s57, s19
	v_cmp_gt_u32_e32 vcc, s22, v2
	s_and_saveexec_b64 s[20:21], vcc
	s_cbranch_execz .LBB1872_553
; %bb.526:                              ;   in Loop: Header=BB1872_521 Depth=2
	global_load_ushort v11, v65, s[18:19]
	s_or_b64 exec, exec, s[20:21]
	v_cmp_gt_u32_e32 vcc, s22, v24
	s_and_saveexec_b64 s[20:21], vcc
	s_cbranch_execnz .LBB1872_554
.LBB1872_527:                           ;   in Loop: Header=BB1872_521 Depth=2
	s_or_b64 exec, exec, s[20:21]
	v_cmp_gt_u32_e32 vcc, s22, v25
	s_and_saveexec_b64 s[20:21], vcc
	s_cbranch_execz .LBB1872_555
.LBB1872_528:                           ;   in Loop: Header=BB1872_521 Depth=2
	global_load_ushort v9, v65, s[18:19] offset:1024
	s_or_b64 exec, exec, s[20:21]
	v_cmp_gt_u32_e32 vcc, s22, v26
	s_and_saveexec_b64 s[20:21], vcc
	s_cbranch_execnz .LBB1872_556
.LBB1872_529:                           ;   in Loop: Header=BB1872_521 Depth=2
	s_or_b64 exec, exec, s[20:21]
	v_cmp_gt_u32_e32 vcc, s22, v29
	s_and_saveexec_b64 s[20:21], vcc
	s_cbranch_execz .LBB1872_557
.LBB1872_530:                           ;   in Loop: Header=BB1872_521 Depth=2
	global_load_ushort v7, v65, s[18:19] offset:2048
	s_or_b64 exec, exec, s[20:21]
	v_cmp_gt_u32_e32 vcc, s22, v30
	s_and_saveexec_b64 s[20:21], vcc
	s_cbranch_execnz .LBB1872_558
.LBB1872_531:                           ;   in Loop: Header=BB1872_521 Depth=2
	s_or_b64 exec, exec, s[20:21]
	v_cmp_gt_u32_e32 vcc, s22, v31
	s_and_saveexec_b64 s[20:21], vcc
	s_cbranch_execz .LBB1872_533
.LBB1872_532:                           ;   in Loop: Header=BB1872_521 Depth=2
	global_load_ushort v5, v65, s[18:19] offset:3072
.LBB1872_533:                           ;   in Loop: Header=BB1872_521 Depth=2
	s_or_b64 exec, exec, s[20:21]
	v_cmp_gt_u32_e32 vcc, s22, v32
                                        ; implicit-def: $sgpr24
                                        ; implicit-def: $vgpr0_vgpr1
	s_and_saveexec_b64 s[20:21], vcc
	s_cbranch_execz .LBB1872_535
; %bb.534:                              ;   in Loop: Header=BB1872_521 Depth=2
	v_mov_b32_e32 v0, s19
	v_add_co_u32_e32 v1, vcc, s18, v65
	s_waitcnt vmcnt(0)
	v_addc_co_u32_e32 v12, vcc, 0, v0, vcc
	v_add_co_u32_e32 v0, vcc, 0xe00, v1
	s_sub_i32 s24, s76, s72
	v_addc_co_u32_e32 v1, vcc, 0, v12, vcc
	s_or_b64 s[16:17], s[16:17], exec
                                        ; implicit-def: $vgpr12
.LBB1872_535:                           ;   in Loop: Header=BB1872_521 Depth=2
	s_or_b64 exec, exec, s[20:21]
	s_waitcnt vmcnt(0)
	v_mov_b32_e32 v14, v11
	v_mov_b32_e32 v15, v10
	;; [unrolled: 1-line block ×8, first 2 shown]
	s_and_saveexec_b64 s[18:19], s[16:17]
	s_cbranch_execz .LBB1872_537
.LBB1872_536:                           ;   in Loop: Header=BB1872_521 Depth=2
	global_load_ushort v12, v[0:1], off
	v_mov_b32_e32 v13, s24
	s_waitcnt vmcnt(1)
	v_mov_b32_e32 v5, v20
	v_mov_b32_e32 v6, v19
	v_mov_b32_e32 v7, v18
	v_mov_b32_e32 v8, v17
	v_mov_b32_e32 v9, v16
	v_mov_b32_e32 v10, v15
	v_mov_b32_e32 v11, v14
.LBB1872_537:                           ;   in Loop: Header=BB1872_521 Depth=2
	s_or_b64 exec, exec, s[18:19]
	v_cmp_lt_u32_e32 vcc, v2, v13
	s_and_saveexec_b64 s[16:17], vcc
	s_cbranch_execz .LBB1872_545
; %bb.538:                              ;   in Loop: Header=BB1872_521 Depth=2
	v_cmp_lt_i16_e32 vcc, -1, v11
	v_cndmask_b32_e32 v0, -1, v66, vcc
	v_xor_b32_e32 v0, v0, v11
	v_cmp_ne_u16_e32 vcc, s68, v0
	v_cndmask_b32_e32 v0, v66, v0, vcc
	v_lshrrev_b32_sdwa v0, s69, v0 dst_sel:DWORD dst_unused:UNUSED_PAD src0_sel:DWORD src1_sel:WORD_0
	v_and_b32_e32 v0, s78, v0
	v_lshl_or_b32 v0, v0, 4, v67
	ds_add_u32 v0, v64
	s_or_b64 exec, exec, s[16:17]
	v_cmp_lt_u32_e32 vcc, v24, v13
	s_and_saveexec_b64 s[16:17], vcc
	s_cbranch_execnz .LBB1872_546
.LBB1872_539:                           ;   in Loop: Header=BB1872_521 Depth=2
	s_or_b64 exec, exec, s[16:17]
	v_cmp_lt_u32_e32 vcc, v25, v13
	s_and_saveexec_b64 s[16:17], vcc
	s_cbranch_execz .LBB1872_547
.LBB1872_540:                           ;   in Loop: Header=BB1872_521 Depth=2
	v_cmp_lt_i16_e32 vcc, -1, v9
	v_cndmask_b32_e32 v0, -1, v66, vcc
	v_xor_b32_e32 v0, v0, v9
	v_cmp_ne_u16_e32 vcc, s68, v0
	v_cndmask_b32_e32 v0, v66, v0, vcc
	v_lshrrev_b32_sdwa v0, s69, v0 dst_sel:DWORD dst_unused:UNUSED_PAD src0_sel:DWORD src1_sel:WORD_0
	v_and_b32_e32 v0, s78, v0
	v_lshl_or_b32 v0, v0, 4, v67
	ds_add_u32 v0, v64
	s_or_b64 exec, exec, s[16:17]
	v_cmp_lt_u32_e32 vcc, v26, v13
	s_and_saveexec_b64 s[16:17], vcc
	s_cbranch_execnz .LBB1872_548
.LBB1872_541:                           ;   in Loop: Header=BB1872_521 Depth=2
	s_or_b64 exec, exec, s[16:17]
	v_cmp_lt_u32_e32 vcc, v29, v13
	s_and_saveexec_b64 s[16:17], vcc
	s_cbranch_execz .LBB1872_549
.LBB1872_542:                           ;   in Loop: Header=BB1872_521 Depth=2
	v_cmp_lt_i16_e32 vcc, -1, v7
	v_cndmask_b32_e32 v0, -1, v66, vcc
	v_xor_b32_e32 v0, v0, v7
	v_cmp_ne_u16_e32 vcc, s68, v0
	v_cndmask_b32_e32 v0, v66, v0, vcc
	v_lshrrev_b32_sdwa v0, s69, v0 dst_sel:DWORD dst_unused:UNUSED_PAD src0_sel:DWORD src1_sel:WORD_0
	v_and_b32_e32 v0, s78, v0
	v_lshl_or_b32 v0, v0, 4, v67
	ds_add_u32 v0, v64
	s_or_b64 exec, exec, s[16:17]
	v_cmp_lt_u32_e32 vcc, v30, v13
	s_and_saveexec_b64 s[16:17], vcc
	s_cbranch_execnz .LBB1872_550
.LBB1872_543:                           ;   in Loop: Header=BB1872_521 Depth=2
	s_or_b64 exec, exec, s[16:17]
	v_cmp_lt_u32_e32 vcc, v31, v13
	s_and_saveexec_b64 s[16:17], vcc
	s_cbranch_execz .LBB1872_551
.LBB1872_544:                           ;   in Loop: Header=BB1872_521 Depth=2
	v_cmp_lt_i16_e32 vcc, -1, v5
	v_cndmask_b32_e32 v0, -1, v66, vcc
	v_xor_b32_e32 v0, v0, v5
	v_cmp_ne_u16_e32 vcc, s68, v0
	v_cndmask_b32_e32 v0, v66, v0, vcc
	v_lshrrev_b32_sdwa v0, s69, v0 dst_sel:DWORD dst_unused:UNUSED_PAD src0_sel:DWORD src1_sel:WORD_0
	v_and_b32_e32 v0, s78, v0
	v_lshl_or_b32 v0, v0, 4, v67
	ds_add_u32 v0, v64
	s_or_b64 exec, exec, s[16:17]
	v_cmp_lt_u32_e32 vcc, v32, v13
	s_and_saveexec_b64 s[16:17], vcc
	s_cbranch_execz .LBB1872_520
	s_branch .LBB1872_552
.LBB1872_545:                           ;   in Loop: Header=BB1872_521 Depth=2
	s_or_b64 exec, exec, s[16:17]
	v_cmp_lt_u32_e32 vcc, v24, v13
	s_and_saveexec_b64 s[16:17], vcc
	s_cbranch_execz .LBB1872_539
.LBB1872_546:                           ;   in Loop: Header=BB1872_521 Depth=2
	v_cmp_lt_i16_e32 vcc, -1, v10
	v_cndmask_b32_e32 v0, -1, v66, vcc
	v_xor_b32_e32 v0, v0, v10
	v_cmp_ne_u16_e32 vcc, s68, v0
	v_cndmask_b32_e32 v0, v66, v0, vcc
	v_lshrrev_b32_sdwa v0, s69, v0 dst_sel:DWORD dst_unused:UNUSED_PAD src0_sel:DWORD src1_sel:WORD_0
	v_and_b32_e32 v0, s78, v0
	v_lshl_or_b32 v0, v0, 4, v67
	ds_add_u32 v0, v64
	s_or_b64 exec, exec, s[16:17]
	v_cmp_lt_u32_e32 vcc, v25, v13
	s_and_saveexec_b64 s[16:17], vcc
	s_cbranch_execnz .LBB1872_540
.LBB1872_547:                           ;   in Loop: Header=BB1872_521 Depth=2
	s_or_b64 exec, exec, s[16:17]
	v_cmp_lt_u32_e32 vcc, v26, v13
	s_and_saveexec_b64 s[16:17], vcc
	s_cbranch_execz .LBB1872_541
.LBB1872_548:                           ;   in Loop: Header=BB1872_521 Depth=2
	v_cmp_lt_i16_e32 vcc, -1, v8
	v_cndmask_b32_e32 v0, -1, v66, vcc
	v_xor_b32_e32 v0, v0, v8
	v_cmp_ne_u16_e32 vcc, s68, v0
	v_cndmask_b32_e32 v0, v66, v0, vcc
	v_lshrrev_b32_sdwa v0, s69, v0 dst_sel:DWORD dst_unused:UNUSED_PAD src0_sel:DWORD src1_sel:WORD_0
	v_and_b32_e32 v0, s78, v0
	v_lshl_or_b32 v0, v0, 4, v67
	ds_add_u32 v0, v64
	s_or_b64 exec, exec, s[16:17]
	v_cmp_lt_u32_e32 vcc, v29, v13
	s_and_saveexec_b64 s[16:17], vcc
	s_cbranch_execnz .LBB1872_542
.LBB1872_549:                           ;   in Loop: Header=BB1872_521 Depth=2
	s_or_b64 exec, exec, s[16:17]
	v_cmp_lt_u32_e32 vcc, v30, v13
	s_and_saveexec_b64 s[16:17], vcc
	s_cbranch_execz .LBB1872_543
.LBB1872_550:                           ;   in Loop: Header=BB1872_521 Depth=2
	v_cmp_lt_i16_e32 vcc, -1, v6
	v_cndmask_b32_e32 v0, -1, v66, vcc
	v_xor_b32_e32 v0, v0, v6
	v_cmp_ne_u16_e32 vcc, s68, v0
	v_cndmask_b32_e32 v0, v66, v0, vcc
	v_lshrrev_b32_sdwa v0, s69, v0 dst_sel:DWORD dst_unused:UNUSED_PAD src0_sel:DWORD src1_sel:WORD_0
	v_and_b32_e32 v0, s78, v0
	v_lshl_or_b32 v0, v0, 4, v67
	ds_add_u32 v0, v64
	s_or_b64 exec, exec, s[16:17]
	v_cmp_lt_u32_e32 vcc, v31, v13
	s_and_saveexec_b64 s[16:17], vcc
	s_cbranch_execnz .LBB1872_544
.LBB1872_551:                           ;   in Loop: Header=BB1872_521 Depth=2
	s_or_b64 exec, exec, s[16:17]
	v_cmp_lt_u32_e32 vcc, v32, v13
	s_and_saveexec_b64 s[16:17], vcc
	s_cbranch_execz .LBB1872_520
.LBB1872_552:                           ;   in Loop: Header=BB1872_521 Depth=2
	s_waitcnt vmcnt(0)
	v_cmp_lt_i16_e32 vcc, -1, v12
	v_cndmask_b32_e32 v0, -1, v66, vcc
	v_xor_b32_e32 v0, v0, v12
	v_cmp_ne_u16_e32 vcc, s68, v0
	v_cndmask_b32_e32 v0, v66, v0, vcc
	v_lshrrev_b32_sdwa v0, s69, v0 dst_sel:DWORD dst_unused:UNUSED_PAD src0_sel:DWORD src1_sel:WORD_0
	v_and_b32_e32 v0, s78, v0
	v_lshl_or_b32 v0, v0, 4, v67
	ds_add_u32 v0, v64
	s_branch .LBB1872_520
.LBB1872_553:                           ;   in Loop: Header=BB1872_521 Depth=2
	s_or_b64 exec, exec, s[20:21]
	v_cmp_gt_u32_e32 vcc, s22, v24
	s_and_saveexec_b64 s[20:21], vcc
	s_cbranch_execz .LBB1872_527
.LBB1872_554:                           ;   in Loop: Header=BB1872_521 Depth=2
	global_load_ushort v10, v65, s[18:19] offset:512
	s_or_b64 exec, exec, s[20:21]
	v_cmp_gt_u32_e32 vcc, s22, v25
	s_and_saveexec_b64 s[20:21], vcc
	s_cbranch_execnz .LBB1872_528
.LBB1872_555:                           ;   in Loop: Header=BB1872_521 Depth=2
	s_or_b64 exec, exec, s[20:21]
	v_cmp_gt_u32_e32 vcc, s22, v26
	s_and_saveexec_b64 s[20:21], vcc
	s_cbranch_execz .LBB1872_529
.LBB1872_556:                           ;   in Loop: Header=BB1872_521 Depth=2
	global_load_ushort v8, v65, s[18:19] offset:1536
	s_or_b64 exec, exec, s[20:21]
	v_cmp_gt_u32_e32 vcc, s22, v29
	s_and_saveexec_b64 s[20:21], vcc
	s_cbranch_execnz .LBB1872_530
.LBB1872_557:                           ;   in Loop: Header=BB1872_521 Depth=2
	s_or_b64 exec, exec, s[20:21]
	v_cmp_gt_u32_e32 vcc, s22, v30
	s_and_saveexec_b64 s[20:21], vcc
	s_cbranch_execz .LBB1872_531
.LBB1872_558:                           ;   in Loop: Header=BB1872_521 Depth=2
	global_load_ushort v6, v65, s[18:19] offset:2560
	s_or_b64 exec, exec, s[20:21]
	v_cmp_gt_u32_e32 vcc, s22, v31
	s_and_saveexec_b64 s[20:21], vcc
	s_cbranch_execz .LBB1872_533
	s_branch .LBB1872_532
.LBB1872_559:                           ;   in Loop: Header=BB1872_17 Depth=1
	v_mov_b32_e32 v0, 0
	s_waitcnt lgkmcnt(0)
	s_barrier
	s_and_saveexec_b64 s[16:17], s[4:5]
	s_cbranch_execz .LBB1872_561
; %bb.560:                              ;   in Loop: Header=BB1872_17 Depth=1
	ds_read2_b64 v[6:9], v33 offset1:1
	s_waitcnt lgkmcnt(0)
	v_add_u32_e32 v0, v7, v6
	v_add3_u32 v0, v0, v8, v9
.LBB1872_561:                           ;   in Loop: Header=BB1872_17 Depth=1
	s_or_b64 exec, exec, s[16:17]
	v_and_b32_e32 v1, 15, v68
	v_mov_b32_dpp v5, v0 row_shr:1 row_mask:0xf bank_mask:0xf
	v_cmp_eq_u32_e64 s[16:17], 0, v1
	v_cndmask_b32_e64 v5, v5, 0, s[16:17]
	v_add_u32_e32 v0, v5, v0
	v_cmp_lt_u32_e64 s[18:19], 1, v1
	v_cmp_lt_u32_e64 s[20:21], 3, v1
	v_mov_b32_dpp v5, v0 row_shr:2 row_mask:0xf bank_mask:0xf
	v_cndmask_b32_e64 v5, 0, v5, s[18:19]
	v_add_u32_e32 v0, v0, v5
	v_cmp_lt_u32_e64 s[22:23], 7, v1
	v_cmp_lt_u32_e64 s[26:27], 31, v68
	v_mov_b32_dpp v5, v0 row_shr:4 row_mask:0xf bank_mask:0xf
	v_cndmask_b32_e64 v5, 0, v5, s[20:21]
	v_add_u32_e32 v0, v0, v5
	v_and_b32_e32 v6, 16, v68
	v_cmp_eq_u32_e64 s[24:25], 0, v6
	v_mov_b32_dpp v5, v0 row_shr:8 row_mask:0xf bank_mask:0xf
	v_cndmask_b32_e64 v1, 0, v5, s[22:23]
	v_add_u32_e32 v0, v0, v1
	v_bfe_i32 v5, v68, 4, 1
	s_nop 0
	v_mov_b32_dpp v1, v0 row_bcast:15 row_mask:0xf bank_mask:0xf
	v_and_b32_e32 v1, v5, v1
	v_add_u32_e32 v0, v0, v1
	s_nop 1
	v_mov_b32_dpp v1, v0 row_bcast:31 row_mask:0xf bank_mask:0xf
	v_cndmask_b32_e64 v1, 0, v1, s[26:27]
	v_add_u32_e32 v1, v0, v1
	s_and_saveexec_b64 s[28:29], s[6:7]
	s_cbranch_execz .LBB1872_563
; %bb.562:                              ;   in Loop: Header=BB1872_17 Depth=1
	ds_write_b32 v35, v1
.LBB1872_563:                           ;   in Loop: Header=BB1872_17 Depth=1
	s_or_b64 exec, exec, s[28:29]
	v_and_b32_e32 v0, 3, v68
	s_waitcnt lgkmcnt(0)
	s_barrier
	s_and_saveexec_b64 s[28:29], s[8:9]
	s_cbranch_execz .LBB1872_565
; %bb.564:                              ;   in Loop: Header=BB1872_17 Depth=1
	ds_read_b32 v5, v36
	v_cmp_ne_u32_e32 vcc, 0, v0
	s_waitcnt lgkmcnt(0)
	v_mov_b32_dpp v6, v5 row_shr:1 row_mask:0xf bank_mask:0xf
	v_cndmask_b32_e32 v6, 0, v6, vcc
	v_add_u32_e32 v5, v6, v5
	v_cmp_lt_u32_e32 vcc, 1, v0
	s_nop 0
	v_mov_b32_dpp v6, v5 row_shr:2 row_mask:0xf bank_mask:0xf
	v_cndmask_b32_e32 v6, 0, v6, vcc
	v_add_u32_e32 v5, v5, v6
	ds_write_b32 v36, v5
.LBB1872_565:                           ;   in Loop: Header=BB1872_17 Depth=1
	s_or_b64 exec, exec, s[28:29]
	v_mov_b32_e32 v5, 0
	s_waitcnt lgkmcnt(0)
	s_barrier
	s_and_saveexec_b64 s[28:29], s[10:11]
	s_cbranch_execz .LBB1872_567
; %bb.566:                              ;   in Loop: Header=BB1872_17 Depth=1
	ds_read_b32 v5, v37
.LBB1872_567:                           ;   in Loop: Header=BB1872_17 Depth=1
	s_or_b64 exec, exec, s[28:29]
	v_add_u32_e32 v6, -1, v68
	v_and_b32_e32 v7, 64, v68
	v_cmp_lt_i32_e32 vcc, v6, v7
	v_cndmask_b32_e32 v6, v6, v68, vcc
	s_waitcnt lgkmcnt(0)
	v_add_u32_e32 v1, v5, v1
	v_lshlrev_b32_e32 v69, 2, v6
	ds_bpermute_b32 v1, v69, v1
	v_cmp_eq_u32_e64 s[28:29], 0, v68
	s_waitcnt lgkmcnt(0)
	s_barrier
	s_and_saveexec_b64 s[30:31], s[4:5]
	s_cbranch_execz .LBB1872_569
; %bb.568:                              ;   in Loop: Header=BB1872_17 Depth=1
	v_cndmask_b32_e64 v1, v1, v5, s[28:29]
	v_add_u32_e32 v1, s51, v1
	ds_write_b32 v3, v1
.LBB1872_569:                           ;   in Loop: Header=BB1872_17 Depth=1
	s_or_b64 exec, exec, s[30:31]
	s_load_dwordx2 s[30:31], s[74:75], 0x0
	v_and_b32_e32 v21, 63, v68
	v_lshlrev_b32_e32 v22, 3, v21
	v_add_co_u32_e32 v77, vcc, v60, v22
	s_waitcnt lgkmcnt(0)
	s_cmp_lt_u32 s50, s30
	s_cselect_b32 s34, 12, 18
	s_cmp_lt_u32 s33, s31
	s_cselect_b32 s30, 14, 20
	s_add_u32 s30, s74, s30
	s_addc_u32 s31, s75, 0
	s_add_u32 s34, s74, s34
	global_load_ushort v5, v4, s[30:31]
	s_addc_u32 s35, s75, 0
	global_load_ushort v20, v4, s[34:35]
	v_or_b32_e32 v74, v21, v38
	v_lshlrev_b32_e32 v21, 1, v21
	v_addc_co_u32_e32 v79, vcc, 0, v61, vcc
	v_add_co_u32_e32 v88, vcc, v62, v21
	v_addc_co_u32_e32 v89, vcc, 0, v63, vcc
	v_add_co_u32_e32 v90, vcc, 0x380, v88
	v_cmp_eq_u32_e64 s[30:31], 0, v0
	v_cmp_lt_u32_e64 s[34:35], 1, v0
	s_mov_b32 s79, s71
	v_or_b32_e32 v81, 64, v74
	v_or_b32_e32 v82, 0x80, v74
	;; [unrolled: 1-line block ×7, first 2 shown]
	v_addc_co_u32_e32 v91, vcc, 0, v89, vcc
	s_mov_b32 s72, s51
                                        ; implicit-def: $vgpr0_vgpr1
                                        ; implicit-def: $vgpr6_vgpr7
                                        ; implicit-def: $vgpr8_vgpr9
                                        ; implicit-def: $vgpr10_vgpr11
                                        ; implicit-def: $vgpr12_vgpr13
                                        ; implicit-def: $vgpr14_vgpr15
                                        ; implicit-def: $vgpr16_vgpr17
                                        ; implicit-def: $vgpr18_vgpr19
                                        ; implicit-def: $vgpr70
                                        ; implicit-def: $vgpr71
                                        ; implicit-def: $vgpr72
                                        ; implicit-def: $vgpr73
                                        ; implicit-def: $vgpr75
                                        ; implicit-def: $vgpr76
                                        ; implicit-def: $vgpr78
                                        ; implicit-def: $vgpr80
	s_waitcnt vmcnt(1)
	v_mad_u32_u24 v5, v39, v5, v40
	s_waitcnt vmcnt(0)
	v_mad_u64_u32 v[20:21], s[36:37], v5, v20, v[2:3]
	v_lshrrev_b32_e32 v92, 6, v20
	s_branch .LBB1872_571
.LBB1872_570:                           ;   in Loop: Header=BB1872_571 Depth=2
	s_or_b64 exec, exec, s[36:37]
	s_addk_i32 s79, 0xf800
	s_cmp_lt_u32 s80, s76
	s_mov_b32 s72, s80
	s_cbranch_scc0 .LBB1872_15
.LBB1872_571:                           ;   Parent Loop BB1872_17 Depth=1
                                        ; =>  This Inner Loop Header: Depth=2
	s_add_i32 s80, s72, 0x800
	s_cmp_gt_u32 s80, s76
	s_cbranch_scc1 .LBB1872_574
; %bb.572:                              ;   in Loop: Header=BB1872_571 Depth=2
	s_lshl_b64 s[36:37], s[72:73], 1
	v_mov_b32_e32 v5, s37
	v_add_co_u32_e32 v20, vcc, s36, v88
	v_addc_co_u32_e32 v21, vcc, v89, v5, vcc
	global_load_ushort v5, v[20:21], off
	global_load_ushort v97, v[20:21], off offset:128
	global_load_ushort v101, v[20:21], off offset:256
	;; [unrolled: 1-line block ×6, first 2 shown]
	s_mov_b64 s[36:37], -1
	s_movk_i32 s40, 0x800
	s_cbranch_execz .LBB1872_575
; %bb.573:                              ;   in Loop: Header=BB1872_571 Depth=2
                                        ; implicit-def: $sgpr38
	v_mov_b32_e32 v23, s38
	v_mov_b32_e32 v93, s79
	s_and_saveexec_b64 s[38:39], s[36:37]
	s_cbranch_execnz .LBB1872_590
	s_branch .LBB1872_591
.LBB1872_574:                           ;   in Loop: Header=BB1872_571 Depth=2
	s_mov_b64 s[36:37], 0
                                        ; implicit-def: $sgpr40
                                        ; implicit-def: $vgpr5
                                        ; implicit-def: $vgpr97
                                        ; implicit-def: $vgpr101
                                        ; implicit-def: $vgpr106
                                        ; implicit-def: $vgpr109
                                        ; implicit-def: $vgpr104
                                        ; implicit-def: $vgpr22
.LBB1872_575:                           ;   in Loop: Header=BB1872_571 Depth=2
	s_lshl_b64 s[36:37], s[72:73], 1
	s_waitcnt vmcnt(6)
	v_mov_b32_e32 v5, s37
	v_add_co_u32_e32 v20, vcc, s36, v88
	v_addc_co_u32_e32 v21, vcc, v89, v5, vcc
	v_cmp_gt_u32_e32 vcc, s79, v74
	s_waitcnt vmcnt(5)
	v_mov_b32_e32 v97, 0x7fff
	v_mov_b32_e32 v5, 0x7fff
	s_and_saveexec_b64 s[36:37], vcc
	s_cbranch_execz .LBB1872_577
; %bb.576:                              ;   in Loop: Header=BB1872_571 Depth=2
	global_load_ushort v5, v[20:21], off
.LBB1872_577:                           ;   in Loop: Header=BB1872_571 Depth=2
	s_or_b64 exec, exec, s[36:37]
	v_cmp_gt_u32_e32 vcc, s79, v81
	s_and_saveexec_b64 s[36:37], vcc
	s_cbranch_execz .LBB1872_579
; %bb.578:                              ;   in Loop: Header=BB1872_571 Depth=2
	global_load_ushort v97, v[20:21], off offset:128
.LBB1872_579:                           ;   in Loop: Header=BB1872_571 Depth=2
	s_or_b64 exec, exec, s[36:37]
	v_cmp_gt_u32_e32 vcc, s79, v82
	s_waitcnt vmcnt(3)
	v_mov_b32_e32 v106, 0x7fff
	v_mov_b32_e32 v101, 0x7fff
	s_and_saveexec_b64 s[36:37], vcc
	s_cbranch_execz .LBB1872_581
; %bb.580:                              ;   in Loop: Header=BB1872_571 Depth=2
	global_load_ushort v101, v[20:21], off offset:256
.LBB1872_581:                           ;   in Loop: Header=BB1872_571 Depth=2
	s_or_b64 exec, exec, s[36:37]
	v_cmp_gt_u32_e32 vcc, s79, v83
	s_and_saveexec_b64 s[36:37], vcc
	s_cbranch_execz .LBB1872_583
; %bb.582:                              ;   in Loop: Header=BB1872_571 Depth=2
	global_load_ushort v106, v[20:21], off offset:384
.LBB1872_583:                           ;   in Loop: Header=BB1872_571 Depth=2
	s_or_b64 exec, exec, s[36:37]
	v_cmp_gt_u32_e32 vcc, s79, v84
	s_waitcnt vmcnt(1)
	v_mov_b32_e32 v104, 0x7fff
	v_mov_b32_e32 v109, 0x7fff
	s_and_saveexec_b64 s[36:37], vcc
	s_cbranch_execz .LBB1872_585
; %bb.584:                              ;   in Loop: Header=BB1872_571 Depth=2
	global_load_ushort v109, v[20:21], off offset:512
.LBB1872_585:                           ;   in Loop: Header=BB1872_571 Depth=2
	s_or_b64 exec, exec, s[36:37]
	v_cmp_gt_u32_e32 vcc, s79, v85
	s_and_saveexec_b64 s[36:37], vcc
	s_cbranch_execz .LBB1872_587
; %bb.586:                              ;   in Loop: Header=BB1872_571 Depth=2
	global_load_ushort v104, v[20:21], off offset:640
.LBB1872_587:                           ;   in Loop: Header=BB1872_571 Depth=2
	s_or_b64 exec, exec, s[36:37]
	v_cmp_gt_u32_e32 vcc, s79, v86
	s_waitcnt vmcnt(0)
	v_mov_b32_e32 v22, 0x7fff
	s_and_saveexec_b64 s[36:37], vcc
	s_cbranch_execz .LBB1872_589
; %bb.588:                              ;   in Loop: Header=BB1872_571 Depth=2
	global_load_ushort v22, v[20:21], off offset:768
.LBB1872_589:                           ;   in Loop: Header=BB1872_571 Depth=2
	s_or_b64 exec, exec, s[36:37]
	s_sub_i32 s40, s76, s72
	v_cmp_gt_u32_e64 s[36:37], s79, v87
	s_movk_i32 s38, 0x7fff
	v_mov_b32_e32 v23, s38
	v_mov_b32_e32 v93, s79
	s_and_saveexec_b64 s[38:39], s[36:37]
	s_cbranch_execz .LBB1872_591
.LBB1872_590:                           ;   in Loop: Header=BB1872_571 Depth=2
	s_lshl_b64 s[36:37], s[72:73], 1
	v_mov_b32_e32 v21, s37
	v_add_co_u32_e32 v20, vcc, s36, v90
	v_addc_co_u32_e32 v21, vcc, v91, v21, vcc
	global_load_ushort v23, v[20:21], off
	v_mov_b32_e32 v93, s40
.LBB1872_591:                           ;   in Loop: Header=BB1872_571 Depth=2
	s_or_b64 exec, exec, s[38:39]
	s_waitcnt vmcnt(6)
	v_cmp_lt_i16_e32 vcc, -1, v5
	v_cndmask_b32_e32 v20, -1, v66, vcc
	v_xor_b32_e32 v94, v20, v5
	v_add_u32_e32 v5, 0x410, v41
	v_cmp_ne_u16_e32 vcc, s68, v94
	ds_write2_b32 v5, v4, v4 offset1:1
	ds_write2_b32 v43, v4, v4 offset0:2 offset1:3
	ds_write_b32 v43, v4 offset:16
	v_cndmask_b32_e32 v5, v66, v94, vcc
	v_lshrrev_b32_sdwa v5, s69, v5 dst_sel:DWORD dst_unused:UNUSED_PAD src0_sel:DWORD src1_sel:WORD_0
	v_and_b32_e32 v20, s78, v5
	v_mad_u32_u24 v5, v20, 5, v92
	v_lshl_add_u32 v95, v5, 2, v42
	v_and_b32_e32 v5, 1, v20
	v_add_co_u32_e32 v21, vcc, -1, v5
	v_addc_co_u32_e64 v96, s[36:37], 0, -1, vcc
	v_cmp_ne_u32_e32 vcc, 0, v5
	v_xor_b32_e32 v5, vcc_hi, v96
	v_and_b32_e32 v96, exec_hi, v5
	v_lshlrev_b32_e32 v5, 30, v20
	v_xor_b32_e32 v21, vcc_lo, v21
	v_cmp_gt_i64_e32 vcc, 0, v[4:5]
	v_not_b32_e32 v5, v5
	v_ashrrev_i32_e32 v5, 31, v5
	v_and_b32_e32 v21, exec_lo, v21
	v_xor_b32_e32 v98, vcc_hi, v5
	v_xor_b32_e32 v5, vcc_lo, v5
	v_and_b32_e32 v21, v21, v5
	v_lshlrev_b32_e32 v5, 29, v20
	v_cmp_gt_i64_e32 vcc, 0, v[4:5]
	v_not_b32_e32 v5, v5
	v_ashrrev_i32_e32 v5, 31, v5
	v_and_b32_e32 v96, v96, v98
	v_xor_b32_e32 v98, vcc_hi, v5
	v_xor_b32_e32 v5, vcc_lo, v5
	v_and_b32_e32 v21, v21, v5
	v_lshlrev_b32_e32 v5, 28, v20
	v_cmp_gt_i64_e32 vcc, 0, v[4:5]
	v_not_b32_e32 v5, v5
	v_ashrrev_i32_e32 v5, 31, v5
	v_and_b32_e32 v96, v96, v98
	;; [unrolled: 8-line block ×5, first 2 shown]
	v_xor_b32_e32 v98, vcc_hi, v5
	v_xor_b32_e32 v5, vcc_lo, v5
	v_and_b32_e32 v96, v96, v98
	v_and_b32_e32 v98, v21, v5
	v_lshlrev_b32_e32 v5, 24, v20
	v_cmp_gt_i64_e32 vcc, 0, v[4:5]
	v_not_b32_e32 v5, v5
	v_ashrrev_i32_e32 v5, 31, v5
	v_xor_b32_e32 v20, vcc_hi, v5
	v_xor_b32_e32 v5, vcc_lo, v5
	v_and_b32_e32 v21, v96, v20
	v_and_b32_e32 v20, v98, v5
	v_mbcnt_lo_u32_b32 v5, v20, 0
	v_mbcnt_hi_u32_b32 v96, v21, v5
	v_cmp_eq_u32_e32 vcc, 0, v96
	v_cmp_ne_u64_e64 s[36:37], 0, v[20:21]
	s_and_b64 s[38:39], s[36:37], vcc
	s_waitcnt lgkmcnt(0)
	s_barrier
	s_waitcnt lgkmcnt(0)
	; wave barrier
	s_and_saveexec_b64 s[36:37], s[38:39]
	s_cbranch_execz .LBB1872_593
; %bb.592:                              ;   in Loop: Header=BB1872_571 Depth=2
	v_bcnt_u32_b32 v5, v20, 0
	v_bcnt_u32_b32 v5, v21, v5
	ds_write_b32 v95, v5
.LBB1872_593:                           ;   in Loop: Header=BB1872_571 Depth=2
	s_or_b64 exec, exec, s[36:37]
	s_waitcnt vmcnt(5)
	v_cmp_lt_i16_e32 vcc, -1, v97
	v_cndmask_b32_e32 v5, -1, v66, vcc
	v_xor_b32_e32 v97, v5, v97
	v_cmp_ne_u16_e32 vcc, s68, v97
	v_cndmask_b32_e32 v5, v66, v97, vcc
	v_lshrrev_b32_sdwa v5, s69, v5 dst_sel:DWORD dst_unused:UNUSED_PAD src0_sel:DWORD src1_sel:WORD_0
	v_and_b32_e32 v20, s78, v5
	v_mul_u32_u24_e32 v5, 5, v20
	v_add_lshl_u32 v5, v5, v92, 2
	; wave barrier
	v_add_u32_e32 v99, 0x410, v5
	ds_read_b32 v98, v5 offset:1040
	v_and_b32_e32 v5, 1, v20
	v_add_co_u32_e32 v21, vcc, -1, v5
	v_addc_co_u32_e64 v100, s[36:37], 0, -1, vcc
	v_cmp_ne_u32_e32 vcc, 0, v5
	v_xor_b32_e32 v5, vcc_hi, v100
	v_and_b32_e32 v100, exec_hi, v5
	v_lshlrev_b32_e32 v5, 30, v20
	v_xor_b32_e32 v21, vcc_lo, v21
	v_cmp_gt_i64_e32 vcc, 0, v[4:5]
	v_not_b32_e32 v5, v5
	v_ashrrev_i32_e32 v5, 31, v5
	v_and_b32_e32 v21, exec_lo, v21
	v_xor_b32_e32 v102, vcc_hi, v5
	v_xor_b32_e32 v5, vcc_lo, v5
	v_and_b32_e32 v21, v21, v5
	v_lshlrev_b32_e32 v5, 29, v20
	v_cmp_gt_i64_e32 vcc, 0, v[4:5]
	v_not_b32_e32 v5, v5
	v_ashrrev_i32_e32 v5, 31, v5
	v_and_b32_e32 v100, v100, v102
	v_xor_b32_e32 v102, vcc_hi, v5
	v_xor_b32_e32 v5, vcc_lo, v5
	v_and_b32_e32 v21, v21, v5
	v_lshlrev_b32_e32 v5, 28, v20
	v_cmp_gt_i64_e32 vcc, 0, v[4:5]
	v_not_b32_e32 v5, v5
	v_ashrrev_i32_e32 v5, 31, v5
	v_and_b32_e32 v100, v100, v102
	;; [unrolled: 8-line block ×5, first 2 shown]
	v_xor_b32_e32 v102, vcc_hi, v5
	v_xor_b32_e32 v5, vcc_lo, v5
	v_and_b32_e32 v100, v100, v102
	v_and_b32_e32 v102, v21, v5
	v_lshlrev_b32_e32 v5, 24, v20
	v_cmp_gt_i64_e32 vcc, 0, v[4:5]
	v_not_b32_e32 v5, v5
	v_ashrrev_i32_e32 v5, 31, v5
	v_xor_b32_e32 v20, vcc_hi, v5
	v_xor_b32_e32 v5, vcc_lo, v5
	v_and_b32_e32 v21, v100, v20
	v_and_b32_e32 v20, v102, v5
	v_mbcnt_lo_u32_b32 v5, v20, 0
	v_mbcnt_hi_u32_b32 v100, v21, v5
	v_cmp_eq_u32_e32 vcc, 0, v100
	v_cmp_ne_u64_e64 s[36:37], 0, v[20:21]
	s_and_b64 s[38:39], s[36:37], vcc
	; wave barrier
	s_and_saveexec_b64 s[36:37], s[38:39]
	s_cbranch_execz .LBB1872_595
; %bb.594:                              ;   in Loop: Header=BB1872_571 Depth=2
	v_bcnt_u32_b32 v5, v20, 0
	v_bcnt_u32_b32 v5, v21, v5
	s_waitcnt lgkmcnt(0)
	v_add_u32_e32 v5, v98, v5
	ds_write_b32 v99, v5
.LBB1872_595:                           ;   in Loop: Header=BB1872_571 Depth=2
	s_or_b64 exec, exec, s[36:37]
	s_waitcnt vmcnt(4)
	v_cmp_lt_i16_e32 vcc, -1, v101
	v_cndmask_b32_e32 v5, -1, v66, vcc
	v_xor_b32_e32 v101, v5, v101
	v_cmp_ne_u16_e32 vcc, s68, v101
	v_cndmask_b32_e32 v5, v66, v101, vcc
	v_lshrrev_b32_sdwa v5, s69, v5 dst_sel:DWORD dst_unused:UNUSED_PAD src0_sel:DWORD src1_sel:WORD_0
	v_and_b32_e32 v20, s78, v5
	v_mul_u32_u24_e32 v5, 5, v20
	v_add_lshl_u32 v5, v5, v92, 2
	; wave barrier
	v_add_u32_e32 v103, 0x410, v5
	ds_read_b32 v102, v5 offset:1040
	v_and_b32_e32 v5, 1, v20
	v_add_co_u32_e32 v21, vcc, -1, v5
	v_addc_co_u32_e64 v105, s[36:37], 0, -1, vcc
	v_cmp_ne_u32_e32 vcc, 0, v5
	v_xor_b32_e32 v5, vcc_hi, v105
	v_and_b32_e32 v105, exec_hi, v5
	v_lshlrev_b32_e32 v5, 30, v20
	v_xor_b32_e32 v21, vcc_lo, v21
	v_cmp_gt_i64_e32 vcc, 0, v[4:5]
	v_not_b32_e32 v5, v5
	v_ashrrev_i32_e32 v5, 31, v5
	v_and_b32_e32 v21, exec_lo, v21
	v_xor_b32_e32 v107, vcc_hi, v5
	v_xor_b32_e32 v5, vcc_lo, v5
	v_and_b32_e32 v21, v21, v5
	v_lshlrev_b32_e32 v5, 29, v20
	v_cmp_gt_i64_e32 vcc, 0, v[4:5]
	v_not_b32_e32 v5, v5
	v_ashrrev_i32_e32 v5, 31, v5
	v_and_b32_e32 v105, v105, v107
	v_xor_b32_e32 v107, vcc_hi, v5
	v_xor_b32_e32 v5, vcc_lo, v5
	v_and_b32_e32 v21, v21, v5
	v_lshlrev_b32_e32 v5, 28, v20
	v_cmp_gt_i64_e32 vcc, 0, v[4:5]
	v_not_b32_e32 v5, v5
	v_ashrrev_i32_e32 v5, 31, v5
	v_and_b32_e32 v105, v105, v107
	;; [unrolled: 8-line block ×5, first 2 shown]
	v_xor_b32_e32 v107, vcc_hi, v5
	v_xor_b32_e32 v5, vcc_lo, v5
	v_and_b32_e32 v105, v105, v107
	v_and_b32_e32 v107, v21, v5
	v_lshlrev_b32_e32 v5, 24, v20
	v_cmp_gt_i64_e32 vcc, 0, v[4:5]
	v_not_b32_e32 v5, v5
	v_ashrrev_i32_e32 v5, 31, v5
	v_xor_b32_e32 v20, vcc_hi, v5
	v_xor_b32_e32 v5, vcc_lo, v5
	v_and_b32_e32 v21, v105, v20
	v_and_b32_e32 v20, v107, v5
	v_mbcnt_lo_u32_b32 v5, v20, 0
	v_mbcnt_hi_u32_b32 v105, v21, v5
	v_cmp_eq_u32_e32 vcc, 0, v105
	v_cmp_ne_u64_e64 s[36:37], 0, v[20:21]
	s_and_b64 s[38:39], s[36:37], vcc
	; wave barrier
	s_and_saveexec_b64 s[36:37], s[38:39]
	s_cbranch_execz .LBB1872_597
; %bb.596:                              ;   in Loop: Header=BB1872_571 Depth=2
	v_bcnt_u32_b32 v5, v20, 0
	v_bcnt_u32_b32 v5, v21, v5
	s_waitcnt lgkmcnt(0)
	v_add_u32_e32 v5, v102, v5
	ds_write_b32 v103, v5
.LBB1872_597:                           ;   in Loop: Header=BB1872_571 Depth=2
	s_or_b64 exec, exec, s[36:37]
	s_waitcnt vmcnt(3)
	v_cmp_lt_i16_e32 vcc, -1, v106
	v_cndmask_b32_e32 v5, -1, v66, vcc
	v_xor_b32_e32 v106, v5, v106
	v_cmp_ne_u16_e32 vcc, s68, v106
	v_cndmask_b32_e32 v5, v66, v106, vcc
	v_lshrrev_b32_sdwa v5, s69, v5 dst_sel:DWORD dst_unused:UNUSED_PAD src0_sel:DWORD src1_sel:WORD_0
	v_and_b32_e32 v20, s78, v5
	v_mul_u32_u24_e32 v5, 5, v20
	v_add_lshl_u32 v5, v5, v92, 2
	; wave barrier
	v_add_u32_e32 v108, 0x410, v5
	ds_read_b32 v107, v5 offset:1040
	v_and_b32_e32 v5, 1, v20
	v_add_co_u32_e32 v21, vcc, -1, v5
	v_addc_co_u32_e64 v110, s[36:37], 0, -1, vcc
	v_cmp_ne_u32_e32 vcc, 0, v5
	v_xor_b32_e32 v5, vcc_hi, v110
	v_and_b32_e32 v110, exec_hi, v5
	v_lshlrev_b32_e32 v5, 30, v20
	v_xor_b32_e32 v21, vcc_lo, v21
	v_cmp_gt_i64_e32 vcc, 0, v[4:5]
	v_not_b32_e32 v5, v5
	v_ashrrev_i32_e32 v5, 31, v5
	v_and_b32_e32 v21, exec_lo, v21
	v_xor_b32_e32 v111, vcc_hi, v5
	v_xor_b32_e32 v5, vcc_lo, v5
	v_and_b32_e32 v21, v21, v5
	v_lshlrev_b32_e32 v5, 29, v20
	v_cmp_gt_i64_e32 vcc, 0, v[4:5]
	v_not_b32_e32 v5, v5
	v_ashrrev_i32_e32 v5, 31, v5
	v_and_b32_e32 v110, v110, v111
	v_xor_b32_e32 v111, vcc_hi, v5
	v_xor_b32_e32 v5, vcc_lo, v5
	v_and_b32_e32 v21, v21, v5
	v_lshlrev_b32_e32 v5, 28, v20
	v_cmp_gt_i64_e32 vcc, 0, v[4:5]
	v_not_b32_e32 v5, v5
	v_ashrrev_i32_e32 v5, 31, v5
	v_and_b32_e32 v110, v110, v111
	;; [unrolled: 8-line block ×5, first 2 shown]
	v_xor_b32_e32 v111, vcc_hi, v5
	v_xor_b32_e32 v5, vcc_lo, v5
	v_and_b32_e32 v110, v110, v111
	v_and_b32_e32 v111, v21, v5
	v_lshlrev_b32_e32 v5, 24, v20
	v_cmp_gt_i64_e32 vcc, 0, v[4:5]
	v_not_b32_e32 v5, v5
	v_ashrrev_i32_e32 v5, 31, v5
	v_xor_b32_e32 v20, vcc_hi, v5
	v_xor_b32_e32 v5, vcc_lo, v5
	v_and_b32_e32 v21, v110, v20
	v_and_b32_e32 v20, v111, v5
	v_mbcnt_lo_u32_b32 v5, v20, 0
	v_mbcnt_hi_u32_b32 v110, v21, v5
	v_cmp_eq_u32_e32 vcc, 0, v110
	v_cmp_ne_u64_e64 s[36:37], 0, v[20:21]
	s_and_b64 s[38:39], s[36:37], vcc
	; wave barrier
	s_and_saveexec_b64 s[36:37], s[38:39]
	s_cbranch_execz .LBB1872_599
; %bb.598:                              ;   in Loop: Header=BB1872_571 Depth=2
	v_bcnt_u32_b32 v5, v20, 0
	v_bcnt_u32_b32 v5, v21, v5
	s_waitcnt lgkmcnt(0)
	v_add_u32_e32 v5, v107, v5
	ds_write_b32 v108, v5
.LBB1872_599:                           ;   in Loop: Header=BB1872_571 Depth=2
	s_or_b64 exec, exec, s[36:37]
	s_waitcnt vmcnt(2)
	v_cmp_lt_i16_e32 vcc, -1, v109
	v_cndmask_b32_e32 v5, -1, v66, vcc
	v_xor_b32_e32 v109, v5, v109
	v_cmp_ne_u16_e32 vcc, s68, v109
	v_cndmask_b32_e32 v5, v66, v109, vcc
	v_lshrrev_b32_sdwa v5, s69, v5 dst_sel:DWORD dst_unused:UNUSED_PAD src0_sel:DWORD src1_sel:WORD_0
	v_and_b32_e32 v20, s78, v5
	v_mul_u32_u24_e32 v5, 5, v20
	v_add_lshl_u32 v5, v5, v92, 2
	; wave barrier
	v_add_u32_e32 v112, 0x410, v5
	ds_read_b32 v111, v5 offset:1040
	v_and_b32_e32 v5, 1, v20
	v_add_co_u32_e32 v21, vcc, -1, v5
	v_addc_co_u32_e64 v113, s[36:37], 0, -1, vcc
	v_cmp_ne_u32_e32 vcc, 0, v5
	v_xor_b32_e32 v5, vcc_hi, v113
	v_and_b32_e32 v113, exec_hi, v5
	v_lshlrev_b32_e32 v5, 30, v20
	v_xor_b32_e32 v21, vcc_lo, v21
	v_cmp_gt_i64_e32 vcc, 0, v[4:5]
	v_not_b32_e32 v5, v5
	v_ashrrev_i32_e32 v5, 31, v5
	v_and_b32_e32 v21, exec_lo, v21
	v_xor_b32_e32 v114, vcc_hi, v5
	v_xor_b32_e32 v5, vcc_lo, v5
	v_and_b32_e32 v21, v21, v5
	v_lshlrev_b32_e32 v5, 29, v20
	v_cmp_gt_i64_e32 vcc, 0, v[4:5]
	v_not_b32_e32 v5, v5
	v_ashrrev_i32_e32 v5, 31, v5
	v_and_b32_e32 v113, v113, v114
	v_xor_b32_e32 v114, vcc_hi, v5
	v_xor_b32_e32 v5, vcc_lo, v5
	v_and_b32_e32 v21, v21, v5
	v_lshlrev_b32_e32 v5, 28, v20
	v_cmp_gt_i64_e32 vcc, 0, v[4:5]
	v_not_b32_e32 v5, v5
	v_ashrrev_i32_e32 v5, 31, v5
	v_and_b32_e32 v113, v113, v114
	;; [unrolled: 8-line block ×5, first 2 shown]
	v_xor_b32_e32 v114, vcc_hi, v5
	v_xor_b32_e32 v5, vcc_lo, v5
	v_and_b32_e32 v113, v113, v114
	v_and_b32_e32 v114, v21, v5
	v_lshlrev_b32_e32 v5, 24, v20
	v_cmp_gt_i64_e32 vcc, 0, v[4:5]
	v_not_b32_e32 v5, v5
	v_ashrrev_i32_e32 v5, 31, v5
	v_xor_b32_e32 v20, vcc_hi, v5
	v_xor_b32_e32 v5, vcc_lo, v5
	v_and_b32_e32 v21, v113, v20
	v_and_b32_e32 v20, v114, v5
	v_mbcnt_lo_u32_b32 v5, v20, 0
	v_mbcnt_hi_u32_b32 v113, v21, v5
	v_cmp_eq_u32_e32 vcc, 0, v113
	v_cmp_ne_u64_e64 s[36:37], 0, v[20:21]
	s_and_b64 s[38:39], s[36:37], vcc
	; wave barrier
	s_and_saveexec_b64 s[36:37], s[38:39]
	s_cbranch_execz .LBB1872_601
; %bb.600:                              ;   in Loop: Header=BB1872_571 Depth=2
	v_bcnt_u32_b32 v5, v20, 0
	v_bcnt_u32_b32 v5, v21, v5
	s_waitcnt lgkmcnt(0)
	v_add_u32_e32 v5, v111, v5
	ds_write_b32 v112, v5
.LBB1872_601:                           ;   in Loop: Header=BB1872_571 Depth=2
	s_or_b64 exec, exec, s[36:37]
	s_waitcnt vmcnt(1)
	v_cmp_lt_i16_e32 vcc, -1, v104
	v_cndmask_b32_e32 v5, -1, v66, vcc
	v_xor_b32_e32 v104, v5, v104
	v_cmp_ne_u16_e32 vcc, s68, v104
	v_cndmask_b32_e32 v5, v66, v104, vcc
	v_lshrrev_b32_sdwa v5, s69, v5 dst_sel:DWORD dst_unused:UNUSED_PAD src0_sel:DWORD src1_sel:WORD_0
	v_and_b32_e32 v20, s78, v5
	v_mul_u32_u24_e32 v5, 5, v20
	v_add_lshl_u32 v5, v5, v92, 2
	; wave barrier
	v_add_u32_e32 v115, 0x410, v5
	ds_read_b32 v114, v5 offset:1040
	v_and_b32_e32 v5, 1, v20
	v_add_co_u32_e32 v21, vcc, -1, v5
	v_addc_co_u32_e64 v116, s[36:37], 0, -1, vcc
	v_cmp_ne_u32_e32 vcc, 0, v5
	v_xor_b32_e32 v5, vcc_hi, v116
	v_and_b32_e32 v116, exec_hi, v5
	v_lshlrev_b32_e32 v5, 30, v20
	v_xor_b32_e32 v21, vcc_lo, v21
	v_cmp_gt_i64_e32 vcc, 0, v[4:5]
	v_not_b32_e32 v5, v5
	v_ashrrev_i32_e32 v5, 31, v5
	v_and_b32_e32 v21, exec_lo, v21
	v_xor_b32_e32 v117, vcc_hi, v5
	v_xor_b32_e32 v5, vcc_lo, v5
	v_and_b32_e32 v21, v21, v5
	v_lshlrev_b32_e32 v5, 29, v20
	v_cmp_gt_i64_e32 vcc, 0, v[4:5]
	v_not_b32_e32 v5, v5
	v_ashrrev_i32_e32 v5, 31, v5
	v_and_b32_e32 v116, v116, v117
	v_xor_b32_e32 v117, vcc_hi, v5
	v_xor_b32_e32 v5, vcc_lo, v5
	v_and_b32_e32 v21, v21, v5
	v_lshlrev_b32_e32 v5, 28, v20
	v_cmp_gt_i64_e32 vcc, 0, v[4:5]
	v_not_b32_e32 v5, v5
	v_ashrrev_i32_e32 v5, 31, v5
	v_and_b32_e32 v116, v116, v117
	v_xor_b32_e32 v117, vcc_hi, v5
	v_xor_b32_e32 v5, vcc_lo, v5
	v_and_b32_e32 v21, v21, v5
	v_lshlrev_b32_e32 v5, 27, v20
	v_cmp_gt_i64_e32 vcc, 0, v[4:5]
	v_not_b32_e32 v5, v5
	v_ashrrev_i32_e32 v5, 31, v5
	v_and_b32_e32 v116, v116, v117
	v_xor_b32_e32 v117, vcc_hi, v5
	v_xor_b32_e32 v5, vcc_lo, v5
	v_and_b32_e32 v21, v21, v5
	v_lshlrev_b32_e32 v5, 26, v20
	v_cmp_gt_i64_e32 vcc, 0, v[4:5]
	v_not_b32_e32 v5, v5
	v_ashrrev_i32_e32 v5, 31, v5
	v_and_b32_e32 v116, v116, v117
	v_xor_b32_e32 v117, vcc_hi, v5
	v_xor_b32_e32 v5, vcc_lo, v5
	v_and_b32_e32 v21, v21, v5
	v_lshlrev_b32_e32 v5, 25, v20
	v_cmp_gt_i64_e32 vcc, 0, v[4:5]
	v_not_b32_e32 v5, v5
	v_ashrrev_i32_e32 v5, 31, v5
	v_and_b32_e32 v116, v116, v117
	v_xor_b32_e32 v117, vcc_hi, v5
	v_xor_b32_e32 v5, vcc_lo, v5
	v_and_b32_e32 v116, v116, v117
	v_and_b32_e32 v117, v21, v5
	v_lshlrev_b32_e32 v5, 24, v20
	v_cmp_gt_i64_e32 vcc, 0, v[4:5]
	v_not_b32_e32 v5, v5
	v_ashrrev_i32_e32 v5, 31, v5
	v_xor_b32_e32 v20, vcc_hi, v5
	v_xor_b32_e32 v5, vcc_lo, v5
	v_and_b32_e32 v21, v116, v20
	v_and_b32_e32 v20, v117, v5
	v_mbcnt_lo_u32_b32 v5, v20, 0
	v_mbcnt_hi_u32_b32 v116, v21, v5
	v_cmp_eq_u32_e32 vcc, 0, v116
	v_cmp_ne_u64_e64 s[36:37], 0, v[20:21]
	s_and_b64 s[38:39], s[36:37], vcc
	; wave barrier
	s_and_saveexec_b64 s[36:37], s[38:39]
	s_cbranch_execz .LBB1872_603
; %bb.602:                              ;   in Loop: Header=BB1872_571 Depth=2
	v_bcnt_u32_b32 v5, v20, 0
	v_bcnt_u32_b32 v5, v21, v5
	s_waitcnt lgkmcnt(0)
	v_add_u32_e32 v5, v114, v5
	ds_write_b32 v115, v5
.LBB1872_603:                           ;   in Loop: Header=BB1872_571 Depth=2
	s_or_b64 exec, exec, s[36:37]
	s_waitcnt vmcnt(0)
	v_cmp_lt_i16_e32 vcc, -1, v22
	v_cndmask_b32_e32 v5, -1, v66, vcc
	v_xor_b32_e32 v117, v5, v22
	v_cmp_ne_u16_e32 vcc, s68, v117
	v_cndmask_b32_e32 v5, v66, v117, vcc
	v_lshrrev_b32_sdwa v5, s69, v5 dst_sel:DWORD dst_unused:UNUSED_PAD src0_sel:DWORD src1_sel:WORD_0
	v_and_b32_e32 v20, s78, v5
	v_mul_u32_u24_e32 v5, 5, v20
	v_add_lshl_u32 v5, v5, v92, 2
	; wave barrier
	v_add_u32_e32 v119, 0x410, v5
	ds_read_b32 v118, v5 offset:1040
	v_and_b32_e32 v5, 1, v20
	v_add_co_u32_e32 v21, vcc, -1, v5
	v_addc_co_u32_e64 v22, s[36:37], 0, -1, vcc
	v_cmp_ne_u32_e32 vcc, 0, v5
	v_xor_b32_e32 v5, vcc_hi, v22
	v_and_b32_e32 v22, exec_hi, v5
	v_lshlrev_b32_e32 v5, 30, v20
	v_xor_b32_e32 v21, vcc_lo, v21
	v_cmp_gt_i64_e32 vcc, 0, v[4:5]
	v_not_b32_e32 v5, v5
	v_ashrrev_i32_e32 v5, 31, v5
	v_and_b32_e32 v21, exec_lo, v21
	v_xor_b32_e32 v120, vcc_hi, v5
	v_xor_b32_e32 v5, vcc_lo, v5
	v_and_b32_e32 v21, v21, v5
	v_lshlrev_b32_e32 v5, 29, v20
	v_cmp_gt_i64_e32 vcc, 0, v[4:5]
	v_not_b32_e32 v5, v5
	v_ashrrev_i32_e32 v5, 31, v5
	v_and_b32_e32 v22, v22, v120
	v_xor_b32_e32 v120, vcc_hi, v5
	v_xor_b32_e32 v5, vcc_lo, v5
	v_and_b32_e32 v21, v21, v5
	v_lshlrev_b32_e32 v5, 28, v20
	v_cmp_gt_i64_e32 vcc, 0, v[4:5]
	v_not_b32_e32 v5, v5
	v_ashrrev_i32_e32 v5, 31, v5
	v_and_b32_e32 v22, v22, v120
	;; [unrolled: 8-line block ×5, first 2 shown]
	v_xor_b32_e32 v120, vcc_hi, v5
	v_xor_b32_e32 v5, vcc_lo, v5
	v_and_b32_e32 v22, v22, v120
	v_and_b32_e32 v120, v21, v5
	v_lshlrev_b32_e32 v5, 24, v20
	v_cmp_gt_i64_e32 vcc, 0, v[4:5]
	v_not_b32_e32 v5, v5
	v_ashrrev_i32_e32 v5, 31, v5
	v_xor_b32_e32 v20, vcc_hi, v5
	v_xor_b32_e32 v5, vcc_lo, v5
	v_and_b32_e32 v21, v22, v20
	v_and_b32_e32 v20, v120, v5
	v_mbcnt_lo_u32_b32 v5, v20, 0
	v_mbcnt_hi_u32_b32 v120, v21, v5
	v_cmp_eq_u32_e32 vcc, 0, v120
	v_cmp_ne_u64_e64 s[36:37], 0, v[20:21]
	s_and_b64 s[38:39], s[36:37], vcc
	; wave barrier
	s_and_saveexec_b64 s[36:37], s[38:39]
	s_cbranch_execz .LBB1872_605
; %bb.604:                              ;   in Loop: Header=BB1872_571 Depth=2
	v_bcnt_u32_b32 v5, v20, 0
	v_bcnt_u32_b32 v5, v21, v5
	s_waitcnt lgkmcnt(0)
	v_add_u32_e32 v5, v118, v5
	ds_write_b32 v119, v5
.LBB1872_605:                           ;   in Loop: Header=BB1872_571 Depth=2
	s_or_b64 exec, exec, s[36:37]
	v_cmp_lt_i16_e32 vcc, -1, v23
	v_cndmask_b32_e32 v5, -1, v66, vcc
	v_xor_b32_e32 v121, v5, v23
	v_cmp_ne_u16_e32 vcc, s68, v121
	v_cndmask_b32_e32 v5, v66, v121, vcc
	v_lshrrev_b32_sdwa v5, s69, v5 dst_sel:DWORD dst_unused:UNUSED_PAD src0_sel:DWORD src1_sel:WORD_0
	v_and_b32_e32 v20, s78, v5
	v_mul_u32_u24_e32 v5, 5, v20
	v_add_lshl_u32 v5, v5, v92, 2
	; wave barrier
	v_add_u32_e32 v123, 0x410, v5
	ds_read_b32 v122, v5 offset:1040
	v_and_b32_e32 v5, 1, v20
	v_add_co_u32_e32 v21, vcc, -1, v5
	v_addc_co_u32_e64 v22, s[36:37], 0, -1, vcc
	v_cmp_ne_u32_e32 vcc, 0, v5
	v_xor_b32_e32 v5, vcc_hi, v22
	v_and_b32_e32 v22, exec_hi, v5
	v_lshlrev_b32_e32 v5, 30, v20
	v_xor_b32_e32 v21, vcc_lo, v21
	v_cmp_gt_i64_e32 vcc, 0, v[4:5]
	v_not_b32_e32 v5, v5
	v_ashrrev_i32_e32 v5, 31, v5
	v_and_b32_e32 v21, exec_lo, v21
	v_xor_b32_e32 v23, vcc_hi, v5
	v_xor_b32_e32 v5, vcc_lo, v5
	v_and_b32_e32 v21, v21, v5
	v_lshlrev_b32_e32 v5, 29, v20
	v_cmp_gt_i64_e32 vcc, 0, v[4:5]
	v_not_b32_e32 v5, v5
	v_ashrrev_i32_e32 v5, 31, v5
	v_and_b32_e32 v22, v22, v23
	v_xor_b32_e32 v23, vcc_hi, v5
	v_xor_b32_e32 v5, vcc_lo, v5
	v_and_b32_e32 v21, v21, v5
	v_lshlrev_b32_e32 v5, 28, v20
	v_cmp_gt_i64_e32 vcc, 0, v[4:5]
	v_not_b32_e32 v5, v5
	v_ashrrev_i32_e32 v5, 31, v5
	v_and_b32_e32 v22, v22, v23
	;; [unrolled: 8-line block ×5, first 2 shown]
	v_xor_b32_e32 v23, vcc_hi, v5
	v_xor_b32_e32 v5, vcc_lo, v5
	v_and_b32_e32 v22, v22, v23
	v_and_b32_e32 v23, v21, v5
	v_lshlrev_b32_e32 v5, 24, v20
	v_cmp_gt_i64_e32 vcc, 0, v[4:5]
	v_not_b32_e32 v5, v5
	v_ashrrev_i32_e32 v5, 31, v5
	v_xor_b32_e32 v20, vcc_hi, v5
	v_xor_b32_e32 v5, vcc_lo, v5
	v_and_b32_e32 v21, v22, v20
	v_and_b32_e32 v20, v23, v5
	v_mbcnt_lo_u32_b32 v5, v20, 0
	v_mbcnt_hi_u32_b32 v124, v21, v5
	v_cmp_eq_u32_e32 vcc, 0, v124
	v_cmp_ne_u64_e64 s[36:37], 0, v[20:21]
	s_and_b64 s[38:39], s[36:37], vcc
	; wave barrier
	s_and_saveexec_b64 s[36:37], s[38:39]
	s_cbranch_execz .LBB1872_607
; %bb.606:                              ;   in Loop: Header=BB1872_571 Depth=2
	v_bcnt_u32_b32 v5, v20, 0
	v_bcnt_u32_b32 v5, v21, v5
	s_waitcnt lgkmcnt(0)
	v_add_u32_e32 v5, v122, v5
	ds_write_b32 v123, v5
.LBB1872_607:                           ;   in Loop: Header=BB1872_571 Depth=2
	s_or_b64 exec, exec, s[36:37]
	; wave barrier
	s_waitcnt lgkmcnt(0)
	s_barrier
	ds_read_b32 v5, v41 offset:1040
	ds_read2_b32 v[22:23], v43 offset0:1 offset1:2
	ds_read2_b32 v[20:21], v43 offset0:3 offset1:4
	s_waitcnt lgkmcnt(1)
	v_add3_u32 v125, v22, v5, v23
	s_waitcnt lgkmcnt(0)
	v_add3_u32 v21, v125, v20, v21
	s_nop 1
	v_mov_b32_dpp v125, v21 row_shr:1 row_mask:0xf bank_mask:0xf
	v_cndmask_b32_e64 v125, v125, 0, s[16:17]
	v_add_u32_e32 v21, v125, v21
	s_nop 1
	v_mov_b32_dpp v125, v21 row_shr:2 row_mask:0xf bank_mask:0xf
	v_cndmask_b32_e64 v125, 0, v125, s[18:19]
	v_add_u32_e32 v21, v21, v125
	;; [unrolled: 4-line block ×4, first 2 shown]
	s_nop 1
	v_mov_b32_dpp v125, v21 row_bcast:15 row_mask:0xf bank_mask:0xf
	v_cndmask_b32_e64 v125, v125, 0, s[24:25]
	v_add_u32_e32 v21, v21, v125
	s_nop 1
	v_mov_b32_dpp v125, v21 row_bcast:31 row_mask:0xf bank_mask:0xf
	v_cndmask_b32_e64 v125, 0, v125, s[26:27]
	v_add_u32_e32 v21, v21, v125
	s_and_saveexec_b64 s[36:37], s[6:7]
	s_cbranch_execz .LBB1872_609
; %bb.608:                              ;   in Loop: Header=BB1872_571 Depth=2
	ds_write_b32 v34, v21 offset:1024
.LBB1872_609:                           ;   in Loop: Header=BB1872_571 Depth=2
	s_or_b64 exec, exec, s[36:37]
	s_waitcnt lgkmcnt(0)
	s_barrier
	s_and_saveexec_b64 s[36:37], s[8:9]
	s_cbranch_execz .LBB1872_611
; %bb.610:                              ;   in Loop: Header=BB1872_571 Depth=2
	ds_read_b32 v125, v44 offset:1024
	s_waitcnt lgkmcnt(0)
	s_nop 0
	v_mov_b32_dpp v126, v125 row_shr:1 row_mask:0xf bank_mask:0xf
	v_cndmask_b32_e64 v126, v126, 0, s[30:31]
	v_add_u32_e32 v125, v126, v125
	s_nop 1
	v_mov_b32_dpp v126, v125 row_shr:2 row_mask:0xf bank_mask:0xf
	v_cndmask_b32_e64 v126, 0, v126, s[34:35]
	v_add_u32_e32 v125, v125, v126
	ds_write_b32 v44, v125 offset:1024
.LBB1872_611:                           ;   in Loop: Header=BB1872_571 Depth=2
	s_or_b64 exec, exec, s[36:37]
	v_mov_b32_e32 v125, 0
	s_waitcnt lgkmcnt(0)
	s_barrier
	s_and_saveexec_b64 s[36:37], s[10:11]
	s_cbranch_execz .LBB1872_613
; %bb.612:                              ;   in Loop: Header=BB1872_571 Depth=2
	ds_read_b32 v125, v34 offset:1020
.LBB1872_613:                           ;   in Loop: Header=BB1872_571 Depth=2
	s_or_b64 exec, exec, s[36:37]
	s_waitcnt lgkmcnt(0)
	v_add_u32_e32 v21, v125, v21
	ds_bpermute_b32 v21, v69, v21
	s_waitcnt lgkmcnt(0)
	v_cndmask_b32_e64 v21, v21, v125, s[28:29]
	v_cndmask_b32_e64 v21, v21, 0, s[12:13]
	v_add_u32_e32 v5, v21, v5
	ds_write_b32 v41, v21 offset:1040
	v_add_u32_e32 v21, v5, v22
	v_add_u32_e32 v22, v21, v23
	ds_write2_b32 v43, v5, v21 offset0:1 offset1:2
	v_add_u32_e32 v5, v22, v20
	ds_write2_b32 v43, v22, v5 offset0:3 offset1:4
	s_waitcnt lgkmcnt(0)
	s_barrier
	ds_read_b32 v20, v99
	ds_read_b32 v21, v103
	;; [unrolled: 1-line block ×8, first 2 shown]
	ds_read_b32 v99, v41 offset:1040
	v_mov_b32_e32 v5, 0x800
	s_and_saveexec_b64 s[36:37], s[14:15]
	s_cbranch_execz .LBB1872_615
; %bb.614:                              ;   in Loop: Header=BB1872_571 Depth=2
	ds_read_b32 v5, v41 offset:1060
.LBB1872_615:                           ;   in Loop: Header=BB1872_571 Depth=2
	s_or_b64 exec, exec, s[36:37]
	s_waitcnt lgkmcnt(0)
	s_barrier
	s_and_saveexec_b64 s[36:37], s[4:5]
	s_cbranch_execz .LBB1872_617
; %bb.616:                              ;   in Loop: Header=BB1872_571 Depth=2
	ds_read_b32 v103, v3
	s_waitcnt lgkmcnt(0)
	v_sub_u32_e32 v99, v103, v99
	ds_write_b32 v3, v99
.LBB1872_617:                           ;   in Loop: Header=BB1872_571 Depth=2
	s_or_b64 exec, exec, s[36:37]
	v_add_u32_e32 v103, v95, v96
	v_add3_u32 v100, v100, v98, v20
	v_lshlrev_b32_e32 v20, 1, v103
	v_add3_u32 v99, v105, v102, v21
	ds_write_b16 v20, v94 offset:1024
	v_lshlrev_b32_e32 v20, 1, v100
	v_add3_u32 v98, v110, v107, v22
	ds_write_b16 v20, v97 offset:1024
	;; [unrolled: 3-line block ×6, first 2 shown]
	v_lshlrev_b32_e32 v20, 1, v23
	ds_write_b16 v20, v117 offset:1024
	v_lshlrev_b32_e32 v20, 1, v22
	v_cmp_lt_u32_e32 vcc, v2, v93
	ds_write_b16 v20, v121 offset:1024
	s_waitcnt lgkmcnt(0)
	s_barrier
	s_and_saveexec_b64 s[38:39], vcc
	s_cbranch_execz .LBB1872_625
; %bb.618:                              ;   in Loop: Header=BB1872_571 Depth=2
	ds_read_u16 v20, v49 offset:1024
	v_mov_b32_e32 v21, v4
	v_mov_b32_e32 v97, s61
	s_waitcnt lgkmcnt(0)
	v_cmp_ne_u16_e64 s[36:37], s68, v20
	v_cndmask_b32_e64 v94, v66, v20, s[36:37]
	v_lshrrev_b32_sdwa v94, s69, v94 dst_sel:DWORD dst_unused:UNUSED_PAD src0_sel:DWORD src1_sel:WORD_0
	v_and_b32_e32 v94, s78, v94
	v_lshlrev_b32_e32 v94, 2, v94
	ds_read_b32 v94, v94
	v_cmp_lt_i16_e64 s[36:37], -1, v20
	v_cndmask_b32_e64 v101, v66, -1, s[36:37]
	v_xor_b32_e32 v101, v101, v20
	s_waitcnt lgkmcnt(0)
	v_add_u32_e32 v20, v94, v2
	v_lshlrev_b64 v[20:21], 1, v[20:21]
	v_add_co_u32_e64 v20, s[36:37], s60, v20
	v_addc_co_u32_e64 v21, s[36:37], v97, v21, s[36:37]
	global_store_short v[20:21], v101, off
	s_or_b64 exec, exec, s[38:39]
	v_cmp_lt_u32_e64 s[36:37], v24, v93
	s_and_saveexec_b64 s[40:41], s[36:37]
	s_cbranch_execnz .LBB1872_626
.LBB1872_619:                           ;   in Loop: Header=BB1872_571 Depth=2
	s_or_b64 exec, exec, s[40:41]
	v_cmp_lt_u32_e64 s[38:39], v25, v93
	s_and_saveexec_b64 s[42:43], s[38:39]
	s_cbranch_execz .LBB1872_627
.LBB1872_620:                           ;   in Loop: Header=BB1872_571 Depth=2
	ds_read_u16 v20, v50 offset:1024
	v_mov_b32_e32 v21, v4
	v_mov_b32_e32 v97, s61
	s_waitcnt lgkmcnt(0)
	v_cmp_ne_u16_e64 s[40:41], s68, v20
	v_cndmask_b32_e64 v94, v66, v20, s[40:41]
	v_lshrrev_b32_sdwa v94, s69, v94 dst_sel:DWORD dst_unused:UNUSED_PAD src0_sel:DWORD src1_sel:WORD_0
	v_and_b32_e32 v94, s78, v94
	v_lshlrev_b32_e32 v94, 2, v94
	ds_read_b32 v94, v94
	v_cmp_lt_i16_e64 s[40:41], -1, v20
	v_cndmask_b32_e64 v101, v66, -1, s[40:41]
	v_xor_b32_e32 v101, v101, v20
	s_waitcnt lgkmcnt(0)
	v_add_u32_e32 v20, v94, v25
	v_lshlrev_b64 v[20:21], 1, v[20:21]
	v_add_co_u32_e64 v20, s[40:41], s60, v20
	v_addc_co_u32_e64 v21, s[40:41], v97, v21, s[40:41]
	global_store_short v[20:21], v101, off
	s_or_b64 exec, exec, s[42:43]
	v_cmp_lt_u32_e64 s[40:41], v26, v93
	s_and_saveexec_b64 s[44:45], s[40:41]
	s_cbranch_execnz .LBB1872_628
.LBB1872_621:                           ;   in Loop: Header=BB1872_571 Depth=2
	s_or_b64 exec, exec, s[44:45]
	v_cmp_lt_u32_e64 s[42:43], v29, v93
	s_and_saveexec_b64 s[46:47], s[42:43]
	s_cbranch_execz .LBB1872_629
.LBB1872_622:                           ;   in Loop: Header=BB1872_571 Depth=2
	ds_read_u16 v20, v50 offset:2048
	v_mov_b32_e32 v21, v4
	v_mov_b32_e32 v97, s61
	s_waitcnt lgkmcnt(0)
	v_cmp_ne_u16_e64 s[44:45], s68, v20
	v_cndmask_b32_e64 v94, v66, v20, s[44:45]
	v_lshrrev_b32_sdwa v94, s69, v94 dst_sel:DWORD dst_unused:UNUSED_PAD src0_sel:DWORD src1_sel:WORD_0
	v_and_b32_e32 v94, s78, v94
	v_lshlrev_b32_e32 v94, 2, v94
	ds_read_b32 v94, v94
	v_cmp_lt_i16_e64 s[44:45], -1, v20
	v_cndmask_b32_e64 v101, v66, -1, s[44:45]
	v_xor_b32_e32 v101, v101, v20
	s_waitcnt lgkmcnt(0)
	v_add_u32_e32 v20, v94, v29
	v_lshlrev_b64 v[20:21], 1, v[20:21]
	v_add_co_u32_e64 v20, s[44:45], s60, v20
	v_addc_co_u32_e64 v21, s[44:45], v97, v21, s[44:45]
	global_store_short v[20:21], v101, off
	s_or_b64 exec, exec, s[46:47]
	v_cmp_lt_u32_e64 s[44:45], v30, v93
	s_and_saveexec_b64 s[48:49], s[44:45]
	s_cbranch_execnz .LBB1872_630
.LBB1872_623:                           ;   in Loop: Header=BB1872_571 Depth=2
	s_or_b64 exec, exec, s[48:49]
	v_cmp_lt_u32_e64 s[46:47], v31, v93
	s_and_saveexec_b64 s[52:53], s[46:47]
	s_cbranch_execz .LBB1872_631
.LBB1872_624:                           ;   in Loop: Header=BB1872_571 Depth=2
	ds_read_u16 v20, v50 offset:3072
	v_mov_b32_e32 v21, v4
	v_mov_b32_e32 v97, s61
	s_waitcnt lgkmcnt(0)
	v_cmp_ne_u16_e64 s[48:49], s68, v20
	v_cndmask_b32_e64 v94, v66, v20, s[48:49]
	v_lshrrev_b32_sdwa v94, s69, v94 dst_sel:DWORD dst_unused:UNUSED_PAD src0_sel:DWORD src1_sel:WORD_0
	v_and_b32_e32 v94, s78, v94
	v_lshlrev_b32_e32 v94, 2, v94
	ds_read_b32 v94, v94
	v_cmp_lt_i16_e64 s[48:49], -1, v20
	v_cndmask_b32_e64 v101, v66, -1, s[48:49]
	v_xor_b32_e32 v101, v101, v20
	s_waitcnt lgkmcnt(0)
	v_add_u32_e32 v20, v94, v31
	v_lshlrev_b64 v[20:21], 1, v[20:21]
	v_add_co_u32_e64 v20, s[48:49], s60, v20
	v_addc_co_u32_e64 v21, s[48:49], v97, v21, s[48:49]
	global_store_short v[20:21], v101, off
	s_or_b64 exec, exec, s[52:53]
	v_cmp_lt_u32_e64 s[48:49], v32, v93
	s_and_saveexec_b64 s[62:63], s[48:49]
	s_cbranch_execnz .LBB1872_632
	s_branch .LBB1872_633
.LBB1872_625:                           ;   in Loop: Header=BB1872_571 Depth=2
	s_or_b64 exec, exec, s[38:39]
	v_cmp_lt_u32_e64 s[36:37], v24, v93
	s_and_saveexec_b64 s[40:41], s[36:37]
	s_cbranch_execz .LBB1872_619
.LBB1872_626:                           ;   in Loop: Header=BB1872_571 Depth=2
	ds_read_u16 v20, v50 offset:512
	v_mov_b32_e32 v21, v4
	v_mov_b32_e32 v97, s61
	s_waitcnt lgkmcnt(0)
	v_cmp_ne_u16_e64 s[38:39], s68, v20
	v_cndmask_b32_e64 v94, v66, v20, s[38:39]
	v_lshrrev_b32_sdwa v94, s69, v94 dst_sel:DWORD dst_unused:UNUSED_PAD src0_sel:DWORD src1_sel:WORD_0
	v_and_b32_e32 v94, s78, v94
	v_lshlrev_b32_e32 v94, 2, v94
	ds_read_b32 v94, v94
	v_cmp_lt_i16_e64 s[38:39], -1, v20
	v_cndmask_b32_e64 v101, v66, -1, s[38:39]
	v_xor_b32_e32 v101, v101, v20
	s_waitcnt lgkmcnt(0)
	v_add_u32_e32 v20, v94, v24
	v_lshlrev_b64 v[20:21], 1, v[20:21]
	v_add_co_u32_e64 v20, s[38:39], s60, v20
	v_addc_co_u32_e64 v21, s[38:39], v97, v21, s[38:39]
	global_store_short v[20:21], v101, off
	s_or_b64 exec, exec, s[40:41]
	v_cmp_lt_u32_e64 s[38:39], v25, v93
	s_and_saveexec_b64 s[42:43], s[38:39]
	s_cbranch_execnz .LBB1872_620
.LBB1872_627:                           ;   in Loop: Header=BB1872_571 Depth=2
	s_or_b64 exec, exec, s[42:43]
	v_cmp_lt_u32_e64 s[40:41], v26, v93
	s_and_saveexec_b64 s[44:45], s[40:41]
	s_cbranch_execz .LBB1872_621
.LBB1872_628:                           ;   in Loop: Header=BB1872_571 Depth=2
	ds_read_u16 v20, v50 offset:1536
	v_mov_b32_e32 v21, v4
	v_mov_b32_e32 v97, s61
	s_waitcnt lgkmcnt(0)
	v_cmp_ne_u16_e64 s[42:43], s68, v20
	v_cndmask_b32_e64 v94, v66, v20, s[42:43]
	v_lshrrev_b32_sdwa v94, s69, v94 dst_sel:DWORD dst_unused:UNUSED_PAD src0_sel:DWORD src1_sel:WORD_0
	v_and_b32_e32 v94, s78, v94
	v_lshlrev_b32_e32 v94, 2, v94
	ds_read_b32 v94, v94
	v_cmp_lt_i16_e64 s[42:43], -1, v20
	v_cndmask_b32_e64 v101, v66, -1, s[42:43]
	v_xor_b32_e32 v101, v101, v20
	s_waitcnt lgkmcnt(0)
	v_add_u32_e32 v20, v94, v26
	v_lshlrev_b64 v[20:21], 1, v[20:21]
	v_add_co_u32_e64 v20, s[42:43], s60, v20
	v_addc_co_u32_e64 v21, s[42:43], v97, v21, s[42:43]
	global_store_short v[20:21], v101, off
	s_or_b64 exec, exec, s[44:45]
	v_cmp_lt_u32_e64 s[42:43], v29, v93
	s_and_saveexec_b64 s[46:47], s[42:43]
	s_cbranch_execnz .LBB1872_622
.LBB1872_629:                           ;   in Loop: Header=BB1872_571 Depth=2
	s_or_b64 exec, exec, s[46:47]
	v_cmp_lt_u32_e64 s[44:45], v30, v93
	s_and_saveexec_b64 s[48:49], s[44:45]
	s_cbranch_execz .LBB1872_623
.LBB1872_630:                           ;   in Loop: Header=BB1872_571 Depth=2
	ds_read_u16 v20, v50 offset:2560
	v_mov_b32_e32 v21, v4
	v_mov_b32_e32 v97, s61
	s_waitcnt lgkmcnt(0)
	v_cmp_ne_u16_e64 s[46:47], s68, v20
	v_cndmask_b32_e64 v94, v66, v20, s[46:47]
	v_lshrrev_b32_sdwa v94, s69, v94 dst_sel:DWORD dst_unused:UNUSED_PAD src0_sel:DWORD src1_sel:WORD_0
	v_and_b32_e32 v94, s78, v94
	v_lshlrev_b32_e32 v94, 2, v94
	ds_read_b32 v94, v94
	v_cmp_lt_i16_e64 s[46:47], -1, v20
	v_cndmask_b32_e64 v101, v66, -1, s[46:47]
	v_xor_b32_e32 v101, v101, v20
	s_waitcnt lgkmcnt(0)
	v_add_u32_e32 v20, v94, v30
	v_lshlrev_b64 v[20:21], 1, v[20:21]
	v_add_co_u32_e64 v20, s[46:47], s60, v20
	v_addc_co_u32_e64 v21, s[46:47], v97, v21, s[46:47]
	global_store_short v[20:21], v101, off
	s_or_b64 exec, exec, s[48:49]
	v_cmp_lt_u32_e64 s[46:47], v31, v93
	s_and_saveexec_b64 s[52:53], s[46:47]
	s_cbranch_execnz .LBB1872_624
.LBB1872_631:                           ;   in Loop: Header=BB1872_571 Depth=2
	s_or_b64 exec, exec, s[52:53]
	v_cmp_lt_u32_e64 s[48:49], v32, v93
	s_and_saveexec_b64 s[62:63], s[48:49]
	s_cbranch_execz .LBB1872_633
.LBB1872_632:                           ;   in Loop: Header=BB1872_571 Depth=2
	ds_read_u16 v20, v50 offset:3584
	v_mov_b32_e32 v21, v4
	v_mov_b32_e32 v97, s61
	s_waitcnt lgkmcnt(0)
	v_cmp_ne_u16_e64 s[52:53], s68, v20
	v_cndmask_b32_e64 v94, v66, v20, s[52:53]
	v_lshrrev_b32_sdwa v94, s69, v94 dst_sel:DWORD dst_unused:UNUSED_PAD src0_sel:DWORD src1_sel:WORD_0
	v_and_b32_e32 v94, s78, v94
	v_lshlrev_b32_e32 v94, 2, v94
	ds_read_b32 v94, v94
	v_cmp_lt_i16_e64 s[52:53], -1, v20
	v_cndmask_b32_e64 v101, v66, -1, s[52:53]
	v_xor_b32_e32 v101, v101, v20
	s_waitcnt lgkmcnt(0)
	v_add_u32_e32 v20, v94, v32
	v_lshlrev_b64 v[20:21], 1, v[20:21]
	v_add_co_u32_e64 v20, s[52:53], s60, v20
	v_addc_co_u32_e64 v21, s[52:53], v97, v21, s[52:53]
	global_store_short v[20:21], v101, off
.LBB1872_633:                           ;   in Loop: Header=BB1872_571 Depth=2
	s_or_b64 exec, exec, s[62:63]
	s_lshl_b64 s[52:53], s[72:73], 3
	v_mov_b32_e32 v21, s53
	v_add_co_u32_e64 v20, s[52:53], s52, v77
	v_addc_co_u32_e64 v21, s[52:53], v79, v21, s[52:53]
	v_cmp_lt_u32_e64 s[52:53], v74, v93
	s_and_saveexec_b64 s[62:63], s[52:53]
	s_xor_b64 s[52:53], exec, s[62:63]
	s_cbranch_execz .LBB1872_649
; %bb.634:                              ;   in Loop: Header=BB1872_571 Depth=2
	global_load_dwordx2 v[18:19], v[20:21], off
	s_or_b64 exec, exec, s[52:53]
	v_cmp_lt_u32_e64 s[52:53], v81, v93
	s_and_saveexec_b64 s[62:63], s[52:53]
	s_cbranch_execnz .LBB1872_650
.LBB1872_635:                           ;   in Loop: Header=BB1872_571 Depth=2
	s_or_b64 exec, exec, s[62:63]
	v_cmp_lt_u32_e64 s[52:53], v82, v93
	s_and_saveexec_b64 s[62:63], s[52:53]
	s_cbranch_execz .LBB1872_651
.LBB1872_636:                           ;   in Loop: Header=BB1872_571 Depth=2
	global_load_dwordx2 v[14:15], v[20:21], off offset:1024
	s_or_b64 exec, exec, s[62:63]
	v_cmp_lt_u32_e64 s[52:53], v83, v93
	s_and_saveexec_b64 s[62:63], s[52:53]
	s_cbranch_execnz .LBB1872_652
.LBB1872_637:                           ;   in Loop: Header=BB1872_571 Depth=2
	s_or_b64 exec, exec, s[62:63]
	v_cmp_lt_u32_e64 s[52:53], v84, v93
	s_and_saveexec_b64 s[62:63], s[52:53]
	s_cbranch_execz .LBB1872_653
.LBB1872_638:                           ;   in Loop: Header=BB1872_571 Depth=2
	global_load_dwordx2 v[10:11], v[20:21], off offset:2048
	s_or_b64 exec, exec, s[62:63]
	v_cmp_lt_u32_e64 s[52:53], v85, v93
	s_and_saveexec_b64 s[62:63], s[52:53]
	s_cbranch_execnz .LBB1872_654
.LBB1872_639:                           ;   in Loop: Header=BB1872_571 Depth=2
	s_or_b64 exec, exec, s[62:63]
	v_cmp_lt_u32_e64 s[52:53], v86, v93
	s_and_saveexec_b64 s[62:63], s[52:53]
	s_cbranch_execz .LBB1872_655
.LBB1872_640:                           ;   in Loop: Header=BB1872_571 Depth=2
	global_load_dwordx2 v[6:7], v[20:21], off offset:3072
	s_or_b64 exec, exec, s[62:63]
	v_cmp_lt_u32_e64 s[52:53], v87, v93
	s_and_saveexec_b64 s[62:63], s[52:53]
	s_cbranch_execnz .LBB1872_656
.LBB1872_641:                           ;   in Loop: Header=BB1872_571 Depth=2
	s_or_b64 exec, exec, s[62:63]
	s_and_saveexec_b64 s[62:63], vcc
	s_cbranch_execz .LBB1872_657
.LBB1872_642:                           ;   in Loop: Header=BB1872_571 Depth=2
	ds_read_u16 v20, v49 offset:1024
	s_waitcnt lgkmcnt(0)
	v_cmp_ne_u16_e64 s[52:53], s68, v20
	v_cndmask_b32_e64 v20, v66, v20, s[52:53]
	v_lshrrev_b32_sdwa v20, s69, v20 dst_sel:DWORD dst_unused:UNUSED_PAD src0_sel:DWORD src1_sel:WORD_0
	v_and_b32_e32 v80, s78, v20
	s_or_b64 exec, exec, s[62:63]
	s_and_saveexec_b64 s[62:63], s[36:37]
	s_cbranch_execnz .LBB1872_658
.LBB1872_643:                           ;   in Loop: Header=BB1872_571 Depth=2
	s_or_b64 exec, exec, s[62:63]
	s_and_saveexec_b64 s[62:63], s[38:39]
	s_cbranch_execz .LBB1872_659
.LBB1872_644:                           ;   in Loop: Header=BB1872_571 Depth=2
	ds_read_u16 v20, v50 offset:1024
	s_waitcnt lgkmcnt(0)
	v_cmp_ne_u16_e64 s[52:53], s68, v20
	v_cndmask_b32_e64 v20, v66, v20, s[52:53]
	v_lshrrev_b32_sdwa v20, s69, v20 dst_sel:DWORD dst_unused:UNUSED_PAD src0_sel:DWORD src1_sel:WORD_0
	v_and_b32_e32 v76, s78, v20
	s_or_b64 exec, exec, s[62:63]
	s_and_saveexec_b64 s[62:63], s[40:41]
	s_cbranch_execnz .LBB1872_660
.LBB1872_645:                           ;   in Loop: Header=BB1872_571 Depth=2
	s_or_b64 exec, exec, s[62:63]
	s_and_saveexec_b64 s[62:63], s[42:43]
	s_cbranch_execz .LBB1872_661
.LBB1872_646:                           ;   in Loop: Header=BB1872_571 Depth=2
	ds_read_u16 v20, v50 offset:2048
	s_waitcnt lgkmcnt(0)
	v_cmp_ne_u16_e64 s[52:53], s68, v20
	v_cndmask_b32_e64 v20, v66, v20, s[52:53]
	v_lshrrev_b32_sdwa v20, s69, v20 dst_sel:DWORD dst_unused:UNUSED_PAD src0_sel:DWORD src1_sel:WORD_0
	v_and_b32_e32 v73, s78, v20
	s_or_b64 exec, exec, s[62:63]
	s_and_saveexec_b64 s[62:63], s[44:45]
	s_cbranch_execnz .LBB1872_662
.LBB1872_647:                           ;   in Loop: Header=BB1872_571 Depth=2
	s_or_b64 exec, exec, s[62:63]
	s_and_saveexec_b64 s[62:63], s[46:47]
	s_cbranch_execz .LBB1872_663
.LBB1872_648:                           ;   in Loop: Header=BB1872_571 Depth=2
	ds_read_u16 v20, v50 offset:3072
	s_waitcnt lgkmcnt(0)
	v_cmp_ne_u16_e64 s[52:53], s68, v20
	v_cndmask_b32_e64 v20, v66, v20, s[52:53]
	v_lshrrev_b32_sdwa v20, s69, v20 dst_sel:DWORD dst_unused:UNUSED_PAD src0_sel:DWORD src1_sel:WORD_0
	v_and_b32_e32 v71, s78, v20
	s_or_b64 exec, exec, s[62:63]
	s_and_saveexec_b64 s[62:63], s[48:49]
	s_cbranch_execnz .LBB1872_664
	s_branch .LBB1872_665
.LBB1872_649:                           ;   in Loop: Header=BB1872_571 Depth=2
	s_or_b64 exec, exec, s[52:53]
	v_cmp_lt_u32_e64 s[52:53], v81, v93
	s_and_saveexec_b64 s[62:63], s[52:53]
	s_cbranch_execz .LBB1872_635
.LBB1872_650:                           ;   in Loop: Header=BB1872_571 Depth=2
	global_load_dwordx2 v[16:17], v[20:21], off offset:512
	s_or_b64 exec, exec, s[62:63]
	v_cmp_lt_u32_e64 s[52:53], v82, v93
	s_and_saveexec_b64 s[62:63], s[52:53]
	s_cbranch_execnz .LBB1872_636
.LBB1872_651:                           ;   in Loop: Header=BB1872_571 Depth=2
	s_or_b64 exec, exec, s[62:63]
	v_cmp_lt_u32_e64 s[52:53], v83, v93
	s_and_saveexec_b64 s[62:63], s[52:53]
	s_cbranch_execz .LBB1872_637
.LBB1872_652:                           ;   in Loop: Header=BB1872_571 Depth=2
	global_load_dwordx2 v[12:13], v[20:21], off offset:1536
	s_or_b64 exec, exec, s[62:63]
	v_cmp_lt_u32_e64 s[52:53], v84, v93
	s_and_saveexec_b64 s[62:63], s[52:53]
	s_cbranch_execnz .LBB1872_638
.LBB1872_653:                           ;   in Loop: Header=BB1872_571 Depth=2
	s_or_b64 exec, exec, s[62:63]
	v_cmp_lt_u32_e64 s[52:53], v85, v93
	s_and_saveexec_b64 s[62:63], s[52:53]
	s_cbranch_execz .LBB1872_639
.LBB1872_654:                           ;   in Loop: Header=BB1872_571 Depth=2
	global_load_dwordx2 v[8:9], v[20:21], off offset:2560
	s_or_b64 exec, exec, s[62:63]
	v_cmp_lt_u32_e64 s[52:53], v86, v93
	s_and_saveexec_b64 s[62:63], s[52:53]
	s_cbranch_execnz .LBB1872_640
.LBB1872_655:                           ;   in Loop: Header=BB1872_571 Depth=2
	s_or_b64 exec, exec, s[62:63]
	v_cmp_lt_u32_e64 s[52:53], v87, v93
	s_and_saveexec_b64 s[62:63], s[52:53]
	s_cbranch_execz .LBB1872_641
.LBB1872_656:                           ;   in Loop: Header=BB1872_571 Depth=2
	global_load_dwordx2 v[0:1], v[20:21], off offset:3584
	s_or_b64 exec, exec, s[62:63]
	s_and_saveexec_b64 s[62:63], vcc
	s_cbranch_execnz .LBB1872_642
.LBB1872_657:                           ;   in Loop: Header=BB1872_571 Depth=2
	s_or_b64 exec, exec, s[62:63]
	s_and_saveexec_b64 s[62:63], s[36:37]
	s_cbranch_execz .LBB1872_643
.LBB1872_658:                           ;   in Loop: Header=BB1872_571 Depth=2
	ds_read_u16 v20, v50 offset:512
	s_waitcnt lgkmcnt(0)
	v_cmp_ne_u16_e64 s[52:53], s68, v20
	v_cndmask_b32_e64 v20, v66, v20, s[52:53]
	v_lshrrev_b32_sdwa v20, s69, v20 dst_sel:DWORD dst_unused:UNUSED_PAD src0_sel:DWORD src1_sel:WORD_0
	v_and_b32_e32 v78, s78, v20
	s_or_b64 exec, exec, s[62:63]
	s_and_saveexec_b64 s[62:63], s[38:39]
	s_cbranch_execnz .LBB1872_644
.LBB1872_659:                           ;   in Loop: Header=BB1872_571 Depth=2
	s_or_b64 exec, exec, s[62:63]
	s_and_saveexec_b64 s[62:63], s[40:41]
	s_cbranch_execz .LBB1872_645
.LBB1872_660:                           ;   in Loop: Header=BB1872_571 Depth=2
	ds_read_u16 v20, v50 offset:1536
	s_waitcnt lgkmcnt(0)
	v_cmp_ne_u16_e64 s[52:53], s68, v20
	v_cndmask_b32_e64 v20, v66, v20, s[52:53]
	v_lshrrev_b32_sdwa v20, s69, v20 dst_sel:DWORD dst_unused:UNUSED_PAD src0_sel:DWORD src1_sel:WORD_0
	v_and_b32_e32 v75, s78, v20
	s_or_b64 exec, exec, s[62:63]
	s_and_saveexec_b64 s[62:63], s[42:43]
	s_cbranch_execnz .LBB1872_646
.LBB1872_661:                           ;   in Loop: Header=BB1872_571 Depth=2
	s_or_b64 exec, exec, s[62:63]
	s_and_saveexec_b64 s[62:63], s[44:45]
	s_cbranch_execz .LBB1872_647
.LBB1872_662:                           ;   in Loop: Header=BB1872_571 Depth=2
	ds_read_u16 v20, v50 offset:2560
	s_waitcnt lgkmcnt(0)
	v_cmp_ne_u16_e64 s[52:53], s68, v20
	v_cndmask_b32_e64 v20, v66, v20, s[52:53]
	v_lshrrev_b32_sdwa v20, s69, v20 dst_sel:DWORD dst_unused:UNUSED_PAD src0_sel:DWORD src1_sel:WORD_0
	v_and_b32_e32 v72, s78, v20
	s_or_b64 exec, exec, s[62:63]
	s_and_saveexec_b64 s[62:63], s[46:47]
	s_cbranch_execnz .LBB1872_648
.LBB1872_663:                           ;   in Loop: Header=BB1872_571 Depth=2
	s_or_b64 exec, exec, s[62:63]
	s_and_saveexec_b64 s[62:63], s[48:49]
	s_cbranch_execz .LBB1872_665
.LBB1872_664:                           ;   in Loop: Header=BB1872_571 Depth=2
	ds_read_u16 v20, v50 offset:3584
	s_waitcnt lgkmcnt(0)
	v_cmp_ne_u16_e64 s[52:53], s68, v20
	v_cndmask_b32_e64 v20, v66, v20, s[52:53]
	v_lshrrev_b32_sdwa v20, s69, v20 dst_sel:DWORD dst_unused:UNUSED_PAD src0_sel:DWORD src1_sel:WORD_0
	v_and_b32_e32 v70, s78, v20
.LBB1872_665:                           ;   in Loop: Header=BB1872_571 Depth=2
	s_or_b64 exec, exec, s[62:63]
	v_lshlrev_b32_e32 v20, 3, v103
	s_barrier
	s_waitcnt vmcnt(0)
	ds_write_b64 v20, v[18:19] offset:1024
	v_lshlrev_b32_e32 v20, 3, v100
	ds_write_b64 v20, v[16:17] offset:1024
	v_lshlrev_b32_e32 v20, 3, v99
	;; [unrolled: 2-line block ×7, first 2 shown]
	ds_write_b64 v20, v[0:1] offset:1024
	s_waitcnt lgkmcnt(0)
	s_barrier
	s_and_saveexec_b64 s[52:53], vcc
	s_cbranch_execz .LBB1872_673
; %bb.666:                              ;   in Loop: Header=BB1872_571 Depth=2
	v_lshlrev_b32_e32 v20, 2, v80
	ds_read_b32 v20, v20
	v_add_u32_e32 v22, v49, v51
	ds_read_b64 v[22:23], v22 offset:1024
	v_mov_b32_e32 v21, v4
	v_mov_b32_e32 v93, s67
	s_waitcnt lgkmcnt(1)
	v_add_u32_e32 v20, v20, v2
	v_lshlrev_b64 v[20:21], 3, v[20:21]
	v_add_co_u32_e32 v20, vcc, s66, v20
	v_addc_co_u32_e32 v21, vcc, v93, v21, vcc
	s_waitcnt lgkmcnt(0)
	global_store_dwordx2 v[20:21], v[22:23], off
	s_or_b64 exec, exec, s[52:53]
	v_add_u32_e32 v20, v50, v51
	s_and_saveexec_b64 s[52:53], s[36:37]
	s_cbranch_execnz .LBB1872_674
.LBB1872_667:                           ;   in Loop: Header=BB1872_571 Depth=2
	s_or_b64 exec, exec, s[52:53]
	s_and_saveexec_b64 s[36:37], s[38:39]
	s_cbranch_execz .LBB1872_675
.LBB1872_668:                           ;   in Loop: Header=BB1872_571 Depth=2
	v_lshlrev_b32_e32 v21, 2, v76
	ds_read_b32 v21, v21
	ds_read_b64 v[22:23], v20 offset:4096
	v_mov_b32_e32 v95, v4
	v_mov_b32_e32 v93, s67
	s_waitcnt lgkmcnt(1)
	v_add_u32_e32 v94, v21, v25
	v_lshlrev_b64 v[94:95], 3, v[94:95]
	v_add_co_u32_e32 v94, vcc, s66, v94
	v_addc_co_u32_e32 v95, vcc, v93, v95, vcc
	s_waitcnt lgkmcnt(0)
	global_store_dwordx2 v[94:95], v[22:23], off
	s_or_b64 exec, exec, s[36:37]
	s_and_saveexec_b64 s[36:37], s[40:41]
	s_cbranch_execnz .LBB1872_676
.LBB1872_669:                           ;   in Loop: Header=BB1872_571 Depth=2
	s_or_b64 exec, exec, s[36:37]
	s_and_saveexec_b64 s[36:37], s[42:43]
	s_cbranch_execz .LBB1872_677
.LBB1872_670:                           ;   in Loop: Header=BB1872_571 Depth=2
	v_lshlrev_b32_e32 v21, 2, v73
	ds_read_b32 v21, v21
	ds_read_b64 v[22:23], v20 offset:8192
	v_mov_b32_e32 v95, v4
	v_mov_b32_e32 v93, s67
	s_waitcnt lgkmcnt(1)
	v_add_u32_e32 v94, v21, v29
	v_lshlrev_b64 v[94:95], 3, v[94:95]
	v_add_co_u32_e32 v94, vcc, s66, v94
	v_addc_co_u32_e32 v95, vcc, v93, v95, vcc
	s_waitcnt lgkmcnt(0)
	global_store_dwordx2 v[94:95], v[22:23], off
	s_or_b64 exec, exec, s[36:37]
	s_and_saveexec_b64 s[36:37], s[44:45]
	s_cbranch_execnz .LBB1872_678
.LBB1872_671:                           ;   in Loop: Header=BB1872_571 Depth=2
	s_or_b64 exec, exec, s[36:37]
	s_and_saveexec_b64 s[36:37], s[46:47]
	s_cbranch_execz .LBB1872_679
.LBB1872_672:                           ;   in Loop: Header=BB1872_571 Depth=2
	v_lshlrev_b32_e32 v21, 2, v71
	ds_read_b32 v21, v21
	ds_read_b64 v[22:23], v20 offset:12288
	v_mov_b32_e32 v95, v4
	v_mov_b32_e32 v93, s67
	s_waitcnt lgkmcnt(1)
	v_add_u32_e32 v94, v21, v31
	v_lshlrev_b64 v[94:95], 3, v[94:95]
	v_add_co_u32_e32 v94, vcc, s66, v94
	v_addc_co_u32_e32 v95, vcc, v93, v95, vcc
	s_waitcnt lgkmcnt(0)
	global_store_dwordx2 v[94:95], v[22:23], off
	s_or_b64 exec, exec, s[36:37]
	s_and_saveexec_b64 s[36:37], s[48:49]
	s_cbranch_execnz .LBB1872_680
	s_branch .LBB1872_681
.LBB1872_673:                           ;   in Loop: Header=BB1872_571 Depth=2
	s_or_b64 exec, exec, s[52:53]
	v_add_u32_e32 v20, v50, v51
	s_and_saveexec_b64 s[52:53], s[36:37]
	s_cbranch_execz .LBB1872_667
.LBB1872_674:                           ;   in Loop: Header=BB1872_571 Depth=2
	v_lshlrev_b32_e32 v21, 2, v78
	ds_read_b32 v21, v21
	ds_read_b64 v[22:23], v20 offset:2048
	v_mov_b32_e32 v95, v4
	v_mov_b32_e32 v93, s67
	s_waitcnt lgkmcnt(1)
	v_add_u32_e32 v94, v21, v24
	v_lshlrev_b64 v[94:95], 3, v[94:95]
	v_add_co_u32_e32 v94, vcc, s66, v94
	v_addc_co_u32_e32 v95, vcc, v93, v95, vcc
	s_waitcnt lgkmcnt(0)
	global_store_dwordx2 v[94:95], v[22:23], off
	s_or_b64 exec, exec, s[52:53]
	s_and_saveexec_b64 s[36:37], s[38:39]
	s_cbranch_execnz .LBB1872_668
.LBB1872_675:                           ;   in Loop: Header=BB1872_571 Depth=2
	s_or_b64 exec, exec, s[36:37]
	s_and_saveexec_b64 s[36:37], s[40:41]
	s_cbranch_execz .LBB1872_669
.LBB1872_676:                           ;   in Loop: Header=BB1872_571 Depth=2
	v_lshlrev_b32_e32 v21, 2, v75
	ds_read_b32 v21, v21
	ds_read_b64 v[22:23], v20 offset:6144
	v_mov_b32_e32 v95, v4
	v_mov_b32_e32 v93, s67
	s_waitcnt lgkmcnt(1)
	v_add_u32_e32 v94, v21, v26
	v_lshlrev_b64 v[94:95], 3, v[94:95]
	v_add_co_u32_e32 v94, vcc, s66, v94
	v_addc_co_u32_e32 v95, vcc, v93, v95, vcc
	s_waitcnt lgkmcnt(0)
	global_store_dwordx2 v[94:95], v[22:23], off
	s_or_b64 exec, exec, s[36:37]
	s_and_saveexec_b64 s[36:37], s[42:43]
	s_cbranch_execnz .LBB1872_670
.LBB1872_677:                           ;   in Loop: Header=BB1872_571 Depth=2
	s_or_b64 exec, exec, s[36:37]
	s_and_saveexec_b64 s[36:37], s[44:45]
	s_cbranch_execz .LBB1872_671
.LBB1872_678:                           ;   in Loop: Header=BB1872_571 Depth=2
	v_lshlrev_b32_e32 v21, 2, v72
	ds_read_b32 v21, v21
	ds_read_b64 v[22:23], v20 offset:10240
	v_mov_b32_e32 v95, v4
	v_mov_b32_e32 v93, s67
	s_waitcnt lgkmcnt(1)
	v_add_u32_e32 v94, v21, v30
	v_lshlrev_b64 v[94:95], 3, v[94:95]
	v_add_co_u32_e32 v94, vcc, s66, v94
	v_addc_co_u32_e32 v95, vcc, v93, v95, vcc
	s_waitcnt lgkmcnt(0)
	global_store_dwordx2 v[94:95], v[22:23], off
	s_or_b64 exec, exec, s[36:37]
	s_and_saveexec_b64 s[36:37], s[46:47]
	s_cbranch_execnz .LBB1872_672
.LBB1872_679:                           ;   in Loop: Header=BB1872_571 Depth=2
	s_or_b64 exec, exec, s[36:37]
	s_and_saveexec_b64 s[36:37], s[48:49]
	s_cbranch_execz .LBB1872_681
.LBB1872_680:                           ;   in Loop: Header=BB1872_571 Depth=2
	v_lshlrev_b32_e32 v21, 2, v70
	ds_read_b32 v22, v21
	ds_read_b64 v[20:21], v20 offset:14336
	v_mov_b32_e32 v23, v4
	v_mov_b32_e32 v93, s67
	s_waitcnt lgkmcnt(1)
	v_add_u32_e32 v22, v22, v32
	v_lshlrev_b64 v[22:23], 3, v[22:23]
	v_add_co_u32_e32 v22, vcc, s66, v22
	v_addc_co_u32_e32 v23, vcc, v93, v23, vcc
	s_waitcnt lgkmcnt(0)
	global_store_dwordx2 v[22:23], v[20:21], off
.LBB1872_681:                           ;   in Loop: Header=BB1872_571 Depth=2
	s_or_b64 exec, exec, s[36:37]
	s_barrier
	s_and_saveexec_b64 s[36:37], s[4:5]
	s_cbranch_execz .LBB1872_570
; %bb.682:                              ;   in Loop: Header=BB1872_571 Depth=2
	ds_read_b32 v20, v3
	s_waitcnt lgkmcnt(0)
	v_add_u32_e32 v5, v20, v5
	ds_write_b32 v3, v5
	s_branch .LBB1872_570
.LBB1872_683:
	s_endpgm
	.section	.rodata,"a",@progbits
	.p2align	6, 0x0
	.amdhsa_kernel _ZN7rocprim17ROCPRIM_400000_NS6detail17trampoline_kernelINS0_14default_configENS1_36segmented_radix_sort_config_selectorI6__halflEEZNS1_25segmented_radix_sort_implIS3_Lb0EPKS5_PS5_PKlPlN2at6native12_GLOBAL__N_18offset_tEEE10hipError_tPvRmT1_PNSt15iterator_traitsISL_E10value_typeET2_T3_PNSM_ISR_E10value_typeET4_jRbjT5_SX_jjP12ihipStream_tbEUlT_E2_NS1_11comp_targetILNS1_3genE4ELNS1_11target_archE910ELNS1_3gpuE8ELNS1_3repE0EEENS1_30default_config_static_selectorELNS0_4arch9wavefront6targetE1EEEvSL_
		.amdhsa_group_segment_fixed_size 17424
		.amdhsa_private_segment_fixed_size 8
		.amdhsa_kernarg_size 336
		.amdhsa_user_sgpr_count 8
		.amdhsa_user_sgpr_private_segment_buffer 1
		.amdhsa_user_sgpr_dispatch_ptr 0
		.amdhsa_user_sgpr_queue_ptr 0
		.amdhsa_user_sgpr_kernarg_segment_ptr 1
		.amdhsa_user_sgpr_dispatch_id 0
		.amdhsa_user_sgpr_flat_scratch_init 1
		.amdhsa_user_sgpr_kernarg_preload_length 0
		.amdhsa_user_sgpr_kernarg_preload_offset 0
		.amdhsa_user_sgpr_private_segment_size 0
		.amdhsa_uses_dynamic_stack 0
		.amdhsa_system_sgpr_private_segment_wavefront_offset 1
		.amdhsa_system_sgpr_workgroup_id_x 1
		.amdhsa_system_sgpr_workgroup_id_y 1
		.amdhsa_system_sgpr_workgroup_id_z 0
		.amdhsa_system_sgpr_workgroup_info 0
		.amdhsa_system_vgpr_workitem_id 2
		.amdhsa_next_free_vgpr 178
		.amdhsa_next_free_sgpr 81
		.amdhsa_accum_offset 180
		.amdhsa_reserve_vcc 1
		.amdhsa_reserve_flat_scratch 1
		.amdhsa_float_round_mode_32 0
		.amdhsa_float_round_mode_16_64 0
		.amdhsa_float_denorm_mode_32 3
		.amdhsa_float_denorm_mode_16_64 3
		.amdhsa_dx10_clamp 1
		.amdhsa_ieee_mode 1
		.amdhsa_fp16_overflow 0
		.amdhsa_tg_split 0
		.amdhsa_exception_fp_ieee_invalid_op 0
		.amdhsa_exception_fp_denorm_src 0
		.amdhsa_exception_fp_ieee_div_zero 0
		.amdhsa_exception_fp_ieee_overflow 0
		.amdhsa_exception_fp_ieee_underflow 0
		.amdhsa_exception_fp_ieee_inexact 0
		.amdhsa_exception_int_div_zero 0
	.end_amdhsa_kernel
	.section	.text._ZN7rocprim17ROCPRIM_400000_NS6detail17trampoline_kernelINS0_14default_configENS1_36segmented_radix_sort_config_selectorI6__halflEEZNS1_25segmented_radix_sort_implIS3_Lb0EPKS5_PS5_PKlPlN2at6native12_GLOBAL__N_18offset_tEEE10hipError_tPvRmT1_PNSt15iterator_traitsISL_E10value_typeET2_T3_PNSM_ISR_E10value_typeET4_jRbjT5_SX_jjP12ihipStream_tbEUlT_E2_NS1_11comp_targetILNS1_3genE4ELNS1_11target_archE910ELNS1_3gpuE8ELNS1_3repE0EEENS1_30default_config_static_selectorELNS0_4arch9wavefront6targetE1EEEvSL_,"axG",@progbits,_ZN7rocprim17ROCPRIM_400000_NS6detail17trampoline_kernelINS0_14default_configENS1_36segmented_radix_sort_config_selectorI6__halflEEZNS1_25segmented_radix_sort_implIS3_Lb0EPKS5_PS5_PKlPlN2at6native12_GLOBAL__N_18offset_tEEE10hipError_tPvRmT1_PNSt15iterator_traitsISL_E10value_typeET2_T3_PNSM_ISR_E10value_typeET4_jRbjT5_SX_jjP12ihipStream_tbEUlT_E2_NS1_11comp_targetILNS1_3genE4ELNS1_11target_archE910ELNS1_3gpuE8ELNS1_3repE0EEENS1_30default_config_static_selectorELNS0_4arch9wavefront6targetE1EEEvSL_,comdat
.Lfunc_end1872:
	.size	_ZN7rocprim17ROCPRIM_400000_NS6detail17trampoline_kernelINS0_14default_configENS1_36segmented_radix_sort_config_selectorI6__halflEEZNS1_25segmented_radix_sort_implIS3_Lb0EPKS5_PS5_PKlPlN2at6native12_GLOBAL__N_18offset_tEEE10hipError_tPvRmT1_PNSt15iterator_traitsISL_E10value_typeET2_T3_PNSM_ISR_E10value_typeET4_jRbjT5_SX_jjP12ihipStream_tbEUlT_E2_NS1_11comp_targetILNS1_3genE4ELNS1_11target_archE910ELNS1_3gpuE8ELNS1_3repE0EEENS1_30default_config_static_selectorELNS0_4arch9wavefront6targetE1EEEvSL_, .Lfunc_end1872-_ZN7rocprim17ROCPRIM_400000_NS6detail17trampoline_kernelINS0_14default_configENS1_36segmented_radix_sort_config_selectorI6__halflEEZNS1_25segmented_radix_sort_implIS3_Lb0EPKS5_PS5_PKlPlN2at6native12_GLOBAL__N_18offset_tEEE10hipError_tPvRmT1_PNSt15iterator_traitsISL_E10value_typeET2_T3_PNSM_ISR_E10value_typeET4_jRbjT5_SX_jjP12ihipStream_tbEUlT_E2_NS1_11comp_targetILNS1_3genE4ELNS1_11target_archE910ELNS1_3gpuE8ELNS1_3repE0EEENS1_30default_config_static_selectorELNS0_4arch9wavefront6targetE1EEEvSL_
                                        ; -- End function
	.section	.AMDGPU.csdata,"",@progbits
; Kernel info:
; codeLenInByte = 38724
; NumSgprs: 87
; NumVgprs: 178
; NumAgprs: 0
; TotalNumVgprs: 178
; ScratchSize: 8
; MemoryBound: 0
; FloatMode: 240
; IeeeMode: 1
; LDSByteSize: 17424 bytes/workgroup (compile time only)
; SGPRBlocks: 10
; VGPRBlocks: 22
; NumSGPRsForWavesPerEU: 87
; NumVGPRsForWavesPerEU: 178
; AccumOffset: 180
; Occupancy: 2
; WaveLimiterHint : 1
; COMPUTE_PGM_RSRC2:SCRATCH_EN: 1
; COMPUTE_PGM_RSRC2:USER_SGPR: 8
; COMPUTE_PGM_RSRC2:TRAP_HANDLER: 0
; COMPUTE_PGM_RSRC2:TGID_X_EN: 1
; COMPUTE_PGM_RSRC2:TGID_Y_EN: 1
; COMPUTE_PGM_RSRC2:TGID_Z_EN: 0
; COMPUTE_PGM_RSRC2:TIDIG_COMP_CNT: 2
; COMPUTE_PGM_RSRC3_GFX90A:ACCUM_OFFSET: 44
; COMPUTE_PGM_RSRC3_GFX90A:TG_SPLIT: 0
	.section	.text._ZN7rocprim17ROCPRIM_400000_NS6detail17trampoline_kernelINS0_14default_configENS1_36segmented_radix_sort_config_selectorI6__halflEEZNS1_25segmented_radix_sort_implIS3_Lb0EPKS5_PS5_PKlPlN2at6native12_GLOBAL__N_18offset_tEEE10hipError_tPvRmT1_PNSt15iterator_traitsISL_E10value_typeET2_T3_PNSM_ISR_E10value_typeET4_jRbjT5_SX_jjP12ihipStream_tbEUlT_E2_NS1_11comp_targetILNS1_3genE3ELNS1_11target_archE908ELNS1_3gpuE7ELNS1_3repE0EEENS1_30default_config_static_selectorELNS0_4arch9wavefront6targetE1EEEvSL_,"axG",@progbits,_ZN7rocprim17ROCPRIM_400000_NS6detail17trampoline_kernelINS0_14default_configENS1_36segmented_radix_sort_config_selectorI6__halflEEZNS1_25segmented_radix_sort_implIS3_Lb0EPKS5_PS5_PKlPlN2at6native12_GLOBAL__N_18offset_tEEE10hipError_tPvRmT1_PNSt15iterator_traitsISL_E10value_typeET2_T3_PNSM_ISR_E10value_typeET4_jRbjT5_SX_jjP12ihipStream_tbEUlT_E2_NS1_11comp_targetILNS1_3genE3ELNS1_11target_archE908ELNS1_3gpuE7ELNS1_3repE0EEENS1_30default_config_static_selectorELNS0_4arch9wavefront6targetE1EEEvSL_,comdat
	.globl	_ZN7rocprim17ROCPRIM_400000_NS6detail17trampoline_kernelINS0_14default_configENS1_36segmented_radix_sort_config_selectorI6__halflEEZNS1_25segmented_radix_sort_implIS3_Lb0EPKS5_PS5_PKlPlN2at6native12_GLOBAL__N_18offset_tEEE10hipError_tPvRmT1_PNSt15iterator_traitsISL_E10value_typeET2_T3_PNSM_ISR_E10value_typeET4_jRbjT5_SX_jjP12ihipStream_tbEUlT_E2_NS1_11comp_targetILNS1_3genE3ELNS1_11target_archE908ELNS1_3gpuE7ELNS1_3repE0EEENS1_30default_config_static_selectorELNS0_4arch9wavefront6targetE1EEEvSL_ ; -- Begin function _ZN7rocprim17ROCPRIM_400000_NS6detail17trampoline_kernelINS0_14default_configENS1_36segmented_radix_sort_config_selectorI6__halflEEZNS1_25segmented_radix_sort_implIS3_Lb0EPKS5_PS5_PKlPlN2at6native12_GLOBAL__N_18offset_tEEE10hipError_tPvRmT1_PNSt15iterator_traitsISL_E10value_typeET2_T3_PNSM_ISR_E10value_typeET4_jRbjT5_SX_jjP12ihipStream_tbEUlT_E2_NS1_11comp_targetILNS1_3genE3ELNS1_11target_archE908ELNS1_3gpuE7ELNS1_3repE0EEENS1_30default_config_static_selectorELNS0_4arch9wavefront6targetE1EEEvSL_
	.p2align	8
	.type	_ZN7rocprim17ROCPRIM_400000_NS6detail17trampoline_kernelINS0_14default_configENS1_36segmented_radix_sort_config_selectorI6__halflEEZNS1_25segmented_radix_sort_implIS3_Lb0EPKS5_PS5_PKlPlN2at6native12_GLOBAL__N_18offset_tEEE10hipError_tPvRmT1_PNSt15iterator_traitsISL_E10value_typeET2_T3_PNSM_ISR_E10value_typeET4_jRbjT5_SX_jjP12ihipStream_tbEUlT_E2_NS1_11comp_targetILNS1_3genE3ELNS1_11target_archE908ELNS1_3gpuE7ELNS1_3repE0EEENS1_30default_config_static_selectorELNS0_4arch9wavefront6targetE1EEEvSL_,@function
_ZN7rocprim17ROCPRIM_400000_NS6detail17trampoline_kernelINS0_14default_configENS1_36segmented_radix_sort_config_selectorI6__halflEEZNS1_25segmented_radix_sort_implIS3_Lb0EPKS5_PS5_PKlPlN2at6native12_GLOBAL__N_18offset_tEEE10hipError_tPvRmT1_PNSt15iterator_traitsISL_E10value_typeET2_T3_PNSM_ISR_E10value_typeET4_jRbjT5_SX_jjP12ihipStream_tbEUlT_E2_NS1_11comp_targetILNS1_3genE3ELNS1_11target_archE908ELNS1_3gpuE7ELNS1_3repE0EEENS1_30default_config_static_selectorELNS0_4arch9wavefront6targetE1EEEvSL_: ; @_ZN7rocprim17ROCPRIM_400000_NS6detail17trampoline_kernelINS0_14default_configENS1_36segmented_radix_sort_config_selectorI6__halflEEZNS1_25segmented_radix_sort_implIS3_Lb0EPKS5_PS5_PKlPlN2at6native12_GLOBAL__N_18offset_tEEE10hipError_tPvRmT1_PNSt15iterator_traitsISL_E10value_typeET2_T3_PNSM_ISR_E10value_typeET4_jRbjT5_SX_jjP12ihipStream_tbEUlT_E2_NS1_11comp_targetILNS1_3genE3ELNS1_11target_archE908ELNS1_3gpuE7ELNS1_3repE0EEENS1_30default_config_static_selectorELNS0_4arch9wavefront6targetE1EEEvSL_
; %bb.0:
	.section	.rodata,"a",@progbits
	.p2align	6, 0x0
	.amdhsa_kernel _ZN7rocprim17ROCPRIM_400000_NS6detail17trampoline_kernelINS0_14default_configENS1_36segmented_radix_sort_config_selectorI6__halflEEZNS1_25segmented_radix_sort_implIS3_Lb0EPKS5_PS5_PKlPlN2at6native12_GLOBAL__N_18offset_tEEE10hipError_tPvRmT1_PNSt15iterator_traitsISL_E10value_typeET2_T3_PNSM_ISR_E10value_typeET4_jRbjT5_SX_jjP12ihipStream_tbEUlT_E2_NS1_11comp_targetILNS1_3genE3ELNS1_11target_archE908ELNS1_3gpuE7ELNS1_3repE0EEENS1_30default_config_static_selectorELNS0_4arch9wavefront6targetE1EEEvSL_
		.amdhsa_group_segment_fixed_size 0
		.amdhsa_private_segment_fixed_size 0
		.amdhsa_kernarg_size 80
		.amdhsa_user_sgpr_count 6
		.amdhsa_user_sgpr_private_segment_buffer 1
		.amdhsa_user_sgpr_dispatch_ptr 0
		.amdhsa_user_sgpr_queue_ptr 0
		.amdhsa_user_sgpr_kernarg_segment_ptr 1
		.amdhsa_user_sgpr_dispatch_id 0
		.amdhsa_user_sgpr_flat_scratch_init 0
		.amdhsa_user_sgpr_kernarg_preload_length 0
		.amdhsa_user_sgpr_kernarg_preload_offset 0
		.amdhsa_user_sgpr_private_segment_size 0
		.amdhsa_uses_dynamic_stack 0
		.amdhsa_system_sgpr_private_segment_wavefront_offset 0
		.amdhsa_system_sgpr_workgroup_id_x 1
		.amdhsa_system_sgpr_workgroup_id_y 0
		.amdhsa_system_sgpr_workgroup_id_z 0
		.amdhsa_system_sgpr_workgroup_info 0
		.amdhsa_system_vgpr_workitem_id 0
		.amdhsa_next_free_vgpr 1
		.amdhsa_next_free_sgpr 0
		.amdhsa_accum_offset 4
		.amdhsa_reserve_vcc 0
		.amdhsa_reserve_flat_scratch 0
		.amdhsa_float_round_mode_32 0
		.amdhsa_float_round_mode_16_64 0
		.amdhsa_float_denorm_mode_32 3
		.amdhsa_float_denorm_mode_16_64 3
		.amdhsa_dx10_clamp 1
		.amdhsa_ieee_mode 1
		.amdhsa_fp16_overflow 0
		.amdhsa_tg_split 0
		.amdhsa_exception_fp_ieee_invalid_op 0
		.amdhsa_exception_fp_denorm_src 0
		.amdhsa_exception_fp_ieee_div_zero 0
		.amdhsa_exception_fp_ieee_overflow 0
		.amdhsa_exception_fp_ieee_underflow 0
		.amdhsa_exception_fp_ieee_inexact 0
		.amdhsa_exception_int_div_zero 0
	.end_amdhsa_kernel
	.section	.text._ZN7rocprim17ROCPRIM_400000_NS6detail17trampoline_kernelINS0_14default_configENS1_36segmented_radix_sort_config_selectorI6__halflEEZNS1_25segmented_radix_sort_implIS3_Lb0EPKS5_PS5_PKlPlN2at6native12_GLOBAL__N_18offset_tEEE10hipError_tPvRmT1_PNSt15iterator_traitsISL_E10value_typeET2_T3_PNSM_ISR_E10value_typeET4_jRbjT5_SX_jjP12ihipStream_tbEUlT_E2_NS1_11comp_targetILNS1_3genE3ELNS1_11target_archE908ELNS1_3gpuE7ELNS1_3repE0EEENS1_30default_config_static_selectorELNS0_4arch9wavefront6targetE1EEEvSL_,"axG",@progbits,_ZN7rocprim17ROCPRIM_400000_NS6detail17trampoline_kernelINS0_14default_configENS1_36segmented_radix_sort_config_selectorI6__halflEEZNS1_25segmented_radix_sort_implIS3_Lb0EPKS5_PS5_PKlPlN2at6native12_GLOBAL__N_18offset_tEEE10hipError_tPvRmT1_PNSt15iterator_traitsISL_E10value_typeET2_T3_PNSM_ISR_E10value_typeET4_jRbjT5_SX_jjP12ihipStream_tbEUlT_E2_NS1_11comp_targetILNS1_3genE3ELNS1_11target_archE908ELNS1_3gpuE7ELNS1_3repE0EEENS1_30default_config_static_selectorELNS0_4arch9wavefront6targetE1EEEvSL_,comdat
.Lfunc_end1873:
	.size	_ZN7rocprim17ROCPRIM_400000_NS6detail17trampoline_kernelINS0_14default_configENS1_36segmented_radix_sort_config_selectorI6__halflEEZNS1_25segmented_radix_sort_implIS3_Lb0EPKS5_PS5_PKlPlN2at6native12_GLOBAL__N_18offset_tEEE10hipError_tPvRmT1_PNSt15iterator_traitsISL_E10value_typeET2_T3_PNSM_ISR_E10value_typeET4_jRbjT5_SX_jjP12ihipStream_tbEUlT_E2_NS1_11comp_targetILNS1_3genE3ELNS1_11target_archE908ELNS1_3gpuE7ELNS1_3repE0EEENS1_30default_config_static_selectorELNS0_4arch9wavefront6targetE1EEEvSL_, .Lfunc_end1873-_ZN7rocprim17ROCPRIM_400000_NS6detail17trampoline_kernelINS0_14default_configENS1_36segmented_radix_sort_config_selectorI6__halflEEZNS1_25segmented_radix_sort_implIS3_Lb0EPKS5_PS5_PKlPlN2at6native12_GLOBAL__N_18offset_tEEE10hipError_tPvRmT1_PNSt15iterator_traitsISL_E10value_typeET2_T3_PNSM_ISR_E10value_typeET4_jRbjT5_SX_jjP12ihipStream_tbEUlT_E2_NS1_11comp_targetILNS1_3genE3ELNS1_11target_archE908ELNS1_3gpuE7ELNS1_3repE0EEENS1_30default_config_static_selectorELNS0_4arch9wavefront6targetE1EEEvSL_
                                        ; -- End function
	.section	.AMDGPU.csdata,"",@progbits
; Kernel info:
; codeLenInByte = 0
; NumSgprs: 4
; NumVgprs: 0
; NumAgprs: 0
; TotalNumVgprs: 0
; ScratchSize: 0
; MemoryBound: 0
; FloatMode: 240
; IeeeMode: 1
; LDSByteSize: 0 bytes/workgroup (compile time only)
; SGPRBlocks: 0
; VGPRBlocks: 0
; NumSGPRsForWavesPerEU: 4
; NumVGPRsForWavesPerEU: 1
; AccumOffset: 4
; Occupancy: 8
; WaveLimiterHint : 0
; COMPUTE_PGM_RSRC2:SCRATCH_EN: 0
; COMPUTE_PGM_RSRC2:USER_SGPR: 6
; COMPUTE_PGM_RSRC2:TRAP_HANDLER: 0
; COMPUTE_PGM_RSRC2:TGID_X_EN: 1
; COMPUTE_PGM_RSRC2:TGID_Y_EN: 0
; COMPUTE_PGM_RSRC2:TGID_Z_EN: 0
; COMPUTE_PGM_RSRC2:TIDIG_COMP_CNT: 0
; COMPUTE_PGM_RSRC3_GFX90A:ACCUM_OFFSET: 0
; COMPUTE_PGM_RSRC3_GFX90A:TG_SPLIT: 0
	.section	.text._ZN7rocprim17ROCPRIM_400000_NS6detail17trampoline_kernelINS0_14default_configENS1_36segmented_radix_sort_config_selectorI6__halflEEZNS1_25segmented_radix_sort_implIS3_Lb0EPKS5_PS5_PKlPlN2at6native12_GLOBAL__N_18offset_tEEE10hipError_tPvRmT1_PNSt15iterator_traitsISL_E10value_typeET2_T3_PNSM_ISR_E10value_typeET4_jRbjT5_SX_jjP12ihipStream_tbEUlT_E2_NS1_11comp_targetILNS1_3genE2ELNS1_11target_archE906ELNS1_3gpuE6ELNS1_3repE0EEENS1_30default_config_static_selectorELNS0_4arch9wavefront6targetE1EEEvSL_,"axG",@progbits,_ZN7rocprim17ROCPRIM_400000_NS6detail17trampoline_kernelINS0_14default_configENS1_36segmented_radix_sort_config_selectorI6__halflEEZNS1_25segmented_radix_sort_implIS3_Lb0EPKS5_PS5_PKlPlN2at6native12_GLOBAL__N_18offset_tEEE10hipError_tPvRmT1_PNSt15iterator_traitsISL_E10value_typeET2_T3_PNSM_ISR_E10value_typeET4_jRbjT5_SX_jjP12ihipStream_tbEUlT_E2_NS1_11comp_targetILNS1_3genE2ELNS1_11target_archE906ELNS1_3gpuE6ELNS1_3repE0EEENS1_30default_config_static_selectorELNS0_4arch9wavefront6targetE1EEEvSL_,comdat
	.globl	_ZN7rocprim17ROCPRIM_400000_NS6detail17trampoline_kernelINS0_14default_configENS1_36segmented_radix_sort_config_selectorI6__halflEEZNS1_25segmented_radix_sort_implIS3_Lb0EPKS5_PS5_PKlPlN2at6native12_GLOBAL__N_18offset_tEEE10hipError_tPvRmT1_PNSt15iterator_traitsISL_E10value_typeET2_T3_PNSM_ISR_E10value_typeET4_jRbjT5_SX_jjP12ihipStream_tbEUlT_E2_NS1_11comp_targetILNS1_3genE2ELNS1_11target_archE906ELNS1_3gpuE6ELNS1_3repE0EEENS1_30default_config_static_selectorELNS0_4arch9wavefront6targetE1EEEvSL_ ; -- Begin function _ZN7rocprim17ROCPRIM_400000_NS6detail17trampoline_kernelINS0_14default_configENS1_36segmented_radix_sort_config_selectorI6__halflEEZNS1_25segmented_radix_sort_implIS3_Lb0EPKS5_PS5_PKlPlN2at6native12_GLOBAL__N_18offset_tEEE10hipError_tPvRmT1_PNSt15iterator_traitsISL_E10value_typeET2_T3_PNSM_ISR_E10value_typeET4_jRbjT5_SX_jjP12ihipStream_tbEUlT_E2_NS1_11comp_targetILNS1_3genE2ELNS1_11target_archE906ELNS1_3gpuE6ELNS1_3repE0EEENS1_30default_config_static_selectorELNS0_4arch9wavefront6targetE1EEEvSL_
	.p2align	8
	.type	_ZN7rocprim17ROCPRIM_400000_NS6detail17trampoline_kernelINS0_14default_configENS1_36segmented_radix_sort_config_selectorI6__halflEEZNS1_25segmented_radix_sort_implIS3_Lb0EPKS5_PS5_PKlPlN2at6native12_GLOBAL__N_18offset_tEEE10hipError_tPvRmT1_PNSt15iterator_traitsISL_E10value_typeET2_T3_PNSM_ISR_E10value_typeET4_jRbjT5_SX_jjP12ihipStream_tbEUlT_E2_NS1_11comp_targetILNS1_3genE2ELNS1_11target_archE906ELNS1_3gpuE6ELNS1_3repE0EEENS1_30default_config_static_selectorELNS0_4arch9wavefront6targetE1EEEvSL_,@function
_ZN7rocprim17ROCPRIM_400000_NS6detail17trampoline_kernelINS0_14default_configENS1_36segmented_radix_sort_config_selectorI6__halflEEZNS1_25segmented_radix_sort_implIS3_Lb0EPKS5_PS5_PKlPlN2at6native12_GLOBAL__N_18offset_tEEE10hipError_tPvRmT1_PNSt15iterator_traitsISL_E10value_typeET2_T3_PNSM_ISR_E10value_typeET4_jRbjT5_SX_jjP12ihipStream_tbEUlT_E2_NS1_11comp_targetILNS1_3genE2ELNS1_11target_archE906ELNS1_3gpuE6ELNS1_3repE0EEENS1_30default_config_static_selectorELNS0_4arch9wavefront6targetE1EEEvSL_: ; @_ZN7rocprim17ROCPRIM_400000_NS6detail17trampoline_kernelINS0_14default_configENS1_36segmented_radix_sort_config_selectorI6__halflEEZNS1_25segmented_radix_sort_implIS3_Lb0EPKS5_PS5_PKlPlN2at6native12_GLOBAL__N_18offset_tEEE10hipError_tPvRmT1_PNSt15iterator_traitsISL_E10value_typeET2_T3_PNSM_ISR_E10value_typeET4_jRbjT5_SX_jjP12ihipStream_tbEUlT_E2_NS1_11comp_targetILNS1_3genE2ELNS1_11target_archE906ELNS1_3gpuE6ELNS1_3repE0EEENS1_30default_config_static_selectorELNS0_4arch9wavefront6targetE1EEEvSL_
; %bb.0:
	.section	.rodata,"a",@progbits
	.p2align	6, 0x0
	.amdhsa_kernel _ZN7rocprim17ROCPRIM_400000_NS6detail17trampoline_kernelINS0_14default_configENS1_36segmented_radix_sort_config_selectorI6__halflEEZNS1_25segmented_radix_sort_implIS3_Lb0EPKS5_PS5_PKlPlN2at6native12_GLOBAL__N_18offset_tEEE10hipError_tPvRmT1_PNSt15iterator_traitsISL_E10value_typeET2_T3_PNSM_ISR_E10value_typeET4_jRbjT5_SX_jjP12ihipStream_tbEUlT_E2_NS1_11comp_targetILNS1_3genE2ELNS1_11target_archE906ELNS1_3gpuE6ELNS1_3repE0EEENS1_30default_config_static_selectorELNS0_4arch9wavefront6targetE1EEEvSL_
		.amdhsa_group_segment_fixed_size 0
		.amdhsa_private_segment_fixed_size 0
		.amdhsa_kernarg_size 80
		.amdhsa_user_sgpr_count 6
		.amdhsa_user_sgpr_private_segment_buffer 1
		.amdhsa_user_sgpr_dispatch_ptr 0
		.amdhsa_user_sgpr_queue_ptr 0
		.amdhsa_user_sgpr_kernarg_segment_ptr 1
		.amdhsa_user_sgpr_dispatch_id 0
		.amdhsa_user_sgpr_flat_scratch_init 0
		.amdhsa_user_sgpr_kernarg_preload_length 0
		.amdhsa_user_sgpr_kernarg_preload_offset 0
		.amdhsa_user_sgpr_private_segment_size 0
		.amdhsa_uses_dynamic_stack 0
		.amdhsa_system_sgpr_private_segment_wavefront_offset 0
		.amdhsa_system_sgpr_workgroup_id_x 1
		.amdhsa_system_sgpr_workgroup_id_y 0
		.amdhsa_system_sgpr_workgroup_id_z 0
		.amdhsa_system_sgpr_workgroup_info 0
		.amdhsa_system_vgpr_workitem_id 0
		.amdhsa_next_free_vgpr 1
		.amdhsa_next_free_sgpr 0
		.amdhsa_accum_offset 4
		.amdhsa_reserve_vcc 0
		.amdhsa_reserve_flat_scratch 0
		.amdhsa_float_round_mode_32 0
		.amdhsa_float_round_mode_16_64 0
		.amdhsa_float_denorm_mode_32 3
		.amdhsa_float_denorm_mode_16_64 3
		.amdhsa_dx10_clamp 1
		.amdhsa_ieee_mode 1
		.amdhsa_fp16_overflow 0
		.amdhsa_tg_split 0
		.amdhsa_exception_fp_ieee_invalid_op 0
		.amdhsa_exception_fp_denorm_src 0
		.amdhsa_exception_fp_ieee_div_zero 0
		.amdhsa_exception_fp_ieee_overflow 0
		.amdhsa_exception_fp_ieee_underflow 0
		.amdhsa_exception_fp_ieee_inexact 0
		.amdhsa_exception_int_div_zero 0
	.end_amdhsa_kernel
	.section	.text._ZN7rocprim17ROCPRIM_400000_NS6detail17trampoline_kernelINS0_14default_configENS1_36segmented_radix_sort_config_selectorI6__halflEEZNS1_25segmented_radix_sort_implIS3_Lb0EPKS5_PS5_PKlPlN2at6native12_GLOBAL__N_18offset_tEEE10hipError_tPvRmT1_PNSt15iterator_traitsISL_E10value_typeET2_T3_PNSM_ISR_E10value_typeET4_jRbjT5_SX_jjP12ihipStream_tbEUlT_E2_NS1_11comp_targetILNS1_3genE2ELNS1_11target_archE906ELNS1_3gpuE6ELNS1_3repE0EEENS1_30default_config_static_selectorELNS0_4arch9wavefront6targetE1EEEvSL_,"axG",@progbits,_ZN7rocprim17ROCPRIM_400000_NS6detail17trampoline_kernelINS0_14default_configENS1_36segmented_radix_sort_config_selectorI6__halflEEZNS1_25segmented_radix_sort_implIS3_Lb0EPKS5_PS5_PKlPlN2at6native12_GLOBAL__N_18offset_tEEE10hipError_tPvRmT1_PNSt15iterator_traitsISL_E10value_typeET2_T3_PNSM_ISR_E10value_typeET4_jRbjT5_SX_jjP12ihipStream_tbEUlT_E2_NS1_11comp_targetILNS1_3genE2ELNS1_11target_archE906ELNS1_3gpuE6ELNS1_3repE0EEENS1_30default_config_static_selectorELNS0_4arch9wavefront6targetE1EEEvSL_,comdat
.Lfunc_end1874:
	.size	_ZN7rocprim17ROCPRIM_400000_NS6detail17trampoline_kernelINS0_14default_configENS1_36segmented_radix_sort_config_selectorI6__halflEEZNS1_25segmented_radix_sort_implIS3_Lb0EPKS5_PS5_PKlPlN2at6native12_GLOBAL__N_18offset_tEEE10hipError_tPvRmT1_PNSt15iterator_traitsISL_E10value_typeET2_T3_PNSM_ISR_E10value_typeET4_jRbjT5_SX_jjP12ihipStream_tbEUlT_E2_NS1_11comp_targetILNS1_3genE2ELNS1_11target_archE906ELNS1_3gpuE6ELNS1_3repE0EEENS1_30default_config_static_selectorELNS0_4arch9wavefront6targetE1EEEvSL_, .Lfunc_end1874-_ZN7rocprim17ROCPRIM_400000_NS6detail17trampoline_kernelINS0_14default_configENS1_36segmented_radix_sort_config_selectorI6__halflEEZNS1_25segmented_radix_sort_implIS3_Lb0EPKS5_PS5_PKlPlN2at6native12_GLOBAL__N_18offset_tEEE10hipError_tPvRmT1_PNSt15iterator_traitsISL_E10value_typeET2_T3_PNSM_ISR_E10value_typeET4_jRbjT5_SX_jjP12ihipStream_tbEUlT_E2_NS1_11comp_targetILNS1_3genE2ELNS1_11target_archE906ELNS1_3gpuE6ELNS1_3repE0EEENS1_30default_config_static_selectorELNS0_4arch9wavefront6targetE1EEEvSL_
                                        ; -- End function
	.section	.AMDGPU.csdata,"",@progbits
; Kernel info:
; codeLenInByte = 0
; NumSgprs: 4
; NumVgprs: 0
; NumAgprs: 0
; TotalNumVgprs: 0
; ScratchSize: 0
; MemoryBound: 0
; FloatMode: 240
; IeeeMode: 1
; LDSByteSize: 0 bytes/workgroup (compile time only)
; SGPRBlocks: 0
; VGPRBlocks: 0
; NumSGPRsForWavesPerEU: 4
; NumVGPRsForWavesPerEU: 1
; AccumOffset: 4
; Occupancy: 8
; WaveLimiterHint : 0
; COMPUTE_PGM_RSRC2:SCRATCH_EN: 0
; COMPUTE_PGM_RSRC2:USER_SGPR: 6
; COMPUTE_PGM_RSRC2:TRAP_HANDLER: 0
; COMPUTE_PGM_RSRC2:TGID_X_EN: 1
; COMPUTE_PGM_RSRC2:TGID_Y_EN: 0
; COMPUTE_PGM_RSRC2:TGID_Z_EN: 0
; COMPUTE_PGM_RSRC2:TIDIG_COMP_CNT: 0
; COMPUTE_PGM_RSRC3_GFX90A:ACCUM_OFFSET: 0
; COMPUTE_PGM_RSRC3_GFX90A:TG_SPLIT: 0
	.section	.text._ZN7rocprim17ROCPRIM_400000_NS6detail17trampoline_kernelINS0_14default_configENS1_36segmented_radix_sort_config_selectorI6__halflEEZNS1_25segmented_radix_sort_implIS3_Lb0EPKS5_PS5_PKlPlN2at6native12_GLOBAL__N_18offset_tEEE10hipError_tPvRmT1_PNSt15iterator_traitsISL_E10value_typeET2_T3_PNSM_ISR_E10value_typeET4_jRbjT5_SX_jjP12ihipStream_tbEUlT_E2_NS1_11comp_targetILNS1_3genE10ELNS1_11target_archE1201ELNS1_3gpuE5ELNS1_3repE0EEENS1_30default_config_static_selectorELNS0_4arch9wavefront6targetE1EEEvSL_,"axG",@progbits,_ZN7rocprim17ROCPRIM_400000_NS6detail17trampoline_kernelINS0_14default_configENS1_36segmented_radix_sort_config_selectorI6__halflEEZNS1_25segmented_radix_sort_implIS3_Lb0EPKS5_PS5_PKlPlN2at6native12_GLOBAL__N_18offset_tEEE10hipError_tPvRmT1_PNSt15iterator_traitsISL_E10value_typeET2_T3_PNSM_ISR_E10value_typeET4_jRbjT5_SX_jjP12ihipStream_tbEUlT_E2_NS1_11comp_targetILNS1_3genE10ELNS1_11target_archE1201ELNS1_3gpuE5ELNS1_3repE0EEENS1_30default_config_static_selectorELNS0_4arch9wavefront6targetE1EEEvSL_,comdat
	.globl	_ZN7rocprim17ROCPRIM_400000_NS6detail17trampoline_kernelINS0_14default_configENS1_36segmented_radix_sort_config_selectorI6__halflEEZNS1_25segmented_radix_sort_implIS3_Lb0EPKS5_PS5_PKlPlN2at6native12_GLOBAL__N_18offset_tEEE10hipError_tPvRmT1_PNSt15iterator_traitsISL_E10value_typeET2_T3_PNSM_ISR_E10value_typeET4_jRbjT5_SX_jjP12ihipStream_tbEUlT_E2_NS1_11comp_targetILNS1_3genE10ELNS1_11target_archE1201ELNS1_3gpuE5ELNS1_3repE0EEENS1_30default_config_static_selectorELNS0_4arch9wavefront6targetE1EEEvSL_ ; -- Begin function _ZN7rocprim17ROCPRIM_400000_NS6detail17trampoline_kernelINS0_14default_configENS1_36segmented_radix_sort_config_selectorI6__halflEEZNS1_25segmented_radix_sort_implIS3_Lb0EPKS5_PS5_PKlPlN2at6native12_GLOBAL__N_18offset_tEEE10hipError_tPvRmT1_PNSt15iterator_traitsISL_E10value_typeET2_T3_PNSM_ISR_E10value_typeET4_jRbjT5_SX_jjP12ihipStream_tbEUlT_E2_NS1_11comp_targetILNS1_3genE10ELNS1_11target_archE1201ELNS1_3gpuE5ELNS1_3repE0EEENS1_30default_config_static_selectorELNS0_4arch9wavefront6targetE1EEEvSL_
	.p2align	8
	.type	_ZN7rocprim17ROCPRIM_400000_NS6detail17trampoline_kernelINS0_14default_configENS1_36segmented_radix_sort_config_selectorI6__halflEEZNS1_25segmented_radix_sort_implIS3_Lb0EPKS5_PS5_PKlPlN2at6native12_GLOBAL__N_18offset_tEEE10hipError_tPvRmT1_PNSt15iterator_traitsISL_E10value_typeET2_T3_PNSM_ISR_E10value_typeET4_jRbjT5_SX_jjP12ihipStream_tbEUlT_E2_NS1_11comp_targetILNS1_3genE10ELNS1_11target_archE1201ELNS1_3gpuE5ELNS1_3repE0EEENS1_30default_config_static_selectorELNS0_4arch9wavefront6targetE1EEEvSL_,@function
_ZN7rocprim17ROCPRIM_400000_NS6detail17trampoline_kernelINS0_14default_configENS1_36segmented_radix_sort_config_selectorI6__halflEEZNS1_25segmented_radix_sort_implIS3_Lb0EPKS5_PS5_PKlPlN2at6native12_GLOBAL__N_18offset_tEEE10hipError_tPvRmT1_PNSt15iterator_traitsISL_E10value_typeET2_T3_PNSM_ISR_E10value_typeET4_jRbjT5_SX_jjP12ihipStream_tbEUlT_E2_NS1_11comp_targetILNS1_3genE10ELNS1_11target_archE1201ELNS1_3gpuE5ELNS1_3repE0EEENS1_30default_config_static_selectorELNS0_4arch9wavefront6targetE1EEEvSL_: ; @_ZN7rocprim17ROCPRIM_400000_NS6detail17trampoline_kernelINS0_14default_configENS1_36segmented_radix_sort_config_selectorI6__halflEEZNS1_25segmented_radix_sort_implIS3_Lb0EPKS5_PS5_PKlPlN2at6native12_GLOBAL__N_18offset_tEEE10hipError_tPvRmT1_PNSt15iterator_traitsISL_E10value_typeET2_T3_PNSM_ISR_E10value_typeET4_jRbjT5_SX_jjP12ihipStream_tbEUlT_E2_NS1_11comp_targetILNS1_3genE10ELNS1_11target_archE1201ELNS1_3gpuE5ELNS1_3repE0EEENS1_30default_config_static_selectorELNS0_4arch9wavefront6targetE1EEEvSL_
; %bb.0:
	.section	.rodata,"a",@progbits
	.p2align	6, 0x0
	.amdhsa_kernel _ZN7rocprim17ROCPRIM_400000_NS6detail17trampoline_kernelINS0_14default_configENS1_36segmented_radix_sort_config_selectorI6__halflEEZNS1_25segmented_radix_sort_implIS3_Lb0EPKS5_PS5_PKlPlN2at6native12_GLOBAL__N_18offset_tEEE10hipError_tPvRmT1_PNSt15iterator_traitsISL_E10value_typeET2_T3_PNSM_ISR_E10value_typeET4_jRbjT5_SX_jjP12ihipStream_tbEUlT_E2_NS1_11comp_targetILNS1_3genE10ELNS1_11target_archE1201ELNS1_3gpuE5ELNS1_3repE0EEENS1_30default_config_static_selectorELNS0_4arch9wavefront6targetE1EEEvSL_
		.amdhsa_group_segment_fixed_size 0
		.amdhsa_private_segment_fixed_size 0
		.amdhsa_kernarg_size 80
		.amdhsa_user_sgpr_count 6
		.amdhsa_user_sgpr_private_segment_buffer 1
		.amdhsa_user_sgpr_dispatch_ptr 0
		.amdhsa_user_sgpr_queue_ptr 0
		.amdhsa_user_sgpr_kernarg_segment_ptr 1
		.amdhsa_user_sgpr_dispatch_id 0
		.amdhsa_user_sgpr_flat_scratch_init 0
		.amdhsa_user_sgpr_kernarg_preload_length 0
		.amdhsa_user_sgpr_kernarg_preload_offset 0
		.amdhsa_user_sgpr_private_segment_size 0
		.amdhsa_uses_dynamic_stack 0
		.amdhsa_system_sgpr_private_segment_wavefront_offset 0
		.amdhsa_system_sgpr_workgroup_id_x 1
		.amdhsa_system_sgpr_workgroup_id_y 0
		.amdhsa_system_sgpr_workgroup_id_z 0
		.amdhsa_system_sgpr_workgroup_info 0
		.amdhsa_system_vgpr_workitem_id 0
		.amdhsa_next_free_vgpr 1
		.amdhsa_next_free_sgpr 0
		.amdhsa_accum_offset 4
		.amdhsa_reserve_vcc 0
		.amdhsa_reserve_flat_scratch 0
		.amdhsa_float_round_mode_32 0
		.amdhsa_float_round_mode_16_64 0
		.amdhsa_float_denorm_mode_32 3
		.amdhsa_float_denorm_mode_16_64 3
		.amdhsa_dx10_clamp 1
		.amdhsa_ieee_mode 1
		.amdhsa_fp16_overflow 0
		.amdhsa_tg_split 0
		.amdhsa_exception_fp_ieee_invalid_op 0
		.amdhsa_exception_fp_denorm_src 0
		.amdhsa_exception_fp_ieee_div_zero 0
		.amdhsa_exception_fp_ieee_overflow 0
		.amdhsa_exception_fp_ieee_underflow 0
		.amdhsa_exception_fp_ieee_inexact 0
		.amdhsa_exception_int_div_zero 0
	.end_amdhsa_kernel
	.section	.text._ZN7rocprim17ROCPRIM_400000_NS6detail17trampoline_kernelINS0_14default_configENS1_36segmented_radix_sort_config_selectorI6__halflEEZNS1_25segmented_radix_sort_implIS3_Lb0EPKS5_PS5_PKlPlN2at6native12_GLOBAL__N_18offset_tEEE10hipError_tPvRmT1_PNSt15iterator_traitsISL_E10value_typeET2_T3_PNSM_ISR_E10value_typeET4_jRbjT5_SX_jjP12ihipStream_tbEUlT_E2_NS1_11comp_targetILNS1_3genE10ELNS1_11target_archE1201ELNS1_3gpuE5ELNS1_3repE0EEENS1_30default_config_static_selectorELNS0_4arch9wavefront6targetE1EEEvSL_,"axG",@progbits,_ZN7rocprim17ROCPRIM_400000_NS6detail17trampoline_kernelINS0_14default_configENS1_36segmented_radix_sort_config_selectorI6__halflEEZNS1_25segmented_radix_sort_implIS3_Lb0EPKS5_PS5_PKlPlN2at6native12_GLOBAL__N_18offset_tEEE10hipError_tPvRmT1_PNSt15iterator_traitsISL_E10value_typeET2_T3_PNSM_ISR_E10value_typeET4_jRbjT5_SX_jjP12ihipStream_tbEUlT_E2_NS1_11comp_targetILNS1_3genE10ELNS1_11target_archE1201ELNS1_3gpuE5ELNS1_3repE0EEENS1_30default_config_static_selectorELNS0_4arch9wavefront6targetE1EEEvSL_,comdat
.Lfunc_end1875:
	.size	_ZN7rocprim17ROCPRIM_400000_NS6detail17trampoline_kernelINS0_14default_configENS1_36segmented_radix_sort_config_selectorI6__halflEEZNS1_25segmented_radix_sort_implIS3_Lb0EPKS5_PS5_PKlPlN2at6native12_GLOBAL__N_18offset_tEEE10hipError_tPvRmT1_PNSt15iterator_traitsISL_E10value_typeET2_T3_PNSM_ISR_E10value_typeET4_jRbjT5_SX_jjP12ihipStream_tbEUlT_E2_NS1_11comp_targetILNS1_3genE10ELNS1_11target_archE1201ELNS1_3gpuE5ELNS1_3repE0EEENS1_30default_config_static_selectorELNS0_4arch9wavefront6targetE1EEEvSL_, .Lfunc_end1875-_ZN7rocprim17ROCPRIM_400000_NS6detail17trampoline_kernelINS0_14default_configENS1_36segmented_radix_sort_config_selectorI6__halflEEZNS1_25segmented_radix_sort_implIS3_Lb0EPKS5_PS5_PKlPlN2at6native12_GLOBAL__N_18offset_tEEE10hipError_tPvRmT1_PNSt15iterator_traitsISL_E10value_typeET2_T3_PNSM_ISR_E10value_typeET4_jRbjT5_SX_jjP12ihipStream_tbEUlT_E2_NS1_11comp_targetILNS1_3genE10ELNS1_11target_archE1201ELNS1_3gpuE5ELNS1_3repE0EEENS1_30default_config_static_selectorELNS0_4arch9wavefront6targetE1EEEvSL_
                                        ; -- End function
	.section	.AMDGPU.csdata,"",@progbits
; Kernel info:
; codeLenInByte = 0
; NumSgprs: 4
; NumVgprs: 0
; NumAgprs: 0
; TotalNumVgprs: 0
; ScratchSize: 0
; MemoryBound: 0
; FloatMode: 240
; IeeeMode: 1
; LDSByteSize: 0 bytes/workgroup (compile time only)
; SGPRBlocks: 0
; VGPRBlocks: 0
; NumSGPRsForWavesPerEU: 4
; NumVGPRsForWavesPerEU: 1
; AccumOffset: 4
; Occupancy: 8
; WaveLimiterHint : 0
; COMPUTE_PGM_RSRC2:SCRATCH_EN: 0
; COMPUTE_PGM_RSRC2:USER_SGPR: 6
; COMPUTE_PGM_RSRC2:TRAP_HANDLER: 0
; COMPUTE_PGM_RSRC2:TGID_X_EN: 1
; COMPUTE_PGM_RSRC2:TGID_Y_EN: 0
; COMPUTE_PGM_RSRC2:TGID_Z_EN: 0
; COMPUTE_PGM_RSRC2:TIDIG_COMP_CNT: 0
; COMPUTE_PGM_RSRC3_GFX90A:ACCUM_OFFSET: 0
; COMPUTE_PGM_RSRC3_GFX90A:TG_SPLIT: 0
	.section	.text._ZN7rocprim17ROCPRIM_400000_NS6detail17trampoline_kernelINS0_14default_configENS1_36segmented_radix_sort_config_selectorI6__halflEEZNS1_25segmented_radix_sort_implIS3_Lb0EPKS5_PS5_PKlPlN2at6native12_GLOBAL__N_18offset_tEEE10hipError_tPvRmT1_PNSt15iterator_traitsISL_E10value_typeET2_T3_PNSM_ISR_E10value_typeET4_jRbjT5_SX_jjP12ihipStream_tbEUlT_E2_NS1_11comp_targetILNS1_3genE10ELNS1_11target_archE1200ELNS1_3gpuE4ELNS1_3repE0EEENS1_30default_config_static_selectorELNS0_4arch9wavefront6targetE1EEEvSL_,"axG",@progbits,_ZN7rocprim17ROCPRIM_400000_NS6detail17trampoline_kernelINS0_14default_configENS1_36segmented_radix_sort_config_selectorI6__halflEEZNS1_25segmented_radix_sort_implIS3_Lb0EPKS5_PS5_PKlPlN2at6native12_GLOBAL__N_18offset_tEEE10hipError_tPvRmT1_PNSt15iterator_traitsISL_E10value_typeET2_T3_PNSM_ISR_E10value_typeET4_jRbjT5_SX_jjP12ihipStream_tbEUlT_E2_NS1_11comp_targetILNS1_3genE10ELNS1_11target_archE1200ELNS1_3gpuE4ELNS1_3repE0EEENS1_30default_config_static_selectorELNS0_4arch9wavefront6targetE1EEEvSL_,comdat
	.globl	_ZN7rocprim17ROCPRIM_400000_NS6detail17trampoline_kernelINS0_14default_configENS1_36segmented_radix_sort_config_selectorI6__halflEEZNS1_25segmented_radix_sort_implIS3_Lb0EPKS5_PS5_PKlPlN2at6native12_GLOBAL__N_18offset_tEEE10hipError_tPvRmT1_PNSt15iterator_traitsISL_E10value_typeET2_T3_PNSM_ISR_E10value_typeET4_jRbjT5_SX_jjP12ihipStream_tbEUlT_E2_NS1_11comp_targetILNS1_3genE10ELNS1_11target_archE1200ELNS1_3gpuE4ELNS1_3repE0EEENS1_30default_config_static_selectorELNS0_4arch9wavefront6targetE1EEEvSL_ ; -- Begin function _ZN7rocprim17ROCPRIM_400000_NS6detail17trampoline_kernelINS0_14default_configENS1_36segmented_radix_sort_config_selectorI6__halflEEZNS1_25segmented_radix_sort_implIS3_Lb0EPKS5_PS5_PKlPlN2at6native12_GLOBAL__N_18offset_tEEE10hipError_tPvRmT1_PNSt15iterator_traitsISL_E10value_typeET2_T3_PNSM_ISR_E10value_typeET4_jRbjT5_SX_jjP12ihipStream_tbEUlT_E2_NS1_11comp_targetILNS1_3genE10ELNS1_11target_archE1200ELNS1_3gpuE4ELNS1_3repE0EEENS1_30default_config_static_selectorELNS0_4arch9wavefront6targetE1EEEvSL_
	.p2align	8
	.type	_ZN7rocprim17ROCPRIM_400000_NS6detail17trampoline_kernelINS0_14default_configENS1_36segmented_radix_sort_config_selectorI6__halflEEZNS1_25segmented_radix_sort_implIS3_Lb0EPKS5_PS5_PKlPlN2at6native12_GLOBAL__N_18offset_tEEE10hipError_tPvRmT1_PNSt15iterator_traitsISL_E10value_typeET2_T3_PNSM_ISR_E10value_typeET4_jRbjT5_SX_jjP12ihipStream_tbEUlT_E2_NS1_11comp_targetILNS1_3genE10ELNS1_11target_archE1200ELNS1_3gpuE4ELNS1_3repE0EEENS1_30default_config_static_selectorELNS0_4arch9wavefront6targetE1EEEvSL_,@function
_ZN7rocprim17ROCPRIM_400000_NS6detail17trampoline_kernelINS0_14default_configENS1_36segmented_radix_sort_config_selectorI6__halflEEZNS1_25segmented_radix_sort_implIS3_Lb0EPKS5_PS5_PKlPlN2at6native12_GLOBAL__N_18offset_tEEE10hipError_tPvRmT1_PNSt15iterator_traitsISL_E10value_typeET2_T3_PNSM_ISR_E10value_typeET4_jRbjT5_SX_jjP12ihipStream_tbEUlT_E2_NS1_11comp_targetILNS1_3genE10ELNS1_11target_archE1200ELNS1_3gpuE4ELNS1_3repE0EEENS1_30default_config_static_selectorELNS0_4arch9wavefront6targetE1EEEvSL_: ; @_ZN7rocprim17ROCPRIM_400000_NS6detail17trampoline_kernelINS0_14default_configENS1_36segmented_radix_sort_config_selectorI6__halflEEZNS1_25segmented_radix_sort_implIS3_Lb0EPKS5_PS5_PKlPlN2at6native12_GLOBAL__N_18offset_tEEE10hipError_tPvRmT1_PNSt15iterator_traitsISL_E10value_typeET2_T3_PNSM_ISR_E10value_typeET4_jRbjT5_SX_jjP12ihipStream_tbEUlT_E2_NS1_11comp_targetILNS1_3genE10ELNS1_11target_archE1200ELNS1_3gpuE4ELNS1_3repE0EEENS1_30default_config_static_selectorELNS0_4arch9wavefront6targetE1EEEvSL_
; %bb.0:
	.section	.rodata,"a",@progbits
	.p2align	6, 0x0
	.amdhsa_kernel _ZN7rocprim17ROCPRIM_400000_NS6detail17trampoline_kernelINS0_14default_configENS1_36segmented_radix_sort_config_selectorI6__halflEEZNS1_25segmented_radix_sort_implIS3_Lb0EPKS5_PS5_PKlPlN2at6native12_GLOBAL__N_18offset_tEEE10hipError_tPvRmT1_PNSt15iterator_traitsISL_E10value_typeET2_T3_PNSM_ISR_E10value_typeET4_jRbjT5_SX_jjP12ihipStream_tbEUlT_E2_NS1_11comp_targetILNS1_3genE10ELNS1_11target_archE1200ELNS1_3gpuE4ELNS1_3repE0EEENS1_30default_config_static_selectorELNS0_4arch9wavefront6targetE1EEEvSL_
		.amdhsa_group_segment_fixed_size 0
		.amdhsa_private_segment_fixed_size 0
		.amdhsa_kernarg_size 80
		.amdhsa_user_sgpr_count 6
		.amdhsa_user_sgpr_private_segment_buffer 1
		.amdhsa_user_sgpr_dispatch_ptr 0
		.amdhsa_user_sgpr_queue_ptr 0
		.amdhsa_user_sgpr_kernarg_segment_ptr 1
		.amdhsa_user_sgpr_dispatch_id 0
		.amdhsa_user_sgpr_flat_scratch_init 0
		.amdhsa_user_sgpr_kernarg_preload_length 0
		.amdhsa_user_sgpr_kernarg_preload_offset 0
		.amdhsa_user_sgpr_private_segment_size 0
		.amdhsa_uses_dynamic_stack 0
		.amdhsa_system_sgpr_private_segment_wavefront_offset 0
		.amdhsa_system_sgpr_workgroup_id_x 1
		.amdhsa_system_sgpr_workgroup_id_y 0
		.amdhsa_system_sgpr_workgroup_id_z 0
		.amdhsa_system_sgpr_workgroup_info 0
		.amdhsa_system_vgpr_workitem_id 0
		.amdhsa_next_free_vgpr 1
		.amdhsa_next_free_sgpr 0
		.amdhsa_accum_offset 4
		.amdhsa_reserve_vcc 0
		.amdhsa_reserve_flat_scratch 0
		.amdhsa_float_round_mode_32 0
		.amdhsa_float_round_mode_16_64 0
		.amdhsa_float_denorm_mode_32 3
		.amdhsa_float_denorm_mode_16_64 3
		.amdhsa_dx10_clamp 1
		.amdhsa_ieee_mode 1
		.amdhsa_fp16_overflow 0
		.amdhsa_tg_split 0
		.amdhsa_exception_fp_ieee_invalid_op 0
		.amdhsa_exception_fp_denorm_src 0
		.amdhsa_exception_fp_ieee_div_zero 0
		.amdhsa_exception_fp_ieee_overflow 0
		.amdhsa_exception_fp_ieee_underflow 0
		.amdhsa_exception_fp_ieee_inexact 0
		.amdhsa_exception_int_div_zero 0
	.end_amdhsa_kernel
	.section	.text._ZN7rocprim17ROCPRIM_400000_NS6detail17trampoline_kernelINS0_14default_configENS1_36segmented_radix_sort_config_selectorI6__halflEEZNS1_25segmented_radix_sort_implIS3_Lb0EPKS5_PS5_PKlPlN2at6native12_GLOBAL__N_18offset_tEEE10hipError_tPvRmT1_PNSt15iterator_traitsISL_E10value_typeET2_T3_PNSM_ISR_E10value_typeET4_jRbjT5_SX_jjP12ihipStream_tbEUlT_E2_NS1_11comp_targetILNS1_3genE10ELNS1_11target_archE1200ELNS1_3gpuE4ELNS1_3repE0EEENS1_30default_config_static_selectorELNS0_4arch9wavefront6targetE1EEEvSL_,"axG",@progbits,_ZN7rocprim17ROCPRIM_400000_NS6detail17trampoline_kernelINS0_14default_configENS1_36segmented_radix_sort_config_selectorI6__halflEEZNS1_25segmented_radix_sort_implIS3_Lb0EPKS5_PS5_PKlPlN2at6native12_GLOBAL__N_18offset_tEEE10hipError_tPvRmT1_PNSt15iterator_traitsISL_E10value_typeET2_T3_PNSM_ISR_E10value_typeET4_jRbjT5_SX_jjP12ihipStream_tbEUlT_E2_NS1_11comp_targetILNS1_3genE10ELNS1_11target_archE1200ELNS1_3gpuE4ELNS1_3repE0EEENS1_30default_config_static_selectorELNS0_4arch9wavefront6targetE1EEEvSL_,comdat
.Lfunc_end1876:
	.size	_ZN7rocprim17ROCPRIM_400000_NS6detail17trampoline_kernelINS0_14default_configENS1_36segmented_radix_sort_config_selectorI6__halflEEZNS1_25segmented_radix_sort_implIS3_Lb0EPKS5_PS5_PKlPlN2at6native12_GLOBAL__N_18offset_tEEE10hipError_tPvRmT1_PNSt15iterator_traitsISL_E10value_typeET2_T3_PNSM_ISR_E10value_typeET4_jRbjT5_SX_jjP12ihipStream_tbEUlT_E2_NS1_11comp_targetILNS1_3genE10ELNS1_11target_archE1200ELNS1_3gpuE4ELNS1_3repE0EEENS1_30default_config_static_selectorELNS0_4arch9wavefront6targetE1EEEvSL_, .Lfunc_end1876-_ZN7rocprim17ROCPRIM_400000_NS6detail17trampoline_kernelINS0_14default_configENS1_36segmented_radix_sort_config_selectorI6__halflEEZNS1_25segmented_radix_sort_implIS3_Lb0EPKS5_PS5_PKlPlN2at6native12_GLOBAL__N_18offset_tEEE10hipError_tPvRmT1_PNSt15iterator_traitsISL_E10value_typeET2_T3_PNSM_ISR_E10value_typeET4_jRbjT5_SX_jjP12ihipStream_tbEUlT_E2_NS1_11comp_targetILNS1_3genE10ELNS1_11target_archE1200ELNS1_3gpuE4ELNS1_3repE0EEENS1_30default_config_static_selectorELNS0_4arch9wavefront6targetE1EEEvSL_
                                        ; -- End function
	.section	.AMDGPU.csdata,"",@progbits
; Kernel info:
; codeLenInByte = 0
; NumSgprs: 4
; NumVgprs: 0
; NumAgprs: 0
; TotalNumVgprs: 0
; ScratchSize: 0
; MemoryBound: 0
; FloatMode: 240
; IeeeMode: 1
; LDSByteSize: 0 bytes/workgroup (compile time only)
; SGPRBlocks: 0
; VGPRBlocks: 0
; NumSGPRsForWavesPerEU: 4
; NumVGPRsForWavesPerEU: 1
; AccumOffset: 4
; Occupancy: 8
; WaveLimiterHint : 0
; COMPUTE_PGM_RSRC2:SCRATCH_EN: 0
; COMPUTE_PGM_RSRC2:USER_SGPR: 6
; COMPUTE_PGM_RSRC2:TRAP_HANDLER: 0
; COMPUTE_PGM_RSRC2:TGID_X_EN: 1
; COMPUTE_PGM_RSRC2:TGID_Y_EN: 0
; COMPUTE_PGM_RSRC2:TGID_Z_EN: 0
; COMPUTE_PGM_RSRC2:TIDIG_COMP_CNT: 0
; COMPUTE_PGM_RSRC3_GFX90A:ACCUM_OFFSET: 0
; COMPUTE_PGM_RSRC3_GFX90A:TG_SPLIT: 0
	.section	.text._ZN7rocprim17ROCPRIM_400000_NS6detail17trampoline_kernelINS0_14default_configENS1_36segmented_radix_sort_config_selectorI6__halflEEZNS1_25segmented_radix_sort_implIS3_Lb0EPKS5_PS5_PKlPlN2at6native12_GLOBAL__N_18offset_tEEE10hipError_tPvRmT1_PNSt15iterator_traitsISL_E10value_typeET2_T3_PNSM_ISR_E10value_typeET4_jRbjT5_SX_jjP12ihipStream_tbEUlT_E2_NS1_11comp_targetILNS1_3genE9ELNS1_11target_archE1100ELNS1_3gpuE3ELNS1_3repE0EEENS1_30default_config_static_selectorELNS0_4arch9wavefront6targetE1EEEvSL_,"axG",@progbits,_ZN7rocprim17ROCPRIM_400000_NS6detail17trampoline_kernelINS0_14default_configENS1_36segmented_radix_sort_config_selectorI6__halflEEZNS1_25segmented_radix_sort_implIS3_Lb0EPKS5_PS5_PKlPlN2at6native12_GLOBAL__N_18offset_tEEE10hipError_tPvRmT1_PNSt15iterator_traitsISL_E10value_typeET2_T3_PNSM_ISR_E10value_typeET4_jRbjT5_SX_jjP12ihipStream_tbEUlT_E2_NS1_11comp_targetILNS1_3genE9ELNS1_11target_archE1100ELNS1_3gpuE3ELNS1_3repE0EEENS1_30default_config_static_selectorELNS0_4arch9wavefront6targetE1EEEvSL_,comdat
	.globl	_ZN7rocprim17ROCPRIM_400000_NS6detail17trampoline_kernelINS0_14default_configENS1_36segmented_radix_sort_config_selectorI6__halflEEZNS1_25segmented_radix_sort_implIS3_Lb0EPKS5_PS5_PKlPlN2at6native12_GLOBAL__N_18offset_tEEE10hipError_tPvRmT1_PNSt15iterator_traitsISL_E10value_typeET2_T3_PNSM_ISR_E10value_typeET4_jRbjT5_SX_jjP12ihipStream_tbEUlT_E2_NS1_11comp_targetILNS1_3genE9ELNS1_11target_archE1100ELNS1_3gpuE3ELNS1_3repE0EEENS1_30default_config_static_selectorELNS0_4arch9wavefront6targetE1EEEvSL_ ; -- Begin function _ZN7rocprim17ROCPRIM_400000_NS6detail17trampoline_kernelINS0_14default_configENS1_36segmented_radix_sort_config_selectorI6__halflEEZNS1_25segmented_radix_sort_implIS3_Lb0EPKS5_PS5_PKlPlN2at6native12_GLOBAL__N_18offset_tEEE10hipError_tPvRmT1_PNSt15iterator_traitsISL_E10value_typeET2_T3_PNSM_ISR_E10value_typeET4_jRbjT5_SX_jjP12ihipStream_tbEUlT_E2_NS1_11comp_targetILNS1_3genE9ELNS1_11target_archE1100ELNS1_3gpuE3ELNS1_3repE0EEENS1_30default_config_static_selectorELNS0_4arch9wavefront6targetE1EEEvSL_
	.p2align	8
	.type	_ZN7rocprim17ROCPRIM_400000_NS6detail17trampoline_kernelINS0_14default_configENS1_36segmented_radix_sort_config_selectorI6__halflEEZNS1_25segmented_radix_sort_implIS3_Lb0EPKS5_PS5_PKlPlN2at6native12_GLOBAL__N_18offset_tEEE10hipError_tPvRmT1_PNSt15iterator_traitsISL_E10value_typeET2_T3_PNSM_ISR_E10value_typeET4_jRbjT5_SX_jjP12ihipStream_tbEUlT_E2_NS1_11comp_targetILNS1_3genE9ELNS1_11target_archE1100ELNS1_3gpuE3ELNS1_3repE0EEENS1_30default_config_static_selectorELNS0_4arch9wavefront6targetE1EEEvSL_,@function
_ZN7rocprim17ROCPRIM_400000_NS6detail17trampoline_kernelINS0_14default_configENS1_36segmented_radix_sort_config_selectorI6__halflEEZNS1_25segmented_radix_sort_implIS3_Lb0EPKS5_PS5_PKlPlN2at6native12_GLOBAL__N_18offset_tEEE10hipError_tPvRmT1_PNSt15iterator_traitsISL_E10value_typeET2_T3_PNSM_ISR_E10value_typeET4_jRbjT5_SX_jjP12ihipStream_tbEUlT_E2_NS1_11comp_targetILNS1_3genE9ELNS1_11target_archE1100ELNS1_3gpuE3ELNS1_3repE0EEENS1_30default_config_static_selectorELNS0_4arch9wavefront6targetE1EEEvSL_: ; @_ZN7rocprim17ROCPRIM_400000_NS6detail17trampoline_kernelINS0_14default_configENS1_36segmented_radix_sort_config_selectorI6__halflEEZNS1_25segmented_radix_sort_implIS3_Lb0EPKS5_PS5_PKlPlN2at6native12_GLOBAL__N_18offset_tEEE10hipError_tPvRmT1_PNSt15iterator_traitsISL_E10value_typeET2_T3_PNSM_ISR_E10value_typeET4_jRbjT5_SX_jjP12ihipStream_tbEUlT_E2_NS1_11comp_targetILNS1_3genE9ELNS1_11target_archE1100ELNS1_3gpuE3ELNS1_3repE0EEENS1_30default_config_static_selectorELNS0_4arch9wavefront6targetE1EEEvSL_
; %bb.0:
	.section	.rodata,"a",@progbits
	.p2align	6, 0x0
	.amdhsa_kernel _ZN7rocprim17ROCPRIM_400000_NS6detail17trampoline_kernelINS0_14default_configENS1_36segmented_radix_sort_config_selectorI6__halflEEZNS1_25segmented_radix_sort_implIS3_Lb0EPKS5_PS5_PKlPlN2at6native12_GLOBAL__N_18offset_tEEE10hipError_tPvRmT1_PNSt15iterator_traitsISL_E10value_typeET2_T3_PNSM_ISR_E10value_typeET4_jRbjT5_SX_jjP12ihipStream_tbEUlT_E2_NS1_11comp_targetILNS1_3genE9ELNS1_11target_archE1100ELNS1_3gpuE3ELNS1_3repE0EEENS1_30default_config_static_selectorELNS0_4arch9wavefront6targetE1EEEvSL_
		.amdhsa_group_segment_fixed_size 0
		.amdhsa_private_segment_fixed_size 0
		.amdhsa_kernarg_size 80
		.amdhsa_user_sgpr_count 6
		.amdhsa_user_sgpr_private_segment_buffer 1
		.amdhsa_user_sgpr_dispatch_ptr 0
		.amdhsa_user_sgpr_queue_ptr 0
		.amdhsa_user_sgpr_kernarg_segment_ptr 1
		.amdhsa_user_sgpr_dispatch_id 0
		.amdhsa_user_sgpr_flat_scratch_init 0
		.amdhsa_user_sgpr_kernarg_preload_length 0
		.amdhsa_user_sgpr_kernarg_preload_offset 0
		.amdhsa_user_sgpr_private_segment_size 0
		.amdhsa_uses_dynamic_stack 0
		.amdhsa_system_sgpr_private_segment_wavefront_offset 0
		.amdhsa_system_sgpr_workgroup_id_x 1
		.amdhsa_system_sgpr_workgroup_id_y 0
		.amdhsa_system_sgpr_workgroup_id_z 0
		.amdhsa_system_sgpr_workgroup_info 0
		.amdhsa_system_vgpr_workitem_id 0
		.amdhsa_next_free_vgpr 1
		.amdhsa_next_free_sgpr 0
		.amdhsa_accum_offset 4
		.amdhsa_reserve_vcc 0
		.amdhsa_reserve_flat_scratch 0
		.amdhsa_float_round_mode_32 0
		.amdhsa_float_round_mode_16_64 0
		.amdhsa_float_denorm_mode_32 3
		.amdhsa_float_denorm_mode_16_64 3
		.amdhsa_dx10_clamp 1
		.amdhsa_ieee_mode 1
		.amdhsa_fp16_overflow 0
		.amdhsa_tg_split 0
		.amdhsa_exception_fp_ieee_invalid_op 0
		.amdhsa_exception_fp_denorm_src 0
		.amdhsa_exception_fp_ieee_div_zero 0
		.amdhsa_exception_fp_ieee_overflow 0
		.amdhsa_exception_fp_ieee_underflow 0
		.amdhsa_exception_fp_ieee_inexact 0
		.amdhsa_exception_int_div_zero 0
	.end_amdhsa_kernel
	.section	.text._ZN7rocprim17ROCPRIM_400000_NS6detail17trampoline_kernelINS0_14default_configENS1_36segmented_radix_sort_config_selectorI6__halflEEZNS1_25segmented_radix_sort_implIS3_Lb0EPKS5_PS5_PKlPlN2at6native12_GLOBAL__N_18offset_tEEE10hipError_tPvRmT1_PNSt15iterator_traitsISL_E10value_typeET2_T3_PNSM_ISR_E10value_typeET4_jRbjT5_SX_jjP12ihipStream_tbEUlT_E2_NS1_11comp_targetILNS1_3genE9ELNS1_11target_archE1100ELNS1_3gpuE3ELNS1_3repE0EEENS1_30default_config_static_selectorELNS0_4arch9wavefront6targetE1EEEvSL_,"axG",@progbits,_ZN7rocprim17ROCPRIM_400000_NS6detail17trampoline_kernelINS0_14default_configENS1_36segmented_radix_sort_config_selectorI6__halflEEZNS1_25segmented_radix_sort_implIS3_Lb0EPKS5_PS5_PKlPlN2at6native12_GLOBAL__N_18offset_tEEE10hipError_tPvRmT1_PNSt15iterator_traitsISL_E10value_typeET2_T3_PNSM_ISR_E10value_typeET4_jRbjT5_SX_jjP12ihipStream_tbEUlT_E2_NS1_11comp_targetILNS1_3genE9ELNS1_11target_archE1100ELNS1_3gpuE3ELNS1_3repE0EEENS1_30default_config_static_selectorELNS0_4arch9wavefront6targetE1EEEvSL_,comdat
.Lfunc_end1877:
	.size	_ZN7rocprim17ROCPRIM_400000_NS6detail17trampoline_kernelINS0_14default_configENS1_36segmented_radix_sort_config_selectorI6__halflEEZNS1_25segmented_radix_sort_implIS3_Lb0EPKS5_PS5_PKlPlN2at6native12_GLOBAL__N_18offset_tEEE10hipError_tPvRmT1_PNSt15iterator_traitsISL_E10value_typeET2_T3_PNSM_ISR_E10value_typeET4_jRbjT5_SX_jjP12ihipStream_tbEUlT_E2_NS1_11comp_targetILNS1_3genE9ELNS1_11target_archE1100ELNS1_3gpuE3ELNS1_3repE0EEENS1_30default_config_static_selectorELNS0_4arch9wavefront6targetE1EEEvSL_, .Lfunc_end1877-_ZN7rocprim17ROCPRIM_400000_NS6detail17trampoline_kernelINS0_14default_configENS1_36segmented_radix_sort_config_selectorI6__halflEEZNS1_25segmented_radix_sort_implIS3_Lb0EPKS5_PS5_PKlPlN2at6native12_GLOBAL__N_18offset_tEEE10hipError_tPvRmT1_PNSt15iterator_traitsISL_E10value_typeET2_T3_PNSM_ISR_E10value_typeET4_jRbjT5_SX_jjP12ihipStream_tbEUlT_E2_NS1_11comp_targetILNS1_3genE9ELNS1_11target_archE1100ELNS1_3gpuE3ELNS1_3repE0EEENS1_30default_config_static_selectorELNS0_4arch9wavefront6targetE1EEEvSL_
                                        ; -- End function
	.section	.AMDGPU.csdata,"",@progbits
; Kernel info:
; codeLenInByte = 0
; NumSgprs: 4
; NumVgprs: 0
; NumAgprs: 0
; TotalNumVgprs: 0
; ScratchSize: 0
; MemoryBound: 0
; FloatMode: 240
; IeeeMode: 1
; LDSByteSize: 0 bytes/workgroup (compile time only)
; SGPRBlocks: 0
; VGPRBlocks: 0
; NumSGPRsForWavesPerEU: 4
; NumVGPRsForWavesPerEU: 1
; AccumOffset: 4
; Occupancy: 8
; WaveLimiterHint : 0
; COMPUTE_PGM_RSRC2:SCRATCH_EN: 0
; COMPUTE_PGM_RSRC2:USER_SGPR: 6
; COMPUTE_PGM_RSRC2:TRAP_HANDLER: 0
; COMPUTE_PGM_RSRC2:TGID_X_EN: 1
; COMPUTE_PGM_RSRC2:TGID_Y_EN: 0
; COMPUTE_PGM_RSRC2:TGID_Z_EN: 0
; COMPUTE_PGM_RSRC2:TIDIG_COMP_CNT: 0
; COMPUTE_PGM_RSRC3_GFX90A:ACCUM_OFFSET: 0
; COMPUTE_PGM_RSRC3_GFX90A:TG_SPLIT: 0
	.section	.text._ZN7rocprim17ROCPRIM_400000_NS6detail17trampoline_kernelINS0_14default_configENS1_36segmented_radix_sort_config_selectorI6__halflEEZNS1_25segmented_radix_sort_implIS3_Lb0EPKS5_PS5_PKlPlN2at6native12_GLOBAL__N_18offset_tEEE10hipError_tPvRmT1_PNSt15iterator_traitsISL_E10value_typeET2_T3_PNSM_ISR_E10value_typeET4_jRbjT5_SX_jjP12ihipStream_tbEUlT_E2_NS1_11comp_targetILNS1_3genE8ELNS1_11target_archE1030ELNS1_3gpuE2ELNS1_3repE0EEENS1_30default_config_static_selectorELNS0_4arch9wavefront6targetE1EEEvSL_,"axG",@progbits,_ZN7rocprim17ROCPRIM_400000_NS6detail17trampoline_kernelINS0_14default_configENS1_36segmented_radix_sort_config_selectorI6__halflEEZNS1_25segmented_radix_sort_implIS3_Lb0EPKS5_PS5_PKlPlN2at6native12_GLOBAL__N_18offset_tEEE10hipError_tPvRmT1_PNSt15iterator_traitsISL_E10value_typeET2_T3_PNSM_ISR_E10value_typeET4_jRbjT5_SX_jjP12ihipStream_tbEUlT_E2_NS1_11comp_targetILNS1_3genE8ELNS1_11target_archE1030ELNS1_3gpuE2ELNS1_3repE0EEENS1_30default_config_static_selectorELNS0_4arch9wavefront6targetE1EEEvSL_,comdat
	.globl	_ZN7rocprim17ROCPRIM_400000_NS6detail17trampoline_kernelINS0_14default_configENS1_36segmented_radix_sort_config_selectorI6__halflEEZNS1_25segmented_radix_sort_implIS3_Lb0EPKS5_PS5_PKlPlN2at6native12_GLOBAL__N_18offset_tEEE10hipError_tPvRmT1_PNSt15iterator_traitsISL_E10value_typeET2_T3_PNSM_ISR_E10value_typeET4_jRbjT5_SX_jjP12ihipStream_tbEUlT_E2_NS1_11comp_targetILNS1_3genE8ELNS1_11target_archE1030ELNS1_3gpuE2ELNS1_3repE0EEENS1_30default_config_static_selectorELNS0_4arch9wavefront6targetE1EEEvSL_ ; -- Begin function _ZN7rocprim17ROCPRIM_400000_NS6detail17trampoline_kernelINS0_14default_configENS1_36segmented_radix_sort_config_selectorI6__halflEEZNS1_25segmented_radix_sort_implIS3_Lb0EPKS5_PS5_PKlPlN2at6native12_GLOBAL__N_18offset_tEEE10hipError_tPvRmT1_PNSt15iterator_traitsISL_E10value_typeET2_T3_PNSM_ISR_E10value_typeET4_jRbjT5_SX_jjP12ihipStream_tbEUlT_E2_NS1_11comp_targetILNS1_3genE8ELNS1_11target_archE1030ELNS1_3gpuE2ELNS1_3repE0EEENS1_30default_config_static_selectorELNS0_4arch9wavefront6targetE1EEEvSL_
	.p2align	8
	.type	_ZN7rocprim17ROCPRIM_400000_NS6detail17trampoline_kernelINS0_14default_configENS1_36segmented_radix_sort_config_selectorI6__halflEEZNS1_25segmented_radix_sort_implIS3_Lb0EPKS5_PS5_PKlPlN2at6native12_GLOBAL__N_18offset_tEEE10hipError_tPvRmT1_PNSt15iterator_traitsISL_E10value_typeET2_T3_PNSM_ISR_E10value_typeET4_jRbjT5_SX_jjP12ihipStream_tbEUlT_E2_NS1_11comp_targetILNS1_3genE8ELNS1_11target_archE1030ELNS1_3gpuE2ELNS1_3repE0EEENS1_30default_config_static_selectorELNS0_4arch9wavefront6targetE1EEEvSL_,@function
_ZN7rocprim17ROCPRIM_400000_NS6detail17trampoline_kernelINS0_14default_configENS1_36segmented_radix_sort_config_selectorI6__halflEEZNS1_25segmented_radix_sort_implIS3_Lb0EPKS5_PS5_PKlPlN2at6native12_GLOBAL__N_18offset_tEEE10hipError_tPvRmT1_PNSt15iterator_traitsISL_E10value_typeET2_T3_PNSM_ISR_E10value_typeET4_jRbjT5_SX_jjP12ihipStream_tbEUlT_E2_NS1_11comp_targetILNS1_3genE8ELNS1_11target_archE1030ELNS1_3gpuE2ELNS1_3repE0EEENS1_30default_config_static_selectorELNS0_4arch9wavefront6targetE1EEEvSL_: ; @_ZN7rocprim17ROCPRIM_400000_NS6detail17trampoline_kernelINS0_14default_configENS1_36segmented_radix_sort_config_selectorI6__halflEEZNS1_25segmented_radix_sort_implIS3_Lb0EPKS5_PS5_PKlPlN2at6native12_GLOBAL__N_18offset_tEEE10hipError_tPvRmT1_PNSt15iterator_traitsISL_E10value_typeET2_T3_PNSM_ISR_E10value_typeET4_jRbjT5_SX_jjP12ihipStream_tbEUlT_E2_NS1_11comp_targetILNS1_3genE8ELNS1_11target_archE1030ELNS1_3gpuE2ELNS1_3repE0EEENS1_30default_config_static_selectorELNS0_4arch9wavefront6targetE1EEEvSL_
; %bb.0:
	.section	.rodata,"a",@progbits
	.p2align	6, 0x0
	.amdhsa_kernel _ZN7rocprim17ROCPRIM_400000_NS6detail17trampoline_kernelINS0_14default_configENS1_36segmented_radix_sort_config_selectorI6__halflEEZNS1_25segmented_radix_sort_implIS3_Lb0EPKS5_PS5_PKlPlN2at6native12_GLOBAL__N_18offset_tEEE10hipError_tPvRmT1_PNSt15iterator_traitsISL_E10value_typeET2_T3_PNSM_ISR_E10value_typeET4_jRbjT5_SX_jjP12ihipStream_tbEUlT_E2_NS1_11comp_targetILNS1_3genE8ELNS1_11target_archE1030ELNS1_3gpuE2ELNS1_3repE0EEENS1_30default_config_static_selectorELNS0_4arch9wavefront6targetE1EEEvSL_
		.amdhsa_group_segment_fixed_size 0
		.amdhsa_private_segment_fixed_size 0
		.amdhsa_kernarg_size 80
		.amdhsa_user_sgpr_count 6
		.amdhsa_user_sgpr_private_segment_buffer 1
		.amdhsa_user_sgpr_dispatch_ptr 0
		.amdhsa_user_sgpr_queue_ptr 0
		.amdhsa_user_sgpr_kernarg_segment_ptr 1
		.amdhsa_user_sgpr_dispatch_id 0
		.amdhsa_user_sgpr_flat_scratch_init 0
		.amdhsa_user_sgpr_kernarg_preload_length 0
		.amdhsa_user_sgpr_kernarg_preload_offset 0
		.amdhsa_user_sgpr_private_segment_size 0
		.amdhsa_uses_dynamic_stack 0
		.amdhsa_system_sgpr_private_segment_wavefront_offset 0
		.amdhsa_system_sgpr_workgroup_id_x 1
		.amdhsa_system_sgpr_workgroup_id_y 0
		.amdhsa_system_sgpr_workgroup_id_z 0
		.amdhsa_system_sgpr_workgroup_info 0
		.amdhsa_system_vgpr_workitem_id 0
		.amdhsa_next_free_vgpr 1
		.amdhsa_next_free_sgpr 0
		.amdhsa_accum_offset 4
		.amdhsa_reserve_vcc 0
		.amdhsa_reserve_flat_scratch 0
		.amdhsa_float_round_mode_32 0
		.amdhsa_float_round_mode_16_64 0
		.amdhsa_float_denorm_mode_32 3
		.amdhsa_float_denorm_mode_16_64 3
		.amdhsa_dx10_clamp 1
		.amdhsa_ieee_mode 1
		.amdhsa_fp16_overflow 0
		.amdhsa_tg_split 0
		.amdhsa_exception_fp_ieee_invalid_op 0
		.amdhsa_exception_fp_denorm_src 0
		.amdhsa_exception_fp_ieee_div_zero 0
		.amdhsa_exception_fp_ieee_overflow 0
		.amdhsa_exception_fp_ieee_underflow 0
		.amdhsa_exception_fp_ieee_inexact 0
		.amdhsa_exception_int_div_zero 0
	.end_amdhsa_kernel
	.section	.text._ZN7rocprim17ROCPRIM_400000_NS6detail17trampoline_kernelINS0_14default_configENS1_36segmented_radix_sort_config_selectorI6__halflEEZNS1_25segmented_radix_sort_implIS3_Lb0EPKS5_PS5_PKlPlN2at6native12_GLOBAL__N_18offset_tEEE10hipError_tPvRmT1_PNSt15iterator_traitsISL_E10value_typeET2_T3_PNSM_ISR_E10value_typeET4_jRbjT5_SX_jjP12ihipStream_tbEUlT_E2_NS1_11comp_targetILNS1_3genE8ELNS1_11target_archE1030ELNS1_3gpuE2ELNS1_3repE0EEENS1_30default_config_static_selectorELNS0_4arch9wavefront6targetE1EEEvSL_,"axG",@progbits,_ZN7rocprim17ROCPRIM_400000_NS6detail17trampoline_kernelINS0_14default_configENS1_36segmented_radix_sort_config_selectorI6__halflEEZNS1_25segmented_radix_sort_implIS3_Lb0EPKS5_PS5_PKlPlN2at6native12_GLOBAL__N_18offset_tEEE10hipError_tPvRmT1_PNSt15iterator_traitsISL_E10value_typeET2_T3_PNSM_ISR_E10value_typeET4_jRbjT5_SX_jjP12ihipStream_tbEUlT_E2_NS1_11comp_targetILNS1_3genE8ELNS1_11target_archE1030ELNS1_3gpuE2ELNS1_3repE0EEENS1_30default_config_static_selectorELNS0_4arch9wavefront6targetE1EEEvSL_,comdat
.Lfunc_end1878:
	.size	_ZN7rocprim17ROCPRIM_400000_NS6detail17trampoline_kernelINS0_14default_configENS1_36segmented_radix_sort_config_selectorI6__halflEEZNS1_25segmented_radix_sort_implIS3_Lb0EPKS5_PS5_PKlPlN2at6native12_GLOBAL__N_18offset_tEEE10hipError_tPvRmT1_PNSt15iterator_traitsISL_E10value_typeET2_T3_PNSM_ISR_E10value_typeET4_jRbjT5_SX_jjP12ihipStream_tbEUlT_E2_NS1_11comp_targetILNS1_3genE8ELNS1_11target_archE1030ELNS1_3gpuE2ELNS1_3repE0EEENS1_30default_config_static_selectorELNS0_4arch9wavefront6targetE1EEEvSL_, .Lfunc_end1878-_ZN7rocprim17ROCPRIM_400000_NS6detail17trampoline_kernelINS0_14default_configENS1_36segmented_radix_sort_config_selectorI6__halflEEZNS1_25segmented_radix_sort_implIS3_Lb0EPKS5_PS5_PKlPlN2at6native12_GLOBAL__N_18offset_tEEE10hipError_tPvRmT1_PNSt15iterator_traitsISL_E10value_typeET2_T3_PNSM_ISR_E10value_typeET4_jRbjT5_SX_jjP12ihipStream_tbEUlT_E2_NS1_11comp_targetILNS1_3genE8ELNS1_11target_archE1030ELNS1_3gpuE2ELNS1_3repE0EEENS1_30default_config_static_selectorELNS0_4arch9wavefront6targetE1EEEvSL_
                                        ; -- End function
	.section	.AMDGPU.csdata,"",@progbits
; Kernel info:
; codeLenInByte = 0
; NumSgprs: 4
; NumVgprs: 0
; NumAgprs: 0
; TotalNumVgprs: 0
; ScratchSize: 0
; MemoryBound: 0
; FloatMode: 240
; IeeeMode: 1
; LDSByteSize: 0 bytes/workgroup (compile time only)
; SGPRBlocks: 0
; VGPRBlocks: 0
; NumSGPRsForWavesPerEU: 4
; NumVGPRsForWavesPerEU: 1
; AccumOffset: 4
; Occupancy: 8
; WaveLimiterHint : 0
; COMPUTE_PGM_RSRC2:SCRATCH_EN: 0
; COMPUTE_PGM_RSRC2:USER_SGPR: 6
; COMPUTE_PGM_RSRC2:TRAP_HANDLER: 0
; COMPUTE_PGM_RSRC2:TGID_X_EN: 1
; COMPUTE_PGM_RSRC2:TGID_Y_EN: 0
; COMPUTE_PGM_RSRC2:TGID_Z_EN: 0
; COMPUTE_PGM_RSRC2:TIDIG_COMP_CNT: 0
; COMPUTE_PGM_RSRC3_GFX90A:ACCUM_OFFSET: 0
; COMPUTE_PGM_RSRC3_GFX90A:TG_SPLIT: 0
	.section	.text._ZN2at6native12_GLOBAL__N_123sort_postprocess_kernelIN3c108BFloat16EEEvPKT_PS5_PlPK15HIP_vector_typeIiLj2EEii,"axG",@progbits,_ZN2at6native12_GLOBAL__N_123sort_postprocess_kernelIN3c108BFloat16EEEvPKT_PS5_PlPK15HIP_vector_typeIiLj2EEii,comdat
	.globl	_ZN2at6native12_GLOBAL__N_123sort_postprocess_kernelIN3c108BFloat16EEEvPKT_PS5_PlPK15HIP_vector_typeIiLj2EEii ; -- Begin function _ZN2at6native12_GLOBAL__N_123sort_postprocess_kernelIN3c108BFloat16EEEvPKT_PS5_PlPK15HIP_vector_typeIiLj2EEii
	.p2align	8
	.type	_ZN2at6native12_GLOBAL__N_123sort_postprocess_kernelIN3c108BFloat16EEEvPKT_PS5_PlPK15HIP_vector_typeIiLj2EEii,@function
_ZN2at6native12_GLOBAL__N_123sort_postprocess_kernelIN3c108BFloat16EEEvPKT_PS5_PlPK15HIP_vector_typeIiLj2EEii: ; @_ZN2at6native12_GLOBAL__N_123sort_postprocess_kernelIN3c108BFloat16EEEvPKT_PS5_PlPK15HIP_vector_typeIiLj2EEii
; %bb.0:
	s_load_dword s0, s[4:5], 0x34
	s_load_dwordx2 s[8:9], s[4:5], 0x20
	s_add_u32 s2, s4, 40
	s_addc_u32 s3, s5, 0
	v_mov_b32_e32 v1, 0
	s_waitcnt lgkmcnt(0)
	s_and_b32 s7, s0, 0xffff
	v_mov_b32_e32 v2, s6
	v_mad_u64_u32 v[0:1], s[0:1], s7, v2, v[0:1]
	s_mul_i32 s0, s9, s8
	s_ashr_i32 s1, s0, 31
	v_cmp_gt_i64_e32 vcc, s[0:1], v[0:1]
	s_and_saveexec_b64 s[10:11], vcc
	s_cbranch_execz .LBB1879_3
; %bb.1:
	s_abs_i32 s6, s9
	v_cvt_f32_u32_e32 v2, s6
	s_load_dwordx8 s[8:15], s[4:5], 0x0
	s_load_dword s16, s[2:3], 0x0
	s_sub_i32 s17, 0, s6
	s_mov_b32 s5, 0
	v_rcp_iflag_f32_e32 v2, v2
	s_mov_b64 s[2:3], 0
	s_waitcnt lgkmcnt(0)
	s_mul_i32 s4, s16, s7
	v_mov_b32_e32 v3, s11
	v_mul_f32_e32 v2, 0x4f7ffffe, v2
	v_cvt_u32_f32_e32 v5, v2
	v_mov_b32_e32 v2, s9
	v_mov_b32_e32 v4, s13
	;; [unrolled: 1-line block ×3, first 2 shown]
	v_mul_lo_u32 v6, s17, v5
	v_mul_hi_u32 v6, v5, v6
	v_add_u32_e32 v5, v5, v6
	v_mov_b32_e32 v6, s15
.LBB1879_2:                             ; =>This Inner Loop Header: Depth=1
	v_sub_u32_e32 v9, 0, v0
	v_max_i32_e32 v9, v0, v9
	v_mul_hi_u32 v11, v9, v5
	v_mul_lo_u32 v11, v11, s6
	v_sub_u32_e32 v9, v9, v11
	v_subrev_u32_e32 v11, s6, v9
	v_cmp_le_u32_e32 vcc, s6, v9
	v_cndmask_b32_e32 v9, v9, v11, vcc
	v_subrev_u32_e32 v11, s6, v9
	v_cmp_le_u32_e32 vcc, s6, v9
	v_ashrrev_i32_e32 v8, 31, v0
	v_cndmask_b32_e32 v9, v9, v11, vcc
	v_add_u32_e32 v10, v0, v8
	v_xor_b32_e32 v9, v9, v8
	v_sub_u32_e32 v10, v10, v9
	v_ashrrev_i32_e32 v11, 31, v10
	v_sub_u32_e32 v8, v9, v8
	v_lshlrev_b64 v[12:13], 3, v[10:11]
	v_ashrrev_i32_e32 v9, 31, v8
	v_add_co_u32_e32 v16, vcc, s14, v12
	v_lshlrev_b64 v[14:15], 3, v[8:9]
	v_addc_co_u32_e32 v17, vcc, v6, v13, vcc
	v_add_co_u32_e32 v16, vcc, v16, v14
	v_addc_co_u32_e32 v17, vcc, v17, v15, vcc
	global_load_dword v16, v[16:17], off offset:4
	v_lshlrev_b64 v[10:11], 1, v[10:11]
	v_add_co_u32_e32 v20, vcc, s8, v10
	v_addc_co_u32_e32 v21, vcc, v2, v11, vcc
	v_lshlrev_b64 v[8:9], 1, v[8:9]
	s_waitcnt vmcnt(0)
	v_ashrrev_i32_e32 v17, 31, v16
	v_lshlrev_b64 v[18:19], 1, v[16:17]
	v_add_co_u32_e32 v18, vcc, v20, v18
	v_addc_co_u32_e32 v19, vcc, v21, v19, vcc
	global_load_ushort v18, v[18:19], off
	v_add_co_u32_e32 v0, vcc, s4, v0
	v_addc_co_u32_e32 v1, vcc, v1, v7, vcc
	v_cmp_le_i64_e32 vcc, s[0:1], v[0:1]
	s_or_b64 s[2:3], vcc, s[2:3]
	v_add_co_u32_e32 v19, vcc, s10, v10
	v_addc_co_u32_e32 v20, vcc, v3, v11, vcc
	v_add_co_u32_e32 v10, vcc, s12, v12
	v_addc_co_u32_e32 v11, vcc, v4, v13, vcc
	;; [unrolled: 2-line block ×4, first 2 shown]
	global_store_dwordx2 v[10:11], v[16:17], off
	s_waitcnt vmcnt(1)
	global_store_short v[8:9], v18, off
	s_andn2_b64 exec, exec, s[2:3]
	s_cbranch_execnz .LBB1879_2
.LBB1879_3:
	s_endpgm
	.section	.rodata,"a",@progbits
	.p2align	6, 0x0
	.amdhsa_kernel _ZN2at6native12_GLOBAL__N_123sort_postprocess_kernelIN3c108BFloat16EEEvPKT_PS5_PlPK15HIP_vector_typeIiLj2EEii
		.amdhsa_group_segment_fixed_size 0
		.amdhsa_private_segment_fixed_size 0
		.amdhsa_kernarg_size 296
		.amdhsa_user_sgpr_count 6
		.amdhsa_user_sgpr_private_segment_buffer 1
		.amdhsa_user_sgpr_dispatch_ptr 0
		.amdhsa_user_sgpr_queue_ptr 0
		.amdhsa_user_sgpr_kernarg_segment_ptr 1
		.amdhsa_user_sgpr_dispatch_id 0
		.amdhsa_user_sgpr_flat_scratch_init 0
		.amdhsa_user_sgpr_kernarg_preload_length 0
		.amdhsa_user_sgpr_kernarg_preload_offset 0
		.amdhsa_user_sgpr_private_segment_size 0
		.amdhsa_uses_dynamic_stack 0
		.amdhsa_system_sgpr_private_segment_wavefront_offset 0
		.amdhsa_system_sgpr_workgroup_id_x 1
		.amdhsa_system_sgpr_workgroup_id_y 0
		.amdhsa_system_sgpr_workgroup_id_z 0
		.amdhsa_system_sgpr_workgroup_info 0
		.amdhsa_system_vgpr_workitem_id 0
		.amdhsa_next_free_vgpr 22
		.amdhsa_next_free_sgpr 18
		.amdhsa_accum_offset 24
		.amdhsa_reserve_vcc 1
		.amdhsa_reserve_flat_scratch 0
		.amdhsa_float_round_mode_32 0
		.amdhsa_float_round_mode_16_64 0
		.amdhsa_float_denorm_mode_32 3
		.amdhsa_float_denorm_mode_16_64 3
		.amdhsa_dx10_clamp 1
		.amdhsa_ieee_mode 1
		.amdhsa_fp16_overflow 0
		.amdhsa_tg_split 0
		.amdhsa_exception_fp_ieee_invalid_op 0
		.amdhsa_exception_fp_denorm_src 0
		.amdhsa_exception_fp_ieee_div_zero 0
		.amdhsa_exception_fp_ieee_overflow 0
		.amdhsa_exception_fp_ieee_underflow 0
		.amdhsa_exception_fp_ieee_inexact 0
		.amdhsa_exception_int_div_zero 0
	.end_amdhsa_kernel
	.section	.text._ZN2at6native12_GLOBAL__N_123sort_postprocess_kernelIN3c108BFloat16EEEvPKT_PS5_PlPK15HIP_vector_typeIiLj2EEii,"axG",@progbits,_ZN2at6native12_GLOBAL__N_123sort_postprocess_kernelIN3c108BFloat16EEEvPKT_PS5_PlPK15HIP_vector_typeIiLj2EEii,comdat
.Lfunc_end1879:
	.size	_ZN2at6native12_GLOBAL__N_123sort_postprocess_kernelIN3c108BFloat16EEEvPKT_PS5_PlPK15HIP_vector_typeIiLj2EEii, .Lfunc_end1879-_ZN2at6native12_GLOBAL__N_123sort_postprocess_kernelIN3c108BFloat16EEEvPKT_PS5_PlPK15HIP_vector_typeIiLj2EEii
                                        ; -- End function
	.section	.AMDGPU.csdata,"",@progbits
; Kernel info:
; codeLenInByte = 428
; NumSgprs: 22
; NumVgprs: 22
; NumAgprs: 0
; TotalNumVgprs: 22
; ScratchSize: 0
; MemoryBound: 0
; FloatMode: 240
; IeeeMode: 1
; LDSByteSize: 0 bytes/workgroup (compile time only)
; SGPRBlocks: 2
; VGPRBlocks: 2
; NumSGPRsForWavesPerEU: 22
; NumVGPRsForWavesPerEU: 22
; AccumOffset: 24
; Occupancy: 8
; WaveLimiterHint : 1
; COMPUTE_PGM_RSRC2:SCRATCH_EN: 0
; COMPUTE_PGM_RSRC2:USER_SGPR: 6
; COMPUTE_PGM_RSRC2:TRAP_HANDLER: 0
; COMPUTE_PGM_RSRC2:TGID_X_EN: 1
; COMPUTE_PGM_RSRC2:TGID_Y_EN: 0
; COMPUTE_PGM_RSRC2:TGID_Z_EN: 0
; COMPUTE_PGM_RSRC2:TIDIG_COMP_CNT: 0
; COMPUTE_PGM_RSRC3_GFX90A:ACCUM_OFFSET: 5
; COMPUTE_PGM_RSRC3_GFX90A:TG_SPLIT: 0
	.section	.text._ZN7rocprim17ROCPRIM_400000_NS6detail17trampoline_kernelINS0_13select_configILj256ELj13ELNS0_17block_load_methodE3ELS4_3ELS4_3ELNS0_20block_scan_algorithmE0ELj4294967295EEENS1_25partition_config_selectorILNS1_17partition_subalgoE4EjNS0_10empty_typeEbEEZZNS1_14partition_implILS8_4ELb0ES6_15HIP_vector_typeIjLj2EENS0_17counting_iteratorIjlEEPS9_SG_NS0_5tupleIJPjSI_NS0_16reverse_iteratorISI_EEEEENSH_IJSG_SG_SG_EEES9_SI_JZNS1_25segmented_radix_sort_implINS0_14default_configELb1EPK12hip_bfloat16PSP_PKlPlN2at6native12_GLOBAL__N_18offset_tEEE10hipError_tPvRmT1_PNSt15iterator_traitsIS13_E10value_typeET2_T3_PNS14_IS19_E10value_typeET4_jRbjT5_S1F_jjP12ihipStream_tbEUljE_ZNSN_ISO_Lb1ESR_SS_SU_SV_SZ_EES10_S11_S12_S13_S17_S18_S19_S1C_S1D_jS1E_jS1F_S1F_jjS1H_bEUljE0_EEES10_S11_S12_S19_S1D_S1F_T6_T7_T9_mT8_S1H_bDpT10_ENKUlT_T0_E_clISt17integral_constantIbLb0EES1V_EEDaS1Q_S1R_EUlS1Q_E_NS1_11comp_targetILNS1_3genE0ELNS1_11target_archE4294967295ELNS1_3gpuE0ELNS1_3repE0EEENS1_30default_config_static_selectorELNS0_4arch9wavefront6targetE1EEEvS13_,"axG",@progbits,_ZN7rocprim17ROCPRIM_400000_NS6detail17trampoline_kernelINS0_13select_configILj256ELj13ELNS0_17block_load_methodE3ELS4_3ELS4_3ELNS0_20block_scan_algorithmE0ELj4294967295EEENS1_25partition_config_selectorILNS1_17partition_subalgoE4EjNS0_10empty_typeEbEEZZNS1_14partition_implILS8_4ELb0ES6_15HIP_vector_typeIjLj2EENS0_17counting_iteratorIjlEEPS9_SG_NS0_5tupleIJPjSI_NS0_16reverse_iteratorISI_EEEEENSH_IJSG_SG_SG_EEES9_SI_JZNS1_25segmented_radix_sort_implINS0_14default_configELb1EPK12hip_bfloat16PSP_PKlPlN2at6native12_GLOBAL__N_18offset_tEEE10hipError_tPvRmT1_PNSt15iterator_traitsIS13_E10value_typeET2_T3_PNS14_IS19_E10value_typeET4_jRbjT5_S1F_jjP12ihipStream_tbEUljE_ZNSN_ISO_Lb1ESR_SS_SU_SV_SZ_EES10_S11_S12_S13_S17_S18_S19_S1C_S1D_jS1E_jS1F_S1F_jjS1H_bEUljE0_EEES10_S11_S12_S19_S1D_S1F_T6_T7_T9_mT8_S1H_bDpT10_ENKUlT_T0_E_clISt17integral_constantIbLb0EES1V_EEDaS1Q_S1R_EUlS1Q_E_NS1_11comp_targetILNS1_3genE0ELNS1_11target_archE4294967295ELNS1_3gpuE0ELNS1_3repE0EEENS1_30default_config_static_selectorELNS0_4arch9wavefront6targetE1EEEvS13_,comdat
	.globl	_ZN7rocprim17ROCPRIM_400000_NS6detail17trampoline_kernelINS0_13select_configILj256ELj13ELNS0_17block_load_methodE3ELS4_3ELS4_3ELNS0_20block_scan_algorithmE0ELj4294967295EEENS1_25partition_config_selectorILNS1_17partition_subalgoE4EjNS0_10empty_typeEbEEZZNS1_14partition_implILS8_4ELb0ES6_15HIP_vector_typeIjLj2EENS0_17counting_iteratorIjlEEPS9_SG_NS0_5tupleIJPjSI_NS0_16reverse_iteratorISI_EEEEENSH_IJSG_SG_SG_EEES9_SI_JZNS1_25segmented_radix_sort_implINS0_14default_configELb1EPK12hip_bfloat16PSP_PKlPlN2at6native12_GLOBAL__N_18offset_tEEE10hipError_tPvRmT1_PNSt15iterator_traitsIS13_E10value_typeET2_T3_PNS14_IS19_E10value_typeET4_jRbjT5_S1F_jjP12ihipStream_tbEUljE_ZNSN_ISO_Lb1ESR_SS_SU_SV_SZ_EES10_S11_S12_S13_S17_S18_S19_S1C_S1D_jS1E_jS1F_S1F_jjS1H_bEUljE0_EEES10_S11_S12_S19_S1D_S1F_T6_T7_T9_mT8_S1H_bDpT10_ENKUlT_T0_E_clISt17integral_constantIbLb0EES1V_EEDaS1Q_S1R_EUlS1Q_E_NS1_11comp_targetILNS1_3genE0ELNS1_11target_archE4294967295ELNS1_3gpuE0ELNS1_3repE0EEENS1_30default_config_static_selectorELNS0_4arch9wavefront6targetE1EEEvS13_ ; -- Begin function _ZN7rocprim17ROCPRIM_400000_NS6detail17trampoline_kernelINS0_13select_configILj256ELj13ELNS0_17block_load_methodE3ELS4_3ELS4_3ELNS0_20block_scan_algorithmE0ELj4294967295EEENS1_25partition_config_selectorILNS1_17partition_subalgoE4EjNS0_10empty_typeEbEEZZNS1_14partition_implILS8_4ELb0ES6_15HIP_vector_typeIjLj2EENS0_17counting_iteratorIjlEEPS9_SG_NS0_5tupleIJPjSI_NS0_16reverse_iteratorISI_EEEEENSH_IJSG_SG_SG_EEES9_SI_JZNS1_25segmented_radix_sort_implINS0_14default_configELb1EPK12hip_bfloat16PSP_PKlPlN2at6native12_GLOBAL__N_18offset_tEEE10hipError_tPvRmT1_PNSt15iterator_traitsIS13_E10value_typeET2_T3_PNS14_IS19_E10value_typeET4_jRbjT5_S1F_jjP12ihipStream_tbEUljE_ZNSN_ISO_Lb1ESR_SS_SU_SV_SZ_EES10_S11_S12_S13_S17_S18_S19_S1C_S1D_jS1E_jS1F_S1F_jjS1H_bEUljE0_EEES10_S11_S12_S19_S1D_S1F_T6_T7_T9_mT8_S1H_bDpT10_ENKUlT_T0_E_clISt17integral_constantIbLb0EES1V_EEDaS1Q_S1R_EUlS1Q_E_NS1_11comp_targetILNS1_3genE0ELNS1_11target_archE4294967295ELNS1_3gpuE0ELNS1_3repE0EEENS1_30default_config_static_selectorELNS0_4arch9wavefront6targetE1EEEvS13_
	.p2align	8
	.type	_ZN7rocprim17ROCPRIM_400000_NS6detail17trampoline_kernelINS0_13select_configILj256ELj13ELNS0_17block_load_methodE3ELS4_3ELS4_3ELNS0_20block_scan_algorithmE0ELj4294967295EEENS1_25partition_config_selectorILNS1_17partition_subalgoE4EjNS0_10empty_typeEbEEZZNS1_14partition_implILS8_4ELb0ES6_15HIP_vector_typeIjLj2EENS0_17counting_iteratorIjlEEPS9_SG_NS0_5tupleIJPjSI_NS0_16reverse_iteratorISI_EEEEENSH_IJSG_SG_SG_EEES9_SI_JZNS1_25segmented_radix_sort_implINS0_14default_configELb1EPK12hip_bfloat16PSP_PKlPlN2at6native12_GLOBAL__N_18offset_tEEE10hipError_tPvRmT1_PNSt15iterator_traitsIS13_E10value_typeET2_T3_PNS14_IS19_E10value_typeET4_jRbjT5_S1F_jjP12ihipStream_tbEUljE_ZNSN_ISO_Lb1ESR_SS_SU_SV_SZ_EES10_S11_S12_S13_S17_S18_S19_S1C_S1D_jS1E_jS1F_S1F_jjS1H_bEUljE0_EEES10_S11_S12_S19_S1D_S1F_T6_T7_T9_mT8_S1H_bDpT10_ENKUlT_T0_E_clISt17integral_constantIbLb0EES1V_EEDaS1Q_S1R_EUlS1Q_E_NS1_11comp_targetILNS1_3genE0ELNS1_11target_archE4294967295ELNS1_3gpuE0ELNS1_3repE0EEENS1_30default_config_static_selectorELNS0_4arch9wavefront6targetE1EEEvS13_,@function
_ZN7rocprim17ROCPRIM_400000_NS6detail17trampoline_kernelINS0_13select_configILj256ELj13ELNS0_17block_load_methodE3ELS4_3ELS4_3ELNS0_20block_scan_algorithmE0ELj4294967295EEENS1_25partition_config_selectorILNS1_17partition_subalgoE4EjNS0_10empty_typeEbEEZZNS1_14partition_implILS8_4ELb0ES6_15HIP_vector_typeIjLj2EENS0_17counting_iteratorIjlEEPS9_SG_NS0_5tupleIJPjSI_NS0_16reverse_iteratorISI_EEEEENSH_IJSG_SG_SG_EEES9_SI_JZNS1_25segmented_radix_sort_implINS0_14default_configELb1EPK12hip_bfloat16PSP_PKlPlN2at6native12_GLOBAL__N_18offset_tEEE10hipError_tPvRmT1_PNSt15iterator_traitsIS13_E10value_typeET2_T3_PNS14_IS19_E10value_typeET4_jRbjT5_S1F_jjP12ihipStream_tbEUljE_ZNSN_ISO_Lb1ESR_SS_SU_SV_SZ_EES10_S11_S12_S13_S17_S18_S19_S1C_S1D_jS1E_jS1F_S1F_jjS1H_bEUljE0_EEES10_S11_S12_S19_S1D_S1F_T6_T7_T9_mT8_S1H_bDpT10_ENKUlT_T0_E_clISt17integral_constantIbLb0EES1V_EEDaS1Q_S1R_EUlS1Q_E_NS1_11comp_targetILNS1_3genE0ELNS1_11target_archE4294967295ELNS1_3gpuE0ELNS1_3repE0EEENS1_30default_config_static_selectorELNS0_4arch9wavefront6targetE1EEEvS13_: ; @_ZN7rocprim17ROCPRIM_400000_NS6detail17trampoline_kernelINS0_13select_configILj256ELj13ELNS0_17block_load_methodE3ELS4_3ELS4_3ELNS0_20block_scan_algorithmE0ELj4294967295EEENS1_25partition_config_selectorILNS1_17partition_subalgoE4EjNS0_10empty_typeEbEEZZNS1_14partition_implILS8_4ELb0ES6_15HIP_vector_typeIjLj2EENS0_17counting_iteratorIjlEEPS9_SG_NS0_5tupleIJPjSI_NS0_16reverse_iteratorISI_EEEEENSH_IJSG_SG_SG_EEES9_SI_JZNS1_25segmented_radix_sort_implINS0_14default_configELb1EPK12hip_bfloat16PSP_PKlPlN2at6native12_GLOBAL__N_18offset_tEEE10hipError_tPvRmT1_PNSt15iterator_traitsIS13_E10value_typeET2_T3_PNS14_IS19_E10value_typeET4_jRbjT5_S1F_jjP12ihipStream_tbEUljE_ZNSN_ISO_Lb1ESR_SS_SU_SV_SZ_EES10_S11_S12_S13_S17_S18_S19_S1C_S1D_jS1E_jS1F_S1F_jjS1H_bEUljE0_EEES10_S11_S12_S19_S1D_S1F_T6_T7_T9_mT8_S1H_bDpT10_ENKUlT_T0_E_clISt17integral_constantIbLb0EES1V_EEDaS1Q_S1R_EUlS1Q_E_NS1_11comp_targetILNS1_3genE0ELNS1_11target_archE4294967295ELNS1_3gpuE0ELNS1_3repE0EEENS1_30default_config_static_selectorELNS0_4arch9wavefront6targetE1EEEvS13_
; %bb.0:
	.section	.rodata,"a",@progbits
	.p2align	6, 0x0
	.amdhsa_kernel _ZN7rocprim17ROCPRIM_400000_NS6detail17trampoline_kernelINS0_13select_configILj256ELj13ELNS0_17block_load_methodE3ELS4_3ELS4_3ELNS0_20block_scan_algorithmE0ELj4294967295EEENS1_25partition_config_selectorILNS1_17partition_subalgoE4EjNS0_10empty_typeEbEEZZNS1_14partition_implILS8_4ELb0ES6_15HIP_vector_typeIjLj2EENS0_17counting_iteratorIjlEEPS9_SG_NS0_5tupleIJPjSI_NS0_16reverse_iteratorISI_EEEEENSH_IJSG_SG_SG_EEES9_SI_JZNS1_25segmented_radix_sort_implINS0_14default_configELb1EPK12hip_bfloat16PSP_PKlPlN2at6native12_GLOBAL__N_18offset_tEEE10hipError_tPvRmT1_PNSt15iterator_traitsIS13_E10value_typeET2_T3_PNS14_IS19_E10value_typeET4_jRbjT5_S1F_jjP12ihipStream_tbEUljE_ZNSN_ISO_Lb1ESR_SS_SU_SV_SZ_EES10_S11_S12_S13_S17_S18_S19_S1C_S1D_jS1E_jS1F_S1F_jjS1H_bEUljE0_EEES10_S11_S12_S19_S1D_S1F_T6_T7_T9_mT8_S1H_bDpT10_ENKUlT_T0_E_clISt17integral_constantIbLb0EES1V_EEDaS1Q_S1R_EUlS1Q_E_NS1_11comp_targetILNS1_3genE0ELNS1_11target_archE4294967295ELNS1_3gpuE0ELNS1_3repE0EEENS1_30default_config_static_selectorELNS0_4arch9wavefront6targetE1EEEvS13_
		.amdhsa_group_segment_fixed_size 0
		.amdhsa_private_segment_fixed_size 0
		.amdhsa_kernarg_size 176
		.amdhsa_user_sgpr_count 6
		.amdhsa_user_sgpr_private_segment_buffer 1
		.amdhsa_user_sgpr_dispatch_ptr 0
		.amdhsa_user_sgpr_queue_ptr 0
		.amdhsa_user_sgpr_kernarg_segment_ptr 1
		.amdhsa_user_sgpr_dispatch_id 0
		.amdhsa_user_sgpr_flat_scratch_init 0
		.amdhsa_user_sgpr_kernarg_preload_length 0
		.amdhsa_user_sgpr_kernarg_preload_offset 0
		.amdhsa_user_sgpr_private_segment_size 0
		.amdhsa_uses_dynamic_stack 0
		.amdhsa_system_sgpr_private_segment_wavefront_offset 0
		.amdhsa_system_sgpr_workgroup_id_x 1
		.amdhsa_system_sgpr_workgroup_id_y 0
		.amdhsa_system_sgpr_workgroup_id_z 0
		.amdhsa_system_sgpr_workgroup_info 0
		.amdhsa_system_vgpr_workitem_id 0
		.amdhsa_next_free_vgpr 1
		.amdhsa_next_free_sgpr 0
		.amdhsa_accum_offset 4
		.amdhsa_reserve_vcc 0
		.amdhsa_reserve_flat_scratch 0
		.amdhsa_float_round_mode_32 0
		.amdhsa_float_round_mode_16_64 0
		.amdhsa_float_denorm_mode_32 3
		.amdhsa_float_denorm_mode_16_64 3
		.amdhsa_dx10_clamp 1
		.amdhsa_ieee_mode 1
		.amdhsa_fp16_overflow 0
		.amdhsa_tg_split 0
		.amdhsa_exception_fp_ieee_invalid_op 0
		.amdhsa_exception_fp_denorm_src 0
		.amdhsa_exception_fp_ieee_div_zero 0
		.amdhsa_exception_fp_ieee_overflow 0
		.amdhsa_exception_fp_ieee_underflow 0
		.amdhsa_exception_fp_ieee_inexact 0
		.amdhsa_exception_int_div_zero 0
	.end_amdhsa_kernel
	.section	.text._ZN7rocprim17ROCPRIM_400000_NS6detail17trampoline_kernelINS0_13select_configILj256ELj13ELNS0_17block_load_methodE3ELS4_3ELS4_3ELNS0_20block_scan_algorithmE0ELj4294967295EEENS1_25partition_config_selectorILNS1_17partition_subalgoE4EjNS0_10empty_typeEbEEZZNS1_14partition_implILS8_4ELb0ES6_15HIP_vector_typeIjLj2EENS0_17counting_iteratorIjlEEPS9_SG_NS0_5tupleIJPjSI_NS0_16reverse_iteratorISI_EEEEENSH_IJSG_SG_SG_EEES9_SI_JZNS1_25segmented_radix_sort_implINS0_14default_configELb1EPK12hip_bfloat16PSP_PKlPlN2at6native12_GLOBAL__N_18offset_tEEE10hipError_tPvRmT1_PNSt15iterator_traitsIS13_E10value_typeET2_T3_PNS14_IS19_E10value_typeET4_jRbjT5_S1F_jjP12ihipStream_tbEUljE_ZNSN_ISO_Lb1ESR_SS_SU_SV_SZ_EES10_S11_S12_S13_S17_S18_S19_S1C_S1D_jS1E_jS1F_S1F_jjS1H_bEUljE0_EEES10_S11_S12_S19_S1D_S1F_T6_T7_T9_mT8_S1H_bDpT10_ENKUlT_T0_E_clISt17integral_constantIbLb0EES1V_EEDaS1Q_S1R_EUlS1Q_E_NS1_11comp_targetILNS1_3genE0ELNS1_11target_archE4294967295ELNS1_3gpuE0ELNS1_3repE0EEENS1_30default_config_static_selectorELNS0_4arch9wavefront6targetE1EEEvS13_,"axG",@progbits,_ZN7rocprim17ROCPRIM_400000_NS6detail17trampoline_kernelINS0_13select_configILj256ELj13ELNS0_17block_load_methodE3ELS4_3ELS4_3ELNS0_20block_scan_algorithmE0ELj4294967295EEENS1_25partition_config_selectorILNS1_17partition_subalgoE4EjNS0_10empty_typeEbEEZZNS1_14partition_implILS8_4ELb0ES6_15HIP_vector_typeIjLj2EENS0_17counting_iteratorIjlEEPS9_SG_NS0_5tupleIJPjSI_NS0_16reverse_iteratorISI_EEEEENSH_IJSG_SG_SG_EEES9_SI_JZNS1_25segmented_radix_sort_implINS0_14default_configELb1EPK12hip_bfloat16PSP_PKlPlN2at6native12_GLOBAL__N_18offset_tEEE10hipError_tPvRmT1_PNSt15iterator_traitsIS13_E10value_typeET2_T3_PNS14_IS19_E10value_typeET4_jRbjT5_S1F_jjP12ihipStream_tbEUljE_ZNSN_ISO_Lb1ESR_SS_SU_SV_SZ_EES10_S11_S12_S13_S17_S18_S19_S1C_S1D_jS1E_jS1F_S1F_jjS1H_bEUljE0_EEES10_S11_S12_S19_S1D_S1F_T6_T7_T9_mT8_S1H_bDpT10_ENKUlT_T0_E_clISt17integral_constantIbLb0EES1V_EEDaS1Q_S1R_EUlS1Q_E_NS1_11comp_targetILNS1_3genE0ELNS1_11target_archE4294967295ELNS1_3gpuE0ELNS1_3repE0EEENS1_30default_config_static_selectorELNS0_4arch9wavefront6targetE1EEEvS13_,comdat
.Lfunc_end1880:
	.size	_ZN7rocprim17ROCPRIM_400000_NS6detail17trampoline_kernelINS0_13select_configILj256ELj13ELNS0_17block_load_methodE3ELS4_3ELS4_3ELNS0_20block_scan_algorithmE0ELj4294967295EEENS1_25partition_config_selectorILNS1_17partition_subalgoE4EjNS0_10empty_typeEbEEZZNS1_14partition_implILS8_4ELb0ES6_15HIP_vector_typeIjLj2EENS0_17counting_iteratorIjlEEPS9_SG_NS0_5tupleIJPjSI_NS0_16reverse_iteratorISI_EEEEENSH_IJSG_SG_SG_EEES9_SI_JZNS1_25segmented_radix_sort_implINS0_14default_configELb1EPK12hip_bfloat16PSP_PKlPlN2at6native12_GLOBAL__N_18offset_tEEE10hipError_tPvRmT1_PNSt15iterator_traitsIS13_E10value_typeET2_T3_PNS14_IS19_E10value_typeET4_jRbjT5_S1F_jjP12ihipStream_tbEUljE_ZNSN_ISO_Lb1ESR_SS_SU_SV_SZ_EES10_S11_S12_S13_S17_S18_S19_S1C_S1D_jS1E_jS1F_S1F_jjS1H_bEUljE0_EEES10_S11_S12_S19_S1D_S1F_T6_T7_T9_mT8_S1H_bDpT10_ENKUlT_T0_E_clISt17integral_constantIbLb0EES1V_EEDaS1Q_S1R_EUlS1Q_E_NS1_11comp_targetILNS1_3genE0ELNS1_11target_archE4294967295ELNS1_3gpuE0ELNS1_3repE0EEENS1_30default_config_static_selectorELNS0_4arch9wavefront6targetE1EEEvS13_, .Lfunc_end1880-_ZN7rocprim17ROCPRIM_400000_NS6detail17trampoline_kernelINS0_13select_configILj256ELj13ELNS0_17block_load_methodE3ELS4_3ELS4_3ELNS0_20block_scan_algorithmE0ELj4294967295EEENS1_25partition_config_selectorILNS1_17partition_subalgoE4EjNS0_10empty_typeEbEEZZNS1_14partition_implILS8_4ELb0ES6_15HIP_vector_typeIjLj2EENS0_17counting_iteratorIjlEEPS9_SG_NS0_5tupleIJPjSI_NS0_16reverse_iteratorISI_EEEEENSH_IJSG_SG_SG_EEES9_SI_JZNS1_25segmented_radix_sort_implINS0_14default_configELb1EPK12hip_bfloat16PSP_PKlPlN2at6native12_GLOBAL__N_18offset_tEEE10hipError_tPvRmT1_PNSt15iterator_traitsIS13_E10value_typeET2_T3_PNS14_IS19_E10value_typeET4_jRbjT5_S1F_jjP12ihipStream_tbEUljE_ZNSN_ISO_Lb1ESR_SS_SU_SV_SZ_EES10_S11_S12_S13_S17_S18_S19_S1C_S1D_jS1E_jS1F_S1F_jjS1H_bEUljE0_EEES10_S11_S12_S19_S1D_S1F_T6_T7_T9_mT8_S1H_bDpT10_ENKUlT_T0_E_clISt17integral_constantIbLb0EES1V_EEDaS1Q_S1R_EUlS1Q_E_NS1_11comp_targetILNS1_3genE0ELNS1_11target_archE4294967295ELNS1_3gpuE0ELNS1_3repE0EEENS1_30default_config_static_selectorELNS0_4arch9wavefront6targetE1EEEvS13_
                                        ; -- End function
	.section	.AMDGPU.csdata,"",@progbits
; Kernel info:
; codeLenInByte = 0
; NumSgprs: 4
; NumVgprs: 0
; NumAgprs: 0
; TotalNumVgprs: 0
; ScratchSize: 0
; MemoryBound: 0
; FloatMode: 240
; IeeeMode: 1
; LDSByteSize: 0 bytes/workgroup (compile time only)
; SGPRBlocks: 0
; VGPRBlocks: 0
; NumSGPRsForWavesPerEU: 4
; NumVGPRsForWavesPerEU: 1
; AccumOffset: 4
; Occupancy: 8
; WaveLimiterHint : 0
; COMPUTE_PGM_RSRC2:SCRATCH_EN: 0
; COMPUTE_PGM_RSRC2:USER_SGPR: 6
; COMPUTE_PGM_RSRC2:TRAP_HANDLER: 0
; COMPUTE_PGM_RSRC2:TGID_X_EN: 1
; COMPUTE_PGM_RSRC2:TGID_Y_EN: 0
; COMPUTE_PGM_RSRC2:TGID_Z_EN: 0
; COMPUTE_PGM_RSRC2:TIDIG_COMP_CNT: 0
; COMPUTE_PGM_RSRC3_GFX90A:ACCUM_OFFSET: 0
; COMPUTE_PGM_RSRC3_GFX90A:TG_SPLIT: 0
	.section	.text._ZN7rocprim17ROCPRIM_400000_NS6detail17trampoline_kernelINS0_13select_configILj256ELj13ELNS0_17block_load_methodE3ELS4_3ELS4_3ELNS0_20block_scan_algorithmE0ELj4294967295EEENS1_25partition_config_selectorILNS1_17partition_subalgoE4EjNS0_10empty_typeEbEEZZNS1_14partition_implILS8_4ELb0ES6_15HIP_vector_typeIjLj2EENS0_17counting_iteratorIjlEEPS9_SG_NS0_5tupleIJPjSI_NS0_16reverse_iteratorISI_EEEEENSH_IJSG_SG_SG_EEES9_SI_JZNS1_25segmented_radix_sort_implINS0_14default_configELb1EPK12hip_bfloat16PSP_PKlPlN2at6native12_GLOBAL__N_18offset_tEEE10hipError_tPvRmT1_PNSt15iterator_traitsIS13_E10value_typeET2_T3_PNS14_IS19_E10value_typeET4_jRbjT5_S1F_jjP12ihipStream_tbEUljE_ZNSN_ISO_Lb1ESR_SS_SU_SV_SZ_EES10_S11_S12_S13_S17_S18_S19_S1C_S1D_jS1E_jS1F_S1F_jjS1H_bEUljE0_EEES10_S11_S12_S19_S1D_S1F_T6_T7_T9_mT8_S1H_bDpT10_ENKUlT_T0_E_clISt17integral_constantIbLb0EES1V_EEDaS1Q_S1R_EUlS1Q_E_NS1_11comp_targetILNS1_3genE5ELNS1_11target_archE942ELNS1_3gpuE9ELNS1_3repE0EEENS1_30default_config_static_selectorELNS0_4arch9wavefront6targetE1EEEvS13_,"axG",@progbits,_ZN7rocprim17ROCPRIM_400000_NS6detail17trampoline_kernelINS0_13select_configILj256ELj13ELNS0_17block_load_methodE3ELS4_3ELS4_3ELNS0_20block_scan_algorithmE0ELj4294967295EEENS1_25partition_config_selectorILNS1_17partition_subalgoE4EjNS0_10empty_typeEbEEZZNS1_14partition_implILS8_4ELb0ES6_15HIP_vector_typeIjLj2EENS0_17counting_iteratorIjlEEPS9_SG_NS0_5tupleIJPjSI_NS0_16reverse_iteratorISI_EEEEENSH_IJSG_SG_SG_EEES9_SI_JZNS1_25segmented_radix_sort_implINS0_14default_configELb1EPK12hip_bfloat16PSP_PKlPlN2at6native12_GLOBAL__N_18offset_tEEE10hipError_tPvRmT1_PNSt15iterator_traitsIS13_E10value_typeET2_T3_PNS14_IS19_E10value_typeET4_jRbjT5_S1F_jjP12ihipStream_tbEUljE_ZNSN_ISO_Lb1ESR_SS_SU_SV_SZ_EES10_S11_S12_S13_S17_S18_S19_S1C_S1D_jS1E_jS1F_S1F_jjS1H_bEUljE0_EEES10_S11_S12_S19_S1D_S1F_T6_T7_T9_mT8_S1H_bDpT10_ENKUlT_T0_E_clISt17integral_constantIbLb0EES1V_EEDaS1Q_S1R_EUlS1Q_E_NS1_11comp_targetILNS1_3genE5ELNS1_11target_archE942ELNS1_3gpuE9ELNS1_3repE0EEENS1_30default_config_static_selectorELNS0_4arch9wavefront6targetE1EEEvS13_,comdat
	.globl	_ZN7rocprim17ROCPRIM_400000_NS6detail17trampoline_kernelINS0_13select_configILj256ELj13ELNS0_17block_load_methodE3ELS4_3ELS4_3ELNS0_20block_scan_algorithmE0ELj4294967295EEENS1_25partition_config_selectorILNS1_17partition_subalgoE4EjNS0_10empty_typeEbEEZZNS1_14partition_implILS8_4ELb0ES6_15HIP_vector_typeIjLj2EENS0_17counting_iteratorIjlEEPS9_SG_NS0_5tupleIJPjSI_NS0_16reverse_iteratorISI_EEEEENSH_IJSG_SG_SG_EEES9_SI_JZNS1_25segmented_radix_sort_implINS0_14default_configELb1EPK12hip_bfloat16PSP_PKlPlN2at6native12_GLOBAL__N_18offset_tEEE10hipError_tPvRmT1_PNSt15iterator_traitsIS13_E10value_typeET2_T3_PNS14_IS19_E10value_typeET4_jRbjT5_S1F_jjP12ihipStream_tbEUljE_ZNSN_ISO_Lb1ESR_SS_SU_SV_SZ_EES10_S11_S12_S13_S17_S18_S19_S1C_S1D_jS1E_jS1F_S1F_jjS1H_bEUljE0_EEES10_S11_S12_S19_S1D_S1F_T6_T7_T9_mT8_S1H_bDpT10_ENKUlT_T0_E_clISt17integral_constantIbLb0EES1V_EEDaS1Q_S1R_EUlS1Q_E_NS1_11comp_targetILNS1_3genE5ELNS1_11target_archE942ELNS1_3gpuE9ELNS1_3repE0EEENS1_30default_config_static_selectorELNS0_4arch9wavefront6targetE1EEEvS13_ ; -- Begin function _ZN7rocprim17ROCPRIM_400000_NS6detail17trampoline_kernelINS0_13select_configILj256ELj13ELNS0_17block_load_methodE3ELS4_3ELS4_3ELNS0_20block_scan_algorithmE0ELj4294967295EEENS1_25partition_config_selectorILNS1_17partition_subalgoE4EjNS0_10empty_typeEbEEZZNS1_14partition_implILS8_4ELb0ES6_15HIP_vector_typeIjLj2EENS0_17counting_iteratorIjlEEPS9_SG_NS0_5tupleIJPjSI_NS0_16reverse_iteratorISI_EEEEENSH_IJSG_SG_SG_EEES9_SI_JZNS1_25segmented_radix_sort_implINS0_14default_configELb1EPK12hip_bfloat16PSP_PKlPlN2at6native12_GLOBAL__N_18offset_tEEE10hipError_tPvRmT1_PNSt15iterator_traitsIS13_E10value_typeET2_T3_PNS14_IS19_E10value_typeET4_jRbjT5_S1F_jjP12ihipStream_tbEUljE_ZNSN_ISO_Lb1ESR_SS_SU_SV_SZ_EES10_S11_S12_S13_S17_S18_S19_S1C_S1D_jS1E_jS1F_S1F_jjS1H_bEUljE0_EEES10_S11_S12_S19_S1D_S1F_T6_T7_T9_mT8_S1H_bDpT10_ENKUlT_T0_E_clISt17integral_constantIbLb0EES1V_EEDaS1Q_S1R_EUlS1Q_E_NS1_11comp_targetILNS1_3genE5ELNS1_11target_archE942ELNS1_3gpuE9ELNS1_3repE0EEENS1_30default_config_static_selectorELNS0_4arch9wavefront6targetE1EEEvS13_
	.p2align	8
	.type	_ZN7rocprim17ROCPRIM_400000_NS6detail17trampoline_kernelINS0_13select_configILj256ELj13ELNS0_17block_load_methodE3ELS4_3ELS4_3ELNS0_20block_scan_algorithmE0ELj4294967295EEENS1_25partition_config_selectorILNS1_17partition_subalgoE4EjNS0_10empty_typeEbEEZZNS1_14partition_implILS8_4ELb0ES6_15HIP_vector_typeIjLj2EENS0_17counting_iteratorIjlEEPS9_SG_NS0_5tupleIJPjSI_NS0_16reverse_iteratorISI_EEEEENSH_IJSG_SG_SG_EEES9_SI_JZNS1_25segmented_radix_sort_implINS0_14default_configELb1EPK12hip_bfloat16PSP_PKlPlN2at6native12_GLOBAL__N_18offset_tEEE10hipError_tPvRmT1_PNSt15iterator_traitsIS13_E10value_typeET2_T3_PNS14_IS19_E10value_typeET4_jRbjT5_S1F_jjP12ihipStream_tbEUljE_ZNSN_ISO_Lb1ESR_SS_SU_SV_SZ_EES10_S11_S12_S13_S17_S18_S19_S1C_S1D_jS1E_jS1F_S1F_jjS1H_bEUljE0_EEES10_S11_S12_S19_S1D_S1F_T6_T7_T9_mT8_S1H_bDpT10_ENKUlT_T0_E_clISt17integral_constantIbLb0EES1V_EEDaS1Q_S1R_EUlS1Q_E_NS1_11comp_targetILNS1_3genE5ELNS1_11target_archE942ELNS1_3gpuE9ELNS1_3repE0EEENS1_30default_config_static_selectorELNS0_4arch9wavefront6targetE1EEEvS13_,@function
_ZN7rocprim17ROCPRIM_400000_NS6detail17trampoline_kernelINS0_13select_configILj256ELj13ELNS0_17block_load_methodE3ELS4_3ELS4_3ELNS0_20block_scan_algorithmE0ELj4294967295EEENS1_25partition_config_selectorILNS1_17partition_subalgoE4EjNS0_10empty_typeEbEEZZNS1_14partition_implILS8_4ELb0ES6_15HIP_vector_typeIjLj2EENS0_17counting_iteratorIjlEEPS9_SG_NS0_5tupleIJPjSI_NS0_16reverse_iteratorISI_EEEEENSH_IJSG_SG_SG_EEES9_SI_JZNS1_25segmented_radix_sort_implINS0_14default_configELb1EPK12hip_bfloat16PSP_PKlPlN2at6native12_GLOBAL__N_18offset_tEEE10hipError_tPvRmT1_PNSt15iterator_traitsIS13_E10value_typeET2_T3_PNS14_IS19_E10value_typeET4_jRbjT5_S1F_jjP12ihipStream_tbEUljE_ZNSN_ISO_Lb1ESR_SS_SU_SV_SZ_EES10_S11_S12_S13_S17_S18_S19_S1C_S1D_jS1E_jS1F_S1F_jjS1H_bEUljE0_EEES10_S11_S12_S19_S1D_S1F_T6_T7_T9_mT8_S1H_bDpT10_ENKUlT_T0_E_clISt17integral_constantIbLb0EES1V_EEDaS1Q_S1R_EUlS1Q_E_NS1_11comp_targetILNS1_3genE5ELNS1_11target_archE942ELNS1_3gpuE9ELNS1_3repE0EEENS1_30default_config_static_selectorELNS0_4arch9wavefront6targetE1EEEvS13_: ; @_ZN7rocprim17ROCPRIM_400000_NS6detail17trampoline_kernelINS0_13select_configILj256ELj13ELNS0_17block_load_methodE3ELS4_3ELS4_3ELNS0_20block_scan_algorithmE0ELj4294967295EEENS1_25partition_config_selectorILNS1_17partition_subalgoE4EjNS0_10empty_typeEbEEZZNS1_14partition_implILS8_4ELb0ES6_15HIP_vector_typeIjLj2EENS0_17counting_iteratorIjlEEPS9_SG_NS0_5tupleIJPjSI_NS0_16reverse_iteratorISI_EEEEENSH_IJSG_SG_SG_EEES9_SI_JZNS1_25segmented_radix_sort_implINS0_14default_configELb1EPK12hip_bfloat16PSP_PKlPlN2at6native12_GLOBAL__N_18offset_tEEE10hipError_tPvRmT1_PNSt15iterator_traitsIS13_E10value_typeET2_T3_PNS14_IS19_E10value_typeET4_jRbjT5_S1F_jjP12ihipStream_tbEUljE_ZNSN_ISO_Lb1ESR_SS_SU_SV_SZ_EES10_S11_S12_S13_S17_S18_S19_S1C_S1D_jS1E_jS1F_S1F_jjS1H_bEUljE0_EEES10_S11_S12_S19_S1D_S1F_T6_T7_T9_mT8_S1H_bDpT10_ENKUlT_T0_E_clISt17integral_constantIbLb0EES1V_EEDaS1Q_S1R_EUlS1Q_E_NS1_11comp_targetILNS1_3genE5ELNS1_11target_archE942ELNS1_3gpuE9ELNS1_3repE0EEENS1_30default_config_static_selectorELNS0_4arch9wavefront6targetE1EEEvS13_
; %bb.0:
	.section	.rodata,"a",@progbits
	.p2align	6, 0x0
	.amdhsa_kernel _ZN7rocprim17ROCPRIM_400000_NS6detail17trampoline_kernelINS0_13select_configILj256ELj13ELNS0_17block_load_methodE3ELS4_3ELS4_3ELNS0_20block_scan_algorithmE0ELj4294967295EEENS1_25partition_config_selectorILNS1_17partition_subalgoE4EjNS0_10empty_typeEbEEZZNS1_14partition_implILS8_4ELb0ES6_15HIP_vector_typeIjLj2EENS0_17counting_iteratorIjlEEPS9_SG_NS0_5tupleIJPjSI_NS0_16reverse_iteratorISI_EEEEENSH_IJSG_SG_SG_EEES9_SI_JZNS1_25segmented_radix_sort_implINS0_14default_configELb1EPK12hip_bfloat16PSP_PKlPlN2at6native12_GLOBAL__N_18offset_tEEE10hipError_tPvRmT1_PNSt15iterator_traitsIS13_E10value_typeET2_T3_PNS14_IS19_E10value_typeET4_jRbjT5_S1F_jjP12ihipStream_tbEUljE_ZNSN_ISO_Lb1ESR_SS_SU_SV_SZ_EES10_S11_S12_S13_S17_S18_S19_S1C_S1D_jS1E_jS1F_S1F_jjS1H_bEUljE0_EEES10_S11_S12_S19_S1D_S1F_T6_T7_T9_mT8_S1H_bDpT10_ENKUlT_T0_E_clISt17integral_constantIbLb0EES1V_EEDaS1Q_S1R_EUlS1Q_E_NS1_11comp_targetILNS1_3genE5ELNS1_11target_archE942ELNS1_3gpuE9ELNS1_3repE0EEENS1_30default_config_static_selectorELNS0_4arch9wavefront6targetE1EEEvS13_
		.amdhsa_group_segment_fixed_size 0
		.amdhsa_private_segment_fixed_size 0
		.amdhsa_kernarg_size 176
		.amdhsa_user_sgpr_count 6
		.amdhsa_user_sgpr_private_segment_buffer 1
		.amdhsa_user_sgpr_dispatch_ptr 0
		.amdhsa_user_sgpr_queue_ptr 0
		.amdhsa_user_sgpr_kernarg_segment_ptr 1
		.amdhsa_user_sgpr_dispatch_id 0
		.amdhsa_user_sgpr_flat_scratch_init 0
		.amdhsa_user_sgpr_kernarg_preload_length 0
		.amdhsa_user_sgpr_kernarg_preload_offset 0
		.amdhsa_user_sgpr_private_segment_size 0
		.amdhsa_uses_dynamic_stack 0
		.amdhsa_system_sgpr_private_segment_wavefront_offset 0
		.amdhsa_system_sgpr_workgroup_id_x 1
		.amdhsa_system_sgpr_workgroup_id_y 0
		.amdhsa_system_sgpr_workgroup_id_z 0
		.amdhsa_system_sgpr_workgroup_info 0
		.amdhsa_system_vgpr_workitem_id 0
		.amdhsa_next_free_vgpr 1
		.amdhsa_next_free_sgpr 0
		.amdhsa_accum_offset 4
		.amdhsa_reserve_vcc 0
		.amdhsa_reserve_flat_scratch 0
		.amdhsa_float_round_mode_32 0
		.amdhsa_float_round_mode_16_64 0
		.amdhsa_float_denorm_mode_32 3
		.amdhsa_float_denorm_mode_16_64 3
		.amdhsa_dx10_clamp 1
		.amdhsa_ieee_mode 1
		.amdhsa_fp16_overflow 0
		.amdhsa_tg_split 0
		.amdhsa_exception_fp_ieee_invalid_op 0
		.amdhsa_exception_fp_denorm_src 0
		.amdhsa_exception_fp_ieee_div_zero 0
		.amdhsa_exception_fp_ieee_overflow 0
		.amdhsa_exception_fp_ieee_underflow 0
		.amdhsa_exception_fp_ieee_inexact 0
		.amdhsa_exception_int_div_zero 0
	.end_amdhsa_kernel
	.section	.text._ZN7rocprim17ROCPRIM_400000_NS6detail17trampoline_kernelINS0_13select_configILj256ELj13ELNS0_17block_load_methodE3ELS4_3ELS4_3ELNS0_20block_scan_algorithmE0ELj4294967295EEENS1_25partition_config_selectorILNS1_17partition_subalgoE4EjNS0_10empty_typeEbEEZZNS1_14partition_implILS8_4ELb0ES6_15HIP_vector_typeIjLj2EENS0_17counting_iteratorIjlEEPS9_SG_NS0_5tupleIJPjSI_NS0_16reverse_iteratorISI_EEEEENSH_IJSG_SG_SG_EEES9_SI_JZNS1_25segmented_radix_sort_implINS0_14default_configELb1EPK12hip_bfloat16PSP_PKlPlN2at6native12_GLOBAL__N_18offset_tEEE10hipError_tPvRmT1_PNSt15iterator_traitsIS13_E10value_typeET2_T3_PNS14_IS19_E10value_typeET4_jRbjT5_S1F_jjP12ihipStream_tbEUljE_ZNSN_ISO_Lb1ESR_SS_SU_SV_SZ_EES10_S11_S12_S13_S17_S18_S19_S1C_S1D_jS1E_jS1F_S1F_jjS1H_bEUljE0_EEES10_S11_S12_S19_S1D_S1F_T6_T7_T9_mT8_S1H_bDpT10_ENKUlT_T0_E_clISt17integral_constantIbLb0EES1V_EEDaS1Q_S1R_EUlS1Q_E_NS1_11comp_targetILNS1_3genE5ELNS1_11target_archE942ELNS1_3gpuE9ELNS1_3repE0EEENS1_30default_config_static_selectorELNS0_4arch9wavefront6targetE1EEEvS13_,"axG",@progbits,_ZN7rocprim17ROCPRIM_400000_NS6detail17trampoline_kernelINS0_13select_configILj256ELj13ELNS0_17block_load_methodE3ELS4_3ELS4_3ELNS0_20block_scan_algorithmE0ELj4294967295EEENS1_25partition_config_selectorILNS1_17partition_subalgoE4EjNS0_10empty_typeEbEEZZNS1_14partition_implILS8_4ELb0ES6_15HIP_vector_typeIjLj2EENS0_17counting_iteratorIjlEEPS9_SG_NS0_5tupleIJPjSI_NS0_16reverse_iteratorISI_EEEEENSH_IJSG_SG_SG_EEES9_SI_JZNS1_25segmented_radix_sort_implINS0_14default_configELb1EPK12hip_bfloat16PSP_PKlPlN2at6native12_GLOBAL__N_18offset_tEEE10hipError_tPvRmT1_PNSt15iterator_traitsIS13_E10value_typeET2_T3_PNS14_IS19_E10value_typeET4_jRbjT5_S1F_jjP12ihipStream_tbEUljE_ZNSN_ISO_Lb1ESR_SS_SU_SV_SZ_EES10_S11_S12_S13_S17_S18_S19_S1C_S1D_jS1E_jS1F_S1F_jjS1H_bEUljE0_EEES10_S11_S12_S19_S1D_S1F_T6_T7_T9_mT8_S1H_bDpT10_ENKUlT_T0_E_clISt17integral_constantIbLb0EES1V_EEDaS1Q_S1R_EUlS1Q_E_NS1_11comp_targetILNS1_3genE5ELNS1_11target_archE942ELNS1_3gpuE9ELNS1_3repE0EEENS1_30default_config_static_selectorELNS0_4arch9wavefront6targetE1EEEvS13_,comdat
.Lfunc_end1881:
	.size	_ZN7rocprim17ROCPRIM_400000_NS6detail17trampoline_kernelINS0_13select_configILj256ELj13ELNS0_17block_load_methodE3ELS4_3ELS4_3ELNS0_20block_scan_algorithmE0ELj4294967295EEENS1_25partition_config_selectorILNS1_17partition_subalgoE4EjNS0_10empty_typeEbEEZZNS1_14partition_implILS8_4ELb0ES6_15HIP_vector_typeIjLj2EENS0_17counting_iteratorIjlEEPS9_SG_NS0_5tupleIJPjSI_NS0_16reverse_iteratorISI_EEEEENSH_IJSG_SG_SG_EEES9_SI_JZNS1_25segmented_radix_sort_implINS0_14default_configELb1EPK12hip_bfloat16PSP_PKlPlN2at6native12_GLOBAL__N_18offset_tEEE10hipError_tPvRmT1_PNSt15iterator_traitsIS13_E10value_typeET2_T3_PNS14_IS19_E10value_typeET4_jRbjT5_S1F_jjP12ihipStream_tbEUljE_ZNSN_ISO_Lb1ESR_SS_SU_SV_SZ_EES10_S11_S12_S13_S17_S18_S19_S1C_S1D_jS1E_jS1F_S1F_jjS1H_bEUljE0_EEES10_S11_S12_S19_S1D_S1F_T6_T7_T9_mT8_S1H_bDpT10_ENKUlT_T0_E_clISt17integral_constantIbLb0EES1V_EEDaS1Q_S1R_EUlS1Q_E_NS1_11comp_targetILNS1_3genE5ELNS1_11target_archE942ELNS1_3gpuE9ELNS1_3repE0EEENS1_30default_config_static_selectorELNS0_4arch9wavefront6targetE1EEEvS13_, .Lfunc_end1881-_ZN7rocprim17ROCPRIM_400000_NS6detail17trampoline_kernelINS0_13select_configILj256ELj13ELNS0_17block_load_methodE3ELS4_3ELS4_3ELNS0_20block_scan_algorithmE0ELj4294967295EEENS1_25partition_config_selectorILNS1_17partition_subalgoE4EjNS0_10empty_typeEbEEZZNS1_14partition_implILS8_4ELb0ES6_15HIP_vector_typeIjLj2EENS0_17counting_iteratorIjlEEPS9_SG_NS0_5tupleIJPjSI_NS0_16reverse_iteratorISI_EEEEENSH_IJSG_SG_SG_EEES9_SI_JZNS1_25segmented_radix_sort_implINS0_14default_configELb1EPK12hip_bfloat16PSP_PKlPlN2at6native12_GLOBAL__N_18offset_tEEE10hipError_tPvRmT1_PNSt15iterator_traitsIS13_E10value_typeET2_T3_PNS14_IS19_E10value_typeET4_jRbjT5_S1F_jjP12ihipStream_tbEUljE_ZNSN_ISO_Lb1ESR_SS_SU_SV_SZ_EES10_S11_S12_S13_S17_S18_S19_S1C_S1D_jS1E_jS1F_S1F_jjS1H_bEUljE0_EEES10_S11_S12_S19_S1D_S1F_T6_T7_T9_mT8_S1H_bDpT10_ENKUlT_T0_E_clISt17integral_constantIbLb0EES1V_EEDaS1Q_S1R_EUlS1Q_E_NS1_11comp_targetILNS1_3genE5ELNS1_11target_archE942ELNS1_3gpuE9ELNS1_3repE0EEENS1_30default_config_static_selectorELNS0_4arch9wavefront6targetE1EEEvS13_
                                        ; -- End function
	.section	.AMDGPU.csdata,"",@progbits
; Kernel info:
; codeLenInByte = 0
; NumSgprs: 4
; NumVgprs: 0
; NumAgprs: 0
; TotalNumVgprs: 0
; ScratchSize: 0
; MemoryBound: 0
; FloatMode: 240
; IeeeMode: 1
; LDSByteSize: 0 bytes/workgroup (compile time only)
; SGPRBlocks: 0
; VGPRBlocks: 0
; NumSGPRsForWavesPerEU: 4
; NumVGPRsForWavesPerEU: 1
; AccumOffset: 4
; Occupancy: 8
; WaveLimiterHint : 0
; COMPUTE_PGM_RSRC2:SCRATCH_EN: 0
; COMPUTE_PGM_RSRC2:USER_SGPR: 6
; COMPUTE_PGM_RSRC2:TRAP_HANDLER: 0
; COMPUTE_PGM_RSRC2:TGID_X_EN: 1
; COMPUTE_PGM_RSRC2:TGID_Y_EN: 0
; COMPUTE_PGM_RSRC2:TGID_Z_EN: 0
; COMPUTE_PGM_RSRC2:TIDIG_COMP_CNT: 0
; COMPUTE_PGM_RSRC3_GFX90A:ACCUM_OFFSET: 0
; COMPUTE_PGM_RSRC3_GFX90A:TG_SPLIT: 0
	.section	.text._ZN7rocprim17ROCPRIM_400000_NS6detail17trampoline_kernelINS0_13select_configILj256ELj13ELNS0_17block_load_methodE3ELS4_3ELS4_3ELNS0_20block_scan_algorithmE0ELj4294967295EEENS1_25partition_config_selectorILNS1_17partition_subalgoE4EjNS0_10empty_typeEbEEZZNS1_14partition_implILS8_4ELb0ES6_15HIP_vector_typeIjLj2EENS0_17counting_iteratorIjlEEPS9_SG_NS0_5tupleIJPjSI_NS0_16reverse_iteratorISI_EEEEENSH_IJSG_SG_SG_EEES9_SI_JZNS1_25segmented_radix_sort_implINS0_14default_configELb1EPK12hip_bfloat16PSP_PKlPlN2at6native12_GLOBAL__N_18offset_tEEE10hipError_tPvRmT1_PNSt15iterator_traitsIS13_E10value_typeET2_T3_PNS14_IS19_E10value_typeET4_jRbjT5_S1F_jjP12ihipStream_tbEUljE_ZNSN_ISO_Lb1ESR_SS_SU_SV_SZ_EES10_S11_S12_S13_S17_S18_S19_S1C_S1D_jS1E_jS1F_S1F_jjS1H_bEUljE0_EEES10_S11_S12_S19_S1D_S1F_T6_T7_T9_mT8_S1H_bDpT10_ENKUlT_T0_E_clISt17integral_constantIbLb0EES1V_EEDaS1Q_S1R_EUlS1Q_E_NS1_11comp_targetILNS1_3genE4ELNS1_11target_archE910ELNS1_3gpuE8ELNS1_3repE0EEENS1_30default_config_static_selectorELNS0_4arch9wavefront6targetE1EEEvS13_,"axG",@progbits,_ZN7rocprim17ROCPRIM_400000_NS6detail17trampoline_kernelINS0_13select_configILj256ELj13ELNS0_17block_load_methodE3ELS4_3ELS4_3ELNS0_20block_scan_algorithmE0ELj4294967295EEENS1_25partition_config_selectorILNS1_17partition_subalgoE4EjNS0_10empty_typeEbEEZZNS1_14partition_implILS8_4ELb0ES6_15HIP_vector_typeIjLj2EENS0_17counting_iteratorIjlEEPS9_SG_NS0_5tupleIJPjSI_NS0_16reverse_iteratorISI_EEEEENSH_IJSG_SG_SG_EEES9_SI_JZNS1_25segmented_radix_sort_implINS0_14default_configELb1EPK12hip_bfloat16PSP_PKlPlN2at6native12_GLOBAL__N_18offset_tEEE10hipError_tPvRmT1_PNSt15iterator_traitsIS13_E10value_typeET2_T3_PNS14_IS19_E10value_typeET4_jRbjT5_S1F_jjP12ihipStream_tbEUljE_ZNSN_ISO_Lb1ESR_SS_SU_SV_SZ_EES10_S11_S12_S13_S17_S18_S19_S1C_S1D_jS1E_jS1F_S1F_jjS1H_bEUljE0_EEES10_S11_S12_S19_S1D_S1F_T6_T7_T9_mT8_S1H_bDpT10_ENKUlT_T0_E_clISt17integral_constantIbLb0EES1V_EEDaS1Q_S1R_EUlS1Q_E_NS1_11comp_targetILNS1_3genE4ELNS1_11target_archE910ELNS1_3gpuE8ELNS1_3repE0EEENS1_30default_config_static_selectorELNS0_4arch9wavefront6targetE1EEEvS13_,comdat
	.globl	_ZN7rocprim17ROCPRIM_400000_NS6detail17trampoline_kernelINS0_13select_configILj256ELj13ELNS0_17block_load_methodE3ELS4_3ELS4_3ELNS0_20block_scan_algorithmE0ELj4294967295EEENS1_25partition_config_selectorILNS1_17partition_subalgoE4EjNS0_10empty_typeEbEEZZNS1_14partition_implILS8_4ELb0ES6_15HIP_vector_typeIjLj2EENS0_17counting_iteratorIjlEEPS9_SG_NS0_5tupleIJPjSI_NS0_16reverse_iteratorISI_EEEEENSH_IJSG_SG_SG_EEES9_SI_JZNS1_25segmented_radix_sort_implINS0_14default_configELb1EPK12hip_bfloat16PSP_PKlPlN2at6native12_GLOBAL__N_18offset_tEEE10hipError_tPvRmT1_PNSt15iterator_traitsIS13_E10value_typeET2_T3_PNS14_IS19_E10value_typeET4_jRbjT5_S1F_jjP12ihipStream_tbEUljE_ZNSN_ISO_Lb1ESR_SS_SU_SV_SZ_EES10_S11_S12_S13_S17_S18_S19_S1C_S1D_jS1E_jS1F_S1F_jjS1H_bEUljE0_EEES10_S11_S12_S19_S1D_S1F_T6_T7_T9_mT8_S1H_bDpT10_ENKUlT_T0_E_clISt17integral_constantIbLb0EES1V_EEDaS1Q_S1R_EUlS1Q_E_NS1_11comp_targetILNS1_3genE4ELNS1_11target_archE910ELNS1_3gpuE8ELNS1_3repE0EEENS1_30default_config_static_selectorELNS0_4arch9wavefront6targetE1EEEvS13_ ; -- Begin function _ZN7rocprim17ROCPRIM_400000_NS6detail17trampoline_kernelINS0_13select_configILj256ELj13ELNS0_17block_load_methodE3ELS4_3ELS4_3ELNS0_20block_scan_algorithmE0ELj4294967295EEENS1_25partition_config_selectorILNS1_17partition_subalgoE4EjNS0_10empty_typeEbEEZZNS1_14partition_implILS8_4ELb0ES6_15HIP_vector_typeIjLj2EENS0_17counting_iteratorIjlEEPS9_SG_NS0_5tupleIJPjSI_NS0_16reverse_iteratorISI_EEEEENSH_IJSG_SG_SG_EEES9_SI_JZNS1_25segmented_radix_sort_implINS0_14default_configELb1EPK12hip_bfloat16PSP_PKlPlN2at6native12_GLOBAL__N_18offset_tEEE10hipError_tPvRmT1_PNSt15iterator_traitsIS13_E10value_typeET2_T3_PNS14_IS19_E10value_typeET4_jRbjT5_S1F_jjP12ihipStream_tbEUljE_ZNSN_ISO_Lb1ESR_SS_SU_SV_SZ_EES10_S11_S12_S13_S17_S18_S19_S1C_S1D_jS1E_jS1F_S1F_jjS1H_bEUljE0_EEES10_S11_S12_S19_S1D_S1F_T6_T7_T9_mT8_S1H_bDpT10_ENKUlT_T0_E_clISt17integral_constantIbLb0EES1V_EEDaS1Q_S1R_EUlS1Q_E_NS1_11comp_targetILNS1_3genE4ELNS1_11target_archE910ELNS1_3gpuE8ELNS1_3repE0EEENS1_30default_config_static_selectorELNS0_4arch9wavefront6targetE1EEEvS13_
	.p2align	8
	.type	_ZN7rocprim17ROCPRIM_400000_NS6detail17trampoline_kernelINS0_13select_configILj256ELj13ELNS0_17block_load_methodE3ELS4_3ELS4_3ELNS0_20block_scan_algorithmE0ELj4294967295EEENS1_25partition_config_selectorILNS1_17partition_subalgoE4EjNS0_10empty_typeEbEEZZNS1_14partition_implILS8_4ELb0ES6_15HIP_vector_typeIjLj2EENS0_17counting_iteratorIjlEEPS9_SG_NS0_5tupleIJPjSI_NS0_16reverse_iteratorISI_EEEEENSH_IJSG_SG_SG_EEES9_SI_JZNS1_25segmented_radix_sort_implINS0_14default_configELb1EPK12hip_bfloat16PSP_PKlPlN2at6native12_GLOBAL__N_18offset_tEEE10hipError_tPvRmT1_PNSt15iterator_traitsIS13_E10value_typeET2_T3_PNS14_IS19_E10value_typeET4_jRbjT5_S1F_jjP12ihipStream_tbEUljE_ZNSN_ISO_Lb1ESR_SS_SU_SV_SZ_EES10_S11_S12_S13_S17_S18_S19_S1C_S1D_jS1E_jS1F_S1F_jjS1H_bEUljE0_EEES10_S11_S12_S19_S1D_S1F_T6_T7_T9_mT8_S1H_bDpT10_ENKUlT_T0_E_clISt17integral_constantIbLb0EES1V_EEDaS1Q_S1R_EUlS1Q_E_NS1_11comp_targetILNS1_3genE4ELNS1_11target_archE910ELNS1_3gpuE8ELNS1_3repE0EEENS1_30default_config_static_selectorELNS0_4arch9wavefront6targetE1EEEvS13_,@function
_ZN7rocprim17ROCPRIM_400000_NS6detail17trampoline_kernelINS0_13select_configILj256ELj13ELNS0_17block_load_methodE3ELS4_3ELS4_3ELNS0_20block_scan_algorithmE0ELj4294967295EEENS1_25partition_config_selectorILNS1_17partition_subalgoE4EjNS0_10empty_typeEbEEZZNS1_14partition_implILS8_4ELb0ES6_15HIP_vector_typeIjLj2EENS0_17counting_iteratorIjlEEPS9_SG_NS0_5tupleIJPjSI_NS0_16reverse_iteratorISI_EEEEENSH_IJSG_SG_SG_EEES9_SI_JZNS1_25segmented_radix_sort_implINS0_14default_configELb1EPK12hip_bfloat16PSP_PKlPlN2at6native12_GLOBAL__N_18offset_tEEE10hipError_tPvRmT1_PNSt15iterator_traitsIS13_E10value_typeET2_T3_PNS14_IS19_E10value_typeET4_jRbjT5_S1F_jjP12ihipStream_tbEUljE_ZNSN_ISO_Lb1ESR_SS_SU_SV_SZ_EES10_S11_S12_S13_S17_S18_S19_S1C_S1D_jS1E_jS1F_S1F_jjS1H_bEUljE0_EEES10_S11_S12_S19_S1D_S1F_T6_T7_T9_mT8_S1H_bDpT10_ENKUlT_T0_E_clISt17integral_constantIbLb0EES1V_EEDaS1Q_S1R_EUlS1Q_E_NS1_11comp_targetILNS1_3genE4ELNS1_11target_archE910ELNS1_3gpuE8ELNS1_3repE0EEENS1_30default_config_static_selectorELNS0_4arch9wavefront6targetE1EEEvS13_: ; @_ZN7rocprim17ROCPRIM_400000_NS6detail17trampoline_kernelINS0_13select_configILj256ELj13ELNS0_17block_load_methodE3ELS4_3ELS4_3ELNS0_20block_scan_algorithmE0ELj4294967295EEENS1_25partition_config_selectorILNS1_17partition_subalgoE4EjNS0_10empty_typeEbEEZZNS1_14partition_implILS8_4ELb0ES6_15HIP_vector_typeIjLj2EENS0_17counting_iteratorIjlEEPS9_SG_NS0_5tupleIJPjSI_NS0_16reverse_iteratorISI_EEEEENSH_IJSG_SG_SG_EEES9_SI_JZNS1_25segmented_radix_sort_implINS0_14default_configELb1EPK12hip_bfloat16PSP_PKlPlN2at6native12_GLOBAL__N_18offset_tEEE10hipError_tPvRmT1_PNSt15iterator_traitsIS13_E10value_typeET2_T3_PNS14_IS19_E10value_typeET4_jRbjT5_S1F_jjP12ihipStream_tbEUljE_ZNSN_ISO_Lb1ESR_SS_SU_SV_SZ_EES10_S11_S12_S13_S17_S18_S19_S1C_S1D_jS1E_jS1F_S1F_jjS1H_bEUljE0_EEES10_S11_S12_S19_S1D_S1F_T6_T7_T9_mT8_S1H_bDpT10_ENKUlT_T0_E_clISt17integral_constantIbLb0EES1V_EEDaS1Q_S1R_EUlS1Q_E_NS1_11comp_targetILNS1_3genE4ELNS1_11target_archE910ELNS1_3gpuE8ELNS1_3repE0EEENS1_30default_config_static_selectorELNS0_4arch9wavefront6targetE1EEEvS13_
; %bb.0:
	s_load_dwordx2 s[0:1], s[4:5], 0x68
	s_load_dword s7, s[4:5], 0x8
	s_load_dwordx2 s[56:57], s[4:5], 0x10
	s_load_dwordx4 s[44:47], s[4:5], 0x58
	s_mul_i32 s33, s6, 0xd00
	s_waitcnt lgkmcnt(0)
	v_mov_b32_e32 v3, s1
	v_mov_b32_e32 v2, s0
	s_load_dword s1, s[4:5], 0x80
	s_load_dwordx2 s[60:61], s[4:5], 0xa8
	s_load_dwordx8 s[36:43], s[4:5], 0x88
	s_load_dwordx4 s[48:51], s[46:47], 0x0
	s_waitcnt lgkmcnt(0)
	s_add_i32 s8, s1, -1
	s_mulk_i32 s1, 0xd00
	s_add_u32 s2, s56, s1
	s_addc_u32 s3, s57, 0
	s_cmp_eq_u32 s6, s8
	s_cselect_b64 s[30:31], -1, 0
	s_cmp_lg_u32 s6, s8
	v_cmp_lt_u64_e32 vcc, s[2:3], v[2:3]
	s_cselect_b64 s[2:3], -1, 0
	s_add_i32 s7, s7, s33
	s_or_b64 s[2:3], s[2:3], vcc
	s_add_i32 s7, s7, s56
	v_add_u32_e32 v1, s7, v0
	s_mov_b64 s[8:9], -1
	s_and_b64 vcc, exec, s[2:3]
	s_cbranch_vccz .LBB1882_2
; %bb.1:
	v_add_u32_e32 v2, 0x100, v1
	v_lshlrev_b32_e32 v14, 2, v0
	v_add_u32_e32 v3, 0x200, v1
	v_add_u32_e32 v4, 0x300, v1
	;; [unrolled: 1-line block ×11, first 2 shown]
	ds_write2st64_b32 v14, v1, v2 offset1:4
	ds_write2st64_b32 v14, v3, v4 offset0:8 offset1:12
	ds_write2st64_b32 v14, v5, v6 offset0:16 offset1:20
	;; [unrolled: 1-line block ×5, first 2 shown]
	ds_write_b32 v14, v13 offset:12288
	s_waitcnt lgkmcnt(0)
	s_barrier
	s_mov_b64 s[8:9], 0
.LBB1882_2:
	s_andn2_b64 vcc, exec, s[8:9]
	s_add_i32 s1, s1, s56
	s_cbranch_vccnz .LBB1882_4
; %bb.3:
	v_add_u32_e32 v2, 0x100, v1
	v_lshlrev_b32_e32 v14, 2, v0
	v_add_u32_e32 v3, 0x200, v1
	v_add_u32_e32 v4, 0x300, v1
	;; [unrolled: 1-line block ×11, first 2 shown]
	ds_write2st64_b32 v14, v1, v2 offset1:4
	ds_write2st64_b32 v14, v3, v4 offset0:8 offset1:12
	ds_write2st64_b32 v14, v5, v6 offset0:16 offset1:20
	;; [unrolled: 1-line block ×5, first 2 shown]
	ds_write_b32 v14, v13 offset:12288
	s_waitcnt lgkmcnt(0)
	s_barrier
.LBB1882_4:
	v_mul_u32_u24_e32 v31, 13, v0
	v_lshlrev_b32_e32 v1, 2, v31
	s_load_dwordx4 s[52:55], s[4:5], 0x28
	s_load_dwordx2 s[34:35], s[4:5], 0x38
	s_waitcnt lgkmcnt(0)
	ds_read2_b32 v[18:19], v1 offset1:1
	ds_read2_b32 v[16:17], v1 offset0:2 offset1:3
	ds_read2_b32 v[14:15], v1 offset0:4 offset1:5
	;; [unrolled: 1-line block ×5, first 2 shown]
	ds_read_b32 v30, v1 offset:48
	v_cndmask_b32_e64 v1, 0, 1, s[2:3]
	s_sub_i32 s7, s0, s1
	v_cmp_ne_u32_e64 s[0:1], 1, v1
	s_andn2_b64 vcc, exec, s[2:3]
	s_waitcnt lgkmcnt(0)
	s_barrier
	s_cbranch_vccnz .LBB1882_32
; %bb.5:
	v_add_u32_e32 v1, s37, v18
	v_add_u32_e32 v2, s39, v18
	v_mul_lo_u32 v1, v1, s36
	v_mul_lo_u32 v2, v2, s38
	v_sub_u32_e32 v1, v1, v2
	v_cmp_lt_u32_e32 vcc, s40, v1
	v_cmp_ge_u32_e64 s[2:3], s40, v1
	s_mov_b64 s[64:65], 0
	s_mov_b64 s[62:63], 0
	s_and_saveexec_b64 s[8:9], s[2:3]
; %bb.6:
	v_add_u32_e32 v1, s42, v18
	v_add_u32_e32 v2, s60, v18
	v_mul_lo_u32 v1, v1, s41
	v_mul_lo_u32 v2, v2, s43
	v_sub_u32_e32 v1, v1, v2
	v_cmp_lt_u32_e64 s[2:3], s61, v1
	s_and_b64 s[62:63], s[2:3], exec
; %bb.7:
	s_or_b64 exec, exec, s[8:9]
	v_add_u32_e32 v1, s37, v19
	v_add_u32_e32 v2, s39, v19
	v_mul_lo_u32 v1, v1, s36
	v_mul_lo_u32 v2, v2, s38
	v_sub_u32_e32 v1, v1, v2
	v_cmp_lt_u32_e64 s[2:3], s40, v1
	v_cmp_ge_u32_e64 s[8:9], s40, v1
	s_and_saveexec_b64 s[10:11], s[8:9]
; %bb.8:
	v_add_u32_e32 v1, s42, v19
	v_add_u32_e32 v2, s60, v19
	v_mul_lo_u32 v1, v1, s41
	v_mul_lo_u32 v2, v2, s43
	v_sub_u32_e32 v1, v1, v2
	v_cmp_lt_u32_e64 s[8:9], s61, v1
	s_and_b64 s[64:65], s[8:9], exec
; %bb.9:
	s_or_b64 exec, exec, s[10:11]
	v_add_u32_e32 v1, s37, v16
	v_add_u32_e32 v2, s39, v16
	v_mul_lo_u32 v1, v1, s36
	v_mul_lo_u32 v2, v2, s38
	v_sub_u32_e32 v1, v1, v2
	v_cmp_lt_u32_e64 s[26:27], s40, v1
	v_cmp_ge_u32_e64 s[8:9], s40, v1
	s_mov_b64 s[68:69], 0
	s_mov_b64 s[66:67], 0
	s_and_saveexec_b64 s[10:11], s[8:9]
; %bb.10:
	v_add_u32_e32 v1, s42, v16
	v_add_u32_e32 v2, s60, v16
	v_mul_lo_u32 v1, v1, s41
	v_mul_lo_u32 v2, v2, s43
	v_sub_u32_e32 v1, v1, v2
	v_cmp_lt_u32_e64 s[8:9], s61, v1
	s_and_b64 s[66:67], s[8:9], exec
; %bb.11:
	s_or_b64 exec, exec, s[10:11]
	v_add_u32_e32 v1, s37, v17
	v_add_u32_e32 v2, s39, v17
	v_mul_lo_u32 v1, v1, s36
	v_mul_lo_u32 v2, v2, s38
	v_sub_u32_e32 v1, v1, v2
	v_cmp_lt_u32_e64 s[8:9], s40, v1
	v_cmp_ge_u32_e64 s[10:11], s40, v1
	s_and_saveexec_b64 s[12:13], s[10:11]
; %bb.12:
	v_add_u32_e32 v1, s42, v17
	v_add_u32_e32 v2, s60, v17
	v_mul_lo_u32 v1, v1, s41
	v_mul_lo_u32 v2, v2, s43
	v_sub_u32_e32 v1, v1, v2
	v_cmp_lt_u32_e64 s[10:11], s61, v1
	s_and_b64 s[68:69], s[10:11], exec
; %bb.13:
	s_or_b64 exec, exec, s[12:13]
	v_add_u32_e32 v1, s37, v14
	v_add_u32_e32 v2, s39, v14
	v_mul_lo_u32 v1, v1, s36
	v_mul_lo_u32 v2, v2, s38
	v_sub_u32_e32 v1, v1, v2
	v_cmp_lt_u32_e64 s[10:11], s40, v1
	;; [unrolled: 38-line block ×5, first 2 shown]
	v_cmp_ge_u32_e64 s[24:25], s40, v1
	s_mov_b64 s[84:85], 0
	s_mov_b64 s[86:87], 0
	s_and_saveexec_b64 s[28:29], s[24:25]
; %bb.26:
	v_add_u32_e32 v1, s42, v8
	v_add_u32_e32 v2, s60, v8
	v_mul_lo_u32 v1, v1, s41
	v_mul_lo_u32 v2, v2, s43
	v_sub_u32_e32 v1, v1, v2
	v_cmp_lt_u32_e64 s[24:25], s61, v1
	s_and_b64 s[86:87], s[24:25], exec
; %bb.27:
	s_or_b64 exec, exec, s[28:29]
	v_add_u32_e32 v1, s37, v9
	v_add_u32_e32 v2, s39, v9
	v_mul_lo_u32 v1, v1, s36
	v_mul_lo_u32 v2, v2, s38
	v_sub_u32_e32 v1, v1, v2
	v_cmp_lt_u32_e64 s[24:25], s40, v1
	v_cmp_ge_u32_e64 s[28:29], s40, v1
	s_and_saveexec_b64 s[46:47], s[28:29]
; %bb.28:
	v_add_u32_e32 v1, s42, v9
	v_add_u32_e32 v2, s60, v9
	v_mul_lo_u32 v1, v1, s41
	v_mul_lo_u32 v2, v2, s43
	v_sub_u32_e32 v1, v1, v2
	v_cmp_lt_u32_e64 s[28:29], s61, v1
	s_and_b64 s[84:85], s[28:29], exec
; %bb.29:
	s_or_b64 exec, exec, s[46:47]
	v_add_u32_e32 v1, s37, v30
	v_add_u32_e32 v2, s39, v30
	v_mul_lo_u32 v1, v1, s36
	v_mul_lo_u32 v2, v2, s38
	v_sub_u32_e32 v1, v1, v2
	v_cmp_ge_u32_e64 s[28:29], s40, v1
	s_mov_b64 s[46:47], -1
	s_mov_b64 s[78:79], 0
	s_mov_b64 s[58:59], 0
	s_and_saveexec_b64 s[88:89], s[28:29]
; %bb.30:
	v_add_u32_e32 v1, s42, v30
	v_add_u32_e32 v2, s60, v30
	v_mul_lo_u32 v1, v1, s41
	v_mul_lo_u32 v2, v2, s43
	v_sub_u32_e32 v1, v1, v2
	v_cmp_lt_u32_e64 s[28:29], s61, v1
	s_and_b64 s[58:59], s[28:29], exec
	s_xor_b64 s[46:47], exec, -1
; %bb.31:
	s_or_b64 exec, exec, s[88:89]
	v_cndmask_b32_e64 v52, 0, 1, s[86:87]
	v_cndmask_b32_e64 v55, 0, 1, s[24:25]
	;; [unrolled: 1-line block ×22, first 2 shown]
	v_cndmask_b32_e64 v32, 0, 1, vcc
	v_cndmask_b32_e64 v54, 0, 1, s[84:85]
	s_load_dwordx2 s[12:13], s[4:5], 0x78
	s_add_i32 s18, s7, 0xd00
	s_and_b64 vcc, exec, s[78:79]
	s_cbranch_vccnz .LBB1882_33
	s_branch .LBB1882_86
.LBB1882_32:
                                        ; implicit-def: $sgpr46_sgpr47
                                        ; implicit-def: $sgpr58_sgpr59
                                        ; implicit-def: $vgpr54
                                        ; implicit-def: $vgpr52
                                        ; implicit-def: $vgpr50
                                        ; implicit-def: $vgpr48
                                        ; implicit-def: $vgpr46
                                        ; implicit-def: $vgpr44
                                        ; implicit-def: $vgpr42
                                        ; implicit-def: $vgpr40
                                        ; implicit-def: $vgpr38
                                        ; implicit-def: $vgpr32
                                        ; implicit-def: $vgpr34
                                        ; implicit-def: $vgpr36
                                        ; implicit-def: $vgpr39
                                        ; implicit-def: $vgpr41
                                        ; implicit-def: $vgpr43
                                        ; implicit-def: $vgpr45
                                        ; implicit-def: $vgpr47
                                        ; implicit-def: $vgpr49
                                        ; implicit-def: $vgpr51
                                        ; implicit-def: $vgpr53
                                        ; implicit-def: $vgpr55
                                        ; implicit-def: $vgpr33
                                        ; implicit-def: $vgpr35
                                        ; implicit-def: $vgpr37
	s_load_dwordx2 s[12:13], s[4:5], 0x78
	s_add_i32 s18, s7, 0xd00
	s_cbranch_execz .LBB1882_86
.LBB1882_33:
	v_cmp_gt_u32_e32 vcc, s18, v31
	v_mov_b32_e32 v33, 0
	v_mov_b32_e32 v32, 0
	s_and_saveexec_b64 s[4:5], vcc
	s_cbranch_execz .LBB1882_37
; %bb.34:
	v_add_u32_e32 v1, s37, v18
	v_add_u32_e32 v2, s39, v18
	v_mul_lo_u32 v1, v1, s36
	v_mul_lo_u32 v2, v2, s38
	v_sub_u32_e32 v1, v1, v2
	v_cmp_lt_u32_e32 vcc, s40, v1
	v_cmp_ge_u32_e64 s[2:3], s40, v1
	s_mov_b64 s[10:11], 0
	s_and_saveexec_b64 s[8:9], s[2:3]
; %bb.35:
	v_add_u32_e32 v1, s42, v18
	v_add_u32_e32 v2, s60, v18
	v_mul_lo_u32 v1, v1, s41
	v_mul_lo_u32 v2, v2, s43
	v_sub_u32_e32 v1, v1, v2
	v_cmp_lt_u32_e64 s[2:3], s61, v1
	s_and_b64 s[10:11], s[2:3], exec
; %bb.36:
	s_or_b64 exec, exec, s[8:9]
	v_cndmask_b32_e64 v32, 0, 1, vcc
	v_cndmask_b32_e64 v33, 0, 1, s[10:11]
.LBB1882_37:
	s_or_b64 exec, exec, s[4:5]
	v_add_u32_e32 v1, 1, v31
	v_cmp_gt_u32_e32 vcc, s18, v1
	v_mov_b32_e32 v34, 0
	v_mov_b32_e32 v35, 0
	s_and_saveexec_b64 s[4:5], vcc
	s_cbranch_execz .LBB1882_41
; %bb.38:
	v_add_u32_e32 v1, s37, v19
	v_add_u32_e32 v2, s39, v19
	v_mul_lo_u32 v1, v1, s36
	v_mul_lo_u32 v2, v2, s38
	v_sub_u32_e32 v1, v1, v2
	v_cmp_lt_u32_e32 vcc, s40, v1
	v_cmp_ge_u32_e64 s[2:3], s40, v1
	s_mov_b64 s[10:11], 0
	s_and_saveexec_b64 s[8:9], s[2:3]
; %bb.39:
	v_add_u32_e32 v1, s42, v19
	v_add_u32_e32 v2, s60, v19
	v_mul_lo_u32 v1, v1, s41
	v_mul_lo_u32 v2, v2, s43
	v_sub_u32_e32 v1, v1, v2
	v_cmp_lt_u32_e64 s[2:3], s61, v1
	s_and_b64 s[10:11], s[2:3], exec
; %bb.40:
	s_or_b64 exec, exec, s[8:9]
	v_cndmask_b32_e64 v34, 0, 1, vcc
	v_cndmask_b32_e64 v35, 0, 1, s[10:11]
.LBB1882_41:
	s_or_b64 exec, exec, s[4:5]
	v_add_u32_e32 v1, 2, v31
	;; [unrolled: 30-line block ×12, first 2 shown]
	v_cmp_gt_u32_e32 vcc, s18, v1
	s_mov_b64 s[46:47], 0
	s_mov_b64 s[58:59], 0
	s_and_saveexec_b64 s[2:3], vcc
	s_cbranch_execz .LBB1882_85
; %bb.82:
	v_add_u32_e32 v1, s37, v30
	v_add_u32_e32 v2, s39, v30
	v_mul_lo_u32 v1, v1, s36
	v_mul_lo_u32 v2, v2, s38
	v_sub_u32_e32 v1, v1, v2
	v_cmp_ge_u32_e32 vcc, s40, v1
	s_mov_b64 s[8:9], -1
	s_mov_b64 s[10:11], 0
	s_and_saveexec_b64 s[4:5], vcc
; %bb.83:
	v_add_u32_e32 v1, s42, v30
	v_add_u32_e32 v2, s60, v30
	v_mul_lo_u32 v1, v1, s41
	v_mul_lo_u32 v2, v2, s43
	v_sub_u32_e32 v1, v1, v2
	v_cmp_lt_u32_e32 vcc, s61, v1
	s_and_b64 s[10:11], vcc, exec
	s_xor_b64 s[8:9], exec, -1
; %bb.84:
	s_or_b64 exec, exec, s[4:5]
	s_and_b64 s[58:59], s[10:11], exec
	s_and_b64 s[46:47], s[8:9], exec
.LBB1882_85:
	s_or_b64 exec, exec, s[2:3]
.LBB1882_86:
	v_and_b32_e32 v63, 0xff, v33
	v_and_b32_e32 v74, 0xff, v35
	v_and_b32_e32 v65, 0xff, v37
	v_and_b32_e32 v75, 0xff, v38
	v_and_b32_e32 v67, 0xff, v40
	v_add3_u32 v2, v74, v65, v63
	v_and_b32_e32 v76, 0xff, v42
	v_and_b32_e32 v69, 0xff, v44
	v_add3_u32 v2, v2, v75, v67
	v_and_b32_e32 v62, 0xff, v32
	v_and_b32_e32 v56, 0xff, v34
	v_and_b32_e32 v64, 0xff, v36
	v_and_b32_e32 v77, 0xff, v46
	v_and_b32_e32 v71, 0xff, v48
	v_add3_u32 v2, v2, v76, v69
	v_and_b32_e32 v57, 0xff, v39
	v_and_b32_e32 v66, 0xff, v41
	;; [unrolled: 1-line block ×4, first 2 shown]
	v_add3_u32 v3, v56, v64, v62
	v_add3_u32 v2, v2, v77, v71
	v_and_b32_e32 v58, 0xff, v43
	v_and_b32_e32 v68, 0xff, v45
	;; [unrolled: 1-line block ×3, first 2 shown]
	v_cndmask_b32_e64 v1, 0, 1, s[58:59]
	v_add3_u32 v3, v3, v57, v66
	v_add3_u32 v2, v2, v78, v73
	v_and_b32_e32 v59, 0xff, v47
	v_and_b32_e32 v70, 0xff, v49
	v_add3_u32 v3, v3, v58, v68
	v_add3_u32 v86, v2, v79, v1
	v_mbcnt_lo_u32_b32 v1, -1, 0
	v_and_b32_e32 v60, 0xff, v51
	v_and_b32_e32 v72, 0xff, v53
	v_add3_u32 v3, v3, v59, v70
	v_mbcnt_hi_u32_b32 v80, -1, v1
	v_and_b32_e32 v61, 0xff, v55
	v_add3_u32 v3, v3, v60, v72
	v_cndmask_b32_e64 v4, 0, 1, s[46:47]
	v_and_b32_e32 v84, 15, v80
	s_cmp_lg_u32 s6, 0
	v_add3_u32 v85, v3, v61, v4
	v_cmp_eq_u32_e64 s[4:5], 0, v84
	v_cmp_lt_u32_e64 s[2:3], 1, v84
	v_cmp_lt_u32_e64 s[8:9], 3, v84
	;; [unrolled: 1-line block ×3, first 2 shown]
	v_and_b32_e32 v83, 16, v80
	v_cmp_lt_u32_e32 vcc, 31, v80
	v_lshrrev_b32_e32 v81, 6, v0
	v_or_b32_e32 v82, 63, v0
	s_cbranch_scc0 .LBB1882_115
; %bb.87:
	v_mov_b32_dpp v1, v85 row_shr:1 row_mask:0xf bank_mask:0xf
	v_mov_b32_dpp v2, v86 row_shr:1 row_mask:0xf bank_mask:0xf
	v_add_u32_e32 v1, v1, v85
	v_add_u32_e32 v2, v2, v86
	v_cndmask_b32_e64 v2, v2, v86, s[4:5]
	v_cndmask_b32_e64 v1, v1, v85, s[4:5]
	s_nop 0
	v_mov_b32_dpp v4, v2 row_shr:2 row_mask:0xf bank_mask:0xf
	v_mov_b32_dpp v3, v1 row_shr:2 row_mask:0xf bank_mask:0xf
	v_add_u32_e32 v3, v1, v3
	v_add_u32_e32 v4, v2, v4
	v_cndmask_b32_e64 v2, v2, v4, s[2:3]
	v_cndmask_b32_e64 v1, v1, v3, s[2:3]
	s_nop 0
	v_mov_b32_dpp v4, v2 row_shr:4 row_mask:0xf bank_mask:0xf
	v_mov_b32_dpp v3, v1 row_shr:4 row_mask:0xf bank_mask:0xf
	v_add_u32_e32 v3, v1, v3
	v_add_u32_e32 v4, v2, v4
	v_cndmask_b32_e64 v2, v2, v4, s[8:9]
	v_cndmask_b32_e64 v1, v1, v3, s[8:9]
	v_cmp_eq_u32_e64 s[8:9], 0, v83
	v_mov_b32_dpp v4, v2 row_shr:8 row_mask:0xf bank_mask:0xf
	v_mov_b32_dpp v3, v1 row_shr:8 row_mask:0xf bank_mask:0xf
	v_add_u32_e32 v3, v1, v3
	v_add_u32_e32 v4, v2, v4
	v_cndmask_b32_e64 v2, v2, v4, s[10:11]
	v_cndmask_b32_e64 v1, v1, v3, s[10:11]
	s_nop 0
	v_mov_b32_dpp v4, v2 row_bcast:15 row_mask:0xf bank_mask:0xf
	v_mov_b32_dpp v3, v1 row_bcast:15 row_mask:0xf bank_mask:0xf
	v_add_u32_e32 v3, v1, v3
	v_add_u32_e32 v4, v2, v4
	v_cndmask_b32_e64 v2, v4, v2, s[8:9]
	v_cndmask_b32_e64 v1, v3, v1, s[8:9]
	s_nop 0
	v_mov_b32_dpp v4, v2 row_bcast:31 row_mask:0xf bank_mask:0xf
	v_mov_b32_dpp v3, v1 row_bcast:31 row_mask:0xf bank_mask:0xf
	v_add_u32_e32 v4, v2, v4
	v_add_u32_e32 v5, v1, v3
	v_cndmask_b32_e32 v3, v2, v4, vcc
	v_cndmask_b32_e32 v2, v1, v5, vcc
	v_cmp_eq_u32_e32 vcc, v82, v0
	s_and_saveexec_b64 s[8:9], vcc
	s_cbranch_execz .LBB1882_89
; %bb.88:
	v_lshlrev_b32_e32 v1, 3, v81
	ds_write_b64 v1, v[2:3]
.LBB1882_89:
	s_or_b64 exec, exec, s[8:9]
	v_cmp_gt_u32_e32 vcc, 4, v0
	s_waitcnt lgkmcnt(0)
	s_barrier
	s_and_saveexec_b64 s[8:9], vcc
	s_cbranch_execz .LBB1882_91
; %bb.90:
	v_lshlrev_b32_e32 v1, 3, v0
	ds_read_b64 v[4:5], v1
	v_and_b32_e32 v6, 3, v80
	v_cmp_eq_u32_e32 vcc, 0, v6
	s_waitcnt lgkmcnt(0)
	v_mov_b32_dpp v7, v4 row_shr:1 row_mask:0xf bank_mask:0xf
	v_mov_b32_dpp v20, v5 row_shr:1 row_mask:0xf bank_mask:0xf
	v_add_u32_e32 v7, v7, v4
	v_add_u32_e32 v20, v20, v5
	v_cndmask_b32_e32 v5, v20, v5, vcc
	v_cndmask_b32_e32 v4, v7, v4, vcc
	v_cmp_lt_u32_e32 vcc, 1, v6
	v_mov_b32_dpp v20, v5 row_shr:2 row_mask:0xf bank_mask:0xf
	v_mov_b32_dpp v7, v4 row_shr:2 row_mask:0xf bank_mask:0xf
	v_cndmask_b32_e32 v6, 0, v7, vcc
	v_cndmask_b32_e32 v7, 0, v20, vcc
	v_add_u32_e32 v5, v7, v5
	v_add_u32_e32 v4, v6, v4
	ds_write_b64 v1, v[4:5]
.LBB1882_91:
	s_or_b64 exec, exec, s[8:9]
	v_cmp_gt_u32_e32 vcc, 64, v0
	v_cmp_lt_u32_e64 s[8:9], 63, v0
	s_waitcnt lgkmcnt(0)
	s_barrier
	s_waitcnt lgkmcnt(0)
                                        ; implicit-def: $vgpr21
	s_and_saveexec_b64 s[10:11], s[8:9]
	s_xor_b64 s[8:9], exec, s[10:11]
	s_cbranch_execz .LBB1882_93
; %bb.92:
	v_lshl_add_u32 v1, v81, 3, -8
	ds_read_b64 v[20:21], v1
	s_waitcnt lgkmcnt(0)
	v_add_u32_e32 v3, v21, v3
	v_add_u32_e32 v2, v20, v2
.LBB1882_93:
	s_andn2_saveexec_b64 s[8:9], s[8:9]
; %bb.94:
                                        ; implicit-def: $vgpr20
; %bb.95:
	s_or_b64 exec, exec, s[8:9]
	v_add_u32_e32 v1, -1, v80
	v_and_b32_e32 v4, 64, v80
	v_cmp_lt_i32_e64 s[8:9], v1, v4
	v_cndmask_b32_e64 v1, v1, v80, s[8:9]
	v_lshlrev_b32_e32 v4, 2, v1
	ds_bpermute_b32 v1, v4, v2
	ds_bpermute_b32 v87, v4, v3
	v_cmp_eq_u32_e64 s[8:9], 0, v80
	s_and_saveexec_b64 s[10:11], vcc
	s_cbranch_execz .LBB1882_114
; %bb.96:
	v_mov_b32_e32 v7, 0
	ds_read_b64 v[22:23], v7 offset:24
	s_and_saveexec_b64 s[14:15], s[8:9]
	s_cbranch_execz .LBB1882_98
; %bb.97:
	s_add_i32 s16, s6, 64
	s_mov_b32 s17, 0
	s_lshl_b64 s[16:17], s[16:17], 4
	s_waitcnt lgkmcnt(0)
	v_and_b32_e32 v2, 0xff000000, v23
	v_and_b32_e32 v3, 0xff0000, v23
	s_add_u32 s16, s12, s16
	v_or_b32_e32 v2, v3, v2
	v_and_b32_e32 v3, 0xff00, v23
	s_addc_u32 s17, s13, s17
	v_or_b32_e32 v2, v2, v3
	v_or_b32_sdwa v5, v2, v23 dst_sel:DWORD dst_unused:UNUSED_PAD src0_sel:DWORD src1_sel:BYTE_0
	v_mov_b32_e32 v6, 1
	v_mov_b32_e32 v4, v22
	v_pk_mov_b32 v[2:3], s[16:17], s[16:17] op_sel:[0,1]
	;;#ASMSTART
	global_store_dwordx4 v[2:3], v[4:7] off	
s_waitcnt vmcnt(0)
	;;#ASMEND
.LBB1882_98:
	s_or_b64 exec, exec, s[14:15]
	v_xad_u32 v24, v80, -1, s6
	v_add_u32_e32 v6, 64, v24
	v_lshlrev_b64 v[2:3], 4, v[6:7]
	v_mov_b32_e32 v4, s13
	v_add_co_u32_e32 v26, vcc, s12, v2
	v_addc_co_u32_e32 v27, vcc, v4, v3, vcc
	;;#ASMSTART
	global_load_dwordx4 v[2:5], v[26:27] off glc	
s_waitcnt vmcnt(0)
	;;#ASMEND
	v_and_b32_e32 v5, 0xff, v3
	v_and_b32_e32 v6, 0xff00, v3
	v_or3_b32 v5, 0, v5, v6
	v_or3_b32 v2, v2, 0, 0
	v_and_b32_e32 v6, 0xff000000, v3
	v_and_b32_e32 v3, 0xff0000, v3
	v_or3_b32 v3, v5, v3, v6
	v_or3_b32 v2, v2, 0, 0
	v_cmp_eq_u16_sdwa s[16:17], v4, v7 src0_sel:BYTE_0 src1_sel:DWORD
	s_and_saveexec_b64 s[14:15], s[16:17]
	s_cbranch_execz .LBB1882_102
; %bb.99:
	s_mov_b64 s[16:17], 0
	v_mov_b32_e32 v6, 0
.LBB1882_100:                           ; =>This Inner Loop Header: Depth=1
	;;#ASMSTART
	global_load_dwordx4 v[2:5], v[26:27] off glc	
s_waitcnt vmcnt(0)
	;;#ASMEND
	v_cmp_ne_u16_sdwa s[20:21], v4, v6 src0_sel:BYTE_0 src1_sel:DWORD
	s_or_b64 s[16:17], s[20:21], s[16:17]
	s_andn2_b64 exec, exec, s[16:17]
	s_cbranch_execnz .LBB1882_100
; %bb.101:
	s_or_b64 exec, exec, s[16:17]
.LBB1882_102:
	s_or_b64 exec, exec, s[14:15]
	v_and_b32_e32 v89, 63, v80
	v_cmp_ne_u32_e32 vcc, 63, v89
	v_mov_b32_e32 v88, 2
	v_addc_co_u32_e32 v26, vcc, 0, v80, vcc
	v_cmp_eq_u16_sdwa s[14:15], v4, v88 src0_sel:BYTE_0 src1_sel:DWORD
	v_lshlrev_b64 v[6:7], v80, -1
	v_lshlrev_b32_e32 v90, 2, v26
	v_and_b32_e32 v5, s15, v7
	ds_bpermute_b32 v26, v90, v2
	ds_bpermute_b32 v27, v90, v3
	v_or_b32_e32 v5, 0x80000000, v5
	v_and_b32_e32 v25, s14, v6
	v_ffbl_b32_e32 v5, v5
	v_add_u32_e32 v5, 32, v5
	v_ffbl_b32_e32 v25, v25
	v_min_u32_e32 v5, v25, v5
	s_waitcnt lgkmcnt(1)
	v_add_u32_e32 v25, v26, v2
	s_waitcnt lgkmcnt(0)
	v_add_u32_e32 v26, v27, v3
	v_cmp_lt_u32_e32 vcc, v89, v5
	v_cndmask_b32_e32 v3, v3, v26, vcc
	v_cndmask_b32_e32 v2, v2, v25, vcc
	v_cmp_gt_u32_e32 vcc, 62, v89
	v_cndmask_b32_e64 v25, 0, 1, vcc
	v_lshlrev_b32_e32 v25, 1, v25
	v_add_lshl_u32 v91, v25, v80, 2
	ds_bpermute_b32 v25, v91, v2
	ds_bpermute_b32 v26, v91, v3
	v_add_u32_e32 v92, 2, v89
	v_cmp_gt_u32_e32 vcc, v92, v5
	v_add_u32_e32 v94, 4, v89
	s_waitcnt lgkmcnt(1)
	v_add_u32_e32 v25, v2, v25
	s_waitcnt lgkmcnt(0)
	v_add_u32_e32 v26, v3, v26
	v_cndmask_b32_e32 v3, v26, v3, vcc
	v_cndmask_b32_e32 v2, v25, v2, vcc
	v_cmp_gt_u32_e32 vcc, 60, v89
	v_cndmask_b32_e64 v25, 0, 1, vcc
	v_lshlrev_b32_e32 v25, 2, v25
	v_add_lshl_u32 v93, v25, v80, 2
	ds_bpermute_b32 v25, v93, v2
	ds_bpermute_b32 v26, v93, v3
	v_cmp_gt_u32_e32 vcc, v94, v5
	v_add_u32_e32 v96, 8, v89
	v_add_u32_e32 v98, 16, v89
	s_waitcnt lgkmcnt(1)
	v_add_u32_e32 v25, v2, v25
	s_waitcnt lgkmcnt(0)
	v_add_u32_e32 v26, v3, v26
	v_cndmask_b32_e32 v3, v26, v3, vcc
	v_cndmask_b32_e32 v2, v25, v2, vcc
	v_cmp_gt_u32_e32 vcc, 56, v89
	v_cndmask_b32_e64 v25, 0, 1, vcc
	v_lshlrev_b32_e32 v25, 3, v25
	v_add_lshl_u32 v95, v25, v80, 2
	ds_bpermute_b32 v25, v95, v2
	ds_bpermute_b32 v26, v95, v3
	v_cmp_gt_u32_e32 vcc, v96, v5
	v_add_u32_e32 v100, 32, v89
	s_waitcnt lgkmcnt(1)
	v_add_u32_e32 v25, v2, v25
	s_waitcnt lgkmcnt(0)
	v_add_u32_e32 v26, v3, v26
	v_cndmask_b32_e32 v3, v26, v3, vcc
	v_cndmask_b32_e32 v2, v25, v2, vcc
	v_cmp_gt_u32_e32 vcc, 48, v89
	v_cndmask_b32_e64 v25, 0, 1, vcc
	v_lshlrev_b32_e32 v25, 4, v25
	v_add_lshl_u32 v97, v25, v80, 2
	ds_bpermute_b32 v25, v97, v2
	ds_bpermute_b32 v26, v97, v3
	v_cmp_gt_u32_e32 vcc, v98, v5
	s_waitcnt lgkmcnt(1)
	v_add_u32_e32 v25, v2, v25
	s_waitcnt lgkmcnt(0)
	v_add_u32_e32 v26, v3, v26
	v_cndmask_b32_e32 v3, v26, v3, vcc
	v_cndmask_b32_e32 v2, v25, v2, vcc
	v_cmp_gt_u32_e32 vcc, 32, v89
	v_cndmask_b32_e64 v25, 0, 1, vcc
	v_lshlrev_b32_e32 v25, 5, v25
	v_add_lshl_u32 v99, v25, v80, 2
	ds_bpermute_b32 v25, v99, v2
	ds_bpermute_b32 v26, v99, v3
	v_cmp_le_u32_e32 vcc, v100, v5
	s_waitcnt lgkmcnt(1)
	v_cndmask_b32_e32 v5, 0, v25, vcc
	s_waitcnt lgkmcnt(0)
	v_cndmask_b32_e32 v25, 0, v26, vcc
	v_add_u32_e32 v3, v3, v25
	v_add_u32_e32 v2, v2, v5
	v_mov_b32_e32 v25, 0
	s_branch .LBB1882_104
.LBB1882_103:                           ;   in Loop: Header=BB1882_104 Depth=1
	s_or_b64 exec, exec, s[14:15]
	v_cmp_eq_u16_sdwa s[14:15], v4, v88 src0_sel:BYTE_0 src1_sel:DWORD
	v_and_b32_e32 v5, s15, v7
	ds_bpermute_b32 v29, v90, v2
	ds_bpermute_b32 v101, v90, v3
	v_or_b32_e32 v5, 0x80000000, v5
	v_and_b32_e32 v28, s14, v6
	v_ffbl_b32_e32 v5, v5
	v_add_u32_e32 v5, 32, v5
	v_ffbl_b32_e32 v28, v28
	v_min_u32_e32 v5, v28, v5
	s_waitcnt lgkmcnt(1)
	v_add_u32_e32 v28, v29, v2
	s_waitcnt lgkmcnt(0)
	v_add_u32_e32 v29, v101, v3
	v_cmp_lt_u32_e32 vcc, v89, v5
	v_cndmask_b32_e32 v3, v3, v29, vcc
	v_cndmask_b32_e32 v2, v2, v28, vcc
	ds_bpermute_b32 v28, v91, v2
	ds_bpermute_b32 v29, v91, v3
	v_cmp_gt_u32_e32 vcc, v92, v5
	v_subrev_u32_e32 v24, 64, v24
	s_waitcnt lgkmcnt(1)
	v_add_u32_e32 v28, v2, v28
	s_waitcnt lgkmcnt(0)
	v_add_u32_e32 v29, v3, v29
	v_cndmask_b32_e32 v3, v29, v3, vcc
	v_cndmask_b32_e32 v2, v28, v2, vcc
	ds_bpermute_b32 v28, v93, v2
	ds_bpermute_b32 v29, v93, v3
	v_cmp_gt_u32_e32 vcc, v94, v5
	s_waitcnt lgkmcnt(1)
	v_add_u32_e32 v28, v2, v28
	s_waitcnt lgkmcnt(0)
	v_add_u32_e32 v29, v3, v29
	v_cndmask_b32_e32 v3, v29, v3, vcc
	v_cndmask_b32_e32 v2, v28, v2, vcc
	ds_bpermute_b32 v28, v95, v2
	ds_bpermute_b32 v29, v95, v3
	v_cmp_gt_u32_e32 vcc, v96, v5
	;; [unrolled: 9-line block ×3, first 2 shown]
	s_waitcnt lgkmcnt(1)
	v_add_u32_e32 v28, v2, v28
	s_waitcnt lgkmcnt(0)
	v_add_u32_e32 v29, v3, v29
	v_cndmask_b32_e32 v3, v29, v3, vcc
	v_cndmask_b32_e32 v2, v28, v2, vcc
	ds_bpermute_b32 v28, v99, v2
	ds_bpermute_b32 v29, v99, v3
	v_cmp_le_u32_e32 vcc, v100, v5
	s_waitcnt lgkmcnt(1)
	v_cndmask_b32_e32 v5, 0, v28, vcc
	s_waitcnt lgkmcnt(0)
	v_cndmask_b32_e32 v28, 0, v29, vcc
	v_add3_u32 v3, v28, v27, v3
	v_add3_u32 v2, v5, v26, v2
.LBB1882_104:                           ; =>This Loop Header: Depth=1
                                        ;     Child Loop BB1882_107 Depth 2
	v_cmp_ne_u16_sdwa s[14:15], v4, v88 src0_sel:BYTE_0 src1_sel:DWORD
	v_cndmask_b32_e64 v4, 0, 1, s[14:15]
	;;#ASMSTART
	;;#ASMEND
	v_cmp_ne_u32_e32 vcc, 0, v4
	s_cmp_lg_u64 vcc, exec
	v_pk_mov_b32 v[26:27], v[2:3], v[2:3] op_sel:[0,1]
	s_cbranch_scc1 .LBB1882_109
; %bb.105:                              ;   in Loop: Header=BB1882_104 Depth=1
	v_lshlrev_b64 v[2:3], 4, v[24:25]
	v_mov_b32_e32 v4, s13
	v_add_co_u32_e32 v28, vcc, s12, v2
	v_addc_co_u32_e32 v29, vcc, v4, v3, vcc
	;;#ASMSTART
	global_load_dwordx4 v[2:5], v[28:29] off glc	
s_waitcnt vmcnt(0)
	;;#ASMEND
	v_and_b32_e32 v5, 0xff, v3
	v_and_b32_e32 v101, 0xff00, v3
	v_or3_b32 v5, 0, v5, v101
	v_or3_b32 v2, v2, 0, 0
	v_and_b32_e32 v101, 0xff000000, v3
	v_and_b32_e32 v3, 0xff0000, v3
	v_or3_b32 v3, v5, v3, v101
	v_or3_b32 v2, v2, 0, 0
	v_cmp_eq_u16_sdwa s[16:17], v4, v25 src0_sel:BYTE_0 src1_sel:DWORD
	s_and_saveexec_b64 s[14:15], s[16:17]
	s_cbranch_execz .LBB1882_103
; %bb.106:                              ;   in Loop: Header=BB1882_104 Depth=1
	s_mov_b64 s[16:17], 0
.LBB1882_107:                           ;   Parent Loop BB1882_104 Depth=1
                                        ; =>  This Inner Loop Header: Depth=2
	;;#ASMSTART
	global_load_dwordx4 v[2:5], v[28:29] off glc	
s_waitcnt vmcnt(0)
	;;#ASMEND
	v_cmp_ne_u16_sdwa s[20:21], v4, v25 src0_sel:BYTE_0 src1_sel:DWORD
	s_or_b64 s[16:17], s[20:21], s[16:17]
	s_andn2_b64 exec, exec, s[16:17]
	s_cbranch_execnz .LBB1882_107
; %bb.108:                              ;   in Loop: Header=BB1882_104 Depth=1
	s_or_b64 exec, exec, s[16:17]
	s_branch .LBB1882_103
.LBB1882_109:                           ;   in Loop: Header=BB1882_104 Depth=1
                                        ; implicit-def: $vgpr4
                                        ; implicit-def: $vgpr2_vgpr3
	s_cbranch_execz .LBB1882_104
; %bb.110:
	s_and_saveexec_b64 s[14:15], s[8:9]
	s_cbranch_execz .LBB1882_112
; %bb.111:
	s_add_i32 s6, s6, 64
	s_mov_b32 s7, 0
	v_add_u32_e32 v3, v27, v23
	s_lshl_b64 s[6:7], s[6:7], 4
	s_add_u32 s6, s12, s6
	v_and_b32_e32 v4, 0xff000000, v3
	v_and_b32_e32 v6, 0xff0000, v3
	s_addc_u32 s7, s13, s7
	v_or_b32_e32 v4, v6, v4
	v_and_b32_e32 v6, 0xff00, v3
	v_and_b32_e32 v3, 0xff, v3
	v_add_u32_e32 v2, v26, v22
	v_mov_b32_e32 v5, 0
	v_or3_b32 v3, v4, v6, v3
	v_mov_b32_e32 v4, 2
	v_pk_mov_b32 v[6:7], s[6:7], s[6:7] op_sel:[0,1]
	;;#ASMSTART
	global_store_dwordx4 v[6:7], v[2:5] off	
s_waitcnt vmcnt(0)
	;;#ASMEND
	s_movk_i32 s6, 0x3400
	v_add_u32_e64 v2, s6, 0
	ds_write2_b32 v2, v22, v23 offset1:2
	ds_write2_b32 v2, v26, v27 offset0:4 offset1:6
.LBB1882_112:
	s_or_b64 exec, exec, s[14:15]
	v_cmp_eq_u32_e32 vcc, 0, v0
	s_and_b64 exec, exec, vcc
	s_cbranch_execz .LBB1882_114
; %bb.113:
	v_mov_b32_e32 v2, 0
	ds_write_b64 v2, v[26:27] offset:24
.LBB1882_114:
	s_or_b64 exec, exec, s[10:11]
	v_mov_b32_e32 v2, 0
	s_waitcnt lgkmcnt(0)
	s_barrier
	ds_read_b64 v[6:7], v2 offset:24
	s_movk_i32 s6, 0x3400
	v_cndmask_b32_e64 v2, v87, v21, s[8:9]
	v_cndmask_b32_e64 v1, v1, v20, s[8:9]
	v_add_u32_e64 v4, s6, 0
	s_waitcnt lgkmcnt(0)
	v_add_u32_e32 v20, v6, v1
	v_add_u32_e32 v1, v7, v2
	s_barrier
	ds_read2_b32 v[2:3], v4 offset1:2
	ds_read2_b32 v[4:5], v4 offset0:4 offset1:6
	v_cmp_eq_u32_e32 vcc, 0, v0
	v_cndmask_b32_e32 v1, v1, v7, vcc
	v_cndmask_b32_e32 v20, v20, v6, vcc
	s_branch .LBB1882_125
.LBB1882_115:
                                        ; implicit-def: $vgpr1
                                        ; implicit-def: $vgpr4
                                        ; implicit-def: $vgpr2
                                        ; implicit-def: $vgpr20_vgpr21
	s_cbranch_execz .LBB1882_125
; %bb.116:
	s_nop 0
	v_mov_b32_dpp v1, v85 row_shr:1 row_mask:0xf bank_mask:0xf
	s_waitcnt lgkmcnt(0)
	v_mov_b32_dpp v2, v86 row_shr:1 row_mask:0xf bank_mask:0xf
	v_add_u32_e32 v1, v1, v85
	v_add_u32_e32 v2, v2, v86
	v_cndmask_b32_e64 v2, v2, v86, s[4:5]
	v_cndmask_b32_e64 v1, v1, v85, s[4:5]
	v_cmp_lt_u32_e32 vcc, 3, v84
	v_mov_b32_dpp v4, v2 row_shr:2 row_mask:0xf bank_mask:0xf
	v_mov_b32_dpp v3, v1 row_shr:2 row_mask:0xf bank_mask:0xf
	v_add_u32_e32 v3, v1, v3
	v_add_u32_e32 v4, v2, v4
	v_cndmask_b32_e64 v2, v2, v4, s[2:3]
	v_cndmask_b32_e64 v1, v1, v3, s[2:3]
	s_nop 0
	v_mov_b32_dpp v4, v2 row_shr:4 row_mask:0xf bank_mask:0xf
	v_mov_b32_dpp v3, v1 row_shr:4 row_mask:0xf bank_mask:0xf
	v_add_u32_e32 v3, v1, v3
	v_add_u32_e32 v4, v2, v4
	v_cndmask_b32_e32 v2, v2, v4, vcc
	v_cndmask_b32_e32 v1, v1, v3, vcc
	v_cmp_lt_u32_e32 vcc, 7, v84
	v_mov_b32_dpp v4, v2 row_shr:8 row_mask:0xf bank_mask:0xf
	v_mov_b32_dpp v3, v1 row_shr:8 row_mask:0xf bank_mask:0xf
	v_add_u32_e32 v3, v1, v3
	v_add_u32_e32 v4, v2, v4
	v_cndmask_b32_e32 v2, v2, v4, vcc
	v_cndmask_b32_e32 v1, v1, v3, vcc
	v_cmp_eq_u32_e32 vcc, 0, v83
	v_mov_b32_dpp v4, v2 row_bcast:15 row_mask:0xf bank_mask:0xf
	v_mov_b32_dpp v3, v1 row_bcast:15 row_mask:0xf bank_mask:0xf
	v_add_u32_e32 v3, v1, v3
	v_add_u32_e32 v4, v2, v4
	v_cndmask_b32_e32 v2, v4, v2, vcc
	v_cndmask_b32_e32 v1, v3, v1, vcc
	v_cmp_lt_u32_e32 vcc, 31, v80
	v_mov_b32_dpp v4, v2 row_bcast:31 row_mask:0xf bank_mask:0xf
	v_mov_b32_dpp v3, v1 row_bcast:31 row_mask:0xf bank_mask:0xf
	v_add_u32_e32 v4, v2, v4
	v_add_u32_e32 v5, v1, v3
	v_cndmask_b32_e32 v3, v2, v4, vcc
	v_cndmask_b32_e32 v2, v1, v5, vcc
	v_cmp_eq_u32_e32 vcc, v82, v0
	s_and_saveexec_b64 s[2:3], vcc
	s_cbranch_execz .LBB1882_118
; %bb.117:
	v_lshlrev_b32_e32 v1, 3, v81
	ds_write_b64 v1, v[2:3]
.LBB1882_118:
	s_or_b64 exec, exec, s[2:3]
	v_cmp_gt_u32_e32 vcc, 4, v0
	s_waitcnt lgkmcnt(0)
	s_barrier
	s_and_saveexec_b64 s[2:3], vcc
	s_cbranch_execz .LBB1882_120
; %bb.119:
	v_lshlrev_b32_e32 v1, 3, v0
	ds_read_b64 v[4:5], v1
	v_and_b32_e32 v6, 3, v80
	v_cmp_eq_u32_e32 vcc, 0, v6
	s_waitcnt lgkmcnt(0)
	v_mov_b32_dpp v7, v4 row_shr:1 row_mask:0xf bank_mask:0xf
	v_mov_b32_dpp v20, v5 row_shr:1 row_mask:0xf bank_mask:0xf
	v_add_u32_e32 v7, v7, v4
	v_add_u32_e32 v20, v20, v5
	v_cndmask_b32_e32 v5, v20, v5, vcc
	v_cndmask_b32_e32 v4, v7, v4, vcc
	v_cmp_lt_u32_e32 vcc, 1, v6
	v_mov_b32_dpp v20, v5 row_shr:2 row_mask:0xf bank_mask:0xf
	v_mov_b32_dpp v7, v4 row_shr:2 row_mask:0xf bank_mask:0xf
	v_cndmask_b32_e32 v6, 0, v7, vcc
	v_cndmask_b32_e32 v7, 0, v20, vcc
	v_add_u32_e32 v5, v7, v5
	v_add_u32_e32 v4, v6, v4
	ds_write_b64 v1, v[4:5]
.LBB1882_120:
	s_or_b64 exec, exec, s[2:3]
	v_cmp_lt_u32_e32 vcc, 63, v0
	v_mov_b32_e32 v4, 0
	v_mov_b32_e32 v6, 0
	;; [unrolled: 1-line block ×3, first 2 shown]
	s_waitcnt lgkmcnt(0)
	s_barrier
	s_and_saveexec_b64 s[2:3], vcc
	s_cbranch_execz .LBB1882_122
; %bb.121:
	v_lshl_add_u32 v1, v81, 3, -8
	ds_read_b64 v[6:7], v1
.LBB1882_122:
	s_or_b64 exec, exec, s[2:3]
	s_waitcnt lgkmcnt(0)
	v_add_u32_e32 v5, v7, v3
	v_add_u32_e32 v1, v6, v2
	v_add_u32_e32 v2, -1, v80
	v_and_b32_e32 v3, 64, v80
	v_cmp_lt_i32_e32 vcc, v2, v3
	v_cndmask_b32_e32 v2, v2, v80, vcc
	v_lshlrev_b32_e32 v20, 2, v2
	ds_read_b64 v[2:3], v4 offset:24
	ds_bpermute_b32 v1, v20, v1
	ds_bpermute_b32 v20, v20, v5
	v_cmp_eq_u32_e32 vcc, 0, v0
	s_waitcnt lgkmcnt(2)
	v_readfirstlane_b32 s4, v3
	s_and_saveexec_b64 s[2:3], vcc
	s_cbranch_execz .LBB1882_124
; %bb.123:
	s_add_u32 s6, s12, 0x400
	s_mov_b32 s8, 0
	s_addc_u32 s7, s13, 0
	s_and_b32 s9, s4, 0xff000000
	s_and_b32 s11, s4, 0xff0000
	s_mov_b32 s10, s8
	s_or_b64 s[10:11], s[10:11], s[8:9]
	s_and_b32 s9, s4, 0xff00
	s_or_b64 s[10:11], s[10:11], s[8:9]
	s_and_b32 s9, s4, 0xff
	s_or_b64 s[8:9], s[10:11], s[8:9]
	v_mov_b32_e32 v3, s9
	v_mov_b32_e32 v4, 2
	;; [unrolled: 1-line block ×3, first 2 shown]
	v_pk_mov_b32 v[22:23], s[6:7], s[6:7] op_sel:[0,1]
	;;#ASMSTART
	global_store_dwordx4 v[22:23], v[2:5] off	
s_waitcnt vmcnt(0)
	;;#ASMEND
.LBB1882_124:
	s_or_b64 exec, exec, s[2:3]
	v_cmp_eq_u32_e64 s[2:3], 0, v80
	s_waitcnt lgkmcnt(1)
	v_cndmask_b32_e64 v3, v1, v6, s[2:3]
	s_waitcnt lgkmcnt(0)
	v_cndmask_b32_e64 v1, v20, v7, s[2:3]
	v_mov_b32_e32 v4, 0
	v_cndmask_b32_e64 v1, v1, 0, vcc
	v_cndmask_b32_e64 v20, v3, 0, vcc
	s_barrier
	v_mov_b32_e32 v3, s4
	v_mov_b32_e32 v5, 0
.LBB1882_125:
	v_add_u32_e32 v24, v1, v63
	v_add_u32_e32 v25, v24, v74
	;; [unrolled: 1-line block ×14, first 2 shown]
	v_mov_b32_e32 v7, s49
	s_waitcnt lgkmcnt(0)
	v_add_co_u32_e32 v6, vcc, s48, v4
	v_add_u32_e32 v64, v58, v68
	v_add_u32_e32 v68, v66, v71
	v_addc_co_u32_e32 v7, vcc, 0, v7, vcc
	v_add_u32_e32 v69, v68, v78
	v_mov_b32_e32 v22, s51
	v_sub_co_u32_e32 v23, vcc, s50, v2
	v_add_u32_e32 v71, v69, v73
	v_subbrev_co_u32_e32 v73, vcc, 0, v22, vcc
	v_add_co_u32_e32 v22, vcc, v23, v5
	v_addc_co_u32_e32 v23, vcc, 0, v73, vcc
	v_lshlrev_b32_e32 v73, 1, v2
	v_sub_u32_e32 v1, v1, v5
	v_add_u32_e32 v74, v73, v3
	v_sub_u32_e32 v20, v20, v4
	v_add_u32_e32 v1, v1, v2
	v_add_u32_e32 v31, v74, v31
	v_and_b32_e32 v33, 1, v33
	v_add_u32_e32 v74, v20, v1
	v_and_b32_e32 v32, 1, v32
	v_sub_u32_e32 v74, v31, v74
	v_cmp_eq_u32_e32 vcc, 1, v33
	v_cndmask_b32_e32 v1, v74, v1, vcc
	v_cmp_eq_u32_e32 vcc, 1, v32
	v_cndmask_b32_e32 v1, v1, v20, vcc
	v_lshlrev_b32_e32 v1, 2, v1
	v_sub_u32_e32 v20, v24, v5
	ds_write_b32 v1, v18
	v_sub_u32_e32 v1, v21, v4
	v_add_u32_e32 v20, v20, v2
	v_add_u32_e32 v24, v20, v1
	v_and_b32_e32 v21, 1, v35
	v_sub_u32_e32 v24, v31, v24
	v_and_b32_e32 v18, 1, v34
	v_add_u32_e32 v24, 1, v24
	v_cmp_eq_u32_e32 vcc, 1, v21
	v_cndmask_b32_e32 v20, v24, v20, vcc
	v_cmp_eq_u32_e32 vcc, 1, v18
	v_cndmask_b32_e32 v1, v20, v1, vcc
	v_lshlrev_b32_e32 v1, 2, v1
	ds_write_b32 v1, v19
	v_sub_u32_e32 v19, v25, v5
	v_sub_u32_e32 v1, v26, v4
	v_add_u32_e32 v19, v19, v2
	v_add_u32_e32 v21, v19, v1
	v_and_b32_e32 v20, 1, v37
	v_sub_u32_e32 v21, v31, v21
	v_and_b32_e32 v18, 1, v36
	v_add_u32_e32 v21, 2, v21
	v_cmp_eq_u32_e32 vcc, 1, v20
	v_cndmask_b32_e32 v19, v21, v19, vcc
	v_cmp_eq_u32_e32 vcc, 1, v18
	v_cndmask_b32_e32 v1, v19, v1, vcc
	v_lshlrev_b32_e32 v1, 2, v1
	v_sub_u32_e32 v18, v28, v5
	ds_write_b32 v1, v16
	v_sub_u32_e32 v1, v27, v4
	v_add_u32_e32 v18, v18, v2
	v_add_u32_e32 v20, v1, v18
	v_and_b32_e32 v19, 1, v38
	v_sub_u32_e32 v20, v31, v20
	v_and_b32_e32 v16, 1, v39
	v_add_u32_e32 v20, 3, v20
	v_cmp_eq_u32_e32 vcc, 1, v19
	v_cndmask_b32_e32 v18, v20, v18, vcc
	v_cmp_eq_u32_e32 vcc, 1, v16
	v_cndmask_b32_e32 v1, v18, v1, vcc
	v_lshlrev_b32_e32 v1, 2, v1
	ds_write_b32 v1, v17
	v_sub_u32_e32 v17, v29, v5
	v_sub_u32_e32 v1, v56, v4
	v_add_u32_e32 v17, v17, v2
	v_add_u32_e32 v19, v1, v17
	v_and_b32_e32 v18, 1, v40
	v_sub_u32_e32 v19, v31, v19
	v_and_b32_e32 v16, 1, v41
	v_add_u32_e32 v19, 4, v19
	;; [unrolled: 28-line block ×3, first 2 shown]
	v_cmp_eq_u32_e32 vcc, 1, v16
	v_cndmask_b32_e32 v15, v17, v15, vcc
	v_cmp_eq_u32_e32 vcc, 1, v14
	v_cndmask_b32_e32 v1, v15, v1, vcc
	v_lshlrev_b32_e32 v1, 2, v1
	v_sub_u32_e32 v14, v65, v5
	ds_write_b32 v1, v12
	v_sub_u32_e32 v1, v64, v4
	v_add_u32_e32 v14, v14, v2
	v_add_u32_e32 v16, v1, v14
	v_and_b32_e32 v15, 1, v46
	v_sub_u32_e32 v16, v31, v16
	v_and_b32_e32 v12, 1, v47
	v_add_u32_e32 v16, 7, v16
	v_cmp_eq_u32_e32 vcc, 1, v15
	v_cndmask_b32_e32 v14, v16, v14, vcc
	v_cmp_eq_u32_e32 vcc, 1, v12
	v_cndmask_b32_e32 v1, v14, v1, vcc
	v_lshlrev_b32_e32 v1, 2, v1
	v_add_u32_e32 v59, v64, v59
	ds_write_b32 v1, v13
	v_sub_u32_e32 v13, v66, v5
	v_sub_u32_e32 v1, v59, v4
	v_add_u32_e32 v13, v13, v2
	v_add_u32_e32 v15, v1, v13
	v_and_b32_e32 v14, 1, v48
	v_sub_u32_e32 v15, v31, v15
	v_and_b32_e32 v12, 1, v49
	v_add_u32_e32 v15, 8, v15
	v_cmp_eq_u32_e32 vcc, 1, v14
	v_cndmask_b32_e32 v13, v15, v13, vcc
	v_cmp_eq_u32_e32 vcc, 1, v12
	v_cndmask_b32_e32 v1, v13, v1, vcc
	v_add_u32_e32 v67, v59, v70
	v_lshlrev_b32_e32 v1, 2, v1
	v_sub_u32_e32 v12, v68, v5
	ds_write_b32 v1, v10
	v_sub_u32_e32 v1, v67, v4
	v_add_u32_e32 v12, v12, v2
	v_add_u32_e32 v14, v1, v12
	v_and_b32_e32 v13, 1, v50
	v_sub_u32_e32 v14, v31, v14
	v_and_b32_e32 v10, 1, v51
	v_add_u32_e32 v14, 9, v14
	v_cmp_eq_u32_e32 vcc, 1, v13
	v_cndmask_b32_e32 v12, v14, v12, vcc
	v_cmp_eq_u32_e32 vcc, 1, v10
	v_cndmask_b32_e32 v1, v12, v1, vcc
	v_lshlrev_b32_e32 v1, 2, v1
	v_add_u32_e32 v60, v67, v60
	ds_write_b32 v1, v11
	v_sub_u32_e32 v11, v69, v5
	v_sub_u32_e32 v1, v60, v4
	v_add_u32_e32 v11, v11, v2
	v_add_u32_e32 v13, v1, v11
	v_and_b32_e32 v12, 1, v52
	v_sub_u32_e32 v13, v31, v13
	v_and_b32_e32 v10, 1, v53
	v_add_u32_e32 v13, 10, v13
	v_cmp_eq_u32_e32 vcc, 1, v12
	v_cndmask_b32_e32 v11, v13, v11, vcc
	v_cmp_eq_u32_e32 vcc, 1, v10
	v_cndmask_b32_e32 v1, v11, v1, vcc
	v_add_u32_e32 v70, v60, v72
	v_lshlrev_b32_e32 v1, 2, v1
	v_sub_u32_e32 v10, v71, v5
	ds_write_b32 v1, v8
	v_sub_u32_e32 v1, v70, v4
	v_add_u32_e32 v10, v10, v2
	v_add_u32_e32 v12, v1, v10
	v_and_b32_e32 v11, 1, v54
	v_sub_u32_e32 v12, v31, v12
	v_and_b32_e32 v8, 1, v55
	v_add_u32_e32 v12, 11, v12
	v_cmp_eq_u32_e32 vcc, 1, v11
	v_cndmask_b32_e32 v10, v12, v10, vcc
	v_cmp_eq_u32_e32 vcc, 1, v8
	v_cndmask_b32_e32 v1, v10, v1, vcc
	v_add_u32_e32 v72, v71, v79
	v_add_u32_e32 v61, v70, v61
	v_lshlrev_b32_e32 v1, 2, v1
	ds_write_b32 v1, v9
	v_sub_u32_e32 v1, v61, v4
	v_sub_u32_e32 v4, v72, v5
	v_add_u32_e32 v4, v4, v2
	v_add_u32_e32 v8, v1, v4
	v_sub_u32_e32 v8, v31, v8
	v_add_u32_e32 v8, 12, v8
	v_cndmask_b32_e64 v4, v8, v4, s[58:59]
	v_cndmask_b32_e64 v1, v4, v1, s[46:47]
	v_lshlrev_b32_e32 v1, 2, v1
	ds_write_b32 v1, v30
	v_add_co_u32_e32 v1, vcc, v3, v73
	v_addc_co_u32_e64 v4, s[2:3], 0, 0, vcc
	v_add_co_u32_e32 v1, vcc, v1, v22
	v_addc_co_u32_e32 v4, vcc, v4, v23, vcc
	s_add_u32 s4, s56, s33
	v_add_co_u32_e32 v1, vcc, v1, v6
	s_addc_u32 s5, s57, 0
	v_addc_co_u32_e32 v4, vcc, v4, v7, vcc
	v_mov_b32_e32 v8, s5
	v_sub_co_u32_e32 v1, vcc, s4, v1
	v_subb_co_u32_e32 v4, vcc, v8, v4, vcc
	v_lshlrev_b64 v[8:9], 2, v[22:23]
	v_mov_b32_e32 v10, s55
	v_add_co_u32_e32 v8, vcc, s54, v8
	v_addc_co_u32_e32 v9, vcc, v10, v9, vcc
	v_lshlrev_b64 v[10:11], 2, v[6:7]
	v_mov_b32_e32 v13, s53
	v_add_co_u32_e32 v10, vcc, s52, v10
	s_add_u32 s6, s34, -4
	v_addc_co_u32_e32 v11, vcc, v13, v11, vcc
	s_addc_u32 s7, s35, -1
	v_add_u32_e32 v12, v2, v3
	s_and_b64 vcc, exec, s[0:1]
	s_mov_b64 s[0:1], -1
	s_waitcnt lgkmcnt(0)
	s_barrier
	s_cbranch_vccz .LBB1882_129
; %bb.126:
	s_and_b64 vcc, exec, s[0:1]
	s_cbranch_vccnz .LBB1882_234
.LBB1882_127:
	v_cmp_eq_u32_e32 vcc, 0, v0
	s_and_b64 s[0:1], vcc, s[30:31]
	s_and_saveexec_b64 s[2:3], s[0:1]
	s_cbranch_execnz .LBB1882_352
.LBB1882_128:
	s_endpgm
.LBB1882_129:
	v_cmp_le_u32_e32 vcc, v2, v0
	s_and_saveexec_b64 s[0:1], vcc
	s_xor_b64 s[0:1], exec, s[0:1]
	s_cbranch_execz .LBB1882_135
; %bb.130:
	v_cmp_le_u32_e32 vcc, v12, v0
	s_and_saveexec_b64 s[2:3], vcc
	s_xor_b64 s[2:3], exec, s[2:3]
	s_cbranch_execz .LBB1882_132
; %bb.131:
	v_lshlrev_b32_e32 v13, 2, v0
	v_add_co_u32_e32 v14, vcc, v1, v0
	ds_read_b32 v13, v13
	v_addc_co_u32_e32 v15, vcc, 0, v4, vcc
	v_lshlrev_b64 v[14:15], 2, v[14:15]
	v_mov_b32_e32 v16, s35
	v_sub_co_u32_e32 v14, vcc, s34, v14
	v_subb_co_u32_e32 v15, vcc, v16, v15, vcc
	s_waitcnt lgkmcnt(0)
	global_store_dword v[14:15], v13, off offset:-4
.LBB1882_132:
	s_andn2_saveexec_b64 s[2:3], s[2:3]
	s_cbranch_execz .LBB1882_134
; %bb.133:
	v_lshlrev_b32_e32 v13, 2, v0
	ds_read_b32 v14, v13
	v_readfirstlane_b32 s4, v8
	v_readfirstlane_b32 s5, v9
	s_waitcnt lgkmcnt(0)
	s_nop 3
	global_store_dword v13, v14, s[4:5]
.LBB1882_134:
	s_or_b64 exec, exec, s[2:3]
.LBB1882_135:
	s_andn2_saveexec_b64 s[0:1], s[0:1]
	s_cbranch_execz .LBB1882_137
; %bb.136:
	v_lshlrev_b32_e32 v13, 2, v0
	ds_read_b32 v14, v13
	v_readfirstlane_b32 s2, v10
	v_readfirstlane_b32 s3, v11
	s_waitcnt lgkmcnt(0)
	s_nop 3
	global_store_dword v13, v14, s[2:3]
.LBB1882_137:
	s_or_b64 exec, exec, s[0:1]
	v_or_b32_e32 v13, 0x100, v0
	v_cmp_le_u32_e32 vcc, v2, v13
	s_and_saveexec_b64 s[0:1], vcc
	s_xor_b64 s[0:1], exec, s[0:1]
	s_cbranch_execz .LBB1882_143
; %bb.138:
	v_cmp_le_u32_e32 vcc, v12, v13
	s_and_saveexec_b64 s[2:3], vcc
	s_xor_b64 s[2:3], exec, s[2:3]
	s_cbranch_execz .LBB1882_140
; %bb.139:
	v_lshlrev_b32_e32 v13, 2, v0
	ds_read_b32 v13, v13 offset:1024
	v_add_co_u32_e32 v14, vcc, v1, v0
	v_addc_co_u32_e32 v15, vcc, 0, v4, vcc
	v_lshlrev_b64 v[14:15], 2, v[14:15]
	v_mov_b32_e32 v16, s7
	v_sub_co_u32_e32 v14, vcc, s6, v14
	v_subb_co_u32_e32 v15, vcc, v16, v15, vcc
	s_waitcnt lgkmcnt(0)
	global_store_dword v[14:15], v13, off offset:-1024
.LBB1882_140:
	s_andn2_saveexec_b64 s[2:3], s[2:3]
	s_cbranch_execz .LBB1882_142
; %bb.141:
	v_lshlrev_b32_e32 v13, 2, v0
	ds_read_b32 v14, v13 offset:1024
	v_readfirstlane_b32 s4, v8
	v_readfirstlane_b32 s5, v9
	s_waitcnt lgkmcnt(0)
	s_nop 3
	global_store_dword v13, v14, s[4:5] offset:1024
.LBB1882_142:
	s_or_b64 exec, exec, s[2:3]
.LBB1882_143:
	s_andn2_saveexec_b64 s[0:1], s[0:1]
	s_cbranch_execz .LBB1882_145
; %bb.144:
	v_lshlrev_b32_e32 v13, 2, v0
	ds_read_b32 v14, v13 offset:1024
	v_readfirstlane_b32 s2, v10
	v_readfirstlane_b32 s3, v11
	s_waitcnt lgkmcnt(0)
	s_nop 3
	global_store_dword v13, v14, s[2:3] offset:1024
.LBB1882_145:
	s_or_b64 exec, exec, s[0:1]
	v_or_b32_e32 v13, 0x200, v0
	v_cmp_le_u32_e32 vcc, v2, v13
	s_and_saveexec_b64 s[0:1], vcc
	s_xor_b64 s[0:1], exec, s[0:1]
	s_cbranch_execz .LBB1882_151
; %bb.146:
	v_cmp_le_u32_e32 vcc, v12, v13
	s_and_saveexec_b64 s[2:3], vcc
	s_xor_b64 s[2:3], exec, s[2:3]
	s_cbranch_execz .LBB1882_148
; %bb.147:
	v_lshlrev_b32_e32 v13, 2, v0
	ds_read_b32 v13, v13 offset:2048
	v_add_co_u32_e32 v14, vcc, v1, v0
	v_addc_co_u32_e32 v15, vcc, 0, v4, vcc
	v_lshlrev_b64 v[14:15], 2, v[14:15]
	v_mov_b32_e32 v16, s7
	v_sub_co_u32_e32 v14, vcc, s6, v14
	v_subb_co_u32_e32 v15, vcc, v16, v15, vcc
	s_waitcnt lgkmcnt(0)
	global_store_dword v[14:15], v13, off offset:-2048
.LBB1882_148:
	s_andn2_saveexec_b64 s[2:3], s[2:3]
	s_cbranch_execz .LBB1882_150
; %bb.149:
	v_lshlrev_b32_e32 v13, 2, v0
	ds_read_b32 v14, v13 offset:2048
	v_readfirstlane_b32 s4, v8
	v_readfirstlane_b32 s5, v9
	s_waitcnt lgkmcnt(0)
	s_nop 3
	global_store_dword v13, v14, s[4:5] offset:2048
.LBB1882_150:
	s_or_b64 exec, exec, s[2:3]
.LBB1882_151:
	s_andn2_saveexec_b64 s[0:1], s[0:1]
	s_cbranch_execz .LBB1882_153
; %bb.152:
	v_lshlrev_b32_e32 v13, 2, v0
	ds_read_b32 v14, v13 offset:2048
	v_readfirstlane_b32 s2, v10
	v_readfirstlane_b32 s3, v11
	s_waitcnt lgkmcnt(0)
	s_nop 3
	global_store_dword v13, v14, s[2:3] offset:2048
.LBB1882_153:
	;; [unrolled: 47-line block ×3, first 2 shown]
	s_or_b64 exec, exec, s[0:1]
	v_or_b32_e32 v13, 0x400, v0
	v_cmp_le_u32_e32 vcc, v2, v13
	s_and_saveexec_b64 s[0:1], vcc
	s_xor_b64 s[0:1], exec, s[0:1]
	s_cbranch_execz .LBB1882_167
; %bb.162:
	v_cmp_le_u32_e32 vcc, v12, v13
	s_and_saveexec_b64 s[2:3], vcc
	s_xor_b64 s[2:3], exec, s[2:3]
	s_cbranch_execz .LBB1882_164
; %bb.163:
	v_lshlrev_b32_e32 v13, 2, v0
	ds_read_b32 v13, v13 offset:4096
	v_add_co_u32_e32 v14, vcc, v1, v0
	v_addc_co_u32_e32 v15, vcc, 0, v4, vcc
	v_lshlrev_b64 v[14:15], 2, v[14:15]
	v_mov_b32_e32 v16, s7
	v_sub_co_u32_e32 v14, vcc, s6, v14
	v_subb_co_u32_e32 v15, vcc, v16, v15, vcc
	s_waitcnt lgkmcnt(0)
	global_store_dword v[14:15], v13, off offset:-4096
                                        ; implicit-def: $vgpr13
.LBB1882_164:
	s_andn2_saveexec_b64 s[2:3], s[2:3]
	s_cbranch_execz .LBB1882_166
; %bb.165:
	v_lshlrev_b32_e32 v14, 2, v0
	ds_read_b32 v14, v14 offset:4096
	v_lshlrev_b32_e32 v13, 2, v13
	v_readfirstlane_b32 s4, v8
	v_readfirstlane_b32 s5, v9
	s_waitcnt lgkmcnt(0)
	s_nop 3
	global_store_dword v13, v14, s[4:5]
.LBB1882_166:
	s_or_b64 exec, exec, s[2:3]
                                        ; implicit-def: $vgpr13
.LBB1882_167:
	s_andn2_saveexec_b64 s[0:1], s[0:1]
	s_cbranch_execz .LBB1882_169
; %bb.168:
	v_lshlrev_b32_e32 v14, 2, v0
	ds_read_b32 v14, v14 offset:4096
	v_lshlrev_b32_e32 v13, 2, v13
	v_readfirstlane_b32 s2, v10
	v_readfirstlane_b32 s3, v11
	s_waitcnt lgkmcnt(0)
	s_nop 3
	global_store_dword v13, v14, s[2:3]
.LBB1882_169:
	s_or_b64 exec, exec, s[0:1]
	v_or_b32_e32 v13, 0x500, v0
	v_cmp_le_u32_e32 vcc, v2, v13
	s_and_saveexec_b64 s[0:1], vcc
	s_xor_b64 s[0:1], exec, s[0:1]
	s_cbranch_execz .LBB1882_175
; %bb.170:
	v_cmp_le_u32_e32 vcc, v12, v13
	s_and_saveexec_b64 s[2:3], vcc
	s_xor_b64 s[2:3], exec, s[2:3]
	s_cbranch_execz .LBB1882_172
; %bb.171:
	v_add_co_u32_e32 v14, vcc, v1, v13
	v_lshlrev_b32_e32 v13, 2, v0
	ds_read_b32 v13, v13 offset:5120
	v_addc_co_u32_e32 v15, vcc, 0, v4, vcc
	v_lshlrev_b64 v[14:15], 2, v[14:15]
	v_mov_b32_e32 v16, s7
	v_sub_co_u32_e32 v14, vcc, s6, v14
	v_subb_co_u32_e32 v15, vcc, v16, v15, vcc
	s_waitcnt lgkmcnt(0)
	global_store_dword v[14:15], v13, off
                                        ; implicit-def: $vgpr13
.LBB1882_172:
	s_andn2_saveexec_b64 s[2:3], s[2:3]
	s_cbranch_execz .LBB1882_174
; %bb.173:
	v_lshlrev_b32_e32 v14, 2, v0
	ds_read_b32 v14, v14 offset:5120
	v_lshlrev_b32_e32 v13, 2, v13
	v_readfirstlane_b32 s4, v8
	v_readfirstlane_b32 s5, v9
	s_waitcnt lgkmcnt(0)
	s_nop 3
	global_store_dword v13, v14, s[4:5]
.LBB1882_174:
	s_or_b64 exec, exec, s[2:3]
                                        ; implicit-def: $vgpr13
.LBB1882_175:
	s_andn2_saveexec_b64 s[0:1], s[0:1]
	s_cbranch_execz .LBB1882_177
; %bb.176:
	v_lshlrev_b32_e32 v14, 2, v0
	ds_read_b32 v14, v14 offset:5120
	v_lshlrev_b32_e32 v13, 2, v13
	v_readfirstlane_b32 s2, v10
	v_readfirstlane_b32 s3, v11
	s_waitcnt lgkmcnt(0)
	s_nop 3
	global_store_dword v13, v14, s[2:3]
.LBB1882_177:
	s_or_b64 exec, exec, s[0:1]
	v_or_b32_e32 v13, 0x600, v0
	v_cmp_le_u32_e32 vcc, v2, v13
	s_and_saveexec_b64 s[0:1], vcc
	s_xor_b64 s[0:1], exec, s[0:1]
	s_cbranch_execz .LBB1882_183
; %bb.178:
	v_cmp_le_u32_e32 vcc, v12, v13
	s_and_saveexec_b64 s[2:3], vcc
	s_xor_b64 s[2:3], exec, s[2:3]
	s_cbranch_execz .LBB1882_180
; %bb.179:
	v_add_co_u32_e32 v14, vcc, v1, v13
	v_lshlrev_b32_e32 v13, 2, v0
	ds_read_b32 v13, v13 offset:6144
	v_addc_co_u32_e32 v15, vcc, 0, v4, vcc
	v_lshlrev_b64 v[14:15], 2, v[14:15]
	v_mov_b32_e32 v16, s7
	v_sub_co_u32_e32 v14, vcc, s6, v14
	v_subb_co_u32_e32 v15, vcc, v16, v15, vcc
	s_waitcnt lgkmcnt(0)
	global_store_dword v[14:15], v13, off
                                        ; implicit-def: $vgpr13
.LBB1882_180:
	s_andn2_saveexec_b64 s[2:3], s[2:3]
	s_cbranch_execz .LBB1882_182
; %bb.181:
	v_lshlrev_b32_e32 v14, 2, v0
	ds_read_b32 v14, v14 offset:6144
	v_lshlrev_b32_e32 v13, 2, v13
	v_readfirstlane_b32 s4, v8
	v_readfirstlane_b32 s5, v9
	s_waitcnt lgkmcnt(0)
	s_nop 3
	global_store_dword v13, v14, s[4:5]
.LBB1882_182:
	s_or_b64 exec, exec, s[2:3]
                                        ; implicit-def: $vgpr13
.LBB1882_183:
	s_andn2_saveexec_b64 s[0:1], s[0:1]
	s_cbranch_execz .LBB1882_185
; %bb.184:
	v_lshlrev_b32_e32 v14, 2, v0
	ds_read_b32 v14, v14 offset:6144
	v_lshlrev_b32_e32 v13, 2, v13
	v_readfirstlane_b32 s2, v10
	v_readfirstlane_b32 s3, v11
	s_waitcnt lgkmcnt(0)
	s_nop 3
	global_store_dword v13, v14, s[2:3]
.LBB1882_185:
	s_or_b64 exec, exec, s[0:1]
	v_or_b32_e32 v13, 0x700, v0
	v_cmp_le_u32_e32 vcc, v2, v13
	s_and_saveexec_b64 s[0:1], vcc
	s_xor_b64 s[0:1], exec, s[0:1]
	s_cbranch_execz .LBB1882_191
; %bb.186:
	v_cmp_le_u32_e32 vcc, v12, v13
	s_and_saveexec_b64 s[2:3], vcc
	s_xor_b64 s[2:3], exec, s[2:3]
	s_cbranch_execz .LBB1882_188
; %bb.187:
	v_add_co_u32_e32 v14, vcc, v1, v13
	v_lshlrev_b32_e32 v13, 2, v0
	ds_read_b32 v13, v13 offset:7168
	v_addc_co_u32_e32 v15, vcc, 0, v4, vcc
	v_lshlrev_b64 v[14:15], 2, v[14:15]
	v_mov_b32_e32 v16, s7
	v_sub_co_u32_e32 v14, vcc, s6, v14
	v_subb_co_u32_e32 v15, vcc, v16, v15, vcc
	s_waitcnt lgkmcnt(0)
	global_store_dword v[14:15], v13, off
                                        ; implicit-def: $vgpr13
.LBB1882_188:
	s_andn2_saveexec_b64 s[2:3], s[2:3]
	s_cbranch_execz .LBB1882_190
; %bb.189:
	v_lshlrev_b32_e32 v14, 2, v0
	ds_read_b32 v14, v14 offset:7168
	v_lshlrev_b32_e32 v13, 2, v13
	v_readfirstlane_b32 s4, v8
	v_readfirstlane_b32 s5, v9
	s_waitcnt lgkmcnt(0)
	s_nop 3
	global_store_dword v13, v14, s[4:5]
.LBB1882_190:
	s_or_b64 exec, exec, s[2:3]
                                        ; implicit-def: $vgpr13
.LBB1882_191:
	s_andn2_saveexec_b64 s[0:1], s[0:1]
	s_cbranch_execz .LBB1882_193
; %bb.192:
	v_lshlrev_b32_e32 v14, 2, v0
	ds_read_b32 v14, v14 offset:7168
	v_lshlrev_b32_e32 v13, 2, v13
	v_readfirstlane_b32 s2, v10
	v_readfirstlane_b32 s3, v11
	s_waitcnt lgkmcnt(0)
	s_nop 3
	global_store_dword v13, v14, s[2:3]
.LBB1882_193:
	s_or_b64 exec, exec, s[0:1]
	v_or_b32_e32 v13, 0x800, v0
	v_cmp_le_u32_e32 vcc, v2, v13
	s_and_saveexec_b64 s[0:1], vcc
	s_xor_b64 s[0:1], exec, s[0:1]
	s_cbranch_execz .LBB1882_199
; %bb.194:
	v_cmp_le_u32_e32 vcc, v12, v13
	s_and_saveexec_b64 s[2:3], vcc
	s_xor_b64 s[2:3], exec, s[2:3]
	s_cbranch_execz .LBB1882_196
; %bb.195:
	v_add_co_u32_e32 v14, vcc, v1, v13
	v_lshlrev_b32_e32 v13, 2, v0
	ds_read_b32 v13, v13 offset:8192
	v_addc_co_u32_e32 v15, vcc, 0, v4, vcc
	v_lshlrev_b64 v[14:15], 2, v[14:15]
	v_mov_b32_e32 v16, s7
	v_sub_co_u32_e32 v14, vcc, s6, v14
	v_subb_co_u32_e32 v15, vcc, v16, v15, vcc
	s_waitcnt lgkmcnt(0)
	global_store_dword v[14:15], v13, off
                                        ; implicit-def: $vgpr13
.LBB1882_196:
	s_andn2_saveexec_b64 s[2:3], s[2:3]
	s_cbranch_execz .LBB1882_198
; %bb.197:
	v_lshlrev_b32_e32 v14, 2, v0
	ds_read_b32 v14, v14 offset:8192
	v_lshlrev_b32_e32 v13, 2, v13
	v_readfirstlane_b32 s4, v8
	v_readfirstlane_b32 s5, v9
	s_waitcnt lgkmcnt(0)
	s_nop 3
	global_store_dword v13, v14, s[4:5]
.LBB1882_198:
	s_or_b64 exec, exec, s[2:3]
                                        ; implicit-def: $vgpr13
.LBB1882_199:
	s_andn2_saveexec_b64 s[0:1], s[0:1]
	s_cbranch_execz .LBB1882_201
; %bb.200:
	v_lshlrev_b32_e32 v14, 2, v0
	ds_read_b32 v14, v14 offset:8192
	v_lshlrev_b32_e32 v13, 2, v13
	v_readfirstlane_b32 s2, v10
	v_readfirstlane_b32 s3, v11
	s_waitcnt lgkmcnt(0)
	s_nop 3
	global_store_dword v13, v14, s[2:3]
.LBB1882_201:
	s_or_b64 exec, exec, s[0:1]
	v_or_b32_e32 v13, 0x900, v0
	v_cmp_le_u32_e32 vcc, v2, v13
	s_and_saveexec_b64 s[0:1], vcc
	s_xor_b64 s[0:1], exec, s[0:1]
	s_cbranch_execz .LBB1882_207
; %bb.202:
	v_cmp_le_u32_e32 vcc, v12, v13
	s_and_saveexec_b64 s[2:3], vcc
	s_xor_b64 s[2:3], exec, s[2:3]
	s_cbranch_execz .LBB1882_204
; %bb.203:
	v_add_co_u32_e32 v14, vcc, v1, v13
	v_lshlrev_b32_e32 v13, 2, v0
	ds_read_b32 v13, v13 offset:9216
	v_addc_co_u32_e32 v15, vcc, 0, v4, vcc
	v_lshlrev_b64 v[14:15], 2, v[14:15]
	v_mov_b32_e32 v16, s7
	v_sub_co_u32_e32 v14, vcc, s6, v14
	v_subb_co_u32_e32 v15, vcc, v16, v15, vcc
	s_waitcnt lgkmcnt(0)
	global_store_dword v[14:15], v13, off
                                        ; implicit-def: $vgpr13
.LBB1882_204:
	s_andn2_saveexec_b64 s[2:3], s[2:3]
	s_cbranch_execz .LBB1882_206
; %bb.205:
	v_lshlrev_b32_e32 v14, 2, v0
	ds_read_b32 v14, v14 offset:9216
	v_lshlrev_b32_e32 v13, 2, v13
	v_readfirstlane_b32 s4, v8
	v_readfirstlane_b32 s5, v9
	s_waitcnt lgkmcnt(0)
	s_nop 3
	global_store_dword v13, v14, s[4:5]
.LBB1882_206:
	s_or_b64 exec, exec, s[2:3]
                                        ; implicit-def: $vgpr13
.LBB1882_207:
	s_andn2_saveexec_b64 s[0:1], s[0:1]
	s_cbranch_execz .LBB1882_209
; %bb.208:
	v_lshlrev_b32_e32 v14, 2, v0
	ds_read_b32 v14, v14 offset:9216
	v_lshlrev_b32_e32 v13, 2, v13
	v_readfirstlane_b32 s2, v10
	v_readfirstlane_b32 s3, v11
	s_waitcnt lgkmcnt(0)
	s_nop 3
	global_store_dword v13, v14, s[2:3]
.LBB1882_209:
	s_or_b64 exec, exec, s[0:1]
	v_or_b32_e32 v13, 0xa00, v0
	v_cmp_le_u32_e32 vcc, v2, v13
	s_and_saveexec_b64 s[0:1], vcc
	s_xor_b64 s[0:1], exec, s[0:1]
	s_cbranch_execz .LBB1882_215
; %bb.210:
	v_cmp_le_u32_e32 vcc, v12, v13
	s_and_saveexec_b64 s[2:3], vcc
	s_xor_b64 s[2:3], exec, s[2:3]
	s_cbranch_execz .LBB1882_212
; %bb.211:
	v_add_co_u32_e32 v14, vcc, v1, v13
	v_lshlrev_b32_e32 v13, 2, v0
	ds_read_b32 v13, v13 offset:10240
	v_addc_co_u32_e32 v15, vcc, 0, v4, vcc
	v_lshlrev_b64 v[14:15], 2, v[14:15]
	v_mov_b32_e32 v16, s7
	v_sub_co_u32_e32 v14, vcc, s6, v14
	v_subb_co_u32_e32 v15, vcc, v16, v15, vcc
	s_waitcnt lgkmcnt(0)
	global_store_dword v[14:15], v13, off
                                        ; implicit-def: $vgpr13
.LBB1882_212:
	s_andn2_saveexec_b64 s[2:3], s[2:3]
	s_cbranch_execz .LBB1882_214
; %bb.213:
	v_lshlrev_b32_e32 v14, 2, v0
	ds_read_b32 v14, v14 offset:10240
	v_lshlrev_b32_e32 v13, 2, v13
	v_readfirstlane_b32 s4, v8
	v_readfirstlane_b32 s5, v9
	s_waitcnt lgkmcnt(0)
	s_nop 3
	global_store_dword v13, v14, s[4:5]
.LBB1882_214:
	s_or_b64 exec, exec, s[2:3]
                                        ; implicit-def: $vgpr13
.LBB1882_215:
	s_andn2_saveexec_b64 s[0:1], s[0:1]
	s_cbranch_execz .LBB1882_217
; %bb.216:
	v_lshlrev_b32_e32 v14, 2, v0
	ds_read_b32 v14, v14 offset:10240
	v_lshlrev_b32_e32 v13, 2, v13
	v_readfirstlane_b32 s2, v10
	v_readfirstlane_b32 s3, v11
	s_waitcnt lgkmcnt(0)
	s_nop 3
	global_store_dword v13, v14, s[2:3]
.LBB1882_217:
	s_or_b64 exec, exec, s[0:1]
	v_or_b32_e32 v13, 0xb00, v0
	v_cmp_le_u32_e32 vcc, v2, v13
	s_and_saveexec_b64 s[0:1], vcc
	s_xor_b64 s[0:1], exec, s[0:1]
	s_cbranch_execz .LBB1882_223
; %bb.218:
	v_cmp_le_u32_e32 vcc, v12, v13
	s_and_saveexec_b64 s[2:3], vcc
	s_xor_b64 s[2:3], exec, s[2:3]
	s_cbranch_execz .LBB1882_220
; %bb.219:
	v_add_co_u32_e32 v14, vcc, v1, v13
	v_lshlrev_b32_e32 v13, 2, v0
	ds_read_b32 v13, v13 offset:11264
	v_addc_co_u32_e32 v15, vcc, 0, v4, vcc
	v_lshlrev_b64 v[14:15], 2, v[14:15]
	v_mov_b32_e32 v16, s7
	v_sub_co_u32_e32 v14, vcc, s6, v14
	v_subb_co_u32_e32 v15, vcc, v16, v15, vcc
	s_waitcnt lgkmcnt(0)
	global_store_dword v[14:15], v13, off
                                        ; implicit-def: $vgpr13
.LBB1882_220:
	s_andn2_saveexec_b64 s[2:3], s[2:3]
	s_cbranch_execz .LBB1882_222
; %bb.221:
	v_lshlrev_b32_e32 v14, 2, v0
	ds_read_b32 v14, v14 offset:11264
	v_lshlrev_b32_e32 v13, 2, v13
	v_readfirstlane_b32 s4, v8
	v_readfirstlane_b32 s5, v9
	s_waitcnt lgkmcnt(0)
	s_nop 3
	global_store_dword v13, v14, s[4:5]
.LBB1882_222:
	s_or_b64 exec, exec, s[2:3]
                                        ; implicit-def: $vgpr13
.LBB1882_223:
	s_andn2_saveexec_b64 s[0:1], s[0:1]
	s_cbranch_execz .LBB1882_225
; %bb.224:
	v_lshlrev_b32_e32 v14, 2, v0
	ds_read_b32 v14, v14 offset:11264
	v_lshlrev_b32_e32 v13, 2, v13
	v_readfirstlane_b32 s2, v10
	v_readfirstlane_b32 s3, v11
	s_waitcnt lgkmcnt(0)
	s_nop 3
	global_store_dword v13, v14, s[2:3]
.LBB1882_225:
	s_or_b64 exec, exec, s[0:1]
	v_or_b32_e32 v13, 0xc00, v0
	v_cmp_le_u32_e32 vcc, v2, v13
	s_and_saveexec_b64 s[0:1], vcc
	s_xor_b64 s[0:1], exec, s[0:1]
	s_cbranch_execz .LBB1882_231
; %bb.226:
	v_cmp_le_u32_e32 vcc, v12, v13
	s_and_saveexec_b64 s[2:3], vcc
	s_xor_b64 s[2:3], exec, s[2:3]
	s_cbranch_execz .LBB1882_228
; %bb.227:
	v_add_co_u32_e32 v14, vcc, v1, v13
	v_lshlrev_b32_e32 v13, 2, v0
	ds_read_b32 v13, v13 offset:12288
	v_addc_co_u32_e32 v15, vcc, 0, v4, vcc
	v_lshlrev_b64 v[14:15], 2, v[14:15]
	v_mov_b32_e32 v16, s7
	v_sub_co_u32_e32 v14, vcc, s6, v14
	v_subb_co_u32_e32 v15, vcc, v16, v15, vcc
	s_waitcnt lgkmcnt(0)
	global_store_dword v[14:15], v13, off
                                        ; implicit-def: $vgpr13
.LBB1882_228:
	s_andn2_saveexec_b64 s[2:3], s[2:3]
	s_cbranch_execz .LBB1882_230
; %bb.229:
	v_lshlrev_b32_e32 v14, 2, v0
	ds_read_b32 v14, v14 offset:12288
	v_lshlrev_b32_e32 v13, 2, v13
	v_readfirstlane_b32 s4, v8
	v_readfirstlane_b32 s5, v9
	s_waitcnt lgkmcnt(0)
	s_nop 3
	global_store_dword v13, v14, s[4:5]
.LBB1882_230:
	s_or_b64 exec, exec, s[2:3]
                                        ; implicit-def: $vgpr13
.LBB1882_231:
	s_andn2_saveexec_b64 s[0:1], s[0:1]
	s_cbranch_execz .LBB1882_233
; %bb.232:
	v_lshlrev_b32_e32 v14, 2, v0
	ds_read_b32 v14, v14 offset:12288
	v_lshlrev_b32_e32 v13, 2, v13
	v_readfirstlane_b32 s2, v10
	v_readfirstlane_b32 s3, v11
	s_waitcnt lgkmcnt(0)
	s_nop 3
	global_store_dword v13, v14, s[2:3]
.LBB1882_233:
	s_or_b64 exec, exec, s[0:1]
	s_branch .LBB1882_127
.LBB1882_234:
	v_cmp_gt_u32_e32 vcc, s18, v0
	s_and_saveexec_b64 s[0:1], vcc
	s_cbranch_execz .LBB1882_243
; %bb.235:
	v_cmp_le_u32_e32 vcc, v2, v0
	s_and_saveexec_b64 s[2:3], vcc
	s_xor_b64 s[2:3], exec, s[2:3]
	s_cbranch_execz .LBB1882_241
; %bb.236:
	v_cmp_le_u32_e32 vcc, v12, v0
	s_and_saveexec_b64 s[4:5], vcc
	s_xor_b64 s[4:5], exec, s[4:5]
	s_cbranch_execz .LBB1882_238
; %bb.237:
	v_lshlrev_b32_e32 v13, 2, v0
	v_add_co_u32_e32 v14, vcc, v1, v0
	ds_read_b32 v13, v13
	v_addc_co_u32_e32 v15, vcc, 0, v4, vcc
	v_lshlrev_b64 v[14:15], 2, v[14:15]
	v_mov_b32_e32 v16, s35
	v_sub_co_u32_e32 v14, vcc, s34, v14
	v_subb_co_u32_e32 v15, vcc, v16, v15, vcc
	s_waitcnt lgkmcnt(0)
	global_store_dword v[14:15], v13, off offset:-4
.LBB1882_238:
	s_andn2_saveexec_b64 s[4:5], s[4:5]
	s_cbranch_execz .LBB1882_240
; %bb.239:
	v_lshlrev_b32_e32 v13, 2, v0
	ds_read_b32 v14, v13
	v_readfirstlane_b32 s8, v8
	v_readfirstlane_b32 s9, v9
	s_waitcnt lgkmcnt(0)
	s_nop 3
	global_store_dword v13, v14, s[8:9]
.LBB1882_240:
	s_or_b64 exec, exec, s[4:5]
.LBB1882_241:
	s_andn2_saveexec_b64 s[2:3], s[2:3]
	s_cbranch_execz .LBB1882_243
; %bb.242:
	v_lshlrev_b32_e32 v13, 2, v0
	ds_read_b32 v14, v13
	v_readfirstlane_b32 s2, v10
	v_readfirstlane_b32 s3, v11
	s_waitcnt lgkmcnt(0)
	s_nop 3
	global_store_dword v13, v14, s[2:3]
.LBB1882_243:
	s_or_b64 exec, exec, s[0:1]
	v_or_b32_e32 v13, 0x100, v0
	v_cmp_gt_u32_e32 vcc, s18, v13
	s_and_saveexec_b64 s[0:1], vcc
	s_cbranch_execz .LBB1882_252
; %bb.244:
	v_cmp_le_u32_e32 vcc, v2, v13
	s_and_saveexec_b64 s[2:3], vcc
	s_xor_b64 s[2:3], exec, s[2:3]
	s_cbranch_execz .LBB1882_250
; %bb.245:
	v_cmp_le_u32_e32 vcc, v12, v13
	s_and_saveexec_b64 s[4:5], vcc
	s_xor_b64 s[4:5], exec, s[4:5]
	s_cbranch_execz .LBB1882_247
; %bb.246:
	v_lshlrev_b32_e32 v13, 2, v0
	ds_read_b32 v13, v13 offset:1024
	v_add_co_u32_e32 v14, vcc, v1, v0
	v_addc_co_u32_e32 v15, vcc, 0, v4, vcc
	v_lshlrev_b64 v[14:15], 2, v[14:15]
	v_mov_b32_e32 v16, s7
	v_sub_co_u32_e32 v14, vcc, s6, v14
	v_subb_co_u32_e32 v15, vcc, v16, v15, vcc
	s_waitcnt lgkmcnt(0)
	global_store_dword v[14:15], v13, off offset:-1024
.LBB1882_247:
	s_andn2_saveexec_b64 s[4:5], s[4:5]
	s_cbranch_execz .LBB1882_249
; %bb.248:
	v_lshlrev_b32_e32 v13, 2, v0
	ds_read_b32 v14, v13 offset:1024
	v_readfirstlane_b32 s8, v8
	v_readfirstlane_b32 s9, v9
	s_waitcnt lgkmcnt(0)
	s_nop 3
	global_store_dword v13, v14, s[8:9] offset:1024
.LBB1882_249:
	s_or_b64 exec, exec, s[4:5]
.LBB1882_250:
	s_andn2_saveexec_b64 s[2:3], s[2:3]
	s_cbranch_execz .LBB1882_252
; %bb.251:
	v_lshlrev_b32_e32 v13, 2, v0
	ds_read_b32 v14, v13 offset:1024
	v_readfirstlane_b32 s2, v10
	v_readfirstlane_b32 s3, v11
	s_waitcnt lgkmcnt(0)
	s_nop 3
	global_store_dword v13, v14, s[2:3] offset:1024
.LBB1882_252:
	s_or_b64 exec, exec, s[0:1]
	v_or_b32_e32 v13, 0x200, v0
	v_cmp_gt_u32_e32 vcc, s18, v13
	s_and_saveexec_b64 s[0:1], vcc
	s_cbranch_execz .LBB1882_261
; %bb.253:
	v_cmp_le_u32_e32 vcc, v2, v13
	s_and_saveexec_b64 s[2:3], vcc
	s_xor_b64 s[2:3], exec, s[2:3]
	s_cbranch_execz .LBB1882_259
; %bb.254:
	v_cmp_le_u32_e32 vcc, v12, v13
	s_and_saveexec_b64 s[4:5], vcc
	s_xor_b64 s[4:5], exec, s[4:5]
	s_cbranch_execz .LBB1882_256
; %bb.255:
	v_lshlrev_b32_e32 v13, 2, v0
	ds_read_b32 v13, v13 offset:2048
	v_add_co_u32_e32 v14, vcc, v1, v0
	v_addc_co_u32_e32 v15, vcc, 0, v4, vcc
	v_lshlrev_b64 v[14:15], 2, v[14:15]
	v_mov_b32_e32 v16, s7
	v_sub_co_u32_e32 v14, vcc, s6, v14
	v_subb_co_u32_e32 v15, vcc, v16, v15, vcc
	s_waitcnt lgkmcnt(0)
	global_store_dword v[14:15], v13, off offset:-2048
.LBB1882_256:
	s_andn2_saveexec_b64 s[4:5], s[4:5]
	s_cbranch_execz .LBB1882_258
; %bb.257:
	v_lshlrev_b32_e32 v13, 2, v0
	ds_read_b32 v14, v13 offset:2048
	v_readfirstlane_b32 s8, v8
	v_readfirstlane_b32 s9, v9
	s_waitcnt lgkmcnt(0)
	s_nop 3
	global_store_dword v13, v14, s[8:9] offset:2048
.LBB1882_258:
	s_or_b64 exec, exec, s[4:5]
.LBB1882_259:
	s_andn2_saveexec_b64 s[2:3], s[2:3]
	s_cbranch_execz .LBB1882_261
; %bb.260:
	v_lshlrev_b32_e32 v13, 2, v0
	ds_read_b32 v14, v13 offset:2048
	v_readfirstlane_b32 s2, v10
	v_readfirstlane_b32 s3, v11
	s_waitcnt lgkmcnt(0)
	s_nop 3
	global_store_dword v13, v14, s[2:3] offset:2048
.LBB1882_261:
	;; [unrolled: 51-line block ×3, first 2 shown]
	s_or_b64 exec, exec, s[0:1]
	v_or_b32_e32 v13, 0x400, v0
	v_cmp_gt_u32_e32 vcc, s18, v13
	s_and_saveexec_b64 s[0:1], vcc
	s_cbranch_execz .LBB1882_279
; %bb.271:
	v_cmp_le_u32_e32 vcc, v2, v13
	s_and_saveexec_b64 s[2:3], vcc
	s_xor_b64 s[2:3], exec, s[2:3]
	s_cbranch_execz .LBB1882_277
; %bb.272:
	v_cmp_le_u32_e32 vcc, v12, v13
	s_and_saveexec_b64 s[4:5], vcc
	s_xor_b64 s[4:5], exec, s[4:5]
	s_cbranch_execz .LBB1882_274
; %bb.273:
	v_lshlrev_b32_e32 v13, 2, v0
	ds_read_b32 v13, v13 offset:4096
	v_add_co_u32_e32 v14, vcc, v1, v0
	v_addc_co_u32_e32 v15, vcc, 0, v4, vcc
	v_lshlrev_b64 v[14:15], 2, v[14:15]
	v_mov_b32_e32 v16, s7
	v_sub_co_u32_e32 v14, vcc, s6, v14
	v_subb_co_u32_e32 v15, vcc, v16, v15, vcc
	s_waitcnt lgkmcnt(0)
	global_store_dword v[14:15], v13, off offset:-4096
                                        ; implicit-def: $vgpr13
.LBB1882_274:
	s_andn2_saveexec_b64 s[4:5], s[4:5]
	s_cbranch_execz .LBB1882_276
; %bb.275:
	v_lshlrev_b32_e32 v14, 2, v0
	ds_read_b32 v14, v14 offset:4096
	v_lshlrev_b32_e32 v13, 2, v13
	v_readfirstlane_b32 s8, v8
	v_readfirstlane_b32 s9, v9
	s_waitcnt lgkmcnt(0)
	s_nop 3
	global_store_dword v13, v14, s[8:9]
.LBB1882_276:
	s_or_b64 exec, exec, s[4:5]
                                        ; implicit-def: $vgpr13
.LBB1882_277:
	s_andn2_saveexec_b64 s[2:3], s[2:3]
	s_cbranch_execz .LBB1882_279
; %bb.278:
	v_lshlrev_b32_e32 v14, 2, v0
	ds_read_b32 v14, v14 offset:4096
	v_lshlrev_b32_e32 v13, 2, v13
	v_readfirstlane_b32 s2, v10
	v_readfirstlane_b32 s3, v11
	s_waitcnt lgkmcnt(0)
	s_nop 3
	global_store_dword v13, v14, s[2:3]
.LBB1882_279:
	s_or_b64 exec, exec, s[0:1]
	v_or_b32_e32 v13, 0x500, v0
	v_cmp_gt_u32_e32 vcc, s18, v13
	s_and_saveexec_b64 s[0:1], vcc
	s_cbranch_execz .LBB1882_288
; %bb.280:
	v_cmp_le_u32_e32 vcc, v2, v13
	s_and_saveexec_b64 s[2:3], vcc
	s_xor_b64 s[2:3], exec, s[2:3]
	s_cbranch_execz .LBB1882_286
; %bb.281:
	v_cmp_le_u32_e32 vcc, v12, v13
	s_and_saveexec_b64 s[4:5], vcc
	s_xor_b64 s[4:5], exec, s[4:5]
	s_cbranch_execz .LBB1882_283
; %bb.282:
	v_add_co_u32_e32 v14, vcc, v1, v13
	v_lshlrev_b32_e32 v13, 2, v0
	ds_read_b32 v13, v13 offset:5120
	v_addc_co_u32_e32 v15, vcc, 0, v4, vcc
	v_lshlrev_b64 v[14:15], 2, v[14:15]
	v_mov_b32_e32 v16, s7
	v_sub_co_u32_e32 v14, vcc, s6, v14
	v_subb_co_u32_e32 v15, vcc, v16, v15, vcc
	s_waitcnt lgkmcnt(0)
	global_store_dword v[14:15], v13, off
                                        ; implicit-def: $vgpr13
.LBB1882_283:
	s_andn2_saveexec_b64 s[4:5], s[4:5]
	s_cbranch_execz .LBB1882_285
; %bb.284:
	v_lshlrev_b32_e32 v14, 2, v0
	ds_read_b32 v14, v14 offset:5120
	v_lshlrev_b32_e32 v13, 2, v13
	v_readfirstlane_b32 s8, v8
	v_readfirstlane_b32 s9, v9
	s_waitcnt lgkmcnt(0)
	s_nop 3
	global_store_dword v13, v14, s[8:9]
.LBB1882_285:
	s_or_b64 exec, exec, s[4:5]
                                        ; implicit-def: $vgpr13
.LBB1882_286:
	s_andn2_saveexec_b64 s[2:3], s[2:3]
	s_cbranch_execz .LBB1882_288
; %bb.287:
	v_lshlrev_b32_e32 v14, 2, v0
	ds_read_b32 v14, v14 offset:5120
	v_lshlrev_b32_e32 v13, 2, v13
	v_readfirstlane_b32 s2, v10
	v_readfirstlane_b32 s3, v11
	s_waitcnt lgkmcnt(0)
	s_nop 3
	global_store_dword v13, v14, s[2:3]
.LBB1882_288:
	s_or_b64 exec, exec, s[0:1]
	v_or_b32_e32 v13, 0x600, v0
	v_cmp_gt_u32_e32 vcc, s18, v13
	s_and_saveexec_b64 s[0:1], vcc
	s_cbranch_execz .LBB1882_297
; %bb.289:
	v_cmp_le_u32_e32 vcc, v2, v13
	s_and_saveexec_b64 s[2:3], vcc
	s_xor_b64 s[2:3], exec, s[2:3]
	s_cbranch_execz .LBB1882_295
; %bb.290:
	v_cmp_le_u32_e32 vcc, v12, v13
	s_and_saveexec_b64 s[4:5], vcc
	s_xor_b64 s[4:5], exec, s[4:5]
	s_cbranch_execz .LBB1882_292
; %bb.291:
	v_add_co_u32_e32 v14, vcc, v1, v13
	v_lshlrev_b32_e32 v13, 2, v0
	ds_read_b32 v13, v13 offset:6144
	v_addc_co_u32_e32 v15, vcc, 0, v4, vcc
	v_lshlrev_b64 v[14:15], 2, v[14:15]
	v_mov_b32_e32 v16, s7
	v_sub_co_u32_e32 v14, vcc, s6, v14
	v_subb_co_u32_e32 v15, vcc, v16, v15, vcc
	s_waitcnt lgkmcnt(0)
	global_store_dword v[14:15], v13, off
                                        ; implicit-def: $vgpr13
.LBB1882_292:
	s_andn2_saveexec_b64 s[4:5], s[4:5]
	s_cbranch_execz .LBB1882_294
; %bb.293:
	v_lshlrev_b32_e32 v14, 2, v0
	ds_read_b32 v14, v14 offset:6144
	v_lshlrev_b32_e32 v13, 2, v13
	v_readfirstlane_b32 s8, v8
	v_readfirstlane_b32 s9, v9
	s_waitcnt lgkmcnt(0)
	s_nop 3
	global_store_dword v13, v14, s[8:9]
.LBB1882_294:
	s_or_b64 exec, exec, s[4:5]
                                        ; implicit-def: $vgpr13
.LBB1882_295:
	s_andn2_saveexec_b64 s[2:3], s[2:3]
	s_cbranch_execz .LBB1882_297
; %bb.296:
	v_lshlrev_b32_e32 v14, 2, v0
	ds_read_b32 v14, v14 offset:6144
	v_lshlrev_b32_e32 v13, 2, v13
	v_readfirstlane_b32 s2, v10
	v_readfirstlane_b32 s3, v11
	s_waitcnt lgkmcnt(0)
	s_nop 3
	global_store_dword v13, v14, s[2:3]
.LBB1882_297:
	;; [unrolled: 55-line block ×7, first 2 shown]
	s_or_b64 exec, exec, s[0:1]
	v_or_b32_e32 v13, 0xc00, v0
	v_cmp_gt_u32_e32 vcc, s18, v13
	s_and_saveexec_b64 s[0:1], vcc
	s_cbranch_execz .LBB1882_351
; %bb.343:
	v_cmp_le_u32_e32 vcc, v2, v13
	s_and_saveexec_b64 s[2:3], vcc
	s_xor_b64 s[2:3], exec, s[2:3]
	s_cbranch_execz .LBB1882_349
; %bb.344:
	v_cmp_le_u32_e32 vcc, v12, v13
	s_and_saveexec_b64 s[4:5], vcc
	s_xor_b64 s[4:5], exec, s[4:5]
	s_cbranch_execz .LBB1882_346
; %bb.345:
	v_add_co_u32_e32 v8, vcc, v1, v13
	v_lshlrev_b32_e32 v1, 2, v0
	ds_read_b32 v1, v1 offset:12288
	v_addc_co_u32_e32 v9, vcc, 0, v4, vcc
	v_lshlrev_b64 v[8:9], 2, v[8:9]
	v_mov_b32_e32 v4, s7
	v_sub_co_u32_e32 v8, vcc, s6, v8
	v_subb_co_u32_e32 v9, vcc, v4, v9, vcc
	s_waitcnt lgkmcnt(0)
	global_store_dword v[8:9], v1, off
                                        ; implicit-def: $vgpr13
                                        ; implicit-def: $vgpr8_vgpr9
.LBB1882_346:
	s_andn2_saveexec_b64 s[4:5], s[4:5]
	s_cbranch_execz .LBB1882_348
; %bb.347:
	v_lshlrev_b32_e32 v1, 2, v0
	ds_read_b32 v1, v1 offset:12288
	v_lshlrev_b32_e32 v4, 2, v13
	v_readfirstlane_b32 s6, v8
	v_readfirstlane_b32 s7, v9
	s_waitcnt lgkmcnt(0)
	s_nop 3
	global_store_dword v4, v1, s[6:7]
.LBB1882_348:
	s_or_b64 exec, exec, s[4:5]
                                        ; implicit-def: $vgpr13
                                        ; implicit-def: $vgpr10_vgpr11
.LBB1882_349:
	s_andn2_saveexec_b64 s[2:3], s[2:3]
	s_cbranch_execz .LBB1882_351
; %bb.350:
	v_lshlrev_b32_e32 v1, 2, v0
	ds_read_b32 v1, v1 offset:12288
	v_lshlrev_b32_e32 v4, 2, v13
	v_readfirstlane_b32 s2, v10
	v_readfirstlane_b32 s3, v11
	s_waitcnt lgkmcnt(0)
	s_nop 3
	global_store_dword v4, v1, s[2:3]
.LBB1882_351:
	s_or_b64 exec, exec, s[0:1]
	v_cmp_eq_u32_e32 vcc, 0, v0
	s_and_b64 s[0:1], vcc, s[30:31]
	s_and_saveexec_b64 s[2:3], s[0:1]
	s_cbranch_execz .LBB1882_128
.LBB1882_352:
	v_add_co_u32_e32 v0, vcc, v6, v2
	v_addc_co_u32_e32 v1, vcc, 0, v7, vcc
	v_mov_b32_e32 v2, s51
	v_add_co_u32_e32 v3, vcc, s50, v3
	v_addc_co_u32_e32 v6, vcc, 0, v2, vcc
	v_add_co_u32_e32 v2, vcc, v3, v5
	v_mov_b32_e32 v4, 0
	v_addc_co_u32_e32 v3, vcc, 0, v6, vcc
	global_store_dwordx4 v4, v[0:3], s[44:45]
	s_endpgm
	.section	.rodata,"a",@progbits
	.p2align	6, 0x0
	.amdhsa_kernel _ZN7rocprim17ROCPRIM_400000_NS6detail17trampoline_kernelINS0_13select_configILj256ELj13ELNS0_17block_load_methodE3ELS4_3ELS4_3ELNS0_20block_scan_algorithmE0ELj4294967295EEENS1_25partition_config_selectorILNS1_17partition_subalgoE4EjNS0_10empty_typeEbEEZZNS1_14partition_implILS8_4ELb0ES6_15HIP_vector_typeIjLj2EENS0_17counting_iteratorIjlEEPS9_SG_NS0_5tupleIJPjSI_NS0_16reverse_iteratorISI_EEEEENSH_IJSG_SG_SG_EEES9_SI_JZNS1_25segmented_radix_sort_implINS0_14default_configELb1EPK12hip_bfloat16PSP_PKlPlN2at6native12_GLOBAL__N_18offset_tEEE10hipError_tPvRmT1_PNSt15iterator_traitsIS13_E10value_typeET2_T3_PNS14_IS19_E10value_typeET4_jRbjT5_S1F_jjP12ihipStream_tbEUljE_ZNSN_ISO_Lb1ESR_SS_SU_SV_SZ_EES10_S11_S12_S13_S17_S18_S19_S1C_S1D_jS1E_jS1F_S1F_jjS1H_bEUljE0_EEES10_S11_S12_S19_S1D_S1F_T6_T7_T9_mT8_S1H_bDpT10_ENKUlT_T0_E_clISt17integral_constantIbLb0EES1V_EEDaS1Q_S1R_EUlS1Q_E_NS1_11comp_targetILNS1_3genE4ELNS1_11target_archE910ELNS1_3gpuE8ELNS1_3repE0EEENS1_30default_config_static_selectorELNS0_4arch9wavefront6targetE1EEEvS13_
		.amdhsa_group_segment_fixed_size 13340
		.amdhsa_private_segment_fixed_size 0
		.amdhsa_kernarg_size 176
		.amdhsa_user_sgpr_count 6
		.amdhsa_user_sgpr_private_segment_buffer 1
		.amdhsa_user_sgpr_dispatch_ptr 0
		.amdhsa_user_sgpr_queue_ptr 0
		.amdhsa_user_sgpr_kernarg_segment_ptr 1
		.amdhsa_user_sgpr_dispatch_id 0
		.amdhsa_user_sgpr_flat_scratch_init 0
		.amdhsa_user_sgpr_kernarg_preload_length 0
		.amdhsa_user_sgpr_kernarg_preload_offset 0
		.amdhsa_user_sgpr_private_segment_size 0
		.amdhsa_uses_dynamic_stack 0
		.amdhsa_system_sgpr_private_segment_wavefront_offset 0
		.amdhsa_system_sgpr_workgroup_id_x 1
		.amdhsa_system_sgpr_workgroup_id_y 0
		.amdhsa_system_sgpr_workgroup_id_z 0
		.amdhsa_system_sgpr_workgroup_info 0
		.amdhsa_system_vgpr_workitem_id 0
		.amdhsa_next_free_vgpr 102
		.amdhsa_next_free_sgpr 90
		.amdhsa_accum_offset 104
		.amdhsa_reserve_vcc 1
		.amdhsa_reserve_flat_scratch 0
		.amdhsa_float_round_mode_32 0
		.amdhsa_float_round_mode_16_64 0
		.amdhsa_float_denorm_mode_32 3
		.amdhsa_float_denorm_mode_16_64 3
		.amdhsa_dx10_clamp 1
		.amdhsa_ieee_mode 1
		.amdhsa_fp16_overflow 0
		.amdhsa_tg_split 0
		.amdhsa_exception_fp_ieee_invalid_op 0
		.amdhsa_exception_fp_denorm_src 0
		.amdhsa_exception_fp_ieee_div_zero 0
		.amdhsa_exception_fp_ieee_overflow 0
		.amdhsa_exception_fp_ieee_underflow 0
		.amdhsa_exception_fp_ieee_inexact 0
		.amdhsa_exception_int_div_zero 0
	.end_amdhsa_kernel
	.section	.text._ZN7rocprim17ROCPRIM_400000_NS6detail17trampoline_kernelINS0_13select_configILj256ELj13ELNS0_17block_load_methodE3ELS4_3ELS4_3ELNS0_20block_scan_algorithmE0ELj4294967295EEENS1_25partition_config_selectorILNS1_17partition_subalgoE4EjNS0_10empty_typeEbEEZZNS1_14partition_implILS8_4ELb0ES6_15HIP_vector_typeIjLj2EENS0_17counting_iteratorIjlEEPS9_SG_NS0_5tupleIJPjSI_NS0_16reverse_iteratorISI_EEEEENSH_IJSG_SG_SG_EEES9_SI_JZNS1_25segmented_radix_sort_implINS0_14default_configELb1EPK12hip_bfloat16PSP_PKlPlN2at6native12_GLOBAL__N_18offset_tEEE10hipError_tPvRmT1_PNSt15iterator_traitsIS13_E10value_typeET2_T3_PNS14_IS19_E10value_typeET4_jRbjT5_S1F_jjP12ihipStream_tbEUljE_ZNSN_ISO_Lb1ESR_SS_SU_SV_SZ_EES10_S11_S12_S13_S17_S18_S19_S1C_S1D_jS1E_jS1F_S1F_jjS1H_bEUljE0_EEES10_S11_S12_S19_S1D_S1F_T6_T7_T9_mT8_S1H_bDpT10_ENKUlT_T0_E_clISt17integral_constantIbLb0EES1V_EEDaS1Q_S1R_EUlS1Q_E_NS1_11comp_targetILNS1_3genE4ELNS1_11target_archE910ELNS1_3gpuE8ELNS1_3repE0EEENS1_30default_config_static_selectorELNS0_4arch9wavefront6targetE1EEEvS13_,"axG",@progbits,_ZN7rocprim17ROCPRIM_400000_NS6detail17trampoline_kernelINS0_13select_configILj256ELj13ELNS0_17block_load_methodE3ELS4_3ELS4_3ELNS0_20block_scan_algorithmE0ELj4294967295EEENS1_25partition_config_selectorILNS1_17partition_subalgoE4EjNS0_10empty_typeEbEEZZNS1_14partition_implILS8_4ELb0ES6_15HIP_vector_typeIjLj2EENS0_17counting_iteratorIjlEEPS9_SG_NS0_5tupleIJPjSI_NS0_16reverse_iteratorISI_EEEEENSH_IJSG_SG_SG_EEES9_SI_JZNS1_25segmented_radix_sort_implINS0_14default_configELb1EPK12hip_bfloat16PSP_PKlPlN2at6native12_GLOBAL__N_18offset_tEEE10hipError_tPvRmT1_PNSt15iterator_traitsIS13_E10value_typeET2_T3_PNS14_IS19_E10value_typeET4_jRbjT5_S1F_jjP12ihipStream_tbEUljE_ZNSN_ISO_Lb1ESR_SS_SU_SV_SZ_EES10_S11_S12_S13_S17_S18_S19_S1C_S1D_jS1E_jS1F_S1F_jjS1H_bEUljE0_EEES10_S11_S12_S19_S1D_S1F_T6_T7_T9_mT8_S1H_bDpT10_ENKUlT_T0_E_clISt17integral_constantIbLb0EES1V_EEDaS1Q_S1R_EUlS1Q_E_NS1_11comp_targetILNS1_3genE4ELNS1_11target_archE910ELNS1_3gpuE8ELNS1_3repE0EEENS1_30default_config_static_selectorELNS0_4arch9wavefront6targetE1EEEvS13_,comdat
.Lfunc_end1882:
	.size	_ZN7rocprim17ROCPRIM_400000_NS6detail17trampoline_kernelINS0_13select_configILj256ELj13ELNS0_17block_load_methodE3ELS4_3ELS4_3ELNS0_20block_scan_algorithmE0ELj4294967295EEENS1_25partition_config_selectorILNS1_17partition_subalgoE4EjNS0_10empty_typeEbEEZZNS1_14partition_implILS8_4ELb0ES6_15HIP_vector_typeIjLj2EENS0_17counting_iteratorIjlEEPS9_SG_NS0_5tupleIJPjSI_NS0_16reverse_iteratorISI_EEEEENSH_IJSG_SG_SG_EEES9_SI_JZNS1_25segmented_radix_sort_implINS0_14default_configELb1EPK12hip_bfloat16PSP_PKlPlN2at6native12_GLOBAL__N_18offset_tEEE10hipError_tPvRmT1_PNSt15iterator_traitsIS13_E10value_typeET2_T3_PNS14_IS19_E10value_typeET4_jRbjT5_S1F_jjP12ihipStream_tbEUljE_ZNSN_ISO_Lb1ESR_SS_SU_SV_SZ_EES10_S11_S12_S13_S17_S18_S19_S1C_S1D_jS1E_jS1F_S1F_jjS1H_bEUljE0_EEES10_S11_S12_S19_S1D_S1F_T6_T7_T9_mT8_S1H_bDpT10_ENKUlT_T0_E_clISt17integral_constantIbLb0EES1V_EEDaS1Q_S1R_EUlS1Q_E_NS1_11comp_targetILNS1_3genE4ELNS1_11target_archE910ELNS1_3gpuE8ELNS1_3repE0EEENS1_30default_config_static_selectorELNS0_4arch9wavefront6targetE1EEEvS13_, .Lfunc_end1882-_ZN7rocprim17ROCPRIM_400000_NS6detail17trampoline_kernelINS0_13select_configILj256ELj13ELNS0_17block_load_methodE3ELS4_3ELS4_3ELNS0_20block_scan_algorithmE0ELj4294967295EEENS1_25partition_config_selectorILNS1_17partition_subalgoE4EjNS0_10empty_typeEbEEZZNS1_14partition_implILS8_4ELb0ES6_15HIP_vector_typeIjLj2EENS0_17counting_iteratorIjlEEPS9_SG_NS0_5tupleIJPjSI_NS0_16reverse_iteratorISI_EEEEENSH_IJSG_SG_SG_EEES9_SI_JZNS1_25segmented_radix_sort_implINS0_14default_configELb1EPK12hip_bfloat16PSP_PKlPlN2at6native12_GLOBAL__N_18offset_tEEE10hipError_tPvRmT1_PNSt15iterator_traitsIS13_E10value_typeET2_T3_PNS14_IS19_E10value_typeET4_jRbjT5_S1F_jjP12ihipStream_tbEUljE_ZNSN_ISO_Lb1ESR_SS_SU_SV_SZ_EES10_S11_S12_S13_S17_S18_S19_S1C_S1D_jS1E_jS1F_S1F_jjS1H_bEUljE0_EEES10_S11_S12_S19_S1D_S1F_T6_T7_T9_mT8_S1H_bDpT10_ENKUlT_T0_E_clISt17integral_constantIbLb0EES1V_EEDaS1Q_S1R_EUlS1Q_E_NS1_11comp_targetILNS1_3genE4ELNS1_11target_archE910ELNS1_3gpuE8ELNS1_3repE0EEENS1_30default_config_static_selectorELNS0_4arch9wavefront6targetE1EEEvS13_
                                        ; -- End function
	.section	.AMDGPU.csdata,"",@progbits
; Kernel info:
; codeLenInByte = 13332
; NumSgprs: 94
; NumVgprs: 102
; NumAgprs: 0
; TotalNumVgprs: 102
; ScratchSize: 0
; MemoryBound: 0
; FloatMode: 240
; IeeeMode: 1
; LDSByteSize: 13340 bytes/workgroup (compile time only)
; SGPRBlocks: 11
; VGPRBlocks: 12
; NumSGPRsForWavesPerEU: 94
; NumVGPRsForWavesPerEU: 102
; AccumOffset: 104
; Occupancy: 4
; WaveLimiterHint : 1
; COMPUTE_PGM_RSRC2:SCRATCH_EN: 0
; COMPUTE_PGM_RSRC2:USER_SGPR: 6
; COMPUTE_PGM_RSRC2:TRAP_HANDLER: 0
; COMPUTE_PGM_RSRC2:TGID_X_EN: 1
; COMPUTE_PGM_RSRC2:TGID_Y_EN: 0
; COMPUTE_PGM_RSRC2:TGID_Z_EN: 0
; COMPUTE_PGM_RSRC2:TIDIG_COMP_CNT: 0
; COMPUTE_PGM_RSRC3_GFX90A:ACCUM_OFFSET: 25
; COMPUTE_PGM_RSRC3_GFX90A:TG_SPLIT: 0
	.section	.text._ZN7rocprim17ROCPRIM_400000_NS6detail17trampoline_kernelINS0_13select_configILj256ELj13ELNS0_17block_load_methodE3ELS4_3ELS4_3ELNS0_20block_scan_algorithmE0ELj4294967295EEENS1_25partition_config_selectorILNS1_17partition_subalgoE4EjNS0_10empty_typeEbEEZZNS1_14partition_implILS8_4ELb0ES6_15HIP_vector_typeIjLj2EENS0_17counting_iteratorIjlEEPS9_SG_NS0_5tupleIJPjSI_NS0_16reverse_iteratorISI_EEEEENSH_IJSG_SG_SG_EEES9_SI_JZNS1_25segmented_radix_sort_implINS0_14default_configELb1EPK12hip_bfloat16PSP_PKlPlN2at6native12_GLOBAL__N_18offset_tEEE10hipError_tPvRmT1_PNSt15iterator_traitsIS13_E10value_typeET2_T3_PNS14_IS19_E10value_typeET4_jRbjT5_S1F_jjP12ihipStream_tbEUljE_ZNSN_ISO_Lb1ESR_SS_SU_SV_SZ_EES10_S11_S12_S13_S17_S18_S19_S1C_S1D_jS1E_jS1F_S1F_jjS1H_bEUljE0_EEES10_S11_S12_S19_S1D_S1F_T6_T7_T9_mT8_S1H_bDpT10_ENKUlT_T0_E_clISt17integral_constantIbLb0EES1V_EEDaS1Q_S1R_EUlS1Q_E_NS1_11comp_targetILNS1_3genE3ELNS1_11target_archE908ELNS1_3gpuE7ELNS1_3repE0EEENS1_30default_config_static_selectorELNS0_4arch9wavefront6targetE1EEEvS13_,"axG",@progbits,_ZN7rocprim17ROCPRIM_400000_NS6detail17trampoline_kernelINS0_13select_configILj256ELj13ELNS0_17block_load_methodE3ELS4_3ELS4_3ELNS0_20block_scan_algorithmE0ELj4294967295EEENS1_25partition_config_selectorILNS1_17partition_subalgoE4EjNS0_10empty_typeEbEEZZNS1_14partition_implILS8_4ELb0ES6_15HIP_vector_typeIjLj2EENS0_17counting_iteratorIjlEEPS9_SG_NS0_5tupleIJPjSI_NS0_16reverse_iteratorISI_EEEEENSH_IJSG_SG_SG_EEES9_SI_JZNS1_25segmented_radix_sort_implINS0_14default_configELb1EPK12hip_bfloat16PSP_PKlPlN2at6native12_GLOBAL__N_18offset_tEEE10hipError_tPvRmT1_PNSt15iterator_traitsIS13_E10value_typeET2_T3_PNS14_IS19_E10value_typeET4_jRbjT5_S1F_jjP12ihipStream_tbEUljE_ZNSN_ISO_Lb1ESR_SS_SU_SV_SZ_EES10_S11_S12_S13_S17_S18_S19_S1C_S1D_jS1E_jS1F_S1F_jjS1H_bEUljE0_EEES10_S11_S12_S19_S1D_S1F_T6_T7_T9_mT8_S1H_bDpT10_ENKUlT_T0_E_clISt17integral_constantIbLb0EES1V_EEDaS1Q_S1R_EUlS1Q_E_NS1_11comp_targetILNS1_3genE3ELNS1_11target_archE908ELNS1_3gpuE7ELNS1_3repE0EEENS1_30default_config_static_selectorELNS0_4arch9wavefront6targetE1EEEvS13_,comdat
	.globl	_ZN7rocprim17ROCPRIM_400000_NS6detail17trampoline_kernelINS0_13select_configILj256ELj13ELNS0_17block_load_methodE3ELS4_3ELS4_3ELNS0_20block_scan_algorithmE0ELj4294967295EEENS1_25partition_config_selectorILNS1_17partition_subalgoE4EjNS0_10empty_typeEbEEZZNS1_14partition_implILS8_4ELb0ES6_15HIP_vector_typeIjLj2EENS0_17counting_iteratorIjlEEPS9_SG_NS0_5tupleIJPjSI_NS0_16reverse_iteratorISI_EEEEENSH_IJSG_SG_SG_EEES9_SI_JZNS1_25segmented_radix_sort_implINS0_14default_configELb1EPK12hip_bfloat16PSP_PKlPlN2at6native12_GLOBAL__N_18offset_tEEE10hipError_tPvRmT1_PNSt15iterator_traitsIS13_E10value_typeET2_T3_PNS14_IS19_E10value_typeET4_jRbjT5_S1F_jjP12ihipStream_tbEUljE_ZNSN_ISO_Lb1ESR_SS_SU_SV_SZ_EES10_S11_S12_S13_S17_S18_S19_S1C_S1D_jS1E_jS1F_S1F_jjS1H_bEUljE0_EEES10_S11_S12_S19_S1D_S1F_T6_T7_T9_mT8_S1H_bDpT10_ENKUlT_T0_E_clISt17integral_constantIbLb0EES1V_EEDaS1Q_S1R_EUlS1Q_E_NS1_11comp_targetILNS1_3genE3ELNS1_11target_archE908ELNS1_3gpuE7ELNS1_3repE0EEENS1_30default_config_static_selectorELNS0_4arch9wavefront6targetE1EEEvS13_ ; -- Begin function _ZN7rocprim17ROCPRIM_400000_NS6detail17trampoline_kernelINS0_13select_configILj256ELj13ELNS0_17block_load_methodE3ELS4_3ELS4_3ELNS0_20block_scan_algorithmE0ELj4294967295EEENS1_25partition_config_selectorILNS1_17partition_subalgoE4EjNS0_10empty_typeEbEEZZNS1_14partition_implILS8_4ELb0ES6_15HIP_vector_typeIjLj2EENS0_17counting_iteratorIjlEEPS9_SG_NS0_5tupleIJPjSI_NS0_16reverse_iteratorISI_EEEEENSH_IJSG_SG_SG_EEES9_SI_JZNS1_25segmented_radix_sort_implINS0_14default_configELb1EPK12hip_bfloat16PSP_PKlPlN2at6native12_GLOBAL__N_18offset_tEEE10hipError_tPvRmT1_PNSt15iterator_traitsIS13_E10value_typeET2_T3_PNS14_IS19_E10value_typeET4_jRbjT5_S1F_jjP12ihipStream_tbEUljE_ZNSN_ISO_Lb1ESR_SS_SU_SV_SZ_EES10_S11_S12_S13_S17_S18_S19_S1C_S1D_jS1E_jS1F_S1F_jjS1H_bEUljE0_EEES10_S11_S12_S19_S1D_S1F_T6_T7_T9_mT8_S1H_bDpT10_ENKUlT_T0_E_clISt17integral_constantIbLb0EES1V_EEDaS1Q_S1R_EUlS1Q_E_NS1_11comp_targetILNS1_3genE3ELNS1_11target_archE908ELNS1_3gpuE7ELNS1_3repE0EEENS1_30default_config_static_selectorELNS0_4arch9wavefront6targetE1EEEvS13_
	.p2align	8
	.type	_ZN7rocprim17ROCPRIM_400000_NS6detail17trampoline_kernelINS0_13select_configILj256ELj13ELNS0_17block_load_methodE3ELS4_3ELS4_3ELNS0_20block_scan_algorithmE0ELj4294967295EEENS1_25partition_config_selectorILNS1_17partition_subalgoE4EjNS0_10empty_typeEbEEZZNS1_14partition_implILS8_4ELb0ES6_15HIP_vector_typeIjLj2EENS0_17counting_iteratorIjlEEPS9_SG_NS0_5tupleIJPjSI_NS0_16reverse_iteratorISI_EEEEENSH_IJSG_SG_SG_EEES9_SI_JZNS1_25segmented_radix_sort_implINS0_14default_configELb1EPK12hip_bfloat16PSP_PKlPlN2at6native12_GLOBAL__N_18offset_tEEE10hipError_tPvRmT1_PNSt15iterator_traitsIS13_E10value_typeET2_T3_PNS14_IS19_E10value_typeET4_jRbjT5_S1F_jjP12ihipStream_tbEUljE_ZNSN_ISO_Lb1ESR_SS_SU_SV_SZ_EES10_S11_S12_S13_S17_S18_S19_S1C_S1D_jS1E_jS1F_S1F_jjS1H_bEUljE0_EEES10_S11_S12_S19_S1D_S1F_T6_T7_T9_mT8_S1H_bDpT10_ENKUlT_T0_E_clISt17integral_constantIbLb0EES1V_EEDaS1Q_S1R_EUlS1Q_E_NS1_11comp_targetILNS1_3genE3ELNS1_11target_archE908ELNS1_3gpuE7ELNS1_3repE0EEENS1_30default_config_static_selectorELNS0_4arch9wavefront6targetE1EEEvS13_,@function
_ZN7rocprim17ROCPRIM_400000_NS6detail17trampoline_kernelINS0_13select_configILj256ELj13ELNS0_17block_load_methodE3ELS4_3ELS4_3ELNS0_20block_scan_algorithmE0ELj4294967295EEENS1_25partition_config_selectorILNS1_17partition_subalgoE4EjNS0_10empty_typeEbEEZZNS1_14partition_implILS8_4ELb0ES6_15HIP_vector_typeIjLj2EENS0_17counting_iteratorIjlEEPS9_SG_NS0_5tupleIJPjSI_NS0_16reverse_iteratorISI_EEEEENSH_IJSG_SG_SG_EEES9_SI_JZNS1_25segmented_radix_sort_implINS0_14default_configELb1EPK12hip_bfloat16PSP_PKlPlN2at6native12_GLOBAL__N_18offset_tEEE10hipError_tPvRmT1_PNSt15iterator_traitsIS13_E10value_typeET2_T3_PNS14_IS19_E10value_typeET4_jRbjT5_S1F_jjP12ihipStream_tbEUljE_ZNSN_ISO_Lb1ESR_SS_SU_SV_SZ_EES10_S11_S12_S13_S17_S18_S19_S1C_S1D_jS1E_jS1F_S1F_jjS1H_bEUljE0_EEES10_S11_S12_S19_S1D_S1F_T6_T7_T9_mT8_S1H_bDpT10_ENKUlT_T0_E_clISt17integral_constantIbLb0EES1V_EEDaS1Q_S1R_EUlS1Q_E_NS1_11comp_targetILNS1_3genE3ELNS1_11target_archE908ELNS1_3gpuE7ELNS1_3repE0EEENS1_30default_config_static_selectorELNS0_4arch9wavefront6targetE1EEEvS13_: ; @_ZN7rocprim17ROCPRIM_400000_NS6detail17trampoline_kernelINS0_13select_configILj256ELj13ELNS0_17block_load_methodE3ELS4_3ELS4_3ELNS0_20block_scan_algorithmE0ELj4294967295EEENS1_25partition_config_selectorILNS1_17partition_subalgoE4EjNS0_10empty_typeEbEEZZNS1_14partition_implILS8_4ELb0ES6_15HIP_vector_typeIjLj2EENS0_17counting_iteratorIjlEEPS9_SG_NS0_5tupleIJPjSI_NS0_16reverse_iteratorISI_EEEEENSH_IJSG_SG_SG_EEES9_SI_JZNS1_25segmented_radix_sort_implINS0_14default_configELb1EPK12hip_bfloat16PSP_PKlPlN2at6native12_GLOBAL__N_18offset_tEEE10hipError_tPvRmT1_PNSt15iterator_traitsIS13_E10value_typeET2_T3_PNS14_IS19_E10value_typeET4_jRbjT5_S1F_jjP12ihipStream_tbEUljE_ZNSN_ISO_Lb1ESR_SS_SU_SV_SZ_EES10_S11_S12_S13_S17_S18_S19_S1C_S1D_jS1E_jS1F_S1F_jjS1H_bEUljE0_EEES10_S11_S12_S19_S1D_S1F_T6_T7_T9_mT8_S1H_bDpT10_ENKUlT_T0_E_clISt17integral_constantIbLb0EES1V_EEDaS1Q_S1R_EUlS1Q_E_NS1_11comp_targetILNS1_3genE3ELNS1_11target_archE908ELNS1_3gpuE7ELNS1_3repE0EEENS1_30default_config_static_selectorELNS0_4arch9wavefront6targetE1EEEvS13_
; %bb.0:
	.section	.rodata,"a",@progbits
	.p2align	6, 0x0
	.amdhsa_kernel _ZN7rocprim17ROCPRIM_400000_NS6detail17trampoline_kernelINS0_13select_configILj256ELj13ELNS0_17block_load_methodE3ELS4_3ELS4_3ELNS0_20block_scan_algorithmE0ELj4294967295EEENS1_25partition_config_selectorILNS1_17partition_subalgoE4EjNS0_10empty_typeEbEEZZNS1_14partition_implILS8_4ELb0ES6_15HIP_vector_typeIjLj2EENS0_17counting_iteratorIjlEEPS9_SG_NS0_5tupleIJPjSI_NS0_16reverse_iteratorISI_EEEEENSH_IJSG_SG_SG_EEES9_SI_JZNS1_25segmented_radix_sort_implINS0_14default_configELb1EPK12hip_bfloat16PSP_PKlPlN2at6native12_GLOBAL__N_18offset_tEEE10hipError_tPvRmT1_PNSt15iterator_traitsIS13_E10value_typeET2_T3_PNS14_IS19_E10value_typeET4_jRbjT5_S1F_jjP12ihipStream_tbEUljE_ZNSN_ISO_Lb1ESR_SS_SU_SV_SZ_EES10_S11_S12_S13_S17_S18_S19_S1C_S1D_jS1E_jS1F_S1F_jjS1H_bEUljE0_EEES10_S11_S12_S19_S1D_S1F_T6_T7_T9_mT8_S1H_bDpT10_ENKUlT_T0_E_clISt17integral_constantIbLb0EES1V_EEDaS1Q_S1R_EUlS1Q_E_NS1_11comp_targetILNS1_3genE3ELNS1_11target_archE908ELNS1_3gpuE7ELNS1_3repE0EEENS1_30default_config_static_selectorELNS0_4arch9wavefront6targetE1EEEvS13_
		.amdhsa_group_segment_fixed_size 0
		.amdhsa_private_segment_fixed_size 0
		.amdhsa_kernarg_size 176
		.amdhsa_user_sgpr_count 6
		.amdhsa_user_sgpr_private_segment_buffer 1
		.amdhsa_user_sgpr_dispatch_ptr 0
		.amdhsa_user_sgpr_queue_ptr 0
		.amdhsa_user_sgpr_kernarg_segment_ptr 1
		.amdhsa_user_sgpr_dispatch_id 0
		.amdhsa_user_sgpr_flat_scratch_init 0
		.amdhsa_user_sgpr_kernarg_preload_length 0
		.amdhsa_user_sgpr_kernarg_preload_offset 0
		.amdhsa_user_sgpr_private_segment_size 0
		.amdhsa_uses_dynamic_stack 0
		.amdhsa_system_sgpr_private_segment_wavefront_offset 0
		.amdhsa_system_sgpr_workgroup_id_x 1
		.amdhsa_system_sgpr_workgroup_id_y 0
		.amdhsa_system_sgpr_workgroup_id_z 0
		.amdhsa_system_sgpr_workgroup_info 0
		.amdhsa_system_vgpr_workitem_id 0
		.amdhsa_next_free_vgpr 1
		.amdhsa_next_free_sgpr 0
		.amdhsa_accum_offset 4
		.amdhsa_reserve_vcc 0
		.amdhsa_reserve_flat_scratch 0
		.amdhsa_float_round_mode_32 0
		.amdhsa_float_round_mode_16_64 0
		.amdhsa_float_denorm_mode_32 3
		.amdhsa_float_denorm_mode_16_64 3
		.amdhsa_dx10_clamp 1
		.amdhsa_ieee_mode 1
		.amdhsa_fp16_overflow 0
		.amdhsa_tg_split 0
		.amdhsa_exception_fp_ieee_invalid_op 0
		.amdhsa_exception_fp_denorm_src 0
		.amdhsa_exception_fp_ieee_div_zero 0
		.amdhsa_exception_fp_ieee_overflow 0
		.amdhsa_exception_fp_ieee_underflow 0
		.amdhsa_exception_fp_ieee_inexact 0
		.amdhsa_exception_int_div_zero 0
	.end_amdhsa_kernel
	.section	.text._ZN7rocprim17ROCPRIM_400000_NS6detail17trampoline_kernelINS0_13select_configILj256ELj13ELNS0_17block_load_methodE3ELS4_3ELS4_3ELNS0_20block_scan_algorithmE0ELj4294967295EEENS1_25partition_config_selectorILNS1_17partition_subalgoE4EjNS0_10empty_typeEbEEZZNS1_14partition_implILS8_4ELb0ES6_15HIP_vector_typeIjLj2EENS0_17counting_iteratorIjlEEPS9_SG_NS0_5tupleIJPjSI_NS0_16reverse_iteratorISI_EEEEENSH_IJSG_SG_SG_EEES9_SI_JZNS1_25segmented_radix_sort_implINS0_14default_configELb1EPK12hip_bfloat16PSP_PKlPlN2at6native12_GLOBAL__N_18offset_tEEE10hipError_tPvRmT1_PNSt15iterator_traitsIS13_E10value_typeET2_T3_PNS14_IS19_E10value_typeET4_jRbjT5_S1F_jjP12ihipStream_tbEUljE_ZNSN_ISO_Lb1ESR_SS_SU_SV_SZ_EES10_S11_S12_S13_S17_S18_S19_S1C_S1D_jS1E_jS1F_S1F_jjS1H_bEUljE0_EEES10_S11_S12_S19_S1D_S1F_T6_T7_T9_mT8_S1H_bDpT10_ENKUlT_T0_E_clISt17integral_constantIbLb0EES1V_EEDaS1Q_S1R_EUlS1Q_E_NS1_11comp_targetILNS1_3genE3ELNS1_11target_archE908ELNS1_3gpuE7ELNS1_3repE0EEENS1_30default_config_static_selectorELNS0_4arch9wavefront6targetE1EEEvS13_,"axG",@progbits,_ZN7rocprim17ROCPRIM_400000_NS6detail17trampoline_kernelINS0_13select_configILj256ELj13ELNS0_17block_load_methodE3ELS4_3ELS4_3ELNS0_20block_scan_algorithmE0ELj4294967295EEENS1_25partition_config_selectorILNS1_17partition_subalgoE4EjNS0_10empty_typeEbEEZZNS1_14partition_implILS8_4ELb0ES6_15HIP_vector_typeIjLj2EENS0_17counting_iteratorIjlEEPS9_SG_NS0_5tupleIJPjSI_NS0_16reverse_iteratorISI_EEEEENSH_IJSG_SG_SG_EEES9_SI_JZNS1_25segmented_radix_sort_implINS0_14default_configELb1EPK12hip_bfloat16PSP_PKlPlN2at6native12_GLOBAL__N_18offset_tEEE10hipError_tPvRmT1_PNSt15iterator_traitsIS13_E10value_typeET2_T3_PNS14_IS19_E10value_typeET4_jRbjT5_S1F_jjP12ihipStream_tbEUljE_ZNSN_ISO_Lb1ESR_SS_SU_SV_SZ_EES10_S11_S12_S13_S17_S18_S19_S1C_S1D_jS1E_jS1F_S1F_jjS1H_bEUljE0_EEES10_S11_S12_S19_S1D_S1F_T6_T7_T9_mT8_S1H_bDpT10_ENKUlT_T0_E_clISt17integral_constantIbLb0EES1V_EEDaS1Q_S1R_EUlS1Q_E_NS1_11comp_targetILNS1_3genE3ELNS1_11target_archE908ELNS1_3gpuE7ELNS1_3repE0EEENS1_30default_config_static_selectorELNS0_4arch9wavefront6targetE1EEEvS13_,comdat
.Lfunc_end1883:
	.size	_ZN7rocprim17ROCPRIM_400000_NS6detail17trampoline_kernelINS0_13select_configILj256ELj13ELNS0_17block_load_methodE3ELS4_3ELS4_3ELNS0_20block_scan_algorithmE0ELj4294967295EEENS1_25partition_config_selectorILNS1_17partition_subalgoE4EjNS0_10empty_typeEbEEZZNS1_14partition_implILS8_4ELb0ES6_15HIP_vector_typeIjLj2EENS0_17counting_iteratorIjlEEPS9_SG_NS0_5tupleIJPjSI_NS0_16reverse_iteratorISI_EEEEENSH_IJSG_SG_SG_EEES9_SI_JZNS1_25segmented_radix_sort_implINS0_14default_configELb1EPK12hip_bfloat16PSP_PKlPlN2at6native12_GLOBAL__N_18offset_tEEE10hipError_tPvRmT1_PNSt15iterator_traitsIS13_E10value_typeET2_T3_PNS14_IS19_E10value_typeET4_jRbjT5_S1F_jjP12ihipStream_tbEUljE_ZNSN_ISO_Lb1ESR_SS_SU_SV_SZ_EES10_S11_S12_S13_S17_S18_S19_S1C_S1D_jS1E_jS1F_S1F_jjS1H_bEUljE0_EEES10_S11_S12_S19_S1D_S1F_T6_T7_T9_mT8_S1H_bDpT10_ENKUlT_T0_E_clISt17integral_constantIbLb0EES1V_EEDaS1Q_S1R_EUlS1Q_E_NS1_11comp_targetILNS1_3genE3ELNS1_11target_archE908ELNS1_3gpuE7ELNS1_3repE0EEENS1_30default_config_static_selectorELNS0_4arch9wavefront6targetE1EEEvS13_, .Lfunc_end1883-_ZN7rocprim17ROCPRIM_400000_NS6detail17trampoline_kernelINS0_13select_configILj256ELj13ELNS0_17block_load_methodE3ELS4_3ELS4_3ELNS0_20block_scan_algorithmE0ELj4294967295EEENS1_25partition_config_selectorILNS1_17partition_subalgoE4EjNS0_10empty_typeEbEEZZNS1_14partition_implILS8_4ELb0ES6_15HIP_vector_typeIjLj2EENS0_17counting_iteratorIjlEEPS9_SG_NS0_5tupleIJPjSI_NS0_16reverse_iteratorISI_EEEEENSH_IJSG_SG_SG_EEES9_SI_JZNS1_25segmented_radix_sort_implINS0_14default_configELb1EPK12hip_bfloat16PSP_PKlPlN2at6native12_GLOBAL__N_18offset_tEEE10hipError_tPvRmT1_PNSt15iterator_traitsIS13_E10value_typeET2_T3_PNS14_IS19_E10value_typeET4_jRbjT5_S1F_jjP12ihipStream_tbEUljE_ZNSN_ISO_Lb1ESR_SS_SU_SV_SZ_EES10_S11_S12_S13_S17_S18_S19_S1C_S1D_jS1E_jS1F_S1F_jjS1H_bEUljE0_EEES10_S11_S12_S19_S1D_S1F_T6_T7_T9_mT8_S1H_bDpT10_ENKUlT_T0_E_clISt17integral_constantIbLb0EES1V_EEDaS1Q_S1R_EUlS1Q_E_NS1_11comp_targetILNS1_3genE3ELNS1_11target_archE908ELNS1_3gpuE7ELNS1_3repE0EEENS1_30default_config_static_selectorELNS0_4arch9wavefront6targetE1EEEvS13_
                                        ; -- End function
	.section	.AMDGPU.csdata,"",@progbits
; Kernel info:
; codeLenInByte = 0
; NumSgprs: 4
; NumVgprs: 0
; NumAgprs: 0
; TotalNumVgprs: 0
; ScratchSize: 0
; MemoryBound: 0
; FloatMode: 240
; IeeeMode: 1
; LDSByteSize: 0 bytes/workgroup (compile time only)
; SGPRBlocks: 0
; VGPRBlocks: 0
; NumSGPRsForWavesPerEU: 4
; NumVGPRsForWavesPerEU: 1
; AccumOffset: 4
; Occupancy: 8
; WaveLimiterHint : 0
; COMPUTE_PGM_RSRC2:SCRATCH_EN: 0
; COMPUTE_PGM_RSRC2:USER_SGPR: 6
; COMPUTE_PGM_RSRC2:TRAP_HANDLER: 0
; COMPUTE_PGM_RSRC2:TGID_X_EN: 1
; COMPUTE_PGM_RSRC2:TGID_Y_EN: 0
; COMPUTE_PGM_RSRC2:TGID_Z_EN: 0
; COMPUTE_PGM_RSRC2:TIDIG_COMP_CNT: 0
; COMPUTE_PGM_RSRC3_GFX90A:ACCUM_OFFSET: 0
; COMPUTE_PGM_RSRC3_GFX90A:TG_SPLIT: 0
	.section	.text._ZN7rocprim17ROCPRIM_400000_NS6detail17trampoline_kernelINS0_13select_configILj256ELj13ELNS0_17block_load_methodE3ELS4_3ELS4_3ELNS0_20block_scan_algorithmE0ELj4294967295EEENS1_25partition_config_selectorILNS1_17partition_subalgoE4EjNS0_10empty_typeEbEEZZNS1_14partition_implILS8_4ELb0ES6_15HIP_vector_typeIjLj2EENS0_17counting_iteratorIjlEEPS9_SG_NS0_5tupleIJPjSI_NS0_16reverse_iteratorISI_EEEEENSH_IJSG_SG_SG_EEES9_SI_JZNS1_25segmented_radix_sort_implINS0_14default_configELb1EPK12hip_bfloat16PSP_PKlPlN2at6native12_GLOBAL__N_18offset_tEEE10hipError_tPvRmT1_PNSt15iterator_traitsIS13_E10value_typeET2_T3_PNS14_IS19_E10value_typeET4_jRbjT5_S1F_jjP12ihipStream_tbEUljE_ZNSN_ISO_Lb1ESR_SS_SU_SV_SZ_EES10_S11_S12_S13_S17_S18_S19_S1C_S1D_jS1E_jS1F_S1F_jjS1H_bEUljE0_EEES10_S11_S12_S19_S1D_S1F_T6_T7_T9_mT8_S1H_bDpT10_ENKUlT_T0_E_clISt17integral_constantIbLb0EES1V_EEDaS1Q_S1R_EUlS1Q_E_NS1_11comp_targetILNS1_3genE2ELNS1_11target_archE906ELNS1_3gpuE6ELNS1_3repE0EEENS1_30default_config_static_selectorELNS0_4arch9wavefront6targetE1EEEvS13_,"axG",@progbits,_ZN7rocprim17ROCPRIM_400000_NS6detail17trampoline_kernelINS0_13select_configILj256ELj13ELNS0_17block_load_methodE3ELS4_3ELS4_3ELNS0_20block_scan_algorithmE0ELj4294967295EEENS1_25partition_config_selectorILNS1_17partition_subalgoE4EjNS0_10empty_typeEbEEZZNS1_14partition_implILS8_4ELb0ES6_15HIP_vector_typeIjLj2EENS0_17counting_iteratorIjlEEPS9_SG_NS0_5tupleIJPjSI_NS0_16reverse_iteratorISI_EEEEENSH_IJSG_SG_SG_EEES9_SI_JZNS1_25segmented_radix_sort_implINS0_14default_configELb1EPK12hip_bfloat16PSP_PKlPlN2at6native12_GLOBAL__N_18offset_tEEE10hipError_tPvRmT1_PNSt15iterator_traitsIS13_E10value_typeET2_T3_PNS14_IS19_E10value_typeET4_jRbjT5_S1F_jjP12ihipStream_tbEUljE_ZNSN_ISO_Lb1ESR_SS_SU_SV_SZ_EES10_S11_S12_S13_S17_S18_S19_S1C_S1D_jS1E_jS1F_S1F_jjS1H_bEUljE0_EEES10_S11_S12_S19_S1D_S1F_T6_T7_T9_mT8_S1H_bDpT10_ENKUlT_T0_E_clISt17integral_constantIbLb0EES1V_EEDaS1Q_S1R_EUlS1Q_E_NS1_11comp_targetILNS1_3genE2ELNS1_11target_archE906ELNS1_3gpuE6ELNS1_3repE0EEENS1_30default_config_static_selectorELNS0_4arch9wavefront6targetE1EEEvS13_,comdat
	.globl	_ZN7rocprim17ROCPRIM_400000_NS6detail17trampoline_kernelINS0_13select_configILj256ELj13ELNS0_17block_load_methodE3ELS4_3ELS4_3ELNS0_20block_scan_algorithmE0ELj4294967295EEENS1_25partition_config_selectorILNS1_17partition_subalgoE4EjNS0_10empty_typeEbEEZZNS1_14partition_implILS8_4ELb0ES6_15HIP_vector_typeIjLj2EENS0_17counting_iteratorIjlEEPS9_SG_NS0_5tupleIJPjSI_NS0_16reverse_iteratorISI_EEEEENSH_IJSG_SG_SG_EEES9_SI_JZNS1_25segmented_radix_sort_implINS0_14default_configELb1EPK12hip_bfloat16PSP_PKlPlN2at6native12_GLOBAL__N_18offset_tEEE10hipError_tPvRmT1_PNSt15iterator_traitsIS13_E10value_typeET2_T3_PNS14_IS19_E10value_typeET4_jRbjT5_S1F_jjP12ihipStream_tbEUljE_ZNSN_ISO_Lb1ESR_SS_SU_SV_SZ_EES10_S11_S12_S13_S17_S18_S19_S1C_S1D_jS1E_jS1F_S1F_jjS1H_bEUljE0_EEES10_S11_S12_S19_S1D_S1F_T6_T7_T9_mT8_S1H_bDpT10_ENKUlT_T0_E_clISt17integral_constantIbLb0EES1V_EEDaS1Q_S1R_EUlS1Q_E_NS1_11comp_targetILNS1_3genE2ELNS1_11target_archE906ELNS1_3gpuE6ELNS1_3repE0EEENS1_30default_config_static_selectorELNS0_4arch9wavefront6targetE1EEEvS13_ ; -- Begin function _ZN7rocprim17ROCPRIM_400000_NS6detail17trampoline_kernelINS0_13select_configILj256ELj13ELNS0_17block_load_methodE3ELS4_3ELS4_3ELNS0_20block_scan_algorithmE0ELj4294967295EEENS1_25partition_config_selectorILNS1_17partition_subalgoE4EjNS0_10empty_typeEbEEZZNS1_14partition_implILS8_4ELb0ES6_15HIP_vector_typeIjLj2EENS0_17counting_iteratorIjlEEPS9_SG_NS0_5tupleIJPjSI_NS0_16reverse_iteratorISI_EEEEENSH_IJSG_SG_SG_EEES9_SI_JZNS1_25segmented_radix_sort_implINS0_14default_configELb1EPK12hip_bfloat16PSP_PKlPlN2at6native12_GLOBAL__N_18offset_tEEE10hipError_tPvRmT1_PNSt15iterator_traitsIS13_E10value_typeET2_T3_PNS14_IS19_E10value_typeET4_jRbjT5_S1F_jjP12ihipStream_tbEUljE_ZNSN_ISO_Lb1ESR_SS_SU_SV_SZ_EES10_S11_S12_S13_S17_S18_S19_S1C_S1D_jS1E_jS1F_S1F_jjS1H_bEUljE0_EEES10_S11_S12_S19_S1D_S1F_T6_T7_T9_mT8_S1H_bDpT10_ENKUlT_T0_E_clISt17integral_constantIbLb0EES1V_EEDaS1Q_S1R_EUlS1Q_E_NS1_11comp_targetILNS1_3genE2ELNS1_11target_archE906ELNS1_3gpuE6ELNS1_3repE0EEENS1_30default_config_static_selectorELNS0_4arch9wavefront6targetE1EEEvS13_
	.p2align	8
	.type	_ZN7rocprim17ROCPRIM_400000_NS6detail17trampoline_kernelINS0_13select_configILj256ELj13ELNS0_17block_load_methodE3ELS4_3ELS4_3ELNS0_20block_scan_algorithmE0ELj4294967295EEENS1_25partition_config_selectorILNS1_17partition_subalgoE4EjNS0_10empty_typeEbEEZZNS1_14partition_implILS8_4ELb0ES6_15HIP_vector_typeIjLj2EENS0_17counting_iteratorIjlEEPS9_SG_NS0_5tupleIJPjSI_NS0_16reverse_iteratorISI_EEEEENSH_IJSG_SG_SG_EEES9_SI_JZNS1_25segmented_radix_sort_implINS0_14default_configELb1EPK12hip_bfloat16PSP_PKlPlN2at6native12_GLOBAL__N_18offset_tEEE10hipError_tPvRmT1_PNSt15iterator_traitsIS13_E10value_typeET2_T3_PNS14_IS19_E10value_typeET4_jRbjT5_S1F_jjP12ihipStream_tbEUljE_ZNSN_ISO_Lb1ESR_SS_SU_SV_SZ_EES10_S11_S12_S13_S17_S18_S19_S1C_S1D_jS1E_jS1F_S1F_jjS1H_bEUljE0_EEES10_S11_S12_S19_S1D_S1F_T6_T7_T9_mT8_S1H_bDpT10_ENKUlT_T0_E_clISt17integral_constantIbLb0EES1V_EEDaS1Q_S1R_EUlS1Q_E_NS1_11comp_targetILNS1_3genE2ELNS1_11target_archE906ELNS1_3gpuE6ELNS1_3repE0EEENS1_30default_config_static_selectorELNS0_4arch9wavefront6targetE1EEEvS13_,@function
_ZN7rocprim17ROCPRIM_400000_NS6detail17trampoline_kernelINS0_13select_configILj256ELj13ELNS0_17block_load_methodE3ELS4_3ELS4_3ELNS0_20block_scan_algorithmE0ELj4294967295EEENS1_25partition_config_selectorILNS1_17partition_subalgoE4EjNS0_10empty_typeEbEEZZNS1_14partition_implILS8_4ELb0ES6_15HIP_vector_typeIjLj2EENS0_17counting_iteratorIjlEEPS9_SG_NS0_5tupleIJPjSI_NS0_16reverse_iteratorISI_EEEEENSH_IJSG_SG_SG_EEES9_SI_JZNS1_25segmented_radix_sort_implINS0_14default_configELb1EPK12hip_bfloat16PSP_PKlPlN2at6native12_GLOBAL__N_18offset_tEEE10hipError_tPvRmT1_PNSt15iterator_traitsIS13_E10value_typeET2_T3_PNS14_IS19_E10value_typeET4_jRbjT5_S1F_jjP12ihipStream_tbEUljE_ZNSN_ISO_Lb1ESR_SS_SU_SV_SZ_EES10_S11_S12_S13_S17_S18_S19_S1C_S1D_jS1E_jS1F_S1F_jjS1H_bEUljE0_EEES10_S11_S12_S19_S1D_S1F_T6_T7_T9_mT8_S1H_bDpT10_ENKUlT_T0_E_clISt17integral_constantIbLb0EES1V_EEDaS1Q_S1R_EUlS1Q_E_NS1_11comp_targetILNS1_3genE2ELNS1_11target_archE906ELNS1_3gpuE6ELNS1_3repE0EEENS1_30default_config_static_selectorELNS0_4arch9wavefront6targetE1EEEvS13_: ; @_ZN7rocprim17ROCPRIM_400000_NS6detail17trampoline_kernelINS0_13select_configILj256ELj13ELNS0_17block_load_methodE3ELS4_3ELS4_3ELNS0_20block_scan_algorithmE0ELj4294967295EEENS1_25partition_config_selectorILNS1_17partition_subalgoE4EjNS0_10empty_typeEbEEZZNS1_14partition_implILS8_4ELb0ES6_15HIP_vector_typeIjLj2EENS0_17counting_iteratorIjlEEPS9_SG_NS0_5tupleIJPjSI_NS0_16reverse_iteratorISI_EEEEENSH_IJSG_SG_SG_EEES9_SI_JZNS1_25segmented_radix_sort_implINS0_14default_configELb1EPK12hip_bfloat16PSP_PKlPlN2at6native12_GLOBAL__N_18offset_tEEE10hipError_tPvRmT1_PNSt15iterator_traitsIS13_E10value_typeET2_T3_PNS14_IS19_E10value_typeET4_jRbjT5_S1F_jjP12ihipStream_tbEUljE_ZNSN_ISO_Lb1ESR_SS_SU_SV_SZ_EES10_S11_S12_S13_S17_S18_S19_S1C_S1D_jS1E_jS1F_S1F_jjS1H_bEUljE0_EEES10_S11_S12_S19_S1D_S1F_T6_T7_T9_mT8_S1H_bDpT10_ENKUlT_T0_E_clISt17integral_constantIbLb0EES1V_EEDaS1Q_S1R_EUlS1Q_E_NS1_11comp_targetILNS1_3genE2ELNS1_11target_archE906ELNS1_3gpuE6ELNS1_3repE0EEENS1_30default_config_static_selectorELNS0_4arch9wavefront6targetE1EEEvS13_
; %bb.0:
	.section	.rodata,"a",@progbits
	.p2align	6, 0x0
	.amdhsa_kernel _ZN7rocprim17ROCPRIM_400000_NS6detail17trampoline_kernelINS0_13select_configILj256ELj13ELNS0_17block_load_methodE3ELS4_3ELS4_3ELNS0_20block_scan_algorithmE0ELj4294967295EEENS1_25partition_config_selectorILNS1_17partition_subalgoE4EjNS0_10empty_typeEbEEZZNS1_14partition_implILS8_4ELb0ES6_15HIP_vector_typeIjLj2EENS0_17counting_iteratorIjlEEPS9_SG_NS0_5tupleIJPjSI_NS0_16reverse_iteratorISI_EEEEENSH_IJSG_SG_SG_EEES9_SI_JZNS1_25segmented_radix_sort_implINS0_14default_configELb1EPK12hip_bfloat16PSP_PKlPlN2at6native12_GLOBAL__N_18offset_tEEE10hipError_tPvRmT1_PNSt15iterator_traitsIS13_E10value_typeET2_T3_PNS14_IS19_E10value_typeET4_jRbjT5_S1F_jjP12ihipStream_tbEUljE_ZNSN_ISO_Lb1ESR_SS_SU_SV_SZ_EES10_S11_S12_S13_S17_S18_S19_S1C_S1D_jS1E_jS1F_S1F_jjS1H_bEUljE0_EEES10_S11_S12_S19_S1D_S1F_T6_T7_T9_mT8_S1H_bDpT10_ENKUlT_T0_E_clISt17integral_constantIbLb0EES1V_EEDaS1Q_S1R_EUlS1Q_E_NS1_11comp_targetILNS1_3genE2ELNS1_11target_archE906ELNS1_3gpuE6ELNS1_3repE0EEENS1_30default_config_static_selectorELNS0_4arch9wavefront6targetE1EEEvS13_
		.amdhsa_group_segment_fixed_size 0
		.amdhsa_private_segment_fixed_size 0
		.amdhsa_kernarg_size 176
		.amdhsa_user_sgpr_count 6
		.amdhsa_user_sgpr_private_segment_buffer 1
		.amdhsa_user_sgpr_dispatch_ptr 0
		.amdhsa_user_sgpr_queue_ptr 0
		.amdhsa_user_sgpr_kernarg_segment_ptr 1
		.amdhsa_user_sgpr_dispatch_id 0
		.amdhsa_user_sgpr_flat_scratch_init 0
		.amdhsa_user_sgpr_kernarg_preload_length 0
		.amdhsa_user_sgpr_kernarg_preload_offset 0
		.amdhsa_user_sgpr_private_segment_size 0
		.amdhsa_uses_dynamic_stack 0
		.amdhsa_system_sgpr_private_segment_wavefront_offset 0
		.amdhsa_system_sgpr_workgroup_id_x 1
		.amdhsa_system_sgpr_workgroup_id_y 0
		.amdhsa_system_sgpr_workgroup_id_z 0
		.amdhsa_system_sgpr_workgroup_info 0
		.amdhsa_system_vgpr_workitem_id 0
		.amdhsa_next_free_vgpr 1
		.amdhsa_next_free_sgpr 0
		.amdhsa_accum_offset 4
		.amdhsa_reserve_vcc 0
		.amdhsa_reserve_flat_scratch 0
		.amdhsa_float_round_mode_32 0
		.amdhsa_float_round_mode_16_64 0
		.amdhsa_float_denorm_mode_32 3
		.amdhsa_float_denorm_mode_16_64 3
		.amdhsa_dx10_clamp 1
		.amdhsa_ieee_mode 1
		.amdhsa_fp16_overflow 0
		.amdhsa_tg_split 0
		.amdhsa_exception_fp_ieee_invalid_op 0
		.amdhsa_exception_fp_denorm_src 0
		.amdhsa_exception_fp_ieee_div_zero 0
		.amdhsa_exception_fp_ieee_overflow 0
		.amdhsa_exception_fp_ieee_underflow 0
		.amdhsa_exception_fp_ieee_inexact 0
		.amdhsa_exception_int_div_zero 0
	.end_amdhsa_kernel
	.section	.text._ZN7rocprim17ROCPRIM_400000_NS6detail17trampoline_kernelINS0_13select_configILj256ELj13ELNS0_17block_load_methodE3ELS4_3ELS4_3ELNS0_20block_scan_algorithmE0ELj4294967295EEENS1_25partition_config_selectorILNS1_17partition_subalgoE4EjNS0_10empty_typeEbEEZZNS1_14partition_implILS8_4ELb0ES6_15HIP_vector_typeIjLj2EENS0_17counting_iteratorIjlEEPS9_SG_NS0_5tupleIJPjSI_NS0_16reverse_iteratorISI_EEEEENSH_IJSG_SG_SG_EEES9_SI_JZNS1_25segmented_radix_sort_implINS0_14default_configELb1EPK12hip_bfloat16PSP_PKlPlN2at6native12_GLOBAL__N_18offset_tEEE10hipError_tPvRmT1_PNSt15iterator_traitsIS13_E10value_typeET2_T3_PNS14_IS19_E10value_typeET4_jRbjT5_S1F_jjP12ihipStream_tbEUljE_ZNSN_ISO_Lb1ESR_SS_SU_SV_SZ_EES10_S11_S12_S13_S17_S18_S19_S1C_S1D_jS1E_jS1F_S1F_jjS1H_bEUljE0_EEES10_S11_S12_S19_S1D_S1F_T6_T7_T9_mT8_S1H_bDpT10_ENKUlT_T0_E_clISt17integral_constantIbLb0EES1V_EEDaS1Q_S1R_EUlS1Q_E_NS1_11comp_targetILNS1_3genE2ELNS1_11target_archE906ELNS1_3gpuE6ELNS1_3repE0EEENS1_30default_config_static_selectorELNS0_4arch9wavefront6targetE1EEEvS13_,"axG",@progbits,_ZN7rocprim17ROCPRIM_400000_NS6detail17trampoline_kernelINS0_13select_configILj256ELj13ELNS0_17block_load_methodE3ELS4_3ELS4_3ELNS0_20block_scan_algorithmE0ELj4294967295EEENS1_25partition_config_selectorILNS1_17partition_subalgoE4EjNS0_10empty_typeEbEEZZNS1_14partition_implILS8_4ELb0ES6_15HIP_vector_typeIjLj2EENS0_17counting_iteratorIjlEEPS9_SG_NS0_5tupleIJPjSI_NS0_16reverse_iteratorISI_EEEEENSH_IJSG_SG_SG_EEES9_SI_JZNS1_25segmented_radix_sort_implINS0_14default_configELb1EPK12hip_bfloat16PSP_PKlPlN2at6native12_GLOBAL__N_18offset_tEEE10hipError_tPvRmT1_PNSt15iterator_traitsIS13_E10value_typeET2_T3_PNS14_IS19_E10value_typeET4_jRbjT5_S1F_jjP12ihipStream_tbEUljE_ZNSN_ISO_Lb1ESR_SS_SU_SV_SZ_EES10_S11_S12_S13_S17_S18_S19_S1C_S1D_jS1E_jS1F_S1F_jjS1H_bEUljE0_EEES10_S11_S12_S19_S1D_S1F_T6_T7_T9_mT8_S1H_bDpT10_ENKUlT_T0_E_clISt17integral_constantIbLb0EES1V_EEDaS1Q_S1R_EUlS1Q_E_NS1_11comp_targetILNS1_3genE2ELNS1_11target_archE906ELNS1_3gpuE6ELNS1_3repE0EEENS1_30default_config_static_selectorELNS0_4arch9wavefront6targetE1EEEvS13_,comdat
.Lfunc_end1884:
	.size	_ZN7rocprim17ROCPRIM_400000_NS6detail17trampoline_kernelINS0_13select_configILj256ELj13ELNS0_17block_load_methodE3ELS4_3ELS4_3ELNS0_20block_scan_algorithmE0ELj4294967295EEENS1_25partition_config_selectorILNS1_17partition_subalgoE4EjNS0_10empty_typeEbEEZZNS1_14partition_implILS8_4ELb0ES6_15HIP_vector_typeIjLj2EENS0_17counting_iteratorIjlEEPS9_SG_NS0_5tupleIJPjSI_NS0_16reverse_iteratorISI_EEEEENSH_IJSG_SG_SG_EEES9_SI_JZNS1_25segmented_radix_sort_implINS0_14default_configELb1EPK12hip_bfloat16PSP_PKlPlN2at6native12_GLOBAL__N_18offset_tEEE10hipError_tPvRmT1_PNSt15iterator_traitsIS13_E10value_typeET2_T3_PNS14_IS19_E10value_typeET4_jRbjT5_S1F_jjP12ihipStream_tbEUljE_ZNSN_ISO_Lb1ESR_SS_SU_SV_SZ_EES10_S11_S12_S13_S17_S18_S19_S1C_S1D_jS1E_jS1F_S1F_jjS1H_bEUljE0_EEES10_S11_S12_S19_S1D_S1F_T6_T7_T9_mT8_S1H_bDpT10_ENKUlT_T0_E_clISt17integral_constantIbLb0EES1V_EEDaS1Q_S1R_EUlS1Q_E_NS1_11comp_targetILNS1_3genE2ELNS1_11target_archE906ELNS1_3gpuE6ELNS1_3repE0EEENS1_30default_config_static_selectorELNS0_4arch9wavefront6targetE1EEEvS13_, .Lfunc_end1884-_ZN7rocprim17ROCPRIM_400000_NS6detail17trampoline_kernelINS0_13select_configILj256ELj13ELNS0_17block_load_methodE3ELS4_3ELS4_3ELNS0_20block_scan_algorithmE0ELj4294967295EEENS1_25partition_config_selectorILNS1_17partition_subalgoE4EjNS0_10empty_typeEbEEZZNS1_14partition_implILS8_4ELb0ES6_15HIP_vector_typeIjLj2EENS0_17counting_iteratorIjlEEPS9_SG_NS0_5tupleIJPjSI_NS0_16reverse_iteratorISI_EEEEENSH_IJSG_SG_SG_EEES9_SI_JZNS1_25segmented_radix_sort_implINS0_14default_configELb1EPK12hip_bfloat16PSP_PKlPlN2at6native12_GLOBAL__N_18offset_tEEE10hipError_tPvRmT1_PNSt15iterator_traitsIS13_E10value_typeET2_T3_PNS14_IS19_E10value_typeET4_jRbjT5_S1F_jjP12ihipStream_tbEUljE_ZNSN_ISO_Lb1ESR_SS_SU_SV_SZ_EES10_S11_S12_S13_S17_S18_S19_S1C_S1D_jS1E_jS1F_S1F_jjS1H_bEUljE0_EEES10_S11_S12_S19_S1D_S1F_T6_T7_T9_mT8_S1H_bDpT10_ENKUlT_T0_E_clISt17integral_constantIbLb0EES1V_EEDaS1Q_S1R_EUlS1Q_E_NS1_11comp_targetILNS1_3genE2ELNS1_11target_archE906ELNS1_3gpuE6ELNS1_3repE0EEENS1_30default_config_static_selectorELNS0_4arch9wavefront6targetE1EEEvS13_
                                        ; -- End function
	.section	.AMDGPU.csdata,"",@progbits
; Kernel info:
; codeLenInByte = 0
; NumSgprs: 4
; NumVgprs: 0
; NumAgprs: 0
; TotalNumVgprs: 0
; ScratchSize: 0
; MemoryBound: 0
; FloatMode: 240
; IeeeMode: 1
; LDSByteSize: 0 bytes/workgroup (compile time only)
; SGPRBlocks: 0
; VGPRBlocks: 0
; NumSGPRsForWavesPerEU: 4
; NumVGPRsForWavesPerEU: 1
; AccumOffset: 4
; Occupancy: 8
; WaveLimiterHint : 0
; COMPUTE_PGM_RSRC2:SCRATCH_EN: 0
; COMPUTE_PGM_RSRC2:USER_SGPR: 6
; COMPUTE_PGM_RSRC2:TRAP_HANDLER: 0
; COMPUTE_PGM_RSRC2:TGID_X_EN: 1
; COMPUTE_PGM_RSRC2:TGID_Y_EN: 0
; COMPUTE_PGM_RSRC2:TGID_Z_EN: 0
; COMPUTE_PGM_RSRC2:TIDIG_COMP_CNT: 0
; COMPUTE_PGM_RSRC3_GFX90A:ACCUM_OFFSET: 0
; COMPUTE_PGM_RSRC3_GFX90A:TG_SPLIT: 0
	.section	.text._ZN7rocprim17ROCPRIM_400000_NS6detail17trampoline_kernelINS0_13select_configILj256ELj13ELNS0_17block_load_methodE3ELS4_3ELS4_3ELNS0_20block_scan_algorithmE0ELj4294967295EEENS1_25partition_config_selectorILNS1_17partition_subalgoE4EjNS0_10empty_typeEbEEZZNS1_14partition_implILS8_4ELb0ES6_15HIP_vector_typeIjLj2EENS0_17counting_iteratorIjlEEPS9_SG_NS0_5tupleIJPjSI_NS0_16reverse_iteratorISI_EEEEENSH_IJSG_SG_SG_EEES9_SI_JZNS1_25segmented_radix_sort_implINS0_14default_configELb1EPK12hip_bfloat16PSP_PKlPlN2at6native12_GLOBAL__N_18offset_tEEE10hipError_tPvRmT1_PNSt15iterator_traitsIS13_E10value_typeET2_T3_PNS14_IS19_E10value_typeET4_jRbjT5_S1F_jjP12ihipStream_tbEUljE_ZNSN_ISO_Lb1ESR_SS_SU_SV_SZ_EES10_S11_S12_S13_S17_S18_S19_S1C_S1D_jS1E_jS1F_S1F_jjS1H_bEUljE0_EEES10_S11_S12_S19_S1D_S1F_T6_T7_T9_mT8_S1H_bDpT10_ENKUlT_T0_E_clISt17integral_constantIbLb0EES1V_EEDaS1Q_S1R_EUlS1Q_E_NS1_11comp_targetILNS1_3genE10ELNS1_11target_archE1200ELNS1_3gpuE4ELNS1_3repE0EEENS1_30default_config_static_selectorELNS0_4arch9wavefront6targetE1EEEvS13_,"axG",@progbits,_ZN7rocprim17ROCPRIM_400000_NS6detail17trampoline_kernelINS0_13select_configILj256ELj13ELNS0_17block_load_methodE3ELS4_3ELS4_3ELNS0_20block_scan_algorithmE0ELj4294967295EEENS1_25partition_config_selectorILNS1_17partition_subalgoE4EjNS0_10empty_typeEbEEZZNS1_14partition_implILS8_4ELb0ES6_15HIP_vector_typeIjLj2EENS0_17counting_iteratorIjlEEPS9_SG_NS0_5tupleIJPjSI_NS0_16reverse_iteratorISI_EEEEENSH_IJSG_SG_SG_EEES9_SI_JZNS1_25segmented_radix_sort_implINS0_14default_configELb1EPK12hip_bfloat16PSP_PKlPlN2at6native12_GLOBAL__N_18offset_tEEE10hipError_tPvRmT1_PNSt15iterator_traitsIS13_E10value_typeET2_T3_PNS14_IS19_E10value_typeET4_jRbjT5_S1F_jjP12ihipStream_tbEUljE_ZNSN_ISO_Lb1ESR_SS_SU_SV_SZ_EES10_S11_S12_S13_S17_S18_S19_S1C_S1D_jS1E_jS1F_S1F_jjS1H_bEUljE0_EEES10_S11_S12_S19_S1D_S1F_T6_T7_T9_mT8_S1H_bDpT10_ENKUlT_T0_E_clISt17integral_constantIbLb0EES1V_EEDaS1Q_S1R_EUlS1Q_E_NS1_11comp_targetILNS1_3genE10ELNS1_11target_archE1200ELNS1_3gpuE4ELNS1_3repE0EEENS1_30default_config_static_selectorELNS0_4arch9wavefront6targetE1EEEvS13_,comdat
	.globl	_ZN7rocprim17ROCPRIM_400000_NS6detail17trampoline_kernelINS0_13select_configILj256ELj13ELNS0_17block_load_methodE3ELS4_3ELS4_3ELNS0_20block_scan_algorithmE0ELj4294967295EEENS1_25partition_config_selectorILNS1_17partition_subalgoE4EjNS0_10empty_typeEbEEZZNS1_14partition_implILS8_4ELb0ES6_15HIP_vector_typeIjLj2EENS0_17counting_iteratorIjlEEPS9_SG_NS0_5tupleIJPjSI_NS0_16reverse_iteratorISI_EEEEENSH_IJSG_SG_SG_EEES9_SI_JZNS1_25segmented_radix_sort_implINS0_14default_configELb1EPK12hip_bfloat16PSP_PKlPlN2at6native12_GLOBAL__N_18offset_tEEE10hipError_tPvRmT1_PNSt15iterator_traitsIS13_E10value_typeET2_T3_PNS14_IS19_E10value_typeET4_jRbjT5_S1F_jjP12ihipStream_tbEUljE_ZNSN_ISO_Lb1ESR_SS_SU_SV_SZ_EES10_S11_S12_S13_S17_S18_S19_S1C_S1D_jS1E_jS1F_S1F_jjS1H_bEUljE0_EEES10_S11_S12_S19_S1D_S1F_T6_T7_T9_mT8_S1H_bDpT10_ENKUlT_T0_E_clISt17integral_constantIbLb0EES1V_EEDaS1Q_S1R_EUlS1Q_E_NS1_11comp_targetILNS1_3genE10ELNS1_11target_archE1200ELNS1_3gpuE4ELNS1_3repE0EEENS1_30default_config_static_selectorELNS0_4arch9wavefront6targetE1EEEvS13_ ; -- Begin function _ZN7rocprim17ROCPRIM_400000_NS6detail17trampoline_kernelINS0_13select_configILj256ELj13ELNS0_17block_load_methodE3ELS4_3ELS4_3ELNS0_20block_scan_algorithmE0ELj4294967295EEENS1_25partition_config_selectorILNS1_17partition_subalgoE4EjNS0_10empty_typeEbEEZZNS1_14partition_implILS8_4ELb0ES6_15HIP_vector_typeIjLj2EENS0_17counting_iteratorIjlEEPS9_SG_NS0_5tupleIJPjSI_NS0_16reverse_iteratorISI_EEEEENSH_IJSG_SG_SG_EEES9_SI_JZNS1_25segmented_radix_sort_implINS0_14default_configELb1EPK12hip_bfloat16PSP_PKlPlN2at6native12_GLOBAL__N_18offset_tEEE10hipError_tPvRmT1_PNSt15iterator_traitsIS13_E10value_typeET2_T3_PNS14_IS19_E10value_typeET4_jRbjT5_S1F_jjP12ihipStream_tbEUljE_ZNSN_ISO_Lb1ESR_SS_SU_SV_SZ_EES10_S11_S12_S13_S17_S18_S19_S1C_S1D_jS1E_jS1F_S1F_jjS1H_bEUljE0_EEES10_S11_S12_S19_S1D_S1F_T6_T7_T9_mT8_S1H_bDpT10_ENKUlT_T0_E_clISt17integral_constantIbLb0EES1V_EEDaS1Q_S1R_EUlS1Q_E_NS1_11comp_targetILNS1_3genE10ELNS1_11target_archE1200ELNS1_3gpuE4ELNS1_3repE0EEENS1_30default_config_static_selectorELNS0_4arch9wavefront6targetE1EEEvS13_
	.p2align	8
	.type	_ZN7rocprim17ROCPRIM_400000_NS6detail17trampoline_kernelINS0_13select_configILj256ELj13ELNS0_17block_load_methodE3ELS4_3ELS4_3ELNS0_20block_scan_algorithmE0ELj4294967295EEENS1_25partition_config_selectorILNS1_17partition_subalgoE4EjNS0_10empty_typeEbEEZZNS1_14partition_implILS8_4ELb0ES6_15HIP_vector_typeIjLj2EENS0_17counting_iteratorIjlEEPS9_SG_NS0_5tupleIJPjSI_NS0_16reverse_iteratorISI_EEEEENSH_IJSG_SG_SG_EEES9_SI_JZNS1_25segmented_radix_sort_implINS0_14default_configELb1EPK12hip_bfloat16PSP_PKlPlN2at6native12_GLOBAL__N_18offset_tEEE10hipError_tPvRmT1_PNSt15iterator_traitsIS13_E10value_typeET2_T3_PNS14_IS19_E10value_typeET4_jRbjT5_S1F_jjP12ihipStream_tbEUljE_ZNSN_ISO_Lb1ESR_SS_SU_SV_SZ_EES10_S11_S12_S13_S17_S18_S19_S1C_S1D_jS1E_jS1F_S1F_jjS1H_bEUljE0_EEES10_S11_S12_S19_S1D_S1F_T6_T7_T9_mT8_S1H_bDpT10_ENKUlT_T0_E_clISt17integral_constantIbLb0EES1V_EEDaS1Q_S1R_EUlS1Q_E_NS1_11comp_targetILNS1_3genE10ELNS1_11target_archE1200ELNS1_3gpuE4ELNS1_3repE0EEENS1_30default_config_static_selectorELNS0_4arch9wavefront6targetE1EEEvS13_,@function
_ZN7rocprim17ROCPRIM_400000_NS6detail17trampoline_kernelINS0_13select_configILj256ELj13ELNS0_17block_load_methodE3ELS4_3ELS4_3ELNS0_20block_scan_algorithmE0ELj4294967295EEENS1_25partition_config_selectorILNS1_17partition_subalgoE4EjNS0_10empty_typeEbEEZZNS1_14partition_implILS8_4ELb0ES6_15HIP_vector_typeIjLj2EENS0_17counting_iteratorIjlEEPS9_SG_NS0_5tupleIJPjSI_NS0_16reverse_iteratorISI_EEEEENSH_IJSG_SG_SG_EEES9_SI_JZNS1_25segmented_radix_sort_implINS0_14default_configELb1EPK12hip_bfloat16PSP_PKlPlN2at6native12_GLOBAL__N_18offset_tEEE10hipError_tPvRmT1_PNSt15iterator_traitsIS13_E10value_typeET2_T3_PNS14_IS19_E10value_typeET4_jRbjT5_S1F_jjP12ihipStream_tbEUljE_ZNSN_ISO_Lb1ESR_SS_SU_SV_SZ_EES10_S11_S12_S13_S17_S18_S19_S1C_S1D_jS1E_jS1F_S1F_jjS1H_bEUljE0_EEES10_S11_S12_S19_S1D_S1F_T6_T7_T9_mT8_S1H_bDpT10_ENKUlT_T0_E_clISt17integral_constantIbLb0EES1V_EEDaS1Q_S1R_EUlS1Q_E_NS1_11comp_targetILNS1_3genE10ELNS1_11target_archE1200ELNS1_3gpuE4ELNS1_3repE0EEENS1_30default_config_static_selectorELNS0_4arch9wavefront6targetE1EEEvS13_: ; @_ZN7rocprim17ROCPRIM_400000_NS6detail17trampoline_kernelINS0_13select_configILj256ELj13ELNS0_17block_load_methodE3ELS4_3ELS4_3ELNS0_20block_scan_algorithmE0ELj4294967295EEENS1_25partition_config_selectorILNS1_17partition_subalgoE4EjNS0_10empty_typeEbEEZZNS1_14partition_implILS8_4ELb0ES6_15HIP_vector_typeIjLj2EENS0_17counting_iteratorIjlEEPS9_SG_NS0_5tupleIJPjSI_NS0_16reverse_iteratorISI_EEEEENSH_IJSG_SG_SG_EEES9_SI_JZNS1_25segmented_radix_sort_implINS0_14default_configELb1EPK12hip_bfloat16PSP_PKlPlN2at6native12_GLOBAL__N_18offset_tEEE10hipError_tPvRmT1_PNSt15iterator_traitsIS13_E10value_typeET2_T3_PNS14_IS19_E10value_typeET4_jRbjT5_S1F_jjP12ihipStream_tbEUljE_ZNSN_ISO_Lb1ESR_SS_SU_SV_SZ_EES10_S11_S12_S13_S17_S18_S19_S1C_S1D_jS1E_jS1F_S1F_jjS1H_bEUljE0_EEES10_S11_S12_S19_S1D_S1F_T6_T7_T9_mT8_S1H_bDpT10_ENKUlT_T0_E_clISt17integral_constantIbLb0EES1V_EEDaS1Q_S1R_EUlS1Q_E_NS1_11comp_targetILNS1_3genE10ELNS1_11target_archE1200ELNS1_3gpuE4ELNS1_3repE0EEENS1_30default_config_static_selectorELNS0_4arch9wavefront6targetE1EEEvS13_
; %bb.0:
	.section	.rodata,"a",@progbits
	.p2align	6, 0x0
	.amdhsa_kernel _ZN7rocprim17ROCPRIM_400000_NS6detail17trampoline_kernelINS0_13select_configILj256ELj13ELNS0_17block_load_methodE3ELS4_3ELS4_3ELNS0_20block_scan_algorithmE0ELj4294967295EEENS1_25partition_config_selectorILNS1_17partition_subalgoE4EjNS0_10empty_typeEbEEZZNS1_14partition_implILS8_4ELb0ES6_15HIP_vector_typeIjLj2EENS0_17counting_iteratorIjlEEPS9_SG_NS0_5tupleIJPjSI_NS0_16reverse_iteratorISI_EEEEENSH_IJSG_SG_SG_EEES9_SI_JZNS1_25segmented_radix_sort_implINS0_14default_configELb1EPK12hip_bfloat16PSP_PKlPlN2at6native12_GLOBAL__N_18offset_tEEE10hipError_tPvRmT1_PNSt15iterator_traitsIS13_E10value_typeET2_T3_PNS14_IS19_E10value_typeET4_jRbjT5_S1F_jjP12ihipStream_tbEUljE_ZNSN_ISO_Lb1ESR_SS_SU_SV_SZ_EES10_S11_S12_S13_S17_S18_S19_S1C_S1D_jS1E_jS1F_S1F_jjS1H_bEUljE0_EEES10_S11_S12_S19_S1D_S1F_T6_T7_T9_mT8_S1H_bDpT10_ENKUlT_T0_E_clISt17integral_constantIbLb0EES1V_EEDaS1Q_S1R_EUlS1Q_E_NS1_11comp_targetILNS1_3genE10ELNS1_11target_archE1200ELNS1_3gpuE4ELNS1_3repE0EEENS1_30default_config_static_selectorELNS0_4arch9wavefront6targetE1EEEvS13_
		.amdhsa_group_segment_fixed_size 0
		.amdhsa_private_segment_fixed_size 0
		.amdhsa_kernarg_size 176
		.amdhsa_user_sgpr_count 6
		.amdhsa_user_sgpr_private_segment_buffer 1
		.amdhsa_user_sgpr_dispatch_ptr 0
		.amdhsa_user_sgpr_queue_ptr 0
		.amdhsa_user_sgpr_kernarg_segment_ptr 1
		.amdhsa_user_sgpr_dispatch_id 0
		.amdhsa_user_sgpr_flat_scratch_init 0
		.amdhsa_user_sgpr_kernarg_preload_length 0
		.amdhsa_user_sgpr_kernarg_preload_offset 0
		.amdhsa_user_sgpr_private_segment_size 0
		.amdhsa_uses_dynamic_stack 0
		.amdhsa_system_sgpr_private_segment_wavefront_offset 0
		.amdhsa_system_sgpr_workgroup_id_x 1
		.amdhsa_system_sgpr_workgroup_id_y 0
		.amdhsa_system_sgpr_workgroup_id_z 0
		.amdhsa_system_sgpr_workgroup_info 0
		.amdhsa_system_vgpr_workitem_id 0
		.amdhsa_next_free_vgpr 1
		.amdhsa_next_free_sgpr 0
		.amdhsa_accum_offset 4
		.amdhsa_reserve_vcc 0
		.amdhsa_reserve_flat_scratch 0
		.amdhsa_float_round_mode_32 0
		.amdhsa_float_round_mode_16_64 0
		.amdhsa_float_denorm_mode_32 3
		.amdhsa_float_denorm_mode_16_64 3
		.amdhsa_dx10_clamp 1
		.amdhsa_ieee_mode 1
		.amdhsa_fp16_overflow 0
		.amdhsa_tg_split 0
		.amdhsa_exception_fp_ieee_invalid_op 0
		.amdhsa_exception_fp_denorm_src 0
		.amdhsa_exception_fp_ieee_div_zero 0
		.amdhsa_exception_fp_ieee_overflow 0
		.amdhsa_exception_fp_ieee_underflow 0
		.amdhsa_exception_fp_ieee_inexact 0
		.amdhsa_exception_int_div_zero 0
	.end_amdhsa_kernel
	.section	.text._ZN7rocprim17ROCPRIM_400000_NS6detail17trampoline_kernelINS0_13select_configILj256ELj13ELNS0_17block_load_methodE3ELS4_3ELS4_3ELNS0_20block_scan_algorithmE0ELj4294967295EEENS1_25partition_config_selectorILNS1_17partition_subalgoE4EjNS0_10empty_typeEbEEZZNS1_14partition_implILS8_4ELb0ES6_15HIP_vector_typeIjLj2EENS0_17counting_iteratorIjlEEPS9_SG_NS0_5tupleIJPjSI_NS0_16reverse_iteratorISI_EEEEENSH_IJSG_SG_SG_EEES9_SI_JZNS1_25segmented_radix_sort_implINS0_14default_configELb1EPK12hip_bfloat16PSP_PKlPlN2at6native12_GLOBAL__N_18offset_tEEE10hipError_tPvRmT1_PNSt15iterator_traitsIS13_E10value_typeET2_T3_PNS14_IS19_E10value_typeET4_jRbjT5_S1F_jjP12ihipStream_tbEUljE_ZNSN_ISO_Lb1ESR_SS_SU_SV_SZ_EES10_S11_S12_S13_S17_S18_S19_S1C_S1D_jS1E_jS1F_S1F_jjS1H_bEUljE0_EEES10_S11_S12_S19_S1D_S1F_T6_T7_T9_mT8_S1H_bDpT10_ENKUlT_T0_E_clISt17integral_constantIbLb0EES1V_EEDaS1Q_S1R_EUlS1Q_E_NS1_11comp_targetILNS1_3genE10ELNS1_11target_archE1200ELNS1_3gpuE4ELNS1_3repE0EEENS1_30default_config_static_selectorELNS0_4arch9wavefront6targetE1EEEvS13_,"axG",@progbits,_ZN7rocprim17ROCPRIM_400000_NS6detail17trampoline_kernelINS0_13select_configILj256ELj13ELNS0_17block_load_methodE3ELS4_3ELS4_3ELNS0_20block_scan_algorithmE0ELj4294967295EEENS1_25partition_config_selectorILNS1_17partition_subalgoE4EjNS0_10empty_typeEbEEZZNS1_14partition_implILS8_4ELb0ES6_15HIP_vector_typeIjLj2EENS0_17counting_iteratorIjlEEPS9_SG_NS0_5tupleIJPjSI_NS0_16reverse_iteratorISI_EEEEENSH_IJSG_SG_SG_EEES9_SI_JZNS1_25segmented_radix_sort_implINS0_14default_configELb1EPK12hip_bfloat16PSP_PKlPlN2at6native12_GLOBAL__N_18offset_tEEE10hipError_tPvRmT1_PNSt15iterator_traitsIS13_E10value_typeET2_T3_PNS14_IS19_E10value_typeET4_jRbjT5_S1F_jjP12ihipStream_tbEUljE_ZNSN_ISO_Lb1ESR_SS_SU_SV_SZ_EES10_S11_S12_S13_S17_S18_S19_S1C_S1D_jS1E_jS1F_S1F_jjS1H_bEUljE0_EEES10_S11_S12_S19_S1D_S1F_T6_T7_T9_mT8_S1H_bDpT10_ENKUlT_T0_E_clISt17integral_constantIbLb0EES1V_EEDaS1Q_S1R_EUlS1Q_E_NS1_11comp_targetILNS1_3genE10ELNS1_11target_archE1200ELNS1_3gpuE4ELNS1_3repE0EEENS1_30default_config_static_selectorELNS0_4arch9wavefront6targetE1EEEvS13_,comdat
.Lfunc_end1885:
	.size	_ZN7rocprim17ROCPRIM_400000_NS6detail17trampoline_kernelINS0_13select_configILj256ELj13ELNS0_17block_load_methodE3ELS4_3ELS4_3ELNS0_20block_scan_algorithmE0ELj4294967295EEENS1_25partition_config_selectorILNS1_17partition_subalgoE4EjNS0_10empty_typeEbEEZZNS1_14partition_implILS8_4ELb0ES6_15HIP_vector_typeIjLj2EENS0_17counting_iteratorIjlEEPS9_SG_NS0_5tupleIJPjSI_NS0_16reverse_iteratorISI_EEEEENSH_IJSG_SG_SG_EEES9_SI_JZNS1_25segmented_radix_sort_implINS0_14default_configELb1EPK12hip_bfloat16PSP_PKlPlN2at6native12_GLOBAL__N_18offset_tEEE10hipError_tPvRmT1_PNSt15iterator_traitsIS13_E10value_typeET2_T3_PNS14_IS19_E10value_typeET4_jRbjT5_S1F_jjP12ihipStream_tbEUljE_ZNSN_ISO_Lb1ESR_SS_SU_SV_SZ_EES10_S11_S12_S13_S17_S18_S19_S1C_S1D_jS1E_jS1F_S1F_jjS1H_bEUljE0_EEES10_S11_S12_S19_S1D_S1F_T6_T7_T9_mT8_S1H_bDpT10_ENKUlT_T0_E_clISt17integral_constantIbLb0EES1V_EEDaS1Q_S1R_EUlS1Q_E_NS1_11comp_targetILNS1_3genE10ELNS1_11target_archE1200ELNS1_3gpuE4ELNS1_3repE0EEENS1_30default_config_static_selectorELNS0_4arch9wavefront6targetE1EEEvS13_, .Lfunc_end1885-_ZN7rocprim17ROCPRIM_400000_NS6detail17trampoline_kernelINS0_13select_configILj256ELj13ELNS0_17block_load_methodE3ELS4_3ELS4_3ELNS0_20block_scan_algorithmE0ELj4294967295EEENS1_25partition_config_selectorILNS1_17partition_subalgoE4EjNS0_10empty_typeEbEEZZNS1_14partition_implILS8_4ELb0ES6_15HIP_vector_typeIjLj2EENS0_17counting_iteratorIjlEEPS9_SG_NS0_5tupleIJPjSI_NS0_16reverse_iteratorISI_EEEEENSH_IJSG_SG_SG_EEES9_SI_JZNS1_25segmented_radix_sort_implINS0_14default_configELb1EPK12hip_bfloat16PSP_PKlPlN2at6native12_GLOBAL__N_18offset_tEEE10hipError_tPvRmT1_PNSt15iterator_traitsIS13_E10value_typeET2_T3_PNS14_IS19_E10value_typeET4_jRbjT5_S1F_jjP12ihipStream_tbEUljE_ZNSN_ISO_Lb1ESR_SS_SU_SV_SZ_EES10_S11_S12_S13_S17_S18_S19_S1C_S1D_jS1E_jS1F_S1F_jjS1H_bEUljE0_EEES10_S11_S12_S19_S1D_S1F_T6_T7_T9_mT8_S1H_bDpT10_ENKUlT_T0_E_clISt17integral_constantIbLb0EES1V_EEDaS1Q_S1R_EUlS1Q_E_NS1_11comp_targetILNS1_3genE10ELNS1_11target_archE1200ELNS1_3gpuE4ELNS1_3repE0EEENS1_30default_config_static_selectorELNS0_4arch9wavefront6targetE1EEEvS13_
                                        ; -- End function
	.section	.AMDGPU.csdata,"",@progbits
; Kernel info:
; codeLenInByte = 0
; NumSgprs: 4
; NumVgprs: 0
; NumAgprs: 0
; TotalNumVgprs: 0
; ScratchSize: 0
; MemoryBound: 0
; FloatMode: 240
; IeeeMode: 1
; LDSByteSize: 0 bytes/workgroup (compile time only)
; SGPRBlocks: 0
; VGPRBlocks: 0
; NumSGPRsForWavesPerEU: 4
; NumVGPRsForWavesPerEU: 1
; AccumOffset: 4
; Occupancy: 8
; WaveLimiterHint : 0
; COMPUTE_PGM_RSRC2:SCRATCH_EN: 0
; COMPUTE_PGM_RSRC2:USER_SGPR: 6
; COMPUTE_PGM_RSRC2:TRAP_HANDLER: 0
; COMPUTE_PGM_RSRC2:TGID_X_EN: 1
; COMPUTE_PGM_RSRC2:TGID_Y_EN: 0
; COMPUTE_PGM_RSRC2:TGID_Z_EN: 0
; COMPUTE_PGM_RSRC2:TIDIG_COMP_CNT: 0
; COMPUTE_PGM_RSRC3_GFX90A:ACCUM_OFFSET: 0
; COMPUTE_PGM_RSRC3_GFX90A:TG_SPLIT: 0
	.section	.text._ZN7rocprim17ROCPRIM_400000_NS6detail17trampoline_kernelINS0_13select_configILj256ELj13ELNS0_17block_load_methodE3ELS4_3ELS4_3ELNS0_20block_scan_algorithmE0ELj4294967295EEENS1_25partition_config_selectorILNS1_17partition_subalgoE4EjNS0_10empty_typeEbEEZZNS1_14partition_implILS8_4ELb0ES6_15HIP_vector_typeIjLj2EENS0_17counting_iteratorIjlEEPS9_SG_NS0_5tupleIJPjSI_NS0_16reverse_iteratorISI_EEEEENSH_IJSG_SG_SG_EEES9_SI_JZNS1_25segmented_radix_sort_implINS0_14default_configELb1EPK12hip_bfloat16PSP_PKlPlN2at6native12_GLOBAL__N_18offset_tEEE10hipError_tPvRmT1_PNSt15iterator_traitsIS13_E10value_typeET2_T3_PNS14_IS19_E10value_typeET4_jRbjT5_S1F_jjP12ihipStream_tbEUljE_ZNSN_ISO_Lb1ESR_SS_SU_SV_SZ_EES10_S11_S12_S13_S17_S18_S19_S1C_S1D_jS1E_jS1F_S1F_jjS1H_bEUljE0_EEES10_S11_S12_S19_S1D_S1F_T6_T7_T9_mT8_S1H_bDpT10_ENKUlT_T0_E_clISt17integral_constantIbLb0EES1V_EEDaS1Q_S1R_EUlS1Q_E_NS1_11comp_targetILNS1_3genE9ELNS1_11target_archE1100ELNS1_3gpuE3ELNS1_3repE0EEENS1_30default_config_static_selectorELNS0_4arch9wavefront6targetE1EEEvS13_,"axG",@progbits,_ZN7rocprim17ROCPRIM_400000_NS6detail17trampoline_kernelINS0_13select_configILj256ELj13ELNS0_17block_load_methodE3ELS4_3ELS4_3ELNS0_20block_scan_algorithmE0ELj4294967295EEENS1_25partition_config_selectorILNS1_17partition_subalgoE4EjNS0_10empty_typeEbEEZZNS1_14partition_implILS8_4ELb0ES6_15HIP_vector_typeIjLj2EENS0_17counting_iteratorIjlEEPS9_SG_NS0_5tupleIJPjSI_NS0_16reverse_iteratorISI_EEEEENSH_IJSG_SG_SG_EEES9_SI_JZNS1_25segmented_radix_sort_implINS0_14default_configELb1EPK12hip_bfloat16PSP_PKlPlN2at6native12_GLOBAL__N_18offset_tEEE10hipError_tPvRmT1_PNSt15iterator_traitsIS13_E10value_typeET2_T3_PNS14_IS19_E10value_typeET4_jRbjT5_S1F_jjP12ihipStream_tbEUljE_ZNSN_ISO_Lb1ESR_SS_SU_SV_SZ_EES10_S11_S12_S13_S17_S18_S19_S1C_S1D_jS1E_jS1F_S1F_jjS1H_bEUljE0_EEES10_S11_S12_S19_S1D_S1F_T6_T7_T9_mT8_S1H_bDpT10_ENKUlT_T0_E_clISt17integral_constantIbLb0EES1V_EEDaS1Q_S1R_EUlS1Q_E_NS1_11comp_targetILNS1_3genE9ELNS1_11target_archE1100ELNS1_3gpuE3ELNS1_3repE0EEENS1_30default_config_static_selectorELNS0_4arch9wavefront6targetE1EEEvS13_,comdat
	.globl	_ZN7rocprim17ROCPRIM_400000_NS6detail17trampoline_kernelINS0_13select_configILj256ELj13ELNS0_17block_load_methodE3ELS4_3ELS4_3ELNS0_20block_scan_algorithmE0ELj4294967295EEENS1_25partition_config_selectorILNS1_17partition_subalgoE4EjNS0_10empty_typeEbEEZZNS1_14partition_implILS8_4ELb0ES6_15HIP_vector_typeIjLj2EENS0_17counting_iteratorIjlEEPS9_SG_NS0_5tupleIJPjSI_NS0_16reverse_iteratorISI_EEEEENSH_IJSG_SG_SG_EEES9_SI_JZNS1_25segmented_radix_sort_implINS0_14default_configELb1EPK12hip_bfloat16PSP_PKlPlN2at6native12_GLOBAL__N_18offset_tEEE10hipError_tPvRmT1_PNSt15iterator_traitsIS13_E10value_typeET2_T3_PNS14_IS19_E10value_typeET4_jRbjT5_S1F_jjP12ihipStream_tbEUljE_ZNSN_ISO_Lb1ESR_SS_SU_SV_SZ_EES10_S11_S12_S13_S17_S18_S19_S1C_S1D_jS1E_jS1F_S1F_jjS1H_bEUljE0_EEES10_S11_S12_S19_S1D_S1F_T6_T7_T9_mT8_S1H_bDpT10_ENKUlT_T0_E_clISt17integral_constantIbLb0EES1V_EEDaS1Q_S1R_EUlS1Q_E_NS1_11comp_targetILNS1_3genE9ELNS1_11target_archE1100ELNS1_3gpuE3ELNS1_3repE0EEENS1_30default_config_static_selectorELNS0_4arch9wavefront6targetE1EEEvS13_ ; -- Begin function _ZN7rocprim17ROCPRIM_400000_NS6detail17trampoline_kernelINS0_13select_configILj256ELj13ELNS0_17block_load_methodE3ELS4_3ELS4_3ELNS0_20block_scan_algorithmE0ELj4294967295EEENS1_25partition_config_selectorILNS1_17partition_subalgoE4EjNS0_10empty_typeEbEEZZNS1_14partition_implILS8_4ELb0ES6_15HIP_vector_typeIjLj2EENS0_17counting_iteratorIjlEEPS9_SG_NS0_5tupleIJPjSI_NS0_16reverse_iteratorISI_EEEEENSH_IJSG_SG_SG_EEES9_SI_JZNS1_25segmented_radix_sort_implINS0_14default_configELb1EPK12hip_bfloat16PSP_PKlPlN2at6native12_GLOBAL__N_18offset_tEEE10hipError_tPvRmT1_PNSt15iterator_traitsIS13_E10value_typeET2_T3_PNS14_IS19_E10value_typeET4_jRbjT5_S1F_jjP12ihipStream_tbEUljE_ZNSN_ISO_Lb1ESR_SS_SU_SV_SZ_EES10_S11_S12_S13_S17_S18_S19_S1C_S1D_jS1E_jS1F_S1F_jjS1H_bEUljE0_EEES10_S11_S12_S19_S1D_S1F_T6_T7_T9_mT8_S1H_bDpT10_ENKUlT_T0_E_clISt17integral_constantIbLb0EES1V_EEDaS1Q_S1R_EUlS1Q_E_NS1_11comp_targetILNS1_3genE9ELNS1_11target_archE1100ELNS1_3gpuE3ELNS1_3repE0EEENS1_30default_config_static_selectorELNS0_4arch9wavefront6targetE1EEEvS13_
	.p2align	8
	.type	_ZN7rocprim17ROCPRIM_400000_NS6detail17trampoline_kernelINS0_13select_configILj256ELj13ELNS0_17block_load_methodE3ELS4_3ELS4_3ELNS0_20block_scan_algorithmE0ELj4294967295EEENS1_25partition_config_selectorILNS1_17partition_subalgoE4EjNS0_10empty_typeEbEEZZNS1_14partition_implILS8_4ELb0ES6_15HIP_vector_typeIjLj2EENS0_17counting_iteratorIjlEEPS9_SG_NS0_5tupleIJPjSI_NS0_16reverse_iteratorISI_EEEEENSH_IJSG_SG_SG_EEES9_SI_JZNS1_25segmented_radix_sort_implINS0_14default_configELb1EPK12hip_bfloat16PSP_PKlPlN2at6native12_GLOBAL__N_18offset_tEEE10hipError_tPvRmT1_PNSt15iterator_traitsIS13_E10value_typeET2_T3_PNS14_IS19_E10value_typeET4_jRbjT5_S1F_jjP12ihipStream_tbEUljE_ZNSN_ISO_Lb1ESR_SS_SU_SV_SZ_EES10_S11_S12_S13_S17_S18_S19_S1C_S1D_jS1E_jS1F_S1F_jjS1H_bEUljE0_EEES10_S11_S12_S19_S1D_S1F_T6_T7_T9_mT8_S1H_bDpT10_ENKUlT_T0_E_clISt17integral_constantIbLb0EES1V_EEDaS1Q_S1R_EUlS1Q_E_NS1_11comp_targetILNS1_3genE9ELNS1_11target_archE1100ELNS1_3gpuE3ELNS1_3repE0EEENS1_30default_config_static_selectorELNS0_4arch9wavefront6targetE1EEEvS13_,@function
_ZN7rocprim17ROCPRIM_400000_NS6detail17trampoline_kernelINS0_13select_configILj256ELj13ELNS0_17block_load_methodE3ELS4_3ELS4_3ELNS0_20block_scan_algorithmE0ELj4294967295EEENS1_25partition_config_selectorILNS1_17partition_subalgoE4EjNS0_10empty_typeEbEEZZNS1_14partition_implILS8_4ELb0ES6_15HIP_vector_typeIjLj2EENS0_17counting_iteratorIjlEEPS9_SG_NS0_5tupleIJPjSI_NS0_16reverse_iteratorISI_EEEEENSH_IJSG_SG_SG_EEES9_SI_JZNS1_25segmented_radix_sort_implINS0_14default_configELb1EPK12hip_bfloat16PSP_PKlPlN2at6native12_GLOBAL__N_18offset_tEEE10hipError_tPvRmT1_PNSt15iterator_traitsIS13_E10value_typeET2_T3_PNS14_IS19_E10value_typeET4_jRbjT5_S1F_jjP12ihipStream_tbEUljE_ZNSN_ISO_Lb1ESR_SS_SU_SV_SZ_EES10_S11_S12_S13_S17_S18_S19_S1C_S1D_jS1E_jS1F_S1F_jjS1H_bEUljE0_EEES10_S11_S12_S19_S1D_S1F_T6_T7_T9_mT8_S1H_bDpT10_ENKUlT_T0_E_clISt17integral_constantIbLb0EES1V_EEDaS1Q_S1R_EUlS1Q_E_NS1_11comp_targetILNS1_3genE9ELNS1_11target_archE1100ELNS1_3gpuE3ELNS1_3repE0EEENS1_30default_config_static_selectorELNS0_4arch9wavefront6targetE1EEEvS13_: ; @_ZN7rocprim17ROCPRIM_400000_NS6detail17trampoline_kernelINS0_13select_configILj256ELj13ELNS0_17block_load_methodE3ELS4_3ELS4_3ELNS0_20block_scan_algorithmE0ELj4294967295EEENS1_25partition_config_selectorILNS1_17partition_subalgoE4EjNS0_10empty_typeEbEEZZNS1_14partition_implILS8_4ELb0ES6_15HIP_vector_typeIjLj2EENS0_17counting_iteratorIjlEEPS9_SG_NS0_5tupleIJPjSI_NS0_16reverse_iteratorISI_EEEEENSH_IJSG_SG_SG_EEES9_SI_JZNS1_25segmented_radix_sort_implINS0_14default_configELb1EPK12hip_bfloat16PSP_PKlPlN2at6native12_GLOBAL__N_18offset_tEEE10hipError_tPvRmT1_PNSt15iterator_traitsIS13_E10value_typeET2_T3_PNS14_IS19_E10value_typeET4_jRbjT5_S1F_jjP12ihipStream_tbEUljE_ZNSN_ISO_Lb1ESR_SS_SU_SV_SZ_EES10_S11_S12_S13_S17_S18_S19_S1C_S1D_jS1E_jS1F_S1F_jjS1H_bEUljE0_EEES10_S11_S12_S19_S1D_S1F_T6_T7_T9_mT8_S1H_bDpT10_ENKUlT_T0_E_clISt17integral_constantIbLb0EES1V_EEDaS1Q_S1R_EUlS1Q_E_NS1_11comp_targetILNS1_3genE9ELNS1_11target_archE1100ELNS1_3gpuE3ELNS1_3repE0EEENS1_30default_config_static_selectorELNS0_4arch9wavefront6targetE1EEEvS13_
; %bb.0:
	.section	.rodata,"a",@progbits
	.p2align	6, 0x0
	.amdhsa_kernel _ZN7rocprim17ROCPRIM_400000_NS6detail17trampoline_kernelINS0_13select_configILj256ELj13ELNS0_17block_load_methodE3ELS4_3ELS4_3ELNS0_20block_scan_algorithmE0ELj4294967295EEENS1_25partition_config_selectorILNS1_17partition_subalgoE4EjNS0_10empty_typeEbEEZZNS1_14partition_implILS8_4ELb0ES6_15HIP_vector_typeIjLj2EENS0_17counting_iteratorIjlEEPS9_SG_NS0_5tupleIJPjSI_NS0_16reverse_iteratorISI_EEEEENSH_IJSG_SG_SG_EEES9_SI_JZNS1_25segmented_radix_sort_implINS0_14default_configELb1EPK12hip_bfloat16PSP_PKlPlN2at6native12_GLOBAL__N_18offset_tEEE10hipError_tPvRmT1_PNSt15iterator_traitsIS13_E10value_typeET2_T3_PNS14_IS19_E10value_typeET4_jRbjT5_S1F_jjP12ihipStream_tbEUljE_ZNSN_ISO_Lb1ESR_SS_SU_SV_SZ_EES10_S11_S12_S13_S17_S18_S19_S1C_S1D_jS1E_jS1F_S1F_jjS1H_bEUljE0_EEES10_S11_S12_S19_S1D_S1F_T6_T7_T9_mT8_S1H_bDpT10_ENKUlT_T0_E_clISt17integral_constantIbLb0EES1V_EEDaS1Q_S1R_EUlS1Q_E_NS1_11comp_targetILNS1_3genE9ELNS1_11target_archE1100ELNS1_3gpuE3ELNS1_3repE0EEENS1_30default_config_static_selectorELNS0_4arch9wavefront6targetE1EEEvS13_
		.amdhsa_group_segment_fixed_size 0
		.amdhsa_private_segment_fixed_size 0
		.amdhsa_kernarg_size 176
		.amdhsa_user_sgpr_count 6
		.amdhsa_user_sgpr_private_segment_buffer 1
		.amdhsa_user_sgpr_dispatch_ptr 0
		.amdhsa_user_sgpr_queue_ptr 0
		.amdhsa_user_sgpr_kernarg_segment_ptr 1
		.amdhsa_user_sgpr_dispatch_id 0
		.amdhsa_user_sgpr_flat_scratch_init 0
		.amdhsa_user_sgpr_kernarg_preload_length 0
		.amdhsa_user_sgpr_kernarg_preload_offset 0
		.amdhsa_user_sgpr_private_segment_size 0
		.amdhsa_uses_dynamic_stack 0
		.amdhsa_system_sgpr_private_segment_wavefront_offset 0
		.amdhsa_system_sgpr_workgroup_id_x 1
		.amdhsa_system_sgpr_workgroup_id_y 0
		.amdhsa_system_sgpr_workgroup_id_z 0
		.amdhsa_system_sgpr_workgroup_info 0
		.amdhsa_system_vgpr_workitem_id 0
		.amdhsa_next_free_vgpr 1
		.amdhsa_next_free_sgpr 0
		.amdhsa_accum_offset 4
		.amdhsa_reserve_vcc 0
		.amdhsa_reserve_flat_scratch 0
		.amdhsa_float_round_mode_32 0
		.amdhsa_float_round_mode_16_64 0
		.amdhsa_float_denorm_mode_32 3
		.amdhsa_float_denorm_mode_16_64 3
		.amdhsa_dx10_clamp 1
		.amdhsa_ieee_mode 1
		.amdhsa_fp16_overflow 0
		.amdhsa_tg_split 0
		.amdhsa_exception_fp_ieee_invalid_op 0
		.amdhsa_exception_fp_denorm_src 0
		.amdhsa_exception_fp_ieee_div_zero 0
		.amdhsa_exception_fp_ieee_overflow 0
		.amdhsa_exception_fp_ieee_underflow 0
		.amdhsa_exception_fp_ieee_inexact 0
		.amdhsa_exception_int_div_zero 0
	.end_amdhsa_kernel
	.section	.text._ZN7rocprim17ROCPRIM_400000_NS6detail17trampoline_kernelINS0_13select_configILj256ELj13ELNS0_17block_load_methodE3ELS4_3ELS4_3ELNS0_20block_scan_algorithmE0ELj4294967295EEENS1_25partition_config_selectorILNS1_17partition_subalgoE4EjNS0_10empty_typeEbEEZZNS1_14partition_implILS8_4ELb0ES6_15HIP_vector_typeIjLj2EENS0_17counting_iteratorIjlEEPS9_SG_NS0_5tupleIJPjSI_NS0_16reverse_iteratorISI_EEEEENSH_IJSG_SG_SG_EEES9_SI_JZNS1_25segmented_radix_sort_implINS0_14default_configELb1EPK12hip_bfloat16PSP_PKlPlN2at6native12_GLOBAL__N_18offset_tEEE10hipError_tPvRmT1_PNSt15iterator_traitsIS13_E10value_typeET2_T3_PNS14_IS19_E10value_typeET4_jRbjT5_S1F_jjP12ihipStream_tbEUljE_ZNSN_ISO_Lb1ESR_SS_SU_SV_SZ_EES10_S11_S12_S13_S17_S18_S19_S1C_S1D_jS1E_jS1F_S1F_jjS1H_bEUljE0_EEES10_S11_S12_S19_S1D_S1F_T6_T7_T9_mT8_S1H_bDpT10_ENKUlT_T0_E_clISt17integral_constantIbLb0EES1V_EEDaS1Q_S1R_EUlS1Q_E_NS1_11comp_targetILNS1_3genE9ELNS1_11target_archE1100ELNS1_3gpuE3ELNS1_3repE0EEENS1_30default_config_static_selectorELNS0_4arch9wavefront6targetE1EEEvS13_,"axG",@progbits,_ZN7rocprim17ROCPRIM_400000_NS6detail17trampoline_kernelINS0_13select_configILj256ELj13ELNS0_17block_load_methodE3ELS4_3ELS4_3ELNS0_20block_scan_algorithmE0ELj4294967295EEENS1_25partition_config_selectorILNS1_17partition_subalgoE4EjNS0_10empty_typeEbEEZZNS1_14partition_implILS8_4ELb0ES6_15HIP_vector_typeIjLj2EENS0_17counting_iteratorIjlEEPS9_SG_NS0_5tupleIJPjSI_NS0_16reverse_iteratorISI_EEEEENSH_IJSG_SG_SG_EEES9_SI_JZNS1_25segmented_radix_sort_implINS0_14default_configELb1EPK12hip_bfloat16PSP_PKlPlN2at6native12_GLOBAL__N_18offset_tEEE10hipError_tPvRmT1_PNSt15iterator_traitsIS13_E10value_typeET2_T3_PNS14_IS19_E10value_typeET4_jRbjT5_S1F_jjP12ihipStream_tbEUljE_ZNSN_ISO_Lb1ESR_SS_SU_SV_SZ_EES10_S11_S12_S13_S17_S18_S19_S1C_S1D_jS1E_jS1F_S1F_jjS1H_bEUljE0_EEES10_S11_S12_S19_S1D_S1F_T6_T7_T9_mT8_S1H_bDpT10_ENKUlT_T0_E_clISt17integral_constantIbLb0EES1V_EEDaS1Q_S1R_EUlS1Q_E_NS1_11comp_targetILNS1_3genE9ELNS1_11target_archE1100ELNS1_3gpuE3ELNS1_3repE0EEENS1_30default_config_static_selectorELNS0_4arch9wavefront6targetE1EEEvS13_,comdat
.Lfunc_end1886:
	.size	_ZN7rocprim17ROCPRIM_400000_NS6detail17trampoline_kernelINS0_13select_configILj256ELj13ELNS0_17block_load_methodE3ELS4_3ELS4_3ELNS0_20block_scan_algorithmE0ELj4294967295EEENS1_25partition_config_selectorILNS1_17partition_subalgoE4EjNS0_10empty_typeEbEEZZNS1_14partition_implILS8_4ELb0ES6_15HIP_vector_typeIjLj2EENS0_17counting_iteratorIjlEEPS9_SG_NS0_5tupleIJPjSI_NS0_16reverse_iteratorISI_EEEEENSH_IJSG_SG_SG_EEES9_SI_JZNS1_25segmented_radix_sort_implINS0_14default_configELb1EPK12hip_bfloat16PSP_PKlPlN2at6native12_GLOBAL__N_18offset_tEEE10hipError_tPvRmT1_PNSt15iterator_traitsIS13_E10value_typeET2_T3_PNS14_IS19_E10value_typeET4_jRbjT5_S1F_jjP12ihipStream_tbEUljE_ZNSN_ISO_Lb1ESR_SS_SU_SV_SZ_EES10_S11_S12_S13_S17_S18_S19_S1C_S1D_jS1E_jS1F_S1F_jjS1H_bEUljE0_EEES10_S11_S12_S19_S1D_S1F_T6_T7_T9_mT8_S1H_bDpT10_ENKUlT_T0_E_clISt17integral_constantIbLb0EES1V_EEDaS1Q_S1R_EUlS1Q_E_NS1_11comp_targetILNS1_3genE9ELNS1_11target_archE1100ELNS1_3gpuE3ELNS1_3repE0EEENS1_30default_config_static_selectorELNS0_4arch9wavefront6targetE1EEEvS13_, .Lfunc_end1886-_ZN7rocprim17ROCPRIM_400000_NS6detail17trampoline_kernelINS0_13select_configILj256ELj13ELNS0_17block_load_methodE3ELS4_3ELS4_3ELNS0_20block_scan_algorithmE0ELj4294967295EEENS1_25partition_config_selectorILNS1_17partition_subalgoE4EjNS0_10empty_typeEbEEZZNS1_14partition_implILS8_4ELb0ES6_15HIP_vector_typeIjLj2EENS0_17counting_iteratorIjlEEPS9_SG_NS0_5tupleIJPjSI_NS0_16reverse_iteratorISI_EEEEENSH_IJSG_SG_SG_EEES9_SI_JZNS1_25segmented_radix_sort_implINS0_14default_configELb1EPK12hip_bfloat16PSP_PKlPlN2at6native12_GLOBAL__N_18offset_tEEE10hipError_tPvRmT1_PNSt15iterator_traitsIS13_E10value_typeET2_T3_PNS14_IS19_E10value_typeET4_jRbjT5_S1F_jjP12ihipStream_tbEUljE_ZNSN_ISO_Lb1ESR_SS_SU_SV_SZ_EES10_S11_S12_S13_S17_S18_S19_S1C_S1D_jS1E_jS1F_S1F_jjS1H_bEUljE0_EEES10_S11_S12_S19_S1D_S1F_T6_T7_T9_mT8_S1H_bDpT10_ENKUlT_T0_E_clISt17integral_constantIbLb0EES1V_EEDaS1Q_S1R_EUlS1Q_E_NS1_11comp_targetILNS1_3genE9ELNS1_11target_archE1100ELNS1_3gpuE3ELNS1_3repE0EEENS1_30default_config_static_selectorELNS0_4arch9wavefront6targetE1EEEvS13_
                                        ; -- End function
	.section	.AMDGPU.csdata,"",@progbits
; Kernel info:
; codeLenInByte = 0
; NumSgprs: 4
; NumVgprs: 0
; NumAgprs: 0
; TotalNumVgprs: 0
; ScratchSize: 0
; MemoryBound: 0
; FloatMode: 240
; IeeeMode: 1
; LDSByteSize: 0 bytes/workgroup (compile time only)
; SGPRBlocks: 0
; VGPRBlocks: 0
; NumSGPRsForWavesPerEU: 4
; NumVGPRsForWavesPerEU: 1
; AccumOffset: 4
; Occupancy: 8
; WaveLimiterHint : 0
; COMPUTE_PGM_RSRC2:SCRATCH_EN: 0
; COMPUTE_PGM_RSRC2:USER_SGPR: 6
; COMPUTE_PGM_RSRC2:TRAP_HANDLER: 0
; COMPUTE_PGM_RSRC2:TGID_X_EN: 1
; COMPUTE_PGM_RSRC2:TGID_Y_EN: 0
; COMPUTE_PGM_RSRC2:TGID_Z_EN: 0
; COMPUTE_PGM_RSRC2:TIDIG_COMP_CNT: 0
; COMPUTE_PGM_RSRC3_GFX90A:ACCUM_OFFSET: 0
; COMPUTE_PGM_RSRC3_GFX90A:TG_SPLIT: 0
	.section	.text._ZN7rocprim17ROCPRIM_400000_NS6detail17trampoline_kernelINS0_13select_configILj256ELj13ELNS0_17block_load_methodE3ELS4_3ELS4_3ELNS0_20block_scan_algorithmE0ELj4294967295EEENS1_25partition_config_selectorILNS1_17partition_subalgoE4EjNS0_10empty_typeEbEEZZNS1_14partition_implILS8_4ELb0ES6_15HIP_vector_typeIjLj2EENS0_17counting_iteratorIjlEEPS9_SG_NS0_5tupleIJPjSI_NS0_16reverse_iteratorISI_EEEEENSH_IJSG_SG_SG_EEES9_SI_JZNS1_25segmented_radix_sort_implINS0_14default_configELb1EPK12hip_bfloat16PSP_PKlPlN2at6native12_GLOBAL__N_18offset_tEEE10hipError_tPvRmT1_PNSt15iterator_traitsIS13_E10value_typeET2_T3_PNS14_IS19_E10value_typeET4_jRbjT5_S1F_jjP12ihipStream_tbEUljE_ZNSN_ISO_Lb1ESR_SS_SU_SV_SZ_EES10_S11_S12_S13_S17_S18_S19_S1C_S1D_jS1E_jS1F_S1F_jjS1H_bEUljE0_EEES10_S11_S12_S19_S1D_S1F_T6_T7_T9_mT8_S1H_bDpT10_ENKUlT_T0_E_clISt17integral_constantIbLb0EES1V_EEDaS1Q_S1R_EUlS1Q_E_NS1_11comp_targetILNS1_3genE8ELNS1_11target_archE1030ELNS1_3gpuE2ELNS1_3repE0EEENS1_30default_config_static_selectorELNS0_4arch9wavefront6targetE1EEEvS13_,"axG",@progbits,_ZN7rocprim17ROCPRIM_400000_NS6detail17trampoline_kernelINS0_13select_configILj256ELj13ELNS0_17block_load_methodE3ELS4_3ELS4_3ELNS0_20block_scan_algorithmE0ELj4294967295EEENS1_25partition_config_selectorILNS1_17partition_subalgoE4EjNS0_10empty_typeEbEEZZNS1_14partition_implILS8_4ELb0ES6_15HIP_vector_typeIjLj2EENS0_17counting_iteratorIjlEEPS9_SG_NS0_5tupleIJPjSI_NS0_16reverse_iteratorISI_EEEEENSH_IJSG_SG_SG_EEES9_SI_JZNS1_25segmented_radix_sort_implINS0_14default_configELb1EPK12hip_bfloat16PSP_PKlPlN2at6native12_GLOBAL__N_18offset_tEEE10hipError_tPvRmT1_PNSt15iterator_traitsIS13_E10value_typeET2_T3_PNS14_IS19_E10value_typeET4_jRbjT5_S1F_jjP12ihipStream_tbEUljE_ZNSN_ISO_Lb1ESR_SS_SU_SV_SZ_EES10_S11_S12_S13_S17_S18_S19_S1C_S1D_jS1E_jS1F_S1F_jjS1H_bEUljE0_EEES10_S11_S12_S19_S1D_S1F_T6_T7_T9_mT8_S1H_bDpT10_ENKUlT_T0_E_clISt17integral_constantIbLb0EES1V_EEDaS1Q_S1R_EUlS1Q_E_NS1_11comp_targetILNS1_3genE8ELNS1_11target_archE1030ELNS1_3gpuE2ELNS1_3repE0EEENS1_30default_config_static_selectorELNS0_4arch9wavefront6targetE1EEEvS13_,comdat
	.globl	_ZN7rocprim17ROCPRIM_400000_NS6detail17trampoline_kernelINS0_13select_configILj256ELj13ELNS0_17block_load_methodE3ELS4_3ELS4_3ELNS0_20block_scan_algorithmE0ELj4294967295EEENS1_25partition_config_selectorILNS1_17partition_subalgoE4EjNS0_10empty_typeEbEEZZNS1_14partition_implILS8_4ELb0ES6_15HIP_vector_typeIjLj2EENS0_17counting_iteratorIjlEEPS9_SG_NS0_5tupleIJPjSI_NS0_16reverse_iteratorISI_EEEEENSH_IJSG_SG_SG_EEES9_SI_JZNS1_25segmented_radix_sort_implINS0_14default_configELb1EPK12hip_bfloat16PSP_PKlPlN2at6native12_GLOBAL__N_18offset_tEEE10hipError_tPvRmT1_PNSt15iterator_traitsIS13_E10value_typeET2_T3_PNS14_IS19_E10value_typeET4_jRbjT5_S1F_jjP12ihipStream_tbEUljE_ZNSN_ISO_Lb1ESR_SS_SU_SV_SZ_EES10_S11_S12_S13_S17_S18_S19_S1C_S1D_jS1E_jS1F_S1F_jjS1H_bEUljE0_EEES10_S11_S12_S19_S1D_S1F_T6_T7_T9_mT8_S1H_bDpT10_ENKUlT_T0_E_clISt17integral_constantIbLb0EES1V_EEDaS1Q_S1R_EUlS1Q_E_NS1_11comp_targetILNS1_3genE8ELNS1_11target_archE1030ELNS1_3gpuE2ELNS1_3repE0EEENS1_30default_config_static_selectorELNS0_4arch9wavefront6targetE1EEEvS13_ ; -- Begin function _ZN7rocprim17ROCPRIM_400000_NS6detail17trampoline_kernelINS0_13select_configILj256ELj13ELNS0_17block_load_methodE3ELS4_3ELS4_3ELNS0_20block_scan_algorithmE0ELj4294967295EEENS1_25partition_config_selectorILNS1_17partition_subalgoE4EjNS0_10empty_typeEbEEZZNS1_14partition_implILS8_4ELb0ES6_15HIP_vector_typeIjLj2EENS0_17counting_iteratorIjlEEPS9_SG_NS0_5tupleIJPjSI_NS0_16reverse_iteratorISI_EEEEENSH_IJSG_SG_SG_EEES9_SI_JZNS1_25segmented_radix_sort_implINS0_14default_configELb1EPK12hip_bfloat16PSP_PKlPlN2at6native12_GLOBAL__N_18offset_tEEE10hipError_tPvRmT1_PNSt15iterator_traitsIS13_E10value_typeET2_T3_PNS14_IS19_E10value_typeET4_jRbjT5_S1F_jjP12ihipStream_tbEUljE_ZNSN_ISO_Lb1ESR_SS_SU_SV_SZ_EES10_S11_S12_S13_S17_S18_S19_S1C_S1D_jS1E_jS1F_S1F_jjS1H_bEUljE0_EEES10_S11_S12_S19_S1D_S1F_T6_T7_T9_mT8_S1H_bDpT10_ENKUlT_T0_E_clISt17integral_constantIbLb0EES1V_EEDaS1Q_S1R_EUlS1Q_E_NS1_11comp_targetILNS1_3genE8ELNS1_11target_archE1030ELNS1_3gpuE2ELNS1_3repE0EEENS1_30default_config_static_selectorELNS0_4arch9wavefront6targetE1EEEvS13_
	.p2align	8
	.type	_ZN7rocprim17ROCPRIM_400000_NS6detail17trampoline_kernelINS0_13select_configILj256ELj13ELNS0_17block_load_methodE3ELS4_3ELS4_3ELNS0_20block_scan_algorithmE0ELj4294967295EEENS1_25partition_config_selectorILNS1_17partition_subalgoE4EjNS0_10empty_typeEbEEZZNS1_14partition_implILS8_4ELb0ES6_15HIP_vector_typeIjLj2EENS0_17counting_iteratorIjlEEPS9_SG_NS0_5tupleIJPjSI_NS0_16reverse_iteratorISI_EEEEENSH_IJSG_SG_SG_EEES9_SI_JZNS1_25segmented_radix_sort_implINS0_14default_configELb1EPK12hip_bfloat16PSP_PKlPlN2at6native12_GLOBAL__N_18offset_tEEE10hipError_tPvRmT1_PNSt15iterator_traitsIS13_E10value_typeET2_T3_PNS14_IS19_E10value_typeET4_jRbjT5_S1F_jjP12ihipStream_tbEUljE_ZNSN_ISO_Lb1ESR_SS_SU_SV_SZ_EES10_S11_S12_S13_S17_S18_S19_S1C_S1D_jS1E_jS1F_S1F_jjS1H_bEUljE0_EEES10_S11_S12_S19_S1D_S1F_T6_T7_T9_mT8_S1H_bDpT10_ENKUlT_T0_E_clISt17integral_constantIbLb0EES1V_EEDaS1Q_S1R_EUlS1Q_E_NS1_11comp_targetILNS1_3genE8ELNS1_11target_archE1030ELNS1_3gpuE2ELNS1_3repE0EEENS1_30default_config_static_selectorELNS0_4arch9wavefront6targetE1EEEvS13_,@function
_ZN7rocprim17ROCPRIM_400000_NS6detail17trampoline_kernelINS0_13select_configILj256ELj13ELNS0_17block_load_methodE3ELS4_3ELS4_3ELNS0_20block_scan_algorithmE0ELj4294967295EEENS1_25partition_config_selectorILNS1_17partition_subalgoE4EjNS0_10empty_typeEbEEZZNS1_14partition_implILS8_4ELb0ES6_15HIP_vector_typeIjLj2EENS0_17counting_iteratorIjlEEPS9_SG_NS0_5tupleIJPjSI_NS0_16reverse_iteratorISI_EEEEENSH_IJSG_SG_SG_EEES9_SI_JZNS1_25segmented_radix_sort_implINS0_14default_configELb1EPK12hip_bfloat16PSP_PKlPlN2at6native12_GLOBAL__N_18offset_tEEE10hipError_tPvRmT1_PNSt15iterator_traitsIS13_E10value_typeET2_T3_PNS14_IS19_E10value_typeET4_jRbjT5_S1F_jjP12ihipStream_tbEUljE_ZNSN_ISO_Lb1ESR_SS_SU_SV_SZ_EES10_S11_S12_S13_S17_S18_S19_S1C_S1D_jS1E_jS1F_S1F_jjS1H_bEUljE0_EEES10_S11_S12_S19_S1D_S1F_T6_T7_T9_mT8_S1H_bDpT10_ENKUlT_T0_E_clISt17integral_constantIbLb0EES1V_EEDaS1Q_S1R_EUlS1Q_E_NS1_11comp_targetILNS1_3genE8ELNS1_11target_archE1030ELNS1_3gpuE2ELNS1_3repE0EEENS1_30default_config_static_selectorELNS0_4arch9wavefront6targetE1EEEvS13_: ; @_ZN7rocprim17ROCPRIM_400000_NS6detail17trampoline_kernelINS0_13select_configILj256ELj13ELNS0_17block_load_methodE3ELS4_3ELS4_3ELNS0_20block_scan_algorithmE0ELj4294967295EEENS1_25partition_config_selectorILNS1_17partition_subalgoE4EjNS0_10empty_typeEbEEZZNS1_14partition_implILS8_4ELb0ES6_15HIP_vector_typeIjLj2EENS0_17counting_iteratorIjlEEPS9_SG_NS0_5tupleIJPjSI_NS0_16reverse_iteratorISI_EEEEENSH_IJSG_SG_SG_EEES9_SI_JZNS1_25segmented_radix_sort_implINS0_14default_configELb1EPK12hip_bfloat16PSP_PKlPlN2at6native12_GLOBAL__N_18offset_tEEE10hipError_tPvRmT1_PNSt15iterator_traitsIS13_E10value_typeET2_T3_PNS14_IS19_E10value_typeET4_jRbjT5_S1F_jjP12ihipStream_tbEUljE_ZNSN_ISO_Lb1ESR_SS_SU_SV_SZ_EES10_S11_S12_S13_S17_S18_S19_S1C_S1D_jS1E_jS1F_S1F_jjS1H_bEUljE0_EEES10_S11_S12_S19_S1D_S1F_T6_T7_T9_mT8_S1H_bDpT10_ENKUlT_T0_E_clISt17integral_constantIbLb0EES1V_EEDaS1Q_S1R_EUlS1Q_E_NS1_11comp_targetILNS1_3genE8ELNS1_11target_archE1030ELNS1_3gpuE2ELNS1_3repE0EEENS1_30default_config_static_selectorELNS0_4arch9wavefront6targetE1EEEvS13_
; %bb.0:
	.section	.rodata,"a",@progbits
	.p2align	6, 0x0
	.amdhsa_kernel _ZN7rocprim17ROCPRIM_400000_NS6detail17trampoline_kernelINS0_13select_configILj256ELj13ELNS0_17block_load_methodE3ELS4_3ELS4_3ELNS0_20block_scan_algorithmE0ELj4294967295EEENS1_25partition_config_selectorILNS1_17partition_subalgoE4EjNS0_10empty_typeEbEEZZNS1_14partition_implILS8_4ELb0ES6_15HIP_vector_typeIjLj2EENS0_17counting_iteratorIjlEEPS9_SG_NS0_5tupleIJPjSI_NS0_16reverse_iteratorISI_EEEEENSH_IJSG_SG_SG_EEES9_SI_JZNS1_25segmented_radix_sort_implINS0_14default_configELb1EPK12hip_bfloat16PSP_PKlPlN2at6native12_GLOBAL__N_18offset_tEEE10hipError_tPvRmT1_PNSt15iterator_traitsIS13_E10value_typeET2_T3_PNS14_IS19_E10value_typeET4_jRbjT5_S1F_jjP12ihipStream_tbEUljE_ZNSN_ISO_Lb1ESR_SS_SU_SV_SZ_EES10_S11_S12_S13_S17_S18_S19_S1C_S1D_jS1E_jS1F_S1F_jjS1H_bEUljE0_EEES10_S11_S12_S19_S1D_S1F_T6_T7_T9_mT8_S1H_bDpT10_ENKUlT_T0_E_clISt17integral_constantIbLb0EES1V_EEDaS1Q_S1R_EUlS1Q_E_NS1_11comp_targetILNS1_3genE8ELNS1_11target_archE1030ELNS1_3gpuE2ELNS1_3repE0EEENS1_30default_config_static_selectorELNS0_4arch9wavefront6targetE1EEEvS13_
		.amdhsa_group_segment_fixed_size 0
		.amdhsa_private_segment_fixed_size 0
		.amdhsa_kernarg_size 176
		.amdhsa_user_sgpr_count 6
		.amdhsa_user_sgpr_private_segment_buffer 1
		.amdhsa_user_sgpr_dispatch_ptr 0
		.amdhsa_user_sgpr_queue_ptr 0
		.amdhsa_user_sgpr_kernarg_segment_ptr 1
		.amdhsa_user_sgpr_dispatch_id 0
		.amdhsa_user_sgpr_flat_scratch_init 0
		.amdhsa_user_sgpr_kernarg_preload_length 0
		.amdhsa_user_sgpr_kernarg_preload_offset 0
		.amdhsa_user_sgpr_private_segment_size 0
		.amdhsa_uses_dynamic_stack 0
		.amdhsa_system_sgpr_private_segment_wavefront_offset 0
		.amdhsa_system_sgpr_workgroup_id_x 1
		.amdhsa_system_sgpr_workgroup_id_y 0
		.amdhsa_system_sgpr_workgroup_id_z 0
		.amdhsa_system_sgpr_workgroup_info 0
		.amdhsa_system_vgpr_workitem_id 0
		.amdhsa_next_free_vgpr 1
		.amdhsa_next_free_sgpr 0
		.amdhsa_accum_offset 4
		.amdhsa_reserve_vcc 0
		.amdhsa_reserve_flat_scratch 0
		.amdhsa_float_round_mode_32 0
		.amdhsa_float_round_mode_16_64 0
		.amdhsa_float_denorm_mode_32 3
		.amdhsa_float_denorm_mode_16_64 3
		.amdhsa_dx10_clamp 1
		.amdhsa_ieee_mode 1
		.amdhsa_fp16_overflow 0
		.amdhsa_tg_split 0
		.amdhsa_exception_fp_ieee_invalid_op 0
		.amdhsa_exception_fp_denorm_src 0
		.amdhsa_exception_fp_ieee_div_zero 0
		.amdhsa_exception_fp_ieee_overflow 0
		.amdhsa_exception_fp_ieee_underflow 0
		.amdhsa_exception_fp_ieee_inexact 0
		.amdhsa_exception_int_div_zero 0
	.end_amdhsa_kernel
	.section	.text._ZN7rocprim17ROCPRIM_400000_NS6detail17trampoline_kernelINS0_13select_configILj256ELj13ELNS0_17block_load_methodE3ELS4_3ELS4_3ELNS0_20block_scan_algorithmE0ELj4294967295EEENS1_25partition_config_selectorILNS1_17partition_subalgoE4EjNS0_10empty_typeEbEEZZNS1_14partition_implILS8_4ELb0ES6_15HIP_vector_typeIjLj2EENS0_17counting_iteratorIjlEEPS9_SG_NS0_5tupleIJPjSI_NS0_16reverse_iteratorISI_EEEEENSH_IJSG_SG_SG_EEES9_SI_JZNS1_25segmented_radix_sort_implINS0_14default_configELb1EPK12hip_bfloat16PSP_PKlPlN2at6native12_GLOBAL__N_18offset_tEEE10hipError_tPvRmT1_PNSt15iterator_traitsIS13_E10value_typeET2_T3_PNS14_IS19_E10value_typeET4_jRbjT5_S1F_jjP12ihipStream_tbEUljE_ZNSN_ISO_Lb1ESR_SS_SU_SV_SZ_EES10_S11_S12_S13_S17_S18_S19_S1C_S1D_jS1E_jS1F_S1F_jjS1H_bEUljE0_EEES10_S11_S12_S19_S1D_S1F_T6_T7_T9_mT8_S1H_bDpT10_ENKUlT_T0_E_clISt17integral_constantIbLb0EES1V_EEDaS1Q_S1R_EUlS1Q_E_NS1_11comp_targetILNS1_3genE8ELNS1_11target_archE1030ELNS1_3gpuE2ELNS1_3repE0EEENS1_30default_config_static_selectorELNS0_4arch9wavefront6targetE1EEEvS13_,"axG",@progbits,_ZN7rocprim17ROCPRIM_400000_NS6detail17trampoline_kernelINS0_13select_configILj256ELj13ELNS0_17block_load_methodE3ELS4_3ELS4_3ELNS0_20block_scan_algorithmE0ELj4294967295EEENS1_25partition_config_selectorILNS1_17partition_subalgoE4EjNS0_10empty_typeEbEEZZNS1_14partition_implILS8_4ELb0ES6_15HIP_vector_typeIjLj2EENS0_17counting_iteratorIjlEEPS9_SG_NS0_5tupleIJPjSI_NS0_16reverse_iteratorISI_EEEEENSH_IJSG_SG_SG_EEES9_SI_JZNS1_25segmented_radix_sort_implINS0_14default_configELb1EPK12hip_bfloat16PSP_PKlPlN2at6native12_GLOBAL__N_18offset_tEEE10hipError_tPvRmT1_PNSt15iterator_traitsIS13_E10value_typeET2_T3_PNS14_IS19_E10value_typeET4_jRbjT5_S1F_jjP12ihipStream_tbEUljE_ZNSN_ISO_Lb1ESR_SS_SU_SV_SZ_EES10_S11_S12_S13_S17_S18_S19_S1C_S1D_jS1E_jS1F_S1F_jjS1H_bEUljE0_EEES10_S11_S12_S19_S1D_S1F_T6_T7_T9_mT8_S1H_bDpT10_ENKUlT_T0_E_clISt17integral_constantIbLb0EES1V_EEDaS1Q_S1R_EUlS1Q_E_NS1_11comp_targetILNS1_3genE8ELNS1_11target_archE1030ELNS1_3gpuE2ELNS1_3repE0EEENS1_30default_config_static_selectorELNS0_4arch9wavefront6targetE1EEEvS13_,comdat
.Lfunc_end1887:
	.size	_ZN7rocprim17ROCPRIM_400000_NS6detail17trampoline_kernelINS0_13select_configILj256ELj13ELNS0_17block_load_methodE3ELS4_3ELS4_3ELNS0_20block_scan_algorithmE0ELj4294967295EEENS1_25partition_config_selectorILNS1_17partition_subalgoE4EjNS0_10empty_typeEbEEZZNS1_14partition_implILS8_4ELb0ES6_15HIP_vector_typeIjLj2EENS0_17counting_iteratorIjlEEPS9_SG_NS0_5tupleIJPjSI_NS0_16reverse_iteratorISI_EEEEENSH_IJSG_SG_SG_EEES9_SI_JZNS1_25segmented_radix_sort_implINS0_14default_configELb1EPK12hip_bfloat16PSP_PKlPlN2at6native12_GLOBAL__N_18offset_tEEE10hipError_tPvRmT1_PNSt15iterator_traitsIS13_E10value_typeET2_T3_PNS14_IS19_E10value_typeET4_jRbjT5_S1F_jjP12ihipStream_tbEUljE_ZNSN_ISO_Lb1ESR_SS_SU_SV_SZ_EES10_S11_S12_S13_S17_S18_S19_S1C_S1D_jS1E_jS1F_S1F_jjS1H_bEUljE0_EEES10_S11_S12_S19_S1D_S1F_T6_T7_T9_mT8_S1H_bDpT10_ENKUlT_T0_E_clISt17integral_constantIbLb0EES1V_EEDaS1Q_S1R_EUlS1Q_E_NS1_11comp_targetILNS1_3genE8ELNS1_11target_archE1030ELNS1_3gpuE2ELNS1_3repE0EEENS1_30default_config_static_selectorELNS0_4arch9wavefront6targetE1EEEvS13_, .Lfunc_end1887-_ZN7rocprim17ROCPRIM_400000_NS6detail17trampoline_kernelINS0_13select_configILj256ELj13ELNS0_17block_load_methodE3ELS4_3ELS4_3ELNS0_20block_scan_algorithmE0ELj4294967295EEENS1_25partition_config_selectorILNS1_17partition_subalgoE4EjNS0_10empty_typeEbEEZZNS1_14partition_implILS8_4ELb0ES6_15HIP_vector_typeIjLj2EENS0_17counting_iteratorIjlEEPS9_SG_NS0_5tupleIJPjSI_NS0_16reverse_iteratorISI_EEEEENSH_IJSG_SG_SG_EEES9_SI_JZNS1_25segmented_radix_sort_implINS0_14default_configELb1EPK12hip_bfloat16PSP_PKlPlN2at6native12_GLOBAL__N_18offset_tEEE10hipError_tPvRmT1_PNSt15iterator_traitsIS13_E10value_typeET2_T3_PNS14_IS19_E10value_typeET4_jRbjT5_S1F_jjP12ihipStream_tbEUljE_ZNSN_ISO_Lb1ESR_SS_SU_SV_SZ_EES10_S11_S12_S13_S17_S18_S19_S1C_S1D_jS1E_jS1F_S1F_jjS1H_bEUljE0_EEES10_S11_S12_S19_S1D_S1F_T6_T7_T9_mT8_S1H_bDpT10_ENKUlT_T0_E_clISt17integral_constantIbLb0EES1V_EEDaS1Q_S1R_EUlS1Q_E_NS1_11comp_targetILNS1_3genE8ELNS1_11target_archE1030ELNS1_3gpuE2ELNS1_3repE0EEENS1_30default_config_static_selectorELNS0_4arch9wavefront6targetE1EEEvS13_
                                        ; -- End function
	.section	.AMDGPU.csdata,"",@progbits
; Kernel info:
; codeLenInByte = 0
; NumSgprs: 4
; NumVgprs: 0
; NumAgprs: 0
; TotalNumVgprs: 0
; ScratchSize: 0
; MemoryBound: 0
; FloatMode: 240
; IeeeMode: 1
; LDSByteSize: 0 bytes/workgroup (compile time only)
; SGPRBlocks: 0
; VGPRBlocks: 0
; NumSGPRsForWavesPerEU: 4
; NumVGPRsForWavesPerEU: 1
; AccumOffset: 4
; Occupancy: 8
; WaveLimiterHint : 0
; COMPUTE_PGM_RSRC2:SCRATCH_EN: 0
; COMPUTE_PGM_RSRC2:USER_SGPR: 6
; COMPUTE_PGM_RSRC2:TRAP_HANDLER: 0
; COMPUTE_PGM_RSRC2:TGID_X_EN: 1
; COMPUTE_PGM_RSRC2:TGID_Y_EN: 0
; COMPUTE_PGM_RSRC2:TGID_Z_EN: 0
; COMPUTE_PGM_RSRC2:TIDIG_COMP_CNT: 0
; COMPUTE_PGM_RSRC3_GFX90A:ACCUM_OFFSET: 0
; COMPUTE_PGM_RSRC3_GFX90A:TG_SPLIT: 0
	.section	.text._ZN7rocprim17ROCPRIM_400000_NS6detail17trampoline_kernelINS0_13select_configILj256ELj13ELNS0_17block_load_methodE3ELS4_3ELS4_3ELNS0_20block_scan_algorithmE0ELj4294967295EEENS1_25partition_config_selectorILNS1_17partition_subalgoE4EjNS0_10empty_typeEbEEZZNS1_14partition_implILS8_4ELb0ES6_15HIP_vector_typeIjLj2EENS0_17counting_iteratorIjlEEPS9_SG_NS0_5tupleIJPjSI_NS0_16reverse_iteratorISI_EEEEENSH_IJSG_SG_SG_EEES9_SI_JZNS1_25segmented_radix_sort_implINS0_14default_configELb1EPK12hip_bfloat16PSP_PKlPlN2at6native12_GLOBAL__N_18offset_tEEE10hipError_tPvRmT1_PNSt15iterator_traitsIS13_E10value_typeET2_T3_PNS14_IS19_E10value_typeET4_jRbjT5_S1F_jjP12ihipStream_tbEUljE_ZNSN_ISO_Lb1ESR_SS_SU_SV_SZ_EES10_S11_S12_S13_S17_S18_S19_S1C_S1D_jS1E_jS1F_S1F_jjS1H_bEUljE0_EEES10_S11_S12_S19_S1D_S1F_T6_T7_T9_mT8_S1H_bDpT10_ENKUlT_T0_E_clISt17integral_constantIbLb1EES1V_EEDaS1Q_S1R_EUlS1Q_E_NS1_11comp_targetILNS1_3genE0ELNS1_11target_archE4294967295ELNS1_3gpuE0ELNS1_3repE0EEENS1_30default_config_static_selectorELNS0_4arch9wavefront6targetE1EEEvS13_,"axG",@progbits,_ZN7rocprim17ROCPRIM_400000_NS6detail17trampoline_kernelINS0_13select_configILj256ELj13ELNS0_17block_load_methodE3ELS4_3ELS4_3ELNS0_20block_scan_algorithmE0ELj4294967295EEENS1_25partition_config_selectorILNS1_17partition_subalgoE4EjNS0_10empty_typeEbEEZZNS1_14partition_implILS8_4ELb0ES6_15HIP_vector_typeIjLj2EENS0_17counting_iteratorIjlEEPS9_SG_NS0_5tupleIJPjSI_NS0_16reverse_iteratorISI_EEEEENSH_IJSG_SG_SG_EEES9_SI_JZNS1_25segmented_radix_sort_implINS0_14default_configELb1EPK12hip_bfloat16PSP_PKlPlN2at6native12_GLOBAL__N_18offset_tEEE10hipError_tPvRmT1_PNSt15iterator_traitsIS13_E10value_typeET2_T3_PNS14_IS19_E10value_typeET4_jRbjT5_S1F_jjP12ihipStream_tbEUljE_ZNSN_ISO_Lb1ESR_SS_SU_SV_SZ_EES10_S11_S12_S13_S17_S18_S19_S1C_S1D_jS1E_jS1F_S1F_jjS1H_bEUljE0_EEES10_S11_S12_S19_S1D_S1F_T6_T7_T9_mT8_S1H_bDpT10_ENKUlT_T0_E_clISt17integral_constantIbLb1EES1V_EEDaS1Q_S1R_EUlS1Q_E_NS1_11comp_targetILNS1_3genE0ELNS1_11target_archE4294967295ELNS1_3gpuE0ELNS1_3repE0EEENS1_30default_config_static_selectorELNS0_4arch9wavefront6targetE1EEEvS13_,comdat
	.globl	_ZN7rocprim17ROCPRIM_400000_NS6detail17trampoline_kernelINS0_13select_configILj256ELj13ELNS0_17block_load_methodE3ELS4_3ELS4_3ELNS0_20block_scan_algorithmE0ELj4294967295EEENS1_25partition_config_selectorILNS1_17partition_subalgoE4EjNS0_10empty_typeEbEEZZNS1_14partition_implILS8_4ELb0ES6_15HIP_vector_typeIjLj2EENS0_17counting_iteratorIjlEEPS9_SG_NS0_5tupleIJPjSI_NS0_16reverse_iteratorISI_EEEEENSH_IJSG_SG_SG_EEES9_SI_JZNS1_25segmented_radix_sort_implINS0_14default_configELb1EPK12hip_bfloat16PSP_PKlPlN2at6native12_GLOBAL__N_18offset_tEEE10hipError_tPvRmT1_PNSt15iterator_traitsIS13_E10value_typeET2_T3_PNS14_IS19_E10value_typeET4_jRbjT5_S1F_jjP12ihipStream_tbEUljE_ZNSN_ISO_Lb1ESR_SS_SU_SV_SZ_EES10_S11_S12_S13_S17_S18_S19_S1C_S1D_jS1E_jS1F_S1F_jjS1H_bEUljE0_EEES10_S11_S12_S19_S1D_S1F_T6_T7_T9_mT8_S1H_bDpT10_ENKUlT_T0_E_clISt17integral_constantIbLb1EES1V_EEDaS1Q_S1R_EUlS1Q_E_NS1_11comp_targetILNS1_3genE0ELNS1_11target_archE4294967295ELNS1_3gpuE0ELNS1_3repE0EEENS1_30default_config_static_selectorELNS0_4arch9wavefront6targetE1EEEvS13_ ; -- Begin function _ZN7rocprim17ROCPRIM_400000_NS6detail17trampoline_kernelINS0_13select_configILj256ELj13ELNS0_17block_load_methodE3ELS4_3ELS4_3ELNS0_20block_scan_algorithmE0ELj4294967295EEENS1_25partition_config_selectorILNS1_17partition_subalgoE4EjNS0_10empty_typeEbEEZZNS1_14partition_implILS8_4ELb0ES6_15HIP_vector_typeIjLj2EENS0_17counting_iteratorIjlEEPS9_SG_NS0_5tupleIJPjSI_NS0_16reverse_iteratorISI_EEEEENSH_IJSG_SG_SG_EEES9_SI_JZNS1_25segmented_radix_sort_implINS0_14default_configELb1EPK12hip_bfloat16PSP_PKlPlN2at6native12_GLOBAL__N_18offset_tEEE10hipError_tPvRmT1_PNSt15iterator_traitsIS13_E10value_typeET2_T3_PNS14_IS19_E10value_typeET4_jRbjT5_S1F_jjP12ihipStream_tbEUljE_ZNSN_ISO_Lb1ESR_SS_SU_SV_SZ_EES10_S11_S12_S13_S17_S18_S19_S1C_S1D_jS1E_jS1F_S1F_jjS1H_bEUljE0_EEES10_S11_S12_S19_S1D_S1F_T6_T7_T9_mT8_S1H_bDpT10_ENKUlT_T0_E_clISt17integral_constantIbLb1EES1V_EEDaS1Q_S1R_EUlS1Q_E_NS1_11comp_targetILNS1_3genE0ELNS1_11target_archE4294967295ELNS1_3gpuE0ELNS1_3repE0EEENS1_30default_config_static_selectorELNS0_4arch9wavefront6targetE1EEEvS13_
	.p2align	8
	.type	_ZN7rocprim17ROCPRIM_400000_NS6detail17trampoline_kernelINS0_13select_configILj256ELj13ELNS0_17block_load_methodE3ELS4_3ELS4_3ELNS0_20block_scan_algorithmE0ELj4294967295EEENS1_25partition_config_selectorILNS1_17partition_subalgoE4EjNS0_10empty_typeEbEEZZNS1_14partition_implILS8_4ELb0ES6_15HIP_vector_typeIjLj2EENS0_17counting_iteratorIjlEEPS9_SG_NS0_5tupleIJPjSI_NS0_16reverse_iteratorISI_EEEEENSH_IJSG_SG_SG_EEES9_SI_JZNS1_25segmented_radix_sort_implINS0_14default_configELb1EPK12hip_bfloat16PSP_PKlPlN2at6native12_GLOBAL__N_18offset_tEEE10hipError_tPvRmT1_PNSt15iterator_traitsIS13_E10value_typeET2_T3_PNS14_IS19_E10value_typeET4_jRbjT5_S1F_jjP12ihipStream_tbEUljE_ZNSN_ISO_Lb1ESR_SS_SU_SV_SZ_EES10_S11_S12_S13_S17_S18_S19_S1C_S1D_jS1E_jS1F_S1F_jjS1H_bEUljE0_EEES10_S11_S12_S19_S1D_S1F_T6_T7_T9_mT8_S1H_bDpT10_ENKUlT_T0_E_clISt17integral_constantIbLb1EES1V_EEDaS1Q_S1R_EUlS1Q_E_NS1_11comp_targetILNS1_3genE0ELNS1_11target_archE4294967295ELNS1_3gpuE0ELNS1_3repE0EEENS1_30default_config_static_selectorELNS0_4arch9wavefront6targetE1EEEvS13_,@function
_ZN7rocprim17ROCPRIM_400000_NS6detail17trampoline_kernelINS0_13select_configILj256ELj13ELNS0_17block_load_methodE3ELS4_3ELS4_3ELNS0_20block_scan_algorithmE0ELj4294967295EEENS1_25partition_config_selectorILNS1_17partition_subalgoE4EjNS0_10empty_typeEbEEZZNS1_14partition_implILS8_4ELb0ES6_15HIP_vector_typeIjLj2EENS0_17counting_iteratorIjlEEPS9_SG_NS0_5tupleIJPjSI_NS0_16reverse_iteratorISI_EEEEENSH_IJSG_SG_SG_EEES9_SI_JZNS1_25segmented_radix_sort_implINS0_14default_configELb1EPK12hip_bfloat16PSP_PKlPlN2at6native12_GLOBAL__N_18offset_tEEE10hipError_tPvRmT1_PNSt15iterator_traitsIS13_E10value_typeET2_T3_PNS14_IS19_E10value_typeET4_jRbjT5_S1F_jjP12ihipStream_tbEUljE_ZNSN_ISO_Lb1ESR_SS_SU_SV_SZ_EES10_S11_S12_S13_S17_S18_S19_S1C_S1D_jS1E_jS1F_S1F_jjS1H_bEUljE0_EEES10_S11_S12_S19_S1D_S1F_T6_T7_T9_mT8_S1H_bDpT10_ENKUlT_T0_E_clISt17integral_constantIbLb1EES1V_EEDaS1Q_S1R_EUlS1Q_E_NS1_11comp_targetILNS1_3genE0ELNS1_11target_archE4294967295ELNS1_3gpuE0ELNS1_3repE0EEENS1_30default_config_static_selectorELNS0_4arch9wavefront6targetE1EEEvS13_: ; @_ZN7rocprim17ROCPRIM_400000_NS6detail17trampoline_kernelINS0_13select_configILj256ELj13ELNS0_17block_load_methodE3ELS4_3ELS4_3ELNS0_20block_scan_algorithmE0ELj4294967295EEENS1_25partition_config_selectorILNS1_17partition_subalgoE4EjNS0_10empty_typeEbEEZZNS1_14partition_implILS8_4ELb0ES6_15HIP_vector_typeIjLj2EENS0_17counting_iteratorIjlEEPS9_SG_NS0_5tupleIJPjSI_NS0_16reverse_iteratorISI_EEEEENSH_IJSG_SG_SG_EEES9_SI_JZNS1_25segmented_radix_sort_implINS0_14default_configELb1EPK12hip_bfloat16PSP_PKlPlN2at6native12_GLOBAL__N_18offset_tEEE10hipError_tPvRmT1_PNSt15iterator_traitsIS13_E10value_typeET2_T3_PNS14_IS19_E10value_typeET4_jRbjT5_S1F_jjP12ihipStream_tbEUljE_ZNSN_ISO_Lb1ESR_SS_SU_SV_SZ_EES10_S11_S12_S13_S17_S18_S19_S1C_S1D_jS1E_jS1F_S1F_jjS1H_bEUljE0_EEES10_S11_S12_S19_S1D_S1F_T6_T7_T9_mT8_S1H_bDpT10_ENKUlT_T0_E_clISt17integral_constantIbLb1EES1V_EEDaS1Q_S1R_EUlS1Q_E_NS1_11comp_targetILNS1_3genE0ELNS1_11target_archE4294967295ELNS1_3gpuE0ELNS1_3repE0EEENS1_30default_config_static_selectorELNS0_4arch9wavefront6targetE1EEEvS13_
; %bb.0:
	.section	.rodata,"a",@progbits
	.p2align	6, 0x0
	.amdhsa_kernel _ZN7rocprim17ROCPRIM_400000_NS6detail17trampoline_kernelINS0_13select_configILj256ELj13ELNS0_17block_load_methodE3ELS4_3ELS4_3ELNS0_20block_scan_algorithmE0ELj4294967295EEENS1_25partition_config_selectorILNS1_17partition_subalgoE4EjNS0_10empty_typeEbEEZZNS1_14partition_implILS8_4ELb0ES6_15HIP_vector_typeIjLj2EENS0_17counting_iteratorIjlEEPS9_SG_NS0_5tupleIJPjSI_NS0_16reverse_iteratorISI_EEEEENSH_IJSG_SG_SG_EEES9_SI_JZNS1_25segmented_radix_sort_implINS0_14default_configELb1EPK12hip_bfloat16PSP_PKlPlN2at6native12_GLOBAL__N_18offset_tEEE10hipError_tPvRmT1_PNSt15iterator_traitsIS13_E10value_typeET2_T3_PNS14_IS19_E10value_typeET4_jRbjT5_S1F_jjP12ihipStream_tbEUljE_ZNSN_ISO_Lb1ESR_SS_SU_SV_SZ_EES10_S11_S12_S13_S17_S18_S19_S1C_S1D_jS1E_jS1F_S1F_jjS1H_bEUljE0_EEES10_S11_S12_S19_S1D_S1F_T6_T7_T9_mT8_S1H_bDpT10_ENKUlT_T0_E_clISt17integral_constantIbLb1EES1V_EEDaS1Q_S1R_EUlS1Q_E_NS1_11comp_targetILNS1_3genE0ELNS1_11target_archE4294967295ELNS1_3gpuE0ELNS1_3repE0EEENS1_30default_config_static_selectorELNS0_4arch9wavefront6targetE1EEEvS13_
		.amdhsa_group_segment_fixed_size 0
		.amdhsa_private_segment_fixed_size 0
		.amdhsa_kernarg_size 184
		.amdhsa_user_sgpr_count 6
		.amdhsa_user_sgpr_private_segment_buffer 1
		.amdhsa_user_sgpr_dispatch_ptr 0
		.amdhsa_user_sgpr_queue_ptr 0
		.amdhsa_user_sgpr_kernarg_segment_ptr 1
		.amdhsa_user_sgpr_dispatch_id 0
		.amdhsa_user_sgpr_flat_scratch_init 0
		.amdhsa_user_sgpr_kernarg_preload_length 0
		.amdhsa_user_sgpr_kernarg_preload_offset 0
		.amdhsa_user_sgpr_private_segment_size 0
		.amdhsa_uses_dynamic_stack 0
		.amdhsa_system_sgpr_private_segment_wavefront_offset 0
		.amdhsa_system_sgpr_workgroup_id_x 1
		.amdhsa_system_sgpr_workgroup_id_y 0
		.amdhsa_system_sgpr_workgroup_id_z 0
		.amdhsa_system_sgpr_workgroup_info 0
		.amdhsa_system_vgpr_workitem_id 0
		.amdhsa_next_free_vgpr 1
		.amdhsa_next_free_sgpr 0
		.amdhsa_accum_offset 4
		.amdhsa_reserve_vcc 0
		.amdhsa_reserve_flat_scratch 0
		.amdhsa_float_round_mode_32 0
		.amdhsa_float_round_mode_16_64 0
		.amdhsa_float_denorm_mode_32 3
		.amdhsa_float_denorm_mode_16_64 3
		.amdhsa_dx10_clamp 1
		.amdhsa_ieee_mode 1
		.amdhsa_fp16_overflow 0
		.amdhsa_tg_split 0
		.amdhsa_exception_fp_ieee_invalid_op 0
		.amdhsa_exception_fp_denorm_src 0
		.amdhsa_exception_fp_ieee_div_zero 0
		.amdhsa_exception_fp_ieee_overflow 0
		.amdhsa_exception_fp_ieee_underflow 0
		.amdhsa_exception_fp_ieee_inexact 0
		.amdhsa_exception_int_div_zero 0
	.end_amdhsa_kernel
	.section	.text._ZN7rocprim17ROCPRIM_400000_NS6detail17trampoline_kernelINS0_13select_configILj256ELj13ELNS0_17block_load_methodE3ELS4_3ELS4_3ELNS0_20block_scan_algorithmE0ELj4294967295EEENS1_25partition_config_selectorILNS1_17partition_subalgoE4EjNS0_10empty_typeEbEEZZNS1_14partition_implILS8_4ELb0ES6_15HIP_vector_typeIjLj2EENS0_17counting_iteratorIjlEEPS9_SG_NS0_5tupleIJPjSI_NS0_16reverse_iteratorISI_EEEEENSH_IJSG_SG_SG_EEES9_SI_JZNS1_25segmented_radix_sort_implINS0_14default_configELb1EPK12hip_bfloat16PSP_PKlPlN2at6native12_GLOBAL__N_18offset_tEEE10hipError_tPvRmT1_PNSt15iterator_traitsIS13_E10value_typeET2_T3_PNS14_IS19_E10value_typeET4_jRbjT5_S1F_jjP12ihipStream_tbEUljE_ZNSN_ISO_Lb1ESR_SS_SU_SV_SZ_EES10_S11_S12_S13_S17_S18_S19_S1C_S1D_jS1E_jS1F_S1F_jjS1H_bEUljE0_EEES10_S11_S12_S19_S1D_S1F_T6_T7_T9_mT8_S1H_bDpT10_ENKUlT_T0_E_clISt17integral_constantIbLb1EES1V_EEDaS1Q_S1R_EUlS1Q_E_NS1_11comp_targetILNS1_3genE0ELNS1_11target_archE4294967295ELNS1_3gpuE0ELNS1_3repE0EEENS1_30default_config_static_selectorELNS0_4arch9wavefront6targetE1EEEvS13_,"axG",@progbits,_ZN7rocprim17ROCPRIM_400000_NS6detail17trampoline_kernelINS0_13select_configILj256ELj13ELNS0_17block_load_methodE3ELS4_3ELS4_3ELNS0_20block_scan_algorithmE0ELj4294967295EEENS1_25partition_config_selectorILNS1_17partition_subalgoE4EjNS0_10empty_typeEbEEZZNS1_14partition_implILS8_4ELb0ES6_15HIP_vector_typeIjLj2EENS0_17counting_iteratorIjlEEPS9_SG_NS0_5tupleIJPjSI_NS0_16reverse_iteratorISI_EEEEENSH_IJSG_SG_SG_EEES9_SI_JZNS1_25segmented_radix_sort_implINS0_14default_configELb1EPK12hip_bfloat16PSP_PKlPlN2at6native12_GLOBAL__N_18offset_tEEE10hipError_tPvRmT1_PNSt15iterator_traitsIS13_E10value_typeET2_T3_PNS14_IS19_E10value_typeET4_jRbjT5_S1F_jjP12ihipStream_tbEUljE_ZNSN_ISO_Lb1ESR_SS_SU_SV_SZ_EES10_S11_S12_S13_S17_S18_S19_S1C_S1D_jS1E_jS1F_S1F_jjS1H_bEUljE0_EEES10_S11_S12_S19_S1D_S1F_T6_T7_T9_mT8_S1H_bDpT10_ENKUlT_T0_E_clISt17integral_constantIbLb1EES1V_EEDaS1Q_S1R_EUlS1Q_E_NS1_11comp_targetILNS1_3genE0ELNS1_11target_archE4294967295ELNS1_3gpuE0ELNS1_3repE0EEENS1_30default_config_static_selectorELNS0_4arch9wavefront6targetE1EEEvS13_,comdat
.Lfunc_end1888:
	.size	_ZN7rocprim17ROCPRIM_400000_NS6detail17trampoline_kernelINS0_13select_configILj256ELj13ELNS0_17block_load_methodE3ELS4_3ELS4_3ELNS0_20block_scan_algorithmE0ELj4294967295EEENS1_25partition_config_selectorILNS1_17partition_subalgoE4EjNS0_10empty_typeEbEEZZNS1_14partition_implILS8_4ELb0ES6_15HIP_vector_typeIjLj2EENS0_17counting_iteratorIjlEEPS9_SG_NS0_5tupleIJPjSI_NS0_16reverse_iteratorISI_EEEEENSH_IJSG_SG_SG_EEES9_SI_JZNS1_25segmented_radix_sort_implINS0_14default_configELb1EPK12hip_bfloat16PSP_PKlPlN2at6native12_GLOBAL__N_18offset_tEEE10hipError_tPvRmT1_PNSt15iterator_traitsIS13_E10value_typeET2_T3_PNS14_IS19_E10value_typeET4_jRbjT5_S1F_jjP12ihipStream_tbEUljE_ZNSN_ISO_Lb1ESR_SS_SU_SV_SZ_EES10_S11_S12_S13_S17_S18_S19_S1C_S1D_jS1E_jS1F_S1F_jjS1H_bEUljE0_EEES10_S11_S12_S19_S1D_S1F_T6_T7_T9_mT8_S1H_bDpT10_ENKUlT_T0_E_clISt17integral_constantIbLb1EES1V_EEDaS1Q_S1R_EUlS1Q_E_NS1_11comp_targetILNS1_3genE0ELNS1_11target_archE4294967295ELNS1_3gpuE0ELNS1_3repE0EEENS1_30default_config_static_selectorELNS0_4arch9wavefront6targetE1EEEvS13_, .Lfunc_end1888-_ZN7rocprim17ROCPRIM_400000_NS6detail17trampoline_kernelINS0_13select_configILj256ELj13ELNS0_17block_load_methodE3ELS4_3ELS4_3ELNS0_20block_scan_algorithmE0ELj4294967295EEENS1_25partition_config_selectorILNS1_17partition_subalgoE4EjNS0_10empty_typeEbEEZZNS1_14partition_implILS8_4ELb0ES6_15HIP_vector_typeIjLj2EENS0_17counting_iteratorIjlEEPS9_SG_NS0_5tupleIJPjSI_NS0_16reverse_iteratorISI_EEEEENSH_IJSG_SG_SG_EEES9_SI_JZNS1_25segmented_radix_sort_implINS0_14default_configELb1EPK12hip_bfloat16PSP_PKlPlN2at6native12_GLOBAL__N_18offset_tEEE10hipError_tPvRmT1_PNSt15iterator_traitsIS13_E10value_typeET2_T3_PNS14_IS19_E10value_typeET4_jRbjT5_S1F_jjP12ihipStream_tbEUljE_ZNSN_ISO_Lb1ESR_SS_SU_SV_SZ_EES10_S11_S12_S13_S17_S18_S19_S1C_S1D_jS1E_jS1F_S1F_jjS1H_bEUljE0_EEES10_S11_S12_S19_S1D_S1F_T6_T7_T9_mT8_S1H_bDpT10_ENKUlT_T0_E_clISt17integral_constantIbLb1EES1V_EEDaS1Q_S1R_EUlS1Q_E_NS1_11comp_targetILNS1_3genE0ELNS1_11target_archE4294967295ELNS1_3gpuE0ELNS1_3repE0EEENS1_30default_config_static_selectorELNS0_4arch9wavefront6targetE1EEEvS13_
                                        ; -- End function
	.section	.AMDGPU.csdata,"",@progbits
; Kernel info:
; codeLenInByte = 0
; NumSgprs: 4
; NumVgprs: 0
; NumAgprs: 0
; TotalNumVgprs: 0
; ScratchSize: 0
; MemoryBound: 0
; FloatMode: 240
; IeeeMode: 1
; LDSByteSize: 0 bytes/workgroup (compile time only)
; SGPRBlocks: 0
; VGPRBlocks: 0
; NumSGPRsForWavesPerEU: 4
; NumVGPRsForWavesPerEU: 1
; AccumOffset: 4
; Occupancy: 8
; WaveLimiterHint : 0
; COMPUTE_PGM_RSRC2:SCRATCH_EN: 0
; COMPUTE_PGM_RSRC2:USER_SGPR: 6
; COMPUTE_PGM_RSRC2:TRAP_HANDLER: 0
; COMPUTE_PGM_RSRC2:TGID_X_EN: 1
; COMPUTE_PGM_RSRC2:TGID_Y_EN: 0
; COMPUTE_PGM_RSRC2:TGID_Z_EN: 0
; COMPUTE_PGM_RSRC2:TIDIG_COMP_CNT: 0
; COMPUTE_PGM_RSRC3_GFX90A:ACCUM_OFFSET: 0
; COMPUTE_PGM_RSRC3_GFX90A:TG_SPLIT: 0
	.section	.text._ZN7rocprim17ROCPRIM_400000_NS6detail17trampoline_kernelINS0_13select_configILj256ELj13ELNS0_17block_load_methodE3ELS4_3ELS4_3ELNS0_20block_scan_algorithmE0ELj4294967295EEENS1_25partition_config_selectorILNS1_17partition_subalgoE4EjNS0_10empty_typeEbEEZZNS1_14partition_implILS8_4ELb0ES6_15HIP_vector_typeIjLj2EENS0_17counting_iteratorIjlEEPS9_SG_NS0_5tupleIJPjSI_NS0_16reverse_iteratorISI_EEEEENSH_IJSG_SG_SG_EEES9_SI_JZNS1_25segmented_radix_sort_implINS0_14default_configELb1EPK12hip_bfloat16PSP_PKlPlN2at6native12_GLOBAL__N_18offset_tEEE10hipError_tPvRmT1_PNSt15iterator_traitsIS13_E10value_typeET2_T3_PNS14_IS19_E10value_typeET4_jRbjT5_S1F_jjP12ihipStream_tbEUljE_ZNSN_ISO_Lb1ESR_SS_SU_SV_SZ_EES10_S11_S12_S13_S17_S18_S19_S1C_S1D_jS1E_jS1F_S1F_jjS1H_bEUljE0_EEES10_S11_S12_S19_S1D_S1F_T6_T7_T9_mT8_S1H_bDpT10_ENKUlT_T0_E_clISt17integral_constantIbLb1EES1V_EEDaS1Q_S1R_EUlS1Q_E_NS1_11comp_targetILNS1_3genE5ELNS1_11target_archE942ELNS1_3gpuE9ELNS1_3repE0EEENS1_30default_config_static_selectorELNS0_4arch9wavefront6targetE1EEEvS13_,"axG",@progbits,_ZN7rocprim17ROCPRIM_400000_NS6detail17trampoline_kernelINS0_13select_configILj256ELj13ELNS0_17block_load_methodE3ELS4_3ELS4_3ELNS0_20block_scan_algorithmE0ELj4294967295EEENS1_25partition_config_selectorILNS1_17partition_subalgoE4EjNS0_10empty_typeEbEEZZNS1_14partition_implILS8_4ELb0ES6_15HIP_vector_typeIjLj2EENS0_17counting_iteratorIjlEEPS9_SG_NS0_5tupleIJPjSI_NS0_16reverse_iteratorISI_EEEEENSH_IJSG_SG_SG_EEES9_SI_JZNS1_25segmented_radix_sort_implINS0_14default_configELb1EPK12hip_bfloat16PSP_PKlPlN2at6native12_GLOBAL__N_18offset_tEEE10hipError_tPvRmT1_PNSt15iterator_traitsIS13_E10value_typeET2_T3_PNS14_IS19_E10value_typeET4_jRbjT5_S1F_jjP12ihipStream_tbEUljE_ZNSN_ISO_Lb1ESR_SS_SU_SV_SZ_EES10_S11_S12_S13_S17_S18_S19_S1C_S1D_jS1E_jS1F_S1F_jjS1H_bEUljE0_EEES10_S11_S12_S19_S1D_S1F_T6_T7_T9_mT8_S1H_bDpT10_ENKUlT_T0_E_clISt17integral_constantIbLb1EES1V_EEDaS1Q_S1R_EUlS1Q_E_NS1_11comp_targetILNS1_3genE5ELNS1_11target_archE942ELNS1_3gpuE9ELNS1_3repE0EEENS1_30default_config_static_selectorELNS0_4arch9wavefront6targetE1EEEvS13_,comdat
	.globl	_ZN7rocprim17ROCPRIM_400000_NS6detail17trampoline_kernelINS0_13select_configILj256ELj13ELNS0_17block_load_methodE3ELS4_3ELS4_3ELNS0_20block_scan_algorithmE0ELj4294967295EEENS1_25partition_config_selectorILNS1_17partition_subalgoE4EjNS0_10empty_typeEbEEZZNS1_14partition_implILS8_4ELb0ES6_15HIP_vector_typeIjLj2EENS0_17counting_iteratorIjlEEPS9_SG_NS0_5tupleIJPjSI_NS0_16reverse_iteratorISI_EEEEENSH_IJSG_SG_SG_EEES9_SI_JZNS1_25segmented_radix_sort_implINS0_14default_configELb1EPK12hip_bfloat16PSP_PKlPlN2at6native12_GLOBAL__N_18offset_tEEE10hipError_tPvRmT1_PNSt15iterator_traitsIS13_E10value_typeET2_T3_PNS14_IS19_E10value_typeET4_jRbjT5_S1F_jjP12ihipStream_tbEUljE_ZNSN_ISO_Lb1ESR_SS_SU_SV_SZ_EES10_S11_S12_S13_S17_S18_S19_S1C_S1D_jS1E_jS1F_S1F_jjS1H_bEUljE0_EEES10_S11_S12_S19_S1D_S1F_T6_T7_T9_mT8_S1H_bDpT10_ENKUlT_T0_E_clISt17integral_constantIbLb1EES1V_EEDaS1Q_S1R_EUlS1Q_E_NS1_11comp_targetILNS1_3genE5ELNS1_11target_archE942ELNS1_3gpuE9ELNS1_3repE0EEENS1_30default_config_static_selectorELNS0_4arch9wavefront6targetE1EEEvS13_ ; -- Begin function _ZN7rocprim17ROCPRIM_400000_NS6detail17trampoline_kernelINS0_13select_configILj256ELj13ELNS0_17block_load_methodE3ELS4_3ELS4_3ELNS0_20block_scan_algorithmE0ELj4294967295EEENS1_25partition_config_selectorILNS1_17partition_subalgoE4EjNS0_10empty_typeEbEEZZNS1_14partition_implILS8_4ELb0ES6_15HIP_vector_typeIjLj2EENS0_17counting_iteratorIjlEEPS9_SG_NS0_5tupleIJPjSI_NS0_16reverse_iteratorISI_EEEEENSH_IJSG_SG_SG_EEES9_SI_JZNS1_25segmented_radix_sort_implINS0_14default_configELb1EPK12hip_bfloat16PSP_PKlPlN2at6native12_GLOBAL__N_18offset_tEEE10hipError_tPvRmT1_PNSt15iterator_traitsIS13_E10value_typeET2_T3_PNS14_IS19_E10value_typeET4_jRbjT5_S1F_jjP12ihipStream_tbEUljE_ZNSN_ISO_Lb1ESR_SS_SU_SV_SZ_EES10_S11_S12_S13_S17_S18_S19_S1C_S1D_jS1E_jS1F_S1F_jjS1H_bEUljE0_EEES10_S11_S12_S19_S1D_S1F_T6_T7_T9_mT8_S1H_bDpT10_ENKUlT_T0_E_clISt17integral_constantIbLb1EES1V_EEDaS1Q_S1R_EUlS1Q_E_NS1_11comp_targetILNS1_3genE5ELNS1_11target_archE942ELNS1_3gpuE9ELNS1_3repE0EEENS1_30default_config_static_selectorELNS0_4arch9wavefront6targetE1EEEvS13_
	.p2align	8
	.type	_ZN7rocprim17ROCPRIM_400000_NS6detail17trampoline_kernelINS0_13select_configILj256ELj13ELNS0_17block_load_methodE3ELS4_3ELS4_3ELNS0_20block_scan_algorithmE0ELj4294967295EEENS1_25partition_config_selectorILNS1_17partition_subalgoE4EjNS0_10empty_typeEbEEZZNS1_14partition_implILS8_4ELb0ES6_15HIP_vector_typeIjLj2EENS0_17counting_iteratorIjlEEPS9_SG_NS0_5tupleIJPjSI_NS0_16reverse_iteratorISI_EEEEENSH_IJSG_SG_SG_EEES9_SI_JZNS1_25segmented_radix_sort_implINS0_14default_configELb1EPK12hip_bfloat16PSP_PKlPlN2at6native12_GLOBAL__N_18offset_tEEE10hipError_tPvRmT1_PNSt15iterator_traitsIS13_E10value_typeET2_T3_PNS14_IS19_E10value_typeET4_jRbjT5_S1F_jjP12ihipStream_tbEUljE_ZNSN_ISO_Lb1ESR_SS_SU_SV_SZ_EES10_S11_S12_S13_S17_S18_S19_S1C_S1D_jS1E_jS1F_S1F_jjS1H_bEUljE0_EEES10_S11_S12_S19_S1D_S1F_T6_T7_T9_mT8_S1H_bDpT10_ENKUlT_T0_E_clISt17integral_constantIbLb1EES1V_EEDaS1Q_S1R_EUlS1Q_E_NS1_11comp_targetILNS1_3genE5ELNS1_11target_archE942ELNS1_3gpuE9ELNS1_3repE0EEENS1_30default_config_static_selectorELNS0_4arch9wavefront6targetE1EEEvS13_,@function
_ZN7rocprim17ROCPRIM_400000_NS6detail17trampoline_kernelINS0_13select_configILj256ELj13ELNS0_17block_load_methodE3ELS4_3ELS4_3ELNS0_20block_scan_algorithmE0ELj4294967295EEENS1_25partition_config_selectorILNS1_17partition_subalgoE4EjNS0_10empty_typeEbEEZZNS1_14partition_implILS8_4ELb0ES6_15HIP_vector_typeIjLj2EENS0_17counting_iteratorIjlEEPS9_SG_NS0_5tupleIJPjSI_NS0_16reverse_iteratorISI_EEEEENSH_IJSG_SG_SG_EEES9_SI_JZNS1_25segmented_radix_sort_implINS0_14default_configELb1EPK12hip_bfloat16PSP_PKlPlN2at6native12_GLOBAL__N_18offset_tEEE10hipError_tPvRmT1_PNSt15iterator_traitsIS13_E10value_typeET2_T3_PNS14_IS19_E10value_typeET4_jRbjT5_S1F_jjP12ihipStream_tbEUljE_ZNSN_ISO_Lb1ESR_SS_SU_SV_SZ_EES10_S11_S12_S13_S17_S18_S19_S1C_S1D_jS1E_jS1F_S1F_jjS1H_bEUljE0_EEES10_S11_S12_S19_S1D_S1F_T6_T7_T9_mT8_S1H_bDpT10_ENKUlT_T0_E_clISt17integral_constantIbLb1EES1V_EEDaS1Q_S1R_EUlS1Q_E_NS1_11comp_targetILNS1_3genE5ELNS1_11target_archE942ELNS1_3gpuE9ELNS1_3repE0EEENS1_30default_config_static_selectorELNS0_4arch9wavefront6targetE1EEEvS13_: ; @_ZN7rocprim17ROCPRIM_400000_NS6detail17trampoline_kernelINS0_13select_configILj256ELj13ELNS0_17block_load_methodE3ELS4_3ELS4_3ELNS0_20block_scan_algorithmE0ELj4294967295EEENS1_25partition_config_selectorILNS1_17partition_subalgoE4EjNS0_10empty_typeEbEEZZNS1_14partition_implILS8_4ELb0ES6_15HIP_vector_typeIjLj2EENS0_17counting_iteratorIjlEEPS9_SG_NS0_5tupleIJPjSI_NS0_16reverse_iteratorISI_EEEEENSH_IJSG_SG_SG_EEES9_SI_JZNS1_25segmented_radix_sort_implINS0_14default_configELb1EPK12hip_bfloat16PSP_PKlPlN2at6native12_GLOBAL__N_18offset_tEEE10hipError_tPvRmT1_PNSt15iterator_traitsIS13_E10value_typeET2_T3_PNS14_IS19_E10value_typeET4_jRbjT5_S1F_jjP12ihipStream_tbEUljE_ZNSN_ISO_Lb1ESR_SS_SU_SV_SZ_EES10_S11_S12_S13_S17_S18_S19_S1C_S1D_jS1E_jS1F_S1F_jjS1H_bEUljE0_EEES10_S11_S12_S19_S1D_S1F_T6_T7_T9_mT8_S1H_bDpT10_ENKUlT_T0_E_clISt17integral_constantIbLb1EES1V_EEDaS1Q_S1R_EUlS1Q_E_NS1_11comp_targetILNS1_3genE5ELNS1_11target_archE942ELNS1_3gpuE9ELNS1_3repE0EEENS1_30default_config_static_selectorELNS0_4arch9wavefront6targetE1EEEvS13_
; %bb.0:
	.section	.rodata,"a",@progbits
	.p2align	6, 0x0
	.amdhsa_kernel _ZN7rocprim17ROCPRIM_400000_NS6detail17trampoline_kernelINS0_13select_configILj256ELj13ELNS0_17block_load_methodE3ELS4_3ELS4_3ELNS0_20block_scan_algorithmE0ELj4294967295EEENS1_25partition_config_selectorILNS1_17partition_subalgoE4EjNS0_10empty_typeEbEEZZNS1_14partition_implILS8_4ELb0ES6_15HIP_vector_typeIjLj2EENS0_17counting_iteratorIjlEEPS9_SG_NS0_5tupleIJPjSI_NS0_16reverse_iteratorISI_EEEEENSH_IJSG_SG_SG_EEES9_SI_JZNS1_25segmented_radix_sort_implINS0_14default_configELb1EPK12hip_bfloat16PSP_PKlPlN2at6native12_GLOBAL__N_18offset_tEEE10hipError_tPvRmT1_PNSt15iterator_traitsIS13_E10value_typeET2_T3_PNS14_IS19_E10value_typeET4_jRbjT5_S1F_jjP12ihipStream_tbEUljE_ZNSN_ISO_Lb1ESR_SS_SU_SV_SZ_EES10_S11_S12_S13_S17_S18_S19_S1C_S1D_jS1E_jS1F_S1F_jjS1H_bEUljE0_EEES10_S11_S12_S19_S1D_S1F_T6_T7_T9_mT8_S1H_bDpT10_ENKUlT_T0_E_clISt17integral_constantIbLb1EES1V_EEDaS1Q_S1R_EUlS1Q_E_NS1_11comp_targetILNS1_3genE5ELNS1_11target_archE942ELNS1_3gpuE9ELNS1_3repE0EEENS1_30default_config_static_selectorELNS0_4arch9wavefront6targetE1EEEvS13_
		.amdhsa_group_segment_fixed_size 0
		.amdhsa_private_segment_fixed_size 0
		.amdhsa_kernarg_size 184
		.amdhsa_user_sgpr_count 6
		.amdhsa_user_sgpr_private_segment_buffer 1
		.amdhsa_user_sgpr_dispatch_ptr 0
		.amdhsa_user_sgpr_queue_ptr 0
		.amdhsa_user_sgpr_kernarg_segment_ptr 1
		.amdhsa_user_sgpr_dispatch_id 0
		.amdhsa_user_sgpr_flat_scratch_init 0
		.amdhsa_user_sgpr_kernarg_preload_length 0
		.amdhsa_user_sgpr_kernarg_preload_offset 0
		.amdhsa_user_sgpr_private_segment_size 0
		.amdhsa_uses_dynamic_stack 0
		.amdhsa_system_sgpr_private_segment_wavefront_offset 0
		.amdhsa_system_sgpr_workgroup_id_x 1
		.amdhsa_system_sgpr_workgroup_id_y 0
		.amdhsa_system_sgpr_workgroup_id_z 0
		.amdhsa_system_sgpr_workgroup_info 0
		.amdhsa_system_vgpr_workitem_id 0
		.amdhsa_next_free_vgpr 1
		.amdhsa_next_free_sgpr 0
		.amdhsa_accum_offset 4
		.amdhsa_reserve_vcc 0
		.amdhsa_reserve_flat_scratch 0
		.amdhsa_float_round_mode_32 0
		.amdhsa_float_round_mode_16_64 0
		.amdhsa_float_denorm_mode_32 3
		.amdhsa_float_denorm_mode_16_64 3
		.amdhsa_dx10_clamp 1
		.amdhsa_ieee_mode 1
		.amdhsa_fp16_overflow 0
		.amdhsa_tg_split 0
		.amdhsa_exception_fp_ieee_invalid_op 0
		.amdhsa_exception_fp_denorm_src 0
		.amdhsa_exception_fp_ieee_div_zero 0
		.amdhsa_exception_fp_ieee_overflow 0
		.amdhsa_exception_fp_ieee_underflow 0
		.amdhsa_exception_fp_ieee_inexact 0
		.amdhsa_exception_int_div_zero 0
	.end_amdhsa_kernel
	.section	.text._ZN7rocprim17ROCPRIM_400000_NS6detail17trampoline_kernelINS0_13select_configILj256ELj13ELNS0_17block_load_methodE3ELS4_3ELS4_3ELNS0_20block_scan_algorithmE0ELj4294967295EEENS1_25partition_config_selectorILNS1_17partition_subalgoE4EjNS0_10empty_typeEbEEZZNS1_14partition_implILS8_4ELb0ES6_15HIP_vector_typeIjLj2EENS0_17counting_iteratorIjlEEPS9_SG_NS0_5tupleIJPjSI_NS0_16reverse_iteratorISI_EEEEENSH_IJSG_SG_SG_EEES9_SI_JZNS1_25segmented_radix_sort_implINS0_14default_configELb1EPK12hip_bfloat16PSP_PKlPlN2at6native12_GLOBAL__N_18offset_tEEE10hipError_tPvRmT1_PNSt15iterator_traitsIS13_E10value_typeET2_T3_PNS14_IS19_E10value_typeET4_jRbjT5_S1F_jjP12ihipStream_tbEUljE_ZNSN_ISO_Lb1ESR_SS_SU_SV_SZ_EES10_S11_S12_S13_S17_S18_S19_S1C_S1D_jS1E_jS1F_S1F_jjS1H_bEUljE0_EEES10_S11_S12_S19_S1D_S1F_T6_T7_T9_mT8_S1H_bDpT10_ENKUlT_T0_E_clISt17integral_constantIbLb1EES1V_EEDaS1Q_S1R_EUlS1Q_E_NS1_11comp_targetILNS1_3genE5ELNS1_11target_archE942ELNS1_3gpuE9ELNS1_3repE0EEENS1_30default_config_static_selectorELNS0_4arch9wavefront6targetE1EEEvS13_,"axG",@progbits,_ZN7rocprim17ROCPRIM_400000_NS6detail17trampoline_kernelINS0_13select_configILj256ELj13ELNS0_17block_load_methodE3ELS4_3ELS4_3ELNS0_20block_scan_algorithmE0ELj4294967295EEENS1_25partition_config_selectorILNS1_17partition_subalgoE4EjNS0_10empty_typeEbEEZZNS1_14partition_implILS8_4ELb0ES6_15HIP_vector_typeIjLj2EENS0_17counting_iteratorIjlEEPS9_SG_NS0_5tupleIJPjSI_NS0_16reverse_iteratorISI_EEEEENSH_IJSG_SG_SG_EEES9_SI_JZNS1_25segmented_radix_sort_implINS0_14default_configELb1EPK12hip_bfloat16PSP_PKlPlN2at6native12_GLOBAL__N_18offset_tEEE10hipError_tPvRmT1_PNSt15iterator_traitsIS13_E10value_typeET2_T3_PNS14_IS19_E10value_typeET4_jRbjT5_S1F_jjP12ihipStream_tbEUljE_ZNSN_ISO_Lb1ESR_SS_SU_SV_SZ_EES10_S11_S12_S13_S17_S18_S19_S1C_S1D_jS1E_jS1F_S1F_jjS1H_bEUljE0_EEES10_S11_S12_S19_S1D_S1F_T6_T7_T9_mT8_S1H_bDpT10_ENKUlT_T0_E_clISt17integral_constantIbLb1EES1V_EEDaS1Q_S1R_EUlS1Q_E_NS1_11comp_targetILNS1_3genE5ELNS1_11target_archE942ELNS1_3gpuE9ELNS1_3repE0EEENS1_30default_config_static_selectorELNS0_4arch9wavefront6targetE1EEEvS13_,comdat
.Lfunc_end1889:
	.size	_ZN7rocprim17ROCPRIM_400000_NS6detail17trampoline_kernelINS0_13select_configILj256ELj13ELNS0_17block_load_methodE3ELS4_3ELS4_3ELNS0_20block_scan_algorithmE0ELj4294967295EEENS1_25partition_config_selectorILNS1_17partition_subalgoE4EjNS0_10empty_typeEbEEZZNS1_14partition_implILS8_4ELb0ES6_15HIP_vector_typeIjLj2EENS0_17counting_iteratorIjlEEPS9_SG_NS0_5tupleIJPjSI_NS0_16reverse_iteratorISI_EEEEENSH_IJSG_SG_SG_EEES9_SI_JZNS1_25segmented_radix_sort_implINS0_14default_configELb1EPK12hip_bfloat16PSP_PKlPlN2at6native12_GLOBAL__N_18offset_tEEE10hipError_tPvRmT1_PNSt15iterator_traitsIS13_E10value_typeET2_T3_PNS14_IS19_E10value_typeET4_jRbjT5_S1F_jjP12ihipStream_tbEUljE_ZNSN_ISO_Lb1ESR_SS_SU_SV_SZ_EES10_S11_S12_S13_S17_S18_S19_S1C_S1D_jS1E_jS1F_S1F_jjS1H_bEUljE0_EEES10_S11_S12_S19_S1D_S1F_T6_T7_T9_mT8_S1H_bDpT10_ENKUlT_T0_E_clISt17integral_constantIbLb1EES1V_EEDaS1Q_S1R_EUlS1Q_E_NS1_11comp_targetILNS1_3genE5ELNS1_11target_archE942ELNS1_3gpuE9ELNS1_3repE0EEENS1_30default_config_static_selectorELNS0_4arch9wavefront6targetE1EEEvS13_, .Lfunc_end1889-_ZN7rocprim17ROCPRIM_400000_NS6detail17trampoline_kernelINS0_13select_configILj256ELj13ELNS0_17block_load_methodE3ELS4_3ELS4_3ELNS0_20block_scan_algorithmE0ELj4294967295EEENS1_25partition_config_selectorILNS1_17partition_subalgoE4EjNS0_10empty_typeEbEEZZNS1_14partition_implILS8_4ELb0ES6_15HIP_vector_typeIjLj2EENS0_17counting_iteratorIjlEEPS9_SG_NS0_5tupleIJPjSI_NS0_16reverse_iteratorISI_EEEEENSH_IJSG_SG_SG_EEES9_SI_JZNS1_25segmented_radix_sort_implINS0_14default_configELb1EPK12hip_bfloat16PSP_PKlPlN2at6native12_GLOBAL__N_18offset_tEEE10hipError_tPvRmT1_PNSt15iterator_traitsIS13_E10value_typeET2_T3_PNS14_IS19_E10value_typeET4_jRbjT5_S1F_jjP12ihipStream_tbEUljE_ZNSN_ISO_Lb1ESR_SS_SU_SV_SZ_EES10_S11_S12_S13_S17_S18_S19_S1C_S1D_jS1E_jS1F_S1F_jjS1H_bEUljE0_EEES10_S11_S12_S19_S1D_S1F_T6_T7_T9_mT8_S1H_bDpT10_ENKUlT_T0_E_clISt17integral_constantIbLb1EES1V_EEDaS1Q_S1R_EUlS1Q_E_NS1_11comp_targetILNS1_3genE5ELNS1_11target_archE942ELNS1_3gpuE9ELNS1_3repE0EEENS1_30default_config_static_selectorELNS0_4arch9wavefront6targetE1EEEvS13_
                                        ; -- End function
	.section	.AMDGPU.csdata,"",@progbits
; Kernel info:
; codeLenInByte = 0
; NumSgprs: 4
; NumVgprs: 0
; NumAgprs: 0
; TotalNumVgprs: 0
; ScratchSize: 0
; MemoryBound: 0
; FloatMode: 240
; IeeeMode: 1
; LDSByteSize: 0 bytes/workgroup (compile time only)
; SGPRBlocks: 0
; VGPRBlocks: 0
; NumSGPRsForWavesPerEU: 4
; NumVGPRsForWavesPerEU: 1
; AccumOffset: 4
; Occupancy: 8
; WaveLimiterHint : 0
; COMPUTE_PGM_RSRC2:SCRATCH_EN: 0
; COMPUTE_PGM_RSRC2:USER_SGPR: 6
; COMPUTE_PGM_RSRC2:TRAP_HANDLER: 0
; COMPUTE_PGM_RSRC2:TGID_X_EN: 1
; COMPUTE_PGM_RSRC2:TGID_Y_EN: 0
; COMPUTE_PGM_RSRC2:TGID_Z_EN: 0
; COMPUTE_PGM_RSRC2:TIDIG_COMP_CNT: 0
; COMPUTE_PGM_RSRC3_GFX90A:ACCUM_OFFSET: 0
; COMPUTE_PGM_RSRC3_GFX90A:TG_SPLIT: 0
	.section	.text._ZN7rocprim17ROCPRIM_400000_NS6detail17trampoline_kernelINS0_13select_configILj256ELj13ELNS0_17block_load_methodE3ELS4_3ELS4_3ELNS0_20block_scan_algorithmE0ELj4294967295EEENS1_25partition_config_selectorILNS1_17partition_subalgoE4EjNS0_10empty_typeEbEEZZNS1_14partition_implILS8_4ELb0ES6_15HIP_vector_typeIjLj2EENS0_17counting_iteratorIjlEEPS9_SG_NS0_5tupleIJPjSI_NS0_16reverse_iteratorISI_EEEEENSH_IJSG_SG_SG_EEES9_SI_JZNS1_25segmented_radix_sort_implINS0_14default_configELb1EPK12hip_bfloat16PSP_PKlPlN2at6native12_GLOBAL__N_18offset_tEEE10hipError_tPvRmT1_PNSt15iterator_traitsIS13_E10value_typeET2_T3_PNS14_IS19_E10value_typeET4_jRbjT5_S1F_jjP12ihipStream_tbEUljE_ZNSN_ISO_Lb1ESR_SS_SU_SV_SZ_EES10_S11_S12_S13_S17_S18_S19_S1C_S1D_jS1E_jS1F_S1F_jjS1H_bEUljE0_EEES10_S11_S12_S19_S1D_S1F_T6_T7_T9_mT8_S1H_bDpT10_ENKUlT_T0_E_clISt17integral_constantIbLb1EES1V_EEDaS1Q_S1R_EUlS1Q_E_NS1_11comp_targetILNS1_3genE4ELNS1_11target_archE910ELNS1_3gpuE8ELNS1_3repE0EEENS1_30default_config_static_selectorELNS0_4arch9wavefront6targetE1EEEvS13_,"axG",@progbits,_ZN7rocprim17ROCPRIM_400000_NS6detail17trampoline_kernelINS0_13select_configILj256ELj13ELNS0_17block_load_methodE3ELS4_3ELS4_3ELNS0_20block_scan_algorithmE0ELj4294967295EEENS1_25partition_config_selectorILNS1_17partition_subalgoE4EjNS0_10empty_typeEbEEZZNS1_14partition_implILS8_4ELb0ES6_15HIP_vector_typeIjLj2EENS0_17counting_iteratorIjlEEPS9_SG_NS0_5tupleIJPjSI_NS0_16reverse_iteratorISI_EEEEENSH_IJSG_SG_SG_EEES9_SI_JZNS1_25segmented_radix_sort_implINS0_14default_configELb1EPK12hip_bfloat16PSP_PKlPlN2at6native12_GLOBAL__N_18offset_tEEE10hipError_tPvRmT1_PNSt15iterator_traitsIS13_E10value_typeET2_T3_PNS14_IS19_E10value_typeET4_jRbjT5_S1F_jjP12ihipStream_tbEUljE_ZNSN_ISO_Lb1ESR_SS_SU_SV_SZ_EES10_S11_S12_S13_S17_S18_S19_S1C_S1D_jS1E_jS1F_S1F_jjS1H_bEUljE0_EEES10_S11_S12_S19_S1D_S1F_T6_T7_T9_mT8_S1H_bDpT10_ENKUlT_T0_E_clISt17integral_constantIbLb1EES1V_EEDaS1Q_S1R_EUlS1Q_E_NS1_11comp_targetILNS1_3genE4ELNS1_11target_archE910ELNS1_3gpuE8ELNS1_3repE0EEENS1_30default_config_static_selectorELNS0_4arch9wavefront6targetE1EEEvS13_,comdat
	.globl	_ZN7rocprim17ROCPRIM_400000_NS6detail17trampoline_kernelINS0_13select_configILj256ELj13ELNS0_17block_load_methodE3ELS4_3ELS4_3ELNS0_20block_scan_algorithmE0ELj4294967295EEENS1_25partition_config_selectorILNS1_17partition_subalgoE4EjNS0_10empty_typeEbEEZZNS1_14partition_implILS8_4ELb0ES6_15HIP_vector_typeIjLj2EENS0_17counting_iteratorIjlEEPS9_SG_NS0_5tupleIJPjSI_NS0_16reverse_iteratorISI_EEEEENSH_IJSG_SG_SG_EEES9_SI_JZNS1_25segmented_radix_sort_implINS0_14default_configELb1EPK12hip_bfloat16PSP_PKlPlN2at6native12_GLOBAL__N_18offset_tEEE10hipError_tPvRmT1_PNSt15iterator_traitsIS13_E10value_typeET2_T3_PNS14_IS19_E10value_typeET4_jRbjT5_S1F_jjP12ihipStream_tbEUljE_ZNSN_ISO_Lb1ESR_SS_SU_SV_SZ_EES10_S11_S12_S13_S17_S18_S19_S1C_S1D_jS1E_jS1F_S1F_jjS1H_bEUljE0_EEES10_S11_S12_S19_S1D_S1F_T6_T7_T9_mT8_S1H_bDpT10_ENKUlT_T0_E_clISt17integral_constantIbLb1EES1V_EEDaS1Q_S1R_EUlS1Q_E_NS1_11comp_targetILNS1_3genE4ELNS1_11target_archE910ELNS1_3gpuE8ELNS1_3repE0EEENS1_30default_config_static_selectorELNS0_4arch9wavefront6targetE1EEEvS13_ ; -- Begin function _ZN7rocprim17ROCPRIM_400000_NS6detail17trampoline_kernelINS0_13select_configILj256ELj13ELNS0_17block_load_methodE3ELS4_3ELS4_3ELNS0_20block_scan_algorithmE0ELj4294967295EEENS1_25partition_config_selectorILNS1_17partition_subalgoE4EjNS0_10empty_typeEbEEZZNS1_14partition_implILS8_4ELb0ES6_15HIP_vector_typeIjLj2EENS0_17counting_iteratorIjlEEPS9_SG_NS0_5tupleIJPjSI_NS0_16reverse_iteratorISI_EEEEENSH_IJSG_SG_SG_EEES9_SI_JZNS1_25segmented_radix_sort_implINS0_14default_configELb1EPK12hip_bfloat16PSP_PKlPlN2at6native12_GLOBAL__N_18offset_tEEE10hipError_tPvRmT1_PNSt15iterator_traitsIS13_E10value_typeET2_T3_PNS14_IS19_E10value_typeET4_jRbjT5_S1F_jjP12ihipStream_tbEUljE_ZNSN_ISO_Lb1ESR_SS_SU_SV_SZ_EES10_S11_S12_S13_S17_S18_S19_S1C_S1D_jS1E_jS1F_S1F_jjS1H_bEUljE0_EEES10_S11_S12_S19_S1D_S1F_T6_T7_T9_mT8_S1H_bDpT10_ENKUlT_T0_E_clISt17integral_constantIbLb1EES1V_EEDaS1Q_S1R_EUlS1Q_E_NS1_11comp_targetILNS1_3genE4ELNS1_11target_archE910ELNS1_3gpuE8ELNS1_3repE0EEENS1_30default_config_static_selectorELNS0_4arch9wavefront6targetE1EEEvS13_
	.p2align	8
	.type	_ZN7rocprim17ROCPRIM_400000_NS6detail17trampoline_kernelINS0_13select_configILj256ELj13ELNS0_17block_load_methodE3ELS4_3ELS4_3ELNS0_20block_scan_algorithmE0ELj4294967295EEENS1_25partition_config_selectorILNS1_17partition_subalgoE4EjNS0_10empty_typeEbEEZZNS1_14partition_implILS8_4ELb0ES6_15HIP_vector_typeIjLj2EENS0_17counting_iteratorIjlEEPS9_SG_NS0_5tupleIJPjSI_NS0_16reverse_iteratorISI_EEEEENSH_IJSG_SG_SG_EEES9_SI_JZNS1_25segmented_radix_sort_implINS0_14default_configELb1EPK12hip_bfloat16PSP_PKlPlN2at6native12_GLOBAL__N_18offset_tEEE10hipError_tPvRmT1_PNSt15iterator_traitsIS13_E10value_typeET2_T3_PNS14_IS19_E10value_typeET4_jRbjT5_S1F_jjP12ihipStream_tbEUljE_ZNSN_ISO_Lb1ESR_SS_SU_SV_SZ_EES10_S11_S12_S13_S17_S18_S19_S1C_S1D_jS1E_jS1F_S1F_jjS1H_bEUljE0_EEES10_S11_S12_S19_S1D_S1F_T6_T7_T9_mT8_S1H_bDpT10_ENKUlT_T0_E_clISt17integral_constantIbLb1EES1V_EEDaS1Q_S1R_EUlS1Q_E_NS1_11comp_targetILNS1_3genE4ELNS1_11target_archE910ELNS1_3gpuE8ELNS1_3repE0EEENS1_30default_config_static_selectorELNS0_4arch9wavefront6targetE1EEEvS13_,@function
_ZN7rocprim17ROCPRIM_400000_NS6detail17trampoline_kernelINS0_13select_configILj256ELj13ELNS0_17block_load_methodE3ELS4_3ELS4_3ELNS0_20block_scan_algorithmE0ELj4294967295EEENS1_25partition_config_selectorILNS1_17partition_subalgoE4EjNS0_10empty_typeEbEEZZNS1_14partition_implILS8_4ELb0ES6_15HIP_vector_typeIjLj2EENS0_17counting_iteratorIjlEEPS9_SG_NS0_5tupleIJPjSI_NS0_16reverse_iteratorISI_EEEEENSH_IJSG_SG_SG_EEES9_SI_JZNS1_25segmented_radix_sort_implINS0_14default_configELb1EPK12hip_bfloat16PSP_PKlPlN2at6native12_GLOBAL__N_18offset_tEEE10hipError_tPvRmT1_PNSt15iterator_traitsIS13_E10value_typeET2_T3_PNS14_IS19_E10value_typeET4_jRbjT5_S1F_jjP12ihipStream_tbEUljE_ZNSN_ISO_Lb1ESR_SS_SU_SV_SZ_EES10_S11_S12_S13_S17_S18_S19_S1C_S1D_jS1E_jS1F_S1F_jjS1H_bEUljE0_EEES10_S11_S12_S19_S1D_S1F_T6_T7_T9_mT8_S1H_bDpT10_ENKUlT_T0_E_clISt17integral_constantIbLb1EES1V_EEDaS1Q_S1R_EUlS1Q_E_NS1_11comp_targetILNS1_3genE4ELNS1_11target_archE910ELNS1_3gpuE8ELNS1_3repE0EEENS1_30default_config_static_selectorELNS0_4arch9wavefront6targetE1EEEvS13_: ; @_ZN7rocprim17ROCPRIM_400000_NS6detail17trampoline_kernelINS0_13select_configILj256ELj13ELNS0_17block_load_methodE3ELS4_3ELS4_3ELNS0_20block_scan_algorithmE0ELj4294967295EEENS1_25partition_config_selectorILNS1_17partition_subalgoE4EjNS0_10empty_typeEbEEZZNS1_14partition_implILS8_4ELb0ES6_15HIP_vector_typeIjLj2EENS0_17counting_iteratorIjlEEPS9_SG_NS0_5tupleIJPjSI_NS0_16reverse_iteratorISI_EEEEENSH_IJSG_SG_SG_EEES9_SI_JZNS1_25segmented_radix_sort_implINS0_14default_configELb1EPK12hip_bfloat16PSP_PKlPlN2at6native12_GLOBAL__N_18offset_tEEE10hipError_tPvRmT1_PNSt15iterator_traitsIS13_E10value_typeET2_T3_PNS14_IS19_E10value_typeET4_jRbjT5_S1F_jjP12ihipStream_tbEUljE_ZNSN_ISO_Lb1ESR_SS_SU_SV_SZ_EES10_S11_S12_S13_S17_S18_S19_S1C_S1D_jS1E_jS1F_S1F_jjS1H_bEUljE0_EEES10_S11_S12_S19_S1D_S1F_T6_T7_T9_mT8_S1H_bDpT10_ENKUlT_T0_E_clISt17integral_constantIbLb1EES1V_EEDaS1Q_S1R_EUlS1Q_E_NS1_11comp_targetILNS1_3genE4ELNS1_11target_archE910ELNS1_3gpuE8ELNS1_3repE0EEENS1_30default_config_static_selectorELNS0_4arch9wavefront6targetE1EEEvS13_
; %bb.0:
	s_load_dwordx2 s[48:49], s[4:5], 0x10
	s_load_dwordx4 s[44:47], s[4:5], 0x28
	s_load_dwordx2 s[34:35], s[4:5], 0x38
	s_load_dwordx4 s[28:31], s[4:5], 0x58
	s_load_dwordx2 s[2:3], s[4:5], 0x68
	s_load_dwordx2 s[50:51], s[4:5], 0x78
	;; [unrolled: 1-line block ×3, first 2 shown]
	s_load_dwordx8 s[36:43], s[4:5], 0x90
	v_cmp_eq_u32_e64 s[0:1], 0, v0
	s_and_saveexec_b64 s[6:7], s[0:1]
	s_cbranch_execz .LBB1890_4
; %bb.1:
	s_mov_b64 s[10:11], exec
	v_mbcnt_lo_u32_b32 v1, s10, 0
	v_mbcnt_hi_u32_b32 v1, s11, v1
	v_cmp_eq_u32_e32 vcc, 0, v1
                                        ; implicit-def: $vgpr2
	s_and_saveexec_b64 s[8:9], vcc
	s_cbranch_execz .LBB1890_3
; %bb.2:
	s_load_dwordx2 s[12:13], s[4:5], 0x88
	s_bcnt1_i32_b64 s10, s[10:11]
	v_mov_b32_e32 v2, 0
	v_mov_b32_e32 v3, s10
	s_waitcnt lgkmcnt(0)
	global_atomic_add v2, v2, v3, s[12:13] glc
.LBB1890_3:
	s_or_b64 exec, exec, s[8:9]
	s_waitcnt vmcnt(0)
	v_readfirstlane_b32 s8, v2
	v_add_u32_e32 v1, s8, v1
	v_mov_b32_e32 v2, 0
	ds_write_b32 v2, v1
.LBB1890_4:
	s_or_b64 exec, exec, s[6:7]
	v_mov_b32_e32 v1, 0
	s_load_dword s7, s[4:5], 0x8
	s_load_dword s6, s[4:5], 0x80
	s_waitcnt lgkmcnt(0)
	s_barrier
	ds_read_b32 v8, v1
	s_waitcnt lgkmcnt(0)
	s_barrier
	global_load_dwordx4 v[2:5], v1, s[30:31]
	v_mov_b32_e32 v7, s3
	s_movk_i32 s3, 0xd00
	s_add_i32 s8, s7, s48
	v_mul_lo_u32 v34, v8, s3
	s_add_i32 s7, s6, -1
	s_mul_i32 s3, s6, 0xd00
	s_add_u32 s4, s48, s3
	v_readfirstlane_b32 s33, v8
	s_addc_u32 s5, s49, 0
	s_cmp_eq_u32 s33, s7
	v_mov_b32_e32 v6, s2
	s_cselect_b64 s[30:31], -1, 0
	s_cmp_lg_u32 s33, s7
	v_cmp_lt_u64_e32 vcc, s[4:5], v[6:7]
	s_cselect_b64 s[4:5], -1, 0
	s_or_b64 s[4:5], vcc, s[4:5]
	v_add_u32_e32 v1, s8, v34
	s_mov_b64 s[6:7], -1
	s_and_b64 vcc, exec, s[4:5]
	v_add_u32_e32 v1, v1, v0
	s_cbranch_vccz .LBB1890_6
; %bb.5:
	v_add_u32_e32 v6, 0x100, v1
	v_lshlrev_b32_e32 v18, 2, v0
	v_add_u32_e32 v7, 0x200, v1
	v_add_u32_e32 v8, 0x300, v1
	;; [unrolled: 1-line block ×11, first 2 shown]
	ds_write2st64_b32 v18, v1, v6 offset1:4
	ds_write2st64_b32 v18, v7, v8 offset0:8 offset1:12
	ds_write2st64_b32 v18, v9, v10 offset0:16 offset1:20
	;; [unrolled: 1-line block ×5, first 2 shown]
	ds_write_b32 v18, v17 offset:12288
	s_waitcnt lgkmcnt(0)
	s_barrier
	s_mov_b64 s[6:7], 0
.LBB1890_6:
	s_andn2_b64 vcc, exec, s[6:7]
	s_add_i32 s3, s3, s48
	s_cbranch_vccnz .LBB1890_8
; %bb.7:
	v_add_u32_e32 v6, 0x100, v1
	v_lshlrev_b32_e32 v18, 2, v0
	v_add_u32_e32 v7, 0x200, v1
	v_add_u32_e32 v8, 0x300, v1
	;; [unrolled: 1-line block ×11, first 2 shown]
	ds_write2st64_b32 v18, v1, v6 offset1:4
	ds_write2st64_b32 v18, v7, v8 offset0:8 offset1:12
	ds_write2st64_b32 v18, v9, v10 offset0:16 offset1:20
	;; [unrolled: 1-line block ×5, first 2 shown]
	ds_write_b32 v18, v17 offset:12288
	s_waitcnt lgkmcnt(0)
	s_barrier
.LBB1890_8:
	v_mul_u32_u24_e32 v36, 13, v0
	v_lshlrev_b32_e32 v1, 2, v36
	ds_read2_b32 v[22:23], v1 offset1:1
	ds_read2_b32 v[20:21], v1 offset0:2 offset1:3
	ds_read2_b32 v[18:19], v1 offset0:4 offset1:5
	;; [unrolled: 1-line block ×5, first 2 shown]
	ds_read_b32 v35, v1 offset:48
	v_cndmask_b32_e64 v1, 0, 1, s[4:5]
	s_sub_i32 s86, s2, s3
	v_cmp_ne_u32_e64 s[2:3], 1, v1
	s_andn2_b64 vcc, exec, s[4:5]
	s_waitcnt lgkmcnt(0)
	s_barrier
	s_cbranch_vccnz .LBB1890_36
; %bb.9:
	v_add_u32_e32 v1, s37, v22
	v_add_u32_e32 v6, s39, v22
	v_mul_lo_u32 v1, v1, s36
	v_mul_lo_u32 v6, v6, s38
	v_sub_u32_e32 v1, v1, v6
	v_cmp_lt_u32_e32 vcc, s40, v1
	v_cmp_ge_u32_e64 s[4:5], s40, v1
	s_mov_b64 s[60:61], 0
	s_mov_b64 s[58:59], 0
	s_and_saveexec_b64 s[6:7], s[4:5]
; %bb.10:
	v_add_u32_e32 v1, s42, v22
	v_add_u32_e32 v6, s56, v22
	v_mul_lo_u32 v1, v1, s41
	v_mul_lo_u32 v6, v6, s43
	v_sub_u32_e32 v1, v1, v6
	v_cmp_lt_u32_e64 s[4:5], s57, v1
	s_and_b64 s[58:59], s[4:5], exec
; %bb.11:
	s_or_b64 exec, exec, s[6:7]
	v_add_u32_e32 v1, s37, v23
	v_add_u32_e32 v6, s39, v23
	v_mul_lo_u32 v1, v1, s36
	v_mul_lo_u32 v6, v6, s38
	v_sub_u32_e32 v1, v1, v6
	v_cmp_lt_u32_e64 s[4:5], s40, v1
	v_cmp_ge_u32_e64 s[6:7], s40, v1
	s_and_saveexec_b64 s[8:9], s[6:7]
; %bb.12:
	v_add_u32_e32 v1, s42, v23
	v_add_u32_e32 v6, s56, v23
	v_mul_lo_u32 v1, v1, s41
	v_mul_lo_u32 v6, v6, s43
	v_sub_u32_e32 v1, v1, v6
	v_cmp_lt_u32_e64 s[6:7], s57, v1
	s_and_b64 s[60:61], s[6:7], exec
; %bb.13:
	s_or_b64 exec, exec, s[8:9]
	v_add_u32_e32 v1, s37, v20
	v_add_u32_e32 v6, s39, v20
	v_mul_lo_u32 v1, v1, s36
	v_mul_lo_u32 v6, v6, s38
	v_sub_u32_e32 v1, v1, v6
	v_cmp_lt_u32_e64 s[6:7], s40, v1
	v_cmp_ge_u32_e64 s[8:9], s40, v1
	s_mov_b64 s[64:65], 0
	s_mov_b64 s[62:63], 0
	s_and_saveexec_b64 s[10:11], s[8:9]
; %bb.14:
	v_add_u32_e32 v1, s42, v20
	v_add_u32_e32 v6, s56, v20
	v_mul_lo_u32 v1, v1, s41
	v_mul_lo_u32 v6, v6, s43
	v_sub_u32_e32 v1, v1, v6
	v_cmp_lt_u32_e64 s[8:9], s57, v1
	s_and_b64 s[62:63], s[8:9], exec
; %bb.15:
	s_or_b64 exec, exec, s[10:11]
	v_add_u32_e32 v1, s37, v21
	v_add_u32_e32 v6, s39, v21
	v_mul_lo_u32 v1, v1, s36
	v_mul_lo_u32 v6, v6, s38
	v_sub_u32_e32 v1, v1, v6
	v_cmp_lt_u32_e64 s[8:9], s40, v1
	v_cmp_ge_u32_e64 s[10:11], s40, v1
	s_and_saveexec_b64 s[12:13], s[10:11]
; %bb.16:
	v_add_u32_e32 v1, s42, v21
	v_add_u32_e32 v6, s56, v21
	v_mul_lo_u32 v1, v1, s41
	v_mul_lo_u32 v6, v6, s43
	v_sub_u32_e32 v1, v1, v6
	v_cmp_lt_u32_e64 s[10:11], s57, v1
	s_and_b64 s[64:65], s[10:11], exec
; %bb.17:
	s_or_b64 exec, exec, s[12:13]
	v_add_u32_e32 v1, s37, v18
	v_add_u32_e32 v6, s39, v18
	v_mul_lo_u32 v1, v1, s36
	v_mul_lo_u32 v6, v6, s38
	v_sub_u32_e32 v1, v1, v6
	v_cmp_lt_u32_e64 s[10:11], s40, v1
	;; [unrolled: 38-line block ×5, first 2 shown]
	v_cmp_ge_u32_e64 s[24:25], s40, v1
	s_mov_b64 s[80:81], 0
	s_mov_b64 s[82:83], 0
	s_and_saveexec_b64 s[26:27], s[24:25]
; %bb.30:
	v_add_u32_e32 v1, s42, v12
	v_add_u32_e32 v6, s56, v12
	v_mul_lo_u32 v1, v1, s41
	v_mul_lo_u32 v6, v6, s43
	v_sub_u32_e32 v1, v1, v6
	v_cmp_lt_u32_e64 s[24:25], s57, v1
	s_and_b64 s[82:83], s[24:25], exec
; %bb.31:
	s_or_b64 exec, exec, s[26:27]
	v_add_u32_e32 v1, s37, v13
	v_add_u32_e32 v6, s39, v13
	v_mul_lo_u32 v1, v1, s36
	v_mul_lo_u32 v6, v6, s38
	v_sub_u32_e32 v1, v1, v6
	v_cmp_lt_u32_e64 s[24:25], s40, v1
	v_cmp_ge_u32_e64 s[26:27], s40, v1
	s_and_saveexec_b64 s[52:53], s[26:27]
; %bb.32:
	v_add_u32_e32 v1, s42, v13
	v_add_u32_e32 v6, s56, v13
	v_mul_lo_u32 v1, v1, s41
	v_mul_lo_u32 v6, v6, s43
	v_sub_u32_e32 v1, v1, v6
	v_cmp_lt_u32_e64 s[26:27], s57, v1
	s_and_b64 s[80:81], s[26:27], exec
; %bb.33:
	s_or_b64 exec, exec, s[52:53]
	v_add_u32_e32 v1, s37, v35
	v_add_u32_e32 v6, s39, v35
	v_mul_lo_u32 v1, v1, s36
	v_mul_lo_u32 v6, v6, s38
	v_sub_u32_e32 v1, v1, v6
	v_cmp_ge_u32_e64 s[26:27], s40, v1
	s_mov_b64 s[52:53], -1
	s_mov_b64 s[74:75], 0
	s_mov_b64 s[54:55], 0
	s_and_saveexec_b64 s[84:85], s[26:27]
; %bb.34:
	v_add_u32_e32 v1, s42, v35
	v_add_u32_e32 v6, s56, v35
	v_mul_lo_u32 v1, v1, s41
	v_mul_lo_u32 v6, v6, s43
	v_sub_u32_e32 v1, v1, v6
	v_cmp_lt_u32_e64 s[26:27], s57, v1
	s_and_b64 s[54:55], s[26:27], exec
	s_xor_b64 s[52:53], exec, -1
; %bb.35:
	s_or_b64 exec, exec, s[84:85]
	v_cndmask_b32_e64 v57, 0, 1, s[82:83]
	v_cndmask_b32_e64 v60, 0, 1, s[24:25]
	;; [unrolled: 1-line block ×22, first 2 shown]
	v_cndmask_b32_e64 v37, 0, 1, vcc
	v_cndmask_b32_e64 v59, 0, 1, s[80:81]
	s_add_i32 s16, s86, 0xd00
	s_and_b64 vcc, exec, s[74:75]
	s_cbranch_vccnz .LBB1890_37
	s_branch .LBB1890_90
.LBB1890_36:
                                        ; implicit-def: $sgpr52_sgpr53
                                        ; implicit-def: $sgpr54_sgpr55
                                        ; implicit-def: $vgpr59
                                        ; implicit-def: $vgpr57
                                        ; implicit-def: $vgpr55
                                        ; implicit-def: $vgpr53
                                        ; implicit-def: $vgpr51
                                        ; implicit-def: $vgpr49
                                        ; implicit-def: $vgpr47
                                        ; implicit-def: $vgpr45
                                        ; implicit-def: $vgpr43
                                        ; implicit-def: $vgpr37
                                        ; implicit-def: $vgpr39
                                        ; implicit-def: $vgpr41
                                        ; implicit-def: $vgpr44
                                        ; implicit-def: $vgpr46
                                        ; implicit-def: $vgpr48
                                        ; implicit-def: $vgpr50
                                        ; implicit-def: $vgpr52
                                        ; implicit-def: $vgpr54
                                        ; implicit-def: $vgpr56
                                        ; implicit-def: $vgpr58
                                        ; implicit-def: $vgpr60
                                        ; implicit-def: $vgpr38
                                        ; implicit-def: $vgpr40
                                        ; implicit-def: $vgpr42
	s_add_i32 s16, s86, 0xd00
	s_cbranch_execz .LBB1890_90
.LBB1890_37:
	v_cmp_gt_u32_e32 vcc, s16, v36
	v_mov_b32_e32 v38, 0
	v_mov_b32_e32 v37, 0
	s_and_saveexec_b64 s[6:7], vcc
	s_cbranch_execz .LBB1890_41
; %bb.38:
	v_add_u32_e32 v1, s37, v22
	v_add_u32_e32 v6, s39, v22
	v_mul_lo_u32 v1, v1, s36
	v_mul_lo_u32 v6, v6, s38
	v_sub_u32_e32 v1, v1, v6
	v_cmp_lt_u32_e32 vcc, s40, v1
	v_cmp_ge_u32_e64 s[4:5], s40, v1
	s_mov_b64 s[10:11], 0
	s_and_saveexec_b64 s[8:9], s[4:5]
; %bb.39:
	v_add_u32_e32 v1, s42, v22
	v_add_u32_e32 v6, s56, v22
	v_mul_lo_u32 v1, v1, s41
	v_mul_lo_u32 v6, v6, s43
	v_sub_u32_e32 v1, v1, v6
	v_cmp_lt_u32_e64 s[4:5], s57, v1
	s_and_b64 s[10:11], s[4:5], exec
; %bb.40:
	s_or_b64 exec, exec, s[8:9]
	v_cndmask_b32_e64 v37, 0, 1, vcc
	v_cndmask_b32_e64 v38, 0, 1, s[10:11]
.LBB1890_41:
	s_or_b64 exec, exec, s[6:7]
	v_add_u32_e32 v1, 1, v36
	v_cmp_gt_u32_e32 vcc, s16, v1
	v_mov_b32_e32 v39, 0
	v_mov_b32_e32 v40, 0
	s_and_saveexec_b64 s[6:7], vcc
	s_cbranch_execz .LBB1890_45
; %bb.42:
	v_add_u32_e32 v1, s37, v23
	v_add_u32_e32 v6, s39, v23
	v_mul_lo_u32 v1, v1, s36
	v_mul_lo_u32 v6, v6, s38
	v_sub_u32_e32 v1, v1, v6
	v_cmp_lt_u32_e32 vcc, s40, v1
	v_cmp_ge_u32_e64 s[4:5], s40, v1
	s_mov_b64 s[10:11], 0
	s_and_saveexec_b64 s[8:9], s[4:5]
; %bb.43:
	v_add_u32_e32 v1, s42, v23
	v_add_u32_e32 v6, s56, v23
	v_mul_lo_u32 v1, v1, s41
	v_mul_lo_u32 v6, v6, s43
	v_sub_u32_e32 v1, v1, v6
	v_cmp_lt_u32_e64 s[4:5], s57, v1
	s_and_b64 s[10:11], s[4:5], exec
; %bb.44:
	s_or_b64 exec, exec, s[8:9]
	v_cndmask_b32_e64 v39, 0, 1, vcc
	v_cndmask_b32_e64 v40, 0, 1, s[10:11]
.LBB1890_45:
	s_or_b64 exec, exec, s[6:7]
	v_add_u32_e32 v1, 2, v36
	;; [unrolled: 30-line block ×12, first 2 shown]
	v_cmp_gt_u32_e32 vcc, s16, v1
	s_mov_b64 s[52:53], 0
	s_mov_b64 s[54:55], 0
	s_and_saveexec_b64 s[4:5], vcc
	s_cbranch_execz .LBB1890_89
; %bb.86:
	v_add_u32_e32 v1, s37, v35
	v_add_u32_e32 v6, s39, v35
	v_mul_lo_u32 v1, v1, s36
	v_mul_lo_u32 v6, v6, s38
	v_sub_u32_e32 v1, v1, v6
	v_cmp_ge_u32_e32 vcc, s40, v1
	s_mov_b64 s[8:9], -1
	s_mov_b64 s[10:11], 0
	s_and_saveexec_b64 s[6:7], vcc
; %bb.87:
	v_add_u32_e32 v1, s42, v35
	v_add_u32_e32 v6, s56, v35
	v_mul_lo_u32 v1, v1, s41
	v_mul_lo_u32 v6, v6, s43
	v_sub_u32_e32 v1, v1, v6
	v_cmp_lt_u32_e32 vcc, s57, v1
	s_and_b64 s[10:11], vcc, exec
	s_xor_b64 s[8:9], exec, -1
; %bb.88:
	s_or_b64 exec, exec, s[6:7]
	s_and_b64 s[54:55], s[10:11], exec
	s_and_b64 s[52:53], s[8:9], exec
.LBB1890_89:
	s_or_b64 exec, exec, s[4:5]
.LBB1890_90:
	v_and_b32_e32 v68, 0xff, v38
	v_and_b32_e32 v79, 0xff, v40
	;; [unrolled: 1-line block ×5, first 2 shown]
	v_add3_u32 v6, v79, v70, v68
	v_and_b32_e32 v81, 0xff, v47
	v_and_b32_e32 v74, 0xff, v49
	v_add3_u32 v6, v6, v80, v72
	v_and_b32_e32 v67, 0xff, v37
	v_and_b32_e32 v61, 0xff, v39
	;; [unrolled: 1-line block ×5, first 2 shown]
	v_add3_u32 v6, v6, v81, v74
	v_and_b32_e32 v62, 0xff, v44
	v_and_b32_e32 v71, 0xff, v46
	;; [unrolled: 1-line block ×4, first 2 shown]
	v_add3_u32 v7, v61, v69, v67
	v_add3_u32 v6, v6, v82, v76
	v_and_b32_e32 v63, 0xff, v48
	v_and_b32_e32 v73, 0xff, v50
	;; [unrolled: 1-line block ×3, first 2 shown]
	v_cndmask_b32_e64 v1, 0, 1, s[54:55]
	v_add3_u32 v7, v7, v62, v71
	v_add3_u32 v6, v6, v83, v78
	v_and_b32_e32 v64, 0xff, v52
	v_and_b32_e32 v75, 0xff, v54
	v_add3_u32 v7, v7, v63, v73
	v_add3_u32 v91, v6, v84, v1
	v_mbcnt_lo_u32_b32 v1, -1, 0
	v_and_b32_e32 v65, 0xff, v56
	v_and_b32_e32 v77, 0xff, v58
	v_add3_u32 v7, v7, v64, v75
	v_mbcnt_hi_u32_b32 v85, -1, v1
	v_and_b32_e32 v66, 0xff, v60
	v_add3_u32 v7, v7, v65, v77
	v_cndmask_b32_e64 v8, 0, 1, s[52:53]
	v_and_b32_e32 v89, 15, v85
	s_cmp_lg_u32 s33, 0
	v_add3_u32 v90, v7, v66, v8
	v_cmp_eq_u32_e64 s[6:7], 0, v89
	v_cmp_lt_u32_e64 s[4:5], 1, v89
	v_cmp_lt_u32_e64 s[10:11], 3, v89
	;; [unrolled: 1-line block ×3, first 2 shown]
	v_and_b32_e32 v88, 16, v85
	v_cmp_lt_u32_e32 vcc, 31, v85
	v_lshrrev_b32_e32 v86, 6, v0
	v_or_b32_e32 v87, 63, v0
	s_cbranch_scc0 .LBB1890_123
; %bb.91:
	v_mov_b32_dpp v1, v90 row_shr:1 row_mask:0xf bank_mask:0xf
	v_mov_b32_dpp v6, v91 row_shr:1 row_mask:0xf bank_mask:0xf
	v_add_u32_e32 v1, v1, v90
	v_add_u32_e32 v6, v6, v91
	v_cndmask_b32_e64 v6, v6, v91, s[6:7]
	v_cndmask_b32_e64 v1, v1, v90, s[6:7]
	s_nop 0
	v_mov_b32_dpp v8, v6 row_shr:2 row_mask:0xf bank_mask:0xf
	v_mov_b32_dpp v7, v1 row_shr:2 row_mask:0xf bank_mask:0xf
	v_add_u32_e32 v7, v1, v7
	v_add_u32_e32 v8, v6, v8
	v_cndmask_b32_e64 v6, v6, v8, s[4:5]
	v_cndmask_b32_e64 v1, v1, v7, s[4:5]
	s_nop 0
	;; [unrolled: 7-line block ×3, first 2 shown]
	v_mov_b32_dpp v8, v6 row_shr:8 row_mask:0xf bank_mask:0xf
	v_mov_b32_dpp v7, v1 row_shr:8 row_mask:0xf bank_mask:0xf
	v_add_u32_e32 v7, v1, v7
	v_add_u32_e32 v8, v6, v8
	v_cndmask_b32_e64 v6, v6, v8, s[8:9]
	v_cndmask_b32_e64 v1, v1, v7, s[8:9]
	v_cmp_eq_u32_e64 s[8:9], 0, v88
	v_mov_b32_dpp v8, v6 row_bcast:15 row_mask:0xf bank_mask:0xf
	v_mov_b32_dpp v7, v1 row_bcast:15 row_mask:0xf bank_mask:0xf
	v_add_u32_e32 v7, v1, v7
	v_add_u32_e32 v8, v6, v8
	v_cndmask_b32_e64 v6, v8, v6, s[8:9]
	v_cndmask_b32_e64 v1, v7, v1, s[8:9]
	s_nop 0
	v_mov_b32_dpp v8, v6 row_bcast:31 row_mask:0xf bank_mask:0xf
	v_mov_b32_dpp v7, v1 row_bcast:31 row_mask:0xf bank_mask:0xf
	v_add_u32_e32 v8, v6, v8
	v_add_u32_e32 v9, v1, v7
	v_cndmask_b32_e32 v7, v6, v8, vcc
	v_cndmask_b32_e32 v6, v1, v9, vcc
	v_cmp_eq_u32_e32 vcc, v87, v0
	s_and_saveexec_b64 s[8:9], vcc
	s_cbranch_execz .LBB1890_93
; %bb.92:
	v_lshlrev_b32_e32 v1, 3, v86
	ds_write_b64 v1, v[6:7]
.LBB1890_93:
	s_or_b64 exec, exec, s[8:9]
	v_cmp_gt_u32_e32 vcc, 4, v0
	s_waitcnt lgkmcnt(0)
	s_barrier
	s_and_saveexec_b64 s[8:9], vcc
	s_cbranch_execz .LBB1890_95
; %bb.94:
	v_lshlrev_b32_e32 v1, 3, v0
	ds_read_b64 v[8:9], v1
	v_and_b32_e32 v10, 3, v85
	v_cmp_eq_u32_e32 vcc, 0, v10
	s_waitcnt lgkmcnt(0)
	v_mov_b32_dpp v11, v8 row_shr:1 row_mask:0xf bank_mask:0xf
	v_mov_b32_dpp v24, v9 row_shr:1 row_mask:0xf bank_mask:0xf
	v_add_u32_e32 v11, v11, v8
	v_add_u32_e32 v24, v24, v9
	v_cndmask_b32_e32 v9, v24, v9, vcc
	v_cndmask_b32_e32 v8, v11, v8, vcc
	v_cmp_lt_u32_e32 vcc, 1, v10
	v_mov_b32_dpp v24, v9 row_shr:2 row_mask:0xf bank_mask:0xf
	v_mov_b32_dpp v11, v8 row_shr:2 row_mask:0xf bank_mask:0xf
	v_cndmask_b32_e32 v10, 0, v11, vcc
	v_cndmask_b32_e32 v11, 0, v24, vcc
	v_add_u32_e32 v9, v11, v9
	v_add_u32_e32 v8, v10, v8
	ds_write_b64 v1, v[8:9]
.LBB1890_95:
	s_or_b64 exec, exec, s[8:9]
	v_cmp_gt_u32_e32 vcc, 64, v0
	v_cmp_lt_u32_e64 s[8:9], 63, v0
	s_waitcnt lgkmcnt(0)
	s_barrier
	s_waitcnt lgkmcnt(0)
                                        ; implicit-def: $vgpr25
	s_and_saveexec_b64 s[10:11], s[8:9]
	s_xor_b64 s[8:9], exec, s[10:11]
	s_cbranch_execz .LBB1890_97
; %bb.96:
	v_lshl_add_u32 v1, v86, 3, -8
	ds_read_b64 v[24:25], v1
	s_waitcnt lgkmcnt(0)
	v_add_u32_e32 v7, v25, v7
	v_add_u32_e32 v6, v24, v6
.LBB1890_97:
	s_andn2_saveexec_b64 s[8:9], s[8:9]
; %bb.98:
                                        ; implicit-def: $vgpr24
; %bb.99:
	s_or_b64 exec, exec, s[8:9]
	v_add_u32_e32 v1, -1, v85
	v_and_b32_e32 v8, 64, v85
	v_cmp_lt_i32_e64 s[8:9], v1, v8
	v_cndmask_b32_e64 v1, v1, v85, s[8:9]
	v_lshlrev_b32_e32 v8, 2, v1
	ds_bpermute_b32 v1, v8, v6
	ds_bpermute_b32 v92, v8, v7
	v_cmp_eq_u32_e64 s[8:9], 0, v85
	s_and_saveexec_b64 s[10:11], vcc
	s_cbranch_execz .LBB1890_122
; %bb.100:
	v_mov_b32_e32 v11, 0
	ds_read_b64 v[26:27], v11 offset:24
	s_and_saveexec_b64 s[12:13], s[8:9]
	s_cbranch_execz .LBB1890_102
; %bb.101:
	s_add_i32 s14, s33, 64
	s_mov_b32 s15, 0
	s_lshl_b64 s[14:15], s[14:15], 4
	s_waitcnt lgkmcnt(0)
	v_and_b32_e32 v6, 0xff000000, v27
	v_and_b32_e32 v7, 0xff0000, v27
	s_add_u32 s14, s50, s14
	v_or_b32_e32 v6, v7, v6
	v_and_b32_e32 v7, 0xff00, v27
	s_addc_u32 s15, s51, s15
	v_or_b32_e32 v6, v6, v7
	v_or_b32_sdwa v9, v6, v27 dst_sel:DWORD dst_unused:UNUSED_PAD src0_sel:DWORD src1_sel:BYTE_0
	v_mov_b32_e32 v10, 1
	v_mov_b32_e32 v8, v26
	v_pk_mov_b32 v[6:7], s[14:15], s[14:15] op_sel:[0,1]
	;;#ASMSTART
	global_store_dwordx4 v[6:7], v[8:11] off	
s_waitcnt vmcnt(0)
	;;#ASMEND
.LBB1890_102:
	s_or_b64 exec, exec, s[12:13]
	v_xad_u32 v28, v85, -1, s33
	v_add_u32_e32 v10, 64, v28
	v_lshlrev_b64 v[6:7], 4, v[10:11]
	v_mov_b32_e32 v8, s51
	v_add_co_u32_e32 v30, vcc, s50, v6
	v_addc_co_u32_e32 v31, vcc, v8, v7, vcc
	;;#ASMSTART
	global_load_dwordx4 v[6:9], v[30:31] off glc	
s_waitcnt vmcnt(0)
	;;#ASMEND
	v_and_b32_e32 v9, 0xff, v7
	v_and_b32_e32 v10, 0xff00, v7
	v_or3_b32 v9, 0, v9, v10
	v_or3_b32 v6, v6, 0, 0
	v_and_b32_e32 v10, 0xff000000, v7
	v_and_b32_e32 v7, 0xff0000, v7
	v_or3_b32 v7, v9, v7, v10
	v_or3_b32 v6, v6, 0, 0
	v_cmp_eq_u16_sdwa s[14:15], v8, v11 src0_sel:BYTE_0 src1_sel:DWORD
	s_and_saveexec_b64 s[12:13], s[14:15]
	s_cbranch_execz .LBB1890_108
; %bb.103:
	s_mov_b32 s17, 1
	s_mov_b64 s[14:15], 0
	v_mov_b32_e32 v10, 0
.LBB1890_104:                           ; =>This Loop Header: Depth=1
                                        ;     Child Loop BB1890_105 Depth 2
	s_max_u32 s18, s17, 1
.LBB1890_105:                           ;   Parent Loop BB1890_104 Depth=1
                                        ; =>  This Inner Loop Header: Depth=2
	s_add_i32 s18, s18, -1
	s_cmp_eq_u32 s18, 0
	s_sleep 1
	s_cbranch_scc0 .LBB1890_105
; %bb.106:                              ;   in Loop: Header=BB1890_104 Depth=1
	s_cmp_lt_u32 s17, 32
	s_cselect_b64 s[18:19], -1, 0
	s_cmp_lg_u64 s[18:19], 0
	s_addc_u32 s17, s17, 0
	;;#ASMSTART
	global_load_dwordx4 v[6:9], v[30:31] off glc	
s_waitcnt vmcnt(0)
	;;#ASMEND
	v_cmp_ne_u16_sdwa s[18:19], v8, v10 src0_sel:BYTE_0 src1_sel:DWORD
	s_or_b64 s[14:15], s[18:19], s[14:15]
	s_andn2_b64 exec, exec, s[14:15]
	s_cbranch_execnz .LBB1890_104
; %bb.107:
	s_or_b64 exec, exec, s[14:15]
.LBB1890_108:
	s_or_b64 exec, exec, s[12:13]
	v_and_b32_e32 v94, 63, v85
	v_cmp_ne_u32_e32 vcc, 63, v94
	v_mov_b32_e32 v93, 2
	v_addc_co_u32_e32 v30, vcc, 0, v85, vcc
	v_cmp_eq_u16_sdwa s[12:13], v8, v93 src0_sel:BYTE_0 src1_sel:DWORD
	v_lshlrev_b64 v[10:11], v85, -1
	v_lshlrev_b32_e32 v95, 2, v30
	v_and_b32_e32 v9, s13, v11
	ds_bpermute_b32 v30, v95, v6
	ds_bpermute_b32 v31, v95, v7
	v_or_b32_e32 v9, 0x80000000, v9
	v_and_b32_e32 v29, s12, v10
	v_ffbl_b32_e32 v9, v9
	v_add_u32_e32 v9, 32, v9
	v_ffbl_b32_e32 v29, v29
	v_min_u32_e32 v9, v29, v9
	s_waitcnt lgkmcnt(1)
	v_add_u32_e32 v29, v30, v6
	s_waitcnt lgkmcnt(0)
	v_add_u32_e32 v30, v31, v7
	v_cmp_lt_u32_e32 vcc, v94, v9
	v_cndmask_b32_e32 v7, v7, v30, vcc
	v_cndmask_b32_e32 v6, v6, v29, vcc
	v_cmp_gt_u32_e32 vcc, 62, v94
	v_cndmask_b32_e64 v29, 0, 1, vcc
	v_lshlrev_b32_e32 v29, 1, v29
	v_add_lshl_u32 v96, v29, v85, 2
	ds_bpermute_b32 v29, v96, v6
	ds_bpermute_b32 v30, v96, v7
	v_add_u32_e32 v97, 2, v94
	v_cmp_gt_u32_e32 vcc, v97, v9
	v_add_u32_e32 v99, 4, v94
	s_waitcnt lgkmcnt(1)
	v_add_u32_e32 v29, v6, v29
	s_waitcnt lgkmcnt(0)
	v_add_u32_e32 v30, v7, v30
	v_cndmask_b32_e32 v7, v30, v7, vcc
	v_cndmask_b32_e32 v6, v29, v6, vcc
	v_cmp_gt_u32_e32 vcc, 60, v94
	v_cndmask_b32_e64 v29, 0, 1, vcc
	v_lshlrev_b32_e32 v29, 2, v29
	v_add_lshl_u32 v98, v29, v85, 2
	ds_bpermute_b32 v29, v98, v6
	ds_bpermute_b32 v30, v98, v7
	v_cmp_gt_u32_e32 vcc, v99, v9
	v_add_u32_e32 v101, 8, v94
	v_add_u32_e32 v103, 16, v94
	s_waitcnt lgkmcnt(1)
	v_add_u32_e32 v29, v6, v29
	s_waitcnt lgkmcnt(0)
	v_add_u32_e32 v30, v7, v30
	v_cndmask_b32_e32 v7, v30, v7, vcc
	v_cndmask_b32_e32 v6, v29, v6, vcc
	v_cmp_gt_u32_e32 vcc, 56, v94
	v_cndmask_b32_e64 v29, 0, 1, vcc
	v_lshlrev_b32_e32 v29, 3, v29
	v_add_lshl_u32 v100, v29, v85, 2
	ds_bpermute_b32 v29, v100, v6
	ds_bpermute_b32 v30, v100, v7
	v_cmp_gt_u32_e32 vcc, v101, v9
	v_add_u32_e32 v105, 32, v94
	s_waitcnt lgkmcnt(1)
	v_add_u32_e32 v29, v6, v29
	s_waitcnt lgkmcnt(0)
	v_add_u32_e32 v30, v7, v30
	v_cndmask_b32_e32 v7, v30, v7, vcc
	v_cndmask_b32_e32 v6, v29, v6, vcc
	v_cmp_gt_u32_e32 vcc, 48, v94
	v_cndmask_b32_e64 v29, 0, 1, vcc
	v_lshlrev_b32_e32 v29, 4, v29
	v_add_lshl_u32 v102, v29, v85, 2
	ds_bpermute_b32 v29, v102, v6
	ds_bpermute_b32 v30, v102, v7
	v_cmp_gt_u32_e32 vcc, v103, v9
	s_waitcnt lgkmcnt(1)
	v_add_u32_e32 v29, v6, v29
	s_waitcnt lgkmcnt(0)
	v_add_u32_e32 v30, v7, v30
	v_cndmask_b32_e32 v7, v30, v7, vcc
	v_cndmask_b32_e32 v6, v29, v6, vcc
	v_cmp_gt_u32_e32 vcc, 32, v94
	v_cndmask_b32_e64 v29, 0, 1, vcc
	v_lshlrev_b32_e32 v29, 5, v29
	v_add_lshl_u32 v104, v29, v85, 2
	ds_bpermute_b32 v29, v104, v6
	ds_bpermute_b32 v30, v104, v7
	v_cmp_le_u32_e32 vcc, v105, v9
	s_waitcnt lgkmcnt(1)
	v_cndmask_b32_e32 v9, 0, v29, vcc
	s_waitcnt lgkmcnt(0)
	v_cndmask_b32_e32 v29, 0, v30, vcc
	v_add_u32_e32 v7, v7, v29
	v_add_u32_e32 v6, v6, v9
	v_mov_b32_e32 v29, 0
	s_branch .LBB1890_110
.LBB1890_109:                           ;   in Loop: Header=BB1890_110 Depth=1
	s_or_b64 exec, exec, s[12:13]
	v_cmp_eq_u16_sdwa s[12:13], v8, v93 src0_sel:BYTE_0 src1_sel:DWORD
	v_and_b32_e32 v9, s13, v11
	ds_bpermute_b32 v33, v95, v6
	ds_bpermute_b32 v106, v95, v7
	v_or_b32_e32 v9, 0x80000000, v9
	v_and_b32_e32 v32, s12, v10
	v_ffbl_b32_e32 v9, v9
	v_add_u32_e32 v9, 32, v9
	v_ffbl_b32_e32 v32, v32
	v_min_u32_e32 v9, v32, v9
	s_waitcnt lgkmcnt(1)
	v_add_u32_e32 v32, v33, v6
	s_waitcnt lgkmcnt(0)
	v_add_u32_e32 v33, v106, v7
	v_cmp_lt_u32_e32 vcc, v94, v9
	v_cndmask_b32_e32 v7, v7, v33, vcc
	v_cndmask_b32_e32 v6, v6, v32, vcc
	ds_bpermute_b32 v32, v96, v6
	ds_bpermute_b32 v33, v96, v7
	v_cmp_gt_u32_e32 vcc, v97, v9
	v_subrev_u32_e32 v28, 64, v28
	s_waitcnt lgkmcnt(1)
	v_add_u32_e32 v32, v6, v32
	s_waitcnt lgkmcnt(0)
	v_add_u32_e32 v33, v7, v33
	v_cndmask_b32_e32 v7, v33, v7, vcc
	v_cndmask_b32_e32 v6, v32, v6, vcc
	ds_bpermute_b32 v32, v98, v6
	ds_bpermute_b32 v33, v98, v7
	v_cmp_gt_u32_e32 vcc, v99, v9
	s_waitcnt lgkmcnt(1)
	v_add_u32_e32 v32, v6, v32
	s_waitcnt lgkmcnt(0)
	v_add_u32_e32 v33, v7, v33
	v_cndmask_b32_e32 v7, v33, v7, vcc
	v_cndmask_b32_e32 v6, v32, v6, vcc
	ds_bpermute_b32 v32, v100, v6
	ds_bpermute_b32 v33, v100, v7
	v_cmp_gt_u32_e32 vcc, v101, v9
	;; [unrolled: 9-line block ×3, first 2 shown]
	s_waitcnt lgkmcnt(1)
	v_add_u32_e32 v32, v6, v32
	s_waitcnt lgkmcnt(0)
	v_add_u32_e32 v33, v7, v33
	v_cndmask_b32_e32 v7, v33, v7, vcc
	v_cndmask_b32_e32 v6, v32, v6, vcc
	ds_bpermute_b32 v32, v104, v6
	ds_bpermute_b32 v33, v104, v7
	v_cmp_le_u32_e32 vcc, v105, v9
	s_waitcnt lgkmcnt(1)
	v_cndmask_b32_e32 v9, 0, v32, vcc
	s_waitcnt lgkmcnt(0)
	v_cndmask_b32_e32 v32, 0, v33, vcc
	v_add3_u32 v7, v32, v31, v7
	v_add3_u32 v6, v9, v30, v6
.LBB1890_110:                           ; =>This Loop Header: Depth=1
                                        ;     Child Loop BB1890_113 Depth 2
                                        ;       Child Loop BB1890_114 Depth 3
	v_cmp_ne_u16_sdwa s[12:13], v8, v93 src0_sel:BYTE_0 src1_sel:DWORD
	v_cndmask_b32_e64 v8, 0, 1, s[12:13]
	;;#ASMSTART
	;;#ASMEND
	v_cmp_ne_u32_e32 vcc, 0, v8
	s_cmp_lg_u64 vcc, exec
	v_pk_mov_b32 v[30:31], v[6:7], v[6:7] op_sel:[0,1]
	s_cbranch_scc1 .LBB1890_117
; %bb.111:                              ;   in Loop: Header=BB1890_110 Depth=1
	v_lshlrev_b64 v[6:7], 4, v[28:29]
	v_mov_b32_e32 v8, s51
	v_add_co_u32_e32 v32, vcc, s50, v6
	v_addc_co_u32_e32 v33, vcc, v8, v7, vcc
	;;#ASMSTART
	global_load_dwordx4 v[6:9], v[32:33] off glc	
s_waitcnt vmcnt(0)
	;;#ASMEND
	v_and_b32_e32 v9, 0xff, v7
	v_and_b32_e32 v106, 0xff00, v7
	v_or3_b32 v9, 0, v9, v106
	v_or3_b32 v6, v6, 0, 0
	v_and_b32_e32 v106, 0xff000000, v7
	v_and_b32_e32 v7, 0xff0000, v7
	v_or3_b32 v7, v9, v7, v106
	v_or3_b32 v6, v6, 0, 0
	v_cmp_eq_u16_sdwa s[14:15], v8, v29 src0_sel:BYTE_0 src1_sel:DWORD
	s_and_saveexec_b64 s[12:13], s[14:15]
	s_cbranch_execz .LBB1890_109
; %bb.112:                              ;   in Loop: Header=BB1890_110 Depth=1
	s_mov_b32 s17, 1
	s_mov_b64 s[14:15], 0
.LBB1890_113:                           ;   Parent Loop BB1890_110 Depth=1
                                        ; =>  This Loop Header: Depth=2
                                        ;       Child Loop BB1890_114 Depth 3
	s_max_u32 s18, s17, 1
.LBB1890_114:                           ;   Parent Loop BB1890_110 Depth=1
                                        ;     Parent Loop BB1890_113 Depth=2
                                        ; =>    This Inner Loop Header: Depth=3
	s_add_i32 s18, s18, -1
	s_cmp_eq_u32 s18, 0
	s_sleep 1
	s_cbranch_scc0 .LBB1890_114
; %bb.115:                              ;   in Loop: Header=BB1890_113 Depth=2
	s_cmp_lt_u32 s17, 32
	s_cselect_b64 s[18:19], -1, 0
	s_cmp_lg_u64 s[18:19], 0
	s_addc_u32 s17, s17, 0
	;;#ASMSTART
	global_load_dwordx4 v[6:9], v[32:33] off glc	
s_waitcnt vmcnt(0)
	;;#ASMEND
	v_cmp_ne_u16_sdwa s[18:19], v8, v29 src0_sel:BYTE_0 src1_sel:DWORD
	s_or_b64 s[14:15], s[18:19], s[14:15]
	s_andn2_b64 exec, exec, s[14:15]
	s_cbranch_execnz .LBB1890_113
; %bb.116:                              ;   in Loop: Header=BB1890_110 Depth=1
	s_or_b64 exec, exec, s[14:15]
	s_branch .LBB1890_109
.LBB1890_117:                           ;   in Loop: Header=BB1890_110 Depth=1
                                        ; implicit-def: $vgpr8
                                        ; implicit-def: $vgpr6_vgpr7
	s_cbranch_execz .LBB1890_110
; %bb.118:
	s_and_saveexec_b64 s[12:13], s[8:9]
	s_cbranch_execz .LBB1890_120
; %bb.119:
	s_add_i32 s14, s33, 64
	s_mov_b32 s15, 0
	v_add_u32_e32 v7, v31, v27
	s_lshl_b64 s[14:15], s[14:15], 4
	s_add_u32 s14, s50, s14
	v_and_b32_e32 v8, 0xff000000, v7
	v_and_b32_e32 v10, 0xff0000, v7
	s_addc_u32 s15, s51, s15
	v_or_b32_e32 v8, v10, v8
	v_and_b32_e32 v10, 0xff00, v7
	v_and_b32_e32 v7, 0xff, v7
	v_add_u32_e32 v6, v30, v26
	v_mov_b32_e32 v9, 0
	v_or3_b32 v7, v8, v10, v7
	v_mov_b32_e32 v8, 2
	v_pk_mov_b32 v[10:11], s[14:15], s[14:15] op_sel:[0,1]
	;;#ASMSTART
	global_store_dwordx4 v[10:11], v[6:9] off	
s_waitcnt vmcnt(0)
	;;#ASMEND
	s_movk_i32 s14, 0x3400
	v_add_u32_e64 v6, s14, 0
	ds_write2_b32 v6, v26, v27 offset1:2
	ds_write2_b32 v6, v30, v31 offset0:4 offset1:6
.LBB1890_120:
	s_or_b64 exec, exec, s[12:13]
	s_and_b64 exec, exec, s[0:1]
	s_cbranch_execz .LBB1890_122
; %bb.121:
	v_mov_b32_e32 v6, 0
	ds_write_b64 v6, v[30:31] offset:24
.LBB1890_122:
	s_or_b64 exec, exec, s[10:11]
	v_mov_b32_e32 v6, 0
	s_waitcnt lgkmcnt(0)
	s_barrier
	ds_read_b64 v[10:11], v6 offset:24
	v_cndmask_b32_e64 v25, v92, v25, s[8:9]
	v_cndmask_b32_e64 v1, v1, v24, s[8:9]
	s_movk_i32 s8, 0x3400
	s_waitcnt lgkmcnt(0)
	v_add_u32_e32 v24, v10, v1
	v_add_u32_e64 v1, s8, 0
	s_barrier
	ds_read2_b32 v[6:7], v1 offset1:2
	ds_read2_b32 v[8:9], v1 offset0:4 offset1:6
	v_add_u32_e32 v1, v11, v25
	v_cndmask_b32_e64 v1, v1, v11, s[0:1]
	v_cndmask_b32_e64 v10, v24, v10, s[0:1]
	s_branch .LBB1890_133
.LBB1890_123:
                                        ; implicit-def: $vgpr1
                                        ; implicit-def: $vgpr8
                                        ; implicit-def: $vgpr6
                                        ; implicit-def: $vgpr10_vgpr11
	s_cbranch_execz .LBB1890_133
; %bb.124:
	s_nop 0
	v_mov_b32_dpp v1, v90 row_shr:1 row_mask:0xf bank_mask:0xf
	s_waitcnt lgkmcnt(1)
	v_mov_b32_dpp v6, v91 row_shr:1 row_mask:0xf bank_mask:0xf
	v_add_u32_e32 v1, v1, v90
	v_add_u32_e32 v6, v6, v91
	v_cndmask_b32_e64 v6, v6, v91, s[6:7]
	v_cndmask_b32_e64 v1, v1, v90, s[6:7]
	v_cmp_lt_u32_e32 vcc, 3, v89
	s_waitcnt lgkmcnt(0)
	v_mov_b32_dpp v8, v6 row_shr:2 row_mask:0xf bank_mask:0xf
	v_mov_b32_dpp v7, v1 row_shr:2 row_mask:0xf bank_mask:0xf
	v_add_u32_e32 v7, v1, v7
	v_add_u32_e32 v8, v6, v8
	v_cndmask_b32_e64 v6, v6, v8, s[4:5]
	v_cndmask_b32_e64 v1, v1, v7, s[4:5]
	s_nop 0
	v_mov_b32_dpp v8, v6 row_shr:4 row_mask:0xf bank_mask:0xf
	v_mov_b32_dpp v7, v1 row_shr:4 row_mask:0xf bank_mask:0xf
	v_add_u32_e32 v7, v1, v7
	v_add_u32_e32 v8, v6, v8
	v_cndmask_b32_e32 v6, v6, v8, vcc
	v_cndmask_b32_e32 v1, v1, v7, vcc
	v_cmp_lt_u32_e32 vcc, 7, v89
	v_mov_b32_dpp v8, v6 row_shr:8 row_mask:0xf bank_mask:0xf
	v_mov_b32_dpp v7, v1 row_shr:8 row_mask:0xf bank_mask:0xf
	v_add_u32_e32 v7, v1, v7
	v_add_u32_e32 v8, v6, v8
	v_cndmask_b32_e32 v6, v6, v8, vcc
	v_cndmask_b32_e32 v1, v1, v7, vcc
	v_cmp_eq_u32_e32 vcc, 0, v88
	v_mov_b32_dpp v8, v6 row_bcast:15 row_mask:0xf bank_mask:0xf
	v_mov_b32_dpp v7, v1 row_bcast:15 row_mask:0xf bank_mask:0xf
	v_add_u32_e32 v7, v1, v7
	v_add_u32_e32 v8, v6, v8
	v_cndmask_b32_e32 v6, v8, v6, vcc
	v_cndmask_b32_e32 v1, v7, v1, vcc
	v_cmp_lt_u32_e32 vcc, 31, v85
	v_mov_b32_dpp v8, v6 row_bcast:31 row_mask:0xf bank_mask:0xf
	v_mov_b32_dpp v7, v1 row_bcast:31 row_mask:0xf bank_mask:0xf
	v_add_u32_e32 v8, v6, v8
	v_add_u32_e32 v9, v1, v7
	v_cndmask_b32_e32 v7, v6, v8, vcc
	v_cndmask_b32_e32 v6, v1, v9, vcc
	v_cmp_eq_u32_e32 vcc, v87, v0
	s_and_saveexec_b64 s[4:5], vcc
	s_cbranch_execz .LBB1890_126
; %bb.125:
	v_lshlrev_b32_e32 v1, 3, v86
	ds_write_b64 v1, v[6:7]
.LBB1890_126:
	s_or_b64 exec, exec, s[4:5]
	v_cmp_gt_u32_e32 vcc, 4, v0
	s_waitcnt lgkmcnt(0)
	s_barrier
	s_and_saveexec_b64 s[4:5], vcc
	s_cbranch_execz .LBB1890_128
; %bb.127:
	v_lshlrev_b32_e32 v1, 3, v0
	ds_read_b64 v[8:9], v1
	v_and_b32_e32 v10, 3, v85
	v_cmp_eq_u32_e32 vcc, 0, v10
	s_waitcnt lgkmcnt(0)
	v_mov_b32_dpp v11, v8 row_shr:1 row_mask:0xf bank_mask:0xf
	v_mov_b32_dpp v24, v9 row_shr:1 row_mask:0xf bank_mask:0xf
	v_add_u32_e32 v11, v11, v8
	v_add_u32_e32 v24, v24, v9
	v_cndmask_b32_e32 v9, v24, v9, vcc
	v_cndmask_b32_e32 v8, v11, v8, vcc
	v_cmp_lt_u32_e32 vcc, 1, v10
	v_mov_b32_dpp v24, v9 row_shr:2 row_mask:0xf bank_mask:0xf
	v_mov_b32_dpp v11, v8 row_shr:2 row_mask:0xf bank_mask:0xf
	v_cndmask_b32_e32 v10, 0, v11, vcc
	v_cndmask_b32_e32 v11, 0, v24, vcc
	v_add_u32_e32 v9, v11, v9
	v_add_u32_e32 v8, v10, v8
	ds_write_b64 v1, v[8:9]
.LBB1890_128:
	s_or_b64 exec, exec, s[4:5]
	v_cmp_lt_u32_e32 vcc, 63, v0
	v_mov_b32_e32 v8, 0
	v_mov_b32_e32 v10, 0
	v_mov_b32_e32 v11, 0
	s_waitcnt lgkmcnt(0)
	s_barrier
	s_and_saveexec_b64 s[4:5], vcc
	s_cbranch_execz .LBB1890_130
; %bb.129:
	v_lshl_add_u32 v1, v86, 3, -8
	ds_read_b64 v[10:11], v1
.LBB1890_130:
	s_or_b64 exec, exec, s[4:5]
	s_waitcnt lgkmcnt(0)
	v_add_u32_e32 v9, v11, v7
	v_add_u32_e32 v1, v10, v6
	v_add_u32_e32 v6, -1, v85
	v_and_b32_e32 v7, 64, v85
	v_cmp_lt_i32_e32 vcc, v6, v7
	v_cndmask_b32_e32 v6, v6, v85, vcc
	v_lshlrev_b32_e32 v24, 2, v6
	ds_read_b64 v[6:7], v8 offset:24
	ds_bpermute_b32 v1, v24, v1
	ds_bpermute_b32 v24, v24, v9
	s_waitcnt lgkmcnt(2)
	v_readfirstlane_b32 s6, v7
	s_and_saveexec_b64 s[4:5], s[0:1]
	s_cbranch_execz .LBB1890_132
; %bb.131:
	s_add_u32 s8, s50, 0x400
	s_mov_b32 s10, 0
	s_addc_u32 s9, s51, 0
	s_and_b32 s11, s6, 0xff000000
	s_and_b32 s13, s6, 0xff0000
	s_mov_b32 s12, s10
	s_or_b64 s[12:13], s[12:13], s[10:11]
	s_and_b32 s11, s6, 0xff00
	s_or_b64 s[12:13], s[12:13], s[10:11]
	s_and_b32 s11, s6, 0xff
	s_or_b64 s[10:11], s[12:13], s[10:11]
	v_mov_b32_e32 v7, s11
	v_mov_b32_e32 v8, 2
	v_mov_b32_e32 v9, 0
	v_pk_mov_b32 v[26:27], s[8:9], s[8:9] op_sel:[0,1]
	;;#ASMSTART
	global_store_dwordx4 v[26:27], v[6:9] off	
s_waitcnt vmcnt(0)
	;;#ASMEND
.LBB1890_132:
	s_or_b64 exec, exec, s[4:5]
	v_cmp_eq_u32_e32 vcc, 0, v85
	s_waitcnt lgkmcnt(1)
	v_cndmask_b32_e32 v7, v1, v10, vcc
	s_waitcnt lgkmcnt(0)
	v_cndmask_b32_e32 v1, v24, v11, vcc
	v_mov_b32_e32 v8, 0
	v_cndmask_b32_e64 v1, v1, 0, s[0:1]
	v_cndmask_b32_e64 v10, v7, 0, s[0:1]
	s_barrier
	v_mov_b32_e32 v7, s6
	v_mov_b32_e32 v9, 0
.LBB1890_133:
	v_add_u32_e32 v11, v10, v67
	v_add_u32_e32 v26, v1, v68
	;; [unrolled: 1-line block ×13, first 2 shown]
	s_waitcnt vmcnt(0) lgkmcnt(0)
	v_add_co_u32_e32 v2, vcc, v2, v8
	v_add_u32_e32 v68, v62, v74
	v_add_u32_e32 v64, v67, v64
	v_addc_co_u32_e32 v3, vcc, 0, v3, vcc
	v_add_u32_e32 v69, v68, v82
	v_add_u32_e32 v70, v64, v75
	v_sub_co_u32_e32 v24, vcc, v4, v6
	v_add_u32_e32 v71, v69, v76
	v_add_u32_e32 v65, v70, v65
	v_subbrev_co_u32_e32 v25, vcc, 0, v5, vcc
	v_lshlrev_b32_e32 v76, 1, v6
	v_sub_u32_e32 v1, v1, v9
	v_add_u32_e32 v73, v65, v77
	v_add_co_u32_e32 v24, vcc, v24, v9
	v_add_u32_e32 v77, v76, v7
	v_sub_u32_e32 v10, v10, v8
	v_add_u32_e32 v1, v1, v6
	v_addc_co_u32_e32 v25, vcc, 0, v25, vcc
	v_add_u32_e32 v36, v77, v36
	v_and_b32_e32 v38, 1, v38
	v_add_u32_e32 v77, v10, v1
	v_and_b32_e32 v37, 1, v37
	v_sub_u32_e32 v77, v36, v77
	v_cmp_eq_u32_e32 vcc, 1, v38
	v_cndmask_b32_e32 v1, v77, v1, vcc
	v_cmp_eq_u32_e32 vcc, 1, v37
	v_cndmask_b32_e32 v1, v1, v10, vcc
	v_lshlrev_b32_e32 v1, 2, v1
	ds_write_b32 v1, v22
	v_sub_u32_e32 v1, v11, v8
	v_sub_u32_e32 v11, v26, v9
	v_add_u32_e32 v11, v11, v6
	v_add_u32_e32 v26, v11, v1
	v_and_b32_e32 v22, 1, v40
	v_sub_u32_e32 v26, v36, v26
	v_and_b32_e32 v10, 1, v39
	v_add_u32_e32 v26, 1, v26
	v_cmp_eq_u32_e32 vcc, 1, v22
	v_cndmask_b32_e32 v11, v26, v11, vcc
	v_cmp_eq_u32_e32 vcc, 1, v10
	v_cndmask_b32_e32 v1, v11, v1, vcc
	v_lshlrev_b32_e32 v1, 2, v1
	v_sub_u32_e32 v11, v27, v9
	ds_write_b32 v1, v23
	v_sub_u32_e32 v1, v28, v8
	v_add_u32_e32 v11, v11, v6
	v_add_u32_e32 v23, v11, v1
	v_and_b32_e32 v22, 1, v42
	v_sub_u32_e32 v23, v36, v23
	v_and_b32_e32 v10, 1, v41
	v_add_u32_e32 v23, 2, v23
	v_cmp_eq_u32_e32 vcc, 1, v22
	v_cndmask_b32_e32 v11, v23, v11, vcc
	v_cmp_eq_u32_e32 vcc, 1, v10
	v_cndmask_b32_e32 v1, v11, v1, vcc
	v_lshlrev_b32_e32 v1, 2, v1
	v_sub_u32_e32 v11, v30, v9
	ds_write_b32 v1, v20
	;; [unrolled: 14-line block ×8, first 2 shown]
	v_sub_u32_e32 v1, v70, v8
	v_add_u32_e32 v11, v11, v6
	v_add_u32_e32 v16, v1, v11
	v_and_b32_e32 v14, 1, v55
	v_sub_u32_e32 v16, v36, v16
	v_and_b32_e32 v10, 1, v56
	v_add_u32_e32 v16, 9, v16
	v_cmp_eq_u32_e32 vcc, 1, v14
	v_cndmask_b32_e32 v11, v16, v11, vcc
	v_cmp_eq_u32_e32 vcc, 1, v10
	v_add_u32_e32 v72, v71, v83
	v_cndmask_b32_e32 v1, v11, v1, vcc
	v_lshlrev_b32_e32 v1, 2, v1
	v_sub_u32_e32 v11, v72, v9
	ds_write_b32 v1, v15
	v_sub_u32_e32 v1, v65, v8
	v_add_u32_e32 v11, v11, v6
	v_add_u32_e32 v15, v1, v11
	v_and_b32_e32 v14, 1, v57
	v_sub_u32_e32 v15, v36, v15
	v_and_b32_e32 v10, 1, v58
	v_add_u32_e32 v15, 10, v15
	v_cmp_eq_u32_e32 vcc, 1, v14
	v_cndmask_b32_e32 v11, v15, v11, vcc
	v_cmp_eq_u32_e32 vcc, 1, v10
	v_add_u32_e32 v74, v72, v78
	v_cndmask_b32_e32 v1, v11, v1, vcc
	v_lshlrev_b32_e32 v1, 2, v1
	v_sub_u32_e32 v11, v74, v9
	ds_write_b32 v1, v12
	v_sub_u32_e32 v1, v73, v8
	v_add_u32_e32 v11, v11, v6
	v_add_u32_e32 v14, v1, v11
	v_and_b32_e32 v12, 1, v59
	v_sub_u32_e32 v14, v36, v14
	v_and_b32_e32 v10, 1, v60
	v_add_u32_e32 v14, 11, v14
	v_cmp_eq_u32_e32 vcc, 1, v12
	v_cndmask_b32_e32 v11, v14, v11, vcc
	v_cmp_eq_u32_e32 vcc, 1, v10
	v_cndmask_b32_e32 v1, v11, v1, vcc
	v_add_u32_e32 v75, v74, v84
	v_add_u32_e32 v66, v73, v66
	v_lshlrev_b32_e32 v1, 2, v1
	ds_write_b32 v1, v13
	v_sub_u32_e32 v1, v66, v8
	v_sub_u32_e32 v8, v75, v9
	v_add_u32_e32 v8, v8, v6
	v_add_u32_e32 v10, v1, v8
	v_sub_u32_e32 v10, v36, v10
	v_add_u32_e32 v10, 12, v10
	v_cndmask_b32_e64 v8, v10, v8, s[54:55]
	v_cndmask_b32_e64 v1, v8, v1, s[52:53]
	v_lshlrev_b32_e32 v1, 2, v1
	ds_write_b32 v1, v35
	v_mov_b32_e32 v1, s49
	v_add_co_u32_e32 v8, vcc, s48, v34
	v_addc_co_u32_e32 v10, vcc, 0, v1, vcc
	v_add_co_u32_e32 v1, vcc, v7, v76
	v_addc_co_u32_e64 v11, s[4:5], 0, 0, vcc
	v_add_co_u32_e32 v1, vcc, v1, v24
	v_addc_co_u32_e32 v11, vcc, v11, v25, vcc
	v_add_co_u32_e32 v1, vcc, v1, v2
	v_addc_co_u32_e32 v11, vcc, v11, v3, vcc
	v_sub_co_u32_e32 v1, vcc, v8, v1
	v_subb_co_u32_e32 v8, vcc, v10, v11, vcc
	v_lshlrev_b64 v[10:11], 2, v[24:25]
	v_mov_b32_e32 v12, s47
	v_add_co_u32_e32 v10, vcc, s46, v10
	v_addc_co_u32_e32 v11, vcc, v12, v11, vcc
	v_lshlrev_b64 v[12:13], 2, v[2:3]
	v_mov_b32_e32 v15, s45
	v_add_co_u32_e32 v12, vcc, s44, v12
	s_add_u32 s8, s34, -4
	v_addc_co_u32_e32 v13, vcc, v15, v13, vcc
	s_addc_u32 s9, s35, -1
	v_add_u32_e32 v14, v6, v7
	s_and_b64 vcc, exec, s[2:3]
	s_mov_b64 s[2:3], -1
	s_waitcnt lgkmcnt(0)
	s_barrier
	s_cbranch_vccz .LBB1890_137
; %bb.134:
	s_and_b64 vcc, exec, s[2:3]
	s_cbranch_vccnz .LBB1890_242
.LBB1890_135:
	s_and_b64 s[0:1], s[0:1], s[30:31]
	s_and_saveexec_b64 s[2:3], s[0:1]
	s_cbranch_execnz .LBB1890_360
.LBB1890_136:
	s_endpgm
.LBB1890_137:
	v_cmp_le_u32_e32 vcc, v6, v0
	s_and_saveexec_b64 s[2:3], vcc
	s_xor_b64 s[2:3], exec, s[2:3]
	s_cbranch_execz .LBB1890_143
; %bb.138:
	v_cmp_le_u32_e32 vcc, v14, v0
	s_and_saveexec_b64 s[4:5], vcc
	s_xor_b64 s[4:5], exec, s[4:5]
	s_cbranch_execz .LBB1890_140
; %bb.139:
	v_lshlrev_b32_e32 v15, 2, v0
	v_add_co_u32_e32 v16, vcc, v1, v0
	ds_read_b32 v15, v15
	v_addc_co_u32_e32 v17, vcc, 0, v8, vcc
	v_lshlrev_b64 v[16:17], 2, v[16:17]
	v_mov_b32_e32 v18, s35
	v_sub_co_u32_e32 v16, vcc, s34, v16
	v_subb_co_u32_e32 v17, vcc, v18, v17, vcc
	s_waitcnt lgkmcnt(0)
	global_store_dword v[16:17], v15, off offset:-4
.LBB1890_140:
	s_andn2_saveexec_b64 s[4:5], s[4:5]
	s_cbranch_execz .LBB1890_142
; %bb.141:
	v_lshlrev_b32_e32 v15, 2, v0
	ds_read_b32 v16, v15
	v_readfirstlane_b32 s6, v10
	v_readfirstlane_b32 s7, v11
	s_waitcnt lgkmcnt(0)
	s_nop 3
	global_store_dword v15, v16, s[6:7]
.LBB1890_142:
	s_or_b64 exec, exec, s[4:5]
.LBB1890_143:
	s_andn2_saveexec_b64 s[2:3], s[2:3]
	s_cbranch_execz .LBB1890_145
; %bb.144:
	v_lshlrev_b32_e32 v15, 2, v0
	ds_read_b32 v16, v15
	v_readfirstlane_b32 s4, v12
	v_readfirstlane_b32 s5, v13
	s_waitcnt lgkmcnt(0)
	s_nop 3
	global_store_dword v15, v16, s[4:5]
.LBB1890_145:
	s_or_b64 exec, exec, s[2:3]
	v_or_b32_e32 v15, 0x100, v0
	v_cmp_le_u32_e32 vcc, v6, v15
	s_and_saveexec_b64 s[2:3], vcc
	s_xor_b64 s[2:3], exec, s[2:3]
	s_cbranch_execz .LBB1890_151
; %bb.146:
	v_cmp_le_u32_e32 vcc, v14, v15
	s_and_saveexec_b64 s[4:5], vcc
	s_xor_b64 s[4:5], exec, s[4:5]
	s_cbranch_execz .LBB1890_148
; %bb.147:
	v_lshlrev_b32_e32 v15, 2, v0
	ds_read_b32 v15, v15 offset:1024
	v_add_co_u32_e32 v16, vcc, v1, v0
	v_addc_co_u32_e32 v17, vcc, 0, v8, vcc
	v_lshlrev_b64 v[16:17], 2, v[16:17]
	v_mov_b32_e32 v18, s9
	v_sub_co_u32_e32 v16, vcc, s8, v16
	v_subb_co_u32_e32 v17, vcc, v18, v17, vcc
	s_waitcnt lgkmcnt(0)
	global_store_dword v[16:17], v15, off offset:-1024
.LBB1890_148:
	s_andn2_saveexec_b64 s[4:5], s[4:5]
	s_cbranch_execz .LBB1890_150
; %bb.149:
	v_lshlrev_b32_e32 v15, 2, v0
	ds_read_b32 v16, v15 offset:1024
	v_readfirstlane_b32 s6, v10
	v_readfirstlane_b32 s7, v11
	s_waitcnt lgkmcnt(0)
	s_nop 3
	global_store_dword v15, v16, s[6:7] offset:1024
.LBB1890_150:
	s_or_b64 exec, exec, s[4:5]
.LBB1890_151:
	s_andn2_saveexec_b64 s[2:3], s[2:3]
	s_cbranch_execz .LBB1890_153
; %bb.152:
	v_lshlrev_b32_e32 v15, 2, v0
	ds_read_b32 v16, v15 offset:1024
	v_readfirstlane_b32 s4, v12
	v_readfirstlane_b32 s5, v13
	s_waitcnt lgkmcnt(0)
	s_nop 3
	global_store_dword v15, v16, s[4:5] offset:1024
.LBB1890_153:
	s_or_b64 exec, exec, s[2:3]
	v_or_b32_e32 v15, 0x200, v0
	v_cmp_le_u32_e32 vcc, v6, v15
	s_and_saveexec_b64 s[2:3], vcc
	s_xor_b64 s[2:3], exec, s[2:3]
	s_cbranch_execz .LBB1890_159
; %bb.154:
	v_cmp_le_u32_e32 vcc, v14, v15
	s_and_saveexec_b64 s[4:5], vcc
	s_xor_b64 s[4:5], exec, s[4:5]
	s_cbranch_execz .LBB1890_156
; %bb.155:
	v_lshlrev_b32_e32 v15, 2, v0
	ds_read_b32 v15, v15 offset:2048
	v_add_co_u32_e32 v16, vcc, v1, v0
	v_addc_co_u32_e32 v17, vcc, 0, v8, vcc
	v_lshlrev_b64 v[16:17], 2, v[16:17]
	v_mov_b32_e32 v18, s9
	v_sub_co_u32_e32 v16, vcc, s8, v16
	v_subb_co_u32_e32 v17, vcc, v18, v17, vcc
	s_waitcnt lgkmcnt(0)
	global_store_dword v[16:17], v15, off offset:-2048
.LBB1890_156:
	s_andn2_saveexec_b64 s[4:5], s[4:5]
	s_cbranch_execz .LBB1890_158
; %bb.157:
	v_lshlrev_b32_e32 v15, 2, v0
	ds_read_b32 v16, v15 offset:2048
	v_readfirstlane_b32 s6, v10
	v_readfirstlane_b32 s7, v11
	s_waitcnt lgkmcnt(0)
	s_nop 3
	global_store_dword v15, v16, s[6:7] offset:2048
.LBB1890_158:
	s_or_b64 exec, exec, s[4:5]
.LBB1890_159:
	s_andn2_saveexec_b64 s[2:3], s[2:3]
	s_cbranch_execz .LBB1890_161
; %bb.160:
	v_lshlrev_b32_e32 v15, 2, v0
	ds_read_b32 v16, v15 offset:2048
	v_readfirstlane_b32 s4, v12
	v_readfirstlane_b32 s5, v13
	s_waitcnt lgkmcnt(0)
	s_nop 3
	global_store_dword v15, v16, s[4:5] offset:2048
.LBB1890_161:
	;; [unrolled: 47-line block ×3, first 2 shown]
	s_or_b64 exec, exec, s[2:3]
	v_or_b32_e32 v15, 0x400, v0
	v_cmp_le_u32_e32 vcc, v6, v15
	s_and_saveexec_b64 s[2:3], vcc
	s_xor_b64 s[2:3], exec, s[2:3]
	s_cbranch_execz .LBB1890_175
; %bb.170:
	v_cmp_le_u32_e32 vcc, v14, v15
	s_and_saveexec_b64 s[4:5], vcc
	s_xor_b64 s[4:5], exec, s[4:5]
	s_cbranch_execz .LBB1890_172
; %bb.171:
	v_lshlrev_b32_e32 v15, 2, v0
	ds_read_b32 v15, v15 offset:4096
	v_add_co_u32_e32 v16, vcc, v1, v0
	v_addc_co_u32_e32 v17, vcc, 0, v8, vcc
	v_lshlrev_b64 v[16:17], 2, v[16:17]
	v_mov_b32_e32 v18, s9
	v_sub_co_u32_e32 v16, vcc, s8, v16
	v_subb_co_u32_e32 v17, vcc, v18, v17, vcc
	s_waitcnt lgkmcnt(0)
	global_store_dword v[16:17], v15, off offset:-4096
                                        ; implicit-def: $vgpr15
.LBB1890_172:
	s_andn2_saveexec_b64 s[4:5], s[4:5]
	s_cbranch_execz .LBB1890_174
; %bb.173:
	v_lshlrev_b32_e32 v16, 2, v0
	ds_read_b32 v16, v16 offset:4096
	v_lshlrev_b32_e32 v15, 2, v15
	v_readfirstlane_b32 s6, v10
	v_readfirstlane_b32 s7, v11
	s_waitcnt lgkmcnt(0)
	s_nop 3
	global_store_dword v15, v16, s[6:7]
.LBB1890_174:
	s_or_b64 exec, exec, s[4:5]
                                        ; implicit-def: $vgpr15
.LBB1890_175:
	s_andn2_saveexec_b64 s[2:3], s[2:3]
	s_cbranch_execz .LBB1890_177
; %bb.176:
	v_lshlrev_b32_e32 v16, 2, v0
	ds_read_b32 v16, v16 offset:4096
	v_lshlrev_b32_e32 v15, 2, v15
	v_readfirstlane_b32 s4, v12
	v_readfirstlane_b32 s5, v13
	s_waitcnt lgkmcnt(0)
	s_nop 3
	global_store_dword v15, v16, s[4:5]
.LBB1890_177:
	s_or_b64 exec, exec, s[2:3]
	v_or_b32_e32 v15, 0x500, v0
	v_cmp_le_u32_e32 vcc, v6, v15
	s_and_saveexec_b64 s[2:3], vcc
	s_xor_b64 s[2:3], exec, s[2:3]
	s_cbranch_execz .LBB1890_183
; %bb.178:
	v_cmp_le_u32_e32 vcc, v14, v15
	s_and_saveexec_b64 s[4:5], vcc
	s_xor_b64 s[4:5], exec, s[4:5]
	s_cbranch_execz .LBB1890_180
; %bb.179:
	v_add_co_u32_e32 v16, vcc, v1, v15
	v_lshlrev_b32_e32 v15, 2, v0
	ds_read_b32 v15, v15 offset:5120
	v_addc_co_u32_e32 v17, vcc, 0, v8, vcc
	v_lshlrev_b64 v[16:17], 2, v[16:17]
	v_mov_b32_e32 v18, s9
	v_sub_co_u32_e32 v16, vcc, s8, v16
	v_subb_co_u32_e32 v17, vcc, v18, v17, vcc
	s_waitcnt lgkmcnt(0)
	global_store_dword v[16:17], v15, off
                                        ; implicit-def: $vgpr15
.LBB1890_180:
	s_andn2_saveexec_b64 s[4:5], s[4:5]
	s_cbranch_execz .LBB1890_182
; %bb.181:
	v_lshlrev_b32_e32 v16, 2, v0
	ds_read_b32 v16, v16 offset:5120
	v_lshlrev_b32_e32 v15, 2, v15
	v_readfirstlane_b32 s6, v10
	v_readfirstlane_b32 s7, v11
	s_waitcnt lgkmcnt(0)
	s_nop 3
	global_store_dword v15, v16, s[6:7]
.LBB1890_182:
	s_or_b64 exec, exec, s[4:5]
                                        ; implicit-def: $vgpr15
.LBB1890_183:
	s_andn2_saveexec_b64 s[2:3], s[2:3]
	s_cbranch_execz .LBB1890_185
; %bb.184:
	v_lshlrev_b32_e32 v16, 2, v0
	ds_read_b32 v16, v16 offset:5120
	v_lshlrev_b32_e32 v15, 2, v15
	v_readfirstlane_b32 s4, v12
	v_readfirstlane_b32 s5, v13
	s_waitcnt lgkmcnt(0)
	s_nop 3
	global_store_dword v15, v16, s[4:5]
.LBB1890_185:
	s_or_b64 exec, exec, s[2:3]
	v_or_b32_e32 v15, 0x600, v0
	v_cmp_le_u32_e32 vcc, v6, v15
	s_and_saveexec_b64 s[2:3], vcc
	s_xor_b64 s[2:3], exec, s[2:3]
	s_cbranch_execz .LBB1890_191
; %bb.186:
	v_cmp_le_u32_e32 vcc, v14, v15
	s_and_saveexec_b64 s[4:5], vcc
	s_xor_b64 s[4:5], exec, s[4:5]
	s_cbranch_execz .LBB1890_188
; %bb.187:
	v_add_co_u32_e32 v16, vcc, v1, v15
	v_lshlrev_b32_e32 v15, 2, v0
	ds_read_b32 v15, v15 offset:6144
	v_addc_co_u32_e32 v17, vcc, 0, v8, vcc
	v_lshlrev_b64 v[16:17], 2, v[16:17]
	v_mov_b32_e32 v18, s9
	v_sub_co_u32_e32 v16, vcc, s8, v16
	v_subb_co_u32_e32 v17, vcc, v18, v17, vcc
	s_waitcnt lgkmcnt(0)
	global_store_dword v[16:17], v15, off
                                        ; implicit-def: $vgpr15
.LBB1890_188:
	s_andn2_saveexec_b64 s[4:5], s[4:5]
	s_cbranch_execz .LBB1890_190
; %bb.189:
	v_lshlrev_b32_e32 v16, 2, v0
	ds_read_b32 v16, v16 offset:6144
	v_lshlrev_b32_e32 v15, 2, v15
	v_readfirstlane_b32 s6, v10
	v_readfirstlane_b32 s7, v11
	s_waitcnt lgkmcnt(0)
	s_nop 3
	global_store_dword v15, v16, s[6:7]
.LBB1890_190:
	s_or_b64 exec, exec, s[4:5]
                                        ; implicit-def: $vgpr15
.LBB1890_191:
	;; [unrolled: 51-line block ×8, first 2 shown]
	s_andn2_saveexec_b64 s[2:3], s[2:3]
	s_cbranch_execz .LBB1890_241
; %bb.240:
	v_lshlrev_b32_e32 v16, 2, v0
	ds_read_b32 v16, v16 offset:12288
	v_lshlrev_b32_e32 v15, 2, v15
	v_readfirstlane_b32 s4, v12
	v_readfirstlane_b32 s5, v13
	s_waitcnt lgkmcnt(0)
	s_nop 3
	global_store_dword v15, v16, s[4:5]
.LBB1890_241:
	s_or_b64 exec, exec, s[2:3]
	s_branch .LBB1890_135
.LBB1890_242:
	v_cmp_gt_u32_e32 vcc, s16, v0
	s_and_saveexec_b64 s[2:3], vcc
	s_cbranch_execz .LBB1890_251
; %bb.243:
	v_cmp_le_u32_e32 vcc, v6, v0
	s_and_saveexec_b64 s[4:5], vcc
	s_xor_b64 s[4:5], exec, s[4:5]
	s_cbranch_execz .LBB1890_249
; %bb.244:
	v_cmp_le_u32_e32 vcc, v14, v0
	s_and_saveexec_b64 s[6:7], vcc
	s_xor_b64 s[6:7], exec, s[6:7]
	s_cbranch_execz .LBB1890_246
; %bb.245:
	v_lshlrev_b32_e32 v15, 2, v0
	v_add_co_u32_e32 v16, vcc, v1, v0
	ds_read_b32 v15, v15
	v_addc_co_u32_e32 v17, vcc, 0, v8, vcc
	v_lshlrev_b64 v[16:17], 2, v[16:17]
	v_mov_b32_e32 v18, s35
	v_sub_co_u32_e32 v16, vcc, s34, v16
	v_subb_co_u32_e32 v17, vcc, v18, v17, vcc
	s_waitcnt lgkmcnt(0)
	global_store_dword v[16:17], v15, off offset:-4
.LBB1890_246:
	s_andn2_saveexec_b64 s[6:7], s[6:7]
	s_cbranch_execz .LBB1890_248
; %bb.247:
	v_lshlrev_b32_e32 v15, 2, v0
	ds_read_b32 v16, v15
	v_readfirstlane_b32 s10, v10
	v_readfirstlane_b32 s11, v11
	s_waitcnt lgkmcnt(0)
	s_nop 3
	global_store_dword v15, v16, s[10:11]
.LBB1890_248:
	s_or_b64 exec, exec, s[6:7]
.LBB1890_249:
	s_andn2_saveexec_b64 s[4:5], s[4:5]
	s_cbranch_execz .LBB1890_251
; %bb.250:
	v_lshlrev_b32_e32 v15, 2, v0
	ds_read_b32 v16, v15
	v_readfirstlane_b32 s4, v12
	v_readfirstlane_b32 s5, v13
	s_waitcnt lgkmcnt(0)
	s_nop 3
	global_store_dword v15, v16, s[4:5]
.LBB1890_251:
	s_or_b64 exec, exec, s[2:3]
	v_or_b32_e32 v15, 0x100, v0
	v_cmp_gt_u32_e32 vcc, s16, v15
	s_and_saveexec_b64 s[2:3], vcc
	s_cbranch_execz .LBB1890_260
; %bb.252:
	v_cmp_le_u32_e32 vcc, v6, v15
	s_and_saveexec_b64 s[4:5], vcc
	s_xor_b64 s[4:5], exec, s[4:5]
	s_cbranch_execz .LBB1890_258
; %bb.253:
	v_cmp_le_u32_e32 vcc, v14, v15
	s_and_saveexec_b64 s[6:7], vcc
	s_xor_b64 s[6:7], exec, s[6:7]
	s_cbranch_execz .LBB1890_255
; %bb.254:
	v_lshlrev_b32_e32 v15, 2, v0
	ds_read_b32 v15, v15 offset:1024
	v_add_co_u32_e32 v16, vcc, v1, v0
	v_addc_co_u32_e32 v17, vcc, 0, v8, vcc
	v_lshlrev_b64 v[16:17], 2, v[16:17]
	v_mov_b32_e32 v18, s9
	v_sub_co_u32_e32 v16, vcc, s8, v16
	v_subb_co_u32_e32 v17, vcc, v18, v17, vcc
	s_waitcnt lgkmcnt(0)
	global_store_dword v[16:17], v15, off offset:-1024
.LBB1890_255:
	s_andn2_saveexec_b64 s[6:7], s[6:7]
	s_cbranch_execz .LBB1890_257
; %bb.256:
	v_lshlrev_b32_e32 v15, 2, v0
	ds_read_b32 v16, v15 offset:1024
	v_readfirstlane_b32 s10, v10
	v_readfirstlane_b32 s11, v11
	s_waitcnt lgkmcnt(0)
	s_nop 3
	global_store_dword v15, v16, s[10:11] offset:1024
.LBB1890_257:
	s_or_b64 exec, exec, s[6:7]
.LBB1890_258:
	s_andn2_saveexec_b64 s[4:5], s[4:5]
	s_cbranch_execz .LBB1890_260
; %bb.259:
	v_lshlrev_b32_e32 v15, 2, v0
	ds_read_b32 v16, v15 offset:1024
	v_readfirstlane_b32 s4, v12
	v_readfirstlane_b32 s5, v13
	s_waitcnt lgkmcnt(0)
	s_nop 3
	global_store_dword v15, v16, s[4:5] offset:1024
.LBB1890_260:
	s_or_b64 exec, exec, s[2:3]
	v_or_b32_e32 v15, 0x200, v0
	v_cmp_gt_u32_e32 vcc, s16, v15
	s_and_saveexec_b64 s[2:3], vcc
	s_cbranch_execz .LBB1890_269
; %bb.261:
	v_cmp_le_u32_e32 vcc, v6, v15
	s_and_saveexec_b64 s[4:5], vcc
	s_xor_b64 s[4:5], exec, s[4:5]
	s_cbranch_execz .LBB1890_267
; %bb.262:
	v_cmp_le_u32_e32 vcc, v14, v15
	s_and_saveexec_b64 s[6:7], vcc
	s_xor_b64 s[6:7], exec, s[6:7]
	s_cbranch_execz .LBB1890_264
; %bb.263:
	v_lshlrev_b32_e32 v15, 2, v0
	ds_read_b32 v15, v15 offset:2048
	v_add_co_u32_e32 v16, vcc, v1, v0
	v_addc_co_u32_e32 v17, vcc, 0, v8, vcc
	v_lshlrev_b64 v[16:17], 2, v[16:17]
	v_mov_b32_e32 v18, s9
	v_sub_co_u32_e32 v16, vcc, s8, v16
	v_subb_co_u32_e32 v17, vcc, v18, v17, vcc
	s_waitcnt lgkmcnt(0)
	global_store_dword v[16:17], v15, off offset:-2048
.LBB1890_264:
	s_andn2_saveexec_b64 s[6:7], s[6:7]
	s_cbranch_execz .LBB1890_266
; %bb.265:
	v_lshlrev_b32_e32 v15, 2, v0
	ds_read_b32 v16, v15 offset:2048
	v_readfirstlane_b32 s10, v10
	v_readfirstlane_b32 s11, v11
	s_waitcnt lgkmcnt(0)
	s_nop 3
	global_store_dword v15, v16, s[10:11] offset:2048
.LBB1890_266:
	s_or_b64 exec, exec, s[6:7]
.LBB1890_267:
	s_andn2_saveexec_b64 s[4:5], s[4:5]
	s_cbranch_execz .LBB1890_269
; %bb.268:
	v_lshlrev_b32_e32 v15, 2, v0
	ds_read_b32 v16, v15 offset:2048
	v_readfirstlane_b32 s4, v12
	v_readfirstlane_b32 s5, v13
	s_waitcnt lgkmcnt(0)
	s_nop 3
	global_store_dword v15, v16, s[4:5] offset:2048
.LBB1890_269:
	;; [unrolled: 51-line block ×3, first 2 shown]
	s_or_b64 exec, exec, s[2:3]
	v_or_b32_e32 v15, 0x400, v0
	v_cmp_gt_u32_e32 vcc, s16, v15
	s_and_saveexec_b64 s[2:3], vcc
	s_cbranch_execz .LBB1890_287
; %bb.279:
	v_cmp_le_u32_e32 vcc, v6, v15
	s_and_saveexec_b64 s[4:5], vcc
	s_xor_b64 s[4:5], exec, s[4:5]
	s_cbranch_execz .LBB1890_285
; %bb.280:
	v_cmp_le_u32_e32 vcc, v14, v15
	s_and_saveexec_b64 s[6:7], vcc
	s_xor_b64 s[6:7], exec, s[6:7]
	s_cbranch_execz .LBB1890_282
; %bb.281:
	v_lshlrev_b32_e32 v15, 2, v0
	ds_read_b32 v15, v15 offset:4096
	v_add_co_u32_e32 v16, vcc, v1, v0
	v_addc_co_u32_e32 v17, vcc, 0, v8, vcc
	v_lshlrev_b64 v[16:17], 2, v[16:17]
	v_mov_b32_e32 v18, s9
	v_sub_co_u32_e32 v16, vcc, s8, v16
	v_subb_co_u32_e32 v17, vcc, v18, v17, vcc
	s_waitcnt lgkmcnt(0)
	global_store_dword v[16:17], v15, off offset:-4096
                                        ; implicit-def: $vgpr15
.LBB1890_282:
	s_andn2_saveexec_b64 s[6:7], s[6:7]
	s_cbranch_execz .LBB1890_284
; %bb.283:
	v_lshlrev_b32_e32 v16, 2, v0
	ds_read_b32 v16, v16 offset:4096
	v_lshlrev_b32_e32 v15, 2, v15
	v_readfirstlane_b32 s10, v10
	v_readfirstlane_b32 s11, v11
	s_waitcnt lgkmcnt(0)
	s_nop 3
	global_store_dword v15, v16, s[10:11]
.LBB1890_284:
	s_or_b64 exec, exec, s[6:7]
                                        ; implicit-def: $vgpr15
.LBB1890_285:
	s_andn2_saveexec_b64 s[4:5], s[4:5]
	s_cbranch_execz .LBB1890_287
; %bb.286:
	v_lshlrev_b32_e32 v16, 2, v0
	ds_read_b32 v16, v16 offset:4096
	v_lshlrev_b32_e32 v15, 2, v15
	v_readfirstlane_b32 s4, v12
	v_readfirstlane_b32 s5, v13
	s_waitcnt lgkmcnt(0)
	s_nop 3
	global_store_dword v15, v16, s[4:5]
.LBB1890_287:
	s_or_b64 exec, exec, s[2:3]
	v_or_b32_e32 v15, 0x500, v0
	v_cmp_gt_u32_e32 vcc, s16, v15
	s_and_saveexec_b64 s[2:3], vcc
	s_cbranch_execz .LBB1890_296
; %bb.288:
	v_cmp_le_u32_e32 vcc, v6, v15
	s_and_saveexec_b64 s[4:5], vcc
	s_xor_b64 s[4:5], exec, s[4:5]
	s_cbranch_execz .LBB1890_294
; %bb.289:
	v_cmp_le_u32_e32 vcc, v14, v15
	s_and_saveexec_b64 s[6:7], vcc
	s_xor_b64 s[6:7], exec, s[6:7]
	s_cbranch_execz .LBB1890_291
; %bb.290:
	v_add_co_u32_e32 v16, vcc, v1, v15
	v_lshlrev_b32_e32 v15, 2, v0
	ds_read_b32 v15, v15 offset:5120
	v_addc_co_u32_e32 v17, vcc, 0, v8, vcc
	v_lshlrev_b64 v[16:17], 2, v[16:17]
	v_mov_b32_e32 v18, s9
	v_sub_co_u32_e32 v16, vcc, s8, v16
	v_subb_co_u32_e32 v17, vcc, v18, v17, vcc
	s_waitcnt lgkmcnt(0)
	global_store_dword v[16:17], v15, off
                                        ; implicit-def: $vgpr15
.LBB1890_291:
	s_andn2_saveexec_b64 s[6:7], s[6:7]
	s_cbranch_execz .LBB1890_293
; %bb.292:
	v_lshlrev_b32_e32 v16, 2, v0
	ds_read_b32 v16, v16 offset:5120
	v_lshlrev_b32_e32 v15, 2, v15
	v_readfirstlane_b32 s10, v10
	v_readfirstlane_b32 s11, v11
	s_waitcnt lgkmcnt(0)
	s_nop 3
	global_store_dword v15, v16, s[10:11]
.LBB1890_293:
	s_or_b64 exec, exec, s[6:7]
                                        ; implicit-def: $vgpr15
.LBB1890_294:
	s_andn2_saveexec_b64 s[4:5], s[4:5]
	s_cbranch_execz .LBB1890_296
; %bb.295:
	v_lshlrev_b32_e32 v16, 2, v0
	ds_read_b32 v16, v16 offset:5120
	v_lshlrev_b32_e32 v15, 2, v15
	v_readfirstlane_b32 s4, v12
	v_readfirstlane_b32 s5, v13
	s_waitcnt lgkmcnt(0)
	s_nop 3
	global_store_dword v15, v16, s[4:5]
.LBB1890_296:
	s_or_b64 exec, exec, s[2:3]
	v_or_b32_e32 v15, 0x600, v0
	v_cmp_gt_u32_e32 vcc, s16, v15
	s_and_saveexec_b64 s[2:3], vcc
	s_cbranch_execz .LBB1890_305
; %bb.297:
	v_cmp_le_u32_e32 vcc, v6, v15
	s_and_saveexec_b64 s[4:5], vcc
	s_xor_b64 s[4:5], exec, s[4:5]
	s_cbranch_execz .LBB1890_303
; %bb.298:
	v_cmp_le_u32_e32 vcc, v14, v15
	s_and_saveexec_b64 s[6:7], vcc
	s_xor_b64 s[6:7], exec, s[6:7]
	s_cbranch_execz .LBB1890_300
; %bb.299:
	v_add_co_u32_e32 v16, vcc, v1, v15
	v_lshlrev_b32_e32 v15, 2, v0
	ds_read_b32 v15, v15 offset:6144
	v_addc_co_u32_e32 v17, vcc, 0, v8, vcc
	v_lshlrev_b64 v[16:17], 2, v[16:17]
	v_mov_b32_e32 v18, s9
	v_sub_co_u32_e32 v16, vcc, s8, v16
	v_subb_co_u32_e32 v17, vcc, v18, v17, vcc
	s_waitcnt lgkmcnt(0)
	global_store_dword v[16:17], v15, off
                                        ; implicit-def: $vgpr15
.LBB1890_300:
	s_andn2_saveexec_b64 s[6:7], s[6:7]
	s_cbranch_execz .LBB1890_302
; %bb.301:
	v_lshlrev_b32_e32 v16, 2, v0
	ds_read_b32 v16, v16 offset:6144
	v_lshlrev_b32_e32 v15, 2, v15
	v_readfirstlane_b32 s10, v10
	v_readfirstlane_b32 s11, v11
	s_waitcnt lgkmcnt(0)
	s_nop 3
	global_store_dword v15, v16, s[10:11]
.LBB1890_302:
	s_or_b64 exec, exec, s[6:7]
                                        ; implicit-def: $vgpr15
.LBB1890_303:
	s_andn2_saveexec_b64 s[4:5], s[4:5]
	s_cbranch_execz .LBB1890_305
; %bb.304:
	v_lshlrev_b32_e32 v16, 2, v0
	ds_read_b32 v16, v16 offset:6144
	v_lshlrev_b32_e32 v15, 2, v15
	v_readfirstlane_b32 s4, v12
	v_readfirstlane_b32 s5, v13
	s_waitcnt lgkmcnt(0)
	s_nop 3
	global_store_dword v15, v16, s[4:5]
.LBB1890_305:
	;; [unrolled: 55-line block ×7, first 2 shown]
	s_or_b64 exec, exec, s[2:3]
	v_or_b32_e32 v15, 0xc00, v0
	v_cmp_gt_u32_e32 vcc, s16, v15
	s_and_saveexec_b64 s[2:3], vcc
	s_cbranch_execz .LBB1890_359
; %bb.351:
	v_cmp_le_u32_e32 vcc, v6, v15
	s_and_saveexec_b64 s[4:5], vcc
	s_xor_b64 s[4:5], exec, s[4:5]
	s_cbranch_execz .LBB1890_357
; %bb.352:
	v_cmp_le_u32_e32 vcc, v14, v15
	s_and_saveexec_b64 s[6:7], vcc
	s_xor_b64 s[6:7], exec, s[6:7]
	s_cbranch_execz .LBB1890_354
; %bb.353:
	v_add_co_u32_e32 v10, vcc, v1, v15
	v_lshlrev_b32_e32 v0, 2, v0
	v_addc_co_u32_e32 v11, vcc, 0, v8, vcc
	ds_read_b32 v8, v0 offset:12288
	v_lshlrev_b64 v[0:1], 2, v[10:11]
	v_mov_b32_e32 v10, s9
	v_sub_co_u32_e32 v0, vcc, s8, v0
	v_subb_co_u32_e32 v1, vcc, v10, v1, vcc
	s_waitcnt lgkmcnt(0)
	global_store_dword v[0:1], v8, off
                                        ; implicit-def: $vgpr0
                                        ; implicit-def: $vgpr15
                                        ; implicit-def: $vgpr10_vgpr11
.LBB1890_354:
	s_andn2_saveexec_b64 s[6:7], s[6:7]
	s_cbranch_execz .LBB1890_356
; %bb.355:
	v_lshlrev_b32_e32 v0, 2, v0
	ds_read_b32 v0, v0 offset:12288
	v_lshlrev_b32_e32 v1, 2, v15
	v_readfirstlane_b32 s8, v10
	v_readfirstlane_b32 s9, v11
	s_waitcnt lgkmcnt(0)
	s_nop 3
	global_store_dword v1, v0, s[8:9]
.LBB1890_356:
	s_or_b64 exec, exec, s[6:7]
                                        ; implicit-def: $vgpr0
                                        ; implicit-def: $vgpr15
                                        ; implicit-def: $vgpr12_vgpr13
.LBB1890_357:
	s_andn2_saveexec_b64 s[4:5], s[4:5]
	s_cbranch_execz .LBB1890_359
; %bb.358:
	v_lshlrev_b32_e32 v0, 2, v0
	ds_read_b32 v0, v0 offset:12288
	v_lshlrev_b32_e32 v1, 2, v15
	v_readfirstlane_b32 s4, v12
	v_readfirstlane_b32 s5, v13
	s_waitcnt lgkmcnt(0)
	s_nop 3
	global_store_dword v1, v0, s[4:5]
.LBB1890_359:
	s_or_b64 exec, exec, s[2:3]
	s_and_b64 s[0:1], s[0:1], s[30:31]
	s_and_saveexec_b64 s[2:3], s[0:1]
	s_cbranch_execz .LBB1890_136
.LBB1890_360:
	v_add_co_u32_e32 v0, vcc, v2, v6
	v_addc_co_u32_e32 v1, vcc, 0, v3, vcc
	v_add_co_u32_e32 v2, vcc, v4, v7
	v_addc_co_u32_e32 v3, vcc, 0, v5, vcc
	v_add_co_u32_e32 v2, vcc, v2, v9
	v_mov_b32_e32 v8, 0
	v_addc_co_u32_e32 v3, vcc, 0, v3, vcc
	global_store_dwordx4 v8, v[0:3], s[28:29]
	s_endpgm
	.section	.rodata,"a",@progbits
	.p2align	6, 0x0
	.amdhsa_kernel _ZN7rocprim17ROCPRIM_400000_NS6detail17trampoline_kernelINS0_13select_configILj256ELj13ELNS0_17block_load_methodE3ELS4_3ELS4_3ELNS0_20block_scan_algorithmE0ELj4294967295EEENS1_25partition_config_selectorILNS1_17partition_subalgoE4EjNS0_10empty_typeEbEEZZNS1_14partition_implILS8_4ELb0ES6_15HIP_vector_typeIjLj2EENS0_17counting_iteratorIjlEEPS9_SG_NS0_5tupleIJPjSI_NS0_16reverse_iteratorISI_EEEEENSH_IJSG_SG_SG_EEES9_SI_JZNS1_25segmented_radix_sort_implINS0_14default_configELb1EPK12hip_bfloat16PSP_PKlPlN2at6native12_GLOBAL__N_18offset_tEEE10hipError_tPvRmT1_PNSt15iterator_traitsIS13_E10value_typeET2_T3_PNS14_IS19_E10value_typeET4_jRbjT5_S1F_jjP12ihipStream_tbEUljE_ZNSN_ISO_Lb1ESR_SS_SU_SV_SZ_EES10_S11_S12_S13_S17_S18_S19_S1C_S1D_jS1E_jS1F_S1F_jjS1H_bEUljE0_EEES10_S11_S12_S19_S1D_S1F_T6_T7_T9_mT8_S1H_bDpT10_ENKUlT_T0_E_clISt17integral_constantIbLb1EES1V_EEDaS1Q_S1R_EUlS1Q_E_NS1_11comp_targetILNS1_3genE4ELNS1_11target_archE910ELNS1_3gpuE8ELNS1_3repE0EEENS1_30default_config_static_selectorELNS0_4arch9wavefront6targetE1EEEvS13_
		.amdhsa_group_segment_fixed_size 13340
		.amdhsa_private_segment_fixed_size 0
		.amdhsa_kernarg_size 184
		.amdhsa_user_sgpr_count 6
		.amdhsa_user_sgpr_private_segment_buffer 1
		.amdhsa_user_sgpr_dispatch_ptr 0
		.amdhsa_user_sgpr_queue_ptr 0
		.amdhsa_user_sgpr_kernarg_segment_ptr 1
		.amdhsa_user_sgpr_dispatch_id 0
		.amdhsa_user_sgpr_flat_scratch_init 0
		.amdhsa_user_sgpr_kernarg_preload_length 0
		.amdhsa_user_sgpr_kernarg_preload_offset 0
		.amdhsa_user_sgpr_private_segment_size 0
		.amdhsa_uses_dynamic_stack 0
		.amdhsa_system_sgpr_private_segment_wavefront_offset 0
		.amdhsa_system_sgpr_workgroup_id_x 1
		.amdhsa_system_sgpr_workgroup_id_y 0
		.amdhsa_system_sgpr_workgroup_id_z 0
		.amdhsa_system_sgpr_workgroup_info 0
		.amdhsa_system_vgpr_workitem_id 0
		.amdhsa_next_free_vgpr 107
		.amdhsa_next_free_sgpr 87
		.amdhsa_accum_offset 108
		.amdhsa_reserve_vcc 1
		.amdhsa_reserve_flat_scratch 0
		.amdhsa_float_round_mode_32 0
		.amdhsa_float_round_mode_16_64 0
		.amdhsa_float_denorm_mode_32 3
		.amdhsa_float_denorm_mode_16_64 3
		.amdhsa_dx10_clamp 1
		.amdhsa_ieee_mode 1
		.amdhsa_fp16_overflow 0
		.amdhsa_tg_split 0
		.amdhsa_exception_fp_ieee_invalid_op 0
		.amdhsa_exception_fp_denorm_src 0
		.amdhsa_exception_fp_ieee_div_zero 0
		.amdhsa_exception_fp_ieee_overflow 0
		.amdhsa_exception_fp_ieee_underflow 0
		.amdhsa_exception_fp_ieee_inexact 0
		.amdhsa_exception_int_div_zero 0
	.end_amdhsa_kernel
	.section	.text._ZN7rocprim17ROCPRIM_400000_NS6detail17trampoline_kernelINS0_13select_configILj256ELj13ELNS0_17block_load_methodE3ELS4_3ELS4_3ELNS0_20block_scan_algorithmE0ELj4294967295EEENS1_25partition_config_selectorILNS1_17partition_subalgoE4EjNS0_10empty_typeEbEEZZNS1_14partition_implILS8_4ELb0ES6_15HIP_vector_typeIjLj2EENS0_17counting_iteratorIjlEEPS9_SG_NS0_5tupleIJPjSI_NS0_16reverse_iteratorISI_EEEEENSH_IJSG_SG_SG_EEES9_SI_JZNS1_25segmented_radix_sort_implINS0_14default_configELb1EPK12hip_bfloat16PSP_PKlPlN2at6native12_GLOBAL__N_18offset_tEEE10hipError_tPvRmT1_PNSt15iterator_traitsIS13_E10value_typeET2_T3_PNS14_IS19_E10value_typeET4_jRbjT5_S1F_jjP12ihipStream_tbEUljE_ZNSN_ISO_Lb1ESR_SS_SU_SV_SZ_EES10_S11_S12_S13_S17_S18_S19_S1C_S1D_jS1E_jS1F_S1F_jjS1H_bEUljE0_EEES10_S11_S12_S19_S1D_S1F_T6_T7_T9_mT8_S1H_bDpT10_ENKUlT_T0_E_clISt17integral_constantIbLb1EES1V_EEDaS1Q_S1R_EUlS1Q_E_NS1_11comp_targetILNS1_3genE4ELNS1_11target_archE910ELNS1_3gpuE8ELNS1_3repE0EEENS1_30default_config_static_selectorELNS0_4arch9wavefront6targetE1EEEvS13_,"axG",@progbits,_ZN7rocprim17ROCPRIM_400000_NS6detail17trampoline_kernelINS0_13select_configILj256ELj13ELNS0_17block_load_methodE3ELS4_3ELS4_3ELNS0_20block_scan_algorithmE0ELj4294967295EEENS1_25partition_config_selectorILNS1_17partition_subalgoE4EjNS0_10empty_typeEbEEZZNS1_14partition_implILS8_4ELb0ES6_15HIP_vector_typeIjLj2EENS0_17counting_iteratorIjlEEPS9_SG_NS0_5tupleIJPjSI_NS0_16reverse_iteratorISI_EEEEENSH_IJSG_SG_SG_EEES9_SI_JZNS1_25segmented_radix_sort_implINS0_14default_configELb1EPK12hip_bfloat16PSP_PKlPlN2at6native12_GLOBAL__N_18offset_tEEE10hipError_tPvRmT1_PNSt15iterator_traitsIS13_E10value_typeET2_T3_PNS14_IS19_E10value_typeET4_jRbjT5_S1F_jjP12ihipStream_tbEUljE_ZNSN_ISO_Lb1ESR_SS_SU_SV_SZ_EES10_S11_S12_S13_S17_S18_S19_S1C_S1D_jS1E_jS1F_S1F_jjS1H_bEUljE0_EEES10_S11_S12_S19_S1D_S1F_T6_T7_T9_mT8_S1H_bDpT10_ENKUlT_T0_E_clISt17integral_constantIbLb1EES1V_EEDaS1Q_S1R_EUlS1Q_E_NS1_11comp_targetILNS1_3genE4ELNS1_11target_archE910ELNS1_3gpuE8ELNS1_3repE0EEENS1_30default_config_static_selectorELNS0_4arch9wavefront6targetE1EEEvS13_,comdat
.Lfunc_end1890:
	.size	_ZN7rocprim17ROCPRIM_400000_NS6detail17trampoline_kernelINS0_13select_configILj256ELj13ELNS0_17block_load_methodE3ELS4_3ELS4_3ELNS0_20block_scan_algorithmE0ELj4294967295EEENS1_25partition_config_selectorILNS1_17partition_subalgoE4EjNS0_10empty_typeEbEEZZNS1_14partition_implILS8_4ELb0ES6_15HIP_vector_typeIjLj2EENS0_17counting_iteratorIjlEEPS9_SG_NS0_5tupleIJPjSI_NS0_16reverse_iteratorISI_EEEEENSH_IJSG_SG_SG_EEES9_SI_JZNS1_25segmented_radix_sort_implINS0_14default_configELb1EPK12hip_bfloat16PSP_PKlPlN2at6native12_GLOBAL__N_18offset_tEEE10hipError_tPvRmT1_PNSt15iterator_traitsIS13_E10value_typeET2_T3_PNS14_IS19_E10value_typeET4_jRbjT5_S1F_jjP12ihipStream_tbEUljE_ZNSN_ISO_Lb1ESR_SS_SU_SV_SZ_EES10_S11_S12_S13_S17_S18_S19_S1C_S1D_jS1E_jS1F_S1F_jjS1H_bEUljE0_EEES10_S11_S12_S19_S1D_S1F_T6_T7_T9_mT8_S1H_bDpT10_ENKUlT_T0_E_clISt17integral_constantIbLb1EES1V_EEDaS1Q_S1R_EUlS1Q_E_NS1_11comp_targetILNS1_3genE4ELNS1_11target_archE910ELNS1_3gpuE8ELNS1_3repE0EEENS1_30default_config_static_selectorELNS0_4arch9wavefront6targetE1EEEvS13_, .Lfunc_end1890-_ZN7rocprim17ROCPRIM_400000_NS6detail17trampoline_kernelINS0_13select_configILj256ELj13ELNS0_17block_load_methodE3ELS4_3ELS4_3ELNS0_20block_scan_algorithmE0ELj4294967295EEENS1_25partition_config_selectorILNS1_17partition_subalgoE4EjNS0_10empty_typeEbEEZZNS1_14partition_implILS8_4ELb0ES6_15HIP_vector_typeIjLj2EENS0_17counting_iteratorIjlEEPS9_SG_NS0_5tupleIJPjSI_NS0_16reverse_iteratorISI_EEEEENSH_IJSG_SG_SG_EEES9_SI_JZNS1_25segmented_radix_sort_implINS0_14default_configELb1EPK12hip_bfloat16PSP_PKlPlN2at6native12_GLOBAL__N_18offset_tEEE10hipError_tPvRmT1_PNSt15iterator_traitsIS13_E10value_typeET2_T3_PNS14_IS19_E10value_typeET4_jRbjT5_S1F_jjP12ihipStream_tbEUljE_ZNSN_ISO_Lb1ESR_SS_SU_SV_SZ_EES10_S11_S12_S13_S17_S18_S19_S1C_S1D_jS1E_jS1F_S1F_jjS1H_bEUljE0_EEES10_S11_S12_S19_S1D_S1F_T6_T7_T9_mT8_S1H_bDpT10_ENKUlT_T0_E_clISt17integral_constantIbLb1EES1V_EEDaS1Q_S1R_EUlS1Q_E_NS1_11comp_targetILNS1_3genE4ELNS1_11target_archE910ELNS1_3gpuE8ELNS1_3repE0EEENS1_30default_config_static_selectorELNS0_4arch9wavefront6targetE1EEEvS13_
                                        ; -- End function
	.section	.AMDGPU.csdata,"",@progbits
; Kernel info:
; codeLenInByte = 13512
; NumSgprs: 91
; NumVgprs: 107
; NumAgprs: 0
; TotalNumVgprs: 107
; ScratchSize: 0
; MemoryBound: 0
; FloatMode: 240
; IeeeMode: 1
; LDSByteSize: 13340 bytes/workgroup (compile time only)
; SGPRBlocks: 11
; VGPRBlocks: 13
; NumSGPRsForWavesPerEU: 91
; NumVGPRsForWavesPerEU: 107
; AccumOffset: 108
; Occupancy: 4
; WaveLimiterHint : 1
; COMPUTE_PGM_RSRC2:SCRATCH_EN: 0
; COMPUTE_PGM_RSRC2:USER_SGPR: 6
; COMPUTE_PGM_RSRC2:TRAP_HANDLER: 0
; COMPUTE_PGM_RSRC2:TGID_X_EN: 1
; COMPUTE_PGM_RSRC2:TGID_Y_EN: 0
; COMPUTE_PGM_RSRC2:TGID_Z_EN: 0
; COMPUTE_PGM_RSRC2:TIDIG_COMP_CNT: 0
; COMPUTE_PGM_RSRC3_GFX90A:ACCUM_OFFSET: 26
; COMPUTE_PGM_RSRC3_GFX90A:TG_SPLIT: 0
	.section	.text._ZN7rocprim17ROCPRIM_400000_NS6detail17trampoline_kernelINS0_13select_configILj256ELj13ELNS0_17block_load_methodE3ELS4_3ELS4_3ELNS0_20block_scan_algorithmE0ELj4294967295EEENS1_25partition_config_selectorILNS1_17partition_subalgoE4EjNS0_10empty_typeEbEEZZNS1_14partition_implILS8_4ELb0ES6_15HIP_vector_typeIjLj2EENS0_17counting_iteratorIjlEEPS9_SG_NS0_5tupleIJPjSI_NS0_16reverse_iteratorISI_EEEEENSH_IJSG_SG_SG_EEES9_SI_JZNS1_25segmented_radix_sort_implINS0_14default_configELb1EPK12hip_bfloat16PSP_PKlPlN2at6native12_GLOBAL__N_18offset_tEEE10hipError_tPvRmT1_PNSt15iterator_traitsIS13_E10value_typeET2_T3_PNS14_IS19_E10value_typeET4_jRbjT5_S1F_jjP12ihipStream_tbEUljE_ZNSN_ISO_Lb1ESR_SS_SU_SV_SZ_EES10_S11_S12_S13_S17_S18_S19_S1C_S1D_jS1E_jS1F_S1F_jjS1H_bEUljE0_EEES10_S11_S12_S19_S1D_S1F_T6_T7_T9_mT8_S1H_bDpT10_ENKUlT_T0_E_clISt17integral_constantIbLb1EES1V_EEDaS1Q_S1R_EUlS1Q_E_NS1_11comp_targetILNS1_3genE3ELNS1_11target_archE908ELNS1_3gpuE7ELNS1_3repE0EEENS1_30default_config_static_selectorELNS0_4arch9wavefront6targetE1EEEvS13_,"axG",@progbits,_ZN7rocprim17ROCPRIM_400000_NS6detail17trampoline_kernelINS0_13select_configILj256ELj13ELNS0_17block_load_methodE3ELS4_3ELS4_3ELNS0_20block_scan_algorithmE0ELj4294967295EEENS1_25partition_config_selectorILNS1_17partition_subalgoE4EjNS0_10empty_typeEbEEZZNS1_14partition_implILS8_4ELb0ES6_15HIP_vector_typeIjLj2EENS0_17counting_iteratorIjlEEPS9_SG_NS0_5tupleIJPjSI_NS0_16reverse_iteratorISI_EEEEENSH_IJSG_SG_SG_EEES9_SI_JZNS1_25segmented_radix_sort_implINS0_14default_configELb1EPK12hip_bfloat16PSP_PKlPlN2at6native12_GLOBAL__N_18offset_tEEE10hipError_tPvRmT1_PNSt15iterator_traitsIS13_E10value_typeET2_T3_PNS14_IS19_E10value_typeET4_jRbjT5_S1F_jjP12ihipStream_tbEUljE_ZNSN_ISO_Lb1ESR_SS_SU_SV_SZ_EES10_S11_S12_S13_S17_S18_S19_S1C_S1D_jS1E_jS1F_S1F_jjS1H_bEUljE0_EEES10_S11_S12_S19_S1D_S1F_T6_T7_T9_mT8_S1H_bDpT10_ENKUlT_T0_E_clISt17integral_constantIbLb1EES1V_EEDaS1Q_S1R_EUlS1Q_E_NS1_11comp_targetILNS1_3genE3ELNS1_11target_archE908ELNS1_3gpuE7ELNS1_3repE0EEENS1_30default_config_static_selectorELNS0_4arch9wavefront6targetE1EEEvS13_,comdat
	.globl	_ZN7rocprim17ROCPRIM_400000_NS6detail17trampoline_kernelINS0_13select_configILj256ELj13ELNS0_17block_load_methodE3ELS4_3ELS4_3ELNS0_20block_scan_algorithmE0ELj4294967295EEENS1_25partition_config_selectorILNS1_17partition_subalgoE4EjNS0_10empty_typeEbEEZZNS1_14partition_implILS8_4ELb0ES6_15HIP_vector_typeIjLj2EENS0_17counting_iteratorIjlEEPS9_SG_NS0_5tupleIJPjSI_NS0_16reverse_iteratorISI_EEEEENSH_IJSG_SG_SG_EEES9_SI_JZNS1_25segmented_radix_sort_implINS0_14default_configELb1EPK12hip_bfloat16PSP_PKlPlN2at6native12_GLOBAL__N_18offset_tEEE10hipError_tPvRmT1_PNSt15iterator_traitsIS13_E10value_typeET2_T3_PNS14_IS19_E10value_typeET4_jRbjT5_S1F_jjP12ihipStream_tbEUljE_ZNSN_ISO_Lb1ESR_SS_SU_SV_SZ_EES10_S11_S12_S13_S17_S18_S19_S1C_S1D_jS1E_jS1F_S1F_jjS1H_bEUljE0_EEES10_S11_S12_S19_S1D_S1F_T6_T7_T9_mT8_S1H_bDpT10_ENKUlT_T0_E_clISt17integral_constantIbLb1EES1V_EEDaS1Q_S1R_EUlS1Q_E_NS1_11comp_targetILNS1_3genE3ELNS1_11target_archE908ELNS1_3gpuE7ELNS1_3repE0EEENS1_30default_config_static_selectorELNS0_4arch9wavefront6targetE1EEEvS13_ ; -- Begin function _ZN7rocprim17ROCPRIM_400000_NS6detail17trampoline_kernelINS0_13select_configILj256ELj13ELNS0_17block_load_methodE3ELS4_3ELS4_3ELNS0_20block_scan_algorithmE0ELj4294967295EEENS1_25partition_config_selectorILNS1_17partition_subalgoE4EjNS0_10empty_typeEbEEZZNS1_14partition_implILS8_4ELb0ES6_15HIP_vector_typeIjLj2EENS0_17counting_iteratorIjlEEPS9_SG_NS0_5tupleIJPjSI_NS0_16reverse_iteratorISI_EEEEENSH_IJSG_SG_SG_EEES9_SI_JZNS1_25segmented_radix_sort_implINS0_14default_configELb1EPK12hip_bfloat16PSP_PKlPlN2at6native12_GLOBAL__N_18offset_tEEE10hipError_tPvRmT1_PNSt15iterator_traitsIS13_E10value_typeET2_T3_PNS14_IS19_E10value_typeET4_jRbjT5_S1F_jjP12ihipStream_tbEUljE_ZNSN_ISO_Lb1ESR_SS_SU_SV_SZ_EES10_S11_S12_S13_S17_S18_S19_S1C_S1D_jS1E_jS1F_S1F_jjS1H_bEUljE0_EEES10_S11_S12_S19_S1D_S1F_T6_T7_T9_mT8_S1H_bDpT10_ENKUlT_T0_E_clISt17integral_constantIbLb1EES1V_EEDaS1Q_S1R_EUlS1Q_E_NS1_11comp_targetILNS1_3genE3ELNS1_11target_archE908ELNS1_3gpuE7ELNS1_3repE0EEENS1_30default_config_static_selectorELNS0_4arch9wavefront6targetE1EEEvS13_
	.p2align	8
	.type	_ZN7rocprim17ROCPRIM_400000_NS6detail17trampoline_kernelINS0_13select_configILj256ELj13ELNS0_17block_load_methodE3ELS4_3ELS4_3ELNS0_20block_scan_algorithmE0ELj4294967295EEENS1_25partition_config_selectorILNS1_17partition_subalgoE4EjNS0_10empty_typeEbEEZZNS1_14partition_implILS8_4ELb0ES6_15HIP_vector_typeIjLj2EENS0_17counting_iteratorIjlEEPS9_SG_NS0_5tupleIJPjSI_NS0_16reverse_iteratorISI_EEEEENSH_IJSG_SG_SG_EEES9_SI_JZNS1_25segmented_radix_sort_implINS0_14default_configELb1EPK12hip_bfloat16PSP_PKlPlN2at6native12_GLOBAL__N_18offset_tEEE10hipError_tPvRmT1_PNSt15iterator_traitsIS13_E10value_typeET2_T3_PNS14_IS19_E10value_typeET4_jRbjT5_S1F_jjP12ihipStream_tbEUljE_ZNSN_ISO_Lb1ESR_SS_SU_SV_SZ_EES10_S11_S12_S13_S17_S18_S19_S1C_S1D_jS1E_jS1F_S1F_jjS1H_bEUljE0_EEES10_S11_S12_S19_S1D_S1F_T6_T7_T9_mT8_S1H_bDpT10_ENKUlT_T0_E_clISt17integral_constantIbLb1EES1V_EEDaS1Q_S1R_EUlS1Q_E_NS1_11comp_targetILNS1_3genE3ELNS1_11target_archE908ELNS1_3gpuE7ELNS1_3repE0EEENS1_30default_config_static_selectorELNS0_4arch9wavefront6targetE1EEEvS13_,@function
_ZN7rocprim17ROCPRIM_400000_NS6detail17trampoline_kernelINS0_13select_configILj256ELj13ELNS0_17block_load_methodE3ELS4_3ELS4_3ELNS0_20block_scan_algorithmE0ELj4294967295EEENS1_25partition_config_selectorILNS1_17partition_subalgoE4EjNS0_10empty_typeEbEEZZNS1_14partition_implILS8_4ELb0ES6_15HIP_vector_typeIjLj2EENS0_17counting_iteratorIjlEEPS9_SG_NS0_5tupleIJPjSI_NS0_16reverse_iteratorISI_EEEEENSH_IJSG_SG_SG_EEES9_SI_JZNS1_25segmented_radix_sort_implINS0_14default_configELb1EPK12hip_bfloat16PSP_PKlPlN2at6native12_GLOBAL__N_18offset_tEEE10hipError_tPvRmT1_PNSt15iterator_traitsIS13_E10value_typeET2_T3_PNS14_IS19_E10value_typeET4_jRbjT5_S1F_jjP12ihipStream_tbEUljE_ZNSN_ISO_Lb1ESR_SS_SU_SV_SZ_EES10_S11_S12_S13_S17_S18_S19_S1C_S1D_jS1E_jS1F_S1F_jjS1H_bEUljE0_EEES10_S11_S12_S19_S1D_S1F_T6_T7_T9_mT8_S1H_bDpT10_ENKUlT_T0_E_clISt17integral_constantIbLb1EES1V_EEDaS1Q_S1R_EUlS1Q_E_NS1_11comp_targetILNS1_3genE3ELNS1_11target_archE908ELNS1_3gpuE7ELNS1_3repE0EEENS1_30default_config_static_selectorELNS0_4arch9wavefront6targetE1EEEvS13_: ; @_ZN7rocprim17ROCPRIM_400000_NS6detail17trampoline_kernelINS0_13select_configILj256ELj13ELNS0_17block_load_methodE3ELS4_3ELS4_3ELNS0_20block_scan_algorithmE0ELj4294967295EEENS1_25partition_config_selectorILNS1_17partition_subalgoE4EjNS0_10empty_typeEbEEZZNS1_14partition_implILS8_4ELb0ES6_15HIP_vector_typeIjLj2EENS0_17counting_iteratorIjlEEPS9_SG_NS0_5tupleIJPjSI_NS0_16reverse_iteratorISI_EEEEENSH_IJSG_SG_SG_EEES9_SI_JZNS1_25segmented_radix_sort_implINS0_14default_configELb1EPK12hip_bfloat16PSP_PKlPlN2at6native12_GLOBAL__N_18offset_tEEE10hipError_tPvRmT1_PNSt15iterator_traitsIS13_E10value_typeET2_T3_PNS14_IS19_E10value_typeET4_jRbjT5_S1F_jjP12ihipStream_tbEUljE_ZNSN_ISO_Lb1ESR_SS_SU_SV_SZ_EES10_S11_S12_S13_S17_S18_S19_S1C_S1D_jS1E_jS1F_S1F_jjS1H_bEUljE0_EEES10_S11_S12_S19_S1D_S1F_T6_T7_T9_mT8_S1H_bDpT10_ENKUlT_T0_E_clISt17integral_constantIbLb1EES1V_EEDaS1Q_S1R_EUlS1Q_E_NS1_11comp_targetILNS1_3genE3ELNS1_11target_archE908ELNS1_3gpuE7ELNS1_3repE0EEENS1_30default_config_static_selectorELNS0_4arch9wavefront6targetE1EEEvS13_
; %bb.0:
	.section	.rodata,"a",@progbits
	.p2align	6, 0x0
	.amdhsa_kernel _ZN7rocprim17ROCPRIM_400000_NS6detail17trampoline_kernelINS0_13select_configILj256ELj13ELNS0_17block_load_methodE3ELS4_3ELS4_3ELNS0_20block_scan_algorithmE0ELj4294967295EEENS1_25partition_config_selectorILNS1_17partition_subalgoE4EjNS0_10empty_typeEbEEZZNS1_14partition_implILS8_4ELb0ES6_15HIP_vector_typeIjLj2EENS0_17counting_iteratorIjlEEPS9_SG_NS0_5tupleIJPjSI_NS0_16reverse_iteratorISI_EEEEENSH_IJSG_SG_SG_EEES9_SI_JZNS1_25segmented_radix_sort_implINS0_14default_configELb1EPK12hip_bfloat16PSP_PKlPlN2at6native12_GLOBAL__N_18offset_tEEE10hipError_tPvRmT1_PNSt15iterator_traitsIS13_E10value_typeET2_T3_PNS14_IS19_E10value_typeET4_jRbjT5_S1F_jjP12ihipStream_tbEUljE_ZNSN_ISO_Lb1ESR_SS_SU_SV_SZ_EES10_S11_S12_S13_S17_S18_S19_S1C_S1D_jS1E_jS1F_S1F_jjS1H_bEUljE0_EEES10_S11_S12_S19_S1D_S1F_T6_T7_T9_mT8_S1H_bDpT10_ENKUlT_T0_E_clISt17integral_constantIbLb1EES1V_EEDaS1Q_S1R_EUlS1Q_E_NS1_11comp_targetILNS1_3genE3ELNS1_11target_archE908ELNS1_3gpuE7ELNS1_3repE0EEENS1_30default_config_static_selectorELNS0_4arch9wavefront6targetE1EEEvS13_
		.amdhsa_group_segment_fixed_size 0
		.amdhsa_private_segment_fixed_size 0
		.amdhsa_kernarg_size 184
		.amdhsa_user_sgpr_count 6
		.amdhsa_user_sgpr_private_segment_buffer 1
		.amdhsa_user_sgpr_dispatch_ptr 0
		.amdhsa_user_sgpr_queue_ptr 0
		.amdhsa_user_sgpr_kernarg_segment_ptr 1
		.amdhsa_user_sgpr_dispatch_id 0
		.amdhsa_user_sgpr_flat_scratch_init 0
		.amdhsa_user_sgpr_kernarg_preload_length 0
		.amdhsa_user_sgpr_kernarg_preload_offset 0
		.amdhsa_user_sgpr_private_segment_size 0
		.amdhsa_uses_dynamic_stack 0
		.amdhsa_system_sgpr_private_segment_wavefront_offset 0
		.amdhsa_system_sgpr_workgroup_id_x 1
		.amdhsa_system_sgpr_workgroup_id_y 0
		.amdhsa_system_sgpr_workgroup_id_z 0
		.amdhsa_system_sgpr_workgroup_info 0
		.amdhsa_system_vgpr_workitem_id 0
		.amdhsa_next_free_vgpr 1
		.amdhsa_next_free_sgpr 0
		.amdhsa_accum_offset 4
		.amdhsa_reserve_vcc 0
		.amdhsa_reserve_flat_scratch 0
		.amdhsa_float_round_mode_32 0
		.amdhsa_float_round_mode_16_64 0
		.amdhsa_float_denorm_mode_32 3
		.amdhsa_float_denorm_mode_16_64 3
		.amdhsa_dx10_clamp 1
		.amdhsa_ieee_mode 1
		.amdhsa_fp16_overflow 0
		.amdhsa_tg_split 0
		.amdhsa_exception_fp_ieee_invalid_op 0
		.amdhsa_exception_fp_denorm_src 0
		.amdhsa_exception_fp_ieee_div_zero 0
		.amdhsa_exception_fp_ieee_overflow 0
		.amdhsa_exception_fp_ieee_underflow 0
		.amdhsa_exception_fp_ieee_inexact 0
		.amdhsa_exception_int_div_zero 0
	.end_amdhsa_kernel
	.section	.text._ZN7rocprim17ROCPRIM_400000_NS6detail17trampoline_kernelINS0_13select_configILj256ELj13ELNS0_17block_load_methodE3ELS4_3ELS4_3ELNS0_20block_scan_algorithmE0ELj4294967295EEENS1_25partition_config_selectorILNS1_17partition_subalgoE4EjNS0_10empty_typeEbEEZZNS1_14partition_implILS8_4ELb0ES6_15HIP_vector_typeIjLj2EENS0_17counting_iteratorIjlEEPS9_SG_NS0_5tupleIJPjSI_NS0_16reverse_iteratorISI_EEEEENSH_IJSG_SG_SG_EEES9_SI_JZNS1_25segmented_radix_sort_implINS0_14default_configELb1EPK12hip_bfloat16PSP_PKlPlN2at6native12_GLOBAL__N_18offset_tEEE10hipError_tPvRmT1_PNSt15iterator_traitsIS13_E10value_typeET2_T3_PNS14_IS19_E10value_typeET4_jRbjT5_S1F_jjP12ihipStream_tbEUljE_ZNSN_ISO_Lb1ESR_SS_SU_SV_SZ_EES10_S11_S12_S13_S17_S18_S19_S1C_S1D_jS1E_jS1F_S1F_jjS1H_bEUljE0_EEES10_S11_S12_S19_S1D_S1F_T6_T7_T9_mT8_S1H_bDpT10_ENKUlT_T0_E_clISt17integral_constantIbLb1EES1V_EEDaS1Q_S1R_EUlS1Q_E_NS1_11comp_targetILNS1_3genE3ELNS1_11target_archE908ELNS1_3gpuE7ELNS1_3repE0EEENS1_30default_config_static_selectorELNS0_4arch9wavefront6targetE1EEEvS13_,"axG",@progbits,_ZN7rocprim17ROCPRIM_400000_NS6detail17trampoline_kernelINS0_13select_configILj256ELj13ELNS0_17block_load_methodE3ELS4_3ELS4_3ELNS0_20block_scan_algorithmE0ELj4294967295EEENS1_25partition_config_selectorILNS1_17partition_subalgoE4EjNS0_10empty_typeEbEEZZNS1_14partition_implILS8_4ELb0ES6_15HIP_vector_typeIjLj2EENS0_17counting_iteratorIjlEEPS9_SG_NS0_5tupleIJPjSI_NS0_16reverse_iteratorISI_EEEEENSH_IJSG_SG_SG_EEES9_SI_JZNS1_25segmented_radix_sort_implINS0_14default_configELb1EPK12hip_bfloat16PSP_PKlPlN2at6native12_GLOBAL__N_18offset_tEEE10hipError_tPvRmT1_PNSt15iterator_traitsIS13_E10value_typeET2_T3_PNS14_IS19_E10value_typeET4_jRbjT5_S1F_jjP12ihipStream_tbEUljE_ZNSN_ISO_Lb1ESR_SS_SU_SV_SZ_EES10_S11_S12_S13_S17_S18_S19_S1C_S1D_jS1E_jS1F_S1F_jjS1H_bEUljE0_EEES10_S11_S12_S19_S1D_S1F_T6_T7_T9_mT8_S1H_bDpT10_ENKUlT_T0_E_clISt17integral_constantIbLb1EES1V_EEDaS1Q_S1R_EUlS1Q_E_NS1_11comp_targetILNS1_3genE3ELNS1_11target_archE908ELNS1_3gpuE7ELNS1_3repE0EEENS1_30default_config_static_selectorELNS0_4arch9wavefront6targetE1EEEvS13_,comdat
.Lfunc_end1891:
	.size	_ZN7rocprim17ROCPRIM_400000_NS6detail17trampoline_kernelINS0_13select_configILj256ELj13ELNS0_17block_load_methodE3ELS4_3ELS4_3ELNS0_20block_scan_algorithmE0ELj4294967295EEENS1_25partition_config_selectorILNS1_17partition_subalgoE4EjNS0_10empty_typeEbEEZZNS1_14partition_implILS8_4ELb0ES6_15HIP_vector_typeIjLj2EENS0_17counting_iteratorIjlEEPS9_SG_NS0_5tupleIJPjSI_NS0_16reverse_iteratorISI_EEEEENSH_IJSG_SG_SG_EEES9_SI_JZNS1_25segmented_radix_sort_implINS0_14default_configELb1EPK12hip_bfloat16PSP_PKlPlN2at6native12_GLOBAL__N_18offset_tEEE10hipError_tPvRmT1_PNSt15iterator_traitsIS13_E10value_typeET2_T3_PNS14_IS19_E10value_typeET4_jRbjT5_S1F_jjP12ihipStream_tbEUljE_ZNSN_ISO_Lb1ESR_SS_SU_SV_SZ_EES10_S11_S12_S13_S17_S18_S19_S1C_S1D_jS1E_jS1F_S1F_jjS1H_bEUljE0_EEES10_S11_S12_S19_S1D_S1F_T6_T7_T9_mT8_S1H_bDpT10_ENKUlT_T0_E_clISt17integral_constantIbLb1EES1V_EEDaS1Q_S1R_EUlS1Q_E_NS1_11comp_targetILNS1_3genE3ELNS1_11target_archE908ELNS1_3gpuE7ELNS1_3repE0EEENS1_30default_config_static_selectorELNS0_4arch9wavefront6targetE1EEEvS13_, .Lfunc_end1891-_ZN7rocprim17ROCPRIM_400000_NS6detail17trampoline_kernelINS0_13select_configILj256ELj13ELNS0_17block_load_methodE3ELS4_3ELS4_3ELNS0_20block_scan_algorithmE0ELj4294967295EEENS1_25partition_config_selectorILNS1_17partition_subalgoE4EjNS0_10empty_typeEbEEZZNS1_14partition_implILS8_4ELb0ES6_15HIP_vector_typeIjLj2EENS0_17counting_iteratorIjlEEPS9_SG_NS0_5tupleIJPjSI_NS0_16reverse_iteratorISI_EEEEENSH_IJSG_SG_SG_EEES9_SI_JZNS1_25segmented_radix_sort_implINS0_14default_configELb1EPK12hip_bfloat16PSP_PKlPlN2at6native12_GLOBAL__N_18offset_tEEE10hipError_tPvRmT1_PNSt15iterator_traitsIS13_E10value_typeET2_T3_PNS14_IS19_E10value_typeET4_jRbjT5_S1F_jjP12ihipStream_tbEUljE_ZNSN_ISO_Lb1ESR_SS_SU_SV_SZ_EES10_S11_S12_S13_S17_S18_S19_S1C_S1D_jS1E_jS1F_S1F_jjS1H_bEUljE0_EEES10_S11_S12_S19_S1D_S1F_T6_T7_T9_mT8_S1H_bDpT10_ENKUlT_T0_E_clISt17integral_constantIbLb1EES1V_EEDaS1Q_S1R_EUlS1Q_E_NS1_11comp_targetILNS1_3genE3ELNS1_11target_archE908ELNS1_3gpuE7ELNS1_3repE0EEENS1_30default_config_static_selectorELNS0_4arch9wavefront6targetE1EEEvS13_
                                        ; -- End function
	.section	.AMDGPU.csdata,"",@progbits
; Kernel info:
; codeLenInByte = 0
; NumSgprs: 4
; NumVgprs: 0
; NumAgprs: 0
; TotalNumVgprs: 0
; ScratchSize: 0
; MemoryBound: 0
; FloatMode: 240
; IeeeMode: 1
; LDSByteSize: 0 bytes/workgroup (compile time only)
; SGPRBlocks: 0
; VGPRBlocks: 0
; NumSGPRsForWavesPerEU: 4
; NumVGPRsForWavesPerEU: 1
; AccumOffset: 4
; Occupancy: 8
; WaveLimiterHint : 0
; COMPUTE_PGM_RSRC2:SCRATCH_EN: 0
; COMPUTE_PGM_RSRC2:USER_SGPR: 6
; COMPUTE_PGM_RSRC2:TRAP_HANDLER: 0
; COMPUTE_PGM_RSRC2:TGID_X_EN: 1
; COMPUTE_PGM_RSRC2:TGID_Y_EN: 0
; COMPUTE_PGM_RSRC2:TGID_Z_EN: 0
; COMPUTE_PGM_RSRC2:TIDIG_COMP_CNT: 0
; COMPUTE_PGM_RSRC3_GFX90A:ACCUM_OFFSET: 0
; COMPUTE_PGM_RSRC3_GFX90A:TG_SPLIT: 0
	.section	.text._ZN7rocprim17ROCPRIM_400000_NS6detail17trampoline_kernelINS0_13select_configILj256ELj13ELNS0_17block_load_methodE3ELS4_3ELS4_3ELNS0_20block_scan_algorithmE0ELj4294967295EEENS1_25partition_config_selectorILNS1_17partition_subalgoE4EjNS0_10empty_typeEbEEZZNS1_14partition_implILS8_4ELb0ES6_15HIP_vector_typeIjLj2EENS0_17counting_iteratorIjlEEPS9_SG_NS0_5tupleIJPjSI_NS0_16reverse_iteratorISI_EEEEENSH_IJSG_SG_SG_EEES9_SI_JZNS1_25segmented_radix_sort_implINS0_14default_configELb1EPK12hip_bfloat16PSP_PKlPlN2at6native12_GLOBAL__N_18offset_tEEE10hipError_tPvRmT1_PNSt15iterator_traitsIS13_E10value_typeET2_T3_PNS14_IS19_E10value_typeET4_jRbjT5_S1F_jjP12ihipStream_tbEUljE_ZNSN_ISO_Lb1ESR_SS_SU_SV_SZ_EES10_S11_S12_S13_S17_S18_S19_S1C_S1D_jS1E_jS1F_S1F_jjS1H_bEUljE0_EEES10_S11_S12_S19_S1D_S1F_T6_T7_T9_mT8_S1H_bDpT10_ENKUlT_T0_E_clISt17integral_constantIbLb1EES1V_EEDaS1Q_S1R_EUlS1Q_E_NS1_11comp_targetILNS1_3genE2ELNS1_11target_archE906ELNS1_3gpuE6ELNS1_3repE0EEENS1_30default_config_static_selectorELNS0_4arch9wavefront6targetE1EEEvS13_,"axG",@progbits,_ZN7rocprim17ROCPRIM_400000_NS6detail17trampoline_kernelINS0_13select_configILj256ELj13ELNS0_17block_load_methodE3ELS4_3ELS4_3ELNS0_20block_scan_algorithmE0ELj4294967295EEENS1_25partition_config_selectorILNS1_17partition_subalgoE4EjNS0_10empty_typeEbEEZZNS1_14partition_implILS8_4ELb0ES6_15HIP_vector_typeIjLj2EENS0_17counting_iteratorIjlEEPS9_SG_NS0_5tupleIJPjSI_NS0_16reverse_iteratorISI_EEEEENSH_IJSG_SG_SG_EEES9_SI_JZNS1_25segmented_radix_sort_implINS0_14default_configELb1EPK12hip_bfloat16PSP_PKlPlN2at6native12_GLOBAL__N_18offset_tEEE10hipError_tPvRmT1_PNSt15iterator_traitsIS13_E10value_typeET2_T3_PNS14_IS19_E10value_typeET4_jRbjT5_S1F_jjP12ihipStream_tbEUljE_ZNSN_ISO_Lb1ESR_SS_SU_SV_SZ_EES10_S11_S12_S13_S17_S18_S19_S1C_S1D_jS1E_jS1F_S1F_jjS1H_bEUljE0_EEES10_S11_S12_S19_S1D_S1F_T6_T7_T9_mT8_S1H_bDpT10_ENKUlT_T0_E_clISt17integral_constantIbLb1EES1V_EEDaS1Q_S1R_EUlS1Q_E_NS1_11comp_targetILNS1_3genE2ELNS1_11target_archE906ELNS1_3gpuE6ELNS1_3repE0EEENS1_30default_config_static_selectorELNS0_4arch9wavefront6targetE1EEEvS13_,comdat
	.globl	_ZN7rocprim17ROCPRIM_400000_NS6detail17trampoline_kernelINS0_13select_configILj256ELj13ELNS0_17block_load_methodE3ELS4_3ELS4_3ELNS0_20block_scan_algorithmE0ELj4294967295EEENS1_25partition_config_selectorILNS1_17partition_subalgoE4EjNS0_10empty_typeEbEEZZNS1_14partition_implILS8_4ELb0ES6_15HIP_vector_typeIjLj2EENS0_17counting_iteratorIjlEEPS9_SG_NS0_5tupleIJPjSI_NS0_16reverse_iteratorISI_EEEEENSH_IJSG_SG_SG_EEES9_SI_JZNS1_25segmented_radix_sort_implINS0_14default_configELb1EPK12hip_bfloat16PSP_PKlPlN2at6native12_GLOBAL__N_18offset_tEEE10hipError_tPvRmT1_PNSt15iterator_traitsIS13_E10value_typeET2_T3_PNS14_IS19_E10value_typeET4_jRbjT5_S1F_jjP12ihipStream_tbEUljE_ZNSN_ISO_Lb1ESR_SS_SU_SV_SZ_EES10_S11_S12_S13_S17_S18_S19_S1C_S1D_jS1E_jS1F_S1F_jjS1H_bEUljE0_EEES10_S11_S12_S19_S1D_S1F_T6_T7_T9_mT8_S1H_bDpT10_ENKUlT_T0_E_clISt17integral_constantIbLb1EES1V_EEDaS1Q_S1R_EUlS1Q_E_NS1_11comp_targetILNS1_3genE2ELNS1_11target_archE906ELNS1_3gpuE6ELNS1_3repE0EEENS1_30default_config_static_selectorELNS0_4arch9wavefront6targetE1EEEvS13_ ; -- Begin function _ZN7rocprim17ROCPRIM_400000_NS6detail17trampoline_kernelINS0_13select_configILj256ELj13ELNS0_17block_load_methodE3ELS4_3ELS4_3ELNS0_20block_scan_algorithmE0ELj4294967295EEENS1_25partition_config_selectorILNS1_17partition_subalgoE4EjNS0_10empty_typeEbEEZZNS1_14partition_implILS8_4ELb0ES6_15HIP_vector_typeIjLj2EENS0_17counting_iteratorIjlEEPS9_SG_NS0_5tupleIJPjSI_NS0_16reverse_iteratorISI_EEEEENSH_IJSG_SG_SG_EEES9_SI_JZNS1_25segmented_radix_sort_implINS0_14default_configELb1EPK12hip_bfloat16PSP_PKlPlN2at6native12_GLOBAL__N_18offset_tEEE10hipError_tPvRmT1_PNSt15iterator_traitsIS13_E10value_typeET2_T3_PNS14_IS19_E10value_typeET4_jRbjT5_S1F_jjP12ihipStream_tbEUljE_ZNSN_ISO_Lb1ESR_SS_SU_SV_SZ_EES10_S11_S12_S13_S17_S18_S19_S1C_S1D_jS1E_jS1F_S1F_jjS1H_bEUljE0_EEES10_S11_S12_S19_S1D_S1F_T6_T7_T9_mT8_S1H_bDpT10_ENKUlT_T0_E_clISt17integral_constantIbLb1EES1V_EEDaS1Q_S1R_EUlS1Q_E_NS1_11comp_targetILNS1_3genE2ELNS1_11target_archE906ELNS1_3gpuE6ELNS1_3repE0EEENS1_30default_config_static_selectorELNS0_4arch9wavefront6targetE1EEEvS13_
	.p2align	8
	.type	_ZN7rocprim17ROCPRIM_400000_NS6detail17trampoline_kernelINS0_13select_configILj256ELj13ELNS0_17block_load_methodE3ELS4_3ELS4_3ELNS0_20block_scan_algorithmE0ELj4294967295EEENS1_25partition_config_selectorILNS1_17partition_subalgoE4EjNS0_10empty_typeEbEEZZNS1_14partition_implILS8_4ELb0ES6_15HIP_vector_typeIjLj2EENS0_17counting_iteratorIjlEEPS9_SG_NS0_5tupleIJPjSI_NS0_16reverse_iteratorISI_EEEEENSH_IJSG_SG_SG_EEES9_SI_JZNS1_25segmented_radix_sort_implINS0_14default_configELb1EPK12hip_bfloat16PSP_PKlPlN2at6native12_GLOBAL__N_18offset_tEEE10hipError_tPvRmT1_PNSt15iterator_traitsIS13_E10value_typeET2_T3_PNS14_IS19_E10value_typeET4_jRbjT5_S1F_jjP12ihipStream_tbEUljE_ZNSN_ISO_Lb1ESR_SS_SU_SV_SZ_EES10_S11_S12_S13_S17_S18_S19_S1C_S1D_jS1E_jS1F_S1F_jjS1H_bEUljE0_EEES10_S11_S12_S19_S1D_S1F_T6_T7_T9_mT8_S1H_bDpT10_ENKUlT_T0_E_clISt17integral_constantIbLb1EES1V_EEDaS1Q_S1R_EUlS1Q_E_NS1_11comp_targetILNS1_3genE2ELNS1_11target_archE906ELNS1_3gpuE6ELNS1_3repE0EEENS1_30default_config_static_selectorELNS0_4arch9wavefront6targetE1EEEvS13_,@function
_ZN7rocprim17ROCPRIM_400000_NS6detail17trampoline_kernelINS0_13select_configILj256ELj13ELNS0_17block_load_methodE3ELS4_3ELS4_3ELNS0_20block_scan_algorithmE0ELj4294967295EEENS1_25partition_config_selectorILNS1_17partition_subalgoE4EjNS0_10empty_typeEbEEZZNS1_14partition_implILS8_4ELb0ES6_15HIP_vector_typeIjLj2EENS0_17counting_iteratorIjlEEPS9_SG_NS0_5tupleIJPjSI_NS0_16reverse_iteratorISI_EEEEENSH_IJSG_SG_SG_EEES9_SI_JZNS1_25segmented_radix_sort_implINS0_14default_configELb1EPK12hip_bfloat16PSP_PKlPlN2at6native12_GLOBAL__N_18offset_tEEE10hipError_tPvRmT1_PNSt15iterator_traitsIS13_E10value_typeET2_T3_PNS14_IS19_E10value_typeET4_jRbjT5_S1F_jjP12ihipStream_tbEUljE_ZNSN_ISO_Lb1ESR_SS_SU_SV_SZ_EES10_S11_S12_S13_S17_S18_S19_S1C_S1D_jS1E_jS1F_S1F_jjS1H_bEUljE0_EEES10_S11_S12_S19_S1D_S1F_T6_T7_T9_mT8_S1H_bDpT10_ENKUlT_T0_E_clISt17integral_constantIbLb1EES1V_EEDaS1Q_S1R_EUlS1Q_E_NS1_11comp_targetILNS1_3genE2ELNS1_11target_archE906ELNS1_3gpuE6ELNS1_3repE0EEENS1_30default_config_static_selectorELNS0_4arch9wavefront6targetE1EEEvS13_: ; @_ZN7rocprim17ROCPRIM_400000_NS6detail17trampoline_kernelINS0_13select_configILj256ELj13ELNS0_17block_load_methodE3ELS4_3ELS4_3ELNS0_20block_scan_algorithmE0ELj4294967295EEENS1_25partition_config_selectorILNS1_17partition_subalgoE4EjNS0_10empty_typeEbEEZZNS1_14partition_implILS8_4ELb0ES6_15HIP_vector_typeIjLj2EENS0_17counting_iteratorIjlEEPS9_SG_NS0_5tupleIJPjSI_NS0_16reverse_iteratorISI_EEEEENSH_IJSG_SG_SG_EEES9_SI_JZNS1_25segmented_radix_sort_implINS0_14default_configELb1EPK12hip_bfloat16PSP_PKlPlN2at6native12_GLOBAL__N_18offset_tEEE10hipError_tPvRmT1_PNSt15iterator_traitsIS13_E10value_typeET2_T3_PNS14_IS19_E10value_typeET4_jRbjT5_S1F_jjP12ihipStream_tbEUljE_ZNSN_ISO_Lb1ESR_SS_SU_SV_SZ_EES10_S11_S12_S13_S17_S18_S19_S1C_S1D_jS1E_jS1F_S1F_jjS1H_bEUljE0_EEES10_S11_S12_S19_S1D_S1F_T6_T7_T9_mT8_S1H_bDpT10_ENKUlT_T0_E_clISt17integral_constantIbLb1EES1V_EEDaS1Q_S1R_EUlS1Q_E_NS1_11comp_targetILNS1_3genE2ELNS1_11target_archE906ELNS1_3gpuE6ELNS1_3repE0EEENS1_30default_config_static_selectorELNS0_4arch9wavefront6targetE1EEEvS13_
; %bb.0:
	.section	.rodata,"a",@progbits
	.p2align	6, 0x0
	.amdhsa_kernel _ZN7rocprim17ROCPRIM_400000_NS6detail17trampoline_kernelINS0_13select_configILj256ELj13ELNS0_17block_load_methodE3ELS4_3ELS4_3ELNS0_20block_scan_algorithmE0ELj4294967295EEENS1_25partition_config_selectorILNS1_17partition_subalgoE4EjNS0_10empty_typeEbEEZZNS1_14partition_implILS8_4ELb0ES6_15HIP_vector_typeIjLj2EENS0_17counting_iteratorIjlEEPS9_SG_NS0_5tupleIJPjSI_NS0_16reverse_iteratorISI_EEEEENSH_IJSG_SG_SG_EEES9_SI_JZNS1_25segmented_radix_sort_implINS0_14default_configELb1EPK12hip_bfloat16PSP_PKlPlN2at6native12_GLOBAL__N_18offset_tEEE10hipError_tPvRmT1_PNSt15iterator_traitsIS13_E10value_typeET2_T3_PNS14_IS19_E10value_typeET4_jRbjT5_S1F_jjP12ihipStream_tbEUljE_ZNSN_ISO_Lb1ESR_SS_SU_SV_SZ_EES10_S11_S12_S13_S17_S18_S19_S1C_S1D_jS1E_jS1F_S1F_jjS1H_bEUljE0_EEES10_S11_S12_S19_S1D_S1F_T6_T7_T9_mT8_S1H_bDpT10_ENKUlT_T0_E_clISt17integral_constantIbLb1EES1V_EEDaS1Q_S1R_EUlS1Q_E_NS1_11comp_targetILNS1_3genE2ELNS1_11target_archE906ELNS1_3gpuE6ELNS1_3repE0EEENS1_30default_config_static_selectorELNS0_4arch9wavefront6targetE1EEEvS13_
		.amdhsa_group_segment_fixed_size 0
		.amdhsa_private_segment_fixed_size 0
		.amdhsa_kernarg_size 184
		.amdhsa_user_sgpr_count 6
		.amdhsa_user_sgpr_private_segment_buffer 1
		.amdhsa_user_sgpr_dispatch_ptr 0
		.amdhsa_user_sgpr_queue_ptr 0
		.amdhsa_user_sgpr_kernarg_segment_ptr 1
		.amdhsa_user_sgpr_dispatch_id 0
		.amdhsa_user_sgpr_flat_scratch_init 0
		.amdhsa_user_sgpr_kernarg_preload_length 0
		.amdhsa_user_sgpr_kernarg_preload_offset 0
		.amdhsa_user_sgpr_private_segment_size 0
		.amdhsa_uses_dynamic_stack 0
		.amdhsa_system_sgpr_private_segment_wavefront_offset 0
		.amdhsa_system_sgpr_workgroup_id_x 1
		.amdhsa_system_sgpr_workgroup_id_y 0
		.amdhsa_system_sgpr_workgroup_id_z 0
		.amdhsa_system_sgpr_workgroup_info 0
		.amdhsa_system_vgpr_workitem_id 0
		.amdhsa_next_free_vgpr 1
		.amdhsa_next_free_sgpr 0
		.amdhsa_accum_offset 4
		.amdhsa_reserve_vcc 0
		.amdhsa_reserve_flat_scratch 0
		.amdhsa_float_round_mode_32 0
		.amdhsa_float_round_mode_16_64 0
		.amdhsa_float_denorm_mode_32 3
		.amdhsa_float_denorm_mode_16_64 3
		.amdhsa_dx10_clamp 1
		.amdhsa_ieee_mode 1
		.amdhsa_fp16_overflow 0
		.amdhsa_tg_split 0
		.amdhsa_exception_fp_ieee_invalid_op 0
		.amdhsa_exception_fp_denorm_src 0
		.amdhsa_exception_fp_ieee_div_zero 0
		.amdhsa_exception_fp_ieee_overflow 0
		.amdhsa_exception_fp_ieee_underflow 0
		.amdhsa_exception_fp_ieee_inexact 0
		.amdhsa_exception_int_div_zero 0
	.end_amdhsa_kernel
	.section	.text._ZN7rocprim17ROCPRIM_400000_NS6detail17trampoline_kernelINS0_13select_configILj256ELj13ELNS0_17block_load_methodE3ELS4_3ELS4_3ELNS0_20block_scan_algorithmE0ELj4294967295EEENS1_25partition_config_selectorILNS1_17partition_subalgoE4EjNS0_10empty_typeEbEEZZNS1_14partition_implILS8_4ELb0ES6_15HIP_vector_typeIjLj2EENS0_17counting_iteratorIjlEEPS9_SG_NS0_5tupleIJPjSI_NS0_16reverse_iteratorISI_EEEEENSH_IJSG_SG_SG_EEES9_SI_JZNS1_25segmented_radix_sort_implINS0_14default_configELb1EPK12hip_bfloat16PSP_PKlPlN2at6native12_GLOBAL__N_18offset_tEEE10hipError_tPvRmT1_PNSt15iterator_traitsIS13_E10value_typeET2_T3_PNS14_IS19_E10value_typeET4_jRbjT5_S1F_jjP12ihipStream_tbEUljE_ZNSN_ISO_Lb1ESR_SS_SU_SV_SZ_EES10_S11_S12_S13_S17_S18_S19_S1C_S1D_jS1E_jS1F_S1F_jjS1H_bEUljE0_EEES10_S11_S12_S19_S1D_S1F_T6_T7_T9_mT8_S1H_bDpT10_ENKUlT_T0_E_clISt17integral_constantIbLb1EES1V_EEDaS1Q_S1R_EUlS1Q_E_NS1_11comp_targetILNS1_3genE2ELNS1_11target_archE906ELNS1_3gpuE6ELNS1_3repE0EEENS1_30default_config_static_selectorELNS0_4arch9wavefront6targetE1EEEvS13_,"axG",@progbits,_ZN7rocprim17ROCPRIM_400000_NS6detail17trampoline_kernelINS0_13select_configILj256ELj13ELNS0_17block_load_methodE3ELS4_3ELS4_3ELNS0_20block_scan_algorithmE0ELj4294967295EEENS1_25partition_config_selectorILNS1_17partition_subalgoE4EjNS0_10empty_typeEbEEZZNS1_14partition_implILS8_4ELb0ES6_15HIP_vector_typeIjLj2EENS0_17counting_iteratorIjlEEPS9_SG_NS0_5tupleIJPjSI_NS0_16reverse_iteratorISI_EEEEENSH_IJSG_SG_SG_EEES9_SI_JZNS1_25segmented_radix_sort_implINS0_14default_configELb1EPK12hip_bfloat16PSP_PKlPlN2at6native12_GLOBAL__N_18offset_tEEE10hipError_tPvRmT1_PNSt15iterator_traitsIS13_E10value_typeET2_T3_PNS14_IS19_E10value_typeET4_jRbjT5_S1F_jjP12ihipStream_tbEUljE_ZNSN_ISO_Lb1ESR_SS_SU_SV_SZ_EES10_S11_S12_S13_S17_S18_S19_S1C_S1D_jS1E_jS1F_S1F_jjS1H_bEUljE0_EEES10_S11_S12_S19_S1D_S1F_T6_T7_T9_mT8_S1H_bDpT10_ENKUlT_T0_E_clISt17integral_constantIbLb1EES1V_EEDaS1Q_S1R_EUlS1Q_E_NS1_11comp_targetILNS1_3genE2ELNS1_11target_archE906ELNS1_3gpuE6ELNS1_3repE0EEENS1_30default_config_static_selectorELNS0_4arch9wavefront6targetE1EEEvS13_,comdat
.Lfunc_end1892:
	.size	_ZN7rocprim17ROCPRIM_400000_NS6detail17trampoline_kernelINS0_13select_configILj256ELj13ELNS0_17block_load_methodE3ELS4_3ELS4_3ELNS0_20block_scan_algorithmE0ELj4294967295EEENS1_25partition_config_selectorILNS1_17partition_subalgoE4EjNS0_10empty_typeEbEEZZNS1_14partition_implILS8_4ELb0ES6_15HIP_vector_typeIjLj2EENS0_17counting_iteratorIjlEEPS9_SG_NS0_5tupleIJPjSI_NS0_16reverse_iteratorISI_EEEEENSH_IJSG_SG_SG_EEES9_SI_JZNS1_25segmented_radix_sort_implINS0_14default_configELb1EPK12hip_bfloat16PSP_PKlPlN2at6native12_GLOBAL__N_18offset_tEEE10hipError_tPvRmT1_PNSt15iterator_traitsIS13_E10value_typeET2_T3_PNS14_IS19_E10value_typeET4_jRbjT5_S1F_jjP12ihipStream_tbEUljE_ZNSN_ISO_Lb1ESR_SS_SU_SV_SZ_EES10_S11_S12_S13_S17_S18_S19_S1C_S1D_jS1E_jS1F_S1F_jjS1H_bEUljE0_EEES10_S11_S12_S19_S1D_S1F_T6_T7_T9_mT8_S1H_bDpT10_ENKUlT_T0_E_clISt17integral_constantIbLb1EES1V_EEDaS1Q_S1R_EUlS1Q_E_NS1_11comp_targetILNS1_3genE2ELNS1_11target_archE906ELNS1_3gpuE6ELNS1_3repE0EEENS1_30default_config_static_selectorELNS0_4arch9wavefront6targetE1EEEvS13_, .Lfunc_end1892-_ZN7rocprim17ROCPRIM_400000_NS6detail17trampoline_kernelINS0_13select_configILj256ELj13ELNS0_17block_load_methodE3ELS4_3ELS4_3ELNS0_20block_scan_algorithmE0ELj4294967295EEENS1_25partition_config_selectorILNS1_17partition_subalgoE4EjNS0_10empty_typeEbEEZZNS1_14partition_implILS8_4ELb0ES6_15HIP_vector_typeIjLj2EENS0_17counting_iteratorIjlEEPS9_SG_NS0_5tupleIJPjSI_NS0_16reverse_iteratorISI_EEEEENSH_IJSG_SG_SG_EEES9_SI_JZNS1_25segmented_radix_sort_implINS0_14default_configELb1EPK12hip_bfloat16PSP_PKlPlN2at6native12_GLOBAL__N_18offset_tEEE10hipError_tPvRmT1_PNSt15iterator_traitsIS13_E10value_typeET2_T3_PNS14_IS19_E10value_typeET4_jRbjT5_S1F_jjP12ihipStream_tbEUljE_ZNSN_ISO_Lb1ESR_SS_SU_SV_SZ_EES10_S11_S12_S13_S17_S18_S19_S1C_S1D_jS1E_jS1F_S1F_jjS1H_bEUljE0_EEES10_S11_S12_S19_S1D_S1F_T6_T7_T9_mT8_S1H_bDpT10_ENKUlT_T0_E_clISt17integral_constantIbLb1EES1V_EEDaS1Q_S1R_EUlS1Q_E_NS1_11comp_targetILNS1_3genE2ELNS1_11target_archE906ELNS1_3gpuE6ELNS1_3repE0EEENS1_30default_config_static_selectorELNS0_4arch9wavefront6targetE1EEEvS13_
                                        ; -- End function
	.section	.AMDGPU.csdata,"",@progbits
; Kernel info:
; codeLenInByte = 0
; NumSgprs: 4
; NumVgprs: 0
; NumAgprs: 0
; TotalNumVgprs: 0
; ScratchSize: 0
; MemoryBound: 0
; FloatMode: 240
; IeeeMode: 1
; LDSByteSize: 0 bytes/workgroup (compile time only)
; SGPRBlocks: 0
; VGPRBlocks: 0
; NumSGPRsForWavesPerEU: 4
; NumVGPRsForWavesPerEU: 1
; AccumOffset: 4
; Occupancy: 8
; WaveLimiterHint : 0
; COMPUTE_PGM_RSRC2:SCRATCH_EN: 0
; COMPUTE_PGM_RSRC2:USER_SGPR: 6
; COMPUTE_PGM_RSRC2:TRAP_HANDLER: 0
; COMPUTE_PGM_RSRC2:TGID_X_EN: 1
; COMPUTE_PGM_RSRC2:TGID_Y_EN: 0
; COMPUTE_PGM_RSRC2:TGID_Z_EN: 0
; COMPUTE_PGM_RSRC2:TIDIG_COMP_CNT: 0
; COMPUTE_PGM_RSRC3_GFX90A:ACCUM_OFFSET: 0
; COMPUTE_PGM_RSRC3_GFX90A:TG_SPLIT: 0
	.section	.text._ZN7rocprim17ROCPRIM_400000_NS6detail17trampoline_kernelINS0_13select_configILj256ELj13ELNS0_17block_load_methodE3ELS4_3ELS4_3ELNS0_20block_scan_algorithmE0ELj4294967295EEENS1_25partition_config_selectorILNS1_17partition_subalgoE4EjNS0_10empty_typeEbEEZZNS1_14partition_implILS8_4ELb0ES6_15HIP_vector_typeIjLj2EENS0_17counting_iteratorIjlEEPS9_SG_NS0_5tupleIJPjSI_NS0_16reverse_iteratorISI_EEEEENSH_IJSG_SG_SG_EEES9_SI_JZNS1_25segmented_radix_sort_implINS0_14default_configELb1EPK12hip_bfloat16PSP_PKlPlN2at6native12_GLOBAL__N_18offset_tEEE10hipError_tPvRmT1_PNSt15iterator_traitsIS13_E10value_typeET2_T3_PNS14_IS19_E10value_typeET4_jRbjT5_S1F_jjP12ihipStream_tbEUljE_ZNSN_ISO_Lb1ESR_SS_SU_SV_SZ_EES10_S11_S12_S13_S17_S18_S19_S1C_S1D_jS1E_jS1F_S1F_jjS1H_bEUljE0_EEES10_S11_S12_S19_S1D_S1F_T6_T7_T9_mT8_S1H_bDpT10_ENKUlT_T0_E_clISt17integral_constantIbLb1EES1V_EEDaS1Q_S1R_EUlS1Q_E_NS1_11comp_targetILNS1_3genE10ELNS1_11target_archE1200ELNS1_3gpuE4ELNS1_3repE0EEENS1_30default_config_static_selectorELNS0_4arch9wavefront6targetE1EEEvS13_,"axG",@progbits,_ZN7rocprim17ROCPRIM_400000_NS6detail17trampoline_kernelINS0_13select_configILj256ELj13ELNS0_17block_load_methodE3ELS4_3ELS4_3ELNS0_20block_scan_algorithmE0ELj4294967295EEENS1_25partition_config_selectorILNS1_17partition_subalgoE4EjNS0_10empty_typeEbEEZZNS1_14partition_implILS8_4ELb0ES6_15HIP_vector_typeIjLj2EENS0_17counting_iteratorIjlEEPS9_SG_NS0_5tupleIJPjSI_NS0_16reverse_iteratorISI_EEEEENSH_IJSG_SG_SG_EEES9_SI_JZNS1_25segmented_radix_sort_implINS0_14default_configELb1EPK12hip_bfloat16PSP_PKlPlN2at6native12_GLOBAL__N_18offset_tEEE10hipError_tPvRmT1_PNSt15iterator_traitsIS13_E10value_typeET2_T3_PNS14_IS19_E10value_typeET4_jRbjT5_S1F_jjP12ihipStream_tbEUljE_ZNSN_ISO_Lb1ESR_SS_SU_SV_SZ_EES10_S11_S12_S13_S17_S18_S19_S1C_S1D_jS1E_jS1F_S1F_jjS1H_bEUljE0_EEES10_S11_S12_S19_S1D_S1F_T6_T7_T9_mT8_S1H_bDpT10_ENKUlT_T0_E_clISt17integral_constantIbLb1EES1V_EEDaS1Q_S1R_EUlS1Q_E_NS1_11comp_targetILNS1_3genE10ELNS1_11target_archE1200ELNS1_3gpuE4ELNS1_3repE0EEENS1_30default_config_static_selectorELNS0_4arch9wavefront6targetE1EEEvS13_,comdat
	.globl	_ZN7rocprim17ROCPRIM_400000_NS6detail17trampoline_kernelINS0_13select_configILj256ELj13ELNS0_17block_load_methodE3ELS4_3ELS4_3ELNS0_20block_scan_algorithmE0ELj4294967295EEENS1_25partition_config_selectorILNS1_17partition_subalgoE4EjNS0_10empty_typeEbEEZZNS1_14partition_implILS8_4ELb0ES6_15HIP_vector_typeIjLj2EENS0_17counting_iteratorIjlEEPS9_SG_NS0_5tupleIJPjSI_NS0_16reverse_iteratorISI_EEEEENSH_IJSG_SG_SG_EEES9_SI_JZNS1_25segmented_radix_sort_implINS0_14default_configELb1EPK12hip_bfloat16PSP_PKlPlN2at6native12_GLOBAL__N_18offset_tEEE10hipError_tPvRmT1_PNSt15iterator_traitsIS13_E10value_typeET2_T3_PNS14_IS19_E10value_typeET4_jRbjT5_S1F_jjP12ihipStream_tbEUljE_ZNSN_ISO_Lb1ESR_SS_SU_SV_SZ_EES10_S11_S12_S13_S17_S18_S19_S1C_S1D_jS1E_jS1F_S1F_jjS1H_bEUljE0_EEES10_S11_S12_S19_S1D_S1F_T6_T7_T9_mT8_S1H_bDpT10_ENKUlT_T0_E_clISt17integral_constantIbLb1EES1V_EEDaS1Q_S1R_EUlS1Q_E_NS1_11comp_targetILNS1_3genE10ELNS1_11target_archE1200ELNS1_3gpuE4ELNS1_3repE0EEENS1_30default_config_static_selectorELNS0_4arch9wavefront6targetE1EEEvS13_ ; -- Begin function _ZN7rocprim17ROCPRIM_400000_NS6detail17trampoline_kernelINS0_13select_configILj256ELj13ELNS0_17block_load_methodE3ELS4_3ELS4_3ELNS0_20block_scan_algorithmE0ELj4294967295EEENS1_25partition_config_selectorILNS1_17partition_subalgoE4EjNS0_10empty_typeEbEEZZNS1_14partition_implILS8_4ELb0ES6_15HIP_vector_typeIjLj2EENS0_17counting_iteratorIjlEEPS9_SG_NS0_5tupleIJPjSI_NS0_16reverse_iteratorISI_EEEEENSH_IJSG_SG_SG_EEES9_SI_JZNS1_25segmented_radix_sort_implINS0_14default_configELb1EPK12hip_bfloat16PSP_PKlPlN2at6native12_GLOBAL__N_18offset_tEEE10hipError_tPvRmT1_PNSt15iterator_traitsIS13_E10value_typeET2_T3_PNS14_IS19_E10value_typeET4_jRbjT5_S1F_jjP12ihipStream_tbEUljE_ZNSN_ISO_Lb1ESR_SS_SU_SV_SZ_EES10_S11_S12_S13_S17_S18_S19_S1C_S1D_jS1E_jS1F_S1F_jjS1H_bEUljE0_EEES10_S11_S12_S19_S1D_S1F_T6_T7_T9_mT8_S1H_bDpT10_ENKUlT_T0_E_clISt17integral_constantIbLb1EES1V_EEDaS1Q_S1R_EUlS1Q_E_NS1_11comp_targetILNS1_3genE10ELNS1_11target_archE1200ELNS1_3gpuE4ELNS1_3repE0EEENS1_30default_config_static_selectorELNS0_4arch9wavefront6targetE1EEEvS13_
	.p2align	8
	.type	_ZN7rocprim17ROCPRIM_400000_NS6detail17trampoline_kernelINS0_13select_configILj256ELj13ELNS0_17block_load_methodE3ELS4_3ELS4_3ELNS0_20block_scan_algorithmE0ELj4294967295EEENS1_25partition_config_selectorILNS1_17partition_subalgoE4EjNS0_10empty_typeEbEEZZNS1_14partition_implILS8_4ELb0ES6_15HIP_vector_typeIjLj2EENS0_17counting_iteratorIjlEEPS9_SG_NS0_5tupleIJPjSI_NS0_16reverse_iteratorISI_EEEEENSH_IJSG_SG_SG_EEES9_SI_JZNS1_25segmented_radix_sort_implINS0_14default_configELb1EPK12hip_bfloat16PSP_PKlPlN2at6native12_GLOBAL__N_18offset_tEEE10hipError_tPvRmT1_PNSt15iterator_traitsIS13_E10value_typeET2_T3_PNS14_IS19_E10value_typeET4_jRbjT5_S1F_jjP12ihipStream_tbEUljE_ZNSN_ISO_Lb1ESR_SS_SU_SV_SZ_EES10_S11_S12_S13_S17_S18_S19_S1C_S1D_jS1E_jS1F_S1F_jjS1H_bEUljE0_EEES10_S11_S12_S19_S1D_S1F_T6_T7_T9_mT8_S1H_bDpT10_ENKUlT_T0_E_clISt17integral_constantIbLb1EES1V_EEDaS1Q_S1R_EUlS1Q_E_NS1_11comp_targetILNS1_3genE10ELNS1_11target_archE1200ELNS1_3gpuE4ELNS1_3repE0EEENS1_30default_config_static_selectorELNS0_4arch9wavefront6targetE1EEEvS13_,@function
_ZN7rocprim17ROCPRIM_400000_NS6detail17trampoline_kernelINS0_13select_configILj256ELj13ELNS0_17block_load_methodE3ELS4_3ELS4_3ELNS0_20block_scan_algorithmE0ELj4294967295EEENS1_25partition_config_selectorILNS1_17partition_subalgoE4EjNS0_10empty_typeEbEEZZNS1_14partition_implILS8_4ELb0ES6_15HIP_vector_typeIjLj2EENS0_17counting_iteratorIjlEEPS9_SG_NS0_5tupleIJPjSI_NS0_16reverse_iteratorISI_EEEEENSH_IJSG_SG_SG_EEES9_SI_JZNS1_25segmented_radix_sort_implINS0_14default_configELb1EPK12hip_bfloat16PSP_PKlPlN2at6native12_GLOBAL__N_18offset_tEEE10hipError_tPvRmT1_PNSt15iterator_traitsIS13_E10value_typeET2_T3_PNS14_IS19_E10value_typeET4_jRbjT5_S1F_jjP12ihipStream_tbEUljE_ZNSN_ISO_Lb1ESR_SS_SU_SV_SZ_EES10_S11_S12_S13_S17_S18_S19_S1C_S1D_jS1E_jS1F_S1F_jjS1H_bEUljE0_EEES10_S11_S12_S19_S1D_S1F_T6_T7_T9_mT8_S1H_bDpT10_ENKUlT_T0_E_clISt17integral_constantIbLb1EES1V_EEDaS1Q_S1R_EUlS1Q_E_NS1_11comp_targetILNS1_3genE10ELNS1_11target_archE1200ELNS1_3gpuE4ELNS1_3repE0EEENS1_30default_config_static_selectorELNS0_4arch9wavefront6targetE1EEEvS13_: ; @_ZN7rocprim17ROCPRIM_400000_NS6detail17trampoline_kernelINS0_13select_configILj256ELj13ELNS0_17block_load_methodE3ELS4_3ELS4_3ELNS0_20block_scan_algorithmE0ELj4294967295EEENS1_25partition_config_selectorILNS1_17partition_subalgoE4EjNS0_10empty_typeEbEEZZNS1_14partition_implILS8_4ELb0ES6_15HIP_vector_typeIjLj2EENS0_17counting_iteratorIjlEEPS9_SG_NS0_5tupleIJPjSI_NS0_16reverse_iteratorISI_EEEEENSH_IJSG_SG_SG_EEES9_SI_JZNS1_25segmented_radix_sort_implINS0_14default_configELb1EPK12hip_bfloat16PSP_PKlPlN2at6native12_GLOBAL__N_18offset_tEEE10hipError_tPvRmT1_PNSt15iterator_traitsIS13_E10value_typeET2_T3_PNS14_IS19_E10value_typeET4_jRbjT5_S1F_jjP12ihipStream_tbEUljE_ZNSN_ISO_Lb1ESR_SS_SU_SV_SZ_EES10_S11_S12_S13_S17_S18_S19_S1C_S1D_jS1E_jS1F_S1F_jjS1H_bEUljE0_EEES10_S11_S12_S19_S1D_S1F_T6_T7_T9_mT8_S1H_bDpT10_ENKUlT_T0_E_clISt17integral_constantIbLb1EES1V_EEDaS1Q_S1R_EUlS1Q_E_NS1_11comp_targetILNS1_3genE10ELNS1_11target_archE1200ELNS1_3gpuE4ELNS1_3repE0EEENS1_30default_config_static_selectorELNS0_4arch9wavefront6targetE1EEEvS13_
; %bb.0:
	.section	.rodata,"a",@progbits
	.p2align	6, 0x0
	.amdhsa_kernel _ZN7rocprim17ROCPRIM_400000_NS6detail17trampoline_kernelINS0_13select_configILj256ELj13ELNS0_17block_load_methodE3ELS4_3ELS4_3ELNS0_20block_scan_algorithmE0ELj4294967295EEENS1_25partition_config_selectorILNS1_17partition_subalgoE4EjNS0_10empty_typeEbEEZZNS1_14partition_implILS8_4ELb0ES6_15HIP_vector_typeIjLj2EENS0_17counting_iteratorIjlEEPS9_SG_NS0_5tupleIJPjSI_NS0_16reverse_iteratorISI_EEEEENSH_IJSG_SG_SG_EEES9_SI_JZNS1_25segmented_radix_sort_implINS0_14default_configELb1EPK12hip_bfloat16PSP_PKlPlN2at6native12_GLOBAL__N_18offset_tEEE10hipError_tPvRmT1_PNSt15iterator_traitsIS13_E10value_typeET2_T3_PNS14_IS19_E10value_typeET4_jRbjT5_S1F_jjP12ihipStream_tbEUljE_ZNSN_ISO_Lb1ESR_SS_SU_SV_SZ_EES10_S11_S12_S13_S17_S18_S19_S1C_S1D_jS1E_jS1F_S1F_jjS1H_bEUljE0_EEES10_S11_S12_S19_S1D_S1F_T6_T7_T9_mT8_S1H_bDpT10_ENKUlT_T0_E_clISt17integral_constantIbLb1EES1V_EEDaS1Q_S1R_EUlS1Q_E_NS1_11comp_targetILNS1_3genE10ELNS1_11target_archE1200ELNS1_3gpuE4ELNS1_3repE0EEENS1_30default_config_static_selectorELNS0_4arch9wavefront6targetE1EEEvS13_
		.amdhsa_group_segment_fixed_size 0
		.amdhsa_private_segment_fixed_size 0
		.amdhsa_kernarg_size 184
		.amdhsa_user_sgpr_count 6
		.amdhsa_user_sgpr_private_segment_buffer 1
		.amdhsa_user_sgpr_dispatch_ptr 0
		.amdhsa_user_sgpr_queue_ptr 0
		.amdhsa_user_sgpr_kernarg_segment_ptr 1
		.amdhsa_user_sgpr_dispatch_id 0
		.amdhsa_user_sgpr_flat_scratch_init 0
		.amdhsa_user_sgpr_kernarg_preload_length 0
		.amdhsa_user_sgpr_kernarg_preload_offset 0
		.amdhsa_user_sgpr_private_segment_size 0
		.amdhsa_uses_dynamic_stack 0
		.amdhsa_system_sgpr_private_segment_wavefront_offset 0
		.amdhsa_system_sgpr_workgroup_id_x 1
		.amdhsa_system_sgpr_workgroup_id_y 0
		.amdhsa_system_sgpr_workgroup_id_z 0
		.amdhsa_system_sgpr_workgroup_info 0
		.amdhsa_system_vgpr_workitem_id 0
		.amdhsa_next_free_vgpr 1
		.amdhsa_next_free_sgpr 0
		.amdhsa_accum_offset 4
		.amdhsa_reserve_vcc 0
		.amdhsa_reserve_flat_scratch 0
		.amdhsa_float_round_mode_32 0
		.amdhsa_float_round_mode_16_64 0
		.amdhsa_float_denorm_mode_32 3
		.amdhsa_float_denorm_mode_16_64 3
		.amdhsa_dx10_clamp 1
		.amdhsa_ieee_mode 1
		.amdhsa_fp16_overflow 0
		.amdhsa_tg_split 0
		.amdhsa_exception_fp_ieee_invalid_op 0
		.amdhsa_exception_fp_denorm_src 0
		.amdhsa_exception_fp_ieee_div_zero 0
		.amdhsa_exception_fp_ieee_overflow 0
		.amdhsa_exception_fp_ieee_underflow 0
		.amdhsa_exception_fp_ieee_inexact 0
		.amdhsa_exception_int_div_zero 0
	.end_amdhsa_kernel
	.section	.text._ZN7rocprim17ROCPRIM_400000_NS6detail17trampoline_kernelINS0_13select_configILj256ELj13ELNS0_17block_load_methodE3ELS4_3ELS4_3ELNS0_20block_scan_algorithmE0ELj4294967295EEENS1_25partition_config_selectorILNS1_17partition_subalgoE4EjNS0_10empty_typeEbEEZZNS1_14partition_implILS8_4ELb0ES6_15HIP_vector_typeIjLj2EENS0_17counting_iteratorIjlEEPS9_SG_NS0_5tupleIJPjSI_NS0_16reverse_iteratorISI_EEEEENSH_IJSG_SG_SG_EEES9_SI_JZNS1_25segmented_radix_sort_implINS0_14default_configELb1EPK12hip_bfloat16PSP_PKlPlN2at6native12_GLOBAL__N_18offset_tEEE10hipError_tPvRmT1_PNSt15iterator_traitsIS13_E10value_typeET2_T3_PNS14_IS19_E10value_typeET4_jRbjT5_S1F_jjP12ihipStream_tbEUljE_ZNSN_ISO_Lb1ESR_SS_SU_SV_SZ_EES10_S11_S12_S13_S17_S18_S19_S1C_S1D_jS1E_jS1F_S1F_jjS1H_bEUljE0_EEES10_S11_S12_S19_S1D_S1F_T6_T7_T9_mT8_S1H_bDpT10_ENKUlT_T0_E_clISt17integral_constantIbLb1EES1V_EEDaS1Q_S1R_EUlS1Q_E_NS1_11comp_targetILNS1_3genE10ELNS1_11target_archE1200ELNS1_3gpuE4ELNS1_3repE0EEENS1_30default_config_static_selectorELNS0_4arch9wavefront6targetE1EEEvS13_,"axG",@progbits,_ZN7rocprim17ROCPRIM_400000_NS6detail17trampoline_kernelINS0_13select_configILj256ELj13ELNS0_17block_load_methodE3ELS4_3ELS4_3ELNS0_20block_scan_algorithmE0ELj4294967295EEENS1_25partition_config_selectorILNS1_17partition_subalgoE4EjNS0_10empty_typeEbEEZZNS1_14partition_implILS8_4ELb0ES6_15HIP_vector_typeIjLj2EENS0_17counting_iteratorIjlEEPS9_SG_NS0_5tupleIJPjSI_NS0_16reverse_iteratorISI_EEEEENSH_IJSG_SG_SG_EEES9_SI_JZNS1_25segmented_radix_sort_implINS0_14default_configELb1EPK12hip_bfloat16PSP_PKlPlN2at6native12_GLOBAL__N_18offset_tEEE10hipError_tPvRmT1_PNSt15iterator_traitsIS13_E10value_typeET2_T3_PNS14_IS19_E10value_typeET4_jRbjT5_S1F_jjP12ihipStream_tbEUljE_ZNSN_ISO_Lb1ESR_SS_SU_SV_SZ_EES10_S11_S12_S13_S17_S18_S19_S1C_S1D_jS1E_jS1F_S1F_jjS1H_bEUljE0_EEES10_S11_S12_S19_S1D_S1F_T6_T7_T9_mT8_S1H_bDpT10_ENKUlT_T0_E_clISt17integral_constantIbLb1EES1V_EEDaS1Q_S1R_EUlS1Q_E_NS1_11comp_targetILNS1_3genE10ELNS1_11target_archE1200ELNS1_3gpuE4ELNS1_3repE0EEENS1_30default_config_static_selectorELNS0_4arch9wavefront6targetE1EEEvS13_,comdat
.Lfunc_end1893:
	.size	_ZN7rocprim17ROCPRIM_400000_NS6detail17trampoline_kernelINS0_13select_configILj256ELj13ELNS0_17block_load_methodE3ELS4_3ELS4_3ELNS0_20block_scan_algorithmE0ELj4294967295EEENS1_25partition_config_selectorILNS1_17partition_subalgoE4EjNS0_10empty_typeEbEEZZNS1_14partition_implILS8_4ELb0ES6_15HIP_vector_typeIjLj2EENS0_17counting_iteratorIjlEEPS9_SG_NS0_5tupleIJPjSI_NS0_16reverse_iteratorISI_EEEEENSH_IJSG_SG_SG_EEES9_SI_JZNS1_25segmented_radix_sort_implINS0_14default_configELb1EPK12hip_bfloat16PSP_PKlPlN2at6native12_GLOBAL__N_18offset_tEEE10hipError_tPvRmT1_PNSt15iterator_traitsIS13_E10value_typeET2_T3_PNS14_IS19_E10value_typeET4_jRbjT5_S1F_jjP12ihipStream_tbEUljE_ZNSN_ISO_Lb1ESR_SS_SU_SV_SZ_EES10_S11_S12_S13_S17_S18_S19_S1C_S1D_jS1E_jS1F_S1F_jjS1H_bEUljE0_EEES10_S11_S12_S19_S1D_S1F_T6_T7_T9_mT8_S1H_bDpT10_ENKUlT_T0_E_clISt17integral_constantIbLb1EES1V_EEDaS1Q_S1R_EUlS1Q_E_NS1_11comp_targetILNS1_3genE10ELNS1_11target_archE1200ELNS1_3gpuE4ELNS1_3repE0EEENS1_30default_config_static_selectorELNS0_4arch9wavefront6targetE1EEEvS13_, .Lfunc_end1893-_ZN7rocprim17ROCPRIM_400000_NS6detail17trampoline_kernelINS0_13select_configILj256ELj13ELNS0_17block_load_methodE3ELS4_3ELS4_3ELNS0_20block_scan_algorithmE0ELj4294967295EEENS1_25partition_config_selectorILNS1_17partition_subalgoE4EjNS0_10empty_typeEbEEZZNS1_14partition_implILS8_4ELb0ES6_15HIP_vector_typeIjLj2EENS0_17counting_iteratorIjlEEPS9_SG_NS0_5tupleIJPjSI_NS0_16reverse_iteratorISI_EEEEENSH_IJSG_SG_SG_EEES9_SI_JZNS1_25segmented_radix_sort_implINS0_14default_configELb1EPK12hip_bfloat16PSP_PKlPlN2at6native12_GLOBAL__N_18offset_tEEE10hipError_tPvRmT1_PNSt15iterator_traitsIS13_E10value_typeET2_T3_PNS14_IS19_E10value_typeET4_jRbjT5_S1F_jjP12ihipStream_tbEUljE_ZNSN_ISO_Lb1ESR_SS_SU_SV_SZ_EES10_S11_S12_S13_S17_S18_S19_S1C_S1D_jS1E_jS1F_S1F_jjS1H_bEUljE0_EEES10_S11_S12_S19_S1D_S1F_T6_T7_T9_mT8_S1H_bDpT10_ENKUlT_T0_E_clISt17integral_constantIbLb1EES1V_EEDaS1Q_S1R_EUlS1Q_E_NS1_11comp_targetILNS1_3genE10ELNS1_11target_archE1200ELNS1_3gpuE4ELNS1_3repE0EEENS1_30default_config_static_selectorELNS0_4arch9wavefront6targetE1EEEvS13_
                                        ; -- End function
	.section	.AMDGPU.csdata,"",@progbits
; Kernel info:
; codeLenInByte = 0
; NumSgprs: 4
; NumVgprs: 0
; NumAgprs: 0
; TotalNumVgprs: 0
; ScratchSize: 0
; MemoryBound: 0
; FloatMode: 240
; IeeeMode: 1
; LDSByteSize: 0 bytes/workgroup (compile time only)
; SGPRBlocks: 0
; VGPRBlocks: 0
; NumSGPRsForWavesPerEU: 4
; NumVGPRsForWavesPerEU: 1
; AccumOffset: 4
; Occupancy: 8
; WaveLimiterHint : 0
; COMPUTE_PGM_RSRC2:SCRATCH_EN: 0
; COMPUTE_PGM_RSRC2:USER_SGPR: 6
; COMPUTE_PGM_RSRC2:TRAP_HANDLER: 0
; COMPUTE_PGM_RSRC2:TGID_X_EN: 1
; COMPUTE_PGM_RSRC2:TGID_Y_EN: 0
; COMPUTE_PGM_RSRC2:TGID_Z_EN: 0
; COMPUTE_PGM_RSRC2:TIDIG_COMP_CNT: 0
; COMPUTE_PGM_RSRC3_GFX90A:ACCUM_OFFSET: 0
; COMPUTE_PGM_RSRC3_GFX90A:TG_SPLIT: 0
	.section	.text._ZN7rocprim17ROCPRIM_400000_NS6detail17trampoline_kernelINS0_13select_configILj256ELj13ELNS0_17block_load_methodE3ELS4_3ELS4_3ELNS0_20block_scan_algorithmE0ELj4294967295EEENS1_25partition_config_selectorILNS1_17partition_subalgoE4EjNS0_10empty_typeEbEEZZNS1_14partition_implILS8_4ELb0ES6_15HIP_vector_typeIjLj2EENS0_17counting_iteratorIjlEEPS9_SG_NS0_5tupleIJPjSI_NS0_16reverse_iteratorISI_EEEEENSH_IJSG_SG_SG_EEES9_SI_JZNS1_25segmented_radix_sort_implINS0_14default_configELb1EPK12hip_bfloat16PSP_PKlPlN2at6native12_GLOBAL__N_18offset_tEEE10hipError_tPvRmT1_PNSt15iterator_traitsIS13_E10value_typeET2_T3_PNS14_IS19_E10value_typeET4_jRbjT5_S1F_jjP12ihipStream_tbEUljE_ZNSN_ISO_Lb1ESR_SS_SU_SV_SZ_EES10_S11_S12_S13_S17_S18_S19_S1C_S1D_jS1E_jS1F_S1F_jjS1H_bEUljE0_EEES10_S11_S12_S19_S1D_S1F_T6_T7_T9_mT8_S1H_bDpT10_ENKUlT_T0_E_clISt17integral_constantIbLb1EES1V_EEDaS1Q_S1R_EUlS1Q_E_NS1_11comp_targetILNS1_3genE9ELNS1_11target_archE1100ELNS1_3gpuE3ELNS1_3repE0EEENS1_30default_config_static_selectorELNS0_4arch9wavefront6targetE1EEEvS13_,"axG",@progbits,_ZN7rocprim17ROCPRIM_400000_NS6detail17trampoline_kernelINS0_13select_configILj256ELj13ELNS0_17block_load_methodE3ELS4_3ELS4_3ELNS0_20block_scan_algorithmE0ELj4294967295EEENS1_25partition_config_selectorILNS1_17partition_subalgoE4EjNS0_10empty_typeEbEEZZNS1_14partition_implILS8_4ELb0ES6_15HIP_vector_typeIjLj2EENS0_17counting_iteratorIjlEEPS9_SG_NS0_5tupleIJPjSI_NS0_16reverse_iteratorISI_EEEEENSH_IJSG_SG_SG_EEES9_SI_JZNS1_25segmented_radix_sort_implINS0_14default_configELb1EPK12hip_bfloat16PSP_PKlPlN2at6native12_GLOBAL__N_18offset_tEEE10hipError_tPvRmT1_PNSt15iterator_traitsIS13_E10value_typeET2_T3_PNS14_IS19_E10value_typeET4_jRbjT5_S1F_jjP12ihipStream_tbEUljE_ZNSN_ISO_Lb1ESR_SS_SU_SV_SZ_EES10_S11_S12_S13_S17_S18_S19_S1C_S1D_jS1E_jS1F_S1F_jjS1H_bEUljE0_EEES10_S11_S12_S19_S1D_S1F_T6_T7_T9_mT8_S1H_bDpT10_ENKUlT_T0_E_clISt17integral_constantIbLb1EES1V_EEDaS1Q_S1R_EUlS1Q_E_NS1_11comp_targetILNS1_3genE9ELNS1_11target_archE1100ELNS1_3gpuE3ELNS1_3repE0EEENS1_30default_config_static_selectorELNS0_4arch9wavefront6targetE1EEEvS13_,comdat
	.globl	_ZN7rocprim17ROCPRIM_400000_NS6detail17trampoline_kernelINS0_13select_configILj256ELj13ELNS0_17block_load_methodE3ELS4_3ELS4_3ELNS0_20block_scan_algorithmE0ELj4294967295EEENS1_25partition_config_selectorILNS1_17partition_subalgoE4EjNS0_10empty_typeEbEEZZNS1_14partition_implILS8_4ELb0ES6_15HIP_vector_typeIjLj2EENS0_17counting_iteratorIjlEEPS9_SG_NS0_5tupleIJPjSI_NS0_16reverse_iteratorISI_EEEEENSH_IJSG_SG_SG_EEES9_SI_JZNS1_25segmented_radix_sort_implINS0_14default_configELb1EPK12hip_bfloat16PSP_PKlPlN2at6native12_GLOBAL__N_18offset_tEEE10hipError_tPvRmT1_PNSt15iterator_traitsIS13_E10value_typeET2_T3_PNS14_IS19_E10value_typeET4_jRbjT5_S1F_jjP12ihipStream_tbEUljE_ZNSN_ISO_Lb1ESR_SS_SU_SV_SZ_EES10_S11_S12_S13_S17_S18_S19_S1C_S1D_jS1E_jS1F_S1F_jjS1H_bEUljE0_EEES10_S11_S12_S19_S1D_S1F_T6_T7_T9_mT8_S1H_bDpT10_ENKUlT_T0_E_clISt17integral_constantIbLb1EES1V_EEDaS1Q_S1R_EUlS1Q_E_NS1_11comp_targetILNS1_3genE9ELNS1_11target_archE1100ELNS1_3gpuE3ELNS1_3repE0EEENS1_30default_config_static_selectorELNS0_4arch9wavefront6targetE1EEEvS13_ ; -- Begin function _ZN7rocprim17ROCPRIM_400000_NS6detail17trampoline_kernelINS0_13select_configILj256ELj13ELNS0_17block_load_methodE3ELS4_3ELS4_3ELNS0_20block_scan_algorithmE0ELj4294967295EEENS1_25partition_config_selectorILNS1_17partition_subalgoE4EjNS0_10empty_typeEbEEZZNS1_14partition_implILS8_4ELb0ES6_15HIP_vector_typeIjLj2EENS0_17counting_iteratorIjlEEPS9_SG_NS0_5tupleIJPjSI_NS0_16reverse_iteratorISI_EEEEENSH_IJSG_SG_SG_EEES9_SI_JZNS1_25segmented_radix_sort_implINS0_14default_configELb1EPK12hip_bfloat16PSP_PKlPlN2at6native12_GLOBAL__N_18offset_tEEE10hipError_tPvRmT1_PNSt15iterator_traitsIS13_E10value_typeET2_T3_PNS14_IS19_E10value_typeET4_jRbjT5_S1F_jjP12ihipStream_tbEUljE_ZNSN_ISO_Lb1ESR_SS_SU_SV_SZ_EES10_S11_S12_S13_S17_S18_S19_S1C_S1D_jS1E_jS1F_S1F_jjS1H_bEUljE0_EEES10_S11_S12_S19_S1D_S1F_T6_T7_T9_mT8_S1H_bDpT10_ENKUlT_T0_E_clISt17integral_constantIbLb1EES1V_EEDaS1Q_S1R_EUlS1Q_E_NS1_11comp_targetILNS1_3genE9ELNS1_11target_archE1100ELNS1_3gpuE3ELNS1_3repE0EEENS1_30default_config_static_selectorELNS0_4arch9wavefront6targetE1EEEvS13_
	.p2align	8
	.type	_ZN7rocprim17ROCPRIM_400000_NS6detail17trampoline_kernelINS0_13select_configILj256ELj13ELNS0_17block_load_methodE3ELS4_3ELS4_3ELNS0_20block_scan_algorithmE0ELj4294967295EEENS1_25partition_config_selectorILNS1_17partition_subalgoE4EjNS0_10empty_typeEbEEZZNS1_14partition_implILS8_4ELb0ES6_15HIP_vector_typeIjLj2EENS0_17counting_iteratorIjlEEPS9_SG_NS0_5tupleIJPjSI_NS0_16reverse_iteratorISI_EEEEENSH_IJSG_SG_SG_EEES9_SI_JZNS1_25segmented_radix_sort_implINS0_14default_configELb1EPK12hip_bfloat16PSP_PKlPlN2at6native12_GLOBAL__N_18offset_tEEE10hipError_tPvRmT1_PNSt15iterator_traitsIS13_E10value_typeET2_T3_PNS14_IS19_E10value_typeET4_jRbjT5_S1F_jjP12ihipStream_tbEUljE_ZNSN_ISO_Lb1ESR_SS_SU_SV_SZ_EES10_S11_S12_S13_S17_S18_S19_S1C_S1D_jS1E_jS1F_S1F_jjS1H_bEUljE0_EEES10_S11_S12_S19_S1D_S1F_T6_T7_T9_mT8_S1H_bDpT10_ENKUlT_T0_E_clISt17integral_constantIbLb1EES1V_EEDaS1Q_S1R_EUlS1Q_E_NS1_11comp_targetILNS1_3genE9ELNS1_11target_archE1100ELNS1_3gpuE3ELNS1_3repE0EEENS1_30default_config_static_selectorELNS0_4arch9wavefront6targetE1EEEvS13_,@function
_ZN7rocprim17ROCPRIM_400000_NS6detail17trampoline_kernelINS0_13select_configILj256ELj13ELNS0_17block_load_methodE3ELS4_3ELS4_3ELNS0_20block_scan_algorithmE0ELj4294967295EEENS1_25partition_config_selectorILNS1_17partition_subalgoE4EjNS0_10empty_typeEbEEZZNS1_14partition_implILS8_4ELb0ES6_15HIP_vector_typeIjLj2EENS0_17counting_iteratorIjlEEPS9_SG_NS0_5tupleIJPjSI_NS0_16reverse_iteratorISI_EEEEENSH_IJSG_SG_SG_EEES9_SI_JZNS1_25segmented_radix_sort_implINS0_14default_configELb1EPK12hip_bfloat16PSP_PKlPlN2at6native12_GLOBAL__N_18offset_tEEE10hipError_tPvRmT1_PNSt15iterator_traitsIS13_E10value_typeET2_T3_PNS14_IS19_E10value_typeET4_jRbjT5_S1F_jjP12ihipStream_tbEUljE_ZNSN_ISO_Lb1ESR_SS_SU_SV_SZ_EES10_S11_S12_S13_S17_S18_S19_S1C_S1D_jS1E_jS1F_S1F_jjS1H_bEUljE0_EEES10_S11_S12_S19_S1D_S1F_T6_T7_T9_mT8_S1H_bDpT10_ENKUlT_T0_E_clISt17integral_constantIbLb1EES1V_EEDaS1Q_S1R_EUlS1Q_E_NS1_11comp_targetILNS1_3genE9ELNS1_11target_archE1100ELNS1_3gpuE3ELNS1_3repE0EEENS1_30default_config_static_selectorELNS0_4arch9wavefront6targetE1EEEvS13_: ; @_ZN7rocprim17ROCPRIM_400000_NS6detail17trampoline_kernelINS0_13select_configILj256ELj13ELNS0_17block_load_methodE3ELS4_3ELS4_3ELNS0_20block_scan_algorithmE0ELj4294967295EEENS1_25partition_config_selectorILNS1_17partition_subalgoE4EjNS0_10empty_typeEbEEZZNS1_14partition_implILS8_4ELb0ES6_15HIP_vector_typeIjLj2EENS0_17counting_iteratorIjlEEPS9_SG_NS0_5tupleIJPjSI_NS0_16reverse_iteratorISI_EEEEENSH_IJSG_SG_SG_EEES9_SI_JZNS1_25segmented_radix_sort_implINS0_14default_configELb1EPK12hip_bfloat16PSP_PKlPlN2at6native12_GLOBAL__N_18offset_tEEE10hipError_tPvRmT1_PNSt15iterator_traitsIS13_E10value_typeET2_T3_PNS14_IS19_E10value_typeET4_jRbjT5_S1F_jjP12ihipStream_tbEUljE_ZNSN_ISO_Lb1ESR_SS_SU_SV_SZ_EES10_S11_S12_S13_S17_S18_S19_S1C_S1D_jS1E_jS1F_S1F_jjS1H_bEUljE0_EEES10_S11_S12_S19_S1D_S1F_T6_T7_T9_mT8_S1H_bDpT10_ENKUlT_T0_E_clISt17integral_constantIbLb1EES1V_EEDaS1Q_S1R_EUlS1Q_E_NS1_11comp_targetILNS1_3genE9ELNS1_11target_archE1100ELNS1_3gpuE3ELNS1_3repE0EEENS1_30default_config_static_selectorELNS0_4arch9wavefront6targetE1EEEvS13_
; %bb.0:
	.section	.rodata,"a",@progbits
	.p2align	6, 0x0
	.amdhsa_kernel _ZN7rocprim17ROCPRIM_400000_NS6detail17trampoline_kernelINS0_13select_configILj256ELj13ELNS0_17block_load_methodE3ELS4_3ELS4_3ELNS0_20block_scan_algorithmE0ELj4294967295EEENS1_25partition_config_selectorILNS1_17partition_subalgoE4EjNS0_10empty_typeEbEEZZNS1_14partition_implILS8_4ELb0ES6_15HIP_vector_typeIjLj2EENS0_17counting_iteratorIjlEEPS9_SG_NS0_5tupleIJPjSI_NS0_16reverse_iteratorISI_EEEEENSH_IJSG_SG_SG_EEES9_SI_JZNS1_25segmented_radix_sort_implINS0_14default_configELb1EPK12hip_bfloat16PSP_PKlPlN2at6native12_GLOBAL__N_18offset_tEEE10hipError_tPvRmT1_PNSt15iterator_traitsIS13_E10value_typeET2_T3_PNS14_IS19_E10value_typeET4_jRbjT5_S1F_jjP12ihipStream_tbEUljE_ZNSN_ISO_Lb1ESR_SS_SU_SV_SZ_EES10_S11_S12_S13_S17_S18_S19_S1C_S1D_jS1E_jS1F_S1F_jjS1H_bEUljE0_EEES10_S11_S12_S19_S1D_S1F_T6_T7_T9_mT8_S1H_bDpT10_ENKUlT_T0_E_clISt17integral_constantIbLb1EES1V_EEDaS1Q_S1R_EUlS1Q_E_NS1_11comp_targetILNS1_3genE9ELNS1_11target_archE1100ELNS1_3gpuE3ELNS1_3repE0EEENS1_30default_config_static_selectorELNS0_4arch9wavefront6targetE1EEEvS13_
		.amdhsa_group_segment_fixed_size 0
		.amdhsa_private_segment_fixed_size 0
		.amdhsa_kernarg_size 184
		.amdhsa_user_sgpr_count 6
		.amdhsa_user_sgpr_private_segment_buffer 1
		.amdhsa_user_sgpr_dispatch_ptr 0
		.amdhsa_user_sgpr_queue_ptr 0
		.amdhsa_user_sgpr_kernarg_segment_ptr 1
		.amdhsa_user_sgpr_dispatch_id 0
		.amdhsa_user_sgpr_flat_scratch_init 0
		.amdhsa_user_sgpr_kernarg_preload_length 0
		.amdhsa_user_sgpr_kernarg_preload_offset 0
		.amdhsa_user_sgpr_private_segment_size 0
		.amdhsa_uses_dynamic_stack 0
		.amdhsa_system_sgpr_private_segment_wavefront_offset 0
		.amdhsa_system_sgpr_workgroup_id_x 1
		.amdhsa_system_sgpr_workgroup_id_y 0
		.amdhsa_system_sgpr_workgroup_id_z 0
		.amdhsa_system_sgpr_workgroup_info 0
		.amdhsa_system_vgpr_workitem_id 0
		.amdhsa_next_free_vgpr 1
		.amdhsa_next_free_sgpr 0
		.amdhsa_accum_offset 4
		.amdhsa_reserve_vcc 0
		.amdhsa_reserve_flat_scratch 0
		.amdhsa_float_round_mode_32 0
		.amdhsa_float_round_mode_16_64 0
		.amdhsa_float_denorm_mode_32 3
		.amdhsa_float_denorm_mode_16_64 3
		.amdhsa_dx10_clamp 1
		.amdhsa_ieee_mode 1
		.amdhsa_fp16_overflow 0
		.amdhsa_tg_split 0
		.amdhsa_exception_fp_ieee_invalid_op 0
		.amdhsa_exception_fp_denorm_src 0
		.amdhsa_exception_fp_ieee_div_zero 0
		.amdhsa_exception_fp_ieee_overflow 0
		.amdhsa_exception_fp_ieee_underflow 0
		.amdhsa_exception_fp_ieee_inexact 0
		.amdhsa_exception_int_div_zero 0
	.end_amdhsa_kernel
	.section	.text._ZN7rocprim17ROCPRIM_400000_NS6detail17trampoline_kernelINS0_13select_configILj256ELj13ELNS0_17block_load_methodE3ELS4_3ELS4_3ELNS0_20block_scan_algorithmE0ELj4294967295EEENS1_25partition_config_selectorILNS1_17partition_subalgoE4EjNS0_10empty_typeEbEEZZNS1_14partition_implILS8_4ELb0ES6_15HIP_vector_typeIjLj2EENS0_17counting_iteratorIjlEEPS9_SG_NS0_5tupleIJPjSI_NS0_16reverse_iteratorISI_EEEEENSH_IJSG_SG_SG_EEES9_SI_JZNS1_25segmented_radix_sort_implINS0_14default_configELb1EPK12hip_bfloat16PSP_PKlPlN2at6native12_GLOBAL__N_18offset_tEEE10hipError_tPvRmT1_PNSt15iterator_traitsIS13_E10value_typeET2_T3_PNS14_IS19_E10value_typeET4_jRbjT5_S1F_jjP12ihipStream_tbEUljE_ZNSN_ISO_Lb1ESR_SS_SU_SV_SZ_EES10_S11_S12_S13_S17_S18_S19_S1C_S1D_jS1E_jS1F_S1F_jjS1H_bEUljE0_EEES10_S11_S12_S19_S1D_S1F_T6_T7_T9_mT8_S1H_bDpT10_ENKUlT_T0_E_clISt17integral_constantIbLb1EES1V_EEDaS1Q_S1R_EUlS1Q_E_NS1_11comp_targetILNS1_3genE9ELNS1_11target_archE1100ELNS1_3gpuE3ELNS1_3repE0EEENS1_30default_config_static_selectorELNS0_4arch9wavefront6targetE1EEEvS13_,"axG",@progbits,_ZN7rocprim17ROCPRIM_400000_NS6detail17trampoline_kernelINS0_13select_configILj256ELj13ELNS0_17block_load_methodE3ELS4_3ELS4_3ELNS0_20block_scan_algorithmE0ELj4294967295EEENS1_25partition_config_selectorILNS1_17partition_subalgoE4EjNS0_10empty_typeEbEEZZNS1_14partition_implILS8_4ELb0ES6_15HIP_vector_typeIjLj2EENS0_17counting_iteratorIjlEEPS9_SG_NS0_5tupleIJPjSI_NS0_16reverse_iteratorISI_EEEEENSH_IJSG_SG_SG_EEES9_SI_JZNS1_25segmented_radix_sort_implINS0_14default_configELb1EPK12hip_bfloat16PSP_PKlPlN2at6native12_GLOBAL__N_18offset_tEEE10hipError_tPvRmT1_PNSt15iterator_traitsIS13_E10value_typeET2_T3_PNS14_IS19_E10value_typeET4_jRbjT5_S1F_jjP12ihipStream_tbEUljE_ZNSN_ISO_Lb1ESR_SS_SU_SV_SZ_EES10_S11_S12_S13_S17_S18_S19_S1C_S1D_jS1E_jS1F_S1F_jjS1H_bEUljE0_EEES10_S11_S12_S19_S1D_S1F_T6_T7_T9_mT8_S1H_bDpT10_ENKUlT_T0_E_clISt17integral_constantIbLb1EES1V_EEDaS1Q_S1R_EUlS1Q_E_NS1_11comp_targetILNS1_3genE9ELNS1_11target_archE1100ELNS1_3gpuE3ELNS1_3repE0EEENS1_30default_config_static_selectorELNS0_4arch9wavefront6targetE1EEEvS13_,comdat
.Lfunc_end1894:
	.size	_ZN7rocprim17ROCPRIM_400000_NS6detail17trampoline_kernelINS0_13select_configILj256ELj13ELNS0_17block_load_methodE3ELS4_3ELS4_3ELNS0_20block_scan_algorithmE0ELj4294967295EEENS1_25partition_config_selectorILNS1_17partition_subalgoE4EjNS0_10empty_typeEbEEZZNS1_14partition_implILS8_4ELb0ES6_15HIP_vector_typeIjLj2EENS0_17counting_iteratorIjlEEPS9_SG_NS0_5tupleIJPjSI_NS0_16reverse_iteratorISI_EEEEENSH_IJSG_SG_SG_EEES9_SI_JZNS1_25segmented_radix_sort_implINS0_14default_configELb1EPK12hip_bfloat16PSP_PKlPlN2at6native12_GLOBAL__N_18offset_tEEE10hipError_tPvRmT1_PNSt15iterator_traitsIS13_E10value_typeET2_T3_PNS14_IS19_E10value_typeET4_jRbjT5_S1F_jjP12ihipStream_tbEUljE_ZNSN_ISO_Lb1ESR_SS_SU_SV_SZ_EES10_S11_S12_S13_S17_S18_S19_S1C_S1D_jS1E_jS1F_S1F_jjS1H_bEUljE0_EEES10_S11_S12_S19_S1D_S1F_T6_T7_T9_mT8_S1H_bDpT10_ENKUlT_T0_E_clISt17integral_constantIbLb1EES1V_EEDaS1Q_S1R_EUlS1Q_E_NS1_11comp_targetILNS1_3genE9ELNS1_11target_archE1100ELNS1_3gpuE3ELNS1_3repE0EEENS1_30default_config_static_selectorELNS0_4arch9wavefront6targetE1EEEvS13_, .Lfunc_end1894-_ZN7rocprim17ROCPRIM_400000_NS6detail17trampoline_kernelINS0_13select_configILj256ELj13ELNS0_17block_load_methodE3ELS4_3ELS4_3ELNS0_20block_scan_algorithmE0ELj4294967295EEENS1_25partition_config_selectorILNS1_17partition_subalgoE4EjNS0_10empty_typeEbEEZZNS1_14partition_implILS8_4ELb0ES6_15HIP_vector_typeIjLj2EENS0_17counting_iteratorIjlEEPS9_SG_NS0_5tupleIJPjSI_NS0_16reverse_iteratorISI_EEEEENSH_IJSG_SG_SG_EEES9_SI_JZNS1_25segmented_radix_sort_implINS0_14default_configELb1EPK12hip_bfloat16PSP_PKlPlN2at6native12_GLOBAL__N_18offset_tEEE10hipError_tPvRmT1_PNSt15iterator_traitsIS13_E10value_typeET2_T3_PNS14_IS19_E10value_typeET4_jRbjT5_S1F_jjP12ihipStream_tbEUljE_ZNSN_ISO_Lb1ESR_SS_SU_SV_SZ_EES10_S11_S12_S13_S17_S18_S19_S1C_S1D_jS1E_jS1F_S1F_jjS1H_bEUljE0_EEES10_S11_S12_S19_S1D_S1F_T6_T7_T9_mT8_S1H_bDpT10_ENKUlT_T0_E_clISt17integral_constantIbLb1EES1V_EEDaS1Q_S1R_EUlS1Q_E_NS1_11comp_targetILNS1_3genE9ELNS1_11target_archE1100ELNS1_3gpuE3ELNS1_3repE0EEENS1_30default_config_static_selectorELNS0_4arch9wavefront6targetE1EEEvS13_
                                        ; -- End function
	.section	.AMDGPU.csdata,"",@progbits
; Kernel info:
; codeLenInByte = 0
; NumSgprs: 4
; NumVgprs: 0
; NumAgprs: 0
; TotalNumVgprs: 0
; ScratchSize: 0
; MemoryBound: 0
; FloatMode: 240
; IeeeMode: 1
; LDSByteSize: 0 bytes/workgroup (compile time only)
; SGPRBlocks: 0
; VGPRBlocks: 0
; NumSGPRsForWavesPerEU: 4
; NumVGPRsForWavesPerEU: 1
; AccumOffset: 4
; Occupancy: 8
; WaveLimiterHint : 0
; COMPUTE_PGM_RSRC2:SCRATCH_EN: 0
; COMPUTE_PGM_RSRC2:USER_SGPR: 6
; COMPUTE_PGM_RSRC2:TRAP_HANDLER: 0
; COMPUTE_PGM_RSRC2:TGID_X_EN: 1
; COMPUTE_PGM_RSRC2:TGID_Y_EN: 0
; COMPUTE_PGM_RSRC2:TGID_Z_EN: 0
; COMPUTE_PGM_RSRC2:TIDIG_COMP_CNT: 0
; COMPUTE_PGM_RSRC3_GFX90A:ACCUM_OFFSET: 0
; COMPUTE_PGM_RSRC3_GFX90A:TG_SPLIT: 0
	.section	.text._ZN7rocprim17ROCPRIM_400000_NS6detail17trampoline_kernelINS0_13select_configILj256ELj13ELNS0_17block_load_methodE3ELS4_3ELS4_3ELNS0_20block_scan_algorithmE0ELj4294967295EEENS1_25partition_config_selectorILNS1_17partition_subalgoE4EjNS0_10empty_typeEbEEZZNS1_14partition_implILS8_4ELb0ES6_15HIP_vector_typeIjLj2EENS0_17counting_iteratorIjlEEPS9_SG_NS0_5tupleIJPjSI_NS0_16reverse_iteratorISI_EEEEENSH_IJSG_SG_SG_EEES9_SI_JZNS1_25segmented_radix_sort_implINS0_14default_configELb1EPK12hip_bfloat16PSP_PKlPlN2at6native12_GLOBAL__N_18offset_tEEE10hipError_tPvRmT1_PNSt15iterator_traitsIS13_E10value_typeET2_T3_PNS14_IS19_E10value_typeET4_jRbjT5_S1F_jjP12ihipStream_tbEUljE_ZNSN_ISO_Lb1ESR_SS_SU_SV_SZ_EES10_S11_S12_S13_S17_S18_S19_S1C_S1D_jS1E_jS1F_S1F_jjS1H_bEUljE0_EEES10_S11_S12_S19_S1D_S1F_T6_T7_T9_mT8_S1H_bDpT10_ENKUlT_T0_E_clISt17integral_constantIbLb1EES1V_EEDaS1Q_S1R_EUlS1Q_E_NS1_11comp_targetILNS1_3genE8ELNS1_11target_archE1030ELNS1_3gpuE2ELNS1_3repE0EEENS1_30default_config_static_selectorELNS0_4arch9wavefront6targetE1EEEvS13_,"axG",@progbits,_ZN7rocprim17ROCPRIM_400000_NS6detail17trampoline_kernelINS0_13select_configILj256ELj13ELNS0_17block_load_methodE3ELS4_3ELS4_3ELNS0_20block_scan_algorithmE0ELj4294967295EEENS1_25partition_config_selectorILNS1_17partition_subalgoE4EjNS0_10empty_typeEbEEZZNS1_14partition_implILS8_4ELb0ES6_15HIP_vector_typeIjLj2EENS0_17counting_iteratorIjlEEPS9_SG_NS0_5tupleIJPjSI_NS0_16reverse_iteratorISI_EEEEENSH_IJSG_SG_SG_EEES9_SI_JZNS1_25segmented_radix_sort_implINS0_14default_configELb1EPK12hip_bfloat16PSP_PKlPlN2at6native12_GLOBAL__N_18offset_tEEE10hipError_tPvRmT1_PNSt15iterator_traitsIS13_E10value_typeET2_T3_PNS14_IS19_E10value_typeET4_jRbjT5_S1F_jjP12ihipStream_tbEUljE_ZNSN_ISO_Lb1ESR_SS_SU_SV_SZ_EES10_S11_S12_S13_S17_S18_S19_S1C_S1D_jS1E_jS1F_S1F_jjS1H_bEUljE0_EEES10_S11_S12_S19_S1D_S1F_T6_T7_T9_mT8_S1H_bDpT10_ENKUlT_T0_E_clISt17integral_constantIbLb1EES1V_EEDaS1Q_S1R_EUlS1Q_E_NS1_11comp_targetILNS1_3genE8ELNS1_11target_archE1030ELNS1_3gpuE2ELNS1_3repE0EEENS1_30default_config_static_selectorELNS0_4arch9wavefront6targetE1EEEvS13_,comdat
	.globl	_ZN7rocprim17ROCPRIM_400000_NS6detail17trampoline_kernelINS0_13select_configILj256ELj13ELNS0_17block_load_methodE3ELS4_3ELS4_3ELNS0_20block_scan_algorithmE0ELj4294967295EEENS1_25partition_config_selectorILNS1_17partition_subalgoE4EjNS0_10empty_typeEbEEZZNS1_14partition_implILS8_4ELb0ES6_15HIP_vector_typeIjLj2EENS0_17counting_iteratorIjlEEPS9_SG_NS0_5tupleIJPjSI_NS0_16reverse_iteratorISI_EEEEENSH_IJSG_SG_SG_EEES9_SI_JZNS1_25segmented_radix_sort_implINS0_14default_configELb1EPK12hip_bfloat16PSP_PKlPlN2at6native12_GLOBAL__N_18offset_tEEE10hipError_tPvRmT1_PNSt15iterator_traitsIS13_E10value_typeET2_T3_PNS14_IS19_E10value_typeET4_jRbjT5_S1F_jjP12ihipStream_tbEUljE_ZNSN_ISO_Lb1ESR_SS_SU_SV_SZ_EES10_S11_S12_S13_S17_S18_S19_S1C_S1D_jS1E_jS1F_S1F_jjS1H_bEUljE0_EEES10_S11_S12_S19_S1D_S1F_T6_T7_T9_mT8_S1H_bDpT10_ENKUlT_T0_E_clISt17integral_constantIbLb1EES1V_EEDaS1Q_S1R_EUlS1Q_E_NS1_11comp_targetILNS1_3genE8ELNS1_11target_archE1030ELNS1_3gpuE2ELNS1_3repE0EEENS1_30default_config_static_selectorELNS0_4arch9wavefront6targetE1EEEvS13_ ; -- Begin function _ZN7rocprim17ROCPRIM_400000_NS6detail17trampoline_kernelINS0_13select_configILj256ELj13ELNS0_17block_load_methodE3ELS4_3ELS4_3ELNS0_20block_scan_algorithmE0ELj4294967295EEENS1_25partition_config_selectorILNS1_17partition_subalgoE4EjNS0_10empty_typeEbEEZZNS1_14partition_implILS8_4ELb0ES6_15HIP_vector_typeIjLj2EENS0_17counting_iteratorIjlEEPS9_SG_NS0_5tupleIJPjSI_NS0_16reverse_iteratorISI_EEEEENSH_IJSG_SG_SG_EEES9_SI_JZNS1_25segmented_radix_sort_implINS0_14default_configELb1EPK12hip_bfloat16PSP_PKlPlN2at6native12_GLOBAL__N_18offset_tEEE10hipError_tPvRmT1_PNSt15iterator_traitsIS13_E10value_typeET2_T3_PNS14_IS19_E10value_typeET4_jRbjT5_S1F_jjP12ihipStream_tbEUljE_ZNSN_ISO_Lb1ESR_SS_SU_SV_SZ_EES10_S11_S12_S13_S17_S18_S19_S1C_S1D_jS1E_jS1F_S1F_jjS1H_bEUljE0_EEES10_S11_S12_S19_S1D_S1F_T6_T7_T9_mT8_S1H_bDpT10_ENKUlT_T0_E_clISt17integral_constantIbLb1EES1V_EEDaS1Q_S1R_EUlS1Q_E_NS1_11comp_targetILNS1_3genE8ELNS1_11target_archE1030ELNS1_3gpuE2ELNS1_3repE0EEENS1_30default_config_static_selectorELNS0_4arch9wavefront6targetE1EEEvS13_
	.p2align	8
	.type	_ZN7rocprim17ROCPRIM_400000_NS6detail17trampoline_kernelINS0_13select_configILj256ELj13ELNS0_17block_load_methodE3ELS4_3ELS4_3ELNS0_20block_scan_algorithmE0ELj4294967295EEENS1_25partition_config_selectorILNS1_17partition_subalgoE4EjNS0_10empty_typeEbEEZZNS1_14partition_implILS8_4ELb0ES6_15HIP_vector_typeIjLj2EENS0_17counting_iteratorIjlEEPS9_SG_NS0_5tupleIJPjSI_NS0_16reverse_iteratorISI_EEEEENSH_IJSG_SG_SG_EEES9_SI_JZNS1_25segmented_radix_sort_implINS0_14default_configELb1EPK12hip_bfloat16PSP_PKlPlN2at6native12_GLOBAL__N_18offset_tEEE10hipError_tPvRmT1_PNSt15iterator_traitsIS13_E10value_typeET2_T3_PNS14_IS19_E10value_typeET4_jRbjT5_S1F_jjP12ihipStream_tbEUljE_ZNSN_ISO_Lb1ESR_SS_SU_SV_SZ_EES10_S11_S12_S13_S17_S18_S19_S1C_S1D_jS1E_jS1F_S1F_jjS1H_bEUljE0_EEES10_S11_S12_S19_S1D_S1F_T6_T7_T9_mT8_S1H_bDpT10_ENKUlT_T0_E_clISt17integral_constantIbLb1EES1V_EEDaS1Q_S1R_EUlS1Q_E_NS1_11comp_targetILNS1_3genE8ELNS1_11target_archE1030ELNS1_3gpuE2ELNS1_3repE0EEENS1_30default_config_static_selectorELNS0_4arch9wavefront6targetE1EEEvS13_,@function
_ZN7rocprim17ROCPRIM_400000_NS6detail17trampoline_kernelINS0_13select_configILj256ELj13ELNS0_17block_load_methodE3ELS4_3ELS4_3ELNS0_20block_scan_algorithmE0ELj4294967295EEENS1_25partition_config_selectorILNS1_17partition_subalgoE4EjNS0_10empty_typeEbEEZZNS1_14partition_implILS8_4ELb0ES6_15HIP_vector_typeIjLj2EENS0_17counting_iteratorIjlEEPS9_SG_NS0_5tupleIJPjSI_NS0_16reverse_iteratorISI_EEEEENSH_IJSG_SG_SG_EEES9_SI_JZNS1_25segmented_radix_sort_implINS0_14default_configELb1EPK12hip_bfloat16PSP_PKlPlN2at6native12_GLOBAL__N_18offset_tEEE10hipError_tPvRmT1_PNSt15iterator_traitsIS13_E10value_typeET2_T3_PNS14_IS19_E10value_typeET4_jRbjT5_S1F_jjP12ihipStream_tbEUljE_ZNSN_ISO_Lb1ESR_SS_SU_SV_SZ_EES10_S11_S12_S13_S17_S18_S19_S1C_S1D_jS1E_jS1F_S1F_jjS1H_bEUljE0_EEES10_S11_S12_S19_S1D_S1F_T6_T7_T9_mT8_S1H_bDpT10_ENKUlT_T0_E_clISt17integral_constantIbLb1EES1V_EEDaS1Q_S1R_EUlS1Q_E_NS1_11comp_targetILNS1_3genE8ELNS1_11target_archE1030ELNS1_3gpuE2ELNS1_3repE0EEENS1_30default_config_static_selectorELNS0_4arch9wavefront6targetE1EEEvS13_: ; @_ZN7rocprim17ROCPRIM_400000_NS6detail17trampoline_kernelINS0_13select_configILj256ELj13ELNS0_17block_load_methodE3ELS4_3ELS4_3ELNS0_20block_scan_algorithmE0ELj4294967295EEENS1_25partition_config_selectorILNS1_17partition_subalgoE4EjNS0_10empty_typeEbEEZZNS1_14partition_implILS8_4ELb0ES6_15HIP_vector_typeIjLj2EENS0_17counting_iteratorIjlEEPS9_SG_NS0_5tupleIJPjSI_NS0_16reverse_iteratorISI_EEEEENSH_IJSG_SG_SG_EEES9_SI_JZNS1_25segmented_radix_sort_implINS0_14default_configELb1EPK12hip_bfloat16PSP_PKlPlN2at6native12_GLOBAL__N_18offset_tEEE10hipError_tPvRmT1_PNSt15iterator_traitsIS13_E10value_typeET2_T3_PNS14_IS19_E10value_typeET4_jRbjT5_S1F_jjP12ihipStream_tbEUljE_ZNSN_ISO_Lb1ESR_SS_SU_SV_SZ_EES10_S11_S12_S13_S17_S18_S19_S1C_S1D_jS1E_jS1F_S1F_jjS1H_bEUljE0_EEES10_S11_S12_S19_S1D_S1F_T6_T7_T9_mT8_S1H_bDpT10_ENKUlT_T0_E_clISt17integral_constantIbLb1EES1V_EEDaS1Q_S1R_EUlS1Q_E_NS1_11comp_targetILNS1_3genE8ELNS1_11target_archE1030ELNS1_3gpuE2ELNS1_3repE0EEENS1_30default_config_static_selectorELNS0_4arch9wavefront6targetE1EEEvS13_
; %bb.0:
	.section	.rodata,"a",@progbits
	.p2align	6, 0x0
	.amdhsa_kernel _ZN7rocprim17ROCPRIM_400000_NS6detail17trampoline_kernelINS0_13select_configILj256ELj13ELNS0_17block_load_methodE3ELS4_3ELS4_3ELNS0_20block_scan_algorithmE0ELj4294967295EEENS1_25partition_config_selectorILNS1_17partition_subalgoE4EjNS0_10empty_typeEbEEZZNS1_14partition_implILS8_4ELb0ES6_15HIP_vector_typeIjLj2EENS0_17counting_iteratorIjlEEPS9_SG_NS0_5tupleIJPjSI_NS0_16reverse_iteratorISI_EEEEENSH_IJSG_SG_SG_EEES9_SI_JZNS1_25segmented_radix_sort_implINS0_14default_configELb1EPK12hip_bfloat16PSP_PKlPlN2at6native12_GLOBAL__N_18offset_tEEE10hipError_tPvRmT1_PNSt15iterator_traitsIS13_E10value_typeET2_T3_PNS14_IS19_E10value_typeET4_jRbjT5_S1F_jjP12ihipStream_tbEUljE_ZNSN_ISO_Lb1ESR_SS_SU_SV_SZ_EES10_S11_S12_S13_S17_S18_S19_S1C_S1D_jS1E_jS1F_S1F_jjS1H_bEUljE0_EEES10_S11_S12_S19_S1D_S1F_T6_T7_T9_mT8_S1H_bDpT10_ENKUlT_T0_E_clISt17integral_constantIbLb1EES1V_EEDaS1Q_S1R_EUlS1Q_E_NS1_11comp_targetILNS1_3genE8ELNS1_11target_archE1030ELNS1_3gpuE2ELNS1_3repE0EEENS1_30default_config_static_selectorELNS0_4arch9wavefront6targetE1EEEvS13_
		.amdhsa_group_segment_fixed_size 0
		.amdhsa_private_segment_fixed_size 0
		.amdhsa_kernarg_size 184
		.amdhsa_user_sgpr_count 6
		.amdhsa_user_sgpr_private_segment_buffer 1
		.amdhsa_user_sgpr_dispatch_ptr 0
		.amdhsa_user_sgpr_queue_ptr 0
		.amdhsa_user_sgpr_kernarg_segment_ptr 1
		.amdhsa_user_sgpr_dispatch_id 0
		.amdhsa_user_sgpr_flat_scratch_init 0
		.amdhsa_user_sgpr_kernarg_preload_length 0
		.amdhsa_user_sgpr_kernarg_preload_offset 0
		.amdhsa_user_sgpr_private_segment_size 0
		.amdhsa_uses_dynamic_stack 0
		.amdhsa_system_sgpr_private_segment_wavefront_offset 0
		.amdhsa_system_sgpr_workgroup_id_x 1
		.amdhsa_system_sgpr_workgroup_id_y 0
		.amdhsa_system_sgpr_workgroup_id_z 0
		.amdhsa_system_sgpr_workgroup_info 0
		.amdhsa_system_vgpr_workitem_id 0
		.amdhsa_next_free_vgpr 1
		.amdhsa_next_free_sgpr 0
		.amdhsa_accum_offset 4
		.amdhsa_reserve_vcc 0
		.amdhsa_reserve_flat_scratch 0
		.amdhsa_float_round_mode_32 0
		.amdhsa_float_round_mode_16_64 0
		.amdhsa_float_denorm_mode_32 3
		.amdhsa_float_denorm_mode_16_64 3
		.amdhsa_dx10_clamp 1
		.amdhsa_ieee_mode 1
		.amdhsa_fp16_overflow 0
		.amdhsa_tg_split 0
		.amdhsa_exception_fp_ieee_invalid_op 0
		.amdhsa_exception_fp_denorm_src 0
		.amdhsa_exception_fp_ieee_div_zero 0
		.amdhsa_exception_fp_ieee_overflow 0
		.amdhsa_exception_fp_ieee_underflow 0
		.amdhsa_exception_fp_ieee_inexact 0
		.amdhsa_exception_int_div_zero 0
	.end_amdhsa_kernel
	.section	.text._ZN7rocprim17ROCPRIM_400000_NS6detail17trampoline_kernelINS0_13select_configILj256ELj13ELNS0_17block_load_methodE3ELS4_3ELS4_3ELNS0_20block_scan_algorithmE0ELj4294967295EEENS1_25partition_config_selectorILNS1_17partition_subalgoE4EjNS0_10empty_typeEbEEZZNS1_14partition_implILS8_4ELb0ES6_15HIP_vector_typeIjLj2EENS0_17counting_iteratorIjlEEPS9_SG_NS0_5tupleIJPjSI_NS0_16reverse_iteratorISI_EEEEENSH_IJSG_SG_SG_EEES9_SI_JZNS1_25segmented_radix_sort_implINS0_14default_configELb1EPK12hip_bfloat16PSP_PKlPlN2at6native12_GLOBAL__N_18offset_tEEE10hipError_tPvRmT1_PNSt15iterator_traitsIS13_E10value_typeET2_T3_PNS14_IS19_E10value_typeET4_jRbjT5_S1F_jjP12ihipStream_tbEUljE_ZNSN_ISO_Lb1ESR_SS_SU_SV_SZ_EES10_S11_S12_S13_S17_S18_S19_S1C_S1D_jS1E_jS1F_S1F_jjS1H_bEUljE0_EEES10_S11_S12_S19_S1D_S1F_T6_T7_T9_mT8_S1H_bDpT10_ENKUlT_T0_E_clISt17integral_constantIbLb1EES1V_EEDaS1Q_S1R_EUlS1Q_E_NS1_11comp_targetILNS1_3genE8ELNS1_11target_archE1030ELNS1_3gpuE2ELNS1_3repE0EEENS1_30default_config_static_selectorELNS0_4arch9wavefront6targetE1EEEvS13_,"axG",@progbits,_ZN7rocprim17ROCPRIM_400000_NS6detail17trampoline_kernelINS0_13select_configILj256ELj13ELNS0_17block_load_methodE3ELS4_3ELS4_3ELNS0_20block_scan_algorithmE0ELj4294967295EEENS1_25partition_config_selectorILNS1_17partition_subalgoE4EjNS0_10empty_typeEbEEZZNS1_14partition_implILS8_4ELb0ES6_15HIP_vector_typeIjLj2EENS0_17counting_iteratorIjlEEPS9_SG_NS0_5tupleIJPjSI_NS0_16reverse_iteratorISI_EEEEENSH_IJSG_SG_SG_EEES9_SI_JZNS1_25segmented_radix_sort_implINS0_14default_configELb1EPK12hip_bfloat16PSP_PKlPlN2at6native12_GLOBAL__N_18offset_tEEE10hipError_tPvRmT1_PNSt15iterator_traitsIS13_E10value_typeET2_T3_PNS14_IS19_E10value_typeET4_jRbjT5_S1F_jjP12ihipStream_tbEUljE_ZNSN_ISO_Lb1ESR_SS_SU_SV_SZ_EES10_S11_S12_S13_S17_S18_S19_S1C_S1D_jS1E_jS1F_S1F_jjS1H_bEUljE0_EEES10_S11_S12_S19_S1D_S1F_T6_T7_T9_mT8_S1H_bDpT10_ENKUlT_T0_E_clISt17integral_constantIbLb1EES1V_EEDaS1Q_S1R_EUlS1Q_E_NS1_11comp_targetILNS1_3genE8ELNS1_11target_archE1030ELNS1_3gpuE2ELNS1_3repE0EEENS1_30default_config_static_selectorELNS0_4arch9wavefront6targetE1EEEvS13_,comdat
.Lfunc_end1895:
	.size	_ZN7rocprim17ROCPRIM_400000_NS6detail17trampoline_kernelINS0_13select_configILj256ELj13ELNS0_17block_load_methodE3ELS4_3ELS4_3ELNS0_20block_scan_algorithmE0ELj4294967295EEENS1_25partition_config_selectorILNS1_17partition_subalgoE4EjNS0_10empty_typeEbEEZZNS1_14partition_implILS8_4ELb0ES6_15HIP_vector_typeIjLj2EENS0_17counting_iteratorIjlEEPS9_SG_NS0_5tupleIJPjSI_NS0_16reverse_iteratorISI_EEEEENSH_IJSG_SG_SG_EEES9_SI_JZNS1_25segmented_radix_sort_implINS0_14default_configELb1EPK12hip_bfloat16PSP_PKlPlN2at6native12_GLOBAL__N_18offset_tEEE10hipError_tPvRmT1_PNSt15iterator_traitsIS13_E10value_typeET2_T3_PNS14_IS19_E10value_typeET4_jRbjT5_S1F_jjP12ihipStream_tbEUljE_ZNSN_ISO_Lb1ESR_SS_SU_SV_SZ_EES10_S11_S12_S13_S17_S18_S19_S1C_S1D_jS1E_jS1F_S1F_jjS1H_bEUljE0_EEES10_S11_S12_S19_S1D_S1F_T6_T7_T9_mT8_S1H_bDpT10_ENKUlT_T0_E_clISt17integral_constantIbLb1EES1V_EEDaS1Q_S1R_EUlS1Q_E_NS1_11comp_targetILNS1_3genE8ELNS1_11target_archE1030ELNS1_3gpuE2ELNS1_3repE0EEENS1_30default_config_static_selectorELNS0_4arch9wavefront6targetE1EEEvS13_, .Lfunc_end1895-_ZN7rocprim17ROCPRIM_400000_NS6detail17trampoline_kernelINS0_13select_configILj256ELj13ELNS0_17block_load_methodE3ELS4_3ELS4_3ELNS0_20block_scan_algorithmE0ELj4294967295EEENS1_25partition_config_selectorILNS1_17partition_subalgoE4EjNS0_10empty_typeEbEEZZNS1_14partition_implILS8_4ELb0ES6_15HIP_vector_typeIjLj2EENS0_17counting_iteratorIjlEEPS9_SG_NS0_5tupleIJPjSI_NS0_16reverse_iteratorISI_EEEEENSH_IJSG_SG_SG_EEES9_SI_JZNS1_25segmented_radix_sort_implINS0_14default_configELb1EPK12hip_bfloat16PSP_PKlPlN2at6native12_GLOBAL__N_18offset_tEEE10hipError_tPvRmT1_PNSt15iterator_traitsIS13_E10value_typeET2_T3_PNS14_IS19_E10value_typeET4_jRbjT5_S1F_jjP12ihipStream_tbEUljE_ZNSN_ISO_Lb1ESR_SS_SU_SV_SZ_EES10_S11_S12_S13_S17_S18_S19_S1C_S1D_jS1E_jS1F_S1F_jjS1H_bEUljE0_EEES10_S11_S12_S19_S1D_S1F_T6_T7_T9_mT8_S1H_bDpT10_ENKUlT_T0_E_clISt17integral_constantIbLb1EES1V_EEDaS1Q_S1R_EUlS1Q_E_NS1_11comp_targetILNS1_3genE8ELNS1_11target_archE1030ELNS1_3gpuE2ELNS1_3repE0EEENS1_30default_config_static_selectorELNS0_4arch9wavefront6targetE1EEEvS13_
                                        ; -- End function
	.section	.AMDGPU.csdata,"",@progbits
; Kernel info:
; codeLenInByte = 0
; NumSgprs: 4
; NumVgprs: 0
; NumAgprs: 0
; TotalNumVgprs: 0
; ScratchSize: 0
; MemoryBound: 0
; FloatMode: 240
; IeeeMode: 1
; LDSByteSize: 0 bytes/workgroup (compile time only)
; SGPRBlocks: 0
; VGPRBlocks: 0
; NumSGPRsForWavesPerEU: 4
; NumVGPRsForWavesPerEU: 1
; AccumOffset: 4
; Occupancy: 8
; WaveLimiterHint : 0
; COMPUTE_PGM_RSRC2:SCRATCH_EN: 0
; COMPUTE_PGM_RSRC2:USER_SGPR: 6
; COMPUTE_PGM_RSRC2:TRAP_HANDLER: 0
; COMPUTE_PGM_RSRC2:TGID_X_EN: 1
; COMPUTE_PGM_RSRC2:TGID_Y_EN: 0
; COMPUTE_PGM_RSRC2:TGID_Z_EN: 0
; COMPUTE_PGM_RSRC2:TIDIG_COMP_CNT: 0
; COMPUTE_PGM_RSRC3_GFX90A:ACCUM_OFFSET: 0
; COMPUTE_PGM_RSRC3_GFX90A:TG_SPLIT: 0
	.section	.text._ZN7rocprim17ROCPRIM_400000_NS6detail17trampoline_kernelINS0_13select_configILj256ELj13ELNS0_17block_load_methodE3ELS4_3ELS4_3ELNS0_20block_scan_algorithmE0ELj4294967295EEENS1_25partition_config_selectorILNS1_17partition_subalgoE4EjNS0_10empty_typeEbEEZZNS1_14partition_implILS8_4ELb0ES6_15HIP_vector_typeIjLj2EENS0_17counting_iteratorIjlEEPS9_SG_NS0_5tupleIJPjSI_NS0_16reverse_iteratorISI_EEEEENSH_IJSG_SG_SG_EEES9_SI_JZNS1_25segmented_radix_sort_implINS0_14default_configELb1EPK12hip_bfloat16PSP_PKlPlN2at6native12_GLOBAL__N_18offset_tEEE10hipError_tPvRmT1_PNSt15iterator_traitsIS13_E10value_typeET2_T3_PNS14_IS19_E10value_typeET4_jRbjT5_S1F_jjP12ihipStream_tbEUljE_ZNSN_ISO_Lb1ESR_SS_SU_SV_SZ_EES10_S11_S12_S13_S17_S18_S19_S1C_S1D_jS1E_jS1F_S1F_jjS1H_bEUljE0_EEES10_S11_S12_S19_S1D_S1F_T6_T7_T9_mT8_S1H_bDpT10_ENKUlT_T0_E_clISt17integral_constantIbLb1EES1U_IbLb0EEEEDaS1Q_S1R_EUlS1Q_E_NS1_11comp_targetILNS1_3genE0ELNS1_11target_archE4294967295ELNS1_3gpuE0ELNS1_3repE0EEENS1_30default_config_static_selectorELNS0_4arch9wavefront6targetE1EEEvS13_,"axG",@progbits,_ZN7rocprim17ROCPRIM_400000_NS6detail17trampoline_kernelINS0_13select_configILj256ELj13ELNS0_17block_load_methodE3ELS4_3ELS4_3ELNS0_20block_scan_algorithmE0ELj4294967295EEENS1_25partition_config_selectorILNS1_17partition_subalgoE4EjNS0_10empty_typeEbEEZZNS1_14partition_implILS8_4ELb0ES6_15HIP_vector_typeIjLj2EENS0_17counting_iteratorIjlEEPS9_SG_NS0_5tupleIJPjSI_NS0_16reverse_iteratorISI_EEEEENSH_IJSG_SG_SG_EEES9_SI_JZNS1_25segmented_radix_sort_implINS0_14default_configELb1EPK12hip_bfloat16PSP_PKlPlN2at6native12_GLOBAL__N_18offset_tEEE10hipError_tPvRmT1_PNSt15iterator_traitsIS13_E10value_typeET2_T3_PNS14_IS19_E10value_typeET4_jRbjT5_S1F_jjP12ihipStream_tbEUljE_ZNSN_ISO_Lb1ESR_SS_SU_SV_SZ_EES10_S11_S12_S13_S17_S18_S19_S1C_S1D_jS1E_jS1F_S1F_jjS1H_bEUljE0_EEES10_S11_S12_S19_S1D_S1F_T6_T7_T9_mT8_S1H_bDpT10_ENKUlT_T0_E_clISt17integral_constantIbLb1EES1U_IbLb0EEEEDaS1Q_S1R_EUlS1Q_E_NS1_11comp_targetILNS1_3genE0ELNS1_11target_archE4294967295ELNS1_3gpuE0ELNS1_3repE0EEENS1_30default_config_static_selectorELNS0_4arch9wavefront6targetE1EEEvS13_,comdat
	.globl	_ZN7rocprim17ROCPRIM_400000_NS6detail17trampoline_kernelINS0_13select_configILj256ELj13ELNS0_17block_load_methodE3ELS4_3ELS4_3ELNS0_20block_scan_algorithmE0ELj4294967295EEENS1_25partition_config_selectorILNS1_17partition_subalgoE4EjNS0_10empty_typeEbEEZZNS1_14partition_implILS8_4ELb0ES6_15HIP_vector_typeIjLj2EENS0_17counting_iteratorIjlEEPS9_SG_NS0_5tupleIJPjSI_NS0_16reverse_iteratorISI_EEEEENSH_IJSG_SG_SG_EEES9_SI_JZNS1_25segmented_radix_sort_implINS0_14default_configELb1EPK12hip_bfloat16PSP_PKlPlN2at6native12_GLOBAL__N_18offset_tEEE10hipError_tPvRmT1_PNSt15iterator_traitsIS13_E10value_typeET2_T3_PNS14_IS19_E10value_typeET4_jRbjT5_S1F_jjP12ihipStream_tbEUljE_ZNSN_ISO_Lb1ESR_SS_SU_SV_SZ_EES10_S11_S12_S13_S17_S18_S19_S1C_S1D_jS1E_jS1F_S1F_jjS1H_bEUljE0_EEES10_S11_S12_S19_S1D_S1F_T6_T7_T9_mT8_S1H_bDpT10_ENKUlT_T0_E_clISt17integral_constantIbLb1EES1U_IbLb0EEEEDaS1Q_S1R_EUlS1Q_E_NS1_11comp_targetILNS1_3genE0ELNS1_11target_archE4294967295ELNS1_3gpuE0ELNS1_3repE0EEENS1_30default_config_static_selectorELNS0_4arch9wavefront6targetE1EEEvS13_ ; -- Begin function _ZN7rocprim17ROCPRIM_400000_NS6detail17trampoline_kernelINS0_13select_configILj256ELj13ELNS0_17block_load_methodE3ELS4_3ELS4_3ELNS0_20block_scan_algorithmE0ELj4294967295EEENS1_25partition_config_selectorILNS1_17partition_subalgoE4EjNS0_10empty_typeEbEEZZNS1_14partition_implILS8_4ELb0ES6_15HIP_vector_typeIjLj2EENS0_17counting_iteratorIjlEEPS9_SG_NS0_5tupleIJPjSI_NS0_16reverse_iteratorISI_EEEEENSH_IJSG_SG_SG_EEES9_SI_JZNS1_25segmented_radix_sort_implINS0_14default_configELb1EPK12hip_bfloat16PSP_PKlPlN2at6native12_GLOBAL__N_18offset_tEEE10hipError_tPvRmT1_PNSt15iterator_traitsIS13_E10value_typeET2_T3_PNS14_IS19_E10value_typeET4_jRbjT5_S1F_jjP12ihipStream_tbEUljE_ZNSN_ISO_Lb1ESR_SS_SU_SV_SZ_EES10_S11_S12_S13_S17_S18_S19_S1C_S1D_jS1E_jS1F_S1F_jjS1H_bEUljE0_EEES10_S11_S12_S19_S1D_S1F_T6_T7_T9_mT8_S1H_bDpT10_ENKUlT_T0_E_clISt17integral_constantIbLb1EES1U_IbLb0EEEEDaS1Q_S1R_EUlS1Q_E_NS1_11comp_targetILNS1_3genE0ELNS1_11target_archE4294967295ELNS1_3gpuE0ELNS1_3repE0EEENS1_30default_config_static_selectorELNS0_4arch9wavefront6targetE1EEEvS13_
	.p2align	8
	.type	_ZN7rocprim17ROCPRIM_400000_NS6detail17trampoline_kernelINS0_13select_configILj256ELj13ELNS0_17block_load_methodE3ELS4_3ELS4_3ELNS0_20block_scan_algorithmE0ELj4294967295EEENS1_25partition_config_selectorILNS1_17partition_subalgoE4EjNS0_10empty_typeEbEEZZNS1_14partition_implILS8_4ELb0ES6_15HIP_vector_typeIjLj2EENS0_17counting_iteratorIjlEEPS9_SG_NS0_5tupleIJPjSI_NS0_16reverse_iteratorISI_EEEEENSH_IJSG_SG_SG_EEES9_SI_JZNS1_25segmented_radix_sort_implINS0_14default_configELb1EPK12hip_bfloat16PSP_PKlPlN2at6native12_GLOBAL__N_18offset_tEEE10hipError_tPvRmT1_PNSt15iterator_traitsIS13_E10value_typeET2_T3_PNS14_IS19_E10value_typeET4_jRbjT5_S1F_jjP12ihipStream_tbEUljE_ZNSN_ISO_Lb1ESR_SS_SU_SV_SZ_EES10_S11_S12_S13_S17_S18_S19_S1C_S1D_jS1E_jS1F_S1F_jjS1H_bEUljE0_EEES10_S11_S12_S19_S1D_S1F_T6_T7_T9_mT8_S1H_bDpT10_ENKUlT_T0_E_clISt17integral_constantIbLb1EES1U_IbLb0EEEEDaS1Q_S1R_EUlS1Q_E_NS1_11comp_targetILNS1_3genE0ELNS1_11target_archE4294967295ELNS1_3gpuE0ELNS1_3repE0EEENS1_30default_config_static_selectorELNS0_4arch9wavefront6targetE1EEEvS13_,@function
_ZN7rocprim17ROCPRIM_400000_NS6detail17trampoline_kernelINS0_13select_configILj256ELj13ELNS0_17block_load_methodE3ELS4_3ELS4_3ELNS0_20block_scan_algorithmE0ELj4294967295EEENS1_25partition_config_selectorILNS1_17partition_subalgoE4EjNS0_10empty_typeEbEEZZNS1_14partition_implILS8_4ELb0ES6_15HIP_vector_typeIjLj2EENS0_17counting_iteratorIjlEEPS9_SG_NS0_5tupleIJPjSI_NS0_16reverse_iteratorISI_EEEEENSH_IJSG_SG_SG_EEES9_SI_JZNS1_25segmented_radix_sort_implINS0_14default_configELb1EPK12hip_bfloat16PSP_PKlPlN2at6native12_GLOBAL__N_18offset_tEEE10hipError_tPvRmT1_PNSt15iterator_traitsIS13_E10value_typeET2_T3_PNS14_IS19_E10value_typeET4_jRbjT5_S1F_jjP12ihipStream_tbEUljE_ZNSN_ISO_Lb1ESR_SS_SU_SV_SZ_EES10_S11_S12_S13_S17_S18_S19_S1C_S1D_jS1E_jS1F_S1F_jjS1H_bEUljE0_EEES10_S11_S12_S19_S1D_S1F_T6_T7_T9_mT8_S1H_bDpT10_ENKUlT_T0_E_clISt17integral_constantIbLb1EES1U_IbLb0EEEEDaS1Q_S1R_EUlS1Q_E_NS1_11comp_targetILNS1_3genE0ELNS1_11target_archE4294967295ELNS1_3gpuE0ELNS1_3repE0EEENS1_30default_config_static_selectorELNS0_4arch9wavefront6targetE1EEEvS13_: ; @_ZN7rocprim17ROCPRIM_400000_NS6detail17trampoline_kernelINS0_13select_configILj256ELj13ELNS0_17block_load_methodE3ELS4_3ELS4_3ELNS0_20block_scan_algorithmE0ELj4294967295EEENS1_25partition_config_selectorILNS1_17partition_subalgoE4EjNS0_10empty_typeEbEEZZNS1_14partition_implILS8_4ELb0ES6_15HIP_vector_typeIjLj2EENS0_17counting_iteratorIjlEEPS9_SG_NS0_5tupleIJPjSI_NS0_16reverse_iteratorISI_EEEEENSH_IJSG_SG_SG_EEES9_SI_JZNS1_25segmented_radix_sort_implINS0_14default_configELb1EPK12hip_bfloat16PSP_PKlPlN2at6native12_GLOBAL__N_18offset_tEEE10hipError_tPvRmT1_PNSt15iterator_traitsIS13_E10value_typeET2_T3_PNS14_IS19_E10value_typeET4_jRbjT5_S1F_jjP12ihipStream_tbEUljE_ZNSN_ISO_Lb1ESR_SS_SU_SV_SZ_EES10_S11_S12_S13_S17_S18_S19_S1C_S1D_jS1E_jS1F_S1F_jjS1H_bEUljE0_EEES10_S11_S12_S19_S1D_S1F_T6_T7_T9_mT8_S1H_bDpT10_ENKUlT_T0_E_clISt17integral_constantIbLb1EES1U_IbLb0EEEEDaS1Q_S1R_EUlS1Q_E_NS1_11comp_targetILNS1_3genE0ELNS1_11target_archE4294967295ELNS1_3gpuE0ELNS1_3repE0EEENS1_30default_config_static_selectorELNS0_4arch9wavefront6targetE1EEEvS13_
; %bb.0:
	.section	.rodata,"a",@progbits
	.p2align	6, 0x0
	.amdhsa_kernel _ZN7rocprim17ROCPRIM_400000_NS6detail17trampoline_kernelINS0_13select_configILj256ELj13ELNS0_17block_load_methodE3ELS4_3ELS4_3ELNS0_20block_scan_algorithmE0ELj4294967295EEENS1_25partition_config_selectorILNS1_17partition_subalgoE4EjNS0_10empty_typeEbEEZZNS1_14partition_implILS8_4ELb0ES6_15HIP_vector_typeIjLj2EENS0_17counting_iteratorIjlEEPS9_SG_NS0_5tupleIJPjSI_NS0_16reverse_iteratorISI_EEEEENSH_IJSG_SG_SG_EEES9_SI_JZNS1_25segmented_radix_sort_implINS0_14default_configELb1EPK12hip_bfloat16PSP_PKlPlN2at6native12_GLOBAL__N_18offset_tEEE10hipError_tPvRmT1_PNSt15iterator_traitsIS13_E10value_typeET2_T3_PNS14_IS19_E10value_typeET4_jRbjT5_S1F_jjP12ihipStream_tbEUljE_ZNSN_ISO_Lb1ESR_SS_SU_SV_SZ_EES10_S11_S12_S13_S17_S18_S19_S1C_S1D_jS1E_jS1F_S1F_jjS1H_bEUljE0_EEES10_S11_S12_S19_S1D_S1F_T6_T7_T9_mT8_S1H_bDpT10_ENKUlT_T0_E_clISt17integral_constantIbLb1EES1U_IbLb0EEEEDaS1Q_S1R_EUlS1Q_E_NS1_11comp_targetILNS1_3genE0ELNS1_11target_archE4294967295ELNS1_3gpuE0ELNS1_3repE0EEENS1_30default_config_static_selectorELNS0_4arch9wavefront6targetE1EEEvS13_
		.amdhsa_group_segment_fixed_size 0
		.amdhsa_private_segment_fixed_size 0
		.amdhsa_kernarg_size 176
		.amdhsa_user_sgpr_count 6
		.amdhsa_user_sgpr_private_segment_buffer 1
		.amdhsa_user_sgpr_dispatch_ptr 0
		.amdhsa_user_sgpr_queue_ptr 0
		.amdhsa_user_sgpr_kernarg_segment_ptr 1
		.amdhsa_user_sgpr_dispatch_id 0
		.amdhsa_user_sgpr_flat_scratch_init 0
		.amdhsa_user_sgpr_kernarg_preload_length 0
		.amdhsa_user_sgpr_kernarg_preload_offset 0
		.amdhsa_user_sgpr_private_segment_size 0
		.amdhsa_uses_dynamic_stack 0
		.amdhsa_system_sgpr_private_segment_wavefront_offset 0
		.amdhsa_system_sgpr_workgroup_id_x 1
		.amdhsa_system_sgpr_workgroup_id_y 0
		.amdhsa_system_sgpr_workgroup_id_z 0
		.amdhsa_system_sgpr_workgroup_info 0
		.amdhsa_system_vgpr_workitem_id 0
		.amdhsa_next_free_vgpr 1
		.amdhsa_next_free_sgpr 0
		.amdhsa_accum_offset 4
		.amdhsa_reserve_vcc 0
		.amdhsa_reserve_flat_scratch 0
		.amdhsa_float_round_mode_32 0
		.amdhsa_float_round_mode_16_64 0
		.amdhsa_float_denorm_mode_32 3
		.amdhsa_float_denorm_mode_16_64 3
		.amdhsa_dx10_clamp 1
		.amdhsa_ieee_mode 1
		.amdhsa_fp16_overflow 0
		.amdhsa_tg_split 0
		.amdhsa_exception_fp_ieee_invalid_op 0
		.amdhsa_exception_fp_denorm_src 0
		.amdhsa_exception_fp_ieee_div_zero 0
		.amdhsa_exception_fp_ieee_overflow 0
		.amdhsa_exception_fp_ieee_underflow 0
		.amdhsa_exception_fp_ieee_inexact 0
		.amdhsa_exception_int_div_zero 0
	.end_amdhsa_kernel
	.section	.text._ZN7rocprim17ROCPRIM_400000_NS6detail17trampoline_kernelINS0_13select_configILj256ELj13ELNS0_17block_load_methodE3ELS4_3ELS4_3ELNS0_20block_scan_algorithmE0ELj4294967295EEENS1_25partition_config_selectorILNS1_17partition_subalgoE4EjNS0_10empty_typeEbEEZZNS1_14partition_implILS8_4ELb0ES6_15HIP_vector_typeIjLj2EENS0_17counting_iteratorIjlEEPS9_SG_NS0_5tupleIJPjSI_NS0_16reverse_iteratorISI_EEEEENSH_IJSG_SG_SG_EEES9_SI_JZNS1_25segmented_radix_sort_implINS0_14default_configELb1EPK12hip_bfloat16PSP_PKlPlN2at6native12_GLOBAL__N_18offset_tEEE10hipError_tPvRmT1_PNSt15iterator_traitsIS13_E10value_typeET2_T3_PNS14_IS19_E10value_typeET4_jRbjT5_S1F_jjP12ihipStream_tbEUljE_ZNSN_ISO_Lb1ESR_SS_SU_SV_SZ_EES10_S11_S12_S13_S17_S18_S19_S1C_S1D_jS1E_jS1F_S1F_jjS1H_bEUljE0_EEES10_S11_S12_S19_S1D_S1F_T6_T7_T9_mT8_S1H_bDpT10_ENKUlT_T0_E_clISt17integral_constantIbLb1EES1U_IbLb0EEEEDaS1Q_S1R_EUlS1Q_E_NS1_11comp_targetILNS1_3genE0ELNS1_11target_archE4294967295ELNS1_3gpuE0ELNS1_3repE0EEENS1_30default_config_static_selectorELNS0_4arch9wavefront6targetE1EEEvS13_,"axG",@progbits,_ZN7rocprim17ROCPRIM_400000_NS6detail17trampoline_kernelINS0_13select_configILj256ELj13ELNS0_17block_load_methodE3ELS4_3ELS4_3ELNS0_20block_scan_algorithmE0ELj4294967295EEENS1_25partition_config_selectorILNS1_17partition_subalgoE4EjNS0_10empty_typeEbEEZZNS1_14partition_implILS8_4ELb0ES6_15HIP_vector_typeIjLj2EENS0_17counting_iteratorIjlEEPS9_SG_NS0_5tupleIJPjSI_NS0_16reverse_iteratorISI_EEEEENSH_IJSG_SG_SG_EEES9_SI_JZNS1_25segmented_radix_sort_implINS0_14default_configELb1EPK12hip_bfloat16PSP_PKlPlN2at6native12_GLOBAL__N_18offset_tEEE10hipError_tPvRmT1_PNSt15iterator_traitsIS13_E10value_typeET2_T3_PNS14_IS19_E10value_typeET4_jRbjT5_S1F_jjP12ihipStream_tbEUljE_ZNSN_ISO_Lb1ESR_SS_SU_SV_SZ_EES10_S11_S12_S13_S17_S18_S19_S1C_S1D_jS1E_jS1F_S1F_jjS1H_bEUljE0_EEES10_S11_S12_S19_S1D_S1F_T6_T7_T9_mT8_S1H_bDpT10_ENKUlT_T0_E_clISt17integral_constantIbLb1EES1U_IbLb0EEEEDaS1Q_S1R_EUlS1Q_E_NS1_11comp_targetILNS1_3genE0ELNS1_11target_archE4294967295ELNS1_3gpuE0ELNS1_3repE0EEENS1_30default_config_static_selectorELNS0_4arch9wavefront6targetE1EEEvS13_,comdat
.Lfunc_end1896:
	.size	_ZN7rocprim17ROCPRIM_400000_NS6detail17trampoline_kernelINS0_13select_configILj256ELj13ELNS0_17block_load_methodE3ELS4_3ELS4_3ELNS0_20block_scan_algorithmE0ELj4294967295EEENS1_25partition_config_selectorILNS1_17partition_subalgoE4EjNS0_10empty_typeEbEEZZNS1_14partition_implILS8_4ELb0ES6_15HIP_vector_typeIjLj2EENS0_17counting_iteratorIjlEEPS9_SG_NS0_5tupleIJPjSI_NS0_16reverse_iteratorISI_EEEEENSH_IJSG_SG_SG_EEES9_SI_JZNS1_25segmented_radix_sort_implINS0_14default_configELb1EPK12hip_bfloat16PSP_PKlPlN2at6native12_GLOBAL__N_18offset_tEEE10hipError_tPvRmT1_PNSt15iterator_traitsIS13_E10value_typeET2_T3_PNS14_IS19_E10value_typeET4_jRbjT5_S1F_jjP12ihipStream_tbEUljE_ZNSN_ISO_Lb1ESR_SS_SU_SV_SZ_EES10_S11_S12_S13_S17_S18_S19_S1C_S1D_jS1E_jS1F_S1F_jjS1H_bEUljE0_EEES10_S11_S12_S19_S1D_S1F_T6_T7_T9_mT8_S1H_bDpT10_ENKUlT_T0_E_clISt17integral_constantIbLb1EES1U_IbLb0EEEEDaS1Q_S1R_EUlS1Q_E_NS1_11comp_targetILNS1_3genE0ELNS1_11target_archE4294967295ELNS1_3gpuE0ELNS1_3repE0EEENS1_30default_config_static_selectorELNS0_4arch9wavefront6targetE1EEEvS13_, .Lfunc_end1896-_ZN7rocprim17ROCPRIM_400000_NS6detail17trampoline_kernelINS0_13select_configILj256ELj13ELNS0_17block_load_methodE3ELS4_3ELS4_3ELNS0_20block_scan_algorithmE0ELj4294967295EEENS1_25partition_config_selectorILNS1_17partition_subalgoE4EjNS0_10empty_typeEbEEZZNS1_14partition_implILS8_4ELb0ES6_15HIP_vector_typeIjLj2EENS0_17counting_iteratorIjlEEPS9_SG_NS0_5tupleIJPjSI_NS0_16reverse_iteratorISI_EEEEENSH_IJSG_SG_SG_EEES9_SI_JZNS1_25segmented_radix_sort_implINS0_14default_configELb1EPK12hip_bfloat16PSP_PKlPlN2at6native12_GLOBAL__N_18offset_tEEE10hipError_tPvRmT1_PNSt15iterator_traitsIS13_E10value_typeET2_T3_PNS14_IS19_E10value_typeET4_jRbjT5_S1F_jjP12ihipStream_tbEUljE_ZNSN_ISO_Lb1ESR_SS_SU_SV_SZ_EES10_S11_S12_S13_S17_S18_S19_S1C_S1D_jS1E_jS1F_S1F_jjS1H_bEUljE0_EEES10_S11_S12_S19_S1D_S1F_T6_T7_T9_mT8_S1H_bDpT10_ENKUlT_T0_E_clISt17integral_constantIbLb1EES1U_IbLb0EEEEDaS1Q_S1R_EUlS1Q_E_NS1_11comp_targetILNS1_3genE0ELNS1_11target_archE4294967295ELNS1_3gpuE0ELNS1_3repE0EEENS1_30default_config_static_selectorELNS0_4arch9wavefront6targetE1EEEvS13_
                                        ; -- End function
	.section	.AMDGPU.csdata,"",@progbits
; Kernel info:
; codeLenInByte = 0
; NumSgprs: 4
; NumVgprs: 0
; NumAgprs: 0
; TotalNumVgprs: 0
; ScratchSize: 0
; MemoryBound: 0
; FloatMode: 240
; IeeeMode: 1
; LDSByteSize: 0 bytes/workgroup (compile time only)
; SGPRBlocks: 0
; VGPRBlocks: 0
; NumSGPRsForWavesPerEU: 4
; NumVGPRsForWavesPerEU: 1
; AccumOffset: 4
; Occupancy: 8
; WaveLimiterHint : 0
; COMPUTE_PGM_RSRC2:SCRATCH_EN: 0
; COMPUTE_PGM_RSRC2:USER_SGPR: 6
; COMPUTE_PGM_RSRC2:TRAP_HANDLER: 0
; COMPUTE_PGM_RSRC2:TGID_X_EN: 1
; COMPUTE_PGM_RSRC2:TGID_Y_EN: 0
; COMPUTE_PGM_RSRC2:TGID_Z_EN: 0
; COMPUTE_PGM_RSRC2:TIDIG_COMP_CNT: 0
; COMPUTE_PGM_RSRC3_GFX90A:ACCUM_OFFSET: 0
; COMPUTE_PGM_RSRC3_GFX90A:TG_SPLIT: 0
	.section	.text._ZN7rocprim17ROCPRIM_400000_NS6detail17trampoline_kernelINS0_13select_configILj256ELj13ELNS0_17block_load_methodE3ELS4_3ELS4_3ELNS0_20block_scan_algorithmE0ELj4294967295EEENS1_25partition_config_selectorILNS1_17partition_subalgoE4EjNS0_10empty_typeEbEEZZNS1_14partition_implILS8_4ELb0ES6_15HIP_vector_typeIjLj2EENS0_17counting_iteratorIjlEEPS9_SG_NS0_5tupleIJPjSI_NS0_16reverse_iteratorISI_EEEEENSH_IJSG_SG_SG_EEES9_SI_JZNS1_25segmented_radix_sort_implINS0_14default_configELb1EPK12hip_bfloat16PSP_PKlPlN2at6native12_GLOBAL__N_18offset_tEEE10hipError_tPvRmT1_PNSt15iterator_traitsIS13_E10value_typeET2_T3_PNS14_IS19_E10value_typeET4_jRbjT5_S1F_jjP12ihipStream_tbEUljE_ZNSN_ISO_Lb1ESR_SS_SU_SV_SZ_EES10_S11_S12_S13_S17_S18_S19_S1C_S1D_jS1E_jS1F_S1F_jjS1H_bEUljE0_EEES10_S11_S12_S19_S1D_S1F_T6_T7_T9_mT8_S1H_bDpT10_ENKUlT_T0_E_clISt17integral_constantIbLb1EES1U_IbLb0EEEEDaS1Q_S1R_EUlS1Q_E_NS1_11comp_targetILNS1_3genE5ELNS1_11target_archE942ELNS1_3gpuE9ELNS1_3repE0EEENS1_30default_config_static_selectorELNS0_4arch9wavefront6targetE1EEEvS13_,"axG",@progbits,_ZN7rocprim17ROCPRIM_400000_NS6detail17trampoline_kernelINS0_13select_configILj256ELj13ELNS0_17block_load_methodE3ELS4_3ELS4_3ELNS0_20block_scan_algorithmE0ELj4294967295EEENS1_25partition_config_selectorILNS1_17partition_subalgoE4EjNS0_10empty_typeEbEEZZNS1_14partition_implILS8_4ELb0ES6_15HIP_vector_typeIjLj2EENS0_17counting_iteratorIjlEEPS9_SG_NS0_5tupleIJPjSI_NS0_16reverse_iteratorISI_EEEEENSH_IJSG_SG_SG_EEES9_SI_JZNS1_25segmented_radix_sort_implINS0_14default_configELb1EPK12hip_bfloat16PSP_PKlPlN2at6native12_GLOBAL__N_18offset_tEEE10hipError_tPvRmT1_PNSt15iterator_traitsIS13_E10value_typeET2_T3_PNS14_IS19_E10value_typeET4_jRbjT5_S1F_jjP12ihipStream_tbEUljE_ZNSN_ISO_Lb1ESR_SS_SU_SV_SZ_EES10_S11_S12_S13_S17_S18_S19_S1C_S1D_jS1E_jS1F_S1F_jjS1H_bEUljE0_EEES10_S11_S12_S19_S1D_S1F_T6_T7_T9_mT8_S1H_bDpT10_ENKUlT_T0_E_clISt17integral_constantIbLb1EES1U_IbLb0EEEEDaS1Q_S1R_EUlS1Q_E_NS1_11comp_targetILNS1_3genE5ELNS1_11target_archE942ELNS1_3gpuE9ELNS1_3repE0EEENS1_30default_config_static_selectorELNS0_4arch9wavefront6targetE1EEEvS13_,comdat
	.globl	_ZN7rocprim17ROCPRIM_400000_NS6detail17trampoline_kernelINS0_13select_configILj256ELj13ELNS0_17block_load_methodE3ELS4_3ELS4_3ELNS0_20block_scan_algorithmE0ELj4294967295EEENS1_25partition_config_selectorILNS1_17partition_subalgoE4EjNS0_10empty_typeEbEEZZNS1_14partition_implILS8_4ELb0ES6_15HIP_vector_typeIjLj2EENS0_17counting_iteratorIjlEEPS9_SG_NS0_5tupleIJPjSI_NS0_16reverse_iteratorISI_EEEEENSH_IJSG_SG_SG_EEES9_SI_JZNS1_25segmented_radix_sort_implINS0_14default_configELb1EPK12hip_bfloat16PSP_PKlPlN2at6native12_GLOBAL__N_18offset_tEEE10hipError_tPvRmT1_PNSt15iterator_traitsIS13_E10value_typeET2_T3_PNS14_IS19_E10value_typeET4_jRbjT5_S1F_jjP12ihipStream_tbEUljE_ZNSN_ISO_Lb1ESR_SS_SU_SV_SZ_EES10_S11_S12_S13_S17_S18_S19_S1C_S1D_jS1E_jS1F_S1F_jjS1H_bEUljE0_EEES10_S11_S12_S19_S1D_S1F_T6_T7_T9_mT8_S1H_bDpT10_ENKUlT_T0_E_clISt17integral_constantIbLb1EES1U_IbLb0EEEEDaS1Q_S1R_EUlS1Q_E_NS1_11comp_targetILNS1_3genE5ELNS1_11target_archE942ELNS1_3gpuE9ELNS1_3repE0EEENS1_30default_config_static_selectorELNS0_4arch9wavefront6targetE1EEEvS13_ ; -- Begin function _ZN7rocprim17ROCPRIM_400000_NS6detail17trampoline_kernelINS0_13select_configILj256ELj13ELNS0_17block_load_methodE3ELS4_3ELS4_3ELNS0_20block_scan_algorithmE0ELj4294967295EEENS1_25partition_config_selectorILNS1_17partition_subalgoE4EjNS0_10empty_typeEbEEZZNS1_14partition_implILS8_4ELb0ES6_15HIP_vector_typeIjLj2EENS0_17counting_iteratorIjlEEPS9_SG_NS0_5tupleIJPjSI_NS0_16reverse_iteratorISI_EEEEENSH_IJSG_SG_SG_EEES9_SI_JZNS1_25segmented_radix_sort_implINS0_14default_configELb1EPK12hip_bfloat16PSP_PKlPlN2at6native12_GLOBAL__N_18offset_tEEE10hipError_tPvRmT1_PNSt15iterator_traitsIS13_E10value_typeET2_T3_PNS14_IS19_E10value_typeET4_jRbjT5_S1F_jjP12ihipStream_tbEUljE_ZNSN_ISO_Lb1ESR_SS_SU_SV_SZ_EES10_S11_S12_S13_S17_S18_S19_S1C_S1D_jS1E_jS1F_S1F_jjS1H_bEUljE0_EEES10_S11_S12_S19_S1D_S1F_T6_T7_T9_mT8_S1H_bDpT10_ENKUlT_T0_E_clISt17integral_constantIbLb1EES1U_IbLb0EEEEDaS1Q_S1R_EUlS1Q_E_NS1_11comp_targetILNS1_3genE5ELNS1_11target_archE942ELNS1_3gpuE9ELNS1_3repE0EEENS1_30default_config_static_selectorELNS0_4arch9wavefront6targetE1EEEvS13_
	.p2align	8
	.type	_ZN7rocprim17ROCPRIM_400000_NS6detail17trampoline_kernelINS0_13select_configILj256ELj13ELNS0_17block_load_methodE3ELS4_3ELS4_3ELNS0_20block_scan_algorithmE0ELj4294967295EEENS1_25partition_config_selectorILNS1_17partition_subalgoE4EjNS0_10empty_typeEbEEZZNS1_14partition_implILS8_4ELb0ES6_15HIP_vector_typeIjLj2EENS0_17counting_iteratorIjlEEPS9_SG_NS0_5tupleIJPjSI_NS0_16reverse_iteratorISI_EEEEENSH_IJSG_SG_SG_EEES9_SI_JZNS1_25segmented_radix_sort_implINS0_14default_configELb1EPK12hip_bfloat16PSP_PKlPlN2at6native12_GLOBAL__N_18offset_tEEE10hipError_tPvRmT1_PNSt15iterator_traitsIS13_E10value_typeET2_T3_PNS14_IS19_E10value_typeET4_jRbjT5_S1F_jjP12ihipStream_tbEUljE_ZNSN_ISO_Lb1ESR_SS_SU_SV_SZ_EES10_S11_S12_S13_S17_S18_S19_S1C_S1D_jS1E_jS1F_S1F_jjS1H_bEUljE0_EEES10_S11_S12_S19_S1D_S1F_T6_T7_T9_mT8_S1H_bDpT10_ENKUlT_T0_E_clISt17integral_constantIbLb1EES1U_IbLb0EEEEDaS1Q_S1R_EUlS1Q_E_NS1_11comp_targetILNS1_3genE5ELNS1_11target_archE942ELNS1_3gpuE9ELNS1_3repE0EEENS1_30default_config_static_selectorELNS0_4arch9wavefront6targetE1EEEvS13_,@function
_ZN7rocprim17ROCPRIM_400000_NS6detail17trampoline_kernelINS0_13select_configILj256ELj13ELNS0_17block_load_methodE3ELS4_3ELS4_3ELNS0_20block_scan_algorithmE0ELj4294967295EEENS1_25partition_config_selectorILNS1_17partition_subalgoE4EjNS0_10empty_typeEbEEZZNS1_14partition_implILS8_4ELb0ES6_15HIP_vector_typeIjLj2EENS0_17counting_iteratorIjlEEPS9_SG_NS0_5tupleIJPjSI_NS0_16reverse_iteratorISI_EEEEENSH_IJSG_SG_SG_EEES9_SI_JZNS1_25segmented_radix_sort_implINS0_14default_configELb1EPK12hip_bfloat16PSP_PKlPlN2at6native12_GLOBAL__N_18offset_tEEE10hipError_tPvRmT1_PNSt15iterator_traitsIS13_E10value_typeET2_T3_PNS14_IS19_E10value_typeET4_jRbjT5_S1F_jjP12ihipStream_tbEUljE_ZNSN_ISO_Lb1ESR_SS_SU_SV_SZ_EES10_S11_S12_S13_S17_S18_S19_S1C_S1D_jS1E_jS1F_S1F_jjS1H_bEUljE0_EEES10_S11_S12_S19_S1D_S1F_T6_T7_T9_mT8_S1H_bDpT10_ENKUlT_T0_E_clISt17integral_constantIbLb1EES1U_IbLb0EEEEDaS1Q_S1R_EUlS1Q_E_NS1_11comp_targetILNS1_3genE5ELNS1_11target_archE942ELNS1_3gpuE9ELNS1_3repE0EEENS1_30default_config_static_selectorELNS0_4arch9wavefront6targetE1EEEvS13_: ; @_ZN7rocprim17ROCPRIM_400000_NS6detail17trampoline_kernelINS0_13select_configILj256ELj13ELNS0_17block_load_methodE3ELS4_3ELS4_3ELNS0_20block_scan_algorithmE0ELj4294967295EEENS1_25partition_config_selectorILNS1_17partition_subalgoE4EjNS0_10empty_typeEbEEZZNS1_14partition_implILS8_4ELb0ES6_15HIP_vector_typeIjLj2EENS0_17counting_iteratorIjlEEPS9_SG_NS0_5tupleIJPjSI_NS0_16reverse_iteratorISI_EEEEENSH_IJSG_SG_SG_EEES9_SI_JZNS1_25segmented_radix_sort_implINS0_14default_configELb1EPK12hip_bfloat16PSP_PKlPlN2at6native12_GLOBAL__N_18offset_tEEE10hipError_tPvRmT1_PNSt15iterator_traitsIS13_E10value_typeET2_T3_PNS14_IS19_E10value_typeET4_jRbjT5_S1F_jjP12ihipStream_tbEUljE_ZNSN_ISO_Lb1ESR_SS_SU_SV_SZ_EES10_S11_S12_S13_S17_S18_S19_S1C_S1D_jS1E_jS1F_S1F_jjS1H_bEUljE0_EEES10_S11_S12_S19_S1D_S1F_T6_T7_T9_mT8_S1H_bDpT10_ENKUlT_T0_E_clISt17integral_constantIbLb1EES1U_IbLb0EEEEDaS1Q_S1R_EUlS1Q_E_NS1_11comp_targetILNS1_3genE5ELNS1_11target_archE942ELNS1_3gpuE9ELNS1_3repE0EEENS1_30default_config_static_selectorELNS0_4arch9wavefront6targetE1EEEvS13_
; %bb.0:
	.section	.rodata,"a",@progbits
	.p2align	6, 0x0
	.amdhsa_kernel _ZN7rocprim17ROCPRIM_400000_NS6detail17trampoline_kernelINS0_13select_configILj256ELj13ELNS0_17block_load_methodE3ELS4_3ELS4_3ELNS0_20block_scan_algorithmE0ELj4294967295EEENS1_25partition_config_selectorILNS1_17partition_subalgoE4EjNS0_10empty_typeEbEEZZNS1_14partition_implILS8_4ELb0ES6_15HIP_vector_typeIjLj2EENS0_17counting_iteratorIjlEEPS9_SG_NS0_5tupleIJPjSI_NS0_16reverse_iteratorISI_EEEEENSH_IJSG_SG_SG_EEES9_SI_JZNS1_25segmented_radix_sort_implINS0_14default_configELb1EPK12hip_bfloat16PSP_PKlPlN2at6native12_GLOBAL__N_18offset_tEEE10hipError_tPvRmT1_PNSt15iterator_traitsIS13_E10value_typeET2_T3_PNS14_IS19_E10value_typeET4_jRbjT5_S1F_jjP12ihipStream_tbEUljE_ZNSN_ISO_Lb1ESR_SS_SU_SV_SZ_EES10_S11_S12_S13_S17_S18_S19_S1C_S1D_jS1E_jS1F_S1F_jjS1H_bEUljE0_EEES10_S11_S12_S19_S1D_S1F_T6_T7_T9_mT8_S1H_bDpT10_ENKUlT_T0_E_clISt17integral_constantIbLb1EES1U_IbLb0EEEEDaS1Q_S1R_EUlS1Q_E_NS1_11comp_targetILNS1_3genE5ELNS1_11target_archE942ELNS1_3gpuE9ELNS1_3repE0EEENS1_30default_config_static_selectorELNS0_4arch9wavefront6targetE1EEEvS13_
		.amdhsa_group_segment_fixed_size 0
		.amdhsa_private_segment_fixed_size 0
		.amdhsa_kernarg_size 176
		.amdhsa_user_sgpr_count 6
		.amdhsa_user_sgpr_private_segment_buffer 1
		.amdhsa_user_sgpr_dispatch_ptr 0
		.amdhsa_user_sgpr_queue_ptr 0
		.amdhsa_user_sgpr_kernarg_segment_ptr 1
		.amdhsa_user_sgpr_dispatch_id 0
		.amdhsa_user_sgpr_flat_scratch_init 0
		.amdhsa_user_sgpr_kernarg_preload_length 0
		.amdhsa_user_sgpr_kernarg_preload_offset 0
		.amdhsa_user_sgpr_private_segment_size 0
		.amdhsa_uses_dynamic_stack 0
		.amdhsa_system_sgpr_private_segment_wavefront_offset 0
		.amdhsa_system_sgpr_workgroup_id_x 1
		.amdhsa_system_sgpr_workgroup_id_y 0
		.amdhsa_system_sgpr_workgroup_id_z 0
		.amdhsa_system_sgpr_workgroup_info 0
		.amdhsa_system_vgpr_workitem_id 0
		.amdhsa_next_free_vgpr 1
		.amdhsa_next_free_sgpr 0
		.amdhsa_accum_offset 4
		.amdhsa_reserve_vcc 0
		.amdhsa_reserve_flat_scratch 0
		.amdhsa_float_round_mode_32 0
		.amdhsa_float_round_mode_16_64 0
		.amdhsa_float_denorm_mode_32 3
		.amdhsa_float_denorm_mode_16_64 3
		.amdhsa_dx10_clamp 1
		.amdhsa_ieee_mode 1
		.amdhsa_fp16_overflow 0
		.amdhsa_tg_split 0
		.amdhsa_exception_fp_ieee_invalid_op 0
		.amdhsa_exception_fp_denorm_src 0
		.amdhsa_exception_fp_ieee_div_zero 0
		.amdhsa_exception_fp_ieee_overflow 0
		.amdhsa_exception_fp_ieee_underflow 0
		.amdhsa_exception_fp_ieee_inexact 0
		.amdhsa_exception_int_div_zero 0
	.end_amdhsa_kernel
	.section	.text._ZN7rocprim17ROCPRIM_400000_NS6detail17trampoline_kernelINS0_13select_configILj256ELj13ELNS0_17block_load_methodE3ELS4_3ELS4_3ELNS0_20block_scan_algorithmE0ELj4294967295EEENS1_25partition_config_selectorILNS1_17partition_subalgoE4EjNS0_10empty_typeEbEEZZNS1_14partition_implILS8_4ELb0ES6_15HIP_vector_typeIjLj2EENS0_17counting_iteratorIjlEEPS9_SG_NS0_5tupleIJPjSI_NS0_16reverse_iteratorISI_EEEEENSH_IJSG_SG_SG_EEES9_SI_JZNS1_25segmented_radix_sort_implINS0_14default_configELb1EPK12hip_bfloat16PSP_PKlPlN2at6native12_GLOBAL__N_18offset_tEEE10hipError_tPvRmT1_PNSt15iterator_traitsIS13_E10value_typeET2_T3_PNS14_IS19_E10value_typeET4_jRbjT5_S1F_jjP12ihipStream_tbEUljE_ZNSN_ISO_Lb1ESR_SS_SU_SV_SZ_EES10_S11_S12_S13_S17_S18_S19_S1C_S1D_jS1E_jS1F_S1F_jjS1H_bEUljE0_EEES10_S11_S12_S19_S1D_S1F_T6_T7_T9_mT8_S1H_bDpT10_ENKUlT_T0_E_clISt17integral_constantIbLb1EES1U_IbLb0EEEEDaS1Q_S1R_EUlS1Q_E_NS1_11comp_targetILNS1_3genE5ELNS1_11target_archE942ELNS1_3gpuE9ELNS1_3repE0EEENS1_30default_config_static_selectorELNS0_4arch9wavefront6targetE1EEEvS13_,"axG",@progbits,_ZN7rocprim17ROCPRIM_400000_NS6detail17trampoline_kernelINS0_13select_configILj256ELj13ELNS0_17block_load_methodE3ELS4_3ELS4_3ELNS0_20block_scan_algorithmE0ELj4294967295EEENS1_25partition_config_selectorILNS1_17partition_subalgoE4EjNS0_10empty_typeEbEEZZNS1_14partition_implILS8_4ELb0ES6_15HIP_vector_typeIjLj2EENS0_17counting_iteratorIjlEEPS9_SG_NS0_5tupleIJPjSI_NS0_16reverse_iteratorISI_EEEEENSH_IJSG_SG_SG_EEES9_SI_JZNS1_25segmented_radix_sort_implINS0_14default_configELb1EPK12hip_bfloat16PSP_PKlPlN2at6native12_GLOBAL__N_18offset_tEEE10hipError_tPvRmT1_PNSt15iterator_traitsIS13_E10value_typeET2_T3_PNS14_IS19_E10value_typeET4_jRbjT5_S1F_jjP12ihipStream_tbEUljE_ZNSN_ISO_Lb1ESR_SS_SU_SV_SZ_EES10_S11_S12_S13_S17_S18_S19_S1C_S1D_jS1E_jS1F_S1F_jjS1H_bEUljE0_EEES10_S11_S12_S19_S1D_S1F_T6_T7_T9_mT8_S1H_bDpT10_ENKUlT_T0_E_clISt17integral_constantIbLb1EES1U_IbLb0EEEEDaS1Q_S1R_EUlS1Q_E_NS1_11comp_targetILNS1_3genE5ELNS1_11target_archE942ELNS1_3gpuE9ELNS1_3repE0EEENS1_30default_config_static_selectorELNS0_4arch9wavefront6targetE1EEEvS13_,comdat
.Lfunc_end1897:
	.size	_ZN7rocprim17ROCPRIM_400000_NS6detail17trampoline_kernelINS0_13select_configILj256ELj13ELNS0_17block_load_methodE3ELS4_3ELS4_3ELNS0_20block_scan_algorithmE0ELj4294967295EEENS1_25partition_config_selectorILNS1_17partition_subalgoE4EjNS0_10empty_typeEbEEZZNS1_14partition_implILS8_4ELb0ES6_15HIP_vector_typeIjLj2EENS0_17counting_iteratorIjlEEPS9_SG_NS0_5tupleIJPjSI_NS0_16reverse_iteratorISI_EEEEENSH_IJSG_SG_SG_EEES9_SI_JZNS1_25segmented_radix_sort_implINS0_14default_configELb1EPK12hip_bfloat16PSP_PKlPlN2at6native12_GLOBAL__N_18offset_tEEE10hipError_tPvRmT1_PNSt15iterator_traitsIS13_E10value_typeET2_T3_PNS14_IS19_E10value_typeET4_jRbjT5_S1F_jjP12ihipStream_tbEUljE_ZNSN_ISO_Lb1ESR_SS_SU_SV_SZ_EES10_S11_S12_S13_S17_S18_S19_S1C_S1D_jS1E_jS1F_S1F_jjS1H_bEUljE0_EEES10_S11_S12_S19_S1D_S1F_T6_T7_T9_mT8_S1H_bDpT10_ENKUlT_T0_E_clISt17integral_constantIbLb1EES1U_IbLb0EEEEDaS1Q_S1R_EUlS1Q_E_NS1_11comp_targetILNS1_3genE5ELNS1_11target_archE942ELNS1_3gpuE9ELNS1_3repE0EEENS1_30default_config_static_selectorELNS0_4arch9wavefront6targetE1EEEvS13_, .Lfunc_end1897-_ZN7rocprim17ROCPRIM_400000_NS6detail17trampoline_kernelINS0_13select_configILj256ELj13ELNS0_17block_load_methodE3ELS4_3ELS4_3ELNS0_20block_scan_algorithmE0ELj4294967295EEENS1_25partition_config_selectorILNS1_17partition_subalgoE4EjNS0_10empty_typeEbEEZZNS1_14partition_implILS8_4ELb0ES6_15HIP_vector_typeIjLj2EENS0_17counting_iteratorIjlEEPS9_SG_NS0_5tupleIJPjSI_NS0_16reverse_iteratorISI_EEEEENSH_IJSG_SG_SG_EEES9_SI_JZNS1_25segmented_radix_sort_implINS0_14default_configELb1EPK12hip_bfloat16PSP_PKlPlN2at6native12_GLOBAL__N_18offset_tEEE10hipError_tPvRmT1_PNSt15iterator_traitsIS13_E10value_typeET2_T3_PNS14_IS19_E10value_typeET4_jRbjT5_S1F_jjP12ihipStream_tbEUljE_ZNSN_ISO_Lb1ESR_SS_SU_SV_SZ_EES10_S11_S12_S13_S17_S18_S19_S1C_S1D_jS1E_jS1F_S1F_jjS1H_bEUljE0_EEES10_S11_S12_S19_S1D_S1F_T6_T7_T9_mT8_S1H_bDpT10_ENKUlT_T0_E_clISt17integral_constantIbLb1EES1U_IbLb0EEEEDaS1Q_S1R_EUlS1Q_E_NS1_11comp_targetILNS1_3genE5ELNS1_11target_archE942ELNS1_3gpuE9ELNS1_3repE0EEENS1_30default_config_static_selectorELNS0_4arch9wavefront6targetE1EEEvS13_
                                        ; -- End function
	.section	.AMDGPU.csdata,"",@progbits
; Kernel info:
; codeLenInByte = 0
; NumSgprs: 4
; NumVgprs: 0
; NumAgprs: 0
; TotalNumVgprs: 0
; ScratchSize: 0
; MemoryBound: 0
; FloatMode: 240
; IeeeMode: 1
; LDSByteSize: 0 bytes/workgroup (compile time only)
; SGPRBlocks: 0
; VGPRBlocks: 0
; NumSGPRsForWavesPerEU: 4
; NumVGPRsForWavesPerEU: 1
; AccumOffset: 4
; Occupancy: 8
; WaveLimiterHint : 0
; COMPUTE_PGM_RSRC2:SCRATCH_EN: 0
; COMPUTE_PGM_RSRC2:USER_SGPR: 6
; COMPUTE_PGM_RSRC2:TRAP_HANDLER: 0
; COMPUTE_PGM_RSRC2:TGID_X_EN: 1
; COMPUTE_PGM_RSRC2:TGID_Y_EN: 0
; COMPUTE_PGM_RSRC2:TGID_Z_EN: 0
; COMPUTE_PGM_RSRC2:TIDIG_COMP_CNT: 0
; COMPUTE_PGM_RSRC3_GFX90A:ACCUM_OFFSET: 0
; COMPUTE_PGM_RSRC3_GFX90A:TG_SPLIT: 0
	.section	.text._ZN7rocprim17ROCPRIM_400000_NS6detail17trampoline_kernelINS0_13select_configILj256ELj13ELNS0_17block_load_methodE3ELS4_3ELS4_3ELNS0_20block_scan_algorithmE0ELj4294967295EEENS1_25partition_config_selectorILNS1_17partition_subalgoE4EjNS0_10empty_typeEbEEZZNS1_14partition_implILS8_4ELb0ES6_15HIP_vector_typeIjLj2EENS0_17counting_iteratorIjlEEPS9_SG_NS0_5tupleIJPjSI_NS0_16reverse_iteratorISI_EEEEENSH_IJSG_SG_SG_EEES9_SI_JZNS1_25segmented_radix_sort_implINS0_14default_configELb1EPK12hip_bfloat16PSP_PKlPlN2at6native12_GLOBAL__N_18offset_tEEE10hipError_tPvRmT1_PNSt15iterator_traitsIS13_E10value_typeET2_T3_PNS14_IS19_E10value_typeET4_jRbjT5_S1F_jjP12ihipStream_tbEUljE_ZNSN_ISO_Lb1ESR_SS_SU_SV_SZ_EES10_S11_S12_S13_S17_S18_S19_S1C_S1D_jS1E_jS1F_S1F_jjS1H_bEUljE0_EEES10_S11_S12_S19_S1D_S1F_T6_T7_T9_mT8_S1H_bDpT10_ENKUlT_T0_E_clISt17integral_constantIbLb1EES1U_IbLb0EEEEDaS1Q_S1R_EUlS1Q_E_NS1_11comp_targetILNS1_3genE4ELNS1_11target_archE910ELNS1_3gpuE8ELNS1_3repE0EEENS1_30default_config_static_selectorELNS0_4arch9wavefront6targetE1EEEvS13_,"axG",@progbits,_ZN7rocprim17ROCPRIM_400000_NS6detail17trampoline_kernelINS0_13select_configILj256ELj13ELNS0_17block_load_methodE3ELS4_3ELS4_3ELNS0_20block_scan_algorithmE0ELj4294967295EEENS1_25partition_config_selectorILNS1_17partition_subalgoE4EjNS0_10empty_typeEbEEZZNS1_14partition_implILS8_4ELb0ES6_15HIP_vector_typeIjLj2EENS0_17counting_iteratorIjlEEPS9_SG_NS0_5tupleIJPjSI_NS0_16reverse_iteratorISI_EEEEENSH_IJSG_SG_SG_EEES9_SI_JZNS1_25segmented_radix_sort_implINS0_14default_configELb1EPK12hip_bfloat16PSP_PKlPlN2at6native12_GLOBAL__N_18offset_tEEE10hipError_tPvRmT1_PNSt15iterator_traitsIS13_E10value_typeET2_T3_PNS14_IS19_E10value_typeET4_jRbjT5_S1F_jjP12ihipStream_tbEUljE_ZNSN_ISO_Lb1ESR_SS_SU_SV_SZ_EES10_S11_S12_S13_S17_S18_S19_S1C_S1D_jS1E_jS1F_S1F_jjS1H_bEUljE0_EEES10_S11_S12_S19_S1D_S1F_T6_T7_T9_mT8_S1H_bDpT10_ENKUlT_T0_E_clISt17integral_constantIbLb1EES1U_IbLb0EEEEDaS1Q_S1R_EUlS1Q_E_NS1_11comp_targetILNS1_3genE4ELNS1_11target_archE910ELNS1_3gpuE8ELNS1_3repE0EEENS1_30default_config_static_selectorELNS0_4arch9wavefront6targetE1EEEvS13_,comdat
	.globl	_ZN7rocprim17ROCPRIM_400000_NS6detail17trampoline_kernelINS0_13select_configILj256ELj13ELNS0_17block_load_methodE3ELS4_3ELS4_3ELNS0_20block_scan_algorithmE0ELj4294967295EEENS1_25partition_config_selectorILNS1_17partition_subalgoE4EjNS0_10empty_typeEbEEZZNS1_14partition_implILS8_4ELb0ES6_15HIP_vector_typeIjLj2EENS0_17counting_iteratorIjlEEPS9_SG_NS0_5tupleIJPjSI_NS0_16reverse_iteratorISI_EEEEENSH_IJSG_SG_SG_EEES9_SI_JZNS1_25segmented_radix_sort_implINS0_14default_configELb1EPK12hip_bfloat16PSP_PKlPlN2at6native12_GLOBAL__N_18offset_tEEE10hipError_tPvRmT1_PNSt15iterator_traitsIS13_E10value_typeET2_T3_PNS14_IS19_E10value_typeET4_jRbjT5_S1F_jjP12ihipStream_tbEUljE_ZNSN_ISO_Lb1ESR_SS_SU_SV_SZ_EES10_S11_S12_S13_S17_S18_S19_S1C_S1D_jS1E_jS1F_S1F_jjS1H_bEUljE0_EEES10_S11_S12_S19_S1D_S1F_T6_T7_T9_mT8_S1H_bDpT10_ENKUlT_T0_E_clISt17integral_constantIbLb1EES1U_IbLb0EEEEDaS1Q_S1R_EUlS1Q_E_NS1_11comp_targetILNS1_3genE4ELNS1_11target_archE910ELNS1_3gpuE8ELNS1_3repE0EEENS1_30default_config_static_selectorELNS0_4arch9wavefront6targetE1EEEvS13_ ; -- Begin function _ZN7rocprim17ROCPRIM_400000_NS6detail17trampoline_kernelINS0_13select_configILj256ELj13ELNS0_17block_load_methodE3ELS4_3ELS4_3ELNS0_20block_scan_algorithmE0ELj4294967295EEENS1_25partition_config_selectorILNS1_17partition_subalgoE4EjNS0_10empty_typeEbEEZZNS1_14partition_implILS8_4ELb0ES6_15HIP_vector_typeIjLj2EENS0_17counting_iteratorIjlEEPS9_SG_NS0_5tupleIJPjSI_NS0_16reverse_iteratorISI_EEEEENSH_IJSG_SG_SG_EEES9_SI_JZNS1_25segmented_radix_sort_implINS0_14default_configELb1EPK12hip_bfloat16PSP_PKlPlN2at6native12_GLOBAL__N_18offset_tEEE10hipError_tPvRmT1_PNSt15iterator_traitsIS13_E10value_typeET2_T3_PNS14_IS19_E10value_typeET4_jRbjT5_S1F_jjP12ihipStream_tbEUljE_ZNSN_ISO_Lb1ESR_SS_SU_SV_SZ_EES10_S11_S12_S13_S17_S18_S19_S1C_S1D_jS1E_jS1F_S1F_jjS1H_bEUljE0_EEES10_S11_S12_S19_S1D_S1F_T6_T7_T9_mT8_S1H_bDpT10_ENKUlT_T0_E_clISt17integral_constantIbLb1EES1U_IbLb0EEEEDaS1Q_S1R_EUlS1Q_E_NS1_11comp_targetILNS1_3genE4ELNS1_11target_archE910ELNS1_3gpuE8ELNS1_3repE0EEENS1_30default_config_static_selectorELNS0_4arch9wavefront6targetE1EEEvS13_
	.p2align	8
	.type	_ZN7rocprim17ROCPRIM_400000_NS6detail17trampoline_kernelINS0_13select_configILj256ELj13ELNS0_17block_load_methodE3ELS4_3ELS4_3ELNS0_20block_scan_algorithmE0ELj4294967295EEENS1_25partition_config_selectorILNS1_17partition_subalgoE4EjNS0_10empty_typeEbEEZZNS1_14partition_implILS8_4ELb0ES6_15HIP_vector_typeIjLj2EENS0_17counting_iteratorIjlEEPS9_SG_NS0_5tupleIJPjSI_NS0_16reverse_iteratorISI_EEEEENSH_IJSG_SG_SG_EEES9_SI_JZNS1_25segmented_radix_sort_implINS0_14default_configELb1EPK12hip_bfloat16PSP_PKlPlN2at6native12_GLOBAL__N_18offset_tEEE10hipError_tPvRmT1_PNSt15iterator_traitsIS13_E10value_typeET2_T3_PNS14_IS19_E10value_typeET4_jRbjT5_S1F_jjP12ihipStream_tbEUljE_ZNSN_ISO_Lb1ESR_SS_SU_SV_SZ_EES10_S11_S12_S13_S17_S18_S19_S1C_S1D_jS1E_jS1F_S1F_jjS1H_bEUljE0_EEES10_S11_S12_S19_S1D_S1F_T6_T7_T9_mT8_S1H_bDpT10_ENKUlT_T0_E_clISt17integral_constantIbLb1EES1U_IbLb0EEEEDaS1Q_S1R_EUlS1Q_E_NS1_11comp_targetILNS1_3genE4ELNS1_11target_archE910ELNS1_3gpuE8ELNS1_3repE0EEENS1_30default_config_static_selectorELNS0_4arch9wavefront6targetE1EEEvS13_,@function
_ZN7rocprim17ROCPRIM_400000_NS6detail17trampoline_kernelINS0_13select_configILj256ELj13ELNS0_17block_load_methodE3ELS4_3ELS4_3ELNS0_20block_scan_algorithmE0ELj4294967295EEENS1_25partition_config_selectorILNS1_17partition_subalgoE4EjNS0_10empty_typeEbEEZZNS1_14partition_implILS8_4ELb0ES6_15HIP_vector_typeIjLj2EENS0_17counting_iteratorIjlEEPS9_SG_NS0_5tupleIJPjSI_NS0_16reverse_iteratorISI_EEEEENSH_IJSG_SG_SG_EEES9_SI_JZNS1_25segmented_radix_sort_implINS0_14default_configELb1EPK12hip_bfloat16PSP_PKlPlN2at6native12_GLOBAL__N_18offset_tEEE10hipError_tPvRmT1_PNSt15iterator_traitsIS13_E10value_typeET2_T3_PNS14_IS19_E10value_typeET4_jRbjT5_S1F_jjP12ihipStream_tbEUljE_ZNSN_ISO_Lb1ESR_SS_SU_SV_SZ_EES10_S11_S12_S13_S17_S18_S19_S1C_S1D_jS1E_jS1F_S1F_jjS1H_bEUljE0_EEES10_S11_S12_S19_S1D_S1F_T6_T7_T9_mT8_S1H_bDpT10_ENKUlT_T0_E_clISt17integral_constantIbLb1EES1U_IbLb0EEEEDaS1Q_S1R_EUlS1Q_E_NS1_11comp_targetILNS1_3genE4ELNS1_11target_archE910ELNS1_3gpuE8ELNS1_3repE0EEENS1_30default_config_static_selectorELNS0_4arch9wavefront6targetE1EEEvS13_: ; @_ZN7rocprim17ROCPRIM_400000_NS6detail17trampoline_kernelINS0_13select_configILj256ELj13ELNS0_17block_load_methodE3ELS4_3ELS4_3ELNS0_20block_scan_algorithmE0ELj4294967295EEENS1_25partition_config_selectorILNS1_17partition_subalgoE4EjNS0_10empty_typeEbEEZZNS1_14partition_implILS8_4ELb0ES6_15HIP_vector_typeIjLj2EENS0_17counting_iteratorIjlEEPS9_SG_NS0_5tupleIJPjSI_NS0_16reverse_iteratorISI_EEEEENSH_IJSG_SG_SG_EEES9_SI_JZNS1_25segmented_radix_sort_implINS0_14default_configELb1EPK12hip_bfloat16PSP_PKlPlN2at6native12_GLOBAL__N_18offset_tEEE10hipError_tPvRmT1_PNSt15iterator_traitsIS13_E10value_typeET2_T3_PNS14_IS19_E10value_typeET4_jRbjT5_S1F_jjP12ihipStream_tbEUljE_ZNSN_ISO_Lb1ESR_SS_SU_SV_SZ_EES10_S11_S12_S13_S17_S18_S19_S1C_S1D_jS1E_jS1F_S1F_jjS1H_bEUljE0_EEES10_S11_S12_S19_S1D_S1F_T6_T7_T9_mT8_S1H_bDpT10_ENKUlT_T0_E_clISt17integral_constantIbLb1EES1U_IbLb0EEEEDaS1Q_S1R_EUlS1Q_E_NS1_11comp_targetILNS1_3genE4ELNS1_11target_archE910ELNS1_3gpuE8ELNS1_3repE0EEENS1_30default_config_static_selectorELNS0_4arch9wavefront6targetE1EEEvS13_
; %bb.0:
	s_load_dwordx2 s[0:1], s[4:5], 0x68
	s_load_dword s7, s[4:5], 0x8
	s_load_dwordx2 s[56:57], s[4:5], 0x10
	s_load_dwordx4 s[44:47], s[4:5], 0x58
	s_mul_i32 s33, s6, 0xd00
	s_waitcnt lgkmcnt(0)
	v_mov_b32_e32 v3, s1
	v_mov_b32_e32 v2, s0
	s_load_dword s1, s[4:5], 0x80
	s_load_dwordx2 s[60:61], s[4:5], 0xa8
	s_load_dwordx8 s[36:43], s[4:5], 0x88
	s_load_dwordx4 s[48:51], s[46:47], 0x0
	s_waitcnt lgkmcnt(0)
	s_add_i32 s8, s1, -1
	s_mulk_i32 s1, 0xd00
	s_add_u32 s2, s56, s1
	s_addc_u32 s3, s57, 0
	s_cmp_eq_u32 s6, s8
	s_cselect_b64 s[30:31], -1, 0
	s_cmp_lg_u32 s6, s8
	v_cmp_lt_u64_e32 vcc, s[2:3], v[2:3]
	s_cselect_b64 s[2:3], -1, 0
	s_add_i32 s7, s7, s33
	s_or_b64 s[2:3], s[2:3], vcc
	s_add_i32 s7, s7, s56
	v_add_u32_e32 v1, s7, v0
	s_mov_b64 s[8:9], -1
	s_and_b64 vcc, exec, s[2:3]
	s_cbranch_vccz .LBB1898_2
; %bb.1:
	v_add_u32_e32 v2, 0x100, v1
	v_lshlrev_b32_e32 v14, 2, v0
	v_add_u32_e32 v3, 0x200, v1
	v_add_u32_e32 v4, 0x300, v1
	;; [unrolled: 1-line block ×11, first 2 shown]
	ds_write2st64_b32 v14, v1, v2 offset1:4
	ds_write2st64_b32 v14, v3, v4 offset0:8 offset1:12
	ds_write2st64_b32 v14, v5, v6 offset0:16 offset1:20
	;; [unrolled: 1-line block ×5, first 2 shown]
	ds_write_b32 v14, v13 offset:12288
	s_waitcnt lgkmcnt(0)
	s_barrier
	s_mov_b64 s[8:9], 0
.LBB1898_2:
	s_andn2_b64 vcc, exec, s[8:9]
	s_add_i32 s1, s1, s56
	s_cbranch_vccnz .LBB1898_4
; %bb.3:
	v_add_u32_e32 v2, 0x100, v1
	v_lshlrev_b32_e32 v14, 2, v0
	v_add_u32_e32 v3, 0x200, v1
	v_add_u32_e32 v4, 0x300, v1
	;; [unrolled: 1-line block ×11, first 2 shown]
	ds_write2st64_b32 v14, v1, v2 offset1:4
	ds_write2st64_b32 v14, v3, v4 offset0:8 offset1:12
	ds_write2st64_b32 v14, v5, v6 offset0:16 offset1:20
	;; [unrolled: 1-line block ×5, first 2 shown]
	ds_write_b32 v14, v13 offset:12288
	s_waitcnt lgkmcnt(0)
	s_barrier
.LBB1898_4:
	v_mul_u32_u24_e32 v31, 13, v0
	v_lshlrev_b32_e32 v1, 2, v31
	s_load_dwordx4 s[52:55], s[4:5], 0x28
	s_load_dwordx2 s[34:35], s[4:5], 0x38
	s_waitcnt lgkmcnt(0)
	ds_read2_b32 v[18:19], v1 offset1:1
	ds_read2_b32 v[16:17], v1 offset0:2 offset1:3
	ds_read2_b32 v[14:15], v1 offset0:4 offset1:5
	;; [unrolled: 1-line block ×5, first 2 shown]
	ds_read_b32 v30, v1 offset:48
	v_cndmask_b32_e64 v1, 0, 1, s[2:3]
	s_sub_i32 s7, s0, s1
	v_cmp_ne_u32_e64 s[0:1], 1, v1
	s_andn2_b64 vcc, exec, s[2:3]
	s_waitcnt lgkmcnt(0)
	s_barrier
	s_cbranch_vccnz .LBB1898_32
; %bb.5:
	v_add_u32_e32 v1, s37, v18
	v_add_u32_e32 v2, s39, v18
	v_mul_lo_u32 v1, v1, s36
	v_mul_lo_u32 v2, v2, s38
	v_sub_u32_e32 v1, v1, v2
	v_cmp_lt_u32_e32 vcc, s40, v1
	v_cmp_ge_u32_e64 s[2:3], s40, v1
	s_mov_b64 s[64:65], 0
	s_mov_b64 s[62:63], 0
	s_and_saveexec_b64 s[8:9], s[2:3]
; %bb.6:
	v_add_u32_e32 v1, s42, v18
	v_add_u32_e32 v2, s60, v18
	v_mul_lo_u32 v1, v1, s41
	v_mul_lo_u32 v2, v2, s43
	v_sub_u32_e32 v1, v1, v2
	v_cmp_lt_u32_e64 s[2:3], s61, v1
	s_and_b64 s[62:63], s[2:3], exec
; %bb.7:
	s_or_b64 exec, exec, s[8:9]
	v_add_u32_e32 v1, s37, v19
	v_add_u32_e32 v2, s39, v19
	v_mul_lo_u32 v1, v1, s36
	v_mul_lo_u32 v2, v2, s38
	v_sub_u32_e32 v1, v1, v2
	v_cmp_lt_u32_e64 s[2:3], s40, v1
	v_cmp_ge_u32_e64 s[8:9], s40, v1
	s_and_saveexec_b64 s[10:11], s[8:9]
; %bb.8:
	v_add_u32_e32 v1, s42, v19
	v_add_u32_e32 v2, s60, v19
	v_mul_lo_u32 v1, v1, s41
	v_mul_lo_u32 v2, v2, s43
	v_sub_u32_e32 v1, v1, v2
	v_cmp_lt_u32_e64 s[8:9], s61, v1
	s_and_b64 s[64:65], s[8:9], exec
; %bb.9:
	s_or_b64 exec, exec, s[10:11]
	v_add_u32_e32 v1, s37, v16
	v_add_u32_e32 v2, s39, v16
	v_mul_lo_u32 v1, v1, s36
	v_mul_lo_u32 v2, v2, s38
	v_sub_u32_e32 v1, v1, v2
	v_cmp_lt_u32_e64 s[26:27], s40, v1
	v_cmp_ge_u32_e64 s[8:9], s40, v1
	s_mov_b64 s[68:69], 0
	s_mov_b64 s[66:67], 0
	s_and_saveexec_b64 s[10:11], s[8:9]
; %bb.10:
	v_add_u32_e32 v1, s42, v16
	v_add_u32_e32 v2, s60, v16
	v_mul_lo_u32 v1, v1, s41
	v_mul_lo_u32 v2, v2, s43
	v_sub_u32_e32 v1, v1, v2
	v_cmp_lt_u32_e64 s[8:9], s61, v1
	s_and_b64 s[66:67], s[8:9], exec
; %bb.11:
	s_or_b64 exec, exec, s[10:11]
	v_add_u32_e32 v1, s37, v17
	v_add_u32_e32 v2, s39, v17
	v_mul_lo_u32 v1, v1, s36
	v_mul_lo_u32 v2, v2, s38
	v_sub_u32_e32 v1, v1, v2
	v_cmp_lt_u32_e64 s[8:9], s40, v1
	v_cmp_ge_u32_e64 s[10:11], s40, v1
	s_and_saveexec_b64 s[12:13], s[10:11]
; %bb.12:
	v_add_u32_e32 v1, s42, v17
	v_add_u32_e32 v2, s60, v17
	v_mul_lo_u32 v1, v1, s41
	v_mul_lo_u32 v2, v2, s43
	v_sub_u32_e32 v1, v1, v2
	v_cmp_lt_u32_e64 s[10:11], s61, v1
	s_and_b64 s[68:69], s[10:11], exec
; %bb.13:
	s_or_b64 exec, exec, s[12:13]
	v_add_u32_e32 v1, s37, v14
	v_add_u32_e32 v2, s39, v14
	v_mul_lo_u32 v1, v1, s36
	v_mul_lo_u32 v2, v2, s38
	v_sub_u32_e32 v1, v1, v2
	v_cmp_lt_u32_e64 s[10:11], s40, v1
	;; [unrolled: 38-line block ×5, first 2 shown]
	v_cmp_ge_u32_e64 s[24:25], s40, v1
	s_mov_b64 s[84:85], 0
	s_mov_b64 s[86:87], 0
	s_and_saveexec_b64 s[28:29], s[24:25]
; %bb.26:
	v_add_u32_e32 v1, s42, v8
	v_add_u32_e32 v2, s60, v8
	v_mul_lo_u32 v1, v1, s41
	v_mul_lo_u32 v2, v2, s43
	v_sub_u32_e32 v1, v1, v2
	v_cmp_lt_u32_e64 s[24:25], s61, v1
	s_and_b64 s[86:87], s[24:25], exec
; %bb.27:
	s_or_b64 exec, exec, s[28:29]
	v_add_u32_e32 v1, s37, v9
	v_add_u32_e32 v2, s39, v9
	v_mul_lo_u32 v1, v1, s36
	v_mul_lo_u32 v2, v2, s38
	v_sub_u32_e32 v1, v1, v2
	v_cmp_lt_u32_e64 s[24:25], s40, v1
	v_cmp_ge_u32_e64 s[28:29], s40, v1
	s_and_saveexec_b64 s[46:47], s[28:29]
; %bb.28:
	v_add_u32_e32 v1, s42, v9
	v_add_u32_e32 v2, s60, v9
	v_mul_lo_u32 v1, v1, s41
	v_mul_lo_u32 v2, v2, s43
	v_sub_u32_e32 v1, v1, v2
	v_cmp_lt_u32_e64 s[28:29], s61, v1
	s_and_b64 s[84:85], s[28:29], exec
; %bb.29:
	s_or_b64 exec, exec, s[46:47]
	v_add_u32_e32 v1, s37, v30
	v_add_u32_e32 v2, s39, v30
	v_mul_lo_u32 v1, v1, s36
	v_mul_lo_u32 v2, v2, s38
	v_sub_u32_e32 v1, v1, v2
	v_cmp_ge_u32_e64 s[28:29], s40, v1
	s_mov_b64 s[46:47], -1
	s_mov_b64 s[78:79], 0
	s_mov_b64 s[58:59], 0
	s_and_saveexec_b64 s[88:89], s[28:29]
; %bb.30:
	v_add_u32_e32 v1, s42, v30
	v_add_u32_e32 v2, s60, v30
	v_mul_lo_u32 v1, v1, s41
	v_mul_lo_u32 v2, v2, s43
	v_sub_u32_e32 v1, v1, v2
	v_cmp_lt_u32_e64 s[28:29], s61, v1
	s_and_b64 s[58:59], s[28:29], exec
	s_xor_b64 s[46:47], exec, -1
; %bb.31:
	s_or_b64 exec, exec, s[88:89]
	v_cndmask_b32_e64 v52, 0, 1, s[86:87]
	v_cndmask_b32_e64 v55, 0, 1, s[24:25]
	;; [unrolled: 1-line block ×22, first 2 shown]
	v_cndmask_b32_e64 v32, 0, 1, vcc
	v_cndmask_b32_e64 v54, 0, 1, s[84:85]
	s_load_dwordx2 s[12:13], s[4:5], 0x78
	s_add_i32 s18, s7, 0xd00
	s_and_b64 vcc, exec, s[78:79]
	s_cbranch_vccnz .LBB1898_33
	s_branch .LBB1898_86
.LBB1898_32:
                                        ; implicit-def: $sgpr46_sgpr47
                                        ; implicit-def: $sgpr58_sgpr59
                                        ; implicit-def: $vgpr54
                                        ; implicit-def: $vgpr52
                                        ; implicit-def: $vgpr50
                                        ; implicit-def: $vgpr48
                                        ; implicit-def: $vgpr46
                                        ; implicit-def: $vgpr44
                                        ; implicit-def: $vgpr42
                                        ; implicit-def: $vgpr40
                                        ; implicit-def: $vgpr38
                                        ; implicit-def: $vgpr32
                                        ; implicit-def: $vgpr34
                                        ; implicit-def: $vgpr36
                                        ; implicit-def: $vgpr39
                                        ; implicit-def: $vgpr41
                                        ; implicit-def: $vgpr43
                                        ; implicit-def: $vgpr45
                                        ; implicit-def: $vgpr47
                                        ; implicit-def: $vgpr49
                                        ; implicit-def: $vgpr51
                                        ; implicit-def: $vgpr53
                                        ; implicit-def: $vgpr55
                                        ; implicit-def: $vgpr33
                                        ; implicit-def: $vgpr35
                                        ; implicit-def: $vgpr37
	s_load_dwordx2 s[12:13], s[4:5], 0x78
	s_add_i32 s18, s7, 0xd00
	s_cbranch_execz .LBB1898_86
.LBB1898_33:
	v_cmp_gt_u32_e32 vcc, s18, v31
	v_mov_b32_e32 v33, 0
	v_mov_b32_e32 v32, 0
	s_and_saveexec_b64 s[4:5], vcc
	s_cbranch_execz .LBB1898_37
; %bb.34:
	v_add_u32_e32 v1, s37, v18
	v_add_u32_e32 v2, s39, v18
	v_mul_lo_u32 v1, v1, s36
	v_mul_lo_u32 v2, v2, s38
	v_sub_u32_e32 v1, v1, v2
	v_cmp_lt_u32_e32 vcc, s40, v1
	v_cmp_ge_u32_e64 s[2:3], s40, v1
	s_mov_b64 s[10:11], 0
	s_and_saveexec_b64 s[8:9], s[2:3]
; %bb.35:
	v_add_u32_e32 v1, s42, v18
	v_add_u32_e32 v2, s60, v18
	v_mul_lo_u32 v1, v1, s41
	v_mul_lo_u32 v2, v2, s43
	v_sub_u32_e32 v1, v1, v2
	v_cmp_lt_u32_e64 s[2:3], s61, v1
	s_and_b64 s[10:11], s[2:3], exec
; %bb.36:
	s_or_b64 exec, exec, s[8:9]
	v_cndmask_b32_e64 v32, 0, 1, vcc
	v_cndmask_b32_e64 v33, 0, 1, s[10:11]
.LBB1898_37:
	s_or_b64 exec, exec, s[4:5]
	v_add_u32_e32 v1, 1, v31
	v_cmp_gt_u32_e32 vcc, s18, v1
	v_mov_b32_e32 v34, 0
	v_mov_b32_e32 v35, 0
	s_and_saveexec_b64 s[4:5], vcc
	s_cbranch_execz .LBB1898_41
; %bb.38:
	v_add_u32_e32 v1, s37, v19
	v_add_u32_e32 v2, s39, v19
	v_mul_lo_u32 v1, v1, s36
	v_mul_lo_u32 v2, v2, s38
	v_sub_u32_e32 v1, v1, v2
	v_cmp_lt_u32_e32 vcc, s40, v1
	v_cmp_ge_u32_e64 s[2:3], s40, v1
	s_mov_b64 s[10:11], 0
	s_and_saveexec_b64 s[8:9], s[2:3]
; %bb.39:
	v_add_u32_e32 v1, s42, v19
	v_add_u32_e32 v2, s60, v19
	v_mul_lo_u32 v1, v1, s41
	v_mul_lo_u32 v2, v2, s43
	v_sub_u32_e32 v1, v1, v2
	v_cmp_lt_u32_e64 s[2:3], s61, v1
	s_and_b64 s[10:11], s[2:3], exec
; %bb.40:
	s_or_b64 exec, exec, s[8:9]
	v_cndmask_b32_e64 v34, 0, 1, vcc
	v_cndmask_b32_e64 v35, 0, 1, s[10:11]
.LBB1898_41:
	s_or_b64 exec, exec, s[4:5]
	v_add_u32_e32 v1, 2, v31
	;; [unrolled: 30-line block ×12, first 2 shown]
	v_cmp_gt_u32_e32 vcc, s18, v1
	s_mov_b64 s[46:47], 0
	s_mov_b64 s[58:59], 0
	s_and_saveexec_b64 s[2:3], vcc
	s_cbranch_execz .LBB1898_85
; %bb.82:
	v_add_u32_e32 v1, s37, v30
	v_add_u32_e32 v2, s39, v30
	v_mul_lo_u32 v1, v1, s36
	v_mul_lo_u32 v2, v2, s38
	v_sub_u32_e32 v1, v1, v2
	v_cmp_ge_u32_e32 vcc, s40, v1
	s_mov_b64 s[8:9], -1
	s_mov_b64 s[10:11], 0
	s_and_saveexec_b64 s[4:5], vcc
; %bb.83:
	v_add_u32_e32 v1, s42, v30
	v_add_u32_e32 v2, s60, v30
	v_mul_lo_u32 v1, v1, s41
	v_mul_lo_u32 v2, v2, s43
	v_sub_u32_e32 v1, v1, v2
	v_cmp_lt_u32_e32 vcc, s61, v1
	s_and_b64 s[10:11], vcc, exec
	s_xor_b64 s[8:9], exec, -1
; %bb.84:
	s_or_b64 exec, exec, s[4:5]
	s_and_b64 s[58:59], s[10:11], exec
	s_and_b64 s[46:47], s[8:9], exec
.LBB1898_85:
	s_or_b64 exec, exec, s[2:3]
.LBB1898_86:
	v_and_b32_e32 v63, 0xff, v33
	v_and_b32_e32 v74, 0xff, v35
	v_and_b32_e32 v65, 0xff, v37
	v_and_b32_e32 v75, 0xff, v38
	v_and_b32_e32 v67, 0xff, v40
	v_add3_u32 v2, v74, v65, v63
	v_and_b32_e32 v76, 0xff, v42
	v_and_b32_e32 v69, 0xff, v44
	v_add3_u32 v2, v2, v75, v67
	v_and_b32_e32 v62, 0xff, v32
	v_and_b32_e32 v56, 0xff, v34
	;; [unrolled: 1-line block ×5, first 2 shown]
	v_add3_u32 v2, v2, v76, v69
	v_and_b32_e32 v57, 0xff, v39
	v_and_b32_e32 v66, 0xff, v41
	;; [unrolled: 1-line block ×4, first 2 shown]
	v_add3_u32 v3, v56, v64, v62
	v_add3_u32 v2, v2, v77, v71
	v_and_b32_e32 v58, 0xff, v43
	v_and_b32_e32 v68, 0xff, v45
	;; [unrolled: 1-line block ×3, first 2 shown]
	v_cndmask_b32_e64 v1, 0, 1, s[58:59]
	v_add3_u32 v3, v3, v57, v66
	v_add3_u32 v2, v2, v78, v73
	v_and_b32_e32 v59, 0xff, v47
	v_and_b32_e32 v70, 0xff, v49
	v_add3_u32 v3, v3, v58, v68
	v_add3_u32 v86, v2, v79, v1
	v_mbcnt_lo_u32_b32 v1, -1, 0
	v_and_b32_e32 v60, 0xff, v51
	v_and_b32_e32 v72, 0xff, v53
	v_add3_u32 v3, v3, v59, v70
	v_mbcnt_hi_u32_b32 v80, -1, v1
	v_and_b32_e32 v61, 0xff, v55
	v_add3_u32 v3, v3, v60, v72
	v_cndmask_b32_e64 v4, 0, 1, s[46:47]
	v_and_b32_e32 v84, 15, v80
	s_cmp_lg_u32 s6, 0
	v_add3_u32 v85, v3, v61, v4
	v_cmp_eq_u32_e64 s[4:5], 0, v84
	v_cmp_lt_u32_e64 s[2:3], 1, v84
	v_cmp_lt_u32_e64 s[8:9], 3, v84
	;; [unrolled: 1-line block ×3, first 2 shown]
	v_and_b32_e32 v83, 16, v80
	v_cmp_lt_u32_e32 vcc, 31, v80
	v_lshrrev_b32_e32 v81, 6, v0
	v_or_b32_e32 v82, 63, v0
	s_cbranch_scc0 .LBB1898_119
; %bb.87:
	v_mov_b32_dpp v1, v85 row_shr:1 row_mask:0xf bank_mask:0xf
	v_mov_b32_dpp v2, v86 row_shr:1 row_mask:0xf bank_mask:0xf
	v_add_u32_e32 v1, v1, v85
	v_add_u32_e32 v2, v2, v86
	v_cndmask_b32_e64 v2, v2, v86, s[4:5]
	v_cndmask_b32_e64 v1, v1, v85, s[4:5]
	s_nop 0
	v_mov_b32_dpp v4, v2 row_shr:2 row_mask:0xf bank_mask:0xf
	v_mov_b32_dpp v3, v1 row_shr:2 row_mask:0xf bank_mask:0xf
	v_add_u32_e32 v3, v1, v3
	v_add_u32_e32 v4, v2, v4
	v_cndmask_b32_e64 v2, v2, v4, s[2:3]
	v_cndmask_b32_e64 v1, v1, v3, s[2:3]
	s_nop 0
	v_mov_b32_dpp v4, v2 row_shr:4 row_mask:0xf bank_mask:0xf
	v_mov_b32_dpp v3, v1 row_shr:4 row_mask:0xf bank_mask:0xf
	v_add_u32_e32 v3, v1, v3
	v_add_u32_e32 v4, v2, v4
	v_cndmask_b32_e64 v2, v2, v4, s[8:9]
	v_cndmask_b32_e64 v1, v1, v3, s[8:9]
	v_cmp_eq_u32_e64 s[8:9], 0, v83
	v_mov_b32_dpp v4, v2 row_shr:8 row_mask:0xf bank_mask:0xf
	v_mov_b32_dpp v3, v1 row_shr:8 row_mask:0xf bank_mask:0xf
	v_add_u32_e32 v3, v1, v3
	v_add_u32_e32 v4, v2, v4
	v_cndmask_b32_e64 v2, v2, v4, s[10:11]
	v_cndmask_b32_e64 v1, v1, v3, s[10:11]
	s_nop 0
	v_mov_b32_dpp v4, v2 row_bcast:15 row_mask:0xf bank_mask:0xf
	v_mov_b32_dpp v3, v1 row_bcast:15 row_mask:0xf bank_mask:0xf
	v_add_u32_e32 v3, v1, v3
	v_add_u32_e32 v4, v2, v4
	v_cndmask_b32_e64 v2, v4, v2, s[8:9]
	v_cndmask_b32_e64 v1, v3, v1, s[8:9]
	s_nop 0
	v_mov_b32_dpp v4, v2 row_bcast:31 row_mask:0xf bank_mask:0xf
	v_mov_b32_dpp v3, v1 row_bcast:31 row_mask:0xf bank_mask:0xf
	v_add_u32_e32 v4, v2, v4
	v_add_u32_e32 v5, v1, v3
	v_cndmask_b32_e32 v3, v2, v4, vcc
	v_cndmask_b32_e32 v2, v1, v5, vcc
	v_cmp_eq_u32_e32 vcc, v82, v0
	s_and_saveexec_b64 s[8:9], vcc
	s_cbranch_execz .LBB1898_89
; %bb.88:
	v_lshlrev_b32_e32 v1, 3, v81
	ds_write_b64 v1, v[2:3]
.LBB1898_89:
	s_or_b64 exec, exec, s[8:9]
	v_cmp_gt_u32_e32 vcc, 4, v0
	s_waitcnt lgkmcnt(0)
	s_barrier
	s_and_saveexec_b64 s[8:9], vcc
	s_cbranch_execz .LBB1898_91
; %bb.90:
	v_lshlrev_b32_e32 v1, 3, v0
	ds_read_b64 v[4:5], v1
	v_and_b32_e32 v6, 3, v80
	v_cmp_eq_u32_e32 vcc, 0, v6
	s_waitcnt lgkmcnt(0)
	v_mov_b32_dpp v7, v4 row_shr:1 row_mask:0xf bank_mask:0xf
	v_mov_b32_dpp v20, v5 row_shr:1 row_mask:0xf bank_mask:0xf
	v_add_u32_e32 v7, v7, v4
	v_add_u32_e32 v20, v20, v5
	v_cndmask_b32_e32 v5, v20, v5, vcc
	v_cndmask_b32_e32 v4, v7, v4, vcc
	v_cmp_lt_u32_e32 vcc, 1, v6
	v_mov_b32_dpp v20, v5 row_shr:2 row_mask:0xf bank_mask:0xf
	v_mov_b32_dpp v7, v4 row_shr:2 row_mask:0xf bank_mask:0xf
	v_cndmask_b32_e32 v6, 0, v7, vcc
	v_cndmask_b32_e32 v7, 0, v20, vcc
	v_add_u32_e32 v5, v7, v5
	v_add_u32_e32 v4, v6, v4
	ds_write_b64 v1, v[4:5]
.LBB1898_91:
	s_or_b64 exec, exec, s[8:9]
	v_cmp_gt_u32_e32 vcc, 64, v0
	v_cmp_lt_u32_e64 s[8:9], 63, v0
	s_waitcnt lgkmcnt(0)
	s_barrier
	s_waitcnt lgkmcnt(0)
                                        ; implicit-def: $vgpr21
	s_and_saveexec_b64 s[10:11], s[8:9]
	s_xor_b64 s[8:9], exec, s[10:11]
	s_cbranch_execz .LBB1898_93
; %bb.92:
	v_lshl_add_u32 v1, v81, 3, -8
	ds_read_b64 v[20:21], v1
	s_waitcnt lgkmcnt(0)
	v_add_u32_e32 v3, v21, v3
	v_add_u32_e32 v2, v20, v2
.LBB1898_93:
	s_andn2_saveexec_b64 s[8:9], s[8:9]
; %bb.94:
                                        ; implicit-def: $vgpr20
; %bb.95:
	s_or_b64 exec, exec, s[8:9]
	v_add_u32_e32 v1, -1, v80
	v_and_b32_e32 v4, 64, v80
	v_cmp_lt_i32_e64 s[8:9], v1, v4
	v_cndmask_b32_e64 v1, v1, v80, s[8:9]
	v_lshlrev_b32_e32 v4, 2, v1
	ds_bpermute_b32 v1, v4, v2
	ds_bpermute_b32 v87, v4, v3
	v_cmp_eq_u32_e64 s[8:9], 0, v80
	s_and_saveexec_b64 s[10:11], vcc
	s_cbranch_execz .LBB1898_118
; %bb.96:
	v_mov_b32_e32 v7, 0
	ds_read_b64 v[22:23], v7 offset:24
	s_and_saveexec_b64 s[14:15], s[8:9]
	s_cbranch_execz .LBB1898_98
; %bb.97:
	s_add_i32 s16, s6, 64
	s_mov_b32 s17, 0
	s_lshl_b64 s[16:17], s[16:17], 4
	s_waitcnt lgkmcnt(0)
	v_and_b32_e32 v2, 0xff000000, v23
	v_and_b32_e32 v3, 0xff0000, v23
	s_add_u32 s16, s12, s16
	v_or_b32_e32 v2, v3, v2
	v_and_b32_e32 v3, 0xff00, v23
	s_addc_u32 s17, s13, s17
	v_or_b32_e32 v2, v2, v3
	v_or_b32_sdwa v5, v2, v23 dst_sel:DWORD dst_unused:UNUSED_PAD src0_sel:DWORD src1_sel:BYTE_0
	v_mov_b32_e32 v6, 1
	v_mov_b32_e32 v4, v22
	v_pk_mov_b32 v[2:3], s[16:17], s[16:17] op_sel:[0,1]
	;;#ASMSTART
	global_store_dwordx4 v[2:3], v[4:7] off	
s_waitcnt vmcnt(0)
	;;#ASMEND
.LBB1898_98:
	s_or_b64 exec, exec, s[14:15]
	v_xad_u32 v24, v80, -1, s6
	v_add_u32_e32 v6, 64, v24
	v_lshlrev_b64 v[2:3], 4, v[6:7]
	v_mov_b32_e32 v4, s13
	v_add_co_u32_e32 v26, vcc, s12, v2
	v_addc_co_u32_e32 v27, vcc, v4, v3, vcc
	;;#ASMSTART
	global_load_dwordx4 v[2:5], v[26:27] off glc	
s_waitcnt vmcnt(0)
	;;#ASMEND
	v_and_b32_e32 v5, 0xff, v3
	v_and_b32_e32 v6, 0xff00, v3
	v_or3_b32 v5, 0, v5, v6
	v_or3_b32 v2, v2, 0, 0
	v_and_b32_e32 v6, 0xff000000, v3
	v_and_b32_e32 v3, 0xff0000, v3
	v_or3_b32 v3, v5, v3, v6
	v_or3_b32 v2, v2, 0, 0
	v_cmp_eq_u16_sdwa s[16:17], v4, v7 src0_sel:BYTE_0 src1_sel:DWORD
	s_and_saveexec_b64 s[14:15], s[16:17]
	s_cbranch_execz .LBB1898_104
; %bb.99:
	s_mov_b32 s7, 1
	s_mov_b64 s[16:17], 0
	v_mov_b32_e32 v6, 0
.LBB1898_100:                           ; =>This Loop Header: Depth=1
                                        ;     Child Loop BB1898_101 Depth 2
	s_max_u32 s19, s7, 1
.LBB1898_101:                           ;   Parent Loop BB1898_100 Depth=1
                                        ; =>  This Inner Loop Header: Depth=2
	s_add_i32 s19, s19, -1
	s_cmp_eq_u32 s19, 0
	s_sleep 1
	s_cbranch_scc0 .LBB1898_101
; %bb.102:                              ;   in Loop: Header=BB1898_100 Depth=1
	s_cmp_lt_u32 s7, 32
	s_cselect_b64 s[20:21], -1, 0
	s_cmp_lg_u64 s[20:21], 0
	s_addc_u32 s7, s7, 0
	;;#ASMSTART
	global_load_dwordx4 v[2:5], v[26:27] off glc	
s_waitcnt vmcnt(0)
	;;#ASMEND
	v_cmp_ne_u16_sdwa s[20:21], v4, v6 src0_sel:BYTE_0 src1_sel:DWORD
	s_or_b64 s[16:17], s[20:21], s[16:17]
	s_andn2_b64 exec, exec, s[16:17]
	s_cbranch_execnz .LBB1898_100
; %bb.103:
	s_or_b64 exec, exec, s[16:17]
.LBB1898_104:
	s_or_b64 exec, exec, s[14:15]
	v_and_b32_e32 v89, 63, v80
	v_cmp_ne_u32_e32 vcc, 63, v89
	v_mov_b32_e32 v88, 2
	v_addc_co_u32_e32 v26, vcc, 0, v80, vcc
	v_cmp_eq_u16_sdwa s[14:15], v4, v88 src0_sel:BYTE_0 src1_sel:DWORD
	v_lshlrev_b64 v[6:7], v80, -1
	v_lshlrev_b32_e32 v90, 2, v26
	v_and_b32_e32 v5, s15, v7
	ds_bpermute_b32 v26, v90, v2
	ds_bpermute_b32 v27, v90, v3
	v_or_b32_e32 v5, 0x80000000, v5
	v_and_b32_e32 v25, s14, v6
	v_ffbl_b32_e32 v5, v5
	v_add_u32_e32 v5, 32, v5
	v_ffbl_b32_e32 v25, v25
	v_min_u32_e32 v5, v25, v5
	s_waitcnt lgkmcnt(1)
	v_add_u32_e32 v25, v26, v2
	s_waitcnt lgkmcnt(0)
	v_add_u32_e32 v26, v27, v3
	v_cmp_lt_u32_e32 vcc, v89, v5
	v_cndmask_b32_e32 v3, v3, v26, vcc
	v_cndmask_b32_e32 v2, v2, v25, vcc
	v_cmp_gt_u32_e32 vcc, 62, v89
	v_cndmask_b32_e64 v25, 0, 1, vcc
	v_lshlrev_b32_e32 v25, 1, v25
	v_add_lshl_u32 v91, v25, v80, 2
	ds_bpermute_b32 v25, v91, v2
	ds_bpermute_b32 v26, v91, v3
	v_add_u32_e32 v92, 2, v89
	v_cmp_gt_u32_e32 vcc, v92, v5
	v_add_u32_e32 v94, 4, v89
	s_waitcnt lgkmcnt(1)
	v_add_u32_e32 v25, v2, v25
	s_waitcnt lgkmcnt(0)
	v_add_u32_e32 v26, v3, v26
	v_cndmask_b32_e32 v3, v26, v3, vcc
	v_cndmask_b32_e32 v2, v25, v2, vcc
	v_cmp_gt_u32_e32 vcc, 60, v89
	v_cndmask_b32_e64 v25, 0, 1, vcc
	v_lshlrev_b32_e32 v25, 2, v25
	v_add_lshl_u32 v93, v25, v80, 2
	ds_bpermute_b32 v25, v93, v2
	ds_bpermute_b32 v26, v93, v3
	v_cmp_gt_u32_e32 vcc, v94, v5
	v_add_u32_e32 v96, 8, v89
	v_add_u32_e32 v98, 16, v89
	s_waitcnt lgkmcnt(1)
	v_add_u32_e32 v25, v2, v25
	s_waitcnt lgkmcnt(0)
	v_add_u32_e32 v26, v3, v26
	v_cndmask_b32_e32 v3, v26, v3, vcc
	v_cndmask_b32_e32 v2, v25, v2, vcc
	v_cmp_gt_u32_e32 vcc, 56, v89
	v_cndmask_b32_e64 v25, 0, 1, vcc
	v_lshlrev_b32_e32 v25, 3, v25
	v_add_lshl_u32 v95, v25, v80, 2
	ds_bpermute_b32 v25, v95, v2
	ds_bpermute_b32 v26, v95, v3
	v_cmp_gt_u32_e32 vcc, v96, v5
	v_add_u32_e32 v100, 32, v89
	s_waitcnt lgkmcnt(1)
	v_add_u32_e32 v25, v2, v25
	s_waitcnt lgkmcnt(0)
	v_add_u32_e32 v26, v3, v26
	v_cndmask_b32_e32 v3, v26, v3, vcc
	v_cndmask_b32_e32 v2, v25, v2, vcc
	v_cmp_gt_u32_e32 vcc, 48, v89
	v_cndmask_b32_e64 v25, 0, 1, vcc
	v_lshlrev_b32_e32 v25, 4, v25
	v_add_lshl_u32 v97, v25, v80, 2
	ds_bpermute_b32 v25, v97, v2
	ds_bpermute_b32 v26, v97, v3
	v_cmp_gt_u32_e32 vcc, v98, v5
	s_waitcnt lgkmcnt(1)
	v_add_u32_e32 v25, v2, v25
	s_waitcnt lgkmcnt(0)
	v_add_u32_e32 v26, v3, v26
	v_cndmask_b32_e32 v3, v26, v3, vcc
	v_cndmask_b32_e32 v2, v25, v2, vcc
	v_cmp_gt_u32_e32 vcc, 32, v89
	v_cndmask_b32_e64 v25, 0, 1, vcc
	v_lshlrev_b32_e32 v25, 5, v25
	v_add_lshl_u32 v99, v25, v80, 2
	ds_bpermute_b32 v25, v99, v2
	ds_bpermute_b32 v26, v99, v3
	v_cmp_le_u32_e32 vcc, v100, v5
	s_waitcnt lgkmcnt(1)
	v_cndmask_b32_e32 v5, 0, v25, vcc
	s_waitcnt lgkmcnt(0)
	v_cndmask_b32_e32 v25, 0, v26, vcc
	v_add_u32_e32 v3, v3, v25
	v_add_u32_e32 v2, v2, v5
	v_mov_b32_e32 v25, 0
	s_branch .LBB1898_106
.LBB1898_105:                           ;   in Loop: Header=BB1898_106 Depth=1
	s_or_b64 exec, exec, s[14:15]
	v_cmp_eq_u16_sdwa s[14:15], v4, v88 src0_sel:BYTE_0 src1_sel:DWORD
	v_and_b32_e32 v5, s15, v7
	ds_bpermute_b32 v29, v90, v2
	ds_bpermute_b32 v101, v90, v3
	v_or_b32_e32 v5, 0x80000000, v5
	v_and_b32_e32 v28, s14, v6
	v_ffbl_b32_e32 v5, v5
	v_add_u32_e32 v5, 32, v5
	v_ffbl_b32_e32 v28, v28
	v_min_u32_e32 v5, v28, v5
	s_waitcnt lgkmcnt(1)
	v_add_u32_e32 v28, v29, v2
	s_waitcnt lgkmcnt(0)
	v_add_u32_e32 v29, v101, v3
	v_cmp_lt_u32_e32 vcc, v89, v5
	v_cndmask_b32_e32 v3, v3, v29, vcc
	v_cndmask_b32_e32 v2, v2, v28, vcc
	ds_bpermute_b32 v28, v91, v2
	ds_bpermute_b32 v29, v91, v3
	v_cmp_gt_u32_e32 vcc, v92, v5
	v_subrev_u32_e32 v24, 64, v24
	s_waitcnt lgkmcnt(1)
	v_add_u32_e32 v28, v2, v28
	s_waitcnt lgkmcnt(0)
	v_add_u32_e32 v29, v3, v29
	v_cndmask_b32_e32 v3, v29, v3, vcc
	v_cndmask_b32_e32 v2, v28, v2, vcc
	ds_bpermute_b32 v28, v93, v2
	ds_bpermute_b32 v29, v93, v3
	v_cmp_gt_u32_e32 vcc, v94, v5
	s_waitcnt lgkmcnt(1)
	v_add_u32_e32 v28, v2, v28
	s_waitcnt lgkmcnt(0)
	v_add_u32_e32 v29, v3, v29
	v_cndmask_b32_e32 v3, v29, v3, vcc
	v_cndmask_b32_e32 v2, v28, v2, vcc
	ds_bpermute_b32 v28, v95, v2
	ds_bpermute_b32 v29, v95, v3
	v_cmp_gt_u32_e32 vcc, v96, v5
	;; [unrolled: 9-line block ×3, first 2 shown]
	s_waitcnt lgkmcnt(1)
	v_add_u32_e32 v28, v2, v28
	s_waitcnt lgkmcnt(0)
	v_add_u32_e32 v29, v3, v29
	v_cndmask_b32_e32 v3, v29, v3, vcc
	v_cndmask_b32_e32 v2, v28, v2, vcc
	ds_bpermute_b32 v28, v99, v2
	ds_bpermute_b32 v29, v99, v3
	v_cmp_le_u32_e32 vcc, v100, v5
	s_waitcnt lgkmcnt(1)
	v_cndmask_b32_e32 v5, 0, v28, vcc
	s_waitcnt lgkmcnt(0)
	v_cndmask_b32_e32 v28, 0, v29, vcc
	v_add3_u32 v3, v28, v27, v3
	v_add3_u32 v2, v5, v26, v2
.LBB1898_106:                           ; =>This Loop Header: Depth=1
                                        ;     Child Loop BB1898_109 Depth 2
                                        ;       Child Loop BB1898_110 Depth 3
	v_cmp_ne_u16_sdwa s[14:15], v4, v88 src0_sel:BYTE_0 src1_sel:DWORD
	v_cndmask_b32_e64 v4, 0, 1, s[14:15]
	;;#ASMSTART
	;;#ASMEND
	v_cmp_ne_u32_e32 vcc, 0, v4
	s_cmp_lg_u64 vcc, exec
	v_pk_mov_b32 v[26:27], v[2:3], v[2:3] op_sel:[0,1]
	s_cbranch_scc1 .LBB1898_113
; %bb.107:                              ;   in Loop: Header=BB1898_106 Depth=1
	v_lshlrev_b64 v[2:3], 4, v[24:25]
	v_mov_b32_e32 v4, s13
	v_add_co_u32_e32 v28, vcc, s12, v2
	v_addc_co_u32_e32 v29, vcc, v4, v3, vcc
	;;#ASMSTART
	global_load_dwordx4 v[2:5], v[28:29] off glc	
s_waitcnt vmcnt(0)
	;;#ASMEND
	v_and_b32_e32 v5, 0xff, v3
	v_and_b32_e32 v101, 0xff00, v3
	v_or3_b32 v5, 0, v5, v101
	v_or3_b32 v2, v2, 0, 0
	v_and_b32_e32 v101, 0xff000000, v3
	v_and_b32_e32 v3, 0xff0000, v3
	v_or3_b32 v3, v5, v3, v101
	v_or3_b32 v2, v2, 0, 0
	v_cmp_eq_u16_sdwa s[16:17], v4, v25 src0_sel:BYTE_0 src1_sel:DWORD
	s_and_saveexec_b64 s[14:15], s[16:17]
	s_cbranch_execz .LBB1898_105
; %bb.108:                              ;   in Loop: Header=BB1898_106 Depth=1
	s_mov_b32 s7, 1
	s_mov_b64 s[16:17], 0
.LBB1898_109:                           ;   Parent Loop BB1898_106 Depth=1
                                        ; =>  This Loop Header: Depth=2
                                        ;       Child Loop BB1898_110 Depth 3
	s_max_u32 s19, s7, 1
.LBB1898_110:                           ;   Parent Loop BB1898_106 Depth=1
                                        ;     Parent Loop BB1898_109 Depth=2
                                        ; =>    This Inner Loop Header: Depth=3
	s_add_i32 s19, s19, -1
	s_cmp_eq_u32 s19, 0
	s_sleep 1
	s_cbranch_scc0 .LBB1898_110
; %bb.111:                              ;   in Loop: Header=BB1898_109 Depth=2
	s_cmp_lt_u32 s7, 32
	s_cselect_b64 s[20:21], -1, 0
	s_cmp_lg_u64 s[20:21], 0
	s_addc_u32 s7, s7, 0
	;;#ASMSTART
	global_load_dwordx4 v[2:5], v[28:29] off glc	
s_waitcnt vmcnt(0)
	;;#ASMEND
	v_cmp_ne_u16_sdwa s[20:21], v4, v25 src0_sel:BYTE_0 src1_sel:DWORD
	s_or_b64 s[16:17], s[20:21], s[16:17]
	s_andn2_b64 exec, exec, s[16:17]
	s_cbranch_execnz .LBB1898_109
; %bb.112:                              ;   in Loop: Header=BB1898_106 Depth=1
	s_or_b64 exec, exec, s[16:17]
	s_branch .LBB1898_105
.LBB1898_113:                           ;   in Loop: Header=BB1898_106 Depth=1
                                        ; implicit-def: $vgpr4
                                        ; implicit-def: $vgpr2_vgpr3
	s_cbranch_execz .LBB1898_106
; %bb.114:
	s_and_saveexec_b64 s[14:15], s[8:9]
	s_cbranch_execz .LBB1898_116
; %bb.115:
	s_add_i32 s6, s6, 64
	s_mov_b32 s7, 0
	v_add_u32_e32 v3, v27, v23
	s_lshl_b64 s[6:7], s[6:7], 4
	s_add_u32 s6, s12, s6
	v_and_b32_e32 v4, 0xff000000, v3
	v_and_b32_e32 v6, 0xff0000, v3
	s_addc_u32 s7, s13, s7
	v_or_b32_e32 v4, v6, v4
	v_and_b32_e32 v6, 0xff00, v3
	v_and_b32_e32 v3, 0xff, v3
	v_add_u32_e32 v2, v26, v22
	v_mov_b32_e32 v5, 0
	v_or3_b32 v3, v4, v6, v3
	v_mov_b32_e32 v4, 2
	v_pk_mov_b32 v[6:7], s[6:7], s[6:7] op_sel:[0,1]
	;;#ASMSTART
	global_store_dwordx4 v[6:7], v[2:5] off	
s_waitcnt vmcnt(0)
	;;#ASMEND
	s_movk_i32 s6, 0x3400
	v_add_u32_e64 v2, s6, 0
	ds_write2_b32 v2, v22, v23 offset1:2
	ds_write2_b32 v2, v26, v27 offset0:4 offset1:6
.LBB1898_116:
	s_or_b64 exec, exec, s[14:15]
	v_cmp_eq_u32_e32 vcc, 0, v0
	s_and_b64 exec, exec, vcc
	s_cbranch_execz .LBB1898_118
; %bb.117:
	v_mov_b32_e32 v2, 0
	ds_write_b64 v2, v[26:27] offset:24
.LBB1898_118:
	s_or_b64 exec, exec, s[10:11]
	v_mov_b32_e32 v2, 0
	s_waitcnt lgkmcnt(0)
	s_barrier
	ds_read_b64 v[6:7], v2 offset:24
	s_movk_i32 s6, 0x3400
	v_cndmask_b32_e64 v2, v87, v21, s[8:9]
	v_cndmask_b32_e64 v1, v1, v20, s[8:9]
	v_add_u32_e64 v4, s6, 0
	s_waitcnt lgkmcnt(0)
	v_add_u32_e32 v20, v6, v1
	v_add_u32_e32 v1, v7, v2
	s_barrier
	ds_read2_b32 v[2:3], v4 offset1:2
	ds_read2_b32 v[4:5], v4 offset0:4 offset1:6
	v_cmp_eq_u32_e32 vcc, 0, v0
	v_cndmask_b32_e32 v1, v1, v7, vcc
	v_cndmask_b32_e32 v20, v20, v6, vcc
	s_branch .LBB1898_129
.LBB1898_119:
                                        ; implicit-def: $vgpr1
                                        ; implicit-def: $vgpr4
                                        ; implicit-def: $vgpr2
                                        ; implicit-def: $vgpr20_vgpr21
	s_cbranch_execz .LBB1898_129
; %bb.120:
	s_nop 0
	v_mov_b32_dpp v1, v85 row_shr:1 row_mask:0xf bank_mask:0xf
	s_waitcnt lgkmcnt(0)
	v_mov_b32_dpp v2, v86 row_shr:1 row_mask:0xf bank_mask:0xf
	v_add_u32_e32 v1, v1, v85
	v_add_u32_e32 v2, v2, v86
	v_cndmask_b32_e64 v2, v2, v86, s[4:5]
	v_cndmask_b32_e64 v1, v1, v85, s[4:5]
	v_cmp_lt_u32_e32 vcc, 3, v84
	v_mov_b32_dpp v4, v2 row_shr:2 row_mask:0xf bank_mask:0xf
	v_mov_b32_dpp v3, v1 row_shr:2 row_mask:0xf bank_mask:0xf
	v_add_u32_e32 v3, v1, v3
	v_add_u32_e32 v4, v2, v4
	v_cndmask_b32_e64 v2, v2, v4, s[2:3]
	v_cndmask_b32_e64 v1, v1, v3, s[2:3]
	s_nop 0
	v_mov_b32_dpp v4, v2 row_shr:4 row_mask:0xf bank_mask:0xf
	v_mov_b32_dpp v3, v1 row_shr:4 row_mask:0xf bank_mask:0xf
	v_add_u32_e32 v3, v1, v3
	v_add_u32_e32 v4, v2, v4
	v_cndmask_b32_e32 v2, v2, v4, vcc
	v_cndmask_b32_e32 v1, v1, v3, vcc
	v_cmp_lt_u32_e32 vcc, 7, v84
	v_mov_b32_dpp v4, v2 row_shr:8 row_mask:0xf bank_mask:0xf
	v_mov_b32_dpp v3, v1 row_shr:8 row_mask:0xf bank_mask:0xf
	v_add_u32_e32 v3, v1, v3
	v_add_u32_e32 v4, v2, v4
	v_cndmask_b32_e32 v2, v2, v4, vcc
	v_cndmask_b32_e32 v1, v1, v3, vcc
	v_cmp_eq_u32_e32 vcc, 0, v83
	v_mov_b32_dpp v4, v2 row_bcast:15 row_mask:0xf bank_mask:0xf
	v_mov_b32_dpp v3, v1 row_bcast:15 row_mask:0xf bank_mask:0xf
	v_add_u32_e32 v3, v1, v3
	v_add_u32_e32 v4, v2, v4
	v_cndmask_b32_e32 v2, v4, v2, vcc
	v_cndmask_b32_e32 v1, v3, v1, vcc
	v_cmp_lt_u32_e32 vcc, 31, v80
	v_mov_b32_dpp v4, v2 row_bcast:31 row_mask:0xf bank_mask:0xf
	v_mov_b32_dpp v3, v1 row_bcast:31 row_mask:0xf bank_mask:0xf
	v_add_u32_e32 v4, v2, v4
	v_add_u32_e32 v5, v1, v3
	v_cndmask_b32_e32 v3, v2, v4, vcc
	v_cndmask_b32_e32 v2, v1, v5, vcc
	v_cmp_eq_u32_e32 vcc, v82, v0
	s_and_saveexec_b64 s[2:3], vcc
	s_cbranch_execz .LBB1898_122
; %bb.121:
	v_lshlrev_b32_e32 v1, 3, v81
	ds_write_b64 v1, v[2:3]
.LBB1898_122:
	s_or_b64 exec, exec, s[2:3]
	v_cmp_gt_u32_e32 vcc, 4, v0
	s_waitcnt lgkmcnt(0)
	s_barrier
	s_and_saveexec_b64 s[2:3], vcc
	s_cbranch_execz .LBB1898_124
; %bb.123:
	v_lshlrev_b32_e32 v1, 3, v0
	ds_read_b64 v[4:5], v1
	v_and_b32_e32 v6, 3, v80
	v_cmp_eq_u32_e32 vcc, 0, v6
	s_waitcnt lgkmcnt(0)
	v_mov_b32_dpp v7, v4 row_shr:1 row_mask:0xf bank_mask:0xf
	v_mov_b32_dpp v20, v5 row_shr:1 row_mask:0xf bank_mask:0xf
	v_add_u32_e32 v7, v7, v4
	v_add_u32_e32 v20, v20, v5
	v_cndmask_b32_e32 v5, v20, v5, vcc
	v_cndmask_b32_e32 v4, v7, v4, vcc
	v_cmp_lt_u32_e32 vcc, 1, v6
	v_mov_b32_dpp v20, v5 row_shr:2 row_mask:0xf bank_mask:0xf
	v_mov_b32_dpp v7, v4 row_shr:2 row_mask:0xf bank_mask:0xf
	v_cndmask_b32_e32 v6, 0, v7, vcc
	v_cndmask_b32_e32 v7, 0, v20, vcc
	v_add_u32_e32 v5, v7, v5
	v_add_u32_e32 v4, v6, v4
	ds_write_b64 v1, v[4:5]
.LBB1898_124:
	s_or_b64 exec, exec, s[2:3]
	v_cmp_lt_u32_e32 vcc, 63, v0
	v_mov_b32_e32 v4, 0
	v_mov_b32_e32 v6, 0
	;; [unrolled: 1-line block ×3, first 2 shown]
	s_waitcnt lgkmcnt(0)
	s_barrier
	s_and_saveexec_b64 s[2:3], vcc
	s_cbranch_execz .LBB1898_126
; %bb.125:
	v_lshl_add_u32 v1, v81, 3, -8
	ds_read_b64 v[6:7], v1
.LBB1898_126:
	s_or_b64 exec, exec, s[2:3]
	s_waitcnt lgkmcnt(0)
	v_add_u32_e32 v5, v7, v3
	v_add_u32_e32 v1, v6, v2
	v_add_u32_e32 v2, -1, v80
	v_and_b32_e32 v3, 64, v80
	v_cmp_lt_i32_e32 vcc, v2, v3
	v_cndmask_b32_e32 v2, v2, v80, vcc
	v_lshlrev_b32_e32 v20, 2, v2
	ds_read_b64 v[2:3], v4 offset:24
	ds_bpermute_b32 v1, v20, v1
	ds_bpermute_b32 v20, v20, v5
	v_cmp_eq_u32_e32 vcc, 0, v0
	s_waitcnt lgkmcnt(2)
	v_readfirstlane_b32 s4, v3
	s_and_saveexec_b64 s[2:3], vcc
	s_cbranch_execz .LBB1898_128
; %bb.127:
	s_add_u32 s6, s12, 0x400
	s_mov_b32 s8, 0
	s_addc_u32 s7, s13, 0
	s_and_b32 s9, s4, 0xff000000
	s_and_b32 s11, s4, 0xff0000
	s_mov_b32 s10, s8
	s_or_b64 s[10:11], s[10:11], s[8:9]
	s_and_b32 s9, s4, 0xff00
	s_or_b64 s[10:11], s[10:11], s[8:9]
	s_and_b32 s9, s4, 0xff
	s_or_b64 s[8:9], s[10:11], s[8:9]
	v_mov_b32_e32 v3, s9
	v_mov_b32_e32 v4, 2
	v_mov_b32_e32 v5, 0
	v_pk_mov_b32 v[22:23], s[6:7], s[6:7] op_sel:[0,1]
	;;#ASMSTART
	global_store_dwordx4 v[22:23], v[2:5] off	
s_waitcnt vmcnt(0)
	;;#ASMEND
.LBB1898_128:
	s_or_b64 exec, exec, s[2:3]
	v_cmp_eq_u32_e64 s[2:3], 0, v80
	s_waitcnt lgkmcnt(1)
	v_cndmask_b32_e64 v3, v1, v6, s[2:3]
	s_waitcnt lgkmcnt(0)
	v_cndmask_b32_e64 v1, v20, v7, s[2:3]
	v_mov_b32_e32 v4, 0
	v_cndmask_b32_e64 v1, v1, 0, vcc
	v_cndmask_b32_e64 v20, v3, 0, vcc
	s_barrier
	v_mov_b32_e32 v3, s4
	v_mov_b32_e32 v5, 0
.LBB1898_129:
	v_add_u32_e32 v24, v1, v63
	v_add_u32_e32 v25, v24, v74
	;; [unrolled: 1-line block ×14, first 2 shown]
	v_mov_b32_e32 v7, s49
	s_waitcnt lgkmcnt(0)
	v_add_co_u32_e32 v6, vcc, s48, v4
	v_add_u32_e32 v64, v58, v68
	v_add_u32_e32 v68, v66, v71
	v_addc_co_u32_e32 v7, vcc, 0, v7, vcc
	v_add_u32_e32 v69, v68, v78
	v_mov_b32_e32 v22, s51
	v_sub_co_u32_e32 v23, vcc, s50, v2
	v_add_u32_e32 v71, v69, v73
	v_subbrev_co_u32_e32 v73, vcc, 0, v22, vcc
	v_add_co_u32_e32 v22, vcc, v23, v5
	v_addc_co_u32_e32 v23, vcc, 0, v73, vcc
	v_lshlrev_b32_e32 v73, 1, v2
	v_sub_u32_e32 v1, v1, v5
	v_add_u32_e32 v74, v73, v3
	v_sub_u32_e32 v20, v20, v4
	v_add_u32_e32 v1, v1, v2
	v_add_u32_e32 v31, v74, v31
	v_and_b32_e32 v33, 1, v33
	v_add_u32_e32 v74, v20, v1
	v_and_b32_e32 v32, 1, v32
	v_sub_u32_e32 v74, v31, v74
	v_cmp_eq_u32_e32 vcc, 1, v33
	v_cndmask_b32_e32 v1, v74, v1, vcc
	v_cmp_eq_u32_e32 vcc, 1, v32
	v_cndmask_b32_e32 v1, v1, v20, vcc
	v_lshlrev_b32_e32 v1, 2, v1
	v_sub_u32_e32 v20, v24, v5
	ds_write_b32 v1, v18
	v_sub_u32_e32 v1, v21, v4
	v_add_u32_e32 v20, v20, v2
	v_add_u32_e32 v24, v20, v1
	v_and_b32_e32 v21, 1, v35
	v_sub_u32_e32 v24, v31, v24
	v_and_b32_e32 v18, 1, v34
	v_add_u32_e32 v24, 1, v24
	v_cmp_eq_u32_e32 vcc, 1, v21
	v_cndmask_b32_e32 v20, v24, v20, vcc
	v_cmp_eq_u32_e32 vcc, 1, v18
	v_cndmask_b32_e32 v1, v20, v1, vcc
	v_lshlrev_b32_e32 v1, 2, v1
	ds_write_b32 v1, v19
	v_sub_u32_e32 v19, v25, v5
	v_sub_u32_e32 v1, v26, v4
	v_add_u32_e32 v19, v19, v2
	v_add_u32_e32 v21, v19, v1
	v_and_b32_e32 v20, 1, v37
	v_sub_u32_e32 v21, v31, v21
	v_and_b32_e32 v18, 1, v36
	v_add_u32_e32 v21, 2, v21
	v_cmp_eq_u32_e32 vcc, 1, v20
	v_cndmask_b32_e32 v19, v21, v19, vcc
	v_cmp_eq_u32_e32 vcc, 1, v18
	v_cndmask_b32_e32 v1, v19, v1, vcc
	v_lshlrev_b32_e32 v1, 2, v1
	v_sub_u32_e32 v18, v28, v5
	ds_write_b32 v1, v16
	v_sub_u32_e32 v1, v27, v4
	v_add_u32_e32 v18, v18, v2
	v_add_u32_e32 v20, v1, v18
	v_and_b32_e32 v19, 1, v38
	v_sub_u32_e32 v20, v31, v20
	v_and_b32_e32 v16, 1, v39
	v_add_u32_e32 v20, 3, v20
	v_cmp_eq_u32_e32 vcc, 1, v19
	v_cndmask_b32_e32 v18, v20, v18, vcc
	v_cmp_eq_u32_e32 vcc, 1, v16
	v_cndmask_b32_e32 v1, v18, v1, vcc
	v_lshlrev_b32_e32 v1, 2, v1
	ds_write_b32 v1, v17
	v_sub_u32_e32 v17, v29, v5
	v_sub_u32_e32 v1, v56, v4
	v_add_u32_e32 v17, v17, v2
	v_add_u32_e32 v19, v1, v17
	v_and_b32_e32 v18, 1, v40
	v_sub_u32_e32 v19, v31, v19
	v_and_b32_e32 v16, 1, v41
	v_add_u32_e32 v19, 4, v19
	;; [unrolled: 28-line block ×3, first 2 shown]
	v_cmp_eq_u32_e32 vcc, 1, v16
	v_cndmask_b32_e32 v15, v17, v15, vcc
	v_cmp_eq_u32_e32 vcc, 1, v14
	v_cndmask_b32_e32 v1, v15, v1, vcc
	v_lshlrev_b32_e32 v1, 2, v1
	v_sub_u32_e32 v14, v65, v5
	ds_write_b32 v1, v12
	v_sub_u32_e32 v1, v64, v4
	v_add_u32_e32 v14, v14, v2
	v_add_u32_e32 v16, v1, v14
	v_and_b32_e32 v15, 1, v46
	v_sub_u32_e32 v16, v31, v16
	v_and_b32_e32 v12, 1, v47
	v_add_u32_e32 v16, 7, v16
	v_cmp_eq_u32_e32 vcc, 1, v15
	v_cndmask_b32_e32 v14, v16, v14, vcc
	v_cmp_eq_u32_e32 vcc, 1, v12
	v_cndmask_b32_e32 v1, v14, v1, vcc
	v_lshlrev_b32_e32 v1, 2, v1
	v_add_u32_e32 v59, v64, v59
	ds_write_b32 v1, v13
	v_sub_u32_e32 v13, v66, v5
	v_sub_u32_e32 v1, v59, v4
	v_add_u32_e32 v13, v13, v2
	v_add_u32_e32 v15, v1, v13
	v_and_b32_e32 v14, 1, v48
	v_sub_u32_e32 v15, v31, v15
	v_and_b32_e32 v12, 1, v49
	v_add_u32_e32 v15, 8, v15
	v_cmp_eq_u32_e32 vcc, 1, v14
	v_cndmask_b32_e32 v13, v15, v13, vcc
	v_cmp_eq_u32_e32 vcc, 1, v12
	v_cndmask_b32_e32 v1, v13, v1, vcc
	v_add_u32_e32 v67, v59, v70
	v_lshlrev_b32_e32 v1, 2, v1
	v_sub_u32_e32 v12, v68, v5
	ds_write_b32 v1, v10
	v_sub_u32_e32 v1, v67, v4
	v_add_u32_e32 v12, v12, v2
	v_add_u32_e32 v14, v1, v12
	v_and_b32_e32 v13, 1, v50
	v_sub_u32_e32 v14, v31, v14
	v_and_b32_e32 v10, 1, v51
	v_add_u32_e32 v14, 9, v14
	v_cmp_eq_u32_e32 vcc, 1, v13
	v_cndmask_b32_e32 v12, v14, v12, vcc
	v_cmp_eq_u32_e32 vcc, 1, v10
	v_cndmask_b32_e32 v1, v12, v1, vcc
	v_lshlrev_b32_e32 v1, 2, v1
	v_add_u32_e32 v60, v67, v60
	ds_write_b32 v1, v11
	v_sub_u32_e32 v11, v69, v5
	v_sub_u32_e32 v1, v60, v4
	v_add_u32_e32 v11, v11, v2
	v_add_u32_e32 v13, v1, v11
	v_and_b32_e32 v12, 1, v52
	v_sub_u32_e32 v13, v31, v13
	v_and_b32_e32 v10, 1, v53
	v_add_u32_e32 v13, 10, v13
	v_cmp_eq_u32_e32 vcc, 1, v12
	v_cndmask_b32_e32 v11, v13, v11, vcc
	v_cmp_eq_u32_e32 vcc, 1, v10
	v_cndmask_b32_e32 v1, v11, v1, vcc
	v_add_u32_e32 v70, v60, v72
	v_lshlrev_b32_e32 v1, 2, v1
	v_sub_u32_e32 v10, v71, v5
	ds_write_b32 v1, v8
	v_sub_u32_e32 v1, v70, v4
	v_add_u32_e32 v10, v10, v2
	v_add_u32_e32 v12, v1, v10
	v_and_b32_e32 v11, 1, v54
	v_sub_u32_e32 v12, v31, v12
	v_and_b32_e32 v8, 1, v55
	v_add_u32_e32 v12, 11, v12
	v_cmp_eq_u32_e32 vcc, 1, v11
	v_cndmask_b32_e32 v10, v12, v10, vcc
	v_cmp_eq_u32_e32 vcc, 1, v8
	v_cndmask_b32_e32 v1, v10, v1, vcc
	v_add_u32_e32 v72, v71, v79
	v_add_u32_e32 v61, v70, v61
	v_lshlrev_b32_e32 v1, 2, v1
	ds_write_b32 v1, v9
	v_sub_u32_e32 v1, v61, v4
	v_sub_u32_e32 v4, v72, v5
	v_add_u32_e32 v4, v4, v2
	v_add_u32_e32 v8, v1, v4
	v_sub_u32_e32 v8, v31, v8
	v_add_u32_e32 v8, 12, v8
	v_cndmask_b32_e64 v4, v8, v4, s[58:59]
	v_cndmask_b32_e64 v1, v4, v1, s[46:47]
	v_lshlrev_b32_e32 v1, 2, v1
	ds_write_b32 v1, v30
	v_add_co_u32_e32 v1, vcc, v3, v73
	v_addc_co_u32_e64 v4, s[2:3], 0, 0, vcc
	v_add_co_u32_e32 v1, vcc, v1, v22
	v_addc_co_u32_e32 v4, vcc, v4, v23, vcc
	s_add_u32 s4, s56, s33
	v_add_co_u32_e32 v1, vcc, v1, v6
	s_addc_u32 s5, s57, 0
	v_addc_co_u32_e32 v4, vcc, v4, v7, vcc
	v_mov_b32_e32 v8, s5
	v_sub_co_u32_e32 v1, vcc, s4, v1
	v_subb_co_u32_e32 v4, vcc, v8, v4, vcc
	v_lshlrev_b64 v[8:9], 2, v[22:23]
	v_mov_b32_e32 v10, s55
	v_add_co_u32_e32 v8, vcc, s54, v8
	v_addc_co_u32_e32 v9, vcc, v10, v9, vcc
	v_lshlrev_b64 v[10:11], 2, v[6:7]
	v_mov_b32_e32 v13, s53
	v_add_co_u32_e32 v10, vcc, s52, v10
	s_add_u32 s6, s34, -4
	v_addc_co_u32_e32 v11, vcc, v13, v11, vcc
	s_addc_u32 s7, s35, -1
	v_add_u32_e32 v12, v2, v3
	s_and_b64 vcc, exec, s[0:1]
	s_mov_b64 s[0:1], -1
	s_waitcnt lgkmcnt(0)
	s_barrier
	s_cbranch_vccz .LBB1898_133
; %bb.130:
	s_and_b64 vcc, exec, s[0:1]
	s_cbranch_vccnz .LBB1898_238
.LBB1898_131:
	v_cmp_eq_u32_e32 vcc, 0, v0
	s_and_b64 s[0:1], vcc, s[30:31]
	s_and_saveexec_b64 s[2:3], s[0:1]
	s_cbranch_execnz .LBB1898_356
.LBB1898_132:
	s_endpgm
.LBB1898_133:
	v_cmp_le_u32_e32 vcc, v2, v0
	s_and_saveexec_b64 s[0:1], vcc
	s_xor_b64 s[0:1], exec, s[0:1]
	s_cbranch_execz .LBB1898_139
; %bb.134:
	v_cmp_le_u32_e32 vcc, v12, v0
	s_and_saveexec_b64 s[2:3], vcc
	s_xor_b64 s[2:3], exec, s[2:3]
	s_cbranch_execz .LBB1898_136
; %bb.135:
	v_lshlrev_b32_e32 v13, 2, v0
	v_add_co_u32_e32 v14, vcc, v1, v0
	ds_read_b32 v13, v13
	v_addc_co_u32_e32 v15, vcc, 0, v4, vcc
	v_lshlrev_b64 v[14:15], 2, v[14:15]
	v_mov_b32_e32 v16, s35
	v_sub_co_u32_e32 v14, vcc, s34, v14
	v_subb_co_u32_e32 v15, vcc, v16, v15, vcc
	s_waitcnt lgkmcnt(0)
	global_store_dword v[14:15], v13, off offset:-4
.LBB1898_136:
	s_andn2_saveexec_b64 s[2:3], s[2:3]
	s_cbranch_execz .LBB1898_138
; %bb.137:
	v_lshlrev_b32_e32 v13, 2, v0
	ds_read_b32 v14, v13
	v_readfirstlane_b32 s4, v8
	v_readfirstlane_b32 s5, v9
	s_waitcnt lgkmcnt(0)
	s_nop 3
	global_store_dword v13, v14, s[4:5]
.LBB1898_138:
	s_or_b64 exec, exec, s[2:3]
.LBB1898_139:
	s_andn2_saveexec_b64 s[0:1], s[0:1]
	s_cbranch_execz .LBB1898_141
; %bb.140:
	v_lshlrev_b32_e32 v13, 2, v0
	ds_read_b32 v14, v13
	v_readfirstlane_b32 s2, v10
	v_readfirstlane_b32 s3, v11
	s_waitcnt lgkmcnt(0)
	s_nop 3
	global_store_dword v13, v14, s[2:3]
.LBB1898_141:
	s_or_b64 exec, exec, s[0:1]
	v_or_b32_e32 v13, 0x100, v0
	v_cmp_le_u32_e32 vcc, v2, v13
	s_and_saveexec_b64 s[0:1], vcc
	s_xor_b64 s[0:1], exec, s[0:1]
	s_cbranch_execz .LBB1898_147
; %bb.142:
	v_cmp_le_u32_e32 vcc, v12, v13
	s_and_saveexec_b64 s[2:3], vcc
	s_xor_b64 s[2:3], exec, s[2:3]
	s_cbranch_execz .LBB1898_144
; %bb.143:
	v_lshlrev_b32_e32 v13, 2, v0
	ds_read_b32 v13, v13 offset:1024
	v_add_co_u32_e32 v14, vcc, v1, v0
	v_addc_co_u32_e32 v15, vcc, 0, v4, vcc
	v_lshlrev_b64 v[14:15], 2, v[14:15]
	v_mov_b32_e32 v16, s7
	v_sub_co_u32_e32 v14, vcc, s6, v14
	v_subb_co_u32_e32 v15, vcc, v16, v15, vcc
	s_waitcnt lgkmcnt(0)
	global_store_dword v[14:15], v13, off offset:-1024
.LBB1898_144:
	s_andn2_saveexec_b64 s[2:3], s[2:3]
	s_cbranch_execz .LBB1898_146
; %bb.145:
	v_lshlrev_b32_e32 v13, 2, v0
	ds_read_b32 v14, v13 offset:1024
	v_readfirstlane_b32 s4, v8
	v_readfirstlane_b32 s5, v9
	s_waitcnt lgkmcnt(0)
	s_nop 3
	global_store_dword v13, v14, s[4:5] offset:1024
.LBB1898_146:
	s_or_b64 exec, exec, s[2:3]
.LBB1898_147:
	s_andn2_saveexec_b64 s[0:1], s[0:1]
	s_cbranch_execz .LBB1898_149
; %bb.148:
	v_lshlrev_b32_e32 v13, 2, v0
	ds_read_b32 v14, v13 offset:1024
	v_readfirstlane_b32 s2, v10
	v_readfirstlane_b32 s3, v11
	s_waitcnt lgkmcnt(0)
	s_nop 3
	global_store_dword v13, v14, s[2:3] offset:1024
.LBB1898_149:
	s_or_b64 exec, exec, s[0:1]
	v_or_b32_e32 v13, 0x200, v0
	v_cmp_le_u32_e32 vcc, v2, v13
	s_and_saveexec_b64 s[0:1], vcc
	s_xor_b64 s[0:1], exec, s[0:1]
	s_cbranch_execz .LBB1898_155
; %bb.150:
	v_cmp_le_u32_e32 vcc, v12, v13
	s_and_saveexec_b64 s[2:3], vcc
	s_xor_b64 s[2:3], exec, s[2:3]
	s_cbranch_execz .LBB1898_152
; %bb.151:
	v_lshlrev_b32_e32 v13, 2, v0
	ds_read_b32 v13, v13 offset:2048
	v_add_co_u32_e32 v14, vcc, v1, v0
	v_addc_co_u32_e32 v15, vcc, 0, v4, vcc
	v_lshlrev_b64 v[14:15], 2, v[14:15]
	v_mov_b32_e32 v16, s7
	v_sub_co_u32_e32 v14, vcc, s6, v14
	v_subb_co_u32_e32 v15, vcc, v16, v15, vcc
	s_waitcnt lgkmcnt(0)
	global_store_dword v[14:15], v13, off offset:-2048
.LBB1898_152:
	s_andn2_saveexec_b64 s[2:3], s[2:3]
	s_cbranch_execz .LBB1898_154
; %bb.153:
	v_lshlrev_b32_e32 v13, 2, v0
	ds_read_b32 v14, v13 offset:2048
	v_readfirstlane_b32 s4, v8
	v_readfirstlane_b32 s5, v9
	s_waitcnt lgkmcnt(0)
	s_nop 3
	global_store_dword v13, v14, s[4:5] offset:2048
.LBB1898_154:
	s_or_b64 exec, exec, s[2:3]
.LBB1898_155:
	s_andn2_saveexec_b64 s[0:1], s[0:1]
	s_cbranch_execz .LBB1898_157
; %bb.156:
	v_lshlrev_b32_e32 v13, 2, v0
	ds_read_b32 v14, v13 offset:2048
	v_readfirstlane_b32 s2, v10
	v_readfirstlane_b32 s3, v11
	s_waitcnt lgkmcnt(0)
	s_nop 3
	global_store_dword v13, v14, s[2:3] offset:2048
.LBB1898_157:
	;; [unrolled: 47-line block ×3, first 2 shown]
	s_or_b64 exec, exec, s[0:1]
	v_or_b32_e32 v13, 0x400, v0
	v_cmp_le_u32_e32 vcc, v2, v13
	s_and_saveexec_b64 s[0:1], vcc
	s_xor_b64 s[0:1], exec, s[0:1]
	s_cbranch_execz .LBB1898_171
; %bb.166:
	v_cmp_le_u32_e32 vcc, v12, v13
	s_and_saveexec_b64 s[2:3], vcc
	s_xor_b64 s[2:3], exec, s[2:3]
	s_cbranch_execz .LBB1898_168
; %bb.167:
	v_lshlrev_b32_e32 v13, 2, v0
	ds_read_b32 v13, v13 offset:4096
	v_add_co_u32_e32 v14, vcc, v1, v0
	v_addc_co_u32_e32 v15, vcc, 0, v4, vcc
	v_lshlrev_b64 v[14:15], 2, v[14:15]
	v_mov_b32_e32 v16, s7
	v_sub_co_u32_e32 v14, vcc, s6, v14
	v_subb_co_u32_e32 v15, vcc, v16, v15, vcc
	s_waitcnt lgkmcnt(0)
	global_store_dword v[14:15], v13, off offset:-4096
                                        ; implicit-def: $vgpr13
.LBB1898_168:
	s_andn2_saveexec_b64 s[2:3], s[2:3]
	s_cbranch_execz .LBB1898_170
; %bb.169:
	v_lshlrev_b32_e32 v14, 2, v0
	ds_read_b32 v14, v14 offset:4096
	v_lshlrev_b32_e32 v13, 2, v13
	v_readfirstlane_b32 s4, v8
	v_readfirstlane_b32 s5, v9
	s_waitcnt lgkmcnt(0)
	s_nop 3
	global_store_dword v13, v14, s[4:5]
.LBB1898_170:
	s_or_b64 exec, exec, s[2:3]
                                        ; implicit-def: $vgpr13
.LBB1898_171:
	s_andn2_saveexec_b64 s[0:1], s[0:1]
	s_cbranch_execz .LBB1898_173
; %bb.172:
	v_lshlrev_b32_e32 v14, 2, v0
	ds_read_b32 v14, v14 offset:4096
	v_lshlrev_b32_e32 v13, 2, v13
	v_readfirstlane_b32 s2, v10
	v_readfirstlane_b32 s3, v11
	s_waitcnt lgkmcnt(0)
	s_nop 3
	global_store_dword v13, v14, s[2:3]
.LBB1898_173:
	s_or_b64 exec, exec, s[0:1]
	v_or_b32_e32 v13, 0x500, v0
	v_cmp_le_u32_e32 vcc, v2, v13
	s_and_saveexec_b64 s[0:1], vcc
	s_xor_b64 s[0:1], exec, s[0:1]
	s_cbranch_execz .LBB1898_179
; %bb.174:
	v_cmp_le_u32_e32 vcc, v12, v13
	s_and_saveexec_b64 s[2:3], vcc
	s_xor_b64 s[2:3], exec, s[2:3]
	s_cbranch_execz .LBB1898_176
; %bb.175:
	v_add_co_u32_e32 v14, vcc, v1, v13
	v_lshlrev_b32_e32 v13, 2, v0
	ds_read_b32 v13, v13 offset:5120
	v_addc_co_u32_e32 v15, vcc, 0, v4, vcc
	v_lshlrev_b64 v[14:15], 2, v[14:15]
	v_mov_b32_e32 v16, s7
	v_sub_co_u32_e32 v14, vcc, s6, v14
	v_subb_co_u32_e32 v15, vcc, v16, v15, vcc
	s_waitcnt lgkmcnt(0)
	global_store_dword v[14:15], v13, off
                                        ; implicit-def: $vgpr13
.LBB1898_176:
	s_andn2_saveexec_b64 s[2:3], s[2:3]
	s_cbranch_execz .LBB1898_178
; %bb.177:
	v_lshlrev_b32_e32 v14, 2, v0
	ds_read_b32 v14, v14 offset:5120
	v_lshlrev_b32_e32 v13, 2, v13
	v_readfirstlane_b32 s4, v8
	v_readfirstlane_b32 s5, v9
	s_waitcnt lgkmcnt(0)
	s_nop 3
	global_store_dword v13, v14, s[4:5]
.LBB1898_178:
	s_or_b64 exec, exec, s[2:3]
                                        ; implicit-def: $vgpr13
.LBB1898_179:
	s_andn2_saveexec_b64 s[0:1], s[0:1]
	s_cbranch_execz .LBB1898_181
; %bb.180:
	v_lshlrev_b32_e32 v14, 2, v0
	ds_read_b32 v14, v14 offset:5120
	v_lshlrev_b32_e32 v13, 2, v13
	v_readfirstlane_b32 s2, v10
	v_readfirstlane_b32 s3, v11
	s_waitcnt lgkmcnt(0)
	s_nop 3
	global_store_dword v13, v14, s[2:3]
.LBB1898_181:
	s_or_b64 exec, exec, s[0:1]
	v_or_b32_e32 v13, 0x600, v0
	v_cmp_le_u32_e32 vcc, v2, v13
	s_and_saveexec_b64 s[0:1], vcc
	s_xor_b64 s[0:1], exec, s[0:1]
	s_cbranch_execz .LBB1898_187
; %bb.182:
	v_cmp_le_u32_e32 vcc, v12, v13
	s_and_saveexec_b64 s[2:3], vcc
	s_xor_b64 s[2:3], exec, s[2:3]
	s_cbranch_execz .LBB1898_184
; %bb.183:
	v_add_co_u32_e32 v14, vcc, v1, v13
	v_lshlrev_b32_e32 v13, 2, v0
	ds_read_b32 v13, v13 offset:6144
	v_addc_co_u32_e32 v15, vcc, 0, v4, vcc
	v_lshlrev_b64 v[14:15], 2, v[14:15]
	v_mov_b32_e32 v16, s7
	v_sub_co_u32_e32 v14, vcc, s6, v14
	v_subb_co_u32_e32 v15, vcc, v16, v15, vcc
	s_waitcnt lgkmcnt(0)
	global_store_dword v[14:15], v13, off
                                        ; implicit-def: $vgpr13
.LBB1898_184:
	s_andn2_saveexec_b64 s[2:3], s[2:3]
	s_cbranch_execz .LBB1898_186
; %bb.185:
	v_lshlrev_b32_e32 v14, 2, v0
	ds_read_b32 v14, v14 offset:6144
	v_lshlrev_b32_e32 v13, 2, v13
	v_readfirstlane_b32 s4, v8
	v_readfirstlane_b32 s5, v9
	s_waitcnt lgkmcnt(0)
	s_nop 3
	global_store_dword v13, v14, s[4:5]
.LBB1898_186:
	s_or_b64 exec, exec, s[2:3]
                                        ; implicit-def: $vgpr13
.LBB1898_187:
	;; [unrolled: 51-line block ×8, first 2 shown]
	s_andn2_saveexec_b64 s[0:1], s[0:1]
	s_cbranch_execz .LBB1898_237
; %bb.236:
	v_lshlrev_b32_e32 v14, 2, v0
	ds_read_b32 v14, v14 offset:12288
	v_lshlrev_b32_e32 v13, 2, v13
	v_readfirstlane_b32 s2, v10
	v_readfirstlane_b32 s3, v11
	s_waitcnt lgkmcnt(0)
	s_nop 3
	global_store_dword v13, v14, s[2:3]
.LBB1898_237:
	s_or_b64 exec, exec, s[0:1]
	s_branch .LBB1898_131
.LBB1898_238:
	v_cmp_gt_u32_e32 vcc, s18, v0
	s_and_saveexec_b64 s[0:1], vcc
	s_cbranch_execz .LBB1898_247
; %bb.239:
	v_cmp_le_u32_e32 vcc, v2, v0
	s_and_saveexec_b64 s[2:3], vcc
	s_xor_b64 s[2:3], exec, s[2:3]
	s_cbranch_execz .LBB1898_245
; %bb.240:
	v_cmp_le_u32_e32 vcc, v12, v0
	s_and_saveexec_b64 s[4:5], vcc
	s_xor_b64 s[4:5], exec, s[4:5]
	s_cbranch_execz .LBB1898_242
; %bb.241:
	v_lshlrev_b32_e32 v13, 2, v0
	v_add_co_u32_e32 v14, vcc, v1, v0
	ds_read_b32 v13, v13
	v_addc_co_u32_e32 v15, vcc, 0, v4, vcc
	v_lshlrev_b64 v[14:15], 2, v[14:15]
	v_mov_b32_e32 v16, s35
	v_sub_co_u32_e32 v14, vcc, s34, v14
	v_subb_co_u32_e32 v15, vcc, v16, v15, vcc
	s_waitcnt lgkmcnt(0)
	global_store_dword v[14:15], v13, off offset:-4
.LBB1898_242:
	s_andn2_saveexec_b64 s[4:5], s[4:5]
	s_cbranch_execz .LBB1898_244
; %bb.243:
	v_lshlrev_b32_e32 v13, 2, v0
	ds_read_b32 v14, v13
	v_readfirstlane_b32 s8, v8
	v_readfirstlane_b32 s9, v9
	s_waitcnt lgkmcnt(0)
	s_nop 3
	global_store_dword v13, v14, s[8:9]
.LBB1898_244:
	s_or_b64 exec, exec, s[4:5]
.LBB1898_245:
	s_andn2_saveexec_b64 s[2:3], s[2:3]
	s_cbranch_execz .LBB1898_247
; %bb.246:
	v_lshlrev_b32_e32 v13, 2, v0
	ds_read_b32 v14, v13
	v_readfirstlane_b32 s2, v10
	v_readfirstlane_b32 s3, v11
	s_waitcnt lgkmcnt(0)
	s_nop 3
	global_store_dword v13, v14, s[2:3]
.LBB1898_247:
	s_or_b64 exec, exec, s[0:1]
	v_or_b32_e32 v13, 0x100, v0
	v_cmp_gt_u32_e32 vcc, s18, v13
	s_and_saveexec_b64 s[0:1], vcc
	s_cbranch_execz .LBB1898_256
; %bb.248:
	v_cmp_le_u32_e32 vcc, v2, v13
	s_and_saveexec_b64 s[2:3], vcc
	s_xor_b64 s[2:3], exec, s[2:3]
	s_cbranch_execz .LBB1898_254
; %bb.249:
	v_cmp_le_u32_e32 vcc, v12, v13
	s_and_saveexec_b64 s[4:5], vcc
	s_xor_b64 s[4:5], exec, s[4:5]
	s_cbranch_execz .LBB1898_251
; %bb.250:
	v_lshlrev_b32_e32 v13, 2, v0
	ds_read_b32 v13, v13 offset:1024
	v_add_co_u32_e32 v14, vcc, v1, v0
	v_addc_co_u32_e32 v15, vcc, 0, v4, vcc
	v_lshlrev_b64 v[14:15], 2, v[14:15]
	v_mov_b32_e32 v16, s7
	v_sub_co_u32_e32 v14, vcc, s6, v14
	v_subb_co_u32_e32 v15, vcc, v16, v15, vcc
	s_waitcnt lgkmcnt(0)
	global_store_dword v[14:15], v13, off offset:-1024
.LBB1898_251:
	s_andn2_saveexec_b64 s[4:5], s[4:5]
	s_cbranch_execz .LBB1898_253
; %bb.252:
	v_lshlrev_b32_e32 v13, 2, v0
	ds_read_b32 v14, v13 offset:1024
	v_readfirstlane_b32 s8, v8
	v_readfirstlane_b32 s9, v9
	s_waitcnt lgkmcnt(0)
	s_nop 3
	global_store_dword v13, v14, s[8:9] offset:1024
.LBB1898_253:
	s_or_b64 exec, exec, s[4:5]
.LBB1898_254:
	s_andn2_saveexec_b64 s[2:3], s[2:3]
	s_cbranch_execz .LBB1898_256
; %bb.255:
	v_lshlrev_b32_e32 v13, 2, v0
	ds_read_b32 v14, v13 offset:1024
	v_readfirstlane_b32 s2, v10
	v_readfirstlane_b32 s3, v11
	s_waitcnt lgkmcnt(0)
	s_nop 3
	global_store_dword v13, v14, s[2:3] offset:1024
.LBB1898_256:
	s_or_b64 exec, exec, s[0:1]
	v_or_b32_e32 v13, 0x200, v0
	v_cmp_gt_u32_e32 vcc, s18, v13
	s_and_saveexec_b64 s[0:1], vcc
	s_cbranch_execz .LBB1898_265
; %bb.257:
	v_cmp_le_u32_e32 vcc, v2, v13
	s_and_saveexec_b64 s[2:3], vcc
	s_xor_b64 s[2:3], exec, s[2:3]
	s_cbranch_execz .LBB1898_263
; %bb.258:
	v_cmp_le_u32_e32 vcc, v12, v13
	s_and_saveexec_b64 s[4:5], vcc
	s_xor_b64 s[4:5], exec, s[4:5]
	s_cbranch_execz .LBB1898_260
; %bb.259:
	v_lshlrev_b32_e32 v13, 2, v0
	ds_read_b32 v13, v13 offset:2048
	v_add_co_u32_e32 v14, vcc, v1, v0
	v_addc_co_u32_e32 v15, vcc, 0, v4, vcc
	v_lshlrev_b64 v[14:15], 2, v[14:15]
	v_mov_b32_e32 v16, s7
	v_sub_co_u32_e32 v14, vcc, s6, v14
	v_subb_co_u32_e32 v15, vcc, v16, v15, vcc
	s_waitcnt lgkmcnt(0)
	global_store_dword v[14:15], v13, off offset:-2048
.LBB1898_260:
	s_andn2_saveexec_b64 s[4:5], s[4:5]
	s_cbranch_execz .LBB1898_262
; %bb.261:
	v_lshlrev_b32_e32 v13, 2, v0
	ds_read_b32 v14, v13 offset:2048
	v_readfirstlane_b32 s8, v8
	v_readfirstlane_b32 s9, v9
	s_waitcnt lgkmcnt(0)
	s_nop 3
	global_store_dword v13, v14, s[8:9] offset:2048
.LBB1898_262:
	s_or_b64 exec, exec, s[4:5]
.LBB1898_263:
	s_andn2_saveexec_b64 s[2:3], s[2:3]
	s_cbranch_execz .LBB1898_265
; %bb.264:
	v_lshlrev_b32_e32 v13, 2, v0
	ds_read_b32 v14, v13 offset:2048
	v_readfirstlane_b32 s2, v10
	v_readfirstlane_b32 s3, v11
	s_waitcnt lgkmcnt(0)
	s_nop 3
	global_store_dword v13, v14, s[2:3] offset:2048
.LBB1898_265:
	;; [unrolled: 51-line block ×3, first 2 shown]
	s_or_b64 exec, exec, s[0:1]
	v_or_b32_e32 v13, 0x400, v0
	v_cmp_gt_u32_e32 vcc, s18, v13
	s_and_saveexec_b64 s[0:1], vcc
	s_cbranch_execz .LBB1898_283
; %bb.275:
	v_cmp_le_u32_e32 vcc, v2, v13
	s_and_saveexec_b64 s[2:3], vcc
	s_xor_b64 s[2:3], exec, s[2:3]
	s_cbranch_execz .LBB1898_281
; %bb.276:
	v_cmp_le_u32_e32 vcc, v12, v13
	s_and_saveexec_b64 s[4:5], vcc
	s_xor_b64 s[4:5], exec, s[4:5]
	s_cbranch_execz .LBB1898_278
; %bb.277:
	v_lshlrev_b32_e32 v13, 2, v0
	ds_read_b32 v13, v13 offset:4096
	v_add_co_u32_e32 v14, vcc, v1, v0
	v_addc_co_u32_e32 v15, vcc, 0, v4, vcc
	v_lshlrev_b64 v[14:15], 2, v[14:15]
	v_mov_b32_e32 v16, s7
	v_sub_co_u32_e32 v14, vcc, s6, v14
	v_subb_co_u32_e32 v15, vcc, v16, v15, vcc
	s_waitcnt lgkmcnt(0)
	global_store_dword v[14:15], v13, off offset:-4096
                                        ; implicit-def: $vgpr13
.LBB1898_278:
	s_andn2_saveexec_b64 s[4:5], s[4:5]
	s_cbranch_execz .LBB1898_280
; %bb.279:
	v_lshlrev_b32_e32 v14, 2, v0
	ds_read_b32 v14, v14 offset:4096
	v_lshlrev_b32_e32 v13, 2, v13
	v_readfirstlane_b32 s8, v8
	v_readfirstlane_b32 s9, v9
	s_waitcnt lgkmcnt(0)
	s_nop 3
	global_store_dword v13, v14, s[8:9]
.LBB1898_280:
	s_or_b64 exec, exec, s[4:5]
                                        ; implicit-def: $vgpr13
.LBB1898_281:
	s_andn2_saveexec_b64 s[2:3], s[2:3]
	s_cbranch_execz .LBB1898_283
; %bb.282:
	v_lshlrev_b32_e32 v14, 2, v0
	ds_read_b32 v14, v14 offset:4096
	v_lshlrev_b32_e32 v13, 2, v13
	v_readfirstlane_b32 s2, v10
	v_readfirstlane_b32 s3, v11
	s_waitcnt lgkmcnt(0)
	s_nop 3
	global_store_dword v13, v14, s[2:3]
.LBB1898_283:
	s_or_b64 exec, exec, s[0:1]
	v_or_b32_e32 v13, 0x500, v0
	v_cmp_gt_u32_e32 vcc, s18, v13
	s_and_saveexec_b64 s[0:1], vcc
	s_cbranch_execz .LBB1898_292
; %bb.284:
	v_cmp_le_u32_e32 vcc, v2, v13
	s_and_saveexec_b64 s[2:3], vcc
	s_xor_b64 s[2:3], exec, s[2:3]
	s_cbranch_execz .LBB1898_290
; %bb.285:
	v_cmp_le_u32_e32 vcc, v12, v13
	s_and_saveexec_b64 s[4:5], vcc
	s_xor_b64 s[4:5], exec, s[4:5]
	s_cbranch_execz .LBB1898_287
; %bb.286:
	v_add_co_u32_e32 v14, vcc, v1, v13
	v_lshlrev_b32_e32 v13, 2, v0
	ds_read_b32 v13, v13 offset:5120
	v_addc_co_u32_e32 v15, vcc, 0, v4, vcc
	v_lshlrev_b64 v[14:15], 2, v[14:15]
	v_mov_b32_e32 v16, s7
	v_sub_co_u32_e32 v14, vcc, s6, v14
	v_subb_co_u32_e32 v15, vcc, v16, v15, vcc
	s_waitcnt lgkmcnt(0)
	global_store_dword v[14:15], v13, off
                                        ; implicit-def: $vgpr13
.LBB1898_287:
	s_andn2_saveexec_b64 s[4:5], s[4:5]
	s_cbranch_execz .LBB1898_289
; %bb.288:
	v_lshlrev_b32_e32 v14, 2, v0
	ds_read_b32 v14, v14 offset:5120
	v_lshlrev_b32_e32 v13, 2, v13
	v_readfirstlane_b32 s8, v8
	v_readfirstlane_b32 s9, v9
	s_waitcnt lgkmcnt(0)
	s_nop 3
	global_store_dword v13, v14, s[8:9]
.LBB1898_289:
	s_or_b64 exec, exec, s[4:5]
                                        ; implicit-def: $vgpr13
.LBB1898_290:
	s_andn2_saveexec_b64 s[2:3], s[2:3]
	s_cbranch_execz .LBB1898_292
; %bb.291:
	v_lshlrev_b32_e32 v14, 2, v0
	ds_read_b32 v14, v14 offset:5120
	v_lshlrev_b32_e32 v13, 2, v13
	v_readfirstlane_b32 s2, v10
	v_readfirstlane_b32 s3, v11
	s_waitcnt lgkmcnt(0)
	s_nop 3
	global_store_dword v13, v14, s[2:3]
.LBB1898_292:
	s_or_b64 exec, exec, s[0:1]
	v_or_b32_e32 v13, 0x600, v0
	v_cmp_gt_u32_e32 vcc, s18, v13
	s_and_saveexec_b64 s[0:1], vcc
	s_cbranch_execz .LBB1898_301
; %bb.293:
	v_cmp_le_u32_e32 vcc, v2, v13
	s_and_saveexec_b64 s[2:3], vcc
	s_xor_b64 s[2:3], exec, s[2:3]
	s_cbranch_execz .LBB1898_299
; %bb.294:
	v_cmp_le_u32_e32 vcc, v12, v13
	s_and_saveexec_b64 s[4:5], vcc
	s_xor_b64 s[4:5], exec, s[4:5]
	s_cbranch_execz .LBB1898_296
; %bb.295:
	v_add_co_u32_e32 v14, vcc, v1, v13
	v_lshlrev_b32_e32 v13, 2, v0
	ds_read_b32 v13, v13 offset:6144
	v_addc_co_u32_e32 v15, vcc, 0, v4, vcc
	v_lshlrev_b64 v[14:15], 2, v[14:15]
	v_mov_b32_e32 v16, s7
	v_sub_co_u32_e32 v14, vcc, s6, v14
	v_subb_co_u32_e32 v15, vcc, v16, v15, vcc
	s_waitcnt lgkmcnt(0)
	global_store_dword v[14:15], v13, off
                                        ; implicit-def: $vgpr13
.LBB1898_296:
	s_andn2_saveexec_b64 s[4:5], s[4:5]
	s_cbranch_execz .LBB1898_298
; %bb.297:
	v_lshlrev_b32_e32 v14, 2, v0
	ds_read_b32 v14, v14 offset:6144
	v_lshlrev_b32_e32 v13, 2, v13
	v_readfirstlane_b32 s8, v8
	v_readfirstlane_b32 s9, v9
	s_waitcnt lgkmcnt(0)
	s_nop 3
	global_store_dword v13, v14, s[8:9]
.LBB1898_298:
	s_or_b64 exec, exec, s[4:5]
                                        ; implicit-def: $vgpr13
.LBB1898_299:
	s_andn2_saveexec_b64 s[2:3], s[2:3]
	s_cbranch_execz .LBB1898_301
; %bb.300:
	v_lshlrev_b32_e32 v14, 2, v0
	ds_read_b32 v14, v14 offset:6144
	v_lshlrev_b32_e32 v13, 2, v13
	v_readfirstlane_b32 s2, v10
	v_readfirstlane_b32 s3, v11
	s_waitcnt lgkmcnt(0)
	s_nop 3
	global_store_dword v13, v14, s[2:3]
.LBB1898_301:
	;; [unrolled: 55-line block ×7, first 2 shown]
	s_or_b64 exec, exec, s[0:1]
	v_or_b32_e32 v13, 0xc00, v0
	v_cmp_gt_u32_e32 vcc, s18, v13
	s_and_saveexec_b64 s[0:1], vcc
	s_cbranch_execz .LBB1898_355
; %bb.347:
	v_cmp_le_u32_e32 vcc, v2, v13
	s_and_saveexec_b64 s[2:3], vcc
	s_xor_b64 s[2:3], exec, s[2:3]
	s_cbranch_execz .LBB1898_353
; %bb.348:
	v_cmp_le_u32_e32 vcc, v12, v13
	s_and_saveexec_b64 s[4:5], vcc
	s_xor_b64 s[4:5], exec, s[4:5]
	s_cbranch_execz .LBB1898_350
; %bb.349:
	v_add_co_u32_e32 v8, vcc, v1, v13
	v_lshlrev_b32_e32 v1, 2, v0
	ds_read_b32 v1, v1 offset:12288
	v_addc_co_u32_e32 v9, vcc, 0, v4, vcc
	v_lshlrev_b64 v[8:9], 2, v[8:9]
	v_mov_b32_e32 v4, s7
	v_sub_co_u32_e32 v8, vcc, s6, v8
	v_subb_co_u32_e32 v9, vcc, v4, v9, vcc
	s_waitcnt lgkmcnt(0)
	global_store_dword v[8:9], v1, off
                                        ; implicit-def: $vgpr13
                                        ; implicit-def: $vgpr8_vgpr9
.LBB1898_350:
	s_andn2_saveexec_b64 s[4:5], s[4:5]
	s_cbranch_execz .LBB1898_352
; %bb.351:
	v_lshlrev_b32_e32 v1, 2, v0
	ds_read_b32 v1, v1 offset:12288
	v_lshlrev_b32_e32 v4, 2, v13
	v_readfirstlane_b32 s6, v8
	v_readfirstlane_b32 s7, v9
	s_waitcnt lgkmcnt(0)
	s_nop 3
	global_store_dword v4, v1, s[6:7]
.LBB1898_352:
	s_or_b64 exec, exec, s[4:5]
                                        ; implicit-def: $vgpr13
                                        ; implicit-def: $vgpr10_vgpr11
.LBB1898_353:
	s_andn2_saveexec_b64 s[2:3], s[2:3]
	s_cbranch_execz .LBB1898_355
; %bb.354:
	v_lshlrev_b32_e32 v1, 2, v0
	ds_read_b32 v1, v1 offset:12288
	v_lshlrev_b32_e32 v4, 2, v13
	v_readfirstlane_b32 s2, v10
	v_readfirstlane_b32 s3, v11
	s_waitcnt lgkmcnt(0)
	s_nop 3
	global_store_dword v4, v1, s[2:3]
.LBB1898_355:
	s_or_b64 exec, exec, s[0:1]
	v_cmp_eq_u32_e32 vcc, 0, v0
	s_and_b64 s[0:1], vcc, s[30:31]
	s_and_saveexec_b64 s[2:3], s[0:1]
	s_cbranch_execz .LBB1898_132
.LBB1898_356:
	v_add_co_u32_e32 v0, vcc, v6, v2
	v_addc_co_u32_e32 v1, vcc, 0, v7, vcc
	v_mov_b32_e32 v2, s51
	v_add_co_u32_e32 v3, vcc, s50, v3
	v_addc_co_u32_e32 v6, vcc, 0, v2, vcc
	v_add_co_u32_e32 v2, vcc, v3, v5
	v_mov_b32_e32 v4, 0
	v_addc_co_u32_e32 v3, vcc, 0, v6, vcc
	global_store_dwordx4 v4, v[0:3], s[44:45]
	s_endpgm
	.section	.rodata,"a",@progbits
	.p2align	6, 0x0
	.amdhsa_kernel _ZN7rocprim17ROCPRIM_400000_NS6detail17trampoline_kernelINS0_13select_configILj256ELj13ELNS0_17block_load_methodE3ELS4_3ELS4_3ELNS0_20block_scan_algorithmE0ELj4294967295EEENS1_25partition_config_selectorILNS1_17partition_subalgoE4EjNS0_10empty_typeEbEEZZNS1_14partition_implILS8_4ELb0ES6_15HIP_vector_typeIjLj2EENS0_17counting_iteratorIjlEEPS9_SG_NS0_5tupleIJPjSI_NS0_16reverse_iteratorISI_EEEEENSH_IJSG_SG_SG_EEES9_SI_JZNS1_25segmented_radix_sort_implINS0_14default_configELb1EPK12hip_bfloat16PSP_PKlPlN2at6native12_GLOBAL__N_18offset_tEEE10hipError_tPvRmT1_PNSt15iterator_traitsIS13_E10value_typeET2_T3_PNS14_IS19_E10value_typeET4_jRbjT5_S1F_jjP12ihipStream_tbEUljE_ZNSN_ISO_Lb1ESR_SS_SU_SV_SZ_EES10_S11_S12_S13_S17_S18_S19_S1C_S1D_jS1E_jS1F_S1F_jjS1H_bEUljE0_EEES10_S11_S12_S19_S1D_S1F_T6_T7_T9_mT8_S1H_bDpT10_ENKUlT_T0_E_clISt17integral_constantIbLb1EES1U_IbLb0EEEEDaS1Q_S1R_EUlS1Q_E_NS1_11comp_targetILNS1_3genE4ELNS1_11target_archE910ELNS1_3gpuE8ELNS1_3repE0EEENS1_30default_config_static_selectorELNS0_4arch9wavefront6targetE1EEEvS13_
		.amdhsa_group_segment_fixed_size 13340
		.amdhsa_private_segment_fixed_size 0
		.amdhsa_kernarg_size 176
		.amdhsa_user_sgpr_count 6
		.amdhsa_user_sgpr_private_segment_buffer 1
		.amdhsa_user_sgpr_dispatch_ptr 0
		.amdhsa_user_sgpr_queue_ptr 0
		.amdhsa_user_sgpr_kernarg_segment_ptr 1
		.amdhsa_user_sgpr_dispatch_id 0
		.amdhsa_user_sgpr_flat_scratch_init 0
		.amdhsa_user_sgpr_kernarg_preload_length 0
		.amdhsa_user_sgpr_kernarg_preload_offset 0
		.amdhsa_user_sgpr_private_segment_size 0
		.amdhsa_uses_dynamic_stack 0
		.amdhsa_system_sgpr_private_segment_wavefront_offset 0
		.amdhsa_system_sgpr_workgroup_id_x 1
		.amdhsa_system_sgpr_workgroup_id_y 0
		.amdhsa_system_sgpr_workgroup_id_z 0
		.amdhsa_system_sgpr_workgroup_info 0
		.amdhsa_system_vgpr_workitem_id 0
		.amdhsa_next_free_vgpr 102
		.amdhsa_next_free_sgpr 90
		.amdhsa_accum_offset 104
		.amdhsa_reserve_vcc 1
		.amdhsa_reserve_flat_scratch 0
		.amdhsa_float_round_mode_32 0
		.amdhsa_float_round_mode_16_64 0
		.amdhsa_float_denorm_mode_32 3
		.amdhsa_float_denorm_mode_16_64 3
		.amdhsa_dx10_clamp 1
		.amdhsa_ieee_mode 1
		.amdhsa_fp16_overflow 0
		.amdhsa_tg_split 0
		.amdhsa_exception_fp_ieee_invalid_op 0
		.amdhsa_exception_fp_denorm_src 0
		.amdhsa_exception_fp_ieee_div_zero 0
		.amdhsa_exception_fp_ieee_overflow 0
		.amdhsa_exception_fp_ieee_underflow 0
		.amdhsa_exception_fp_ieee_inexact 0
		.amdhsa_exception_int_div_zero 0
	.end_amdhsa_kernel
	.section	.text._ZN7rocprim17ROCPRIM_400000_NS6detail17trampoline_kernelINS0_13select_configILj256ELj13ELNS0_17block_load_methodE3ELS4_3ELS4_3ELNS0_20block_scan_algorithmE0ELj4294967295EEENS1_25partition_config_selectorILNS1_17partition_subalgoE4EjNS0_10empty_typeEbEEZZNS1_14partition_implILS8_4ELb0ES6_15HIP_vector_typeIjLj2EENS0_17counting_iteratorIjlEEPS9_SG_NS0_5tupleIJPjSI_NS0_16reverse_iteratorISI_EEEEENSH_IJSG_SG_SG_EEES9_SI_JZNS1_25segmented_radix_sort_implINS0_14default_configELb1EPK12hip_bfloat16PSP_PKlPlN2at6native12_GLOBAL__N_18offset_tEEE10hipError_tPvRmT1_PNSt15iterator_traitsIS13_E10value_typeET2_T3_PNS14_IS19_E10value_typeET4_jRbjT5_S1F_jjP12ihipStream_tbEUljE_ZNSN_ISO_Lb1ESR_SS_SU_SV_SZ_EES10_S11_S12_S13_S17_S18_S19_S1C_S1D_jS1E_jS1F_S1F_jjS1H_bEUljE0_EEES10_S11_S12_S19_S1D_S1F_T6_T7_T9_mT8_S1H_bDpT10_ENKUlT_T0_E_clISt17integral_constantIbLb1EES1U_IbLb0EEEEDaS1Q_S1R_EUlS1Q_E_NS1_11comp_targetILNS1_3genE4ELNS1_11target_archE910ELNS1_3gpuE8ELNS1_3repE0EEENS1_30default_config_static_selectorELNS0_4arch9wavefront6targetE1EEEvS13_,"axG",@progbits,_ZN7rocprim17ROCPRIM_400000_NS6detail17trampoline_kernelINS0_13select_configILj256ELj13ELNS0_17block_load_methodE3ELS4_3ELS4_3ELNS0_20block_scan_algorithmE0ELj4294967295EEENS1_25partition_config_selectorILNS1_17partition_subalgoE4EjNS0_10empty_typeEbEEZZNS1_14partition_implILS8_4ELb0ES6_15HIP_vector_typeIjLj2EENS0_17counting_iteratorIjlEEPS9_SG_NS0_5tupleIJPjSI_NS0_16reverse_iteratorISI_EEEEENSH_IJSG_SG_SG_EEES9_SI_JZNS1_25segmented_radix_sort_implINS0_14default_configELb1EPK12hip_bfloat16PSP_PKlPlN2at6native12_GLOBAL__N_18offset_tEEE10hipError_tPvRmT1_PNSt15iterator_traitsIS13_E10value_typeET2_T3_PNS14_IS19_E10value_typeET4_jRbjT5_S1F_jjP12ihipStream_tbEUljE_ZNSN_ISO_Lb1ESR_SS_SU_SV_SZ_EES10_S11_S12_S13_S17_S18_S19_S1C_S1D_jS1E_jS1F_S1F_jjS1H_bEUljE0_EEES10_S11_S12_S19_S1D_S1F_T6_T7_T9_mT8_S1H_bDpT10_ENKUlT_T0_E_clISt17integral_constantIbLb1EES1U_IbLb0EEEEDaS1Q_S1R_EUlS1Q_E_NS1_11comp_targetILNS1_3genE4ELNS1_11target_archE910ELNS1_3gpuE8ELNS1_3repE0EEENS1_30default_config_static_selectorELNS0_4arch9wavefront6targetE1EEEvS13_,comdat
.Lfunc_end1898:
	.size	_ZN7rocprim17ROCPRIM_400000_NS6detail17trampoline_kernelINS0_13select_configILj256ELj13ELNS0_17block_load_methodE3ELS4_3ELS4_3ELNS0_20block_scan_algorithmE0ELj4294967295EEENS1_25partition_config_selectorILNS1_17partition_subalgoE4EjNS0_10empty_typeEbEEZZNS1_14partition_implILS8_4ELb0ES6_15HIP_vector_typeIjLj2EENS0_17counting_iteratorIjlEEPS9_SG_NS0_5tupleIJPjSI_NS0_16reverse_iteratorISI_EEEEENSH_IJSG_SG_SG_EEES9_SI_JZNS1_25segmented_radix_sort_implINS0_14default_configELb1EPK12hip_bfloat16PSP_PKlPlN2at6native12_GLOBAL__N_18offset_tEEE10hipError_tPvRmT1_PNSt15iterator_traitsIS13_E10value_typeET2_T3_PNS14_IS19_E10value_typeET4_jRbjT5_S1F_jjP12ihipStream_tbEUljE_ZNSN_ISO_Lb1ESR_SS_SU_SV_SZ_EES10_S11_S12_S13_S17_S18_S19_S1C_S1D_jS1E_jS1F_S1F_jjS1H_bEUljE0_EEES10_S11_S12_S19_S1D_S1F_T6_T7_T9_mT8_S1H_bDpT10_ENKUlT_T0_E_clISt17integral_constantIbLb1EES1U_IbLb0EEEEDaS1Q_S1R_EUlS1Q_E_NS1_11comp_targetILNS1_3genE4ELNS1_11target_archE910ELNS1_3gpuE8ELNS1_3repE0EEENS1_30default_config_static_selectorELNS0_4arch9wavefront6targetE1EEEvS13_, .Lfunc_end1898-_ZN7rocprim17ROCPRIM_400000_NS6detail17trampoline_kernelINS0_13select_configILj256ELj13ELNS0_17block_load_methodE3ELS4_3ELS4_3ELNS0_20block_scan_algorithmE0ELj4294967295EEENS1_25partition_config_selectorILNS1_17partition_subalgoE4EjNS0_10empty_typeEbEEZZNS1_14partition_implILS8_4ELb0ES6_15HIP_vector_typeIjLj2EENS0_17counting_iteratorIjlEEPS9_SG_NS0_5tupleIJPjSI_NS0_16reverse_iteratorISI_EEEEENSH_IJSG_SG_SG_EEES9_SI_JZNS1_25segmented_radix_sort_implINS0_14default_configELb1EPK12hip_bfloat16PSP_PKlPlN2at6native12_GLOBAL__N_18offset_tEEE10hipError_tPvRmT1_PNSt15iterator_traitsIS13_E10value_typeET2_T3_PNS14_IS19_E10value_typeET4_jRbjT5_S1F_jjP12ihipStream_tbEUljE_ZNSN_ISO_Lb1ESR_SS_SU_SV_SZ_EES10_S11_S12_S13_S17_S18_S19_S1C_S1D_jS1E_jS1F_S1F_jjS1H_bEUljE0_EEES10_S11_S12_S19_S1D_S1F_T6_T7_T9_mT8_S1H_bDpT10_ENKUlT_T0_E_clISt17integral_constantIbLb1EES1U_IbLb0EEEEDaS1Q_S1R_EUlS1Q_E_NS1_11comp_targetILNS1_3genE4ELNS1_11target_archE910ELNS1_3gpuE8ELNS1_3repE0EEENS1_30default_config_static_selectorELNS0_4arch9wavefront6targetE1EEEvS13_
                                        ; -- End function
	.section	.AMDGPU.csdata,"",@progbits
; Kernel info:
; codeLenInByte = 13412
; NumSgprs: 94
; NumVgprs: 102
; NumAgprs: 0
; TotalNumVgprs: 102
; ScratchSize: 0
; MemoryBound: 0
; FloatMode: 240
; IeeeMode: 1
; LDSByteSize: 13340 bytes/workgroup (compile time only)
; SGPRBlocks: 11
; VGPRBlocks: 12
; NumSGPRsForWavesPerEU: 94
; NumVGPRsForWavesPerEU: 102
; AccumOffset: 104
; Occupancy: 4
; WaveLimiterHint : 1
; COMPUTE_PGM_RSRC2:SCRATCH_EN: 0
; COMPUTE_PGM_RSRC2:USER_SGPR: 6
; COMPUTE_PGM_RSRC2:TRAP_HANDLER: 0
; COMPUTE_PGM_RSRC2:TGID_X_EN: 1
; COMPUTE_PGM_RSRC2:TGID_Y_EN: 0
; COMPUTE_PGM_RSRC2:TGID_Z_EN: 0
; COMPUTE_PGM_RSRC2:TIDIG_COMP_CNT: 0
; COMPUTE_PGM_RSRC3_GFX90A:ACCUM_OFFSET: 25
; COMPUTE_PGM_RSRC3_GFX90A:TG_SPLIT: 0
	.section	.text._ZN7rocprim17ROCPRIM_400000_NS6detail17trampoline_kernelINS0_13select_configILj256ELj13ELNS0_17block_load_methodE3ELS4_3ELS4_3ELNS0_20block_scan_algorithmE0ELj4294967295EEENS1_25partition_config_selectorILNS1_17partition_subalgoE4EjNS0_10empty_typeEbEEZZNS1_14partition_implILS8_4ELb0ES6_15HIP_vector_typeIjLj2EENS0_17counting_iteratorIjlEEPS9_SG_NS0_5tupleIJPjSI_NS0_16reverse_iteratorISI_EEEEENSH_IJSG_SG_SG_EEES9_SI_JZNS1_25segmented_radix_sort_implINS0_14default_configELb1EPK12hip_bfloat16PSP_PKlPlN2at6native12_GLOBAL__N_18offset_tEEE10hipError_tPvRmT1_PNSt15iterator_traitsIS13_E10value_typeET2_T3_PNS14_IS19_E10value_typeET4_jRbjT5_S1F_jjP12ihipStream_tbEUljE_ZNSN_ISO_Lb1ESR_SS_SU_SV_SZ_EES10_S11_S12_S13_S17_S18_S19_S1C_S1D_jS1E_jS1F_S1F_jjS1H_bEUljE0_EEES10_S11_S12_S19_S1D_S1F_T6_T7_T9_mT8_S1H_bDpT10_ENKUlT_T0_E_clISt17integral_constantIbLb1EES1U_IbLb0EEEEDaS1Q_S1R_EUlS1Q_E_NS1_11comp_targetILNS1_3genE3ELNS1_11target_archE908ELNS1_3gpuE7ELNS1_3repE0EEENS1_30default_config_static_selectorELNS0_4arch9wavefront6targetE1EEEvS13_,"axG",@progbits,_ZN7rocprim17ROCPRIM_400000_NS6detail17trampoline_kernelINS0_13select_configILj256ELj13ELNS0_17block_load_methodE3ELS4_3ELS4_3ELNS0_20block_scan_algorithmE0ELj4294967295EEENS1_25partition_config_selectorILNS1_17partition_subalgoE4EjNS0_10empty_typeEbEEZZNS1_14partition_implILS8_4ELb0ES6_15HIP_vector_typeIjLj2EENS0_17counting_iteratorIjlEEPS9_SG_NS0_5tupleIJPjSI_NS0_16reverse_iteratorISI_EEEEENSH_IJSG_SG_SG_EEES9_SI_JZNS1_25segmented_radix_sort_implINS0_14default_configELb1EPK12hip_bfloat16PSP_PKlPlN2at6native12_GLOBAL__N_18offset_tEEE10hipError_tPvRmT1_PNSt15iterator_traitsIS13_E10value_typeET2_T3_PNS14_IS19_E10value_typeET4_jRbjT5_S1F_jjP12ihipStream_tbEUljE_ZNSN_ISO_Lb1ESR_SS_SU_SV_SZ_EES10_S11_S12_S13_S17_S18_S19_S1C_S1D_jS1E_jS1F_S1F_jjS1H_bEUljE0_EEES10_S11_S12_S19_S1D_S1F_T6_T7_T9_mT8_S1H_bDpT10_ENKUlT_T0_E_clISt17integral_constantIbLb1EES1U_IbLb0EEEEDaS1Q_S1R_EUlS1Q_E_NS1_11comp_targetILNS1_3genE3ELNS1_11target_archE908ELNS1_3gpuE7ELNS1_3repE0EEENS1_30default_config_static_selectorELNS0_4arch9wavefront6targetE1EEEvS13_,comdat
	.globl	_ZN7rocprim17ROCPRIM_400000_NS6detail17trampoline_kernelINS0_13select_configILj256ELj13ELNS0_17block_load_methodE3ELS4_3ELS4_3ELNS0_20block_scan_algorithmE0ELj4294967295EEENS1_25partition_config_selectorILNS1_17partition_subalgoE4EjNS0_10empty_typeEbEEZZNS1_14partition_implILS8_4ELb0ES6_15HIP_vector_typeIjLj2EENS0_17counting_iteratorIjlEEPS9_SG_NS0_5tupleIJPjSI_NS0_16reverse_iteratorISI_EEEEENSH_IJSG_SG_SG_EEES9_SI_JZNS1_25segmented_radix_sort_implINS0_14default_configELb1EPK12hip_bfloat16PSP_PKlPlN2at6native12_GLOBAL__N_18offset_tEEE10hipError_tPvRmT1_PNSt15iterator_traitsIS13_E10value_typeET2_T3_PNS14_IS19_E10value_typeET4_jRbjT5_S1F_jjP12ihipStream_tbEUljE_ZNSN_ISO_Lb1ESR_SS_SU_SV_SZ_EES10_S11_S12_S13_S17_S18_S19_S1C_S1D_jS1E_jS1F_S1F_jjS1H_bEUljE0_EEES10_S11_S12_S19_S1D_S1F_T6_T7_T9_mT8_S1H_bDpT10_ENKUlT_T0_E_clISt17integral_constantIbLb1EES1U_IbLb0EEEEDaS1Q_S1R_EUlS1Q_E_NS1_11comp_targetILNS1_3genE3ELNS1_11target_archE908ELNS1_3gpuE7ELNS1_3repE0EEENS1_30default_config_static_selectorELNS0_4arch9wavefront6targetE1EEEvS13_ ; -- Begin function _ZN7rocprim17ROCPRIM_400000_NS6detail17trampoline_kernelINS0_13select_configILj256ELj13ELNS0_17block_load_methodE3ELS4_3ELS4_3ELNS0_20block_scan_algorithmE0ELj4294967295EEENS1_25partition_config_selectorILNS1_17partition_subalgoE4EjNS0_10empty_typeEbEEZZNS1_14partition_implILS8_4ELb0ES6_15HIP_vector_typeIjLj2EENS0_17counting_iteratorIjlEEPS9_SG_NS0_5tupleIJPjSI_NS0_16reverse_iteratorISI_EEEEENSH_IJSG_SG_SG_EEES9_SI_JZNS1_25segmented_radix_sort_implINS0_14default_configELb1EPK12hip_bfloat16PSP_PKlPlN2at6native12_GLOBAL__N_18offset_tEEE10hipError_tPvRmT1_PNSt15iterator_traitsIS13_E10value_typeET2_T3_PNS14_IS19_E10value_typeET4_jRbjT5_S1F_jjP12ihipStream_tbEUljE_ZNSN_ISO_Lb1ESR_SS_SU_SV_SZ_EES10_S11_S12_S13_S17_S18_S19_S1C_S1D_jS1E_jS1F_S1F_jjS1H_bEUljE0_EEES10_S11_S12_S19_S1D_S1F_T6_T7_T9_mT8_S1H_bDpT10_ENKUlT_T0_E_clISt17integral_constantIbLb1EES1U_IbLb0EEEEDaS1Q_S1R_EUlS1Q_E_NS1_11comp_targetILNS1_3genE3ELNS1_11target_archE908ELNS1_3gpuE7ELNS1_3repE0EEENS1_30default_config_static_selectorELNS0_4arch9wavefront6targetE1EEEvS13_
	.p2align	8
	.type	_ZN7rocprim17ROCPRIM_400000_NS6detail17trampoline_kernelINS0_13select_configILj256ELj13ELNS0_17block_load_methodE3ELS4_3ELS4_3ELNS0_20block_scan_algorithmE0ELj4294967295EEENS1_25partition_config_selectorILNS1_17partition_subalgoE4EjNS0_10empty_typeEbEEZZNS1_14partition_implILS8_4ELb0ES6_15HIP_vector_typeIjLj2EENS0_17counting_iteratorIjlEEPS9_SG_NS0_5tupleIJPjSI_NS0_16reverse_iteratorISI_EEEEENSH_IJSG_SG_SG_EEES9_SI_JZNS1_25segmented_radix_sort_implINS0_14default_configELb1EPK12hip_bfloat16PSP_PKlPlN2at6native12_GLOBAL__N_18offset_tEEE10hipError_tPvRmT1_PNSt15iterator_traitsIS13_E10value_typeET2_T3_PNS14_IS19_E10value_typeET4_jRbjT5_S1F_jjP12ihipStream_tbEUljE_ZNSN_ISO_Lb1ESR_SS_SU_SV_SZ_EES10_S11_S12_S13_S17_S18_S19_S1C_S1D_jS1E_jS1F_S1F_jjS1H_bEUljE0_EEES10_S11_S12_S19_S1D_S1F_T6_T7_T9_mT8_S1H_bDpT10_ENKUlT_T0_E_clISt17integral_constantIbLb1EES1U_IbLb0EEEEDaS1Q_S1R_EUlS1Q_E_NS1_11comp_targetILNS1_3genE3ELNS1_11target_archE908ELNS1_3gpuE7ELNS1_3repE0EEENS1_30default_config_static_selectorELNS0_4arch9wavefront6targetE1EEEvS13_,@function
_ZN7rocprim17ROCPRIM_400000_NS6detail17trampoline_kernelINS0_13select_configILj256ELj13ELNS0_17block_load_methodE3ELS4_3ELS4_3ELNS0_20block_scan_algorithmE0ELj4294967295EEENS1_25partition_config_selectorILNS1_17partition_subalgoE4EjNS0_10empty_typeEbEEZZNS1_14partition_implILS8_4ELb0ES6_15HIP_vector_typeIjLj2EENS0_17counting_iteratorIjlEEPS9_SG_NS0_5tupleIJPjSI_NS0_16reverse_iteratorISI_EEEEENSH_IJSG_SG_SG_EEES9_SI_JZNS1_25segmented_radix_sort_implINS0_14default_configELb1EPK12hip_bfloat16PSP_PKlPlN2at6native12_GLOBAL__N_18offset_tEEE10hipError_tPvRmT1_PNSt15iterator_traitsIS13_E10value_typeET2_T3_PNS14_IS19_E10value_typeET4_jRbjT5_S1F_jjP12ihipStream_tbEUljE_ZNSN_ISO_Lb1ESR_SS_SU_SV_SZ_EES10_S11_S12_S13_S17_S18_S19_S1C_S1D_jS1E_jS1F_S1F_jjS1H_bEUljE0_EEES10_S11_S12_S19_S1D_S1F_T6_T7_T9_mT8_S1H_bDpT10_ENKUlT_T0_E_clISt17integral_constantIbLb1EES1U_IbLb0EEEEDaS1Q_S1R_EUlS1Q_E_NS1_11comp_targetILNS1_3genE3ELNS1_11target_archE908ELNS1_3gpuE7ELNS1_3repE0EEENS1_30default_config_static_selectorELNS0_4arch9wavefront6targetE1EEEvS13_: ; @_ZN7rocprim17ROCPRIM_400000_NS6detail17trampoline_kernelINS0_13select_configILj256ELj13ELNS0_17block_load_methodE3ELS4_3ELS4_3ELNS0_20block_scan_algorithmE0ELj4294967295EEENS1_25partition_config_selectorILNS1_17partition_subalgoE4EjNS0_10empty_typeEbEEZZNS1_14partition_implILS8_4ELb0ES6_15HIP_vector_typeIjLj2EENS0_17counting_iteratorIjlEEPS9_SG_NS0_5tupleIJPjSI_NS0_16reverse_iteratorISI_EEEEENSH_IJSG_SG_SG_EEES9_SI_JZNS1_25segmented_radix_sort_implINS0_14default_configELb1EPK12hip_bfloat16PSP_PKlPlN2at6native12_GLOBAL__N_18offset_tEEE10hipError_tPvRmT1_PNSt15iterator_traitsIS13_E10value_typeET2_T3_PNS14_IS19_E10value_typeET4_jRbjT5_S1F_jjP12ihipStream_tbEUljE_ZNSN_ISO_Lb1ESR_SS_SU_SV_SZ_EES10_S11_S12_S13_S17_S18_S19_S1C_S1D_jS1E_jS1F_S1F_jjS1H_bEUljE0_EEES10_S11_S12_S19_S1D_S1F_T6_T7_T9_mT8_S1H_bDpT10_ENKUlT_T0_E_clISt17integral_constantIbLb1EES1U_IbLb0EEEEDaS1Q_S1R_EUlS1Q_E_NS1_11comp_targetILNS1_3genE3ELNS1_11target_archE908ELNS1_3gpuE7ELNS1_3repE0EEENS1_30default_config_static_selectorELNS0_4arch9wavefront6targetE1EEEvS13_
; %bb.0:
	.section	.rodata,"a",@progbits
	.p2align	6, 0x0
	.amdhsa_kernel _ZN7rocprim17ROCPRIM_400000_NS6detail17trampoline_kernelINS0_13select_configILj256ELj13ELNS0_17block_load_methodE3ELS4_3ELS4_3ELNS0_20block_scan_algorithmE0ELj4294967295EEENS1_25partition_config_selectorILNS1_17partition_subalgoE4EjNS0_10empty_typeEbEEZZNS1_14partition_implILS8_4ELb0ES6_15HIP_vector_typeIjLj2EENS0_17counting_iteratorIjlEEPS9_SG_NS0_5tupleIJPjSI_NS0_16reverse_iteratorISI_EEEEENSH_IJSG_SG_SG_EEES9_SI_JZNS1_25segmented_radix_sort_implINS0_14default_configELb1EPK12hip_bfloat16PSP_PKlPlN2at6native12_GLOBAL__N_18offset_tEEE10hipError_tPvRmT1_PNSt15iterator_traitsIS13_E10value_typeET2_T3_PNS14_IS19_E10value_typeET4_jRbjT5_S1F_jjP12ihipStream_tbEUljE_ZNSN_ISO_Lb1ESR_SS_SU_SV_SZ_EES10_S11_S12_S13_S17_S18_S19_S1C_S1D_jS1E_jS1F_S1F_jjS1H_bEUljE0_EEES10_S11_S12_S19_S1D_S1F_T6_T7_T9_mT8_S1H_bDpT10_ENKUlT_T0_E_clISt17integral_constantIbLb1EES1U_IbLb0EEEEDaS1Q_S1R_EUlS1Q_E_NS1_11comp_targetILNS1_3genE3ELNS1_11target_archE908ELNS1_3gpuE7ELNS1_3repE0EEENS1_30default_config_static_selectorELNS0_4arch9wavefront6targetE1EEEvS13_
		.amdhsa_group_segment_fixed_size 0
		.amdhsa_private_segment_fixed_size 0
		.amdhsa_kernarg_size 176
		.amdhsa_user_sgpr_count 6
		.amdhsa_user_sgpr_private_segment_buffer 1
		.amdhsa_user_sgpr_dispatch_ptr 0
		.amdhsa_user_sgpr_queue_ptr 0
		.amdhsa_user_sgpr_kernarg_segment_ptr 1
		.amdhsa_user_sgpr_dispatch_id 0
		.amdhsa_user_sgpr_flat_scratch_init 0
		.amdhsa_user_sgpr_kernarg_preload_length 0
		.amdhsa_user_sgpr_kernarg_preload_offset 0
		.amdhsa_user_sgpr_private_segment_size 0
		.amdhsa_uses_dynamic_stack 0
		.amdhsa_system_sgpr_private_segment_wavefront_offset 0
		.amdhsa_system_sgpr_workgroup_id_x 1
		.amdhsa_system_sgpr_workgroup_id_y 0
		.amdhsa_system_sgpr_workgroup_id_z 0
		.amdhsa_system_sgpr_workgroup_info 0
		.amdhsa_system_vgpr_workitem_id 0
		.amdhsa_next_free_vgpr 1
		.amdhsa_next_free_sgpr 0
		.amdhsa_accum_offset 4
		.amdhsa_reserve_vcc 0
		.amdhsa_reserve_flat_scratch 0
		.amdhsa_float_round_mode_32 0
		.amdhsa_float_round_mode_16_64 0
		.amdhsa_float_denorm_mode_32 3
		.amdhsa_float_denorm_mode_16_64 3
		.amdhsa_dx10_clamp 1
		.amdhsa_ieee_mode 1
		.amdhsa_fp16_overflow 0
		.amdhsa_tg_split 0
		.amdhsa_exception_fp_ieee_invalid_op 0
		.amdhsa_exception_fp_denorm_src 0
		.amdhsa_exception_fp_ieee_div_zero 0
		.amdhsa_exception_fp_ieee_overflow 0
		.amdhsa_exception_fp_ieee_underflow 0
		.amdhsa_exception_fp_ieee_inexact 0
		.amdhsa_exception_int_div_zero 0
	.end_amdhsa_kernel
	.section	.text._ZN7rocprim17ROCPRIM_400000_NS6detail17trampoline_kernelINS0_13select_configILj256ELj13ELNS0_17block_load_methodE3ELS4_3ELS4_3ELNS0_20block_scan_algorithmE0ELj4294967295EEENS1_25partition_config_selectorILNS1_17partition_subalgoE4EjNS0_10empty_typeEbEEZZNS1_14partition_implILS8_4ELb0ES6_15HIP_vector_typeIjLj2EENS0_17counting_iteratorIjlEEPS9_SG_NS0_5tupleIJPjSI_NS0_16reverse_iteratorISI_EEEEENSH_IJSG_SG_SG_EEES9_SI_JZNS1_25segmented_radix_sort_implINS0_14default_configELb1EPK12hip_bfloat16PSP_PKlPlN2at6native12_GLOBAL__N_18offset_tEEE10hipError_tPvRmT1_PNSt15iterator_traitsIS13_E10value_typeET2_T3_PNS14_IS19_E10value_typeET4_jRbjT5_S1F_jjP12ihipStream_tbEUljE_ZNSN_ISO_Lb1ESR_SS_SU_SV_SZ_EES10_S11_S12_S13_S17_S18_S19_S1C_S1D_jS1E_jS1F_S1F_jjS1H_bEUljE0_EEES10_S11_S12_S19_S1D_S1F_T6_T7_T9_mT8_S1H_bDpT10_ENKUlT_T0_E_clISt17integral_constantIbLb1EES1U_IbLb0EEEEDaS1Q_S1R_EUlS1Q_E_NS1_11comp_targetILNS1_3genE3ELNS1_11target_archE908ELNS1_3gpuE7ELNS1_3repE0EEENS1_30default_config_static_selectorELNS0_4arch9wavefront6targetE1EEEvS13_,"axG",@progbits,_ZN7rocprim17ROCPRIM_400000_NS6detail17trampoline_kernelINS0_13select_configILj256ELj13ELNS0_17block_load_methodE3ELS4_3ELS4_3ELNS0_20block_scan_algorithmE0ELj4294967295EEENS1_25partition_config_selectorILNS1_17partition_subalgoE4EjNS0_10empty_typeEbEEZZNS1_14partition_implILS8_4ELb0ES6_15HIP_vector_typeIjLj2EENS0_17counting_iteratorIjlEEPS9_SG_NS0_5tupleIJPjSI_NS0_16reverse_iteratorISI_EEEEENSH_IJSG_SG_SG_EEES9_SI_JZNS1_25segmented_radix_sort_implINS0_14default_configELb1EPK12hip_bfloat16PSP_PKlPlN2at6native12_GLOBAL__N_18offset_tEEE10hipError_tPvRmT1_PNSt15iterator_traitsIS13_E10value_typeET2_T3_PNS14_IS19_E10value_typeET4_jRbjT5_S1F_jjP12ihipStream_tbEUljE_ZNSN_ISO_Lb1ESR_SS_SU_SV_SZ_EES10_S11_S12_S13_S17_S18_S19_S1C_S1D_jS1E_jS1F_S1F_jjS1H_bEUljE0_EEES10_S11_S12_S19_S1D_S1F_T6_T7_T9_mT8_S1H_bDpT10_ENKUlT_T0_E_clISt17integral_constantIbLb1EES1U_IbLb0EEEEDaS1Q_S1R_EUlS1Q_E_NS1_11comp_targetILNS1_3genE3ELNS1_11target_archE908ELNS1_3gpuE7ELNS1_3repE0EEENS1_30default_config_static_selectorELNS0_4arch9wavefront6targetE1EEEvS13_,comdat
.Lfunc_end1899:
	.size	_ZN7rocprim17ROCPRIM_400000_NS6detail17trampoline_kernelINS0_13select_configILj256ELj13ELNS0_17block_load_methodE3ELS4_3ELS4_3ELNS0_20block_scan_algorithmE0ELj4294967295EEENS1_25partition_config_selectorILNS1_17partition_subalgoE4EjNS0_10empty_typeEbEEZZNS1_14partition_implILS8_4ELb0ES6_15HIP_vector_typeIjLj2EENS0_17counting_iteratorIjlEEPS9_SG_NS0_5tupleIJPjSI_NS0_16reverse_iteratorISI_EEEEENSH_IJSG_SG_SG_EEES9_SI_JZNS1_25segmented_radix_sort_implINS0_14default_configELb1EPK12hip_bfloat16PSP_PKlPlN2at6native12_GLOBAL__N_18offset_tEEE10hipError_tPvRmT1_PNSt15iterator_traitsIS13_E10value_typeET2_T3_PNS14_IS19_E10value_typeET4_jRbjT5_S1F_jjP12ihipStream_tbEUljE_ZNSN_ISO_Lb1ESR_SS_SU_SV_SZ_EES10_S11_S12_S13_S17_S18_S19_S1C_S1D_jS1E_jS1F_S1F_jjS1H_bEUljE0_EEES10_S11_S12_S19_S1D_S1F_T6_T7_T9_mT8_S1H_bDpT10_ENKUlT_T0_E_clISt17integral_constantIbLb1EES1U_IbLb0EEEEDaS1Q_S1R_EUlS1Q_E_NS1_11comp_targetILNS1_3genE3ELNS1_11target_archE908ELNS1_3gpuE7ELNS1_3repE0EEENS1_30default_config_static_selectorELNS0_4arch9wavefront6targetE1EEEvS13_, .Lfunc_end1899-_ZN7rocprim17ROCPRIM_400000_NS6detail17trampoline_kernelINS0_13select_configILj256ELj13ELNS0_17block_load_methodE3ELS4_3ELS4_3ELNS0_20block_scan_algorithmE0ELj4294967295EEENS1_25partition_config_selectorILNS1_17partition_subalgoE4EjNS0_10empty_typeEbEEZZNS1_14partition_implILS8_4ELb0ES6_15HIP_vector_typeIjLj2EENS0_17counting_iteratorIjlEEPS9_SG_NS0_5tupleIJPjSI_NS0_16reverse_iteratorISI_EEEEENSH_IJSG_SG_SG_EEES9_SI_JZNS1_25segmented_radix_sort_implINS0_14default_configELb1EPK12hip_bfloat16PSP_PKlPlN2at6native12_GLOBAL__N_18offset_tEEE10hipError_tPvRmT1_PNSt15iterator_traitsIS13_E10value_typeET2_T3_PNS14_IS19_E10value_typeET4_jRbjT5_S1F_jjP12ihipStream_tbEUljE_ZNSN_ISO_Lb1ESR_SS_SU_SV_SZ_EES10_S11_S12_S13_S17_S18_S19_S1C_S1D_jS1E_jS1F_S1F_jjS1H_bEUljE0_EEES10_S11_S12_S19_S1D_S1F_T6_T7_T9_mT8_S1H_bDpT10_ENKUlT_T0_E_clISt17integral_constantIbLb1EES1U_IbLb0EEEEDaS1Q_S1R_EUlS1Q_E_NS1_11comp_targetILNS1_3genE3ELNS1_11target_archE908ELNS1_3gpuE7ELNS1_3repE0EEENS1_30default_config_static_selectorELNS0_4arch9wavefront6targetE1EEEvS13_
                                        ; -- End function
	.section	.AMDGPU.csdata,"",@progbits
; Kernel info:
; codeLenInByte = 0
; NumSgprs: 4
; NumVgprs: 0
; NumAgprs: 0
; TotalNumVgprs: 0
; ScratchSize: 0
; MemoryBound: 0
; FloatMode: 240
; IeeeMode: 1
; LDSByteSize: 0 bytes/workgroup (compile time only)
; SGPRBlocks: 0
; VGPRBlocks: 0
; NumSGPRsForWavesPerEU: 4
; NumVGPRsForWavesPerEU: 1
; AccumOffset: 4
; Occupancy: 8
; WaveLimiterHint : 0
; COMPUTE_PGM_RSRC2:SCRATCH_EN: 0
; COMPUTE_PGM_RSRC2:USER_SGPR: 6
; COMPUTE_PGM_RSRC2:TRAP_HANDLER: 0
; COMPUTE_PGM_RSRC2:TGID_X_EN: 1
; COMPUTE_PGM_RSRC2:TGID_Y_EN: 0
; COMPUTE_PGM_RSRC2:TGID_Z_EN: 0
; COMPUTE_PGM_RSRC2:TIDIG_COMP_CNT: 0
; COMPUTE_PGM_RSRC3_GFX90A:ACCUM_OFFSET: 0
; COMPUTE_PGM_RSRC3_GFX90A:TG_SPLIT: 0
	.section	.text._ZN7rocprim17ROCPRIM_400000_NS6detail17trampoline_kernelINS0_13select_configILj256ELj13ELNS0_17block_load_methodE3ELS4_3ELS4_3ELNS0_20block_scan_algorithmE0ELj4294967295EEENS1_25partition_config_selectorILNS1_17partition_subalgoE4EjNS0_10empty_typeEbEEZZNS1_14partition_implILS8_4ELb0ES6_15HIP_vector_typeIjLj2EENS0_17counting_iteratorIjlEEPS9_SG_NS0_5tupleIJPjSI_NS0_16reverse_iteratorISI_EEEEENSH_IJSG_SG_SG_EEES9_SI_JZNS1_25segmented_radix_sort_implINS0_14default_configELb1EPK12hip_bfloat16PSP_PKlPlN2at6native12_GLOBAL__N_18offset_tEEE10hipError_tPvRmT1_PNSt15iterator_traitsIS13_E10value_typeET2_T3_PNS14_IS19_E10value_typeET4_jRbjT5_S1F_jjP12ihipStream_tbEUljE_ZNSN_ISO_Lb1ESR_SS_SU_SV_SZ_EES10_S11_S12_S13_S17_S18_S19_S1C_S1D_jS1E_jS1F_S1F_jjS1H_bEUljE0_EEES10_S11_S12_S19_S1D_S1F_T6_T7_T9_mT8_S1H_bDpT10_ENKUlT_T0_E_clISt17integral_constantIbLb1EES1U_IbLb0EEEEDaS1Q_S1R_EUlS1Q_E_NS1_11comp_targetILNS1_3genE2ELNS1_11target_archE906ELNS1_3gpuE6ELNS1_3repE0EEENS1_30default_config_static_selectorELNS0_4arch9wavefront6targetE1EEEvS13_,"axG",@progbits,_ZN7rocprim17ROCPRIM_400000_NS6detail17trampoline_kernelINS0_13select_configILj256ELj13ELNS0_17block_load_methodE3ELS4_3ELS4_3ELNS0_20block_scan_algorithmE0ELj4294967295EEENS1_25partition_config_selectorILNS1_17partition_subalgoE4EjNS0_10empty_typeEbEEZZNS1_14partition_implILS8_4ELb0ES6_15HIP_vector_typeIjLj2EENS0_17counting_iteratorIjlEEPS9_SG_NS0_5tupleIJPjSI_NS0_16reverse_iteratorISI_EEEEENSH_IJSG_SG_SG_EEES9_SI_JZNS1_25segmented_radix_sort_implINS0_14default_configELb1EPK12hip_bfloat16PSP_PKlPlN2at6native12_GLOBAL__N_18offset_tEEE10hipError_tPvRmT1_PNSt15iterator_traitsIS13_E10value_typeET2_T3_PNS14_IS19_E10value_typeET4_jRbjT5_S1F_jjP12ihipStream_tbEUljE_ZNSN_ISO_Lb1ESR_SS_SU_SV_SZ_EES10_S11_S12_S13_S17_S18_S19_S1C_S1D_jS1E_jS1F_S1F_jjS1H_bEUljE0_EEES10_S11_S12_S19_S1D_S1F_T6_T7_T9_mT8_S1H_bDpT10_ENKUlT_T0_E_clISt17integral_constantIbLb1EES1U_IbLb0EEEEDaS1Q_S1R_EUlS1Q_E_NS1_11comp_targetILNS1_3genE2ELNS1_11target_archE906ELNS1_3gpuE6ELNS1_3repE0EEENS1_30default_config_static_selectorELNS0_4arch9wavefront6targetE1EEEvS13_,comdat
	.globl	_ZN7rocprim17ROCPRIM_400000_NS6detail17trampoline_kernelINS0_13select_configILj256ELj13ELNS0_17block_load_methodE3ELS4_3ELS4_3ELNS0_20block_scan_algorithmE0ELj4294967295EEENS1_25partition_config_selectorILNS1_17partition_subalgoE4EjNS0_10empty_typeEbEEZZNS1_14partition_implILS8_4ELb0ES6_15HIP_vector_typeIjLj2EENS0_17counting_iteratorIjlEEPS9_SG_NS0_5tupleIJPjSI_NS0_16reverse_iteratorISI_EEEEENSH_IJSG_SG_SG_EEES9_SI_JZNS1_25segmented_radix_sort_implINS0_14default_configELb1EPK12hip_bfloat16PSP_PKlPlN2at6native12_GLOBAL__N_18offset_tEEE10hipError_tPvRmT1_PNSt15iterator_traitsIS13_E10value_typeET2_T3_PNS14_IS19_E10value_typeET4_jRbjT5_S1F_jjP12ihipStream_tbEUljE_ZNSN_ISO_Lb1ESR_SS_SU_SV_SZ_EES10_S11_S12_S13_S17_S18_S19_S1C_S1D_jS1E_jS1F_S1F_jjS1H_bEUljE0_EEES10_S11_S12_S19_S1D_S1F_T6_T7_T9_mT8_S1H_bDpT10_ENKUlT_T0_E_clISt17integral_constantIbLb1EES1U_IbLb0EEEEDaS1Q_S1R_EUlS1Q_E_NS1_11comp_targetILNS1_3genE2ELNS1_11target_archE906ELNS1_3gpuE6ELNS1_3repE0EEENS1_30default_config_static_selectorELNS0_4arch9wavefront6targetE1EEEvS13_ ; -- Begin function _ZN7rocprim17ROCPRIM_400000_NS6detail17trampoline_kernelINS0_13select_configILj256ELj13ELNS0_17block_load_methodE3ELS4_3ELS4_3ELNS0_20block_scan_algorithmE0ELj4294967295EEENS1_25partition_config_selectorILNS1_17partition_subalgoE4EjNS0_10empty_typeEbEEZZNS1_14partition_implILS8_4ELb0ES6_15HIP_vector_typeIjLj2EENS0_17counting_iteratorIjlEEPS9_SG_NS0_5tupleIJPjSI_NS0_16reverse_iteratorISI_EEEEENSH_IJSG_SG_SG_EEES9_SI_JZNS1_25segmented_radix_sort_implINS0_14default_configELb1EPK12hip_bfloat16PSP_PKlPlN2at6native12_GLOBAL__N_18offset_tEEE10hipError_tPvRmT1_PNSt15iterator_traitsIS13_E10value_typeET2_T3_PNS14_IS19_E10value_typeET4_jRbjT5_S1F_jjP12ihipStream_tbEUljE_ZNSN_ISO_Lb1ESR_SS_SU_SV_SZ_EES10_S11_S12_S13_S17_S18_S19_S1C_S1D_jS1E_jS1F_S1F_jjS1H_bEUljE0_EEES10_S11_S12_S19_S1D_S1F_T6_T7_T9_mT8_S1H_bDpT10_ENKUlT_T0_E_clISt17integral_constantIbLb1EES1U_IbLb0EEEEDaS1Q_S1R_EUlS1Q_E_NS1_11comp_targetILNS1_3genE2ELNS1_11target_archE906ELNS1_3gpuE6ELNS1_3repE0EEENS1_30default_config_static_selectorELNS0_4arch9wavefront6targetE1EEEvS13_
	.p2align	8
	.type	_ZN7rocprim17ROCPRIM_400000_NS6detail17trampoline_kernelINS0_13select_configILj256ELj13ELNS0_17block_load_methodE3ELS4_3ELS4_3ELNS0_20block_scan_algorithmE0ELj4294967295EEENS1_25partition_config_selectorILNS1_17partition_subalgoE4EjNS0_10empty_typeEbEEZZNS1_14partition_implILS8_4ELb0ES6_15HIP_vector_typeIjLj2EENS0_17counting_iteratorIjlEEPS9_SG_NS0_5tupleIJPjSI_NS0_16reverse_iteratorISI_EEEEENSH_IJSG_SG_SG_EEES9_SI_JZNS1_25segmented_radix_sort_implINS0_14default_configELb1EPK12hip_bfloat16PSP_PKlPlN2at6native12_GLOBAL__N_18offset_tEEE10hipError_tPvRmT1_PNSt15iterator_traitsIS13_E10value_typeET2_T3_PNS14_IS19_E10value_typeET4_jRbjT5_S1F_jjP12ihipStream_tbEUljE_ZNSN_ISO_Lb1ESR_SS_SU_SV_SZ_EES10_S11_S12_S13_S17_S18_S19_S1C_S1D_jS1E_jS1F_S1F_jjS1H_bEUljE0_EEES10_S11_S12_S19_S1D_S1F_T6_T7_T9_mT8_S1H_bDpT10_ENKUlT_T0_E_clISt17integral_constantIbLb1EES1U_IbLb0EEEEDaS1Q_S1R_EUlS1Q_E_NS1_11comp_targetILNS1_3genE2ELNS1_11target_archE906ELNS1_3gpuE6ELNS1_3repE0EEENS1_30default_config_static_selectorELNS0_4arch9wavefront6targetE1EEEvS13_,@function
_ZN7rocprim17ROCPRIM_400000_NS6detail17trampoline_kernelINS0_13select_configILj256ELj13ELNS0_17block_load_methodE3ELS4_3ELS4_3ELNS0_20block_scan_algorithmE0ELj4294967295EEENS1_25partition_config_selectorILNS1_17partition_subalgoE4EjNS0_10empty_typeEbEEZZNS1_14partition_implILS8_4ELb0ES6_15HIP_vector_typeIjLj2EENS0_17counting_iteratorIjlEEPS9_SG_NS0_5tupleIJPjSI_NS0_16reverse_iteratorISI_EEEEENSH_IJSG_SG_SG_EEES9_SI_JZNS1_25segmented_radix_sort_implINS0_14default_configELb1EPK12hip_bfloat16PSP_PKlPlN2at6native12_GLOBAL__N_18offset_tEEE10hipError_tPvRmT1_PNSt15iterator_traitsIS13_E10value_typeET2_T3_PNS14_IS19_E10value_typeET4_jRbjT5_S1F_jjP12ihipStream_tbEUljE_ZNSN_ISO_Lb1ESR_SS_SU_SV_SZ_EES10_S11_S12_S13_S17_S18_S19_S1C_S1D_jS1E_jS1F_S1F_jjS1H_bEUljE0_EEES10_S11_S12_S19_S1D_S1F_T6_T7_T9_mT8_S1H_bDpT10_ENKUlT_T0_E_clISt17integral_constantIbLb1EES1U_IbLb0EEEEDaS1Q_S1R_EUlS1Q_E_NS1_11comp_targetILNS1_3genE2ELNS1_11target_archE906ELNS1_3gpuE6ELNS1_3repE0EEENS1_30default_config_static_selectorELNS0_4arch9wavefront6targetE1EEEvS13_: ; @_ZN7rocprim17ROCPRIM_400000_NS6detail17trampoline_kernelINS0_13select_configILj256ELj13ELNS0_17block_load_methodE3ELS4_3ELS4_3ELNS0_20block_scan_algorithmE0ELj4294967295EEENS1_25partition_config_selectorILNS1_17partition_subalgoE4EjNS0_10empty_typeEbEEZZNS1_14partition_implILS8_4ELb0ES6_15HIP_vector_typeIjLj2EENS0_17counting_iteratorIjlEEPS9_SG_NS0_5tupleIJPjSI_NS0_16reverse_iteratorISI_EEEEENSH_IJSG_SG_SG_EEES9_SI_JZNS1_25segmented_radix_sort_implINS0_14default_configELb1EPK12hip_bfloat16PSP_PKlPlN2at6native12_GLOBAL__N_18offset_tEEE10hipError_tPvRmT1_PNSt15iterator_traitsIS13_E10value_typeET2_T3_PNS14_IS19_E10value_typeET4_jRbjT5_S1F_jjP12ihipStream_tbEUljE_ZNSN_ISO_Lb1ESR_SS_SU_SV_SZ_EES10_S11_S12_S13_S17_S18_S19_S1C_S1D_jS1E_jS1F_S1F_jjS1H_bEUljE0_EEES10_S11_S12_S19_S1D_S1F_T6_T7_T9_mT8_S1H_bDpT10_ENKUlT_T0_E_clISt17integral_constantIbLb1EES1U_IbLb0EEEEDaS1Q_S1R_EUlS1Q_E_NS1_11comp_targetILNS1_3genE2ELNS1_11target_archE906ELNS1_3gpuE6ELNS1_3repE0EEENS1_30default_config_static_selectorELNS0_4arch9wavefront6targetE1EEEvS13_
; %bb.0:
	.section	.rodata,"a",@progbits
	.p2align	6, 0x0
	.amdhsa_kernel _ZN7rocprim17ROCPRIM_400000_NS6detail17trampoline_kernelINS0_13select_configILj256ELj13ELNS0_17block_load_methodE3ELS4_3ELS4_3ELNS0_20block_scan_algorithmE0ELj4294967295EEENS1_25partition_config_selectorILNS1_17partition_subalgoE4EjNS0_10empty_typeEbEEZZNS1_14partition_implILS8_4ELb0ES6_15HIP_vector_typeIjLj2EENS0_17counting_iteratorIjlEEPS9_SG_NS0_5tupleIJPjSI_NS0_16reverse_iteratorISI_EEEEENSH_IJSG_SG_SG_EEES9_SI_JZNS1_25segmented_radix_sort_implINS0_14default_configELb1EPK12hip_bfloat16PSP_PKlPlN2at6native12_GLOBAL__N_18offset_tEEE10hipError_tPvRmT1_PNSt15iterator_traitsIS13_E10value_typeET2_T3_PNS14_IS19_E10value_typeET4_jRbjT5_S1F_jjP12ihipStream_tbEUljE_ZNSN_ISO_Lb1ESR_SS_SU_SV_SZ_EES10_S11_S12_S13_S17_S18_S19_S1C_S1D_jS1E_jS1F_S1F_jjS1H_bEUljE0_EEES10_S11_S12_S19_S1D_S1F_T6_T7_T9_mT8_S1H_bDpT10_ENKUlT_T0_E_clISt17integral_constantIbLb1EES1U_IbLb0EEEEDaS1Q_S1R_EUlS1Q_E_NS1_11comp_targetILNS1_3genE2ELNS1_11target_archE906ELNS1_3gpuE6ELNS1_3repE0EEENS1_30default_config_static_selectorELNS0_4arch9wavefront6targetE1EEEvS13_
		.amdhsa_group_segment_fixed_size 0
		.amdhsa_private_segment_fixed_size 0
		.amdhsa_kernarg_size 176
		.amdhsa_user_sgpr_count 6
		.amdhsa_user_sgpr_private_segment_buffer 1
		.amdhsa_user_sgpr_dispatch_ptr 0
		.amdhsa_user_sgpr_queue_ptr 0
		.amdhsa_user_sgpr_kernarg_segment_ptr 1
		.amdhsa_user_sgpr_dispatch_id 0
		.amdhsa_user_sgpr_flat_scratch_init 0
		.amdhsa_user_sgpr_kernarg_preload_length 0
		.amdhsa_user_sgpr_kernarg_preload_offset 0
		.amdhsa_user_sgpr_private_segment_size 0
		.amdhsa_uses_dynamic_stack 0
		.amdhsa_system_sgpr_private_segment_wavefront_offset 0
		.amdhsa_system_sgpr_workgroup_id_x 1
		.amdhsa_system_sgpr_workgroup_id_y 0
		.amdhsa_system_sgpr_workgroup_id_z 0
		.amdhsa_system_sgpr_workgroup_info 0
		.amdhsa_system_vgpr_workitem_id 0
		.amdhsa_next_free_vgpr 1
		.amdhsa_next_free_sgpr 0
		.amdhsa_accum_offset 4
		.amdhsa_reserve_vcc 0
		.amdhsa_reserve_flat_scratch 0
		.amdhsa_float_round_mode_32 0
		.amdhsa_float_round_mode_16_64 0
		.amdhsa_float_denorm_mode_32 3
		.amdhsa_float_denorm_mode_16_64 3
		.amdhsa_dx10_clamp 1
		.amdhsa_ieee_mode 1
		.amdhsa_fp16_overflow 0
		.amdhsa_tg_split 0
		.amdhsa_exception_fp_ieee_invalid_op 0
		.amdhsa_exception_fp_denorm_src 0
		.amdhsa_exception_fp_ieee_div_zero 0
		.amdhsa_exception_fp_ieee_overflow 0
		.amdhsa_exception_fp_ieee_underflow 0
		.amdhsa_exception_fp_ieee_inexact 0
		.amdhsa_exception_int_div_zero 0
	.end_amdhsa_kernel
	.section	.text._ZN7rocprim17ROCPRIM_400000_NS6detail17trampoline_kernelINS0_13select_configILj256ELj13ELNS0_17block_load_methodE3ELS4_3ELS4_3ELNS0_20block_scan_algorithmE0ELj4294967295EEENS1_25partition_config_selectorILNS1_17partition_subalgoE4EjNS0_10empty_typeEbEEZZNS1_14partition_implILS8_4ELb0ES6_15HIP_vector_typeIjLj2EENS0_17counting_iteratorIjlEEPS9_SG_NS0_5tupleIJPjSI_NS0_16reverse_iteratorISI_EEEEENSH_IJSG_SG_SG_EEES9_SI_JZNS1_25segmented_radix_sort_implINS0_14default_configELb1EPK12hip_bfloat16PSP_PKlPlN2at6native12_GLOBAL__N_18offset_tEEE10hipError_tPvRmT1_PNSt15iterator_traitsIS13_E10value_typeET2_T3_PNS14_IS19_E10value_typeET4_jRbjT5_S1F_jjP12ihipStream_tbEUljE_ZNSN_ISO_Lb1ESR_SS_SU_SV_SZ_EES10_S11_S12_S13_S17_S18_S19_S1C_S1D_jS1E_jS1F_S1F_jjS1H_bEUljE0_EEES10_S11_S12_S19_S1D_S1F_T6_T7_T9_mT8_S1H_bDpT10_ENKUlT_T0_E_clISt17integral_constantIbLb1EES1U_IbLb0EEEEDaS1Q_S1R_EUlS1Q_E_NS1_11comp_targetILNS1_3genE2ELNS1_11target_archE906ELNS1_3gpuE6ELNS1_3repE0EEENS1_30default_config_static_selectorELNS0_4arch9wavefront6targetE1EEEvS13_,"axG",@progbits,_ZN7rocprim17ROCPRIM_400000_NS6detail17trampoline_kernelINS0_13select_configILj256ELj13ELNS0_17block_load_methodE3ELS4_3ELS4_3ELNS0_20block_scan_algorithmE0ELj4294967295EEENS1_25partition_config_selectorILNS1_17partition_subalgoE4EjNS0_10empty_typeEbEEZZNS1_14partition_implILS8_4ELb0ES6_15HIP_vector_typeIjLj2EENS0_17counting_iteratorIjlEEPS9_SG_NS0_5tupleIJPjSI_NS0_16reverse_iteratorISI_EEEEENSH_IJSG_SG_SG_EEES9_SI_JZNS1_25segmented_radix_sort_implINS0_14default_configELb1EPK12hip_bfloat16PSP_PKlPlN2at6native12_GLOBAL__N_18offset_tEEE10hipError_tPvRmT1_PNSt15iterator_traitsIS13_E10value_typeET2_T3_PNS14_IS19_E10value_typeET4_jRbjT5_S1F_jjP12ihipStream_tbEUljE_ZNSN_ISO_Lb1ESR_SS_SU_SV_SZ_EES10_S11_S12_S13_S17_S18_S19_S1C_S1D_jS1E_jS1F_S1F_jjS1H_bEUljE0_EEES10_S11_S12_S19_S1D_S1F_T6_T7_T9_mT8_S1H_bDpT10_ENKUlT_T0_E_clISt17integral_constantIbLb1EES1U_IbLb0EEEEDaS1Q_S1R_EUlS1Q_E_NS1_11comp_targetILNS1_3genE2ELNS1_11target_archE906ELNS1_3gpuE6ELNS1_3repE0EEENS1_30default_config_static_selectorELNS0_4arch9wavefront6targetE1EEEvS13_,comdat
.Lfunc_end1900:
	.size	_ZN7rocprim17ROCPRIM_400000_NS6detail17trampoline_kernelINS0_13select_configILj256ELj13ELNS0_17block_load_methodE3ELS4_3ELS4_3ELNS0_20block_scan_algorithmE0ELj4294967295EEENS1_25partition_config_selectorILNS1_17partition_subalgoE4EjNS0_10empty_typeEbEEZZNS1_14partition_implILS8_4ELb0ES6_15HIP_vector_typeIjLj2EENS0_17counting_iteratorIjlEEPS9_SG_NS0_5tupleIJPjSI_NS0_16reverse_iteratorISI_EEEEENSH_IJSG_SG_SG_EEES9_SI_JZNS1_25segmented_radix_sort_implINS0_14default_configELb1EPK12hip_bfloat16PSP_PKlPlN2at6native12_GLOBAL__N_18offset_tEEE10hipError_tPvRmT1_PNSt15iterator_traitsIS13_E10value_typeET2_T3_PNS14_IS19_E10value_typeET4_jRbjT5_S1F_jjP12ihipStream_tbEUljE_ZNSN_ISO_Lb1ESR_SS_SU_SV_SZ_EES10_S11_S12_S13_S17_S18_S19_S1C_S1D_jS1E_jS1F_S1F_jjS1H_bEUljE0_EEES10_S11_S12_S19_S1D_S1F_T6_T7_T9_mT8_S1H_bDpT10_ENKUlT_T0_E_clISt17integral_constantIbLb1EES1U_IbLb0EEEEDaS1Q_S1R_EUlS1Q_E_NS1_11comp_targetILNS1_3genE2ELNS1_11target_archE906ELNS1_3gpuE6ELNS1_3repE0EEENS1_30default_config_static_selectorELNS0_4arch9wavefront6targetE1EEEvS13_, .Lfunc_end1900-_ZN7rocprim17ROCPRIM_400000_NS6detail17trampoline_kernelINS0_13select_configILj256ELj13ELNS0_17block_load_methodE3ELS4_3ELS4_3ELNS0_20block_scan_algorithmE0ELj4294967295EEENS1_25partition_config_selectorILNS1_17partition_subalgoE4EjNS0_10empty_typeEbEEZZNS1_14partition_implILS8_4ELb0ES6_15HIP_vector_typeIjLj2EENS0_17counting_iteratorIjlEEPS9_SG_NS0_5tupleIJPjSI_NS0_16reverse_iteratorISI_EEEEENSH_IJSG_SG_SG_EEES9_SI_JZNS1_25segmented_radix_sort_implINS0_14default_configELb1EPK12hip_bfloat16PSP_PKlPlN2at6native12_GLOBAL__N_18offset_tEEE10hipError_tPvRmT1_PNSt15iterator_traitsIS13_E10value_typeET2_T3_PNS14_IS19_E10value_typeET4_jRbjT5_S1F_jjP12ihipStream_tbEUljE_ZNSN_ISO_Lb1ESR_SS_SU_SV_SZ_EES10_S11_S12_S13_S17_S18_S19_S1C_S1D_jS1E_jS1F_S1F_jjS1H_bEUljE0_EEES10_S11_S12_S19_S1D_S1F_T6_T7_T9_mT8_S1H_bDpT10_ENKUlT_T0_E_clISt17integral_constantIbLb1EES1U_IbLb0EEEEDaS1Q_S1R_EUlS1Q_E_NS1_11comp_targetILNS1_3genE2ELNS1_11target_archE906ELNS1_3gpuE6ELNS1_3repE0EEENS1_30default_config_static_selectorELNS0_4arch9wavefront6targetE1EEEvS13_
                                        ; -- End function
	.section	.AMDGPU.csdata,"",@progbits
; Kernel info:
; codeLenInByte = 0
; NumSgprs: 4
; NumVgprs: 0
; NumAgprs: 0
; TotalNumVgprs: 0
; ScratchSize: 0
; MemoryBound: 0
; FloatMode: 240
; IeeeMode: 1
; LDSByteSize: 0 bytes/workgroup (compile time only)
; SGPRBlocks: 0
; VGPRBlocks: 0
; NumSGPRsForWavesPerEU: 4
; NumVGPRsForWavesPerEU: 1
; AccumOffset: 4
; Occupancy: 8
; WaveLimiterHint : 0
; COMPUTE_PGM_RSRC2:SCRATCH_EN: 0
; COMPUTE_PGM_RSRC2:USER_SGPR: 6
; COMPUTE_PGM_RSRC2:TRAP_HANDLER: 0
; COMPUTE_PGM_RSRC2:TGID_X_EN: 1
; COMPUTE_PGM_RSRC2:TGID_Y_EN: 0
; COMPUTE_PGM_RSRC2:TGID_Z_EN: 0
; COMPUTE_PGM_RSRC2:TIDIG_COMP_CNT: 0
; COMPUTE_PGM_RSRC3_GFX90A:ACCUM_OFFSET: 0
; COMPUTE_PGM_RSRC3_GFX90A:TG_SPLIT: 0
	.section	.text._ZN7rocprim17ROCPRIM_400000_NS6detail17trampoline_kernelINS0_13select_configILj256ELj13ELNS0_17block_load_methodE3ELS4_3ELS4_3ELNS0_20block_scan_algorithmE0ELj4294967295EEENS1_25partition_config_selectorILNS1_17partition_subalgoE4EjNS0_10empty_typeEbEEZZNS1_14partition_implILS8_4ELb0ES6_15HIP_vector_typeIjLj2EENS0_17counting_iteratorIjlEEPS9_SG_NS0_5tupleIJPjSI_NS0_16reverse_iteratorISI_EEEEENSH_IJSG_SG_SG_EEES9_SI_JZNS1_25segmented_radix_sort_implINS0_14default_configELb1EPK12hip_bfloat16PSP_PKlPlN2at6native12_GLOBAL__N_18offset_tEEE10hipError_tPvRmT1_PNSt15iterator_traitsIS13_E10value_typeET2_T3_PNS14_IS19_E10value_typeET4_jRbjT5_S1F_jjP12ihipStream_tbEUljE_ZNSN_ISO_Lb1ESR_SS_SU_SV_SZ_EES10_S11_S12_S13_S17_S18_S19_S1C_S1D_jS1E_jS1F_S1F_jjS1H_bEUljE0_EEES10_S11_S12_S19_S1D_S1F_T6_T7_T9_mT8_S1H_bDpT10_ENKUlT_T0_E_clISt17integral_constantIbLb1EES1U_IbLb0EEEEDaS1Q_S1R_EUlS1Q_E_NS1_11comp_targetILNS1_3genE10ELNS1_11target_archE1200ELNS1_3gpuE4ELNS1_3repE0EEENS1_30default_config_static_selectorELNS0_4arch9wavefront6targetE1EEEvS13_,"axG",@progbits,_ZN7rocprim17ROCPRIM_400000_NS6detail17trampoline_kernelINS0_13select_configILj256ELj13ELNS0_17block_load_methodE3ELS4_3ELS4_3ELNS0_20block_scan_algorithmE0ELj4294967295EEENS1_25partition_config_selectorILNS1_17partition_subalgoE4EjNS0_10empty_typeEbEEZZNS1_14partition_implILS8_4ELb0ES6_15HIP_vector_typeIjLj2EENS0_17counting_iteratorIjlEEPS9_SG_NS0_5tupleIJPjSI_NS0_16reverse_iteratorISI_EEEEENSH_IJSG_SG_SG_EEES9_SI_JZNS1_25segmented_radix_sort_implINS0_14default_configELb1EPK12hip_bfloat16PSP_PKlPlN2at6native12_GLOBAL__N_18offset_tEEE10hipError_tPvRmT1_PNSt15iterator_traitsIS13_E10value_typeET2_T3_PNS14_IS19_E10value_typeET4_jRbjT5_S1F_jjP12ihipStream_tbEUljE_ZNSN_ISO_Lb1ESR_SS_SU_SV_SZ_EES10_S11_S12_S13_S17_S18_S19_S1C_S1D_jS1E_jS1F_S1F_jjS1H_bEUljE0_EEES10_S11_S12_S19_S1D_S1F_T6_T7_T9_mT8_S1H_bDpT10_ENKUlT_T0_E_clISt17integral_constantIbLb1EES1U_IbLb0EEEEDaS1Q_S1R_EUlS1Q_E_NS1_11comp_targetILNS1_3genE10ELNS1_11target_archE1200ELNS1_3gpuE4ELNS1_3repE0EEENS1_30default_config_static_selectorELNS0_4arch9wavefront6targetE1EEEvS13_,comdat
	.globl	_ZN7rocprim17ROCPRIM_400000_NS6detail17trampoline_kernelINS0_13select_configILj256ELj13ELNS0_17block_load_methodE3ELS4_3ELS4_3ELNS0_20block_scan_algorithmE0ELj4294967295EEENS1_25partition_config_selectorILNS1_17partition_subalgoE4EjNS0_10empty_typeEbEEZZNS1_14partition_implILS8_4ELb0ES6_15HIP_vector_typeIjLj2EENS0_17counting_iteratorIjlEEPS9_SG_NS0_5tupleIJPjSI_NS0_16reverse_iteratorISI_EEEEENSH_IJSG_SG_SG_EEES9_SI_JZNS1_25segmented_radix_sort_implINS0_14default_configELb1EPK12hip_bfloat16PSP_PKlPlN2at6native12_GLOBAL__N_18offset_tEEE10hipError_tPvRmT1_PNSt15iterator_traitsIS13_E10value_typeET2_T3_PNS14_IS19_E10value_typeET4_jRbjT5_S1F_jjP12ihipStream_tbEUljE_ZNSN_ISO_Lb1ESR_SS_SU_SV_SZ_EES10_S11_S12_S13_S17_S18_S19_S1C_S1D_jS1E_jS1F_S1F_jjS1H_bEUljE0_EEES10_S11_S12_S19_S1D_S1F_T6_T7_T9_mT8_S1H_bDpT10_ENKUlT_T0_E_clISt17integral_constantIbLb1EES1U_IbLb0EEEEDaS1Q_S1R_EUlS1Q_E_NS1_11comp_targetILNS1_3genE10ELNS1_11target_archE1200ELNS1_3gpuE4ELNS1_3repE0EEENS1_30default_config_static_selectorELNS0_4arch9wavefront6targetE1EEEvS13_ ; -- Begin function _ZN7rocprim17ROCPRIM_400000_NS6detail17trampoline_kernelINS0_13select_configILj256ELj13ELNS0_17block_load_methodE3ELS4_3ELS4_3ELNS0_20block_scan_algorithmE0ELj4294967295EEENS1_25partition_config_selectorILNS1_17partition_subalgoE4EjNS0_10empty_typeEbEEZZNS1_14partition_implILS8_4ELb0ES6_15HIP_vector_typeIjLj2EENS0_17counting_iteratorIjlEEPS9_SG_NS0_5tupleIJPjSI_NS0_16reverse_iteratorISI_EEEEENSH_IJSG_SG_SG_EEES9_SI_JZNS1_25segmented_radix_sort_implINS0_14default_configELb1EPK12hip_bfloat16PSP_PKlPlN2at6native12_GLOBAL__N_18offset_tEEE10hipError_tPvRmT1_PNSt15iterator_traitsIS13_E10value_typeET2_T3_PNS14_IS19_E10value_typeET4_jRbjT5_S1F_jjP12ihipStream_tbEUljE_ZNSN_ISO_Lb1ESR_SS_SU_SV_SZ_EES10_S11_S12_S13_S17_S18_S19_S1C_S1D_jS1E_jS1F_S1F_jjS1H_bEUljE0_EEES10_S11_S12_S19_S1D_S1F_T6_T7_T9_mT8_S1H_bDpT10_ENKUlT_T0_E_clISt17integral_constantIbLb1EES1U_IbLb0EEEEDaS1Q_S1R_EUlS1Q_E_NS1_11comp_targetILNS1_3genE10ELNS1_11target_archE1200ELNS1_3gpuE4ELNS1_3repE0EEENS1_30default_config_static_selectorELNS0_4arch9wavefront6targetE1EEEvS13_
	.p2align	8
	.type	_ZN7rocprim17ROCPRIM_400000_NS6detail17trampoline_kernelINS0_13select_configILj256ELj13ELNS0_17block_load_methodE3ELS4_3ELS4_3ELNS0_20block_scan_algorithmE0ELj4294967295EEENS1_25partition_config_selectorILNS1_17partition_subalgoE4EjNS0_10empty_typeEbEEZZNS1_14partition_implILS8_4ELb0ES6_15HIP_vector_typeIjLj2EENS0_17counting_iteratorIjlEEPS9_SG_NS0_5tupleIJPjSI_NS0_16reverse_iteratorISI_EEEEENSH_IJSG_SG_SG_EEES9_SI_JZNS1_25segmented_radix_sort_implINS0_14default_configELb1EPK12hip_bfloat16PSP_PKlPlN2at6native12_GLOBAL__N_18offset_tEEE10hipError_tPvRmT1_PNSt15iterator_traitsIS13_E10value_typeET2_T3_PNS14_IS19_E10value_typeET4_jRbjT5_S1F_jjP12ihipStream_tbEUljE_ZNSN_ISO_Lb1ESR_SS_SU_SV_SZ_EES10_S11_S12_S13_S17_S18_S19_S1C_S1D_jS1E_jS1F_S1F_jjS1H_bEUljE0_EEES10_S11_S12_S19_S1D_S1F_T6_T7_T9_mT8_S1H_bDpT10_ENKUlT_T0_E_clISt17integral_constantIbLb1EES1U_IbLb0EEEEDaS1Q_S1R_EUlS1Q_E_NS1_11comp_targetILNS1_3genE10ELNS1_11target_archE1200ELNS1_3gpuE4ELNS1_3repE0EEENS1_30default_config_static_selectorELNS0_4arch9wavefront6targetE1EEEvS13_,@function
_ZN7rocprim17ROCPRIM_400000_NS6detail17trampoline_kernelINS0_13select_configILj256ELj13ELNS0_17block_load_methodE3ELS4_3ELS4_3ELNS0_20block_scan_algorithmE0ELj4294967295EEENS1_25partition_config_selectorILNS1_17partition_subalgoE4EjNS0_10empty_typeEbEEZZNS1_14partition_implILS8_4ELb0ES6_15HIP_vector_typeIjLj2EENS0_17counting_iteratorIjlEEPS9_SG_NS0_5tupleIJPjSI_NS0_16reverse_iteratorISI_EEEEENSH_IJSG_SG_SG_EEES9_SI_JZNS1_25segmented_radix_sort_implINS0_14default_configELb1EPK12hip_bfloat16PSP_PKlPlN2at6native12_GLOBAL__N_18offset_tEEE10hipError_tPvRmT1_PNSt15iterator_traitsIS13_E10value_typeET2_T3_PNS14_IS19_E10value_typeET4_jRbjT5_S1F_jjP12ihipStream_tbEUljE_ZNSN_ISO_Lb1ESR_SS_SU_SV_SZ_EES10_S11_S12_S13_S17_S18_S19_S1C_S1D_jS1E_jS1F_S1F_jjS1H_bEUljE0_EEES10_S11_S12_S19_S1D_S1F_T6_T7_T9_mT8_S1H_bDpT10_ENKUlT_T0_E_clISt17integral_constantIbLb1EES1U_IbLb0EEEEDaS1Q_S1R_EUlS1Q_E_NS1_11comp_targetILNS1_3genE10ELNS1_11target_archE1200ELNS1_3gpuE4ELNS1_3repE0EEENS1_30default_config_static_selectorELNS0_4arch9wavefront6targetE1EEEvS13_: ; @_ZN7rocprim17ROCPRIM_400000_NS6detail17trampoline_kernelINS0_13select_configILj256ELj13ELNS0_17block_load_methodE3ELS4_3ELS4_3ELNS0_20block_scan_algorithmE0ELj4294967295EEENS1_25partition_config_selectorILNS1_17partition_subalgoE4EjNS0_10empty_typeEbEEZZNS1_14partition_implILS8_4ELb0ES6_15HIP_vector_typeIjLj2EENS0_17counting_iteratorIjlEEPS9_SG_NS0_5tupleIJPjSI_NS0_16reverse_iteratorISI_EEEEENSH_IJSG_SG_SG_EEES9_SI_JZNS1_25segmented_radix_sort_implINS0_14default_configELb1EPK12hip_bfloat16PSP_PKlPlN2at6native12_GLOBAL__N_18offset_tEEE10hipError_tPvRmT1_PNSt15iterator_traitsIS13_E10value_typeET2_T3_PNS14_IS19_E10value_typeET4_jRbjT5_S1F_jjP12ihipStream_tbEUljE_ZNSN_ISO_Lb1ESR_SS_SU_SV_SZ_EES10_S11_S12_S13_S17_S18_S19_S1C_S1D_jS1E_jS1F_S1F_jjS1H_bEUljE0_EEES10_S11_S12_S19_S1D_S1F_T6_T7_T9_mT8_S1H_bDpT10_ENKUlT_T0_E_clISt17integral_constantIbLb1EES1U_IbLb0EEEEDaS1Q_S1R_EUlS1Q_E_NS1_11comp_targetILNS1_3genE10ELNS1_11target_archE1200ELNS1_3gpuE4ELNS1_3repE0EEENS1_30default_config_static_selectorELNS0_4arch9wavefront6targetE1EEEvS13_
; %bb.0:
	.section	.rodata,"a",@progbits
	.p2align	6, 0x0
	.amdhsa_kernel _ZN7rocprim17ROCPRIM_400000_NS6detail17trampoline_kernelINS0_13select_configILj256ELj13ELNS0_17block_load_methodE3ELS4_3ELS4_3ELNS0_20block_scan_algorithmE0ELj4294967295EEENS1_25partition_config_selectorILNS1_17partition_subalgoE4EjNS0_10empty_typeEbEEZZNS1_14partition_implILS8_4ELb0ES6_15HIP_vector_typeIjLj2EENS0_17counting_iteratorIjlEEPS9_SG_NS0_5tupleIJPjSI_NS0_16reverse_iteratorISI_EEEEENSH_IJSG_SG_SG_EEES9_SI_JZNS1_25segmented_radix_sort_implINS0_14default_configELb1EPK12hip_bfloat16PSP_PKlPlN2at6native12_GLOBAL__N_18offset_tEEE10hipError_tPvRmT1_PNSt15iterator_traitsIS13_E10value_typeET2_T3_PNS14_IS19_E10value_typeET4_jRbjT5_S1F_jjP12ihipStream_tbEUljE_ZNSN_ISO_Lb1ESR_SS_SU_SV_SZ_EES10_S11_S12_S13_S17_S18_S19_S1C_S1D_jS1E_jS1F_S1F_jjS1H_bEUljE0_EEES10_S11_S12_S19_S1D_S1F_T6_T7_T9_mT8_S1H_bDpT10_ENKUlT_T0_E_clISt17integral_constantIbLb1EES1U_IbLb0EEEEDaS1Q_S1R_EUlS1Q_E_NS1_11comp_targetILNS1_3genE10ELNS1_11target_archE1200ELNS1_3gpuE4ELNS1_3repE0EEENS1_30default_config_static_selectorELNS0_4arch9wavefront6targetE1EEEvS13_
		.amdhsa_group_segment_fixed_size 0
		.amdhsa_private_segment_fixed_size 0
		.amdhsa_kernarg_size 176
		.amdhsa_user_sgpr_count 6
		.amdhsa_user_sgpr_private_segment_buffer 1
		.amdhsa_user_sgpr_dispatch_ptr 0
		.amdhsa_user_sgpr_queue_ptr 0
		.amdhsa_user_sgpr_kernarg_segment_ptr 1
		.amdhsa_user_sgpr_dispatch_id 0
		.amdhsa_user_sgpr_flat_scratch_init 0
		.amdhsa_user_sgpr_kernarg_preload_length 0
		.amdhsa_user_sgpr_kernarg_preload_offset 0
		.amdhsa_user_sgpr_private_segment_size 0
		.amdhsa_uses_dynamic_stack 0
		.amdhsa_system_sgpr_private_segment_wavefront_offset 0
		.amdhsa_system_sgpr_workgroup_id_x 1
		.amdhsa_system_sgpr_workgroup_id_y 0
		.amdhsa_system_sgpr_workgroup_id_z 0
		.amdhsa_system_sgpr_workgroup_info 0
		.amdhsa_system_vgpr_workitem_id 0
		.amdhsa_next_free_vgpr 1
		.amdhsa_next_free_sgpr 0
		.amdhsa_accum_offset 4
		.amdhsa_reserve_vcc 0
		.amdhsa_reserve_flat_scratch 0
		.amdhsa_float_round_mode_32 0
		.amdhsa_float_round_mode_16_64 0
		.amdhsa_float_denorm_mode_32 3
		.amdhsa_float_denorm_mode_16_64 3
		.amdhsa_dx10_clamp 1
		.amdhsa_ieee_mode 1
		.amdhsa_fp16_overflow 0
		.amdhsa_tg_split 0
		.amdhsa_exception_fp_ieee_invalid_op 0
		.amdhsa_exception_fp_denorm_src 0
		.amdhsa_exception_fp_ieee_div_zero 0
		.amdhsa_exception_fp_ieee_overflow 0
		.amdhsa_exception_fp_ieee_underflow 0
		.amdhsa_exception_fp_ieee_inexact 0
		.amdhsa_exception_int_div_zero 0
	.end_amdhsa_kernel
	.section	.text._ZN7rocprim17ROCPRIM_400000_NS6detail17trampoline_kernelINS0_13select_configILj256ELj13ELNS0_17block_load_methodE3ELS4_3ELS4_3ELNS0_20block_scan_algorithmE0ELj4294967295EEENS1_25partition_config_selectorILNS1_17partition_subalgoE4EjNS0_10empty_typeEbEEZZNS1_14partition_implILS8_4ELb0ES6_15HIP_vector_typeIjLj2EENS0_17counting_iteratorIjlEEPS9_SG_NS0_5tupleIJPjSI_NS0_16reverse_iteratorISI_EEEEENSH_IJSG_SG_SG_EEES9_SI_JZNS1_25segmented_radix_sort_implINS0_14default_configELb1EPK12hip_bfloat16PSP_PKlPlN2at6native12_GLOBAL__N_18offset_tEEE10hipError_tPvRmT1_PNSt15iterator_traitsIS13_E10value_typeET2_T3_PNS14_IS19_E10value_typeET4_jRbjT5_S1F_jjP12ihipStream_tbEUljE_ZNSN_ISO_Lb1ESR_SS_SU_SV_SZ_EES10_S11_S12_S13_S17_S18_S19_S1C_S1D_jS1E_jS1F_S1F_jjS1H_bEUljE0_EEES10_S11_S12_S19_S1D_S1F_T6_T7_T9_mT8_S1H_bDpT10_ENKUlT_T0_E_clISt17integral_constantIbLb1EES1U_IbLb0EEEEDaS1Q_S1R_EUlS1Q_E_NS1_11comp_targetILNS1_3genE10ELNS1_11target_archE1200ELNS1_3gpuE4ELNS1_3repE0EEENS1_30default_config_static_selectorELNS0_4arch9wavefront6targetE1EEEvS13_,"axG",@progbits,_ZN7rocprim17ROCPRIM_400000_NS6detail17trampoline_kernelINS0_13select_configILj256ELj13ELNS0_17block_load_methodE3ELS4_3ELS4_3ELNS0_20block_scan_algorithmE0ELj4294967295EEENS1_25partition_config_selectorILNS1_17partition_subalgoE4EjNS0_10empty_typeEbEEZZNS1_14partition_implILS8_4ELb0ES6_15HIP_vector_typeIjLj2EENS0_17counting_iteratorIjlEEPS9_SG_NS0_5tupleIJPjSI_NS0_16reverse_iteratorISI_EEEEENSH_IJSG_SG_SG_EEES9_SI_JZNS1_25segmented_radix_sort_implINS0_14default_configELb1EPK12hip_bfloat16PSP_PKlPlN2at6native12_GLOBAL__N_18offset_tEEE10hipError_tPvRmT1_PNSt15iterator_traitsIS13_E10value_typeET2_T3_PNS14_IS19_E10value_typeET4_jRbjT5_S1F_jjP12ihipStream_tbEUljE_ZNSN_ISO_Lb1ESR_SS_SU_SV_SZ_EES10_S11_S12_S13_S17_S18_S19_S1C_S1D_jS1E_jS1F_S1F_jjS1H_bEUljE0_EEES10_S11_S12_S19_S1D_S1F_T6_T7_T9_mT8_S1H_bDpT10_ENKUlT_T0_E_clISt17integral_constantIbLb1EES1U_IbLb0EEEEDaS1Q_S1R_EUlS1Q_E_NS1_11comp_targetILNS1_3genE10ELNS1_11target_archE1200ELNS1_3gpuE4ELNS1_3repE0EEENS1_30default_config_static_selectorELNS0_4arch9wavefront6targetE1EEEvS13_,comdat
.Lfunc_end1901:
	.size	_ZN7rocprim17ROCPRIM_400000_NS6detail17trampoline_kernelINS0_13select_configILj256ELj13ELNS0_17block_load_methodE3ELS4_3ELS4_3ELNS0_20block_scan_algorithmE0ELj4294967295EEENS1_25partition_config_selectorILNS1_17partition_subalgoE4EjNS0_10empty_typeEbEEZZNS1_14partition_implILS8_4ELb0ES6_15HIP_vector_typeIjLj2EENS0_17counting_iteratorIjlEEPS9_SG_NS0_5tupleIJPjSI_NS0_16reverse_iteratorISI_EEEEENSH_IJSG_SG_SG_EEES9_SI_JZNS1_25segmented_radix_sort_implINS0_14default_configELb1EPK12hip_bfloat16PSP_PKlPlN2at6native12_GLOBAL__N_18offset_tEEE10hipError_tPvRmT1_PNSt15iterator_traitsIS13_E10value_typeET2_T3_PNS14_IS19_E10value_typeET4_jRbjT5_S1F_jjP12ihipStream_tbEUljE_ZNSN_ISO_Lb1ESR_SS_SU_SV_SZ_EES10_S11_S12_S13_S17_S18_S19_S1C_S1D_jS1E_jS1F_S1F_jjS1H_bEUljE0_EEES10_S11_S12_S19_S1D_S1F_T6_T7_T9_mT8_S1H_bDpT10_ENKUlT_T0_E_clISt17integral_constantIbLb1EES1U_IbLb0EEEEDaS1Q_S1R_EUlS1Q_E_NS1_11comp_targetILNS1_3genE10ELNS1_11target_archE1200ELNS1_3gpuE4ELNS1_3repE0EEENS1_30default_config_static_selectorELNS0_4arch9wavefront6targetE1EEEvS13_, .Lfunc_end1901-_ZN7rocprim17ROCPRIM_400000_NS6detail17trampoline_kernelINS0_13select_configILj256ELj13ELNS0_17block_load_methodE3ELS4_3ELS4_3ELNS0_20block_scan_algorithmE0ELj4294967295EEENS1_25partition_config_selectorILNS1_17partition_subalgoE4EjNS0_10empty_typeEbEEZZNS1_14partition_implILS8_4ELb0ES6_15HIP_vector_typeIjLj2EENS0_17counting_iteratorIjlEEPS9_SG_NS0_5tupleIJPjSI_NS0_16reverse_iteratorISI_EEEEENSH_IJSG_SG_SG_EEES9_SI_JZNS1_25segmented_radix_sort_implINS0_14default_configELb1EPK12hip_bfloat16PSP_PKlPlN2at6native12_GLOBAL__N_18offset_tEEE10hipError_tPvRmT1_PNSt15iterator_traitsIS13_E10value_typeET2_T3_PNS14_IS19_E10value_typeET4_jRbjT5_S1F_jjP12ihipStream_tbEUljE_ZNSN_ISO_Lb1ESR_SS_SU_SV_SZ_EES10_S11_S12_S13_S17_S18_S19_S1C_S1D_jS1E_jS1F_S1F_jjS1H_bEUljE0_EEES10_S11_S12_S19_S1D_S1F_T6_T7_T9_mT8_S1H_bDpT10_ENKUlT_T0_E_clISt17integral_constantIbLb1EES1U_IbLb0EEEEDaS1Q_S1R_EUlS1Q_E_NS1_11comp_targetILNS1_3genE10ELNS1_11target_archE1200ELNS1_3gpuE4ELNS1_3repE0EEENS1_30default_config_static_selectorELNS0_4arch9wavefront6targetE1EEEvS13_
                                        ; -- End function
	.section	.AMDGPU.csdata,"",@progbits
; Kernel info:
; codeLenInByte = 0
; NumSgprs: 4
; NumVgprs: 0
; NumAgprs: 0
; TotalNumVgprs: 0
; ScratchSize: 0
; MemoryBound: 0
; FloatMode: 240
; IeeeMode: 1
; LDSByteSize: 0 bytes/workgroup (compile time only)
; SGPRBlocks: 0
; VGPRBlocks: 0
; NumSGPRsForWavesPerEU: 4
; NumVGPRsForWavesPerEU: 1
; AccumOffset: 4
; Occupancy: 8
; WaveLimiterHint : 0
; COMPUTE_PGM_RSRC2:SCRATCH_EN: 0
; COMPUTE_PGM_RSRC2:USER_SGPR: 6
; COMPUTE_PGM_RSRC2:TRAP_HANDLER: 0
; COMPUTE_PGM_RSRC2:TGID_X_EN: 1
; COMPUTE_PGM_RSRC2:TGID_Y_EN: 0
; COMPUTE_PGM_RSRC2:TGID_Z_EN: 0
; COMPUTE_PGM_RSRC2:TIDIG_COMP_CNT: 0
; COMPUTE_PGM_RSRC3_GFX90A:ACCUM_OFFSET: 0
; COMPUTE_PGM_RSRC3_GFX90A:TG_SPLIT: 0
	.section	.text._ZN7rocprim17ROCPRIM_400000_NS6detail17trampoline_kernelINS0_13select_configILj256ELj13ELNS0_17block_load_methodE3ELS4_3ELS4_3ELNS0_20block_scan_algorithmE0ELj4294967295EEENS1_25partition_config_selectorILNS1_17partition_subalgoE4EjNS0_10empty_typeEbEEZZNS1_14partition_implILS8_4ELb0ES6_15HIP_vector_typeIjLj2EENS0_17counting_iteratorIjlEEPS9_SG_NS0_5tupleIJPjSI_NS0_16reverse_iteratorISI_EEEEENSH_IJSG_SG_SG_EEES9_SI_JZNS1_25segmented_radix_sort_implINS0_14default_configELb1EPK12hip_bfloat16PSP_PKlPlN2at6native12_GLOBAL__N_18offset_tEEE10hipError_tPvRmT1_PNSt15iterator_traitsIS13_E10value_typeET2_T3_PNS14_IS19_E10value_typeET4_jRbjT5_S1F_jjP12ihipStream_tbEUljE_ZNSN_ISO_Lb1ESR_SS_SU_SV_SZ_EES10_S11_S12_S13_S17_S18_S19_S1C_S1D_jS1E_jS1F_S1F_jjS1H_bEUljE0_EEES10_S11_S12_S19_S1D_S1F_T6_T7_T9_mT8_S1H_bDpT10_ENKUlT_T0_E_clISt17integral_constantIbLb1EES1U_IbLb0EEEEDaS1Q_S1R_EUlS1Q_E_NS1_11comp_targetILNS1_3genE9ELNS1_11target_archE1100ELNS1_3gpuE3ELNS1_3repE0EEENS1_30default_config_static_selectorELNS0_4arch9wavefront6targetE1EEEvS13_,"axG",@progbits,_ZN7rocprim17ROCPRIM_400000_NS6detail17trampoline_kernelINS0_13select_configILj256ELj13ELNS0_17block_load_methodE3ELS4_3ELS4_3ELNS0_20block_scan_algorithmE0ELj4294967295EEENS1_25partition_config_selectorILNS1_17partition_subalgoE4EjNS0_10empty_typeEbEEZZNS1_14partition_implILS8_4ELb0ES6_15HIP_vector_typeIjLj2EENS0_17counting_iteratorIjlEEPS9_SG_NS0_5tupleIJPjSI_NS0_16reverse_iteratorISI_EEEEENSH_IJSG_SG_SG_EEES9_SI_JZNS1_25segmented_radix_sort_implINS0_14default_configELb1EPK12hip_bfloat16PSP_PKlPlN2at6native12_GLOBAL__N_18offset_tEEE10hipError_tPvRmT1_PNSt15iterator_traitsIS13_E10value_typeET2_T3_PNS14_IS19_E10value_typeET4_jRbjT5_S1F_jjP12ihipStream_tbEUljE_ZNSN_ISO_Lb1ESR_SS_SU_SV_SZ_EES10_S11_S12_S13_S17_S18_S19_S1C_S1D_jS1E_jS1F_S1F_jjS1H_bEUljE0_EEES10_S11_S12_S19_S1D_S1F_T6_T7_T9_mT8_S1H_bDpT10_ENKUlT_T0_E_clISt17integral_constantIbLb1EES1U_IbLb0EEEEDaS1Q_S1R_EUlS1Q_E_NS1_11comp_targetILNS1_3genE9ELNS1_11target_archE1100ELNS1_3gpuE3ELNS1_3repE0EEENS1_30default_config_static_selectorELNS0_4arch9wavefront6targetE1EEEvS13_,comdat
	.globl	_ZN7rocprim17ROCPRIM_400000_NS6detail17trampoline_kernelINS0_13select_configILj256ELj13ELNS0_17block_load_methodE3ELS4_3ELS4_3ELNS0_20block_scan_algorithmE0ELj4294967295EEENS1_25partition_config_selectorILNS1_17partition_subalgoE4EjNS0_10empty_typeEbEEZZNS1_14partition_implILS8_4ELb0ES6_15HIP_vector_typeIjLj2EENS0_17counting_iteratorIjlEEPS9_SG_NS0_5tupleIJPjSI_NS0_16reverse_iteratorISI_EEEEENSH_IJSG_SG_SG_EEES9_SI_JZNS1_25segmented_radix_sort_implINS0_14default_configELb1EPK12hip_bfloat16PSP_PKlPlN2at6native12_GLOBAL__N_18offset_tEEE10hipError_tPvRmT1_PNSt15iterator_traitsIS13_E10value_typeET2_T3_PNS14_IS19_E10value_typeET4_jRbjT5_S1F_jjP12ihipStream_tbEUljE_ZNSN_ISO_Lb1ESR_SS_SU_SV_SZ_EES10_S11_S12_S13_S17_S18_S19_S1C_S1D_jS1E_jS1F_S1F_jjS1H_bEUljE0_EEES10_S11_S12_S19_S1D_S1F_T6_T7_T9_mT8_S1H_bDpT10_ENKUlT_T0_E_clISt17integral_constantIbLb1EES1U_IbLb0EEEEDaS1Q_S1R_EUlS1Q_E_NS1_11comp_targetILNS1_3genE9ELNS1_11target_archE1100ELNS1_3gpuE3ELNS1_3repE0EEENS1_30default_config_static_selectorELNS0_4arch9wavefront6targetE1EEEvS13_ ; -- Begin function _ZN7rocprim17ROCPRIM_400000_NS6detail17trampoline_kernelINS0_13select_configILj256ELj13ELNS0_17block_load_methodE3ELS4_3ELS4_3ELNS0_20block_scan_algorithmE0ELj4294967295EEENS1_25partition_config_selectorILNS1_17partition_subalgoE4EjNS0_10empty_typeEbEEZZNS1_14partition_implILS8_4ELb0ES6_15HIP_vector_typeIjLj2EENS0_17counting_iteratorIjlEEPS9_SG_NS0_5tupleIJPjSI_NS0_16reverse_iteratorISI_EEEEENSH_IJSG_SG_SG_EEES9_SI_JZNS1_25segmented_radix_sort_implINS0_14default_configELb1EPK12hip_bfloat16PSP_PKlPlN2at6native12_GLOBAL__N_18offset_tEEE10hipError_tPvRmT1_PNSt15iterator_traitsIS13_E10value_typeET2_T3_PNS14_IS19_E10value_typeET4_jRbjT5_S1F_jjP12ihipStream_tbEUljE_ZNSN_ISO_Lb1ESR_SS_SU_SV_SZ_EES10_S11_S12_S13_S17_S18_S19_S1C_S1D_jS1E_jS1F_S1F_jjS1H_bEUljE0_EEES10_S11_S12_S19_S1D_S1F_T6_T7_T9_mT8_S1H_bDpT10_ENKUlT_T0_E_clISt17integral_constantIbLb1EES1U_IbLb0EEEEDaS1Q_S1R_EUlS1Q_E_NS1_11comp_targetILNS1_3genE9ELNS1_11target_archE1100ELNS1_3gpuE3ELNS1_3repE0EEENS1_30default_config_static_selectorELNS0_4arch9wavefront6targetE1EEEvS13_
	.p2align	8
	.type	_ZN7rocprim17ROCPRIM_400000_NS6detail17trampoline_kernelINS0_13select_configILj256ELj13ELNS0_17block_load_methodE3ELS4_3ELS4_3ELNS0_20block_scan_algorithmE0ELj4294967295EEENS1_25partition_config_selectorILNS1_17partition_subalgoE4EjNS0_10empty_typeEbEEZZNS1_14partition_implILS8_4ELb0ES6_15HIP_vector_typeIjLj2EENS0_17counting_iteratorIjlEEPS9_SG_NS0_5tupleIJPjSI_NS0_16reverse_iteratorISI_EEEEENSH_IJSG_SG_SG_EEES9_SI_JZNS1_25segmented_radix_sort_implINS0_14default_configELb1EPK12hip_bfloat16PSP_PKlPlN2at6native12_GLOBAL__N_18offset_tEEE10hipError_tPvRmT1_PNSt15iterator_traitsIS13_E10value_typeET2_T3_PNS14_IS19_E10value_typeET4_jRbjT5_S1F_jjP12ihipStream_tbEUljE_ZNSN_ISO_Lb1ESR_SS_SU_SV_SZ_EES10_S11_S12_S13_S17_S18_S19_S1C_S1D_jS1E_jS1F_S1F_jjS1H_bEUljE0_EEES10_S11_S12_S19_S1D_S1F_T6_T7_T9_mT8_S1H_bDpT10_ENKUlT_T0_E_clISt17integral_constantIbLb1EES1U_IbLb0EEEEDaS1Q_S1R_EUlS1Q_E_NS1_11comp_targetILNS1_3genE9ELNS1_11target_archE1100ELNS1_3gpuE3ELNS1_3repE0EEENS1_30default_config_static_selectorELNS0_4arch9wavefront6targetE1EEEvS13_,@function
_ZN7rocprim17ROCPRIM_400000_NS6detail17trampoline_kernelINS0_13select_configILj256ELj13ELNS0_17block_load_methodE3ELS4_3ELS4_3ELNS0_20block_scan_algorithmE0ELj4294967295EEENS1_25partition_config_selectorILNS1_17partition_subalgoE4EjNS0_10empty_typeEbEEZZNS1_14partition_implILS8_4ELb0ES6_15HIP_vector_typeIjLj2EENS0_17counting_iteratorIjlEEPS9_SG_NS0_5tupleIJPjSI_NS0_16reverse_iteratorISI_EEEEENSH_IJSG_SG_SG_EEES9_SI_JZNS1_25segmented_radix_sort_implINS0_14default_configELb1EPK12hip_bfloat16PSP_PKlPlN2at6native12_GLOBAL__N_18offset_tEEE10hipError_tPvRmT1_PNSt15iterator_traitsIS13_E10value_typeET2_T3_PNS14_IS19_E10value_typeET4_jRbjT5_S1F_jjP12ihipStream_tbEUljE_ZNSN_ISO_Lb1ESR_SS_SU_SV_SZ_EES10_S11_S12_S13_S17_S18_S19_S1C_S1D_jS1E_jS1F_S1F_jjS1H_bEUljE0_EEES10_S11_S12_S19_S1D_S1F_T6_T7_T9_mT8_S1H_bDpT10_ENKUlT_T0_E_clISt17integral_constantIbLb1EES1U_IbLb0EEEEDaS1Q_S1R_EUlS1Q_E_NS1_11comp_targetILNS1_3genE9ELNS1_11target_archE1100ELNS1_3gpuE3ELNS1_3repE0EEENS1_30default_config_static_selectorELNS0_4arch9wavefront6targetE1EEEvS13_: ; @_ZN7rocprim17ROCPRIM_400000_NS6detail17trampoline_kernelINS0_13select_configILj256ELj13ELNS0_17block_load_methodE3ELS4_3ELS4_3ELNS0_20block_scan_algorithmE0ELj4294967295EEENS1_25partition_config_selectorILNS1_17partition_subalgoE4EjNS0_10empty_typeEbEEZZNS1_14partition_implILS8_4ELb0ES6_15HIP_vector_typeIjLj2EENS0_17counting_iteratorIjlEEPS9_SG_NS0_5tupleIJPjSI_NS0_16reverse_iteratorISI_EEEEENSH_IJSG_SG_SG_EEES9_SI_JZNS1_25segmented_radix_sort_implINS0_14default_configELb1EPK12hip_bfloat16PSP_PKlPlN2at6native12_GLOBAL__N_18offset_tEEE10hipError_tPvRmT1_PNSt15iterator_traitsIS13_E10value_typeET2_T3_PNS14_IS19_E10value_typeET4_jRbjT5_S1F_jjP12ihipStream_tbEUljE_ZNSN_ISO_Lb1ESR_SS_SU_SV_SZ_EES10_S11_S12_S13_S17_S18_S19_S1C_S1D_jS1E_jS1F_S1F_jjS1H_bEUljE0_EEES10_S11_S12_S19_S1D_S1F_T6_T7_T9_mT8_S1H_bDpT10_ENKUlT_T0_E_clISt17integral_constantIbLb1EES1U_IbLb0EEEEDaS1Q_S1R_EUlS1Q_E_NS1_11comp_targetILNS1_3genE9ELNS1_11target_archE1100ELNS1_3gpuE3ELNS1_3repE0EEENS1_30default_config_static_selectorELNS0_4arch9wavefront6targetE1EEEvS13_
; %bb.0:
	.section	.rodata,"a",@progbits
	.p2align	6, 0x0
	.amdhsa_kernel _ZN7rocprim17ROCPRIM_400000_NS6detail17trampoline_kernelINS0_13select_configILj256ELj13ELNS0_17block_load_methodE3ELS4_3ELS4_3ELNS0_20block_scan_algorithmE0ELj4294967295EEENS1_25partition_config_selectorILNS1_17partition_subalgoE4EjNS0_10empty_typeEbEEZZNS1_14partition_implILS8_4ELb0ES6_15HIP_vector_typeIjLj2EENS0_17counting_iteratorIjlEEPS9_SG_NS0_5tupleIJPjSI_NS0_16reverse_iteratorISI_EEEEENSH_IJSG_SG_SG_EEES9_SI_JZNS1_25segmented_radix_sort_implINS0_14default_configELb1EPK12hip_bfloat16PSP_PKlPlN2at6native12_GLOBAL__N_18offset_tEEE10hipError_tPvRmT1_PNSt15iterator_traitsIS13_E10value_typeET2_T3_PNS14_IS19_E10value_typeET4_jRbjT5_S1F_jjP12ihipStream_tbEUljE_ZNSN_ISO_Lb1ESR_SS_SU_SV_SZ_EES10_S11_S12_S13_S17_S18_S19_S1C_S1D_jS1E_jS1F_S1F_jjS1H_bEUljE0_EEES10_S11_S12_S19_S1D_S1F_T6_T7_T9_mT8_S1H_bDpT10_ENKUlT_T0_E_clISt17integral_constantIbLb1EES1U_IbLb0EEEEDaS1Q_S1R_EUlS1Q_E_NS1_11comp_targetILNS1_3genE9ELNS1_11target_archE1100ELNS1_3gpuE3ELNS1_3repE0EEENS1_30default_config_static_selectorELNS0_4arch9wavefront6targetE1EEEvS13_
		.amdhsa_group_segment_fixed_size 0
		.amdhsa_private_segment_fixed_size 0
		.amdhsa_kernarg_size 176
		.amdhsa_user_sgpr_count 6
		.amdhsa_user_sgpr_private_segment_buffer 1
		.amdhsa_user_sgpr_dispatch_ptr 0
		.amdhsa_user_sgpr_queue_ptr 0
		.amdhsa_user_sgpr_kernarg_segment_ptr 1
		.amdhsa_user_sgpr_dispatch_id 0
		.amdhsa_user_sgpr_flat_scratch_init 0
		.amdhsa_user_sgpr_kernarg_preload_length 0
		.amdhsa_user_sgpr_kernarg_preload_offset 0
		.amdhsa_user_sgpr_private_segment_size 0
		.amdhsa_uses_dynamic_stack 0
		.amdhsa_system_sgpr_private_segment_wavefront_offset 0
		.amdhsa_system_sgpr_workgroup_id_x 1
		.amdhsa_system_sgpr_workgroup_id_y 0
		.amdhsa_system_sgpr_workgroup_id_z 0
		.amdhsa_system_sgpr_workgroup_info 0
		.amdhsa_system_vgpr_workitem_id 0
		.amdhsa_next_free_vgpr 1
		.amdhsa_next_free_sgpr 0
		.amdhsa_accum_offset 4
		.amdhsa_reserve_vcc 0
		.amdhsa_reserve_flat_scratch 0
		.amdhsa_float_round_mode_32 0
		.amdhsa_float_round_mode_16_64 0
		.amdhsa_float_denorm_mode_32 3
		.amdhsa_float_denorm_mode_16_64 3
		.amdhsa_dx10_clamp 1
		.amdhsa_ieee_mode 1
		.amdhsa_fp16_overflow 0
		.amdhsa_tg_split 0
		.amdhsa_exception_fp_ieee_invalid_op 0
		.amdhsa_exception_fp_denorm_src 0
		.amdhsa_exception_fp_ieee_div_zero 0
		.amdhsa_exception_fp_ieee_overflow 0
		.amdhsa_exception_fp_ieee_underflow 0
		.amdhsa_exception_fp_ieee_inexact 0
		.amdhsa_exception_int_div_zero 0
	.end_amdhsa_kernel
	.section	.text._ZN7rocprim17ROCPRIM_400000_NS6detail17trampoline_kernelINS0_13select_configILj256ELj13ELNS0_17block_load_methodE3ELS4_3ELS4_3ELNS0_20block_scan_algorithmE0ELj4294967295EEENS1_25partition_config_selectorILNS1_17partition_subalgoE4EjNS0_10empty_typeEbEEZZNS1_14partition_implILS8_4ELb0ES6_15HIP_vector_typeIjLj2EENS0_17counting_iteratorIjlEEPS9_SG_NS0_5tupleIJPjSI_NS0_16reverse_iteratorISI_EEEEENSH_IJSG_SG_SG_EEES9_SI_JZNS1_25segmented_radix_sort_implINS0_14default_configELb1EPK12hip_bfloat16PSP_PKlPlN2at6native12_GLOBAL__N_18offset_tEEE10hipError_tPvRmT1_PNSt15iterator_traitsIS13_E10value_typeET2_T3_PNS14_IS19_E10value_typeET4_jRbjT5_S1F_jjP12ihipStream_tbEUljE_ZNSN_ISO_Lb1ESR_SS_SU_SV_SZ_EES10_S11_S12_S13_S17_S18_S19_S1C_S1D_jS1E_jS1F_S1F_jjS1H_bEUljE0_EEES10_S11_S12_S19_S1D_S1F_T6_T7_T9_mT8_S1H_bDpT10_ENKUlT_T0_E_clISt17integral_constantIbLb1EES1U_IbLb0EEEEDaS1Q_S1R_EUlS1Q_E_NS1_11comp_targetILNS1_3genE9ELNS1_11target_archE1100ELNS1_3gpuE3ELNS1_3repE0EEENS1_30default_config_static_selectorELNS0_4arch9wavefront6targetE1EEEvS13_,"axG",@progbits,_ZN7rocprim17ROCPRIM_400000_NS6detail17trampoline_kernelINS0_13select_configILj256ELj13ELNS0_17block_load_methodE3ELS4_3ELS4_3ELNS0_20block_scan_algorithmE0ELj4294967295EEENS1_25partition_config_selectorILNS1_17partition_subalgoE4EjNS0_10empty_typeEbEEZZNS1_14partition_implILS8_4ELb0ES6_15HIP_vector_typeIjLj2EENS0_17counting_iteratorIjlEEPS9_SG_NS0_5tupleIJPjSI_NS0_16reverse_iteratorISI_EEEEENSH_IJSG_SG_SG_EEES9_SI_JZNS1_25segmented_radix_sort_implINS0_14default_configELb1EPK12hip_bfloat16PSP_PKlPlN2at6native12_GLOBAL__N_18offset_tEEE10hipError_tPvRmT1_PNSt15iterator_traitsIS13_E10value_typeET2_T3_PNS14_IS19_E10value_typeET4_jRbjT5_S1F_jjP12ihipStream_tbEUljE_ZNSN_ISO_Lb1ESR_SS_SU_SV_SZ_EES10_S11_S12_S13_S17_S18_S19_S1C_S1D_jS1E_jS1F_S1F_jjS1H_bEUljE0_EEES10_S11_S12_S19_S1D_S1F_T6_T7_T9_mT8_S1H_bDpT10_ENKUlT_T0_E_clISt17integral_constantIbLb1EES1U_IbLb0EEEEDaS1Q_S1R_EUlS1Q_E_NS1_11comp_targetILNS1_3genE9ELNS1_11target_archE1100ELNS1_3gpuE3ELNS1_3repE0EEENS1_30default_config_static_selectorELNS0_4arch9wavefront6targetE1EEEvS13_,comdat
.Lfunc_end1902:
	.size	_ZN7rocprim17ROCPRIM_400000_NS6detail17trampoline_kernelINS0_13select_configILj256ELj13ELNS0_17block_load_methodE3ELS4_3ELS4_3ELNS0_20block_scan_algorithmE0ELj4294967295EEENS1_25partition_config_selectorILNS1_17partition_subalgoE4EjNS0_10empty_typeEbEEZZNS1_14partition_implILS8_4ELb0ES6_15HIP_vector_typeIjLj2EENS0_17counting_iteratorIjlEEPS9_SG_NS0_5tupleIJPjSI_NS0_16reverse_iteratorISI_EEEEENSH_IJSG_SG_SG_EEES9_SI_JZNS1_25segmented_radix_sort_implINS0_14default_configELb1EPK12hip_bfloat16PSP_PKlPlN2at6native12_GLOBAL__N_18offset_tEEE10hipError_tPvRmT1_PNSt15iterator_traitsIS13_E10value_typeET2_T3_PNS14_IS19_E10value_typeET4_jRbjT5_S1F_jjP12ihipStream_tbEUljE_ZNSN_ISO_Lb1ESR_SS_SU_SV_SZ_EES10_S11_S12_S13_S17_S18_S19_S1C_S1D_jS1E_jS1F_S1F_jjS1H_bEUljE0_EEES10_S11_S12_S19_S1D_S1F_T6_T7_T9_mT8_S1H_bDpT10_ENKUlT_T0_E_clISt17integral_constantIbLb1EES1U_IbLb0EEEEDaS1Q_S1R_EUlS1Q_E_NS1_11comp_targetILNS1_3genE9ELNS1_11target_archE1100ELNS1_3gpuE3ELNS1_3repE0EEENS1_30default_config_static_selectorELNS0_4arch9wavefront6targetE1EEEvS13_, .Lfunc_end1902-_ZN7rocprim17ROCPRIM_400000_NS6detail17trampoline_kernelINS0_13select_configILj256ELj13ELNS0_17block_load_methodE3ELS4_3ELS4_3ELNS0_20block_scan_algorithmE0ELj4294967295EEENS1_25partition_config_selectorILNS1_17partition_subalgoE4EjNS0_10empty_typeEbEEZZNS1_14partition_implILS8_4ELb0ES6_15HIP_vector_typeIjLj2EENS0_17counting_iteratorIjlEEPS9_SG_NS0_5tupleIJPjSI_NS0_16reverse_iteratorISI_EEEEENSH_IJSG_SG_SG_EEES9_SI_JZNS1_25segmented_radix_sort_implINS0_14default_configELb1EPK12hip_bfloat16PSP_PKlPlN2at6native12_GLOBAL__N_18offset_tEEE10hipError_tPvRmT1_PNSt15iterator_traitsIS13_E10value_typeET2_T3_PNS14_IS19_E10value_typeET4_jRbjT5_S1F_jjP12ihipStream_tbEUljE_ZNSN_ISO_Lb1ESR_SS_SU_SV_SZ_EES10_S11_S12_S13_S17_S18_S19_S1C_S1D_jS1E_jS1F_S1F_jjS1H_bEUljE0_EEES10_S11_S12_S19_S1D_S1F_T6_T7_T9_mT8_S1H_bDpT10_ENKUlT_T0_E_clISt17integral_constantIbLb1EES1U_IbLb0EEEEDaS1Q_S1R_EUlS1Q_E_NS1_11comp_targetILNS1_3genE9ELNS1_11target_archE1100ELNS1_3gpuE3ELNS1_3repE0EEENS1_30default_config_static_selectorELNS0_4arch9wavefront6targetE1EEEvS13_
                                        ; -- End function
	.section	.AMDGPU.csdata,"",@progbits
; Kernel info:
; codeLenInByte = 0
; NumSgprs: 4
; NumVgprs: 0
; NumAgprs: 0
; TotalNumVgprs: 0
; ScratchSize: 0
; MemoryBound: 0
; FloatMode: 240
; IeeeMode: 1
; LDSByteSize: 0 bytes/workgroup (compile time only)
; SGPRBlocks: 0
; VGPRBlocks: 0
; NumSGPRsForWavesPerEU: 4
; NumVGPRsForWavesPerEU: 1
; AccumOffset: 4
; Occupancy: 8
; WaveLimiterHint : 0
; COMPUTE_PGM_RSRC2:SCRATCH_EN: 0
; COMPUTE_PGM_RSRC2:USER_SGPR: 6
; COMPUTE_PGM_RSRC2:TRAP_HANDLER: 0
; COMPUTE_PGM_RSRC2:TGID_X_EN: 1
; COMPUTE_PGM_RSRC2:TGID_Y_EN: 0
; COMPUTE_PGM_RSRC2:TGID_Z_EN: 0
; COMPUTE_PGM_RSRC2:TIDIG_COMP_CNT: 0
; COMPUTE_PGM_RSRC3_GFX90A:ACCUM_OFFSET: 0
; COMPUTE_PGM_RSRC3_GFX90A:TG_SPLIT: 0
	.section	.text._ZN7rocprim17ROCPRIM_400000_NS6detail17trampoline_kernelINS0_13select_configILj256ELj13ELNS0_17block_load_methodE3ELS4_3ELS4_3ELNS0_20block_scan_algorithmE0ELj4294967295EEENS1_25partition_config_selectorILNS1_17partition_subalgoE4EjNS0_10empty_typeEbEEZZNS1_14partition_implILS8_4ELb0ES6_15HIP_vector_typeIjLj2EENS0_17counting_iteratorIjlEEPS9_SG_NS0_5tupleIJPjSI_NS0_16reverse_iteratorISI_EEEEENSH_IJSG_SG_SG_EEES9_SI_JZNS1_25segmented_radix_sort_implINS0_14default_configELb1EPK12hip_bfloat16PSP_PKlPlN2at6native12_GLOBAL__N_18offset_tEEE10hipError_tPvRmT1_PNSt15iterator_traitsIS13_E10value_typeET2_T3_PNS14_IS19_E10value_typeET4_jRbjT5_S1F_jjP12ihipStream_tbEUljE_ZNSN_ISO_Lb1ESR_SS_SU_SV_SZ_EES10_S11_S12_S13_S17_S18_S19_S1C_S1D_jS1E_jS1F_S1F_jjS1H_bEUljE0_EEES10_S11_S12_S19_S1D_S1F_T6_T7_T9_mT8_S1H_bDpT10_ENKUlT_T0_E_clISt17integral_constantIbLb1EES1U_IbLb0EEEEDaS1Q_S1R_EUlS1Q_E_NS1_11comp_targetILNS1_3genE8ELNS1_11target_archE1030ELNS1_3gpuE2ELNS1_3repE0EEENS1_30default_config_static_selectorELNS0_4arch9wavefront6targetE1EEEvS13_,"axG",@progbits,_ZN7rocprim17ROCPRIM_400000_NS6detail17trampoline_kernelINS0_13select_configILj256ELj13ELNS0_17block_load_methodE3ELS4_3ELS4_3ELNS0_20block_scan_algorithmE0ELj4294967295EEENS1_25partition_config_selectorILNS1_17partition_subalgoE4EjNS0_10empty_typeEbEEZZNS1_14partition_implILS8_4ELb0ES6_15HIP_vector_typeIjLj2EENS0_17counting_iteratorIjlEEPS9_SG_NS0_5tupleIJPjSI_NS0_16reverse_iteratorISI_EEEEENSH_IJSG_SG_SG_EEES9_SI_JZNS1_25segmented_radix_sort_implINS0_14default_configELb1EPK12hip_bfloat16PSP_PKlPlN2at6native12_GLOBAL__N_18offset_tEEE10hipError_tPvRmT1_PNSt15iterator_traitsIS13_E10value_typeET2_T3_PNS14_IS19_E10value_typeET4_jRbjT5_S1F_jjP12ihipStream_tbEUljE_ZNSN_ISO_Lb1ESR_SS_SU_SV_SZ_EES10_S11_S12_S13_S17_S18_S19_S1C_S1D_jS1E_jS1F_S1F_jjS1H_bEUljE0_EEES10_S11_S12_S19_S1D_S1F_T6_T7_T9_mT8_S1H_bDpT10_ENKUlT_T0_E_clISt17integral_constantIbLb1EES1U_IbLb0EEEEDaS1Q_S1R_EUlS1Q_E_NS1_11comp_targetILNS1_3genE8ELNS1_11target_archE1030ELNS1_3gpuE2ELNS1_3repE0EEENS1_30default_config_static_selectorELNS0_4arch9wavefront6targetE1EEEvS13_,comdat
	.globl	_ZN7rocprim17ROCPRIM_400000_NS6detail17trampoline_kernelINS0_13select_configILj256ELj13ELNS0_17block_load_methodE3ELS4_3ELS4_3ELNS0_20block_scan_algorithmE0ELj4294967295EEENS1_25partition_config_selectorILNS1_17partition_subalgoE4EjNS0_10empty_typeEbEEZZNS1_14partition_implILS8_4ELb0ES6_15HIP_vector_typeIjLj2EENS0_17counting_iteratorIjlEEPS9_SG_NS0_5tupleIJPjSI_NS0_16reverse_iteratorISI_EEEEENSH_IJSG_SG_SG_EEES9_SI_JZNS1_25segmented_radix_sort_implINS0_14default_configELb1EPK12hip_bfloat16PSP_PKlPlN2at6native12_GLOBAL__N_18offset_tEEE10hipError_tPvRmT1_PNSt15iterator_traitsIS13_E10value_typeET2_T3_PNS14_IS19_E10value_typeET4_jRbjT5_S1F_jjP12ihipStream_tbEUljE_ZNSN_ISO_Lb1ESR_SS_SU_SV_SZ_EES10_S11_S12_S13_S17_S18_S19_S1C_S1D_jS1E_jS1F_S1F_jjS1H_bEUljE0_EEES10_S11_S12_S19_S1D_S1F_T6_T7_T9_mT8_S1H_bDpT10_ENKUlT_T0_E_clISt17integral_constantIbLb1EES1U_IbLb0EEEEDaS1Q_S1R_EUlS1Q_E_NS1_11comp_targetILNS1_3genE8ELNS1_11target_archE1030ELNS1_3gpuE2ELNS1_3repE0EEENS1_30default_config_static_selectorELNS0_4arch9wavefront6targetE1EEEvS13_ ; -- Begin function _ZN7rocprim17ROCPRIM_400000_NS6detail17trampoline_kernelINS0_13select_configILj256ELj13ELNS0_17block_load_methodE3ELS4_3ELS4_3ELNS0_20block_scan_algorithmE0ELj4294967295EEENS1_25partition_config_selectorILNS1_17partition_subalgoE4EjNS0_10empty_typeEbEEZZNS1_14partition_implILS8_4ELb0ES6_15HIP_vector_typeIjLj2EENS0_17counting_iteratorIjlEEPS9_SG_NS0_5tupleIJPjSI_NS0_16reverse_iteratorISI_EEEEENSH_IJSG_SG_SG_EEES9_SI_JZNS1_25segmented_radix_sort_implINS0_14default_configELb1EPK12hip_bfloat16PSP_PKlPlN2at6native12_GLOBAL__N_18offset_tEEE10hipError_tPvRmT1_PNSt15iterator_traitsIS13_E10value_typeET2_T3_PNS14_IS19_E10value_typeET4_jRbjT5_S1F_jjP12ihipStream_tbEUljE_ZNSN_ISO_Lb1ESR_SS_SU_SV_SZ_EES10_S11_S12_S13_S17_S18_S19_S1C_S1D_jS1E_jS1F_S1F_jjS1H_bEUljE0_EEES10_S11_S12_S19_S1D_S1F_T6_T7_T9_mT8_S1H_bDpT10_ENKUlT_T0_E_clISt17integral_constantIbLb1EES1U_IbLb0EEEEDaS1Q_S1R_EUlS1Q_E_NS1_11comp_targetILNS1_3genE8ELNS1_11target_archE1030ELNS1_3gpuE2ELNS1_3repE0EEENS1_30default_config_static_selectorELNS0_4arch9wavefront6targetE1EEEvS13_
	.p2align	8
	.type	_ZN7rocprim17ROCPRIM_400000_NS6detail17trampoline_kernelINS0_13select_configILj256ELj13ELNS0_17block_load_methodE3ELS4_3ELS4_3ELNS0_20block_scan_algorithmE0ELj4294967295EEENS1_25partition_config_selectorILNS1_17partition_subalgoE4EjNS0_10empty_typeEbEEZZNS1_14partition_implILS8_4ELb0ES6_15HIP_vector_typeIjLj2EENS0_17counting_iteratorIjlEEPS9_SG_NS0_5tupleIJPjSI_NS0_16reverse_iteratorISI_EEEEENSH_IJSG_SG_SG_EEES9_SI_JZNS1_25segmented_radix_sort_implINS0_14default_configELb1EPK12hip_bfloat16PSP_PKlPlN2at6native12_GLOBAL__N_18offset_tEEE10hipError_tPvRmT1_PNSt15iterator_traitsIS13_E10value_typeET2_T3_PNS14_IS19_E10value_typeET4_jRbjT5_S1F_jjP12ihipStream_tbEUljE_ZNSN_ISO_Lb1ESR_SS_SU_SV_SZ_EES10_S11_S12_S13_S17_S18_S19_S1C_S1D_jS1E_jS1F_S1F_jjS1H_bEUljE0_EEES10_S11_S12_S19_S1D_S1F_T6_T7_T9_mT8_S1H_bDpT10_ENKUlT_T0_E_clISt17integral_constantIbLb1EES1U_IbLb0EEEEDaS1Q_S1R_EUlS1Q_E_NS1_11comp_targetILNS1_3genE8ELNS1_11target_archE1030ELNS1_3gpuE2ELNS1_3repE0EEENS1_30default_config_static_selectorELNS0_4arch9wavefront6targetE1EEEvS13_,@function
_ZN7rocprim17ROCPRIM_400000_NS6detail17trampoline_kernelINS0_13select_configILj256ELj13ELNS0_17block_load_methodE3ELS4_3ELS4_3ELNS0_20block_scan_algorithmE0ELj4294967295EEENS1_25partition_config_selectorILNS1_17partition_subalgoE4EjNS0_10empty_typeEbEEZZNS1_14partition_implILS8_4ELb0ES6_15HIP_vector_typeIjLj2EENS0_17counting_iteratorIjlEEPS9_SG_NS0_5tupleIJPjSI_NS0_16reverse_iteratorISI_EEEEENSH_IJSG_SG_SG_EEES9_SI_JZNS1_25segmented_radix_sort_implINS0_14default_configELb1EPK12hip_bfloat16PSP_PKlPlN2at6native12_GLOBAL__N_18offset_tEEE10hipError_tPvRmT1_PNSt15iterator_traitsIS13_E10value_typeET2_T3_PNS14_IS19_E10value_typeET4_jRbjT5_S1F_jjP12ihipStream_tbEUljE_ZNSN_ISO_Lb1ESR_SS_SU_SV_SZ_EES10_S11_S12_S13_S17_S18_S19_S1C_S1D_jS1E_jS1F_S1F_jjS1H_bEUljE0_EEES10_S11_S12_S19_S1D_S1F_T6_T7_T9_mT8_S1H_bDpT10_ENKUlT_T0_E_clISt17integral_constantIbLb1EES1U_IbLb0EEEEDaS1Q_S1R_EUlS1Q_E_NS1_11comp_targetILNS1_3genE8ELNS1_11target_archE1030ELNS1_3gpuE2ELNS1_3repE0EEENS1_30default_config_static_selectorELNS0_4arch9wavefront6targetE1EEEvS13_: ; @_ZN7rocprim17ROCPRIM_400000_NS6detail17trampoline_kernelINS0_13select_configILj256ELj13ELNS0_17block_load_methodE3ELS4_3ELS4_3ELNS0_20block_scan_algorithmE0ELj4294967295EEENS1_25partition_config_selectorILNS1_17partition_subalgoE4EjNS0_10empty_typeEbEEZZNS1_14partition_implILS8_4ELb0ES6_15HIP_vector_typeIjLj2EENS0_17counting_iteratorIjlEEPS9_SG_NS0_5tupleIJPjSI_NS0_16reverse_iteratorISI_EEEEENSH_IJSG_SG_SG_EEES9_SI_JZNS1_25segmented_radix_sort_implINS0_14default_configELb1EPK12hip_bfloat16PSP_PKlPlN2at6native12_GLOBAL__N_18offset_tEEE10hipError_tPvRmT1_PNSt15iterator_traitsIS13_E10value_typeET2_T3_PNS14_IS19_E10value_typeET4_jRbjT5_S1F_jjP12ihipStream_tbEUljE_ZNSN_ISO_Lb1ESR_SS_SU_SV_SZ_EES10_S11_S12_S13_S17_S18_S19_S1C_S1D_jS1E_jS1F_S1F_jjS1H_bEUljE0_EEES10_S11_S12_S19_S1D_S1F_T6_T7_T9_mT8_S1H_bDpT10_ENKUlT_T0_E_clISt17integral_constantIbLb1EES1U_IbLb0EEEEDaS1Q_S1R_EUlS1Q_E_NS1_11comp_targetILNS1_3genE8ELNS1_11target_archE1030ELNS1_3gpuE2ELNS1_3repE0EEENS1_30default_config_static_selectorELNS0_4arch9wavefront6targetE1EEEvS13_
; %bb.0:
	.section	.rodata,"a",@progbits
	.p2align	6, 0x0
	.amdhsa_kernel _ZN7rocprim17ROCPRIM_400000_NS6detail17trampoline_kernelINS0_13select_configILj256ELj13ELNS0_17block_load_methodE3ELS4_3ELS4_3ELNS0_20block_scan_algorithmE0ELj4294967295EEENS1_25partition_config_selectorILNS1_17partition_subalgoE4EjNS0_10empty_typeEbEEZZNS1_14partition_implILS8_4ELb0ES6_15HIP_vector_typeIjLj2EENS0_17counting_iteratorIjlEEPS9_SG_NS0_5tupleIJPjSI_NS0_16reverse_iteratorISI_EEEEENSH_IJSG_SG_SG_EEES9_SI_JZNS1_25segmented_radix_sort_implINS0_14default_configELb1EPK12hip_bfloat16PSP_PKlPlN2at6native12_GLOBAL__N_18offset_tEEE10hipError_tPvRmT1_PNSt15iterator_traitsIS13_E10value_typeET2_T3_PNS14_IS19_E10value_typeET4_jRbjT5_S1F_jjP12ihipStream_tbEUljE_ZNSN_ISO_Lb1ESR_SS_SU_SV_SZ_EES10_S11_S12_S13_S17_S18_S19_S1C_S1D_jS1E_jS1F_S1F_jjS1H_bEUljE0_EEES10_S11_S12_S19_S1D_S1F_T6_T7_T9_mT8_S1H_bDpT10_ENKUlT_T0_E_clISt17integral_constantIbLb1EES1U_IbLb0EEEEDaS1Q_S1R_EUlS1Q_E_NS1_11comp_targetILNS1_3genE8ELNS1_11target_archE1030ELNS1_3gpuE2ELNS1_3repE0EEENS1_30default_config_static_selectorELNS0_4arch9wavefront6targetE1EEEvS13_
		.amdhsa_group_segment_fixed_size 0
		.amdhsa_private_segment_fixed_size 0
		.amdhsa_kernarg_size 176
		.amdhsa_user_sgpr_count 6
		.amdhsa_user_sgpr_private_segment_buffer 1
		.amdhsa_user_sgpr_dispatch_ptr 0
		.amdhsa_user_sgpr_queue_ptr 0
		.amdhsa_user_sgpr_kernarg_segment_ptr 1
		.amdhsa_user_sgpr_dispatch_id 0
		.amdhsa_user_sgpr_flat_scratch_init 0
		.amdhsa_user_sgpr_kernarg_preload_length 0
		.amdhsa_user_sgpr_kernarg_preload_offset 0
		.amdhsa_user_sgpr_private_segment_size 0
		.amdhsa_uses_dynamic_stack 0
		.amdhsa_system_sgpr_private_segment_wavefront_offset 0
		.amdhsa_system_sgpr_workgroup_id_x 1
		.amdhsa_system_sgpr_workgroup_id_y 0
		.amdhsa_system_sgpr_workgroup_id_z 0
		.amdhsa_system_sgpr_workgroup_info 0
		.amdhsa_system_vgpr_workitem_id 0
		.amdhsa_next_free_vgpr 1
		.amdhsa_next_free_sgpr 0
		.amdhsa_accum_offset 4
		.amdhsa_reserve_vcc 0
		.amdhsa_reserve_flat_scratch 0
		.amdhsa_float_round_mode_32 0
		.amdhsa_float_round_mode_16_64 0
		.amdhsa_float_denorm_mode_32 3
		.amdhsa_float_denorm_mode_16_64 3
		.amdhsa_dx10_clamp 1
		.amdhsa_ieee_mode 1
		.amdhsa_fp16_overflow 0
		.amdhsa_tg_split 0
		.amdhsa_exception_fp_ieee_invalid_op 0
		.amdhsa_exception_fp_denorm_src 0
		.amdhsa_exception_fp_ieee_div_zero 0
		.amdhsa_exception_fp_ieee_overflow 0
		.amdhsa_exception_fp_ieee_underflow 0
		.amdhsa_exception_fp_ieee_inexact 0
		.amdhsa_exception_int_div_zero 0
	.end_amdhsa_kernel
	.section	.text._ZN7rocprim17ROCPRIM_400000_NS6detail17trampoline_kernelINS0_13select_configILj256ELj13ELNS0_17block_load_methodE3ELS4_3ELS4_3ELNS0_20block_scan_algorithmE0ELj4294967295EEENS1_25partition_config_selectorILNS1_17partition_subalgoE4EjNS0_10empty_typeEbEEZZNS1_14partition_implILS8_4ELb0ES6_15HIP_vector_typeIjLj2EENS0_17counting_iteratorIjlEEPS9_SG_NS0_5tupleIJPjSI_NS0_16reverse_iteratorISI_EEEEENSH_IJSG_SG_SG_EEES9_SI_JZNS1_25segmented_radix_sort_implINS0_14default_configELb1EPK12hip_bfloat16PSP_PKlPlN2at6native12_GLOBAL__N_18offset_tEEE10hipError_tPvRmT1_PNSt15iterator_traitsIS13_E10value_typeET2_T3_PNS14_IS19_E10value_typeET4_jRbjT5_S1F_jjP12ihipStream_tbEUljE_ZNSN_ISO_Lb1ESR_SS_SU_SV_SZ_EES10_S11_S12_S13_S17_S18_S19_S1C_S1D_jS1E_jS1F_S1F_jjS1H_bEUljE0_EEES10_S11_S12_S19_S1D_S1F_T6_T7_T9_mT8_S1H_bDpT10_ENKUlT_T0_E_clISt17integral_constantIbLb1EES1U_IbLb0EEEEDaS1Q_S1R_EUlS1Q_E_NS1_11comp_targetILNS1_3genE8ELNS1_11target_archE1030ELNS1_3gpuE2ELNS1_3repE0EEENS1_30default_config_static_selectorELNS0_4arch9wavefront6targetE1EEEvS13_,"axG",@progbits,_ZN7rocprim17ROCPRIM_400000_NS6detail17trampoline_kernelINS0_13select_configILj256ELj13ELNS0_17block_load_methodE3ELS4_3ELS4_3ELNS0_20block_scan_algorithmE0ELj4294967295EEENS1_25partition_config_selectorILNS1_17partition_subalgoE4EjNS0_10empty_typeEbEEZZNS1_14partition_implILS8_4ELb0ES6_15HIP_vector_typeIjLj2EENS0_17counting_iteratorIjlEEPS9_SG_NS0_5tupleIJPjSI_NS0_16reverse_iteratorISI_EEEEENSH_IJSG_SG_SG_EEES9_SI_JZNS1_25segmented_radix_sort_implINS0_14default_configELb1EPK12hip_bfloat16PSP_PKlPlN2at6native12_GLOBAL__N_18offset_tEEE10hipError_tPvRmT1_PNSt15iterator_traitsIS13_E10value_typeET2_T3_PNS14_IS19_E10value_typeET4_jRbjT5_S1F_jjP12ihipStream_tbEUljE_ZNSN_ISO_Lb1ESR_SS_SU_SV_SZ_EES10_S11_S12_S13_S17_S18_S19_S1C_S1D_jS1E_jS1F_S1F_jjS1H_bEUljE0_EEES10_S11_S12_S19_S1D_S1F_T6_T7_T9_mT8_S1H_bDpT10_ENKUlT_T0_E_clISt17integral_constantIbLb1EES1U_IbLb0EEEEDaS1Q_S1R_EUlS1Q_E_NS1_11comp_targetILNS1_3genE8ELNS1_11target_archE1030ELNS1_3gpuE2ELNS1_3repE0EEENS1_30default_config_static_selectorELNS0_4arch9wavefront6targetE1EEEvS13_,comdat
.Lfunc_end1903:
	.size	_ZN7rocprim17ROCPRIM_400000_NS6detail17trampoline_kernelINS0_13select_configILj256ELj13ELNS0_17block_load_methodE3ELS4_3ELS4_3ELNS0_20block_scan_algorithmE0ELj4294967295EEENS1_25partition_config_selectorILNS1_17partition_subalgoE4EjNS0_10empty_typeEbEEZZNS1_14partition_implILS8_4ELb0ES6_15HIP_vector_typeIjLj2EENS0_17counting_iteratorIjlEEPS9_SG_NS0_5tupleIJPjSI_NS0_16reverse_iteratorISI_EEEEENSH_IJSG_SG_SG_EEES9_SI_JZNS1_25segmented_radix_sort_implINS0_14default_configELb1EPK12hip_bfloat16PSP_PKlPlN2at6native12_GLOBAL__N_18offset_tEEE10hipError_tPvRmT1_PNSt15iterator_traitsIS13_E10value_typeET2_T3_PNS14_IS19_E10value_typeET4_jRbjT5_S1F_jjP12ihipStream_tbEUljE_ZNSN_ISO_Lb1ESR_SS_SU_SV_SZ_EES10_S11_S12_S13_S17_S18_S19_S1C_S1D_jS1E_jS1F_S1F_jjS1H_bEUljE0_EEES10_S11_S12_S19_S1D_S1F_T6_T7_T9_mT8_S1H_bDpT10_ENKUlT_T0_E_clISt17integral_constantIbLb1EES1U_IbLb0EEEEDaS1Q_S1R_EUlS1Q_E_NS1_11comp_targetILNS1_3genE8ELNS1_11target_archE1030ELNS1_3gpuE2ELNS1_3repE0EEENS1_30default_config_static_selectorELNS0_4arch9wavefront6targetE1EEEvS13_, .Lfunc_end1903-_ZN7rocprim17ROCPRIM_400000_NS6detail17trampoline_kernelINS0_13select_configILj256ELj13ELNS0_17block_load_methodE3ELS4_3ELS4_3ELNS0_20block_scan_algorithmE0ELj4294967295EEENS1_25partition_config_selectorILNS1_17partition_subalgoE4EjNS0_10empty_typeEbEEZZNS1_14partition_implILS8_4ELb0ES6_15HIP_vector_typeIjLj2EENS0_17counting_iteratorIjlEEPS9_SG_NS0_5tupleIJPjSI_NS0_16reverse_iteratorISI_EEEEENSH_IJSG_SG_SG_EEES9_SI_JZNS1_25segmented_radix_sort_implINS0_14default_configELb1EPK12hip_bfloat16PSP_PKlPlN2at6native12_GLOBAL__N_18offset_tEEE10hipError_tPvRmT1_PNSt15iterator_traitsIS13_E10value_typeET2_T3_PNS14_IS19_E10value_typeET4_jRbjT5_S1F_jjP12ihipStream_tbEUljE_ZNSN_ISO_Lb1ESR_SS_SU_SV_SZ_EES10_S11_S12_S13_S17_S18_S19_S1C_S1D_jS1E_jS1F_S1F_jjS1H_bEUljE0_EEES10_S11_S12_S19_S1D_S1F_T6_T7_T9_mT8_S1H_bDpT10_ENKUlT_T0_E_clISt17integral_constantIbLb1EES1U_IbLb0EEEEDaS1Q_S1R_EUlS1Q_E_NS1_11comp_targetILNS1_3genE8ELNS1_11target_archE1030ELNS1_3gpuE2ELNS1_3repE0EEENS1_30default_config_static_selectorELNS0_4arch9wavefront6targetE1EEEvS13_
                                        ; -- End function
	.section	.AMDGPU.csdata,"",@progbits
; Kernel info:
; codeLenInByte = 0
; NumSgprs: 4
; NumVgprs: 0
; NumAgprs: 0
; TotalNumVgprs: 0
; ScratchSize: 0
; MemoryBound: 0
; FloatMode: 240
; IeeeMode: 1
; LDSByteSize: 0 bytes/workgroup (compile time only)
; SGPRBlocks: 0
; VGPRBlocks: 0
; NumSGPRsForWavesPerEU: 4
; NumVGPRsForWavesPerEU: 1
; AccumOffset: 4
; Occupancy: 8
; WaveLimiterHint : 0
; COMPUTE_PGM_RSRC2:SCRATCH_EN: 0
; COMPUTE_PGM_RSRC2:USER_SGPR: 6
; COMPUTE_PGM_RSRC2:TRAP_HANDLER: 0
; COMPUTE_PGM_RSRC2:TGID_X_EN: 1
; COMPUTE_PGM_RSRC2:TGID_Y_EN: 0
; COMPUTE_PGM_RSRC2:TGID_Z_EN: 0
; COMPUTE_PGM_RSRC2:TIDIG_COMP_CNT: 0
; COMPUTE_PGM_RSRC3_GFX90A:ACCUM_OFFSET: 0
; COMPUTE_PGM_RSRC3_GFX90A:TG_SPLIT: 0
	.section	.text._ZN7rocprim17ROCPRIM_400000_NS6detail17trampoline_kernelINS0_13select_configILj256ELj13ELNS0_17block_load_methodE3ELS4_3ELS4_3ELNS0_20block_scan_algorithmE0ELj4294967295EEENS1_25partition_config_selectorILNS1_17partition_subalgoE4EjNS0_10empty_typeEbEEZZNS1_14partition_implILS8_4ELb0ES6_15HIP_vector_typeIjLj2EENS0_17counting_iteratorIjlEEPS9_SG_NS0_5tupleIJPjSI_NS0_16reverse_iteratorISI_EEEEENSH_IJSG_SG_SG_EEES9_SI_JZNS1_25segmented_radix_sort_implINS0_14default_configELb1EPK12hip_bfloat16PSP_PKlPlN2at6native12_GLOBAL__N_18offset_tEEE10hipError_tPvRmT1_PNSt15iterator_traitsIS13_E10value_typeET2_T3_PNS14_IS19_E10value_typeET4_jRbjT5_S1F_jjP12ihipStream_tbEUljE_ZNSN_ISO_Lb1ESR_SS_SU_SV_SZ_EES10_S11_S12_S13_S17_S18_S19_S1C_S1D_jS1E_jS1F_S1F_jjS1H_bEUljE0_EEES10_S11_S12_S19_S1D_S1F_T6_T7_T9_mT8_S1H_bDpT10_ENKUlT_T0_E_clISt17integral_constantIbLb0EES1U_IbLb1EEEEDaS1Q_S1R_EUlS1Q_E_NS1_11comp_targetILNS1_3genE0ELNS1_11target_archE4294967295ELNS1_3gpuE0ELNS1_3repE0EEENS1_30default_config_static_selectorELNS0_4arch9wavefront6targetE1EEEvS13_,"axG",@progbits,_ZN7rocprim17ROCPRIM_400000_NS6detail17trampoline_kernelINS0_13select_configILj256ELj13ELNS0_17block_load_methodE3ELS4_3ELS4_3ELNS0_20block_scan_algorithmE0ELj4294967295EEENS1_25partition_config_selectorILNS1_17partition_subalgoE4EjNS0_10empty_typeEbEEZZNS1_14partition_implILS8_4ELb0ES6_15HIP_vector_typeIjLj2EENS0_17counting_iteratorIjlEEPS9_SG_NS0_5tupleIJPjSI_NS0_16reverse_iteratorISI_EEEEENSH_IJSG_SG_SG_EEES9_SI_JZNS1_25segmented_radix_sort_implINS0_14default_configELb1EPK12hip_bfloat16PSP_PKlPlN2at6native12_GLOBAL__N_18offset_tEEE10hipError_tPvRmT1_PNSt15iterator_traitsIS13_E10value_typeET2_T3_PNS14_IS19_E10value_typeET4_jRbjT5_S1F_jjP12ihipStream_tbEUljE_ZNSN_ISO_Lb1ESR_SS_SU_SV_SZ_EES10_S11_S12_S13_S17_S18_S19_S1C_S1D_jS1E_jS1F_S1F_jjS1H_bEUljE0_EEES10_S11_S12_S19_S1D_S1F_T6_T7_T9_mT8_S1H_bDpT10_ENKUlT_T0_E_clISt17integral_constantIbLb0EES1U_IbLb1EEEEDaS1Q_S1R_EUlS1Q_E_NS1_11comp_targetILNS1_3genE0ELNS1_11target_archE4294967295ELNS1_3gpuE0ELNS1_3repE0EEENS1_30default_config_static_selectorELNS0_4arch9wavefront6targetE1EEEvS13_,comdat
	.globl	_ZN7rocprim17ROCPRIM_400000_NS6detail17trampoline_kernelINS0_13select_configILj256ELj13ELNS0_17block_load_methodE3ELS4_3ELS4_3ELNS0_20block_scan_algorithmE0ELj4294967295EEENS1_25partition_config_selectorILNS1_17partition_subalgoE4EjNS0_10empty_typeEbEEZZNS1_14partition_implILS8_4ELb0ES6_15HIP_vector_typeIjLj2EENS0_17counting_iteratorIjlEEPS9_SG_NS0_5tupleIJPjSI_NS0_16reverse_iteratorISI_EEEEENSH_IJSG_SG_SG_EEES9_SI_JZNS1_25segmented_radix_sort_implINS0_14default_configELb1EPK12hip_bfloat16PSP_PKlPlN2at6native12_GLOBAL__N_18offset_tEEE10hipError_tPvRmT1_PNSt15iterator_traitsIS13_E10value_typeET2_T3_PNS14_IS19_E10value_typeET4_jRbjT5_S1F_jjP12ihipStream_tbEUljE_ZNSN_ISO_Lb1ESR_SS_SU_SV_SZ_EES10_S11_S12_S13_S17_S18_S19_S1C_S1D_jS1E_jS1F_S1F_jjS1H_bEUljE0_EEES10_S11_S12_S19_S1D_S1F_T6_T7_T9_mT8_S1H_bDpT10_ENKUlT_T0_E_clISt17integral_constantIbLb0EES1U_IbLb1EEEEDaS1Q_S1R_EUlS1Q_E_NS1_11comp_targetILNS1_3genE0ELNS1_11target_archE4294967295ELNS1_3gpuE0ELNS1_3repE0EEENS1_30default_config_static_selectorELNS0_4arch9wavefront6targetE1EEEvS13_ ; -- Begin function _ZN7rocprim17ROCPRIM_400000_NS6detail17trampoline_kernelINS0_13select_configILj256ELj13ELNS0_17block_load_methodE3ELS4_3ELS4_3ELNS0_20block_scan_algorithmE0ELj4294967295EEENS1_25partition_config_selectorILNS1_17partition_subalgoE4EjNS0_10empty_typeEbEEZZNS1_14partition_implILS8_4ELb0ES6_15HIP_vector_typeIjLj2EENS0_17counting_iteratorIjlEEPS9_SG_NS0_5tupleIJPjSI_NS0_16reverse_iteratorISI_EEEEENSH_IJSG_SG_SG_EEES9_SI_JZNS1_25segmented_radix_sort_implINS0_14default_configELb1EPK12hip_bfloat16PSP_PKlPlN2at6native12_GLOBAL__N_18offset_tEEE10hipError_tPvRmT1_PNSt15iterator_traitsIS13_E10value_typeET2_T3_PNS14_IS19_E10value_typeET4_jRbjT5_S1F_jjP12ihipStream_tbEUljE_ZNSN_ISO_Lb1ESR_SS_SU_SV_SZ_EES10_S11_S12_S13_S17_S18_S19_S1C_S1D_jS1E_jS1F_S1F_jjS1H_bEUljE0_EEES10_S11_S12_S19_S1D_S1F_T6_T7_T9_mT8_S1H_bDpT10_ENKUlT_T0_E_clISt17integral_constantIbLb0EES1U_IbLb1EEEEDaS1Q_S1R_EUlS1Q_E_NS1_11comp_targetILNS1_3genE0ELNS1_11target_archE4294967295ELNS1_3gpuE0ELNS1_3repE0EEENS1_30default_config_static_selectorELNS0_4arch9wavefront6targetE1EEEvS13_
	.p2align	8
	.type	_ZN7rocprim17ROCPRIM_400000_NS6detail17trampoline_kernelINS0_13select_configILj256ELj13ELNS0_17block_load_methodE3ELS4_3ELS4_3ELNS0_20block_scan_algorithmE0ELj4294967295EEENS1_25partition_config_selectorILNS1_17partition_subalgoE4EjNS0_10empty_typeEbEEZZNS1_14partition_implILS8_4ELb0ES6_15HIP_vector_typeIjLj2EENS0_17counting_iteratorIjlEEPS9_SG_NS0_5tupleIJPjSI_NS0_16reverse_iteratorISI_EEEEENSH_IJSG_SG_SG_EEES9_SI_JZNS1_25segmented_radix_sort_implINS0_14default_configELb1EPK12hip_bfloat16PSP_PKlPlN2at6native12_GLOBAL__N_18offset_tEEE10hipError_tPvRmT1_PNSt15iterator_traitsIS13_E10value_typeET2_T3_PNS14_IS19_E10value_typeET4_jRbjT5_S1F_jjP12ihipStream_tbEUljE_ZNSN_ISO_Lb1ESR_SS_SU_SV_SZ_EES10_S11_S12_S13_S17_S18_S19_S1C_S1D_jS1E_jS1F_S1F_jjS1H_bEUljE0_EEES10_S11_S12_S19_S1D_S1F_T6_T7_T9_mT8_S1H_bDpT10_ENKUlT_T0_E_clISt17integral_constantIbLb0EES1U_IbLb1EEEEDaS1Q_S1R_EUlS1Q_E_NS1_11comp_targetILNS1_3genE0ELNS1_11target_archE4294967295ELNS1_3gpuE0ELNS1_3repE0EEENS1_30default_config_static_selectorELNS0_4arch9wavefront6targetE1EEEvS13_,@function
_ZN7rocprim17ROCPRIM_400000_NS6detail17trampoline_kernelINS0_13select_configILj256ELj13ELNS0_17block_load_methodE3ELS4_3ELS4_3ELNS0_20block_scan_algorithmE0ELj4294967295EEENS1_25partition_config_selectorILNS1_17partition_subalgoE4EjNS0_10empty_typeEbEEZZNS1_14partition_implILS8_4ELb0ES6_15HIP_vector_typeIjLj2EENS0_17counting_iteratorIjlEEPS9_SG_NS0_5tupleIJPjSI_NS0_16reverse_iteratorISI_EEEEENSH_IJSG_SG_SG_EEES9_SI_JZNS1_25segmented_radix_sort_implINS0_14default_configELb1EPK12hip_bfloat16PSP_PKlPlN2at6native12_GLOBAL__N_18offset_tEEE10hipError_tPvRmT1_PNSt15iterator_traitsIS13_E10value_typeET2_T3_PNS14_IS19_E10value_typeET4_jRbjT5_S1F_jjP12ihipStream_tbEUljE_ZNSN_ISO_Lb1ESR_SS_SU_SV_SZ_EES10_S11_S12_S13_S17_S18_S19_S1C_S1D_jS1E_jS1F_S1F_jjS1H_bEUljE0_EEES10_S11_S12_S19_S1D_S1F_T6_T7_T9_mT8_S1H_bDpT10_ENKUlT_T0_E_clISt17integral_constantIbLb0EES1U_IbLb1EEEEDaS1Q_S1R_EUlS1Q_E_NS1_11comp_targetILNS1_3genE0ELNS1_11target_archE4294967295ELNS1_3gpuE0ELNS1_3repE0EEENS1_30default_config_static_selectorELNS0_4arch9wavefront6targetE1EEEvS13_: ; @_ZN7rocprim17ROCPRIM_400000_NS6detail17trampoline_kernelINS0_13select_configILj256ELj13ELNS0_17block_load_methodE3ELS4_3ELS4_3ELNS0_20block_scan_algorithmE0ELj4294967295EEENS1_25partition_config_selectorILNS1_17partition_subalgoE4EjNS0_10empty_typeEbEEZZNS1_14partition_implILS8_4ELb0ES6_15HIP_vector_typeIjLj2EENS0_17counting_iteratorIjlEEPS9_SG_NS0_5tupleIJPjSI_NS0_16reverse_iteratorISI_EEEEENSH_IJSG_SG_SG_EEES9_SI_JZNS1_25segmented_radix_sort_implINS0_14default_configELb1EPK12hip_bfloat16PSP_PKlPlN2at6native12_GLOBAL__N_18offset_tEEE10hipError_tPvRmT1_PNSt15iterator_traitsIS13_E10value_typeET2_T3_PNS14_IS19_E10value_typeET4_jRbjT5_S1F_jjP12ihipStream_tbEUljE_ZNSN_ISO_Lb1ESR_SS_SU_SV_SZ_EES10_S11_S12_S13_S17_S18_S19_S1C_S1D_jS1E_jS1F_S1F_jjS1H_bEUljE0_EEES10_S11_S12_S19_S1D_S1F_T6_T7_T9_mT8_S1H_bDpT10_ENKUlT_T0_E_clISt17integral_constantIbLb0EES1U_IbLb1EEEEDaS1Q_S1R_EUlS1Q_E_NS1_11comp_targetILNS1_3genE0ELNS1_11target_archE4294967295ELNS1_3gpuE0ELNS1_3repE0EEENS1_30default_config_static_selectorELNS0_4arch9wavefront6targetE1EEEvS13_
; %bb.0:
	.section	.rodata,"a",@progbits
	.p2align	6, 0x0
	.amdhsa_kernel _ZN7rocprim17ROCPRIM_400000_NS6detail17trampoline_kernelINS0_13select_configILj256ELj13ELNS0_17block_load_methodE3ELS4_3ELS4_3ELNS0_20block_scan_algorithmE0ELj4294967295EEENS1_25partition_config_selectorILNS1_17partition_subalgoE4EjNS0_10empty_typeEbEEZZNS1_14partition_implILS8_4ELb0ES6_15HIP_vector_typeIjLj2EENS0_17counting_iteratorIjlEEPS9_SG_NS0_5tupleIJPjSI_NS0_16reverse_iteratorISI_EEEEENSH_IJSG_SG_SG_EEES9_SI_JZNS1_25segmented_radix_sort_implINS0_14default_configELb1EPK12hip_bfloat16PSP_PKlPlN2at6native12_GLOBAL__N_18offset_tEEE10hipError_tPvRmT1_PNSt15iterator_traitsIS13_E10value_typeET2_T3_PNS14_IS19_E10value_typeET4_jRbjT5_S1F_jjP12ihipStream_tbEUljE_ZNSN_ISO_Lb1ESR_SS_SU_SV_SZ_EES10_S11_S12_S13_S17_S18_S19_S1C_S1D_jS1E_jS1F_S1F_jjS1H_bEUljE0_EEES10_S11_S12_S19_S1D_S1F_T6_T7_T9_mT8_S1H_bDpT10_ENKUlT_T0_E_clISt17integral_constantIbLb0EES1U_IbLb1EEEEDaS1Q_S1R_EUlS1Q_E_NS1_11comp_targetILNS1_3genE0ELNS1_11target_archE4294967295ELNS1_3gpuE0ELNS1_3repE0EEENS1_30default_config_static_selectorELNS0_4arch9wavefront6targetE1EEEvS13_
		.amdhsa_group_segment_fixed_size 0
		.amdhsa_private_segment_fixed_size 0
		.amdhsa_kernarg_size 184
		.amdhsa_user_sgpr_count 6
		.amdhsa_user_sgpr_private_segment_buffer 1
		.amdhsa_user_sgpr_dispatch_ptr 0
		.amdhsa_user_sgpr_queue_ptr 0
		.amdhsa_user_sgpr_kernarg_segment_ptr 1
		.amdhsa_user_sgpr_dispatch_id 0
		.amdhsa_user_sgpr_flat_scratch_init 0
		.amdhsa_user_sgpr_kernarg_preload_length 0
		.amdhsa_user_sgpr_kernarg_preload_offset 0
		.amdhsa_user_sgpr_private_segment_size 0
		.amdhsa_uses_dynamic_stack 0
		.amdhsa_system_sgpr_private_segment_wavefront_offset 0
		.amdhsa_system_sgpr_workgroup_id_x 1
		.amdhsa_system_sgpr_workgroup_id_y 0
		.amdhsa_system_sgpr_workgroup_id_z 0
		.amdhsa_system_sgpr_workgroup_info 0
		.amdhsa_system_vgpr_workitem_id 0
		.amdhsa_next_free_vgpr 1
		.amdhsa_next_free_sgpr 0
		.amdhsa_accum_offset 4
		.amdhsa_reserve_vcc 0
		.amdhsa_reserve_flat_scratch 0
		.amdhsa_float_round_mode_32 0
		.amdhsa_float_round_mode_16_64 0
		.amdhsa_float_denorm_mode_32 3
		.amdhsa_float_denorm_mode_16_64 3
		.amdhsa_dx10_clamp 1
		.amdhsa_ieee_mode 1
		.amdhsa_fp16_overflow 0
		.amdhsa_tg_split 0
		.amdhsa_exception_fp_ieee_invalid_op 0
		.amdhsa_exception_fp_denorm_src 0
		.amdhsa_exception_fp_ieee_div_zero 0
		.amdhsa_exception_fp_ieee_overflow 0
		.amdhsa_exception_fp_ieee_underflow 0
		.amdhsa_exception_fp_ieee_inexact 0
		.amdhsa_exception_int_div_zero 0
	.end_amdhsa_kernel
	.section	.text._ZN7rocprim17ROCPRIM_400000_NS6detail17trampoline_kernelINS0_13select_configILj256ELj13ELNS0_17block_load_methodE3ELS4_3ELS4_3ELNS0_20block_scan_algorithmE0ELj4294967295EEENS1_25partition_config_selectorILNS1_17partition_subalgoE4EjNS0_10empty_typeEbEEZZNS1_14partition_implILS8_4ELb0ES6_15HIP_vector_typeIjLj2EENS0_17counting_iteratorIjlEEPS9_SG_NS0_5tupleIJPjSI_NS0_16reverse_iteratorISI_EEEEENSH_IJSG_SG_SG_EEES9_SI_JZNS1_25segmented_radix_sort_implINS0_14default_configELb1EPK12hip_bfloat16PSP_PKlPlN2at6native12_GLOBAL__N_18offset_tEEE10hipError_tPvRmT1_PNSt15iterator_traitsIS13_E10value_typeET2_T3_PNS14_IS19_E10value_typeET4_jRbjT5_S1F_jjP12ihipStream_tbEUljE_ZNSN_ISO_Lb1ESR_SS_SU_SV_SZ_EES10_S11_S12_S13_S17_S18_S19_S1C_S1D_jS1E_jS1F_S1F_jjS1H_bEUljE0_EEES10_S11_S12_S19_S1D_S1F_T6_T7_T9_mT8_S1H_bDpT10_ENKUlT_T0_E_clISt17integral_constantIbLb0EES1U_IbLb1EEEEDaS1Q_S1R_EUlS1Q_E_NS1_11comp_targetILNS1_3genE0ELNS1_11target_archE4294967295ELNS1_3gpuE0ELNS1_3repE0EEENS1_30default_config_static_selectorELNS0_4arch9wavefront6targetE1EEEvS13_,"axG",@progbits,_ZN7rocprim17ROCPRIM_400000_NS6detail17trampoline_kernelINS0_13select_configILj256ELj13ELNS0_17block_load_methodE3ELS4_3ELS4_3ELNS0_20block_scan_algorithmE0ELj4294967295EEENS1_25partition_config_selectorILNS1_17partition_subalgoE4EjNS0_10empty_typeEbEEZZNS1_14partition_implILS8_4ELb0ES6_15HIP_vector_typeIjLj2EENS0_17counting_iteratorIjlEEPS9_SG_NS0_5tupleIJPjSI_NS0_16reverse_iteratorISI_EEEEENSH_IJSG_SG_SG_EEES9_SI_JZNS1_25segmented_radix_sort_implINS0_14default_configELb1EPK12hip_bfloat16PSP_PKlPlN2at6native12_GLOBAL__N_18offset_tEEE10hipError_tPvRmT1_PNSt15iterator_traitsIS13_E10value_typeET2_T3_PNS14_IS19_E10value_typeET4_jRbjT5_S1F_jjP12ihipStream_tbEUljE_ZNSN_ISO_Lb1ESR_SS_SU_SV_SZ_EES10_S11_S12_S13_S17_S18_S19_S1C_S1D_jS1E_jS1F_S1F_jjS1H_bEUljE0_EEES10_S11_S12_S19_S1D_S1F_T6_T7_T9_mT8_S1H_bDpT10_ENKUlT_T0_E_clISt17integral_constantIbLb0EES1U_IbLb1EEEEDaS1Q_S1R_EUlS1Q_E_NS1_11comp_targetILNS1_3genE0ELNS1_11target_archE4294967295ELNS1_3gpuE0ELNS1_3repE0EEENS1_30default_config_static_selectorELNS0_4arch9wavefront6targetE1EEEvS13_,comdat
.Lfunc_end1904:
	.size	_ZN7rocprim17ROCPRIM_400000_NS6detail17trampoline_kernelINS0_13select_configILj256ELj13ELNS0_17block_load_methodE3ELS4_3ELS4_3ELNS0_20block_scan_algorithmE0ELj4294967295EEENS1_25partition_config_selectorILNS1_17partition_subalgoE4EjNS0_10empty_typeEbEEZZNS1_14partition_implILS8_4ELb0ES6_15HIP_vector_typeIjLj2EENS0_17counting_iteratorIjlEEPS9_SG_NS0_5tupleIJPjSI_NS0_16reverse_iteratorISI_EEEEENSH_IJSG_SG_SG_EEES9_SI_JZNS1_25segmented_radix_sort_implINS0_14default_configELb1EPK12hip_bfloat16PSP_PKlPlN2at6native12_GLOBAL__N_18offset_tEEE10hipError_tPvRmT1_PNSt15iterator_traitsIS13_E10value_typeET2_T3_PNS14_IS19_E10value_typeET4_jRbjT5_S1F_jjP12ihipStream_tbEUljE_ZNSN_ISO_Lb1ESR_SS_SU_SV_SZ_EES10_S11_S12_S13_S17_S18_S19_S1C_S1D_jS1E_jS1F_S1F_jjS1H_bEUljE0_EEES10_S11_S12_S19_S1D_S1F_T6_T7_T9_mT8_S1H_bDpT10_ENKUlT_T0_E_clISt17integral_constantIbLb0EES1U_IbLb1EEEEDaS1Q_S1R_EUlS1Q_E_NS1_11comp_targetILNS1_3genE0ELNS1_11target_archE4294967295ELNS1_3gpuE0ELNS1_3repE0EEENS1_30default_config_static_selectorELNS0_4arch9wavefront6targetE1EEEvS13_, .Lfunc_end1904-_ZN7rocprim17ROCPRIM_400000_NS6detail17trampoline_kernelINS0_13select_configILj256ELj13ELNS0_17block_load_methodE3ELS4_3ELS4_3ELNS0_20block_scan_algorithmE0ELj4294967295EEENS1_25partition_config_selectorILNS1_17partition_subalgoE4EjNS0_10empty_typeEbEEZZNS1_14partition_implILS8_4ELb0ES6_15HIP_vector_typeIjLj2EENS0_17counting_iteratorIjlEEPS9_SG_NS0_5tupleIJPjSI_NS0_16reverse_iteratorISI_EEEEENSH_IJSG_SG_SG_EEES9_SI_JZNS1_25segmented_radix_sort_implINS0_14default_configELb1EPK12hip_bfloat16PSP_PKlPlN2at6native12_GLOBAL__N_18offset_tEEE10hipError_tPvRmT1_PNSt15iterator_traitsIS13_E10value_typeET2_T3_PNS14_IS19_E10value_typeET4_jRbjT5_S1F_jjP12ihipStream_tbEUljE_ZNSN_ISO_Lb1ESR_SS_SU_SV_SZ_EES10_S11_S12_S13_S17_S18_S19_S1C_S1D_jS1E_jS1F_S1F_jjS1H_bEUljE0_EEES10_S11_S12_S19_S1D_S1F_T6_T7_T9_mT8_S1H_bDpT10_ENKUlT_T0_E_clISt17integral_constantIbLb0EES1U_IbLb1EEEEDaS1Q_S1R_EUlS1Q_E_NS1_11comp_targetILNS1_3genE0ELNS1_11target_archE4294967295ELNS1_3gpuE0ELNS1_3repE0EEENS1_30default_config_static_selectorELNS0_4arch9wavefront6targetE1EEEvS13_
                                        ; -- End function
	.section	.AMDGPU.csdata,"",@progbits
; Kernel info:
; codeLenInByte = 0
; NumSgprs: 4
; NumVgprs: 0
; NumAgprs: 0
; TotalNumVgprs: 0
; ScratchSize: 0
; MemoryBound: 0
; FloatMode: 240
; IeeeMode: 1
; LDSByteSize: 0 bytes/workgroup (compile time only)
; SGPRBlocks: 0
; VGPRBlocks: 0
; NumSGPRsForWavesPerEU: 4
; NumVGPRsForWavesPerEU: 1
; AccumOffset: 4
; Occupancy: 8
; WaveLimiterHint : 0
; COMPUTE_PGM_RSRC2:SCRATCH_EN: 0
; COMPUTE_PGM_RSRC2:USER_SGPR: 6
; COMPUTE_PGM_RSRC2:TRAP_HANDLER: 0
; COMPUTE_PGM_RSRC2:TGID_X_EN: 1
; COMPUTE_PGM_RSRC2:TGID_Y_EN: 0
; COMPUTE_PGM_RSRC2:TGID_Z_EN: 0
; COMPUTE_PGM_RSRC2:TIDIG_COMP_CNT: 0
; COMPUTE_PGM_RSRC3_GFX90A:ACCUM_OFFSET: 0
; COMPUTE_PGM_RSRC3_GFX90A:TG_SPLIT: 0
	.section	.text._ZN7rocprim17ROCPRIM_400000_NS6detail17trampoline_kernelINS0_13select_configILj256ELj13ELNS0_17block_load_methodE3ELS4_3ELS4_3ELNS0_20block_scan_algorithmE0ELj4294967295EEENS1_25partition_config_selectorILNS1_17partition_subalgoE4EjNS0_10empty_typeEbEEZZNS1_14partition_implILS8_4ELb0ES6_15HIP_vector_typeIjLj2EENS0_17counting_iteratorIjlEEPS9_SG_NS0_5tupleIJPjSI_NS0_16reverse_iteratorISI_EEEEENSH_IJSG_SG_SG_EEES9_SI_JZNS1_25segmented_radix_sort_implINS0_14default_configELb1EPK12hip_bfloat16PSP_PKlPlN2at6native12_GLOBAL__N_18offset_tEEE10hipError_tPvRmT1_PNSt15iterator_traitsIS13_E10value_typeET2_T3_PNS14_IS19_E10value_typeET4_jRbjT5_S1F_jjP12ihipStream_tbEUljE_ZNSN_ISO_Lb1ESR_SS_SU_SV_SZ_EES10_S11_S12_S13_S17_S18_S19_S1C_S1D_jS1E_jS1F_S1F_jjS1H_bEUljE0_EEES10_S11_S12_S19_S1D_S1F_T6_T7_T9_mT8_S1H_bDpT10_ENKUlT_T0_E_clISt17integral_constantIbLb0EES1U_IbLb1EEEEDaS1Q_S1R_EUlS1Q_E_NS1_11comp_targetILNS1_3genE5ELNS1_11target_archE942ELNS1_3gpuE9ELNS1_3repE0EEENS1_30default_config_static_selectorELNS0_4arch9wavefront6targetE1EEEvS13_,"axG",@progbits,_ZN7rocprim17ROCPRIM_400000_NS6detail17trampoline_kernelINS0_13select_configILj256ELj13ELNS0_17block_load_methodE3ELS4_3ELS4_3ELNS0_20block_scan_algorithmE0ELj4294967295EEENS1_25partition_config_selectorILNS1_17partition_subalgoE4EjNS0_10empty_typeEbEEZZNS1_14partition_implILS8_4ELb0ES6_15HIP_vector_typeIjLj2EENS0_17counting_iteratorIjlEEPS9_SG_NS0_5tupleIJPjSI_NS0_16reverse_iteratorISI_EEEEENSH_IJSG_SG_SG_EEES9_SI_JZNS1_25segmented_radix_sort_implINS0_14default_configELb1EPK12hip_bfloat16PSP_PKlPlN2at6native12_GLOBAL__N_18offset_tEEE10hipError_tPvRmT1_PNSt15iterator_traitsIS13_E10value_typeET2_T3_PNS14_IS19_E10value_typeET4_jRbjT5_S1F_jjP12ihipStream_tbEUljE_ZNSN_ISO_Lb1ESR_SS_SU_SV_SZ_EES10_S11_S12_S13_S17_S18_S19_S1C_S1D_jS1E_jS1F_S1F_jjS1H_bEUljE0_EEES10_S11_S12_S19_S1D_S1F_T6_T7_T9_mT8_S1H_bDpT10_ENKUlT_T0_E_clISt17integral_constantIbLb0EES1U_IbLb1EEEEDaS1Q_S1R_EUlS1Q_E_NS1_11comp_targetILNS1_3genE5ELNS1_11target_archE942ELNS1_3gpuE9ELNS1_3repE0EEENS1_30default_config_static_selectorELNS0_4arch9wavefront6targetE1EEEvS13_,comdat
	.globl	_ZN7rocprim17ROCPRIM_400000_NS6detail17trampoline_kernelINS0_13select_configILj256ELj13ELNS0_17block_load_methodE3ELS4_3ELS4_3ELNS0_20block_scan_algorithmE0ELj4294967295EEENS1_25partition_config_selectorILNS1_17partition_subalgoE4EjNS0_10empty_typeEbEEZZNS1_14partition_implILS8_4ELb0ES6_15HIP_vector_typeIjLj2EENS0_17counting_iteratorIjlEEPS9_SG_NS0_5tupleIJPjSI_NS0_16reverse_iteratorISI_EEEEENSH_IJSG_SG_SG_EEES9_SI_JZNS1_25segmented_radix_sort_implINS0_14default_configELb1EPK12hip_bfloat16PSP_PKlPlN2at6native12_GLOBAL__N_18offset_tEEE10hipError_tPvRmT1_PNSt15iterator_traitsIS13_E10value_typeET2_T3_PNS14_IS19_E10value_typeET4_jRbjT5_S1F_jjP12ihipStream_tbEUljE_ZNSN_ISO_Lb1ESR_SS_SU_SV_SZ_EES10_S11_S12_S13_S17_S18_S19_S1C_S1D_jS1E_jS1F_S1F_jjS1H_bEUljE0_EEES10_S11_S12_S19_S1D_S1F_T6_T7_T9_mT8_S1H_bDpT10_ENKUlT_T0_E_clISt17integral_constantIbLb0EES1U_IbLb1EEEEDaS1Q_S1R_EUlS1Q_E_NS1_11comp_targetILNS1_3genE5ELNS1_11target_archE942ELNS1_3gpuE9ELNS1_3repE0EEENS1_30default_config_static_selectorELNS0_4arch9wavefront6targetE1EEEvS13_ ; -- Begin function _ZN7rocprim17ROCPRIM_400000_NS6detail17trampoline_kernelINS0_13select_configILj256ELj13ELNS0_17block_load_methodE3ELS4_3ELS4_3ELNS0_20block_scan_algorithmE0ELj4294967295EEENS1_25partition_config_selectorILNS1_17partition_subalgoE4EjNS0_10empty_typeEbEEZZNS1_14partition_implILS8_4ELb0ES6_15HIP_vector_typeIjLj2EENS0_17counting_iteratorIjlEEPS9_SG_NS0_5tupleIJPjSI_NS0_16reverse_iteratorISI_EEEEENSH_IJSG_SG_SG_EEES9_SI_JZNS1_25segmented_radix_sort_implINS0_14default_configELb1EPK12hip_bfloat16PSP_PKlPlN2at6native12_GLOBAL__N_18offset_tEEE10hipError_tPvRmT1_PNSt15iterator_traitsIS13_E10value_typeET2_T3_PNS14_IS19_E10value_typeET4_jRbjT5_S1F_jjP12ihipStream_tbEUljE_ZNSN_ISO_Lb1ESR_SS_SU_SV_SZ_EES10_S11_S12_S13_S17_S18_S19_S1C_S1D_jS1E_jS1F_S1F_jjS1H_bEUljE0_EEES10_S11_S12_S19_S1D_S1F_T6_T7_T9_mT8_S1H_bDpT10_ENKUlT_T0_E_clISt17integral_constantIbLb0EES1U_IbLb1EEEEDaS1Q_S1R_EUlS1Q_E_NS1_11comp_targetILNS1_3genE5ELNS1_11target_archE942ELNS1_3gpuE9ELNS1_3repE0EEENS1_30default_config_static_selectorELNS0_4arch9wavefront6targetE1EEEvS13_
	.p2align	8
	.type	_ZN7rocprim17ROCPRIM_400000_NS6detail17trampoline_kernelINS0_13select_configILj256ELj13ELNS0_17block_load_methodE3ELS4_3ELS4_3ELNS0_20block_scan_algorithmE0ELj4294967295EEENS1_25partition_config_selectorILNS1_17partition_subalgoE4EjNS0_10empty_typeEbEEZZNS1_14partition_implILS8_4ELb0ES6_15HIP_vector_typeIjLj2EENS0_17counting_iteratorIjlEEPS9_SG_NS0_5tupleIJPjSI_NS0_16reverse_iteratorISI_EEEEENSH_IJSG_SG_SG_EEES9_SI_JZNS1_25segmented_radix_sort_implINS0_14default_configELb1EPK12hip_bfloat16PSP_PKlPlN2at6native12_GLOBAL__N_18offset_tEEE10hipError_tPvRmT1_PNSt15iterator_traitsIS13_E10value_typeET2_T3_PNS14_IS19_E10value_typeET4_jRbjT5_S1F_jjP12ihipStream_tbEUljE_ZNSN_ISO_Lb1ESR_SS_SU_SV_SZ_EES10_S11_S12_S13_S17_S18_S19_S1C_S1D_jS1E_jS1F_S1F_jjS1H_bEUljE0_EEES10_S11_S12_S19_S1D_S1F_T6_T7_T9_mT8_S1H_bDpT10_ENKUlT_T0_E_clISt17integral_constantIbLb0EES1U_IbLb1EEEEDaS1Q_S1R_EUlS1Q_E_NS1_11comp_targetILNS1_3genE5ELNS1_11target_archE942ELNS1_3gpuE9ELNS1_3repE0EEENS1_30default_config_static_selectorELNS0_4arch9wavefront6targetE1EEEvS13_,@function
_ZN7rocprim17ROCPRIM_400000_NS6detail17trampoline_kernelINS0_13select_configILj256ELj13ELNS0_17block_load_methodE3ELS4_3ELS4_3ELNS0_20block_scan_algorithmE0ELj4294967295EEENS1_25partition_config_selectorILNS1_17partition_subalgoE4EjNS0_10empty_typeEbEEZZNS1_14partition_implILS8_4ELb0ES6_15HIP_vector_typeIjLj2EENS0_17counting_iteratorIjlEEPS9_SG_NS0_5tupleIJPjSI_NS0_16reverse_iteratorISI_EEEEENSH_IJSG_SG_SG_EEES9_SI_JZNS1_25segmented_radix_sort_implINS0_14default_configELb1EPK12hip_bfloat16PSP_PKlPlN2at6native12_GLOBAL__N_18offset_tEEE10hipError_tPvRmT1_PNSt15iterator_traitsIS13_E10value_typeET2_T3_PNS14_IS19_E10value_typeET4_jRbjT5_S1F_jjP12ihipStream_tbEUljE_ZNSN_ISO_Lb1ESR_SS_SU_SV_SZ_EES10_S11_S12_S13_S17_S18_S19_S1C_S1D_jS1E_jS1F_S1F_jjS1H_bEUljE0_EEES10_S11_S12_S19_S1D_S1F_T6_T7_T9_mT8_S1H_bDpT10_ENKUlT_T0_E_clISt17integral_constantIbLb0EES1U_IbLb1EEEEDaS1Q_S1R_EUlS1Q_E_NS1_11comp_targetILNS1_3genE5ELNS1_11target_archE942ELNS1_3gpuE9ELNS1_3repE0EEENS1_30default_config_static_selectorELNS0_4arch9wavefront6targetE1EEEvS13_: ; @_ZN7rocprim17ROCPRIM_400000_NS6detail17trampoline_kernelINS0_13select_configILj256ELj13ELNS0_17block_load_methodE3ELS4_3ELS4_3ELNS0_20block_scan_algorithmE0ELj4294967295EEENS1_25partition_config_selectorILNS1_17partition_subalgoE4EjNS0_10empty_typeEbEEZZNS1_14partition_implILS8_4ELb0ES6_15HIP_vector_typeIjLj2EENS0_17counting_iteratorIjlEEPS9_SG_NS0_5tupleIJPjSI_NS0_16reverse_iteratorISI_EEEEENSH_IJSG_SG_SG_EEES9_SI_JZNS1_25segmented_radix_sort_implINS0_14default_configELb1EPK12hip_bfloat16PSP_PKlPlN2at6native12_GLOBAL__N_18offset_tEEE10hipError_tPvRmT1_PNSt15iterator_traitsIS13_E10value_typeET2_T3_PNS14_IS19_E10value_typeET4_jRbjT5_S1F_jjP12ihipStream_tbEUljE_ZNSN_ISO_Lb1ESR_SS_SU_SV_SZ_EES10_S11_S12_S13_S17_S18_S19_S1C_S1D_jS1E_jS1F_S1F_jjS1H_bEUljE0_EEES10_S11_S12_S19_S1D_S1F_T6_T7_T9_mT8_S1H_bDpT10_ENKUlT_T0_E_clISt17integral_constantIbLb0EES1U_IbLb1EEEEDaS1Q_S1R_EUlS1Q_E_NS1_11comp_targetILNS1_3genE5ELNS1_11target_archE942ELNS1_3gpuE9ELNS1_3repE0EEENS1_30default_config_static_selectorELNS0_4arch9wavefront6targetE1EEEvS13_
; %bb.0:
	.section	.rodata,"a",@progbits
	.p2align	6, 0x0
	.amdhsa_kernel _ZN7rocprim17ROCPRIM_400000_NS6detail17trampoline_kernelINS0_13select_configILj256ELj13ELNS0_17block_load_methodE3ELS4_3ELS4_3ELNS0_20block_scan_algorithmE0ELj4294967295EEENS1_25partition_config_selectorILNS1_17partition_subalgoE4EjNS0_10empty_typeEbEEZZNS1_14partition_implILS8_4ELb0ES6_15HIP_vector_typeIjLj2EENS0_17counting_iteratorIjlEEPS9_SG_NS0_5tupleIJPjSI_NS0_16reverse_iteratorISI_EEEEENSH_IJSG_SG_SG_EEES9_SI_JZNS1_25segmented_radix_sort_implINS0_14default_configELb1EPK12hip_bfloat16PSP_PKlPlN2at6native12_GLOBAL__N_18offset_tEEE10hipError_tPvRmT1_PNSt15iterator_traitsIS13_E10value_typeET2_T3_PNS14_IS19_E10value_typeET4_jRbjT5_S1F_jjP12ihipStream_tbEUljE_ZNSN_ISO_Lb1ESR_SS_SU_SV_SZ_EES10_S11_S12_S13_S17_S18_S19_S1C_S1D_jS1E_jS1F_S1F_jjS1H_bEUljE0_EEES10_S11_S12_S19_S1D_S1F_T6_T7_T9_mT8_S1H_bDpT10_ENKUlT_T0_E_clISt17integral_constantIbLb0EES1U_IbLb1EEEEDaS1Q_S1R_EUlS1Q_E_NS1_11comp_targetILNS1_3genE5ELNS1_11target_archE942ELNS1_3gpuE9ELNS1_3repE0EEENS1_30default_config_static_selectorELNS0_4arch9wavefront6targetE1EEEvS13_
		.amdhsa_group_segment_fixed_size 0
		.amdhsa_private_segment_fixed_size 0
		.amdhsa_kernarg_size 184
		.amdhsa_user_sgpr_count 6
		.amdhsa_user_sgpr_private_segment_buffer 1
		.amdhsa_user_sgpr_dispatch_ptr 0
		.amdhsa_user_sgpr_queue_ptr 0
		.amdhsa_user_sgpr_kernarg_segment_ptr 1
		.amdhsa_user_sgpr_dispatch_id 0
		.amdhsa_user_sgpr_flat_scratch_init 0
		.amdhsa_user_sgpr_kernarg_preload_length 0
		.amdhsa_user_sgpr_kernarg_preload_offset 0
		.amdhsa_user_sgpr_private_segment_size 0
		.amdhsa_uses_dynamic_stack 0
		.amdhsa_system_sgpr_private_segment_wavefront_offset 0
		.amdhsa_system_sgpr_workgroup_id_x 1
		.amdhsa_system_sgpr_workgroup_id_y 0
		.amdhsa_system_sgpr_workgroup_id_z 0
		.amdhsa_system_sgpr_workgroup_info 0
		.amdhsa_system_vgpr_workitem_id 0
		.amdhsa_next_free_vgpr 1
		.amdhsa_next_free_sgpr 0
		.amdhsa_accum_offset 4
		.amdhsa_reserve_vcc 0
		.amdhsa_reserve_flat_scratch 0
		.amdhsa_float_round_mode_32 0
		.amdhsa_float_round_mode_16_64 0
		.amdhsa_float_denorm_mode_32 3
		.amdhsa_float_denorm_mode_16_64 3
		.amdhsa_dx10_clamp 1
		.amdhsa_ieee_mode 1
		.amdhsa_fp16_overflow 0
		.amdhsa_tg_split 0
		.amdhsa_exception_fp_ieee_invalid_op 0
		.amdhsa_exception_fp_denorm_src 0
		.amdhsa_exception_fp_ieee_div_zero 0
		.amdhsa_exception_fp_ieee_overflow 0
		.amdhsa_exception_fp_ieee_underflow 0
		.amdhsa_exception_fp_ieee_inexact 0
		.amdhsa_exception_int_div_zero 0
	.end_amdhsa_kernel
	.section	.text._ZN7rocprim17ROCPRIM_400000_NS6detail17trampoline_kernelINS0_13select_configILj256ELj13ELNS0_17block_load_methodE3ELS4_3ELS4_3ELNS0_20block_scan_algorithmE0ELj4294967295EEENS1_25partition_config_selectorILNS1_17partition_subalgoE4EjNS0_10empty_typeEbEEZZNS1_14partition_implILS8_4ELb0ES6_15HIP_vector_typeIjLj2EENS0_17counting_iteratorIjlEEPS9_SG_NS0_5tupleIJPjSI_NS0_16reverse_iteratorISI_EEEEENSH_IJSG_SG_SG_EEES9_SI_JZNS1_25segmented_radix_sort_implINS0_14default_configELb1EPK12hip_bfloat16PSP_PKlPlN2at6native12_GLOBAL__N_18offset_tEEE10hipError_tPvRmT1_PNSt15iterator_traitsIS13_E10value_typeET2_T3_PNS14_IS19_E10value_typeET4_jRbjT5_S1F_jjP12ihipStream_tbEUljE_ZNSN_ISO_Lb1ESR_SS_SU_SV_SZ_EES10_S11_S12_S13_S17_S18_S19_S1C_S1D_jS1E_jS1F_S1F_jjS1H_bEUljE0_EEES10_S11_S12_S19_S1D_S1F_T6_T7_T9_mT8_S1H_bDpT10_ENKUlT_T0_E_clISt17integral_constantIbLb0EES1U_IbLb1EEEEDaS1Q_S1R_EUlS1Q_E_NS1_11comp_targetILNS1_3genE5ELNS1_11target_archE942ELNS1_3gpuE9ELNS1_3repE0EEENS1_30default_config_static_selectorELNS0_4arch9wavefront6targetE1EEEvS13_,"axG",@progbits,_ZN7rocprim17ROCPRIM_400000_NS6detail17trampoline_kernelINS0_13select_configILj256ELj13ELNS0_17block_load_methodE3ELS4_3ELS4_3ELNS0_20block_scan_algorithmE0ELj4294967295EEENS1_25partition_config_selectorILNS1_17partition_subalgoE4EjNS0_10empty_typeEbEEZZNS1_14partition_implILS8_4ELb0ES6_15HIP_vector_typeIjLj2EENS0_17counting_iteratorIjlEEPS9_SG_NS0_5tupleIJPjSI_NS0_16reverse_iteratorISI_EEEEENSH_IJSG_SG_SG_EEES9_SI_JZNS1_25segmented_radix_sort_implINS0_14default_configELb1EPK12hip_bfloat16PSP_PKlPlN2at6native12_GLOBAL__N_18offset_tEEE10hipError_tPvRmT1_PNSt15iterator_traitsIS13_E10value_typeET2_T3_PNS14_IS19_E10value_typeET4_jRbjT5_S1F_jjP12ihipStream_tbEUljE_ZNSN_ISO_Lb1ESR_SS_SU_SV_SZ_EES10_S11_S12_S13_S17_S18_S19_S1C_S1D_jS1E_jS1F_S1F_jjS1H_bEUljE0_EEES10_S11_S12_S19_S1D_S1F_T6_T7_T9_mT8_S1H_bDpT10_ENKUlT_T0_E_clISt17integral_constantIbLb0EES1U_IbLb1EEEEDaS1Q_S1R_EUlS1Q_E_NS1_11comp_targetILNS1_3genE5ELNS1_11target_archE942ELNS1_3gpuE9ELNS1_3repE0EEENS1_30default_config_static_selectorELNS0_4arch9wavefront6targetE1EEEvS13_,comdat
.Lfunc_end1905:
	.size	_ZN7rocprim17ROCPRIM_400000_NS6detail17trampoline_kernelINS0_13select_configILj256ELj13ELNS0_17block_load_methodE3ELS4_3ELS4_3ELNS0_20block_scan_algorithmE0ELj4294967295EEENS1_25partition_config_selectorILNS1_17partition_subalgoE4EjNS0_10empty_typeEbEEZZNS1_14partition_implILS8_4ELb0ES6_15HIP_vector_typeIjLj2EENS0_17counting_iteratorIjlEEPS9_SG_NS0_5tupleIJPjSI_NS0_16reverse_iteratorISI_EEEEENSH_IJSG_SG_SG_EEES9_SI_JZNS1_25segmented_radix_sort_implINS0_14default_configELb1EPK12hip_bfloat16PSP_PKlPlN2at6native12_GLOBAL__N_18offset_tEEE10hipError_tPvRmT1_PNSt15iterator_traitsIS13_E10value_typeET2_T3_PNS14_IS19_E10value_typeET4_jRbjT5_S1F_jjP12ihipStream_tbEUljE_ZNSN_ISO_Lb1ESR_SS_SU_SV_SZ_EES10_S11_S12_S13_S17_S18_S19_S1C_S1D_jS1E_jS1F_S1F_jjS1H_bEUljE0_EEES10_S11_S12_S19_S1D_S1F_T6_T7_T9_mT8_S1H_bDpT10_ENKUlT_T0_E_clISt17integral_constantIbLb0EES1U_IbLb1EEEEDaS1Q_S1R_EUlS1Q_E_NS1_11comp_targetILNS1_3genE5ELNS1_11target_archE942ELNS1_3gpuE9ELNS1_3repE0EEENS1_30default_config_static_selectorELNS0_4arch9wavefront6targetE1EEEvS13_, .Lfunc_end1905-_ZN7rocprim17ROCPRIM_400000_NS6detail17trampoline_kernelINS0_13select_configILj256ELj13ELNS0_17block_load_methodE3ELS4_3ELS4_3ELNS0_20block_scan_algorithmE0ELj4294967295EEENS1_25partition_config_selectorILNS1_17partition_subalgoE4EjNS0_10empty_typeEbEEZZNS1_14partition_implILS8_4ELb0ES6_15HIP_vector_typeIjLj2EENS0_17counting_iteratorIjlEEPS9_SG_NS0_5tupleIJPjSI_NS0_16reverse_iteratorISI_EEEEENSH_IJSG_SG_SG_EEES9_SI_JZNS1_25segmented_radix_sort_implINS0_14default_configELb1EPK12hip_bfloat16PSP_PKlPlN2at6native12_GLOBAL__N_18offset_tEEE10hipError_tPvRmT1_PNSt15iterator_traitsIS13_E10value_typeET2_T3_PNS14_IS19_E10value_typeET4_jRbjT5_S1F_jjP12ihipStream_tbEUljE_ZNSN_ISO_Lb1ESR_SS_SU_SV_SZ_EES10_S11_S12_S13_S17_S18_S19_S1C_S1D_jS1E_jS1F_S1F_jjS1H_bEUljE0_EEES10_S11_S12_S19_S1D_S1F_T6_T7_T9_mT8_S1H_bDpT10_ENKUlT_T0_E_clISt17integral_constantIbLb0EES1U_IbLb1EEEEDaS1Q_S1R_EUlS1Q_E_NS1_11comp_targetILNS1_3genE5ELNS1_11target_archE942ELNS1_3gpuE9ELNS1_3repE0EEENS1_30default_config_static_selectorELNS0_4arch9wavefront6targetE1EEEvS13_
                                        ; -- End function
	.section	.AMDGPU.csdata,"",@progbits
; Kernel info:
; codeLenInByte = 0
; NumSgprs: 4
; NumVgprs: 0
; NumAgprs: 0
; TotalNumVgprs: 0
; ScratchSize: 0
; MemoryBound: 0
; FloatMode: 240
; IeeeMode: 1
; LDSByteSize: 0 bytes/workgroup (compile time only)
; SGPRBlocks: 0
; VGPRBlocks: 0
; NumSGPRsForWavesPerEU: 4
; NumVGPRsForWavesPerEU: 1
; AccumOffset: 4
; Occupancy: 8
; WaveLimiterHint : 0
; COMPUTE_PGM_RSRC2:SCRATCH_EN: 0
; COMPUTE_PGM_RSRC2:USER_SGPR: 6
; COMPUTE_PGM_RSRC2:TRAP_HANDLER: 0
; COMPUTE_PGM_RSRC2:TGID_X_EN: 1
; COMPUTE_PGM_RSRC2:TGID_Y_EN: 0
; COMPUTE_PGM_RSRC2:TGID_Z_EN: 0
; COMPUTE_PGM_RSRC2:TIDIG_COMP_CNT: 0
; COMPUTE_PGM_RSRC3_GFX90A:ACCUM_OFFSET: 0
; COMPUTE_PGM_RSRC3_GFX90A:TG_SPLIT: 0
	.section	.text._ZN7rocprim17ROCPRIM_400000_NS6detail17trampoline_kernelINS0_13select_configILj256ELj13ELNS0_17block_load_methodE3ELS4_3ELS4_3ELNS0_20block_scan_algorithmE0ELj4294967295EEENS1_25partition_config_selectorILNS1_17partition_subalgoE4EjNS0_10empty_typeEbEEZZNS1_14partition_implILS8_4ELb0ES6_15HIP_vector_typeIjLj2EENS0_17counting_iteratorIjlEEPS9_SG_NS0_5tupleIJPjSI_NS0_16reverse_iteratorISI_EEEEENSH_IJSG_SG_SG_EEES9_SI_JZNS1_25segmented_radix_sort_implINS0_14default_configELb1EPK12hip_bfloat16PSP_PKlPlN2at6native12_GLOBAL__N_18offset_tEEE10hipError_tPvRmT1_PNSt15iterator_traitsIS13_E10value_typeET2_T3_PNS14_IS19_E10value_typeET4_jRbjT5_S1F_jjP12ihipStream_tbEUljE_ZNSN_ISO_Lb1ESR_SS_SU_SV_SZ_EES10_S11_S12_S13_S17_S18_S19_S1C_S1D_jS1E_jS1F_S1F_jjS1H_bEUljE0_EEES10_S11_S12_S19_S1D_S1F_T6_T7_T9_mT8_S1H_bDpT10_ENKUlT_T0_E_clISt17integral_constantIbLb0EES1U_IbLb1EEEEDaS1Q_S1R_EUlS1Q_E_NS1_11comp_targetILNS1_3genE4ELNS1_11target_archE910ELNS1_3gpuE8ELNS1_3repE0EEENS1_30default_config_static_selectorELNS0_4arch9wavefront6targetE1EEEvS13_,"axG",@progbits,_ZN7rocprim17ROCPRIM_400000_NS6detail17trampoline_kernelINS0_13select_configILj256ELj13ELNS0_17block_load_methodE3ELS4_3ELS4_3ELNS0_20block_scan_algorithmE0ELj4294967295EEENS1_25partition_config_selectorILNS1_17partition_subalgoE4EjNS0_10empty_typeEbEEZZNS1_14partition_implILS8_4ELb0ES6_15HIP_vector_typeIjLj2EENS0_17counting_iteratorIjlEEPS9_SG_NS0_5tupleIJPjSI_NS0_16reverse_iteratorISI_EEEEENSH_IJSG_SG_SG_EEES9_SI_JZNS1_25segmented_radix_sort_implINS0_14default_configELb1EPK12hip_bfloat16PSP_PKlPlN2at6native12_GLOBAL__N_18offset_tEEE10hipError_tPvRmT1_PNSt15iterator_traitsIS13_E10value_typeET2_T3_PNS14_IS19_E10value_typeET4_jRbjT5_S1F_jjP12ihipStream_tbEUljE_ZNSN_ISO_Lb1ESR_SS_SU_SV_SZ_EES10_S11_S12_S13_S17_S18_S19_S1C_S1D_jS1E_jS1F_S1F_jjS1H_bEUljE0_EEES10_S11_S12_S19_S1D_S1F_T6_T7_T9_mT8_S1H_bDpT10_ENKUlT_T0_E_clISt17integral_constantIbLb0EES1U_IbLb1EEEEDaS1Q_S1R_EUlS1Q_E_NS1_11comp_targetILNS1_3genE4ELNS1_11target_archE910ELNS1_3gpuE8ELNS1_3repE0EEENS1_30default_config_static_selectorELNS0_4arch9wavefront6targetE1EEEvS13_,comdat
	.globl	_ZN7rocprim17ROCPRIM_400000_NS6detail17trampoline_kernelINS0_13select_configILj256ELj13ELNS0_17block_load_methodE3ELS4_3ELS4_3ELNS0_20block_scan_algorithmE0ELj4294967295EEENS1_25partition_config_selectorILNS1_17partition_subalgoE4EjNS0_10empty_typeEbEEZZNS1_14partition_implILS8_4ELb0ES6_15HIP_vector_typeIjLj2EENS0_17counting_iteratorIjlEEPS9_SG_NS0_5tupleIJPjSI_NS0_16reverse_iteratorISI_EEEEENSH_IJSG_SG_SG_EEES9_SI_JZNS1_25segmented_radix_sort_implINS0_14default_configELb1EPK12hip_bfloat16PSP_PKlPlN2at6native12_GLOBAL__N_18offset_tEEE10hipError_tPvRmT1_PNSt15iterator_traitsIS13_E10value_typeET2_T3_PNS14_IS19_E10value_typeET4_jRbjT5_S1F_jjP12ihipStream_tbEUljE_ZNSN_ISO_Lb1ESR_SS_SU_SV_SZ_EES10_S11_S12_S13_S17_S18_S19_S1C_S1D_jS1E_jS1F_S1F_jjS1H_bEUljE0_EEES10_S11_S12_S19_S1D_S1F_T6_T7_T9_mT8_S1H_bDpT10_ENKUlT_T0_E_clISt17integral_constantIbLb0EES1U_IbLb1EEEEDaS1Q_S1R_EUlS1Q_E_NS1_11comp_targetILNS1_3genE4ELNS1_11target_archE910ELNS1_3gpuE8ELNS1_3repE0EEENS1_30default_config_static_selectorELNS0_4arch9wavefront6targetE1EEEvS13_ ; -- Begin function _ZN7rocprim17ROCPRIM_400000_NS6detail17trampoline_kernelINS0_13select_configILj256ELj13ELNS0_17block_load_methodE3ELS4_3ELS4_3ELNS0_20block_scan_algorithmE0ELj4294967295EEENS1_25partition_config_selectorILNS1_17partition_subalgoE4EjNS0_10empty_typeEbEEZZNS1_14partition_implILS8_4ELb0ES6_15HIP_vector_typeIjLj2EENS0_17counting_iteratorIjlEEPS9_SG_NS0_5tupleIJPjSI_NS0_16reverse_iteratorISI_EEEEENSH_IJSG_SG_SG_EEES9_SI_JZNS1_25segmented_radix_sort_implINS0_14default_configELb1EPK12hip_bfloat16PSP_PKlPlN2at6native12_GLOBAL__N_18offset_tEEE10hipError_tPvRmT1_PNSt15iterator_traitsIS13_E10value_typeET2_T3_PNS14_IS19_E10value_typeET4_jRbjT5_S1F_jjP12ihipStream_tbEUljE_ZNSN_ISO_Lb1ESR_SS_SU_SV_SZ_EES10_S11_S12_S13_S17_S18_S19_S1C_S1D_jS1E_jS1F_S1F_jjS1H_bEUljE0_EEES10_S11_S12_S19_S1D_S1F_T6_T7_T9_mT8_S1H_bDpT10_ENKUlT_T0_E_clISt17integral_constantIbLb0EES1U_IbLb1EEEEDaS1Q_S1R_EUlS1Q_E_NS1_11comp_targetILNS1_3genE4ELNS1_11target_archE910ELNS1_3gpuE8ELNS1_3repE0EEENS1_30default_config_static_selectorELNS0_4arch9wavefront6targetE1EEEvS13_
	.p2align	8
	.type	_ZN7rocprim17ROCPRIM_400000_NS6detail17trampoline_kernelINS0_13select_configILj256ELj13ELNS0_17block_load_methodE3ELS4_3ELS4_3ELNS0_20block_scan_algorithmE0ELj4294967295EEENS1_25partition_config_selectorILNS1_17partition_subalgoE4EjNS0_10empty_typeEbEEZZNS1_14partition_implILS8_4ELb0ES6_15HIP_vector_typeIjLj2EENS0_17counting_iteratorIjlEEPS9_SG_NS0_5tupleIJPjSI_NS0_16reverse_iteratorISI_EEEEENSH_IJSG_SG_SG_EEES9_SI_JZNS1_25segmented_radix_sort_implINS0_14default_configELb1EPK12hip_bfloat16PSP_PKlPlN2at6native12_GLOBAL__N_18offset_tEEE10hipError_tPvRmT1_PNSt15iterator_traitsIS13_E10value_typeET2_T3_PNS14_IS19_E10value_typeET4_jRbjT5_S1F_jjP12ihipStream_tbEUljE_ZNSN_ISO_Lb1ESR_SS_SU_SV_SZ_EES10_S11_S12_S13_S17_S18_S19_S1C_S1D_jS1E_jS1F_S1F_jjS1H_bEUljE0_EEES10_S11_S12_S19_S1D_S1F_T6_T7_T9_mT8_S1H_bDpT10_ENKUlT_T0_E_clISt17integral_constantIbLb0EES1U_IbLb1EEEEDaS1Q_S1R_EUlS1Q_E_NS1_11comp_targetILNS1_3genE4ELNS1_11target_archE910ELNS1_3gpuE8ELNS1_3repE0EEENS1_30default_config_static_selectorELNS0_4arch9wavefront6targetE1EEEvS13_,@function
_ZN7rocprim17ROCPRIM_400000_NS6detail17trampoline_kernelINS0_13select_configILj256ELj13ELNS0_17block_load_methodE3ELS4_3ELS4_3ELNS0_20block_scan_algorithmE0ELj4294967295EEENS1_25partition_config_selectorILNS1_17partition_subalgoE4EjNS0_10empty_typeEbEEZZNS1_14partition_implILS8_4ELb0ES6_15HIP_vector_typeIjLj2EENS0_17counting_iteratorIjlEEPS9_SG_NS0_5tupleIJPjSI_NS0_16reverse_iteratorISI_EEEEENSH_IJSG_SG_SG_EEES9_SI_JZNS1_25segmented_radix_sort_implINS0_14default_configELb1EPK12hip_bfloat16PSP_PKlPlN2at6native12_GLOBAL__N_18offset_tEEE10hipError_tPvRmT1_PNSt15iterator_traitsIS13_E10value_typeET2_T3_PNS14_IS19_E10value_typeET4_jRbjT5_S1F_jjP12ihipStream_tbEUljE_ZNSN_ISO_Lb1ESR_SS_SU_SV_SZ_EES10_S11_S12_S13_S17_S18_S19_S1C_S1D_jS1E_jS1F_S1F_jjS1H_bEUljE0_EEES10_S11_S12_S19_S1D_S1F_T6_T7_T9_mT8_S1H_bDpT10_ENKUlT_T0_E_clISt17integral_constantIbLb0EES1U_IbLb1EEEEDaS1Q_S1R_EUlS1Q_E_NS1_11comp_targetILNS1_3genE4ELNS1_11target_archE910ELNS1_3gpuE8ELNS1_3repE0EEENS1_30default_config_static_selectorELNS0_4arch9wavefront6targetE1EEEvS13_: ; @_ZN7rocprim17ROCPRIM_400000_NS6detail17trampoline_kernelINS0_13select_configILj256ELj13ELNS0_17block_load_methodE3ELS4_3ELS4_3ELNS0_20block_scan_algorithmE0ELj4294967295EEENS1_25partition_config_selectorILNS1_17partition_subalgoE4EjNS0_10empty_typeEbEEZZNS1_14partition_implILS8_4ELb0ES6_15HIP_vector_typeIjLj2EENS0_17counting_iteratorIjlEEPS9_SG_NS0_5tupleIJPjSI_NS0_16reverse_iteratorISI_EEEEENSH_IJSG_SG_SG_EEES9_SI_JZNS1_25segmented_radix_sort_implINS0_14default_configELb1EPK12hip_bfloat16PSP_PKlPlN2at6native12_GLOBAL__N_18offset_tEEE10hipError_tPvRmT1_PNSt15iterator_traitsIS13_E10value_typeET2_T3_PNS14_IS19_E10value_typeET4_jRbjT5_S1F_jjP12ihipStream_tbEUljE_ZNSN_ISO_Lb1ESR_SS_SU_SV_SZ_EES10_S11_S12_S13_S17_S18_S19_S1C_S1D_jS1E_jS1F_S1F_jjS1H_bEUljE0_EEES10_S11_S12_S19_S1D_S1F_T6_T7_T9_mT8_S1H_bDpT10_ENKUlT_T0_E_clISt17integral_constantIbLb0EES1U_IbLb1EEEEDaS1Q_S1R_EUlS1Q_E_NS1_11comp_targetILNS1_3genE4ELNS1_11target_archE910ELNS1_3gpuE8ELNS1_3repE0EEENS1_30default_config_static_selectorELNS0_4arch9wavefront6targetE1EEEvS13_
; %bb.0:
	s_load_dwordx2 s[48:49], s[4:5], 0x10
	s_load_dwordx4 s[44:47], s[4:5], 0x28
	s_load_dwordx2 s[34:35], s[4:5], 0x38
	s_load_dwordx4 s[28:31], s[4:5], 0x58
	s_load_dwordx2 s[2:3], s[4:5], 0x68
	s_load_dwordx2 s[50:51], s[4:5], 0x78
	;; [unrolled: 1-line block ×3, first 2 shown]
	s_load_dwordx8 s[36:43], s[4:5], 0x90
	v_cmp_eq_u32_e64 s[0:1], 0, v0
	s_and_saveexec_b64 s[6:7], s[0:1]
	s_cbranch_execz .LBB1906_4
; %bb.1:
	s_mov_b64 s[10:11], exec
	v_mbcnt_lo_u32_b32 v1, s10, 0
	v_mbcnt_hi_u32_b32 v1, s11, v1
	v_cmp_eq_u32_e32 vcc, 0, v1
                                        ; implicit-def: $vgpr2
	s_and_saveexec_b64 s[8:9], vcc
	s_cbranch_execz .LBB1906_3
; %bb.2:
	s_load_dwordx2 s[12:13], s[4:5], 0x88
	s_bcnt1_i32_b64 s10, s[10:11]
	v_mov_b32_e32 v2, 0
	v_mov_b32_e32 v3, s10
	s_waitcnt lgkmcnt(0)
	global_atomic_add v2, v2, v3, s[12:13] glc
.LBB1906_3:
	s_or_b64 exec, exec, s[8:9]
	s_waitcnt vmcnt(0)
	v_readfirstlane_b32 s8, v2
	v_add_u32_e32 v1, s8, v1
	v_mov_b32_e32 v2, 0
	ds_write_b32 v2, v1
.LBB1906_4:
	s_or_b64 exec, exec, s[6:7]
	v_mov_b32_e32 v1, 0
	s_load_dword s7, s[4:5], 0x8
	s_load_dword s6, s[4:5], 0x80
	s_waitcnt lgkmcnt(0)
	s_barrier
	ds_read_b32 v8, v1
	s_waitcnt lgkmcnt(0)
	s_barrier
	global_load_dwordx4 v[2:5], v1, s[30:31]
	v_mov_b32_e32 v7, s3
	s_movk_i32 s3, 0xd00
	s_add_i32 s8, s7, s48
	v_mul_lo_u32 v34, v8, s3
	s_add_i32 s7, s6, -1
	s_mul_i32 s3, s6, 0xd00
	s_add_u32 s4, s48, s3
	v_readfirstlane_b32 s33, v8
	s_addc_u32 s5, s49, 0
	s_cmp_eq_u32 s33, s7
	v_mov_b32_e32 v6, s2
	s_cselect_b64 s[30:31], -1, 0
	s_cmp_lg_u32 s33, s7
	v_cmp_lt_u64_e32 vcc, s[4:5], v[6:7]
	s_cselect_b64 s[4:5], -1, 0
	s_or_b64 s[4:5], vcc, s[4:5]
	v_add_u32_e32 v1, s8, v34
	s_mov_b64 s[6:7], -1
	s_and_b64 vcc, exec, s[4:5]
	v_add_u32_e32 v1, v1, v0
	s_cbranch_vccz .LBB1906_6
; %bb.5:
	v_add_u32_e32 v6, 0x100, v1
	v_lshlrev_b32_e32 v18, 2, v0
	v_add_u32_e32 v7, 0x200, v1
	v_add_u32_e32 v8, 0x300, v1
	;; [unrolled: 1-line block ×11, first 2 shown]
	ds_write2st64_b32 v18, v1, v6 offset1:4
	ds_write2st64_b32 v18, v7, v8 offset0:8 offset1:12
	ds_write2st64_b32 v18, v9, v10 offset0:16 offset1:20
	;; [unrolled: 1-line block ×5, first 2 shown]
	ds_write_b32 v18, v17 offset:12288
	s_waitcnt lgkmcnt(0)
	s_barrier
	s_mov_b64 s[6:7], 0
.LBB1906_6:
	s_andn2_b64 vcc, exec, s[6:7]
	s_add_i32 s3, s3, s48
	s_cbranch_vccnz .LBB1906_8
; %bb.7:
	v_add_u32_e32 v6, 0x100, v1
	v_lshlrev_b32_e32 v18, 2, v0
	v_add_u32_e32 v7, 0x200, v1
	v_add_u32_e32 v8, 0x300, v1
	;; [unrolled: 1-line block ×11, first 2 shown]
	ds_write2st64_b32 v18, v1, v6 offset1:4
	ds_write2st64_b32 v18, v7, v8 offset0:8 offset1:12
	ds_write2st64_b32 v18, v9, v10 offset0:16 offset1:20
	;; [unrolled: 1-line block ×5, first 2 shown]
	ds_write_b32 v18, v17 offset:12288
	s_waitcnt lgkmcnt(0)
	s_barrier
.LBB1906_8:
	v_mul_u32_u24_e32 v36, 13, v0
	v_lshlrev_b32_e32 v1, 2, v36
	ds_read2_b32 v[22:23], v1 offset1:1
	ds_read2_b32 v[20:21], v1 offset0:2 offset1:3
	ds_read2_b32 v[18:19], v1 offset0:4 offset1:5
	;; [unrolled: 1-line block ×5, first 2 shown]
	ds_read_b32 v35, v1 offset:48
	v_cndmask_b32_e64 v1, 0, 1, s[4:5]
	s_sub_i32 s86, s2, s3
	v_cmp_ne_u32_e64 s[2:3], 1, v1
	s_andn2_b64 vcc, exec, s[4:5]
	s_waitcnt lgkmcnt(0)
	s_barrier
	s_cbranch_vccnz .LBB1906_36
; %bb.9:
	v_add_u32_e32 v1, s37, v22
	v_add_u32_e32 v6, s39, v22
	v_mul_lo_u32 v1, v1, s36
	v_mul_lo_u32 v6, v6, s38
	v_sub_u32_e32 v1, v1, v6
	v_cmp_lt_u32_e32 vcc, s40, v1
	v_cmp_ge_u32_e64 s[4:5], s40, v1
	s_mov_b64 s[60:61], 0
	s_mov_b64 s[58:59], 0
	s_and_saveexec_b64 s[6:7], s[4:5]
; %bb.10:
	v_add_u32_e32 v1, s42, v22
	v_add_u32_e32 v6, s56, v22
	v_mul_lo_u32 v1, v1, s41
	v_mul_lo_u32 v6, v6, s43
	v_sub_u32_e32 v1, v1, v6
	v_cmp_lt_u32_e64 s[4:5], s57, v1
	s_and_b64 s[58:59], s[4:5], exec
; %bb.11:
	s_or_b64 exec, exec, s[6:7]
	v_add_u32_e32 v1, s37, v23
	v_add_u32_e32 v6, s39, v23
	v_mul_lo_u32 v1, v1, s36
	v_mul_lo_u32 v6, v6, s38
	v_sub_u32_e32 v1, v1, v6
	v_cmp_lt_u32_e64 s[4:5], s40, v1
	v_cmp_ge_u32_e64 s[6:7], s40, v1
	s_and_saveexec_b64 s[8:9], s[6:7]
; %bb.12:
	v_add_u32_e32 v1, s42, v23
	v_add_u32_e32 v6, s56, v23
	v_mul_lo_u32 v1, v1, s41
	v_mul_lo_u32 v6, v6, s43
	v_sub_u32_e32 v1, v1, v6
	v_cmp_lt_u32_e64 s[6:7], s57, v1
	s_and_b64 s[60:61], s[6:7], exec
; %bb.13:
	s_or_b64 exec, exec, s[8:9]
	v_add_u32_e32 v1, s37, v20
	v_add_u32_e32 v6, s39, v20
	v_mul_lo_u32 v1, v1, s36
	v_mul_lo_u32 v6, v6, s38
	v_sub_u32_e32 v1, v1, v6
	v_cmp_lt_u32_e64 s[6:7], s40, v1
	v_cmp_ge_u32_e64 s[8:9], s40, v1
	s_mov_b64 s[64:65], 0
	s_mov_b64 s[62:63], 0
	s_and_saveexec_b64 s[10:11], s[8:9]
; %bb.14:
	v_add_u32_e32 v1, s42, v20
	v_add_u32_e32 v6, s56, v20
	v_mul_lo_u32 v1, v1, s41
	v_mul_lo_u32 v6, v6, s43
	v_sub_u32_e32 v1, v1, v6
	v_cmp_lt_u32_e64 s[8:9], s57, v1
	s_and_b64 s[62:63], s[8:9], exec
; %bb.15:
	s_or_b64 exec, exec, s[10:11]
	v_add_u32_e32 v1, s37, v21
	v_add_u32_e32 v6, s39, v21
	v_mul_lo_u32 v1, v1, s36
	v_mul_lo_u32 v6, v6, s38
	v_sub_u32_e32 v1, v1, v6
	v_cmp_lt_u32_e64 s[8:9], s40, v1
	v_cmp_ge_u32_e64 s[10:11], s40, v1
	s_and_saveexec_b64 s[12:13], s[10:11]
; %bb.16:
	v_add_u32_e32 v1, s42, v21
	v_add_u32_e32 v6, s56, v21
	v_mul_lo_u32 v1, v1, s41
	v_mul_lo_u32 v6, v6, s43
	v_sub_u32_e32 v1, v1, v6
	v_cmp_lt_u32_e64 s[10:11], s57, v1
	s_and_b64 s[64:65], s[10:11], exec
; %bb.17:
	s_or_b64 exec, exec, s[12:13]
	v_add_u32_e32 v1, s37, v18
	v_add_u32_e32 v6, s39, v18
	v_mul_lo_u32 v1, v1, s36
	v_mul_lo_u32 v6, v6, s38
	v_sub_u32_e32 v1, v1, v6
	v_cmp_lt_u32_e64 s[10:11], s40, v1
	;; [unrolled: 38-line block ×5, first 2 shown]
	v_cmp_ge_u32_e64 s[24:25], s40, v1
	s_mov_b64 s[80:81], 0
	s_mov_b64 s[82:83], 0
	s_and_saveexec_b64 s[26:27], s[24:25]
; %bb.30:
	v_add_u32_e32 v1, s42, v12
	v_add_u32_e32 v6, s56, v12
	v_mul_lo_u32 v1, v1, s41
	v_mul_lo_u32 v6, v6, s43
	v_sub_u32_e32 v1, v1, v6
	v_cmp_lt_u32_e64 s[24:25], s57, v1
	s_and_b64 s[82:83], s[24:25], exec
; %bb.31:
	s_or_b64 exec, exec, s[26:27]
	v_add_u32_e32 v1, s37, v13
	v_add_u32_e32 v6, s39, v13
	v_mul_lo_u32 v1, v1, s36
	v_mul_lo_u32 v6, v6, s38
	v_sub_u32_e32 v1, v1, v6
	v_cmp_lt_u32_e64 s[24:25], s40, v1
	v_cmp_ge_u32_e64 s[26:27], s40, v1
	s_and_saveexec_b64 s[52:53], s[26:27]
; %bb.32:
	v_add_u32_e32 v1, s42, v13
	v_add_u32_e32 v6, s56, v13
	v_mul_lo_u32 v1, v1, s41
	v_mul_lo_u32 v6, v6, s43
	v_sub_u32_e32 v1, v1, v6
	v_cmp_lt_u32_e64 s[26:27], s57, v1
	s_and_b64 s[80:81], s[26:27], exec
; %bb.33:
	s_or_b64 exec, exec, s[52:53]
	v_add_u32_e32 v1, s37, v35
	v_add_u32_e32 v6, s39, v35
	v_mul_lo_u32 v1, v1, s36
	v_mul_lo_u32 v6, v6, s38
	v_sub_u32_e32 v1, v1, v6
	v_cmp_ge_u32_e64 s[26:27], s40, v1
	s_mov_b64 s[52:53], -1
	s_mov_b64 s[74:75], 0
	s_mov_b64 s[54:55], 0
	s_and_saveexec_b64 s[84:85], s[26:27]
; %bb.34:
	v_add_u32_e32 v1, s42, v35
	v_add_u32_e32 v6, s56, v35
	v_mul_lo_u32 v1, v1, s41
	v_mul_lo_u32 v6, v6, s43
	v_sub_u32_e32 v1, v1, v6
	v_cmp_lt_u32_e64 s[26:27], s57, v1
	s_and_b64 s[54:55], s[26:27], exec
	s_xor_b64 s[52:53], exec, -1
; %bb.35:
	s_or_b64 exec, exec, s[84:85]
	v_cndmask_b32_e64 v57, 0, 1, s[82:83]
	v_cndmask_b32_e64 v60, 0, 1, s[24:25]
	;; [unrolled: 1-line block ×22, first 2 shown]
	v_cndmask_b32_e64 v37, 0, 1, vcc
	v_cndmask_b32_e64 v59, 0, 1, s[80:81]
	s_add_i32 s16, s86, 0xd00
	s_and_b64 vcc, exec, s[74:75]
	s_cbranch_vccnz .LBB1906_37
	s_branch .LBB1906_90
.LBB1906_36:
                                        ; implicit-def: $sgpr52_sgpr53
                                        ; implicit-def: $sgpr54_sgpr55
                                        ; implicit-def: $vgpr59
                                        ; implicit-def: $vgpr57
                                        ; implicit-def: $vgpr55
                                        ; implicit-def: $vgpr53
                                        ; implicit-def: $vgpr51
                                        ; implicit-def: $vgpr49
                                        ; implicit-def: $vgpr47
                                        ; implicit-def: $vgpr45
                                        ; implicit-def: $vgpr43
                                        ; implicit-def: $vgpr37
                                        ; implicit-def: $vgpr39
                                        ; implicit-def: $vgpr41
                                        ; implicit-def: $vgpr44
                                        ; implicit-def: $vgpr46
                                        ; implicit-def: $vgpr48
                                        ; implicit-def: $vgpr50
                                        ; implicit-def: $vgpr52
                                        ; implicit-def: $vgpr54
                                        ; implicit-def: $vgpr56
                                        ; implicit-def: $vgpr58
                                        ; implicit-def: $vgpr60
                                        ; implicit-def: $vgpr38
                                        ; implicit-def: $vgpr40
                                        ; implicit-def: $vgpr42
	s_add_i32 s16, s86, 0xd00
	s_cbranch_execz .LBB1906_90
.LBB1906_37:
	v_cmp_gt_u32_e32 vcc, s16, v36
	v_mov_b32_e32 v38, 0
	v_mov_b32_e32 v37, 0
	s_and_saveexec_b64 s[6:7], vcc
	s_cbranch_execz .LBB1906_41
; %bb.38:
	v_add_u32_e32 v1, s37, v22
	v_add_u32_e32 v6, s39, v22
	v_mul_lo_u32 v1, v1, s36
	v_mul_lo_u32 v6, v6, s38
	v_sub_u32_e32 v1, v1, v6
	v_cmp_lt_u32_e32 vcc, s40, v1
	v_cmp_ge_u32_e64 s[4:5], s40, v1
	s_mov_b64 s[10:11], 0
	s_and_saveexec_b64 s[8:9], s[4:5]
; %bb.39:
	v_add_u32_e32 v1, s42, v22
	v_add_u32_e32 v6, s56, v22
	v_mul_lo_u32 v1, v1, s41
	v_mul_lo_u32 v6, v6, s43
	v_sub_u32_e32 v1, v1, v6
	v_cmp_lt_u32_e64 s[4:5], s57, v1
	s_and_b64 s[10:11], s[4:5], exec
; %bb.40:
	s_or_b64 exec, exec, s[8:9]
	v_cndmask_b32_e64 v37, 0, 1, vcc
	v_cndmask_b32_e64 v38, 0, 1, s[10:11]
.LBB1906_41:
	s_or_b64 exec, exec, s[6:7]
	v_add_u32_e32 v1, 1, v36
	v_cmp_gt_u32_e32 vcc, s16, v1
	v_mov_b32_e32 v39, 0
	v_mov_b32_e32 v40, 0
	s_and_saveexec_b64 s[6:7], vcc
	s_cbranch_execz .LBB1906_45
; %bb.42:
	v_add_u32_e32 v1, s37, v23
	v_add_u32_e32 v6, s39, v23
	v_mul_lo_u32 v1, v1, s36
	v_mul_lo_u32 v6, v6, s38
	v_sub_u32_e32 v1, v1, v6
	v_cmp_lt_u32_e32 vcc, s40, v1
	v_cmp_ge_u32_e64 s[4:5], s40, v1
	s_mov_b64 s[10:11], 0
	s_and_saveexec_b64 s[8:9], s[4:5]
; %bb.43:
	v_add_u32_e32 v1, s42, v23
	v_add_u32_e32 v6, s56, v23
	v_mul_lo_u32 v1, v1, s41
	v_mul_lo_u32 v6, v6, s43
	v_sub_u32_e32 v1, v1, v6
	v_cmp_lt_u32_e64 s[4:5], s57, v1
	s_and_b64 s[10:11], s[4:5], exec
; %bb.44:
	s_or_b64 exec, exec, s[8:9]
	v_cndmask_b32_e64 v39, 0, 1, vcc
	v_cndmask_b32_e64 v40, 0, 1, s[10:11]
.LBB1906_45:
	s_or_b64 exec, exec, s[6:7]
	v_add_u32_e32 v1, 2, v36
	;; [unrolled: 30-line block ×12, first 2 shown]
	v_cmp_gt_u32_e32 vcc, s16, v1
	s_mov_b64 s[52:53], 0
	s_mov_b64 s[54:55], 0
	s_and_saveexec_b64 s[4:5], vcc
	s_cbranch_execz .LBB1906_89
; %bb.86:
	v_add_u32_e32 v1, s37, v35
	v_add_u32_e32 v6, s39, v35
	v_mul_lo_u32 v1, v1, s36
	v_mul_lo_u32 v6, v6, s38
	v_sub_u32_e32 v1, v1, v6
	v_cmp_ge_u32_e32 vcc, s40, v1
	s_mov_b64 s[8:9], -1
	s_mov_b64 s[10:11], 0
	s_and_saveexec_b64 s[6:7], vcc
; %bb.87:
	v_add_u32_e32 v1, s42, v35
	v_add_u32_e32 v6, s56, v35
	v_mul_lo_u32 v1, v1, s41
	v_mul_lo_u32 v6, v6, s43
	v_sub_u32_e32 v1, v1, v6
	v_cmp_lt_u32_e32 vcc, s57, v1
	s_and_b64 s[10:11], vcc, exec
	s_xor_b64 s[8:9], exec, -1
; %bb.88:
	s_or_b64 exec, exec, s[6:7]
	s_and_b64 s[54:55], s[10:11], exec
	s_and_b64 s[52:53], s[8:9], exec
.LBB1906_89:
	s_or_b64 exec, exec, s[4:5]
.LBB1906_90:
	v_and_b32_e32 v68, 0xff, v38
	v_and_b32_e32 v79, 0xff, v40
	;; [unrolled: 1-line block ×5, first 2 shown]
	v_add3_u32 v6, v79, v70, v68
	v_and_b32_e32 v81, 0xff, v47
	v_and_b32_e32 v74, 0xff, v49
	v_add3_u32 v6, v6, v80, v72
	v_and_b32_e32 v67, 0xff, v37
	v_and_b32_e32 v61, 0xff, v39
	;; [unrolled: 1-line block ×5, first 2 shown]
	v_add3_u32 v6, v6, v81, v74
	v_and_b32_e32 v62, 0xff, v44
	v_and_b32_e32 v71, 0xff, v46
	;; [unrolled: 1-line block ×4, first 2 shown]
	v_add3_u32 v7, v61, v69, v67
	v_add3_u32 v6, v6, v82, v76
	v_and_b32_e32 v63, 0xff, v48
	v_and_b32_e32 v73, 0xff, v50
	;; [unrolled: 1-line block ×3, first 2 shown]
	v_cndmask_b32_e64 v1, 0, 1, s[54:55]
	v_add3_u32 v7, v7, v62, v71
	v_add3_u32 v6, v6, v83, v78
	v_and_b32_e32 v64, 0xff, v52
	v_and_b32_e32 v75, 0xff, v54
	v_add3_u32 v7, v7, v63, v73
	v_add3_u32 v91, v6, v84, v1
	v_mbcnt_lo_u32_b32 v1, -1, 0
	v_and_b32_e32 v65, 0xff, v56
	v_and_b32_e32 v77, 0xff, v58
	v_add3_u32 v7, v7, v64, v75
	v_mbcnt_hi_u32_b32 v85, -1, v1
	v_and_b32_e32 v66, 0xff, v60
	v_add3_u32 v7, v7, v65, v77
	v_cndmask_b32_e64 v8, 0, 1, s[52:53]
	v_and_b32_e32 v89, 15, v85
	s_cmp_lg_u32 s33, 0
	v_add3_u32 v90, v7, v66, v8
	v_cmp_eq_u32_e64 s[6:7], 0, v89
	v_cmp_lt_u32_e64 s[4:5], 1, v89
	v_cmp_lt_u32_e64 s[10:11], 3, v89
	;; [unrolled: 1-line block ×3, first 2 shown]
	v_and_b32_e32 v88, 16, v85
	v_cmp_lt_u32_e32 vcc, 31, v85
	v_lshrrev_b32_e32 v86, 6, v0
	v_or_b32_e32 v87, 63, v0
	s_cbranch_scc0 .LBB1906_119
; %bb.91:
	v_mov_b32_dpp v1, v90 row_shr:1 row_mask:0xf bank_mask:0xf
	v_mov_b32_dpp v6, v91 row_shr:1 row_mask:0xf bank_mask:0xf
	v_add_u32_e32 v1, v1, v90
	v_add_u32_e32 v6, v6, v91
	v_cndmask_b32_e64 v6, v6, v91, s[6:7]
	v_cndmask_b32_e64 v1, v1, v90, s[6:7]
	s_nop 0
	v_mov_b32_dpp v8, v6 row_shr:2 row_mask:0xf bank_mask:0xf
	v_mov_b32_dpp v7, v1 row_shr:2 row_mask:0xf bank_mask:0xf
	v_add_u32_e32 v7, v1, v7
	v_add_u32_e32 v8, v6, v8
	v_cndmask_b32_e64 v6, v6, v8, s[4:5]
	v_cndmask_b32_e64 v1, v1, v7, s[4:5]
	s_nop 0
	;; [unrolled: 7-line block ×3, first 2 shown]
	v_mov_b32_dpp v8, v6 row_shr:8 row_mask:0xf bank_mask:0xf
	v_mov_b32_dpp v7, v1 row_shr:8 row_mask:0xf bank_mask:0xf
	v_add_u32_e32 v7, v1, v7
	v_add_u32_e32 v8, v6, v8
	v_cndmask_b32_e64 v6, v6, v8, s[8:9]
	v_cndmask_b32_e64 v1, v1, v7, s[8:9]
	v_cmp_eq_u32_e64 s[8:9], 0, v88
	v_mov_b32_dpp v8, v6 row_bcast:15 row_mask:0xf bank_mask:0xf
	v_mov_b32_dpp v7, v1 row_bcast:15 row_mask:0xf bank_mask:0xf
	v_add_u32_e32 v7, v1, v7
	v_add_u32_e32 v8, v6, v8
	v_cndmask_b32_e64 v6, v8, v6, s[8:9]
	v_cndmask_b32_e64 v1, v7, v1, s[8:9]
	s_nop 0
	v_mov_b32_dpp v8, v6 row_bcast:31 row_mask:0xf bank_mask:0xf
	v_mov_b32_dpp v7, v1 row_bcast:31 row_mask:0xf bank_mask:0xf
	v_add_u32_e32 v8, v6, v8
	v_add_u32_e32 v9, v1, v7
	v_cndmask_b32_e32 v7, v6, v8, vcc
	v_cndmask_b32_e32 v6, v1, v9, vcc
	v_cmp_eq_u32_e32 vcc, v87, v0
	s_and_saveexec_b64 s[8:9], vcc
	s_cbranch_execz .LBB1906_93
; %bb.92:
	v_lshlrev_b32_e32 v1, 3, v86
	ds_write_b64 v1, v[6:7]
.LBB1906_93:
	s_or_b64 exec, exec, s[8:9]
	v_cmp_gt_u32_e32 vcc, 4, v0
	s_waitcnt lgkmcnt(0)
	s_barrier
	s_and_saveexec_b64 s[8:9], vcc
	s_cbranch_execz .LBB1906_95
; %bb.94:
	v_lshlrev_b32_e32 v1, 3, v0
	ds_read_b64 v[8:9], v1
	v_and_b32_e32 v10, 3, v85
	v_cmp_eq_u32_e32 vcc, 0, v10
	s_waitcnt lgkmcnt(0)
	v_mov_b32_dpp v11, v8 row_shr:1 row_mask:0xf bank_mask:0xf
	v_mov_b32_dpp v24, v9 row_shr:1 row_mask:0xf bank_mask:0xf
	v_add_u32_e32 v11, v11, v8
	v_add_u32_e32 v24, v24, v9
	v_cndmask_b32_e32 v9, v24, v9, vcc
	v_cndmask_b32_e32 v8, v11, v8, vcc
	v_cmp_lt_u32_e32 vcc, 1, v10
	v_mov_b32_dpp v24, v9 row_shr:2 row_mask:0xf bank_mask:0xf
	v_mov_b32_dpp v11, v8 row_shr:2 row_mask:0xf bank_mask:0xf
	v_cndmask_b32_e32 v10, 0, v11, vcc
	v_cndmask_b32_e32 v11, 0, v24, vcc
	v_add_u32_e32 v9, v11, v9
	v_add_u32_e32 v8, v10, v8
	ds_write_b64 v1, v[8:9]
.LBB1906_95:
	s_or_b64 exec, exec, s[8:9]
	v_cmp_gt_u32_e32 vcc, 64, v0
	v_cmp_lt_u32_e64 s[8:9], 63, v0
	s_waitcnt lgkmcnt(0)
	s_barrier
	s_waitcnt lgkmcnt(0)
                                        ; implicit-def: $vgpr25
	s_and_saveexec_b64 s[10:11], s[8:9]
	s_xor_b64 s[8:9], exec, s[10:11]
	s_cbranch_execz .LBB1906_97
; %bb.96:
	v_lshl_add_u32 v1, v86, 3, -8
	ds_read_b64 v[24:25], v1
	s_waitcnt lgkmcnt(0)
	v_add_u32_e32 v7, v25, v7
	v_add_u32_e32 v6, v24, v6
.LBB1906_97:
	s_andn2_saveexec_b64 s[8:9], s[8:9]
; %bb.98:
                                        ; implicit-def: $vgpr24
; %bb.99:
	s_or_b64 exec, exec, s[8:9]
	v_add_u32_e32 v1, -1, v85
	v_and_b32_e32 v8, 64, v85
	v_cmp_lt_i32_e64 s[8:9], v1, v8
	v_cndmask_b32_e64 v1, v1, v85, s[8:9]
	v_lshlrev_b32_e32 v8, 2, v1
	ds_bpermute_b32 v1, v8, v6
	ds_bpermute_b32 v92, v8, v7
	v_cmp_eq_u32_e64 s[8:9], 0, v85
	s_and_saveexec_b64 s[10:11], vcc
	s_cbranch_execz .LBB1906_118
; %bb.100:
	v_mov_b32_e32 v11, 0
	ds_read_b64 v[26:27], v11 offset:24
	s_and_saveexec_b64 s[12:13], s[8:9]
	s_cbranch_execz .LBB1906_102
; %bb.101:
	s_add_i32 s14, s33, 64
	s_mov_b32 s15, 0
	s_lshl_b64 s[14:15], s[14:15], 4
	s_waitcnt lgkmcnt(0)
	v_and_b32_e32 v6, 0xff000000, v27
	v_and_b32_e32 v7, 0xff0000, v27
	s_add_u32 s14, s50, s14
	v_or_b32_e32 v6, v7, v6
	v_and_b32_e32 v7, 0xff00, v27
	s_addc_u32 s15, s51, s15
	v_or_b32_e32 v6, v6, v7
	v_or_b32_sdwa v9, v6, v27 dst_sel:DWORD dst_unused:UNUSED_PAD src0_sel:DWORD src1_sel:BYTE_0
	v_mov_b32_e32 v10, 1
	v_mov_b32_e32 v8, v26
	v_pk_mov_b32 v[6:7], s[14:15], s[14:15] op_sel:[0,1]
	;;#ASMSTART
	global_store_dwordx4 v[6:7], v[8:11] off	
s_waitcnt vmcnt(0)
	;;#ASMEND
.LBB1906_102:
	s_or_b64 exec, exec, s[12:13]
	v_xad_u32 v28, v85, -1, s33
	v_add_u32_e32 v10, 64, v28
	v_lshlrev_b64 v[6:7], 4, v[10:11]
	v_mov_b32_e32 v8, s51
	v_add_co_u32_e32 v30, vcc, s50, v6
	v_addc_co_u32_e32 v31, vcc, v8, v7, vcc
	;;#ASMSTART
	global_load_dwordx4 v[6:9], v[30:31] off glc	
s_waitcnt vmcnt(0)
	;;#ASMEND
	v_and_b32_e32 v9, 0xff, v7
	v_and_b32_e32 v10, 0xff00, v7
	v_or3_b32 v9, 0, v9, v10
	v_or3_b32 v6, v6, 0, 0
	v_and_b32_e32 v10, 0xff000000, v7
	v_and_b32_e32 v7, 0xff0000, v7
	v_or3_b32 v7, v9, v7, v10
	v_or3_b32 v6, v6, 0, 0
	v_cmp_eq_u16_sdwa s[14:15], v8, v11 src0_sel:BYTE_0 src1_sel:DWORD
	s_and_saveexec_b64 s[12:13], s[14:15]
	s_cbranch_execz .LBB1906_106
; %bb.103:
	s_mov_b64 s[14:15], 0
	v_mov_b32_e32 v10, 0
.LBB1906_104:                           ; =>This Inner Loop Header: Depth=1
	;;#ASMSTART
	global_load_dwordx4 v[6:9], v[30:31] off glc	
s_waitcnt vmcnt(0)
	;;#ASMEND
	v_cmp_ne_u16_sdwa s[18:19], v8, v10 src0_sel:BYTE_0 src1_sel:DWORD
	s_or_b64 s[14:15], s[18:19], s[14:15]
	s_andn2_b64 exec, exec, s[14:15]
	s_cbranch_execnz .LBB1906_104
; %bb.105:
	s_or_b64 exec, exec, s[14:15]
.LBB1906_106:
	s_or_b64 exec, exec, s[12:13]
	v_and_b32_e32 v94, 63, v85
	v_cmp_ne_u32_e32 vcc, 63, v94
	v_mov_b32_e32 v93, 2
	v_addc_co_u32_e32 v30, vcc, 0, v85, vcc
	v_cmp_eq_u16_sdwa s[12:13], v8, v93 src0_sel:BYTE_0 src1_sel:DWORD
	v_lshlrev_b64 v[10:11], v85, -1
	v_lshlrev_b32_e32 v95, 2, v30
	v_and_b32_e32 v9, s13, v11
	ds_bpermute_b32 v30, v95, v6
	ds_bpermute_b32 v31, v95, v7
	v_or_b32_e32 v9, 0x80000000, v9
	v_and_b32_e32 v29, s12, v10
	v_ffbl_b32_e32 v9, v9
	v_add_u32_e32 v9, 32, v9
	v_ffbl_b32_e32 v29, v29
	v_min_u32_e32 v9, v29, v9
	s_waitcnt lgkmcnt(1)
	v_add_u32_e32 v29, v30, v6
	s_waitcnt lgkmcnt(0)
	v_add_u32_e32 v30, v31, v7
	v_cmp_lt_u32_e32 vcc, v94, v9
	v_cndmask_b32_e32 v7, v7, v30, vcc
	v_cndmask_b32_e32 v6, v6, v29, vcc
	v_cmp_gt_u32_e32 vcc, 62, v94
	v_cndmask_b32_e64 v29, 0, 1, vcc
	v_lshlrev_b32_e32 v29, 1, v29
	v_add_lshl_u32 v96, v29, v85, 2
	ds_bpermute_b32 v29, v96, v6
	ds_bpermute_b32 v30, v96, v7
	v_add_u32_e32 v97, 2, v94
	v_cmp_gt_u32_e32 vcc, v97, v9
	v_add_u32_e32 v99, 4, v94
	s_waitcnt lgkmcnt(1)
	v_add_u32_e32 v29, v6, v29
	s_waitcnt lgkmcnt(0)
	v_add_u32_e32 v30, v7, v30
	v_cndmask_b32_e32 v7, v30, v7, vcc
	v_cndmask_b32_e32 v6, v29, v6, vcc
	v_cmp_gt_u32_e32 vcc, 60, v94
	v_cndmask_b32_e64 v29, 0, 1, vcc
	v_lshlrev_b32_e32 v29, 2, v29
	v_add_lshl_u32 v98, v29, v85, 2
	ds_bpermute_b32 v29, v98, v6
	ds_bpermute_b32 v30, v98, v7
	v_cmp_gt_u32_e32 vcc, v99, v9
	v_add_u32_e32 v101, 8, v94
	v_add_u32_e32 v103, 16, v94
	s_waitcnt lgkmcnt(1)
	v_add_u32_e32 v29, v6, v29
	s_waitcnt lgkmcnt(0)
	v_add_u32_e32 v30, v7, v30
	v_cndmask_b32_e32 v7, v30, v7, vcc
	v_cndmask_b32_e32 v6, v29, v6, vcc
	v_cmp_gt_u32_e32 vcc, 56, v94
	v_cndmask_b32_e64 v29, 0, 1, vcc
	v_lshlrev_b32_e32 v29, 3, v29
	v_add_lshl_u32 v100, v29, v85, 2
	ds_bpermute_b32 v29, v100, v6
	ds_bpermute_b32 v30, v100, v7
	v_cmp_gt_u32_e32 vcc, v101, v9
	v_add_u32_e32 v105, 32, v94
	s_waitcnt lgkmcnt(1)
	v_add_u32_e32 v29, v6, v29
	s_waitcnt lgkmcnt(0)
	v_add_u32_e32 v30, v7, v30
	v_cndmask_b32_e32 v7, v30, v7, vcc
	v_cndmask_b32_e32 v6, v29, v6, vcc
	v_cmp_gt_u32_e32 vcc, 48, v94
	v_cndmask_b32_e64 v29, 0, 1, vcc
	v_lshlrev_b32_e32 v29, 4, v29
	v_add_lshl_u32 v102, v29, v85, 2
	ds_bpermute_b32 v29, v102, v6
	ds_bpermute_b32 v30, v102, v7
	v_cmp_gt_u32_e32 vcc, v103, v9
	s_waitcnt lgkmcnt(1)
	v_add_u32_e32 v29, v6, v29
	s_waitcnt lgkmcnt(0)
	v_add_u32_e32 v30, v7, v30
	v_cndmask_b32_e32 v7, v30, v7, vcc
	v_cndmask_b32_e32 v6, v29, v6, vcc
	v_cmp_gt_u32_e32 vcc, 32, v94
	v_cndmask_b32_e64 v29, 0, 1, vcc
	v_lshlrev_b32_e32 v29, 5, v29
	v_add_lshl_u32 v104, v29, v85, 2
	ds_bpermute_b32 v29, v104, v6
	ds_bpermute_b32 v30, v104, v7
	v_cmp_le_u32_e32 vcc, v105, v9
	s_waitcnt lgkmcnt(1)
	v_cndmask_b32_e32 v9, 0, v29, vcc
	s_waitcnt lgkmcnt(0)
	v_cndmask_b32_e32 v29, 0, v30, vcc
	v_add_u32_e32 v7, v7, v29
	v_add_u32_e32 v6, v6, v9
	v_mov_b32_e32 v29, 0
	s_branch .LBB1906_108
.LBB1906_107:                           ;   in Loop: Header=BB1906_108 Depth=1
	s_or_b64 exec, exec, s[12:13]
	v_cmp_eq_u16_sdwa s[12:13], v8, v93 src0_sel:BYTE_0 src1_sel:DWORD
	v_and_b32_e32 v9, s13, v11
	ds_bpermute_b32 v33, v95, v6
	ds_bpermute_b32 v106, v95, v7
	v_or_b32_e32 v9, 0x80000000, v9
	v_and_b32_e32 v32, s12, v10
	v_ffbl_b32_e32 v9, v9
	v_add_u32_e32 v9, 32, v9
	v_ffbl_b32_e32 v32, v32
	v_min_u32_e32 v9, v32, v9
	s_waitcnt lgkmcnt(1)
	v_add_u32_e32 v32, v33, v6
	s_waitcnt lgkmcnt(0)
	v_add_u32_e32 v33, v106, v7
	v_cmp_lt_u32_e32 vcc, v94, v9
	v_cndmask_b32_e32 v7, v7, v33, vcc
	v_cndmask_b32_e32 v6, v6, v32, vcc
	ds_bpermute_b32 v32, v96, v6
	ds_bpermute_b32 v33, v96, v7
	v_cmp_gt_u32_e32 vcc, v97, v9
	v_subrev_u32_e32 v28, 64, v28
	s_waitcnt lgkmcnt(1)
	v_add_u32_e32 v32, v6, v32
	s_waitcnt lgkmcnt(0)
	v_add_u32_e32 v33, v7, v33
	v_cndmask_b32_e32 v7, v33, v7, vcc
	v_cndmask_b32_e32 v6, v32, v6, vcc
	ds_bpermute_b32 v32, v98, v6
	ds_bpermute_b32 v33, v98, v7
	v_cmp_gt_u32_e32 vcc, v99, v9
	s_waitcnt lgkmcnt(1)
	v_add_u32_e32 v32, v6, v32
	s_waitcnt lgkmcnt(0)
	v_add_u32_e32 v33, v7, v33
	v_cndmask_b32_e32 v7, v33, v7, vcc
	v_cndmask_b32_e32 v6, v32, v6, vcc
	ds_bpermute_b32 v32, v100, v6
	ds_bpermute_b32 v33, v100, v7
	v_cmp_gt_u32_e32 vcc, v101, v9
	s_waitcnt lgkmcnt(1)
	v_add_u32_e32 v32, v6, v32
	s_waitcnt lgkmcnt(0)
	v_add_u32_e32 v33, v7, v33
	v_cndmask_b32_e32 v7, v33, v7, vcc
	v_cndmask_b32_e32 v6, v32, v6, vcc
	ds_bpermute_b32 v32, v102, v6
	ds_bpermute_b32 v33, v102, v7
	v_cmp_gt_u32_e32 vcc, v103, v9
	s_waitcnt lgkmcnt(1)
	v_add_u32_e32 v32, v6, v32
	s_waitcnt lgkmcnt(0)
	v_add_u32_e32 v33, v7, v33
	v_cndmask_b32_e32 v7, v33, v7, vcc
	v_cndmask_b32_e32 v6, v32, v6, vcc
	ds_bpermute_b32 v32, v104, v6
	ds_bpermute_b32 v33, v104, v7
	v_cmp_le_u32_e32 vcc, v105, v9
	s_waitcnt lgkmcnt(1)
	v_cndmask_b32_e32 v9, 0, v32, vcc
	s_waitcnt lgkmcnt(0)
	v_cndmask_b32_e32 v32, 0, v33, vcc
	v_add3_u32 v7, v32, v31, v7
	v_add3_u32 v6, v9, v30, v6
.LBB1906_108:                           ; =>This Loop Header: Depth=1
                                        ;     Child Loop BB1906_111 Depth 2
	v_cmp_ne_u16_sdwa s[12:13], v8, v93 src0_sel:BYTE_0 src1_sel:DWORD
	v_cndmask_b32_e64 v8, 0, 1, s[12:13]
	;;#ASMSTART
	;;#ASMEND
	v_cmp_ne_u32_e32 vcc, 0, v8
	s_cmp_lg_u64 vcc, exec
	v_pk_mov_b32 v[30:31], v[6:7], v[6:7] op_sel:[0,1]
	s_cbranch_scc1 .LBB1906_113
; %bb.109:                              ;   in Loop: Header=BB1906_108 Depth=1
	v_lshlrev_b64 v[6:7], 4, v[28:29]
	v_mov_b32_e32 v8, s51
	v_add_co_u32_e32 v32, vcc, s50, v6
	v_addc_co_u32_e32 v33, vcc, v8, v7, vcc
	;;#ASMSTART
	global_load_dwordx4 v[6:9], v[32:33] off glc	
s_waitcnt vmcnt(0)
	;;#ASMEND
	v_and_b32_e32 v9, 0xff, v7
	v_and_b32_e32 v106, 0xff00, v7
	v_or3_b32 v9, 0, v9, v106
	v_or3_b32 v6, v6, 0, 0
	v_and_b32_e32 v106, 0xff000000, v7
	v_and_b32_e32 v7, 0xff0000, v7
	v_or3_b32 v7, v9, v7, v106
	v_or3_b32 v6, v6, 0, 0
	v_cmp_eq_u16_sdwa s[14:15], v8, v29 src0_sel:BYTE_0 src1_sel:DWORD
	s_and_saveexec_b64 s[12:13], s[14:15]
	s_cbranch_execz .LBB1906_107
; %bb.110:                              ;   in Loop: Header=BB1906_108 Depth=1
	s_mov_b64 s[14:15], 0
.LBB1906_111:                           ;   Parent Loop BB1906_108 Depth=1
                                        ; =>  This Inner Loop Header: Depth=2
	;;#ASMSTART
	global_load_dwordx4 v[6:9], v[32:33] off glc	
s_waitcnt vmcnt(0)
	;;#ASMEND
	v_cmp_ne_u16_sdwa s[18:19], v8, v29 src0_sel:BYTE_0 src1_sel:DWORD
	s_or_b64 s[14:15], s[18:19], s[14:15]
	s_andn2_b64 exec, exec, s[14:15]
	s_cbranch_execnz .LBB1906_111
; %bb.112:                              ;   in Loop: Header=BB1906_108 Depth=1
	s_or_b64 exec, exec, s[14:15]
	s_branch .LBB1906_107
.LBB1906_113:                           ;   in Loop: Header=BB1906_108 Depth=1
                                        ; implicit-def: $vgpr8
                                        ; implicit-def: $vgpr6_vgpr7
	s_cbranch_execz .LBB1906_108
; %bb.114:
	s_and_saveexec_b64 s[12:13], s[8:9]
	s_cbranch_execz .LBB1906_116
; %bb.115:
	s_add_i32 s14, s33, 64
	s_mov_b32 s15, 0
	v_add_u32_e32 v7, v31, v27
	s_lshl_b64 s[14:15], s[14:15], 4
	s_add_u32 s14, s50, s14
	v_and_b32_e32 v8, 0xff000000, v7
	v_and_b32_e32 v10, 0xff0000, v7
	s_addc_u32 s15, s51, s15
	v_or_b32_e32 v8, v10, v8
	v_and_b32_e32 v10, 0xff00, v7
	v_and_b32_e32 v7, 0xff, v7
	v_add_u32_e32 v6, v30, v26
	v_mov_b32_e32 v9, 0
	v_or3_b32 v7, v8, v10, v7
	v_mov_b32_e32 v8, 2
	v_pk_mov_b32 v[10:11], s[14:15], s[14:15] op_sel:[0,1]
	;;#ASMSTART
	global_store_dwordx4 v[10:11], v[6:9] off	
s_waitcnt vmcnt(0)
	;;#ASMEND
	s_movk_i32 s14, 0x3400
	v_add_u32_e64 v6, s14, 0
	ds_write2_b32 v6, v26, v27 offset1:2
	ds_write2_b32 v6, v30, v31 offset0:4 offset1:6
.LBB1906_116:
	s_or_b64 exec, exec, s[12:13]
	s_and_b64 exec, exec, s[0:1]
	s_cbranch_execz .LBB1906_118
; %bb.117:
	v_mov_b32_e32 v6, 0
	ds_write_b64 v6, v[30:31] offset:24
.LBB1906_118:
	s_or_b64 exec, exec, s[10:11]
	v_mov_b32_e32 v6, 0
	s_waitcnt lgkmcnt(0)
	s_barrier
	ds_read_b64 v[10:11], v6 offset:24
	v_cndmask_b32_e64 v25, v92, v25, s[8:9]
	v_cndmask_b32_e64 v1, v1, v24, s[8:9]
	s_movk_i32 s8, 0x3400
	s_waitcnt lgkmcnt(0)
	v_add_u32_e32 v24, v10, v1
	v_add_u32_e64 v1, s8, 0
	s_barrier
	ds_read2_b32 v[6:7], v1 offset1:2
	ds_read2_b32 v[8:9], v1 offset0:4 offset1:6
	v_add_u32_e32 v1, v11, v25
	v_cndmask_b32_e64 v1, v1, v11, s[0:1]
	v_cndmask_b32_e64 v10, v24, v10, s[0:1]
	s_branch .LBB1906_129
.LBB1906_119:
                                        ; implicit-def: $vgpr1
                                        ; implicit-def: $vgpr8
                                        ; implicit-def: $vgpr6
                                        ; implicit-def: $vgpr10_vgpr11
	s_cbranch_execz .LBB1906_129
; %bb.120:
	s_nop 0
	v_mov_b32_dpp v1, v90 row_shr:1 row_mask:0xf bank_mask:0xf
	s_waitcnt lgkmcnt(1)
	v_mov_b32_dpp v6, v91 row_shr:1 row_mask:0xf bank_mask:0xf
	v_add_u32_e32 v1, v1, v90
	v_add_u32_e32 v6, v6, v91
	v_cndmask_b32_e64 v6, v6, v91, s[6:7]
	v_cndmask_b32_e64 v1, v1, v90, s[6:7]
	v_cmp_lt_u32_e32 vcc, 3, v89
	s_waitcnt lgkmcnt(0)
	v_mov_b32_dpp v8, v6 row_shr:2 row_mask:0xf bank_mask:0xf
	v_mov_b32_dpp v7, v1 row_shr:2 row_mask:0xf bank_mask:0xf
	v_add_u32_e32 v7, v1, v7
	v_add_u32_e32 v8, v6, v8
	v_cndmask_b32_e64 v6, v6, v8, s[4:5]
	v_cndmask_b32_e64 v1, v1, v7, s[4:5]
	s_nop 0
	v_mov_b32_dpp v8, v6 row_shr:4 row_mask:0xf bank_mask:0xf
	v_mov_b32_dpp v7, v1 row_shr:4 row_mask:0xf bank_mask:0xf
	v_add_u32_e32 v7, v1, v7
	v_add_u32_e32 v8, v6, v8
	v_cndmask_b32_e32 v6, v6, v8, vcc
	v_cndmask_b32_e32 v1, v1, v7, vcc
	v_cmp_lt_u32_e32 vcc, 7, v89
	v_mov_b32_dpp v8, v6 row_shr:8 row_mask:0xf bank_mask:0xf
	v_mov_b32_dpp v7, v1 row_shr:8 row_mask:0xf bank_mask:0xf
	v_add_u32_e32 v7, v1, v7
	v_add_u32_e32 v8, v6, v8
	v_cndmask_b32_e32 v6, v6, v8, vcc
	v_cndmask_b32_e32 v1, v1, v7, vcc
	v_cmp_eq_u32_e32 vcc, 0, v88
	v_mov_b32_dpp v8, v6 row_bcast:15 row_mask:0xf bank_mask:0xf
	v_mov_b32_dpp v7, v1 row_bcast:15 row_mask:0xf bank_mask:0xf
	v_add_u32_e32 v7, v1, v7
	v_add_u32_e32 v8, v6, v8
	v_cndmask_b32_e32 v6, v8, v6, vcc
	v_cndmask_b32_e32 v1, v7, v1, vcc
	v_cmp_lt_u32_e32 vcc, 31, v85
	v_mov_b32_dpp v8, v6 row_bcast:31 row_mask:0xf bank_mask:0xf
	v_mov_b32_dpp v7, v1 row_bcast:31 row_mask:0xf bank_mask:0xf
	v_add_u32_e32 v8, v6, v8
	v_add_u32_e32 v9, v1, v7
	v_cndmask_b32_e32 v7, v6, v8, vcc
	v_cndmask_b32_e32 v6, v1, v9, vcc
	v_cmp_eq_u32_e32 vcc, v87, v0
	s_and_saveexec_b64 s[4:5], vcc
	s_cbranch_execz .LBB1906_122
; %bb.121:
	v_lshlrev_b32_e32 v1, 3, v86
	ds_write_b64 v1, v[6:7]
.LBB1906_122:
	s_or_b64 exec, exec, s[4:5]
	v_cmp_gt_u32_e32 vcc, 4, v0
	s_waitcnt lgkmcnt(0)
	s_barrier
	s_and_saveexec_b64 s[4:5], vcc
	s_cbranch_execz .LBB1906_124
; %bb.123:
	v_lshlrev_b32_e32 v1, 3, v0
	ds_read_b64 v[8:9], v1
	v_and_b32_e32 v10, 3, v85
	v_cmp_eq_u32_e32 vcc, 0, v10
	s_waitcnt lgkmcnt(0)
	v_mov_b32_dpp v11, v8 row_shr:1 row_mask:0xf bank_mask:0xf
	v_mov_b32_dpp v24, v9 row_shr:1 row_mask:0xf bank_mask:0xf
	v_add_u32_e32 v11, v11, v8
	v_add_u32_e32 v24, v24, v9
	v_cndmask_b32_e32 v9, v24, v9, vcc
	v_cndmask_b32_e32 v8, v11, v8, vcc
	v_cmp_lt_u32_e32 vcc, 1, v10
	v_mov_b32_dpp v24, v9 row_shr:2 row_mask:0xf bank_mask:0xf
	v_mov_b32_dpp v11, v8 row_shr:2 row_mask:0xf bank_mask:0xf
	v_cndmask_b32_e32 v10, 0, v11, vcc
	v_cndmask_b32_e32 v11, 0, v24, vcc
	v_add_u32_e32 v9, v11, v9
	v_add_u32_e32 v8, v10, v8
	ds_write_b64 v1, v[8:9]
.LBB1906_124:
	s_or_b64 exec, exec, s[4:5]
	v_cmp_lt_u32_e32 vcc, 63, v0
	v_mov_b32_e32 v8, 0
	v_mov_b32_e32 v10, 0
	;; [unrolled: 1-line block ×3, first 2 shown]
	s_waitcnt lgkmcnt(0)
	s_barrier
	s_and_saveexec_b64 s[4:5], vcc
	s_cbranch_execz .LBB1906_126
; %bb.125:
	v_lshl_add_u32 v1, v86, 3, -8
	ds_read_b64 v[10:11], v1
.LBB1906_126:
	s_or_b64 exec, exec, s[4:5]
	s_waitcnt lgkmcnt(0)
	v_add_u32_e32 v9, v11, v7
	v_add_u32_e32 v1, v10, v6
	v_add_u32_e32 v6, -1, v85
	v_and_b32_e32 v7, 64, v85
	v_cmp_lt_i32_e32 vcc, v6, v7
	v_cndmask_b32_e32 v6, v6, v85, vcc
	v_lshlrev_b32_e32 v24, 2, v6
	ds_read_b64 v[6:7], v8 offset:24
	ds_bpermute_b32 v1, v24, v1
	ds_bpermute_b32 v24, v24, v9
	s_waitcnt lgkmcnt(2)
	v_readfirstlane_b32 s6, v7
	s_and_saveexec_b64 s[4:5], s[0:1]
	s_cbranch_execz .LBB1906_128
; %bb.127:
	s_add_u32 s8, s50, 0x400
	s_mov_b32 s10, 0
	s_addc_u32 s9, s51, 0
	s_and_b32 s11, s6, 0xff000000
	s_and_b32 s13, s6, 0xff0000
	s_mov_b32 s12, s10
	s_or_b64 s[12:13], s[12:13], s[10:11]
	s_and_b32 s11, s6, 0xff00
	s_or_b64 s[12:13], s[12:13], s[10:11]
	s_and_b32 s11, s6, 0xff
	s_or_b64 s[10:11], s[12:13], s[10:11]
	v_mov_b32_e32 v7, s11
	v_mov_b32_e32 v8, 2
	;; [unrolled: 1-line block ×3, first 2 shown]
	v_pk_mov_b32 v[26:27], s[8:9], s[8:9] op_sel:[0,1]
	;;#ASMSTART
	global_store_dwordx4 v[26:27], v[6:9] off	
s_waitcnt vmcnt(0)
	;;#ASMEND
.LBB1906_128:
	s_or_b64 exec, exec, s[4:5]
	v_cmp_eq_u32_e32 vcc, 0, v85
	s_waitcnt lgkmcnt(1)
	v_cndmask_b32_e32 v7, v1, v10, vcc
	s_waitcnt lgkmcnt(0)
	v_cndmask_b32_e32 v1, v24, v11, vcc
	v_mov_b32_e32 v8, 0
	v_cndmask_b32_e64 v1, v1, 0, s[0:1]
	v_cndmask_b32_e64 v10, v7, 0, s[0:1]
	s_barrier
	v_mov_b32_e32 v7, s6
	v_mov_b32_e32 v9, 0
.LBB1906_129:
	v_add_u32_e32 v11, v10, v67
	v_add_u32_e32 v26, v1, v68
	;; [unrolled: 1-line block ×13, first 2 shown]
	s_waitcnt vmcnt(0) lgkmcnt(0)
	v_add_co_u32_e32 v2, vcc, v2, v8
	v_add_u32_e32 v68, v62, v74
	v_add_u32_e32 v64, v67, v64
	v_addc_co_u32_e32 v3, vcc, 0, v3, vcc
	v_add_u32_e32 v69, v68, v82
	v_add_u32_e32 v70, v64, v75
	v_sub_co_u32_e32 v24, vcc, v4, v6
	v_add_u32_e32 v71, v69, v76
	v_add_u32_e32 v65, v70, v65
	v_subbrev_co_u32_e32 v25, vcc, 0, v5, vcc
	v_lshlrev_b32_e32 v76, 1, v6
	v_sub_u32_e32 v1, v1, v9
	v_add_u32_e32 v73, v65, v77
	v_add_co_u32_e32 v24, vcc, v24, v9
	v_add_u32_e32 v77, v76, v7
	v_sub_u32_e32 v10, v10, v8
	v_add_u32_e32 v1, v1, v6
	v_addc_co_u32_e32 v25, vcc, 0, v25, vcc
	v_add_u32_e32 v36, v77, v36
	v_and_b32_e32 v38, 1, v38
	v_add_u32_e32 v77, v10, v1
	v_and_b32_e32 v37, 1, v37
	v_sub_u32_e32 v77, v36, v77
	v_cmp_eq_u32_e32 vcc, 1, v38
	v_cndmask_b32_e32 v1, v77, v1, vcc
	v_cmp_eq_u32_e32 vcc, 1, v37
	v_cndmask_b32_e32 v1, v1, v10, vcc
	v_lshlrev_b32_e32 v1, 2, v1
	ds_write_b32 v1, v22
	v_sub_u32_e32 v1, v11, v8
	v_sub_u32_e32 v11, v26, v9
	v_add_u32_e32 v11, v11, v6
	v_add_u32_e32 v26, v11, v1
	v_and_b32_e32 v22, 1, v40
	v_sub_u32_e32 v26, v36, v26
	v_and_b32_e32 v10, 1, v39
	v_add_u32_e32 v26, 1, v26
	v_cmp_eq_u32_e32 vcc, 1, v22
	v_cndmask_b32_e32 v11, v26, v11, vcc
	v_cmp_eq_u32_e32 vcc, 1, v10
	v_cndmask_b32_e32 v1, v11, v1, vcc
	v_lshlrev_b32_e32 v1, 2, v1
	v_sub_u32_e32 v11, v27, v9
	ds_write_b32 v1, v23
	v_sub_u32_e32 v1, v28, v8
	v_add_u32_e32 v11, v11, v6
	v_add_u32_e32 v23, v11, v1
	v_and_b32_e32 v22, 1, v42
	v_sub_u32_e32 v23, v36, v23
	v_and_b32_e32 v10, 1, v41
	v_add_u32_e32 v23, 2, v23
	v_cmp_eq_u32_e32 vcc, 1, v22
	v_cndmask_b32_e32 v11, v23, v11, vcc
	v_cmp_eq_u32_e32 vcc, 1, v10
	v_cndmask_b32_e32 v1, v11, v1, vcc
	v_lshlrev_b32_e32 v1, 2, v1
	v_sub_u32_e32 v11, v30, v9
	ds_write_b32 v1, v20
	;; [unrolled: 14-line block ×8, first 2 shown]
	v_sub_u32_e32 v1, v70, v8
	v_add_u32_e32 v11, v11, v6
	v_add_u32_e32 v16, v1, v11
	v_and_b32_e32 v14, 1, v55
	v_sub_u32_e32 v16, v36, v16
	v_and_b32_e32 v10, 1, v56
	v_add_u32_e32 v16, 9, v16
	v_cmp_eq_u32_e32 vcc, 1, v14
	v_cndmask_b32_e32 v11, v16, v11, vcc
	v_cmp_eq_u32_e32 vcc, 1, v10
	v_add_u32_e32 v72, v71, v83
	v_cndmask_b32_e32 v1, v11, v1, vcc
	v_lshlrev_b32_e32 v1, 2, v1
	v_sub_u32_e32 v11, v72, v9
	ds_write_b32 v1, v15
	v_sub_u32_e32 v1, v65, v8
	v_add_u32_e32 v11, v11, v6
	v_add_u32_e32 v15, v1, v11
	v_and_b32_e32 v14, 1, v57
	v_sub_u32_e32 v15, v36, v15
	v_and_b32_e32 v10, 1, v58
	v_add_u32_e32 v15, 10, v15
	v_cmp_eq_u32_e32 vcc, 1, v14
	v_cndmask_b32_e32 v11, v15, v11, vcc
	v_cmp_eq_u32_e32 vcc, 1, v10
	v_add_u32_e32 v74, v72, v78
	v_cndmask_b32_e32 v1, v11, v1, vcc
	v_lshlrev_b32_e32 v1, 2, v1
	v_sub_u32_e32 v11, v74, v9
	ds_write_b32 v1, v12
	v_sub_u32_e32 v1, v73, v8
	v_add_u32_e32 v11, v11, v6
	v_add_u32_e32 v14, v1, v11
	v_and_b32_e32 v12, 1, v59
	v_sub_u32_e32 v14, v36, v14
	v_and_b32_e32 v10, 1, v60
	v_add_u32_e32 v14, 11, v14
	v_cmp_eq_u32_e32 vcc, 1, v12
	v_cndmask_b32_e32 v11, v14, v11, vcc
	v_cmp_eq_u32_e32 vcc, 1, v10
	v_cndmask_b32_e32 v1, v11, v1, vcc
	v_add_u32_e32 v75, v74, v84
	v_add_u32_e32 v66, v73, v66
	v_lshlrev_b32_e32 v1, 2, v1
	ds_write_b32 v1, v13
	v_sub_u32_e32 v1, v66, v8
	v_sub_u32_e32 v8, v75, v9
	v_add_u32_e32 v8, v8, v6
	v_add_u32_e32 v10, v1, v8
	v_sub_u32_e32 v10, v36, v10
	v_add_u32_e32 v10, 12, v10
	v_cndmask_b32_e64 v8, v10, v8, s[54:55]
	v_cndmask_b32_e64 v1, v8, v1, s[52:53]
	v_lshlrev_b32_e32 v1, 2, v1
	ds_write_b32 v1, v35
	v_mov_b32_e32 v1, s49
	v_add_co_u32_e32 v8, vcc, s48, v34
	v_addc_co_u32_e32 v10, vcc, 0, v1, vcc
	v_add_co_u32_e32 v1, vcc, v7, v76
	v_addc_co_u32_e64 v11, s[4:5], 0, 0, vcc
	v_add_co_u32_e32 v1, vcc, v1, v24
	v_addc_co_u32_e32 v11, vcc, v11, v25, vcc
	v_add_co_u32_e32 v1, vcc, v1, v2
	v_addc_co_u32_e32 v11, vcc, v11, v3, vcc
	v_sub_co_u32_e32 v1, vcc, v8, v1
	v_subb_co_u32_e32 v8, vcc, v10, v11, vcc
	v_lshlrev_b64 v[10:11], 2, v[24:25]
	v_mov_b32_e32 v12, s47
	v_add_co_u32_e32 v10, vcc, s46, v10
	v_addc_co_u32_e32 v11, vcc, v12, v11, vcc
	v_lshlrev_b64 v[12:13], 2, v[2:3]
	v_mov_b32_e32 v15, s45
	v_add_co_u32_e32 v12, vcc, s44, v12
	s_add_u32 s8, s34, -4
	v_addc_co_u32_e32 v13, vcc, v15, v13, vcc
	s_addc_u32 s9, s35, -1
	v_add_u32_e32 v14, v6, v7
	s_and_b64 vcc, exec, s[2:3]
	s_mov_b64 s[2:3], -1
	s_waitcnt lgkmcnt(0)
	s_barrier
	s_cbranch_vccz .LBB1906_133
; %bb.130:
	s_and_b64 vcc, exec, s[2:3]
	s_cbranch_vccnz .LBB1906_238
.LBB1906_131:
	s_and_b64 s[0:1], s[0:1], s[30:31]
	s_and_saveexec_b64 s[2:3], s[0:1]
	s_cbranch_execnz .LBB1906_356
.LBB1906_132:
	s_endpgm
.LBB1906_133:
	v_cmp_le_u32_e32 vcc, v6, v0
	s_and_saveexec_b64 s[2:3], vcc
	s_xor_b64 s[2:3], exec, s[2:3]
	s_cbranch_execz .LBB1906_139
; %bb.134:
	v_cmp_le_u32_e32 vcc, v14, v0
	s_and_saveexec_b64 s[4:5], vcc
	s_xor_b64 s[4:5], exec, s[4:5]
	s_cbranch_execz .LBB1906_136
; %bb.135:
	v_lshlrev_b32_e32 v15, 2, v0
	v_add_co_u32_e32 v16, vcc, v1, v0
	ds_read_b32 v15, v15
	v_addc_co_u32_e32 v17, vcc, 0, v8, vcc
	v_lshlrev_b64 v[16:17], 2, v[16:17]
	v_mov_b32_e32 v18, s35
	v_sub_co_u32_e32 v16, vcc, s34, v16
	v_subb_co_u32_e32 v17, vcc, v18, v17, vcc
	s_waitcnt lgkmcnt(0)
	global_store_dword v[16:17], v15, off offset:-4
.LBB1906_136:
	s_andn2_saveexec_b64 s[4:5], s[4:5]
	s_cbranch_execz .LBB1906_138
; %bb.137:
	v_lshlrev_b32_e32 v15, 2, v0
	ds_read_b32 v16, v15
	v_readfirstlane_b32 s6, v10
	v_readfirstlane_b32 s7, v11
	s_waitcnt lgkmcnt(0)
	s_nop 3
	global_store_dword v15, v16, s[6:7]
.LBB1906_138:
	s_or_b64 exec, exec, s[4:5]
.LBB1906_139:
	s_andn2_saveexec_b64 s[2:3], s[2:3]
	s_cbranch_execz .LBB1906_141
; %bb.140:
	v_lshlrev_b32_e32 v15, 2, v0
	ds_read_b32 v16, v15
	v_readfirstlane_b32 s4, v12
	v_readfirstlane_b32 s5, v13
	s_waitcnt lgkmcnt(0)
	s_nop 3
	global_store_dword v15, v16, s[4:5]
.LBB1906_141:
	s_or_b64 exec, exec, s[2:3]
	v_or_b32_e32 v15, 0x100, v0
	v_cmp_le_u32_e32 vcc, v6, v15
	s_and_saveexec_b64 s[2:3], vcc
	s_xor_b64 s[2:3], exec, s[2:3]
	s_cbranch_execz .LBB1906_147
; %bb.142:
	v_cmp_le_u32_e32 vcc, v14, v15
	s_and_saveexec_b64 s[4:5], vcc
	s_xor_b64 s[4:5], exec, s[4:5]
	s_cbranch_execz .LBB1906_144
; %bb.143:
	v_lshlrev_b32_e32 v15, 2, v0
	ds_read_b32 v15, v15 offset:1024
	v_add_co_u32_e32 v16, vcc, v1, v0
	v_addc_co_u32_e32 v17, vcc, 0, v8, vcc
	v_lshlrev_b64 v[16:17], 2, v[16:17]
	v_mov_b32_e32 v18, s9
	v_sub_co_u32_e32 v16, vcc, s8, v16
	v_subb_co_u32_e32 v17, vcc, v18, v17, vcc
	s_waitcnt lgkmcnt(0)
	global_store_dword v[16:17], v15, off offset:-1024
.LBB1906_144:
	s_andn2_saveexec_b64 s[4:5], s[4:5]
	s_cbranch_execz .LBB1906_146
; %bb.145:
	v_lshlrev_b32_e32 v15, 2, v0
	ds_read_b32 v16, v15 offset:1024
	v_readfirstlane_b32 s6, v10
	v_readfirstlane_b32 s7, v11
	s_waitcnt lgkmcnt(0)
	s_nop 3
	global_store_dword v15, v16, s[6:7] offset:1024
.LBB1906_146:
	s_or_b64 exec, exec, s[4:5]
.LBB1906_147:
	s_andn2_saveexec_b64 s[2:3], s[2:3]
	s_cbranch_execz .LBB1906_149
; %bb.148:
	v_lshlrev_b32_e32 v15, 2, v0
	ds_read_b32 v16, v15 offset:1024
	v_readfirstlane_b32 s4, v12
	v_readfirstlane_b32 s5, v13
	s_waitcnt lgkmcnt(0)
	s_nop 3
	global_store_dword v15, v16, s[4:5] offset:1024
.LBB1906_149:
	s_or_b64 exec, exec, s[2:3]
	v_or_b32_e32 v15, 0x200, v0
	v_cmp_le_u32_e32 vcc, v6, v15
	s_and_saveexec_b64 s[2:3], vcc
	s_xor_b64 s[2:3], exec, s[2:3]
	s_cbranch_execz .LBB1906_155
; %bb.150:
	v_cmp_le_u32_e32 vcc, v14, v15
	s_and_saveexec_b64 s[4:5], vcc
	s_xor_b64 s[4:5], exec, s[4:5]
	s_cbranch_execz .LBB1906_152
; %bb.151:
	v_lshlrev_b32_e32 v15, 2, v0
	ds_read_b32 v15, v15 offset:2048
	v_add_co_u32_e32 v16, vcc, v1, v0
	v_addc_co_u32_e32 v17, vcc, 0, v8, vcc
	v_lshlrev_b64 v[16:17], 2, v[16:17]
	v_mov_b32_e32 v18, s9
	v_sub_co_u32_e32 v16, vcc, s8, v16
	v_subb_co_u32_e32 v17, vcc, v18, v17, vcc
	s_waitcnt lgkmcnt(0)
	global_store_dword v[16:17], v15, off offset:-2048
.LBB1906_152:
	s_andn2_saveexec_b64 s[4:5], s[4:5]
	s_cbranch_execz .LBB1906_154
; %bb.153:
	v_lshlrev_b32_e32 v15, 2, v0
	ds_read_b32 v16, v15 offset:2048
	v_readfirstlane_b32 s6, v10
	v_readfirstlane_b32 s7, v11
	s_waitcnt lgkmcnt(0)
	s_nop 3
	global_store_dword v15, v16, s[6:7] offset:2048
.LBB1906_154:
	s_or_b64 exec, exec, s[4:5]
.LBB1906_155:
	s_andn2_saveexec_b64 s[2:3], s[2:3]
	s_cbranch_execz .LBB1906_157
; %bb.156:
	v_lshlrev_b32_e32 v15, 2, v0
	ds_read_b32 v16, v15 offset:2048
	v_readfirstlane_b32 s4, v12
	v_readfirstlane_b32 s5, v13
	s_waitcnt lgkmcnt(0)
	s_nop 3
	global_store_dword v15, v16, s[4:5] offset:2048
.LBB1906_157:
	;; [unrolled: 47-line block ×3, first 2 shown]
	s_or_b64 exec, exec, s[2:3]
	v_or_b32_e32 v15, 0x400, v0
	v_cmp_le_u32_e32 vcc, v6, v15
	s_and_saveexec_b64 s[2:3], vcc
	s_xor_b64 s[2:3], exec, s[2:3]
	s_cbranch_execz .LBB1906_171
; %bb.166:
	v_cmp_le_u32_e32 vcc, v14, v15
	s_and_saveexec_b64 s[4:5], vcc
	s_xor_b64 s[4:5], exec, s[4:5]
	s_cbranch_execz .LBB1906_168
; %bb.167:
	v_lshlrev_b32_e32 v15, 2, v0
	ds_read_b32 v15, v15 offset:4096
	v_add_co_u32_e32 v16, vcc, v1, v0
	v_addc_co_u32_e32 v17, vcc, 0, v8, vcc
	v_lshlrev_b64 v[16:17], 2, v[16:17]
	v_mov_b32_e32 v18, s9
	v_sub_co_u32_e32 v16, vcc, s8, v16
	v_subb_co_u32_e32 v17, vcc, v18, v17, vcc
	s_waitcnt lgkmcnt(0)
	global_store_dword v[16:17], v15, off offset:-4096
                                        ; implicit-def: $vgpr15
.LBB1906_168:
	s_andn2_saveexec_b64 s[4:5], s[4:5]
	s_cbranch_execz .LBB1906_170
; %bb.169:
	v_lshlrev_b32_e32 v16, 2, v0
	ds_read_b32 v16, v16 offset:4096
	v_lshlrev_b32_e32 v15, 2, v15
	v_readfirstlane_b32 s6, v10
	v_readfirstlane_b32 s7, v11
	s_waitcnt lgkmcnt(0)
	s_nop 3
	global_store_dword v15, v16, s[6:7]
.LBB1906_170:
	s_or_b64 exec, exec, s[4:5]
                                        ; implicit-def: $vgpr15
.LBB1906_171:
	s_andn2_saveexec_b64 s[2:3], s[2:3]
	s_cbranch_execz .LBB1906_173
; %bb.172:
	v_lshlrev_b32_e32 v16, 2, v0
	ds_read_b32 v16, v16 offset:4096
	v_lshlrev_b32_e32 v15, 2, v15
	v_readfirstlane_b32 s4, v12
	v_readfirstlane_b32 s5, v13
	s_waitcnt lgkmcnt(0)
	s_nop 3
	global_store_dword v15, v16, s[4:5]
.LBB1906_173:
	s_or_b64 exec, exec, s[2:3]
	v_or_b32_e32 v15, 0x500, v0
	v_cmp_le_u32_e32 vcc, v6, v15
	s_and_saveexec_b64 s[2:3], vcc
	s_xor_b64 s[2:3], exec, s[2:3]
	s_cbranch_execz .LBB1906_179
; %bb.174:
	v_cmp_le_u32_e32 vcc, v14, v15
	s_and_saveexec_b64 s[4:5], vcc
	s_xor_b64 s[4:5], exec, s[4:5]
	s_cbranch_execz .LBB1906_176
; %bb.175:
	v_add_co_u32_e32 v16, vcc, v1, v15
	v_lshlrev_b32_e32 v15, 2, v0
	ds_read_b32 v15, v15 offset:5120
	v_addc_co_u32_e32 v17, vcc, 0, v8, vcc
	v_lshlrev_b64 v[16:17], 2, v[16:17]
	v_mov_b32_e32 v18, s9
	v_sub_co_u32_e32 v16, vcc, s8, v16
	v_subb_co_u32_e32 v17, vcc, v18, v17, vcc
	s_waitcnt lgkmcnt(0)
	global_store_dword v[16:17], v15, off
                                        ; implicit-def: $vgpr15
.LBB1906_176:
	s_andn2_saveexec_b64 s[4:5], s[4:5]
	s_cbranch_execz .LBB1906_178
; %bb.177:
	v_lshlrev_b32_e32 v16, 2, v0
	ds_read_b32 v16, v16 offset:5120
	v_lshlrev_b32_e32 v15, 2, v15
	v_readfirstlane_b32 s6, v10
	v_readfirstlane_b32 s7, v11
	s_waitcnt lgkmcnt(0)
	s_nop 3
	global_store_dword v15, v16, s[6:7]
.LBB1906_178:
	s_or_b64 exec, exec, s[4:5]
                                        ; implicit-def: $vgpr15
.LBB1906_179:
	s_andn2_saveexec_b64 s[2:3], s[2:3]
	s_cbranch_execz .LBB1906_181
; %bb.180:
	v_lshlrev_b32_e32 v16, 2, v0
	ds_read_b32 v16, v16 offset:5120
	v_lshlrev_b32_e32 v15, 2, v15
	v_readfirstlane_b32 s4, v12
	v_readfirstlane_b32 s5, v13
	s_waitcnt lgkmcnt(0)
	s_nop 3
	global_store_dword v15, v16, s[4:5]
.LBB1906_181:
	s_or_b64 exec, exec, s[2:3]
	v_or_b32_e32 v15, 0x600, v0
	v_cmp_le_u32_e32 vcc, v6, v15
	s_and_saveexec_b64 s[2:3], vcc
	s_xor_b64 s[2:3], exec, s[2:3]
	s_cbranch_execz .LBB1906_187
; %bb.182:
	v_cmp_le_u32_e32 vcc, v14, v15
	s_and_saveexec_b64 s[4:5], vcc
	s_xor_b64 s[4:5], exec, s[4:5]
	s_cbranch_execz .LBB1906_184
; %bb.183:
	v_add_co_u32_e32 v16, vcc, v1, v15
	v_lshlrev_b32_e32 v15, 2, v0
	ds_read_b32 v15, v15 offset:6144
	v_addc_co_u32_e32 v17, vcc, 0, v8, vcc
	v_lshlrev_b64 v[16:17], 2, v[16:17]
	v_mov_b32_e32 v18, s9
	v_sub_co_u32_e32 v16, vcc, s8, v16
	v_subb_co_u32_e32 v17, vcc, v18, v17, vcc
	s_waitcnt lgkmcnt(0)
	global_store_dword v[16:17], v15, off
                                        ; implicit-def: $vgpr15
.LBB1906_184:
	s_andn2_saveexec_b64 s[4:5], s[4:5]
	s_cbranch_execz .LBB1906_186
; %bb.185:
	v_lshlrev_b32_e32 v16, 2, v0
	ds_read_b32 v16, v16 offset:6144
	v_lshlrev_b32_e32 v15, 2, v15
	v_readfirstlane_b32 s6, v10
	v_readfirstlane_b32 s7, v11
	s_waitcnt lgkmcnt(0)
	s_nop 3
	global_store_dword v15, v16, s[6:7]
.LBB1906_186:
	s_or_b64 exec, exec, s[4:5]
                                        ; implicit-def: $vgpr15
.LBB1906_187:
	;; [unrolled: 51-line block ×8, first 2 shown]
	s_andn2_saveexec_b64 s[2:3], s[2:3]
	s_cbranch_execz .LBB1906_237
; %bb.236:
	v_lshlrev_b32_e32 v16, 2, v0
	ds_read_b32 v16, v16 offset:12288
	v_lshlrev_b32_e32 v15, 2, v15
	v_readfirstlane_b32 s4, v12
	v_readfirstlane_b32 s5, v13
	s_waitcnt lgkmcnt(0)
	s_nop 3
	global_store_dword v15, v16, s[4:5]
.LBB1906_237:
	s_or_b64 exec, exec, s[2:3]
	s_branch .LBB1906_131
.LBB1906_238:
	v_cmp_gt_u32_e32 vcc, s16, v0
	s_and_saveexec_b64 s[2:3], vcc
	s_cbranch_execz .LBB1906_247
; %bb.239:
	v_cmp_le_u32_e32 vcc, v6, v0
	s_and_saveexec_b64 s[4:5], vcc
	s_xor_b64 s[4:5], exec, s[4:5]
	s_cbranch_execz .LBB1906_245
; %bb.240:
	v_cmp_le_u32_e32 vcc, v14, v0
	s_and_saveexec_b64 s[6:7], vcc
	s_xor_b64 s[6:7], exec, s[6:7]
	s_cbranch_execz .LBB1906_242
; %bb.241:
	v_lshlrev_b32_e32 v15, 2, v0
	v_add_co_u32_e32 v16, vcc, v1, v0
	ds_read_b32 v15, v15
	v_addc_co_u32_e32 v17, vcc, 0, v8, vcc
	v_lshlrev_b64 v[16:17], 2, v[16:17]
	v_mov_b32_e32 v18, s35
	v_sub_co_u32_e32 v16, vcc, s34, v16
	v_subb_co_u32_e32 v17, vcc, v18, v17, vcc
	s_waitcnt lgkmcnt(0)
	global_store_dword v[16:17], v15, off offset:-4
.LBB1906_242:
	s_andn2_saveexec_b64 s[6:7], s[6:7]
	s_cbranch_execz .LBB1906_244
; %bb.243:
	v_lshlrev_b32_e32 v15, 2, v0
	ds_read_b32 v16, v15
	v_readfirstlane_b32 s10, v10
	v_readfirstlane_b32 s11, v11
	s_waitcnt lgkmcnt(0)
	s_nop 3
	global_store_dword v15, v16, s[10:11]
.LBB1906_244:
	s_or_b64 exec, exec, s[6:7]
.LBB1906_245:
	s_andn2_saveexec_b64 s[4:5], s[4:5]
	s_cbranch_execz .LBB1906_247
; %bb.246:
	v_lshlrev_b32_e32 v15, 2, v0
	ds_read_b32 v16, v15
	v_readfirstlane_b32 s4, v12
	v_readfirstlane_b32 s5, v13
	s_waitcnt lgkmcnt(0)
	s_nop 3
	global_store_dword v15, v16, s[4:5]
.LBB1906_247:
	s_or_b64 exec, exec, s[2:3]
	v_or_b32_e32 v15, 0x100, v0
	v_cmp_gt_u32_e32 vcc, s16, v15
	s_and_saveexec_b64 s[2:3], vcc
	s_cbranch_execz .LBB1906_256
; %bb.248:
	v_cmp_le_u32_e32 vcc, v6, v15
	s_and_saveexec_b64 s[4:5], vcc
	s_xor_b64 s[4:5], exec, s[4:5]
	s_cbranch_execz .LBB1906_254
; %bb.249:
	v_cmp_le_u32_e32 vcc, v14, v15
	s_and_saveexec_b64 s[6:7], vcc
	s_xor_b64 s[6:7], exec, s[6:7]
	s_cbranch_execz .LBB1906_251
; %bb.250:
	v_lshlrev_b32_e32 v15, 2, v0
	ds_read_b32 v15, v15 offset:1024
	v_add_co_u32_e32 v16, vcc, v1, v0
	v_addc_co_u32_e32 v17, vcc, 0, v8, vcc
	v_lshlrev_b64 v[16:17], 2, v[16:17]
	v_mov_b32_e32 v18, s9
	v_sub_co_u32_e32 v16, vcc, s8, v16
	v_subb_co_u32_e32 v17, vcc, v18, v17, vcc
	s_waitcnt lgkmcnt(0)
	global_store_dword v[16:17], v15, off offset:-1024
.LBB1906_251:
	s_andn2_saveexec_b64 s[6:7], s[6:7]
	s_cbranch_execz .LBB1906_253
; %bb.252:
	v_lshlrev_b32_e32 v15, 2, v0
	ds_read_b32 v16, v15 offset:1024
	v_readfirstlane_b32 s10, v10
	v_readfirstlane_b32 s11, v11
	s_waitcnt lgkmcnt(0)
	s_nop 3
	global_store_dword v15, v16, s[10:11] offset:1024
.LBB1906_253:
	s_or_b64 exec, exec, s[6:7]
.LBB1906_254:
	s_andn2_saveexec_b64 s[4:5], s[4:5]
	s_cbranch_execz .LBB1906_256
; %bb.255:
	v_lshlrev_b32_e32 v15, 2, v0
	ds_read_b32 v16, v15 offset:1024
	v_readfirstlane_b32 s4, v12
	v_readfirstlane_b32 s5, v13
	s_waitcnt lgkmcnt(0)
	s_nop 3
	global_store_dword v15, v16, s[4:5] offset:1024
.LBB1906_256:
	s_or_b64 exec, exec, s[2:3]
	v_or_b32_e32 v15, 0x200, v0
	v_cmp_gt_u32_e32 vcc, s16, v15
	s_and_saveexec_b64 s[2:3], vcc
	s_cbranch_execz .LBB1906_265
; %bb.257:
	v_cmp_le_u32_e32 vcc, v6, v15
	s_and_saveexec_b64 s[4:5], vcc
	s_xor_b64 s[4:5], exec, s[4:5]
	s_cbranch_execz .LBB1906_263
; %bb.258:
	v_cmp_le_u32_e32 vcc, v14, v15
	s_and_saveexec_b64 s[6:7], vcc
	s_xor_b64 s[6:7], exec, s[6:7]
	s_cbranch_execz .LBB1906_260
; %bb.259:
	v_lshlrev_b32_e32 v15, 2, v0
	ds_read_b32 v15, v15 offset:2048
	v_add_co_u32_e32 v16, vcc, v1, v0
	v_addc_co_u32_e32 v17, vcc, 0, v8, vcc
	v_lshlrev_b64 v[16:17], 2, v[16:17]
	v_mov_b32_e32 v18, s9
	v_sub_co_u32_e32 v16, vcc, s8, v16
	v_subb_co_u32_e32 v17, vcc, v18, v17, vcc
	s_waitcnt lgkmcnt(0)
	global_store_dword v[16:17], v15, off offset:-2048
.LBB1906_260:
	s_andn2_saveexec_b64 s[6:7], s[6:7]
	s_cbranch_execz .LBB1906_262
; %bb.261:
	v_lshlrev_b32_e32 v15, 2, v0
	ds_read_b32 v16, v15 offset:2048
	v_readfirstlane_b32 s10, v10
	v_readfirstlane_b32 s11, v11
	s_waitcnt lgkmcnt(0)
	s_nop 3
	global_store_dword v15, v16, s[10:11] offset:2048
.LBB1906_262:
	s_or_b64 exec, exec, s[6:7]
.LBB1906_263:
	s_andn2_saveexec_b64 s[4:5], s[4:5]
	s_cbranch_execz .LBB1906_265
; %bb.264:
	v_lshlrev_b32_e32 v15, 2, v0
	ds_read_b32 v16, v15 offset:2048
	v_readfirstlane_b32 s4, v12
	v_readfirstlane_b32 s5, v13
	s_waitcnt lgkmcnt(0)
	s_nop 3
	global_store_dword v15, v16, s[4:5] offset:2048
.LBB1906_265:
	;; [unrolled: 51-line block ×3, first 2 shown]
	s_or_b64 exec, exec, s[2:3]
	v_or_b32_e32 v15, 0x400, v0
	v_cmp_gt_u32_e32 vcc, s16, v15
	s_and_saveexec_b64 s[2:3], vcc
	s_cbranch_execz .LBB1906_283
; %bb.275:
	v_cmp_le_u32_e32 vcc, v6, v15
	s_and_saveexec_b64 s[4:5], vcc
	s_xor_b64 s[4:5], exec, s[4:5]
	s_cbranch_execz .LBB1906_281
; %bb.276:
	v_cmp_le_u32_e32 vcc, v14, v15
	s_and_saveexec_b64 s[6:7], vcc
	s_xor_b64 s[6:7], exec, s[6:7]
	s_cbranch_execz .LBB1906_278
; %bb.277:
	v_lshlrev_b32_e32 v15, 2, v0
	ds_read_b32 v15, v15 offset:4096
	v_add_co_u32_e32 v16, vcc, v1, v0
	v_addc_co_u32_e32 v17, vcc, 0, v8, vcc
	v_lshlrev_b64 v[16:17], 2, v[16:17]
	v_mov_b32_e32 v18, s9
	v_sub_co_u32_e32 v16, vcc, s8, v16
	v_subb_co_u32_e32 v17, vcc, v18, v17, vcc
	s_waitcnt lgkmcnt(0)
	global_store_dword v[16:17], v15, off offset:-4096
                                        ; implicit-def: $vgpr15
.LBB1906_278:
	s_andn2_saveexec_b64 s[6:7], s[6:7]
	s_cbranch_execz .LBB1906_280
; %bb.279:
	v_lshlrev_b32_e32 v16, 2, v0
	ds_read_b32 v16, v16 offset:4096
	v_lshlrev_b32_e32 v15, 2, v15
	v_readfirstlane_b32 s10, v10
	v_readfirstlane_b32 s11, v11
	s_waitcnt lgkmcnt(0)
	s_nop 3
	global_store_dword v15, v16, s[10:11]
.LBB1906_280:
	s_or_b64 exec, exec, s[6:7]
                                        ; implicit-def: $vgpr15
.LBB1906_281:
	s_andn2_saveexec_b64 s[4:5], s[4:5]
	s_cbranch_execz .LBB1906_283
; %bb.282:
	v_lshlrev_b32_e32 v16, 2, v0
	ds_read_b32 v16, v16 offset:4096
	v_lshlrev_b32_e32 v15, 2, v15
	v_readfirstlane_b32 s4, v12
	v_readfirstlane_b32 s5, v13
	s_waitcnt lgkmcnt(0)
	s_nop 3
	global_store_dword v15, v16, s[4:5]
.LBB1906_283:
	s_or_b64 exec, exec, s[2:3]
	v_or_b32_e32 v15, 0x500, v0
	v_cmp_gt_u32_e32 vcc, s16, v15
	s_and_saveexec_b64 s[2:3], vcc
	s_cbranch_execz .LBB1906_292
; %bb.284:
	v_cmp_le_u32_e32 vcc, v6, v15
	s_and_saveexec_b64 s[4:5], vcc
	s_xor_b64 s[4:5], exec, s[4:5]
	s_cbranch_execz .LBB1906_290
; %bb.285:
	v_cmp_le_u32_e32 vcc, v14, v15
	s_and_saveexec_b64 s[6:7], vcc
	s_xor_b64 s[6:7], exec, s[6:7]
	s_cbranch_execz .LBB1906_287
; %bb.286:
	v_add_co_u32_e32 v16, vcc, v1, v15
	v_lshlrev_b32_e32 v15, 2, v0
	ds_read_b32 v15, v15 offset:5120
	v_addc_co_u32_e32 v17, vcc, 0, v8, vcc
	v_lshlrev_b64 v[16:17], 2, v[16:17]
	v_mov_b32_e32 v18, s9
	v_sub_co_u32_e32 v16, vcc, s8, v16
	v_subb_co_u32_e32 v17, vcc, v18, v17, vcc
	s_waitcnt lgkmcnt(0)
	global_store_dword v[16:17], v15, off
                                        ; implicit-def: $vgpr15
.LBB1906_287:
	s_andn2_saveexec_b64 s[6:7], s[6:7]
	s_cbranch_execz .LBB1906_289
; %bb.288:
	v_lshlrev_b32_e32 v16, 2, v0
	ds_read_b32 v16, v16 offset:5120
	v_lshlrev_b32_e32 v15, 2, v15
	v_readfirstlane_b32 s10, v10
	v_readfirstlane_b32 s11, v11
	s_waitcnt lgkmcnt(0)
	s_nop 3
	global_store_dword v15, v16, s[10:11]
.LBB1906_289:
	s_or_b64 exec, exec, s[6:7]
                                        ; implicit-def: $vgpr15
.LBB1906_290:
	s_andn2_saveexec_b64 s[4:5], s[4:5]
	s_cbranch_execz .LBB1906_292
; %bb.291:
	v_lshlrev_b32_e32 v16, 2, v0
	ds_read_b32 v16, v16 offset:5120
	v_lshlrev_b32_e32 v15, 2, v15
	v_readfirstlane_b32 s4, v12
	v_readfirstlane_b32 s5, v13
	s_waitcnt lgkmcnt(0)
	s_nop 3
	global_store_dword v15, v16, s[4:5]
.LBB1906_292:
	s_or_b64 exec, exec, s[2:3]
	v_or_b32_e32 v15, 0x600, v0
	v_cmp_gt_u32_e32 vcc, s16, v15
	s_and_saveexec_b64 s[2:3], vcc
	s_cbranch_execz .LBB1906_301
; %bb.293:
	v_cmp_le_u32_e32 vcc, v6, v15
	s_and_saveexec_b64 s[4:5], vcc
	s_xor_b64 s[4:5], exec, s[4:5]
	s_cbranch_execz .LBB1906_299
; %bb.294:
	v_cmp_le_u32_e32 vcc, v14, v15
	s_and_saveexec_b64 s[6:7], vcc
	s_xor_b64 s[6:7], exec, s[6:7]
	s_cbranch_execz .LBB1906_296
; %bb.295:
	v_add_co_u32_e32 v16, vcc, v1, v15
	v_lshlrev_b32_e32 v15, 2, v0
	ds_read_b32 v15, v15 offset:6144
	v_addc_co_u32_e32 v17, vcc, 0, v8, vcc
	v_lshlrev_b64 v[16:17], 2, v[16:17]
	v_mov_b32_e32 v18, s9
	v_sub_co_u32_e32 v16, vcc, s8, v16
	v_subb_co_u32_e32 v17, vcc, v18, v17, vcc
	s_waitcnt lgkmcnt(0)
	global_store_dword v[16:17], v15, off
                                        ; implicit-def: $vgpr15
.LBB1906_296:
	s_andn2_saveexec_b64 s[6:7], s[6:7]
	s_cbranch_execz .LBB1906_298
; %bb.297:
	v_lshlrev_b32_e32 v16, 2, v0
	ds_read_b32 v16, v16 offset:6144
	v_lshlrev_b32_e32 v15, 2, v15
	v_readfirstlane_b32 s10, v10
	v_readfirstlane_b32 s11, v11
	s_waitcnt lgkmcnt(0)
	s_nop 3
	global_store_dword v15, v16, s[10:11]
.LBB1906_298:
	s_or_b64 exec, exec, s[6:7]
                                        ; implicit-def: $vgpr15
.LBB1906_299:
	s_andn2_saveexec_b64 s[4:5], s[4:5]
	s_cbranch_execz .LBB1906_301
; %bb.300:
	v_lshlrev_b32_e32 v16, 2, v0
	ds_read_b32 v16, v16 offset:6144
	v_lshlrev_b32_e32 v15, 2, v15
	v_readfirstlane_b32 s4, v12
	v_readfirstlane_b32 s5, v13
	s_waitcnt lgkmcnt(0)
	s_nop 3
	global_store_dword v15, v16, s[4:5]
.LBB1906_301:
	;; [unrolled: 55-line block ×7, first 2 shown]
	s_or_b64 exec, exec, s[2:3]
	v_or_b32_e32 v15, 0xc00, v0
	v_cmp_gt_u32_e32 vcc, s16, v15
	s_and_saveexec_b64 s[2:3], vcc
	s_cbranch_execz .LBB1906_355
; %bb.347:
	v_cmp_le_u32_e32 vcc, v6, v15
	s_and_saveexec_b64 s[4:5], vcc
	s_xor_b64 s[4:5], exec, s[4:5]
	s_cbranch_execz .LBB1906_353
; %bb.348:
	v_cmp_le_u32_e32 vcc, v14, v15
	s_and_saveexec_b64 s[6:7], vcc
	s_xor_b64 s[6:7], exec, s[6:7]
	s_cbranch_execz .LBB1906_350
; %bb.349:
	v_add_co_u32_e32 v10, vcc, v1, v15
	v_lshlrev_b32_e32 v0, 2, v0
	v_addc_co_u32_e32 v11, vcc, 0, v8, vcc
	ds_read_b32 v8, v0 offset:12288
	v_lshlrev_b64 v[0:1], 2, v[10:11]
	v_mov_b32_e32 v10, s9
	v_sub_co_u32_e32 v0, vcc, s8, v0
	v_subb_co_u32_e32 v1, vcc, v10, v1, vcc
	s_waitcnt lgkmcnt(0)
	global_store_dword v[0:1], v8, off
                                        ; implicit-def: $vgpr0
                                        ; implicit-def: $vgpr15
                                        ; implicit-def: $vgpr10_vgpr11
.LBB1906_350:
	s_andn2_saveexec_b64 s[6:7], s[6:7]
	s_cbranch_execz .LBB1906_352
; %bb.351:
	v_lshlrev_b32_e32 v0, 2, v0
	ds_read_b32 v0, v0 offset:12288
	v_lshlrev_b32_e32 v1, 2, v15
	v_readfirstlane_b32 s8, v10
	v_readfirstlane_b32 s9, v11
	s_waitcnt lgkmcnt(0)
	s_nop 3
	global_store_dword v1, v0, s[8:9]
.LBB1906_352:
	s_or_b64 exec, exec, s[6:7]
                                        ; implicit-def: $vgpr0
                                        ; implicit-def: $vgpr15
                                        ; implicit-def: $vgpr12_vgpr13
.LBB1906_353:
	s_andn2_saveexec_b64 s[4:5], s[4:5]
	s_cbranch_execz .LBB1906_355
; %bb.354:
	v_lshlrev_b32_e32 v0, 2, v0
	ds_read_b32 v0, v0 offset:12288
	v_lshlrev_b32_e32 v1, 2, v15
	v_readfirstlane_b32 s4, v12
	v_readfirstlane_b32 s5, v13
	s_waitcnt lgkmcnt(0)
	s_nop 3
	global_store_dword v1, v0, s[4:5]
.LBB1906_355:
	s_or_b64 exec, exec, s[2:3]
	s_and_b64 s[0:1], s[0:1], s[30:31]
	s_and_saveexec_b64 s[2:3], s[0:1]
	s_cbranch_execz .LBB1906_132
.LBB1906_356:
	v_add_co_u32_e32 v0, vcc, v2, v6
	v_addc_co_u32_e32 v1, vcc, 0, v3, vcc
	v_add_co_u32_e32 v2, vcc, v4, v7
	v_addc_co_u32_e32 v3, vcc, 0, v5, vcc
	v_add_co_u32_e32 v2, vcc, v2, v9
	v_mov_b32_e32 v8, 0
	v_addc_co_u32_e32 v3, vcc, 0, v3, vcc
	global_store_dwordx4 v8, v[0:3], s[28:29]
	s_endpgm
	.section	.rodata,"a",@progbits
	.p2align	6, 0x0
	.amdhsa_kernel _ZN7rocprim17ROCPRIM_400000_NS6detail17trampoline_kernelINS0_13select_configILj256ELj13ELNS0_17block_load_methodE3ELS4_3ELS4_3ELNS0_20block_scan_algorithmE0ELj4294967295EEENS1_25partition_config_selectorILNS1_17partition_subalgoE4EjNS0_10empty_typeEbEEZZNS1_14partition_implILS8_4ELb0ES6_15HIP_vector_typeIjLj2EENS0_17counting_iteratorIjlEEPS9_SG_NS0_5tupleIJPjSI_NS0_16reverse_iteratorISI_EEEEENSH_IJSG_SG_SG_EEES9_SI_JZNS1_25segmented_radix_sort_implINS0_14default_configELb1EPK12hip_bfloat16PSP_PKlPlN2at6native12_GLOBAL__N_18offset_tEEE10hipError_tPvRmT1_PNSt15iterator_traitsIS13_E10value_typeET2_T3_PNS14_IS19_E10value_typeET4_jRbjT5_S1F_jjP12ihipStream_tbEUljE_ZNSN_ISO_Lb1ESR_SS_SU_SV_SZ_EES10_S11_S12_S13_S17_S18_S19_S1C_S1D_jS1E_jS1F_S1F_jjS1H_bEUljE0_EEES10_S11_S12_S19_S1D_S1F_T6_T7_T9_mT8_S1H_bDpT10_ENKUlT_T0_E_clISt17integral_constantIbLb0EES1U_IbLb1EEEEDaS1Q_S1R_EUlS1Q_E_NS1_11comp_targetILNS1_3genE4ELNS1_11target_archE910ELNS1_3gpuE8ELNS1_3repE0EEENS1_30default_config_static_selectorELNS0_4arch9wavefront6targetE1EEEvS13_
		.amdhsa_group_segment_fixed_size 13340
		.amdhsa_private_segment_fixed_size 0
		.amdhsa_kernarg_size 184
		.amdhsa_user_sgpr_count 6
		.amdhsa_user_sgpr_private_segment_buffer 1
		.amdhsa_user_sgpr_dispatch_ptr 0
		.amdhsa_user_sgpr_queue_ptr 0
		.amdhsa_user_sgpr_kernarg_segment_ptr 1
		.amdhsa_user_sgpr_dispatch_id 0
		.amdhsa_user_sgpr_flat_scratch_init 0
		.amdhsa_user_sgpr_kernarg_preload_length 0
		.amdhsa_user_sgpr_kernarg_preload_offset 0
		.amdhsa_user_sgpr_private_segment_size 0
		.amdhsa_uses_dynamic_stack 0
		.amdhsa_system_sgpr_private_segment_wavefront_offset 0
		.amdhsa_system_sgpr_workgroup_id_x 1
		.amdhsa_system_sgpr_workgroup_id_y 0
		.amdhsa_system_sgpr_workgroup_id_z 0
		.amdhsa_system_sgpr_workgroup_info 0
		.amdhsa_system_vgpr_workitem_id 0
		.amdhsa_next_free_vgpr 107
		.amdhsa_next_free_sgpr 87
		.amdhsa_accum_offset 108
		.amdhsa_reserve_vcc 1
		.amdhsa_reserve_flat_scratch 0
		.amdhsa_float_round_mode_32 0
		.amdhsa_float_round_mode_16_64 0
		.amdhsa_float_denorm_mode_32 3
		.amdhsa_float_denorm_mode_16_64 3
		.amdhsa_dx10_clamp 1
		.amdhsa_ieee_mode 1
		.amdhsa_fp16_overflow 0
		.amdhsa_tg_split 0
		.amdhsa_exception_fp_ieee_invalid_op 0
		.amdhsa_exception_fp_denorm_src 0
		.amdhsa_exception_fp_ieee_div_zero 0
		.amdhsa_exception_fp_ieee_overflow 0
		.amdhsa_exception_fp_ieee_underflow 0
		.amdhsa_exception_fp_ieee_inexact 0
		.amdhsa_exception_int_div_zero 0
	.end_amdhsa_kernel
	.section	.text._ZN7rocprim17ROCPRIM_400000_NS6detail17trampoline_kernelINS0_13select_configILj256ELj13ELNS0_17block_load_methodE3ELS4_3ELS4_3ELNS0_20block_scan_algorithmE0ELj4294967295EEENS1_25partition_config_selectorILNS1_17partition_subalgoE4EjNS0_10empty_typeEbEEZZNS1_14partition_implILS8_4ELb0ES6_15HIP_vector_typeIjLj2EENS0_17counting_iteratorIjlEEPS9_SG_NS0_5tupleIJPjSI_NS0_16reverse_iteratorISI_EEEEENSH_IJSG_SG_SG_EEES9_SI_JZNS1_25segmented_radix_sort_implINS0_14default_configELb1EPK12hip_bfloat16PSP_PKlPlN2at6native12_GLOBAL__N_18offset_tEEE10hipError_tPvRmT1_PNSt15iterator_traitsIS13_E10value_typeET2_T3_PNS14_IS19_E10value_typeET4_jRbjT5_S1F_jjP12ihipStream_tbEUljE_ZNSN_ISO_Lb1ESR_SS_SU_SV_SZ_EES10_S11_S12_S13_S17_S18_S19_S1C_S1D_jS1E_jS1F_S1F_jjS1H_bEUljE0_EEES10_S11_S12_S19_S1D_S1F_T6_T7_T9_mT8_S1H_bDpT10_ENKUlT_T0_E_clISt17integral_constantIbLb0EES1U_IbLb1EEEEDaS1Q_S1R_EUlS1Q_E_NS1_11comp_targetILNS1_3genE4ELNS1_11target_archE910ELNS1_3gpuE8ELNS1_3repE0EEENS1_30default_config_static_selectorELNS0_4arch9wavefront6targetE1EEEvS13_,"axG",@progbits,_ZN7rocprim17ROCPRIM_400000_NS6detail17trampoline_kernelINS0_13select_configILj256ELj13ELNS0_17block_load_methodE3ELS4_3ELS4_3ELNS0_20block_scan_algorithmE0ELj4294967295EEENS1_25partition_config_selectorILNS1_17partition_subalgoE4EjNS0_10empty_typeEbEEZZNS1_14partition_implILS8_4ELb0ES6_15HIP_vector_typeIjLj2EENS0_17counting_iteratorIjlEEPS9_SG_NS0_5tupleIJPjSI_NS0_16reverse_iteratorISI_EEEEENSH_IJSG_SG_SG_EEES9_SI_JZNS1_25segmented_radix_sort_implINS0_14default_configELb1EPK12hip_bfloat16PSP_PKlPlN2at6native12_GLOBAL__N_18offset_tEEE10hipError_tPvRmT1_PNSt15iterator_traitsIS13_E10value_typeET2_T3_PNS14_IS19_E10value_typeET4_jRbjT5_S1F_jjP12ihipStream_tbEUljE_ZNSN_ISO_Lb1ESR_SS_SU_SV_SZ_EES10_S11_S12_S13_S17_S18_S19_S1C_S1D_jS1E_jS1F_S1F_jjS1H_bEUljE0_EEES10_S11_S12_S19_S1D_S1F_T6_T7_T9_mT8_S1H_bDpT10_ENKUlT_T0_E_clISt17integral_constantIbLb0EES1U_IbLb1EEEEDaS1Q_S1R_EUlS1Q_E_NS1_11comp_targetILNS1_3genE4ELNS1_11target_archE910ELNS1_3gpuE8ELNS1_3repE0EEENS1_30default_config_static_selectorELNS0_4arch9wavefront6targetE1EEEvS13_,comdat
.Lfunc_end1906:
	.size	_ZN7rocprim17ROCPRIM_400000_NS6detail17trampoline_kernelINS0_13select_configILj256ELj13ELNS0_17block_load_methodE3ELS4_3ELS4_3ELNS0_20block_scan_algorithmE0ELj4294967295EEENS1_25partition_config_selectorILNS1_17partition_subalgoE4EjNS0_10empty_typeEbEEZZNS1_14partition_implILS8_4ELb0ES6_15HIP_vector_typeIjLj2EENS0_17counting_iteratorIjlEEPS9_SG_NS0_5tupleIJPjSI_NS0_16reverse_iteratorISI_EEEEENSH_IJSG_SG_SG_EEES9_SI_JZNS1_25segmented_radix_sort_implINS0_14default_configELb1EPK12hip_bfloat16PSP_PKlPlN2at6native12_GLOBAL__N_18offset_tEEE10hipError_tPvRmT1_PNSt15iterator_traitsIS13_E10value_typeET2_T3_PNS14_IS19_E10value_typeET4_jRbjT5_S1F_jjP12ihipStream_tbEUljE_ZNSN_ISO_Lb1ESR_SS_SU_SV_SZ_EES10_S11_S12_S13_S17_S18_S19_S1C_S1D_jS1E_jS1F_S1F_jjS1H_bEUljE0_EEES10_S11_S12_S19_S1D_S1F_T6_T7_T9_mT8_S1H_bDpT10_ENKUlT_T0_E_clISt17integral_constantIbLb0EES1U_IbLb1EEEEDaS1Q_S1R_EUlS1Q_E_NS1_11comp_targetILNS1_3genE4ELNS1_11target_archE910ELNS1_3gpuE8ELNS1_3repE0EEENS1_30default_config_static_selectorELNS0_4arch9wavefront6targetE1EEEvS13_, .Lfunc_end1906-_ZN7rocprim17ROCPRIM_400000_NS6detail17trampoline_kernelINS0_13select_configILj256ELj13ELNS0_17block_load_methodE3ELS4_3ELS4_3ELNS0_20block_scan_algorithmE0ELj4294967295EEENS1_25partition_config_selectorILNS1_17partition_subalgoE4EjNS0_10empty_typeEbEEZZNS1_14partition_implILS8_4ELb0ES6_15HIP_vector_typeIjLj2EENS0_17counting_iteratorIjlEEPS9_SG_NS0_5tupleIJPjSI_NS0_16reverse_iteratorISI_EEEEENSH_IJSG_SG_SG_EEES9_SI_JZNS1_25segmented_radix_sort_implINS0_14default_configELb1EPK12hip_bfloat16PSP_PKlPlN2at6native12_GLOBAL__N_18offset_tEEE10hipError_tPvRmT1_PNSt15iterator_traitsIS13_E10value_typeET2_T3_PNS14_IS19_E10value_typeET4_jRbjT5_S1F_jjP12ihipStream_tbEUljE_ZNSN_ISO_Lb1ESR_SS_SU_SV_SZ_EES10_S11_S12_S13_S17_S18_S19_S1C_S1D_jS1E_jS1F_S1F_jjS1H_bEUljE0_EEES10_S11_S12_S19_S1D_S1F_T6_T7_T9_mT8_S1H_bDpT10_ENKUlT_T0_E_clISt17integral_constantIbLb0EES1U_IbLb1EEEEDaS1Q_S1R_EUlS1Q_E_NS1_11comp_targetILNS1_3genE4ELNS1_11target_archE910ELNS1_3gpuE8ELNS1_3repE0EEENS1_30default_config_static_selectorELNS0_4arch9wavefront6targetE1EEEvS13_
                                        ; -- End function
	.section	.AMDGPU.csdata,"",@progbits
; Kernel info:
; codeLenInByte = 13432
; NumSgprs: 91
; NumVgprs: 107
; NumAgprs: 0
; TotalNumVgprs: 107
; ScratchSize: 0
; MemoryBound: 0
; FloatMode: 240
; IeeeMode: 1
; LDSByteSize: 13340 bytes/workgroup (compile time only)
; SGPRBlocks: 11
; VGPRBlocks: 13
; NumSGPRsForWavesPerEU: 91
; NumVGPRsForWavesPerEU: 107
; AccumOffset: 108
; Occupancy: 4
; WaveLimiterHint : 1
; COMPUTE_PGM_RSRC2:SCRATCH_EN: 0
; COMPUTE_PGM_RSRC2:USER_SGPR: 6
; COMPUTE_PGM_RSRC2:TRAP_HANDLER: 0
; COMPUTE_PGM_RSRC2:TGID_X_EN: 1
; COMPUTE_PGM_RSRC2:TGID_Y_EN: 0
; COMPUTE_PGM_RSRC2:TGID_Z_EN: 0
; COMPUTE_PGM_RSRC2:TIDIG_COMP_CNT: 0
; COMPUTE_PGM_RSRC3_GFX90A:ACCUM_OFFSET: 26
; COMPUTE_PGM_RSRC3_GFX90A:TG_SPLIT: 0
	.section	.text._ZN7rocprim17ROCPRIM_400000_NS6detail17trampoline_kernelINS0_13select_configILj256ELj13ELNS0_17block_load_methodE3ELS4_3ELS4_3ELNS0_20block_scan_algorithmE0ELj4294967295EEENS1_25partition_config_selectorILNS1_17partition_subalgoE4EjNS0_10empty_typeEbEEZZNS1_14partition_implILS8_4ELb0ES6_15HIP_vector_typeIjLj2EENS0_17counting_iteratorIjlEEPS9_SG_NS0_5tupleIJPjSI_NS0_16reverse_iteratorISI_EEEEENSH_IJSG_SG_SG_EEES9_SI_JZNS1_25segmented_radix_sort_implINS0_14default_configELb1EPK12hip_bfloat16PSP_PKlPlN2at6native12_GLOBAL__N_18offset_tEEE10hipError_tPvRmT1_PNSt15iterator_traitsIS13_E10value_typeET2_T3_PNS14_IS19_E10value_typeET4_jRbjT5_S1F_jjP12ihipStream_tbEUljE_ZNSN_ISO_Lb1ESR_SS_SU_SV_SZ_EES10_S11_S12_S13_S17_S18_S19_S1C_S1D_jS1E_jS1F_S1F_jjS1H_bEUljE0_EEES10_S11_S12_S19_S1D_S1F_T6_T7_T9_mT8_S1H_bDpT10_ENKUlT_T0_E_clISt17integral_constantIbLb0EES1U_IbLb1EEEEDaS1Q_S1R_EUlS1Q_E_NS1_11comp_targetILNS1_3genE3ELNS1_11target_archE908ELNS1_3gpuE7ELNS1_3repE0EEENS1_30default_config_static_selectorELNS0_4arch9wavefront6targetE1EEEvS13_,"axG",@progbits,_ZN7rocprim17ROCPRIM_400000_NS6detail17trampoline_kernelINS0_13select_configILj256ELj13ELNS0_17block_load_methodE3ELS4_3ELS4_3ELNS0_20block_scan_algorithmE0ELj4294967295EEENS1_25partition_config_selectorILNS1_17partition_subalgoE4EjNS0_10empty_typeEbEEZZNS1_14partition_implILS8_4ELb0ES6_15HIP_vector_typeIjLj2EENS0_17counting_iteratorIjlEEPS9_SG_NS0_5tupleIJPjSI_NS0_16reverse_iteratorISI_EEEEENSH_IJSG_SG_SG_EEES9_SI_JZNS1_25segmented_radix_sort_implINS0_14default_configELb1EPK12hip_bfloat16PSP_PKlPlN2at6native12_GLOBAL__N_18offset_tEEE10hipError_tPvRmT1_PNSt15iterator_traitsIS13_E10value_typeET2_T3_PNS14_IS19_E10value_typeET4_jRbjT5_S1F_jjP12ihipStream_tbEUljE_ZNSN_ISO_Lb1ESR_SS_SU_SV_SZ_EES10_S11_S12_S13_S17_S18_S19_S1C_S1D_jS1E_jS1F_S1F_jjS1H_bEUljE0_EEES10_S11_S12_S19_S1D_S1F_T6_T7_T9_mT8_S1H_bDpT10_ENKUlT_T0_E_clISt17integral_constantIbLb0EES1U_IbLb1EEEEDaS1Q_S1R_EUlS1Q_E_NS1_11comp_targetILNS1_3genE3ELNS1_11target_archE908ELNS1_3gpuE7ELNS1_3repE0EEENS1_30default_config_static_selectorELNS0_4arch9wavefront6targetE1EEEvS13_,comdat
	.globl	_ZN7rocprim17ROCPRIM_400000_NS6detail17trampoline_kernelINS0_13select_configILj256ELj13ELNS0_17block_load_methodE3ELS4_3ELS4_3ELNS0_20block_scan_algorithmE0ELj4294967295EEENS1_25partition_config_selectorILNS1_17partition_subalgoE4EjNS0_10empty_typeEbEEZZNS1_14partition_implILS8_4ELb0ES6_15HIP_vector_typeIjLj2EENS0_17counting_iteratorIjlEEPS9_SG_NS0_5tupleIJPjSI_NS0_16reverse_iteratorISI_EEEEENSH_IJSG_SG_SG_EEES9_SI_JZNS1_25segmented_radix_sort_implINS0_14default_configELb1EPK12hip_bfloat16PSP_PKlPlN2at6native12_GLOBAL__N_18offset_tEEE10hipError_tPvRmT1_PNSt15iterator_traitsIS13_E10value_typeET2_T3_PNS14_IS19_E10value_typeET4_jRbjT5_S1F_jjP12ihipStream_tbEUljE_ZNSN_ISO_Lb1ESR_SS_SU_SV_SZ_EES10_S11_S12_S13_S17_S18_S19_S1C_S1D_jS1E_jS1F_S1F_jjS1H_bEUljE0_EEES10_S11_S12_S19_S1D_S1F_T6_T7_T9_mT8_S1H_bDpT10_ENKUlT_T0_E_clISt17integral_constantIbLb0EES1U_IbLb1EEEEDaS1Q_S1R_EUlS1Q_E_NS1_11comp_targetILNS1_3genE3ELNS1_11target_archE908ELNS1_3gpuE7ELNS1_3repE0EEENS1_30default_config_static_selectorELNS0_4arch9wavefront6targetE1EEEvS13_ ; -- Begin function _ZN7rocprim17ROCPRIM_400000_NS6detail17trampoline_kernelINS0_13select_configILj256ELj13ELNS0_17block_load_methodE3ELS4_3ELS4_3ELNS0_20block_scan_algorithmE0ELj4294967295EEENS1_25partition_config_selectorILNS1_17partition_subalgoE4EjNS0_10empty_typeEbEEZZNS1_14partition_implILS8_4ELb0ES6_15HIP_vector_typeIjLj2EENS0_17counting_iteratorIjlEEPS9_SG_NS0_5tupleIJPjSI_NS0_16reverse_iteratorISI_EEEEENSH_IJSG_SG_SG_EEES9_SI_JZNS1_25segmented_radix_sort_implINS0_14default_configELb1EPK12hip_bfloat16PSP_PKlPlN2at6native12_GLOBAL__N_18offset_tEEE10hipError_tPvRmT1_PNSt15iterator_traitsIS13_E10value_typeET2_T3_PNS14_IS19_E10value_typeET4_jRbjT5_S1F_jjP12ihipStream_tbEUljE_ZNSN_ISO_Lb1ESR_SS_SU_SV_SZ_EES10_S11_S12_S13_S17_S18_S19_S1C_S1D_jS1E_jS1F_S1F_jjS1H_bEUljE0_EEES10_S11_S12_S19_S1D_S1F_T6_T7_T9_mT8_S1H_bDpT10_ENKUlT_T0_E_clISt17integral_constantIbLb0EES1U_IbLb1EEEEDaS1Q_S1R_EUlS1Q_E_NS1_11comp_targetILNS1_3genE3ELNS1_11target_archE908ELNS1_3gpuE7ELNS1_3repE0EEENS1_30default_config_static_selectorELNS0_4arch9wavefront6targetE1EEEvS13_
	.p2align	8
	.type	_ZN7rocprim17ROCPRIM_400000_NS6detail17trampoline_kernelINS0_13select_configILj256ELj13ELNS0_17block_load_methodE3ELS4_3ELS4_3ELNS0_20block_scan_algorithmE0ELj4294967295EEENS1_25partition_config_selectorILNS1_17partition_subalgoE4EjNS0_10empty_typeEbEEZZNS1_14partition_implILS8_4ELb0ES6_15HIP_vector_typeIjLj2EENS0_17counting_iteratorIjlEEPS9_SG_NS0_5tupleIJPjSI_NS0_16reverse_iteratorISI_EEEEENSH_IJSG_SG_SG_EEES9_SI_JZNS1_25segmented_radix_sort_implINS0_14default_configELb1EPK12hip_bfloat16PSP_PKlPlN2at6native12_GLOBAL__N_18offset_tEEE10hipError_tPvRmT1_PNSt15iterator_traitsIS13_E10value_typeET2_T3_PNS14_IS19_E10value_typeET4_jRbjT5_S1F_jjP12ihipStream_tbEUljE_ZNSN_ISO_Lb1ESR_SS_SU_SV_SZ_EES10_S11_S12_S13_S17_S18_S19_S1C_S1D_jS1E_jS1F_S1F_jjS1H_bEUljE0_EEES10_S11_S12_S19_S1D_S1F_T6_T7_T9_mT8_S1H_bDpT10_ENKUlT_T0_E_clISt17integral_constantIbLb0EES1U_IbLb1EEEEDaS1Q_S1R_EUlS1Q_E_NS1_11comp_targetILNS1_3genE3ELNS1_11target_archE908ELNS1_3gpuE7ELNS1_3repE0EEENS1_30default_config_static_selectorELNS0_4arch9wavefront6targetE1EEEvS13_,@function
_ZN7rocprim17ROCPRIM_400000_NS6detail17trampoline_kernelINS0_13select_configILj256ELj13ELNS0_17block_load_methodE3ELS4_3ELS4_3ELNS0_20block_scan_algorithmE0ELj4294967295EEENS1_25partition_config_selectorILNS1_17partition_subalgoE4EjNS0_10empty_typeEbEEZZNS1_14partition_implILS8_4ELb0ES6_15HIP_vector_typeIjLj2EENS0_17counting_iteratorIjlEEPS9_SG_NS0_5tupleIJPjSI_NS0_16reverse_iteratorISI_EEEEENSH_IJSG_SG_SG_EEES9_SI_JZNS1_25segmented_radix_sort_implINS0_14default_configELb1EPK12hip_bfloat16PSP_PKlPlN2at6native12_GLOBAL__N_18offset_tEEE10hipError_tPvRmT1_PNSt15iterator_traitsIS13_E10value_typeET2_T3_PNS14_IS19_E10value_typeET4_jRbjT5_S1F_jjP12ihipStream_tbEUljE_ZNSN_ISO_Lb1ESR_SS_SU_SV_SZ_EES10_S11_S12_S13_S17_S18_S19_S1C_S1D_jS1E_jS1F_S1F_jjS1H_bEUljE0_EEES10_S11_S12_S19_S1D_S1F_T6_T7_T9_mT8_S1H_bDpT10_ENKUlT_T0_E_clISt17integral_constantIbLb0EES1U_IbLb1EEEEDaS1Q_S1R_EUlS1Q_E_NS1_11comp_targetILNS1_3genE3ELNS1_11target_archE908ELNS1_3gpuE7ELNS1_3repE0EEENS1_30default_config_static_selectorELNS0_4arch9wavefront6targetE1EEEvS13_: ; @_ZN7rocprim17ROCPRIM_400000_NS6detail17trampoline_kernelINS0_13select_configILj256ELj13ELNS0_17block_load_methodE3ELS4_3ELS4_3ELNS0_20block_scan_algorithmE0ELj4294967295EEENS1_25partition_config_selectorILNS1_17partition_subalgoE4EjNS0_10empty_typeEbEEZZNS1_14partition_implILS8_4ELb0ES6_15HIP_vector_typeIjLj2EENS0_17counting_iteratorIjlEEPS9_SG_NS0_5tupleIJPjSI_NS0_16reverse_iteratorISI_EEEEENSH_IJSG_SG_SG_EEES9_SI_JZNS1_25segmented_radix_sort_implINS0_14default_configELb1EPK12hip_bfloat16PSP_PKlPlN2at6native12_GLOBAL__N_18offset_tEEE10hipError_tPvRmT1_PNSt15iterator_traitsIS13_E10value_typeET2_T3_PNS14_IS19_E10value_typeET4_jRbjT5_S1F_jjP12ihipStream_tbEUljE_ZNSN_ISO_Lb1ESR_SS_SU_SV_SZ_EES10_S11_S12_S13_S17_S18_S19_S1C_S1D_jS1E_jS1F_S1F_jjS1H_bEUljE0_EEES10_S11_S12_S19_S1D_S1F_T6_T7_T9_mT8_S1H_bDpT10_ENKUlT_T0_E_clISt17integral_constantIbLb0EES1U_IbLb1EEEEDaS1Q_S1R_EUlS1Q_E_NS1_11comp_targetILNS1_3genE3ELNS1_11target_archE908ELNS1_3gpuE7ELNS1_3repE0EEENS1_30default_config_static_selectorELNS0_4arch9wavefront6targetE1EEEvS13_
; %bb.0:
	.section	.rodata,"a",@progbits
	.p2align	6, 0x0
	.amdhsa_kernel _ZN7rocprim17ROCPRIM_400000_NS6detail17trampoline_kernelINS0_13select_configILj256ELj13ELNS0_17block_load_methodE3ELS4_3ELS4_3ELNS0_20block_scan_algorithmE0ELj4294967295EEENS1_25partition_config_selectorILNS1_17partition_subalgoE4EjNS0_10empty_typeEbEEZZNS1_14partition_implILS8_4ELb0ES6_15HIP_vector_typeIjLj2EENS0_17counting_iteratorIjlEEPS9_SG_NS0_5tupleIJPjSI_NS0_16reverse_iteratorISI_EEEEENSH_IJSG_SG_SG_EEES9_SI_JZNS1_25segmented_radix_sort_implINS0_14default_configELb1EPK12hip_bfloat16PSP_PKlPlN2at6native12_GLOBAL__N_18offset_tEEE10hipError_tPvRmT1_PNSt15iterator_traitsIS13_E10value_typeET2_T3_PNS14_IS19_E10value_typeET4_jRbjT5_S1F_jjP12ihipStream_tbEUljE_ZNSN_ISO_Lb1ESR_SS_SU_SV_SZ_EES10_S11_S12_S13_S17_S18_S19_S1C_S1D_jS1E_jS1F_S1F_jjS1H_bEUljE0_EEES10_S11_S12_S19_S1D_S1F_T6_T7_T9_mT8_S1H_bDpT10_ENKUlT_T0_E_clISt17integral_constantIbLb0EES1U_IbLb1EEEEDaS1Q_S1R_EUlS1Q_E_NS1_11comp_targetILNS1_3genE3ELNS1_11target_archE908ELNS1_3gpuE7ELNS1_3repE0EEENS1_30default_config_static_selectorELNS0_4arch9wavefront6targetE1EEEvS13_
		.amdhsa_group_segment_fixed_size 0
		.amdhsa_private_segment_fixed_size 0
		.amdhsa_kernarg_size 184
		.amdhsa_user_sgpr_count 6
		.amdhsa_user_sgpr_private_segment_buffer 1
		.amdhsa_user_sgpr_dispatch_ptr 0
		.amdhsa_user_sgpr_queue_ptr 0
		.amdhsa_user_sgpr_kernarg_segment_ptr 1
		.amdhsa_user_sgpr_dispatch_id 0
		.amdhsa_user_sgpr_flat_scratch_init 0
		.amdhsa_user_sgpr_kernarg_preload_length 0
		.amdhsa_user_sgpr_kernarg_preload_offset 0
		.amdhsa_user_sgpr_private_segment_size 0
		.amdhsa_uses_dynamic_stack 0
		.amdhsa_system_sgpr_private_segment_wavefront_offset 0
		.amdhsa_system_sgpr_workgroup_id_x 1
		.amdhsa_system_sgpr_workgroup_id_y 0
		.amdhsa_system_sgpr_workgroup_id_z 0
		.amdhsa_system_sgpr_workgroup_info 0
		.amdhsa_system_vgpr_workitem_id 0
		.amdhsa_next_free_vgpr 1
		.amdhsa_next_free_sgpr 0
		.amdhsa_accum_offset 4
		.amdhsa_reserve_vcc 0
		.amdhsa_reserve_flat_scratch 0
		.amdhsa_float_round_mode_32 0
		.amdhsa_float_round_mode_16_64 0
		.amdhsa_float_denorm_mode_32 3
		.amdhsa_float_denorm_mode_16_64 3
		.amdhsa_dx10_clamp 1
		.amdhsa_ieee_mode 1
		.amdhsa_fp16_overflow 0
		.amdhsa_tg_split 0
		.amdhsa_exception_fp_ieee_invalid_op 0
		.amdhsa_exception_fp_denorm_src 0
		.amdhsa_exception_fp_ieee_div_zero 0
		.amdhsa_exception_fp_ieee_overflow 0
		.amdhsa_exception_fp_ieee_underflow 0
		.amdhsa_exception_fp_ieee_inexact 0
		.amdhsa_exception_int_div_zero 0
	.end_amdhsa_kernel
	.section	.text._ZN7rocprim17ROCPRIM_400000_NS6detail17trampoline_kernelINS0_13select_configILj256ELj13ELNS0_17block_load_methodE3ELS4_3ELS4_3ELNS0_20block_scan_algorithmE0ELj4294967295EEENS1_25partition_config_selectorILNS1_17partition_subalgoE4EjNS0_10empty_typeEbEEZZNS1_14partition_implILS8_4ELb0ES6_15HIP_vector_typeIjLj2EENS0_17counting_iteratorIjlEEPS9_SG_NS0_5tupleIJPjSI_NS0_16reverse_iteratorISI_EEEEENSH_IJSG_SG_SG_EEES9_SI_JZNS1_25segmented_radix_sort_implINS0_14default_configELb1EPK12hip_bfloat16PSP_PKlPlN2at6native12_GLOBAL__N_18offset_tEEE10hipError_tPvRmT1_PNSt15iterator_traitsIS13_E10value_typeET2_T3_PNS14_IS19_E10value_typeET4_jRbjT5_S1F_jjP12ihipStream_tbEUljE_ZNSN_ISO_Lb1ESR_SS_SU_SV_SZ_EES10_S11_S12_S13_S17_S18_S19_S1C_S1D_jS1E_jS1F_S1F_jjS1H_bEUljE0_EEES10_S11_S12_S19_S1D_S1F_T6_T7_T9_mT8_S1H_bDpT10_ENKUlT_T0_E_clISt17integral_constantIbLb0EES1U_IbLb1EEEEDaS1Q_S1R_EUlS1Q_E_NS1_11comp_targetILNS1_3genE3ELNS1_11target_archE908ELNS1_3gpuE7ELNS1_3repE0EEENS1_30default_config_static_selectorELNS0_4arch9wavefront6targetE1EEEvS13_,"axG",@progbits,_ZN7rocprim17ROCPRIM_400000_NS6detail17trampoline_kernelINS0_13select_configILj256ELj13ELNS0_17block_load_methodE3ELS4_3ELS4_3ELNS0_20block_scan_algorithmE0ELj4294967295EEENS1_25partition_config_selectorILNS1_17partition_subalgoE4EjNS0_10empty_typeEbEEZZNS1_14partition_implILS8_4ELb0ES6_15HIP_vector_typeIjLj2EENS0_17counting_iteratorIjlEEPS9_SG_NS0_5tupleIJPjSI_NS0_16reverse_iteratorISI_EEEEENSH_IJSG_SG_SG_EEES9_SI_JZNS1_25segmented_radix_sort_implINS0_14default_configELb1EPK12hip_bfloat16PSP_PKlPlN2at6native12_GLOBAL__N_18offset_tEEE10hipError_tPvRmT1_PNSt15iterator_traitsIS13_E10value_typeET2_T3_PNS14_IS19_E10value_typeET4_jRbjT5_S1F_jjP12ihipStream_tbEUljE_ZNSN_ISO_Lb1ESR_SS_SU_SV_SZ_EES10_S11_S12_S13_S17_S18_S19_S1C_S1D_jS1E_jS1F_S1F_jjS1H_bEUljE0_EEES10_S11_S12_S19_S1D_S1F_T6_T7_T9_mT8_S1H_bDpT10_ENKUlT_T0_E_clISt17integral_constantIbLb0EES1U_IbLb1EEEEDaS1Q_S1R_EUlS1Q_E_NS1_11comp_targetILNS1_3genE3ELNS1_11target_archE908ELNS1_3gpuE7ELNS1_3repE0EEENS1_30default_config_static_selectorELNS0_4arch9wavefront6targetE1EEEvS13_,comdat
.Lfunc_end1907:
	.size	_ZN7rocprim17ROCPRIM_400000_NS6detail17trampoline_kernelINS0_13select_configILj256ELj13ELNS0_17block_load_methodE3ELS4_3ELS4_3ELNS0_20block_scan_algorithmE0ELj4294967295EEENS1_25partition_config_selectorILNS1_17partition_subalgoE4EjNS0_10empty_typeEbEEZZNS1_14partition_implILS8_4ELb0ES6_15HIP_vector_typeIjLj2EENS0_17counting_iteratorIjlEEPS9_SG_NS0_5tupleIJPjSI_NS0_16reverse_iteratorISI_EEEEENSH_IJSG_SG_SG_EEES9_SI_JZNS1_25segmented_radix_sort_implINS0_14default_configELb1EPK12hip_bfloat16PSP_PKlPlN2at6native12_GLOBAL__N_18offset_tEEE10hipError_tPvRmT1_PNSt15iterator_traitsIS13_E10value_typeET2_T3_PNS14_IS19_E10value_typeET4_jRbjT5_S1F_jjP12ihipStream_tbEUljE_ZNSN_ISO_Lb1ESR_SS_SU_SV_SZ_EES10_S11_S12_S13_S17_S18_S19_S1C_S1D_jS1E_jS1F_S1F_jjS1H_bEUljE0_EEES10_S11_S12_S19_S1D_S1F_T6_T7_T9_mT8_S1H_bDpT10_ENKUlT_T0_E_clISt17integral_constantIbLb0EES1U_IbLb1EEEEDaS1Q_S1R_EUlS1Q_E_NS1_11comp_targetILNS1_3genE3ELNS1_11target_archE908ELNS1_3gpuE7ELNS1_3repE0EEENS1_30default_config_static_selectorELNS0_4arch9wavefront6targetE1EEEvS13_, .Lfunc_end1907-_ZN7rocprim17ROCPRIM_400000_NS6detail17trampoline_kernelINS0_13select_configILj256ELj13ELNS0_17block_load_methodE3ELS4_3ELS4_3ELNS0_20block_scan_algorithmE0ELj4294967295EEENS1_25partition_config_selectorILNS1_17partition_subalgoE4EjNS0_10empty_typeEbEEZZNS1_14partition_implILS8_4ELb0ES6_15HIP_vector_typeIjLj2EENS0_17counting_iteratorIjlEEPS9_SG_NS0_5tupleIJPjSI_NS0_16reverse_iteratorISI_EEEEENSH_IJSG_SG_SG_EEES9_SI_JZNS1_25segmented_radix_sort_implINS0_14default_configELb1EPK12hip_bfloat16PSP_PKlPlN2at6native12_GLOBAL__N_18offset_tEEE10hipError_tPvRmT1_PNSt15iterator_traitsIS13_E10value_typeET2_T3_PNS14_IS19_E10value_typeET4_jRbjT5_S1F_jjP12ihipStream_tbEUljE_ZNSN_ISO_Lb1ESR_SS_SU_SV_SZ_EES10_S11_S12_S13_S17_S18_S19_S1C_S1D_jS1E_jS1F_S1F_jjS1H_bEUljE0_EEES10_S11_S12_S19_S1D_S1F_T6_T7_T9_mT8_S1H_bDpT10_ENKUlT_T0_E_clISt17integral_constantIbLb0EES1U_IbLb1EEEEDaS1Q_S1R_EUlS1Q_E_NS1_11comp_targetILNS1_3genE3ELNS1_11target_archE908ELNS1_3gpuE7ELNS1_3repE0EEENS1_30default_config_static_selectorELNS0_4arch9wavefront6targetE1EEEvS13_
                                        ; -- End function
	.section	.AMDGPU.csdata,"",@progbits
; Kernel info:
; codeLenInByte = 0
; NumSgprs: 4
; NumVgprs: 0
; NumAgprs: 0
; TotalNumVgprs: 0
; ScratchSize: 0
; MemoryBound: 0
; FloatMode: 240
; IeeeMode: 1
; LDSByteSize: 0 bytes/workgroup (compile time only)
; SGPRBlocks: 0
; VGPRBlocks: 0
; NumSGPRsForWavesPerEU: 4
; NumVGPRsForWavesPerEU: 1
; AccumOffset: 4
; Occupancy: 8
; WaveLimiterHint : 0
; COMPUTE_PGM_RSRC2:SCRATCH_EN: 0
; COMPUTE_PGM_RSRC2:USER_SGPR: 6
; COMPUTE_PGM_RSRC2:TRAP_HANDLER: 0
; COMPUTE_PGM_RSRC2:TGID_X_EN: 1
; COMPUTE_PGM_RSRC2:TGID_Y_EN: 0
; COMPUTE_PGM_RSRC2:TGID_Z_EN: 0
; COMPUTE_PGM_RSRC2:TIDIG_COMP_CNT: 0
; COMPUTE_PGM_RSRC3_GFX90A:ACCUM_OFFSET: 0
; COMPUTE_PGM_RSRC3_GFX90A:TG_SPLIT: 0
	.section	.text._ZN7rocprim17ROCPRIM_400000_NS6detail17trampoline_kernelINS0_13select_configILj256ELj13ELNS0_17block_load_methodE3ELS4_3ELS4_3ELNS0_20block_scan_algorithmE0ELj4294967295EEENS1_25partition_config_selectorILNS1_17partition_subalgoE4EjNS0_10empty_typeEbEEZZNS1_14partition_implILS8_4ELb0ES6_15HIP_vector_typeIjLj2EENS0_17counting_iteratorIjlEEPS9_SG_NS0_5tupleIJPjSI_NS0_16reverse_iteratorISI_EEEEENSH_IJSG_SG_SG_EEES9_SI_JZNS1_25segmented_radix_sort_implINS0_14default_configELb1EPK12hip_bfloat16PSP_PKlPlN2at6native12_GLOBAL__N_18offset_tEEE10hipError_tPvRmT1_PNSt15iterator_traitsIS13_E10value_typeET2_T3_PNS14_IS19_E10value_typeET4_jRbjT5_S1F_jjP12ihipStream_tbEUljE_ZNSN_ISO_Lb1ESR_SS_SU_SV_SZ_EES10_S11_S12_S13_S17_S18_S19_S1C_S1D_jS1E_jS1F_S1F_jjS1H_bEUljE0_EEES10_S11_S12_S19_S1D_S1F_T6_T7_T9_mT8_S1H_bDpT10_ENKUlT_T0_E_clISt17integral_constantIbLb0EES1U_IbLb1EEEEDaS1Q_S1R_EUlS1Q_E_NS1_11comp_targetILNS1_3genE2ELNS1_11target_archE906ELNS1_3gpuE6ELNS1_3repE0EEENS1_30default_config_static_selectorELNS0_4arch9wavefront6targetE1EEEvS13_,"axG",@progbits,_ZN7rocprim17ROCPRIM_400000_NS6detail17trampoline_kernelINS0_13select_configILj256ELj13ELNS0_17block_load_methodE3ELS4_3ELS4_3ELNS0_20block_scan_algorithmE0ELj4294967295EEENS1_25partition_config_selectorILNS1_17partition_subalgoE4EjNS0_10empty_typeEbEEZZNS1_14partition_implILS8_4ELb0ES6_15HIP_vector_typeIjLj2EENS0_17counting_iteratorIjlEEPS9_SG_NS0_5tupleIJPjSI_NS0_16reverse_iteratorISI_EEEEENSH_IJSG_SG_SG_EEES9_SI_JZNS1_25segmented_radix_sort_implINS0_14default_configELb1EPK12hip_bfloat16PSP_PKlPlN2at6native12_GLOBAL__N_18offset_tEEE10hipError_tPvRmT1_PNSt15iterator_traitsIS13_E10value_typeET2_T3_PNS14_IS19_E10value_typeET4_jRbjT5_S1F_jjP12ihipStream_tbEUljE_ZNSN_ISO_Lb1ESR_SS_SU_SV_SZ_EES10_S11_S12_S13_S17_S18_S19_S1C_S1D_jS1E_jS1F_S1F_jjS1H_bEUljE0_EEES10_S11_S12_S19_S1D_S1F_T6_T7_T9_mT8_S1H_bDpT10_ENKUlT_T0_E_clISt17integral_constantIbLb0EES1U_IbLb1EEEEDaS1Q_S1R_EUlS1Q_E_NS1_11comp_targetILNS1_3genE2ELNS1_11target_archE906ELNS1_3gpuE6ELNS1_3repE0EEENS1_30default_config_static_selectorELNS0_4arch9wavefront6targetE1EEEvS13_,comdat
	.globl	_ZN7rocprim17ROCPRIM_400000_NS6detail17trampoline_kernelINS0_13select_configILj256ELj13ELNS0_17block_load_methodE3ELS4_3ELS4_3ELNS0_20block_scan_algorithmE0ELj4294967295EEENS1_25partition_config_selectorILNS1_17partition_subalgoE4EjNS0_10empty_typeEbEEZZNS1_14partition_implILS8_4ELb0ES6_15HIP_vector_typeIjLj2EENS0_17counting_iteratorIjlEEPS9_SG_NS0_5tupleIJPjSI_NS0_16reverse_iteratorISI_EEEEENSH_IJSG_SG_SG_EEES9_SI_JZNS1_25segmented_radix_sort_implINS0_14default_configELb1EPK12hip_bfloat16PSP_PKlPlN2at6native12_GLOBAL__N_18offset_tEEE10hipError_tPvRmT1_PNSt15iterator_traitsIS13_E10value_typeET2_T3_PNS14_IS19_E10value_typeET4_jRbjT5_S1F_jjP12ihipStream_tbEUljE_ZNSN_ISO_Lb1ESR_SS_SU_SV_SZ_EES10_S11_S12_S13_S17_S18_S19_S1C_S1D_jS1E_jS1F_S1F_jjS1H_bEUljE0_EEES10_S11_S12_S19_S1D_S1F_T6_T7_T9_mT8_S1H_bDpT10_ENKUlT_T0_E_clISt17integral_constantIbLb0EES1U_IbLb1EEEEDaS1Q_S1R_EUlS1Q_E_NS1_11comp_targetILNS1_3genE2ELNS1_11target_archE906ELNS1_3gpuE6ELNS1_3repE0EEENS1_30default_config_static_selectorELNS0_4arch9wavefront6targetE1EEEvS13_ ; -- Begin function _ZN7rocprim17ROCPRIM_400000_NS6detail17trampoline_kernelINS0_13select_configILj256ELj13ELNS0_17block_load_methodE3ELS4_3ELS4_3ELNS0_20block_scan_algorithmE0ELj4294967295EEENS1_25partition_config_selectorILNS1_17partition_subalgoE4EjNS0_10empty_typeEbEEZZNS1_14partition_implILS8_4ELb0ES6_15HIP_vector_typeIjLj2EENS0_17counting_iteratorIjlEEPS9_SG_NS0_5tupleIJPjSI_NS0_16reverse_iteratorISI_EEEEENSH_IJSG_SG_SG_EEES9_SI_JZNS1_25segmented_radix_sort_implINS0_14default_configELb1EPK12hip_bfloat16PSP_PKlPlN2at6native12_GLOBAL__N_18offset_tEEE10hipError_tPvRmT1_PNSt15iterator_traitsIS13_E10value_typeET2_T3_PNS14_IS19_E10value_typeET4_jRbjT5_S1F_jjP12ihipStream_tbEUljE_ZNSN_ISO_Lb1ESR_SS_SU_SV_SZ_EES10_S11_S12_S13_S17_S18_S19_S1C_S1D_jS1E_jS1F_S1F_jjS1H_bEUljE0_EEES10_S11_S12_S19_S1D_S1F_T6_T7_T9_mT8_S1H_bDpT10_ENKUlT_T0_E_clISt17integral_constantIbLb0EES1U_IbLb1EEEEDaS1Q_S1R_EUlS1Q_E_NS1_11comp_targetILNS1_3genE2ELNS1_11target_archE906ELNS1_3gpuE6ELNS1_3repE0EEENS1_30default_config_static_selectorELNS0_4arch9wavefront6targetE1EEEvS13_
	.p2align	8
	.type	_ZN7rocprim17ROCPRIM_400000_NS6detail17trampoline_kernelINS0_13select_configILj256ELj13ELNS0_17block_load_methodE3ELS4_3ELS4_3ELNS0_20block_scan_algorithmE0ELj4294967295EEENS1_25partition_config_selectorILNS1_17partition_subalgoE4EjNS0_10empty_typeEbEEZZNS1_14partition_implILS8_4ELb0ES6_15HIP_vector_typeIjLj2EENS0_17counting_iteratorIjlEEPS9_SG_NS0_5tupleIJPjSI_NS0_16reverse_iteratorISI_EEEEENSH_IJSG_SG_SG_EEES9_SI_JZNS1_25segmented_radix_sort_implINS0_14default_configELb1EPK12hip_bfloat16PSP_PKlPlN2at6native12_GLOBAL__N_18offset_tEEE10hipError_tPvRmT1_PNSt15iterator_traitsIS13_E10value_typeET2_T3_PNS14_IS19_E10value_typeET4_jRbjT5_S1F_jjP12ihipStream_tbEUljE_ZNSN_ISO_Lb1ESR_SS_SU_SV_SZ_EES10_S11_S12_S13_S17_S18_S19_S1C_S1D_jS1E_jS1F_S1F_jjS1H_bEUljE0_EEES10_S11_S12_S19_S1D_S1F_T6_T7_T9_mT8_S1H_bDpT10_ENKUlT_T0_E_clISt17integral_constantIbLb0EES1U_IbLb1EEEEDaS1Q_S1R_EUlS1Q_E_NS1_11comp_targetILNS1_3genE2ELNS1_11target_archE906ELNS1_3gpuE6ELNS1_3repE0EEENS1_30default_config_static_selectorELNS0_4arch9wavefront6targetE1EEEvS13_,@function
_ZN7rocprim17ROCPRIM_400000_NS6detail17trampoline_kernelINS0_13select_configILj256ELj13ELNS0_17block_load_methodE3ELS4_3ELS4_3ELNS0_20block_scan_algorithmE0ELj4294967295EEENS1_25partition_config_selectorILNS1_17partition_subalgoE4EjNS0_10empty_typeEbEEZZNS1_14partition_implILS8_4ELb0ES6_15HIP_vector_typeIjLj2EENS0_17counting_iteratorIjlEEPS9_SG_NS0_5tupleIJPjSI_NS0_16reverse_iteratorISI_EEEEENSH_IJSG_SG_SG_EEES9_SI_JZNS1_25segmented_radix_sort_implINS0_14default_configELb1EPK12hip_bfloat16PSP_PKlPlN2at6native12_GLOBAL__N_18offset_tEEE10hipError_tPvRmT1_PNSt15iterator_traitsIS13_E10value_typeET2_T3_PNS14_IS19_E10value_typeET4_jRbjT5_S1F_jjP12ihipStream_tbEUljE_ZNSN_ISO_Lb1ESR_SS_SU_SV_SZ_EES10_S11_S12_S13_S17_S18_S19_S1C_S1D_jS1E_jS1F_S1F_jjS1H_bEUljE0_EEES10_S11_S12_S19_S1D_S1F_T6_T7_T9_mT8_S1H_bDpT10_ENKUlT_T0_E_clISt17integral_constantIbLb0EES1U_IbLb1EEEEDaS1Q_S1R_EUlS1Q_E_NS1_11comp_targetILNS1_3genE2ELNS1_11target_archE906ELNS1_3gpuE6ELNS1_3repE0EEENS1_30default_config_static_selectorELNS0_4arch9wavefront6targetE1EEEvS13_: ; @_ZN7rocprim17ROCPRIM_400000_NS6detail17trampoline_kernelINS0_13select_configILj256ELj13ELNS0_17block_load_methodE3ELS4_3ELS4_3ELNS0_20block_scan_algorithmE0ELj4294967295EEENS1_25partition_config_selectorILNS1_17partition_subalgoE4EjNS0_10empty_typeEbEEZZNS1_14partition_implILS8_4ELb0ES6_15HIP_vector_typeIjLj2EENS0_17counting_iteratorIjlEEPS9_SG_NS0_5tupleIJPjSI_NS0_16reverse_iteratorISI_EEEEENSH_IJSG_SG_SG_EEES9_SI_JZNS1_25segmented_radix_sort_implINS0_14default_configELb1EPK12hip_bfloat16PSP_PKlPlN2at6native12_GLOBAL__N_18offset_tEEE10hipError_tPvRmT1_PNSt15iterator_traitsIS13_E10value_typeET2_T3_PNS14_IS19_E10value_typeET4_jRbjT5_S1F_jjP12ihipStream_tbEUljE_ZNSN_ISO_Lb1ESR_SS_SU_SV_SZ_EES10_S11_S12_S13_S17_S18_S19_S1C_S1D_jS1E_jS1F_S1F_jjS1H_bEUljE0_EEES10_S11_S12_S19_S1D_S1F_T6_T7_T9_mT8_S1H_bDpT10_ENKUlT_T0_E_clISt17integral_constantIbLb0EES1U_IbLb1EEEEDaS1Q_S1R_EUlS1Q_E_NS1_11comp_targetILNS1_3genE2ELNS1_11target_archE906ELNS1_3gpuE6ELNS1_3repE0EEENS1_30default_config_static_selectorELNS0_4arch9wavefront6targetE1EEEvS13_
; %bb.0:
	.section	.rodata,"a",@progbits
	.p2align	6, 0x0
	.amdhsa_kernel _ZN7rocprim17ROCPRIM_400000_NS6detail17trampoline_kernelINS0_13select_configILj256ELj13ELNS0_17block_load_methodE3ELS4_3ELS4_3ELNS0_20block_scan_algorithmE0ELj4294967295EEENS1_25partition_config_selectorILNS1_17partition_subalgoE4EjNS0_10empty_typeEbEEZZNS1_14partition_implILS8_4ELb0ES6_15HIP_vector_typeIjLj2EENS0_17counting_iteratorIjlEEPS9_SG_NS0_5tupleIJPjSI_NS0_16reverse_iteratorISI_EEEEENSH_IJSG_SG_SG_EEES9_SI_JZNS1_25segmented_radix_sort_implINS0_14default_configELb1EPK12hip_bfloat16PSP_PKlPlN2at6native12_GLOBAL__N_18offset_tEEE10hipError_tPvRmT1_PNSt15iterator_traitsIS13_E10value_typeET2_T3_PNS14_IS19_E10value_typeET4_jRbjT5_S1F_jjP12ihipStream_tbEUljE_ZNSN_ISO_Lb1ESR_SS_SU_SV_SZ_EES10_S11_S12_S13_S17_S18_S19_S1C_S1D_jS1E_jS1F_S1F_jjS1H_bEUljE0_EEES10_S11_S12_S19_S1D_S1F_T6_T7_T9_mT8_S1H_bDpT10_ENKUlT_T0_E_clISt17integral_constantIbLb0EES1U_IbLb1EEEEDaS1Q_S1R_EUlS1Q_E_NS1_11comp_targetILNS1_3genE2ELNS1_11target_archE906ELNS1_3gpuE6ELNS1_3repE0EEENS1_30default_config_static_selectorELNS0_4arch9wavefront6targetE1EEEvS13_
		.amdhsa_group_segment_fixed_size 0
		.amdhsa_private_segment_fixed_size 0
		.amdhsa_kernarg_size 184
		.amdhsa_user_sgpr_count 6
		.amdhsa_user_sgpr_private_segment_buffer 1
		.amdhsa_user_sgpr_dispatch_ptr 0
		.amdhsa_user_sgpr_queue_ptr 0
		.amdhsa_user_sgpr_kernarg_segment_ptr 1
		.amdhsa_user_sgpr_dispatch_id 0
		.amdhsa_user_sgpr_flat_scratch_init 0
		.amdhsa_user_sgpr_kernarg_preload_length 0
		.amdhsa_user_sgpr_kernarg_preload_offset 0
		.amdhsa_user_sgpr_private_segment_size 0
		.amdhsa_uses_dynamic_stack 0
		.amdhsa_system_sgpr_private_segment_wavefront_offset 0
		.amdhsa_system_sgpr_workgroup_id_x 1
		.amdhsa_system_sgpr_workgroup_id_y 0
		.amdhsa_system_sgpr_workgroup_id_z 0
		.amdhsa_system_sgpr_workgroup_info 0
		.amdhsa_system_vgpr_workitem_id 0
		.amdhsa_next_free_vgpr 1
		.amdhsa_next_free_sgpr 0
		.amdhsa_accum_offset 4
		.amdhsa_reserve_vcc 0
		.amdhsa_reserve_flat_scratch 0
		.amdhsa_float_round_mode_32 0
		.amdhsa_float_round_mode_16_64 0
		.amdhsa_float_denorm_mode_32 3
		.amdhsa_float_denorm_mode_16_64 3
		.amdhsa_dx10_clamp 1
		.amdhsa_ieee_mode 1
		.amdhsa_fp16_overflow 0
		.amdhsa_tg_split 0
		.amdhsa_exception_fp_ieee_invalid_op 0
		.amdhsa_exception_fp_denorm_src 0
		.amdhsa_exception_fp_ieee_div_zero 0
		.amdhsa_exception_fp_ieee_overflow 0
		.amdhsa_exception_fp_ieee_underflow 0
		.amdhsa_exception_fp_ieee_inexact 0
		.amdhsa_exception_int_div_zero 0
	.end_amdhsa_kernel
	.section	.text._ZN7rocprim17ROCPRIM_400000_NS6detail17trampoline_kernelINS0_13select_configILj256ELj13ELNS0_17block_load_methodE3ELS4_3ELS4_3ELNS0_20block_scan_algorithmE0ELj4294967295EEENS1_25partition_config_selectorILNS1_17partition_subalgoE4EjNS0_10empty_typeEbEEZZNS1_14partition_implILS8_4ELb0ES6_15HIP_vector_typeIjLj2EENS0_17counting_iteratorIjlEEPS9_SG_NS0_5tupleIJPjSI_NS0_16reverse_iteratorISI_EEEEENSH_IJSG_SG_SG_EEES9_SI_JZNS1_25segmented_radix_sort_implINS0_14default_configELb1EPK12hip_bfloat16PSP_PKlPlN2at6native12_GLOBAL__N_18offset_tEEE10hipError_tPvRmT1_PNSt15iterator_traitsIS13_E10value_typeET2_T3_PNS14_IS19_E10value_typeET4_jRbjT5_S1F_jjP12ihipStream_tbEUljE_ZNSN_ISO_Lb1ESR_SS_SU_SV_SZ_EES10_S11_S12_S13_S17_S18_S19_S1C_S1D_jS1E_jS1F_S1F_jjS1H_bEUljE0_EEES10_S11_S12_S19_S1D_S1F_T6_T7_T9_mT8_S1H_bDpT10_ENKUlT_T0_E_clISt17integral_constantIbLb0EES1U_IbLb1EEEEDaS1Q_S1R_EUlS1Q_E_NS1_11comp_targetILNS1_3genE2ELNS1_11target_archE906ELNS1_3gpuE6ELNS1_3repE0EEENS1_30default_config_static_selectorELNS0_4arch9wavefront6targetE1EEEvS13_,"axG",@progbits,_ZN7rocprim17ROCPRIM_400000_NS6detail17trampoline_kernelINS0_13select_configILj256ELj13ELNS0_17block_load_methodE3ELS4_3ELS4_3ELNS0_20block_scan_algorithmE0ELj4294967295EEENS1_25partition_config_selectorILNS1_17partition_subalgoE4EjNS0_10empty_typeEbEEZZNS1_14partition_implILS8_4ELb0ES6_15HIP_vector_typeIjLj2EENS0_17counting_iteratorIjlEEPS9_SG_NS0_5tupleIJPjSI_NS0_16reverse_iteratorISI_EEEEENSH_IJSG_SG_SG_EEES9_SI_JZNS1_25segmented_radix_sort_implINS0_14default_configELb1EPK12hip_bfloat16PSP_PKlPlN2at6native12_GLOBAL__N_18offset_tEEE10hipError_tPvRmT1_PNSt15iterator_traitsIS13_E10value_typeET2_T3_PNS14_IS19_E10value_typeET4_jRbjT5_S1F_jjP12ihipStream_tbEUljE_ZNSN_ISO_Lb1ESR_SS_SU_SV_SZ_EES10_S11_S12_S13_S17_S18_S19_S1C_S1D_jS1E_jS1F_S1F_jjS1H_bEUljE0_EEES10_S11_S12_S19_S1D_S1F_T6_T7_T9_mT8_S1H_bDpT10_ENKUlT_T0_E_clISt17integral_constantIbLb0EES1U_IbLb1EEEEDaS1Q_S1R_EUlS1Q_E_NS1_11comp_targetILNS1_3genE2ELNS1_11target_archE906ELNS1_3gpuE6ELNS1_3repE0EEENS1_30default_config_static_selectorELNS0_4arch9wavefront6targetE1EEEvS13_,comdat
.Lfunc_end1908:
	.size	_ZN7rocprim17ROCPRIM_400000_NS6detail17trampoline_kernelINS0_13select_configILj256ELj13ELNS0_17block_load_methodE3ELS4_3ELS4_3ELNS0_20block_scan_algorithmE0ELj4294967295EEENS1_25partition_config_selectorILNS1_17partition_subalgoE4EjNS0_10empty_typeEbEEZZNS1_14partition_implILS8_4ELb0ES6_15HIP_vector_typeIjLj2EENS0_17counting_iteratorIjlEEPS9_SG_NS0_5tupleIJPjSI_NS0_16reverse_iteratorISI_EEEEENSH_IJSG_SG_SG_EEES9_SI_JZNS1_25segmented_radix_sort_implINS0_14default_configELb1EPK12hip_bfloat16PSP_PKlPlN2at6native12_GLOBAL__N_18offset_tEEE10hipError_tPvRmT1_PNSt15iterator_traitsIS13_E10value_typeET2_T3_PNS14_IS19_E10value_typeET4_jRbjT5_S1F_jjP12ihipStream_tbEUljE_ZNSN_ISO_Lb1ESR_SS_SU_SV_SZ_EES10_S11_S12_S13_S17_S18_S19_S1C_S1D_jS1E_jS1F_S1F_jjS1H_bEUljE0_EEES10_S11_S12_S19_S1D_S1F_T6_T7_T9_mT8_S1H_bDpT10_ENKUlT_T0_E_clISt17integral_constantIbLb0EES1U_IbLb1EEEEDaS1Q_S1R_EUlS1Q_E_NS1_11comp_targetILNS1_3genE2ELNS1_11target_archE906ELNS1_3gpuE6ELNS1_3repE0EEENS1_30default_config_static_selectorELNS0_4arch9wavefront6targetE1EEEvS13_, .Lfunc_end1908-_ZN7rocprim17ROCPRIM_400000_NS6detail17trampoline_kernelINS0_13select_configILj256ELj13ELNS0_17block_load_methodE3ELS4_3ELS4_3ELNS0_20block_scan_algorithmE0ELj4294967295EEENS1_25partition_config_selectorILNS1_17partition_subalgoE4EjNS0_10empty_typeEbEEZZNS1_14partition_implILS8_4ELb0ES6_15HIP_vector_typeIjLj2EENS0_17counting_iteratorIjlEEPS9_SG_NS0_5tupleIJPjSI_NS0_16reverse_iteratorISI_EEEEENSH_IJSG_SG_SG_EEES9_SI_JZNS1_25segmented_radix_sort_implINS0_14default_configELb1EPK12hip_bfloat16PSP_PKlPlN2at6native12_GLOBAL__N_18offset_tEEE10hipError_tPvRmT1_PNSt15iterator_traitsIS13_E10value_typeET2_T3_PNS14_IS19_E10value_typeET4_jRbjT5_S1F_jjP12ihipStream_tbEUljE_ZNSN_ISO_Lb1ESR_SS_SU_SV_SZ_EES10_S11_S12_S13_S17_S18_S19_S1C_S1D_jS1E_jS1F_S1F_jjS1H_bEUljE0_EEES10_S11_S12_S19_S1D_S1F_T6_T7_T9_mT8_S1H_bDpT10_ENKUlT_T0_E_clISt17integral_constantIbLb0EES1U_IbLb1EEEEDaS1Q_S1R_EUlS1Q_E_NS1_11comp_targetILNS1_3genE2ELNS1_11target_archE906ELNS1_3gpuE6ELNS1_3repE0EEENS1_30default_config_static_selectorELNS0_4arch9wavefront6targetE1EEEvS13_
                                        ; -- End function
	.section	.AMDGPU.csdata,"",@progbits
; Kernel info:
; codeLenInByte = 0
; NumSgprs: 4
; NumVgprs: 0
; NumAgprs: 0
; TotalNumVgprs: 0
; ScratchSize: 0
; MemoryBound: 0
; FloatMode: 240
; IeeeMode: 1
; LDSByteSize: 0 bytes/workgroup (compile time only)
; SGPRBlocks: 0
; VGPRBlocks: 0
; NumSGPRsForWavesPerEU: 4
; NumVGPRsForWavesPerEU: 1
; AccumOffset: 4
; Occupancy: 8
; WaveLimiterHint : 0
; COMPUTE_PGM_RSRC2:SCRATCH_EN: 0
; COMPUTE_PGM_RSRC2:USER_SGPR: 6
; COMPUTE_PGM_RSRC2:TRAP_HANDLER: 0
; COMPUTE_PGM_RSRC2:TGID_X_EN: 1
; COMPUTE_PGM_RSRC2:TGID_Y_EN: 0
; COMPUTE_PGM_RSRC2:TGID_Z_EN: 0
; COMPUTE_PGM_RSRC2:TIDIG_COMP_CNT: 0
; COMPUTE_PGM_RSRC3_GFX90A:ACCUM_OFFSET: 0
; COMPUTE_PGM_RSRC3_GFX90A:TG_SPLIT: 0
	.section	.text._ZN7rocprim17ROCPRIM_400000_NS6detail17trampoline_kernelINS0_13select_configILj256ELj13ELNS0_17block_load_methodE3ELS4_3ELS4_3ELNS0_20block_scan_algorithmE0ELj4294967295EEENS1_25partition_config_selectorILNS1_17partition_subalgoE4EjNS0_10empty_typeEbEEZZNS1_14partition_implILS8_4ELb0ES6_15HIP_vector_typeIjLj2EENS0_17counting_iteratorIjlEEPS9_SG_NS0_5tupleIJPjSI_NS0_16reverse_iteratorISI_EEEEENSH_IJSG_SG_SG_EEES9_SI_JZNS1_25segmented_radix_sort_implINS0_14default_configELb1EPK12hip_bfloat16PSP_PKlPlN2at6native12_GLOBAL__N_18offset_tEEE10hipError_tPvRmT1_PNSt15iterator_traitsIS13_E10value_typeET2_T3_PNS14_IS19_E10value_typeET4_jRbjT5_S1F_jjP12ihipStream_tbEUljE_ZNSN_ISO_Lb1ESR_SS_SU_SV_SZ_EES10_S11_S12_S13_S17_S18_S19_S1C_S1D_jS1E_jS1F_S1F_jjS1H_bEUljE0_EEES10_S11_S12_S19_S1D_S1F_T6_T7_T9_mT8_S1H_bDpT10_ENKUlT_T0_E_clISt17integral_constantIbLb0EES1U_IbLb1EEEEDaS1Q_S1R_EUlS1Q_E_NS1_11comp_targetILNS1_3genE10ELNS1_11target_archE1200ELNS1_3gpuE4ELNS1_3repE0EEENS1_30default_config_static_selectorELNS0_4arch9wavefront6targetE1EEEvS13_,"axG",@progbits,_ZN7rocprim17ROCPRIM_400000_NS6detail17trampoline_kernelINS0_13select_configILj256ELj13ELNS0_17block_load_methodE3ELS4_3ELS4_3ELNS0_20block_scan_algorithmE0ELj4294967295EEENS1_25partition_config_selectorILNS1_17partition_subalgoE4EjNS0_10empty_typeEbEEZZNS1_14partition_implILS8_4ELb0ES6_15HIP_vector_typeIjLj2EENS0_17counting_iteratorIjlEEPS9_SG_NS0_5tupleIJPjSI_NS0_16reverse_iteratorISI_EEEEENSH_IJSG_SG_SG_EEES9_SI_JZNS1_25segmented_radix_sort_implINS0_14default_configELb1EPK12hip_bfloat16PSP_PKlPlN2at6native12_GLOBAL__N_18offset_tEEE10hipError_tPvRmT1_PNSt15iterator_traitsIS13_E10value_typeET2_T3_PNS14_IS19_E10value_typeET4_jRbjT5_S1F_jjP12ihipStream_tbEUljE_ZNSN_ISO_Lb1ESR_SS_SU_SV_SZ_EES10_S11_S12_S13_S17_S18_S19_S1C_S1D_jS1E_jS1F_S1F_jjS1H_bEUljE0_EEES10_S11_S12_S19_S1D_S1F_T6_T7_T9_mT8_S1H_bDpT10_ENKUlT_T0_E_clISt17integral_constantIbLb0EES1U_IbLb1EEEEDaS1Q_S1R_EUlS1Q_E_NS1_11comp_targetILNS1_3genE10ELNS1_11target_archE1200ELNS1_3gpuE4ELNS1_3repE0EEENS1_30default_config_static_selectorELNS0_4arch9wavefront6targetE1EEEvS13_,comdat
	.globl	_ZN7rocprim17ROCPRIM_400000_NS6detail17trampoline_kernelINS0_13select_configILj256ELj13ELNS0_17block_load_methodE3ELS4_3ELS4_3ELNS0_20block_scan_algorithmE0ELj4294967295EEENS1_25partition_config_selectorILNS1_17partition_subalgoE4EjNS0_10empty_typeEbEEZZNS1_14partition_implILS8_4ELb0ES6_15HIP_vector_typeIjLj2EENS0_17counting_iteratorIjlEEPS9_SG_NS0_5tupleIJPjSI_NS0_16reverse_iteratorISI_EEEEENSH_IJSG_SG_SG_EEES9_SI_JZNS1_25segmented_radix_sort_implINS0_14default_configELb1EPK12hip_bfloat16PSP_PKlPlN2at6native12_GLOBAL__N_18offset_tEEE10hipError_tPvRmT1_PNSt15iterator_traitsIS13_E10value_typeET2_T3_PNS14_IS19_E10value_typeET4_jRbjT5_S1F_jjP12ihipStream_tbEUljE_ZNSN_ISO_Lb1ESR_SS_SU_SV_SZ_EES10_S11_S12_S13_S17_S18_S19_S1C_S1D_jS1E_jS1F_S1F_jjS1H_bEUljE0_EEES10_S11_S12_S19_S1D_S1F_T6_T7_T9_mT8_S1H_bDpT10_ENKUlT_T0_E_clISt17integral_constantIbLb0EES1U_IbLb1EEEEDaS1Q_S1R_EUlS1Q_E_NS1_11comp_targetILNS1_3genE10ELNS1_11target_archE1200ELNS1_3gpuE4ELNS1_3repE0EEENS1_30default_config_static_selectorELNS0_4arch9wavefront6targetE1EEEvS13_ ; -- Begin function _ZN7rocprim17ROCPRIM_400000_NS6detail17trampoline_kernelINS0_13select_configILj256ELj13ELNS0_17block_load_methodE3ELS4_3ELS4_3ELNS0_20block_scan_algorithmE0ELj4294967295EEENS1_25partition_config_selectorILNS1_17partition_subalgoE4EjNS0_10empty_typeEbEEZZNS1_14partition_implILS8_4ELb0ES6_15HIP_vector_typeIjLj2EENS0_17counting_iteratorIjlEEPS9_SG_NS0_5tupleIJPjSI_NS0_16reverse_iteratorISI_EEEEENSH_IJSG_SG_SG_EEES9_SI_JZNS1_25segmented_radix_sort_implINS0_14default_configELb1EPK12hip_bfloat16PSP_PKlPlN2at6native12_GLOBAL__N_18offset_tEEE10hipError_tPvRmT1_PNSt15iterator_traitsIS13_E10value_typeET2_T3_PNS14_IS19_E10value_typeET4_jRbjT5_S1F_jjP12ihipStream_tbEUljE_ZNSN_ISO_Lb1ESR_SS_SU_SV_SZ_EES10_S11_S12_S13_S17_S18_S19_S1C_S1D_jS1E_jS1F_S1F_jjS1H_bEUljE0_EEES10_S11_S12_S19_S1D_S1F_T6_T7_T9_mT8_S1H_bDpT10_ENKUlT_T0_E_clISt17integral_constantIbLb0EES1U_IbLb1EEEEDaS1Q_S1R_EUlS1Q_E_NS1_11comp_targetILNS1_3genE10ELNS1_11target_archE1200ELNS1_3gpuE4ELNS1_3repE0EEENS1_30default_config_static_selectorELNS0_4arch9wavefront6targetE1EEEvS13_
	.p2align	8
	.type	_ZN7rocprim17ROCPRIM_400000_NS6detail17trampoline_kernelINS0_13select_configILj256ELj13ELNS0_17block_load_methodE3ELS4_3ELS4_3ELNS0_20block_scan_algorithmE0ELj4294967295EEENS1_25partition_config_selectorILNS1_17partition_subalgoE4EjNS0_10empty_typeEbEEZZNS1_14partition_implILS8_4ELb0ES6_15HIP_vector_typeIjLj2EENS0_17counting_iteratorIjlEEPS9_SG_NS0_5tupleIJPjSI_NS0_16reverse_iteratorISI_EEEEENSH_IJSG_SG_SG_EEES9_SI_JZNS1_25segmented_radix_sort_implINS0_14default_configELb1EPK12hip_bfloat16PSP_PKlPlN2at6native12_GLOBAL__N_18offset_tEEE10hipError_tPvRmT1_PNSt15iterator_traitsIS13_E10value_typeET2_T3_PNS14_IS19_E10value_typeET4_jRbjT5_S1F_jjP12ihipStream_tbEUljE_ZNSN_ISO_Lb1ESR_SS_SU_SV_SZ_EES10_S11_S12_S13_S17_S18_S19_S1C_S1D_jS1E_jS1F_S1F_jjS1H_bEUljE0_EEES10_S11_S12_S19_S1D_S1F_T6_T7_T9_mT8_S1H_bDpT10_ENKUlT_T0_E_clISt17integral_constantIbLb0EES1U_IbLb1EEEEDaS1Q_S1R_EUlS1Q_E_NS1_11comp_targetILNS1_3genE10ELNS1_11target_archE1200ELNS1_3gpuE4ELNS1_3repE0EEENS1_30default_config_static_selectorELNS0_4arch9wavefront6targetE1EEEvS13_,@function
_ZN7rocprim17ROCPRIM_400000_NS6detail17trampoline_kernelINS0_13select_configILj256ELj13ELNS0_17block_load_methodE3ELS4_3ELS4_3ELNS0_20block_scan_algorithmE0ELj4294967295EEENS1_25partition_config_selectorILNS1_17partition_subalgoE4EjNS0_10empty_typeEbEEZZNS1_14partition_implILS8_4ELb0ES6_15HIP_vector_typeIjLj2EENS0_17counting_iteratorIjlEEPS9_SG_NS0_5tupleIJPjSI_NS0_16reverse_iteratorISI_EEEEENSH_IJSG_SG_SG_EEES9_SI_JZNS1_25segmented_radix_sort_implINS0_14default_configELb1EPK12hip_bfloat16PSP_PKlPlN2at6native12_GLOBAL__N_18offset_tEEE10hipError_tPvRmT1_PNSt15iterator_traitsIS13_E10value_typeET2_T3_PNS14_IS19_E10value_typeET4_jRbjT5_S1F_jjP12ihipStream_tbEUljE_ZNSN_ISO_Lb1ESR_SS_SU_SV_SZ_EES10_S11_S12_S13_S17_S18_S19_S1C_S1D_jS1E_jS1F_S1F_jjS1H_bEUljE0_EEES10_S11_S12_S19_S1D_S1F_T6_T7_T9_mT8_S1H_bDpT10_ENKUlT_T0_E_clISt17integral_constantIbLb0EES1U_IbLb1EEEEDaS1Q_S1R_EUlS1Q_E_NS1_11comp_targetILNS1_3genE10ELNS1_11target_archE1200ELNS1_3gpuE4ELNS1_3repE0EEENS1_30default_config_static_selectorELNS0_4arch9wavefront6targetE1EEEvS13_: ; @_ZN7rocprim17ROCPRIM_400000_NS6detail17trampoline_kernelINS0_13select_configILj256ELj13ELNS0_17block_load_methodE3ELS4_3ELS4_3ELNS0_20block_scan_algorithmE0ELj4294967295EEENS1_25partition_config_selectorILNS1_17partition_subalgoE4EjNS0_10empty_typeEbEEZZNS1_14partition_implILS8_4ELb0ES6_15HIP_vector_typeIjLj2EENS0_17counting_iteratorIjlEEPS9_SG_NS0_5tupleIJPjSI_NS0_16reverse_iteratorISI_EEEEENSH_IJSG_SG_SG_EEES9_SI_JZNS1_25segmented_radix_sort_implINS0_14default_configELb1EPK12hip_bfloat16PSP_PKlPlN2at6native12_GLOBAL__N_18offset_tEEE10hipError_tPvRmT1_PNSt15iterator_traitsIS13_E10value_typeET2_T3_PNS14_IS19_E10value_typeET4_jRbjT5_S1F_jjP12ihipStream_tbEUljE_ZNSN_ISO_Lb1ESR_SS_SU_SV_SZ_EES10_S11_S12_S13_S17_S18_S19_S1C_S1D_jS1E_jS1F_S1F_jjS1H_bEUljE0_EEES10_S11_S12_S19_S1D_S1F_T6_T7_T9_mT8_S1H_bDpT10_ENKUlT_T0_E_clISt17integral_constantIbLb0EES1U_IbLb1EEEEDaS1Q_S1R_EUlS1Q_E_NS1_11comp_targetILNS1_3genE10ELNS1_11target_archE1200ELNS1_3gpuE4ELNS1_3repE0EEENS1_30default_config_static_selectorELNS0_4arch9wavefront6targetE1EEEvS13_
; %bb.0:
	.section	.rodata,"a",@progbits
	.p2align	6, 0x0
	.amdhsa_kernel _ZN7rocprim17ROCPRIM_400000_NS6detail17trampoline_kernelINS0_13select_configILj256ELj13ELNS0_17block_load_methodE3ELS4_3ELS4_3ELNS0_20block_scan_algorithmE0ELj4294967295EEENS1_25partition_config_selectorILNS1_17partition_subalgoE4EjNS0_10empty_typeEbEEZZNS1_14partition_implILS8_4ELb0ES6_15HIP_vector_typeIjLj2EENS0_17counting_iteratorIjlEEPS9_SG_NS0_5tupleIJPjSI_NS0_16reverse_iteratorISI_EEEEENSH_IJSG_SG_SG_EEES9_SI_JZNS1_25segmented_radix_sort_implINS0_14default_configELb1EPK12hip_bfloat16PSP_PKlPlN2at6native12_GLOBAL__N_18offset_tEEE10hipError_tPvRmT1_PNSt15iterator_traitsIS13_E10value_typeET2_T3_PNS14_IS19_E10value_typeET4_jRbjT5_S1F_jjP12ihipStream_tbEUljE_ZNSN_ISO_Lb1ESR_SS_SU_SV_SZ_EES10_S11_S12_S13_S17_S18_S19_S1C_S1D_jS1E_jS1F_S1F_jjS1H_bEUljE0_EEES10_S11_S12_S19_S1D_S1F_T6_T7_T9_mT8_S1H_bDpT10_ENKUlT_T0_E_clISt17integral_constantIbLb0EES1U_IbLb1EEEEDaS1Q_S1R_EUlS1Q_E_NS1_11comp_targetILNS1_3genE10ELNS1_11target_archE1200ELNS1_3gpuE4ELNS1_3repE0EEENS1_30default_config_static_selectorELNS0_4arch9wavefront6targetE1EEEvS13_
		.amdhsa_group_segment_fixed_size 0
		.amdhsa_private_segment_fixed_size 0
		.amdhsa_kernarg_size 184
		.amdhsa_user_sgpr_count 6
		.amdhsa_user_sgpr_private_segment_buffer 1
		.amdhsa_user_sgpr_dispatch_ptr 0
		.amdhsa_user_sgpr_queue_ptr 0
		.amdhsa_user_sgpr_kernarg_segment_ptr 1
		.amdhsa_user_sgpr_dispatch_id 0
		.amdhsa_user_sgpr_flat_scratch_init 0
		.amdhsa_user_sgpr_kernarg_preload_length 0
		.amdhsa_user_sgpr_kernarg_preload_offset 0
		.amdhsa_user_sgpr_private_segment_size 0
		.amdhsa_uses_dynamic_stack 0
		.amdhsa_system_sgpr_private_segment_wavefront_offset 0
		.amdhsa_system_sgpr_workgroup_id_x 1
		.amdhsa_system_sgpr_workgroup_id_y 0
		.amdhsa_system_sgpr_workgroup_id_z 0
		.amdhsa_system_sgpr_workgroup_info 0
		.amdhsa_system_vgpr_workitem_id 0
		.amdhsa_next_free_vgpr 1
		.amdhsa_next_free_sgpr 0
		.amdhsa_accum_offset 4
		.amdhsa_reserve_vcc 0
		.amdhsa_reserve_flat_scratch 0
		.amdhsa_float_round_mode_32 0
		.amdhsa_float_round_mode_16_64 0
		.amdhsa_float_denorm_mode_32 3
		.amdhsa_float_denorm_mode_16_64 3
		.amdhsa_dx10_clamp 1
		.amdhsa_ieee_mode 1
		.amdhsa_fp16_overflow 0
		.amdhsa_tg_split 0
		.amdhsa_exception_fp_ieee_invalid_op 0
		.amdhsa_exception_fp_denorm_src 0
		.amdhsa_exception_fp_ieee_div_zero 0
		.amdhsa_exception_fp_ieee_overflow 0
		.amdhsa_exception_fp_ieee_underflow 0
		.amdhsa_exception_fp_ieee_inexact 0
		.amdhsa_exception_int_div_zero 0
	.end_amdhsa_kernel
	.section	.text._ZN7rocprim17ROCPRIM_400000_NS6detail17trampoline_kernelINS0_13select_configILj256ELj13ELNS0_17block_load_methodE3ELS4_3ELS4_3ELNS0_20block_scan_algorithmE0ELj4294967295EEENS1_25partition_config_selectorILNS1_17partition_subalgoE4EjNS0_10empty_typeEbEEZZNS1_14partition_implILS8_4ELb0ES6_15HIP_vector_typeIjLj2EENS0_17counting_iteratorIjlEEPS9_SG_NS0_5tupleIJPjSI_NS0_16reverse_iteratorISI_EEEEENSH_IJSG_SG_SG_EEES9_SI_JZNS1_25segmented_radix_sort_implINS0_14default_configELb1EPK12hip_bfloat16PSP_PKlPlN2at6native12_GLOBAL__N_18offset_tEEE10hipError_tPvRmT1_PNSt15iterator_traitsIS13_E10value_typeET2_T3_PNS14_IS19_E10value_typeET4_jRbjT5_S1F_jjP12ihipStream_tbEUljE_ZNSN_ISO_Lb1ESR_SS_SU_SV_SZ_EES10_S11_S12_S13_S17_S18_S19_S1C_S1D_jS1E_jS1F_S1F_jjS1H_bEUljE0_EEES10_S11_S12_S19_S1D_S1F_T6_T7_T9_mT8_S1H_bDpT10_ENKUlT_T0_E_clISt17integral_constantIbLb0EES1U_IbLb1EEEEDaS1Q_S1R_EUlS1Q_E_NS1_11comp_targetILNS1_3genE10ELNS1_11target_archE1200ELNS1_3gpuE4ELNS1_3repE0EEENS1_30default_config_static_selectorELNS0_4arch9wavefront6targetE1EEEvS13_,"axG",@progbits,_ZN7rocprim17ROCPRIM_400000_NS6detail17trampoline_kernelINS0_13select_configILj256ELj13ELNS0_17block_load_methodE3ELS4_3ELS4_3ELNS0_20block_scan_algorithmE0ELj4294967295EEENS1_25partition_config_selectorILNS1_17partition_subalgoE4EjNS0_10empty_typeEbEEZZNS1_14partition_implILS8_4ELb0ES6_15HIP_vector_typeIjLj2EENS0_17counting_iteratorIjlEEPS9_SG_NS0_5tupleIJPjSI_NS0_16reverse_iteratorISI_EEEEENSH_IJSG_SG_SG_EEES9_SI_JZNS1_25segmented_radix_sort_implINS0_14default_configELb1EPK12hip_bfloat16PSP_PKlPlN2at6native12_GLOBAL__N_18offset_tEEE10hipError_tPvRmT1_PNSt15iterator_traitsIS13_E10value_typeET2_T3_PNS14_IS19_E10value_typeET4_jRbjT5_S1F_jjP12ihipStream_tbEUljE_ZNSN_ISO_Lb1ESR_SS_SU_SV_SZ_EES10_S11_S12_S13_S17_S18_S19_S1C_S1D_jS1E_jS1F_S1F_jjS1H_bEUljE0_EEES10_S11_S12_S19_S1D_S1F_T6_T7_T9_mT8_S1H_bDpT10_ENKUlT_T0_E_clISt17integral_constantIbLb0EES1U_IbLb1EEEEDaS1Q_S1R_EUlS1Q_E_NS1_11comp_targetILNS1_3genE10ELNS1_11target_archE1200ELNS1_3gpuE4ELNS1_3repE0EEENS1_30default_config_static_selectorELNS0_4arch9wavefront6targetE1EEEvS13_,comdat
.Lfunc_end1909:
	.size	_ZN7rocprim17ROCPRIM_400000_NS6detail17trampoline_kernelINS0_13select_configILj256ELj13ELNS0_17block_load_methodE3ELS4_3ELS4_3ELNS0_20block_scan_algorithmE0ELj4294967295EEENS1_25partition_config_selectorILNS1_17partition_subalgoE4EjNS0_10empty_typeEbEEZZNS1_14partition_implILS8_4ELb0ES6_15HIP_vector_typeIjLj2EENS0_17counting_iteratorIjlEEPS9_SG_NS0_5tupleIJPjSI_NS0_16reverse_iteratorISI_EEEEENSH_IJSG_SG_SG_EEES9_SI_JZNS1_25segmented_radix_sort_implINS0_14default_configELb1EPK12hip_bfloat16PSP_PKlPlN2at6native12_GLOBAL__N_18offset_tEEE10hipError_tPvRmT1_PNSt15iterator_traitsIS13_E10value_typeET2_T3_PNS14_IS19_E10value_typeET4_jRbjT5_S1F_jjP12ihipStream_tbEUljE_ZNSN_ISO_Lb1ESR_SS_SU_SV_SZ_EES10_S11_S12_S13_S17_S18_S19_S1C_S1D_jS1E_jS1F_S1F_jjS1H_bEUljE0_EEES10_S11_S12_S19_S1D_S1F_T6_T7_T9_mT8_S1H_bDpT10_ENKUlT_T0_E_clISt17integral_constantIbLb0EES1U_IbLb1EEEEDaS1Q_S1R_EUlS1Q_E_NS1_11comp_targetILNS1_3genE10ELNS1_11target_archE1200ELNS1_3gpuE4ELNS1_3repE0EEENS1_30default_config_static_selectorELNS0_4arch9wavefront6targetE1EEEvS13_, .Lfunc_end1909-_ZN7rocprim17ROCPRIM_400000_NS6detail17trampoline_kernelINS0_13select_configILj256ELj13ELNS0_17block_load_methodE3ELS4_3ELS4_3ELNS0_20block_scan_algorithmE0ELj4294967295EEENS1_25partition_config_selectorILNS1_17partition_subalgoE4EjNS0_10empty_typeEbEEZZNS1_14partition_implILS8_4ELb0ES6_15HIP_vector_typeIjLj2EENS0_17counting_iteratorIjlEEPS9_SG_NS0_5tupleIJPjSI_NS0_16reverse_iteratorISI_EEEEENSH_IJSG_SG_SG_EEES9_SI_JZNS1_25segmented_radix_sort_implINS0_14default_configELb1EPK12hip_bfloat16PSP_PKlPlN2at6native12_GLOBAL__N_18offset_tEEE10hipError_tPvRmT1_PNSt15iterator_traitsIS13_E10value_typeET2_T3_PNS14_IS19_E10value_typeET4_jRbjT5_S1F_jjP12ihipStream_tbEUljE_ZNSN_ISO_Lb1ESR_SS_SU_SV_SZ_EES10_S11_S12_S13_S17_S18_S19_S1C_S1D_jS1E_jS1F_S1F_jjS1H_bEUljE0_EEES10_S11_S12_S19_S1D_S1F_T6_T7_T9_mT8_S1H_bDpT10_ENKUlT_T0_E_clISt17integral_constantIbLb0EES1U_IbLb1EEEEDaS1Q_S1R_EUlS1Q_E_NS1_11comp_targetILNS1_3genE10ELNS1_11target_archE1200ELNS1_3gpuE4ELNS1_3repE0EEENS1_30default_config_static_selectorELNS0_4arch9wavefront6targetE1EEEvS13_
                                        ; -- End function
	.section	.AMDGPU.csdata,"",@progbits
; Kernel info:
; codeLenInByte = 0
; NumSgprs: 4
; NumVgprs: 0
; NumAgprs: 0
; TotalNumVgprs: 0
; ScratchSize: 0
; MemoryBound: 0
; FloatMode: 240
; IeeeMode: 1
; LDSByteSize: 0 bytes/workgroup (compile time only)
; SGPRBlocks: 0
; VGPRBlocks: 0
; NumSGPRsForWavesPerEU: 4
; NumVGPRsForWavesPerEU: 1
; AccumOffset: 4
; Occupancy: 8
; WaveLimiterHint : 0
; COMPUTE_PGM_RSRC2:SCRATCH_EN: 0
; COMPUTE_PGM_RSRC2:USER_SGPR: 6
; COMPUTE_PGM_RSRC2:TRAP_HANDLER: 0
; COMPUTE_PGM_RSRC2:TGID_X_EN: 1
; COMPUTE_PGM_RSRC2:TGID_Y_EN: 0
; COMPUTE_PGM_RSRC2:TGID_Z_EN: 0
; COMPUTE_PGM_RSRC2:TIDIG_COMP_CNT: 0
; COMPUTE_PGM_RSRC3_GFX90A:ACCUM_OFFSET: 0
; COMPUTE_PGM_RSRC3_GFX90A:TG_SPLIT: 0
	.section	.text._ZN7rocprim17ROCPRIM_400000_NS6detail17trampoline_kernelINS0_13select_configILj256ELj13ELNS0_17block_load_methodE3ELS4_3ELS4_3ELNS0_20block_scan_algorithmE0ELj4294967295EEENS1_25partition_config_selectorILNS1_17partition_subalgoE4EjNS0_10empty_typeEbEEZZNS1_14partition_implILS8_4ELb0ES6_15HIP_vector_typeIjLj2EENS0_17counting_iteratorIjlEEPS9_SG_NS0_5tupleIJPjSI_NS0_16reverse_iteratorISI_EEEEENSH_IJSG_SG_SG_EEES9_SI_JZNS1_25segmented_radix_sort_implINS0_14default_configELb1EPK12hip_bfloat16PSP_PKlPlN2at6native12_GLOBAL__N_18offset_tEEE10hipError_tPvRmT1_PNSt15iterator_traitsIS13_E10value_typeET2_T3_PNS14_IS19_E10value_typeET4_jRbjT5_S1F_jjP12ihipStream_tbEUljE_ZNSN_ISO_Lb1ESR_SS_SU_SV_SZ_EES10_S11_S12_S13_S17_S18_S19_S1C_S1D_jS1E_jS1F_S1F_jjS1H_bEUljE0_EEES10_S11_S12_S19_S1D_S1F_T6_T7_T9_mT8_S1H_bDpT10_ENKUlT_T0_E_clISt17integral_constantIbLb0EES1U_IbLb1EEEEDaS1Q_S1R_EUlS1Q_E_NS1_11comp_targetILNS1_3genE9ELNS1_11target_archE1100ELNS1_3gpuE3ELNS1_3repE0EEENS1_30default_config_static_selectorELNS0_4arch9wavefront6targetE1EEEvS13_,"axG",@progbits,_ZN7rocprim17ROCPRIM_400000_NS6detail17trampoline_kernelINS0_13select_configILj256ELj13ELNS0_17block_load_methodE3ELS4_3ELS4_3ELNS0_20block_scan_algorithmE0ELj4294967295EEENS1_25partition_config_selectorILNS1_17partition_subalgoE4EjNS0_10empty_typeEbEEZZNS1_14partition_implILS8_4ELb0ES6_15HIP_vector_typeIjLj2EENS0_17counting_iteratorIjlEEPS9_SG_NS0_5tupleIJPjSI_NS0_16reverse_iteratorISI_EEEEENSH_IJSG_SG_SG_EEES9_SI_JZNS1_25segmented_radix_sort_implINS0_14default_configELb1EPK12hip_bfloat16PSP_PKlPlN2at6native12_GLOBAL__N_18offset_tEEE10hipError_tPvRmT1_PNSt15iterator_traitsIS13_E10value_typeET2_T3_PNS14_IS19_E10value_typeET4_jRbjT5_S1F_jjP12ihipStream_tbEUljE_ZNSN_ISO_Lb1ESR_SS_SU_SV_SZ_EES10_S11_S12_S13_S17_S18_S19_S1C_S1D_jS1E_jS1F_S1F_jjS1H_bEUljE0_EEES10_S11_S12_S19_S1D_S1F_T6_T7_T9_mT8_S1H_bDpT10_ENKUlT_T0_E_clISt17integral_constantIbLb0EES1U_IbLb1EEEEDaS1Q_S1R_EUlS1Q_E_NS1_11comp_targetILNS1_3genE9ELNS1_11target_archE1100ELNS1_3gpuE3ELNS1_3repE0EEENS1_30default_config_static_selectorELNS0_4arch9wavefront6targetE1EEEvS13_,comdat
	.globl	_ZN7rocprim17ROCPRIM_400000_NS6detail17trampoline_kernelINS0_13select_configILj256ELj13ELNS0_17block_load_methodE3ELS4_3ELS4_3ELNS0_20block_scan_algorithmE0ELj4294967295EEENS1_25partition_config_selectorILNS1_17partition_subalgoE4EjNS0_10empty_typeEbEEZZNS1_14partition_implILS8_4ELb0ES6_15HIP_vector_typeIjLj2EENS0_17counting_iteratorIjlEEPS9_SG_NS0_5tupleIJPjSI_NS0_16reverse_iteratorISI_EEEEENSH_IJSG_SG_SG_EEES9_SI_JZNS1_25segmented_radix_sort_implINS0_14default_configELb1EPK12hip_bfloat16PSP_PKlPlN2at6native12_GLOBAL__N_18offset_tEEE10hipError_tPvRmT1_PNSt15iterator_traitsIS13_E10value_typeET2_T3_PNS14_IS19_E10value_typeET4_jRbjT5_S1F_jjP12ihipStream_tbEUljE_ZNSN_ISO_Lb1ESR_SS_SU_SV_SZ_EES10_S11_S12_S13_S17_S18_S19_S1C_S1D_jS1E_jS1F_S1F_jjS1H_bEUljE0_EEES10_S11_S12_S19_S1D_S1F_T6_T7_T9_mT8_S1H_bDpT10_ENKUlT_T0_E_clISt17integral_constantIbLb0EES1U_IbLb1EEEEDaS1Q_S1R_EUlS1Q_E_NS1_11comp_targetILNS1_3genE9ELNS1_11target_archE1100ELNS1_3gpuE3ELNS1_3repE0EEENS1_30default_config_static_selectorELNS0_4arch9wavefront6targetE1EEEvS13_ ; -- Begin function _ZN7rocprim17ROCPRIM_400000_NS6detail17trampoline_kernelINS0_13select_configILj256ELj13ELNS0_17block_load_methodE3ELS4_3ELS4_3ELNS0_20block_scan_algorithmE0ELj4294967295EEENS1_25partition_config_selectorILNS1_17partition_subalgoE4EjNS0_10empty_typeEbEEZZNS1_14partition_implILS8_4ELb0ES6_15HIP_vector_typeIjLj2EENS0_17counting_iteratorIjlEEPS9_SG_NS0_5tupleIJPjSI_NS0_16reverse_iteratorISI_EEEEENSH_IJSG_SG_SG_EEES9_SI_JZNS1_25segmented_radix_sort_implINS0_14default_configELb1EPK12hip_bfloat16PSP_PKlPlN2at6native12_GLOBAL__N_18offset_tEEE10hipError_tPvRmT1_PNSt15iterator_traitsIS13_E10value_typeET2_T3_PNS14_IS19_E10value_typeET4_jRbjT5_S1F_jjP12ihipStream_tbEUljE_ZNSN_ISO_Lb1ESR_SS_SU_SV_SZ_EES10_S11_S12_S13_S17_S18_S19_S1C_S1D_jS1E_jS1F_S1F_jjS1H_bEUljE0_EEES10_S11_S12_S19_S1D_S1F_T6_T7_T9_mT8_S1H_bDpT10_ENKUlT_T0_E_clISt17integral_constantIbLb0EES1U_IbLb1EEEEDaS1Q_S1R_EUlS1Q_E_NS1_11comp_targetILNS1_3genE9ELNS1_11target_archE1100ELNS1_3gpuE3ELNS1_3repE0EEENS1_30default_config_static_selectorELNS0_4arch9wavefront6targetE1EEEvS13_
	.p2align	8
	.type	_ZN7rocprim17ROCPRIM_400000_NS6detail17trampoline_kernelINS0_13select_configILj256ELj13ELNS0_17block_load_methodE3ELS4_3ELS4_3ELNS0_20block_scan_algorithmE0ELj4294967295EEENS1_25partition_config_selectorILNS1_17partition_subalgoE4EjNS0_10empty_typeEbEEZZNS1_14partition_implILS8_4ELb0ES6_15HIP_vector_typeIjLj2EENS0_17counting_iteratorIjlEEPS9_SG_NS0_5tupleIJPjSI_NS0_16reverse_iteratorISI_EEEEENSH_IJSG_SG_SG_EEES9_SI_JZNS1_25segmented_radix_sort_implINS0_14default_configELb1EPK12hip_bfloat16PSP_PKlPlN2at6native12_GLOBAL__N_18offset_tEEE10hipError_tPvRmT1_PNSt15iterator_traitsIS13_E10value_typeET2_T3_PNS14_IS19_E10value_typeET4_jRbjT5_S1F_jjP12ihipStream_tbEUljE_ZNSN_ISO_Lb1ESR_SS_SU_SV_SZ_EES10_S11_S12_S13_S17_S18_S19_S1C_S1D_jS1E_jS1F_S1F_jjS1H_bEUljE0_EEES10_S11_S12_S19_S1D_S1F_T6_T7_T9_mT8_S1H_bDpT10_ENKUlT_T0_E_clISt17integral_constantIbLb0EES1U_IbLb1EEEEDaS1Q_S1R_EUlS1Q_E_NS1_11comp_targetILNS1_3genE9ELNS1_11target_archE1100ELNS1_3gpuE3ELNS1_3repE0EEENS1_30default_config_static_selectorELNS0_4arch9wavefront6targetE1EEEvS13_,@function
_ZN7rocprim17ROCPRIM_400000_NS6detail17trampoline_kernelINS0_13select_configILj256ELj13ELNS0_17block_load_methodE3ELS4_3ELS4_3ELNS0_20block_scan_algorithmE0ELj4294967295EEENS1_25partition_config_selectorILNS1_17partition_subalgoE4EjNS0_10empty_typeEbEEZZNS1_14partition_implILS8_4ELb0ES6_15HIP_vector_typeIjLj2EENS0_17counting_iteratorIjlEEPS9_SG_NS0_5tupleIJPjSI_NS0_16reverse_iteratorISI_EEEEENSH_IJSG_SG_SG_EEES9_SI_JZNS1_25segmented_radix_sort_implINS0_14default_configELb1EPK12hip_bfloat16PSP_PKlPlN2at6native12_GLOBAL__N_18offset_tEEE10hipError_tPvRmT1_PNSt15iterator_traitsIS13_E10value_typeET2_T3_PNS14_IS19_E10value_typeET4_jRbjT5_S1F_jjP12ihipStream_tbEUljE_ZNSN_ISO_Lb1ESR_SS_SU_SV_SZ_EES10_S11_S12_S13_S17_S18_S19_S1C_S1D_jS1E_jS1F_S1F_jjS1H_bEUljE0_EEES10_S11_S12_S19_S1D_S1F_T6_T7_T9_mT8_S1H_bDpT10_ENKUlT_T0_E_clISt17integral_constantIbLb0EES1U_IbLb1EEEEDaS1Q_S1R_EUlS1Q_E_NS1_11comp_targetILNS1_3genE9ELNS1_11target_archE1100ELNS1_3gpuE3ELNS1_3repE0EEENS1_30default_config_static_selectorELNS0_4arch9wavefront6targetE1EEEvS13_: ; @_ZN7rocprim17ROCPRIM_400000_NS6detail17trampoline_kernelINS0_13select_configILj256ELj13ELNS0_17block_load_methodE3ELS4_3ELS4_3ELNS0_20block_scan_algorithmE0ELj4294967295EEENS1_25partition_config_selectorILNS1_17partition_subalgoE4EjNS0_10empty_typeEbEEZZNS1_14partition_implILS8_4ELb0ES6_15HIP_vector_typeIjLj2EENS0_17counting_iteratorIjlEEPS9_SG_NS0_5tupleIJPjSI_NS0_16reverse_iteratorISI_EEEEENSH_IJSG_SG_SG_EEES9_SI_JZNS1_25segmented_radix_sort_implINS0_14default_configELb1EPK12hip_bfloat16PSP_PKlPlN2at6native12_GLOBAL__N_18offset_tEEE10hipError_tPvRmT1_PNSt15iterator_traitsIS13_E10value_typeET2_T3_PNS14_IS19_E10value_typeET4_jRbjT5_S1F_jjP12ihipStream_tbEUljE_ZNSN_ISO_Lb1ESR_SS_SU_SV_SZ_EES10_S11_S12_S13_S17_S18_S19_S1C_S1D_jS1E_jS1F_S1F_jjS1H_bEUljE0_EEES10_S11_S12_S19_S1D_S1F_T6_T7_T9_mT8_S1H_bDpT10_ENKUlT_T0_E_clISt17integral_constantIbLb0EES1U_IbLb1EEEEDaS1Q_S1R_EUlS1Q_E_NS1_11comp_targetILNS1_3genE9ELNS1_11target_archE1100ELNS1_3gpuE3ELNS1_3repE0EEENS1_30default_config_static_selectorELNS0_4arch9wavefront6targetE1EEEvS13_
; %bb.0:
	.section	.rodata,"a",@progbits
	.p2align	6, 0x0
	.amdhsa_kernel _ZN7rocprim17ROCPRIM_400000_NS6detail17trampoline_kernelINS0_13select_configILj256ELj13ELNS0_17block_load_methodE3ELS4_3ELS4_3ELNS0_20block_scan_algorithmE0ELj4294967295EEENS1_25partition_config_selectorILNS1_17partition_subalgoE4EjNS0_10empty_typeEbEEZZNS1_14partition_implILS8_4ELb0ES6_15HIP_vector_typeIjLj2EENS0_17counting_iteratorIjlEEPS9_SG_NS0_5tupleIJPjSI_NS0_16reverse_iteratorISI_EEEEENSH_IJSG_SG_SG_EEES9_SI_JZNS1_25segmented_radix_sort_implINS0_14default_configELb1EPK12hip_bfloat16PSP_PKlPlN2at6native12_GLOBAL__N_18offset_tEEE10hipError_tPvRmT1_PNSt15iterator_traitsIS13_E10value_typeET2_T3_PNS14_IS19_E10value_typeET4_jRbjT5_S1F_jjP12ihipStream_tbEUljE_ZNSN_ISO_Lb1ESR_SS_SU_SV_SZ_EES10_S11_S12_S13_S17_S18_S19_S1C_S1D_jS1E_jS1F_S1F_jjS1H_bEUljE0_EEES10_S11_S12_S19_S1D_S1F_T6_T7_T9_mT8_S1H_bDpT10_ENKUlT_T0_E_clISt17integral_constantIbLb0EES1U_IbLb1EEEEDaS1Q_S1R_EUlS1Q_E_NS1_11comp_targetILNS1_3genE9ELNS1_11target_archE1100ELNS1_3gpuE3ELNS1_3repE0EEENS1_30default_config_static_selectorELNS0_4arch9wavefront6targetE1EEEvS13_
		.amdhsa_group_segment_fixed_size 0
		.amdhsa_private_segment_fixed_size 0
		.amdhsa_kernarg_size 184
		.amdhsa_user_sgpr_count 6
		.amdhsa_user_sgpr_private_segment_buffer 1
		.amdhsa_user_sgpr_dispatch_ptr 0
		.amdhsa_user_sgpr_queue_ptr 0
		.amdhsa_user_sgpr_kernarg_segment_ptr 1
		.amdhsa_user_sgpr_dispatch_id 0
		.amdhsa_user_sgpr_flat_scratch_init 0
		.amdhsa_user_sgpr_kernarg_preload_length 0
		.amdhsa_user_sgpr_kernarg_preload_offset 0
		.amdhsa_user_sgpr_private_segment_size 0
		.amdhsa_uses_dynamic_stack 0
		.amdhsa_system_sgpr_private_segment_wavefront_offset 0
		.amdhsa_system_sgpr_workgroup_id_x 1
		.amdhsa_system_sgpr_workgroup_id_y 0
		.amdhsa_system_sgpr_workgroup_id_z 0
		.amdhsa_system_sgpr_workgroup_info 0
		.amdhsa_system_vgpr_workitem_id 0
		.amdhsa_next_free_vgpr 1
		.amdhsa_next_free_sgpr 0
		.amdhsa_accum_offset 4
		.amdhsa_reserve_vcc 0
		.amdhsa_reserve_flat_scratch 0
		.amdhsa_float_round_mode_32 0
		.amdhsa_float_round_mode_16_64 0
		.amdhsa_float_denorm_mode_32 3
		.amdhsa_float_denorm_mode_16_64 3
		.amdhsa_dx10_clamp 1
		.amdhsa_ieee_mode 1
		.amdhsa_fp16_overflow 0
		.amdhsa_tg_split 0
		.amdhsa_exception_fp_ieee_invalid_op 0
		.amdhsa_exception_fp_denorm_src 0
		.amdhsa_exception_fp_ieee_div_zero 0
		.amdhsa_exception_fp_ieee_overflow 0
		.amdhsa_exception_fp_ieee_underflow 0
		.amdhsa_exception_fp_ieee_inexact 0
		.amdhsa_exception_int_div_zero 0
	.end_amdhsa_kernel
	.section	.text._ZN7rocprim17ROCPRIM_400000_NS6detail17trampoline_kernelINS0_13select_configILj256ELj13ELNS0_17block_load_methodE3ELS4_3ELS4_3ELNS0_20block_scan_algorithmE0ELj4294967295EEENS1_25partition_config_selectorILNS1_17partition_subalgoE4EjNS0_10empty_typeEbEEZZNS1_14partition_implILS8_4ELb0ES6_15HIP_vector_typeIjLj2EENS0_17counting_iteratorIjlEEPS9_SG_NS0_5tupleIJPjSI_NS0_16reverse_iteratorISI_EEEEENSH_IJSG_SG_SG_EEES9_SI_JZNS1_25segmented_radix_sort_implINS0_14default_configELb1EPK12hip_bfloat16PSP_PKlPlN2at6native12_GLOBAL__N_18offset_tEEE10hipError_tPvRmT1_PNSt15iterator_traitsIS13_E10value_typeET2_T3_PNS14_IS19_E10value_typeET4_jRbjT5_S1F_jjP12ihipStream_tbEUljE_ZNSN_ISO_Lb1ESR_SS_SU_SV_SZ_EES10_S11_S12_S13_S17_S18_S19_S1C_S1D_jS1E_jS1F_S1F_jjS1H_bEUljE0_EEES10_S11_S12_S19_S1D_S1F_T6_T7_T9_mT8_S1H_bDpT10_ENKUlT_T0_E_clISt17integral_constantIbLb0EES1U_IbLb1EEEEDaS1Q_S1R_EUlS1Q_E_NS1_11comp_targetILNS1_3genE9ELNS1_11target_archE1100ELNS1_3gpuE3ELNS1_3repE0EEENS1_30default_config_static_selectorELNS0_4arch9wavefront6targetE1EEEvS13_,"axG",@progbits,_ZN7rocprim17ROCPRIM_400000_NS6detail17trampoline_kernelINS0_13select_configILj256ELj13ELNS0_17block_load_methodE3ELS4_3ELS4_3ELNS0_20block_scan_algorithmE0ELj4294967295EEENS1_25partition_config_selectorILNS1_17partition_subalgoE4EjNS0_10empty_typeEbEEZZNS1_14partition_implILS8_4ELb0ES6_15HIP_vector_typeIjLj2EENS0_17counting_iteratorIjlEEPS9_SG_NS0_5tupleIJPjSI_NS0_16reverse_iteratorISI_EEEEENSH_IJSG_SG_SG_EEES9_SI_JZNS1_25segmented_radix_sort_implINS0_14default_configELb1EPK12hip_bfloat16PSP_PKlPlN2at6native12_GLOBAL__N_18offset_tEEE10hipError_tPvRmT1_PNSt15iterator_traitsIS13_E10value_typeET2_T3_PNS14_IS19_E10value_typeET4_jRbjT5_S1F_jjP12ihipStream_tbEUljE_ZNSN_ISO_Lb1ESR_SS_SU_SV_SZ_EES10_S11_S12_S13_S17_S18_S19_S1C_S1D_jS1E_jS1F_S1F_jjS1H_bEUljE0_EEES10_S11_S12_S19_S1D_S1F_T6_T7_T9_mT8_S1H_bDpT10_ENKUlT_T0_E_clISt17integral_constantIbLb0EES1U_IbLb1EEEEDaS1Q_S1R_EUlS1Q_E_NS1_11comp_targetILNS1_3genE9ELNS1_11target_archE1100ELNS1_3gpuE3ELNS1_3repE0EEENS1_30default_config_static_selectorELNS0_4arch9wavefront6targetE1EEEvS13_,comdat
.Lfunc_end1910:
	.size	_ZN7rocprim17ROCPRIM_400000_NS6detail17trampoline_kernelINS0_13select_configILj256ELj13ELNS0_17block_load_methodE3ELS4_3ELS4_3ELNS0_20block_scan_algorithmE0ELj4294967295EEENS1_25partition_config_selectorILNS1_17partition_subalgoE4EjNS0_10empty_typeEbEEZZNS1_14partition_implILS8_4ELb0ES6_15HIP_vector_typeIjLj2EENS0_17counting_iteratorIjlEEPS9_SG_NS0_5tupleIJPjSI_NS0_16reverse_iteratorISI_EEEEENSH_IJSG_SG_SG_EEES9_SI_JZNS1_25segmented_radix_sort_implINS0_14default_configELb1EPK12hip_bfloat16PSP_PKlPlN2at6native12_GLOBAL__N_18offset_tEEE10hipError_tPvRmT1_PNSt15iterator_traitsIS13_E10value_typeET2_T3_PNS14_IS19_E10value_typeET4_jRbjT5_S1F_jjP12ihipStream_tbEUljE_ZNSN_ISO_Lb1ESR_SS_SU_SV_SZ_EES10_S11_S12_S13_S17_S18_S19_S1C_S1D_jS1E_jS1F_S1F_jjS1H_bEUljE0_EEES10_S11_S12_S19_S1D_S1F_T6_T7_T9_mT8_S1H_bDpT10_ENKUlT_T0_E_clISt17integral_constantIbLb0EES1U_IbLb1EEEEDaS1Q_S1R_EUlS1Q_E_NS1_11comp_targetILNS1_3genE9ELNS1_11target_archE1100ELNS1_3gpuE3ELNS1_3repE0EEENS1_30default_config_static_selectorELNS0_4arch9wavefront6targetE1EEEvS13_, .Lfunc_end1910-_ZN7rocprim17ROCPRIM_400000_NS6detail17trampoline_kernelINS0_13select_configILj256ELj13ELNS0_17block_load_methodE3ELS4_3ELS4_3ELNS0_20block_scan_algorithmE0ELj4294967295EEENS1_25partition_config_selectorILNS1_17partition_subalgoE4EjNS0_10empty_typeEbEEZZNS1_14partition_implILS8_4ELb0ES6_15HIP_vector_typeIjLj2EENS0_17counting_iteratorIjlEEPS9_SG_NS0_5tupleIJPjSI_NS0_16reverse_iteratorISI_EEEEENSH_IJSG_SG_SG_EEES9_SI_JZNS1_25segmented_radix_sort_implINS0_14default_configELb1EPK12hip_bfloat16PSP_PKlPlN2at6native12_GLOBAL__N_18offset_tEEE10hipError_tPvRmT1_PNSt15iterator_traitsIS13_E10value_typeET2_T3_PNS14_IS19_E10value_typeET4_jRbjT5_S1F_jjP12ihipStream_tbEUljE_ZNSN_ISO_Lb1ESR_SS_SU_SV_SZ_EES10_S11_S12_S13_S17_S18_S19_S1C_S1D_jS1E_jS1F_S1F_jjS1H_bEUljE0_EEES10_S11_S12_S19_S1D_S1F_T6_T7_T9_mT8_S1H_bDpT10_ENKUlT_T0_E_clISt17integral_constantIbLb0EES1U_IbLb1EEEEDaS1Q_S1R_EUlS1Q_E_NS1_11comp_targetILNS1_3genE9ELNS1_11target_archE1100ELNS1_3gpuE3ELNS1_3repE0EEENS1_30default_config_static_selectorELNS0_4arch9wavefront6targetE1EEEvS13_
                                        ; -- End function
	.section	.AMDGPU.csdata,"",@progbits
; Kernel info:
; codeLenInByte = 0
; NumSgprs: 4
; NumVgprs: 0
; NumAgprs: 0
; TotalNumVgprs: 0
; ScratchSize: 0
; MemoryBound: 0
; FloatMode: 240
; IeeeMode: 1
; LDSByteSize: 0 bytes/workgroup (compile time only)
; SGPRBlocks: 0
; VGPRBlocks: 0
; NumSGPRsForWavesPerEU: 4
; NumVGPRsForWavesPerEU: 1
; AccumOffset: 4
; Occupancy: 8
; WaveLimiterHint : 0
; COMPUTE_PGM_RSRC2:SCRATCH_EN: 0
; COMPUTE_PGM_RSRC2:USER_SGPR: 6
; COMPUTE_PGM_RSRC2:TRAP_HANDLER: 0
; COMPUTE_PGM_RSRC2:TGID_X_EN: 1
; COMPUTE_PGM_RSRC2:TGID_Y_EN: 0
; COMPUTE_PGM_RSRC2:TGID_Z_EN: 0
; COMPUTE_PGM_RSRC2:TIDIG_COMP_CNT: 0
; COMPUTE_PGM_RSRC3_GFX90A:ACCUM_OFFSET: 0
; COMPUTE_PGM_RSRC3_GFX90A:TG_SPLIT: 0
	.section	.text._ZN7rocprim17ROCPRIM_400000_NS6detail17trampoline_kernelINS0_13select_configILj256ELj13ELNS0_17block_load_methodE3ELS4_3ELS4_3ELNS0_20block_scan_algorithmE0ELj4294967295EEENS1_25partition_config_selectorILNS1_17partition_subalgoE4EjNS0_10empty_typeEbEEZZNS1_14partition_implILS8_4ELb0ES6_15HIP_vector_typeIjLj2EENS0_17counting_iteratorIjlEEPS9_SG_NS0_5tupleIJPjSI_NS0_16reverse_iteratorISI_EEEEENSH_IJSG_SG_SG_EEES9_SI_JZNS1_25segmented_radix_sort_implINS0_14default_configELb1EPK12hip_bfloat16PSP_PKlPlN2at6native12_GLOBAL__N_18offset_tEEE10hipError_tPvRmT1_PNSt15iterator_traitsIS13_E10value_typeET2_T3_PNS14_IS19_E10value_typeET4_jRbjT5_S1F_jjP12ihipStream_tbEUljE_ZNSN_ISO_Lb1ESR_SS_SU_SV_SZ_EES10_S11_S12_S13_S17_S18_S19_S1C_S1D_jS1E_jS1F_S1F_jjS1H_bEUljE0_EEES10_S11_S12_S19_S1D_S1F_T6_T7_T9_mT8_S1H_bDpT10_ENKUlT_T0_E_clISt17integral_constantIbLb0EES1U_IbLb1EEEEDaS1Q_S1R_EUlS1Q_E_NS1_11comp_targetILNS1_3genE8ELNS1_11target_archE1030ELNS1_3gpuE2ELNS1_3repE0EEENS1_30default_config_static_selectorELNS0_4arch9wavefront6targetE1EEEvS13_,"axG",@progbits,_ZN7rocprim17ROCPRIM_400000_NS6detail17trampoline_kernelINS0_13select_configILj256ELj13ELNS0_17block_load_methodE3ELS4_3ELS4_3ELNS0_20block_scan_algorithmE0ELj4294967295EEENS1_25partition_config_selectorILNS1_17partition_subalgoE4EjNS0_10empty_typeEbEEZZNS1_14partition_implILS8_4ELb0ES6_15HIP_vector_typeIjLj2EENS0_17counting_iteratorIjlEEPS9_SG_NS0_5tupleIJPjSI_NS0_16reverse_iteratorISI_EEEEENSH_IJSG_SG_SG_EEES9_SI_JZNS1_25segmented_radix_sort_implINS0_14default_configELb1EPK12hip_bfloat16PSP_PKlPlN2at6native12_GLOBAL__N_18offset_tEEE10hipError_tPvRmT1_PNSt15iterator_traitsIS13_E10value_typeET2_T3_PNS14_IS19_E10value_typeET4_jRbjT5_S1F_jjP12ihipStream_tbEUljE_ZNSN_ISO_Lb1ESR_SS_SU_SV_SZ_EES10_S11_S12_S13_S17_S18_S19_S1C_S1D_jS1E_jS1F_S1F_jjS1H_bEUljE0_EEES10_S11_S12_S19_S1D_S1F_T6_T7_T9_mT8_S1H_bDpT10_ENKUlT_T0_E_clISt17integral_constantIbLb0EES1U_IbLb1EEEEDaS1Q_S1R_EUlS1Q_E_NS1_11comp_targetILNS1_3genE8ELNS1_11target_archE1030ELNS1_3gpuE2ELNS1_3repE0EEENS1_30default_config_static_selectorELNS0_4arch9wavefront6targetE1EEEvS13_,comdat
	.globl	_ZN7rocprim17ROCPRIM_400000_NS6detail17trampoline_kernelINS0_13select_configILj256ELj13ELNS0_17block_load_methodE3ELS4_3ELS4_3ELNS0_20block_scan_algorithmE0ELj4294967295EEENS1_25partition_config_selectorILNS1_17partition_subalgoE4EjNS0_10empty_typeEbEEZZNS1_14partition_implILS8_4ELb0ES6_15HIP_vector_typeIjLj2EENS0_17counting_iteratorIjlEEPS9_SG_NS0_5tupleIJPjSI_NS0_16reverse_iteratorISI_EEEEENSH_IJSG_SG_SG_EEES9_SI_JZNS1_25segmented_radix_sort_implINS0_14default_configELb1EPK12hip_bfloat16PSP_PKlPlN2at6native12_GLOBAL__N_18offset_tEEE10hipError_tPvRmT1_PNSt15iterator_traitsIS13_E10value_typeET2_T3_PNS14_IS19_E10value_typeET4_jRbjT5_S1F_jjP12ihipStream_tbEUljE_ZNSN_ISO_Lb1ESR_SS_SU_SV_SZ_EES10_S11_S12_S13_S17_S18_S19_S1C_S1D_jS1E_jS1F_S1F_jjS1H_bEUljE0_EEES10_S11_S12_S19_S1D_S1F_T6_T7_T9_mT8_S1H_bDpT10_ENKUlT_T0_E_clISt17integral_constantIbLb0EES1U_IbLb1EEEEDaS1Q_S1R_EUlS1Q_E_NS1_11comp_targetILNS1_3genE8ELNS1_11target_archE1030ELNS1_3gpuE2ELNS1_3repE0EEENS1_30default_config_static_selectorELNS0_4arch9wavefront6targetE1EEEvS13_ ; -- Begin function _ZN7rocprim17ROCPRIM_400000_NS6detail17trampoline_kernelINS0_13select_configILj256ELj13ELNS0_17block_load_methodE3ELS4_3ELS4_3ELNS0_20block_scan_algorithmE0ELj4294967295EEENS1_25partition_config_selectorILNS1_17partition_subalgoE4EjNS0_10empty_typeEbEEZZNS1_14partition_implILS8_4ELb0ES6_15HIP_vector_typeIjLj2EENS0_17counting_iteratorIjlEEPS9_SG_NS0_5tupleIJPjSI_NS0_16reverse_iteratorISI_EEEEENSH_IJSG_SG_SG_EEES9_SI_JZNS1_25segmented_radix_sort_implINS0_14default_configELb1EPK12hip_bfloat16PSP_PKlPlN2at6native12_GLOBAL__N_18offset_tEEE10hipError_tPvRmT1_PNSt15iterator_traitsIS13_E10value_typeET2_T3_PNS14_IS19_E10value_typeET4_jRbjT5_S1F_jjP12ihipStream_tbEUljE_ZNSN_ISO_Lb1ESR_SS_SU_SV_SZ_EES10_S11_S12_S13_S17_S18_S19_S1C_S1D_jS1E_jS1F_S1F_jjS1H_bEUljE0_EEES10_S11_S12_S19_S1D_S1F_T6_T7_T9_mT8_S1H_bDpT10_ENKUlT_T0_E_clISt17integral_constantIbLb0EES1U_IbLb1EEEEDaS1Q_S1R_EUlS1Q_E_NS1_11comp_targetILNS1_3genE8ELNS1_11target_archE1030ELNS1_3gpuE2ELNS1_3repE0EEENS1_30default_config_static_selectorELNS0_4arch9wavefront6targetE1EEEvS13_
	.p2align	8
	.type	_ZN7rocprim17ROCPRIM_400000_NS6detail17trampoline_kernelINS0_13select_configILj256ELj13ELNS0_17block_load_methodE3ELS4_3ELS4_3ELNS0_20block_scan_algorithmE0ELj4294967295EEENS1_25partition_config_selectorILNS1_17partition_subalgoE4EjNS0_10empty_typeEbEEZZNS1_14partition_implILS8_4ELb0ES6_15HIP_vector_typeIjLj2EENS0_17counting_iteratorIjlEEPS9_SG_NS0_5tupleIJPjSI_NS0_16reverse_iteratorISI_EEEEENSH_IJSG_SG_SG_EEES9_SI_JZNS1_25segmented_radix_sort_implINS0_14default_configELb1EPK12hip_bfloat16PSP_PKlPlN2at6native12_GLOBAL__N_18offset_tEEE10hipError_tPvRmT1_PNSt15iterator_traitsIS13_E10value_typeET2_T3_PNS14_IS19_E10value_typeET4_jRbjT5_S1F_jjP12ihipStream_tbEUljE_ZNSN_ISO_Lb1ESR_SS_SU_SV_SZ_EES10_S11_S12_S13_S17_S18_S19_S1C_S1D_jS1E_jS1F_S1F_jjS1H_bEUljE0_EEES10_S11_S12_S19_S1D_S1F_T6_T7_T9_mT8_S1H_bDpT10_ENKUlT_T0_E_clISt17integral_constantIbLb0EES1U_IbLb1EEEEDaS1Q_S1R_EUlS1Q_E_NS1_11comp_targetILNS1_3genE8ELNS1_11target_archE1030ELNS1_3gpuE2ELNS1_3repE0EEENS1_30default_config_static_selectorELNS0_4arch9wavefront6targetE1EEEvS13_,@function
_ZN7rocprim17ROCPRIM_400000_NS6detail17trampoline_kernelINS0_13select_configILj256ELj13ELNS0_17block_load_methodE3ELS4_3ELS4_3ELNS0_20block_scan_algorithmE0ELj4294967295EEENS1_25partition_config_selectorILNS1_17partition_subalgoE4EjNS0_10empty_typeEbEEZZNS1_14partition_implILS8_4ELb0ES6_15HIP_vector_typeIjLj2EENS0_17counting_iteratorIjlEEPS9_SG_NS0_5tupleIJPjSI_NS0_16reverse_iteratorISI_EEEEENSH_IJSG_SG_SG_EEES9_SI_JZNS1_25segmented_radix_sort_implINS0_14default_configELb1EPK12hip_bfloat16PSP_PKlPlN2at6native12_GLOBAL__N_18offset_tEEE10hipError_tPvRmT1_PNSt15iterator_traitsIS13_E10value_typeET2_T3_PNS14_IS19_E10value_typeET4_jRbjT5_S1F_jjP12ihipStream_tbEUljE_ZNSN_ISO_Lb1ESR_SS_SU_SV_SZ_EES10_S11_S12_S13_S17_S18_S19_S1C_S1D_jS1E_jS1F_S1F_jjS1H_bEUljE0_EEES10_S11_S12_S19_S1D_S1F_T6_T7_T9_mT8_S1H_bDpT10_ENKUlT_T0_E_clISt17integral_constantIbLb0EES1U_IbLb1EEEEDaS1Q_S1R_EUlS1Q_E_NS1_11comp_targetILNS1_3genE8ELNS1_11target_archE1030ELNS1_3gpuE2ELNS1_3repE0EEENS1_30default_config_static_selectorELNS0_4arch9wavefront6targetE1EEEvS13_: ; @_ZN7rocprim17ROCPRIM_400000_NS6detail17trampoline_kernelINS0_13select_configILj256ELj13ELNS0_17block_load_methodE3ELS4_3ELS4_3ELNS0_20block_scan_algorithmE0ELj4294967295EEENS1_25partition_config_selectorILNS1_17partition_subalgoE4EjNS0_10empty_typeEbEEZZNS1_14partition_implILS8_4ELb0ES6_15HIP_vector_typeIjLj2EENS0_17counting_iteratorIjlEEPS9_SG_NS0_5tupleIJPjSI_NS0_16reverse_iteratorISI_EEEEENSH_IJSG_SG_SG_EEES9_SI_JZNS1_25segmented_radix_sort_implINS0_14default_configELb1EPK12hip_bfloat16PSP_PKlPlN2at6native12_GLOBAL__N_18offset_tEEE10hipError_tPvRmT1_PNSt15iterator_traitsIS13_E10value_typeET2_T3_PNS14_IS19_E10value_typeET4_jRbjT5_S1F_jjP12ihipStream_tbEUljE_ZNSN_ISO_Lb1ESR_SS_SU_SV_SZ_EES10_S11_S12_S13_S17_S18_S19_S1C_S1D_jS1E_jS1F_S1F_jjS1H_bEUljE0_EEES10_S11_S12_S19_S1D_S1F_T6_T7_T9_mT8_S1H_bDpT10_ENKUlT_T0_E_clISt17integral_constantIbLb0EES1U_IbLb1EEEEDaS1Q_S1R_EUlS1Q_E_NS1_11comp_targetILNS1_3genE8ELNS1_11target_archE1030ELNS1_3gpuE2ELNS1_3repE0EEENS1_30default_config_static_selectorELNS0_4arch9wavefront6targetE1EEEvS13_
; %bb.0:
	.section	.rodata,"a",@progbits
	.p2align	6, 0x0
	.amdhsa_kernel _ZN7rocprim17ROCPRIM_400000_NS6detail17trampoline_kernelINS0_13select_configILj256ELj13ELNS0_17block_load_methodE3ELS4_3ELS4_3ELNS0_20block_scan_algorithmE0ELj4294967295EEENS1_25partition_config_selectorILNS1_17partition_subalgoE4EjNS0_10empty_typeEbEEZZNS1_14partition_implILS8_4ELb0ES6_15HIP_vector_typeIjLj2EENS0_17counting_iteratorIjlEEPS9_SG_NS0_5tupleIJPjSI_NS0_16reverse_iteratorISI_EEEEENSH_IJSG_SG_SG_EEES9_SI_JZNS1_25segmented_radix_sort_implINS0_14default_configELb1EPK12hip_bfloat16PSP_PKlPlN2at6native12_GLOBAL__N_18offset_tEEE10hipError_tPvRmT1_PNSt15iterator_traitsIS13_E10value_typeET2_T3_PNS14_IS19_E10value_typeET4_jRbjT5_S1F_jjP12ihipStream_tbEUljE_ZNSN_ISO_Lb1ESR_SS_SU_SV_SZ_EES10_S11_S12_S13_S17_S18_S19_S1C_S1D_jS1E_jS1F_S1F_jjS1H_bEUljE0_EEES10_S11_S12_S19_S1D_S1F_T6_T7_T9_mT8_S1H_bDpT10_ENKUlT_T0_E_clISt17integral_constantIbLb0EES1U_IbLb1EEEEDaS1Q_S1R_EUlS1Q_E_NS1_11comp_targetILNS1_3genE8ELNS1_11target_archE1030ELNS1_3gpuE2ELNS1_3repE0EEENS1_30default_config_static_selectorELNS0_4arch9wavefront6targetE1EEEvS13_
		.amdhsa_group_segment_fixed_size 0
		.amdhsa_private_segment_fixed_size 0
		.amdhsa_kernarg_size 184
		.amdhsa_user_sgpr_count 6
		.amdhsa_user_sgpr_private_segment_buffer 1
		.amdhsa_user_sgpr_dispatch_ptr 0
		.amdhsa_user_sgpr_queue_ptr 0
		.amdhsa_user_sgpr_kernarg_segment_ptr 1
		.amdhsa_user_sgpr_dispatch_id 0
		.amdhsa_user_sgpr_flat_scratch_init 0
		.amdhsa_user_sgpr_kernarg_preload_length 0
		.amdhsa_user_sgpr_kernarg_preload_offset 0
		.amdhsa_user_sgpr_private_segment_size 0
		.amdhsa_uses_dynamic_stack 0
		.amdhsa_system_sgpr_private_segment_wavefront_offset 0
		.amdhsa_system_sgpr_workgroup_id_x 1
		.amdhsa_system_sgpr_workgroup_id_y 0
		.amdhsa_system_sgpr_workgroup_id_z 0
		.amdhsa_system_sgpr_workgroup_info 0
		.amdhsa_system_vgpr_workitem_id 0
		.amdhsa_next_free_vgpr 1
		.amdhsa_next_free_sgpr 0
		.amdhsa_accum_offset 4
		.amdhsa_reserve_vcc 0
		.amdhsa_reserve_flat_scratch 0
		.amdhsa_float_round_mode_32 0
		.amdhsa_float_round_mode_16_64 0
		.amdhsa_float_denorm_mode_32 3
		.amdhsa_float_denorm_mode_16_64 3
		.amdhsa_dx10_clamp 1
		.amdhsa_ieee_mode 1
		.amdhsa_fp16_overflow 0
		.amdhsa_tg_split 0
		.amdhsa_exception_fp_ieee_invalid_op 0
		.amdhsa_exception_fp_denorm_src 0
		.amdhsa_exception_fp_ieee_div_zero 0
		.amdhsa_exception_fp_ieee_overflow 0
		.amdhsa_exception_fp_ieee_underflow 0
		.amdhsa_exception_fp_ieee_inexact 0
		.amdhsa_exception_int_div_zero 0
	.end_amdhsa_kernel
	.section	.text._ZN7rocprim17ROCPRIM_400000_NS6detail17trampoline_kernelINS0_13select_configILj256ELj13ELNS0_17block_load_methodE3ELS4_3ELS4_3ELNS0_20block_scan_algorithmE0ELj4294967295EEENS1_25partition_config_selectorILNS1_17partition_subalgoE4EjNS0_10empty_typeEbEEZZNS1_14partition_implILS8_4ELb0ES6_15HIP_vector_typeIjLj2EENS0_17counting_iteratorIjlEEPS9_SG_NS0_5tupleIJPjSI_NS0_16reverse_iteratorISI_EEEEENSH_IJSG_SG_SG_EEES9_SI_JZNS1_25segmented_radix_sort_implINS0_14default_configELb1EPK12hip_bfloat16PSP_PKlPlN2at6native12_GLOBAL__N_18offset_tEEE10hipError_tPvRmT1_PNSt15iterator_traitsIS13_E10value_typeET2_T3_PNS14_IS19_E10value_typeET4_jRbjT5_S1F_jjP12ihipStream_tbEUljE_ZNSN_ISO_Lb1ESR_SS_SU_SV_SZ_EES10_S11_S12_S13_S17_S18_S19_S1C_S1D_jS1E_jS1F_S1F_jjS1H_bEUljE0_EEES10_S11_S12_S19_S1D_S1F_T6_T7_T9_mT8_S1H_bDpT10_ENKUlT_T0_E_clISt17integral_constantIbLb0EES1U_IbLb1EEEEDaS1Q_S1R_EUlS1Q_E_NS1_11comp_targetILNS1_3genE8ELNS1_11target_archE1030ELNS1_3gpuE2ELNS1_3repE0EEENS1_30default_config_static_selectorELNS0_4arch9wavefront6targetE1EEEvS13_,"axG",@progbits,_ZN7rocprim17ROCPRIM_400000_NS6detail17trampoline_kernelINS0_13select_configILj256ELj13ELNS0_17block_load_methodE3ELS4_3ELS4_3ELNS0_20block_scan_algorithmE0ELj4294967295EEENS1_25partition_config_selectorILNS1_17partition_subalgoE4EjNS0_10empty_typeEbEEZZNS1_14partition_implILS8_4ELb0ES6_15HIP_vector_typeIjLj2EENS0_17counting_iteratorIjlEEPS9_SG_NS0_5tupleIJPjSI_NS0_16reverse_iteratorISI_EEEEENSH_IJSG_SG_SG_EEES9_SI_JZNS1_25segmented_radix_sort_implINS0_14default_configELb1EPK12hip_bfloat16PSP_PKlPlN2at6native12_GLOBAL__N_18offset_tEEE10hipError_tPvRmT1_PNSt15iterator_traitsIS13_E10value_typeET2_T3_PNS14_IS19_E10value_typeET4_jRbjT5_S1F_jjP12ihipStream_tbEUljE_ZNSN_ISO_Lb1ESR_SS_SU_SV_SZ_EES10_S11_S12_S13_S17_S18_S19_S1C_S1D_jS1E_jS1F_S1F_jjS1H_bEUljE0_EEES10_S11_S12_S19_S1D_S1F_T6_T7_T9_mT8_S1H_bDpT10_ENKUlT_T0_E_clISt17integral_constantIbLb0EES1U_IbLb1EEEEDaS1Q_S1R_EUlS1Q_E_NS1_11comp_targetILNS1_3genE8ELNS1_11target_archE1030ELNS1_3gpuE2ELNS1_3repE0EEENS1_30default_config_static_selectorELNS0_4arch9wavefront6targetE1EEEvS13_,comdat
.Lfunc_end1911:
	.size	_ZN7rocprim17ROCPRIM_400000_NS6detail17trampoline_kernelINS0_13select_configILj256ELj13ELNS0_17block_load_methodE3ELS4_3ELS4_3ELNS0_20block_scan_algorithmE0ELj4294967295EEENS1_25partition_config_selectorILNS1_17partition_subalgoE4EjNS0_10empty_typeEbEEZZNS1_14partition_implILS8_4ELb0ES6_15HIP_vector_typeIjLj2EENS0_17counting_iteratorIjlEEPS9_SG_NS0_5tupleIJPjSI_NS0_16reverse_iteratorISI_EEEEENSH_IJSG_SG_SG_EEES9_SI_JZNS1_25segmented_radix_sort_implINS0_14default_configELb1EPK12hip_bfloat16PSP_PKlPlN2at6native12_GLOBAL__N_18offset_tEEE10hipError_tPvRmT1_PNSt15iterator_traitsIS13_E10value_typeET2_T3_PNS14_IS19_E10value_typeET4_jRbjT5_S1F_jjP12ihipStream_tbEUljE_ZNSN_ISO_Lb1ESR_SS_SU_SV_SZ_EES10_S11_S12_S13_S17_S18_S19_S1C_S1D_jS1E_jS1F_S1F_jjS1H_bEUljE0_EEES10_S11_S12_S19_S1D_S1F_T6_T7_T9_mT8_S1H_bDpT10_ENKUlT_T0_E_clISt17integral_constantIbLb0EES1U_IbLb1EEEEDaS1Q_S1R_EUlS1Q_E_NS1_11comp_targetILNS1_3genE8ELNS1_11target_archE1030ELNS1_3gpuE2ELNS1_3repE0EEENS1_30default_config_static_selectorELNS0_4arch9wavefront6targetE1EEEvS13_, .Lfunc_end1911-_ZN7rocprim17ROCPRIM_400000_NS6detail17trampoline_kernelINS0_13select_configILj256ELj13ELNS0_17block_load_methodE3ELS4_3ELS4_3ELNS0_20block_scan_algorithmE0ELj4294967295EEENS1_25partition_config_selectorILNS1_17partition_subalgoE4EjNS0_10empty_typeEbEEZZNS1_14partition_implILS8_4ELb0ES6_15HIP_vector_typeIjLj2EENS0_17counting_iteratorIjlEEPS9_SG_NS0_5tupleIJPjSI_NS0_16reverse_iteratorISI_EEEEENSH_IJSG_SG_SG_EEES9_SI_JZNS1_25segmented_radix_sort_implINS0_14default_configELb1EPK12hip_bfloat16PSP_PKlPlN2at6native12_GLOBAL__N_18offset_tEEE10hipError_tPvRmT1_PNSt15iterator_traitsIS13_E10value_typeET2_T3_PNS14_IS19_E10value_typeET4_jRbjT5_S1F_jjP12ihipStream_tbEUljE_ZNSN_ISO_Lb1ESR_SS_SU_SV_SZ_EES10_S11_S12_S13_S17_S18_S19_S1C_S1D_jS1E_jS1F_S1F_jjS1H_bEUljE0_EEES10_S11_S12_S19_S1D_S1F_T6_T7_T9_mT8_S1H_bDpT10_ENKUlT_T0_E_clISt17integral_constantIbLb0EES1U_IbLb1EEEEDaS1Q_S1R_EUlS1Q_E_NS1_11comp_targetILNS1_3genE8ELNS1_11target_archE1030ELNS1_3gpuE2ELNS1_3repE0EEENS1_30default_config_static_selectorELNS0_4arch9wavefront6targetE1EEEvS13_
                                        ; -- End function
	.section	.AMDGPU.csdata,"",@progbits
; Kernel info:
; codeLenInByte = 0
; NumSgprs: 4
; NumVgprs: 0
; NumAgprs: 0
; TotalNumVgprs: 0
; ScratchSize: 0
; MemoryBound: 0
; FloatMode: 240
; IeeeMode: 1
; LDSByteSize: 0 bytes/workgroup (compile time only)
; SGPRBlocks: 0
; VGPRBlocks: 0
; NumSGPRsForWavesPerEU: 4
; NumVGPRsForWavesPerEU: 1
; AccumOffset: 4
; Occupancy: 8
; WaveLimiterHint : 0
; COMPUTE_PGM_RSRC2:SCRATCH_EN: 0
; COMPUTE_PGM_RSRC2:USER_SGPR: 6
; COMPUTE_PGM_RSRC2:TRAP_HANDLER: 0
; COMPUTE_PGM_RSRC2:TGID_X_EN: 1
; COMPUTE_PGM_RSRC2:TGID_Y_EN: 0
; COMPUTE_PGM_RSRC2:TGID_Z_EN: 0
; COMPUTE_PGM_RSRC2:TIDIG_COMP_CNT: 0
; COMPUTE_PGM_RSRC3_GFX90A:ACCUM_OFFSET: 0
; COMPUTE_PGM_RSRC3_GFX90A:TG_SPLIT: 0
	.section	.text._ZN7rocprim17ROCPRIM_400000_NS6detail17trampoline_kernelINS0_13select_configILj256ELj13ELNS0_17block_load_methodE3ELS4_3ELS4_3ELNS0_20block_scan_algorithmE0ELj4294967295EEENS1_25partition_config_selectorILNS1_17partition_subalgoE3EjNS0_10empty_typeEbEEZZNS1_14partition_implILS8_3ELb0ES6_jNS0_17counting_iteratorIjlEEPS9_SE_NS0_5tupleIJPjSE_EEENSF_IJSE_SE_EEES9_SG_JZNS1_25segmented_radix_sort_implINS0_14default_configELb1EPK12hip_bfloat16PSL_PKlPlN2at6native12_GLOBAL__N_18offset_tEEE10hipError_tPvRmT1_PNSt15iterator_traitsISZ_E10value_typeET2_T3_PNS10_IS15_E10value_typeET4_jRbjT5_S1B_jjP12ihipStream_tbEUljE_EEESW_SX_SY_S15_S19_S1B_T6_T7_T9_mT8_S1D_bDpT10_ENKUlT_T0_E_clISt17integral_constantIbLb0EES1Q_EEDaS1L_S1M_EUlS1L_E_NS1_11comp_targetILNS1_3genE0ELNS1_11target_archE4294967295ELNS1_3gpuE0ELNS1_3repE0EEENS1_30default_config_static_selectorELNS0_4arch9wavefront6targetE1EEEvSZ_,"axG",@progbits,_ZN7rocprim17ROCPRIM_400000_NS6detail17trampoline_kernelINS0_13select_configILj256ELj13ELNS0_17block_load_methodE3ELS4_3ELS4_3ELNS0_20block_scan_algorithmE0ELj4294967295EEENS1_25partition_config_selectorILNS1_17partition_subalgoE3EjNS0_10empty_typeEbEEZZNS1_14partition_implILS8_3ELb0ES6_jNS0_17counting_iteratorIjlEEPS9_SE_NS0_5tupleIJPjSE_EEENSF_IJSE_SE_EEES9_SG_JZNS1_25segmented_radix_sort_implINS0_14default_configELb1EPK12hip_bfloat16PSL_PKlPlN2at6native12_GLOBAL__N_18offset_tEEE10hipError_tPvRmT1_PNSt15iterator_traitsISZ_E10value_typeET2_T3_PNS10_IS15_E10value_typeET4_jRbjT5_S1B_jjP12ihipStream_tbEUljE_EEESW_SX_SY_S15_S19_S1B_T6_T7_T9_mT8_S1D_bDpT10_ENKUlT_T0_E_clISt17integral_constantIbLb0EES1Q_EEDaS1L_S1M_EUlS1L_E_NS1_11comp_targetILNS1_3genE0ELNS1_11target_archE4294967295ELNS1_3gpuE0ELNS1_3repE0EEENS1_30default_config_static_selectorELNS0_4arch9wavefront6targetE1EEEvSZ_,comdat
	.globl	_ZN7rocprim17ROCPRIM_400000_NS6detail17trampoline_kernelINS0_13select_configILj256ELj13ELNS0_17block_load_methodE3ELS4_3ELS4_3ELNS0_20block_scan_algorithmE0ELj4294967295EEENS1_25partition_config_selectorILNS1_17partition_subalgoE3EjNS0_10empty_typeEbEEZZNS1_14partition_implILS8_3ELb0ES6_jNS0_17counting_iteratorIjlEEPS9_SE_NS0_5tupleIJPjSE_EEENSF_IJSE_SE_EEES9_SG_JZNS1_25segmented_radix_sort_implINS0_14default_configELb1EPK12hip_bfloat16PSL_PKlPlN2at6native12_GLOBAL__N_18offset_tEEE10hipError_tPvRmT1_PNSt15iterator_traitsISZ_E10value_typeET2_T3_PNS10_IS15_E10value_typeET4_jRbjT5_S1B_jjP12ihipStream_tbEUljE_EEESW_SX_SY_S15_S19_S1B_T6_T7_T9_mT8_S1D_bDpT10_ENKUlT_T0_E_clISt17integral_constantIbLb0EES1Q_EEDaS1L_S1M_EUlS1L_E_NS1_11comp_targetILNS1_3genE0ELNS1_11target_archE4294967295ELNS1_3gpuE0ELNS1_3repE0EEENS1_30default_config_static_selectorELNS0_4arch9wavefront6targetE1EEEvSZ_ ; -- Begin function _ZN7rocprim17ROCPRIM_400000_NS6detail17trampoline_kernelINS0_13select_configILj256ELj13ELNS0_17block_load_methodE3ELS4_3ELS4_3ELNS0_20block_scan_algorithmE0ELj4294967295EEENS1_25partition_config_selectorILNS1_17partition_subalgoE3EjNS0_10empty_typeEbEEZZNS1_14partition_implILS8_3ELb0ES6_jNS0_17counting_iteratorIjlEEPS9_SE_NS0_5tupleIJPjSE_EEENSF_IJSE_SE_EEES9_SG_JZNS1_25segmented_radix_sort_implINS0_14default_configELb1EPK12hip_bfloat16PSL_PKlPlN2at6native12_GLOBAL__N_18offset_tEEE10hipError_tPvRmT1_PNSt15iterator_traitsISZ_E10value_typeET2_T3_PNS10_IS15_E10value_typeET4_jRbjT5_S1B_jjP12ihipStream_tbEUljE_EEESW_SX_SY_S15_S19_S1B_T6_T7_T9_mT8_S1D_bDpT10_ENKUlT_T0_E_clISt17integral_constantIbLb0EES1Q_EEDaS1L_S1M_EUlS1L_E_NS1_11comp_targetILNS1_3genE0ELNS1_11target_archE4294967295ELNS1_3gpuE0ELNS1_3repE0EEENS1_30default_config_static_selectorELNS0_4arch9wavefront6targetE1EEEvSZ_
	.p2align	8
	.type	_ZN7rocprim17ROCPRIM_400000_NS6detail17trampoline_kernelINS0_13select_configILj256ELj13ELNS0_17block_load_methodE3ELS4_3ELS4_3ELNS0_20block_scan_algorithmE0ELj4294967295EEENS1_25partition_config_selectorILNS1_17partition_subalgoE3EjNS0_10empty_typeEbEEZZNS1_14partition_implILS8_3ELb0ES6_jNS0_17counting_iteratorIjlEEPS9_SE_NS0_5tupleIJPjSE_EEENSF_IJSE_SE_EEES9_SG_JZNS1_25segmented_radix_sort_implINS0_14default_configELb1EPK12hip_bfloat16PSL_PKlPlN2at6native12_GLOBAL__N_18offset_tEEE10hipError_tPvRmT1_PNSt15iterator_traitsISZ_E10value_typeET2_T3_PNS10_IS15_E10value_typeET4_jRbjT5_S1B_jjP12ihipStream_tbEUljE_EEESW_SX_SY_S15_S19_S1B_T6_T7_T9_mT8_S1D_bDpT10_ENKUlT_T0_E_clISt17integral_constantIbLb0EES1Q_EEDaS1L_S1M_EUlS1L_E_NS1_11comp_targetILNS1_3genE0ELNS1_11target_archE4294967295ELNS1_3gpuE0ELNS1_3repE0EEENS1_30default_config_static_selectorELNS0_4arch9wavefront6targetE1EEEvSZ_,@function
_ZN7rocprim17ROCPRIM_400000_NS6detail17trampoline_kernelINS0_13select_configILj256ELj13ELNS0_17block_load_methodE3ELS4_3ELS4_3ELNS0_20block_scan_algorithmE0ELj4294967295EEENS1_25partition_config_selectorILNS1_17partition_subalgoE3EjNS0_10empty_typeEbEEZZNS1_14partition_implILS8_3ELb0ES6_jNS0_17counting_iteratorIjlEEPS9_SE_NS0_5tupleIJPjSE_EEENSF_IJSE_SE_EEES9_SG_JZNS1_25segmented_radix_sort_implINS0_14default_configELb1EPK12hip_bfloat16PSL_PKlPlN2at6native12_GLOBAL__N_18offset_tEEE10hipError_tPvRmT1_PNSt15iterator_traitsISZ_E10value_typeET2_T3_PNS10_IS15_E10value_typeET4_jRbjT5_S1B_jjP12ihipStream_tbEUljE_EEESW_SX_SY_S15_S19_S1B_T6_T7_T9_mT8_S1D_bDpT10_ENKUlT_T0_E_clISt17integral_constantIbLb0EES1Q_EEDaS1L_S1M_EUlS1L_E_NS1_11comp_targetILNS1_3genE0ELNS1_11target_archE4294967295ELNS1_3gpuE0ELNS1_3repE0EEENS1_30default_config_static_selectorELNS0_4arch9wavefront6targetE1EEEvSZ_: ; @_ZN7rocprim17ROCPRIM_400000_NS6detail17trampoline_kernelINS0_13select_configILj256ELj13ELNS0_17block_load_methodE3ELS4_3ELS4_3ELNS0_20block_scan_algorithmE0ELj4294967295EEENS1_25partition_config_selectorILNS1_17partition_subalgoE3EjNS0_10empty_typeEbEEZZNS1_14partition_implILS8_3ELb0ES6_jNS0_17counting_iteratorIjlEEPS9_SE_NS0_5tupleIJPjSE_EEENSF_IJSE_SE_EEES9_SG_JZNS1_25segmented_radix_sort_implINS0_14default_configELb1EPK12hip_bfloat16PSL_PKlPlN2at6native12_GLOBAL__N_18offset_tEEE10hipError_tPvRmT1_PNSt15iterator_traitsISZ_E10value_typeET2_T3_PNS10_IS15_E10value_typeET4_jRbjT5_S1B_jjP12ihipStream_tbEUljE_EEESW_SX_SY_S15_S19_S1B_T6_T7_T9_mT8_S1D_bDpT10_ENKUlT_T0_E_clISt17integral_constantIbLb0EES1Q_EEDaS1L_S1M_EUlS1L_E_NS1_11comp_targetILNS1_3genE0ELNS1_11target_archE4294967295ELNS1_3gpuE0ELNS1_3repE0EEENS1_30default_config_static_selectorELNS0_4arch9wavefront6targetE1EEEvSZ_
; %bb.0:
	.section	.rodata,"a",@progbits
	.p2align	6, 0x0
	.amdhsa_kernel _ZN7rocprim17ROCPRIM_400000_NS6detail17trampoline_kernelINS0_13select_configILj256ELj13ELNS0_17block_load_methodE3ELS4_3ELS4_3ELNS0_20block_scan_algorithmE0ELj4294967295EEENS1_25partition_config_selectorILNS1_17partition_subalgoE3EjNS0_10empty_typeEbEEZZNS1_14partition_implILS8_3ELb0ES6_jNS0_17counting_iteratorIjlEEPS9_SE_NS0_5tupleIJPjSE_EEENSF_IJSE_SE_EEES9_SG_JZNS1_25segmented_radix_sort_implINS0_14default_configELb1EPK12hip_bfloat16PSL_PKlPlN2at6native12_GLOBAL__N_18offset_tEEE10hipError_tPvRmT1_PNSt15iterator_traitsISZ_E10value_typeET2_T3_PNS10_IS15_E10value_typeET4_jRbjT5_S1B_jjP12ihipStream_tbEUljE_EEESW_SX_SY_S15_S19_S1B_T6_T7_T9_mT8_S1D_bDpT10_ENKUlT_T0_E_clISt17integral_constantIbLb0EES1Q_EEDaS1L_S1M_EUlS1L_E_NS1_11comp_targetILNS1_3genE0ELNS1_11target_archE4294967295ELNS1_3gpuE0ELNS1_3repE0EEENS1_30default_config_static_selectorELNS0_4arch9wavefront6targetE1EEEvSZ_
		.amdhsa_group_segment_fixed_size 0
		.amdhsa_private_segment_fixed_size 0
		.amdhsa_kernarg_size 144
		.amdhsa_user_sgpr_count 6
		.amdhsa_user_sgpr_private_segment_buffer 1
		.amdhsa_user_sgpr_dispatch_ptr 0
		.amdhsa_user_sgpr_queue_ptr 0
		.amdhsa_user_sgpr_kernarg_segment_ptr 1
		.amdhsa_user_sgpr_dispatch_id 0
		.amdhsa_user_sgpr_flat_scratch_init 0
		.amdhsa_user_sgpr_kernarg_preload_length 0
		.amdhsa_user_sgpr_kernarg_preload_offset 0
		.amdhsa_user_sgpr_private_segment_size 0
		.amdhsa_uses_dynamic_stack 0
		.amdhsa_system_sgpr_private_segment_wavefront_offset 0
		.amdhsa_system_sgpr_workgroup_id_x 1
		.amdhsa_system_sgpr_workgroup_id_y 0
		.amdhsa_system_sgpr_workgroup_id_z 0
		.amdhsa_system_sgpr_workgroup_info 0
		.amdhsa_system_vgpr_workitem_id 0
		.amdhsa_next_free_vgpr 1
		.amdhsa_next_free_sgpr 0
		.amdhsa_accum_offset 4
		.amdhsa_reserve_vcc 0
		.amdhsa_reserve_flat_scratch 0
		.amdhsa_float_round_mode_32 0
		.amdhsa_float_round_mode_16_64 0
		.amdhsa_float_denorm_mode_32 3
		.amdhsa_float_denorm_mode_16_64 3
		.amdhsa_dx10_clamp 1
		.amdhsa_ieee_mode 1
		.amdhsa_fp16_overflow 0
		.amdhsa_tg_split 0
		.amdhsa_exception_fp_ieee_invalid_op 0
		.amdhsa_exception_fp_denorm_src 0
		.amdhsa_exception_fp_ieee_div_zero 0
		.amdhsa_exception_fp_ieee_overflow 0
		.amdhsa_exception_fp_ieee_underflow 0
		.amdhsa_exception_fp_ieee_inexact 0
		.amdhsa_exception_int_div_zero 0
	.end_amdhsa_kernel
	.section	.text._ZN7rocprim17ROCPRIM_400000_NS6detail17trampoline_kernelINS0_13select_configILj256ELj13ELNS0_17block_load_methodE3ELS4_3ELS4_3ELNS0_20block_scan_algorithmE0ELj4294967295EEENS1_25partition_config_selectorILNS1_17partition_subalgoE3EjNS0_10empty_typeEbEEZZNS1_14partition_implILS8_3ELb0ES6_jNS0_17counting_iteratorIjlEEPS9_SE_NS0_5tupleIJPjSE_EEENSF_IJSE_SE_EEES9_SG_JZNS1_25segmented_radix_sort_implINS0_14default_configELb1EPK12hip_bfloat16PSL_PKlPlN2at6native12_GLOBAL__N_18offset_tEEE10hipError_tPvRmT1_PNSt15iterator_traitsISZ_E10value_typeET2_T3_PNS10_IS15_E10value_typeET4_jRbjT5_S1B_jjP12ihipStream_tbEUljE_EEESW_SX_SY_S15_S19_S1B_T6_T7_T9_mT8_S1D_bDpT10_ENKUlT_T0_E_clISt17integral_constantIbLb0EES1Q_EEDaS1L_S1M_EUlS1L_E_NS1_11comp_targetILNS1_3genE0ELNS1_11target_archE4294967295ELNS1_3gpuE0ELNS1_3repE0EEENS1_30default_config_static_selectorELNS0_4arch9wavefront6targetE1EEEvSZ_,"axG",@progbits,_ZN7rocprim17ROCPRIM_400000_NS6detail17trampoline_kernelINS0_13select_configILj256ELj13ELNS0_17block_load_methodE3ELS4_3ELS4_3ELNS0_20block_scan_algorithmE0ELj4294967295EEENS1_25partition_config_selectorILNS1_17partition_subalgoE3EjNS0_10empty_typeEbEEZZNS1_14partition_implILS8_3ELb0ES6_jNS0_17counting_iteratorIjlEEPS9_SE_NS0_5tupleIJPjSE_EEENSF_IJSE_SE_EEES9_SG_JZNS1_25segmented_radix_sort_implINS0_14default_configELb1EPK12hip_bfloat16PSL_PKlPlN2at6native12_GLOBAL__N_18offset_tEEE10hipError_tPvRmT1_PNSt15iterator_traitsISZ_E10value_typeET2_T3_PNS10_IS15_E10value_typeET4_jRbjT5_S1B_jjP12ihipStream_tbEUljE_EEESW_SX_SY_S15_S19_S1B_T6_T7_T9_mT8_S1D_bDpT10_ENKUlT_T0_E_clISt17integral_constantIbLb0EES1Q_EEDaS1L_S1M_EUlS1L_E_NS1_11comp_targetILNS1_3genE0ELNS1_11target_archE4294967295ELNS1_3gpuE0ELNS1_3repE0EEENS1_30default_config_static_selectorELNS0_4arch9wavefront6targetE1EEEvSZ_,comdat
.Lfunc_end1912:
	.size	_ZN7rocprim17ROCPRIM_400000_NS6detail17trampoline_kernelINS0_13select_configILj256ELj13ELNS0_17block_load_methodE3ELS4_3ELS4_3ELNS0_20block_scan_algorithmE0ELj4294967295EEENS1_25partition_config_selectorILNS1_17partition_subalgoE3EjNS0_10empty_typeEbEEZZNS1_14partition_implILS8_3ELb0ES6_jNS0_17counting_iteratorIjlEEPS9_SE_NS0_5tupleIJPjSE_EEENSF_IJSE_SE_EEES9_SG_JZNS1_25segmented_radix_sort_implINS0_14default_configELb1EPK12hip_bfloat16PSL_PKlPlN2at6native12_GLOBAL__N_18offset_tEEE10hipError_tPvRmT1_PNSt15iterator_traitsISZ_E10value_typeET2_T3_PNS10_IS15_E10value_typeET4_jRbjT5_S1B_jjP12ihipStream_tbEUljE_EEESW_SX_SY_S15_S19_S1B_T6_T7_T9_mT8_S1D_bDpT10_ENKUlT_T0_E_clISt17integral_constantIbLb0EES1Q_EEDaS1L_S1M_EUlS1L_E_NS1_11comp_targetILNS1_3genE0ELNS1_11target_archE4294967295ELNS1_3gpuE0ELNS1_3repE0EEENS1_30default_config_static_selectorELNS0_4arch9wavefront6targetE1EEEvSZ_, .Lfunc_end1912-_ZN7rocprim17ROCPRIM_400000_NS6detail17trampoline_kernelINS0_13select_configILj256ELj13ELNS0_17block_load_methodE3ELS4_3ELS4_3ELNS0_20block_scan_algorithmE0ELj4294967295EEENS1_25partition_config_selectorILNS1_17partition_subalgoE3EjNS0_10empty_typeEbEEZZNS1_14partition_implILS8_3ELb0ES6_jNS0_17counting_iteratorIjlEEPS9_SE_NS0_5tupleIJPjSE_EEENSF_IJSE_SE_EEES9_SG_JZNS1_25segmented_radix_sort_implINS0_14default_configELb1EPK12hip_bfloat16PSL_PKlPlN2at6native12_GLOBAL__N_18offset_tEEE10hipError_tPvRmT1_PNSt15iterator_traitsISZ_E10value_typeET2_T3_PNS10_IS15_E10value_typeET4_jRbjT5_S1B_jjP12ihipStream_tbEUljE_EEESW_SX_SY_S15_S19_S1B_T6_T7_T9_mT8_S1D_bDpT10_ENKUlT_T0_E_clISt17integral_constantIbLb0EES1Q_EEDaS1L_S1M_EUlS1L_E_NS1_11comp_targetILNS1_3genE0ELNS1_11target_archE4294967295ELNS1_3gpuE0ELNS1_3repE0EEENS1_30default_config_static_selectorELNS0_4arch9wavefront6targetE1EEEvSZ_
                                        ; -- End function
	.section	.AMDGPU.csdata,"",@progbits
; Kernel info:
; codeLenInByte = 0
; NumSgprs: 4
; NumVgprs: 0
; NumAgprs: 0
; TotalNumVgprs: 0
; ScratchSize: 0
; MemoryBound: 0
; FloatMode: 240
; IeeeMode: 1
; LDSByteSize: 0 bytes/workgroup (compile time only)
; SGPRBlocks: 0
; VGPRBlocks: 0
; NumSGPRsForWavesPerEU: 4
; NumVGPRsForWavesPerEU: 1
; AccumOffset: 4
; Occupancy: 8
; WaveLimiterHint : 0
; COMPUTE_PGM_RSRC2:SCRATCH_EN: 0
; COMPUTE_PGM_RSRC2:USER_SGPR: 6
; COMPUTE_PGM_RSRC2:TRAP_HANDLER: 0
; COMPUTE_PGM_RSRC2:TGID_X_EN: 1
; COMPUTE_PGM_RSRC2:TGID_Y_EN: 0
; COMPUTE_PGM_RSRC2:TGID_Z_EN: 0
; COMPUTE_PGM_RSRC2:TIDIG_COMP_CNT: 0
; COMPUTE_PGM_RSRC3_GFX90A:ACCUM_OFFSET: 0
; COMPUTE_PGM_RSRC3_GFX90A:TG_SPLIT: 0
	.section	.text._ZN7rocprim17ROCPRIM_400000_NS6detail17trampoline_kernelINS0_13select_configILj256ELj13ELNS0_17block_load_methodE3ELS4_3ELS4_3ELNS0_20block_scan_algorithmE0ELj4294967295EEENS1_25partition_config_selectorILNS1_17partition_subalgoE3EjNS0_10empty_typeEbEEZZNS1_14partition_implILS8_3ELb0ES6_jNS0_17counting_iteratorIjlEEPS9_SE_NS0_5tupleIJPjSE_EEENSF_IJSE_SE_EEES9_SG_JZNS1_25segmented_radix_sort_implINS0_14default_configELb1EPK12hip_bfloat16PSL_PKlPlN2at6native12_GLOBAL__N_18offset_tEEE10hipError_tPvRmT1_PNSt15iterator_traitsISZ_E10value_typeET2_T3_PNS10_IS15_E10value_typeET4_jRbjT5_S1B_jjP12ihipStream_tbEUljE_EEESW_SX_SY_S15_S19_S1B_T6_T7_T9_mT8_S1D_bDpT10_ENKUlT_T0_E_clISt17integral_constantIbLb0EES1Q_EEDaS1L_S1M_EUlS1L_E_NS1_11comp_targetILNS1_3genE5ELNS1_11target_archE942ELNS1_3gpuE9ELNS1_3repE0EEENS1_30default_config_static_selectorELNS0_4arch9wavefront6targetE1EEEvSZ_,"axG",@progbits,_ZN7rocprim17ROCPRIM_400000_NS6detail17trampoline_kernelINS0_13select_configILj256ELj13ELNS0_17block_load_methodE3ELS4_3ELS4_3ELNS0_20block_scan_algorithmE0ELj4294967295EEENS1_25partition_config_selectorILNS1_17partition_subalgoE3EjNS0_10empty_typeEbEEZZNS1_14partition_implILS8_3ELb0ES6_jNS0_17counting_iteratorIjlEEPS9_SE_NS0_5tupleIJPjSE_EEENSF_IJSE_SE_EEES9_SG_JZNS1_25segmented_radix_sort_implINS0_14default_configELb1EPK12hip_bfloat16PSL_PKlPlN2at6native12_GLOBAL__N_18offset_tEEE10hipError_tPvRmT1_PNSt15iterator_traitsISZ_E10value_typeET2_T3_PNS10_IS15_E10value_typeET4_jRbjT5_S1B_jjP12ihipStream_tbEUljE_EEESW_SX_SY_S15_S19_S1B_T6_T7_T9_mT8_S1D_bDpT10_ENKUlT_T0_E_clISt17integral_constantIbLb0EES1Q_EEDaS1L_S1M_EUlS1L_E_NS1_11comp_targetILNS1_3genE5ELNS1_11target_archE942ELNS1_3gpuE9ELNS1_3repE0EEENS1_30default_config_static_selectorELNS0_4arch9wavefront6targetE1EEEvSZ_,comdat
	.globl	_ZN7rocprim17ROCPRIM_400000_NS6detail17trampoline_kernelINS0_13select_configILj256ELj13ELNS0_17block_load_methodE3ELS4_3ELS4_3ELNS0_20block_scan_algorithmE0ELj4294967295EEENS1_25partition_config_selectorILNS1_17partition_subalgoE3EjNS0_10empty_typeEbEEZZNS1_14partition_implILS8_3ELb0ES6_jNS0_17counting_iteratorIjlEEPS9_SE_NS0_5tupleIJPjSE_EEENSF_IJSE_SE_EEES9_SG_JZNS1_25segmented_radix_sort_implINS0_14default_configELb1EPK12hip_bfloat16PSL_PKlPlN2at6native12_GLOBAL__N_18offset_tEEE10hipError_tPvRmT1_PNSt15iterator_traitsISZ_E10value_typeET2_T3_PNS10_IS15_E10value_typeET4_jRbjT5_S1B_jjP12ihipStream_tbEUljE_EEESW_SX_SY_S15_S19_S1B_T6_T7_T9_mT8_S1D_bDpT10_ENKUlT_T0_E_clISt17integral_constantIbLb0EES1Q_EEDaS1L_S1M_EUlS1L_E_NS1_11comp_targetILNS1_3genE5ELNS1_11target_archE942ELNS1_3gpuE9ELNS1_3repE0EEENS1_30default_config_static_selectorELNS0_4arch9wavefront6targetE1EEEvSZ_ ; -- Begin function _ZN7rocprim17ROCPRIM_400000_NS6detail17trampoline_kernelINS0_13select_configILj256ELj13ELNS0_17block_load_methodE3ELS4_3ELS4_3ELNS0_20block_scan_algorithmE0ELj4294967295EEENS1_25partition_config_selectorILNS1_17partition_subalgoE3EjNS0_10empty_typeEbEEZZNS1_14partition_implILS8_3ELb0ES6_jNS0_17counting_iteratorIjlEEPS9_SE_NS0_5tupleIJPjSE_EEENSF_IJSE_SE_EEES9_SG_JZNS1_25segmented_radix_sort_implINS0_14default_configELb1EPK12hip_bfloat16PSL_PKlPlN2at6native12_GLOBAL__N_18offset_tEEE10hipError_tPvRmT1_PNSt15iterator_traitsISZ_E10value_typeET2_T3_PNS10_IS15_E10value_typeET4_jRbjT5_S1B_jjP12ihipStream_tbEUljE_EEESW_SX_SY_S15_S19_S1B_T6_T7_T9_mT8_S1D_bDpT10_ENKUlT_T0_E_clISt17integral_constantIbLb0EES1Q_EEDaS1L_S1M_EUlS1L_E_NS1_11comp_targetILNS1_3genE5ELNS1_11target_archE942ELNS1_3gpuE9ELNS1_3repE0EEENS1_30default_config_static_selectorELNS0_4arch9wavefront6targetE1EEEvSZ_
	.p2align	8
	.type	_ZN7rocprim17ROCPRIM_400000_NS6detail17trampoline_kernelINS0_13select_configILj256ELj13ELNS0_17block_load_methodE3ELS4_3ELS4_3ELNS0_20block_scan_algorithmE0ELj4294967295EEENS1_25partition_config_selectorILNS1_17partition_subalgoE3EjNS0_10empty_typeEbEEZZNS1_14partition_implILS8_3ELb0ES6_jNS0_17counting_iteratorIjlEEPS9_SE_NS0_5tupleIJPjSE_EEENSF_IJSE_SE_EEES9_SG_JZNS1_25segmented_radix_sort_implINS0_14default_configELb1EPK12hip_bfloat16PSL_PKlPlN2at6native12_GLOBAL__N_18offset_tEEE10hipError_tPvRmT1_PNSt15iterator_traitsISZ_E10value_typeET2_T3_PNS10_IS15_E10value_typeET4_jRbjT5_S1B_jjP12ihipStream_tbEUljE_EEESW_SX_SY_S15_S19_S1B_T6_T7_T9_mT8_S1D_bDpT10_ENKUlT_T0_E_clISt17integral_constantIbLb0EES1Q_EEDaS1L_S1M_EUlS1L_E_NS1_11comp_targetILNS1_3genE5ELNS1_11target_archE942ELNS1_3gpuE9ELNS1_3repE0EEENS1_30default_config_static_selectorELNS0_4arch9wavefront6targetE1EEEvSZ_,@function
_ZN7rocprim17ROCPRIM_400000_NS6detail17trampoline_kernelINS0_13select_configILj256ELj13ELNS0_17block_load_methodE3ELS4_3ELS4_3ELNS0_20block_scan_algorithmE0ELj4294967295EEENS1_25partition_config_selectorILNS1_17partition_subalgoE3EjNS0_10empty_typeEbEEZZNS1_14partition_implILS8_3ELb0ES6_jNS0_17counting_iteratorIjlEEPS9_SE_NS0_5tupleIJPjSE_EEENSF_IJSE_SE_EEES9_SG_JZNS1_25segmented_radix_sort_implINS0_14default_configELb1EPK12hip_bfloat16PSL_PKlPlN2at6native12_GLOBAL__N_18offset_tEEE10hipError_tPvRmT1_PNSt15iterator_traitsISZ_E10value_typeET2_T3_PNS10_IS15_E10value_typeET4_jRbjT5_S1B_jjP12ihipStream_tbEUljE_EEESW_SX_SY_S15_S19_S1B_T6_T7_T9_mT8_S1D_bDpT10_ENKUlT_T0_E_clISt17integral_constantIbLb0EES1Q_EEDaS1L_S1M_EUlS1L_E_NS1_11comp_targetILNS1_3genE5ELNS1_11target_archE942ELNS1_3gpuE9ELNS1_3repE0EEENS1_30default_config_static_selectorELNS0_4arch9wavefront6targetE1EEEvSZ_: ; @_ZN7rocprim17ROCPRIM_400000_NS6detail17trampoline_kernelINS0_13select_configILj256ELj13ELNS0_17block_load_methodE3ELS4_3ELS4_3ELNS0_20block_scan_algorithmE0ELj4294967295EEENS1_25partition_config_selectorILNS1_17partition_subalgoE3EjNS0_10empty_typeEbEEZZNS1_14partition_implILS8_3ELb0ES6_jNS0_17counting_iteratorIjlEEPS9_SE_NS0_5tupleIJPjSE_EEENSF_IJSE_SE_EEES9_SG_JZNS1_25segmented_radix_sort_implINS0_14default_configELb1EPK12hip_bfloat16PSL_PKlPlN2at6native12_GLOBAL__N_18offset_tEEE10hipError_tPvRmT1_PNSt15iterator_traitsISZ_E10value_typeET2_T3_PNS10_IS15_E10value_typeET4_jRbjT5_S1B_jjP12ihipStream_tbEUljE_EEESW_SX_SY_S15_S19_S1B_T6_T7_T9_mT8_S1D_bDpT10_ENKUlT_T0_E_clISt17integral_constantIbLb0EES1Q_EEDaS1L_S1M_EUlS1L_E_NS1_11comp_targetILNS1_3genE5ELNS1_11target_archE942ELNS1_3gpuE9ELNS1_3repE0EEENS1_30default_config_static_selectorELNS0_4arch9wavefront6targetE1EEEvSZ_
; %bb.0:
	.section	.rodata,"a",@progbits
	.p2align	6, 0x0
	.amdhsa_kernel _ZN7rocprim17ROCPRIM_400000_NS6detail17trampoline_kernelINS0_13select_configILj256ELj13ELNS0_17block_load_methodE3ELS4_3ELS4_3ELNS0_20block_scan_algorithmE0ELj4294967295EEENS1_25partition_config_selectorILNS1_17partition_subalgoE3EjNS0_10empty_typeEbEEZZNS1_14partition_implILS8_3ELb0ES6_jNS0_17counting_iteratorIjlEEPS9_SE_NS0_5tupleIJPjSE_EEENSF_IJSE_SE_EEES9_SG_JZNS1_25segmented_radix_sort_implINS0_14default_configELb1EPK12hip_bfloat16PSL_PKlPlN2at6native12_GLOBAL__N_18offset_tEEE10hipError_tPvRmT1_PNSt15iterator_traitsISZ_E10value_typeET2_T3_PNS10_IS15_E10value_typeET4_jRbjT5_S1B_jjP12ihipStream_tbEUljE_EEESW_SX_SY_S15_S19_S1B_T6_T7_T9_mT8_S1D_bDpT10_ENKUlT_T0_E_clISt17integral_constantIbLb0EES1Q_EEDaS1L_S1M_EUlS1L_E_NS1_11comp_targetILNS1_3genE5ELNS1_11target_archE942ELNS1_3gpuE9ELNS1_3repE0EEENS1_30default_config_static_selectorELNS0_4arch9wavefront6targetE1EEEvSZ_
		.amdhsa_group_segment_fixed_size 0
		.amdhsa_private_segment_fixed_size 0
		.amdhsa_kernarg_size 144
		.amdhsa_user_sgpr_count 6
		.amdhsa_user_sgpr_private_segment_buffer 1
		.amdhsa_user_sgpr_dispatch_ptr 0
		.amdhsa_user_sgpr_queue_ptr 0
		.amdhsa_user_sgpr_kernarg_segment_ptr 1
		.amdhsa_user_sgpr_dispatch_id 0
		.amdhsa_user_sgpr_flat_scratch_init 0
		.amdhsa_user_sgpr_kernarg_preload_length 0
		.amdhsa_user_sgpr_kernarg_preload_offset 0
		.amdhsa_user_sgpr_private_segment_size 0
		.amdhsa_uses_dynamic_stack 0
		.amdhsa_system_sgpr_private_segment_wavefront_offset 0
		.amdhsa_system_sgpr_workgroup_id_x 1
		.amdhsa_system_sgpr_workgroup_id_y 0
		.amdhsa_system_sgpr_workgroup_id_z 0
		.amdhsa_system_sgpr_workgroup_info 0
		.amdhsa_system_vgpr_workitem_id 0
		.amdhsa_next_free_vgpr 1
		.amdhsa_next_free_sgpr 0
		.amdhsa_accum_offset 4
		.amdhsa_reserve_vcc 0
		.amdhsa_reserve_flat_scratch 0
		.amdhsa_float_round_mode_32 0
		.amdhsa_float_round_mode_16_64 0
		.amdhsa_float_denorm_mode_32 3
		.amdhsa_float_denorm_mode_16_64 3
		.amdhsa_dx10_clamp 1
		.amdhsa_ieee_mode 1
		.amdhsa_fp16_overflow 0
		.amdhsa_tg_split 0
		.amdhsa_exception_fp_ieee_invalid_op 0
		.amdhsa_exception_fp_denorm_src 0
		.amdhsa_exception_fp_ieee_div_zero 0
		.amdhsa_exception_fp_ieee_overflow 0
		.amdhsa_exception_fp_ieee_underflow 0
		.amdhsa_exception_fp_ieee_inexact 0
		.amdhsa_exception_int_div_zero 0
	.end_amdhsa_kernel
	.section	.text._ZN7rocprim17ROCPRIM_400000_NS6detail17trampoline_kernelINS0_13select_configILj256ELj13ELNS0_17block_load_methodE3ELS4_3ELS4_3ELNS0_20block_scan_algorithmE0ELj4294967295EEENS1_25partition_config_selectorILNS1_17partition_subalgoE3EjNS0_10empty_typeEbEEZZNS1_14partition_implILS8_3ELb0ES6_jNS0_17counting_iteratorIjlEEPS9_SE_NS0_5tupleIJPjSE_EEENSF_IJSE_SE_EEES9_SG_JZNS1_25segmented_radix_sort_implINS0_14default_configELb1EPK12hip_bfloat16PSL_PKlPlN2at6native12_GLOBAL__N_18offset_tEEE10hipError_tPvRmT1_PNSt15iterator_traitsISZ_E10value_typeET2_T3_PNS10_IS15_E10value_typeET4_jRbjT5_S1B_jjP12ihipStream_tbEUljE_EEESW_SX_SY_S15_S19_S1B_T6_T7_T9_mT8_S1D_bDpT10_ENKUlT_T0_E_clISt17integral_constantIbLb0EES1Q_EEDaS1L_S1M_EUlS1L_E_NS1_11comp_targetILNS1_3genE5ELNS1_11target_archE942ELNS1_3gpuE9ELNS1_3repE0EEENS1_30default_config_static_selectorELNS0_4arch9wavefront6targetE1EEEvSZ_,"axG",@progbits,_ZN7rocprim17ROCPRIM_400000_NS6detail17trampoline_kernelINS0_13select_configILj256ELj13ELNS0_17block_load_methodE3ELS4_3ELS4_3ELNS0_20block_scan_algorithmE0ELj4294967295EEENS1_25partition_config_selectorILNS1_17partition_subalgoE3EjNS0_10empty_typeEbEEZZNS1_14partition_implILS8_3ELb0ES6_jNS0_17counting_iteratorIjlEEPS9_SE_NS0_5tupleIJPjSE_EEENSF_IJSE_SE_EEES9_SG_JZNS1_25segmented_radix_sort_implINS0_14default_configELb1EPK12hip_bfloat16PSL_PKlPlN2at6native12_GLOBAL__N_18offset_tEEE10hipError_tPvRmT1_PNSt15iterator_traitsISZ_E10value_typeET2_T3_PNS10_IS15_E10value_typeET4_jRbjT5_S1B_jjP12ihipStream_tbEUljE_EEESW_SX_SY_S15_S19_S1B_T6_T7_T9_mT8_S1D_bDpT10_ENKUlT_T0_E_clISt17integral_constantIbLb0EES1Q_EEDaS1L_S1M_EUlS1L_E_NS1_11comp_targetILNS1_3genE5ELNS1_11target_archE942ELNS1_3gpuE9ELNS1_3repE0EEENS1_30default_config_static_selectorELNS0_4arch9wavefront6targetE1EEEvSZ_,comdat
.Lfunc_end1913:
	.size	_ZN7rocprim17ROCPRIM_400000_NS6detail17trampoline_kernelINS0_13select_configILj256ELj13ELNS0_17block_load_methodE3ELS4_3ELS4_3ELNS0_20block_scan_algorithmE0ELj4294967295EEENS1_25partition_config_selectorILNS1_17partition_subalgoE3EjNS0_10empty_typeEbEEZZNS1_14partition_implILS8_3ELb0ES6_jNS0_17counting_iteratorIjlEEPS9_SE_NS0_5tupleIJPjSE_EEENSF_IJSE_SE_EEES9_SG_JZNS1_25segmented_radix_sort_implINS0_14default_configELb1EPK12hip_bfloat16PSL_PKlPlN2at6native12_GLOBAL__N_18offset_tEEE10hipError_tPvRmT1_PNSt15iterator_traitsISZ_E10value_typeET2_T3_PNS10_IS15_E10value_typeET4_jRbjT5_S1B_jjP12ihipStream_tbEUljE_EEESW_SX_SY_S15_S19_S1B_T6_T7_T9_mT8_S1D_bDpT10_ENKUlT_T0_E_clISt17integral_constantIbLb0EES1Q_EEDaS1L_S1M_EUlS1L_E_NS1_11comp_targetILNS1_3genE5ELNS1_11target_archE942ELNS1_3gpuE9ELNS1_3repE0EEENS1_30default_config_static_selectorELNS0_4arch9wavefront6targetE1EEEvSZ_, .Lfunc_end1913-_ZN7rocprim17ROCPRIM_400000_NS6detail17trampoline_kernelINS0_13select_configILj256ELj13ELNS0_17block_load_methodE3ELS4_3ELS4_3ELNS0_20block_scan_algorithmE0ELj4294967295EEENS1_25partition_config_selectorILNS1_17partition_subalgoE3EjNS0_10empty_typeEbEEZZNS1_14partition_implILS8_3ELb0ES6_jNS0_17counting_iteratorIjlEEPS9_SE_NS0_5tupleIJPjSE_EEENSF_IJSE_SE_EEES9_SG_JZNS1_25segmented_radix_sort_implINS0_14default_configELb1EPK12hip_bfloat16PSL_PKlPlN2at6native12_GLOBAL__N_18offset_tEEE10hipError_tPvRmT1_PNSt15iterator_traitsISZ_E10value_typeET2_T3_PNS10_IS15_E10value_typeET4_jRbjT5_S1B_jjP12ihipStream_tbEUljE_EEESW_SX_SY_S15_S19_S1B_T6_T7_T9_mT8_S1D_bDpT10_ENKUlT_T0_E_clISt17integral_constantIbLb0EES1Q_EEDaS1L_S1M_EUlS1L_E_NS1_11comp_targetILNS1_3genE5ELNS1_11target_archE942ELNS1_3gpuE9ELNS1_3repE0EEENS1_30default_config_static_selectorELNS0_4arch9wavefront6targetE1EEEvSZ_
                                        ; -- End function
	.section	.AMDGPU.csdata,"",@progbits
; Kernel info:
; codeLenInByte = 0
; NumSgprs: 4
; NumVgprs: 0
; NumAgprs: 0
; TotalNumVgprs: 0
; ScratchSize: 0
; MemoryBound: 0
; FloatMode: 240
; IeeeMode: 1
; LDSByteSize: 0 bytes/workgroup (compile time only)
; SGPRBlocks: 0
; VGPRBlocks: 0
; NumSGPRsForWavesPerEU: 4
; NumVGPRsForWavesPerEU: 1
; AccumOffset: 4
; Occupancy: 8
; WaveLimiterHint : 0
; COMPUTE_PGM_RSRC2:SCRATCH_EN: 0
; COMPUTE_PGM_RSRC2:USER_SGPR: 6
; COMPUTE_PGM_RSRC2:TRAP_HANDLER: 0
; COMPUTE_PGM_RSRC2:TGID_X_EN: 1
; COMPUTE_PGM_RSRC2:TGID_Y_EN: 0
; COMPUTE_PGM_RSRC2:TGID_Z_EN: 0
; COMPUTE_PGM_RSRC2:TIDIG_COMP_CNT: 0
; COMPUTE_PGM_RSRC3_GFX90A:ACCUM_OFFSET: 0
; COMPUTE_PGM_RSRC3_GFX90A:TG_SPLIT: 0
	.section	.text._ZN7rocprim17ROCPRIM_400000_NS6detail17trampoline_kernelINS0_13select_configILj256ELj13ELNS0_17block_load_methodE3ELS4_3ELS4_3ELNS0_20block_scan_algorithmE0ELj4294967295EEENS1_25partition_config_selectorILNS1_17partition_subalgoE3EjNS0_10empty_typeEbEEZZNS1_14partition_implILS8_3ELb0ES6_jNS0_17counting_iteratorIjlEEPS9_SE_NS0_5tupleIJPjSE_EEENSF_IJSE_SE_EEES9_SG_JZNS1_25segmented_radix_sort_implINS0_14default_configELb1EPK12hip_bfloat16PSL_PKlPlN2at6native12_GLOBAL__N_18offset_tEEE10hipError_tPvRmT1_PNSt15iterator_traitsISZ_E10value_typeET2_T3_PNS10_IS15_E10value_typeET4_jRbjT5_S1B_jjP12ihipStream_tbEUljE_EEESW_SX_SY_S15_S19_S1B_T6_T7_T9_mT8_S1D_bDpT10_ENKUlT_T0_E_clISt17integral_constantIbLb0EES1Q_EEDaS1L_S1M_EUlS1L_E_NS1_11comp_targetILNS1_3genE4ELNS1_11target_archE910ELNS1_3gpuE8ELNS1_3repE0EEENS1_30default_config_static_selectorELNS0_4arch9wavefront6targetE1EEEvSZ_,"axG",@progbits,_ZN7rocprim17ROCPRIM_400000_NS6detail17trampoline_kernelINS0_13select_configILj256ELj13ELNS0_17block_load_methodE3ELS4_3ELS4_3ELNS0_20block_scan_algorithmE0ELj4294967295EEENS1_25partition_config_selectorILNS1_17partition_subalgoE3EjNS0_10empty_typeEbEEZZNS1_14partition_implILS8_3ELb0ES6_jNS0_17counting_iteratorIjlEEPS9_SE_NS0_5tupleIJPjSE_EEENSF_IJSE_SE_EEES9_SG_JZNS1_25segmented_radix_sort_implINS0_14default_configELb1EPK12hip_bfloat16PSL_PKlPlN2at6native12_GLOBAL__N_18offset_tEEE10hipError_tPvRmT1_PNSt15iterator_traitsISZ_E10value_typeET2_T3_PNS10_IS15_E10value_typeET4_jRbjT5_S1B_jjP12ihipStream_tbEUljE_EEESW_SX_SY_S15_S19_S1B_T6_T7_T9_mT8_S1D_bDpT10_ENKUlT_T0_E_clISt17integral_constantIbLb0EES1Q_EEDaS1L_S1M_EUlS1L_E_NS1_11comp_targetILNS1_3genE4ELNS1_11target_archE910ELNS1_3gpuE8ELNS1_3repE0EEENS1_30default_config_static_selectorELNS0_4arch9wavefront6targetE1EEEvSZ_,comdat
	.globl	_ZN7rocprim17ROCPRIM_400000_NS6detail17trampoline_kernelINS0_13select_configILj256ELj13ELNS0_17block_load_methodE3ELS4_3ELS4_3ELNS0_20block_scan_algorithmE0ELj4294967295EEENS1_25partition_config_selectorILNS1_17partition_subalgoE3EjNS0_10empty_typeEbEEZZNS1_14partition_implILS8_3ELb0ES6_jNS0_17counting_iteratorIjlEEPS9_SE_NS0_5tupleIJPjSE_EEENSF_IJSE_SE_EEES9_SG_JZNS1_25segmented_radix_sort_implINS0_14default_configELb1EPK12hip_bfloat16PSL_PKlPlN2at6native12_GLOBAL__N_18offset_tEEE10hipError_tPvRmT1_PNSt15iterator_traitsISZ_E10value_typeET2_T3_PNS10_IS15_E10value_typeET4_jRbjT5_S1B_jjP12ihipStream_tbEUljE_EEESW_SX_SY_S15_S19_S1B_T6_T7_T9_mT8_S1D_bDpT10_ENKUlT_T0_E_clISt17integral_constantIbLb0EES1Q_EEDaS1L_S1M_EUlS1L_E_NS1_11comp_targetILNS1_3genE4ELNS1_11target_archE910ELNS1_3gpuE8ELNS1_3repE0EEENS1_30default_config_static_selectorELNS0_4arch9wavefront6targetE1EEEvSZ_ ; -- Begin function _ZN7rocprim17ROCPRIM_400000_NS6detail17trampoline_kernelINS0_13select_configILj256ELj13ELNS0_17block_load_methodE3ELS4_3ELS4_3ELNS0_20block_scan_algorithmE0ELj4294967295EEENS1_25partition_config_selectorILNS1_17partition_subalgoE3EjNS0_10empty_typeEbEEZZNS1_14partition_implILS8_3ELb0ES6_jNS0_17counting_iteratorIjlEEPS9_SE_NS0_5tupleIJPjSE_EEENSF_IJSE_SE_EEES9_SG_JZNS1_25segmented_radix_sort_implINS0_14default_configELb1EPK12hip_bfloat16PSL_PKlPlN2at6native12_GLOBAL__N_18offset_tEEE10hipError_tPvRmT1_PNSt15iterator_traitsISZ_E10value_typeET2_T3_PNS10_IS15_E10value_typeET4_jRbjT5_S1B_jjP12ihipStream_tbEUljE_EEESW_SX_SY_S15_S19_S1B_T6_T7_T9_mT8_S1D_bDpT10_ENKUlT_T0_E_clISt17integral_constantIbLb0EES1Q_EEDaS1L_S1M_EUlS1L_E_NS1_11comp_targetILNS1_3genE4ELNS1_11target_archE910ELNS1_3gpuE8ELNS1_3repE0EEENS1_30default_config_static_selectorELNS0_4arch9wavefront6targetE1EEEvSZ_
	.p2align	8
	.type	_ZN7rocprim17ROCPRIM_400000_NS6detail17trampoline_kernelINS0_13select_configILj256ELj13ELNS0_17block_load_methodE3ELS4_3ELS4_3ELNS0_20block_scan_algorithmE0ELj4294967295EEENS1_25partition_config_selectorILNS1_17partition_subalgoE3EjNS0_10empty_typeEbEEZZNS1_14partition_implILS8_3ELb0ES6_jNS0_17counting_iteratorIjlEEPS9_SE_NS0_5tupleIJPjSE_EEENSF_IJSE_SE_EEES9_SG_JZNS1_25segmented_radix_sort_implINS0_14default_configELb1EPK12hip_bfloat16PSL_PKlPlN2at6native12_GLOBAL__N_18offset_tEEE10hipError_tPvRmT1_PNSt15iterator_traitsISZ_E10value_typeET2_T3_PNS10_IS15_E10value_typeET4_jRbjT5_S1B_jjP12ihipStream_tbEUljE_EEESW_SX_SY_S15_S19_S1B_T6_T7_T9_mT8_S1D_bDpT10_ENKUlT_T0_E_clISt17integral_constantIbLb0EES1Q_EEDaS1L_S1M_EUlS1L_E_NS1_11comp_targetILNS1_3genE4ELNS1_11target_archE910ELNS1_3gpuE8ELNS1_3repE0EEENS1_30default_config_static_selectorELNS0_4arch9wavefront6targetE1EEEvSZ_,@function
_ZN7rocprim17ROCPRIM_400000_NS6detail17trampoline_kernelINS0_13select_configILj256ELj13ELNS0_17block_load_methodE3ELS4_3ELS4_3ELNS0_20block_scan_algorithmE0ELj4294967295EEENS1_25partition_config_selectorILNS1_17partition_subalgoE3EjNS0_10empty_typeEbEEZZNS1_14partition_implILS8_3ELb0ES6_jNS0_17counting_iteratorIjlEEPS9_SE_NS0_5tupleIJPjSE_EEENSF_IJSE_SE_EEES9_SG_JZNS1_25segmented_radix_sort_implINS0_14default_configELb1EPK12hip_bfloat16PSL_PKlPlN2at6native12_GLOBAL__N_18offset_tEEE10hipError_tPvRmT1_PNSt15iterator_traitsISZ_E10value_typeET2_T3_PNS10_IS15_E10value_typeET4_jRbjT5_S1B_jjP12ihipStream_tbEUljE_EEESW_SX_SY_S15_S19_S1B_T6_T7_T9_mT8_S1D_bDpT10_ENKUlT_T0_E_clISt17integral_constantIbLb0EES1Q_EEDaS1L_S1M_EUlS1L_E_NS1_11comp_targetILNS1_3genE4ELNS1_11target_archE910ELNS1_3gpuE8ELNS1_3repE0EEENS1_30default_config_static_selectorELNS0_4arch9wavefront6targetE1EEEvSZ_: ; @_ZN7rocprim17ROCPRIM_400000_NS6detail17trampoline_kernelINS0_13select_configILj256ELj13ELNS0_17block_load_methodE3ELS4_3ELS4_3ELNS0_20block_scan_algorithmE0ELj4294967295EEENS1_25partition_config_selectorILNS1_17partition_subalgoE3EjNS0_10empty_typeEbEEZZNS1_14partition_implILS8_3ELb0ES6_jNS0_17counting_iteratorIjlEEPS9_SE_NS0_5tupleIJPjSE_EEENSF_IJSE_SE_EEES9_SG_JZNS1_25segmented_radix_sort_implINS0_14default_configELb1EPK12hip_bfloat16PSL_PKlPlN2at6native12_GLOBAL__N_18offset_tEEE10hipError_tPvRmT1_PNSt15iterator_traitsISZ_E10value_typeET2_T3_PNS10_IS15_E10value_typeET4_jRbjT5_S1B_jjP12ihipStream_tbEUljE_EEESW_SX_SY_S15_S19_S1B_T6_T7_T9_mT8_S1D_bDpT10_ENKUlT_T0_E_clISt17integral_constantIbLb0EES1Q_EEDaS1L_S1M_EUlS1L_E_NS1_11comp_targetILNS1_3genE4ELNS1_11target_archE910ELNS1_3gpuE8ELNS1_3repE0EEENS1_30default_config_static_selectorELNS0_4arch9wavefront6targetE1EEEvSZ_
; %bb.0:
	s_load_dwordx2 s[26:27], s[4:5], 0x58
	s_load_dwordx4 s[20:23], s[4:5], 0x48
	s_load_dword s13, s[4:5], 0x8
	s_load_dwordx2 s[28:29], s[4:5], 0x10
	s_load_dword s12, s[4:5], 0x70
	s_load_dword s7, s[4:5], 0x88
	s_load_dwordx4 s[8:11], s[4:5], 0x78
	s_waitcnt lgkmcnt(0)
	s_load_dwordx2 s[30:31], s[22:23], 0x0
	v_pk_mov_b32 v[2:3], s[26:27], s[26:27] op_sel:[0,1]
	s_add_i32 s2, s12, -1
	s_mulk_i32 s12, 0xd00
	s_add_u32 s0, s28, s12
	s_addc_u32 s1, s29, 0
	s_cmp_eq_u32 s6, s2
	s_cselect_b64 s[22:23], -1, 0
	s_cmp_lg_u32 s6, s2
	s_mul_i32 s42, s6, 0xd00
	v_cmp_lt_u64_e32 vcc, s[0:1], v[2:3]
	s_cselect_b64 s[0:1], -1, 0
	s_or_b64 s[2:3], s[0:1], vcc
	s_add_i32 s0, s13, s42
	s_add_i32 s0, s0, s28
	v_add_u32_e32 v2, s0, v0
	s_mov_b64 s[0:1], -1
	s_and_b64 vcc, exec, s[2:3]
	v_lshlrev_b32_e32 v1, 2, v0
	s_cbranch_vccz .LBB1914_2
; %bb.1:
	v_add_u32_e32 v3, 0x100, v2
	v_add_u32_e32 v4, 0x200, v2
	;; [unrolled: 1-line block ×12, first 2 shown]
	ds_write2st64_b32 v1, v2, v3 offset1:4
	ds_write2st64_b32 v1, v4, v5 offset0:8 offset1:12
	ds_write2st64_b32 v1, v6, v7 offset0:16 offset1:20
	;; [unrolled: 1-line block ×5, first 2 shown]
	ds_write_b32 v1, v14 offset:12288
	s_waitcnt lgkmcnt(0)
	s_barrier
	s_mov_b64 s[0:1], 0
.LBB1914_2:
	s_andn2_b64 vcc, exec, s[0:1]
	s_add_i32 s12, s12, s28
	s_cbranch_vccnz .LBB1914_4
; %bb.3:
	v_add_u32_e32 v3, 0x100, v2
	v_add_u32_e32 v4, 0x200, v2
	;; [unrolled: 1-line block ×12, first 2 shown]
	ds_write2st64_b32 v1, v2, v3 offset1:4
	ds_write2st64_b32 v1, v4, v5 offset0:8 offset1:12
	ds_write2st64_b32 v1, v6, v7 offset0:16 offset1:20
	;; [unrolled: 1-line block ×5, first 2 shown]
	ds_write_b32 v1, v14 offset:12288
	s_waitcnt lgkmcnt(0)
	s_barrier
.LBB1914_4:
	v_mul_u32_u24_e32 v33, 13, v0
	v_lshlrev_b32_e32 v2, 2, v33
	s_waitcnt lgkmcnt(0)
	ds_read2_b32 v[30:31], v2 offset1:1
	ds_read2_b32 v[28:29], v2 offset0:2 offset1:3
	ds_read2_b32 v[26:27], v2 offset0:4 offset1:5
	;; [unrolled: 1-line block ×5, first 2 shown]
	ds_read_b32 v32, v2 offset:48
	v_cndmask_b32_e64 v2, 0, 1, s[2:3]
	s_sub_i32 s33, s26, s12
	v_cmp_ne_u32_e64 s[0:1], 1, v2
	s_andn2_b64 vcc, exec, s[2:3]
	s_waitcnt lgkmcnt(0)
	s_barrier
	s_cbranch_vccnz .LBB1914_6
; %bb.5:
	v_add_u32_e32 v2, s9, v30
	v_add_u32_e32 v3, s11, v30
	v_mul_lo_u32 v2, v2, s8
	v_mul_lo_u32 v3, v3, s10
	v_sub_u32_e32 v2, v2, v3
	v_add_u32_e32 v3, s9, v31
	v_add_u32_e32 v4, s11, v31
	v_mul_lo_u32 v3, v3, s8
	v_mul_lo_u32 v4, v4, s10
	v_sub_u32_e32 v3, v3, v4
	;; [unrolled: 5-line block ×6, first 2 shown]
	v_add_u32_e32 v8, s9, v24
	v_add_u32_e32 v9, s11, v24
	v_mul_lo_u32 v8, v8, s8
	v_mul_lo_u32 v9, v9, s10
	v_cmp_lt_u32_e32 vcc, s7, v2
	v_sub_u32_e32 v8, v8, v9
	v_add_u32_e32 v9, s9, v25
	v_add_u32_e32 v10, s11, v25
	v_cndmask_b32_e64 v2, 0, 1, vcc
	v_cmp_lt_u32_e32 vcc, s7, v3
	v_mul_lo_u32 v9, v9, s8
	v_mul_lo_u32 v10, v10, s10
	v_cndmask_b32_e64 v3, 0, 1, vcc
	v_cmp_lt_u32_e32 vcc, s7, v4
	v_sub_u32_e32 v9, v9, v10
	v_add_u32_e32 v10, s9, v22
	v_add_u32_e32 v11, s11, v22
	v_cndmask_b32_e64 v4, 0, 1, vcc
	v_cmp_lt_u32_e32 vcc, s7, v5
	v_mul_lo_u32 v10, v10, s8
	v_mul_lo_u32 v11, v11, s10
	v_cndmask_b32_e64 v5, 0, 1, vcc
	;; [unrolled: 9-line block ×4, first 2 shown]
	v_cmp_lt_u32_e32 vcc, s7, v10
	v_sub_u32_e32 v12, v12, v13
	v_add_u32_e32 v13, s9, v21
	v_add_u32_e32 v14, s11, v21
	v_lshlrev_b16_e32 v3, 8, v3
	v_cndmask_b32_e64 v10, 0, 1, vcc
	v_cmp_lt_u32_e32 vcc, s7, v11
	v_mul_lo_u32 v13, v13, s8
	v_mul_lo_u32 v14, v14, s10
	v_or_b32_e32 v2, v2, v3
	v_lshlrev_b16_e32 v3, 8, v5
	v_cndmask_b32_e64 v11, 0, 1, vcc
	v_cmp_lt_u32_e32 vcc, s7, v12
	v_sub_u32_e32 v13, v13, v14
	v_or_b32_sdwa v3, v4, v3 dst_sel:WORD_1 dst_unused:UNUSED_PAD src0_sel:DWORD src1_sel:DWORD
	v_cndmask_b32_e64 v12, 0, 1, vcc
	v_cmp_lt_u32_e32 vcc, s7, v13
	v_add_u32_e32 v14, s9, v32
	v_add_u32_e32 v15, s11, v32
	v_or_b32_sdwa v37, v2, v3 dst_sel:DWORD dst_unused:UNUSED_PAD src0_sel:WORD_0 src1_sel:DWORD
	v_lshlrev_b16_e32 v2, 8, v7
	v_lshlrev_b16_e32 v3, 8, v9
	v_cndmask_b32_e64 v13, 0, 1, vcc
	v_mul_lo_u32 v14, v14, s8
	v_mul_lo_u32 v15, v15, s10
	v_or_b32_e32 v2, v6, v2
	v_or_b32_sdwa v3, v8, v3 dst_sel:WORD_1 dst_unused:UNUSED_PAD src0_sel:DWORD src1_sel:DWORD
	v_sub_u32_e32 v14, v14, v15
	v_or_b32_sdwa v36, v2, v3 dst_sel:DWORD dst_unused:UNUSED_PAD src0_sel:WORD_0 src1_sel:DWORD
	v_lshlrev_b16_e32 v2, 8, v11
	v_lshlrev_b16_e32 v3, 8, v13
	v_cmp_lt_u32_e32 vcc, s7, v14
	v_or_b32_e32 v2, v10, v2
	v_or_b32_sdwa v3, v12, v3 dst_sel:WORD_1 dst_unused:UNUSED_PAD src0_sel:DWORD src1_sel:DWORD
	v_cndmask_b32_e64 v34, 0, 1, vcc
	v_or_b32_sdwa v35, v2, v3 dst_sel:DWORD dst_unused:UNUSED_PAD src0_sel:WORD_0 src1_sel:DWORD
	s_mov_b64 s[2:3], 0
	s_branch .LBB1914_7
.LBB1914_6:
	s_mov_b64 s[2:3], -1
                                        ; implicit-def: $vgpr34
                                        ; implicit-def: $vgpr35
                                        ; implicit-def: $vgpr36
                                        ; implicit-def: $vgpr37
.LBB1914_7:
	s_load_dwordx2 s[24:25], s[4:5], 0x28
	s_load_dwordx2 s[34:35], s[4:5], 0x68
	s_andn2_b64 vcc, exec, s[2:3]
	s_addk_i32 s33, 0xd00
	s_cbranch_vccnz .LBB1914_35
; %bb.8:
	v_cmp_gt_u32_e32 vcc, s33, v33
	v_mov_b32_e32 v3, 0
	v_mov_b32_e32 v2, 0
	s_and_saveexec_b64 s[2:3], vcc
; %bb.9:
	v_add_u32_e32 v2, s9, v30
	v_add_u32_e32 v4, s11, v30
	v_mul_lo_u32 v2, v2, s8
	v_mul_lo_u32 v4, v4, s10
	v_sub_u32_e32 v2, v2, v4
	v_cmp_lt_u32_e32 vcc, s7, v2
	v_cndmask_b32_e64 v2, 0, 1, vcc
; %bb.10:
	s_or_b64 exec, exec, s[2:3]
	v_add_u32_e32 v4, 1, v33
	v_cmp_gt_u32_e32 vcc, s33, v4
	s_and_saveexec_b64 s[2:3], vcc
; %bb.11:
	v_add_u32_e32 v3, s9, v31
	v_add_u32_e32 v4, s11, v31
	v_mul_lo_u32 v3, v3, s8
	v_mul_lo_u32 v4, v4, s10
	v_sub_u32_e32 v3, v3, v4
	v_cmp_lt_u32_e32 vcc, s7, v3
	v_cndmask_b32_e64 v3, 0, 1, vcc
; %bb.12:
	s_or_b64 exec, exec, s[2:3]
	v_add_u32_e32 v4, 2, v33
	v_cmp_gt_u32_e32 vcc, s33, v4
	v_mov_b32_e32 v5, 0
	v_mov_b32_e32 v4, 0
	s_and_saveexec_b64 s[2:3], vcc
; %bb.13:
	v_add_u32_e32 v4, s9, v28
	v_add_u32_e32 v6, s11, v28
	v_mul_lo_u32 v4, v4, s8
	v_mul_lo_u32 v6, v6, s10
	v_sub_u32_e32 v4, v4, v6
	v_cmp_lt_u32_e32 vcc, s7, v4
	v_cndmask_b32_e64 v4, 0, 1, vcc
; %bb.14:
	s_or_b64 exec, exec, s[2:3]
	v_add_u32_e32 v6, 3, v33
	v_cmp_gt_u32_e32 vcc, s33, v6
	s_and_saveexec_b64 s[2:3], vcc
; %bb.15:
	v_add_u32_e32 v5, s9, v29
	v_add_u32_e32 v6, s11, v29
	v_mul_lo_u32 v5, v5, s8
	v_mul_lo_u32 v6, v6, s10
	v_sub_u32_e32 v5, v5, v6
	v_cmp_lt_u32_e32 vcc, s7, v5
	v_cndmask_b32_e64 v5, 0, 1, vcc
; %bb.16:
	s_or_b64 exec, exec, s[2:3]
	v_add_u32_e32 v6, 4, v33
	;; [unrolled: 28-line block ×6, first 2 shown]
	v_cmp_gt_u32_e32 vcc, s33, v14
	v_mov_b32_e32 v34, 0
	s_and_saveexec_b64 s[2:3], vcc
; %bb.33:
	v_add_u32_e32 v14, s9, v32
	v_add_u32_e32 v15, s11, v32
	v_mul_lo_u32 v14, v14, s8
	v_mul_lo_u32 v15, v15, s10
	v_sub_u32_e32 v14, v14, v15
	v_cmp_lt_u32_e32 vcc, s7, v14
	v_cndmask_b32_e64 v34, 0, 1, vcc
; %bb.34:
	s_or_b64 exec, exec, s[2:3]
	v_lshlrev_b16_e32 v3, 8, v3
	v_or_b32_e32 v2, v2, v3
	v_lshlrev_b16_e32 v3, 8, v5
	v_or_b32_sdwa v3, v4, v3 dst_sel:WORD_1 dst_unused:UNUSED_PAD src0_sel:DWORD src1_sel:DWORD
	v_or_b32_sdwa v37, v2, v3 dst_sel:DWORD dst_unused:UNUSED_PAD src0_sel:WORD_0 src1_sel:DWORD
	v_lshlrev_b16_e32 v2, 8, v7
	v_lshlrev_b16_e32 v3, 8, v9
	v_or_b32_e32 v2, v6, v2
	v_or_b32_sdwa v3, v8, v3 dst_sel:WORD_1 dst_unused:UNUSED_PAD src0_sel:DWORD src1_sel:DWORD
	v_or_b32_sdwa v36, v2, v3 dst_sel:DWORD dst_unused:UNUSED_PAD src0_sel:WORD_0 src1_sel:DWORD
	v_lshlrev_b16_e32 v2, 8, v11
	v_lshlrev_b16_e32 v3, 8, v13
	v_or_b32_e32 v2, v10, v2
	v_or_b32_sdwa v3, v12, v3 dst_sel:WORD_1 dst_unused:UNUSED_PAD src0_sel:DWORD src1_sel:DWORD
	v_or_b32_sdwa v35, v2, v3 dst_sel:DWORD dst_unused:UNUSED_PAD src0_sel:WORD_0 src1_sel:DWORD
.LBB1914_35:
	v_and_b32_e32 v41, 0xff, v37
	v_bfe_u32 v42, v37, 8, 8
	v_bfe_u32 v43, v37, 16, 8
	v_lshrrev_b32_e32 v40, 24, v37
	v_and_b32_e32 v44, 0xff, v36
	v_add3_u32 v3, v42, v41, v43
	v_bfe_u32 v45, v36, 8, 8
	v_bfe_u32 v46, v36, 16, 8
	v_add3_u32 v3, v3, v40, v44
	v_lshrrev_b32_e32 v39, 24, v36
	v_and_b32_e32 v47, 0xff, v35
	v_add3_u32 v3, v3, v45, v46
	v_bfe_u32 v48, v35, 8, 8
	v_bfe_u32 v49, v35, 16, 8
	v_add3_u32 v3, v3, v39, v47
	v_lshrrev_b32_e32 v38, 24, v35
	v_and_b32_e32 v2, 0xff, v34
	v_add3_u32 v3, v3, v48, v49
	v_add3_u32 v52, v3, v38, v2
	v_mbcnt_lo_u32_b32 v2, -1, 0
	v_mbcnt_hi_u32_b32 v50, -1, v2
	v_and_b32_e32 v2, 15, v50
	v_cmp_eq_u32_e64 s[14:15], 0, v2
	v_cmp_lt_u32_e64 s[12:13], 1, v2
	v_cmp_lt_u32_e64 s[10:11], 3, v2
	;; [unrolled: 1-line block ×3, first 2 shown]
	v_and_b32_e32 v2, 16, v50
	v_cmp_eq_u32_e64 s[18:19], 0, v2
	v_or_b32_e32 v2, 63, v0
	s_cmp_lg_u32 s6, 0
	v_cmp_lt_u32_e64 s[2:3], 31, v50
	v_lshrrev_b32_e32 v51, 6, v0
	v_cmp_eq_u32_e64 s[4:5], v2, v0
	s_cbranch_scc0 .LBB1914_62
; %bb.36:
	v_mov_b32_dpp v2, v52 row_shr:1 row_mask:0xf bank_mask:0xf
	v_cndmask_b32_e64 v2, v2, 0, s[14:15]
	v_add_u32_e32 v2, v2, v52
	s_nop 1
	v_mov_b32_dpp v3, v2 row_shr:2 row_mask:0xf bank_mask:0xf
	v_cndmask_b32_e64 v3, 0, v3, s[12:13]
	v_add_u32_e32 v2, v2, v3
	s_nop 1
	;; [unrolled: 4-line block ×4, first 2 shown]
	v_mov_b32_dpp v3, v2 row_bcast:15 row_mask:0xf bank_mask:0xf
	v_cndmask_b32_e64 v3, v3, 0, s[18:19]
	v_add_u32_e32 v2, v2, v3
	s_nop 1
	v_mov_b32_dpp v3, v2 row_bcast:31 row_mask:0xf bank_mask:0xf
	v_cndmask_b32_e64 v3, 0, v3, s[2:3]
	v_add_u32_e32 v2, v2, v3
	s_and_saveexec_b64 s[16:17], s[4:5]
	s_cbranch_execz .LBB1914_38
; %bb.37:
	v_lshlrev_b32_e32 v3, 2, v51
	ds_write_b32 v3, v2
.LBB1914_38:
	s_or_b64 exec, exec, s[16:17]
	v_cmp_gt_u32_e32 vcc, 4, v0
	s_waitcnt lgkmcnt(0)
	s_barrier
	s_and_saveexec_b64 s[16:17], vcc
	s_cbranch_execz .LBB1914_40
; %bb.39:
	ds_read_b32 v3, v1
	v_and_b32_e32 v4, 3, v50
	v_cmp_ne_u32_e32 vcc, 0, v4
	s_waitcnt lgkmcnt(0)
	v_mov_b32_dpp v5, v3 row_shr:1 row_mask:0xf bank_mask:0xf
	v_cndmask_b32_e32 v5, 0, v5, vcc
	v_add_u32_e32 v3, v5, v3
	v_cmp_lt_u32_e32 vcc, 1, v4
	s_nop 0
	v_mov_b32_dpp v5, v3 row_shr:2 row_mask:0xf bank_mask:0xf
	v_cndmask_b32_e32 v4, 0, v5, vcc
	v_add_u32_e32 v3, v3, v4
	ds_write_b32 v1, v3
.LBB1914_40:
	s_or_b64 exec, exec, s[16:17]
	v_cmp_gt_u32_e32 vcc, 64, v0
	v_cmp_lt_u32_e64 s[16:17], 63, v0
	s_waitcnt lgkmcnt(0)
	s_barrier
	s_waitcnt lgkmcnt(0)
                                        ; implicit-def: $vgpr12
	s_and_saveexec_b64 s[36:37], s[16:17]
	s_cbranch_execz .LBB1914_42
; %bb.41:
	v_lshl_add_u32 v3, v51, 2, -4
	ds_read_b32 v12, v3
	s_waitcnt lgkmcnt(0)
	v_add_u32_e32 v2, v12, v2
.LBB1914_42:
	s_or_b64 exec, exec, s[36:37]
	v_add_u32_e32 v3, -1, v50
	v_and_b32_e32 v4, 64, v50
	v_cmp_lt_i32_e64 s[16:17], v3, v4
	v_cndmask_b32_e64 v3, v3, v50, s[16:17]
	v_lshlrev_b32_e32 v3, 2, v3
	ds_bpermute_b32 v13, v3, v2
	v_cmp_eq_u32_e64 s[16:17], 0, v50
	s_and_saveexec_b64 s[36:37], vcc
	s_cbranch_execz .LBB1914_61
; %bb.43:
	v_mov_b32_e32 v9, 0
	ds_read_b32 v2, v9 offset:12
	s_and_saveexec_b64 s[38:39], s[16:17]
	s_cbranch_execz .LBB1914_45
; %bb.44:
	s_add_i32 s40, s6, 64
	s_mov_b32 s41, 0
	s_lshl_b64 s[40:41], s[40:41], 3
	s_add_u32 s40, s34, s40
	v_mov_b32_e32 v3, 1
	s_addc_u32 s41, s35, s41
	s_waitcnt lgkmcnt(0)
	global_store_dwordx2 v9, v[2:3], s[40:41]
.LBB1914_45:
	s_or_b64 exec, exec, s[38:39]
	v_xad_u32 v4, v50, -1, s6
	v_add_u32_e32 v8, 64, v4
	v_lshlrev_b64 v[6:7], 3, v[8:9]
	v_mov_b32_e32 v3, s35
	v_add_co_u32_e32 v10, vcc, s34, v6
	v_addc_co_u32_e32 v11, vcc, v3, v7, vcc
	global_load_dwordx2 v[6:7], v[10:11], off glc
	s_waitcnt vmcnt(0)
	v_cmp_eq_u16_sdwa s[40:41], v7, v9 src0_sel:BYTE_0 src1_sel:DWORD
	s_and_saveexec_b64 s[38:39], s[40:41]
	s_cbranch_execz .LBB1914_49
; %bb.46:
	s_mov_b64 s[40:41], 0
	v_mov_b32_e32 v3, 0
.LBB1914_47:                            ; =>This Inner Loop Header: Depth=1
	global_load_dwordx2 v[6:7], v[10:11], off glc
	s_waitcnt vmcnt(0)
	v_cmp_ne_u16_sdwa s[44:45], v7, v3 src0_sel:BYTE_0 src1_sel:DWORD
	s_or_b64 s[40:41], s[44:45], s[40:41]
	s_andn2_b64 exec, exec, s[40:41]
	s_cbranch_execnz .LBB1914_47
; %bb.48:
	s_or_b64 exec, exec, s[40:41]
.LBB1914_49:
	s_or_b64 exec, exec, s[38:39]
	v_and_b32_e32 v14, 63, v50
	v_mov_b32_e32 v3, 2
	v_cmp_ne_u32_e32 vcc, 63, v14
	v_cmp_eq_u16_sdwa s[38:39], v7, v3 src0_sel:BYTE_0 src1_sel:DWORD
	v_lshlrev_b64 v[8:9], v50, -1
	v_addc_co_u32_e32 v11, vcc, 0, v50, vcc
	v_and_b32_e32 v5, s39, v9
	v_lshlrev_b32_e32 v15, 2, v11
	v_or_b32_e32 v5, 0x80000000, v5
	ds_bpermute_b32 v11, v15, v6
	v_and_b32_e32 v10, s38, v8
	v_ffbl_b32_e32 v5, v5
	v_add_u32_e32 v5, 32, v5
	v_ffbl_b32_e32 v10, v10
	v_min_u32_e32 v5, v10, v5
	v_cmp_lt_u32_e32 vcc, v14, v5
	s_waitcnt lgkmcnt(0)
	v_cndmask_b32_e32 v10, 0, v11, vcc
	v_cmp_gt_u32_e32 vcc, 62, v14
	v_add_u32_e32 v6, v10, v6
	v_cndmask_b32_e64 v10, 0, 1, vcc
	v_lshlrev_b32_e32 v10, 1, v10
	v_add_lshl_u32 v16, v10, v50, 2
	ds_bpermute_b32 v10, v16, v6
	v_add_u32_e32 v17, 2, v14
	v_cmp_le_u32_e32 vcc, v17, v5
	v_add_u32_e32 v19, 4, v14
	v_add_u32_e32 v54, 8, v14
	s_waitcnt lgkmcnt(0)
	v_cndmask_b32_e32 v10, 0, v10, vcc
	v_cmp_gt_u32_e32 vcc, 60, v14
	v_add_u32_e32 v6, v6, v10
	v_cndmask_b32_e64 v10, 0, 1, vcc
	v_lshlrev_b32_e32 v10, 2, v10
	v_add_lshl_u32 v18, v10, v50, 2
	ds_bpermute_b32 v10, v18, v6
	v_cmp_le_u32_e32 vcc, v19, v5
	v_add_u32_e32 v57, 16, v14
	v_add_u32_e32 v59, 32, v14
	s_waitcnt lgkmcnt(0)
	v_cndmask_b32_e32 v10, 0, v10, vcc
	v_cmp_gt_u32_e32 vcc, 56, v14
	v_add_u32_e32 v6, v6, v10
	v_cndmask_b32_e64 v10, 0, 1, vcc
	v_lshlrev_b32_e32 v10, 3, v10
	v_add_lshl_u32 v53, v10, v50, 2
	ds_bpermute_b32 v10, v53, v6
	v_cmp_le_u32_e32 vcc, v54, v5
	s_waitcnt lgkmcnt(0)
	v_cndmask_b32_e32 v10, 0, v10, vcc
	v_cmp_gt_u32_e32 vcc, 48, v14
	v_add_u32_e32 v6, v6, v10
	v_cndmask_b32_e64 v10, 0, 1, vcc
	v_lshlrev_b32_e32 v10, 4, v10
	v_add_lshl_u32 v56, v10, v50, 2
	ds_bpermute_b32 v10, v56, v6
	v_cmp_le_u32_e32 vcc, v57, v5
	;; [unrolled: 9-line block ×3, first 2 shown]
	s_waitcnt lgkmcnt(0)
	v_cndmask_b32_e32 v5, 0, v10, vcc
	v_add_u32_e32 v6, v6, v5
	v_mov_b32_e32 v5, 0
	s_branch .LBB1914_51
.LBB1914_50:                            ;   in Loop: Header=BB1914_51 Depth=1
	s_or_b64 exec, exec, s[38:39]
	v_cmp_eq_u16_sdwa s[38:39], v7, v3 src0_sel:BYTE_0 src1_sel:DWORD
	v_and_b32_e32 v10, s39, v9
	v_or_b32_e32 v10, 0x80000000, v10
	ds_bpermute_b32 v60, v15, v6
	v_and_b32_e32 v11, s38, v8
	v_ffbl_b32_e32 v10, v10
	v_add_u32_e32 v10, 32, v10
	v_ffbl_b32_e32 v11, v11
	v_min_u32_e32 v10, v11, v10
	v_cmp_lt_u32_e32 vcc, v14, v10
	s_waitcnt lgkmcnt(0)
	v_cndmask_b32_e32 v11, 0, v60, vcc
	v_add_u32_e32 v6, v11, v6
	ds_bpermute_b32 v11, v16, v6
	v_cmp_le_u32_e32 vcc, v17, v10
	v_subrev_u32_e32 v4, 64, v4
	s_waitcnt lgkmcnt(0)
	v_cndmask_b32_e32 v11, 0, v11, vcc
	v_add_u32_e32 v6, v6, v11
	ds_bpermute_b32 v11, v18, v6
	v_cmp_le_u32_e32 vcc, v19, v10
	s_waitcnt lgkmcnt(0)
	v_cndmask_b32_e32 v11, 0, v11, vcc
	v_add_u32_e32 v6, v6, v11
	ds_bpermute_b32 v11, v53, v6
	v_cmp_le_u32_e32 vcc, v54, v10
	;; [unrolled: 5-line block ×4, first 2 shown]
	s_waitcnt lgkmcnt(0)
	v_cndmask_b32_e32 v10, 0, v11, vcc
	v_add3_u32 v6, v10, v55, v6
.LBB1914_51:                            ; =>This Loop Header: Depth=1
                                        ;     Child Loop BB1914_54 Depth 2
	v_cmp_ne_u16_sdwa s[38:39], v7, v3 src0_sel:BYTE_0 src1_sel:DWORD
	v_cndmask_b32_e64 v7, 0, 1, s[38:39]
	;;#ASMSTART
	;;#ASMEND
	v_cmp_ne_u32_e32 vcc, 0, v7
	s_cmp_lg_u64 vcc, exec
	v_mov_b32_e32 v55, v6
	s_cbranch_scc1 .LBB1914_56
; %bb.52:                               ;   in Loop: Header=BB1914_51 Depth=1
	v_lshlrev_b64 v[6:7], 3, v[4:5]
	v_mov_b32_e32 v11, s35
	v_add_co_u32_e32 v10, vcc, s34, v6
	v_addc_co_u32_e32 v11, vcc, v11, v7, vcc
	global_load_dwordx2 v[6:7], v[10:11], off glc
	s_waitcnt vmcnt(0)
	v_cmp_eq_u16_sdwa s[40:41], v7, v5 src0_sel:BYTE_0 src1_sel:DWORD
	s_and_saveexec_b64 s[38:39], s[40:41]
	s_cbranch_execz .LBB1914_50
; %bb.53:                               ;   in Loop: Header=BB1914_51 Depth=1
	s_mov_b64 s[40:41], 0
.LBB1914_54:                            ;   Parent Loop BB1914_51 Depth=1
                                        ; =>  This Inner Loop Header: Depth=2
	global_load_dwordx2 v[6:7], v[10:11], off glc
	s_waitcnt vmcnt(0)
	v_cmp_ne_u16_sdwa s[44:45], v7, v5 src0_sel:BYTE_0 src1_sel:DWORD
	s_or_b64 s[40:41], s[44:45], s[40:41]
	s_andn2_b64 exec, exec, s[40:41]
	s_cbranch_execnz .LBB1914_54
; %bb.55:                               ;   in Loop: Header=BB1914_51 Depth=1
	s_or_b64 exec, exec, s[40:41]
	s_branch .LBB1914_50
.LBB1914_56:                            ;   in Loop: Header=BB1914_51 Depth=1
                                        ; implicit-def: $vgpr6
                                        ; implicit-def: $vgpr7
	s_cbranch_execz .LBB1914_51
; %bb.57:
	s_and_saveexec_b64 s[38:39], s[16:17]
	s_cbranch_execz .LBB1914_59
; %bb.58:
	s_add_i32 s6, s6, 64
	s_mov_b32 s7, 0
	s_lshl_b64 s[6:7], s[6:7], 3
	s_add_u32 s6, s34, s6
	v_add_u32_e32 v4, v55, v2
	v_mov_b32_e32 v5, 2
	s_addc_u32 s7, s35, s7
	v_mov_b32_e32 v3, 0
	global_store_dwordx2 v3, v[4:5], s[6:7]
	s_movk_i32 s6, 0x3400
	v_add_u32_e64 v3, s6, 0
	ds_write2_b32 v3, v2, v55 offset1:2
.LBB1914_59:
	s_or_b64 exec, exec, s[38:39]
	v_cmp_eq_u32_e32 vcc, 0, v0
	s_and_b64 exec, exec, vcc
	s_cbranch_execz .LBB1914_61
; %bb.60:
	v_mov_b32_e32 v2, 0
	ds_write_b32 v2, v55 offset:12
.LBB1914_61:
	s_or_b64 exec, exec, s[36:37]
	v_mov_b32_e32 v2, 0
	s_waitcnt lgkmcnt(0)
	s_barrier
	ds_read_b32 v2, v2 offset:12
	v_cndmask_b32_e64 v3, v13, v12, s[16:17]
	v_cmp_ne_u32_e32 vcc, 0, v0
	v_cndmask_b32_e32 v3, 0, v3, vcc
	s_movk_i32 s6, 0x3400
	s_waitcnt lgkmcnt(0)
	v_add_u32_e32 v2, v2, v3
	v_add_u32_e32 v3, v2, v41
	;; [unrolled: 1-line block ×8, first 2 shown]
	v_add_u32_e64 v12, s6, 0
	v_add_u32_e32 v10, v9, v39
	s_barrier
	ds_read2_b32 v[18:19], v12 offset1:2
	v_add_u32_e32 v11, v10, v47
	v_add_u32_e32 v12, v11, v48
	;; [unrolled: 1-line block ×4, first 2 shown]
	s_branch .LBB1914_72
.LBB1914_62:
                                        ; implicit-def: $vgpr19
                                        ; implicit-def: $vgpr2_vgpr3_vgpr4_vgpr5_vgpr6_vgpr7_vgpr8_vgpr9_vgpr10_vgpr11_vgpr12_vgpr13_vgpr14_vgpr15_vgpr16_vgpr17
	s_cbranch_execz .LBB1914_72
; %bb.63:
	s_nop 0
	v_mov_b32_dpp v2, v52 row_shr:1 row_mask:0xf bank_mask:0xf
	v_cndmask_b32_e64 v2, v2, 0, s[14:15]
	v_add_u32_e32 v2, v2, v52
	s_nop 1
	v_mov_b32_dpp v3, v2 row_shr:2 row_mask:0xf bank_mask:0xf
	v_cndmask_b32_e64 v3, 0, v3, s[12:13]
	v_add_u32_e32 v2, v2, v3
	s_nop 1
	v_mov_b32_dpp v3, v2 row_shr:4 row_mask:0xf bank_mask:0xf
	v_cndmask_b32_e64 v3, 0, v3, s[10:11]
	v_add_u32_e32 v2, v2, v3
	s_nop 1
	v_mov_b32_dpp v3, v2 row_shr:8 row_mask:0xf bank_mask:0xf
	v_cndmask_b32_e64 v3, 0, v3, s[8:9]
	v_add_u32_e32 v2, v2, v3
	s_nop 1
	v_mov_b32_dpp v3, v2 row_bcast:15 row_mask:0xf bank_mask:0xf
	v_cndmask_b32_e64 v3, v3, 0, s[18:19]
	v_add_u32_e32 v2, v2, v3
	s_nop 1
	v_mov_b32_dpp v3, v2 row_bcast:31 row_mask:0xf bank_mask:0xf
	v_cndmask_b32_e64 v3, 0, v3, s[2:3]
	v_add_u32_e32 v2, v2, v3
	s_and_saveexec_b64 s[2:3], s[4:5]
	s_cbranch_execz .LBB1914_65
; %bb.64:
	v_lshlrev_b32_e32 v3, 2, v51
	ds_write_b32 v3, v2
.LBB1914_65:
	s_or_b64 exec, exec, s[2:3]
	v_cmp_gt_u32_e32 vcc, 4, v0
	s_waitcnt lgkmcnt(0)
	s_barrier
	s_and_saveexec_b64 s[2:3], vcc
	s_cbranch_execz .LBB1914_67
; %bb.66:
	ds_read_b32 v3, v1
	v_and_b32_e32 v4, 3, v50
	v_cmp_ne_u32_e32 vcc, 0, v4
	s_waitcnt lgkmcnt(0)
	v_mov_b32_dpp v5, v3 row_shr:1 row_mask:0xf bank_mask:0xf
	v_cndmask_b32_e32 v5, 0, v5, vcc
	v_add_u32_e32 v3, v5, v3
	v_cmp_lt_u32_e32 vcc, 1, v4
	s_nop 0
	v_mov_b32_dpp v5, v3 row_shr:2 row_mask:0xf bank_mask:0xf
	v_cndmask_b32_e32 v4, 0, v5, vcc
	v_add_u32_e32 v3, v3, v4
	ds_write_b32 v1, v3
.LBB1914_67:
	s_or_b64 exec, exec, s[2:3]
	v_cmp_lt_u32_e32 vcc, 63, v0
	v_mov_b32_e32 v4, 0
	v_mov_b32_e32 v3, 0
	s_waitcnt lgkmcnt(0)
	s_barrier
	s_and_saveexec_b64 s[2:3], vcc
	s_cbranch_execz .LBB1914_69
; %bb.68:
	v_lshl_add_u32 v3, v51, 2, -4
	ds_read_b32 v3, v3
.LBB1914_69:
	s_or_b64 exec, exec, s[2:3]
	v_add_u32_e32 v5, -1, v50
	v_and_b32_e32 v6, 64, v50
	v_cmp_lt_i32_e32 vcc, v5, v6
	v_cndmask_b32_e32 v5, v5, v50, vcc
	s_waitcnt lgkmcnt(0)
	v_add_u32_e32 v2, v3, v2
	v_lshlrev_b32_e32 v5, 2, v5
	ds_bpermute_b32 v2, v5, v2
	ds_read_b32 v18, v4 offset:12
	v_cmp_eq_u32_e32 vcc, 0, v0
	s_and_saveexec_b64 s[2:3], vcc
	s_cbranch_execz .LBB1914_71
; %bb.70:
	v_mov_b32_e32 v4, 0
	v_mov_b32_e32 v19, 2
	s_waitcnt lgkmcnt(0)
	global_store_dwordx2 v4, v[18:19], s[34:35] offset:512
.LBB1914_71:
	s_or_b64 exec, exec, s[2:3]
	v_cmp_eq_u32_e64 s[2:3], 0, v50
	s_waitcnt lgkmcnt(1)
	v_cndmask_b32_e64 v2, v2, v3, s[2:3]
	v_cndmask_b32_e64 v2, v2, 0, vcc
	v_add_u32_e32 v3, v2, v41
	v_add_u32_e32 v4, v3, v42
	;; [unrolled: 1-line block ×11, first 2 shown]
	v_mov_b32_e32 v19, 0
	v_add_u32_e32 v14, v13, v38
	s_waitcnt lgkmcnt(0)
	s_barrier
.LBB1914_72:
	s_waitcnt lgkmcnt(0)
	v_add_u32_e32 v33, v18, v33
	v_sub_u32_e32 v2, v2, v19
	v_and_b32_e32 v42, 1, v37
	v_sub_u32_e32 v41, v33, v2
	v_cmp_eq_u32_e32 vcc, 1, v42
	v_cndmask_b32_e32 v2, v41, v2, vcc
	v_lshlrev_b32_e32 v2, 2, v2
	v_lshrrev_b32_e32 v17, 8, v37
	ds_write_b32 v2, v30
	v_sub_u32_e32 v2, v3, v19
	v_sub_u32_e32 v3, v33, v2
	v_and_b32_e32 v17, 1, v17
	v_add_u32_e32 v3, 1, v3
	v_cmp_eq_u32_e32 vcc, 1, v17
	v_cndmask_b32_e32 v2, v3, v2, vcc
	v_lshlrev_b32_e32 v2, 2, v2
	ds_write_b32 v2, v31
	v_sub_u32_e32 v2, v4, v19
	v_mov_b32_e32 v4, 1
	v_sub_u32_e32 v3, v33, v2
	v_and_b32_sdwa v17, v4, v37 dst_sel:DWORD dst_unused:UNUSED_PAD src0_sel:DWORD src1_sel:WORD_1
	v_add_u32_e32 v3, 2, v3
	v_cmp_eq_u32_e32 vcc, 1, v17
	v_cndmask_b32_e32 v2, v3, v2, vcc
	v_lshlrev_b32_e32 v2, 2, v2
	ds_write_b32 v2, v28
	v_sub_u32_e32 v2, v5, v19
	v_sub_u32_e32 v3, v33, v2
	v_and_b32_e32 v5, 1, v40
	v_add_u32_e32 v3, 3, v3
	v_cmp_eq_u32_e32 vcc, 1, v5
	v_cndmask_b32_e32 v2, v3, v2, vcc
	v_lshlrev_b32_e32 v2, 2, v2
	ds_write_b32 v2, v29
	v_sub_u32_e32 v2, v6, v19
	v_sub_u32_e32 v3, v33, v2
	v_and_b32_e32 v5, 1, v36
	v_add_u32_e32 v3, 4, v3
	v_cmp_eq_u32_e32 vcc, 1, v5
	v_cndmask_b32_e32 v2, v3, v2, vcc
	v_lshlrev_b32_e32 v2, 2, v2
	v_lshrrev_b32_e32 v16, 8, v36
	ds_write_b32 v2, v26
	v_sub_u32_e32 v2, v7, v19
	v_sub_u32_e32 v3, v33, v2
	v_and_b32_e32 v5, 1, v16
	v_add_u32_e32 v3, 5, v3
	v_cmp_eq_u32_e32 vcc, 1, v5
	v_cndmask_b32_e32 v2, v3, v2, vcc
	v_lshlrev_b32_e32 v2, 2, v2
	ds_write_b32 v2, v27
	v_sub_u32_e32 v2, v8, v19
	v_sub_u32_e32 v3, v33, v2
	v_and_b32_sdwa v5, v4, v36 dst_sel:DWORD dst_unused:UNUSED_PAD src0_sel:DWORD src1_sel:WORD_1
	v_add_u32_e32 v3, 6, v3
	v_cmp_eq_u32_e32 vcc, 1, v5
	v_cndmask_b32_e32 v2, v3, v2, vcc
	v_lshlrev_b32_e32 v2, 2, v2
	ds_write_b32 v2, v24
	v_sub_u32_e32 v2, v9, v19
	v_sub_u32_e32 v3, v33, v2
	v_and_b32_e32 v5, 1, v39
	v_add_u32_e32 v3, 7, v3
	v_cmp_eq_u32_e32 vcc, 1, v5
	v_cndmask_b32_e32 v2, v3, v2, vcc
	v_lshlrev_b32_e32 v2, 2, v2
	ds_write_b32 v2, v25
	v_sub_u32_e32 v2, v10, v19
	v_sub_u32_e32 v3, v33, v2
	v_and_b32_e32 v5, 1, v35
	v_add_u32_e32 v3, 8, v3
	v_cmp_eq_u32_e32 vcc, 1, v5
	v_cndmask_b32_e32 v2, v3, v2, vcc
	v_lshlrev_b32_e32 v2, 2, v2
	v_lshrrev_b32_e32 v15, 8, v35
	ds_write_b32 v2, v22
	v_sub_u32_e32 v2, v11, v19
	v_sub_u32_e32 v3, v33, v2
	v_and_b32_e32 v5, 1, v15
	v_add_u32_e32 v3, 9, v3
	v_cmp_eq_u32_e32 vcc, 1, v5
	v_cndmask_b32_e32 v2, v3, v2, vcc
	v_lshlrev_b32_e32 v2, 2, v2
	ds_write_b32 v2, v23
	v_sub_u32_e32 v2, v12, v19
	v_sub_u32_e32 v3, v33, v2
	v_and_b32_sdwa v4, v4, v35 dst_sel:DWORD dst_unused:UNUSED_PAD src0_sel:DWORD src1_sel:WORD_1
	v_add_u32_e32 v3, 10, v3
	v_cmp_eq_u32_e32 vcc, 1, v4
	v_cndmask_b32_e32 v2, v3, v2, vcc
	v_lshlrev_b32_e32 v2, 2, v2
	ds_write_b32 v2, v20
	v_sub_u32_e32 v2, v13, v19
	v_sub_u32_e32 v3, v33, v2
	v_and_b32_e32 v4, 1, v38
	v_add_u32_e32 v3, 11, v3
	v_cmp_eq_u32_e32 vcc, 1, v4
	v_cndmask_b32_e32 v2, v3, v2, vcc
	v_lshlrev_b32_e32 v2, 2, v2
	ds_write_b32 v2, v21
	v_sub_u32_e32 v2, v14, v19
	v_sub_u32_e32 v3, v33, v2
	v_and_b32_e32 v4, 1, v34
	v_add_u32_e32 v3, 12, v3
	v_cmp_eq_u32_e32 vcc, 1, v4
	v_cndmask_b32_e32 v2, v3, v2, vcc
	s_add_u32 s2, s28, s42
	v_lshlrev_b32_e32 v2, 2, v2
	s_addc_u32 s3, s29, 0
	ds_write_b32 v2, v32
	s_waitcnt lgkmcnt(0)
	s_barrier
	ds_read2st64_b32 v[12:13], v1 offset1:4
	ds_read2st64_b32 v[10:11], v1 offset0:8 offset1:12
	ds_read2st64_b32 v[8:9], v1 offset0:16 offset1:20
	;; [unrolled: 1-line block ×5, first 2 shown]
	ds_read_b32 v17, v1 offset:12288
	v_mov_b32_e32 v14, s31
	v_add_co_u32_e32 v1, vcc, s30, v19
	s_sub_u32 s2, s26, s2
	v_addc_co_u32_e32 v16, vcc, 0, v14, vcc
	s_subb_u32 s3, s27, s3
	v_mov_b32_e32 v14, s3
	v_add_co_u32_e32 v15, vcc, s2, v18
	v_addc_co_u32_e32 v14, vcc, 0, v14, vcc
	s_and_b64 vcc, exec, s[0:1]
	v_add_co_u32_e64 v19, s[0:1], v15, v1
	v_or_b32_e32 v32, 0x100, v0
	v_or_b32_e32 v31, 0x200, v0
	;; [unrolled: 1-line block ×12, first 2 shown]
	v_addc_co_u32_e64 v21, s[0:1], v14, v16, s[0:1]
	s_cbranch_vccnz .LBB1914_126
; %bb.73:
	v_cmp_ge_u32_e32 vcc, v0, v18
                                        ; implicit-def: $vgpr14_vgpr15
	s_and_saveexec_b64 s[0:1], vcc
	s_xor_b64 s[0:1], exec, s[0:1]
; %bb.74:
	v_not_b32_e32 v14, v0
	v_ashrrev_i32_e32 v15, 31, v14
	v_add_co_u32_e32 v14, vcc, v19, v14
	v_addc_co_u32_e32 v15, vcc, v21, v15, vcc
; %bb.75:
	s_andn2_saveexec_b64 s[0:1], s[0:1]
; %bb.76:
	v_add_co_u32_e32 v14, vcc, v1, v0
	v_addc_co_u32_e32 v15, vcc, 0, v16, vcc
; %bb.77:
	s_or_b64 exec, exec, s[0:1]
	v_lshlrev_b64 v[14:15], 2, v[14:15]
	v_mov_b32_e32 v33, s25
	v_add_co_u32_e32 v14, vcc, s24, v14
	v_addc_co_u32_e32 v15, vcc, v33, v15, vcc
	v_cmp_ge_u32_e32 vcc, v32, v18
	s_waitcnt lgkmcnt(6)
	global_store_dword v[14:15], v12, off
                                        ; implicit-def: $vgpr14_vgpr15
	s_and_saveexec_b64 s[0:1], vcc
	s_xor_b64 s[0:1], exec, s[0:1]
; %bb.78:
	v_xor_b32_e32 v14, 0xfffffeff, v0
	v_ashrrev_i32_e32 v15, 31, v14
	v_add_co_u32_e32 v14, vcc, v19, v14
	v_addc_co_u32_e32 v15, vcc, v21, v15, vcc
; %bb.79:
	s_andn2_saveexec_b64 s[0:1], s[0:1]
; %bb.80:
	v_add_co_u32_e32 v14, vcc, v1, v32
	v_addc_co_u32_e32 v15, vcc, 0, v16, vcc
; %bb.81:
	s_or_b64 exec, exec, s[0:1]
	v_lshlrev_b64 v[14:15], 2, v[14:15]
	v_mov_b32_e32 v33, s25
	v_add_co_u32_e32 v14, vcc, s24, v14
	v_addc_co_u32_e32 v15, vcc, v33, v15, vcc
	v_cmp_ge_u32_e32 vcc, v31, v18
	global_store_dword v[14:15], v13, off
                                        ; implicit-def: $vgpr14_vgpr15
	s_and_saveexec_b64 s[0:1], vcc
	s_xor_b64 s[0:1], exec, s[0:1]
; %bb.82:
	v_xor_b32_e32 v14, 0xfffffdff, v0
	v_ashrrev_i32_e32 v15, 31, v14
	v_add_co_u32_e32 v14, vcc, v19, v14
	v_addc_co_u32_e32 v15, vcc, v21, v15, vcc
; %bb.83:
	s_andn2_saveexec_b64 s[0:1], s[0:1]
; %bb.84:
	v_add_co_u32_e32 v14, vcc, v1, v31
	v_addc_co_u32_e32 v15, vcc, 0, v16, vcc
; %bb.85:
	s_or_b64 exec, exec, s[0:1]
	v_lshlrev_b64 v[14:15], 2, v[14:15]
	v_mov_b32_e32 v33, s25
	v_add_co_u32_e32 v14, vcc, s24, v14
	v_addc_co_u32_e32 v15, vcc, v33, v15, vcc
	v_cmp_ge_u32_e32 vcc, v30, v18
	s_waitcnt lgkmcnt(5)
	global_store_dword v[14:15], v10, off
                                        ; implicit-def: $vgpr14_vgpr15
	s_and_saveexec_b64 s[0:1], vcc
	s_xor_b64 s[0:1], exec, s[0:1]
; %bb.86:
	v_xor_b32_e32 v14, 0xfffffcff, v0
	v_ashrrev_i32_e32 v15, 31, v14
	v_add_co_u32_e32 v14, vcc, v19, v14
	v_addc_co_u32_e32 v15, vcc, v21, v15, vcc
; %bb.87:
	s_andn2_saveexec_b64 s[0:1], s[0:1]
; %bb.88:
	v_add_co_u32_e32 v14, vcc, v1, v30
	v_addc_co_u32_e32 v15, vcc, 0, v16, vcc
; %bb.89:
	s_or_b64 exec, exec, s[0:1]
	v_lshlrev_b64 v[14:15], 2, v[14:15]
	v_mov_b32_e32 v33, s25
	v_add_co_u32_e32 v14, vcc, s24, v14
	v_addc_co_u32_e32 v15, vcc, v33, v15, vcc
	v_cmp_ge_u32_e32 vcc, v29, v18
	global_store_dword v[14:15], v11, off
                                        ; implicit-def: $vgpr14_vgpr15
	s_and_saveexec_b64 s[0:1], vcc
	s_xor_b64 s[0:1], exec, s[0:1]
; %bb.90:
	v_xor_b32_e32 v14, 0xfffffbff, v0
	;; [unrolled: 43-line block ×6, first 2 shown]
	v_ashrrev_i32_e32 v15, 31, v14
	v_add_co_u32_e32 v14, vcc, v19, v14
	v_addc_co_u32_e32 v15, vcc, v21, v15, vcc
; %bb.123:
	s_andn2_saveexec_b64 s[0:1], s[0:1]
; %bb.124:
	v_add_co_u32_e32 v14, vcc, v1, v20
	v_addc_co_u32_e32 v15, vcc, 0, v16, vcc
; %bb.125:
	s_or_b64 exec, exec, s[0:1]
	s_mov_b64 s[0:1], -1
	s_branch .LBB1914_206
.LBB1914_126:
	s_mov_b64 s[0:1], 0
                                        ; implicit-def: $vgpr14_vgpr15
	s_cbranch_execz .LBB1914_206
; %bb.127:
	v_cmp_gt_u32_e32 vcc, s33, v0
	s_and_saveexec_b64 s[2:3], vcc
	s_cbranch_execz .LBB1914_163
; %bb.128:
	v_cmp_ge_u32_e32 vcc, v0, v18
                                        ; implicit-def: $vgpr14_vgpr15
	s_and_saveexec_b64 s[4:5], vcc
	s_xor_b64 s[4:5], exec, s[4:5]
; %bb.129:
	v_not_b32_e32 v14, v0
	v_ashrrev_i32_e32 v15, 31, v14
	v_add_co_u32_e32 v14, vcc, v19, v14
	v_addc_co_u32_e32 v15, vcc, v21, v15, vcc
; %bb.130:
	s_andn2_saveexec_b64 s[4:5], s[4:5]
; %bb.131:
	v_add_co_u32_e32 v14, vcc, v1, v0
	v_addc_co_u32_e32 v15, vcc, 0, v16, vcc
; %bb.132:
	s_or_b64 exec, exec, s[4:5]
	v_lshlrev_b64 v[14:15], 2, v[14:15]
	v_mov_b32_e32 v33, s25
	v_add_co_u32_e32 v14, vcc, s24, v14
	v_addc_co_u32_e32 v15, vcc, v33, v15, vcc
	s_waitcnt lgkmcnt(6)
	global_store_dword v[14:15], v12, off
	s_or_b64 exec, exec, s[2:3]
	v_cmp_gt_u32_e32 vcc, s33, v32
	s_and_saveexec_b64 s[2:3], vcc
	s_cbranch_execnz .LBB1914_164
.LBB1914_133:
	s_or_b64 exec, exec, s[2:3]
	v_cmp_gt_u32_e32 vcc, s33, v31
	s_and_saveexec_b64 s[2:3], vcc
	s_cbranch_execz .LBB1914_169
.LBB1914_134:
	v_cmp_ge_u32_e32 vcc, v31, v18
                                        ; implicit-def: $vgpr12_vgpr13
	s_and_saveexec_b64 s[4:5], vcc
	s_xor_b64 s[4:5], exec, s[4:5]
	s_cbranch_execz .LBB1914_136
; %bb.135:
	s_waitcnt lgkmcnt(6)
	v_xor_b32_e32 v12, 0xfffffdff, v0
	v_ashrrev_i32_e32 v13, 31, v12
	v_add_co_u32_e32 v12, vcc, v19, v12
	v_addc_co_u32_e32 v13, vcc, v21, v13, vcc
                                        ; implicit-def: $vgpr31
.LBB1914_136:
	s_andn2_saveexec_b64 s[4:5], s[4:5]
	s_cbranch_execz .LBB1914_138
; %bb.137:
	s_waitcnt lgkmcnt(6)
	v_add_co_u32_e32 v12, vcc, v1, v31
	v_addc_co_u32_e32 v13, vcc, 0, v16, vcc
.LBB1914_138:
	s_or_b64 exec, exec, s[4:5]
	s_waitcnt lgkmcnt(6)
	v_lshlrev_b64 v[12:13], 2, v[12:13]
	v_mov_b32_e32 v14, s25
	v_add_co_u32_e32 v12, vcc, s24, v12
	v_addc_co_u32_e32 v13, vcc, v14, v13, vcc
	s_waitcnt lgkmcnt(5)
	global_store_dword v[12:13], v10, off
	s_or_b64 exec, exec, s[2:3]
	v_cmp_gt_u32_e32 vcc, s33, v30
	s_and_saveexec_b64 s[2:3], vcc
	s_cbranch_execnz .LBB1914_170
.LBB1914_139:
	s_or_b64 exec, exec, s[2:3]
	v_cmp_gt_u32_e32 vcc, s33, v29
	s_and_saveexec_b64 s[2:3], vcc
	s_cbranch_execz .LBB1914_175
.LBB1914_140:
	v_cmp_ge_u32_e32 vcc, v29, v18
                                        ; implicit-def: $vgpr10_vgpr11
	s_and_saveexec_b64 s[4:5], vcc
	s_xor_b64 s[4:5], exec, s[4:5]
	s_cbranch_execz .LBB1914_142
; %bb.141:
	s_waitcnt lgkmcnt(5)
	v_xor_b32_e32 v10, 0xfffffbff, v0
	v_ashrrev_i32_e32 v11, 31, v10
	v_add_co_u32_e32 v10, vcc, v19, v10
	v_addc_co_u32_e32 v11, vcc, v21, v11, vcc
                                        ; implicit-def: $vgpr29
.LBB1914_142:
	s_andn2_saveexec_b64 s[4:5], s[4:5]
	s_cbranch_execz .LBB1914_144
; %bb.143:
	s_waitcnt lgkmcnt(5)
	v_add_co_u32_e32 v10, vcc, v1, v29
	v_addc_co_u32_e32 v11, vcc, 0, v16, vcc
.LBB1914_144:
	s_or_b64 exec, exec, s[4:5]
	s_waitcnt lgkmcnt(5)
	v_lshlrev_b64 v[10:11], 2, v[10:11]
	v_mov_b32_e32 v12, s25
	v_add_co_u32_e32 v10, vcc, s24, v10
	v_addc_co_u32_e32 v11, vcc, v12, v11, vcc
	s_waitcnt lgkmcnt(4)
	global_store_dword v[10:11], v8, off
	s_or_b64 exec, exec, s[2:3]
	v_cmp_gt_u32_e32 vcc, s33, v28
	s_and_saveexec_b64 s[2:3], vcc
	s_cbranch_execnz .LBB1914_176
.LBB1914_145:
	s_or_b64 exec, exec, s[2:3]
	v_cmp_gt_u32_e32 vcc, s33, v27
	s_and_saveexec_b64 s[2:3], vcc
	s_cbranch_execz .LBB1914_181
.LBB1914_146:
	v_cmp_ge_u32_e32 vcc, v27, v18
                                        ; implicit-def: $vgpr8_vgpr9
	s_and_saveexec_b64 s[4:5], vcc
	s_xor_b64 s[4:5], exec, s[4:5]
	s_cbranch_execz .LBB1914_148
; %bb.147:
	s_waitcnt lgkmcnt(4)
	v_xor_b32_e32 v8, 0xfffff9ff, v0
	v_ashrrev_i32_e32 v9, 31, v8
	v_add_co_u32_e32 v8, vcc, v19, v8
	v_addc_co_u32_e32 v9, vcc, v21, v9, vcc
                                        ; implicit-def: $vgpr27
.LBB1914_148:
	s_andn2_saveexec_b64 s[4:5], s[4:5]
	s_cbranch_execz .LBB1914_150
; %bb.149:
	s_waitcnt lgkmcnt(4)
	v_add_co_u32_e32 v8, vcc, v1, v27
	v_addc_co_u32_e32 v9, vcc, 0, v16, vcc
.LBB1914_150:
	s_or_b64 exec, exec, s[4:5]
	s_waitcnt lgkmcnt(4)
	v_lshlrev_b64 v[8:9], 2, v[8:9]
	v_mov_b32_e32 v10, s25
	v_add_co_u32_e32 v8, vcc, s24, v8
	v_addc_co_u32_e32 v9, vcc, v10, v9, vcc
	s_waitcnt lgkmcnt(3)
	global_store_dword v[8:9], v6, off
	s_or_b64 exec, exec, s[2:3]
	v_cmp_gt_u32_e32 vcc, s33, v26
	s_and_saveexec_b64 s[2:3], vcc
	s_cbranch_execnz .LBB1914_182
.LBB1914_151:
	s_or_b64 exec, exec, s[2:3]
	v_cmp_gt_u32_e32 vcc, s33, v25
	s_and_saveexec_b64 s[2:3], vcc
	s_cbranch_execz .LBB1914_187
.LBB1914_152:
	v_cmp_ge_u32_e32 vcc, v25, v18
                                        ; implicit-def: $vgpr6_vgpr7
	s_and_saveexec_b64 s[4:5], vcc
	s_xor_b64 s[4:5], exec, s[4:5]
	s_cbranch_execz .LBB1914_154
; %bb.153:
	s_waitcnt lgkmcnt(3)
	v_xor_b32_e32 v6, 0xfffff7ff, v0
	v_ashrrev_i32_e32 v7, 31, v6
	v_add_co_u32_e32 v6, vcc, v19, v6
	v_addc_co_u32_e32 v7, vcc, v21, v7, vcc
                                        ; implicit-def: $vgpr25
.LBB1914_154:
	s_andn2_saveexec_b64 s[4:5], s[4:5]
	s_cbranch_execz .LBB1914_156
; %bb.155:
	s_waitcnt lgkmcnt(3)
	v_add_co_u32_e32 v6, vcc, v1, v25
	v_addc_co_u32_e32 v7, vcc, 0, v16, vcc
.LBB1914_156:
	s_or_b64 exec, exec, s[4:5]
	s_waitcnt lgkmcnt(3)
	v_lshlrev_b64 v[6:7], 2, v[6:7]
	v_mov_b32_e32 v8, s25
	v_add_co_u32_e32 v6, vcc, s24, v6
	v_addc_co_u32_e32 v7, vcc, v8, v7, vcc
	s_waitcnt lgkmcnt(2)
	global_store_dword v[6:7], v4, off
	s_or_b64 exec, exec, s[2:3]
	v_cmp_gt_u32_e32 vcc, s33, v24
	s_and_saveexec_b64 s[2:3], vcc
	s_cbranch_execnz .LBB1914_188
.LBB1914_157:
	s_or_b64 exec, exec, s[2:3]
	v_cmp_gt_u32_e32 vcc, s33, v23
	s_and_saveexec_b64 s[2:3], vcc
	s_cbranch_execz .LBB1914_193
.LBB1914_158:
	v_cmp_ge_u32_e32 vcc, v23, v18
                                        ; implicit-def: $vgpr4_vgpr5
	s_and_saveexec_b64 s[4:5], vcc
	s_xor_b64 s[4:5], exec, s[4:5]
	s_cbranch_execz .LBB1914_160
; %bb.159:
	s_waitcnt lgkmcnt(2)
	v_xor_b32_e32 v4, 0xfffff5ff, v0
	v_ashrrev_i32_e32 v5, 31, v4
	v_add_co_u32_e32 v4, vcc, v19, v4
	v_addc_co_u32_e32 v5, vcc, v21, v5, vcc
                                        ; implicit-def: $vgpr23
.LBB1914_160:
	s_andn2_saveexec_b64 s[4:5], s[4:5]
	s_cbranch_execz .LBB1914_162
; %bb.161:
	s_waitcnt lgkmcnt(2)
	v_add_co_u32_e32 v4, vcc, v1, v23
	v_addc_co_u32_e32 v5, vcc, 0, v16, vcc
.LBB1914_162:
	s_or_b64 exec, exec, s[4:5]
	s_waitcnt lgkmcnt(2)
	v_lshlrev_b64 v[4:5], 2, v[4:5]
	v_mov_b32_e32 v6, s25
	v_add_co_u32_e32 v4, vcc, s24, v4
	v_addc_co_u32_e32 v5, vcc, v6, v5, vcc
	s_waitcnt lgkmcnt(1)
	global_store_dword v[4:5], v2, off
	s_or_b64 exec, exec, s[2:3]
	v_cmp_gt_u32_e32 vcc, s33, v22
	s_and_saveexec_b64 s[2:3], vcc
	s_cbranch_execz .LBB1914_199
	s_branch .LBB1914_194
.LBB1914_163:
	s_or_b64 exec, exec, s[2:3]
	v_cmp_gt_u32_e32 vcc, s33, v32
	s_and_saveexec_b64 s[2:3], vcc
	s_cbranch_execz .LBB1914_133
.LBB1914_164:
	v_cmp_ge_u32_e32 vcc, v32, v18
                                        ; implicit-def: $vgpr14_vgpr15
	s_and_saveexec_b64 s[4:5], vcc
	s_xor_b64 s[4:5], exec, s[4:5]
	s_cbranch_execz .LBB1914_166
; %bb.165:
	s_waitcnt lgkmcnt(6)
	v_xor_b32_e32 v12, 0xfffffeff, v0
	v_ashrrev_i32_e32 v15, 31, v12
	v_add_co_u32_e32 v14, vcc, v19, v12
	v_addc_co_u32_e32 v15, vcc, v21, v15, vcc
                                        ; implicit-def: $vgpr32
.LBB1914_166:
	s_andn2_saveexec_b64 s[4:5], s[4:5]
; %bb.167:
	v_add_co_u32_e32 v14, vcc, v1, v32
	v_addc_co_u32_e32 v15, vcc, 0, v16, vcc
; %bb.168:
	s_or_b64 exec, exec, s[4:5]
	v_lshlrev_b64 v[14:15], 2, v[14:15]
	s_waitcnt lgkmcnt(6)
	v_mov_b32_e32 v12, s25
	v_add_co_u32_e32 v14, vcc, s24, v14
	v_addc_co_u32_e32 v15, vcc, v12, v15, vcc
	global_store_dword v[14:15], v13, off
	s_or_b64 exec, exec, s[2:3]
	v_cmp_gt_u32_e32 vcc, s33, v31
	s_and_saveexec_b64 s[2:3], vcc
	s_cbranch_execnz .LBB1914_134
.LBB1914_169:
	s_or_b64 exec, exec, s[2:3]
	v_cmp_gt_u32_e32 vcc, s33, v30
	s_and_saveexec_b64 s[2:3], vcc
	s_cbranch_execz .LBB1914_139
.LBB1914_170:
	v_cmp_ge_u32_e32 vcc, v30, v18
                                        ; implicit-def: $vgpr12_vgpr13
	s_and_saveexec_b64 s[4:5], vcc
	s_xor_b64 s[4:5], exec, s[4:5]
	s_cbranch_execz .LBB1914_172
; %bb.171:
	s_waitcnt lgkmcnt(5)
	v_xor_b32_e32 v10, 0xfffffcff, v0
	v_ashrrev_i32_e32 v13, 31, v10
	v_add_co_u32_e32 v12, vcc, v19, v10
	v_addc_co_u32_e32 v13, vcc, v21, v13, vcc
                                        ; implicit-def: $vgpr30
.LBB1914_172:
	s_andn2_saveexec_b64 s[4:5], s[4:5]
	s_cbranch_execz .LBB1914_174
; %bb.173:
	s_waitcnt lgkmcnt(6)
	v_add_co_u32_e32 v12, vcc, v1, v30
	v_addc_co_u32_e32 v13, vcc, 0, v16, vcc
.LBB1914_174:
	s_or_b64 exec, exec, s[4:5]
	s_waitcnt lgkmcnt(6)
	v_lshlrev_b64 v[12:13], 2, v[12:13]
	s_waitcnt lgkmcnt(5)
	v_mov_b32_e32 v10, s25
	v_add_co_u32_e32 v12, vcc, s24, v12
	v_addc_co_u32_e32 v13, vcc, v10, v13, vcc
	global_store_dword v[12:13], v11, off
	s_or_b64 exec, exec, s[2:3]
	v_cmp_gt_u32_e32 vcc, s33, v29
	s_and_saveexec_b64 s[2:3], vcc
	s_cbranch_execnz .LBB1914_140
.LBB1914_175:
	s_or_b64 exec, exec, s[2:3]
	v_cmp_gt_u32_e32 vcc, s33, v28
	s_and_saveexec_b64 s[2:3], vcc
	s_cbranch_execz .LBB1914_145
.LBB1914_176:
	v_cmp_ge_u32_e32 vcc, v28, v18
                                        ; implicit-def: $vgpr10_vgpr11
	s_and_saveexec_b64 s[4:5], vcc
	s_xor_b64 s[4:5], exec, s[4:5]
	s_cbranch_execz .LBB1914_178
; %bb.177:
	s_waitcnt lgkmcnt(4)
	v_xor_b32_e32 v8, 0xfffffaff, v0
	v_ashrrev_i32_e32 v11, 31, v8
	v_add_co_u32_e32 v10, vcc, v19, v8
	v_addc_co_u32_e32 v11, vcc, v21, v11, vcc
                                        ; implicit-def: $vgpr28
.LBB1914_178:
	s_andn2_saveexec_b64 s[4:5], s[4:5]
	s_cbranch_execz .LBB1914_180
; %bb.179:
	s_waitcnt lgkmcnt(5)
	v_add_co_u32_e32 v10, vcc, v1, v28
	v_addc_co_u32_e32 v11, vcc, 0, v16, vcc
.LBB1914_180:
	s_or_b64 exec, exec, s[4:5]
	s_waitcnt lgkmcnt(5)
	v_lshlrev_b64 v[10:11], 2, v[10:11]
	s_waitcnt lgkmcnt(4)
	v_mov_b32_e32 v8, s25
	v_add_co_u32_e32 v10, vcc, s24, v10
	v_addc_co_u32_e32 v11, vcc, v8, v11, vcc
	global_store_dword v[10:11], v9, off
	s_or_b64 exec, exec, s[2:3]
	v_cmp_gt_u32_e32 vcc, s33, v27
	s_and_saveexec_b64 s[2:3], vcc
	s_cbranch_execnz .LBB1914_146
.LBB1914_181:
	s_or_b64 exec, exec, s[2:3]
	v_cmp_gt_u32_e32 vcc, s33, v26
	s_and_saveexec_b64 s[2:3], vcc
	s_cbranch_execz .LBB1914_151
.LBB1914_182:
	v_cmp_ge_u32_e32 vcc, v26, v18
                                        ; implicit-def: $vgpr8_vgpr9
	s_and_saveexec_b64 s[4:5], vcc
	s_xor_b64 s[4:5], exec, s[4:5]
	s_cbranch_execz .LBB1914_184
; %bb.183:
	s_waitcnt lgkmcnt(3)
	v_xor_b32_e32 v6, 0xfffff8ff, v0
	v_ashrrev_i32_e32 v9, 31, v6
	v_add_co_u32_e32 v8, vcc, v19, v6
	v_addc_co_u32_e32 v9, vcc, v21, v9, vcc
                                        ; implicit-def: $vgpr26
.LBB1914_184:
	s_andn2_saveexec_b64 s[4:5], s[4:5]
	s_cbranch_execz .LBB1914_186
; %bb.185:
	s_waitcnt lgkmcnt(4)
	v_add_co_u32_e32 v8, vcc, v1, v26
	v_addc_co_u32_e32 v9, vcc, 0, v16, vcc
.LBB1914_186:
	s_or_b64 exec, exec, s[4:5]
	s_waitcnt lgkmcnt(4)
	v_lshlrev_b64 v[8:9], 2, v[8:9]
	s_waitcnt lgkmcnt(3)
	v_mov_b32_e32 v6, s25
	v_add_co_u32_e32 v8, vcc, s24, v8
	v_addc_co_u32_e32 v9, vcc, v6, v9, vcc
	global_store_dword v[8:9], v7, off
	s_or_b64 exec, exec, s[2:3]
	v_cmp_gt_u32_e32 vcc, s33, v25
	s_and_saveexec_b64 s[2:3], vcc
	s_cbranch_execnz .LBB1914_152
.LBB1914_187:
	s_or_b64 exec, exec, s[2:3]
	v_cmp_gt_u32_e32 vcc, s33, v24
	s_and_saveexec_b64 s[2:3], vcc
	s_cbranch_execz .LBB1914_157
.LBB1914_188:
	v_cmp_ge_u32_e32 vcc, v24, v18
                                        ; implicit-def: $vgpr6_vgpr7
	s_and_saveexec_b64 s[4:5], vcc
	s_xor_b64 s[4:5], exec, s[4:5]
	s_cbranch_execz .LBB1914_190
; %bb.189:
	s_waitcnt lgkmcnt(2)
	v_xor_b32_e32 v4, 0xfffff6ff, v0
	v_ashrrev_i32_e32 v7, 31, v4
	v_add_co_u32_e32 v6, vcc, v19, v4
	v_addc_co_u32_e32 v7, vcc, v21, v7, vcc
                                        ; implicit-def: $vgpr24
.LBB1914_190:
	s_andn2_saveexec_b64 s[4:5], s[4:5]
	s_cbranch_execz .LBB1914_192
; %bb.191:
	s_waitcnt lgkmcnt(3)
	v_add_co_u32_e32 v6, vcc, v1, v24
	v_addc_co_u32_e32 v7, vcc, 0, v16, vcc
.LBB1914_192:
	s_or_b64 exec, exec, s[4:5]
	s_waitcnt lgkmcnt(3)
	v_lshlrev_b64 v[6:7], 2, v[6:7]
	s_waitcnt lgkmcnt(2)
	v_mov_b32_e32 v4, s25
	v_add_co_u32_e32 v6, vcc, s24, v6
	v_addc_co_u32_e32 v7, vcc, v4, v7, vcc
	global_store_dword v[6:7], v5, off
	s_or_b64 exec, exec, s[2:3]
	v_cmp_gt_u32_e32 vcc, s33, v23
	s_and_saveexec_b64 s[2:3], vcc
	s_cbranch_execnz .LBB1914_158
.LBB1914_193:
	s_or_b64 exec, exec, s[2:3]
	v_cmp_gt_u32_e32 vcc, s33, v22
	s_and_saveexec_b64 s[2:3], vcc
	s_cbranch_execz .LBB1914_199
.LBB1914_194:
	v_cmp_ge_u32_e32 vcc, v22, v18
                                        ; implicit-def: $vgpr4_vgpr5
	s_and_saveexec_b64 s[4:5], vcc
	s_xor_b64 s[4:5], exec, s[4:5]
	s_cbranch_execz .LBB1914_196
; %bb.195:
	s_waitcnt lgkmcnt(1)
	v_xor_b32_e32 v2, 0xfffff4ff, v0
	v_ashrrev_i32_e32 v5, 31, v2
	v_add_co_u32_e32 v4, vcc, v19, v2
	v_addc_co_u32_e32 v5, vcc, v21, v5, vcc
                                        ; implicit-def: $vgpr22
.LBB1914_196:
	s_andn2_saveexec_b64 s[4:5], s[4:5]
	s_cbranch_execz .LBB1914_198
; %bb.197:
	s_waitcnt lgkmcnt(2)
	v_add_co_u32_e32 v4, vcc, v1, v22
	v_addc_co_u32_e32 v5, vcc, 0, v16, vcc
.LBB1914_198:
	s_or_b64 exec, exec, s[4:5]
	s_waitcnt lgkmcnt(2)
	v_lshlrev_b64 v[4:5], 2, v[4:5]
	s_waitcnt lgkmcnt(1)
	v_mov_b32_e32 v2, s25
	v_add_co_u32_e32 v4, vcc, s24, v4
	v_addc_co_u32_e32 v5, vcc, v2, v5, vcc
	global_store_dword v[4:5], v3, off
.LBB1914_199:
	s_or_b64 exec, exec, s[2:3]
	v_cmp_gt_u32_e32 vcc, s33, v20
                                        ; implicit-def: $vgpr14_vgpr15
	s_and_saveexec_b64 s[2:3], vcc
	s_cbranch_execz .LBB1914_205
; %bb.200:
	v_cmp_ge_u32_e32 vcc, v20, v18
                                        ; implicit-def: $vgpr14_vgpr15
	s_and_saveexec_b64 s[4:5], vcc
	s_xor_b64 s[4:5], exec, s[4:5]
	s_cbranch_execz .LBB1914_202
; %bb.201:
	s_waitcnt lgkmcnt(1)
	v_xor_b32_e32 v2, 0xfffff3ff, v0
	v_ashrrev_i32_e32 v3, 31, v2
	v_add_co_u32_e32 v14, vcc, v19, v2
	v_addc_co_u32_e32 v15, vcc, v21, v3, vcc
                                        ; implicit-def: $vgpr20
.LBB1914_202:
	s_andn2_saveexec_b64 s[4:5], s[4:5]
; %bb.203:
	v_add_co_u32_e32 v14, vcc, v1, v20
	v_addc_co_u32_e32 v15, vcc, 0, v16, vcc
; %bb.204:
	s_or_b64 exec, exec, s[4:5]
	s_or_b64 s[0:1], s[0:1], exec
.LBB1914_205:
	s_or_b64 exec, exec, s[2:3]
.LBB1914_206:
	s_and_saveexec_b64 s[2:3], s[0:1]
	s_cbranch_execz .LBB1914_208
; %bb.207:
	s_waitcnt lgkmcnt(1)
	v_lshlrev_b64 v[2:3], 2, v[14:15]
	v_mov_b32_e32 v4, s25
	v_add_co_u32_e32 v2, vcc, s24, v2
	v_addc_co_u32_e32 v3, vcc, v4, v3, vcc
	s_waitcnt lgkmcnt(0)
	global_store_dword v[2:3], v17, off
.LBB1914_208:
	s_or_b64 exec, exec, s[2:3]
	v_cmp_eq_u32_e32 vcc, 0, v0
	s_and_b64 s[0:1], vcc, s[22:23]
	s_and_saveexec_b64 s[2:3], s[0:1]
	s_cbranch_execz .LBB1914_210
; %bb.209:
	v_add_co_u32_e32 v0, vcc, v1, v18
	s_waitcnt lgkmcnt(1)
	v_mov_b32_e32 v2, 0
	v_addc_co_u32_e32 v1, vcc, 0, v16, vcc
	global_store_dwordx2 v2, v[0:1], s[20:21]
.LBB1914_210:
	s_endpgm
	.section	.rodata,"a",@progbits
	.p2align	6, 0x0
	.amdhsa_kernel _ZN7rocprim17ROCPRIM_400000_NS6detail17trampoline_kernelINS0_13select_configILj256ELj13ELNS0_17block_load_methodE3ELS4_3ELS4_3ELNS0_20block_scan_algorithmE0ELj4294967295EEENS1_25partition_config_selectorILNS1_17partition_subalgoE3EjNS0_10empty_typeEbEEZZNS1_14partition_implILS8_3ELb0ES6_jNS0_17counting_iteratorIjlEEPS9_SE_NS0_5tupleIJPjSE_EEENSF_IJSE_SE_EEES9_SG_JZNS1_25segmented_radix_sort_implINS0_14default_configELb1EPK12hip_bfloat16PSL_PKlPlN2at6native12_GLOBAL__N_18offset_tEEE10hipError_tPvRmT1_PNSt15iterator_traitsISZ_E10value_typeET2_T3_PNS10_IS15_E10value_typeET4_jRbjT5_S1B_jjP12ihipStream_tbEUljE_EEESW_SX_SY_S15_S19_S1B_T6_T7_T9_mT8_S1D_bDpT10_ENKUlT_T0_E_clISt17integral_constantIbLb0EES1Q_EEDaS1L_S1M_EUlS1L_E_NS1_11comp_targetILNS1_3genE4ELNS1_11target_archE910ELNS1_3gpuE8ELNS1_3repE0EEENS1_30default_config_static_selectorELNS0_4arch9wavefront6targetE1EEEvSZ_
		.amdhsa_group_segment_fixed_size 13324
		.amdhsa_private_segment_fixed_size 0
		.amdhsa_kernarg_size 144
		.amdhsa_user_sgpr_count 6
		.amdhsa_user_sgpr_private_segment_buffer 1
		.amdhsa_user_sgpr_dispatch_ptr 0
		.amdhsa_user_sgpr_queue_ptr 0
		.amdhsa_user_sgpr_kernarg_segment_ptr 1
		.amdhsa_user_sgpr_dispatch_id 0
		.amdhsa_user_sgpr_flat_scratch_init 0
		.amdhsa_user_sgpr_kernarg_preload_length 0
		.amdhsa_user_sgpr_kernarg_preload_offset 0
		.amdhsa_user_sgpr_private_segment_size 0
		.amdhsa_uses_dynamic_stack 0
		.amdhsa_system_sgpr_private_segment_wavefront_offset 0
		.amdhsa_system_sgpr_workgroup_id_x 1
		.amdhsa_system_sgpr_workgroup_id_y 0
		.amdhsa_system_sgpr_workgroup_id_z 0
		.amdhsa_system_sgpr_workgroup_info 0
		.amdhsa_system_vgpr_workitem_id 0
		.amdhsa_next_free_vgpr 61
		.amdhsa_next_free_sgpr 46
		.amdhsa_accum_offset 64
		.amdhsa_reserve_vcc 1
		.amdhsa_reserve_flat_scratch 0
		.amdhsa_float_round_mode_32 0
		.amdhsa_float_round_mode_16_64 0
		.amdhsa_float_denorm_mode_32 3
		.amdhsa_float_denorm_mode_16_64 3
		.amdhsa_dx10_clamp 1
		.amdhsa_ieee_mode 1
		.amdhsa_fp16_overflow 0
		.amdhsa_tg_split 0
		.amdhsa_exception_fp_ieee_invalid_op 0
		.amdhsa_exception_fp_denorm_src 0
		.amdhsa_exception_fp_ieee_div_zero 0
		.amdhsa_exception_fp_ieee_overflow 0
		.amdhsa_exception_fp_ieee_underflow 0
		.amdhsa_exception_fp_ieee_inexact 0
		.amdhsa_exception_int_div_zero 0
	.end_amdhsa_kernel
	.section	.text._ZN7rocprim17ROCPRIM_400000_NS6detail17trampoline_kernelINS0_13select_configILj256ELj13ELNS0_17block_load_methodE3ELS4_3ELS4_3ELNS0_20block_scan_algorithmE0ELj4294967295EEENS1_25partition_config_selectorILNS1_17partition_subalgoE3EjNS0_10empty_typeEbEEZZNS1_14partition_implILS8_3ELb0ES6_jNS0_17counting_iteratorIjlEEPS9_SE_NS0_5tupleIJPjSE_EEENSF_IJSE_SE_EEES9_SG_JZNS1_25segmented_radix_sort_implINS0_14default_configELb1EPK12hip_bfloat16PSL_PKlPlN2at6native12_GLOBAL__N_18offset_tEEE10hipError_tPvRmT1_PNSt15iterator_traitsISZ_E10value_typeET2_T3_PNS10_IS15_E10value_typeET4_jRbjT5_S1B_jjP12ihipStream_tbEUljE_EEESW_SX_SY_S15_S19_S1B_T6_T7_T9_mT8_S1D_bDpT10_ENKUlT_T0_E_clISt17integral_constantIbLb0EES1Q_EEDaS1L_S1M_EUlS1L_E_NS1_11comp_targetILNS1_3genE4ELNS1_11target_archE910ELNS1_3gpuE8ELNS1_3repE0EEENS1_30default_config_static_selectorELNS0_4arch9wavefront6targetE1EEEvSZ_,"axG",@progbits,_ZN7rocprim17ROCPRIM_400000_NS6detail17trampoline_kernelINS0_13select_configILj256ELj13ELNS0_17block_load_methodE3ELS4_3ELS4_3ELNS0_20block_scan_algorithmE0ELj4294967295EEENS1_25partition_config_selectorILNS1_17partition_subalgoE3EjNS0_10empty_typeEbEEZZNS1_14partition_implILS8_3ELb0ES6_jNS0_17counting_iteratorIjlEEPS9_SE_NS0_5tupleIJPjSE_EEENSF_IJSE_SE_EEES9_SG_JZNS1_25segmented_radix_sort_implINS0_14default_configELb1EPK12hip_bfloat16PSL_PKlPlN2at6native12_GLOBAL__N_18offset_tEEE10hipError_tPvRmT1_PNSt15iterator_traitsISZ_E10value_typeET2_T3_PNS10_IS15_E10value_typeET4_jRbjT5_S1B_jjP12ihipStream_tbEUljE_EEESW_SX_SY_S15_S19_S1B_T6_T7_T9_mT8_S1D_bDpT10_ENKUlT_T0_E_clISt17integral_constantIbLb0EES1Q_EEDaS1L_S1M_EUlS1L_E_NS1_11comp_targetILNS1_3genE4ELNS1_11target_archE910ELNS1_3gpuE8ELNS1_3repE0EEENS1_30default_config_static_selectorELNS0_4arch9wavefront6targetE1EEEvSZ_,comdat
.Lfunc_end1914:
	.size	_ZN7rocprim17ROCPRIM_400000_NS6detail17trampoline_kernelINS0_13select_configILj256ELj13ELNS0_17block_load_methodE3ELS4_3ELS4_3ELNS0_20block_scan_algorithmE0ELj4294967295EEENS1_25partition_config_selectorILNS1_17partition_subalgoE3EjNS0_10empty_typeEbEEZZNS1_14partition_implILS8_3ELb0ES6_jNS0_17counting_iteratorIjlEEPS9_SE_NS0_5tupleIJPjSE_EEENSF_IJSE_SE_EEES9_SG_JZNS1_25segmented_radix_sort_implINS0_14default_configELb1EPK12hip_bfloat16PSL_PKlPlN2at6native12_GLOBAL__N_18offset_tEEE10hipError_tPvRmT1_PNSt15iterator_traitsISZ_E10value_typeET2_T3_PNS10_IS15_E10value_typeET4_jRbjT5_S1B_jjP12ihipStream_tbEUljE_EEESW_SX_SY_S15_S19_S1B_T6_T7_T9_mT8_S1D_bDpT10_ENKUlT_T0_E_clISt17integral_constantIbLb0EES1Q_EEDaS1L_S1M_EUlS1L_E_NS1_11comp_targetILNS1_3genE4ELNS1_11target_archE910ELNS1_3gpuE8ELNS1_3repE0EEENS1_30default_config_static_selectorELNS0_4arch9wavefront6targetE1EEEvSZ_, .Lfunc_end1914-_ZN7rocprim17ROCPRIM_400000_NS6detail17trampoline_kernelINS0_13select_configILj256ELj13ELNS0_17block_load_methodE3ELS4_3ELS4_3ELNS0_20block_scan_algorithmE0ELj4294967295EEENS1_25partition_config_selectorILNS1_17partition_subalgoE3EjNS0_10empty_typeEbEEZZNS1_14partition_implILS8_3ELb0ES6_jNS0_17counting_iteratorIjlEEPS9_SE_NS0_5tupleIJPjSE_EEENSF_IJSE_SE_EEES9_SG_JZNS1_25segmented_radix_sort_implINS0_14default_configELb1EPK12hip_bfloat16PSL_PKlPlN2at6native12_GLOBAL__N_18offset_tEEE10hipError_tPvRmT1_PNSt15iterator_traitsISZ_E10value_typeET2_T3_PNS10_IS15_E10value_typeET4_jRbjT5_S1B_jjP12ihipStream_tbEUljE_EEESW_SX_SY_S15_S19_S1B_T6_T7_T9_mT8_S1D_bDpT10_ENKUlT_T0_E_clISt17integral_constantIbLb0EES1Q_EEDaS1L_S1M_EUlS1L_E_NS1_11comp_targetILNS1_3genE4ELNS1_11target_archE910ELNS1_3gpuE8ELNS1_3repE0EEENS1_30default_config_static_selectorELNS0_4arch9wavefront6targetE1EEEvSZ_
                                        ; -- End function
	.section	.AMDGPU.csdata,"",@progbits
; Kernel info:
; codeLenInByte = 7676
; NumSgprs: 50
; NumVgprs: 61
; NumAgprs: 0
; TotalNumVgprs: 61
; ScratchSize: 0
; MemoryBound: 0
; FloatMode: 240
; IeeeMode: 1
; LDSByteSize: 13324 bytes/workgroup (compile time only)
; SGPRBlocks: 6
; VGPRBlocks: 7
; NumSGPRsForWavesPerEU: 50
; NumVGPRsForWavesPerEU: 61
; AccumOffset: 64
; Occupancy: 4
; WaveLimiterHint : 0
; COMPUTE_PGM_RSRC2:SCRATCH_EN: 0
; COMPUTE_PGM_RSRC2:USER_SGPR: 6
; COMPUTE_PGM_RSRC2:TRAP_HANDLER: 0
; COMPUTE_PGM_RSRC2:TGID_X_EN: 1
; COMPUTE_PGM_RSRC2:TGID_Y_EN: 0
; COMPUTE_PGM_RSRC2:TGID_Z_EN: 0
; COMPUTE_PGM_RSRC2:TIDIG_COMP_CNT: 0
; COMPUTE_PGM_RSRC3_GFX90A:ACCUM_OFFSET: 15
; COMPUTE_PGM_RSRC3_GFX90A:TG_SPLIT: 0
	.section	.text._ZN7rocprim17ROCPRIM_400000_NS6detail17trampoline_kernelINS0_13select_configILj256ELj13ELNS0_17block_load_methodE3ELS4_3ELS4_3ELNS0_20block_scan_algorithmE0ELj4294967295EEENS1_25partition_config_selectorILNS1_17partition_subalgoE3EjNS0_10empty_typeEbEEZZNS1_14partition_implILS8_3ELb0ES6_jNS0_17counting_iteratorIjlEEPS9_SE_NS0_5tupleIJPjSE_EEENSF_IJSE_SE_EEES9_SG_JZNS1_25segmented_radix_sort_implINS0_14default_configELb1EPK12hip_bfloat16PSL_PKlPlN2at6native12_GLOBAL__N_18offset_tEEE10hipError_tPvRmT1_PNSt15iterator_traitsISZ_E10value_typeET2_T3_PNS10_IS15_E10value_typeET4_jRbjT5_S1B_jjP12ihipStream_tbEUljE_EEESW_SX_SY_S15_S19_S1B_T6_T7_T9_mT8_S1D_bDpT10_ENKUlT_T0_E_clISt17integral_constantIbLb0EES1Q_EEDaS1L_S1M_EUlS1L_E_NS1_11comp_targetILNS1_3genE3ELNS1_11target_archE908ELNS1_3gpuE7ELNS1_3repE0EEENS1_30default_config_static_selectorELNS0_4arch9wavefront6targetE1EEEvSZ_,"axG",@progbits,_ZN7rocprim17ROCPRIM_400000_NS6detail17trampoline_kernelINS0_13select_configILj256ELj13ELNS0_17block_load_methodE3ELS4_3ELS4_3ELNS0_20block_scan_algorithmE0ELj4294967295EEENS1_25partition_config_selectorILNS1_17partition_subalgoE3EjNS0_10empty_typeEbEEZZNS1_14partition_implILS8_3ELb0ES6_jNS0_17counting_iteratorIjlEEPS9_SE_NS0_5tupleIJPjSE_EEENSF_IJSE_SE_EEES9_SG_JZNS1_25segmented_radix_sort_implINS0_14default_configELb1EPK12hip_bfloat16PSL_PKlPlN2at6native12_GLOBAL__N_18offset_tEEE10hipError_tPvRmT1_PNSt15iterator_traitsISZ_E10value_typeET2_T3_PNS10_IS15_E10value_typeET4_jRbjT5_S1B_jjP12ihipStream_tbEUljE_EEESW_SX_SY_S15_S19_S1B_T6_T7_T9_mT8_S1D_bDpT10_ENKUlT_T0_E_clISt17integral_constantIbLb0EES1Q_EEDaS1L_S1M_EUlS1L_E_NS1_11comp_targetILNS1_3genE3ELNS1_11target_archE908ELNS1_3gpuE7ELNS1_3repE0EEENS1_30default_config_static_selectorELNS0_4arch9wavefront6targetE1EEEvSZ_,comdat
	.globl	_ZN7rocprim17ROCPRIM_400000_NS6detail17trampoline_kernelINS0_13select_configILj256ELj13ELNS0_17block_load_methodE3ELS4_3ELS4_3ELNS0_20block_scan_algorithmE0ELj4294967295EEENS1_25partition_config_selectorILNS1_17partition_subalgoE3EjNS0_10empty_typeEbEEZZNS1_14partition_implILS8_3ELb0ES6_jNS0_17counting_iteratorIjlEEPS9_SE_NS0_5tupleIJPjSE_EEENSF_IJSE_SE_EEES9_SG_JZNS1_25segmented_radix_sort_implINS0_14default_configELb1EPK12hip_bfloat16PSL_PKlPlN2at6native12_GLOBAL__N_18offset_tEEE10hipError_tPvRmT1_PNSt15iterator_traitsISZ_E10value_typeET2_T3_PNS10_IS15_E10value_typeET4_jRbjT5_S1B_jjP12ihipStream_tbEUljE_EEESW_SX_SY_S15_S19_S1B_T6_T7_T9_mT8_S1D_bDpT10_ENKUlT_T0_E_clISt17integral_constantIbLb0EES1Q_EEDaS1L_S1M_EUlS1L_E_NS1_11comp_targetILNS1_3genE3ELNS1_11target_archE908ELNS1_3gpuE7ELNS1_3repE0EEENS1_30default_config_static_selectorELNS0_4arch9wavefront6targetE1EEEvSZ_ ; -- Begin function _ZN7rocprim17ROCPRIM_400000_NS6detail17trampoline_kernelINS0_13select_configILj256ELj13ELNS0_17block_load_methodE3ELS4_3ELS4_3ELNS0_20block_scan_algorithmE0ELj4294967295EEENS1_25partition_config_selectorILNS1_17partition_subalgoE3EjNS0_10empty_typeEbEEZZNS1_14partition_implILS8_3ELb0ES6_jNS0_17counting_iteratorIjlEEPS9_SE_NS0_5tupleIJPjSE_EEENSF_IJSE_SE_EEES9_SG_JZNS1_25segmented_radix_sort_implINS0_14default_configELb1EPK12hip_bfloat16PSL_PKlPlN2at6native12_GLOBAL__N_18offset_tEEE10hipError_tPvRmT1_PNSt15iterator_traitsISZ_E10value_typeET2_T3_PNS10_IS15_E10value_typeET4_jRbjT5_S1B_jjP12ihipStream_tbEUljE_EEESW_SX_SY_S15_S19_S1B_T6_T7_T9_mT8_S1D_bDpT10_ENKUlT_T0_E_clISt17integral_constantIbLb0EES1Q_EEDaS1L_S1M_EUlS1L_E_NS1_11comp_targetILNS1_3genE3ELNS1_11target_archE908ELNS1_3gpuE7ELNS1_3repE0EEENS1_30default_config_static_selectorELNS0_4arch9wavefront6targetE1EEEvSZ_
	.p2align	8
	.type	_ZN7rocprim17ROCPRIM_400000_NS6detail17trampoline_kernelINS0_13select_configILj256ELj13ELNS0_17block_load_methodE3ELS4_3ELS4_3ELNS0_20block_scan_algorithmE0ELj4294967295EEENS1_25partition_config_selectorILNS1_17partition_subalgoE3EjNS0_10empty_typeEbEEZZNS1_14partition_implILS8_3ELb0ES6_jNS0_17counting_iteratorIjlEEPS9_SE_NS0_5tupleIJPjSE_EEENSF_IJSE_SE_EEES9_SG_JZNS1_25segmented_radix_sort_implINS0_14default_configELb1EPK12hip_bfloat16PSL_PKlPlN2at6native12_GLOBAL__N_18offset_tEEE10hipError_tPvRmT1_PNSt15iterator_traitsISZ_E10value_typeET2_T3_PNS10_IS15_E10value_typeET4_jRbjT5_S1B_jjP12ihipStream_tbEUljE_EEESW_SX_SY_S15_S19_S1B_T6_T7_T9_mT8_S1D_bDpT10_ENKUlT_T0_E_clISt17integral_constantIbLb0EES1Q_EEDaS1L_S1M_EUlS1L_E_NS1_11comp_targetILNS1_3genE3ELNS1_11target_archE908ELNS1_3gpuE7ELNS1_3repE0EEENS1_30default_config_static_selectorELNS0_4arch9wavefront6targetE1EEEvSZ_,@function
_ZN7rocprim17ROCPRIM_400000_NS6detail17trampoline_kernelINS0_13select_configILj256ELj13ELNS0_17block_load_methodE3ELS4_3ELS4_3ELNS0_20block_scan_algorithmE0ELj4294967295EEENS1_25partition_config_selectorILNS1_17partition_subalgoE3EjNS0_10empty_typeEbEEZZNS1_14partition_implILS8_3ELb0ES6_jNS0_17counting_iteratorIjlEEPS9_SE_NS0_5tupleIJPjSE_EEENSF_IJSE_SE_EEES9_SG_JZNS1_25segmented_radix_sort_implINS0_14default_configELb1EPK12hip_bfloat16PSL_PKlPlN2at6native12_GLOBAL__N_18offset_tEEE10hipError_tPvRmT1_PNSt15iterator_traitsISZ_E10value_typeET2_T3_PNS10_IS15_E10value_typeET4_jRbjT5_S1B_jjP12ihipStream_tbEUljE_EEESW_SX_SY_S15_S19_S1B_T6_T7_T9_mT8_S1D_bDpT10_ENKUlT_T0_E_clISt17integral_constantIbLb0EES1Q_EEDaS1L_S1M_EUlS1L_E_NS1_11comp_targetILNS1_3genE3ELNS1_11target_archE908ELNS1_3gpuE7ELNS1_3repE0EEENS1_30default_config_static_selectorELNS0_4arch9wavefront6targetE1EEEvSZ_: ; @_ZN7rocprim17ROCPRIM_400000_NS6detail17trampoline_kernelINS0_13select_configILj256ELj13ELNS0_17block_load_methodE3ELS4_3ELS4_3ELNS0_20block_scan_algorithmE0ELj4294967295EEENS1_25partition_config_selectorILNS1_17partition_subalgoE3EjNS0_10empty_typeEbEEZZNS1_14partition_implILS8_3ELb0ES6_jNS0_17counting_iteratorIjlEEPS9_SE_NS0_5tupleIJPjSE_EEENSF_IJSE_SE_EEES9_SG_JZNS1_25segmented_radix_sort_implINS0_14default_configELb1EPK12hip_bfloat16PSL_PKlPlN2at6native12_GLOBAL__N_18offset_tEEE10hipError_tPvRmT1_PNSt15iterator_traitsISZ_E10value_typeET2_T3_PNS10_IS15_E10value_typeET4_jRbjT5_S1B_jjP12ihipStream_tbEUljE_EEESW_SX_SY_S15_S19_S1B_T6_T7_T9_mT8_S1D_bDpT10_ENKUlT_T0_E_clISt17integral_constantIbLb0EES1Q_EEDaS1L_S1M_EUlS1L_E_NS1_11comp_targetILNS1_3genE3ELNS1_11target_archE908ELNS1_3gpuE7ELNS1_3repE0EEENS1_30default_config_static_selectorELNS0_4arch9wavefront6targetE1EEEvSZ_
; %bb.0:
	.section	.rodata,"a",@progbits
	.p2align	6, 0x0
	.amdhsa_kernel _ZN7rocprim17ROCPRIM_400000_NS6detail17trampoline_kernelINS0_13select_configILj256ELj13ELNS0_17block_load_methodE3ELS4_3ELS4_3ELNS0_20block_scan_algorithmE0ELj4294967295EEENS1_25partition_config_selectorILNS1_17partition_subalgoE3EjNS0_10empty_typeEbEEZZNS1_14partition_implILS8_3ELb0ES6_jNS0_17counting_iteratorIjlEEPS9_SE_NS0_5tupleIJPjSE_EEENSF_IJSE_SE_EEES9_SG_JZNS1_25segmented_radix_sort_implINS0_14default_configELb1EPK12hip_bfloat16PSL_PKlPlN2at6native12_GLOBAL__N_18offset_tEEE10hipError_tPvRmT1_PNSt15iterator_traitsISZ_E10value_typeET2_T3_PNS10_IS15_E10value_typeET4_jRbjT5_S1B_jjP12ihipStream_tbEUljE_EEESW_SX_SY_S15_S19_S1B_T6_T7_T9_mT8_S1D_bDpT10_ENKUlT_T0_E_clISt17integral_constantIbLb0EES1Q_EEDaS1L_S1M_EUlS1L_E_NS1_11comp_targetILNS1_3genE3ELNS1_11target_archE908ELNS1_3gpuE7ELNS1_3repE0EEENS1_30default_config_static_selectorELNS0_4arch9wavefront6targetE1EEEvSZ_
		.amdhsa_group_segment_fixed_size 0
		.amdhsa_private_segment_fixed_size 0
		.amdhsa_kernarg_size 144
		.amdhsa_user_sgpr_count 6
		.amdhsa_user_sgpr_private_segment_buffer 1
		.amdhsa_user_sgpr_dispatch_ptr 0
		.amdhsa_user_sgpr_queue_ptr 0
		.amdhsa_user_sgpr_kernarg_segment_ptr 1
		.amdhsa_user_sgpr_dispatch_id 0
		.amdhsa_user_sgpr_flat_scratch_init 0
		.amdhsa_user_sgpr_kernarg_preload_length 0
		.amdhsa_user_sgpr_kernarg_preload_offset 0
		.amdhsa_user_sgpr_private_segment_size 0
		.amdhsa_uses_dynamic_stack 0
		.amdhsa_system_sgpr_private_segment_wavefront_offset 0
		.amdhsa_system_sgpr_workgroup_id_x 1
		.amdhsa_system_sgpr_workgroup_id_y 0
		.amdhsa_system_sgpr_workgroup_id_z 0
		.amdhsa_system_sgpr_workgroup_info 0
		.amdhsa_system_vgpr_workitem_id 0
		.amdhsa_next_free_vgpr 1
		.amdhsa_next_free_sgpr 0
		.amdhsa_accum_offset 4
		.amdhsa_reserve_vcc 0
		.amdhsa_reserve_flat_scratch 0
		.amdhsa_float_round_mode_32 0
		.amdhsa_float_round_mode_16_64 0
		.amdhsa_float_denorm_mode_32 3
		.amdhsa_float_denorm_mode_16_64 3
		.amdhsa_dx10_clamp 1
		.amdhsa_ieee_mode 1
		.amdhsa_fp16_overflow 0
		.amdhsa_tg_split 0
		.amdhsa_exception_fp_ieee_invalid_op 0
		.amdhsa_exception_fp_denorm_src 0
		.amdhsa_exception_fp_ieee_div_zero 0
		.amdhsa_exception_fp_ieee_overflow 0
		.amdhsa_exception_fp_ieee_underflow 0
		.amdhsa_exception_fp_ieee_inexact 0
		.amdhsa_exception_int_div_zero 0
	.end_amdhsa_kernel
	.section	.text._ZN7rocprim17ROCPRIM_400000_NS6detail17trampoline_kernelINS0_13select_configILj256ELj13ELNS0_17block_load_methodE3ELS4_3ELS4_3ELNS0_20block_scan_algorithmE0ELj4294967295EEENS1_25partition_config_selectorILNS1_17partition_subalgoE3EjNS0_10empty_typeEbEEZZNS1_14partition_implILS8_3ELb0ES6_jNS0_17counting_iteratorIjlEEPS9_SE_NS0_5tupleIJPjSE_EEENSF_IJSE_SE_EEES9_SG_JZNS1_25segmented_radix_sort_implINS0_14default_configELb1EPK12hip_bfloat16PSL_PKlPlN2at6native12_GLOBAL__N_18offset_tEEE10hipError_tPvRmT1_PNSt15iterator_traitsISZ_E10value_typeET2_T3_PNS10_IS15_E10value_typeET4_jRbjT5_S1B_jjP12ihipStream_tbEUljE_EEESW_SX_SY_S15_S19_S1B_T6_T7_T9_mT8_S1D_bDpT10_ENKUlT_T0_E_clISt17integral_constantIbLb0EES1Q_EEDaS1L_S1M_EUlS1L_E_NS1_11comp_targetILNS1_3genE3ELNS1_11target_archE908ELNS1_3gpuE7ELNS1_3repE0EEENS1_30default_config_static_selectorELNS0_4arch9wavefront6targetE1EEEvSZ_,"axG",@progbits,_ZN7rocprim17ROCPRIM_400000_NS6detail17trampoline_kernelINS0_13select_configILj256ELj13ELNS0_17block_load_methodE3ELS4_3ELS4_3ELNS0_20block_scan_algorithmE0ELj4294967295EEENS1_25partition_config_selectorILNS1_17partition_subalgoE3EjNS0_10empty_typeEbEEZZNS1_14partition_implILS8_3ELb0ES6_jNS0_17counting_iteratorIjlEEPS9_SE_NS0_5tupleIJPjSE_EEENSF_IJSE_SE_EEES9_SG_JZNS1_25segmented_radix_sort_implINS0_14default_configELb1EPK12hip_bfloat16PSL_PKlPlN2at6native12_GLOBAL__N_18offset_tEEE10hipError_tPvRmT1_PNSt15iterator_traitsISZ_E10value_typeET2_T3_PNS10_IS15_E10value_typeET4_jRbjT5_S1B_jjP12ihipStream_tbEUljE_EEESW_SX_SY_S15_S19_S1B_T6_T7_T9_mT8_S1D_bDpT10_ENKUlT_T0_E_clISt17integral_constantIbLb0EES1Q_EEDaS1L_S1M_EUlS1L_E_NS1_11comp_targetILNS1_3genE3ELNS1_11target_archE908ELNS1_3gpuE7ELNS1_3repE0EEENS1_30default_config_static_selectorELNS0_4arch9wavefront6targetE1EEEvSZ_,comdat
.Lfunc_end1915:
	.size	_ZN7rocprim17ROCPRIM_400000_NS6detail17trampoline_kernelINS0_13select_configILj256ELj13ELNS0_17block_load_methodE3ELS4_3ELS4_3ELNS0_20block_scan_algorithmE0ELj4294967295EEENS1_25partition_config_selectorILNS1_17partition_subalgoE3EjNS0_10empty_typeEbEEZZNS1_14partition_implILS8_3ELb0ES6_jNS0_17counting_iteratorIjlEEPS9_SE_NS0_5tupleIJPjSE_EEENSF_IJSE_SE_EEES9_SG_JZNS1_25segmented_radix_sort_implINS0_14default_configELb1EPK12hip_bfloat16PSL_PKlPlN2at6native12_GLOBAL__N_18offset_tEEE10hipError_tPvRmT1_PNSt15iterator_traitsISZ_E10value_typeET2_T3_PNS10_IS15_E10value_typeET4_jRbjT5_S1B_jjP12ihipStream_tbEUljE_EEESW_SX_SY_S15_S19_S1B_T6_T7_T9_mT8_S1D_bDpT10_ENKUlT_T0_E_clISt17integral_constantIbLb0EES1Q_EEDaS1L_S1M_EUlS1L_E_NS1_11comp_targetILNS1_3genE3ELNS1_11target_archE908ELNS1_3gpuE7ELNS1_3repE0EEENS1_30default_config_static_selectorELNS0_4arch9wavefront6targetE1EEEvSZ_, .Lfunc_end1915-_ZN7rocprim17ROCPRIM_400000_NS6detail17trampoline_kernelINS0_13select_configILj256ELj13ELNS0_17block_load_methodE3ELS4_3ELS4_3ELNS0_20block_scan_algorithmE0ELj4294967295EEENS1_25partition_config_selectorILNS1_17partition_subalgoE3EjNS0_10empty_typeEbEEZZNS1_14partition_implILS8_3ELb0ES6_jNS0_17counting_iteratorIjlEEPS9_SE_NS0_5tupleIJPjSE_EEENSF_IJSE_SE_EEES9_SG_JZNS1_25segmented_radix_sort_implINS0_14default_configELb1EPK12hip_bfloat16PSL_PKlPlN2at6native12_GLOBAL__N_18offset_tEEE10hipError_tPvRmT1_PNSt15iterator_traitsISZ_E10value_typeET2_T3_PNS10_IS15_E10value_typeET4_jRbjT5_S1B_jjP12ihipStream_tbEUljE_EEESW_SX_SY_S15_S19_S1B_T6_T7_T9_mT8_S1D_bDpT10_ENKUlT_T0_E_clISt17integral_constantIbLb0EES1Q_EEDaS1L_S1M_EUlS1L_E_NS1_11comp_targetILNS1_3genE3ELNS1_11target_archE908ELNS1_3gpuE7ELNS1_3repE0EEENS1_30default_config_static_selectorELNS0_4arch9wavefront6targetE1EEEvSZ_
                                        ; -- End function
	.section	.AMDGPU.csdata,"",@progbits
; Kernel info:
; codeLenInByte = 0
; NumSgprs: 4
; NumVgprs: 0
; NumAgprs: 0
; TotalNumVgprs: 0
; ScratchSize: 0
; MemoryBound: 0
; FloatMode: 240
; IeeeMode: 1
; LDSByteSize: 0 bytes/workgroup (compile time only)
; SGPRBlocks: 0
; VGPRBlocks: 0
; NumSGPRsForWavesPerEU: 4
; NumVGPRsForWavesPerEU: 1
; AccumOffset: 4
; Occupancy: 8
; WaveLimiterHint : 0
; COMPUTE_PGM_RSRC2:SCRATCH_EN: 0
; COMPUTE_PGM_RSRC2:USER_SGPR: 6
; COMPUTE_PGM_RSRC2:TRAP_HANDLER: 0
; COMPUTE_PGM_RSRC2:TGID_X_EN: 1
; COMPUTE_PGM_RSRC2:TGID_Y_EN: 0
; COMPUTE_PGM_RSRC2:TGID_Z_EN: 0
; COMPUTE_PGM_RSRC2:TIDIG_COMP_CNT: 0
; COMPUTE_PGM_RSRC3_GFX90A:ACCUM_OFFSET: 0
; COMPUTE_PGM_RSRC3_GFX90A:TG_SPLIT: 0
	.section	.text._ZN7rocprim17ROCPRIM_400000_NS6detail17trampoline_kernelINS0_13select_configILj256ELj13ELNS0_17block_load_methodE3ELS4_3ELS4_3ELNS0_20block_scan_algorithmE0ELj4294967295EEENS1_25partition_config_selectorILNS1_17partition_subalgoE3EjNS0_10empty_typeEbEEZZNS1_14partition_implILS8_3ELb0ES6_jNS0_17counting_iteratorIjlEEPS9_SE_NS0_5tupleIJPjSE_EEENSF_IJSE_SE_EEES9_SG_JZNS1_25segmented_radix_sort_implINS0_14default_configELb1EPK12hip_bfloat16PSL_PKlPlN2at6native12_GLOBAL__N_18offset_tEEE10hipError_tPvRmT1_PNSt15iterator_traitsISZ_E10value_typeET2_T3_PNS10_IS15_E10value_typeET4_jRbjT5_S1B_jjP12ihipStream_tbEUljE_EEESW_SX_SY_S15_S19_S1B_T6_T7_T9_mT8_S1D_bDpT10_ENKUlT_T0_E_clISt17integral_constantIbLb0EES1Q_EEDaS1L_S1M_EUlS1L_E_NS1_11comp_targetILNS1_3genE2ELNS1_11target_archE906ELNS1_3gpuE6ELNS1_3repE0EEENS1_30default_config_static_selectorELNS0_4arch9wavefront6targetE1EEEvSZ_,"axG",@progbits,_ZN7rocprim17ROCPRIM_400000_NS6detail17trampoline_kernelINS0_13select_configILj256ELj13ELNS0_17block_load_methodE3ELS4_3ELS4_3ELNS0_20block_scan_algorithmE0ELj4294967295EEENS1_25partition_config_selectorILNS1_17partition_subalgoE3EjNS0_10empty_typeEbEEZZNS1_14partition_implILS8_3ELb0ES6_jNS0_17counting_iteratorIjlEEPS9_SE_NS0_5tupleIJPjSE_EEENSF_IJSE_SE_EEES9_SG_JZNS1_25segmented_radix_sort_implINS0_14default_configELb1EPK12hip_bfloat16PSL_PKlPlN2at6native12_GLOBAL__N_18offset_tEEE10hipError_tPvRmT1_PNSt15iterator_traitsISZ_E10value_typeET2_T3_PNS10_IS15_E10value_typeET4_jRbjT5_S1B_jjP12ihipStream_tbEUljE_EEESW_SX_SY_S15_S19_S1B_T6_T7_T9_mT8_S1D_bDpT10_ENKUlT_T0_E_clISt17integral_constantIbLb0EES1Q_EEDaS1L_S1M_EUlS1L_E_NS1_11comp_targetILNS1_3genE2ELNS1_11target_archE906ELNS1_3gpuE6ELNS1_3repE0EEENS1_30default_config_static_selectorELNS0_4arch9wavefront6targetE1EEEvSZ_,comdat
	.globl	_ZN7rocprim17ROCPRIM_400000_NS6detail17trampoline_kernelINS0_13select_configILj256ELj13ELNS0_17block_load_methodE3ELS4_3ELS4_3ELNS0_20block_scan_algorithmE0ELj4294967295EEENS1_25partition_config_selectorILNS1_17partition_subalgoE3EjNS0_10empty_typeEbEEZZNS1_14partition_implILS8_3ELb0ES6_jNS0_17counting_iteratorIjlEEPS9_SE_NS0_5tupleIJPjSE_EEENSF_IJSE_SE_EEES9_SG_JZNS1_25segmented_radix_sort_implINS0_14default_configELb1EPK12hip_bfloat16PSL_PKlPlN2at6native12_GLOBAL__N_18offset_tEEE10hipError_tPvRmT1_PNSt15iterator_traitsISZ_E10value_typeET2_T3_PNS10_IS15_E10value_typeET4_jRbjT5_S1B_jjP12ihipStream_tbEUljE_EEESW_SX_SY_S15_S19_S1B_T6_T7_T9_mT8_S1D_bDpT10_ENKUlT_T0_E_clISt17integral_constantIbLb0EES1Q_EEDaS1L_S1M_EUlS1L_E_NS1_11comp_targetILNS1_3genE2ELNS1_11target_archE906ELNS1_3gpuE6ELNS1_3repE0EEENS1_30default_config_static_selectorELNS0_4arch9wavefront6targetE1EEEvSZ_ ; -- Begin function _ZN7rocprim17ROCPRIM_400000_NS6detail17trampoline_kernelINS0_13select_configILj256ELj13ELNS0_17block_load_methodE3ELS4_3ELS4_3ELNS0_20block_scan_algorithmE0ELj4294967295EEENS1_25partition_config_selectorILNS1_17partition_subalgoE3EjNS0_10empty_typeEbEEZZNS1_14partition_implILS8_3ELb0ES6_jNS0_17counting_iteratorIjlEEPS9_SE_NS0_5tupleIJPjSE_EEENSF_IJSE_SE_EEES9_SG_JZNS1_25segmented_radix_sort_implINS0_14default_configELb1EPK12hip_bfloat16PSL_PKlPlN2at6native12_GLOBAL__N_18offset_tEEE10hipError_tPvRmT1_PNSt15iterator_traitsISZ_E10value_typeET2_T3_PNS10_IS15_E10value_typeET4_jRbjT5_S1B_jjP12ihipStream_tbEUljE_EEESW_SX_SY_S15_S19_S1B_T6_T7_T9_mT8_S1D_bDpT10_ENKUlT_T0_E_clISt17integral_constantIbLb0EES1Q_EEDaS1L_S1M_EUlS1L_E_NS1_11comp_targetILNS1_3genE2ELNS1_11target_archE906ELNS1_3gpuE6ELNS1_3repE0EEENS1_30default_config_static_selectorELNS0_4arch9wavefront6targetE1EEEvSZ_
	.p2align	8
	.type	_ZN7rocprim17ROCPRIM_400000_NS6detail17trampoline_kernelINS0_13select_configILj256ELj13ELNS0_17block_load_methodE3ELS4_3ELS4_3ELNS0_20block_scan_algorithmE0ELj4294967295EEENS1_25partition_config_selectorILNS1_17partition_subalgoE3EjNS0_10empty_typeEbEEZZNS1_14partition_implILS8_3ELb0ES6_jNS0_17counting_iteratorIjlEEPS9_SE_NS0_5tupleIJPjSE_EEENSF_IJSE_SE_EEES9_SG_JZNS1_25segmented_radix_sort_implINS0_14default_configELb1EPK12hip_bfloat16PSL_PKlPlN2at6native12_GLOBAL__N_18offset_tEEE10hipError_tPvRmT1_PNSt15iterator_traitsISZ_E10value_typeET2_T3_PNS10_IS15_E10value_typeET4_jRbjT5_S1B_jjP12ihipStream_tbEUljE_EEESW_SX_SY_S15_S19_S1B_T6_T7_T9_mT8_S1D_bDpT10_ENKUlT_T0_E_clISt17integral_constantIbLb0EES1Q_EEDaS1L_S1M_EUlS1L_E_NS1_11comp_targetILNS1_3genE2ELNS1_11target_archE906ELNS1_3gpuE6ELNS1_3repE0EEENS1_30default_config_static_selectorELNS0_4arch9wavefront6targetE1EEEvSZ_,@function
_ZN7rocprim17ROCPRIM_400000_NS6detail17trampoline_kernelINS0_13select_configILj256ELj13ELNS0_17block_load_methodE3ELS4_3ELS4_3ELNS0_20block_scan_algorithmE0ELj4294967295EEENS1_25partition_config_selectorILNS1_17partition_subalgoE3EjNS0_10empty_typeEbEEZZNS1_14partition_implILS8_3ELb0ES6_jNS0_17counting_iteratorIjlEEPS9_SE_NS0_5tupleIJPjSE_EEENSF_IJSE_SE_EEES9_SG_JZNS1_25segmented_radix_sort_implINS0_14default_configELb1EPK12hip_bfloat16PSL_PKlPlN2at6native12_GLOBAL__N_18offset_tEEE10hipError_tPvRmT1_PNSt15iterator_traitsISZ_E10value_typeET2_T3_PNS10_IS15_E10value_typeET4_jRbjT5_S1B_jjP12ihipStream_tbEUljE_EEESW_SX_SY_S15_S19_S1B_T6_T7_T9_mT8_S1D_bDpT10_ENKUlT_T0_E_clISt17integral_constantIbLb0EES1Q_EEDaS1L_S1M_EUlS1L_E_NS1_11comp_targetILNS1_3genE2ELNS1_11target_archE906ELNS1_3gpuE6ELNS1_3repE0EEENS1_30default_config_static_selectorELNS0_4arch9wavefront6targetE1EEEvSZ_: ; @_ZN7rocprim17ROCPRIM_400000_NS6detail17trampoline_kernelINS0_13select_configILj256ELj13ELNS0_17block_load_methodE3ELS4_3ELS4_3ELNS0_20block_scan_algorithmE0ELj4294967295EEENS1_25partition_config_selectorILNS1_17partition_subalgoE3EjNS0_10empty_typeEbEEZZNS1_14partition_implILS8_3ELb0ES6_jNS0_17counting_iteratorIjlEEPS9_SE_NS0_5tupleIJPjSE_EEENSF_IJSE_SE_EEES9_SG_JZNS1_25segmented_radix_sort_implINS0_14default_configELb1EPK12hip_bfloat16PSL_PKlPlN2at6native12_GLOBAL__N_18offset_tEEE10hipError_tPvRmT1_PNSt15iterator_traitsISZ_E10value_typeET2_T3_PNS10_IS15_E10value_typeET4_jRbjT5_S1B_jjP12ihipStream_tbEUljE_EEESW_SX_SY_S15_S19_S1B_T6_T7_T9_mT8_S1D_bDpT10_ENKUlT_T0_E_clISt17integral_constantIbLb0EES1Q_EEDaS1L_S1M_EUlS1L_E_NS1_11comp_targetILNS1_3genE2ELNS1_11target_archE906ELNS1_3gpuE6ELNS1_3repE0EEENS1_30default_config_static_selectorELNS0_4arch9wavefront6targetE1EEEvSZ_
; %bb.0:
	.section	.rodata,"a",@progbits
	.p2align	6, 0x0
	.amdhsa_kernel _ZN7rocprim17ROCPRIM_400000_NS6detail17trampoline_kernelINS0_13select_configILj256ELj13ELNS0_17block_load_methodE3ELS4_3ELS4_3ELNS0_20block_scan_algorithmE0ELj4294967295EEENS1_25partition_config_selectorILNS1_17partition_subalgoE3EjNS0_10empty_typeEbEEZZNS1_14partition_implILS8_3ELb0ES6_jNS0_17counting_iteratorIjlEEPS9_SE_NS0_5tupleIJPjSE_EEENSF_IJSE_SE_EEES9_SG_JZNS1_25segmented_radix_sort_implINS0_14default_configELb1EPK12hip_bfloat16PSL_PKlPlN2at6native12_GLOBAL__N_18offset_tEEE10hipError_tPvRmT1_PNSt15iterator_traitsISZ_E10value_typeET2_T3_PNS10_IS15_E10value_typeET4_jRbjT5_S1B_jjP12ihipStream_tbEUljE_EEESW_SX_SY_S15_S19_S1B_T6_T7_T9_mT8_S1D_bDpT10_ENKUlT_T0_E_clISt17integral_constantIbLb0EES1Q_EEDaS1L_S1M_EUlS1L_E_NS1_11comp_targetILNS1_3genE2ELNS1_11target_archE906ELNS1_3gpuE6ELNS1_3repE0EEENS1_30default_config_static_selectorELNS0_4arch9wavefront6targetE1EEEvSZ_
		.amdhsa_group_segment_fixed_size 0
		.amdhsa_private_segment_fixed_size 0
		.amdhsa_kernarg_size 144
		.amdhsa_user_sgpr_count 6
		.amdhsa_user_sgpr_private_segment_buffer 1
		.amdhsa_user_sgpr_dispatch_ptr 0
		.amdhsa_user_sgpr_queue_ptr 0
		.amdhsa_user_sgpr_kernarg_segment_ptr 1
		.amdhsa_user_sgpr_dispatch_id 0
		.amdhsa_user_sgpr_flat_scratch_init 0
		.amdhsa_user_sgpr_kernarg_preload_length 0
		.amdhsa_user_sgpr_kernarg_preload_offset 0
		.amdhsa_user_sgpr_private_segment_size 0
		.amdhsa_uses_dynamic_stack 0
		.amdhsa_system_sgpr_private_segment_wavefront_offset 0
		.amdhsa_system_sgpr_workgroup_id_x 1
		.amdhsa_system_sgpr_workgroup_id_y 0
		.amdhsa_system_sgpr_workgroup_id_z 0
		.amdhsa_system_sgpr_workgroup_info 0
		.amdhsa_system_vgpr_workitem_id 0
		.amdhsa_next_free_vgpr 1
		.amdhsa_next_free_sgpr 0
		.amdhsa_accum_offset 4
		.amdhsa_reserve_vcc 0
		.amdhsa_reserve_flat_scratch 0
		.amdhsa_float_round_mode_32 0
		.amdhsa_float_round_mode_16_64 0
		.amdhsa_float_denorm_mode_32 3
		.amdhsa_float_denorm_mode_16_64 3
		.amdhsa_dx10_clamp 1
		.amdhsa_ieee_mode 1
		.amdhsa_fp16_overflow 0
		.amdhsa_tg_split 0
		.amdhsa_exception_fp_ieee_invalid_op 0
		.amdhsa_exception_fp_denorm_src 0
		.amdhsa_exception_fp_ieee_div_zero 0
		.amdhsa_exception_fp_ieee_overflow 0
		.amdhsa_exception_fp_ieee_underflow 0
		.amdhsa_exception_fp_ieee_inexact 0
		.amdhsa_exception_int_div_zero 0
	.end_amdhsa_kernel
	.section	.text._ZN7rocprim17ROCPRIM_400000_NS6detail17trampoline_kernelINS0_13select_configILj256ELj13ELNS0_17block_load_methodE3ELS4_3ELS4_3ELNS0_20block_scan_algorithmE0ELj4294967295EEENS1_25partition_config_selectorILNS1_17partition_subalgoE3EjNS0_10empty_typeEbEEZZNS1_14partition_implILS8_3ELb0ES6_jNS0_17counting_iteratorIjlEEPS9_SE_NS0_5tupleIJPjSE_EEENSF_IJSE_SE_EEES9_SG_JZNS1_25segmented_radix_sort_implINS0_14default_configELb1EPK12hip_bfloat16PSL_PKlPlN2at6native12_GLOBAL__N_18offset_tEEE10hipError_tPvRmT1_PNSt15iterator_traitsISZ_E10value_typeET2_T3_PNS10_IS15_E10value_typeET4_jRbjT5_S1B_jjP12ihipStream_tbEUljE_EEESW_SX_SY_S15_S19_S1B_T6_T7_T9_mT8_S1D_bDpT10_ENKUlT_T0_E_clISt17integral_constantIbLb0EES1Q_EEDaS1L_S1M_EUlS1L_E_NS1_11comp_targetILNS1_3genE2ELNS1_11target_archE906ELNS1_3gpuE6ELNS1_3repE0EEENS1_30default_config_static_selectorELNS0_4arch9wavefront6targetE1EEEvSZ_,"axG",@progbits,_ZN7rocprim17ROCPRIM_400000_NS6detail17trampoline_kernelINS0_13select_configILj256ELj13ELNS0_17block_load_methodE3ELS4_3ELS4_3ELNS0_20block_scan_algorithmE0ELj4294967295EEENS1_25partition_config_selectorILNS1_17partition_subalgoE3EjNS0_10empty_typeEbEEZZNS1_14partition_implILS8_3ELb0ES6_jNS0_17counting_iteratorIjlEEPS9_SE_NS0_5tupleIJPjSE_EEENSF_IJSE_SE_EEES9_SG_JZNS1_25segmented_radix_sort_implINS0_14default_configELb1EPK12hip_bfloat16PSL_PKlPlN2at6native12_GLOBAL__N_18offset_tEEE10hipError_tPvRmT1_PNSt15iterator_traitsISZ_E10value_typeET2_T3_PNS10_IS15_E10value_typeET4_jRbjT5_S1B_jjP12ihipStream_tbEUljE_EEESW_SX_SY_S15_S19_S1B_T6_T7_T9_mT8_S1D_bDpT10_ENKUlT_T0_E_clISt17integral_constantIbLb0EES1Q_EEDaS1L_S1M_EUlS1L_E_NS1_11comp_targetILNS1_3genE2ELNS1_11target_archE906ELNS1_3gpuE6ELNS1_3repE0EEENS1_30default_config_static_selectorELNS0_4arch9wavefront6targetE1EEEvSZ_,comdat
.Lfunc_end1916:
	.size	_ZN7rocprim17ROCPRIM_400000_NS6detail17trampoline_kernelINS0_13select_configILj256ELj13ELNS0_17block_load_methodE3ELS4_3ELS4_3ELNS0_20block_scan_algorithmE0ELj4294967295EEENS1_25partition_config_selectorILNS1_17partition_subalgoE3EjNS0_10empty_typeEbEEZZNS1_14partition_implILS8_3ELb0ES6_jNS0_17counting_iteratorIjlEEPS9_SE_NS0_5tupleIJPjSE_EEENSF_IJSE_SE_EEES9_SG_JZNS1_25segmented_radix_sort_implINS0_14default_configELb1EPK12hip_bfloat16PSL_PKlPlN2at6native12_GLOBAL__N_18offset_tEEE10hipError_tPvRmT1_PNSt15iterator_traitsISZ_E10value_typeET2_T3_PNS10_IS15_E10value_typeET4_jRbjT5_S1B_jjP12ihipStream_tbEUljE_EEESW_SX_SY_S15_S19_S1B_T6_T7_T9_mT8_S1D_bDpT10_ENKUlT_T0_E_clISt17integral_constantIbLb0EES1Q_EEDaS1L_S1M_EUlS1L_E_NS1_11comp_targetILNS1_3genE2ELNS1_11target_archE906ELNS1_3gpuE6ELNS1_3repE0EEENS1_30default_config_static_selectorELNS0_4arch9wavefront6targetE1EEEvSZ_, .Lfunc_end1916-_ZN7rocprim17ROCPRIM_400000_NS6detail17trampoline_kernelINS0_13select_configILj256ELj13ELNS0_17block_load_methodE3ELS4_3ELS4_3ELNS0_20block_scan_algorithmE0ELj4294967295EEENS1_25partition_config_selectorILNS1_17partition_subalgoE3EjNS0_10empty_typeEbEEZZNS1_14partition_implILS8_3ELb0ES6_jNS0_17counting_iteratorIjlEEPS9_SE_NS0_5tupleIJPjSE_EEENSF_IJSE_SE_EEES9_SG_JZNS1_25segmented_radix_sort_implINS0_14default_configELb1EPK12hip_bfloat16PSL_PKlPlN2at6native12_GLOBAL__N_18offset_tEEE10hipError_tPvRmT1_PNSt15iterator_traitsISZ_E10value_typeET2_T3_PNS10_IS15_E10value_typeET4_jRbjT5_S1B_jjP12ihipStream_tbEUljE_EEESW_SX_SY_S15_S19_S1B_T6_T7_T9_mT8_S1D_bDpT10_ENKUlT_T0_E_clISt17integral_constantIbLb0EES1Q_EEDaS1L_S1M_EUlS1L_E_NS1_11comp_targetILNS1_3genE2ELNS1_11target_archE906ELNS1_3gpuE6ELNS1_3repE0EEENS1_30default_config_static_selectorELNS0_4arch9wavefront6targetE1EEEvSZ_
                                        ; -- End function
	.section	.AMDGPU.csdata,"",@progbits
; Kernel info:
; codeLenInByte = 0
; NumSgprs: 4
; NumVgprs: 0
; NumAgprs: 0
; TotalNumVgprs: 0
; ScratchSize: 0
; MemoryBound: 0
; FloatMode: 240
; IeeeMode: 1
; LDSByteSize: 0 bytes/workgroup (compile time only)
; SGPRBlocks: 0
; VGPRBlocks: 0
; NumSGPRsForWavesPerEU: 4
; NumVGPRsForWavesPerEU: 1
; AccumOffset: 4
; Occupancy: 8
; WaveLimiterHint : 0
; COMPUTE_PGM_RSRC2:SCRATCH_EN: 0
; COMPUTE_PGM_RSRC2:USER_SGPR: 6
; COMPUTE_PGM_RSRC2:TRAP_HANDLER: 0
; COMPUTE_PGM_RSRC2:TGID_X_EN: 1
; COMPUTE_PGM_RSRC2:TGID_Y_EN: 0
; COMPUTE_PGM_RSRC2:TGID_Z_EN: 0
; COMPUTE_PGM_RSRC2:TIDIG_COMP_CNT: 0
; COMPUTE_PGM_RSRC3_GFX90A:ACCUM_OFFSET: 0
; COMPUTE_PGM_RSRC3_GFX90A:TG_SPLIT: 0
	.section	.text._ZN7rocprim17ROCPRIM_400000_NS6detail17trampoline_kernelINS0_13select_configILj256ELj13ELNS0_17block_load_methodE3ELS4_3ELS4_3ELNS0_20block_scan_algorithmE0ELj4294967295EEENS1_25partition_config_selectorILNS1_17partition_subalgoE3EjNS0_10empty_typeEbEEZZNS1_14partition_implILS8_3ELb0ES6_jNS0_17counting_iteratorIjlEEPS9_SE_NS0_5tupleIJPjSE_EEENSF_IJSE_SE_EEES9_SG_JZNS1_25segmented_radix_sort_implINS0_14default_configELb1EPK12hip_bfloat16PSL_PKlPlN2at6native12_GLOBAL__N_18offset_tEEE10hipError_tPvRmT1_PNSt15iterator_traitsISZ_E10value_typeET2_T3_PNS10_IS15_E10value_typeET4_jRbjT5_S1B_jjP12ihipStream_tbEUljE_EEESW_SX_SY_S15_S19_S1B_T6_T7_T9_mT8_S1D_bDpT10_ENKUlT_T0_E_clISt17integral_constantIbLb0EES1Q_EEDaS1L_S1M_EUlS1L_E_NS1_11comp_targetILNS1_3genE10ELNS1_11target_archE1200ELNS1_3gpuE4ELNS1_3repE0EEENS1_30default_config_static_selectorELNS0_4arch9wavefront6targetE1EEEvSZ_,"axG",@progbits,_ZN7rocprim17ROCPRIM_400000_NS6detail17trampoline_kernelINS0_13select_configILj256ELj13ELNS0_17block_load_methodE3ELS4_3ELS4_3ELNS0_20block_scan_algorithmE0ELj4294967295EEENS1_25partition_config_selectorILNS1_17partition_subalgoE3EjNS0_10empty_typeEbEEZZNS1_14partition_implILS8_3ELb0ES6_jNS0_17counting_iteratorIjlEEPS9_SE_NS0_5tupleIJPjSE_EEENSF_IJSE_SE_EEES9_SG_JZNS1_25segmented_radix_sort_implINS0_14default_configELb1EPK12hip_bfloat16PSL_PKlPlN2at6native12_GLOBAL__N_18offset_tEEE10hipError_tPvRmT1_PNSt15iterator_traitsISZ_E10value_typeET2_T3_PNS10_IS15_E10value_typeET4_jRbjT5_S1B_jjP12ihipStream_tbEUljE_EEESW_SX_SY_S15_S19_S1B_T6_T7_T9_mT8_S1D_bDpT10_ENKUlT_T0_E_clISt17integral_constantIbLb0EES1Q_EEDaS1L_S1M_EUlS1L_E_NS1_11comp_targetILNS1_3genE10ELNS1_11target_archE1200ELNS1_3gpuE4ELNS1_3repE0EEENS1_30default_config_static_selectorELNS0_4arch9wavefront6targetE1EEEvSZ_,comdat
	.globl	_ZN7rocprim17ROCPRIM_400000_NS6detail17trampoline_kernelINS0_13select_configILj256ELj13ELNS0_17block_load_methodE3ELS4_3ELS4_3ELNS0_20block_scan_algorithmE0ELj4294967295EEENS1_25partition_config_selectorILNS1_17partition_subalgoE3EjNS0_10empty_typeEbEEZZNS1_14partition_implILS8_3ELb0ES6_jNS0_17counting_iteratorIjlEEPS9_SE_NS0_5tupleIJPjSE_EEENSF_IJSE_SE_EEES9_SG_JZNS1_25segmented_radix_sort_implINS0_14default_configELb1EPK12hip_bfloat16PSL_PKlPlN2at6native12_GLOBAL__N_18offset_tEEE10hipError_tPvRmT1_PNSt15iterator_traitsISZ_E10value_typeET2_T3_PNS10_IS15_E10value_typeET4_jRbjT5_S1B_jjP12ihipStream_tbEUljE_EEESW_SX_SY_S15_S19_S1B_T6_T7_T9_mT8_S1D_bDpT10_ENKUlT_T0_E_clISt17integral_constantIbLb0EES1Q_EEDaS1L_S1M_EUlS1L_E_NS1_11comp_targetILNS1_3genE10ELNS1_11target_archE1200ELNS1_3gpuE4ELNS1_3repE0EEENS1_30default_config_static_selectorELNS0_4arch9wavefront6targetE1EEEvSZ_ ; -- Begin function _ZN7rocprim17ROCPRIM_400000_NS6detail17trampoline_kernelINS0_13select_configILj256ELj13ELNS0_17block_load_methodE3ELS4_3ELS4_3ELNS0_20block_scan_algorithmE0ELj4294967295EEENS1_25partition_config_selectorILNS1_17partition_subalgoE3EjNS0_10empty_typeEbEEZZNS1_14partition_implILS8_3ELb0ES6_jNS0_17counting_iteratorIjlEEPS9_SE_NS0_5tupleIJPjSE_EEENSF_IJSE_SE_EEES9_SG_JZNS1_25segmented_radix_sort_implINS0_14default_configELb1EPK12hip_bfloat16PSL_PKlPlN2at6native12_GLOBAL__N_18offset_tEEE10hipError_tPvRmT1_PNSt15iterator_traitsISZ_E10value_typeET2_T3_PNS10_IS15_E10value_typeET4_jRbjT5_S1B_jjP12ihipStream_tbEUljE_EEESW_SX_SY_S15_S19_S1B_T6_T7_T9_mT8_S1D_bDpT10_ENKUlT_T0_E_clISt17integral_constantIbLb0EES1Q_EEDaS1L_S1M_EUlS1L_E_NS1_11comp_targetILNS1_3genE10ELNS1_11target_archE1200ELNS1_3gpuE4ELNS1_3repE0EEENS1_30default_config_static_selectorELNS0_4arch9wavefront6targetE1EEEvSZ_
	.p2align	8
	.type	_ZN7rocprim17ROCPRIM_400000_NS6detail17trampoline_kernelINS0_13select_configILj256ELj13ELNS0_17block_load_methodE3ELS4_3ELS4_3ELNS0_20block_scan_algorithmE0ELj4294967295EEENS1_25partition_config_selectorILNS1_17partition_subalgoE3EjNS0_10empty_typeEbEEZZNS1_14partition_implILS8_3ELb0ES6_jNS0_17counting_iteratorIjlEEPS9_SE_NS0_5tupleIJPjSE_EEENSF_IJSE_SE_EEES9_SG_JZNS1_25segmented_radix_sort_implINS0_14default_configELb1EPK12hip_bfloat16PSL_PKlPlN2at6native12_GLOBAL__N_18offset_tEEE10hipError_tPvRmT1_PNSt15iterator_traitsISZ_E10value_typeET2_T3_PNS10_IS15_E10value_typeET4_jRbjT5_S1B_jjP12ihipStream_tbEUljE_EEESW_SX_SY_S15_S19_S1B_T6_T7_T9_mT8_S1D_bDpT10_ENKUlT_T0_E_clISt17integral_constantIbLb0EES1Q_EEDaS1L_S1M_EUlS1L_E_NS1_11comp_targetILNS1_3genE10ELNS1_11target_archE1200ELNS1_3gpuE4ELNS1_3repE0EEENS1_30default_config_static_selectorELNS0_4arch9wavefront6targetE1EEEvSZ_,@function
_ZN7rocprim17ROCPRIM_400000_NS6detail17trampoline_kernelINS0_13select_configILj256ELj13ELNS0_17block_load_methodE3ELS4_3ELS4_3ELNS0_20block_scan_algorithmE0ELj4294967295EEENS1_25partition_config_selectorILNS1_17partition_subalgoE3EjNS0_10empty_typeEbEEZZNS1_14partition_implILS8_3ELb0ES6_jNS0_17counting_iteratorIjlEEPS9_SE_NS0_5tupleIJPjSE_EEENSF_IJSE_SE_EEES9_SG_JZNS1_25segmented_radix_sort_implINS0_14default_configELb1EPK12hip_bfloat16PSL_PKlPlN2at6native12_GLOBAL__N_18offset_tEEE10hipError_tPvRmT1_PNSt15iterator_traitsISZ_E10value_typeET2_T3_PNS10_IS15_E10value_typeET4_jRbjT5_S1B_jjP12ihipStream_tbEUljE_EEESW_SX_SY_S15_S19_S1B_T6_T7_T9_mT8_S1D_bDpT10_ENKUlT_T0_E_clISt17integral_constantIbLb0EES1Q_EEDaS1L_S1M_EUlS1L_E_NS1_11comp_targetILNS1_3genE10ELNS1_11target_archE1200ELNS1_3gpuE4ELNS1_3repE0EEENS1_30default_config_static_selectorELNS0_4arch9wavefront6targetE1EEEvSZ_: ; @_ZN7rocprim17ROCPRIM_400000_NS6detail17trampoline_kernelINS0_13select_configILj256ELj13ELNS0_17block_load_methodE3ELS4_3ELS4_3ELNS0_20block_scan_algorithmE0ELj4294967295EEENS1_25partition_config_selectorILNS1_17partition_subalgoE3EjNS0_10empty_typeEbEEZZNS1_14partition_implILS8_3ELb0ES6_jNS0_17counting_iteratorIjlEEPS9_SE_NS0_5tupleIJPjSE_EEENSF_IJSE_SE_EEES9_SG_JZNS1_25segmented_radix_sort_implINS0_14default_configELb1EPK12hip_bfloat16PSL_PKlPlN2at6native12_GLOBAL__N_18offset_tEEE10hipError_tPvRmT1_PNSt15iterator_traitsISZ_E10value_typeET2_T3_PNS10_IS15_E10value_typeET4_jRbjT5_S1B_jjP12ihipStream_tbEUljE_EEESW_SX_SY_S15_S19_S1B_T6_T7_T9_mT8_S1D_bDpT10_ENKUlT_T0_E_clISt17integral_constantIbLb0EES1Q_EEDaS1L_S1M_EUlS1L_E_NS1_11comp_targetILNS1_3genE10ELNS1_11target_archE1200ELNS1_3gpuE4ELNS1_3repE0EEENS1_30default_config_static_selectorELNS0_4arch9wavefront6targetE1EEEvSZ_
; %bb.0:
	.section	.rodata,"a",@progbits
	.p2align	6, 0x0
	.amdhsa_kernel _ZN7rocprim17ROCPRIM_400000_NS6detail17trampoline_kernelINS0_13select_configILj256ELj13ELNS0_17block_load_methodE3ELS4_3ELS4_3ELNS0_20block_scan_algorithmE0ELj4294967295EEENS1_25partition_config_selectorILNS1_17partition_subalgoE3EjNS0_10empty_typeEbEEZZNS1_14partition_implILS8_3ELb0ES6_jNS0_17counting_iteratorIjlEEPS9_SE_NS0_5tupleIJPjSE_EEENSF_IJSE_SE_EEES9_SG_JZNS1_25segmented_radix_sort_implINS0_14default_configELb1EPK12hip_bfloat16PSL_PKlPlN2at6native12_GLOBAL__N_18offset_tEEE10hipError_tPvRmT1_PNSt15iterator_traitsISZ_E10value_typeET2_T3_PNS10_IS15_E10value_typeET4_jRbjT5_S1B_jjP12ihipStream_tbEUljE_EEESW_SX_SY_S15_S19_S1B_T6_T7_T9_mT8_S1D_bDpT10_ENKUlT_T0_E_clISt17integral_constantIbLb0EES1Q_EEDaS1L_S1M_EUlS1L_E_NS1_11comp_targetILNS1_3genE10ELNS1_11target_archE1200ELNS1_3gpuE4ELNS1_3repE0EEENS1_30default_config_static_selectorELNS0_4arch9wavefront6targetE1EEEvSZ_
		.amdhsa_group_segment_fixed_size 0
		.amdhsa_private_segment_fixed_size 0
		.amdhsa_kernarg_size 144
		.amdhsa_user_sgpr_count 6
		.amdhsa_user_sgpr_private_segment_buffer 1
		.amdhsa_user_sgpr_dispatch_ptr 0
		.amdhsa_user_sgpr_queue_ptr 0
		.amdhsa_user_sgpr_kernarg_segment_ptr 1
		.amdhsa_user_sgpr_dispatch_id 0
		.amdhsa_user_sgpr_flat_scratch_init 0
		.amdhsa_user_sgpr_kernarg_preload_length 0
		.amdhsa_user_sgpr_kernarg_preload_offset 0
		.amdhsa_user_sgpr_private_segment_size 0
		.amdhsa_uses_dynamic_stack 0
		.amdhsa_system_sgpr_private_segment_wavefront_offset 0
		.amdhsa_system_sgpr_workgroup_id_x 1
		.amdhsa_system_sgpr_workgroup_id_y 0
		.amdhsa_system_sgpr_workgroup_id_z 0
		.amdhsa_system_sgpr_workgroup_info 0
		.amdhsa_system_vgpr_workitem_id 0
		.amdhsa_next_free_vgpr 1
		.amdhsa_next_free_sgpr 0
		.amdhsa_accum_offset 4
		.amdhsa_reserve_vcc 0
		.amdhsa_reserve_flat_scratch 0
		.amdhsa_float_round_mode_32 0
		.amdhsa_float_round_mode_16_64 0
		.amdhsa_float_denorm_mode_32 3
		.amdhsa_float_denorm_mode_16_64 3
		.amdhsa_dx10_clamp 1
		.amdhsa_ieee_mode 1
		.amdhsa_fp16_overflow 0
		.amdhsa_tg_split 0
		.amdhsa_exception_fp_ieee_invalid_op 0
		.amdhsa_exception_fp_denorm_src 0
		.amdhsa_exception_fp_ieee_div_zero 0
		.amdhsa_exception_fp_ieee_overflow 0
		.amdhsa_exception_fp_ieee_underflow 0
		.amdhsa_exception_fp_ieee_inexact 0
		.amdhsa_exception_int_div_zero 0
	.end_amdhsa_kernel
	.section	.text._ZN7rocprim17ROCPRIM_400000_NS6detail17trampoline_kernelINS0_13select_configILj256ELj13ELNS0_17block_load_methodE3ELS4_3ELS4_3ELNS0_20block_scan_algorithmE0ELj4294967295EEENS1_25partition_config_selectorILNS1_17partition_subalgoE3EjNS0_10empty_typeEbEEZZNS1_14partition_implILS8_3ELb0ES6_jNS0_17counting_iteratorIjlEEPS9_SE_NS0_5tupleIJPjSE_EEENSF_IJSE_SE_EEES9_SG_JZNS1_25segmented_radix_sort_implINS0_14default_configELb1EPK12hip_bfloat16PSL_PKlPlN2at6native12_GLOBAL__N_18offset_tEEE10hipError_tPvRmT1_PNSt15iterator_traitsISZ_E10value_typeET2_T3_PNS10_IS15_E10value_typeET4_jRbjT5_S1B_jjP12ihipStream_tbEUljE_EEESW_SX_SY_S15_S19_S1B_T6_T7_T9_mT8_S1D_bDpT10_ENKUlT_T0_E_clISt17integral_constantIbLb0EES1Q_EEDaS1L_S1M_EUlS1L_E_NS1_11comp_targetILNS1_3genE10ELNS1_11target_archE1200ELNS1_3gpuE4ELNS1_3repE0EEENS1_30default_config_static_selectorELNS0_4arch9wavefront6targetE1EEEvSZ_,"axG",@progbits,_ZN7rocprim17ROCPRIM_400000_NS6detail17trampoline_kernelINS0_13select_configILj256ELj13ELNS0_17block_load_methodE3ELS4_3ELS4_3ELNS0_20block_scan_algorithmE0ELj4294967295EEENS1_25partition_config_selectorILNS1_17partition_subalgoE3EjNS0_10empty_typeEbEEZZNS1_14partition_implILS8_3ELb0ES6_jNS0_17counting_iteratorIjlEEPS9_SE_NS0_5tupleIJPjSE_EEENSF_IJSE_SE_EEES9_SG_JZNS1_25segmented_radix_sort_implINS0_14default_configELb1EPK12hip_bfloat16PSL_PKlPlN2at6native12_GLOBAL__N_18offset_tEEE10hipError_tPvRmT1_PNSt15iterator_traitsISZ_E10value_typeET2_T3_PNS10_IS15_E10value_typeET4_jRbjT5_S1B_jjP12ihipStream_tbEUljE_EEESW_SX_SY_S15_S19_S1B_T6_T7_T9_mT8_S1D_bDpT10_ENKUlT_T0_E_clISt17integral_constantIbLb0EES1Q_EEDaS1L_S1M_EUlS1L_E_NS1_11comp_targetILNS1_3genE10ELNS1_11target_archE1200ELNS1_3gpuE4ELNS1_3repE0EEENS1_30default_config_static_selectorELNS0_4arch9wavefront6targetE1EEEvSZ_,comdat
.Lfunc_end1917:
	.size	_ZN7rocprim17ROCPRIM_400000_NS6detail17trampoline_kernelINS0_13select_configILj256ELj13ELNS0_17block_load_methodE3ELS4_3ELS4_3ELNS0_20block_scan_algorithmE0ELj4294967295EEENS1_25partition_config_selectorILNS1_17partition_subalgoE3EjNS0_10empty_typeEbEEZZNS1_14partition_implILS8_3ELb0ES6_jNS0_17counting_iteratorIjlEEPS9_SE_NS0_5tupleIJPjSE_EEENSF_IJSE_SE_EEES9_SG_JZNS1_25segmented_radix_sort_implINS0_14default_configELb1EPK12hip_bfloat16PSL_PKlPlN2at6native12_GLOBAL__N_18offset_tEEE10hipError_tPvRmT1_PNSt15iterator_traitsISZ_E10value_typeET2_T3_PNS10_IS15_E10value_typeET4_jRbjT5_S1B_jjP12ihipStream_tbEUljE_EEESW_SX_SY_S15_S19_S1B_T6_T7_T9_mT8_S1D_bDpT10_ENKUlT_T0_E_clISt17integral_constantIbLb0EES1Q_EEDaS1L_S1M_EUlS1L_E_NS1_11comp_targetILNS1_3genE10ELNS1_11target_archE1200ELNS1_3gpuE4ELNS1_3repE0EEENS1_30default_config_static_selectorELNS0_4arch9wavefront6targetE1EEEvSZ_, .Lfunc_end1917-_ZN7rocprim17ROCPRIM_400000_NS6detail17trampoline_kernelINS0_13select_configILj256ELj13ELNS0_17block_load_methodE3ELS4_3ELS4_3ELNS0_20block_scan_algorithmE0ELj4294967295EEENS1_25partition_config_selectorILNS1_17partition_subalgoE3EjNS0_10empty_typeEbEEZZNS1_14partition_implILS8_3ELb0ES6_jNS0_17counting_iteratorIjlEEPS9_SE_NS0_5tupleIJPjSE_EEENSF_IJSE_SE_EEES9_SG_JZNS1_25segmented_radix_sort_implINS0_14default_configELb1EPK12hip_bfloat16PSL_PKlPlN2at6native12_GLOBAL__N_18offset_tEEE10hipError_tPvRmT1_PNSt15iterator_traitsISZ_E10value_typeET2_T3_PNS10_IS15_E10value_typeET4_jRbjT5_S1B_jjP12ihipStream_tbEUljE_EEESW_SX_SY_S15_S19_S1B_T6_T7_T9_mT8_S1D_bDpT10_ENKUlT_T0_E_clISt17integral_constantIbLb0EES1Q_EEDaS1L_S1M_EUlS1L_E_NS1_11comp_targetILNS1_3genE10ELNS1_11target_archE1200ELNS1_3gpuE4ELNS1_3repE0EEENS1_30default_config_static_selectorELNS0_4arch9wavefront6targetE1EEEvSZ_
                                        ; -- End function
	.section	.AMDGPU.csdata,"",@progbits
; Kernel info:
; codeLenInByte = 0
; NumSgprs: 4
; NumVgprs: 0
; NumAgprs: 0
; TotalNumVgprs: 0
; ScratchSize: 0
; MemoryBound: 0
; FloatMode: 240
; IeeeMode: 1
; LDSByteSize: 0 bytes/workgroup (compile time only)
; SGPRBlocks: 0
; VGPRBlocks: 0
; NumSGPRsForWavesPerEU: 4
; NumVGPRsForWavesPerEU: 1
; AccumOffset: 4
; Occupancy: 8
; WaveLimiterHint : 0
; COMPUTE_PGM_RSRC2:SCRATCH_EN: 0
; COMPUTE_PGM_RSRC2:USER_SGPR: 6
; COMPUTE_PGM_RSRC2:TRAP_HANDLER: 0
; COMPUTE_PGM_RSRC2:TGID_X_EN: 1
; COMPUTE_PGM_RSRC2:TGID_Y_EN: 0
; COMPUTE_PGM_RSRC2:TGID_Z_EN: 0
; COMPUTE_PGM_RSRC2:TIDIG_COMP_CNT: 0
; COMPUTE_PGM_RSRC3_GFX90A:ACCUM_OFFSET: 0
; COMPUTE_PGM_RSRC3_GFX90A:TG_SPLIT: 0
	.section	.text._ZN7rocprim17ROCPRIM_400000_NS6detail17trampoline_kernelINS0_13select_configILj256ELj13ELNS0_17block_load_methodE3ELS4_3ELS4_3ELNS0_20block_scan_algorithmE0ELj4294967295EEENS1_25partition_config_selectorILNS1_17partition_subalgoE3EjNS0_10empty_typeEbEEZZNS1_14partition_implILS8_3ELb0ES6_jNS0_17counting_iteratorIjlEEPS9_SE_NS0_5tupleIJPjSE_EEENSF_IJSE_SE_EEES9_SG_JZNS1_25segmented_radix_sort_implINS0_14default_configELb1EPK12hip_bfloat16PSL_PKlPlN2at6native12_GLOBAL__N_18offset_tEEE10hipError_tPvRmT1_PNSt15iterator_traitsISZ_E10value_typeET2_T3_PNS10_IS15_E10value_typeET4_jRbjT5_S1B_jjP12ihipStream_tbEUljE_EEESW_SX_SY_S15_S19_S1B_T6_T7_T9_mT8_S1D_bDpT10_ENKUlT_T0_E_clISt17integral_constantIbLb0EES1Q_EEDaS1L_S1M_EUlS1L_E_NS1_11comp_targetILNS1_3genE9ELNS1_11target_archE1100ELNS1_3gpuE3ELNS1_3repE0EEENS1_30default_config_static_selectorELNS0_4arch9wavefront6targetE1EEEvSZ_,"axG",@progbits,_ZN7rocprim17ROCPRIM_400000_NS6detail17trampoline_kernelINS0_13select_configILj256ELj13ELNS0_17block_load_methodE3ELS4_3ELS4_3ELNS0_20block_scan_algorithmE0ELj4294967295EEENS1_25partition_config_selectorILNS1_17partition_subalgoE3EjNS0_10empty_typeEbEEZZNS1_14partition_implILS8_3ELb0ES6_jNS0_17counting_iteratorIjlEEPS9_SE_NS0_5tupleIJPjSE_EEENSF_IJSE_SE_EEES9_SG_JZNS1_25segmented_radix_sort_implINS0_14default_configELb1EPK12hip_bfloat16PSL_PKlPlN2at6native12_GLOBAL__N_18offset_tEEE10hipError_tPvRmT1_PNSt15iterator_traitsISZ_E10value_typeET2_T3_PNS10_IS15_E10value_typeET4_jRbjT5_S1B_jjP12ihipStream_tbEUljE_EEESW_SX_SY_S15_S19_S1B_T6_T7_T9_mT8_S1D_bDpT10_ENKUlT_T0_E_clISt17integral_constantIbLb0EES1Q_EEDaS1L_S1M_EUlS1L_E_NS1_11comp_targetILNS1_3genE9ELNS1_11target_archE1100ELNS1_3gpuE3ELNS1_3repE0EEENS1_30default_config_static_selectorELNS0_4arch9wavefront6targetE1EEEvSZ_,comdat
	.globl	_ZN7rocprim17ROCPRIM_400000_NS6detail17trampoline_kernelINS0_13select_configILj256ELj13ELNS0_17block_load_methodE3ELS4_3ELS4_3ELNS0_20block_scan_algorithmE0ELj4294967295EEENS1_25partition_config_selectorILNS1_17partition_subalgoE3EjNS0_10empty_typeEbEEZZNS1_14partition_implILS8_3ELb0ES6_jNS0_17counting_iteratorIjlEEPS9_SE_NS0_5tupleIJPjSE_EEENSF_IJSE_SE_EEES9_SG_JZNS1_25segmented_radix_sort_implINS0_14default_configELb1EPK12hip_bfloat16PSL_PKlPlN2at6native12_GLOBAL__N_18offset_tEEE10hipError_tPvRmT1_PNSt15iterator_traitsISZ_E10value_typeET2_T3_PNS10_IS15_E10value_typeET4_jRbjT5_S1B_jjP12ihipStream_tbEUljE_EEESW_SX_SY_S15_S19_S1B_T6_T7_T9_mT8_S1D_bDpT10_ENKUlT_T0_E_clISt17integral_constantIbLb0EES1Q_EEDaS1L_S1M_EUlS1L_E_NS1_11comp_targetILNS1_3genE9ELNS1_11target_archE1100ELNS1_3gpuE3ELNS1_3repE0EEENS1_30default_config_static_selectorELNS0_4arch9wavefront6targetE1EEEvSZ_ ; -- Begin function _ZN7rocprim17ROCPRIM_400000_NS6detail17trampoline_kernelINS0_13select_configILj256ELj13ELNS0_17block_load_methodE3ELS4_3ELS4_3ELNS0_20block_scan_algorithmE0ELj4294967295EEENS1_25partition_config_selectorILNS1_17partition_subalgoE3EjNS0_10empty_typeEbEEZZNS1_14partition_implILS8_3ELb0ES6_jNS0_17counting_iteratorIjlEEPS9_SE_NS0_5tupleIJPjSE_EEENSF_IJSE_SE_EEES9_SG_JZNS1_25segmented_radix_sort_implINS0_14default_configELb1EPK12hip_bfloat16PSL_PKlPlN2at6native12_GLOBAL__N_18offset_tEEE10hipError_tPvRmT1_PNSt15iterator_traitsISZ_E10value_typeET2_T3_PNS10_IS15_E10value_typeET4_jRbjT5_S1B_jjP12ihipStream_tbEUljE_EEESW_SX_SY_S15_S19_S1B_T6_T7_T9_mT8_S1D_bDpT10_ENKUlT_T0_E_clISt17integral_constantIbLb0EES1Q_EEDaS1L_S1M_EUlS1L_E_NS1_11comp_targetILNS1_3genE9ELNS1_11target_archE1100ELNS1_3gpuE3ELNS1_3repE0EEENS1_30default_config_static_selectorELNS0_4arch9wavefront6targetE1EEEvSZ_
	.p2align	8
	.type	_ZN7rocprim17ROCPRIM_400000_NS6detail17trampoline_kernelINS0_13select_configILj256ELj13ELNS0_17block_load_methodE3ELS4_3ELS4_3ELNS0_20block_scan_algorithmE0ELj4294967295EEENS1_25partition_config_selectorILNS1_17partition_subalgoE3EjNS0_10empty_typeEbEEZZNS1_14partition_implILS8_3ELb0ES6_jNS0_17counting_iteratorIjlEEPS9_SE_NS0_5tupleIJPjSE_EEENSF_IJSE_SE_EEES9_SG_JZNS1_25segmented_radix_sort_implINS0_14default_configELb1EPK12hip_bfloat16PSL_PKlPlN2at6native12_GLOBAL__N_18offset_tEEE10hipError_tPvRmT1_PNSt15iterator_traitsISZ_E10value_typeET2_T3_PNS10_IS15_E10value_typeET4_jRbjT5_S1B_jjP12ihipStream_tbEUljE_EEESW_SX_SY_S15_S19_S1B_T6_T7_T9_mT8_S1D_bDpT10_ENKUlT_T0_E_clISt17integral_constantIbLb0EES1Q_EEDaS1L_S1M_EUlS1L_E_NS1_11comp_targetILNS1_3genE9ELNS1_11target_archE1100ELNS1_3gpuE3ELNS1_3repE0EEENS1_30default_config_static_selectorELNS0_4arch9wavefront6targetE1EEEvSZ_,@function
_ZN7rocprim17ROCPRIM_400000_NS6detail17trampoline_kernelINS0_13select_configILj256ELj13ELNS0_17block_load_methodE3ELS4_3ELS4_3ELNS0_20block_scan_algorithmE0ELj4294967295EEENS1_25partition_config_selectorILNS1_17partition_subalgoE3EjNS0_10empty_typeEbEEZZNS1_14partition_implILS8_3ELb0ES6_jNS0_17counting_iteratorIjlEEPS9_SE_NS0_5tupleIJPjSE_EEENSF_IJSE_SE_EEES9_SG_JZNS1_25segmented_radix_sort_implINS0_14default_configELb1EPK12hip_bfloat16PSL_PKlPlN2at6native12_GLOBAL__N_18offset_tEEE10hipError_tPvRmT1_PNSt15iterator_traitsISZ_E10value_typeET2_T3_PNS10_IS15_E10value_typeET4_jRbjT5_S1B_jjP12ihipStream_tbEUljE_EEESW_SX_SY_S15_S19_S1B_T6_T7_T9_mT8_S1D_bDpT10_ENKUlT_T0_E_clISt17integral_constantIbLb0EES1Q_EEDaS1L_S1M_EUlS1L_E_NS1_11comp_targetILNS1_3genE9ELNS1_11target_archE1100ELNS1_3gpuE3ELNS1_3repE0EEENS1_30default_config_static_selectorELNS0_4arch9wavefront6targetE1EEEvSZ_: ; @_ZN7rocprim17ROCPRIM_400000_NS6detail17trampoline_kernelINS0_13select_configILj256ELj13ELNS0_17block_load_methodE3ELS4_3ELS4_3ELNS0_20block_scan_algorithmE0ELj4294967295EEENS1_25partition_config_selectorILNS1_17partition_subalgoE3EjNS0_10empty_typeEbEEZZNS1_14partition_implILS8_3ELb0ES6_jNS0_17counting_iteratorIjlEEPS9_SE_NS0_5tupleIJPjSE_EEENSF_IJSE_SE_EEES9_SG_JZNS1_25segmented_radix_sort_implINS0_14default_configELb1EPK12hip_bfloat16PSL_PKlPlN2at6native12_GLOBAL__N_18offset_tEEE10hipError_tPvRmT1_PNSt15iterator_traitsISZ_E10value_typeET2_T3_PNS10_IS15_E10value_typeET4_jRbjT5_S1B_jjP12ihipStream_tbEUljE_EEESW_SX_SY_S15_S19_S1B_T6_T7_T9_mT8_S1D_bDpT10_ENKUlT_T0_E_clISt17integral_constantIbLb0EES1Q_EEDaS1L_S1M_EUlS1L_E_NS1_11comp_targetILNS1_3genE9ELNS1_11target_archE1100ELNS1_3gpuE3ELNS1_3repE0EEENS1_30default_config_static_selectorELNS0_4arch9wavefront6targetE1EEEvSZ_
; %bb.0:
	.section	.rodata,"a",@progbits
	.p2align	6, 0x0
	.amdhsa_kernel _ZN7rocprim17ROCPRIM_400000_NS6detail17trampoline_kernelINS0_13select_configILj256ELj13ELNS0_17block_load_methodE3ELS4_3ELS4_3ELNS0_20block_scan_algorithmE0ELj4294967295EEENS1_25partition_config_selectorILNS1_17partition_subalgoE3EjNS0_10empty_typeEbEEZZNS1_14partition_implILS8_3ELb0ES6_jNS0_17counting_iteratorIjlEEPS9_SE_NS0_5tupleIJPjSE_EEENSF_IJSE_SE_EEES9_SG_JZNS1_25segmented_radix_sort_implINS0_14default_configELb1EPK12hip_bfloat16PSL_PKlPlN2at6native12_GLOBAL__N_18offset_tEEE10hipError_tPvRmT1_PNSt15iterator_traitsISZ_E10value_typeET2_T3_PNS10_IS15_E10value_typeET4_jRbjT5_S1B_jjP12ihipStream_tbEUljE_EEESW_SX_SY_S15_S19_S1B_T6_T7_T9_mT8_S1D_bDpT10_ENKUlT_T0_E_clISt17integral_constantIbLb0EES1Q_EEDaS1L_S1M_EUlS1L_E_NS1_11comp_targetILNS1_3genE9ELNS1_11target_archE1100ELNS1_3gpuE3ELNS1_3repE0EEENS1_30default_config_static_selectorELNS0_4arch9wavefront6targetE1EEEvSZ_
		.amdhsa_group_segment_fixed_size 0
		.amdhsa_private_segment_fixed_size 0
		.amdhsa_kernarg_size 144
		.amdhsa_user_sgpr_count 6
		.amdhsa_user_sgpr_private_segment_buffer 1
		.amdhsa_user_sgpr_dispatch_ptr 0
		.amdhsa_user_sgpr_queue_ptr 0
		.amdhsa_user_sgpr_kernarg_segment_ptr 1
		.amdhsa_user_sgpr_dispatch_id 0
		.amdhsa_user_sgpr_flat_scratch_init 0
		.amdhsa_user_sgpr_kernarg_preload_length 0
		.amdhsa_user_sgpr_kernarg_preload_offset 0
		.amdhsa_user_sgpr_private_segment_size 0
		.amdhsa_uses_dynamic_stack 0
		.amdhsa_system_sgpr_private_segment_wavefront_offset 0
		.amdhsa_system_sgpr_workgroup_id_x 1
		.amdhsa_system_sgpr_workgroup_id_y 0
		.amdhsa_system_sgpr_workgroup_id_z 0
		.amdhsa_system_sgpr_workgroup_info 0
		.amdhsa_system_vgpr_workitem_id 0
		.amdhsa_next_free_vgpr 1
		.amdhsa_next_free_sgpr 0
		.amdhsa_accum_offset 4
		.amdhsa_reserve_vcc 0
		.amdhsa_reserve_flat_scratch 0
		.amdhsa_float_round_mode_32 0
		.amdhsa_float_round_mode_16_64 0
		.amdhsa_float_denorm_mode_32 3
		.amdhsa_float_denorm_mode_16_64 3
		.amdhsa_dx10_clamp 1
		.amdhsa_ieee_mode 1
		.amdhsa_fp16_overflow 0
		.amdhsa_tg_split 0
		.amdhsa_exception_fp_ieee_invalid_op 0
		.amdhsa_exception_fp_denorm_src 0
		.amdhsa_exception_fp_ieee_div_zero 0
		.amdhsa_exception_fp_ieee_overflow 0
		.amdhsa_exception_fp_ieee_underflow 0
		.amdhsa_exception_fp_ieee_inexact 0
		.amdhsa_exception_int_div_zero 0
	.end_amdhsa_kernel
	.section	.text._ZN7rocprim17ROCPRIM_400000_NS6detail17trampoline_kernelINS0_13select_configILj256ELj13ELNS0_17block_load_methodE3ELS4_3ELS4_3ELNS0_20block_scan_algorithmE0ELj4294967295EEENS1_25partition_config_selectorILNS1_17partition_subalgoE3EjNS0_10empty_typeEbEEZZNS1_14partition_implILS8_3ELb0ES6_jNS0_17counting_iteratorIjlEEPS9_SE_NS0_5tupleIJPjSE_EEENSF_IJSE_SE_EEES9_SG_JZNS1_25segmented_radix_sort_implINS0_14default_configELb1EPK12hip_bfloat16PSL_PKlPlN2at6native12_GLOBAL__N_18offset_tEEE10hipError_tPvRmT1_PNSt15iterator_traitsISZ_E10value_typeET2_T3_PNS10_IS15_E10value_typeET4_jRbjT5_S1B_jjP12ihipStream_tbEUljE_EEESW_SX_SY_S15_S19_S1B_T6_T7_T9_mT8_S1D_bDpT10_ENKUlT_T0_E_clISt17integral_constantIbLb0EES1Q_EEDaS1L_S1M_EUlS1L_E_NS1_11comp_targetILNS1_3genE9ELNS1_11target_archE1100ELNS1_3gpuE3ELNS1_3repE0EEENS1_30default_config_static_selectorELNS0_4arch9wavefront6targetE1EEEvSZ_,"axG",@progbits,_ZN7rocprim17ROCPRIM_400000_NS6detail17trampoline_kernelINS0_13select_configILj256ELj13ELNS0_17block_load_methodE3ELS4_3ELS4_3ELNS0_20block_scan_algorithmE0ELj4294967295EEENS1_25partition_config_selectorILNS1_17partition_subalgoE3EjNS0_10empty_typeEbEEZZNS1_14partition_implILS8_3ELb0ES6_jNS0_17counting_iteratorIjlEEPS9_SE_NS0_5tupleIJPjSE_EEENSF_IJSE_SE_EEES9_SG_JZNS1_25segmented_radix_sort_implINS0_14default_configELb1EPK12hip_bfloat16PSL_PKlPlN2at6native12_GLOBAL__N_18offset_tEEE10hipError_tPvRmT1_PNSt15iterator_traitsISZ_E10value_typeET2_T3_PNS10_IS15_E10value_typeET4_jRbjT5_S1B_jjP12ihipStream_tbEUljE_EEESW_SX_SY_S15_S19_S1B_T6_T7_T9_mT8_S1D_bDpT10_ENKUlT_T0_E_clISt17integral_constantIbLb0EES1Q_EEDaS1L_S1M_EUlS1L_E_NS1_11comp_targetILNS1_3genE9ELNS1_11target_archE1100ELNS1_3gpuE3ELNS1_3repE0EEENS1_30default_config_static_selectorELNS0_4arch9wavefront6targetE1EEEvSZ_,comdat
.Lfunc_end1918:
	.size	_ZN7rocprim17ROCPRIM_400000_NS6detail17trampoline_kernelINS0_13select_configILj256ELj13ELNS0_17block_load_methodE3ELS4_3ELS4_3ELNS0_20block_scan_algorithmE0ELj4294967295EEENS1_25partition_config_selectorILNS1_17partition_subalgoE3EjNS0_10empty_typeEbEEZZNS1_14partition_implILS8_3ELb0ES6_jNS0_17counting_iteratorIjlEEPS9_SE_NS0_5tupleIJPjSE_EEENSF_IJSE_SE_EEES9_SG_JZNS1_25segmented_radix_sort_implINS0_14default_configELb1EPK12hip_bfloat16PSL_PKlPlN2at6native12_GLOBAL__N_18offset_tEEE10hipError_tPvRmT1_PNSt15iterator_traitsISZ_E10value_typeET2_T3_PNS10_IS15_E10value_typeET4_jRbjT5_S1B_jjP12ihipStream_tbEUljE_EEESW_SX_SY_S15_S19_S1B_T6_T7_T9_mT8_S1D_bDpT10_ENKUlT_T0_E_clISt17integral_constantIbLb0EES1Q_EEDaS1L_S1M_EUlS1L_E_NS1_11comp_targetILNS1_3genE9ELNS1_11target_archE1100ELNS1_3gpuE3ELNS1_3repE0EEENS1_30default_config_static_selectorELNS0_4arch9wavefront6targetE1EEEvSZ_, .Lfunc_end1918-_ZN7rocprim17ROCPRIM_400000_NS6detail17trampoline_kernelINS0_13select_configILj256ELj13ELNS0_17block_load_methodE3ELS4_3ELS4_3ELNS0_20block_scan_algorithmE0ELj4294967295EEENS1_25partition_config_selectorILNS1_17partition_subalgoE3EjNS0_10empty_typeEbEEZZNS1_14partition_implILS8_3ELb0ES6_jNS0_17counting_iteratorIjlEEPS9_SE_NS0_5tupleIJPjSE_EEENSF_IJSE_SE_EEES9_SG_JZNS1_25segmented_radix_sort_implINS0_14default_configELb1EPK12hip_bfloat16PSL_PKlPlN2at6native12_GLOBAL__N_18offset_tEEE10hipError_tPvRmT1_PNSt15iterator_traitsISZ_E10value_typeET2_T3_PNS10_IS15_E10value_typeET4_jRbjT5_S1B_jjP12ihipStream_tbEUljE_EEESW_SX_SY_S15_S19_S1B_T6_T7_T9_mT8_S1D_bDpT10_ENKUlT_T0_E_clISt17integral_constantIbLb0EES1Q_EEDaS1L_S1M_EUlS1L_E_NS1_11comp_targetILNS1_3genE9ELNS1_11target_archE1100ELNS1_3gpuE3ELNS1_3repE0EEENS1_30default_config_static_selectorELNS0_4arch9wavefront6targetE1EEEvSZ_
                                        ; -- End function
	.section	.AMDGPU.csdata,"",@progbits
; Kernel info:
; codeLenInByte = 0
; NumSgprs: 4
; NumVgprs: 0
; NumAgprs: 0
; TotalNumVgprs: 0
; ScratchSize: 0
; MemoryBound: 0
; FloatMode: 240
; IeeeMode: 1
; LDSByteSize: 0 bytes/workgroup (compile time only)
; SGPRBlocks: 0
; VGPRBlocks: 0
; NumSGPRsForWavesPerEU: 4
; NumVGPRsForWavesPerEU: 1
; AccumOffset: 4
; Occupancy: 8
; WaveLimiterHint : 0
; COMPUTE_PGM_RSRC2:SCRATCH_EN: 0
; COMPUTE_PGM_RSRC2:USER_SGPR: 6
; COMPUTE_PGM_RSRC2:TRAP_HANDLER: 0
; COMPUTE_PGM_RSRC2:TGID_X_EN: 1
; COMPUTE_PGM_RSRC2:TGID_Y_EN: 0
; COMPUTE_PGM_RSRC2:TGID_Z_EN: 0
; COMPUTE_PGM_RSRC2:TIDIG_COMP_CNT: 0
; COMPUTE_PGM_RSRC3_GFX90A:ACCUM_OFFSET: 0
; COMPUTE_PGM_RSRC3_GFX90A:TG_SPLIT: 0
	.section	.text._ZN7rocprim17ROCPRIM_400000_NS6detail17trampoline_kernelINS0_13select_configILj256ELj13ELNS0_17block_load_methodE3ELS4_3ELS4_3ELNS0_20block_scan_algorithmE0ELj4294967295EEENS1_25partition_config_selectorILNS1_17partition_subalgoE3EjNS0_10empty_typeEbEEZZNS1_14partition_implILS8_3ELb0ES6_jNS0_17counting_iteratorIjlEEPS9_SE_NS0_5tupleIJPjSE_EEENSF_IJSE_SE_EEES9_SG_JZNS1_25segmented_radix_sort_implINS0_14default_configELb1EPK12hip_bfloat16PSL_PKlPlN2at6native12_GLOBAL__N_18offset_tEEE10hipError_tPvRmT1_PNSt15iterator_traitsISZ_E10value_typeET2_T3_PNS10_IS15_E10value_typeET4_jRbjT5_S1B_jjP12ihipStream_tbEUljE_EEESW_SX_SY_S15_S19_S1B_T6_T7_T9_mT8_S1D_bDpT10_ENKUlT_T0_E_clISt17integral_constantIbLb0EES1Q_EEDaS1L_S1M_EUlS1L_E_NS1_11comp_targetILNS1_3genE8ELNS1_11target_archE1030ELNS1_3gpuE2ELNS1_3repE0EEENS1_30default_config_static_selectorELNS0_4arch9wavefront6targetE1EEEvSZ_,"axG",@progbits,_ZN7rocprim17ROCPRIM_400000_NS6detail17trampoline_kernelINS0_13select_configILj256ELj13ELNS0_17block_load_methodE3ELS4_3ELS4_3ELNS0_20block_scan_algorithmE0ELj4294967295EEENS1_25partition_config_selectorILNS1_17partition_subalgoE3EjNS0_10empty_typeEbEEZZNS1_14partition_implILS8_3ELb0ES6_jNS0_17counting_iteratorIjlEEPS9_SE_NS0_5tupleIJPjSE_EEENSF_IJSE_SE_EEES9_SG_JZNS1_25segmented_radix_sort_implINS0_14default_configELb1EPK12hip_bfloat16PSL_PKlPlN2at6native12_GLOBAL__N_18offset_tEEE10hipError_tPvRmT1_PNSt15iterator_traitsISZ_E10value_typeET2_T3_PNS10_IS15_E10value_typeET4_jRbjT5_S1B_jjP12ihipStream_tbEUljE_EEESW_SX_SY_S15_S19_S1B_T6_T7_T9_mT8_S1D_bDpT10_ENKUlT_T0_E_clISt17integral_constantIbLb0EES1Q_EEDaS1L_S1M_EUlS1L_E_NS1_11comp_targetILNS1_3genE8ELNS1_11target_archE1030ELNS1_3gpuE2ELNS1_3repE0EEENS1_30default_config_static_selectorELNS0_4arch9wavefront6targetE1EEEvSZ_,comdat
	.globl	_ZN7rocprim17ROCPRIM_400000_NS6detail17trampoline_kernelINS0_13select_configILj256ELj13ELNS0_17block_load_methodE3ELS4_3ELS4_3ELNS0_20block_scan_algorithmE0ELj4294967295EEENS1_25partition_config_selectorILNS1_17partition_subalgoE3EjNS0_10empty_typeEbEEZZNS1_14partition_implILS8_3ELb0ES6_jNS0_17counting_iteratorIjlEEPS9_SE_NS0_5tupleIJPjSE_EEENSF_IJSE_SE_EEES9_SG_JZNS1_25segmented_radix_sort_implINS0_14default_configELb1EPK12hip_bfloat16PSL_PKlPlN2at6native12_GLOBAL__N_18offset_tEEE10hipError_tPvRmT1_PNSt15iterator_traitsISZ_E10value_typeET2_T3_PNS10_IS15_E10value_typeET4_jRbjT5_S1B_jjP12ihipStream_tbEUljE_EEESW_SX_SY_S15_S19_S1B_T6_T7_T9_mT8_S1D_bDpT10_ENKUlT_T0_E_clISt17integral_constantIbLb0EES1Q_EEDaS1L_S1M_EUlS1L_E_NS1_11comp_targetILNS1_3genE8ELNS1_11target_archE1030ELNS1_3gpuE2ELNS1_3repE0EEENS1_30default_config_static_selectorELNS0_4arch9wavefront6targetE1EEEvSZ_ ; -- Begin function _ZN7rocprim17ROCPRIM_400000_NS6detail17trampoline_kernelINS0_13select_configILj256ELj13ELNS0_17block_load_methodE3ELS4_3ELS4_3ELNS0_20block_scan_algorithmE0ELj4294967295EEENS1_25partition_config_selectorILNS1_17partition_subalgoE3EjNS0_10empty_typeEbEEZZNS1_14partition_implILS8_3ELb0ES6_jNS0_17counting_iteratorIjlEEPS9_SE_NS0_5tupleIJPjSE_EEENSF_IJSE_SE_EEES9_SG_JZNS1_25segmented_radix_sort_implINS0_14default_configELb1EPK12hip_bfloat16PSL_PKlPlN2at6native12_GLOBAL__N_18offset_tEEE10hipError_tPvRmT1_PNSt15iterator_traitsISZ_E10value_typeET2_T3_PNS10_IS15_E10value_typeET4_jRbjT5_S1B_jjP12ihipStream_tbEUljE_EEESW_SX_SY_S15_S19_S1B_T6_T7_T9_mT8_S1D_bDpT10_ENKUlT_T0_E_clISt17integral_constantIbLb0EES1Q_EEDaS1L_S1M_EUlS1L_E_NS1_11comp_targetILNS1_3genE8ELNS1_11target_archE1030ELNS1_3gpuE2ELNS1_3repE0EEENS1_30default_config_static_selectorELNS0_4arch9wavefront6targetE1EEEvSZ_
	.p2align	8
	.type	_ZN7rocprim17ROCPRIM_400000_NS6detail17trampoline_kernelINS0_13select_configILj256ELj13ELNS0_17block_load_methodE3ELS4_3ELS4_3ELNS0_20block_scan_algorithmE0ELj4294967295EEENS1_25partition_config_selectorILNS1_17partition_subalgoE3EjNS0_10empty_typeEbEEZZNS1_14partition_implILS8_3ELb0ES6_jNS0_17counting_iteratorIjlEEPS9_SE_NS0_5tupleIJPjSE_EEENSF_IJSE_SE_EEES9_SG_JZNS1_25segmented_radix_sort_implINS0_14default_configELb1EPK12hip_bfloat16PSL_PKlPlN2at6native12_GLOBAL__N_18offset_tEEE10hipError_tPvRmT1_PNSt15iterator_traitsISZ_E10value_typeET2_T3_PNS10_IS15_E10value_typeET4_jRbjT5_S1B_jjP12ihipStream_tbEUljE_EEESW_SX_SY_S15_S19_S1B_T6_T7_T9_mT8_S1D_bDpT10_ENKUlT_T0_E_clISt17integral_constantIbLb0EES1Q_EEDaS1L_S1M_EUlS1L_E_NS1_11comp_targetILNS1_3genE8ELNS1_11target_archE1030ELNS1_3gpuE2ELNS1_3repE0EEENS1_30default_config_static_selectorELNS0_4arch9wavefront6targetE1EEEvSZ_,@function
_ZN7rocprim17ROCPRIM_400000_NS6detail17trampoline_kernelINS0_13select_configILj256ELj13ELNS0_17block_load_methodE3ELS4_3ELS4_3ELNS0_20block_scan_algorithmE0ELj4294967295EEENS1_25partition_config_selectorILNS1_17partition_subalgoE3EjNS0_10empty_typeEbEEZZNS1_14partition_implILS8_3ELb0ES6_jNS0_17counting_iteratorIjlEEPS9_SE_NS0_5tupleIJPjSE_EEENSF_IJSE_SE_EEES9_SG_JZNS1_25segmented_radix_sort_implINS0_14default_configELb1EPK12hip_bfloat16PSL_PKlPlN2at6native12_GLOBAL__N_18offset_tEEE10hipError_tPvRmT1_PNSt15iterator_traitsISZ_E10value_typeET2_T3_PNS10_IS15_E10value_typeET4_jRbjT5_S1B_jjP12ihipStream_tbEUljE_EEESW_SX_SY_S15_S19_S1B_T6_T7_T9_mT8_S1D_bDpT10_ENKUlT_T0_E_clISt17integral_constantIbLb0EES1Q_EEDaS1L_S1M_EUlS1L_E_NS1_11comp_targetILNS1_3genE8ELNS1_11target_archE1030ELNS1_3gpuE2ELNS1_3repE0EEENS1_30default_config_static_selectorELNS0_4arch9wavefront6targetE1EEEvSZ_: ; @_ZN7rocprim17ROCPRIM_400000_NS6detail17trampoline_kernelINS0_13select_configILj256ELj13ELNS0_17block_load_methodE3ELS4_3ELS4_3ELNS0_20block_scan_algorithmE0ELj4294967295EEENS1_25partition_config_selectorILNS1_17partition_subalgoE3EjNS0_10empty_typeEbEEZZNS1_14partition_implILS8_3ELb0ES6_jNS0_17counting_iteratorIjlEEPS9_SE_NS0_5tupleIJPjSE_EEENSF_IJSE_SE_EEES9_SG_JZNS1_25segmented_radix_sort_implINS0_14default_configELb1EPK12hip_bfloat16PSL_PKlPlN2at6native12_GLOBAL__N_18offset_tEEE10hipError_tPvRmT1_PNSt15iterator_traitsISZ_E10value_typeET2_T3_PNS10_IS15_E10value_typeET4_jRbjT5_S1B_jjP12ihipStream_tbEUljE_EEESW_SX_SY_S15_S19_S1B_T6_T7_T9_mT8_S1D_bDpT10_ENKUlT_T0_E_clISt17integral_constantIbLb0EES1Q_EEDaS1L_S1M_EUlS1L_E_NS1_11comp_targetILNS1_3genE8ELNS1_11target_archE1030ELNS1_3gpuE2ELNS1_3repE0EEENS1_30default_config_static_selectorELNS0_4arch9wavefront6targetE1EEEvSZ_
; %bb.0:
	.section	.rodata,"a",@progbits
	.p2align	6, 0x0
	.amdhsa_kernel _ZN7rocprim17ROCPRIM_400000_NS6detail17trampoline_kernelINS0_13select_configILj256ELj13ELNS0_17block_load_methodE3ELS4_3ELS4_3ELNS0_20block_scan_algorithmE0ELj4294967295EEENS1_25partition_config_selectorILNS1_17partition_subalgoE3EjNS0_10empty_typeEbEEZZNS1_14partition_implILS8_3ELb0ES6_jNS0_17counting_iteratorIjlEEPS9_SE_NS0_5tupleIJPjSE_EEENSF_IJSE_SE_EEES9_SG_JZNS1_25segmented_radix_sort_implINS0_14default_configELb1EPK12hip_bfloat16PSL_PKlPlN2at6native12_GLOBAL__N_18offset_tEEE10hipError_tPvRmT1_PNSt15iterator_traitsISZ_E10value_typeET2_T3_PNS10_IS15_E10value_typeET4_jRbjT5_S1B_jjP12ihipStream_tbEUljE_EEESW_SX_SY_S15_S19_S1B_T6_T7_T9_mT8_S1D_bDpT10_ENKUlT_T0_E_clISt17integral_constantIbLb0EES1Q_EEDaS1L_S1M_EUlS1L_E_NS1_11comp_targetILNS1_3genE8ELNS1_11target_archE1030ELNS1_3gpuE2ELNS1_3repE0EEENS1_30default_config_static_selectorELNS0_4arch9wavefront6targetE1EEEvSZ_
		.amdhsa_group_segment_fixed_size 0
		.amdhsa_private_segment_fixed_size 0
		.amdhsa_kernarg_size 144
		.amdhsa_user_sgpr_count 6
		.amdhsa_user_sgpr_private_segment_buffer 1
		.amdhsa_user_sgpr_dispatch_ptr 0
		.amdhsa_user_sgpr_queue_ptr 0
		.amdhsa_user_sgpr_kernarg_segment_ptr 1
		.amdhsa_user_sgpr_dispatch_id 0
		.amdhsa_user_sgpr_flat_scratch_init 0
		.amdhsa_user_sgpr_kernarg_preload_length 0
		.amdhsa_user_sgpr_kernarg_preload_offset 0
		.amdhsa_user_sgpr_private_segment_size 0
		.amdhsa_uses_dynamic_stack 0
		.amdhsa_system_sgpr_private_segment_wavefront_offset 0
		.amdhsa_system_sgpr_workgroup_id_x 1
		.amdhsa_system_sgpr_workgroup_id_y 0
		.amdhsa_system_sgpr_workgroup_id_z 0
		.amdhsa_system_sgpr_workgroup_info 0
		.amdhsa_system_vgpr_workitem_id 0
		.amdhsa_next_free_vgpr 1
		.amdhsa_next_free_sgpr 0
		.amdhsa_accum_offset 4
		.amdhsa_reserve_vcc 0
		.amdhsa_reserve_flat_scratch 0
		.amdhsa_float_round_mode_32 0
		.amdhsa_float_round_mode_16_64 0
		.amdhsa_float_denorm_mode_32 3
		.amdhsa_float_denorm_mode_16_64 3
		.amdhsa_dx10_clamp 1
		.amdhsa_ieee_mode 1
		.amdhsa_fp16_overflow 0
		.amdhsa_tg_split 0
		.amdhsa_exception_fp_ieee_invalid_op 0
		.amdhsa_exception_fp_denorm_src 0
		.amdhsa_exception_fp_ieee_div_zero 0
		.amdhsa_exception_fp_ieee_overflow 0
		.amdhsa_exception_fp_ieee_underflow 0
		.amdhsa_exception_fp_ieee_inexact 0
		.amdhsa_exception_int_div_zero 0
	.end_amdhsa_kernel
	.section	.text._ZN7rocprim17ROCPRIM_400000_NS6detail17trampoline_kernelINS0_13select_configILj256ELj13ELNS0_17block_load_methodE3ELS4_3ELS4_3ELNS0_20block_scan_algorithmE0ELj4294967295EEENS1_25partition_config_selectorILNS1_17partition_subalgoE3EjNS0_10empty_typeEbEEZZNS1_14partition_implILS8_3ELb0ES6_jNS0_17counting_iteratorIjlEEPS9_SE_NS0_5tupleIJPjSE_EEENSF_IJSE_SE_EEES9_SG_JZNS1_25segmented_radix_sort_implINS0_14default_configELb1EPK12hip_bfloat16PSL_PKlPlN2at6native12_GLOBAL__N_18offset_tEEE10hipError_tPvRmT1_PNSt15iterator_traitsISZ_E10value_typeET2_T3_PNS10_IS15_E10value_typeET4_jRbjT5_S1B_jjP12ihipStream_tbEUljE_EEESW_SX_SY_S15_S19_S1B_T6_T7_T9_mT8_S1D_bDpT10_ENKUlT_T0_E_clISt17integral_constantIbLb0EES1Q_EEDaS1L_S1M_EUlS1L_E_NS1_11comp_targetILNS1_3genE8ELNS1_11target_archE1030ELNS1_3gpuE2ELNS1_3repE0EEENS1_30default_config_static_selectorELNS0_4arch9wavefront6targetE1EEEvSZ_,"axG",@progbits,_ZN7rocprim17ROCPRIM_400000_NS6detail17trampoline_kernelINS0_13select_configILj256ELj13ELNS0_17block_load_methodE3ELS4_3ELS4_3ELNS0_20block_scan_algorithmE0ELj4294967295EEENS1_25partition_config_selectorILNS1_17partition_subalgoE3EjNS0_10empty_typeEbEEZZNS1_14partition_implILS8_3ELb0ES6_jNS0_17counting_iteratorIjlEEPS9_SE_NS0_5tupleIJPjSE_EEENSF_IJSE_SE_EEES9_SG_JZNS1_25segmented_radix_sort_implINS0_14default_configELb1EPK12hip_bfloat16PSL_PKlPlN2at6native12_GLOBAL__N_18offset_tEEE10hipError_tPvRmT1_PNSt15iterator_traitsISZ_E10value_typeET2_T3_PNS10_IS15_E10value_typeET4_jRbjT5_S1B_jjP12ihipStream_tbEUljE_EEESW_SX_SY_S15_S19_S1B_T6_T7_T9_mT8_S1D_bDpT10_ENKUlT_T0_E_clISt17integral_constantIbLb0EES1Q_EEDaS1L_S1M_EUlS1L_E_NS1_11comp_targetILNS1_3genE8ELNS1_11target_archE1030ELNS1_3gpuE2ELNS1_3repE0EEENS1_30default_config_static_selectorELNS0_4arch9wavefront6targetE1EEEvSZ_,comdat
.Lfunc_end1919:
	.size	_ZN7rocprim17ROCPRIM_400000_NS6detail17trampoline_kernelINS0_13select_configILj256ELj13ELNS0_17block_load_methodE3ELS4_3ELS4_3ELNS0_20block_scan_algorithmE0ELj4294967295EEENS1_25partition_config_selectorILNS1_17partition_subalgoE3EjNS0_10empty_typeEbEEZZNS1_14partition_implILS8_3ELb0ES6_jNS0_17counting_iteratorIjlEEPS9_SE_NS0_5tupleIJPjSE_EEENSF_IJSE_SE_EEES9_SG_JZNS1_25segmented_radix_sort_implINS0_14default_configELb1EPK12hip_bfloat16PSL_PKlPlN2at6native12_GLOBAL__N_18offset_tEEE10hipError_tPvRmT1_PNSt15iterator_traitsISZ_E10value_typeET2_T3_PNS10_IS15_E10value_typeET4_jRbjT5_S1B_jjP12ihipStream_tbEUljE_EEESW_SX_SY_S15_S19_S1B_T6_T7_T9_mT8_S1D_bDpT10_ENKUlT_T0_E_clISt17integral_constantIbLb0EES1Q_EEDaS1L_S1M_EUlS1L_E_NS1_11comp_targetILNS1_3genE8ELNS1_11target_archE1030ELNS1_3gpuE2ELNS1_3repE0EEENS1_30default_config_static_selectorELNS0_4arch9wavefront6targetE1EEEvSZ_, .Lfunc_end1919-_ZN7rocprim17ROCPRIM_400000_NS6detail17trampoline_kernelINS0_13select_configILj256ELj13ELNS0_17block_load_methodE3ELS4_3ELS4_3ELNS0_20block_scan_algorithmE0ELj4294967295EEENS1_25partition_config_selectorILNS1_17partition_subalgoE3EjNS0_10empty_typeEbEEZZNS1_14partition_implILS8_3ELb0ES6_jNS0_17counting_iteratorIjlEEPS9_SE_NS0_5tupleIJPjSE_EEENSF_IJSE_SE_EEES9_SG_JZNS1_25segmented_radix_sort_implINS0_14default_configELb1EPK12hip_bfloat16PSL_PKlPlN2at6native12_GLOBAL__N_18offset_tEEE10hipError_tPvRmT1_PNSt15iterator_traitsISZ_E10value_typeET2_T3_PNS10_IS15_E10value_typeET4_jRbjT5_S1B_jjP12ihipStream_tbEUljE_EEESW_SX_SY_S15_S19_S1B_T6_T7_T9_mT8_S1D_bDpT10_ENKUlT_T0_E_clISt17integral_constantIbLb0EES1Q_EEDaS1L_S1M_EUlS1L_E_NS1_11comp_targetILNS1_3genE8ELNS1_11target_archE1030ELNS1_3gpuE2ELNS1_3repE0EEENS1_30default_config_static_selectorELNS0_4arch9wavefront6targetE1EEEvSZ_
                                        ; -- End function
	.section	.AMDGPU.csdata,"",@progbits
; Kernel info:
; codeLenInByte = 0
; NumSgprs: 4
; NumVgprs: 0
; NumAgprs: 0
; TotalNumVgprs: 0
; ScratchSize: 0
; MemoryBound: 0
; FloatMode: 240
; IeeeMode: 1
; LDSByteSize: 0 bytes/workgroup (compile time only)
; SGPRBlocks: 0
; VGPRBlocks: 0
; NumSGPRsForWavesPerEU: 4
; NumVGPRsForWavesPerEU: 1
; AccumOffset: 4
; Occupancy: 8
; WaveLimiterHint : 0
; COMPUTE_PGM_RSRC2:SCRATCH_EN: 0
; COMPUTE_PGM_RSRC2:USER_SGPR: 6
; COMPUTE_PGM_RSRC2:TRAP_HANDLER: 0
; COMPUTE_PGM_RSRC2:TGID_X_EN: 1
; COMPUTE_PGM_RSRC2:TGID_Y_EN: 0
; COMPUTE_PGM_RSRC2:TGID_Z_EN: 0
; COMPUTE_PGM_RSRC2:TIDIG_COMP_CNT: 0
; COMPUTE_PGM_RSRC3_GFX90A:ACCUM_OFFSET: 0
; COMPUTE_PGM_RSRC3_GFX90A:TG_SPLIT: 0
	.section	.text._ZN7rocprim17ROCPRIM_400000_NS6detail17trampoline_kernelINS0_13select_configILj256ELj13ELNS0_17block_load_methodE3ELS4_3ELS4_3ELNS0_20block_scan_algorithmE0ELj4294967295EEENS1_25partition_config_selectorILNS1_17partition_subalgoE3EjNS0_10empty_typeEbEEZZNS1_14partition_implILS8_3ELb0ES6_jNS0_17counting_iteratorIjlEEPS9_SE_NS0_5tupleIJPjSE_EEENSF_IJSE_SE_EEES9_SG_JZNS1_25segmented_radix_sort_implINS0_14default_configELb1EPK12hip_bfloat16PSL_PKlPlN2at6native12_GLOBAL__N_18offset_tEEE10hipError_tPvRmT1_PNSt15iterator_traitsISZ_E10value_typeET2_T3_PNS10_IS15_E10value_typeET4_jRbjT5_S1B_jjP12ihipStream_tbEUljE_EEESW_SX_SY_S15_S19_S1B_T6_T7_T9_mT8_S1D_bDpT10_ENKUlT_T0_E_clISt17integral_constantIbLb1EES1Q_EEDaS1L_S1M_EUlS1L_E_NS1_11comp_targetILNS1_3genE0ELNS1_11target_archE4294967295ELNS1_3gpuE0ELNS1_3repE0EEENS1_30default_config_static_selectorELNS0_4arch9wavefront6targetE1EEEvSZ_,"axG",@progbits,_ZN7rocprim17ROCPRIM_400000_NS6detail17trampoline_kernelINS0_13select_configILj256ELj13ELNS0_17block_load_methodE3ELS4_3ELS4_3ELNS0_20block_scan_algorithmE0ELj4294967295EEENS1_25partition_config_selectorILNS1_17partition_subalgoE3EjNS0_10empty_typeEbEEZZNS1_14partition_implILS8_3ELb0ES6_jNS0_17counting_iteratorIjlEEPS9_SE_NS0_5tupleIJPjSE_EEENSF_IJSE_SE_EEES9_SG_JZNS1_25segmented_radix_sort_implINS0_14default_configELb1EPK12hip_bfloat16PSL_PKlPlN2at6native12_GLOBAL__N_18offset_tEEE10hipError_tPvRmT1_PNSt15iterator_traitsISZ_E10value_typeET2_T3_PNS10_IS15_E10value_typeET4_jRbjT5_S1B_jjP12ihipStream_tbEUljE_EEESW_SX_SY_S15_S19_S1B_T6_T7_T9_mT8_S1D_bDpT10_ENKUlT_T0_E_clISt17integral_constantIbLb1EES1Q_EEDaS1L_S1M_EUlS1L_E_NS1_11comp_targetILNS1_3genE0ELNS1_11target_archE4294967295ELNS1_3gpuE0ELNS1_3repE0EEENS1_30default_config_static_selectorELNS0_4arch9wavefront6targetE1EEEvSZ_,comdat
	.globl	_ZN7rocprim17ROCPRIM_400000_NS6detail17trampoline_kernelINS0_13select_configILj256ELj13ELNS0_17block_load_methodE3ELS4_3ELS4_3ELNS0_20block_scan_algorithmE0ELj4294967295EEENS1_25partition_config_selectorILNS1_17partition_subalgoE3EjNS0_10empty_typeEbEEZZNS1_14partition_implILS8_3ELb0ES6_jNS0_17counting_iteratorIjlEEPS9_SE_NS0_5tupleIJPjSE_EEENSF_IJSE_SE_EEES9_SG_JZNS1_25segmented_radix_sort_implINS0_14default_configELb1EPK12hip_bfloat16PSL_PKlPlN2at6native12_GLOBAL__N_18offset_tEEE10hipError_tPvRmT1_PNSt15iterator_traitsISZ_E10value_typeET2_T3_PNS10_IS15_E10value_typeET4_jRbjT5_S1B_jjP12ihipStream_tbEUljE_EEESW_SX_SY_S15_S19_S1B_T6_T7_T9_mT8_S1D_bDpT10_ENKUlT_T0_E_clISt17integral_constantIbLb1EES1Q_EEDaS1L_S1M_EUlS1L_E_NS1_11comp_targetILNS1_3genE0ELNS1_11target_archE4294967295ELNS1_3gpuE0ELNS1_3repE0EEENS1_30default_config_static_selectorELNS0_4arch9wavefront6targetE1EEEvSZ_ ; -- Begin function _ZN7rocprim17ROCPRIM_400000_NS6detail17trampoline_kernelINS0_13select_configILj256ELj13ELNS0_17block_load_methodE3ELS4_3ELS4_3ELNS0_20block_scan_algorithmE0ELj4294967295EEENS1_25partition_config_selectorILNS1_17partition_subalgoE3EjNS0_10empty_typeEbEEZZNS1_14partition_implILS8_3ELb0ES6_jNS0_17counting_iteratorIjlEEPS9_SE_NS0_5tupleIJPjSE_EEENSF_IJSE_SE_EEES9_SG_JZNS1_25segmented_radix_sort_implINS0_14default_configELb1EPK12hip_bfloat16PSL_PKlPlN2at6native12_GLOBAL__N_18offset_tEEE10hipError_tPvRmT1_PNSt15iterator_traitsISZ_E10value_typeET2_T3_PNS10_IS15_E10value_typeET4_jRbjT5_S1B_jjP12ihipStream_tbEUljE_EEESW_SX_SY_S15_S19_S1B_T6_T7_T9_mT8_S1D_bDpT10_ENKUlT_T0_E_clISt17integral_constantIbLb1EES1Q_EEDaS1L_S1M_EUlS1L_E_NS1_11comp_targetILNS1_3genE0ELNS1_11target_archE4294967295ELNS1_3gpuE0ELNS1_3repE0EEENS1_30default_config_static_selectorELNS0_4arch9wavefront6targetE1EEEvSZ_
	.p2align	8
	.type	_ZN7rocprim17ROCPRIM_400000_NS6detail17trampoline_kernelINS0_13select_configILj256ELj13ELNS0_17block_load_methodE3ELS4_3ELS4_3ELNS0_20block_scan_algorithmE0ELj4294967295EEENS1_25partition_config_selectorILNS1_17partition_subalgoE3EjNS0_10empty_typeEbEEZZNS1_14partition_implILS8_3ELb0ES6_jNS0_17counting_iteratorIjlEEPS9_SE_NS0_5tupleIJPjSE_EEENSF_IJSE_SE_EEES9_SG_JZNS1_25segmented_radix_sort_implINS0_14default_configELb1EPK12hip_bfloat16PSL_PKlPlN2at6native12_GLOBAL__N_18offset_tEEE10hipError_tPvRmT1_PNSt15iterator_traitsISZ_E10value_typeET2_T3_PNS10_IS15_E10value_typeET4_jRbjT5_S1B_jjP12ihipStream_tbEUljE_EEESW_SX_SY_S15_S19_S1B_T6_T7_T9_mT8_S1D_bDpT10_ENKUlT_T0_E_clISt17integral_constantIbLb1EES1Q_EEDaS1L_S1M_EUlS1L_E_NS1_11comp_targetILNS1_3genE0ELNS1_11target_archE4294967295ELNS1_3gpuE0ELNS1_3repE0EEENS1_30default_config_static_selectorELNS0_4arch9wavefront6targetE1EEEvSZ_,@function
_ZN7rocprim17ROCPRIM_400000_NS6detail17trampoline_kernelINS0_13select_configILj256ELj13ELNS0_17block_load_methodE3ELS4_3ELS4_3ELNS0_20block_scan_algorithmE0ELj4294967295EEENS1_25partition_config_selectorILNS1_17partition_subalgoE3EjNS0_10empty_typeEbEEZZNS1_14partition_implILS8_3ELb0ES6_jNS0_17counting_iteratorIjlEEPS9_SE_NS0_5tupleIJPjSE_EEENSF_IJSE_SE_EEES9_SG_JZNS1_25segmented_radix_sort_implINS0_14default_configELb1EPK12hip_bfloat16PSL_PKlPlN2at6native12_GLOBAL__N_18offset_tEEE10hipError_tPvRmT1_PNSt15iterator_traitsISZ_E10value_typeET2_T3_PNS10_IS15_E10value_typeET4_jRbjT5_S1B_jjP12ihipStream_tbEUljE_EEESW_SX_SY_S15_S19_S1B_T6_T7_T9_mT8_S1D_bDpT10_ENKUlT_T0_E_clISt17integral_constantIbLb1EES1Q_EEDaS1L_S1M_EUlS1L_E_NS1_11comp_targetILNS1_3genE0ELNS1_11target_archE4294967295ELNS1_3gpuE0ELNS1_3repE0EEENS1_30default_config_static_selectorELNS0_4arch9wavefront6targetE1EEEvSZ_: ; @_ZN7rocprim17ROCPRIM_400000_NS6detail17trampoline_kernelINS0_13select_configILj256ELj13ELNS0_17block_load_methodE3ELS4_3ELS4_3ELNS0_20block_scan_algorithmE0ELj4294967295EEENS1_25partition_config_selectorILNS1_17partition_subalgoE3EjNS0_10empty_typeEbEEZZNS1_14partition_implILS8_3ELb0ES6_jNS0_17counting_iteratorIjlEEPS9_SE_NS0_5tupleIJPjSE_EEENSF_IJSE_SE_EEES9_SG_JZNS1_25segmented_radix_sort_implINS0_14default_configELb1EPK12hip_bfloat16PSL_PKlPlN2at6native12_GLOBAL__N_18offset_tEEE10hipError_tPvRmT1_PNSt15iterator_traitsISZ_E10value_typeET2_T3_PNS10_IS15_E10value_typeET4_jRbjT5_S1B_jjP12ihipStream_tbEUljE_EEESW_SX_SY_S15_S19_S1B_T6_T7_T9_mT8_S1D_bDpT10_ENKUlT_T0_E_clISt17integral_constantIbLb1EES1Q_EEDaS1L_S1M_EUlS1L_E_NS1_11comp_targetILNS1_3genE0ELNS1_11target_archE4294967295ELNS1_3gpuE0ELNS1_3repE0EEENS1_30default_config_static_selectorELNS0_4arch9wavefront6targetE1EEEvSZ_
; %bb.0:
	.section	.rodata,"a",@progbits
	.p2align	6, 0x0
	.amdhsa_kernel _ZN7rocprim17ROCPRIM_400000_NS6detail17trampoline_kernelINS0_13select_configILj256ELj13ELNS0_17block_load_methodE3ELS4_3ELS4_3ELNS0_20block_scan_algorithmE0ELj4294967295EEENS1_25partition_config_selectorILNS1_17partition_subalgoE3EjNS0_10empty_typeEbEEZZNS1_14partition_implILS8_3ELb0ES6_jNS0_17counting_iteratorIjlEEPS9_SE_NS0_5tupleIJPjSE_EEENSF_IJSE_SE_EEES9_SG_JZNS1_25segmented_radix_sort_implINS0_14default_configELb1EPK12hip_bfloat16PSL_PKlPlN2at6native12_GLOBAL__N_18offset_tEEE10hipError_tPvRmT1_PNSt15iterator_traitsISZ_E10value_typeET2_T3_PNS10_IS15_E10value_typeET4_jRbjT5_S1B_jjP12ihipStream_tbEUljE_EEESW_SX_SY_S15_S19_S1B_T6_T7_T9_mT8_S1D_bDpT10_ENKUlT_T0_E_clISt17integral_constantIbLb1EES1Q_EEDaS1L_S1M_EUlS1L_E_NS1_11comp_targetILNS1_3genE0ELNS1_11target_archE4294967295ELNS1_3gpuE0ELNS1_3repE0EEENS1_30default_config_static_selectorELNS0_4arch9wavefront6targetE1EEEvSZ_
		.amdhsa_group_segment_fixed_size 0
		.amdhsa_private_segment_fixed_size 0
		.amdhsa_kernarg_size 152
		.amdhsa_user_sgpr_count 6
		.amdhsa_user_sgpr_private_segment_buffer 1
		.amdhsa_user_sgpr_dispatch_ptr 0
		.amdhsa_user_sgpr_queue_ptr 0
		.amdhsa_user_sgpr_kernarg_segment_ptr 1
		.amdhsa_user_sgpr_dispatch_id 0
		.amdhsa_user_sgpr_flat_scratch_init 0
		.amdhsa_user_sgpr_kernarg_preload_length 0
		.amdhsa_user_sgpr_kernarg_preload_offset 0
		.amdhsa_user_sgpr_private_segment_size 0
		.amdhsa_uses_dynamic_stack 0
		.amdhsa_system_sgpr_private_segment_wavefront_offset 0
		.amdhsa_system_sgpr_workgroup_id_x 1
		.amdhsa_system_sgpr_workgroup_id_y 0
		.amdhsa_system_sgpr_workgroup_id_z 0
		.amdhsa_system_sgpr_workgroup_info 0
		.amdhsa_system_vgpr_workitem_id 0
		.amdhsa_next_free_vgpr 1
		.amdhsa_next_free_sgpr 0
		.amdhsa_accum_offset 4
		.amdhsa_reserve_vcc 0
		.amdhsa_reserve_flat_scratch 0
		.amdhsa_float_round_mode_32 0
		.amdhsa_float_round_mode_16_64 0
		.amdhsa_float_denorm_mode_32 3
		.amdhsa_float_denorm_mode_16_64 3
		.amdhsa_dx10_clamp 1
		.amdhsa_ieee_mode 1
		.amdhsa_fp16_overflow 0
		.amdhsa_tg_split 0
		.amdhsa_exception_fp_ieee_invalid_op 0
		.amdhsa_exception_fp_denorm_src 0
		.amdhsa_exception_fp_ieee_div_zero 0
		.amdhsa_exception_fp_ieee_overflow 0
		.amdhsa_exception_fp_ieee_underflow 0
		.amdhsa_exception_fp_ieee_inexact 0
		.amdhsa_exception_int_div_zero 0
	.end_amdhsa_kernel
	.section	.text._ZN7rocprim17ROCPRIM_400000_NS6detail17trampoline_kernelINS0_13select_configILj256ELj13ELNS0_17block_load_methodE3ELS4_3ELS4_3ELNS0_20block_scan_algorithmE0ELj4294967295EEENS1_25partition_config_selectorILNS1_17partition_subalgoE3EjNS0_10empty_typeEbEEZZNS1_14partition_implILS8_3ELb0ES6_jNS0_17counting_iteratorIjlEEPS9_SE_NS0_5tupleIJPjSE_EEENSF_IJSE_SE_EEES9_SG_JZNS1_25segmented_radix_sort_implINS0_14default_configELb1EPK12hip_bfloat16PSL_PKlPlN2at6native12_GLOBAL__N_18offset_tEEE10hipError_tPvRmT1_PNSt15iterator_traitsISZ_E10value_typeET2_T3_PNS10_IS15_E10value_typeET4_jRbjT5_S1B_jjP12ihipStream_tbEUljE_EEESW_SX_SY_S15_S19_S1B_T6_T7_T9_mT8_S1D_bDpT10_ENKUlT_T0_E_clISt17integral_constantIbLb1EES1Q_EEDaS1L_S1M_EUlS1L_E_NS1_11comp_targetILNS1_3genE0ELNS1_11target_archE4294967295ELNS1_3gpuE0ELNS1_3repE0EEENS1_30default_config_static_selectorELNS0_4arch9wavefront6targetE1EEEvSZ_,"axG",@progbits,_ZN7rocprim17ROCPRIM_400000_NS6detail17trampoline_kernelINS0_13select_configILj256ELj13ELNS0_17block_load_methodE3ELS4_3ELS4_3ELNS0_20block_scan_algorithmE0ELj4294967295EEENS1_25partition_config_selectorILNS1_17partition_subalgoE3EjNS0_10empty_typeEbEEZZNS1_14partition_implILS8_3ELb0ES6_jNS0_17counting_iteratorIjlEEPS9_SE_NS0_5tupleIJPjSE_EEENSF_IJSE_SE_EEES9_SG_JZNS1_25segmented_radix_sort_implINS0_14default_configELb1EPK12hip_bfloat16PSL_PKlPlN2at6native12_GLOBAL__N_18offset_tEEE10hipError_tPvRmT1_PNSt15iterator_traitsISZ_E10value_typeET2_T3_PNS10_IS15_E10value_typeET4_jRbjT5_S1B_jjP12ihipStream_tbEUljE_EEESW_SX_SY_S15_S19_S1B_T6_T7_T9_mT8_S1D_bDpT10_ENKUlT_T0_E_clISt17integral_constantIbLb1EES1Q_EEDaS1L_S1M_EUlS1L_E_NS1_11comp_targetILNS1_3genE0ELNS1_11target_archE4294967295ELNS1_3gpuE0ELNS1_3repE0EEENS1_30default_config_static_selectorELNS0_4arch9wavefront6targetE1EEEvSZ_,comdat
.Lfunc_end1920:
	.size	_ZN7rocprim17ROCPRIM_400000_NS6detail17trampoline_kernelINS0_13select_configILj256ELj13ELNS0_17block_load_methodE3ELS4_3ELS4_3ELNS0_20block_scan_algorithmE0ELj4294967295EEENS1_25partition_config_selectorILNS1_17partition_subalgoE3EjNS0_10empty_typeEbEEZZNS1_14partition_implILS8_3ELb0ES6_jNS0_17counting_iteratorIjlEEPS9_SE_NS0_5tupleIJPjSE_EEENSF_IJSE_SE_EEES9_SG_JZNS1_25segmented_radix_sort_implINS0_14default_configELb1EPK12hip_bfloat16PSL_PKlPlN2at6native12_GLOBAL__N_18offset_tEEE10hipError_tPvRmT1_PNSt15iterator_traitsISZ_E10value_typeET2_T3_PNS10_IS15_E10value_typeET4_jRbjT5_S1B_jjP12ihipStream_tbEUljE_EEESW_SX_SY_S15_S19_S1B_T6_T7_T9_mT8_S1D_bDpT10_ENKUlT_T0_E_clISt17integral_constantIbLb1EES1Q_EEDaS1L_S1M_EUlS1L_E_NS1_11comp_targetILNS1_3genE0ELNS1_11target_archE4294967295ELNS1_3gpuE0ELNS1_3repE0EEENS1_30default_config_static_selectorELNS0_4arch9wavefront6targetE1EEEvSZ_, .Lfunc_end1920-_ZN7rocprim17ROCPRIM_400000_NS6detail17trampoline_kernelINS0_13select_configILj256ELj13ELNS0_17block_load_methodE3ELS4_3ELS4_3ELNS0_20block_scan_algorithmE0ELj4294967295EEENS1_25partition_config_selectorILNS1_17partition_subalgoE3EjNS0_10empty_typeEbEEZZNS1_14partition_implILS8_3ELb0ES6_jNS0_17counting_iteratorIjlEEPS9_SE_NS0_5tupleIJPjSE_EEENSF_IJSE_SE_EEES9_SG_JZNS1_25segmented_radix_sort_implINS0_14default_configELb1EPK12hip_bfloat16PSL_PKlPlN2at6native12_GLOBAL__N_18offset_tEEE10hipError_tPvRmT1_PNSt15iterator_traitsISZ_E10value_typeET2_T3_PNS10_IS15_E10value_typeET4_jRbjT5_S1B_jjP12ihipStream_tbEUljE_EEESW_SX_SY_S15_S19_S1B_T6_T7_T9_mT8_S1D_bDpT10_ENKUlT_T0_E_clISt17integral_constantIbLb1EES1Q_EEDaS1L_S1M_EUlS1L_E_NS1_11comp_targetILNS1_3genE0ELNS1_11target_archE4294967295ELNS1_3gpuE0ELNS1_3repE0EEENS1_30default_config_static_selectorELNS0_4arch9wavefront6targetE1EEEvSZ_
                                        ; -- End function
	.section	.AMDGPU.csdata,"",@progbits
; Kernel info:
; codeLenInByte = 0
; NumSgprs: 4
; NumVgprs: 0
; NumAgprs: 0
; TotalNumVgprs: 0
; ScratchSize: 0
; MemoryBound: 0
; FloatMode: 240
; IeeeMode: 1
; LDSByteSize: 0 bytes/workgroup (compile time only)
; SGPRBlocks: 0
; VGPRBlocks: 0
; NumSGPRsForWavesPerEU: 4
; NumVGPRsForWavesPerEU: 1
; AccumOffset: 4
; Occupancy: 8
; WaveLimiterHint : 0
; COMPUTE_PGM_RSRC2:SCRATCH_EN: 0
; COMPUTE_PGM_RSRC2:USER_SGPR: 6
; COMPUTE_PGM_RSRC2:TRAP_HANDLER: 0
; COMPUTE_PGM_RSRC2:TGID_X_EN: 1
; COMPUTE_PGM_RSRC2:TGID_Y_EN: 0
; COMPUTE_PGM_RSRC2:TGID_Z_EN: 0
; COMPUTE_PGM_RSRC2:TIDIG_COMP_CNT: 0
; COMPUTE_PGM_RSRC3_GFX90A:ACCUM_OFFSET: 0
; COMPUTE_PGM_RSRC3_GFX90A:TG_SPLIT: 0
	.section	.text._ZN7rocprim17ROCPRIM_400000_NS6detail17trampoline_kernelINS0_13select_configILj256ELj13ELNS0_17block_load_methodE3ELS4_3ELS4_3ELNS0_20block_scan_algorithmE0ELj4294967295EEENS1_25partition_config_selectorILNS1_17partition_subalgoE3EjNS0_10empty_typeEbEEZZNS1_14partition_implILS8_3ELb0ES6_jNS0_17counting_iteratorIjlEEPS9_SE_NS0_5tupleIJPjSE_EEENSF_IJSE_SE_EEES9_SG_JZNS1_25segmented_radix_sort_implINS0_14default_configELb1EPK12hip_bfloat16PSL_PKlPlN2at6native12_GLOBAL__N_18offset_tEEE10hipError_tPvRmT1_PNSt15iterator_traitsISZ_E10value_typeET2_T3_PNS10_IS15_E10value_typeET4_jRbjT5_S1B_jjP12ihipStream_tbEUljE_EEESW_SX_SY_S15_S19_S1B_T6_T7_T9_mT8_S1D_bDpT10_ENKUlT_T0_E_clISt17integral_constantIbLb1EES1Q_EEDaS1L_S1M_EUlS1L_E_NS1_11comp_targetILNS1_3genE5ELNS1_11target_archE942ELNS1_3gpuE9ELNS1_3repE0EEENS1_30default_config_static_selectorELNS0_4arch9wavefront6targetE1EEEvSZ_,"axG",@progbits,_ZN7rocprim17ROCPRIM_400000_NS6detail17trampoline_kernelINS0_13select_configILj256ELj13ELNS0_17block_load_methodE3ELS4_3ELS4_3ELNS0_20block_scan_algorithmE0ELj4294967295EEENS1_25partition_config_selectorILNS1_17partition_subalgoE3EjNS0_10empty_typeEbEEZZNS1_14partition_implILS8_3ELb0ES6_jNS0_17counting_iteratorIjlEEPS9_SE_NS0_5tupleIJPjSE_EEENSF_IJSE_SE_EEES9_SG_JZNS1_25segmented_radix_sort_implINS0_14default_configELb1EPK12hip_bfloat16PSL_PKlPlN2at6native12_GLOBAL__N_18offset_tEEE10hipError_tPvRmT1_PNSt15iterator_traitsISZ_E10value_typeET2_T3_PNS10_IS15_E10value_typeET4_jRbjT5_S1B_jjP12ihipStream_tbEUljE_EEESW_SX_SY_S15_S19_S1B_T6_T7_T9_mT8_S1D_bDpT10_ENKUlT_T0_E_clISt17integral_constantIbLb1EES1Q_EEDaS1L_S1M_EUlS1L_E_NS1_11comp_targetILNS1_3genE5ELNS1_11target_archE942ELNS1_3gpuE9ELNS1_3repE0EEENS1_30default_config_static_selectorELNS0_4arch9wavefront6targetE1EEEvSZ_,comdat
	.globl	_ZN7rocprim17ROCPRIM_400000_NS6detail17trampoline_kernelINS0_13select_configILj256ELj13ELNS0_17block_load_methodE3ELS4_3ELS4_3ELNS0_20block_scan_algorithmE0ELj4294967295EEENS1_25partition_config_selectorILNS1_17partition_subalgoE3EjNS0_10empty_typeEbEEZZNS1_14partition_implILS8_3ELb0ES6_jNS0_17counting_iteratorIjlEEPS9_SE_NS0_5tupleIJPjSE_EEENSF_IJSE_SE_EEES9_SG_JZNS1_25segmented_radix_sort_implINS0_14default_configELb1EPK12hip_bfloat16PSL_PKlPlN2at6native12_GLOBAL__N_18offset_tEEE10hipError_tPvRmT1_PNSt15iterator_traitsISZ_E10value_typeET2_T3_PNS10_IS15_E10value_typeET4_jRbjT5_S1B_jjP12ihipStream_tbEUljE_EEESW_SX_SY_S15_S19_S1B_T6_T7_T9_mT8_S1D_bDpT10_ENKUlT_T0_E_clISt17integral_constantIbLb1EES1Q_EEDaS1L_S1M_EUlS1L_E_NS1_11comp_targetILNS1_3genE5ELNS1_11target_archE942ELNS1_3gpuE9ELNS1_3repE0EEENS1_30default_config_static_selectorELNS0_4arch9wavefront6targetE1EEEvSZ_ ; -- Begin function _ZN7rocprim17ROCPRIM_400000_NS6detail17trampoline_kernelINS0_13select_configILj256ELj13ELNS0_17block_load_methodE3ELS4_3ELS4_3ELNS0_20block_scan_algorithmE0ELj4294967295EEENS1_25partition_config_selectorILNS1_17partition_subalgoE3EjNS0_10empty_typeEbEEZZNS1_14partition_implILS8_3ELb0ES6_jNS0_17counting_iteratorIjlEEPS9_SE_NS0_5tupleIJPjSE_EEENSF_IJSE_SE_EEES9_SG_JZNS1_25segmented_radix_sort_implINS0_14default_configELb1EPK12hip_bfloat16PSL_PKlPlN2at6native12_GLOBAL__N_18offset_tEEE10hipError_tPvRmT1_PNSt15iterator_traitsISZ_E10value_typeET2_T3_PNS10_IS15_E10value_typeET4_jRbjT5_S1B_jjP12ihipStream_tbEUljE_EEESW_SX_SY_S15_S19_S1B_T6_T7_T9_mT8_S1D_bDpT10_ENKUlT_T0_E_clISt17integral_constantIbLb1EES1Q_EEDaS1L_S1M_EUlS1L_E_NS1_11comp_targetILNS1_3genE5ELNS1_11target_archE942ELNS1_3gpuE9ELNS1_3repE0EEENS1_30default_config_static_selectorELNS0_4arch9wavefront6targetE1EEEvSZ_
	.p2align	8
	.type	_ZN7rocprim17ROCPRIM_400000_NS6detail17trampoline_kernelINS0_13select_configILj256ELj13ELNS0_17block_load_methodE3ELS4_3ELS4_3ELNS0_20block_scan_algorithmE0ELj4294967295EEENS1_25partition_config_selectorILNS1_17partition_subalgoE3EjNS0_10empty_typeEbEEZZNS1_14partition_implILS8_3ELb0ES6_jNS0_17counting_iteratorIjlEEPS9_SE_NS0_5tupleIJPjSE_EEENSF_IJSE_SE_EEES9_SG_JZNS1_25segmented_radix_sort_implINS0_14default_configELb1EPK12hip_bfloat16PSL_PKlPlN2at6native12_GLOBAL__N_18offset_tEEE10hipError_tPvRmT1_PNSt15iterator_traitsISZ_E10value_typeET2_T3_PNS10_IS15_E10value_typeET4_jRbjT5_S1B_jjP12ihipStream_tbEUljE_EEESW_SX_SY_S15_S19_S1B_T6_T7_T9_mT8_S1D_bDpT10_ENKUlT_T0_E_clISt17integral_constantIbLb1EES1Q_EEDaS1L_S1M_EUlS1L_E_NS1_11comp_targetILNS1_3genE5ELNS1_11target_archE942ELNS1_3gpuE9ELNS1_3repE0EEENS1_30default_config_static_selectorELNS0_4arch9wavefront6targetE1EEEvSZ_,@function
_ZN7rocprim17ROCPRIM_400000_NS6detail17trampoline_kernelINS0_13select_configILj256ELj13ELNS0_17block_load_methodE3ELS4_3ELS4_3ELNS0_20block_scan_algorithmE0ELj4294967295EEENS1_25partition_config_selectorILNS1_17partition_subalgoE3EjNS0_10empty_typeEbEEZZNS1_14partition_implILS8_3ELb0ES6_jNS0_17counting_iteratorIjlEEPS9_SE_NS0_5tupleIJPjSE_EEENSF_IJSE_SE_EEES9_SG_JZNS1_25segmented_radix_sort_implINS0_14default_configELb1EPK12hip_bfloat16PSL_PKlPlN2at6native12_GLOBAL__N_18offset_tEEE10hipError_tPvRmT1_PNSt15iterator_traitsISZ_E10value_typeET2_T3_PNS10_IS15_E10value_typeET4_jRbjT5_S1B_jjP12ihipStream_tbEUljE_EEESW_SX_SY_S15_S19_S1B_T6_T7_T9_mT8_S1D_bDpT10_ENKUlT_T0_E_clISt17integral_constantIbLb1EES1Q_EEDaS1L_S1M_EUlS1L_E_NS1_11comp_targetILNS1_3genE5ELNS1_11target_archE942ELNS1_3gpuE9ELNS1_3repE0EEENS1_30default_config_static_selectorELNS0_4arch9wavefront6targetE1EEEvSZ_: ; @_ZN7rocprim17ROCPRIM_400000_NS6detail17trampoline_kernelINS0_13select_configILj256ELj13ELNS0_17block_load_methodE3ELS4_3ELS4_3ELNS0_20block_scan_algorithmE0ELj4294967295EEENS1_25partition_config_selectorILNS1_17partition_subalgoE3EjNS0_10empty_typeEbEEZZNS1_14partition_implILS8_3ELb0ES6_jNS0_17counting_iteratorIjlEEPS9_SE_NS0_5tupleIJPjSE_EEENSF_IJSE_SE_EEES9_SG_JZNS1_25segmented_radix_sort_implINS0_14default_configELb1EPK12hip_bfloat16PSL_PKlPlN2at6native12_GLOBAL__N_18offset_tEEE10hipError_tPvRmT1_PNSt15iterator_traitsISZ_E10value_typeET2_T3_PNS10_IS15_E10value_typeET4_jRbjT5_S1B_jjP12ihipStream_tbEUljE_EEESW_SX_SY_S15_S19_S1B_T6_T7_T9_mT8_S1D_bDpT10_ENKUlT_T0_E_clISt17integral_constantIbLb1EES1Q_EEDaS1L_S1M_EUlS1L_E_NS1_11comp_targetILNS1_3genE5ELNS1_11target_archE942ELNS1_3gpuE9ELNS1_3repE0EEENS1_30default_config_static_selectorELNS0_4arch9wavefront6targetE1EEEvSZ_
; %bb.0:
	.section	.rodata,"a",@progbits
	.p2align	6, 0x0
	.amdhsa_kernel _ZN7rocprim17ROCPRIM_400000_NS6detail17trampoline_kernelINS0_13select_configILj256ELj13ELNS0_17block_load_methodE3ELS4_3ELS4_3ELNS0_20block_scan_algorithmE0ELj4294967295EEENS1_25partition_config_selectorILNS1_17partition_subalgoE3EjNS0_10empty_typeEbEEZZNS1_14partition_implILS8_3ELb0ES6_jNS0_17counting_iteratorIjlEEPS9_SE_NS0_5tupleIJPjSE_EEENSF_IJSE_SE_EEES9_SG_JZNS1_25segmented_radix_sort_implINS0_14default_configELb1EPK12hip_bfloat16PSL_PKlPlN2at6native12_GLOBAL__N_18offset_tEEE10hipError_tPvRmT1_PNSt15iterator_traitsISZ_E10value_typeET2_T3_PNS10_IS15_E10value_typeET4_jRbjT5_S1B_jjP12ihipStream_tbEUljE_EEESW_SX_SY_S15_S19_S1B_T6_T7_T9_mT8_S1D_bDpT10_ENKUlT_T0_E_clISt17integral_constantIbLb1EES1Q_EEDaS1L_S1M_EUlS1L_E_NS1_11comp_targetILNS1_3genE5ELNS1_11target_archE942ELNS1_3gpuE9ELNS1_3repE0EEENS1_30default_config_static_selectorELNS0_4arch9wavefront6targetE1EEEvSZ_
		.amdhsa_group_segment_fixed_size 0
		.amdhsa_private_segment_fixed_size 0
		.amdhsa_kernarg_size 152
		.amdhsa_user_sgpr_count 6
		.amdhsa_user_sgpr_private_segment_buffer 1
		.amdhsa_user_sgpr_dispatch_ptr 0
		.amdhsa_user_sgpr_queue_ptr 0
		.amdhsa_user_sgpr_kernarg_segment_ptr 1
		.amdhsa_user_sgpr_dispatch_id 0
		.amdhsa_user_sgpr_flat_scratch_init 0
		.amdhsa_user_sgpr_kernarg_preload_length 0
		.amdhsa_user_sgpr_kernarg_preload_offset 0
		.amdhsa_user_sgpr_private_segment_size 0
		.amdhsa_uses_dynamic_stack 0
		.amdhsa_system_sgpr_private_segment_wavefront_offset 0
		.amdhsa_system_sgpr_workgroup_id_x 1
		.amdhsa_system_sgpr_workgroup_id_y 0
		.amdhsa_system_sgpr_workgroup_id_z 0
		.amdhsa_system_sgpr_workgroup_info 0
		.amdhsa_system_vgpr_workitem_id 0
		.amdhsa_next_free_vgpr 1
		.amdhsa_next_free_sgpr 0
		.amdhsa_accum_offset 4
		.amdhsa_reserve_vcc 0
		.amdhsa_reserve_flat_scratch 0
		.amdhsa_float_round_mode_32 0
		.amdhsa_float_round_mode_16_64 0
		.amdhsa_float_denorm_mode_32 3
		.amdhsa_float_denorm_mode_16_64 3
		.amdhsa_dx10_clamp 1
		.amdhsa_ieee_mode 1
		.amdhsa_fp16_overflow 0
		.amdhsa_tg_split 0
		.amdhsa_exception_fp_ieee_invalid_op 0
		.amdhsa_exception_fp_denorm_src 0
		.amdhsa_exception_fp_ieee_div_zero 0
		.amdhsa_exception_fp_ieee_overflow 0
		.amdhsa_exception_fp_ieee_underflow 0
		.amdhsa_exception_fp_ieee_inexact 0
		.amdhsa_exception_int_div_zero 0
	.end_amdhsa_kernel
	.section	.text._ZN7rocprim17ROCPRIM_400000_NS6detail17trampoline_kernelINS0_13select_configILj256ELj13ELNS0_17block_load_methodE3ELS4_3ELS4_3ELNS0_20block_scan_algorithmE0ELj4294967295EEENS1_25partition_config_selectorILNS1_17partition_subalgoE3EjNS0_10empty_typeEbEEZZNS1_14partition_implILS8_3ELb0ES6_jNS0_17counting_iteratorIjlEEPS9_SE_NS0_5tupleIJPjSE_EEENSF_IJSE_SE_EEES9_SG_JZNS1_25segmented_radix_sort_implINS0_14default_configELb1EPK12hip_bfloat16PSL_PKlPlN2at6native12_GLOBAL__N_18offset_tEEE10hipError_tPvRmT1_PNSt15iterator_traitsISZ_E10value_typeET2_T3_PNS10_IS15_E10value_typeET4_jRbjT5_S1B_jjP12ihipStream_tbEUljE_EEESW_SX_SY_S15_S19_S1B_T6_T7_T9_mT8_S1D_bDpT10_ENKUlT_T0_E_clISt17integral_constantIbLb1EES1Q_EEDaS1L_S1M_EUlS1L_E_NS1_11comp_targetILNS1_3genE5ELNS1_11target_archE942ELNS1_3gpuE9ELNS1_3repE0EEENS1_30default_config_static_selectorELNS0_4arch9wavefront6targetE1EEEvSZ_,"axG",@progbits,_ZN7rocprim17ROCPRIM_400000_NS6detail17trampoline_kernelINS0_13select_configILj256ELj13ELNS0_17block_load_methodE3ELS4_3ELS4_3ELNS0_20block_scan_algorithmE0ELj4294967295EEENS1_25partition_config_selectorILNS1_17partition_subalgoE3EjNS0_10empty_typeEbEEZZNS1_14partition_implILS8_3ELb0ES6_jNS0_17counting_iteratorIjlEEPS9_SE_NS0_5tupleIJPjSE_EEENSF_IJSE_SE_EEES9_SG_JZNS1_25segmented_radix_sort_implINS0_14default_configELb1EPK12hip_bfloat16PSL_PKlPlN2at6native12_GLOBAL__N_18offset_tEEE10hipError_tPvRmT1_PNSt15iterator_traitsISZ_E10value_typeET2_T3_PNS10_IS15_E10value_typeET4_jRbjT5_S1B_jjP12ihipStream_tbEUljE_EEESW_SX_SY_S15_S19_S1B_T6_T7_T9_mT8_S1D_bDpT10_ENKUlT_T0_E_clISt17integral_constantIbLb1EES1Q_EEDaS1L_S1M_EUlS1L_E_NS1_11comp_targetILNS1_3genE5ELNS1_11target_archE942ELNS1_3gpuE9ELNS1_3repE0EEENS1_30default_config_static_selectorELNS0_4arch9wavefront6targetE1EEEvSZ_,comdat
.Lfunc_end1921:
	.size	_ZN7rocprim17ROCPRIM_400000_NS6detail17trampoline_kernelINS0_13select_configILj256ELj13ELNS0_17block_load_methodE3ELS4_3ELS4_3ELNS0_20block_scan_algorithmE0ELj4294967295EEENS1_25partition_config_selectorILNS1_17partition_subalgoE3EjNS0_10empty_typeEbEEZZNS1_14partition_implILS8_3ELb0ES6_jNS0_17counting_iteratorIjlEEPS9_SE_NS0_5tupleIJPjSE_EEENSF_IJSE_SE_EEES9_SG_JZNS1_25segmented_radix_sort_implINS0_14default_configELb1EPK12hip_bfloat16PSL_PKlPlN2at6native12_GLOBAL__N_18offset_tEEE10hipError_tPvRmT1_PNSt15iterator_traitsISZ_E10value_typeET2_T3_PNS10_IS15_E10value_typeET4_jRbjT5_S1B_jjP12ihipStream_tbEUljE_EEESW_SX_SY_S15_S19_S1B_T6_T7_T9_mT8_S1D_bDpT10_ENKUlT_T0_E_clISt17integral_constantIbLb1EES1Q_EEDaS1L_S1M_EUlS1L_E_NS1_11comp_targetILNS1_3genE5ELNS1_11target_archE942ELNS1_3gpuE9ELNS1_3repE0EEENS1_30default_config_static_selectorELNS0_4arch9wavefront6targetE1EEEvSZ_, .Lfunc_end1921-_ZN7rocprim17ROCPRIM_400000_NS6detail17trampoline_kernelINS0_13select_configILj256ELj13ELNS0_17block_load_methodE3ELS4_3ELS4_3ELNS0_20block_scan_algorithmE0ELj4294967295EEENS1_25partition_config_selectorILNS1_17partition_subalgoE3EjNS0_10empty_typeEbEEZZNS1_14partition_implILS8_3ELb0ES6_jNS0_17counting_iteratorIjlEEPS9_SE_NS0_5tupleIJPjSE_EEENSF_IJSE_SE_EEES9_SG_JZNS1_25segmented_radix_sort_implINS0_14default_configELb1EPK12hip_bfloat16PSL_PKlPlN2at6native12_GLOBAL__N_18offset_tEEE10hipError_tPvRmT1_PNSt15iterator_traitsISZ_E10value_typeET2_T3_PNS10_IS15_E10value_typeET4_jRbjT5_S1B_jjP12ihipStream_tbEUljE_EEESW_SX_SY_S15_S19_S1B_T6_T7_T9_mT8_S1D_bDpT10_ENKUlT_T0_E_clISt17integral_constantIbLb1EES1Q_EEDaS1L_S1M_EUlS1L_E_NS1_11comp_targetILNS1_3genE5ELNS1_11target_archE942ELNS1_3gpuE9ELNS1_3repE0EEENS1_30default_config_static_selectorELNS0_4arch9wavefront6targetE1EEEvSZ_
                                        ; -- End function
	.section	.AMDGPU.csdata,"",@progbits
; Kernel info:
; codeLenInByte = 0
; NumSgprs: 4
; NumVgprs: 0
; NumAgprs: 0
; TotalNumVgprs: 0
; ScratchSize: 0
; MemoryBound: 0
; FloatMode: 240
; IeeeMode: 1
; LDSByteSize: 0 bytes/workgroup (compile time only)
; SGPRBlocks: 0
; VGPRBlocks: 0
; NumSGPRsForWavesPerEU: 4
; NumVGPRsForWavesPerEU: 1
; AccumOffset: 4
; Occupancy: 8
; WaveLimiterHint : 0
; COMPUTE_PGM_RSRC2:SCRATCH_EN: 0
; COMPUTE_PGM_RSRC2:USER_SGPR: 6
; COMPUTE_PGM_RSRC2:TRAP_HANDLER: 0
; COMPUTE_PGM_RSRC2:TGID_X_EN: 1
; COMPUTE_PGM_RSRC2:TGID_Y_EN: 0
; COMPUTE_PGM_RSRC2:TGID_Z_EN: 0
; COMPUTE_PGM_RSRC2:TIDIG_COMP_CNT: 0
; COMPUTE_PGM_RSRC3_GFX90A:ACCUM_OFFSET: 0
; COMPUTE_PGM_RSRC3_GFX90A:TG_SPLIT: 0
	.section	.text._ZN7rocprim17ROCPRIM_400000_NS6detail17trampoline_kernelINS0_13select_configILj256ELj13ELNS0_17block_load_methodE3ELS4_3ELS4_3ELNS0_20block_scan_algorithmE0ELj4294967295EEENS1_25partition_config_selectorILNS1_17partition_subalgoE3EjNS0_10empty_typeEbEEZZNS1_14partition_implILS8_3ELb0ES6_jNS0_17counting_iteratorIjlEEPS9_SE_NS0_5tupleIJPjSE_EEENSF_IJSE_SE_EEES9_SG_JZNS1_25segmented_radix_sort_implINS0_14default_configELb1EPK12hip_bfloat16PSL_PKlPlN2at6native12_GLOBAL__N_18offset_tEEE10hipError_tPvRmT1_PNSt15iterator_traitsISZ_E10value_typeET2_T3_PNS10_IS15_E10value_typeET4_jRbjT5_S1B_jjP12ihipStream_tbEUljE_EEESW_SX_SY_S15_S19_S1B_T6_T7_T9_mT8_S1D_bDpT10_ENKUlT_T0_E_clISt17integral_constantIbLb1EES1Q_EEDaS1L_S1M_EUlS1L_E_NS1_11comp_targetILNS1_3genE4ELNS1_11target_archE910ELNS1_3gpuE8ELNS1_3repE0EEENS1_30default_config_static_selectorELNS0_4arch9wavefront6targetE1EEEvSZ_,"axG",@progbits,_ZN7rocprim17ROCPRIM_400000_NS6detail17trampoline_kernelINS0_13select_configILj256ELj13ELNS0_17block_load_methodE3ELS4_3ELS4_3ELNS0_20block_scan_algorithmE0ELj4294967295EEENS1_25partition_config_selectorILNS1_17partition_subalgoE3EjNS0_10empty_typeEbEEZZNS1_14partition_implILS8_3ELb0ES6_jNS0_17counting_iteratorIjlEEPS9_SE_NS0_5tupleIJPjSE_EEENSF_IJSE_SE_EEES9_SG_JZNS1_25segmented_radix_sort_implINS0_14default_configELb1EPK12hip_bfloat16PSL_PKlPlN2at6native12_GLOBAL__N_18offset_tEEE10hipError_tPvRmT1_PNSt15iterator_traitsISZ_E10value_typeET2_T3_PNS10_IS15_E10value_typeET4_jRbjT5_S1B_jjP12ihipStream_tbEUljE_EEESW_SX_SY_S15_S19_S1B_T6_T7_T9_mT8_S1D_bDpT10_ENKUlT_T0_E_clISt17integral_constantIbLb1EES1Q_EEDaS1L_S1M_EUlS1L_E_NS1_11comp_targetILNS1_3genE4ELNS1_11target_archE910ELNS1_3gpuE8ELNS1_3repE0EEENS1_30default_config_static_selectorELNS0_4arch9wavefront6targetE1EEEvSZ_,comdat
	.globl	_ZN7rocprim17ROCPRIM_400000_NS6detail17trampoline_kernelINS0_13select_configILj256ELj13ELNS0_17block_load_methodE3ELS4_3ELS4_3ELNS0_20block_scan_algorithmE0ELj4294967295EEENS1_25partition_config_selectorILNS1_17partition_subalgoE3EjNS0_10empty_typeEbEEZZNS1_14partition_implILS8_3ELb0ES6_jNS0_17counting_iteratorIjlEEPS9_SE_NS0_5tupleIJPjSE_EEENSF_IJSE_SE_EEES9_SG_JZNS1_25segmented_radix_sort_implINS0_14default_configELb1EPK12hip_bfloat16PSL_PKlPlN2at6native12_GLOBAL__N_18offset_tEEE10hipError_tPvRmT1_PNSt15iterator_traitsISZ_E10value_typeET2_T3_PNS10_IS15_E10value_typeET4_jRbjT5_S1B_jjP12ihipStream_tbEUljE_EEESW_SX_SY_S15_S19_S1B_T6_T7_T9_mT8_S1D_bDpT10_ENKUlT_T0_E_clISt17integral_constantIbLb1EES1Q_EEDaS1L_S1M_EUlS1L_E_NS1_11comp_targetILNS1_3genE4ELNS1_11target_archE910ELNS1_3gpuE8ELNS1_3repE0EEENS1_30default_config_static_selectorELNS0_4arch9wavefront6targetE1EEEvSZ_ ; -- Begin function _ZN7rocprim17ROCPRIM_400000_NS6detail17trampoline_kernelINS0_13select_configILj256ELj13ELNS0_17block_load_methodE3ELS4_3ELS4_3ELNS0_20block_scan_algorithmE0ELj4294967295EEENS1_25partition_config_selectorILNS1_17partition_subalgoE3EjNS0_10empty_typeEbEEZZNS1_14partition_implILS8_3ELb0ES6_jNS0_17counting_iteratorIjlEEPS9_SE_NS0_5tupleIJPjSE_EEENSF_IJSE_SE_EEES9_SG_JZNS1_25segmented_radix_sort_implINS0_14default_configELb1EPK12hip_bfloat16PSL_PKlPlN2at6native12_GLOBAL__N_18offset_tEEE10hipError_tPvRmT1_PNSt15iterator_traitsISZ_E10value_typeET2_T3_PNS10_IS15_E10value_typeET4_jRbjT5_S1B_jjP12ihipStream_tbEUljE_EEESW_SX_SY_S15_S19_S1B_T6_T7_T9_mT8_S1D_bDpT10_ENKUlT_T0_E_clISt17integral_constantIbLb1EES1Q_EEDaS1L_S1M_EUlS1L_E_NS1_11comp_targetILNS1_3genE4ELNS1_11target_archE910ELNS1_3gpuE8ELNS1_3repE0EEENS1_30default_config_static_selectorELNS0_4arch9wavefront6targetE1EEEvSZ_
	.p2align	8
	.type	_ZN7rocprim17ROCPRIM_400000_NS6detail17trampoline_kernelINS0_13select_configILj256ELj13ELNS0_17block_load_methodE3ELS4_3ELS4_3ELNS0_20block_scan_algorithmE0ELj4294967295EEENS1_25partition_config_selectorILNS1_17partition_subalgoE3EjNS0_10empty_typeEbEEZZNS1_14partition_implILS8_3ELb0ES6_jNS0_17counting_iteratorIjlEEPS9_SE_NS0_5tupleIJPjSE_EEENSF_IJSE_SE_EEES9_SG_JZNS1_25segmented_radix_sort_implINS0_14default_configELb1EPK12hip_bfloat16PSL_PKlPlN2at6native12_GLOBAL__N_18offset_tEEE10hipError_tPvRmT1_PNSt15iterator_traitsISZ_E10value_typeET2_T3_PNS10_IS15_E10value_typeET4_jRbjT5_S1B_jjP12ihipStream_tbEUljE_EEESW_SX_SY_S15_S19_S1B_T6_T7_T9_mT8_S1D_bDpT10_ENKUlT_T0_E_clISt17integral_constantIbLb1EES1Q_EEDaS1L_S1M_EUlS1L_E_NS1_11comp_targetILNS1_3genE4ELNS1_11target_archE910ELNS1_3gpuE8ELNS1_3repE0EEENS1_30default_config_static_selectorELNS0_4arch9wavefront6targetE1EEEvSZ_,@function
_ZN7rocprim17ROCPRIM_400000_NS6detail17trampoline_kernelINS0_13select_configILj256ELj13ELNS0_17block_load_methodE3ELS4_3ELS4_3ELNS0_20block_scan_algorithmE0ELj4294967295EEENS1_25partition_config_selectorILNS1_17partition_subalgoE3EjNS0_10empty_typeEbEEZZNS1_14partition_implILS8_3ELb0ES6_jNS0_17counting_iteratorIjlEEPS9_SE_NS0_5tupleIJPjSE_EEENSF_IJSE_SE_EEES9_SG_JZNS1_25segmented_radix_sort_implINS0_14default_configELb1EPK12hip_bfloat16PSL_PKlPlN2at6native12_GLOBAL__N_18offset_tEEE10hipError_tPvRmT1_PNSt15iterator_traitsISZ_E10value_typeET2_T3_PNS10_IS15_E10value_typeET4_jRbjT5_S1B_jjP12ihipStream_tbEUljE_EEESW_SX_SY_S15_S19_S1B_T6_T7_T9_mT8_S1D_bDpT10_ENKUlT_T0_E_clISt17integral_constantIbLb1EES1Q_EEDaS1L_S1M_EUlS1L_E_NS1_11comp_targetILNS1_3genE4ELNS1_11target_archE910ELNS1_3gpuE8ELNS1_3repE0EEENS1_30default_config_static_selectorELNS0_4arch9wavefront6targetE1EEEvSZ_: ; @_ZN7rocprim17ROCPRIM_400000_NS6detail17trampoline_kernelINS0_13select_configILj256ELj13ELNS0_17block_load_methodE3ELS4_3ELS4_3ELNS0_20block_scan_algorithmE0ELj4294967295EEENS1_25partition_config_selectorILNS1_17partition_subalgoE3EjNS0_10empty_typeEbEEZZNS1_14partition_implILS8_3ELb0ES6_jNS0_17counting_iteratorIjlEEPS9_SE_NS0_5tupleIJPjSE_EEENSF_IJSE_SE_EEES9_SG_JZNS1_25segmented_radix_sort_implINS0_14default_configELb1EPK12hip_bfloat16PSL_PKlPlN2at6native12_GLOBAL__N_18offset_tEEE10hipError_tPvRmT1_PNSt15iterator_traitsISZ_E10value_typeET2_T3_PNS10_IS15_E10value_typeET4_jRbjT5_S1B_jjP12ihipStream_tbEUljE_EEESW_SX_SY_S15_S19_S1B_T6_T7_T9_mT8_S1D_bDpT10_ENKUlT_T0_E_clISt17integral_constantIbLb1EES1Q_EEDaS1L_S1M_EUlS1L_E_NS1_11comp_targetILNS1_3genE4ELNS1_11target_archE910ELNS1_3gpuE8ELNS1_3repE0EEENS1_30default_config_static_selectorELNS0_4arch9wavefront6targetE1EEEvSZ_
; %bb.0:
	s_load_dwordx2 s[28:29], s[4:5], 0x10
	s_load_dwordx2 s[24:25], s[4:5], 0x28
	;; [unrolled: 1-line block ×3, first 2 shown]
	s_load_dwordx4 s[20:23], s[4:5], 0x48
	s_load_dword s14, s[4:5], 0x90
	s_load_dwordx2 s[30:31], s[4:5], 0x68
	s_load_dwordx4 s[8:11], s[4:5], 0x80
	v_cmp_eq_u32_e64 s[0:1], 0, v0
	s_and_saveexec_b64 s[2:3], s[0:1]
	s_cbranch_execz .LBB1922_4
; %bb.1:
	s_mov_b64 s[12:13], exec
	v_mbcnt_lo_u32_b32 v1, s12, 0
	v_mbcnt_hi_u32_b32 v1, s13, v1
	v_cmp_eq_u32_e32 vcc, 0, v1
                                        ; implicit-def: $vgpr2
	s_and_saveexec_b64 s[6:7], vcc
	s_cbranch_execz .LBB1922_3
; %bb.2:
	s_load_dwordx2 s[16:17], s[4:5], 0x78
	s_bcnt1_i32_b64 s12, s[12:13]
	v_mov_b32_e32 v2, 0
	v_mov_b32_e32 v3, s12
	s_waitcnt lgkmcnt(0)
	global_atomic_add v2, v2, v3, s[16:17] glc
.LBB1922_3:
	s_or_b64 exec, exec, s[6:7]
	s_waitcnt vmcnt(0)
	v_readfirstlane_b32 s6, v2
	v_add_u32_e32 v1, s6, v1
	v_mov_b32_e32 v2, 0
	ds_write_b32 v2, v1
.LBB1922_4:
	s_or_b64 exec, exec, s[2:3]
	v_mov_b32_e32 v1, 0
	s_load_dword s2, s[4:5], 0x8
	s_load_dword s6, s[4:5], 0x70
	s_waitcnt lgkmcnt(0)
	s_barrier
	ds_read_b32 v2, v1
	s_waitcnt lgkmcnt(0)
	s_barrier
	global_load_dwordx2 v[20:21], v1, s[22:23]
	s_add_i32 s7, s2, s28
	s_movk_i32 s2, 0xd00
	s_add_i32 s4, s6, -1
	s_mulk_i32 s6, 0xd00
	v_mul_lo_u32 v1, v2, s2
	s_add_u32 s2, s28, s6
	v_readfirstlane_b32 s40, v2
	s_addc_u32 s3, s29, 0
	s_cmp_eq_u32 s40, s4
	v_pk_mov_b32 v[2:3], s[26:27], s[26:27] op_sel:[0,1]
	s_cselect_b64 s[22:23], -1, 0
	s_cmp_lg_u32 s40, s4
	v_cmp_lt_u64_e32 vcc, s[2:3], v[2:3]
	s_cselect_b64 s[2:3], -1, 0
	s_or_b64 s[4:5], vcc, s[2:3]
	v_add_u32_e32 v2, s7, v1
	s_mov_b64 s[2:3], -1
	s_and_b64 vcc, exec, s[4:5]
	v_add_u32_e32 v2, v2, v0
	v_lshlrev_b32_e32 v34, 2, v0
	s_cbranch_vccz .LBB1922_6
; %bb.5:
	v_add_u32_e32 v3, 0x100, v2
	v_add_u32_e32 v4, 0x200, v2
	;; [unrolled: 1-line block ×12, first 2 shown]
	ds_write2st64_b32 v34, v2, v3 offset1:4
	ds_write2st64_b32 v34, v4, v5 offset0:8 offset1:12
	ds_write2st64_b32 v34, v6, v7 offset0:16 offset1:20
	;; [unrolled: 1-line block ×5, first 2 shown]
	ds_write_b32 v34, v14 offset:12288
	s_waitcnt lgkmcnt(0)
	s_barrier
	s_mov_b64 s[2:3], 0
.LBB1922_6:
	s_andn2_b64 vcc, exec, s[2:3]
	s_add_i32 s6, s6, s28
	s_cbranch_vccnz .LBB1922_8
; %bb.7:
	v_add_u32_e32 v3, 0x100, v2
	v_add_u32_e32 v4, 0x200, v2
	;; [unrolled: 1-line block ×12, first 2 shown]
	ds_write2st64_b32 v34, v2, v3 offset1:4
	ds_write2st64_b32 v34, v4, v5 offset0:8 offset1:12
	ds_write2st64_b32 v34, v6, v7 offset0:16 offset1:20
	;; [unrolled: 1-line block ×5, first 2 shown]
	ds_write_b32 v34, v14 offset:12288
	s_waitcnt lgkmcnt(0)
	s_barrier
.LBB1922_8:
	v_mul_u32_u24_e32 v36, 13, v0
	v_lshlrev_b32_e32 v2, 2, v36
	ds_read2_b32 v[32:33], v2 offset1:1
	ds_read2_b32 v[30:31], v2 offset0:2 offset1:3
	ds_read2_b32 v[28:29], v2 offset0:4 offset1:5
	;; [unrolled: 1-line block ×5, first 2 shown]
	ds_read_b32 v35, v2 offset:48
	v_cndmask_b32_e64 v2, 0, 1, s[4:5]
	s_sub_i32 s33, s26, s6
	v_cmp_ne_u32_e64 s[2:3], 1, v2
	s_andn2_b64 vcc, exec, s[4:5]
	s_waitcnt lgkmcnt(0)
	s_barrier
	s_cbranch_vccnz .LBB1922_10
; %bb.9:
	v_add_u32_e32 v2, s9, v32
	v_add_u32_e32 v3, s11, v32
	v_mul_lo_u32 v2, v2, s8
	v_mul_lo_u32 v3, v3, s10
	v_sub_u32_e32 v2, v2, v3
	v_add_u32_e32 v3, s9, v33
	v_add_u32_e32 v4, s11, v33
	v_mul_lo_u32 v3, v3, s8
	v_mul_lo_u32 v4, v4, s10
	v_sub_u32_e32 v3, v3, v4
	;; [unrolled: 5-line block ×6, first 2 shown]
	v_add_u32_e32 v8, s9, v26
	v_add_u32_e32 v9, s11, v26
	v_mul_lo_u32 v8, v8, s8
	v_mul_lo_u32 v9, v9, s10
	v_cmp_lt_u32_e32 vcc, s14, v2
	v_sub_u32_e32 v8, v8, v9
	v_add_u32_e32 v9, s9, v27
	v_add_u32_e32 v10, s11, v27
	v_cndmask_b32_e64 v2, 0, 1, vcc
	v_cmp_lt_u32_e32 vcc, s14, v3
	v_mul_lo_u32 v9, v9, s8
	v_mul_lo_u32 v10, v10, s10
	v_cndmask_b32_e64 v3, 0, 1, vcc
	v_cmp_lt_u32_e32 vcc, s14, v4
	v_sub_u32_e32 v9, v9, v10
	v_add_u32_e32 v10, s9, v24
	v_add_u32_e32 v11, s11, v24
	v_cndmask_b32_e64 v4, 0, 1, vcc
	v_cmp_lt_u32_e32 vcc, s14, v5
	v_mul_lo_u32 v10, v10, s8
	v_mul_lo_u32 v11, v11, s10
	v_cndmask_b32_e64 v5, 0, 1, vcc
	;; [unrolled: 9-line block ×4, first 2 shown]
	v_cmp_lt_u32_e32 vcc, s14, v10
	v_sub_u32_e32 v12, v12, v13
	v_add_u32_e32 v13, s9, v23
	v_add_u32_e32 v14, s11, v23
	v_lshlrev_b16_e32 v3, 8, v3
	v_cndmask_b32_e64 v10, 0, 1, vcc
	v_cmp_lt_u32_e32 vcc, s14, v11
	v_mul_lo_u32 v13, v13, s8
	v_mul_lo_u32 v14, v14, s10
	v_or_b32_e32 v2, v2, v3
	v_lshlrev_b16_e32 v3, 8, v5
	v_cndmask_b32_e64 v11, 0, 1, vcc
	v_cmp_lt_u32_e32 vcc, s14, v12
	v_sub_u32_e32 v13, v13, v14
	v_or_b32_sdwa v3, v4, v3 dst_sel:WORD_1 dst_unused:UNUSED_PAD src0_sel:DWORD src1_sel:DWORD
	v_cndmask_b32_e64 v12, 0, 1, vcc
	v_cmp_lt_u32_e32 vcc, s14, v13
	v_add_u32_e32 v14, s9, v35
	v_add_u32_e32 v15, s11, v35
	v_or_b32_sdwa v40, v2, v3 dst_sel:DWORD dst_unused:UNUSED_PAD src0_sel:WORD_0 src1_sel:DWORD
	v_lshlrev_b16_e32 v2, 8, v7
	v_lshlrev_b16_e32 v3, 8, v9
	v_cndmask_b32_e64 v13, 0, 1, vcc
	v_mul_lo_u32 v14, v14, s8
	v_mul_lo_u32 v15, v15, s10
	v_or_b32_e32 v2, v6, v2
	v_or_b32_sdwa v3, v8, v3 dst_sel:WORD_1 dst_unused:UNUSED_PAD src0_sel:DWORD src1_sel:DWORD
	v_sub_u32_e32 v14, v14, v15
	v_or_b32_sdwa v39, v2, v3 dst_sel:DWORD dst_unused:UNUSED_PAD src0_sel:WORD_0 src1_sel:DWORD
	v_lshlrev_b16_e32 v2, 8, v11
	v_lshlrev_b16_e32 v3, 8, v13
	v_cmp_lt_u32_e32 vcc, s14, v14
	v_or_b32_e32 v2, v10, v2
	v_or_b32_sdwa v3, v12, v3 dst_sel:WORD_1 dst_unused:UNUSED_PAD src0_sel:DWORD src1_sel:DWORD
	v_cndmask_b32_e64 v37, 0, 1, vcc
	v_or_b32_sdwa v38, v2, v3 dst_sel:DWORD dst_unused:UNUSED_PAD src0_sel:WORD_0 src1_sel:DWORD
	s_addk_i32 s33, 0xd00
	s_cbranch_execz .LBB1922_11
	s_branch .LBB1922_38
.LBB1922_10:
                                        ; implicit-def: $vgpr37
                                        ; implicit-def: $vgpr38
                                        ; implicit-def: $vgpr39
                                        ; implicit-def: $vgpr40
	s_addk_i32 s33, 0xd00
.LBB1922_11:
	v_cmp_gt_u32_e32 vcc, s33, v36
	v_mov_b32_e32 v3, 0
	v_mov_b32_e32 v2, 0
	s_and_saveexec_b64 s[4:5], vcc
; %bb.12:
	v_add_u32_e32 v2, s9, v32
	v_add_u32_e32 v4, s11, v32
	v_mul_lo_u32 v2, v2, s8
	v_mul_lo_u32 v4, v4, s10
	v_sub_u32_e32 v2, v2, v4
	v_cmp_lt_u32_e32 vcc, s14, v2
	v_cndmask_b32_e64 v2, 0, 1, vcc
; %bb.13:
	s_or_b64 exec, exec, s[4:5]
	v_add_u32_e32 v4, 1, v36
	v_cmp_gt_u32_e32 vcc, s33, v4
	s_and_saveexec_b64 s[4:5], vcc
; %bb.14:
	v_add_u32_e32 v3, s9, v33
	v_add_u32_e32 v4, s11, v33
	v_mul_lo_u32 v3, v3, s8
	v_mul_lo_u32 v4, v4, s10
	v_sub_u32_e32 v3, v3, v4
	v_cmp_lt_u32_e32 vcc, s14, v3
	v_cndmask_b32_e64 v3, 0, 1, vcc
; %bb.15:
	s_or_b64 exec, exec, s[4:5]
	v_add_u32_e32 v4, 2, v36
	v_cmp_gt_u32_e32 vcc, s33, v4
	v_mov_b32_e32 v5, 0
	v_mov_b32_e32 v4, 0
	s_and_saveexec_b64 s[4:5], vcc
; %bb.16:
	v_add_u32_e32 v4, s9, v30
	v_add_u32_e32 v6, s11, v30
	v_mul_lo_u32 v4, v4, s8
	v_mul_lo_u32 v6, v6, s10
	v_sub_u32_e32 v4, v4, v6
	v_cmp_lt_u32_e32 vcc, s14, v4
	v_cndmask_b32_e64 v4, 0, 1, vcc
; %bb.17:
	s_or_b64 exec, exec, s[4:5]
	v_add_u32_e32 v6, 3, v36
	v_cmp_gt_u32_e32 vcc, s33, v6
	s_and_saveexec_b64 s[4:5], vcc
; %bb.18:
	v_add_u32_e32 v5, s9, v31
	v_add_u32_e32 v6, s11, v31
	v_mul_lo_u32 v5, v5, s8
	v_mul_lo_u32 v6, v6, s10
	v_sub_u32_e32 v5, v5, v6
	v_cmp_lt_u32_e32 vcc, s14, v5
	v_cndmask_b32_e64 v5, 0, 1, vcc
; %bb.19:
	s_or_b64 exec, exec, s[4:5]
	v_add_u32_e32 v6, 4, v36
	;; [unrolled: 28-line block ×6, first 2 shown]
	v_cmp_gt_u32_e32 vcc, s33, v14
	v_mov_b32_e32 v37, 0
	s_and_saveexec_b64 s[4:5], vcc
; %bb.36:
	v_add_u32_e32 v14, s9, v35
	v_add_u32_e32 v15, s11, v35
	v_mul_lo_u32 v14, v14, s8
	v_mul_lo_u32 v15, v15, s10
	v_sub_u32_e32 v14, v14, v15
	v_cmp_lt_u32_e32 vcc, s14, v14
	v_cndmask_b32_e64 v37, 0, 1, vcc
; %bb.37:
	s_or_b64 exec, exec, s[4:5]
	v_lshlrev_b16_e32 v3, 8, v3
	v_or_b32_e32 v2, v2, v3
	v_lshlrev_b16_e32 v3, 8, v5
	v_or_b32_sdwa v3, v4, v3 dst_sel:WORD_1 dst_unused:UNUSED_PAD src0_sel:DWORD src1_sel:DWORD
	v_or_b32_sdwa v40, v2, v3 dst_sel:DWORD dst_unused:UNUSED_PAD src0_sel:WORD_0 src1_sel:DWORD
	v_lshlrev_b16_e32 v2, 8, v7
	v_lshlrev_b16_e32 v3, 8, v9
	v_or_b32_e32 v2, v6, v2
	v_or_b32_sdwa v3, v8, v3 dst_sel:WORD_1 dst_unused:UNUSED_PAD src0_sel:DWORD src1_sel:DWORD
	v_or_b32_sdwa v39, v2, v3 dst_sel:DWORD dst_unused:UNUSED_PAD src0_sel:WORD_0 src1_sel:DWORD
	v_lshlrev_b16_e32 v2, 8, v11
	v_lshlrev_b16_e32 v3, 8, v13
	v_or_b32_e32 v2, v10, v2
	v_or_b32_sdwa v3, v12, v3 dst_sel:WORD_1 dst_unused:UNUSED_PAD src0_sel:DWORD src1_sel:DWORD
	v_or_b32_sdwa v38, v2, v3 dst_sel:DWORD dst_unused:UNUSED_PAD src0_sel:WORD_0 src1_sel:DWORD
.LBB1922_38:
	v_and_b32_e32 v44, 0xff, v40
	v_bfe_u32 v45, v40, 8, 8
	v_bfe_u32 v46, v40, 16, 8
	v_lshrrev_b32_e32 v43, 24, v40
	v_and_b32_e32 v47, 0xff, v39
	v_add3_u32 v3, v45, v44, v46
	v_bfe_u32 v48, v39, 8, 8
	v_bfe_u32 v49, v39, 16, 8
	v_add3_u32 v3, v3, v43, v47
	v_lshrrev_b32_e32 v42, 24, v39
	v_and_b32_e32 v50, 0xff, v38
	v_add3_u32 v3, v3, v48, v49
	v_bfe_u32 v51, v38, 8, 8
	v_bfe_u32 v52, v38, 16, 8
	v_add3_u32 v3, v3, v42, v50
	v_lshrrev_b32_e32 v41, 24, v38
	v_and_b32_e32 v2, 0xff, v37
	v_add3_u32 v3, v3, v51, v52
	v_add3_u32 v55, v3, v41, v2
	v_mbcnt_lo_u32_b32 v2, -1, 0
	v_mbcnt_hi_u32_b32 v53, -1, v2
	v_and_b32_e32 v2, 15, v53
	v_cmp_eq_u32_e64 s[16:17], 0, v2
	v_cmp_lt_u32_e64 s[14:15], 1, v2
	v_cmp_lt_u32_e64 s[12:13], 3, v2
	;; [unrolled: 1-line block ×3, first 2 shown]
	v_and_b32_e32 v2, 16, v53
	v_cmp_eq_u32_e64 s[8:9], 0, v2
	v_or_b32_e32 v2, 63, v0
	s_cmp_lg_u32 s40, 0
	v_cmp_lt_u32_e64 s[4:5], 31, v53
	v_lshrrev_b32_e32 v54, 6, v0
	v_cmp_eq_u32_e64 s[6:7], v2, v0
	s_cbranch_scc0 .LBB1922_69
; %bb.39:
	v_mov_b32_dpp v2, v55 row_shr:1 row_mask:0xf bank_mask:0xf
	v_cndmask_b32_e64 v2, v2, 0, s[16:17]
	v_add_u32_e32 v2, v2, v55
	s_nop 1
	v_mov_b32_dpp v3, v2 row_shr:2 row_mask:0xf bank_mask:0xf
	v_cndmask_b32_e64 v3, 0, v3, s[14:15]
	v_add_u32_e32 v2, v2, v3
	s_nop 1
	;; [unrolled: 4-line block ×4, first 2 shown]
	v_mov_b32_dpp v3, v2 row_bcast:15 row_mask:0xf bank_mask:0xf
	v_cndmask_b32_e64 v3, v3, 0, s[8:9]
	v_add_u32_e32 v2, v2, v3
	s_nop 1
	v_mov_b32_dpp v3, v2 row_bcast:31 row_mask:0xf bank_mask:0xf
	v_cndmask_b32_e64 v3, 0, v3, s[4:5]
	v_add_u32_e32 v2, v2, v3
	s_and_saveexec_b64 s[18:19], s[6:7]
	s_cbranch_execz .LBB1922_41
; %bb.40:
	v_lshlrev_b32_e32 v3, 2, v54
	ds_write_b32 v3, v2
.LBB1922_41:
	s_or_b64 exec, exec, s[18:19]
	v_cmp_gt_u32_e32 vcc, 4, v0
	s_waitcnt lgkmcnt(0)
	s_barrier
	s_and_saveexec_b64 s[18:19], vcc
	s_cbranch_execz .LBB1922_43
; %bb.42:
	ds_read_b32 v3, v34
	v_and_b32_e32 v4, 3, v53
	v_cmp_ne_u32_e32 vcc, 0, v4
	s_waitcnt lgkmcnt(0)
	v_mov_b32_dpp v5, v3 row_shr:1 row_mask:0xf bank_mask:0xf
	v_cndmask_b32_e32 v5, 0, v5, vcc
	v_add_u32_e32 v3, v5, v3
	v_cmp_lt_u32_e32 vcc, 1, v4
	s_nop 0
	v_mov_b32_dpp v5, v3 row_shr:2 row_mask:0xf bank_mask:0xf
	v_cndmask_b32_e32 v4, 0, v5, vcc
	v_add_u32_e32 v3, v3, v4
	ds_write_b32 v34, v3
.LBB1922_43:
	s_or_b64 exec, exec, s[18:19]
	v_cmp_gt_u32_e32 vcc, 64, v0
	v_cmp_lt_u32_e64 s[18:19], 63, v0
	s_waitcnt lgkmcnt(0)
	s_barrier
	s_waitcnt lgkmcnt(0)
                                        ; implicit-def: $vgpr12
	s_and_saveexec_b64 s[34:35], s[18:19]
	s_cbranch_execz .LBB1922_45
; %bb.44:
	v_lshl_add_u32 v3, v54, 2, -4
	ds_read_b32 v12, v3
	s_waitcnt lgkmcnt(0)
	v_add_u32_e32 v2, v12, v2
.LBB1922_45:
	s_or_b64 exec, exec, s[34:35]
	v_add_u32_e32 v3, -1, v53
	v_and_b32_e32 v4, 64, v53
	v_cmp_lt_i32_e64 s[18:19], v3, v4
	v_cndmask_b32_e64 v3, v3, v53, s[18:19]
	v_lshlrev_b32_e32 v3, 2, v3
	ds_bpermute_b32 v13, v3, v2
	v_cmp_eq_u32_e64 s[18:19], 0, v53
	s_and_saveexec_b64 s[34:35], vcc
	s_cbranch_execz .LBB1922_68
; %bb.46:
	v_mov_b32_e32 v11, 0
	ds_read_b32 v2, v11 offset:12
	s_and_saveexec_b64 s[36:37], s[18:19]
	s_cbranch_execz .LBB1922_48
; %bb.47:
	s_add_i32 s38, s40, 64
	s_mov_b32 s39, 0
	s_lshl_b64 s[38:39], s[38:39], 3
	s_add_u32 s38, s30, s38
	v_mov_b32_e32 v3, 1
	s_addc_u32 s39, s31, s39
	s_waitcnt lgkmcnt(0)
	global_store_dwordx2 v11, v[2:3], s[38:39]
.LBB1922_48:
	s_or_b64 exec, exec, s[36:37]
	v_xad_u32 v4, v53, -1, s40
	v_add_u32_e32 v10, 64, v4
	v_lshlrev_b64 v[6:7], 3, v[10:11]
	v_mov_b32_e32 v3, s31
	v_add_co_u32_e32 v6, vcc, s30, v6
	v_addc_co_u32_e32 v7, vcc, v3, v7, vcc
	global_load_dwordx2 v[8:9], v[6:7], off glc
	s_waitcnt vmcnt(0)
	v_cmp_eq_u16_sdwa s[38:39], v9, v11 src0_sel:BYTE_0 src1_sel:DWORD
	s_and_saveexec_b64 s[36:37], s[38:39]
	s_cbranch_execz .LBB1922_54
; %bb.49:
	s_mov_b32 s41, 1
	s_mov_b64 s[38:39], 0
	v_mov_b32_e32 v3, 0
.LBB1922_50:                            ; =>This Loop Header: Depth=1
                                        ;     Child Loop BB1922_51 Depth 2
	s_max_u32 s42, s41, 1
.LBB1922_51:                            ;   Parent Loop BB1922_50 Depth=1
                                        ; =>  This Inner Loop Header: Depth=2
	s_add_i32 s42, s42, -1
	s_cmp_eq_u32 s42, 0
	s_sleep 1
	s_cbranch_scc0 .LBB1922_51
; %bb.52:                               ;   in Loop: Header=BB1922_50 Depth=1
	global_load_dwordx2 v[8:9], v[6:7], off glc
	s_cmp_lt_u32 s41, 32
	s_cselect_b64 s[42:43], -1, 0
	s_cmp_lg_u64 s[42:43], 0
	s_addc_u32 s41, s41, 0
	s_waitcnt vmcnt(0)
	v_cmp_ne_u16_sdwa s[42:43], v9, v3 src0_sel:BYTE_0 src1_sel:DWORD
	s_or_b64 s[38:39], s[42:43], s[38:39]
	s_andn2_b64 exec, exec, s[38:39]
	s_cbranch_execnz .LBB1922_50
; %bb.53:
	s_or_b64 exec, exec, s[38:39]
.LBB1922_54:
	s_or_b64 exec, exec, s[36:37]
	v_and_b32_e32 v14, 63, v53
	v_mov_b32_e32 v3, 2
	v_cmp_ne_u32_e32 vcc, 63, v14
	v_cmp_eq_u16_sdwa s[36:37], v9, v3 src0_sel:BYTE_0 src1_sel:DWORD
	v_lshlrev_b64 v[6:7], v53, -1
	v_addc_co_u32_e32 v11, vcc, 0, v53, vcc
	v_and_b32_e32 v5, s37, v7
	v_lshlrev_b32_e32 v15, 2, v11
	v_or_b32_e32 v5, 0x80000000, v5
	ds_bpermute_b32 v11, v15, v8
	v_and_b32_e32 v10, s36, v6
	v_ffbl_b32_e32 v5, v5
	v_add_u32_e32 v5, 32, v5
	v_ffbl_b32_e32 v10, v10
	v_min_u32_e32 v5, v10, v5
	v_cmp_lt_u32_e32 vcc, v14, v5
	s_waitcnt lgkmcnt(0)
	v_cndmask_b32_e32 v10, 0, v11, vcc
	v_cmp_gt_u32_e32 vcc, 62, v14
	v_add_u32_e32 v8, v10, v8
	v_cndmask_b32_e64 v10, 0, 1, vcc
	v_lshlrev_b32_e32 v10, 1, v10
	v_add_lshl_u32 v16, v10, v53, 2
	ds_bpermute_b32 v10, v16, v8
	v_add_u32_e32 v17, 2, v14
	v_cmp_le_u32_e32 vcc, v17, v5
	v_add_u32_e32 v19, 4, v14
	v_add_u32_e32 v57, 8, v14
	s_waitcnt lgkmcnt(0)
	v_cndmask_b32_e32 v10, 0, v10, vcc
	v_cmp_gt_u32_e32 vcc, 60, v14
	v_add_u32_e32 v8, v8, v10
	v_cndmask_b32_e64 v10, 0, 1, vcc
	v_lshlrev_b32_e32 v10, 2, v10
	v_add_lshl_u32 v18, v10, v53, 2
	ds_bpermute_b32 v10, v18, v8
	v_cmp_le_u32_e32 vcc, v19, v5
	v_add_u32_e32 v60, 16, v14
	v_add_u32_e32 v62, 32, v14
	s_waitcnt lgkmcnt(0)
	v_cndmask_b32_e32 v10, 0, v10, vcc
	v_cmp_gt_u32_e32 vcc, 56, v14
	v_add_u32_e32 v8, v8, v10
	v_cndmask_b32_e64 v10, 0, 1, vcc
	v_lshlrev_b32_e32 v10, 3, v10
	v_add_lshl_u32 v56, v10, v53, 2
	ds_bpermute_b32 v10, v56, v8
	v_cmp_le_u32_e32 vcc, v57, v5
	s_waitcnt lgkmcnt(0)
	v_cndmask_b32_e32 v10, 0, v10, vcc
	v_cmp_gt_u32_e32 vcc, 48, v14
	v_add_u32_e32 v8, v8, v10
	v_cndmask_b32_e64 v10, 0, 1, vcc
	v_lshlrev_b32_e32 v10, 4, v10
	v_add_lshl_u32 v59, v10, v53, 2
	ds_bpermute_b32 v10, v59, v8
	v_cmp_le_u32_e32 vcc, v60, v5
	;; [unrolled: 9-line block ×3, first 2 shown]
	s_waitcnt lgkmcnt(0)
	v_cndmask_b32_e32 v5, 0, v10, vcc
	v_add_u32_e32 v8, v8, v5
	v_mov_b32_e32 v5, 0
	s_branch .LBB1922_56
.LBB1922_55:                            ;   in Loop: Header=BB1922_56 Depth=1
	s_or_b64 exec, exec, s[36:37]
	v_cmp_eq_u16_sdwa s[36:37], v9, v3 src0_sel:BYTE_0 src1_sel:DWORD
	v_and_b32_e32 v10, s37, v7
	v_or_b32_e32 v10, 0x80000000, v10
	ds_bpermute_b32 v63, v15, v8
	v_and_b32_e32 v11, s36, v6
	v_ffbl_b32_e32 v10, v10
	v_add_u32_e32 v10, 32, v10
	v_ffbl_b32_e32 v11, v11
	v_min_u32_e32 v10, v11, v10
	v_cmp_lt_u32_e32 vcc, v14, v10
	s_waitcnt lgkmcnt(0)
	v_cndmask_b32_e32 v11, 0, v63, vcc
	v_add_u32_e32 v8, v11, v8
	ds_bpermute_b32 v11, v16, v8
	v_cmp_le_u32_e32 vcc, v17, v10
	v_subrev_u32_e32 v4, 64, v4
	s_waitcnt lgkmcnt(0)
	v_cndmask_b32_e32 v11, 0, v11, vcc
	v_add_u32_e32 v8, v8, v11
	ds_bpermute_b32 v11, v18, v8
	v_cmp_le_u32_e32 vcc, v19, v10
	s_waitcnt lgkmcnt(0)
	v_cndmask_b32_e32 v11, 0, v11, vcc
	v_add_u32_e32 v8, v8, v11
	ds_bpermute_b32 v11, v56, v8
	v_cmp_le_u32_e32 vcc, v57, v10
	;; [unrolled: 5-line block ×4, first 2 shown]
	s_waitcnt lgkmcnt(0)
	v_cndmask_b32_e32 v10, 0, v11, vcc
	v_add3_u32 v8, v10, v58, v8
.LBB1922_56:                            ; =>This Loop Header: Depth=1
                                        ;     Child Loop BB1922_59 Depth 2
                                        ;       Child Loop BB1922_60 Depth 3
	v_cmp_ne_u16_sdwa s[36:37], v9, v3 src0_sel:BYTE_0 src1_sel:DWORD
	v_cndmask_b32_e64 v9, 0, 1, s[36:37]
	;;#ASMSTART
	;;#ASMEND
	v_cmp_ne_u32_e32 vcc, 0, v9
	s_cmp_lg_u64 vcc, exec
	v_mov_b32_e32 v58, v8
	s_cbranch_scc1 .LBB1922_63
; %bb.57:                               ;   in Loop: Header=BB1922_56 Depth=1
	v_lshlrev_b64 v[8:9], 3, v[4:5]
	v_mov_b32_e32 v11, s31
	v_add_co_u32_e32 v10, vcc, s30, v8
	v_addc_co_u32_e32 v11, vcc, v11, v9, vcc
	global_load_dwordx2 v[8:9], v[10:11], off glc
	s_waitcnt vmcnt(0)
	v_cmp_eq_u16_sdwa s[38:39], v9, v5 src0_sel:BYTE_0 src1_sel:DWORD
	s_and_saveexec_b64 s[36:37], s[38:39]
	s_cbranch_execz .LBB1922_55
; %bb.58:                               ;   in Loop: Header=BB1922_56 Depth=1
	s_mov_b32 s41, 1
	s_mov_b64 s[38:39], 0
.LBB1922_59:                            ;   Parent Loop BB1922_56 Depth=1
                                        ; =>  This Loop Header: Depth=2
                                        ;       Child Loop BB1922_60 Depth 3
	s_max_u32 s42, s41, 1
.LBB1922_60:                            ;   Parent Loop BB1922_56 Depth=1
                                        ;     Parent Loop BB1922_59 Depth=2
                                        ; =>    This Inner Loop Header: Depth=3
	s_add_i32 s42, s42, -1
	s_cmp_eq_u32 s42, 0
	s_sleep 1
	s_cbranch_scc0 .LBB1922_60
; %bb.61:                               ;   in Loop: Header=BB1922_59 Depth=2
	global_load_dwordx2 v[8:9], v[10:11], off glc
	s_cmp_lt_u32 s41, 32
	s_cselect_b64 s[42:43], -1, 0
	s_cmp_lg_u64 s[42:43], 0
	s_addc_u32 s41, s41, 0
	s_waitcnt vmcnt(0)
	v_cmp_ne_u16_sdwa s[42:43], v9, v5 src0_sel:BYTE_0 src1_sel:DWORD
	s_or_b64 s[38:39], s[42:43], s[38:39]
	s_andn2_b64 exec, exec, s[38:39]
	s_cbranch_execnz .LBB1922_59
; %bb.62:                               ;   in Loop: Header=BB1922_56 Depth=1
	s_or_b64 exec, exec, s[38:39]
	s_branch .LBB1922_55
.LBB1922_63:                            ;   in Loop: Header=BB1922_56 Depth=1
                                        ; implicit-def: $vgpr8
                                        ; implicit-def: $vgpr9
	s_cbranch_execz .LBB1922_56
; %bb.64:
	s_and_saveexec_b64 s[36:37], s[18:19]
	s_cbranch_execz .LBB1922_66
; %bb.65:
	s_add_i32 s38, s40, 64
	s_mov_b32 s39, 0
	s_lshl_b64 s[38:39], s[38:39], 3
	s_add_u32 s38, s30, s38
	v_add_u32_e32 v4, v58, v2
	v_mov_b32_e32 v5, 2
	s_addc_u32 s39, s31, s39
	v_mov_b32_e32 v3, 0
	global_store_dwordx2 v3, v[4:5], s[38:39]
	s_movk_i32 s38, 0x3400
	v_add_u32_e64 v3, s38, 0
	ds_write2_b32 v3, v2, v58 offset1:2
.LBB1922_66:
	s_or_b64 exec, exec, s[36:37]
	s_and_b64 exec, exec, s[0:1]
	s_cbranch_execz .LBB1922_68
; %bb.67:
	v_mov_b32_e32 v2, 0
	ds_write_b32 v2, v58 offset:12
.LBB1922_68:
	s_or_b64 exec, exec, s[34:35]
	v_mov_b32_e32 v2, 0
	s_waitcnt lgkmcnt(0)
	s_barrier
	ds_read_b32 v2, v2 offset:12
	v_cndmask_b32_e64 v3, v13, v12, s[18:19]
	v_cndmask_b32_e64 v3, v3, 0, s[0:1]
	s_movk_i32 s18, 0x3400
	v_add_u32_e64 v12, s18, 0
	s_waitcnt lgkmcnt(0)
	v_add_u32_e32 v2, v2, v3
	v_add_u32_e32 v3, v2, v44
	v_add_u32_e32 v4, v3, v45
	v_add_u32_e32 v5, v4, v46
	v_add_u32_e32 v6, v5, v43
	v_add_u32_e32 v7, v6, v47
	v_add_u32_e32 v8, v7, v48
	v_add_u32_e32 v9, v8, v49
	v_add_u32_e32 v10, v9, v42
	s_barrier
	ds_read2_b32 v[18:19], v12 offset1:2
	v_add_u32_e32 v11, v10, v50
	v_add_u32_e32 v12, v11, v51
	;; [unrolled: 1-line block ×4, first 2 shown]
	s_branch .LBB1922_79
.LBB1922_69:
                                        ; implicit-def: $vgpr19
                                        ; implicit-def: $vgpr2_vgpr3_vgpr4_vgpr5_vgpr6_vgpr7_vgpr8_vgpr9_vgpr10_vgpr11_vgpr12_vgpr13_vgpr14_vgpr15_vgpr16_vgpr17
	s_cbranch_execz .LBB1922_79
; %bb.70:
	s_nop 0
	v_mov_b32_dpp v2, v55 row_shr:1 row_mask:0xf bank_mask:0xf
	v_cndmask_b32_e64 v2, v2, 0, s[16:17]
	v_add_u32_e32 v2, v2, v55
	s_nop 1
	v_mov_b32_dpp v3, v2 row_shr:2 row_mask:0xf bank_mask:0xf
	v_cndmask_b32_e64 v3, 0, v3, s[14:15]
	v_add_u32_e32 v2, v2, v3
	s_nop 1
	v_mov_b32_dpp v3, v2 row_shr:4 row_mask:0xf bank_mask:0xf
	v_cndmask_b32_e64 v3, 0, v3, s[12:13]
	v_add_u32_e32 v2, v2, v3
	s_nop 1
	v_mov_b32_dpp v3, v2 row_shr:8 row_mask:0xf bank_mask:0xf
	v_cndmask_b32_e64 v3, 0, v3, s[10:11]
	v_add_u32_e32 v2, v2, v3
	s_nop 1
	v_mov_b32_dpp v3, v2 row_bcast:15 row_mask:0xf bank_mask:0xf
	v_cndmask_b32_e64 v3, v3, 0, s[8:9]
	v_add_u32_e32 v2, v2, v3
	s_nop 1
	v_mov_b32_dpp v3, v2 row_bcast:31 row_mask:0xf bank_mask:0xf
	v_cndmask_b32_e64 v3, 0, v3, s[4:5]
	v_add_u32_e32 v2, v2, v3
	s_and_saveexec_b64 s[4:5], s[6:7]
	s_cbranch_execz .LBB1922_72
; %bb.71:
	v_lshlrev_b32_e32 v3, 2, v54
	ds_write_b32 v3, v2
.LBB1922_72:
	s_or_b64 exec, exec, s[4:5]
	v_cmp_gt_u32_e32 vcc, 4, v0
	s_waitcnt lgkmcnt(0)
	s_barrier
	s_and_saveexec_b64 s[4:5], vcc
	s_cbranch_execz .LBB1922_74
; %bb.73:
	ds_read_b32 v3, v34
	v_and_b32_e32 v4, 3, v53
	v_cmp_ne_u32_e32 vcc, 0, v4
	s_waitcnt lgkmcnt(0)
	v_mov_b32_dpp v5, v3 row_shr:1 row_mask:0xf bank_mask:0xf
	v_cndmask_b32_e32 v5, 0, v5, vcc
	v_add_u32_e32 v3, v5, v3
	v_cmp_lt_u32_e32 vcc, 1, v4
	s_nop 0
	v_mov_b32_dpp v5, v3 row_shr:2 row_mask:0xf bank_mask:0xf
	v_cndmask_b32_e32 v4, 0, v5, vcc
	v_add_u32_e32 v3, v3, v4
	ds_write_b32 v34, v3
.LBB1922_74:
	s_or_b64 exec, exec, s[4:5]
	v_cmp_lt_u32_e32 vcc, 63, v0
	v_mov_b32_e32 v4, 0
	v_mov_b32_e32 v3, 0
	s_waitcnt lgkmcnt(0)
	s_barrier
	s_and_saveexec_b64 s[4:5], vcc
	s_cbranch_execz .LBB1922_76
; %bb.75:
	v_lshl_add_u32 v3, v54, 2, -4
	ds_read_b32 v3, v3
.LBB1922_76:
	s_or_b64 exec, exec, s[4:5]
	v_add_u32_e32 v5, -1, v53
	v_and_b32_e32 v6, 64, v53
	v_cmp_lt_i32_e32 vcc, v5, v6
	v_cndmask_b32_e32 v5, v5, v53, vcc
	s_waitcnt lgkmcnt(0)
	v_add_u32_e32 v2, v3, v2
	v_lshlrev_b32_e32 v5, 2, v5
	ds_bpermute_b32 v2, v5, v2
	ds_read_b32 v18, v4 offset:12
	s_and_saveexec_b64 s[4:5], s[0:1]
	s_cbranch_execz .LBB1922_78
; %bb.77:
	v_mov_b32_e32 v4, 0
	v_mov_b32_e32 v19, 2
	s_waitcnt lgkmcnt(0)
	global_store_dwordx2 v4, v[18:19], s[30:31] offset:512
.LBB1922_78:
	s_or_b64 exec, exec, s[4:5]
	v_cmp_eq_u32_e32 vcc, 0, v53
	s_waitcnt lgkmcnt(1)
	v_cndmask_b32_e32 v2, v2, v3, vcc
	v_cndmask_b32_e64 v2, v2, 0, s[0:1]
	v_add_u32_e32 v3, v2, v44
	v_add_u32_e32 v4, v3, v45
	;; [unrolled: 1-line block ×11, first 2 shown]
	v_mov_b32_e32 v19, 0
	v_add_u32_e32 v14, v13, v41
	s_waitcnt lgkmcnt(0)
	s_barrier
.LBB1922_79:
	s_waitcnt lgkmcnt(0)
	v_add_u32_e32 v36, v18, v36
	v_sub_u32_e32 v2, v2, v19
	v_and_b32_e32 v45, 1, v40
	v_sub_u32_e32 v44, v36, v2
	v_cmp_eq_u32_e32 vcc, 1, v45
	v_cndmask_b32_e32 v2, v44, v2, vcc
	v_lshlrev_b32_e32 v2, 2, v2
	v_lshrrev_b32_e32 v17, 8, v40
	ds_write_b32 v2, v32
	v_sub_u32_e32 v2, v3, v19
	v_sub_u32_e32 v3, v36, v2
	v_and_b32_e32 v17, 1, v17
	v_add_u32_e32 v3, 1, v3
	v_cmp_eq_u32_e32 vcc, 1, v17
	v_cndmask_b32_e32 v2, v3, v2, vcc
	v_lshlrev_b32_e32 v2, 2, v2
	ds_write_b32 v2, v33
	v_sub_u32_e32 v2, v4, v19
	v_mov_b32_e32 v4, 1
	v_sub_u32_e32 v3, v36, v2
	v_and_b32_sdwa v17, v4, v40 dst_sel:DWORD dst_unused:UNUSED_PAD src0_sel:DWORD src1_sel:WORD_1
	v_add_u32_e32 v3, 2, v3
	v_cmp_eq_u32_e32 vcc, 1, v17
	v_cndmask_b32_e32 v2, v3, v2, vcc
	v_lshlrev_b32_e32 v2, 2, v2
	ds_write_b32 v2, v30
	v_sub_u32_e32 v2, v5, v19
	v_sub_u32_e32 v3, v36, v2
	v_and_b32_e32 v5, 1, v43
	v_add_u32_e32 v3, 3, v3
	v_cmp_eq_u32_e32 vcc, 1, v5
	v_cndmask_b32_e32 v2, v3, v2, vcc
	v_lshlrev_b32_e32 v2, 2, v2
	ds_write_b32 v2, v31
	v_sub_u32_e32 v2, v6, v19
	v_sub_u32_e32 v3, v36, v2
	v_and_b32_e32 v5, 1, v39
	v_add_u32_e32 v3, 4, v3
	v_cmp_eq_u32_e32 vcc, 1, v5
	v_cndmask_b32_e32 v2, v3, v2, vcc
	v_lshlrev_b32_e32 v2, 2, v2
	v_lshrrev_b32_e32 v16, 8, v39
	ds_write_b32 v2, v28
	v_sub_u32_e32 v2, v7, v19
	v_sub_u32_e32 v3, v36, v2
	v_and_b32_e32 v5, 1, v16
	v_add_u32_e32 v3, 5, v3
	v_cmp_eq_u32_e32 vcc, 1, v5
	v_cndmask_b32_e32 v2, v3, v2, vcc
	v_lshlrev_b32_e32 v2, 2, v2
	ds_write_b32 v2, v29
	v_sub_u32_e32 v2, v8, v19
	v_sub_u32_e32 v3, v36, v2
	v_and_b32_sdwa v5, v4, v39 dst_sel:DWORD dst_unused:UNUSED_PAD src0_sel:DWORD src1_sel:WORD_1
	v_add_u32_e32 v3, 6, v3
	v_cmp_eq_u32_e32 vcc, 1, v5
	v_cndmask_b32_e32 v2, v3, v2, vcc
	v_lshlrev_b32_e32 v2, 2, v2
	ds_write_b32 v2, v26
	v_sub_u32_e32 v2, v9, v19
	v_sub_u32_e32 v3, v36, v2
	v_and_b32_e32 v5, 1, v42
	v_add_u32_e32 v3, 7, v3
	v_cmp_eq_u32_e32 vcc, 1, v5
	v_cndmask_b32_e32 v2, v3, v2, vcc
	v_lshlrev_b32_e32 v2, 2, v2
	ds_write_b32 v2, v27
	v_sub_u32_e32 v2, v10, v19
	v_sub_u32_e32 v3, v36, v2
	v_and_b32_e32 v5, 1, v38
	v_add_u32_e32 v3, 8, v3
	v_cmp_eq_u32_e32 vcc, 1, v5
	v_cndmask_b32_e32 v2, v3, v2, vcc
	v_lshlrev_b32_e32 v2, 2, v2
	v_lshrrev_b32_e32 v15, 8, v38
	ds_write_b32 v2, v24
	v_sub_u32_e32 v2, v11, v19
	v_sub_u32_e32 v3, v36, v2
	v_and_b32_e32 v5, 1, v15
	v_add_u32_e32 v3, 9, v3
	v_cmp_eq_u32_e32 vcc, 1, v5
	v_cndmask_b32_e32 v2, v3, v2, vcc
	v_lshlrev_b32_e32 v2, 2, v2
	ds_write_b32 v2, v25
	v_sub_u32_e32 v2, v12, v19
	v_sub_u32_e32 v3, v36, v2
	v_and_b32_sdwa v4, v4, v38 dst_sel:DWORD dst_unused:UNUSED_PAD src0_sel:DWORD src1_sel:WORD_1
	v_add_u32_e32 v3, 10, v3
	v_cmp_eq_u32_e32 vcc, 1, v4
	v_cndmask_b32_e32 v2, v3, v2, vcc
	v_lshlrev_b32_e32 v2, 2, v2
	ds_write_b32 v2, v22
	v_sub_u32_e32 v2, v13, v19
	v_sub_u32_e32 v3, v36, v2
	v_and_b32_e32 v4, 1, v41
	v_add_u32_e32 v3, 11, v3
	v_cmp_eq_u32_e32 vcc, 1, v4
	v_cndmask_b32_e32 v2, v3, v2, vcc
	v_lshlrev_b32_e32 v2, 2, v2
	ds_write_b32 v2, v23
	v_sub_u32_e32 v2, v14, v19
	v_sub_u32_e32 v3, v36, v2
	v_and_b32_e32 v4, 1, v37
	v_add_u32_e32 v3, 12, v3
	v_cmp_eq_u32_e32 vcc, 1, v4
	v_cndmask_b32_e32 v2, v3, v2, vcc
	s_waitcnt vmcnt(0)
	v_add_co_u32_e32 v16, vcc, v20, v19
	v_addc_co_u32_e32 v17, vcc, 0, v21, vcc
	v_mov_b32_e32 v14, s29
	v_add_co_u32_e32 v1, vcc, s28, v1
	v_addc_co_u32_e32 v14, vcc, 0, v14, vcc
	v_lshlrev_b32_e32 v2, 2, v2
	v_mov_b32_e32 v15, s27
	v_sub_co_u32_e32 v1, vcc, s26, v1
	ds_write_b32 v2, v35
	s_waitcnt lgkmcnt(0)
	s_barrier
	ds_read2st64_b32 v[12:13], v34 offset1:4
	ds_read2st64_b32 v[10:11], v34 offset0:8 offset1:12
	ds_read2st64_b32 v[8:9], v34 offset0:16 offset1:20
	;; [unrolled: 1-line block ×5, first 2 shown]
	ds_read_b32 v22, v34 offset:12288
	v_subb_co_u32_e32 v14, vcc, v15, v14, vcc
	v_add_co_u32_e32 v1, vcc, v1, v18
	v_addc_co_u32_e32 v14, vcc, 0, v14, vcc
	s_and_b64 vcc, exec, s[2:3]
	v_add_co_u32_e64 v1, s[2:3], v1, v16
	v_or_b32_e32 v35, 0x100, v0
	v_or_b32_e32 v33, 0x200, v0
	;; [unrolled: 1-line block ×12, first 2 shown]
	v_addc_co_u32_e64 v19, s[2:3], v14, v17, s[2:3]
	s_cbranch_vccnz .LBB1922_136
; %bb.80:
	v_cmp_ge_u32_e32 vcc, v0, v18
                                        ; implicit-def: $vgpr14_vgpr15
	s_and_saveexec_b64 s[2:3], vcc
	s_xor_b64 s[2:3], exec, s[2:3]
; %bb.81:
	v_not_b32_e32 v14, v0
	v_ashrrev_i32_e32 v15, 31, v14
	v_add_co_u32_e32 v14, vcc, v1, v14
	v_addc_co_u32_e32 v15, vcc, v19, v15, vcc
; %bb.82:
	s_andn2_saveexec_b64 s[2:3], s[2:3]
; %bb.83:
	v_add_co_u32_e32 v14, vcc, v16, v0
	v_addc_co_u32_e32 v15, vcc, 0, v17, vcc
; %bb.84:
	s_or_b64 exec, exec, s[2:3]
	v_lshlrev_b64 v[14:15], 2, v[14:15]
	v_mov_b32_e32 v20, s25
	v_add_co_u32_e32 v14, vcc, s24, v14
	v_addc_co_u32_e32 v15, vcc, v20, v15, vcc
	v_cmp_ge_u32_e32 vcc, v35, v18
	s_waitcnt lgkmcnt(6)
	global_store_dword v[14:15], v12, off
                                        ; implicit-def: $vgpr14_vgpr15
	s_and_saveexec_b64 s[2:3], vcc
	s_xor_b64 s[2:3], exec, s[2:3]
; %bb.85:
	v_xor_b32_e32 v14, 0xfffffeff, v0
	v_ashrrev_i32_e32 v15, 31, v14
	v_add_co_u32_e32 v14, vcc, v1, v14
	v_addc_co_u32_e32 v15, vcc, v19, v15, vcc
; %bb.86:
	s_andn2_saveexec_b64 s[2:3], s[2:3]
; %bb.87:
	v_add_co_u32_e32 v14, vcc, v16, v35
	v_addc_co_u32_e32 v15, vcc, 0, v17, vcc
; %bb.88:
	s_or_b64 exec, exec, s[2:3]
	v_lshlrev_b64 v[14:15], 2, v[14:15]
	v_mov_b32_e32 v20, s25
	v_add_co_u32_e32 v14, vcc, s24, v14
	v_addc_co_u32_e32 v15, vcc, v20, v15, vcc
	v_cmp_ge_u32_e32 vcc, v33, v18
	global_store_dword v[14:15], v13, off
                                        ; implicit-def: $vgpr14_vgpr15
	s_and_saveexec_b64 s[2:3], vcc
	s_xor_b64 s[2:3], exec, s[2:3]
; %bb.89:
	v_xor_b32_e32 v14, 0xfffffdff, v0
	v_ashrrev_i32_e32 v15, 31, v14
	v_add_co_u32_e32 v14, vcc, v1, v14
	v_addc_co_u32_e32 v15, vcc, v19, v15, vcc
; %bb.90:
	s_andn2_saveexec_b64 s[2:3], s[2:3]
; %bb.91:
	v_add_co_u32_e32 v14, vcc, v16, v33
	v_addc_co_u32_e32 v15, vcc, 0, v17, vcc
; %bb.92:
	s_or_b64 exec, exec, s[2:3]
	v_lshlrev_b64 v[14:15], 2, v[14:15]
	v_mov_b32_e32 v20, s25
	v_add_co_u32_e32 v14, vcc, s24, v14
	v_addc_co_u32_e32 v15, vcc, v20, v15, vcc
	v_cmp_ge_u32_e32 vcc, v32, v18
	s_waitcnt lgkmcnt(5)
	global_store_dword v[14:15], v10, off
                                        ; implicit-def: $vgpr14_vgpr15
	s_and_saveexec_b64 s[2:3], vcc
	s_xor_b64 s[2:3], exec, s[2:3]
; %bb.93:
	v_xor_b32_e32 v14, 0xfffffcff, v0
	v_ashrrev_i32_e32 v15, 31, v14
	v_add_co_u32_e32 v14, vcc, v1, v14
	v_addc_co_u32_e32 v15, vcc, v19, v15, vcc
; %bb.94:
	s_andn2_saveexec_b64 s[2:3], s[2:3]
; %bb.95:
	v_add_co_u32_e32 v14, vcc, v16, v32
	v_addc_co_u32_e32 v15, vcc, 0, v17, vcc
; %bb.96:
	s_or_b64 exec, exec, s[2:3]
	v_lshlrev_b64 v[14:15], 2, v[14:15]
	v_mov_b32_e32 v20, s25
	v_add_co_u32_e32 v14, vcc, s24, v14
	v_addc_co_u32_e32 v15, vcc, v20, v15, vcc
	v_cmp_ge_u32_e32 vcc, v31, v18
	global_store_dword v[14:15], v11, off
                                        ; implicit-def: $vgpr14_vgpr15
	s_and_saveexec_b64 s[2:3], vcc
	s_xor_b64 s[2:3], exec, s[2:3]
; %bb.97:
	v_xor_b32_e32 v14, 0xfffffbff, v0
	;; [unrolled: 43-line block ×6, first 2 shown]
	v_ashrrev_i32_e32 v15, 31, v14
	v_add_co_u32_e32 v14, vcc, v1, v14
	v_addc_co_u32_e32 v15, vcc, v19, v15, vcc
; %bb.130:
	s_andn2_saveexec_b64 s[2:3], s[2:3]
; %bb.131:
	v_add_co_u32_e32 v14, vcc, v16, v23
	v_addc_co_u32_e32 v15, vcc, 0, v17, vcc
; %bb.132:
	s_or_b64 exec, exec, s[2:3]
	s_mov_b64 s[2:3], -1
.LBB1922_133:
	s_and_saveexec_b64 s[4:5], s[2:3]
	s_cbranch_execz .LBB1922_216
.LBB1922_134:
	v_lshlrev_b64 v[0:1], 2, v[14:15]
	s_waitcnt lgkmcnt(1)
	v_mov_b32_e32 v2, s25
	v_add_co_u32_e32 v0, vcc, s24, v0
	v_addc_co_u32_e32 v1, vcc, v2, v1, vcc
	s_waitcnt lgkmcnt(0)
	global_store_dword v[0:1], v22, off
	s_or_b64 exec, exec, s[4:5]
	s_and_b64 s[0:1], s[0:1], s[22:23]
	s_and_saveexec_b64 s[2:3], s[0:1]
	s_cbranch_execnz .LBB1922_217
.LBB1922_135:
	s_endpgm
.LBB1922_136:
	s_mov_b64 s[2:3], 0
                                        ; implicit-def: $vgpr14_vgpr15
	s_cbranch_execz .LBB1922_133
; %bb.137:
	v_cmp_gt_u32_e32 vcc, s33, v0
	s_and_saveexec_b64 s[4:5], vcc
	s_cbranch_execz .LBB1922_173
; %bb.138:
	v_cmp_ge_u32_e32 vcc, v0, v18
                                        ; implicit-def: $vgpr14_vgpr15
	s_and_saveexec_b64 s[6:7], vcc
	s_xor_b64 s[6:7], exec, s[6:7]
; %bb.139:
	v_not_b32_e32 v14, v0
	v_ashrrev_i32_e32 v15, 31, v14
	v_add_co_u32_e32 v14, vcc, v1, v14
	v_addc_co_u32_e32 v15, vcc, v19, v15, vcc
; %bb.140:
	s_andn2_saveexec_b64 s[6:7], s[6:7]
; %bb.141:
	v_add_co_u32_e32 v14, vcc, v16, v0
	v_addc_co_u32_e32 v15, vcc, 0, v17, vcc
; %bb.142:
	s_or_b64 exec, exec, s[6:7]
	v_lshlrev_b64 v[14:15], 2, v[14:15]
	v_mov_b32_e32 v20, s25
	v_add_co_u32_e32 v14, vcc, s24, v14
	v_addc_co_u32_e32 v15, vcc, v20, v15, vcc
	s_waitcnt lgkmcnt(6)
	global_store_dword v[14:15], v12, off
	s_or_b64 exec, exec, s[4:5]
	v_cmp_gt_u32_e32 vcc, s33, v35
	s_and_saveexec_b64 s[4:5], vcc
	s_cbranch_execnz .LBB1922_174
.LBB1922_143:
	s_or_b64 exec, exec, s[4:5]
	v_cmp_gt_u32_e32 vcc, s33, v33
	s_and_saveexec_b64 s[4:5], vcc
	s_cbranch_execz .LBB1922_179
.LBB1922_144:
	v_cmp_ge_u32_e32 vcc, v33, v18
                                        ; implicit-def: $vgpr12_vgpr13
	s_and_saveexec_b64 s[6:7], vcc
	s_xor_b64 s[6:7], exec, s[6:7]
	s_cbranch_execz .LBB1922_146
; %bb.145:
	s_waitcnt lgkmcnt(6)
	v_xor_b32_e32 v12, 0xfffffdff, v0
	v_ashrrev_i32_e32 v13, 31, v12
	v_add_co_u32_e32 v12, vcc, v1, v12
	v_addc_co_u32_e32 v13, vcc, v19, v13, vcc
                                        ; implicit-def: $vgpr33
.LBB1922_146:
	s_andn2_saveexec_b64 s[6:7], s[6:7]
	s_cbranch_execz .LBB1922_148
; %bb.147:
	s_waitcnt lgkmcnt(6)
	v_add_co_u32_e32 v12, vcc, v16, v33
	v_addc_co_u32_e32 v13, vcc, 0, v17, vcc
.LBB1922_148:
	s_or_b64 exec, exec, s[6:7]
	s_waitcnt lgkmcnt(6)
	v_lshlrev_b64 v[12:13], 2, v[12:13]
	v_mov_b32_e32 v14, s25
	v_add_co_u32_e32 v12, vcc, s24, v12
	v_addc_co_u32_e32 v13, vcc, v14, v13, vcc
	s_waitcnt lgkmcnt(5)
	global_store_dword v[12:13], v10, off
	s_or_b64 exec, exec, s[4:5]
	v_cmp_gt_u32_e32 vcc, s33, v32
	s_and_saveexec_b64 s[4:5], vcc
	s_cbranch_execnz .LBB1922_180
.LBB1922_149:
	s_or_b64 exec, exec, s[4:5]
	v_cmp_gt_u32_e32 vcc, s33, v31
	s_and_saveexec_b64 s[4:5], vcc
	s_cbranch_execz .LBB1922_185
.LBB1922_150:
	v_cmp_ge_u32_e32 vcc, v31, v18
                                        ; implicit-def: $vgpr10_vgpr11
	s_and_saveexec_b64 s[6:7], vcc
	s_xor_b64 s[6:7], exec, s[6:7]
	s_cbranch_execz .LBB1922_152
; %bb.151:
	s_waitcnt lgkmcnt(5)
	v_xor_b32_e32 v10, 0xfffffbff, v0
	v_ashrrev_i32_e32 v11, 31, v10
	v_add_co_u32_e32 v10, vcc, v1, v10
	v_addc_co_u32_e32 v11, vcc, v19, v11, vcc
                                        ; implicit-def: $vgpr31
.LBB1922_152:
	s_andn2_saveexec_b64 s[6:7], s[6:7]
	s_cbranch_execz .LBB1922_154
; %bb.153:
	s_waitcnt lgkmcnt(5)
	v_add_co_u32_e32 v10, vcc, v16, v31
	v_addc_co_u32_e32 v11, vcc, 0, v17, vcc
.LBB1922_154:
	s_or_b64 exec, exec, s[6:7]
	s_waitcnt lgkmcnt(5)
	v_lshlrev_b64 v[10:11], 2, v[10:11]
	v_mov_b32_e32 v12, s25
	v_add_co_u32_e32 v10, vcc, s24, v10
	v_addc_co_u32_e32 v11, vcc, v12, v11, vcc
	s_waitcnt lgkmcnt(4)
	global_store_dword v[10:11], v8, off
	s_or_b64 exec, exec, s[4:5]
	v_cmp_gt_u32_e32 vcc, s33, v30
	s_and_saveexec_b64 s[4:5], vcc
	s_cbranch_execnz .LBB1922_186
.LBB1922_155:
	s_or_b64 exec, exec, s[4:5]
	v_cmp_gt_u32_e32 vcc, s33, v29
	s_and_saveexec_b64 s[4:5], vcc
	s_cbranch_execz .LBB1922_191
.LBB1922_156:
	v_cmp_ge_u32_e32 vcc, v29, v18
                                        ; implicit-def: $vgpr8_vgpr9
	s_and_saveexec_b64 s[6:7], vcc
	s_xor_b64 s[6:7], exec, s[6:7]
	s_cbranch_execz .LBB1922_158
; %bb.157:
	s_waitcnt lgkmcnt(4)
	v_xor_b32_e32 v8, 0xfffff9ff, v0
	v_ashrrev_i32_e32 v9, 31, v8
	v_add_co_u32_e32 v8, vcc, v1, v8
	v_addc_co_u32_e32 v9, vcc, v19, v9, vcc
                                        ; implicit-def: $vgpr29
.LBB1922_158:
	s_andn2_saveexec_b64 s[6:7], s[6:7]
	s_cbranch_execz .LBB1922_160
; %bb.159:
	s_waitcnt lgkmcnt(4)
	v_add_co_u32_e32 v8, vcc, v16, v29
	v_addc_co_u32_e32 v9, vcc, 0, v17, vcc
.LBB1922_160:
	s_or_b64 exec, exec, s[6:7]
	s_waitcnt lgkmcnt(4)
	v_lshlrev_b64 v[8:9], 2, v[8:9]
	v_mov_b32_e32 v10, s25
	v_add_co_u32_e32 v8, vcc, s24, v8
	v_addc_co_u32_e32 v9, vcc, v10, v9, vcc
	s_waitcnt lgkmcnt(3)
	global_store_dword v[8:9], v6, off
	s_or_b64 exec, exec, s[4:5]
	v_cmp_gt_u32_e32 vcc, s33, v28
	s_and_saveexec_b64 s[4:5], vcc
	s_cbranch_execnz .LBB1922_192
.LBB1922_161:
	s_or_b64 exec, exec, s[4:5]
	v_cmp_gt_u32_e32 vcc, s33, v27
	s_and_saveexec_b64 s[4:5], vcc
	s_cbranch_execz .LBB1922_197
.LBB1922_162:
	v_cmp_ge_u32_e32 vcc, v27, v18
                                        ; implicit-def: $vgpr6_vgpr7
	s_and_saveexec_b64 s[6:7], vcc
	s_xor_b64 s[6:7], exec, s[6:7]
	s_cbranch_execz .LBB1922_164
; %bb.163:
	s_waitcnt lgkmcnt(3)
	v_xor_b32_e32 v6, 0xfffff7ff, v0
	v_ashrrev_i32_e32 v7, 31, v6
	v_add_co_u32_e32 v6, vcc, v1, v6
	v_addc_co_u32_e32 v7, vcc, v19, v7, vcc
                                        ; implicit-def: $vgpr27
.LBB1922_164:
	s_andn2_saveexec_b64 s[6:7], s[6:7]
	s_cbranch_execz .LBB1922_166
; %bb.165:
	s_waitcnt lgkmcnt(3)
	v_add_co_u32_e32 v6, vcc, v16, v27
	v_addc_co_u32_e32 v7, vcc, 0, v17, vcc
.LBB1922_166:
	s_or_b64 exec, exec, s[6:7]
	s_waitcnt lgkmcnt(3)
	v_lshlrev_b64 v[6:7], 2, v[6:7]
	v_mov_b32_e32 v8, s25
	v_add_co_u32_e32 v6, vcc, s24, v6
	v_addc_co_u32_e32 v7, vcc, v8, v7, vcc
	s_waitcnt lgkmcnt(2)
	global_store_dword v[6:7], v4, off
	s_or_b64 exec, exec, s[4:5]
	v_cmp_gt_u32_e32 vcc, s33, v26
	s_and_saveexec_b64 s[4:5], vcc
	s_cbranch_execnz .LBB1922_198
.LBB1922_167:
	s_or_b64 exec, exec, s[4:5]
	v_cmp_gt_u32_e32 vcc, s33, v25
	s_and_saveexec_b64 s[4:5], vcc
	s_cbranch_execz .LBB1922_203
.LBB1922_168:
	v_cmp_ge_u32_e32 vcc, v25, v18
                                        ; implicit-def: $vgpr4_vgpr5
	s_and_saveexec_b64 s[6:7], vcc
	s_xor_b64 s[6:7], exec, s[6:7]
	s_cbranch_execz .LBB1922_170
; %bb.169:
	s_waitcnt lgkmcnt(2)
	v_xor_b32_e32 v4, 0xfffff5ff, v0
	v_ashrrev_i32_e32 v5, 31, v4
	v_add_co_u32_e32 v4, vcc, v1, v4
	v_addc_co_u32_e32 v5, vcc, v19, v5, vcc
                                        ; implicit-def: $vgpr25
.LBB1922_170:
	s_andn2_saveexec_b64 s[6:7], s[6:7]
	s_cbranch_execz .LBB1922_172
; %bb.171:
	s_waitcnt lgkmcnt(2)
	v_add_co_u32_e32 v4, vcc, v16, v25
	v_addc_co_u32_e32 v5, vcc, 0, v17, vcc
.LBB1922_172:
	s_or_b64 exec, exec, s[6:7]
	s_waitcnt lgkmcnt(2)
	v_lshlrev_b64 v[4:5], 2, v[4:5]
	v_mov_b32_e32 v6, s25
	v_add_co_u32_e32 v4, vcc, s24, v4
	v_addc_co_u32_e32 v5, vcc, v6, v5, vcc
	s_waitcnt lgkmcnt(1)
	global_store_dword v[4:5], v2, off
	s_or_b64 exec, exec, s[4:5]
	v_cmp_gt_u32_e32 vcc, s33, v24
	s_and_saveexec_b64 s[4:5], vcc
	s_cbranch_execz .LBB1922_209
	s_branch .LBB1922_204
.LBB1922_173:
	s_or_b64 exec, exec, s[4:5]
	v_cmp_gt_u32_e32 vcc, s33, v35
	s_and_saveexec_b64 s[4:5], vcc
	s_cbranch_execz .LBB1922_143
.LBB1922_174:
	v_cmp_ge_u32_e32 vcc, v35, v18
                                        ; implicit-def: $vgpr14_vgpr15
	s_and_saveexec_b64 s[6:7], vcc
	s_xor_b64 s[6:7], exec, s[6:7]
	s_cbranch_execz .LBB1922_176
; %bb.175:
	s_waitcnt lgkmcnt(6)
	v_xor_b32_e32 v12, 0xfffffeff, v0
	v_ashrrev_i32_e32 v15, 31, v12
	v_add_co_u32_e32 v14, vcc, v1, v12
	v_addc_co_u32_e32 v15, vcc, v19, v15, vcc
                                        ; implicit-def: $vgpr35
.LBB1922_176:
	s_andn2_saveexec_b64 s[6:7], s[6:7]
; %bb.177:
	v_add_co_u32_e32 v14, vcc, v16, v35
	v_addc_co_u32_e32 v15, vcc, 0, v17, vcc
; %bb.178:
	s_or_b64 exec, exec, s[6:7]
	v_lshlrev_b64 v[14:15], 2, v[14:15]
	s_waitcnt lgkmcnt(6)
	v_mov_b32_e32 v12, s25
	v_add_co_u32_e32 v14, vcc, s24, v14
	v_addc_co_u32_e32 v15, vcc, v12, v15, vcc
	global_store_dword v[14:15], v13, off
	s_or_b64 exec, exec, s[4:5]
	v_cmp_gt_u32_e32 vcc, s33, v33
	s_and_saveexec_b64 s[4:5], vcc
	s_cbranch_execnz .LBB1922_144
.LBB1922_179:
	s_or_b64 exec, exec, s[4:5]
	v_cmp_gt_u32_e32 vcc, s33, v32
	s_and_saveexec_b64 s[4:5], vcc
	s_cbranch_execz .LBB1922_149
.LBB1922_180:
	v_cmp_ge_u32_e32 vcc, v32, v18
                                        ; implicit-def: $vgpr12_vgpr13
	s_and_saveexec_b64 s[6:7], vcc
	s_xor_b64 s[6:7], exec, s[6:7]
	s_cbranch_execz .LBB1922_182
; %bb.181:
	s_waitcnt lgkmcnt(5)
	v_xor_b32_e32 v10, 0xfffffcff, v0
	v_ashrrev_i32_e32 v13, 31, v10
	v_add_co_u32_e32 v12, vcc, v1, v10
	v_addc_co_u32_e32 v13, vcc, v19, v13, vcc
                                        ; implicit-def: $vgpr32
.LBB1922_182:
	s_andn2_saveexec_b64 s[6:7], s[6:7]
	s_cbranch_execz .LBB1922_184
; %bb.183:
	s_waitcnt lgkmcnt(6)
	v_add_co_u32_e32 v12, vcc, v16, v32
	v_addc_co_u32_e32 v13, vcc, 0, v17, vcc
.LBB1922_184:
	s_or_b64 exec, exec, s[6:7]
	s_waitcnt lgkmcnt(6)
	v_lshlrev_b64 v[12:13], 2, v[12:13]
	s_waitcnt lgkmcnt(5)
	v_mov_b32_e32 v10, s25
	v_add_co_u32_e32 v12, vcc, s24, v12
	v_addc_co_u32_e32 v13, vcc, v10, v13, vcc
	global_store_dword v[12:13], v11, off
	s_or_b64 exec, exec, s[4:5]
	v_cmp_gt_u32_e32 vcc, s33, v31
	s_and_saveexec_b64 s[4:5], vcc
	s_cbranch_execnz .LBB1922_150
.LBB1922_185:
	s_or_b64 exec, exec, s[4:5]
	v_cmp_gt_u32_e32 vcc, s33, v30
	s_and_saveexec_b64 s[4:5], vcc
	s_cbranch_execz .LBB1922_155
.LBB1922_186:
	v_cmp_ge_u32_e32 vcc, v30, v18
                                        ; implicit-def: $vgpr10_vgpr11
	s_and_saveexec_b64 s[6:7], vcc
	s_xor_b64 s[6:7], exec, s[6:7]
	s_cbranch_execz .LBB1922_188
; %bb.187:
	s_waitcnt lgkmcnt(4)
	v_xor_b32_e32 v8, 0xfffffaff, v0
	v_ashrrev_i32_e32 v11, 31, v8
	v_add_co_u32_e32 v10, vcc, v1, v8
	v_addc_co_u32_e32 v11, vcc, v19, v11, vcc
                                        ; implicit-def: $vgpr30
.LBB1922_188:
	s_andn2_saveexec_b64 s[6:7], s[6:7]
	s_cbranch_execz .LBB1922_190
; %bb.189:
	s_waitcnt lgkmcnt(5)
	v_add_co_u32_e32 v10, vcc, v16, v30
	v_addc_co_u32_e32 v11, vcc, 0, v17, vcc
.LBB1922_190:
	s_or_b64 exec, exec, s[6:7]
	s_waitcnt lgkmcnt(5)
	v_lshlrev_b64 v[10:11], 2, v[10:11]
	s_waitcnt lgkmcnt(4)
	v_mov_b32_e32 v8, s25
	v_add_co_u32_e32 v10, vcc, s24, v10
	v_addc_co_u32_e32 v11, vcc, v8, v11, vcc
	global_store_dword v[10:11], v9, off
	s_or_b64 exec, exec, s[4:5]
	v_cmp_gt_u32_e32 vcc, s33, v29
	s_and_saveexec_b64 s[4:5], vcc
	s_cbranch_execnz .LBB1922_156
.LBB1922_191:
	s_or_b64 exec, exec, s[4:5]
	v_cmp_gt_u32_e32 vcc, s33, v28
	s_and_saveexec_b64 s[4:5], vcc
	s_cbranch_execz .LBB1922_161
.LBB1922_192:
	v_cmp_ge_u32_e32 vcc, v28, v18
                                        ; implicit-def: $vgpr8_vgpr9
	s_and_saveexec_b64 s[6:7], vcc
	s_xor_b64 s[6:7], exec, s[6:7]
	s_cbranch_execz .LBB1922_194
; %bb.193:
	s_waitcnt lgkmcnt(3)
	v_xor_b32_e32 v6, 0xfffff8ff, v0
	v_ashrrev_i32_e32 v9, 31, v6
	v_add_co_u32_e32 v8, vcc, v1, v6
	v_addc_co_u32_e32 v9, vcc, v19, v9, vcc
                                        ; implicit-def: $vgpr28
.LBB1922_194:
	s_andn2_saveexec_b64 s[6:7], s[6:7]
	s_cbranch_execz .LBB1922_196
; %bb.195:
	s_waitcnt lgkmcnt(4)
	v_add_co_u32_e32 v8, vcc, v16, v28
	v_addc_co_u32_e32 v9, vcc, 0, v17, vcc
.LBB1922_196:
	s_or_b64 exec, exec, s[6:7]
	s_waitcnt lgkmcnt(4)
	v_lshlrev_b64 v[8:9], 2, v[8:9]
	s_waitcnt lgkmcnt(3)
	v_mov_b32_e32 v6, s25
	v_add_co_u32_e32 v8, vcc, s24, v8
	v_addc_co_u32_e32 v9, vcc, v6, v9, vcc
	global_store_dword v[8:9], v7, off
	s_or_b64 exec, exec, s[4:5]
	v_cmp_gt_u32_e32 vcc, s33, v27
	s_and_saveexec_b64 s[4:5], vcc
	s_cbranch_execnz .LBB1922_162
.LBB1922_197:
	s_or_b64 exec, exec, s[4:5]
	v_cmp_gt_u32_e32 vcc, s33, v26
	s_and_saveexec_b64 s[4:5], vcc
	s_cbranch_execz .LBB1922_167
.LBB1922_198:
	v_cmp_ge_u32_e32 vcc, v26, v18
                                        ; implicit-def: $vgpr6_vgpr7
	s_and_saveexec_b64 s[6:7], vcc
	s_xor_b64 s[6:7], exec, s[6:7]
	s_cbranch_execz .LBB1922_200
; %bb.199:
	s_waitcnt lgkmcnt(2)
	v_xor_b32_e32 v4, 0xfffff6ff, v0
	v_ashrrev_i32_e32 v7, 31, v4
	v_add_co_u32_e32 v6, vcc, v1, v4
	v_addc_co_u32_e32 v7, vcc, v19, v7, vcc
                                        ; implicit-def: $vgpr26
.LBB1922_200:
	s_andn2_saveexec_b64 s[6:7], s[6:7]
	s_cbranch_execz .LBB1922_202
; %bb.201:
	s_waitcnt lgkmcnt(3)
	v_add_co_u32_e32 v6, vcc, v16, v26
	v_addc_co_u32_e32 v7, vcc, 0, v17, vcc
.LBB1922_202:
	s_or_b64 exec, exec, s[6:7]
	s_waitcnt lgkmcnt(3)
	v_lshlrev_b64 v[6:7], 2, v[6:7]
	s_waitcnt lgkmcnt(2)
	v_mov_b32_e32 v4, s25
	v_add_co_u32_e32 v6, vcc, s24, v6
	v_addc_co_u32_e32 v7, vcc, v4, v7, vcc
	global_store_dword v[6:7], v5, off
	s_or_b64 exec, exec, s[4:5]
	v_cmp_gt_u32_e32 vcc, s33, v25
	s_and_saveexec_b64 s[4:5], vcc
	s_cbranch_execnz .LBB1922_168
.LBB1922_203:
	s_or_b64 exec, exec, s[4:5]
	v_cmp_gt_u32_e32 vcc, s33, v24
	s_and_saveexec_b64 s[4:5], vcc
	s_cbranch_execz .LBB1922_209
.LBB1922_204:
	v_cmp_ge_u32_e32 vcc, v24, v18
                                        ; implicit-def: $vgpr4_vgpr5
	s_and_saveexec_b64 s[6:7], vcc
	s_xor_b64 s[6:7], exec, s[6:7]
	s_cbranch_execz .LBB1922_206
; %bb.205:
	s_waitcnt lgkmcnt(1)
	v_xor_b32_e32 v2, 0xfffff4ff, v0
	v_ashrrev_i32_e32 v5, 31, v2
	v_add_co_u32_e32 v4, vcc, v1, v2
	v_addc_co_u32_e32 v5, vcc, v19, v5, vcc
                                        ; implicit-def: $vgpr24
.LBB1922_206:
	s_andn2_saveexec_b64 s[6:7], s[6:7]
	s_cbranch_execz .LBB1922_208
; %bb.207:
	s_waitcnt lgkmcnt(2)
	v_add_co_u32_e32 v4, vcc, v16, v24
	v_addc_co_u32_e32 v5, vcc, 0, v17, vcc
.LBB1922_208:
	s_or_b64 exec, exec, s[6:7]
	s_waitcnt lgkmcnt(2)
	v_lshlrev_b64 v[4:5], 2, v[4:5]
	s_waitcnt lgkmcnt(1)
	v_mov_b32_e32 v2, s25
	v_add_co_u32_e32 v4, vcc, s24, v4
	v_addc_co_u32_e32 v5, vcc, v2, v5, vcc
	global_store_dword v[4:5], v3, off
.LBB1922_209:
	s_or_b64 exec, exec, s[4:5]
	v_cmp_gt_u32_e32 vcc, s33, v23
                                        ; implicit-def: $vgpr14_vgpr15
	s_and_saveexec_b64 s[4:5], vcc
	s_cbranch_execz .LBB1922_215
; %bb.210:
	v_cmp_ge_u32_e32 vcc, v23, v18
                                        ; implicit-def: $vgpr14_vgpr15
	s_and_saveexec_b64 s[6:7], vcc
	s_xor_b64 s[6:7], exec, s[6:7]
	s_cbranch_execz .LBB1922_212
; %bb.211:
	v_xor_b32_e32 v0, 0xfffff3ff, v0
	s_waitcnt lgkmcnt(1)
	v_ashrrev_i32_e32 v2, 31, v0
	v_add_co_u32_e32 v14, vcc, v1, v0
	v_addc_co_u32_e32 v15, vcc, v19, v2, vcc
                                        ; implicit-def: $vgpr23
.LBB1922_212:
	s_andn2_saveexec_b64 s[6:7], s[6:7]
; %bb.213:
	v_add_co_u32_e32 v14, vcc, v16, v23
	v_addc_co_u32_e32 v15, vcc, 0, v17, vcc
; %bb.214:
	s_or_b64 exec, exec, s[6:7]
	s_or_b64 s[2:3], s[2:3], exec
.LBB1922_215:
	s_or_b64 exec, exec, s[4:5]
	s_and_saveexec_b64 s[4:5], s[2:3]
	s_cbranch_execnz .LBB1922_134
.LBB1922_216:
	s_or_b64 exec, exec, s[4:5]
	s_and_b64 s[0:1], s[0:1], s[22:23]
	s_and_saveexec_b64 s[2:3], s[0:1]
	s_cbranch_execz .LBB1922_135
.LBB1922_217:
	v_add_co_u32_e32 v0, vcc, v16, v18
	s_waitcnt lgkmcnt(1)
	v_mov_b32_e32 v2, 0
	v_addc_co_u32_e32 v1, vcc, 0, v17, vcc
	global_store_dwordx2 v2, v[0:1], s[20:21]
	s_endpgm
	.section	.rodata,"a",@progbits
	.p2align	6, 0x0
	.amdhsa_kernel _ZN7rocprim17ROCPRIM_400000_NS6detail17trampoline_kernelINS0_13select_configILj256ELj13ELNS0_17block_load_methodE3ELS4_3ELS4_3ELNS0_20block_scan_algorithmE0ELj4294967295EEENS1_25partition_config_selectorILNS1_17partition_subalgoE3EjNS0_10empty_typeEbEEZZNS1_14partition_implILS8_3ELb0ES6_jNS0_17counting_iteratorIjlEEPS9_SE_NS0_5tupleIJPjSE_EEENSF_IJSE_SE_EEES9_SG_JZNS1_25segmented_radix_sort_implINS0_14default_configELb1EPK12hip_bfloat16PSL_PKlPlN2at6native12_GLOBAL__N_18offset_tEEE10hipError_tPvRmT1_PNSt15iterator_traitsISZ_E10value_typeET2_T3_PNS10_IS15_E10value_typeET4_jRbjT5_S1B_jjP12ihipStream_tbEUljE_EEESW_SX_SY_S15_S19_S1B_T6_T7_T9_mT8_S1D_bDpT10_ENKUlT_T0_E_clISt17integral_constantIbLb1EES1Q_EEDaS1L_S1M_EUlS1L_E_NS1_11comp_targetILNS1_3genE4ELNS1_11target_archE910ELNS1_3gpuE8ELNS1_3repE0EEENS1_30default_config_static_selectorELNS0_4arch9wavefront6targetE1EEEvSZ_
		.amdhsa_group_segment_fixed_size 13324
		.amdhsa_private_segment_fixed_size 0
		.amdhsa_kernarg_size 152
		.amdhsa_user_sgpr_count 6
		.amdhsa_user_sgpr_private_segment_buffer 1
		.amdhsa_user_sgpr_dispatch_ptr 0
		.amdhsa_user_sgpr_queue_ptr 0
		.amdhsa_user_sgpr_kernarg_segment_ptr 1
		.amdhsa_user_sgpr_dispatch_id 0
		.amdhsa_user_sgpr_flat_scratch_init 0
		.amdhsa_user_sgpr_kernarg_preload_length 0
		.amdhsa_user_sgpr_kernarg_preload_offset 0
		.amdhsa_user_sgpr_private_segment_size 0
		.amdhsa_uses_dynamic_stack 0
		.amdhsa_system_sgpr_private_segment_wavefront_offset 0
		.amdhsa_system_sgpr_workgroup_id_x 1
		.amdhsa_system_sgpr_workgroup_id_y 0
		.amdhsa_system_sgpr_workgroup_id_z 0
		.amdhsa_system_sgpr_workgroup_info 0
		.amdhsa_system_vgpr_workitem_id 0
		.amdhsa_next_free_vgpr 64
		.amdhsa_next_free_sgpr 44
		.amdhsa_accum_offset 64
		.amdhsa_reserve_vcc 1
		.amdhsa_reserve_flat_scratch 0
		.amdhsa_float_round_mode_32 0
		.amdhsa_float_round_mode_16_64 0
		.amdhsa_float_denorm_mode_32 3
		.amdhsa_float_denorm_mode_16_64 3
		.amdhsa_dx10_clamp 1
		.amdhsa_ieee_mode 1
		.amdhsa_fp16_overflow 0
		.amdhsa_tg_split 0
		.amdhsa_exception_fp_ieee_invalid_op 0
		.amdhsa_exception_fp_denorm_src 0
		.amdhsa_exception_fp_ieee_div_zero 0
		.amdhsa_exception_fp_ieee_overflow 0
		.amdhsa_exception_fp_ieee_underflow 0
		.amdhsa_exception_fp_ieee_inexact 0
		.amdhsa_exception_int_div_zero 0
	.end_amdhsa_kernel
	.section	.text._ZN7rocprim17ROCPRIM_400000_NS6detail17trampoline_kernelINS0_13select_configILj256ELj13ELNS0_17block_load_methodE3ELS4_3ELS4_3ELNS0_20block_scan_algorithmE0ELj4294967295EEENS1_25partition_config_selectorILNS1_17partition_subalgoE3EjNS0_10empty_typeEbEEZZNS1_14partition_implILS8_3ELb0ES6_jNS0_17counting_iteratorIjlEEPS9_SE_NS0_5tupleIJPjSE_EEENSF_IJSE_SE_EEES9_SG_JZNS1_25segmented_radix_sort_implINS0_14default_configELb1EPK12hip_bfloat16PSL_PKlPlN2at6native12_GLOBAL__N_18offset_tEEE10hipError_tPvRmT1_PNSt15iterator_traitsISZ_E10value_typeET2_T3_PNS10_IS15_E10value_typeET4_jRbjT5_S1B_jjP12ihipStream_tbEUljE_EEESW_SX_SY_S15_S19_S1B_T6_T7_T9_mT8_S1D_bDpT10_ENKUlT_T0_E_clISt17integral_constantIbLb1EES1Q_EEDaS1L_S1M_EUlS1L_E_NS1_11comp_targetILNS1_3genE4ELNS1_11target_archE910ELNS1_3gpuE8ELNS1_3repE0EEENS1_30default_config_static_selectorELNS0_4arch9wavefront6targetE1EEEvSZ_,"axG",@progbits,_ZN7rocprim17ROCPRIM_400000_NS6detail17trampoline_kernelINS0_13select_configILj256ELj13ELNS0_17block_load_methodE3ELS4_3ELS4_3ELNS0_20block_scan_algorithmE0ELj4294967295EEENS1_25partition_config_selectorILNS1_17partition_subalgoE3EjNS0_10empty_typeEbEEZZNS1_14partition_implILS8_3ELb0ES6_jNS0_17counting_iteratorIjlEEPS9_SE_NS0_5tupleIJPjSE_EEENSF_IJSE_SE_EEES9_SG_JZNS1_25segmented_radix_sort_implINS0_14default_configELb1EPK12hip_bfloat16PSL_PKlPlN2at6native12_GLOBAL__N_18offset_tEEE10hipError_tPvRmT1_PNSt15iterator_traitsISZ_E10value_typeET2_T3_PNS10_IS15_E10value_typeET4_jRbjT5_S1B_jjP12ihipStream_tbEUljE_EEESW_SX_SY_S15_S19_S1B_T6_T7_T9_mT8_S1D_bDpT10_ENKUlT_T0_E_clISt17integral_constantIbLb1EES1Q_EEDaS1L_S1M_EUlS1L_E_NS1_11comp_targetILNS1_3genE4ELNS1_11target_archE910ELNS1_3gpuE8ELNS1_3repE0EEENS1_30default_config_static_selectorELNS0_4arch9wavefront6targetE1EEEvSZ_,comdat
.Lfunc_end1922:
	.size	_ZN7rocprim17ROCPRIM_400000_NS6detail17trampoline_kernelINS0_13select_configILj256ELj13ELNS0_17block_load_methodE3ELS4_3ELS4_3ELNS0_20block_scan_algorithmE0ELj4294967295EEENS1_25partition_config_selectorILNS1_17partition_subalgoE3EjNS0_10empty_typeEbEEZZNS1_14partition_implILS8_3ELb0ES6_jNS0_17counting_iteratorIjlEEPS9_SE_NS0_5tupleIJPjSE_EEENSF_IJSE_SE_EEES9_SG_JZNS1_25segmented_radix_sort_implINS0_14default_configELb1EPK12hip_bfloat16PSL_PKlPlN2at6native12_GLOBAL__N_18offset_tEEE10hipError_tPvRmT1_PNSt15iterator_traitsISZ_E10value_typeET2_T3_PNS10_IS15_E10value_typeET4_jRbjT5_S1B_jjP12ihipStream_tbEUljE_EEESW_SX_SY_S15_S19_S1B_T6_T7_T9_mT8_S1D_bDpT10_ENKUlT_T0_E_clISt17integral_constantIbLb1EES1Q_EEDaS1L_S1M_EUlS1L_E_NS1_11comp_targetILNS1_3genE4ELNS1_11target_archE910ELNS1_3gpuE8ELNS1_3repE0EEENS1_30default_config_static_selectorELNS0_4arch9wavefront6targetE1EEEvSZ_, .Lfunc_end1922-_ZN7rocprim17ROCPRIM_400000_NS6detail17trampoline_kernelINS0_13select_configILj256ELj13ELNS0_17block_load_methodE3ELS4_3ELS4_3ELNS0_20block_scan_algorithmE0ELj4294967295EEENS1_25partition_config_selectorILNS1_17partition_subalgoE3EjNS0_10empty_typeEbEEZZNS1_14partition_implILS8_3ELb0ES6_jNS0_17counting_iteratorIjlEEPS9_SE_NS0_5tupleIJPjSE_EEENSF_IJSE_SE_EEES9_SG_JZNS1_25segmented_radix_sort_implINS0_14default_configELb1EPK12hip_bfloat16PSL_PKlPlN2at6native12_GLOBAL__N_18offset_tEEE10hipError_tPvRmT1_PNSt15iterator_traitsISZ_E10value_typeET2_T3_PNS10_IS15_E10value_typeET4_jRbjT5_S1B_jjP12ihipStream_tbEUljE_EEESW_SX_SY_S15_S19_S1B_T6_T7_T9_mT8_S1D_bDpT10_ENKUlT_T0_E_clISt17integral_constantIbLb1EES1Q_EEDaS1L_S1M_EUlS1L_E_NS1_11comp_targetILNS1_3genE4ELNS1_11target_archE910ELNS1_3gpuE8ELNS1_3repE0EEENS1_30default_config_static_selectorELNS0_4arch9wavefront6targetE1EEEvSZ_
                                        ; -- End function
	.section	.AMDGPU.csdata,"",@progbits
; Kernel info:
; codeLenInByte = 7896
; NumSgprs: 48
; NumVgprs: 64
; NumAgprs: 0
; TotalNumVgprs: 64
; ScratchSize: 0
; MemoryBound: 0
; FloatMode: 240
; IeeeMode: 1
; LDSByteSize: 13324 bytes/workgroup (compile time only)
; SGPRBlocks: 5
; VGPRBlocks: 7
; NumSGPRsForWavesPerEU: 48
; NumVGPRsForWavesPerEU: 64
; AccumOffset: 64
; Occupancy: 4
; WaveLimiterHint : 0
; COMPUTE_PGM_RSRC2:SCRATCH_EN: 0
; COMPUTE_PGM_RSRC2:USER_SGPR: 6
; COMPUTE_PGM_RSRC2:TRAP_HANDLER: 0
; COMPUTE_PGM_RSRC2:TGID_X_EN: 1
; COMPUTE_PGM_RSRC2:TGID_Y_EN: 0
; COMPUTE_PGM_RSRC2:TGID_Z_EN: 0
; COMPUTE_PGM_RSRC2:TIDIG_COMP_CNT: 0
; COMPUTE_PGM_RSRC3_GFX90A:ACCUM_OFFSET: 15
; COMPUTE_PGM_RSRC3_GFX90A:TG_SPLIT: 0
	.section	.text._ZN7rocprim17ROCPRIM_400000_NS6detail17trampoline_kernelINS0_13select_configILj256ELj13ELNS0_17block_load_methodE3ELS4_3ELS4_3ELNS0_20block_scan_algorithmE0ELj4294967295EEENS1_25partition_config_selectorILNS1_17partition_subalgoE3EjNS0_10empty_typeEbEEZZNS1_14partition_implILS8_3ELb0ES6_jNS0_17counting_iteratorIjlEEPS9_SE_NS0_5tupleIJPjSE_EEENSF_IJSE_SE_EEES9_SG_JZNS1_25segmented_radix_sort_implINS0_14default_configELb1EPK12hip_bfloat16PSL_PKlPlN2at6native12_GLOBAL__N_18offset_tEEE10hipError_tPvRmT1_PNSt15iterator_traitsISZ_E10value_typeET2_T3_PNS10_IS15_E10value_typeET4_jRbjT5_S1B_jjP12ihipStream_tbEUljE_EEESW_SX_SY_S15_S19_S1B_T6_T7_T9_mT8_S1D_bDpT10_ENKUlT_T0_E_clISt17integral_constantIbLb1EES1Q_EEDaS1L_S1M_EUlS1L_E_NS1_11comp_targetILNS1_3genE3ELNS1_11target_archE908ELNS1_3gpuE7ELNS1_3repE0EEENS1_30default_config_static_selectorELNS0_4arch9wavefront6targetE1EEEvSZ_,"axG",@progbits,_ZN7rocprim17ROCPRIM_400000_NS6detail17trampoline_kernelINS0_13select_configILj256ELj13ELNS0_17block_load_methodE3ELS4_3ELS4_3ELNS0_20block_scan_algorithmE0ELj4294967295EEENS1_25partition_config_selectorILNS1_17partition_subalgoE3EjNS0_10empty_typeEbEEZZNS1_14partition_implILS8_3ELb0ES6_jNS0_17counting_iteratorIjlEEPS9_SE_NS0_5tupleIJPjSE_EEENSF_IJSE_SE_EEES9_SG_JZNS1_25segmented_radix_sort_implINS0_14default_configELb1EPK12hip_bfloat16PSL_PKlPlN2at6native12_GLOBAL__N_18offset_tEEE10hipError_tPvRmT1_PNSt15iterator_traitsISZ_E10value_typeET2_T3_PNS10_IS15_E10value_typeET4_jRbjT5_S1B_jjP12ihipStream_tbEUljE_EEESW_SX_SY_S15_S19_S1B_T6_T7_T9_mT8_S1D_bDpT10_ENKUlT_T0_E_clISt17integral_constantIbLb1EES1Q_EEDaS1L_S1M_EUlS1L_E_NS1_11comp_targetILNS1_3genE3ELNS1_11target_archE908ELNS1_3gpuE7ELNS1_3repE0EEENS1_30default_config_static_selectorELNS0_4arch9wavefront6targetE1EEEvSZ_,comdat
	.globl	_ZN7rocprim17ROCPRIM_400000_NS6detail17trampoline_kernelINS0_13select_configILj256ELj13ELNS0_17block_load_methodE3ELS4_3ELS4_3ELNS0_20block_scan_algorithmE0ELj4294967295EEENS1_25partition_config_selectorILNS1_17partition_subalgoE3EjNS0_10empty_typeEbEEZZNS1_14partition_implILS8_3ELb0ES6_jNS0_17counting_iteratorIjlEEPS9_SE_NS0_5tupleIJPjSE_EEENSF_IJSE_SE_EEES9_SG_JZNS1_25segmented_radix_sort_implINS0_14default_configELb1EPK12hip_bfloat16PSL_PKlPlN2at6native12_GLOBAL__N_18offset_tEEE10hipError_tPvRmT1_PNSt15iterator_traitsISZ_E10value_typeET2_T3_PNS10_IS15_E10value_typeET4_jRbjT5_S1B_jjP12ihipStream_tbEUljE_EEESW_SX_SY_S15_S19_S1B_T6_T7_T9_mT8_S1D_bDpT10_ENKUlT_T0_E_clISt17integral_constantIbLb1EES1Q_EEDaS1L_S1M_EUlS1L_E_NS1_11comp_targetILNS1_3genE3ELNS1_11target_archE908ELNS1_3gpuE7ELNS1_3repE0EEENS1_30default_config_static_selectorELNS0_4arch9wavefront6targetE1EEEvSZ_ ; -- Begin function _ZN7rocprim17ROCPRIM_400000_NS6detail17trampoline_kernelINS0_13select_configILj256ELj13ELNS0_17block_load_methodE3ELS4_3ELS4_3ELNS0_20block_scan_algorithmE0ELj4294967295EEENS1_25partition_config_selectorILNS1_17partition_subalgoE3EjNS0_10empty_typeEbEEZZNS1_14partition_implILS8_3ELb0ES6_jNS0_17counting_iteratorIjlEEPS9_SE_NS0_5tupleIJPjSE_EEENSF_IJSE_SE_EEES9_SG_JZNS1_25segmented_radix_sort_implINS0_14default_configELb1EPK12hip_bfloat16PSL_PKlPlN2at6native12_GLOBAL__N_18offset_tEEE10hipError_tPvRmT1_PNSt15iterator_traitsISZ_E10value_typeET2_T3_PNS10_IS15_E10value_typeET4_jRbjT5_S1B_jjP12ihipStream_tbEUljE_EEESW_SX_SY_S15_S19_S1B_T6_T7_T9_mT8_S1D_bDpT10_ENKUlT_T0_E_clISt17integral_constantIbLb1EES1Q_EEDaS1L_S1M_EUlS1L_E_NS1_11comp_targetILNS1_3genE3ELNS1_11target_archE908ELNS1_3gpuE7ELNS1_3repE0EEENS1_30default_config_static_selectorELNS0_4arch9wavefront6targetE1EEEvSZ_
	.p2align	8
	.type	_ZN7rocprim17ROCPRIM_400000_NS6detail17trampoline_kernelINS0_13select_configILj256ELj13ELNS0_17block_load_methodE3ELS4_3ELS4_3ELNS0_20block_scan_algorithmE0ELj4294967295EEENS1_25partition_config_selectorILNS1_17partition_subalgoE3EjNS0_10empty_typeEbEEZZNS1_14partition_implILS8_3ELb0ES6_jNS0_17counting_iteratorIjlEEPS9_SE_NS0_5tupleIJPjSE_EEENSF_IJSE_SE_EEES9_SG_JZNS1_25segmented_radix_sort_implINS0_14default_configELb1EPK12hip_bfloat16PSL_PKlPlN2at6native12_GLOBAL__N_18offset_tEEE10hipError_tPvRmT1_PNSt15iterator_traitsISZ_E10value_typeET2_T3_PNS10_IS15_E10value_typeET4_jRbjT5_S1B_jjP12ihipStream_tbEUljE_EEESW_SX_SY_S15_S19_S1B_T6_T7_T9_mT8_S1D_bDpT10_ENKUlT_T0_E_clISt17integral_constantIbLb1EES1Q_EEDaS1L_S1M_EUlS1L_E_NS1_11comp_targetILNS1_3genE3ELNS1_11target_archE908ELNS1_3gpuE7ELNS1_3repE0EEENS1_30default_config_static_selectorELNS0_4arch9wavefront6targetE1EEEvSZ_,@function
_ZN7rocprim17ROCPRIM_400000_NS6detail17trampoline_kernelINS0_13select_configILj256ELj13ELNS0_17block_load_methodE3ELS4_3ELS4_3ELNS0_20block_scan_algorithmE0ELj4294967295EEENS1_25partition_config_selectorILNS1_17partition_subalgoE3EjNS0_10empty_typeEbEEZZNS1_14partition_implILS8_3ELb0ES6_jNS0_17counting_iteratorIjlEEPS9_SE_NS0_5tupleIJPjSE_EEENSF_IJSE_SE_EEES9_SG_JZNS1_25segmented_radix_sort_implINS0_14default_configELb1EPK12hip_bfloat16PSL_PKlPlN2at6native12_GLOBAL__N_18offset_tEEE10hipError_tPvRmT1_PNSt15iterator_traitsISZ_E10value_typeET2_T3_PNS10_IS15_E10value_typeET4_jRbjT5_S1B_jjP12ihipStream_tbEUljE_EEESW_SX_SY_S15_S19_S1B_T6_T7_T9_mT8_S1D_bDpT10_ENKUlT_T0_E_clISt17integral_constantIbLb1EES1Q_EEDaS1L_S1M_EUlS1L_E_NS1_11comp_targetILNS1_3genE3ELNS1_11target_archE908ELNS1_3gpuE7ELNS1_3repE0EEENS1_30default_config_static_selectorELNS0_4arch9wavefront6targetE1EEEvSZ_: ; @_ZN7rocprim17ROCPRIM_400000_NS6detail17trampoline_kernelINS0_13select_configILj256ELj13ELNS0_17block_load_methodE3ELS4_3ELS4_3ELNS0_20block_scan_algorithmE0ELj4294967295EEENS1_25partition_config_selectorILNS1_17partition_subalgoE3EjNS0_10empty_typeEbEEZZNS1_14partition_implILS8_3ELb0ES6_jNS0_17counting_iteratorIjlEEPS9_SE_NS0_5tupleIJPjSE_EEENSF_IJSE_SE_EEES9_SG_JZNS1_25segmented_radix_sort_implINS0_14default_configELb1EPK12hip_bfloat16PSL_PKlPlN2at6native12_GLOBAL__N_18offset_tEEE10hipError_tPvRmT1_PNSt15iterator_traitsISZ_E10value_typeET2_T3_PNS10_IS15_E10value_typeET4_jRbjT5_S1B_jjP12ihipStream_tbEUljE_EEESW_SX_SY_S15_S19_S1B_T6_T7_T9_mT8_S1D_bDpT10_ENKUlT_T0_E_clISt17integral_constantIbLb1EES1Q_EEDaS1L_S1M_EUlS1L_E_NS1_11comp_targetILNS1_3genE3ELNS1_11target_archE908ELNS1_3gpuE7ELNS1_3repE0EEENS1_30default_config_static_selectorELNS0_4arch9wavefront6targetE1EEEvSZ_
; %bb.0:
	.section	.rodata,"a",@progbits
	.p2align	6, 0x0
	.amdhsa_kernel _ZN7rocprim17ROCPRIM_400000_NS6detail17trampoline_kernelINS0_13select_configILj256ELj13ELNS0_17block_load_methodE3ELS4_3ELS4_3ELNS0_20block_scan_algorithmE0ELj4294967295EEENS1_25partition_config_selectorILNS1_17partition_subalgoE3EjNS0_10empty_typeEbEEZZNS1_14partition_implILS8_3ELb0ES6_jNS0_17counting_iteratorIjlEEPS9_SE_NS0_5tupleIJPjSE_EEENSF_IJSE_SE_EEES9_SG_JZNS1_25segmented_radix_sort_implINS0_14default_configELb1EPK12hip_bfloat16PSL_PKlPlN2at6native12_GLOBAL__N_18offset_tEEE10hipError_tPvRmT1_PNSt15iterator_traitsISZ_E10value_typeET2_T3_PNS10_IS15_E10value_typeET4_jRbjT5_S1B_jjP12ihipStream_tbEUljE_EEESW_SX_SY_S15_S19_S1B_T6_T7_T9_mT8_S1D_bDpT10_ENKUlT_T0_E_clISt17integral_constantIbLb1EES1Q_EEDaS1L_S1M_EUlS1L_E_NS1_11comp_targetILNS1_3genE3ELNS1_11target_archE908ELNS1_3gpuE7ELNS1_3repE0EEENS1_30default_config_static_selectorELNS0_4arch9wavefront6targetE1EEEvSZ_
		.amdhsa_group_segment_fixed_size 0
		.amdhsa_private_segment_fixed_size 0
		.amdhsa_kernarg_size 152
		.amdhsa_user_sgpr_count 6
		.amdhsa_user_sgpr_private_segment_buffer 1
		.amdhsa_user_sgpr_dispatch_ptr 0
		.amdhsa_user_sgpr_queue_ptr 0
		.amdhsa_user_sgpr_kernarg_segment_ptr 1
		.amdhsa_user_sgpr_dispatch_id 0
		.amdhsa_user_sgpr_flat_scratch_init 0
		.amdhsa_user_sgpr_kernarg_preload_length 0
		.amdhsa_user_sgpr_kernarg_preload_offset 0
		.amdhsa_user_sgpr_private_segment_size 0
		.amdhsa_uses_dynamic_stack 0
		.amdhsa_system_sgpr_private_segment_wavefront_offset 0
		.amdhsa_system_sgpr_workgroup_id_x 1
		.amdhsa_system_sgpr_workgroup_id_y 0
		.amdhsa_system_sgpr_workgroup_id_z 0
		.amdhsa_system_sgpr_workgroup_info 0
		.amdhsa_system_vgpr_workitem_id 0
		.amdhsa_next_free_vgpr 1
		.amdhsa_next_free_sgpr 0
		.amdhsa_accum_offset 4
		.amdhsa_reserve_vcc 0
		.amdhsa_reserve_flat_scratch 0
		.amdhsa_float_round_mode_32 0
		.amdhsa_float_round_mode_16_64 0
		.amdhsa_float_denorm_mode_32 3
		.amdhsa_float_denorm_mode_16_64 3
		.amdhsa_dx10_clamp 1
		.amdhsa_ieee_mode 1
		.amdhsa_fp16_overflow 0
		.amdhsa_tg_split 0
		.amdhsa_exception_fp_ieee_invalid_op 0
		.amdhsa_exception_fp_denorm_src 0
		.amdhsa_exception_fp_ieee_div_zero 0
		.amdhsa_exception_fp_ieee_overflow 0
		.amdhsa_exception_fp_ieee_underflow 0
		.amdhsa_exception_fp_ieee_inexact 0
		.amdhsa_exception_int_div_zero 0
	.end_amdhsa_kernel
	.section	.text._ZN7rocprim17ROCPRIM_400000_NS6detail17trampoline_kernelINS0_13select_configILj256ELj13ELNS0_17block_load_methodE3ELS4_3ELS4_3ELNS0_20block_scan_algorithmE0ELj4294967295EEENS1_25partition_config_selectorILNS1_17partition_subalgoE3EjNS0_10empty_typeEbEEZZNS1_14partition_implILS8_3ELb0ES6_jNS0_17counting_iteratorIjlEEPS9_SE_NS0_5tupleIJPjSE_EEENSF_IJSE_SE_EEES9_SG_JZNS1_25segmented_radix_sort_implINS0_14default_configELb1EPK12hip_bfloat16PSL_PKlPlN2at6native12_GLOBAL__N_18offset_tEEE10hipError_tPvRmT1_PNSt15iterator_traitsISZ_E10value_typeET2_T3_PNS10_IS15_E10value_typeET4_jRbjT5_S1B_jjP12ihipStream_tbEUljE_EEESW_SX_SY_S15_S19_S1B_T6_T7_T9_mT8_S1D_bDpT10_ENKUlT_T0_E_clISt17integral_constantIbLb1EES1Q_EEDaS1L_S1M_EUlS1L_E_NS1_11comp_targetILNS1_3genE3ELNS1_11target_archE908ELNS1_3gpuE7ELNS1_3repE0EEENS1_30default_config_static_selectorELNS0_4arch9wavefront6targetE1EEEvSZ_,"axG",@progbits,_ZN7rocprim17ROCPRIM_400000_NS6detail17trampoline_kernelINS0_13select_configILj256ELj13ELNS0_17block_load_methodE3ELS4_3ELS4_3ELNS0_20block_scan_algorithmE0ELj4294967295EEENS1_25partition_config_selectorILNS1_17partition_subalgoE3EjNS0_10empty_typeEbEEZZNS1_14partition_implILS8_3ELb0ES6_jNS0_17counting_iteratorIjlEEPS9_SE_NS0_5tupleIJPjSE_EEENSF_IJSE_SE_EEES9_SG_JZNS1_25segmented_radix_sort_implINS0_14default_configELb1EPK12hip_bfloat16PSL_PKlPlN2at6native12_GLOBAL__N_18offset_tEEE10hipError_tPvRmT1_PNSt15iterator_traitsISZ_E10value_typeET2_T3_PNS10_IS15_E10value_typeET4_jRbjT5_S1B_jjP12ihipStream_tbEUljE_EEESW_SX_SY_S15_S19_S1B_T6_T7_T9_mT8_S1D_bDpT10_ENKUlT_T0_E_clISt17integral_constantIbLb1EES1Q_EEDaS1L_S1M_EUlS1L_E_NS1_11comp_targetILNS1_3genE3ELNS1_11target_archE908ELNS1_3gpuE7ELNS1_3repE0EEENS1_30default_config_static_selectorELNS0_4arch9wavefront6targetE1EEEvSZ_,comdat
.Lfunc_end1923:
	.size	_ZN7rocprim17ROCPRIM_400000_NS6detail17trampoline_kernelINS0_13select_configILj256ELj13ELNS0_17block_load_methodE3ELS4_3ELS4_3ELNS0_20block_scan_algorithmE0ELj4294967295EEENS1_25partition_config_selectorILNS1_17partition_subalgoE3EjNS0_10empty_typeEbEEZZNS1_14partition_implILS8_3ELb0ES6_jNS0_17counting_iteratorIjlEEPS9_SE_NS0_5tupleIJPjSE_EEENSF_IJSE_SE_EEES9_SG_JZNS1_25segmented_radix_sort_implINS0_14default_configELb1EPK12hip_bfloat16PSL_PKlPlN2at6native12_GLOBAL__N_18offset_tEEE10hipError_tPvRmT1_PNSt15iterator_traitsISZ_E10value_typeET2_T3_PNS10_IS15_E10value_typeET4_jRbjT5_S1B_jjP12ihipStream_tbEUljE_EEESW_SX_SY_S15_S19_S1B_T6_T7_T9_mT8_S1D_bDpT10_ENKUlT_T0_E_clISt17integral_constantIbLb1EES1Q_EEDaS1L_S1M_EUlS1L_E_NS1_11comp_targetILNS1_3genE3ELNS1_11target_archE908ELNS1_3gpuE7ELNS1_3repE0EEENS1_30default_config_static_selectorELNS0_4arch9wavefront6targetE1EEEvSZ_, .Lfunc_end1923-_ZN7rocprim17ROCPRIM_400000_NS6detail17trampoline_kernelINS0_13select_configILj256ELj13ELNS0_17block_load_methodE3ELS4_3ELS4_3ELNS0_20block_scan_algorithmE0ELj4294967295EEENS1_25partition_config_selectorILNS1_17partition_subalgoE3EjNS0_10empty_typeEbEEZZNS1_14partition_implILS8_3ELb0ES6_jNS0_17counting_iteratorIjlEEPS9_SE_NS0_5tupleIJPjSE_EEENSF_IJSE_SE_EEES9_SG_JZNS1_25segmented_radix_sort_implINS0_14default_configELb1EPK12hip_bfloat16PSL_PKlPlN2at6native12_GLOBAL__N_18offset_tEEE10hipError_tPvRmT1_PNSt15iterator_traitsISZ_E10value_typeET2_T3_PNS10_IS15_E10value_typeET4_jRbjT5_S1B_jjP12ihipStream_tbEUljE_EEESW_SX_SY_S15_S19_S1B_T6_T7_T9_mT8_S1D_bDpT10_ENKUlT_T0_E_clISt17integral_constantIbLb1EES1Q_EEDaS1L_S1M_EUlS1L_E_NS1_11comp_targetILNS1_3genE3ELNS1_11target_archE908ELNS1_3gpuE7ELNS1_3repE0EEENS1_30default_config_static_selectorELNS0_4arch9wavefront6targetE1EEEvSZ_
                                        ; -- End function
	.section	.AMDGPU.csdata,"",@progbits
; Kernel info:
; codeLenInByte = 0
; NumSgprs: 4
; NumVgprs: 0
; NumAgprs: 0
; TotalNumVgprs: 0
; ScratchSize: 0
; MemoryBound: 0
; FloatMode: 240
; IeeeMode: 1
; LDSByteSize: 0 bytes/workgroup (compile time only)
; SGPRBlocks: 0
; VGPRBlocks: 0
; NumSGPRsForWavesPerEU: 4
; NumVGPRsForWavesPerEU: 1
; AccumOffset: 4
; Occupancy: 8
; WaveLimiterHint : 0
; COMPUTE_PGM_RSRC2:SCRATCH_EN: 0
; COMPUTE_PGM_RSRC2:USER_SGPR: 6
; COMPUTE_PGM_RSRC2:TRAP_HANDLER: 0
; COMPUTE_PGM_RSRC2:TGID_X_EN: 1
; COMPUTE_PGM_RSRC2:TGID_Y_EN: 0
; COMPUTE_PGM_RSRC2:TGID_Z_EN: 0
; COMPUTE_PGM_RSRC2:TIDIG_COMP_CNT: 0
; COMPUTE_PGM_RSRC3_GFX90A:ACCUM_OFFSET: 0
; COMPUTE_PGM_RSRC3_GFX90A:TG_SPLIT: 0
	.section	.text._ZN7rocprim17ROCPRIM_400000_NS6detail17trampoline_kernelINS0_13select_configILj256ELj13ELNS0_17block_load_methodE3ELS4_3ELS4_3ELNS0_20block_scan_algorithmE0ELj4294967295EEENS1_25partition_config_selectorILNS1_17partition_subalgoE3EjNS0_10empty_typeEbEEZZNS1_14partition_implILS8_3ELb0ES6_jNS0_17counting_iteratorIjlEEPS9_SE_NS0_5tupleIJPjSE_EEENSF_IJSE_SE_EEES9_SG_JZNS1_25segmented_radix_sort_implINS0_14default_configELb1EPK12hip_bfloat16PSL_PKlPlN2at6native12_GLOBAL__N_18offset_tEEE10hipError_tPvRmT1_PNSt15iterator_traitsISZ_E10value_typeET2_T3_PNS10_IS15_E10value_typeET4_jRbjT5_S1B_jjP12ihipStream_tbEUljE_EEESW_SX_SY_S15_S19_S1B_T6_T7_T9_mT8_S1D_bDpT10_ENKUlT_T0_E_clISt17integral_constantIbLb1EES1Q_EEDaS1L_S1M_EUlS1L_E_NS1_11comp_targetILNS1_3genE2ELNS1_11target_archE906ELNS1_3gpuE6ELNS1_3repE0EEENS1_30default_config_static_selectorELNS0_4arch9wavefront6targetE1EEEvSZ_,"axG",@progbits,_ZN7rocprim17ROCPRIM_400000_NS6detail17trampoline_kernelINS0_13select_configILj256ELj13ELNS0_17block_load_methodE3ELS4_3ELS4_3ELNS0_20block_scan_algorithmE0ELj4294967295EEENS1_25partition_config_selectorILNS1_17partition_subalgoE3EjNS0_10empty_typeEbEEZZNS1_14partition_implILS8_3ELb0ES6_jNS0_17counting_iteratorIjlEEPS9_SE_NS0_5tupleIJPjSE_EEENSF_IJSE_SE_EEES9_SG_JZNS1_25segmented_radix_sort_implINS0_14default_configELb1EPK12hip_bfloat16PSL_PKlPlN2at6native12_GLOBAL__N_18offset_tEEE10hipError_tPvRmT1_PNSt15iterator_traitsISZ_E10value_typeET2_T3_PNS10_IS15_E10value_typeET4_jRbjT5_S1B_jjP12ihipStream_tbEUljE_EEESW_SX_SY_S15_S19_S1B_T6_T7_T9_mT8_S1D_bDpT10_ENKUlT_T0_E_clISt17integral_constantIbLb1EES1Q_EEDaS1L_S1M_EUlS1L_E_NS1_11comp_targetILNS1_3genE2ELNS1_11target_archE906ELNS1_3gpuE6ELNS1_3repE0EEENS1_30default_config_static_selectorELNS0_4arch9wavefront6targetE1EEEvSZ_,comdat
	.globl	_ZN7rocprim17ROCPRIM_400000_NS6detail17trampoline_kernelINS0_13select_configILj256ELj13ELNS0_17block_load_methodE3ELS4_3ELS4_3ELNS0_20block_scan_algorithmE0ELj4294967295EEENS1_25partition_config_selectorILNS1_17partition_subalgoE3EjNS0_10empty_typeEbEEZZNS1_14partition_implILS8_3ELb0ES6_jNS0_17counting_iteratorIjlEEPS9_SE_NS0_5tupleIJPjSE_EEENSF_IJSE_SE_EEES9_SG_JZNS1_25segmented_radix_sort_implINS0_14default_configELb1EPK12hip_bfloat16PSL_PKlPlN2at6native12_GLOBAL__N_18offset_tEEE10hipError_tPvRmT1_PNSt15iterator_traitsISZ_E10value_typeET2_T3_PNS10_IS15_E10value_typeET4_jRbjT5_S1B_jjP12ihipStream_tbEUljE_EEESW_SX_SY_S15_S19_S1B_T6_T7_T9_mT8_S1D_bDpT10_ENKUlT_T0_E_clISt17integral_constantIbLb1EES1Q_EEDaS1L_S1M_EUlS1L_E_NS1_11comp_targetILNS1_3genE2ELNS1_11target_archE906ELNS1_3gpuE6ELNS1_3repE0EEENS1_30default_config_static_selectorELNS0_4arch9wavefront6targetE1EEEvSZ_ ; -- Begin function _ZN7rocprim17ROCPRIM_400000_NS6detail17trampoline_kernelINS0_13select_configILj256ELj13ELNS0_17block_load_methodE3ELS4_3ELS4_3ELNS0_20block_scan_algorithmE0ELj4294967295EEENS1_25partition_config_selectorILNS1_17partition_subalgoE3EjNS0_10empty_typeEbEEZZNS1_14partition_implILS8_3ELb0ES6_jNS0_17counting_iteratorIjlEEPS9_SE_NS0_5tupleIJPjSE_EEENSF_IJSE_SE_EEES9_SG_JZNS1_25segmented_radix_sort_implINS0_14default_configELb1EPK12hip_bfloat16PSL_PKlPlN2at6native12_GLOBAL__N_18offset_tEEE10hipError_tPvRmT1_PNSt15iterator_traitsISZ_E10value_typeET2_T3_PNS10_IS15_E10value_typeET4_jRbjT5_S1B_jjP12ihipStream_tbEUljE_EEESW_SX_SY_S15_S19_S1B_T6_T7_T9_mT8_S1D_bDpT10_ENKUlT_T0_E_clISt17integral_constantIbLb1EES1Q_EEDaS1L_S1M_EUlS1L_E_NS1_11comp_targetILNS1_3genE2ELNS1_11target_archE906ELNS1_3gpuE6ELNS1_3repE0EEENS1_30default_config_static_selectorELNS0_4arch9wavefront6targetE1EEEvSZ_
	.p2align	8
	.type	_ZN7rocprim17ROCPRIM_400000_NS6detail17trampoline_kernelINS0_13select_configILj256ELj13ELNS0_17block_load_methodE3ELS4_3ELS4_3ELNS0_20block_scan_algorithmE0ELj4294967295EEENS1_25partition_config_selectorILNS1_17partition_subalgoE3EjNS0_10empty_typeEbEEZZNS1_14partition_implILS8_3ELb0ES6_jNS0_17counting_iteratorIjlEEPS9_SE_NS0_5tupleIJPjSE_EEENSF_IJSE_SE_EEES9_SG_JZNS1_25segmented_radix_sort_implINS0_14default_configELb1EPK12hip_bfloat16PSL_PKlPlN2at6native12_GLOBAL__N_18offset_tEEE10hipError_tPvRmT1_PNSt15iterator_traitsISZ_E10value_typeET2_T3_PNS10_IS15_E10value_typeET4_jRbjT5_S1B_jjP12ihipStream_tbEUljE_EEESW_SX_SY_S15_S19_S1B_T6_T7_T9_mT8_S1D_bDpT10_ENKUlT_T0_E_clISt17integral_constantIbLb1EES1Q_EEDaS1L_S1M_EUlS1L_E_NS1_11comp_targetILNS1_3genE2ELNS1_11target_archE906ELNS1_3gpuE6ELNS1_3repE0EEENS1_30default_config_static_selectorELNS0_4arch9wavefront6targetE1EEEvSZ_,@function
_ZN7rocprim17ROCPRIM_400000_NS6detail17trampoline_kernelINS0_13select_configILj256ELj13ELNS0_17block_load_methodE3ELS4_3ELS4_3ELNS0_20block_scan_algorithmE0ELj4294967295EEENS1_25partition_config_selectorILNS1_17partition_subalgoE3EjNS0_10empty_typeEbEEZZNS1_14partition_implILS8_3ELb0ES6_jNS0_17counting_iteratorIjlEEPS9_SE_NS0_5tupleIJPjSE_EEENSF_IJSE_SE_EEES9_SG_JZNS1_25segmented_radix_sort_implINS0_14default_configELb1EPK12hip_bfloat16PSL_PKlPlN2at6native12_GLOBAL__N_18offset_tEEE10hipError_tPvRmT1_PNSt15iterator_traitsISZ_E10value_typeET2_T3_PNS10_IS15_E10value_typeET4_jRbjT5_S1B_jjP12ihipStream_tbEUljE_EEESW_SX_SY_S15_S19_S1B_T6_T7_T9_mT8_S1D_bDpT10_ENKUlT_T0_E_clISt17integral_constantIbLb1EES1Q_EEDaS1L_S1M_EUlS1L_E_NS1_11comp_targetILNS1_3genE2ELNS1_11target_archE906ELNS1_3gpuE6ELNS1_3repE0EEENS1_30default_config_static_selectorELNS0_4arch9wavefront6targetE1EEEvSZ_: ; @_ZN7rocprim17ROCPRIM_400000_NS6detail17trampoline_kernelINS0_13select_configILj256ELj13ELNS0_17block_load_methodE3ELS4_3ELS4_3ELNS0_20block_scan_algorithmE0ELj4294967295EEENS1_25partition_config_selectorILNS1_17partition_subalgoE3EjNS0_10empty_typeEbEEZZNS1_14partition_implILS8_3ELb0ES6_jNS0_17counting_iteratorIjlEEPS9_SE_NS0_5tupleIJPjSE_EEENSF_IJSE_SE_EEES9_SG_JZNS1_25segmented_radix_sort_implINS0_14default_configELb1EPK12hip_bfloat16PSL_PKlPlN2at6native12_GLOBAL__N_18offset_tEEE10hipError_tPvRmT1_PNSt15iterator_traitsISZ_E10value_typeET2_T3_PNS10_IS15_E10value_typeET4_jRbjT5_S1B_jjP12ihipStream_tbEUljE_EEESW_SX_SY_S15_S19_S1B_T6_T7_T9_mT8_S1D_bDpT10_ENKUlT_T0_E_clISt17integral_constantIbLb1EES1Q_EEDaS1L_S1M_EUlS1L_E_NS1_11comp_targetILNS1_3genE2ELNS1_11target_archE906ELNS1_3gpuE6ELNS1_3repE0EEENS1_30default_config_static_selectorELNS0_4arch9wavefront6targetE1EEEvSZ_
; %bb.0:
	.section	.rodata,"a",@progbits
	.p2align	6, 0x0
	.amdhsa_kernel _ZN7rocprim17ROCPRIM_400000_NS6detail17trampoline_kernelINS0_13select_configILj256ELj13ELNS0_17block_load_methodE3ELS4_3ELS4_3ELNS0_20block_scan_algorithmE0ELj4294967295EEENS1_25partition_config_selectorILNS1_17partition_subalgoE3EjNS0_10empty_typeEbEEZZNS1_14partition_implILS8_3ELb0ES6_jNS0_17counting_iteratorIjlEEPS9_SE_NS0_5tupleIJPjSE_EEENSF_IJSE_SE_EEES9_SG_JZNS1_25segmented_radix_sort_implINS0_14default_configELb1EPK12hip_bfloat16PSL_PKlPlN2at6native12_GLOBAL__N_18offset_tEEE10hipError_tPvRmT1_PNSt15iterator_traitsISZ_E10value_typeET2_T3_PNS10_IS15_E10value_typeET4_jRbjT5_S1B_jjP12ihipStream_tbEUljE_EEESW_SX_SY_S15_S19_S1B_T6_T7_T9_mT8_S1D_bDpT10_ENKUlT_T0_E_clISt17integral_constantIbLb1EES1Q_EEDaS1L_S1M_EUlS1L_E_NS1_11comp_targetILNS1_3genE2ELNS1_11target_archE906ELNS1_3gpuE6ELNS1_3repE0EEENS1_30default_config_static_selectorELNS0_4arch9wavefront6targetE1EEEvSZ_
		.amdhsa_group_segment_fixed_size 0
		.amdhsa_private_segment_fixed_size 0
		.amdhsa_kernarg_size 152
		.amdhsa_user_sgpr_count 6
		.amdhsa_user_sgpr_private_segment_buffer 1
		.amdhsa_user_sgpr_dispatch_ptr 0
		.amdhsa_user_sgpr_queue_ptr 0
		.amdhsa_user_sgpr_kernarg_segment_ptr 1
		.amdhsa_user_sgpr_dispatch_id 0
		.amdhsa_user_sgpr_flat_scratch_init 0
		.amdhsa_user_sgpr_kernarg_preload_length 0
		.amdhsa_user_sgpr_kernarg_preload_offset 0
		.amdhsa_user_sgpr_private_segment_size 0
		.amdhsa_uses_dynamic_stack 0
		.amdhsa_system_sgpr_private_segment_wavefront_offset 0
		.amdhsa_system_sgpr_workgroup_id_x 1
		.amdhsa_system_sgpr_workgroup_id_y 0
		.amdhsa_system_sgpr_workgroup_id_z 0
		.amdhsa_system_sgpr_workgroup_info 0
		.amdhsa_system_vgpr_workitem_id 0
		.amdhsa_next_free_vgpr 1
		.amdhsa_next_free_sgpr 0
		.amdhsa_accum_offset 4
		.amdhsa_reserve_vcc 0
		.amdhsa_reserve_flat_scratch 0
		.amdhsa_float_round_mode_32 0
		.amdhsa_float_round_mode_16_64 0
		.amdhsa_float_denorm_mode_32 3
		.amdhsa_float_denorm_mode_16_64 3
		.amdhsa_dx10_clamp 1
		.amdhsa_ieee_mode 1
		.amdhsa_fp16_overflow 0
		.amdhsa_tg_split 0
		.amdhsa_exception_fp_ieee_invalid_op 0
		.amdhsa_exception_fp_denorm_src 0
		.amdhsa_exception_fp_ieee_div_zero 0
		.amdhsa_exception_fp_ieee_overflow 0
		.amdhsa_exception_fp_ieee_underflow 0
		.amdhsa_exception_fp_ieee_inexact 0
		.amdhsa_exception_int_div_zero 0
	.end_amdhsa_kernel
	.section	.text._ZN7rocprim17ROCPRIM_400000_NS6detail17trampoline_kernelINS0_13select_configILj256ELj13ELNS0_17block_load_methodE3ELS4_3ELS4_3ELNS0_20block_scan_algorithmE0ELj4294967295EEENS1_25partition_config_selectorILNS1_17partition_subalgoE3EjNS0_10empty_typeEbEEZZNS1_14partition_implILS8_3ELb0ES6_jNS0_17counting_iteratorIjlEEPS9_SE_NS0_5tupleIJPjSE_EEENSF_IJSE_SE_EEES9_SG_JZNS1_25segmented_radix_sort_implINS0_14default_configELb1EPK12hip_bfloat16PSL_PKlPlN2at6native12_GLOBAL__N_18offset_tEEE10hipError_tPvRmT1_PNSt15iterator_traitsISZ_E10value_typeET2_T3_PNS10_IS15_E10value_typeET4_jRbjT5_S1B_jjP12ihipStream_tbEUljE_EEESW_SX_SY_S15_S19_S1B_T6_T7_T9_mT8_S1D_bDpT10_ENKUlT_T0_E_clISt17integral_constantIbLb1EES1Q_EEDaS1L_S1M_EUlS1L_E_NS1_11comp_targetILNS1_3genE2ELNS1_11target_archE906ELNS1_3gpuE6ELNS1_3repE0EEENS1_30default_config_static_selectorELNS0_4arch9wavefront6targetE1EEEvSZ_,"axG",@progbits,_ZN7rocprim17ROCPRIM_400000_NS6detail17trampoline_kernelINS0_13select_configILj256ELj13ELNS0_17block_load_methodE3ELS4_3ELS4_3ELNS0_20block_scan_algorithmE0ELj4294967295EEENS1_25partition_config_selectorILNS1_17partition_subalgoE3EjNS0_10empty_typeEbEEZZNS1_14partition_implILS8_3ELb0ES6_jNS0_17counting_iteratorIjlEEPS9_SE_NS0_5tupleIJPjSE_EEENSF_IJSE_SE_EEES9_SG_JZNS1_25segmented_radix_sort_implINS0_14default_configELb1EPK12hip_bfloat16PSL_PKlPlN2at6native12_GLOBAL__N_18offset_tEEE10hipError_tPvRmT1_PNSt15iterator_traitsISZ_E10value_typeET2_T3_PNS10_IS15_E10value_typeET4_jRbjT5_S1B_jjP12ihipStream_tbEUljE_EEESW_SX_SY_S15_S19_S1B_T6_T7_T9_mT8_S1D_bDpT10_ENKUlT_T0_E_clISt17integral_constantIbLb1EES1Q_EEDaS1L_S1M_EUlS1L_E_NS1_11comp_targetILNS1_3genE2ELNS1_11target_archE906ELNS1_3gpuE6ELNS1_3repE0EEENS1_30default_config_static_selectorELNS0_4arch9wavefront6targetE1EEEvSZ_,comdat
.Lfunc_end1924:
	.size	_ZN7rocprim17ROCPRIM_400000_NS6detail17trampoline_kernelINS0_13select_configILj256ELj13ELNS0_17block_load_methodE3ELS4_3ELS4_3ELNS0_20block_scan_algorithmE0ELj4294967295EEENS1_25partition_config_selectorILNS1_17partition_subalgoE3EjNS0_10empty_typeEbEEZZNS1_14partition_implILS8_3ELb0ES6_jNS0_17counting_iteratorIjlEEPS9_SE_NS0_5tupleIJPjSE_EEENSF_IJSE_SE_EEES9_SG_JZNS1_25segmented_radix_sort_implINS0_14default_configELb1EPK12hip_bfloat16PSL_PKlPlN2at6native12_GLOBAL__N_18offset_tEEE10hipError_tPvRmT1_PNSt15iterator_traitsISZ_E10value_typeET2_T3_PNS10_IS15_E10value_typeET4_jRbjT5_S1B_jjP12ihipStream_tbEUljE_EEESW_SX_SY_S15_S19_S1B_T6_T7_T9_mT8_S1D_bDpT10_ENKUlT_T0_E_clISt17integral_constantIbLb1EES1Q_EEDaS1L_S1M_EUlS1L_E_NS1_11comp_targetILNS1_3genE2ELNS1_11target_archE906ELNS1_3gpuE6ELNS1_3repE0EEENS1_30default_config_static_selectorELNS0_4arch9wavefront6targetE1EEEvSZ_, .Lfunc_end1924-_ZN7rocprim17ROCPRIM_400000_NS6detail17trampoline_kernelINS0_13select_configILj256ELj13ELNS0_17block_load_methodE3ELS4_3ELS4_3ELNS0_20block_scan_algorithmE0ELj4294967295EEENS1_25partition_config_selectorILNS1_17partition_subalgoE3EjNS0_10empty_typeEbEEZZNS1_14partition_implILS8_3ELb0ES6_jNS0_17counting_iteratorIjlEEPS9_SE_NS0_5tupleIJPjSE_EEENSF_IJSE_SE_EEES9_SG_JZNS1_25segmented_radix_sort_implINS0_14default_configELb1EPK12hip_bfloat16PSL_PKlPlN2at6native12_GLOBAL__N_18offset_tEEE10hipError_tPvRmT1_PNSt15iterator_traitsISZ_E10value_typeET2_T3_PNS10_IS15_E10value_typeET4_jRbjT5_S1B_jjP12ihipStream_tbEUljE_EEESW_SX_SY_S15_S19_S1B_T6_T7_T9_mT8_S1D_bDpT10_ENKUlT_T0_E_clISt17integral_constantIbLb1EES1Q_EEDaS1L_S1M_EUlS1L_E_NS1_11comp_targetILNS1_3genE2ELNS1_11target_archE906ELNS1_3gpuE6ELNS1_3repE0EEENS1_30default_config_static_selectorELNS0_4arch9wavefront6targetE1EEEvSZ_
                                        ; -- End function
	.section	.AMDGPU.csdata,"",@progbits
; Kernel info:
; codeLenInByte = 0
; NumSgprs: 4
; NumVgprs: 0
; NumAgprs: 0
; TotalNumVgprs: 0
; ScratchSize: 0
; MemoryBound: 0
; FloatMode: 240
; IeeeMode: 1
; LDSByteSize: 0 bytes/workgroup (compile time only)
; SGPRBlocks: 0
; VGPRBlocks: 0
; NumSGPRsForWavesPerEU: 4
; NumVGPRsForWavesPerEU: 1
; AccumOffset: 4
; Occupancy: 8
; WaveLimiterHint : 0
; COMPUTE_PGM_RSRC2:SCRATCH_EN: 0
; COMPUTE_PGM_RSRC2:USER_SGPR: 6
; COMPUTE_PGM_RSRC2:TRAP_HANDLER: 0
; COMPUTE_PGM_RSRC2:TGID_X_EN: 1
; COMPUTE_PGM_RSRC2:TGID_Y_EN: 0
; COMPUTE_PGM_RSRC2:TGID_Z_EN: 0
; COMPUTE_PGM_RSRC2:TIDIG_COMP_CNT: 0
; COMPUTE_PGM_RSRC3_GFX90A:ACCUM_OFFSET: 0
; COMPUTE_PGM_RSRC3_GFX90A:TG_SPLIT: 0
	.section	.text._ZN7rocprim17ROCPRIM_400000_NS6detail17trampoline_kernelINS0_13select_configILj256ELj13ELNS0_17block_load_methodE3ELS4_3ELS4_3ELNS0_20block_scan_algorithmE0ELj4294967295EEENS1_25partition_config_selectorILNS1_17partition_subalgoE3EjNS0_10empty_typeEbEEZZNS1_14partition_implILS8_3ELb0ES6_jNS0_17counting_iteratorIjlEEPS9_SE_NS0_5tupleIJPjSE_EEENSF_IJSE_SE_EEES9_SG_JZNS1_25segmented_radix_sort_implINS0_14default_configELb1EPK12hip_bfloat16PSL_PKlPlN2at6native12_GLOBAL__N_18offset_tEEE10hipError_tPvRmT1_PNSt15iterator_traitsISZ_E10value_typeET2_T3_PNS10_IS15_E10value_typeET4_jRbjT5_S1B_jjP12ihipStream_tbEUljE_EEESW_SX_SY_S15_S19_S1B_T6_T7_T9_mT8_S1D_bDpT10_ENKUlT_T0_E_clISt17integral_constantIbLb1EES1Q_EEDaS1L_S1M_EUlS1L_E_NS1_11comp_targetILNS1_3genE10ELNS1_11target_archE1200ELNS1_3gpuE4ELNS1_3repE0EEENS1_30default_config_static_selectorELNS0_4arch9wavefront6targetE1EEEvSZ_,"axG",@progbits,_ZN7rocprim17ROCPRIM_400000_NS6detail17trampoline_kernelINS0_13select_configILj256ELj13ELNS0_17block_load_methodE3ELS4_3ELS4_3ELNS0_20block_scan_algorithmE0ELj4294967295EEENS1_25partition_config_selectorILNS1_17partition_subalgoE3EjNS0_10empty_typeEbEEZZNS1_14partition_implILS8_3ELb0ES6_jNS0_17counting_iteratorIjlEEPS9_SE_NS0_5tupleIJPjSE_EEENSF_IJSE_SE_EEES9_SG_JZNS1_25segmented_radix_sort_implINS0_14default_configELb1EPK12hip_bfloat16PSL_PKlPlN2at6native12_GLOBAL__N_18offset_tEEE10hipError_tPvRmT1_PNSt15iterator_traitsISZ_E10value_typeET2_T3_PNS10_IS15_E10value_typeET4_jRbjT5_S1B_jjP12ihipStream_tbEUljE_EEESW_SX_SY_S15_S19_S1B_T6_T7_T9_mT8_S1D_bDpT10_ENKUlT_T0_E_clISt17integral_constantIbLb1EES1Q_EEDaS1L_S1M_EUlS1L_E_NS1_11comp_targetILNS1_3genE10ELNS1_11target_archE1200ELNS1_3gpuE4ELNS1_3repE0EEENS1_30default_config_static_selectorELNS0_4arch9wavefront6targetE1EEEvSZ_,comdat
	.globl	_ZN7rocprim17ROCPRIM_400000_NS6detail17trampoline_kernelINS0_13select_configILj256ELj13ELNS0_17block_load_methodE3ELS4_3ELS4_3ELNS0_20block_scan_algorithmE0ELj4294967295EEENS1_25partition_config_selectorILNS1_17partition_subalgoE3EjNS0_10empty_typeEbEEZZNS1_14partition_implILS8_3ELb0ES6_jNS0_17counting_iteratorIjlEEPS9_SE_NS0_5tupleIJPjSE_EEENSF_IJSE_SE_EEES9_SG_JZNS1_25segmented_radix_sort_implINS0_14default_configELb1EPK12hip_bfloat16PSL_PKlPlN2at6native12_GLOBAL__N_18offset_tEEE10hipError_tPvRmT1_PNSt15iterator_traitsISZ_E10value_typeET2_T3_PNS10_IS15_E10value_typeET4_jRbjT5_S1B_jjP12ihipStream_tbEUljE_EEESW_SX_SY_S15_S19_S1B_T6_T7_T9_mT8_S1D_bDpT10_ENKUlT_T0_E_clISt17integral_constantIbLb1EES1Q_EEDaS1L_S1M_EUlS1L_E_NS1_11comp_targetILNS1_3genE10ELNS1_11target_archE1200ELNS1_3gpuE4ELNS1_3repE0EEENS1_30default_config_static_selectorELNS0_4arch9wavefront6targetE1EEEvSZ_ ; -- Begin function _ZN7rocprim17ROCPRIM_400000_NS6detail17trampoline_kernelINS0_13select_configILj256ELj13ELNS0_17block_load_methodE3ELS4_3ELS4_3ELNS0_20block_scan_algorithmE0ELj4294967295EEENS1_25partition_config_selectorILNS1_17partition_subalgoE3EjNS0_10empty_typeEbEEZZNS1_14partition_implILS8_3ELb0ES6_jNS0_17counting_iteratorIjlEEPS9_SE_NS0_5tupleIJPjSE_EEENSF_IJSE_SE_EEES9_SG_JZNS1_25segmented_radix_sort_implINS0_14default_configELb1EPK12hip_bfloat16PSL_PKlPlN2at6native12_GLOBAL__N_18offset_tEEE10hipError_tPvRmT1_PNSt15iterator_traitsISZ_E10value_typeET2_T3_PNS10_IS15_E10value_typeET4_jRbjT5_S1B_jjP12ihipStream_tbEUljE_EEESW_SX_SY_S15_S19_S1B_T6_T7_T9_mT8_S1D_bDpT10_ENKUlT_T0_E_clISt17integral_constantIbLb1EES1Q_EEDaS1L_S1M_EUlS1L_E_NS1_11comp_targetILNS1_3genE10ELNS1_11target_archE1200ELNS1_3gpuE4ELNS1_3repE0EEENS1_30default_config_static_selectorELNS0_4arch9wavefront6targetE1EEEvSZ_
	.p2align	8
	.type	_ZN7rocprim17ROCPRIM_400000_NS6detail17trampoline_kernelINS0_13select_configILj256ELj13ELNS0_17block_load_methodE3ELS4_3ELS4_3ELNS0_20block_scan_algorithmE0ELj4294967295EEENS1_25partition_config_selectorILNS1_17partition_subalgoE3EjNS0_10empty_typeEbEEZZNS1_14partition_implILS8_3ELb0ES6_jNS0_17counting_iteratorIjlEEPS9_SE_NS0_5tupleIJPjSE_EEENSF_IJSE_SE_EEES9_SG_JZNS1_25segmented_radix_sort_implINS0_14default_configELb1EPK12hip_bfloat16PSL_PKlPlN2at6native12_GLOBAL__N_18offset_tEEE10hipError_tPvRmT1_PNSt15iterator_traitsISZ_E10value_typeET2_T3_PNS10_IS15_E10value_typeET4_jRbjT5_S1B_jjP12ihipStream_tbEUljE_EEESW_SX_SY_S15_S19_S1B_T6_T7_T9_mT8_S1D_bDpT10_ENKUlT_T0_E_clISt17integral_constantIbLb1EES1Q_EEDaS1L_S1M_EUlS1L_E_NS1_11comp_targetILNS1_3genE10ELNS1_11target_archE1200ELNS1_3gpuE4ELNS1_3repE0EEENS1_30default_config_static_selectorELNS0_4arch9wavefront6targetE1EEEvSZ_,@function
_ZN7rocprim17ROCPRIM_400000_NS6detail17trampoline_kernelINS0_13select_configILj256ELj13ELNS0_17block_load_methodE3ELS4_3ELS4_3ELNS0_20block_scan_algorithmE0ELj4294967295EEENS1_25partition_config_selectorILNS1_17partition_subalgoE3EjNS0_10empty_typeEbEEZZNS1_14partition_implILS8_3ELb0ES6_jNS0_17counting_iteratorIjlEEPS9_SE_NS0_5tupleIJPjSE_EEENSF_IJSE_SE_EEES9_SG_JZNS1_25segmented_radix_sort_implINS0_14default_configELb1EPK12hip_bfloat16PSL_PKlPlN2at6native12_GLOBAL__N_18offset_tEEE10hipError_tPvRmT1_PNSt15iterator_traitsISZ_E10value_typeET2_T3_PNS10_IS15_E10value_typeET4_jRbjT5_S1B_jjP12ihipStream_tbEUljE_EEESW_SX_SY_S15_S19_S1B_T6_T7_T9_mT8_S1D_bDpT10_ENKUlT_T0_E_clISt17integral_constantIbLb1EES1Q_EEDaS1L_S1M_EUlS1L_E_NS1_11comp_targetILNS1_3genE10ELNS1_11target_archE1200ELNS1_3gpuE4ELNS1_3repE0EEENS1_30default_config_static_selectorELNS0_4arch9wavefront6targetE1EEEvSZ_: ; @_ZN7rocprim17ROCPRIM_400000_NS6detail17trampoline_kernelINS0_13select_configILj256ELj13ELNS0_17block_load_methodE3ELS4_3ELS4_3ELNS0_20block_scan_algorithmE0ELj4294967295EEENS1_25partition_config_selectorILNS1_17partition_subalgoE3EjNS0_10empty_typeEbEEZZNS1_14partition_implILS8_3ELb0ES6_jNS0_17counting_iteratorIjlEEPS9_SE_NS0_5tupleIJPjSE_EEENSF_IJSE_SE_EEES9_SG_JZNS1_25segmented_radix_sort_implINS0_14default_configELb1EPK12hip_bfloat16PSL_PKlPlN2at6native12_GLOBAL__N_18offset_tEEE10hipError_tPvRmT1_PNSt15iterator_traitsISZ_E10value_typeET2_T3_PNS10_IS15_E10value_typeET4_jRbjT5_S1B_jjP12ihipStream_tbEUljE_EEESW_SX_SY_S15_S19_S1B_T6_T7_T9_mT8_S1D_bDpT10_ENKUlT_T0_E_clISt17integral_constantIbLb1EES1Q_EEDaS1L_S1M_EUlS1L_E_NS1_11comp_targetILNS1_3genE10ELNS1_11target_archE1200ELNS1_3gpuE4ELNS1_3repE0EEENS1_30default_config_static_selectorELNS0_4arch9wavefront6targetE1EEEvSZ_
; %bb.0:
	.section	.rodata,"a",@progbits
	.p2align	6, 0x0
	.amdhsa_kernel _ZN7rocprim17ROCPRIM_400000_NS6detail17trampoline_kernelINS0_13select_configILj256ELj13ELNS0_17block_load_methodE3ELS4_3ELS4_3ELNS0_20block_scan_algorithmE0ELj4294967295EEENS1_25partition_config_selectorILNS1_17partition_subalgoE3EjNS0_10empty_typeEbEEZZNS1_14partition_implILS8_3ELb0ES6_jNS0_17counting_iteratorIjlEEPS9_SE_NS0_5tupleIJPjSE_EEENSF_IJSE_SE_EEES9_SG_JZNS1_25segmented_radix_sort_implINS0_14default_configELb1EPK12hip_bfloat16PSL_PKlPlN2at6native12_GLOBAL__N_18offset_tEEE10hipError_tPvRmT1_PNSt15iterator_traitsISZ_E10value_typeET2_T3_PNS10_IS15_E10value_typeET4_jRbjT5_S1B_jjP12ihipStream_tbEUljE_EEESW_SX_SY_S15_S19_S1B_T6_T7_T9_mT8_S1D_bDpT10_ENKUlT_T0_E_clISt17integral_constantIbLb1EES1Q_EEDaS1L_S1M_EUlS1L_E_NS1_11comp_targetILNS1_3genE10ELNS1_11target_archE1200ELNS1_3gpuE4ELNS1_3repE0EEENS1_30default_config_static_selectorELNS0_4arch9wavefront6targetE1EEEvSZ_
		.amdhsa_group_segment_fixed_size 0
		.amdhsa_private_segment_fixed_size 0
		.amdhsa_kernarg_size 152
		.amdhsa_user_sgpr_count 6
		.amdhsa_user_sgpr_private_segment_buffer 1
		.amdhsa_user_sgpr_dispatch_ptr 0
		.amdhsa_user_sgpr_queue_ptr 0
		.amdhsa_user_sgpr_kernarg_segment_ptr 1
		.amdhsa_user_sgpr_dispatch_id 0
		.amdhsa_user_sgpr_flat_scratch_init 0
		.amdhsa_user_sgpr_kernarg_preload_length 0
		.amdhsa_user_sgpr_kernarg_preload_offset 0
		.amdhsa_user_sgpr_private_segment_size 0
		.amdhsa_uses_dynamic_stack 0
		.amdhsa_system_sgpr_private_segment_wavefront_offset 0
		.amdhsa_system_sgpr_workgroup_id_x 1
		.amdhsa_system_sgpr_workgroup_id_y 0
		.amdhsa_system_sgpr_workgroup_id_z 0
		.amdhsa_system_sgpr_workgroup_info 0
		.amdhsa_system_vgpr_workitem_id 0
		.amdhsa_next_free_vgpr 1
		.amdhsa_next_free_sgpr 0
		.amdhsa_accum_offset 4
		.amdhsa_reserve_vcc 0
		.amdhsa_reserve_flat_scratch 0
		.amdhsa_float_round_mode_32 0
		.amdhsa_float_round_mode_16_64 0
		.amdhsa_float_denorm_mode_32 3
		.amdhsa_float_denorm_mode_16_64 3
		.amdhsa_dx10_clamp 1
		.amdhsa_ieee_mode 1
		.amdhsa_fp16_overflow 0
		.amdhsa_tg_split 0
		.amdhsa_exception_fp_ieee_invalid_op 0
		.amdhsa_exception_fp_denorm_src 0
		.amdhsa_exception_fp_ieee_div_zero 0
		.amdhsa_exception_fp_ieee_overflow 0
		.amdhsa_exception_fp_ieee_underflow 0
		.amdhsa_exception_fp_ieee_inexact 0
		.amdhsa_exception_int_div_zero 0
	.end_amdhsa_kernel
	.section	.text._ZN7rocprim17ROCPRIM_400000_NS6detail17trampoline_kernelINS0_13select_configILj256ELj13ELNS0_17block_load_methodE3ELS4_3ELS4_3ELNS0_20block_scan_algorithmE0ELj4294967295EEENS1_25partition_config_selectorILNS1_17partition_subalgoE3EjNS0_10empty_typeEbEEZZNS1_14partition_implILS8_3ELb0ES6_jNS0_17counting_iteratorIjlEEPS9_SE_NS0_5tupleIJPjSE_EEENSF_IJSE_SE_EEES9_SG_JZNS1_25segmented_radix_sort_implINS0_14default_configELb1EPK12hip_bfloat16PSL_PKlPlN2at6native12_GLOBAL__N_18offset_tEEE10hipError_tPvRmT1_PNSt15iterator_traitsISZ_E10value_typeET2_T3_PNS10_IS15_E10value_typeET4_jRbjT5_S1B_jjP12ihipStream_tbEUljE_EEESW_SX_SY_S15_S19_S1B_T6_T7_T9_mT8_S1D_bDpT10_ENKUlT_T0_E_clISt17integral_constantIbLb1EES1Q_EEDaS1L_S1M_EUlS1L_E_NS1_11comp_targetILNS1_3genE10ELNS1_11target_archE1200ELNS1_3gpuE4ELNS1_3repE0EEENS1_30default_config_static_selectorELNS0_4arch9wavefront6targetE1EEEvSZ_,"axG",@progbits,_ZN7rocprim17ROCPRIM_400000_NS6detail17trampoline_kernelINS0_13select_configILj256ELj13ELNS0_17block_load_methodE3ELS4_3ELS4_3ELNS0_20block_scan_algorithmE0ELj4294967295EEENS1_25partition_config_selectorILNS1_17partition_subalgoE3EjNS0_10empty_typeEbEEZZNS1_14partition_implILS8_3ELb0ES6_jNS0_17counting_iteratorIjlEEPS9_SE_NS0_5tupleIJPjSE_EEENSF_IJSE_SE_EEES9_SG_JZNS1_25segmented_radix_sort_implINS0_14default_configELb1EPK12hip_bfloat16PSL_PKlPlN2at6native12_GLOBAL__N_18offset_tEEE10hipError_tPvRmT1_PNSt15iterator_traitsISZ_E10value_typeET2_T3_PNS10_IS15_E10value_typeET4_jRbjT5_S1B_jjP12ihipStream_tbEUljE_EEESW_SX_SY_S15_S19_S1B_T6_T7_T9_mT8_S1D_bDpT10_ENKUlT_T0_E_clISt17integral_constantIbLb1EES1Q_EEDaS1L_S1M_EUlS1L_E_NS1_11comp_targetILNS1_3genE10ELNS1_11target_archE1200ELNS1_3gpuE4ELNS1_3repE0EEENS1_30default_config_static_selectorELNS0_4arch9wavefront6targetE1EEEvSZ_,comdat
.Lfunc_end1925:
	.size	_ZN7rocprim17ROCPRIM_400000_NS6detail17trampoline_kernelINS0_13select_configILj256ELj13ELNS0_17block_load_methodE3ELS4_3ELS4_3ELNS0_20block_scan_algorithmE0ELj4294967295EEENS1_25partition_config_selectorILNS1_17partition_subalgoE3EjNS0_10empty_typeEbEEZZNS1_14partition_implILS8_3ELb0ES6_jNS0_17counting_iteratorIjlEEPS9_SE_NS0_5tupleIJPjSE_EEENSF_IJSE_SE_EEES9_SG_JZNS1_25segmented_radix_sort_implINS0_14default_configELb1EPK12hip_bfloat16PSL_PKlPlN2at6native12_GLOBAL__N_18offset_tEEE10hipError_tPvRmT1_PNSt15iterator_traitsISZ_E10value_typeET2_T3_PNS10_IS15_E10value_typeET4_jRbjT5_S1B_jjP12ihipStream_tbEUljE_EEESW_SX_SY_S15_S19_S1B_T6_T7_T9_mT8_S1D_bDpT10_ENKUlT_T0_E_clISt17integral_constantIbLb1EES1Q_EEDaS1L_S1M_EUlS1L_E_NS1_11comp_targetILNS1_3genE10ELNS1_11target_archE1200ELNS1_3gpuE4ELNS1_3repE0EEENS1_30default_config_static_selectorELNS0_4arch9wavefront6targetE1EEEvSZ_, .Lfunc_end1925-_ZN7rocprim17ROCPRIM_400000_NS6detail17trampoline_kernelINS0_13select_configILj256ELj13ELNS0_17block_load_methodE3ELS4_3ELS4_3ELNS0_20block_scan_algorithmE0ELj4294967295EEENS1_25partition_config_selectorILNS1_17partition_subalgoE3EjNS0_10empty_typeEbEEZZNS1_14partition_implILS8_3ELb0ES6_jNS0_17counting_iteratorIjlEEPS9_SE_NS0_5tupleIJPjSE_EEENSF_IJSE_SE_EEES9_SG_JZNS1_25segmented_radix_sort_implINS0_14default_configELb1EPK12hip_bfloat16PSL_PKlPlN2at6native12_GLOBAL__N_18offset_tEEE10hipError_tPvRmT1_PNSt15iterator_traitsISZ_E10value_typeET2_T3_PNS10_IS15_E10value_typeET4_jRbjT5_S1B_jjP12ihipStream_tbEUljE_EEESW_SX_SY_S15_S19_S1B_T6_T7_T9_mT8_S1D_bDpT10_ENKUlT_T0_E_clISt17integral_constantIbLb1EES1Q_EEDaS1L_S1M_EUlS1L_E_NS1_11comp_targetILNS1_3genE10ELNS1_11target_archE1200ELNS1_3gpuE4ELNS1_3repE0EEENS1_30default_config_static_selectorELNS0_4arch9wavefront6targetE1EEEvSZ_
                                        ; -- End function
	.section	.AMDGPU.csdata,"",@progbits
; Kernel info:
; codeLenInByte = 0
; NumSgprs: 4
; NumVgprs: 0
; NumAgprs: 0
; TotalNumVgprs: 0
; ScratchSize: 0
; MemoryBound: 0
; FloatMode: 240
; IeeeMode: 1
; LDSByteSize: 0 bytes/workgroup (compile time only)
; SGPRBlocks: 0
; VGPRBlocks: 0
; NumSGPRsForWavesPerEU: 4
; NumVGPRsForWavesPerEU: 1
; AccumOffset: 4
; Occupancy: 8
; WaveLimiterHint : 0
; COMPUTE_PGM_RSRC2:SCRATCH_EN: 0
; COMPUTE_PGM_RSRC2:USER_SGPR: 6
; COMPUTE_PGM_RSRC2:TRAP_HANDLER: 0
; COMPUTE_PGM_RSRC2:TGID_X_EN: 1
; COMPUTE_PGM_RSRC2:TGID_Y_EN: 0
; COMPUTE_PGM_RSRC2:TGID_Z_EN: 0
; COMPUTE_PGM_RSRC2:TIDIG_COMP_CNT: 0
; COMPUTE_PGM_RSRC3_GFX90A:ACCUM_OFFSET: 0
; COMPUTE_PGM_RSRC3_GFX90A:TG_SPLIT: 0
	.section	.text._ZN7rocprim17ROCPRIM_400000_NS6detail17trampoline_kernelINS0_13select_configILj256ELj13ELNS0_17block_load_methodE3ELS4_3ELS4_3ELNS0_20block_scan_algorithmE0ELj4294967295EEENS1_25partition_config_selectorILNS1_17partition_subalgoE3EjNS0_10empty_typeEbEEZZNS1_14partition_implILS8_3ELb0ES6_jNS0_17counting_iteratorIjlEEPS9_SE_NS0_5tupleIJPjSE_EEENSF_IJSE_SE_EEES9_SG_JZNS1_25segmented_radix_sort_implINS0_14default_configELb1EPK12hip_bfloat16PSL_PKlPlN2at6native12_GLOBAL__N_18offset_tEEE10hipError_tPvRmT1_PNSt15iterator_traitsISZ_E10value_typeET2_T3_PNS10_IS15_E10value_typeET4_jRbjT5_S1B_jjP12ihipStream_tbEUljE_EEESW_SX_SY_S15_S19_S1B_T6_T7_T9_mT8_S1D_bDpT10_ENKUlT_T0_E_clISt17integral_constantIbLb1EES1Q_EEDaS1L_S1M_EUlS1L_E_NS1_11comp_targetILNS1_3genE9ELNS1_11target_archE1100ELNS1_3gpuE3ELNS1_3repE0EEENS1_30default_config_static_selectorELNS0_4arch9wavefront6targetE1EEEvSZ_,"axG",@progbits,_ZN7rocprim17ROCPRIM_400000_NS6detail17trampoline_kernelINS0_13select_configILj256ELj13ELNS0_17block_load_methodE3ELS4_3ELS4_3ELNS0_20block_scan_algorithmE0ELj4294967295EEENS1_25partition_config_selectorILNS1_17partition_subalgoE3EjNS0_10empty_typeEbEEZZNS1_14partition_implILS8_3ELb0ES6_jNS0_17counting_iteratorIjlEEPS9_SE_NS0_5tupleIJPjSE_EEENSF_IJSE_SE_EEES9_SG_JZNS1_25segmented_radix_sort_implINS0_14default_configELb1EPK12hip_bfloat16PSL_PKlPlN2at6native12_GLOBAL__N_18offset_tEEE10hipError_tPvRmT1_PNSt15iterator_traitsISZ_E10value_typeET2_T3_PNS10_IS15_E10value_typeET4_jRbjT5_S1B_jjP12ihipStream_tbEUljE_EEESW_SX_SY_S15_S19_S1B_T6_T7_T9_mT8_S1D_bDpT10_ENKUlT_T0_E_clISt17integral_constantIbLb1EES1Q_EEDaS1L_S1M_EUlS1L_E_NS1_11comp_targetILNS1_3genE9ELNS1_11target_archE1100ELNS1_3gpuE3ELNS1_3repE0EEENS1_30default_config_static_selectorELNS0_4arch9wavefront6targetE1EEEvSZ_,comdat
	.globl	_ZN7rocprim17ROCPRIM_400000_NS6detail17trampoline_kernelINS0_13select_configILj256ELj13ELNS0_17block_load_methodE3ELS4_3ELS4_3ELNS0_20block_scan_algorithmE0ELj4294967295EEENS1_25partition_config_selectorILNS1_17partition_subalgoE3EjNS0_10empty_typeEbEEZZNS1_14partition_implILS8_3ELb0ES6_jNS0_17counting_iteratorIjlEEPS9_SE_NS0_5tupleIJPjSE_EEENSF_IJSE_SE_EEES9_SG_JZNS1_25segmented_radix_sort_implINS0_14default_configELb1EPK12hip_bfloat16PSL_PKlPlN2at6native12_GLOBAL__N_18offset_tEEE10hipError_tPvRmT1_PNSt15iterator_traitsISZ_E10value_typeET2_T3_PNS10_IS15_E10value_typeET4_jRbjT5_S1B_jjP12ihipStream_tbEUljE_EEESW_SX_SY_S15_S19_S1B_T6_T7_T9_mT8_S1D_bDpT10_ENKUlT_T0_E_clISt17integral_constantIbLb1EES1Q_EEDaS1L_S1M_EUlS1L_E_NS1_11comp_targetILNS1_3genE9ELNS1_11target_archE1100ELNS1_3gpuE3ELNS1_3repE0EEENS1_30default_config_static_selectorELNS0_4arch9wavefront6targetE1EEEvSZ_ ; -- Begin function _ZN7rocprim17ROCPRIM_400000_NS6detail17trampoline_kernelINS0_13select_configILj256ELj13ELNS0_17block_load_methodE3ELS4_3ELS4_3ELNS0_20block_scan_algorithmE0ELj4294967295EEENS1_25partition_config_selectorILNS1_17partition_subalgoE3EjNS0_10empty_typeEbEEZZNS1_14partition_implILS8_3ELb0ES6_jNS0_17counting_iteratorIjlEEPS9_SE_NS0_5tupleIJPjSE_EEENSF_IJSE_SE_EEES9_SG_JZNS1_25segmented_radix_sort_implINS0_14default_configELb1EPK12hip_bfloat16PSL_PKlPlN2at6native12_GLOBAL__N_18offset_tEEE10hipError_tPvRmT1_PNSt15iterator_traitsISZ_E10value_typeET2_T3_PNS10_IS15_E10value_typeET4_jRbjT5_S1B_jjP12ihipStream_tbEUljE_EEESW_SX_SY_S15_S19_S1B_T6_T7_T9_mT8_S1D_bDpT10_ENKUlT_T0_E_clISt17integral_constantIbLb1EES1Q_EEDaS1L_S1M_EUlS1L_E_NS1_11comp_targetILNS1_3genE9ELNS1_11target_archE1100ELNS1_3gpuE3ELNS1_3repE0EEENS1_30default_config_static_selectorELNS0_4arch9wavefront6targetE1EEEvSZ_
	.p2align	8
	.type	_ZN7rocprim17ROCPRIM_400000_NS6detail17trampoline_kernelINS0_13select_configILj256ELj13ELNS0_17block_load_methodE3ELS4_3ELS4_3ELNS0_20block_scan_algorithmE0ELj4294967295EEENS1_25partition_config_selectorILNS1_17partition_subalgoE3EjNS0_10empty_typeEbEEZZNS1_14partition_implILS8_3ELb0ES6_jNS0_17counting_iteratorIjlEEPS9_SE_NS0_5tupleIJPjSE_EEENSF_IJSE_SE_EEES9_SG_JZNS1_25segmented_radix_sort_implINS0_14default_configELb1EPK12hip_bfloat16PSL_PKlPlN2at6native12_GLOBAL__N_18offset_tEEE10hipError_tPvRmT1_PNSt15iterator_traitsISZ_E10value_typeET2_T3_PNS10_IS15_E10value_typeET4_jRbjT5_S1B_jjP12ihipStream_tbEUljE_EEESW_SX_SY_S15_S19_S1B_T6_T7_T9_mT8_S1D_bDpT10_ENKUlT_T0_E_clISt17integral_constantIbLb1EES1Q_EEDaS1L_S1M_EUlS1L_E_NS1_11comp_targetILNS1_3genE9ELNS1_11target_archE1100ELNS1_3gpuE3ELNS1_3repE0EEENS1_30default_config_static_selectorELNS0_4arch9wavefront6targetE1EEEvSZ_,@function
_ZN7rocprim17ROCPRIM_400000_NS6detail17trampoline_kernelINS0_13select_configILj256ELj13ELNS0_17block_load_methodE3ELS4_3ELS4_3ELNS0_20block_scan_algorithmE0ELj4294967295EEENS1_25partition_config_selectorILNS1_17partition_subalgoE3EjNS0_10empty_typeEbEEZZNS1_14partition_implILS8_3ELb0ES6_jNS0_17counting_iteratorIjlEEPS9_SE_NS0_5tupleIJPjSE_EEENSF_IJSE_SE_EEES9_SG_JZNS1_25segmented_radix_sort_implINS0_14default_configELb1EPK12hip_bfloat16PSL_PKlPlN2at6native12_GLOBAL__N_18offset_tEEE10hipError_tPvRmT1_PNSt15iterator_traitsISZ_E10value_typeET2_T3_PNS10_IS15_E10value_typeET4_jRbjT5_S1B_jjP12ihipStream_tbEUljE_EEESW_SX_SY_S15_S19_S1B_T6_T7_T9_mT8_S1D_bDpT10_ENKUlT_T0_E_clISt17integral_constantIbLb1EES1Q_EEDaS1L_S1M_EUlS1L_E_NS1_11comp_targetILNS1_3genE9ELNS1_11target_archE1100ELNS1_3gpuE3ELNS1_3repE0EEENS1_30default_config_static_selectorELNS0_4arch9wavefront6targetE1EEEvSZ_: ; @_ZN7rocprim17ROCPRIM_400000_NS6detail17trampoline_kernelINS0_13select_configILj256ELj13ELNS0_17block_load_methodE3ELS4_3ELS4_3ELNS0_20block_scan_algorithmE0ELj4294967295EEENS1_25partition_config_selectorILNS1_17partition_subalgoE3EjNS0_10empty_typeEbEEZZNS1_14partition_implILS8_3ELb0ES6_jNS0_17counting_iteratorIjlEEPS9_SE_NS0_5tupleIJPjSE_EEENSF_IJSE_SE_EEES9_SG_JZNS1_25segmented_radix_sort_implINS0_14default_configELb1EPK12hip_bfloat16PSL_PKlPlN2at6native12_GLOBAL__N_18offset_tEEE10hipError_tPvRmT1_PNSt15iterator_traitsISZ_E10value_typeET2_T3_PNS10_IS15_E10value_typeET4_jRbjT5_S1B_jjP12ihipStream_tbEUljE_EEESW_SX_SY_S15_S19_S1B_T6_T7_T9_mT8_S1D_bDpT10_ENKUlT_T0_E_clISt17integral_constantIbLb1EES1Q_EEDaS1L_S1M_EUlS1L_E_NS1_11comp_targetILNS1_3genE9ELNS1_11target_archE1100ELNS1_3gpuE3ELNS1_3repE0EEENS1_30default_config_static_selectorELNS0_4arch9wavefront6targetE1EEEvSZ_
; %bb.0:
	.section	.rodata,"a",@progbits
	.p2align	6, 0x0
	.amdhsa_kernel _ZN7rocprim17ROCPRIM_400000_NS6detail17trampoline_kernelINS0_13select_configILj256ELj13ELNS0_17block_load_methodE3ELS4_3ELS4_3ELNS0_20block_scan_algorithmE0ELj4294967295EEENS1_25partition_config_selectorILNS1_17partition_subalgoE3EjNS0_10empty_typeEbEEZZNS1_14partition_implILS8_3ELb0ES6_jNS0_17counting_iteratorIjlEEPS9_SE_NS0_5tupleIJPjSE_EEENSF_IJSE_SE_EEES9_SG_JZNS1_25segmented_radix_sort_implINS0_14default_configELb1EPK12hip_bfloat16PSL_PKlPlN2at6native12_GLOBAL__N_18offset_tEEE10hipError_tPvRmT1_PNSt15iterator_traitsISZ_E10value_typeET2_T3_PNS10_IS15_E10value_typeET4_jRbjT5_S1B_jjP12ihipStream_tbEUljE_EEESW_SX_SY_S15_S19_S1B_T6_T7_T9_mT8_S1D_bDpT10_ENKUlT_T0_E_clISt17integral_constantIbLb1EES1Q_EEDaS1L_S1M_EUlS1L_E_NS1_11comp_targetILNS1_3genE9ELNS1_11target_archE1100ELNS1_3gpuE3ELNS1_3repE0EEENS1_30default_config_static_selectorELNS0_4arch9wavefront6targetE1EEEvSZ_
		.amdhsa_group_segment_fixed_size 0
		.amdhsa_private_segment_fixed_size 0
		.amdhsa_kernarg_size 152
		.amdhsa_user_sgpr_count 6
		.amdhsa_user_sgpr_private_segment_buffer 1
		.amdhsa_user_sgpr_dispatch_ptr 0
		.amdhsa_user_sgpr_queue_ptr 0
		.amdhsa_user_sgpr_kernarg_segment_ptr 1
		.amdhsa_user_sgpr_dispatch_id 0
		.amdhsa_user_sgpr_flat_scratch_init 0
		.amdhsa_user_sgpr_kernarg_preload_length 0
		.amdhsa_user_sgpr_kernarg_preload_offset 0
		.amdhsa_user_sgpr_private_segment_size 0
		.amdhsa_uses_dynamic_stack 0
		.amdhsa_system_sgpr_private_segment_wavefront_offset 0
		.amdhsa_system_sgpr_workgroup_id_x 1
		.amdhsa_system_sgpr_workgroup_id_y 0
		.amdhsa_system_sgpr_workgroup_id_z 0
		.amdhsa_system_sgpr_workgroup_info 0
		.amdhsa_system_vgpr_workitem_id 0
		.amdhsa_next_free_vgpr 1
		.amdhsa_next_free_sgpr 0
		.amdhsa_accum_offset 4
		.amdhsa_reserve_vcc 0
		.amdhsa_reserve_flat_scratch 0
		.amdhsa_float_round_mode_32 0
		.amdhsa_float_round_mode_16_64 0
		.amdhsa_float_denorm_mode_32 3
		.amdhsa_float_denorm_mode_16_64 3
		.amdhsa_dx10_clamp 1
		.amdhsa_ieee_mode 1
		.amdhsa_fp16_overflow 0
		.amdhsa_tg_split 0
		.amdhsa_exception_fp_ieee_invalid_op 0
		.amdhsa_exception_fp_denorm_src 0
		.amdhsa_exception_fp_ieee_div_zero 0
		.amdhsa_exception_fp_ieee_overflow 0
		.amdhsa_exception_fp_ieee_underflow 0
		.amdhsa_exception_fp_ieee_inexact 0
		.amdhsa_exception_int_div_zero 0
	.end_amdhsa_kernel
	.section	.text._ZN7rocprim17ROCPRIM_400000_NS6detail17trampoline_kernelINS0_13select_configILj256ELj13ELNS0_17block_load_methodE3ELS4_3ELS4_3ELNS0_20block_scan_algorithmE0ELj4294967295EEENS1_25partition_config_selectorILNS1_17partition_subalgoE3EjNS0_10empty_typeEbEEZZNS1_14partition_implILS8_3ELb0ES6_jNS0_17counting_iteratorIjlEEPS9_SE_NS0_5tupleIJPjSE_EEENSF_IJSE_SE_EEES9_SG_JZNS1_25segmented_radix_sort_implINS0_14default_configELb1EPK12hip_bfloat16PSL_PKlPlN2at6native12_GLOBAL__N_18offset_tEEE10hipError_tPvRmT1_PNSt15iterator_traitsISZ_E10value_typeET2_T3_PNS10_IS15_E10value_typeET4_jRbjT5_S1B_jjP12ihipStream_tbEUljE_EEESW_SX_SY_S15_S19_S1B_T6_T7_T9_mT8_S1D_bDpT10_ENKUlT_T0_E_clISt17integral_constantIbLb1EES1Q_EEDaS1L_S1M_EUlS1L_E_NS1_11comp_targetILNS1_3genE9ELNS1_11target_archE1100ELNS1_3gpuE3ELNS1_3repE0EEENS1_30default_config_static_selectorELNS0_4arch9wavefront6targetE1EEEvSZ_,"axG",@progbits,_ZN7rocprim17ROCPRIM_400000_NS6detail17trampoline_kernelINS0_13select_configILj256ELj13ELNS0_17block_load_methodE3ELS4_3ELS4_3ELNS0_20block_scan_algorithmE0ELj4294967295EEENS1_25partition_config_selectorILNS1_17partition_subalgoE3EjNS0_10empty_typeEbEEZZNS1_14partition_implILS8_3ELb0ES6_jNS0_17counting_iteratorIjlEEPS9_SE_NS0_5tupleIJPjSE_EEENSF_IJSE_SE_EEES9_SG_JZNS1_25segmented_radix_sort_implINS0_14default_configELb1EPK12hip_bfloat16PSL_PKlPlN2at6native12_GLOBAL__N_18offset_tEEE10hipError_tPvRmT1_PNSt15iterator_traitsISZ_E10value_typeET2_T3_PNS10_IS15_E10value_typeET4_jRbjT5_S1B_jjP12ihipStream_tbEUljE_EEESW_SX_SY_S15_S19_S1B_T6_T7_T9_mT8_S1D_bDpT10_ENKUlT_T0_E_clISt17integral_constantIbLb1EES1Q_EEDaS1L_S1M_EUlS1L_E_NS1_11comp_targetILNS1_3genE9ELNS1_11target_archE1100ELNS1_3gpuE3ELNS1_3repE0EEENS1_30default_config_static_selectorELNS0_4arch9wavefront6targetE1EEEvSZ_,comdat
.Lfunc_end1926:
	.size	_ZN7rocprim17ROCPRIM_400000_NS6detail17trampoline_kernelINS0_13select_configILj256ELj13ELNS0_17block_load_methodE3ELS4_3ELS4_3ELNS0_20block_scan_algorithmE0ELj4294967295EEENS1_25partition_config_selectorILNS1_17partition_subalgoE3EjNS0_10empty_typeEbEEZZNS1_14partition_implILS8_3ELb0ES6_jNS0_17counting_iteratorIjlEEPS9_SE_NS0_5tupleIJPjSE_EEENSF_IJSE_SE_EEES9_SG_JZNS1_25segmented_radix_sort_implINS0_14default_configELb1EPK12hip_bfloat16PSL_PKlPlN2at6native12_GLOBAL__N_18offset_tEEE10hipError_tPvRmT1_PNSt15iterator_traitsISZ_E10value_typeET2_T3_PNS10_IS15_E10value_typeET4_jRbjT5_S1B_jjP12ihipStream_tbEUljE_EEESW_SX_SY_S15_S19_S1B_T6_T7_T9_mT8_S1D_bDpT10_ENKUlT_T0_E_clISt17integral_constantIbLb1EES1Q_EEDaS1L_S1M_EUlS1L_E_NS1_11comp_targetILNS1_3genE9ELNS1_11target_archE1100ELNS1_3gpuE3ELNS1_3repE0EEENS1_30default_config_static_selectorELNS0_4arch9wavefront6targetE1EEEvSZ_, .Lfunc_end1926-_ZN7rocprim17ROCPRIM_400000_NS6detail17trampoline_kernelINS0_13select_configILj256ELj13ELNS0_17block_load_methodE3ELS4_3ELS4_3ELNS0_20block_scan_algorithmE0ELj4294967295EEENS1_25partition_config_selectorILNS1_17partition_subalgoE3EjNS0_10empty_typeEbEEZZNS1_14partition_implILS8_3ELb0ES6_jNS0_17counting_iteratorIjlEEPS9_SE_NS0_5tupleIJPjSE_EEENSF_IJSE_SE_EEES9_SG_JZNS1_25segmented_radix_sort_implINS0_14default_configELb1EPK12hip_bfloat16PSL_PKlPlN2at6native12_GLOBAL__N_18offset_tEEE10hipError_tPvRmT1_PNSt15iterator_traitsISZ_E10value_typeET2_T3_PNS10_IS15_E10value_typeET4_jRbjT5_S1B_jjP12ihipStream_tbEUljE_EEESW_SX_SY_S15_S19_S1B_T6_T7_T9_mT8_S1D_bDpT10_ENKUlT_T0_E_clISt17integral_constantIbLb1EES1Q_EEDaS1L_S1M_EUlS1L_E_NS1_11comp_targetILNS1_3genE9ELNS1_11target_archE1100ELNS1_3gpuE3ELNS1_3repE0EEENS1_30default_config_static_selectorELNS0_4arch9wavefront6targetE1EEEvSZ_
                                        ; -- End function
	.section	.AMDGPU.csdata,"",@progbits
; Kernel info:
; codeLenInByte = 0
; NumSgprs: 4
; NumVgprs: 0
; NumAgprs: 0
; TotalNumVgprs: 0
; ScratchSize: 0
; MemoryBound: 0
; FloatMode: 240
; IeeeMode: 1
; LDSByteSize: 0 bytes/workgroup (compile time only)
; SGPRBlocks: 0
; VGPRBlocks: 0
; NumSGPRsForWavesPerEU: 4
; NumVGPRsForWavesPerEU: 1
; AccumOffset: 4
; Occupancy: 8
; WaveLimiterHint : 0
; COMPUTE_PGM_RSRC2:SCRATCH_EN: 0
; COMPUTE_PGM_RSRC2:USER_SGPR: 6
; COMPUTE_PGM_RSRC2:TRAP_HANDLER: 0
; COMPUTE_PGM_RSRC2:TGID_X_EN: 1
; COMPUTE_PGM_RSRC2:TGID_Y_EN: 0
; COMPUTE_PGM_RSRC2:TGID_Z_EN: 0
; COMPUTE_PGM_RSRC2:TIDIG_COMP_CNT: 0
; COMPUTE_PGM_RSRC3_GFX90A:ACCUM_OFFSET: 0
; COMPUTE_PGM_RSRC3_GFX90A:TG_SPLIT: 0
	.section	.text._ZN7rocprim17ROCPRIM_400000_NS6detail17trampoline_kernelINS0_13select_configILj256ELj13ELNS0_17block_load_methodE3ELS4_3ELS4_3ELNS0_20block_scan_algorithmE0ELj4294967295EEENS1_25partition_config_selectorILNS1_17partition_subalgoE3EjNS0_10empty_typeEbEEZZNS1_14partition_implILS8_3ELb0ES6_jNS0_17counting_iteratorIjlEEPS9_SE_NS0_5tupleIJPjSE_EEENSF_IJSE_SE_EEES9_SG_JZNS1_25segmented_radix_sort_implINS0_14default_configELb1EPK12hip_bfloat16PSL_PKlPlN2at6native12_GLOBAL__N_18offset_tEEE10hipError_tPvRmT1_PNSt15iterator_traitsISZ_E10value_typeET2_T3_PNS10_IS15_E10value_typeET4_jRbjT5_S1B_jjP12ihipStream_tbEUljE_EEESW_SX_SY_S15_S19_S1B_T6_T7_T9_mT8_S1D_bDpT10_ENKUlT_T0_E_clISt17integral_constantIbLb1EES1Q_EEDaS1L_S1M_EUlS1L_E_NS1_11comp_targetILNS1_3genE8ELNS1_11target_archE1030ELNS1_3gpuE2ELNS1_3repE0EEENS1_30default_config_static_selectorELNS0_4arch9wavefront6targetE1EEEvSZ_,"axG",@progbits,_ZN7rocprim17ROCPRIM_400000_NS6detail17trampoline_kernelINS0_13select_configILj256ELj13ELNS0_17block_load_methodE3ELS4_3ELS4_3ELNS0_20block_scan_algorithmE0ELj4294967295EEENS1_25partition_config_selectorILNS1_17partition_subalgoE3EjNS0_10empty_typeEbEEZZNS1_14partition_implILS8_3ELb0ES6_jNS0_17counting_iteratorIjlEEPS9_SE_NS0_5tupleIJPjSE_EEENSF_IJSE_SE_EEES9_SG_JZNS1_25segmented_radix_sort_implINS0_14default_configELb1EPK12hip_bfloat16PSL_PKlPlN2at6native12_GLOBAL__N_18offset_tEEE10hipError_tPvRmT1_PNSt15iterator_traitsISZ_E10value_typeET2_T3_PNS10_IS15_E10value_typeET4_jRbjT5_S1B_jjP12ihipStream_tbEUljE_EEESW_SX_SY_S15_S19_S1B_T6_T7_T9_mT8_S1D_bDpT10_ENKUlT_T0_E_clISt17integral_constantIbLb1EES1Q_EEDaS1L_S1M_EUlS1L_E_NS1_11comp_targetILNS1_3genE8ELNS1_11target_archE1030ELNS1_3gpuE2ELNS1_3repE0EEENS1_30default_config_static_selectorELNS0_4arch9wavefront6targetE1EEEvSZ_,comdat
	.globl	_ZN7rocprim17ROCPRIM_400000_NS6detail17trampoline_kernelINS0_13select_configILj256ELj13ELNS0_17block_load_methodE3ELS4_3ELS4_3ELNS0_20block_scan_algorithmE0ELj4294967295EEENS1_25partition_config_selectorILNS1_17partition_subalgoE3EjNS0_10empty_typeEbEEZZNS1_14partition_implILS8_3ELb0ES6_jNS0_17counting_iteratorIjlEEPS9_SE_NS0_5tupleIJPjSE_EEENSF_IJSE_SE_EEES9_SG_JZNS1_25segmented_radix_sort_implINS0_14default_configELb1EPK12hip_bfloat16PSL_PKlPlN2at6native12_GLOBAL__N_18offset_tEEE10hipError_tPvRmT1_PNSt15iterator_traitsISZ_E10value_typeET2_T3_PNS10_IS15_E10value_typeET4_jRbjT5_S1B_jjP12ihipStream_tbEUljE_EEESW_SX_SY_S15_S19_S1B_T6_T7_T9_mT8_S1D_bDpT10_ENKUlT_T0_E_clISt17integral_constantIbLb1EES1Q_EEDaS1L_S1M_EUlS1L_E_NS1_11comp_targetILNS1_3genE8ELNS1_11target_archE1030ELNS1_3gpuE2ELNS1_3repE0EEENS1_30default_config_static_selectorELNS0_4arch9wavefront6targetE1EEEvSZ_ ; -- Begin function _ZN7rocprim17ROCPRIM_400000_NS6detail17trampoline_kernelINS0_13select_configILj256ELj13ELNS0_17block_load_methodE3ELS4_3ELS4_3ELNS0_20block_scan_algorithmE0ELj4294967295EEENS1_25partition_config_selectorILNS1_17partition_subalgoE3EjNS0_10empty_typeEbEEZZNS1_14partition_implILS8_3ELb0ES6_jNS0_17counting_iteratorIjlEEPS9_SE_NS0_5tupleIJPjSE_EEENSF_IJSE_SE_EEES9_SG_JZNS1_25segmented_radix_sort_implINS0_14default_configELb1EPK12hip_bfloat16PSL_PKlPlN2at6native12_GLOBAL__N_18offset_tEEE10hipError_tPvRmT1_PNSt15iterator_traitsISZ_E10value_typeET2_T3_PNS10_IS15_E10value_typeET4_jRbjT5_S1B_jjP12ihipStream_tbEUljE_EEESW_SX_SY_S15_S19_S1B_T6_T7_T9_mT8_S1D_bDpT10_ENKUlT_T0_E_clISt17integral_constantIbLb1EES1Q_EEDaS1L_S1M_EUlS1L_E_NS1_11comp_targetILNS1_3genE8ELNS1_11target_archE1030ELNS1_3gpuE2ELNS1_3repE0EEENS1_30default_config_static_selectorELNS0_4arch9wavefront6targetE1EEEvSZ_
	.p2align	8
	.type	_ZN7rocprim17ROCPRIM_400000_NS6detail17trampoline_kernelINS0_13select_configILj256ELj13ELNS0_17block_load_methodE3ELS4_3ELS4_3ELNS0_20block_scan_algorithmE0ELj4294967295EEENS1_25partition_config_selectorILNS1_17partition_subalgoE3EjNS0_10empty_typeEbEEZZNS1_14partition_implILS8_3ELb0ES6_jNS0_17counting_iteratorIjlEEPS9_SE_NS0_5tupleIJPjSE_EEENSF_IJSE_SE_EEES9_SG_JZNS1_25segmented_radix_sort_implINS0_14default_configELb1EPK12hip_bfloat16PSL_PKlPlN2at6native12_GLOBAL__N_18offset_tEEE10hipError_tPvRmT1_PNSt15iterator_traitsISZ_E10value_typeET2_T3_PNS10_IS15_E10value_typeET4_jRbjT5_S1B_jjP12ihipStream_tbEUljE_EEESW_SX_SY_S15_S19_S1B_T6_T7_T9_mT8_S1D_bDpT10_ENKUlT_T0_E_clISt17integral_constantIbLb1EES1Q_EEDaS1L_S1M_EUlS1L_E_NS1_11comp_targetILNS1_3genE8ELNS1_11target_archE1030ELNS1_3gpuE2ELNS1_3repE0EEENS1_30default_config_static_selectorELNS0_4arch9wavefront6targetE1EEEvSZ_,@function
_ZN7rocprim17ROCPRIM_400000_NS6detail17trampoline_kernelINS0_13select_configILj256ELj13ELNS0_17block_load_methodE3ELS4_3ELS4_3ELNS0_20block_scan_algorithmE0ELj4294967295EEENS1_25partition_config_selectorILNS1_17partition_subalgoE3EjNS0_10empty_typeEbEEZZNS1_14partition_implILS8_3ELb0ES6_jNS0_17counting_iteratorIjlEEPS9_SE_NS0_5tupleIJPjSE_EEENSF_IJSE_SE_EEES9_SG_JZNS1_25segmented_radix_sort_implINS0_14default_configELb1EPK12hip_bfloat16PSL_PKlPlN2at6native12_GLOBAL__N_18offset_tEEE10hipError_tPvRmT1_PNSt15iterator_traitsISZ_E10value_typeET2_T3_PNS10_IS15_E10value_typeET4_jRbjT5_S1B_jjP12ihipStream_tbEUljE_EEESW_SX_SY_S15_S19_S1B_T6_T7_T9_mT8_S1D_bDpT10_ENKUlT_T0_E_clISt17integral_constantIbLb1EES1Q_EEDaS1L_S1M_EUlS1L_E_NS1_11comp_targetILNS1_3genE8ELNS1_11target_archE1030ELNS1_3gpuE2ELNS1_3repE0EEENS1_30default_config_static_selectorELNS0_4arch9wavefront6targetE1EEEvSZ_: ; @_ZN7rocprim17ROCPRIM_400000_NS6detail17trampoline_kernelINS0_13select_configILj256ELj13ELNS0_17block_load_methodE3ELS4_3ELS4_3ELNS0_20block_scan_algorithmE0ELj4294967295EEENS1_25partition_config_selectorILNS1_17partition_subalgoE3EjNS0_10empty_typeEbEEZZNS1_14partition_implILS8_3ELb0ES6_jNS0_17counting_iteratorIjlEEPS9_SE_NS0_5tupleIJPjSE_EEENSF_IJSE_SE_EEES9_SG_JZNS1_25segmented_radix_sort_implINS0_14default_configELb1EPK12hip_bfloat16PSL_PKlPlN2at6native12_GLOBAL__N_18offset_tEEE10hipError_tPvRmT1_PNSt15iterator_traitsISZ_E10value_typeET2_T3_PNS10_IS15_E10value_typeET4_jRbjT5_S1B_jjP12ihipStream_tbEUljE_EEESW_SX_SY_S15_S19_S1B_T6_T7_T9_mT8_S1D_bDpT10_ENKUlT_T0_E_clISt17integral_constantIbLb1EES1Q_EEDaS1L_S1M_EUlS1L_E_NS1_11comp_targetILNS1_3genE8ELNS1_11target_archE1030ELNS1_3gpuE2ELNS1_3repE0EEENS1_30default_config_static_selectorELNS0_4arch9wavefront6targetE1EEEvSZ_
; %bb.0:
	.section	.rodata,"a",@progbits
	.p2align	6, 0x0
	.amdhsa_kernel _ZN7rocprim17ROCPRIM_400000_NS6detail17trampoline_kernelINS0_13select_configILj256ELj13ELNS0_17block_load_methodE3ELS4_3ELS4_3ELNS0_20block_scan_algorithmE0ELj4294967295EEENS1_25partition_config_selectorILNS1_17partition_subalgoE3EjNS0_10empty_typeEbEEZZNS1_14partition_implILS8_3ELb0ES6_jNS0_17counting_iteratorIjlEEPS9_SE_NS0_5tupleIJPjSE_EEENSF_IJSE_SE_EEES9_SG_JZNS1_25segmented_radix_sort_implINS0_14default_configELb1EPK12hip_bfloat16PSL_PKlPlN2at6native12_GLOBAL__N_18offset_tEEE10hipError_tPvRmT1_PNSt15iterator_traitsISZ_E10value_typeET2_T3_PNS10_IS15_E10value_typeET4_jRbjT5_S1B_jjP12ihipStream_tbEUljE_EEESW_SX_SY_S15_S19_S1B_T6_T7_T9_mT8_S1D_bDpT10_ENKUlT_T0_E_clISt17integral_constantIbLb1EES1Q_EEDaS1L_S1M_EUlS1L_E_NS1_11comp_targetILNS1_3genE8ELNS1_11target_archE1030ELNS1_3gpuE2ELNS1_3repE0EEENS1_30default_config_static_selectorELNS0_4arch9wavefront6targetE1EEEvSZ_
		.amdhsa_group_segment_fixed_size 0
		.amdhsa_private_segment_fixed_size 0
		.amdhsa_kernarg_size 152
		.amdhsa_user_sgpr_count 6
		.amdhsa_user_sgpr_private_segment_buffer 1
		.amdhsa_user_sgpr_dispatch_ptr 0
		.amdhsa_user_sgpr_queue_ptr 0
		.amdhsa_user_sgpr_kernarg_segment_ptr 1
		.amdhsa_user_sgpr_dispatch_id 0
		.amdhsa_user_sgpr_flat_scratch_init 0
		.amdhsa_user_sgpr_kernarg_preload_length 0
		.amdhsa_user_sgpr_kernarg_preload_offset 0
		.amdhsa_user_sgpr_private_segment_size 0
		.amdhsa_uses_dynamic_stack 0
		.amdhsa_system_sgpr_private_segment_wavefront_offset 0
		.amdhsa_system_sgpr_workgroup_id_x 1
		.amdhsa_system_sgpr_workgroup_id_y 0
		.amdhsa_system_sgpr_workgroup_id_z 0
		.amdhsa_system_sgpr_workgroup_info 0
		.amdhsa_system_vgpr_workitem_id 0
		.amdhsa_next_free_vgpr 1
		.amdhsa_next_free_sgpr 0
		.amdhsa_accum_offset 4
		.amdhsa_reserve_vcc 0
		.amdhsa_reserve_flat_scratch 0
		.amdhsa_float_round_mode_32 0
		.amdhsa_float_round_mode_16_64 0
		.amdhsa_float_denorm_mode_32 3
		.amdhsa_float_denorm_mode_16_64 3
		.amdhsa_dx10_clamp 1
		.amdhsa_ieee_mode 1
		.amdhsa_fp16_overflow 0
		.amdhsa_tg_split 0
		.amdhsa_exception_fp_ieee_invalid_op 0
		.amdhsa_exception_fp_denorm_src 0
		.amdhsa_exception_fp_ieee_div_zero 0
		.amdhsa_exception_fp_ieee_overflow 0
		.amdhsa_exception_fp_ieee_underflow 0
		.amdhsa_exception_fp_ieee_inexact 0
		.amdhsa_exception_int_div_zero 0
	.end_amdhsa_kernel
	.section	.text._ZN7rocprim17ROCPRIM_400000_NS6detail17trampoline_kernelINS0_13select_configILj256ELj13ELNS0_17block_load_methodE3ELS4_3ELS4_3ELNS0_20block_scan_algorithmE0ELj4294967295EEENS1_25partition_config_selectorILNS1_17partition_subalgoE3EjNS0_10empty_typeEbEEZZNS1_14partition_implILS8_3ELb0ES6_jNS0_17counting_iteratorIjlEEPS9_SE_NS0_5tupleIJPjSE_EEENSF_IJSE_SE_EEES9_SG_JZNS1_25segmented_radix_sort_implINS0_14default_configELb1EPK12hip_bfloat16PSL_PKlPlN2at6native12_GLOBAL__N_18offset_tEEE10hipError_tPvRmT1_PNSt15iterator_traitsISZ_E10value_typeET2_T3_PNS10_IS15_E10value_typeET4_jRbjT5_S1B_jjP12ihipStream_tbEUljE_EEESW_SX_SY_S15_S19_S1B_T6_T7_T9_mT8_S1D_bDpT10_ENKUlT_T0_E_clISt17integral_constantIbLb1EES1Q_EEDaS1L_S1M_EUlS1L_E_NS1_11comp_targetILNS1_3genE8ELNS1_11target_archE1030ELNS1_3gpuE2ELNS1_3repE0EEENS1_30default_config_static_selectorELNS0_4arch9wavefront6targetE1EEEvSZ_,"axG",@progbits,_ZN7rocprim17ROCPRIM_400000_NS6detail17trampoline_kernelINS0_13select_configILj256ELj13ELNS0_17block_load_methodE3ELS4_3ELS4_3ELNS0_20block_scan_algorithmE0ELj4294967295EEENS1_25partition_config_selectorILNS1_17partition_subalgoE3EjNS0_10empty_typeEbEEZZNS1_14partition_implILS8_3ELb0ES6_jNS0_17counting_iteratorIjlEEPS9_SE_NS0_5tupleIJPjSE_EEENSF_IJSE_SE_EEES9_SG_JZNS1_25segmented_radix_sort_implINS0_14default_configELb1EPK12hip_bfloat16PSL_PKlPlN2at6native12_GLOBAL__N_18offset_tEEE10hipError_tPvRmT1_PNSt15iterator_traitsISZ_E10value_typeET2_T3_PNS10_IS15_E10value_typeET4_jRbjT5_S1B_jjP12ihipStream_tbEUljE_EEESW_SX_SY_S15_S19_S1B_T6_T7_T9_mT8_S1D_bDpT10_ENKUlT_T0_E_clISt17integral_constantIbLb1EES1Q_EEDaS1L_S1M_EUlS1L_E_NS1_11comp_targetILNS1_3genE8ELNS1_11target_archE1030ELNS1_3gpuE2ELNS1_3repE0EEENS1_30default_config_static_selectorELNS0_4arch9wavefront6targetE1EEEvSZ_,comdat
.Lfunc_end1927:
	.size	_ZN7rocprim17ROCPRIM_400000_NS6detail17trampoline_kernelINS0_13select_configILj256ELj13ELNS0_17block_load_methodE3ELS4_3ELS4_3ELNS0_20block_scan_algorithmE0ELj4294967295EEENS1_25partition_config_selectorILNS1_17partition_subalgoE3EjNS0_10empty_typeEbEEZZNS1_14partition_implILS8_3ELb0ES6_jNS0_17counting_iteratorIjlEEPS9_SE_NS0_5tupleIJPjSE_EEENSF_IJSE_SE_EEES9_SG_JZNS1_25segmented_radix_sort_implINS0_14default_configELb1EPK12hip_bfloat16PSL_PKlPlN2at6native12_GLOBAL__N_18offset_tEEE10hipError_tPvRmT1_PNSt15iterator_traitsISZ_E10value_typeET2_T3_PNS10_IS15_E10value_typeET4_jRbjT5_S1B_jjP12ihipStream_tbEUljE_EEESW_SX_SY_S15_S19_S1B_T6_T7_T9_mT8_S1D_bDpT10_ENKUlT_T0_E_clISt17integral_constantIbLb1EES1Q_EEDaS1L_S1M_EUlS1L_E_NS1_11comp_targetILNS1_3genE8ELNS1_11target_archE1030ELNS1_3gpuE2ELNS1_3repE0EEENS1_30default_config_static_selectorELNS0_4arch9wavefront6targetE1EEEvSZ_, .Lfunc_end1927-_ZN7rocprim17ROCPRIM_400000_NS6detail17trampoline_kernelINS0_13select_configILj256ELj13ELNS0_17block_load_methodE3ELS4_3ELS4_3ELNS0_20block_scan_algorithmE0ELj4294967295EEENS1_25partition_config_selectorILNS1_17partition_subalgoE3EjNS0_10empty_typeEbEEZZNS1_14partition_implILS8_3ELb0ES6_jNS0_17counting_iteratorIjlEEPS9_SE_NS0_5tupleIJPjSE_EEENSF_IJSE_SE_EEES9_SG_JZNS1_25segmented_radix_sort_implINS0_14default_configELb1EPK12hip_bfloat16PSL_PKlPlN2at6native12_GLOBAL__N_18offset_tEEE10hipError_tPvRmT1_PNSt15iterator_traitsISZ_E10value_typeET2_T3_PNS10_IS15_E10value_typeET4_jRbjT5_S1B_jjP12ihipStream_tbEUljE_EEESW_SX_SY_S15_S19_S1B_T6_T7_T9_mT8_S1D_bDpT10_ENKUlT_T0_E_clISt17integral_constantIbLb1EES1Q_EEDaS1L_S1M_EUlS1L_E_NS1_11comp_targetILNS1_3genE8ELNS1_11target_archE1030ELNS1_3gpuE2ELNS1_3repE0EEENS1_30default_config_static_selectorELNS0_4arch9wavefront6targetE1EEEvSZ_
                                        ; -- End function
	.section	.AMDGPU.csdata,"",@progbits
; Kernel info:
; codeLenInByte = 0
; NumSgprs: 4
; NumVgprs: 0
; NumAgprs: 0
; TotalNumVgprs: 0
; ScratchSize: 0
; MemoryBound: 0
; FloatMode: 240
; IeeeMode: 1
; LDSByteSize: 0 bytes/workgroup (compile time only)
; SGPRBlocks: 0
; VGPRBlocks: 0
; NumSGPRsForWavesPerEU: 4
; NumVGPRsForWavesPerEU: 1
; AccumOffset: 4
; Occupancy: 8
; WaveLimiterHint : 0
; COMPUTE_PGM_RSRC2:SCRATCH_EN: 0
; COMPUTE_PGM_RSRC2:USER_SGPR: 6
; COMPUTE_PGM_RSRC2:TRAP_HANDLER: 0
; COMPUTE_PGM_RSRC2:TGID_X_EN: 1
; COMPUTE_PGM_RSRC2:TGID_Y_EN: 0
; COMPUTE_PGM_RSRC2:TGID_Z_EN: 0
; COMPUTE_PGM_RSRC2:TIDIG_COMP_CNT: 0
; COMPUTE_PGM_RSRC3_GFX90A:ACCUM_OFFSET: 0
; COMPUTE_PGM_RSRC3_GFX90A:TG_SPLIT: 0
	.section	.text._ZN7rocprim17ROCPRIM_400000_NS6detail17trampoline_kernelINS0_13select_configILj256ELj13ELNS0_17block_load_methodE3ELS4_3ELS4_3ELNS0_20block_scan_algorithmE0ELj4294967295EEENS1_25partition_config_selectorILNS1_17partition_subalgoE3EjNS0_10empty_typeEbEEZZNS1_14partition_implILS8_3ELb0ES6_jNS0_17counting_iteratorIjlEEPS9_SE_NS0_5tupleIJPjSE_EEENSF_IJSE_SE_EEES9_SG_JZNS1_25segmented_radix_sort_implINS0_14default_configELb1EPK12hip_bfloat16PSL_PKlPlN2at6native12_GLOBAL__N_18offset_tEEE10hipError_tPvRmT1_PNSt15iterator_traitsISZ_E10value_typeET2_T3_PNS10_IS15_E10value_typeET4_jRbjT5_S1B_jjP12ihipStream_tbEUljE_EEESW_SX_SY_S15_S19_S1B_T6_T7_T9_mT8_S1D_bDpT10_ENKUlT_T0_E_clISt17integral_constantIbLb1EES1P_IbLb0EEEEDaS1L_S1M_EUlS1L_E_NS1_11comp_targetILNS1_3genE0ELNS1_11target_archE4294967295ELNS1_3gpuE0ELNS1_3repE0EEENS1_30default_config_static_selectorELNS0_4arch9wavefront6targetE1EEEvSZ_,"axG",@progbits,_ZN7rocprim17ROCPRIM_400000_NS6detail17trampoline_kernelINS0_13select_configILj256ELj13ELNS0_17block_load_methodE3ELS4_3ELS4_3ELNS0_20block_scan_algorithmE0ELj4294967295EEENS1_25partition_config_selectorILNS1_17partition_subalgoE3EjNS0_10empty_typeEbEEZZNS1_14partition_implILS8_3ELb0ES6_jNS0_17counting_iteratorIjlEEPS9_SE_NS0_5tupleIJPjSE_EEENSF_IJSE_SE_EEES9_SG_JZNS1_25segmented_radix_sort_implINS0_14default_configELb1EPK12hip_bfloat16PSL_PKlPlN2at6native12_GLOBAL__N_18offset_tEEE10hipError_tPvRmT1_PNSt15iterator_traitsISZ_E10value_typeET2_T3_PNS10_IS15_E10value_typeET4_jRbjT5_S1B_jjP12ihipStream_tbEUljE_EEESW_SX_SY_S15_S19_S1B_T6_T7_T9_mT8_S1D_bDpT10_ENKUlT_T0_E_clISt17integral_constantIbLb1EES1P_IbLb0EEEEDaS1L_S1M_EUlS1L_E_NS1_11comp_targetILNS1_3genE0ELNS1_11target_archE4294967295ELNS1_3gpuE0ELNS1_3repE0EEENS1_30default_config_static_selectorELNS0_4arch9wavefront6targetE1EEEvSZ_,comdat
	.globl	_ZN7rocprim17ROCPRIM_400000_NS6detail17trampoline_kernelINS0_13select_configILj256ELj13ELNS0_17block_load_methodE3ELS4_3ELS4_3ELNS0_20block_scan_algorithmE0ELj4294967295EEENS1_25partition_config_selectorILNS1_17partition_subalgoE3EjNS0_10empty_typeEbEEZZNS1_14partition_implILS8_3ELb0ES6_jNS0_17counting_iteratorIjlEEPS9_SE_NS0_5tupleIJPjSE_EEENSF_IJSE_SE_EEES9_SG_JZNS1_25segmented_radix_sort_implINS0_14default_configELb1EPK12hip_bfloat16PSL_PKlPlN2at6native12_GLOBAL__N_18offset_tEEE10hipError_tPvRmT1_PNSt15iterator_traitsISZ_E10value_typeET2_T3_PNS10_IS15_E10value_typeET4_jRbjT5_S1B_jjP12ihipStream_tbEUljE_EEESW_SX_SY_S15_S19_S1B_T6_T7_T9_mT8_S1D_bDpT10_ENKUlT_T0_E_clISt17integral_constantIbLb1EES1P_IbLb0EEEEDaS1L_S1M_EUlS1L_E_NS1_11comp_targetILNS1_3genE0ELNS1_11target_archE4294967295ELNS1_3gpuE0ELNS1_3repE0EEENS1_30default_config_static_selectorELNS0_4arch9wavefront6targetE1EEEvSZ_ ; -- Begin function _ZN7rocprim17ROCPRIM_400000_NS6detail17trampoline_kernelINS0_13select_configILj256ELj13ELNS0_17block_load_methodE3ELS4_3ELS4_3ELNS0_20block_scan_algorithmE0ELj4294967295EEENS1_25partition_config_selectorILNS1_17partition_subalgoE3EjNS0_10empty_typeEbEEZZNS1_14partition_implILS8_3ELb0ES6_jNS0_17counting_iteratorIjlEEPS9_SE_NS0_5tupleIJPjSE_EEENSF_IJSE_SE_EEES9_SG_JZNS1_25segmented_radix_sort_implINS0_14default_configELb1EPK12hip_bfloat16PSL_PKlPlN2at6native12_GLOBAL__N_18offset_tEEE10hipError_tPvRmT1_PNSt15iterator_traitsISZ_E10value_typeET2_T3_PNS10_IS15_E10value_typeET4_jRbjT5_S1B_jjP12ihipStream_tbEUljE_EEESW_SX_SY_S15_S19_S1B_T6_T7_T9_mT8_S1D_bDpT10_ENKUlT_T0_E_clISt17integral_constantIbLb1EES1P_IbLb0EEEEDaS1L_S1M_EUlS1L_E_NS1_11comp_targetILNS1_3genE0ELNS1_11target_archE4294967295ELNS1_3gpuE0ELNS1_3repE0EEENS1_30default_config_static_selectorELNS0_4arch9wavefront6targetE1EEEvSZ_
	.p2align	8
	.type	_ZN7rocprim17ROCPRIM_400000_NS6detail17trampoline_kernelINS0_13select_configILj256ELj13ELNS0_17block_load_methodE3ELS4_3ELS4_3ELNS0_20block_scan_algorithmE0ELj4294967295EEENS1_25partition_config_selectorILNS1_17partition_subalgoE3EjNS0_10empty_typeEbEEZZNS1_14partition_implILS8_3ELb0ES6_jNS0_17counting_iteratorIjlEEPS9_SE_NS0_5tupleIJPjSE_EEENSF_IJSE_SE_EEES9_SG_JZNS1_25segmented_radix_sort_implINS0_14default_configELb1EPK12hip_bfloat16PSL_PKlPlN2at6native12_GLOBAL__N_18offset_tEEE10hipError_tPvRmT1_PNSt15iterator_traitsISZ_E10value_typeET2_T3_PNS10_IS15_E10value_typeET4_jRbjT5_S1B_jjP12ihipStream_tbEUljE_EEESW_SX_SY_S15_S19_S1B_T6_T7_T9_mT8_S1D_bDpT10_ENKUlT_T0_E_clISt17integral_constantIbLb1EES1P_IbLb0EEEEDaS1L_S1M_EUlS1L_E_NS1_11comp_targetILNS1_3genE0ELNS1_11target_archE4294967295ELNS1_3gpuE0ELNS1_3repE0EEENS1_30default_config_static_selectorELNS0_4arch9wavefront6targetE1EEEvSZ_,@function
_ZN7rocprim17ROCPRIM_400000_NS6detail17trampoline_kernelINS0_13select_configILj256ELj13ELNS0_17block_load_methodE3ELS4_3ELS4_3ELNS0_20block_scan_algorithmE0ELj4294967295EEENS1_25partition_config_selectorILNS1_17partition_subalgoE3EjNS0_10empty_typeEbEEZZNS1_14partition_implILS8_3ELb0ES6_jNS0_17counting_iteratorIjlEEPS9_SE_NS0_5tupleIJPjSE_EEENSF_IJSE_SE_EEES9_SG_JZNS1_25segmented_radix_sort_implINS0_14default_configELb1EPK12hip_bfloat16PSL_PKlPlN2at6native12_GLOBAL__N_18offset_tEEE10hipError_tPvRmT1_PNSt15iterator_traitsISZ_E10value_typeET2_T3_PNS10_IS15_E10value_typeET4_jRbjT5_S1B_jjP12ihipStream_tbEUljE_EEESW_SX_SY_S15_S19_S1B_T6_T7_T9_mT8_S1D_bDpT10_ENKUlT_T0_E_clISt17integral_constantIbLb1EES1P_IbLb0EEEEDaS1L_S1M_EUlS1L_E_NS1_11comp_targetILNS1_3genE0ELNS1_11target_archE4294967295ELNS1_3gpuE0ELNS1_3repE0EEENS1_30default_config_static_selectorELNS0_4arch9wavefront6targetE1EEEvSZ_: ; @_ZN7rocprim17ROCPRIM_400000_NS6detail17trampoline_kernelINS0_13select_configILj256ELj13ELNS0_17block_load_methodE3ELS4_3ELS4_3ELNS0_20block_scan_algorithmE0ELj4294967295EEENS1_25partition_config_selectorILNS1_17partition_subalgoE3EjNS0_10empty_typeEbEEZZNS1_14partition_implILS8_3ELb0ES6_jNS0_17counting_iteratorIjlEEPS9_SE_NS0_5tupleIJPjSE_EEENSF_IJSE_SE_EEES9_SG_JZNS1_25segmented_radix_sort_implINS0_14default_configELb1EPK12hip_bfloat16PSL_PKlPlN2at6native12_GLOBAL__N_18offset_tEEE10hipError_tPvRmT1_PNSt15iterator_traitsISZ_E10value_typeET2_T3_PNS10_IS15_E10value_typeET4_jRbjT5_S1B_jjP12ihipStream_tbEUljE_EEESW_SX_SY_S15_S19_S1B_T6_T7_T9_mT8_S1D_bDpT10_ENKUlT_T0_E_clISt17integral_constantIbLb1EES1P_IbLb0EEEEDaS1L_S1M_EUlS1L_E_NS1_11comp_targetILNS1_3genE0ELNS1_11target_archE4294967295ELNS1_3gpuE0ELNS1_3repE0EEENS1_30default_config_static_selectorELNS0_4arch9wavefront6targetE1EEEvSZ_
; %bb.0:
	.section	.rodata,"a",@progbits
	.p2align	6, 0x0
	.amdhsa_kernel _ZN7rocprim17ROCPRIM_400000_NS6detail17trampoline_kernelINS0_13select_configILj256ELj13ELNS0_17block_load_methodE3ELS4_3ELS4_3ELNS0_20block_scan_algorithmE0ELj4294967295EEENS1_25partition_config_selectorILNS1_17partition_subalgoE3EjNS0_10empty_typeEbEEZZNS1_14partition_implILS8_3ELb0ES6_jNS0_17counting_iteratorIjlEEPS9_SE_NS0_5tupleIJPjSE_EEENSF_IJSE_SE_EEES9_SG_JZNS1_25segmented_radix_sort_implINS0_14default_configELb1EPK12hip_bfloat16PSL_PKlPlN2at6native12_GLOBAL__N_18offset_tEEE10hipError_tPvRmT1_PNSt15iterator_traitsISZ_E10value_typeET2_T3_PNS10_IS15_E10value_typeET4_jRbjT5_S1B_jjP12ihipStream_tbEUljE_EEESW_SX_SY_S15_S19_S1B_T6_T7_T9_mT8_S1D_bDpT10_ENKUlT_T0_E_clISt17integral_constantIbLb1EES1P_IbLb0EEEEDaS1L_S1M_EUlS1L_E_NS1_11comp_targetILNS1_3genE0ELNS1_11target_archE4294967295ELNS1_3gpuE0ELNS1_3repE0EEENS1_30default_config_static_selectorELNS0_4arch9wavefront6targetE1EEEvSZ_
		.amdhsa_group_segment_fixed_size 0
		.amdhsa_private_segment_fixed_size 0
		.amdhsa_kernarg_size 144
		.amdhsa_user_sgpr_count 6
		.amdhsa_user_sgpr_private_segment_buffer 1
		.amdhsa_user_sgpr_dispatch_ptr 0
		.amdhsa_user_sgpr_queue_ptr 0
		.amdhsa_user_sgpr_kernarg_segment_ptr 1
		.amdhsa_user_sgpr_dispatch_id 0
		.amdhsa_user_sgpr_flat_scratch_init 0
		.amdhsa_user_sgpr_kernarg_preload_length 0
		.amdhsa_user_sgpr_kernarg_preload_offset 0
		.amdhsa_user_sgpr_private_segment_size 0
		.amdhsa_uses_dynamic_stack 0
		.amdhsa_system_sgpr_private_segment_wavefront_offset 0
		.amdhsa_system_sgpr_workgroup_id_x 1
		.amdhsa_system_sgpr_workgroup_id_y 0
		.amdhsa_system_sgpr_workgroup_id_z 0
		.amdhsa_system_sgpr_workgroup_info 0
		.amdhsa_system_vgpr_workitem_id 0
		.amdhsa_next_free_vgpr 1
		.amdhsa_next_free_sgpr 0
		.amdhsa_accum_offset 4
		.amdhsa_reserve_vcc 0
		.amdhsa_reserve_flat_scratch 0
		.amdhsa_float_round_mode_32 0
		.amdhsa_float_round_mode_16_64 0
		.amdhsa_float_denorm_mode_32 3
		.amdhsa_float_denorm_mode_16_64 3
		.amdhsa_dx10_clamp 1
		.amdhsa_ieee_mode 1
		.amdhsa_fp16_overflow 0
		.amdhsa_tg_split 0
		.amdhsa_exception_fp_ieee_invalid_op 0
		.amdhsa_exception_fp_denorm_src 0
		.amdhsa_exception_fp_ieee_div_zero 0
		.amdhsa_exception_fp_ieee_overflow 0
		.amdhsa_exception_fp_ieee_underflow 0
		.amdhsa_exception_fp_ieee_inexact 0
		.amdhsa_exception_int_div_zero 0
	.end_amdhsa_kernel
	.section	.text._ZN7rocprim17ROCPRIM_400000_NS6detail17trampoline_kernelINS0_13select_configILj256ELj13ELNS0_17block_load_methodE3ELS4_3ELS4_3ELNS0_20block_scan_algorithmE0ELj4294967295EEENS1_25partition_config_selectorILNS1_17partition_subalgoE3EjNS0_10empty_typeEbEEZZNS1_14partition_implILS8_3ELb0ES6_jNS0_17counting_iteratorIjlEEPS9_SE_NS0_5tupleIJPjSE_EEENSF_IJSE_SE_EEES9_SG_JZNS1_25segmented_radix_sort_implINS0_14default_configELb1EPK12hip_bfloat16PSL_PKlPlN2at6native12_GLOBAL__N_18offset_tEEE10hipError_tPvRmT1_PNSt15iterator_traitsISZ_E10value_typeET2_T3_PNS10_IS15_E10value_typeET4_jRbjT5_S1B_jjP12ihipStream_tbEUljE_EEESW_SX_SY_S15_S19_S1B_T6_T7_T9_mT8_S1D_bDpT10_ENKUlT_T0_E_clISt17integral_constantIbLb1EES1P_IbLb0EEEEDaS1L_S1M_EUlS1L_E_NS1_11comp_targetILNS1_3genE0ELNS1_11target_archE4294967295ELNS1_3gpuE0ELNS1_3repE0EEENS1_30default_config_static_selectorELNS0_4arch9wavefront6targetE1EEEvSZ_,"axG",@progbits,_ZN7rocprim17ROCPRIM_400000_NS6detail17trampoline_kernelINS0_13select_configILj256ELj13ELNS0_17block_load_methodE3ELS4_3ELS4_3ELNS0_20block_scan_algorithmE0ELj4294967295EEENS1_25partition_config_selectorILNS1_17partition_subalgoE3EjNS0_10empty_typeEbEEZZNS1_14partition_implILS8_3ELb0ES6_jNS0_17counting_iteratorIjlEEPS9_SE_NS0_5tupleIJPjSE_EEENSF_IJSE_SE_EEES9_SG_JZNS1_25segmented_radix_sort_implINS0_14default_configELb1EPK12hip_bfloat16PSL_PKlPlN2at6native12_GLOBAL__N_18offset_tEEE10hipError_tPvRmT1_PNSt15iterator_traitsISZ_E10value_typeET2_T3_PNS10_IS15_E10value_typeET4_jRbjT5_S1B_jjP12ihipStream_tbEUljE_EEESW_SX_SY_S15_S19_S1B_T6_T7_T9_mT8_S1D_bDpT10_ENKUlT_T0_E_clISt17integral_constantIbLb1EES1P_IbLb0EEEEDaS1L_S1M_EUlS1L_E_NS1_11comp_targetILNS1_3genE0ELNS1_11target_archE4294967295ELNS1_3gpuE0ELNS1_3repE0EEENS1_30default_config_static_selectorELNS0_4arch9wavefront6targetE1EEEvSZ_,comdat
.Lfunc_end1928:
	.size	_ZN7rocprim17ROCPRIM_400000_NS6detail17trampoline_kernelINS0_13select_configILj256ELj13ELNS0_17block_load_methodE3ELS4_3ELS4_3ELNS0_20block_scan_algorithmE0ELj4294967295EEENS1_25partition_config_selectorILNS1_17partition_subalgoE3EjNS0_10empty_typeEbEEZZNS1_14partition_implILS8_3ELb0ES6_jNS0_17counting_iteratorIjlEEPS9_SE_NS0_5tupleIJPjSE_EEENSF_IJSE_SE_EEES9_SG_JZNS1_25segmented_radix_sort_implINS0_14default_configELb1EPK12hip_bfloat16PSL_PKlPlN2at6native12_GLOBAL__N_18offset_tEEE10hipError_tPvRmT1_PNSt15iterator_traitsISZ_E10value_typeET2_T3_PNS10_IS15_E10value_typeET4_jRbjT5_S1B_jjP12ihipStream_tbEUljE_EEESW_SX_SY_S15_S19_S1B_T6_T7_T9_mT8_S1D_bDpT10_ENKUlT_T0_E_clISt17integral_constantIbLb1EES1P_IbLb0EEEEDaS1L_S1M_EUlS1L_E_NS1_11comp_targetILNS1_3genE0ELNS1_11target_archE4294967295ELNS1_3gpuE0ELNS1_3repE0EEENS1_30default_config_static_selectorELNS0_4arch9wavefront6targetE1EEEvSZ_, .Lfunc_end1928-_ZN7rocprim17ROCPRIM_400000_NS6detail17trampoline_kernelINS0_13select_configILj256ELj13ELNS0_17block_load_methodE3ELS4_3ELS4_3ELNS0_20block_scan_algorithmE0ELj4294967295EEENS1_25partition_config_selectorILNS1_17partition_subalgoE3EjNS0_10empty_typeEbEEZZNS1_14partition_implILS8_3ELb0ES6_jNS0_17counting_iteratorIjlEEPS9_SE_NS0_5tupleIJPjSE_EEENSF_IJSE_SE_EEES9_SG_JZNS1_25segmented_radix_sort_implINS0_14default_configELb1EPK12hip_bfloat16PSL_PKlPlN2at6native12_GLOBAL__N_18offset_tEEE10hipError_tPvRmT1_PNSt15iterator_traitsISZ_E10value_typeET2_T3_PNS10_IS15_E10value_typeET4_jRbjT5_S1B_jjP12ihipStream_tbEUljE_EEESW_SX_SY_S15_S19_S1B_T6_T7_T9_mT8_S1D_bDpT10_ENKUlT_T0_E_clISt17integral_constantIbLb1EES1P_IbLb0EEEEDaS1L_S1M_EUlS1L_E_NS1_11comp_targetILNS1_3genE0ELNS1_11target_archE4294967295ELNS1_3gpuE0ELNS1_3repE0EEENS1_30default_config_static_selectorELNS0_4arch9wavefront6targetE1EEEvSZ_
                                        ; -- End function
	.section	.AMDGPU.csdata,"",@progbits
; Kernel info:
; codeLenInByte = 0
; NumSgprs: 4
; NumVgprs: 0
; NumAgprs: 0
; TotalNumVgprs: 0
; ScratchSize: 0
; MemoryBound: 0
; FloatMode: 240
; IeeeMode: 1
; LDSByteSize: 0 bytes/workgroup (compile time only)
; SGPRBlocks: 0
; VGPRBlocks: 0
; NumSGPRsForWavesPerEU: 4
; NumVGPRsForWavesPerEU: 1
; AccumOffset: 4
; Occupancy: 8
; WaveLimiterHint : 0
; COMPUTE_PGM_RSRC2:SCRATCH_EN: 0
; COMPUTE_PGM_RSRC2:USER_SGPR: 6
; COMPUTE_PGM_RSRC2:TRAP_HANDLER: 0
; COMPUTE_PGM_RSRC2:TGID_X_EN: 1
; COMPUTE_PGM_RSRC2:TGID_Y_EN: 0
; COMPUTE_PGM_RSRC2:TGID_Z_EN: 0
; COMPUTE_PGM_RSRC2:TIDIG_COMP_CNT: 0
; COMPUTE_PGM_RSRC3_GFX90A:ACCUM_OFFSET: 0
; COMPUTE_PGM_RSRC3_GFX90A:TG_SPLIT: 0
	.section	.text._ZN7rocprim17ROCPRIM_400000_NS6detail17trampoline_kernelINS0_13select_configILj256ELj13ELNS0_17block_load_methodE3ELS4_3ELS4_3ELNS0_20block_scan_algorithmE0ELj4294967295EEENS1_25partition_config_selectorILNS1_17partition_subalgoE3EjNS0_10empty_typeEbEEZZNS1_14partition_implILS8_3ELb0ES6_jNS0_17counting_iteratorIjlEEPS9_SE_NS0_5tupleIJPjSE_EEENSF_IJSE_SE_EEES9_SG_JZNS1_25segmented_radix_sort_implINS0_14default_configELb1EPK12hip_bfloat16PSL_PKlPlN2at6native12_GLOBAL__N_18offset_tEEE10hipError_tPvRmT1_PNSt15iterator_traitsISZ_E10value_typeET2_T3_PNS10_IS15_E10value_typeET4_jRbjT5_S1B_jjP12ihipStream_tbEUljE_EEESW_SX_SY_S15_S19_S1B_T6_T7_T9_mT8_S1D_bDpT10_ENKUlT_T0_E_clISt17integral_constantIbLb1EES1P_IbLb0EEEEDaS1L_S1M_EUlS1L_E_NS1_11comp_targetILNS1_3genE5ELNS1_11target_archE942ELNS1_3gpuE9ELNS1_3repE0EEENS1_30default_config_static_selectorELNS0_4arch9wavefront6targetE1EEEvSZ_,"axG",@progbits,_ZN7rocprim17ROCPRIM_400000_NS6detail17trampoline_kernelINS0_13select_configILj256ELj13ELNS0_17block_load_methodE3ELS4_3ELS4_3ELNS0_20block_scan_algorithmE0ELj4294967295EEENS1_25partition_config_selectorILNS1_17partition_subalgoE3EjNS0_10empty_typeEbEEZZNS1_14partition_implILS8_3ELb0ES6_jNS0_17counting_iteratorIjlEEPS9_SE_NS0_5tupleIJPjSE_EEENSF_IJSE_SE_EEES9_SG_JZNS1_25segmented_radix_sort_implINS0_14default_configELb1EPK12hip_bfloat16PSL_PKlPlN2at6native12_GLOBAL__N_18offset_tEEE10hipError_tPvRmT1_PNSt15iterator_traitsISZ_E10value_typeET2_T3_PNS10_IS15_E10value_typeET4_jRbjT5_S1B_jjP12ihipStream_tbEUljE_EEESW_SX_SY_S15_S19_S1B_T6_T7_T9_mT8_S1D_bDpT10_ENKUlT_T0_E_clISt17integral_constantIbLb1EES1P_IbLb0EEEEDaS1L_S1M_EUlS1L_E_NS1_11comp_targetILNS1_3genE5ELNS1_11target_archE942ELNS1_3gpuE9ELNS1_3repE0EEENS1_30default_config_static_selectorELNS0_4arch9wavefront6targetE1EEEvSZ_,comdat
	.globl	_ZN7rocprim17ROCPRIM_400000_NS6detail17trampoline_kernelINS0_13select_configILj256ELj13ELNS0_17block_load_methodE3ELS4_3ELS4_3ELNS0_20block_scan_algorithmE0ELj4294967295EEENS1_25partition_config_selectorILNS1_17partition_subalgoE3EjNS0_10empty_typeEbEEZZNS1_14partition_implILS8_3ELb0ES6_jNS0_17counting_iteratorIjlEEPS9_SE_NS0_5tupleIJPjSE_EEENSF_IJSE_SE_EEES9_SG_JZNS1_25segmented_radix_sort_implINS0_14default_configELb1EPK12hip_bfloat16PSL_PKlPlN2at6native12_GLOBAL__N_18offset_tEEE10hipError_tPvRmT1_PNSt15iterator_traitsISZ_E10value_typeET2_T3_PNS10_IS15_E10value_typeET4_jRbjT5_S1B_jjP12ihipStream_tbEUljE_EEESW_SX_SY_S15_S19_S1B_T6_T7_T9_mT8_S1D_bDpT10_ENKUlT_T0_E_clISt17integral_constantIbLb1EES1P_IbLb0EEEEDaS1L_S1M_EUlS1L_E_NS1_11comp_targetILNS1_3genE5ELNS1_11target_archE942ELNS1_3gpuE9ELNS1_3repE0EEENS1_30default_config_static_selectorELNS0_4arch9wavefront6targetE1EEEvSZ_ ; -- Begin function _ZN7rocprim17ROCPRIM_400000_NS6detail17trampoline_kernelINS0_13select_configILj256ELj13ELNS0_17block_load_methodE3ELS4_3ELS4_3ELNS0_20block_scan_algorithmE0ELj4294967295EEENS1_25partition_config_selectorILNS1_17partition_subalgoE3EjNS0_10empty_typeEbEEZZNS1_14partition_implILS8_3ELb0ES6_jNS0_17counting_iteratorIjlEEPS9_SE_NS0_5tupleIJPjSE_EEENSF_IJSE_SE_EEES9_SG_JZNS1_25segmented_radix_sort_implINS0_14default_configELb1EPK12hip_bfloat16PSL_PKlPlN2at6native12_GLOBAL__N_18offset_tEEE10hipError_tPvRmT1_PNSt15iterator_traitsISZ_E10value_typeET2_T3_PNS10_IS15_E10value_typeET4_jRbjT5_S1B_jjP12ihipStream_tbEUljE_EEESW_SX_SY_S15_S19_S1B_T6_T7_T9_mT8_S1D_bDpT10_ENKUlT_T0_E_clISt17integral_constantIbLb1EES1P_IbLb0EEEEDaS1L_S1M_EUlS1L_E_NS1_11comp_targetILNS1_3genE5ELNS1_11target_archE942ELNS1_3gpuE9ELNS1_3repE0EEENS1_30default_config_static_selectorELNS0_4arch9wavefront6targetE1EEEvSZ_
	.p2align	8
	.type	_ZN7rocprim17ROCPRIM_400000_NS6detail17trampoline_kernelINS0_13select_configILj256ELj13ELNS0_17block_load_methodE3ELS4_3ELS4_3ELNS0_20block_scan_algorithmE0ELj4294967295EEENS1_25partition_config_selectorILNS1_17partition_subalgoE3EjNS0_10empty_typeEbEEZZNS1_14partition_implILS8_3ELb0ES6_jNS0_17counting_iteratorIjlEEPS9_SE_NS0_5tupleIJPjSE_EEENSF_IJSE_SE_EEES9_SG_JZNS1_25segmented_radix_sort_implINS0_14default_configELb1EPK12hip_bfloat16PSL_PKlPlN2at6native12_GLOBAL__N_18offset_tEEE10hipError_tPvRmT1_PNSt15iterator_traitsISZ_E10value_typeET2_T3_PNS10_IS15_E10value_typeET4_jRbjT5_S1B_jjP12ihipStream_tbEUljE_EEESW_SX_SY_S15_S19_S1B_T6_T7_T9_mT8_S1D_bDpT10_ENKUlT_T0_E_clISt17integral_constantIbLb1EES1P_IbLb0EEEEDaS1L_S1M_EUlS1L_E_NS1_11comp_targetILNS1_3genE5ELNS1_11target_archE942ELNS1_3gpuE9ELNS1_3repE0EEENS1_30default_config_static_selectorELNS0_4arch9wavefront6targetE1EEEvSZ_,@function
_ZN7rocprim17ROCPRIM_400000_NS6detail17trampoline_kernelINS0_13select_configILj256ELj13ELNS0_17block_load_methodE3ELS4_3ELS4_3ELNS0_20block_scan_algorithmE0ELj4294967295EEENS1_25partition_config_selectorILNS1_17partition_subalgoE3EjNS0_10empty_typeEbEEZZNS1_14partition_implILS8_3ELb0ES6_jNS0_17counting_iteratorIjlEEPS9_SE_NS0_5tupleIJPjSE_EEENSF_IJSE_SE_EEES9_SG_JZNS1_25segmented_radix_sort_implINS0_14default_configELb1EPK12hip_bfloat16PSL_PKlPlN2at6native12_GLOBAL__N_18offset_tEEE10hipError_tPvRmT1_PNSt15iterator_traitsISZ_E10value_typeET2_T3_PNS10_IS15_E10value_typeET4_jRbjT5_S1B_jjP12ihipStream_tbEUljE_EEESW_SX_SY_S15_S19_S1B_T6_T7_T9_mT8_S1D_bDpT10_ENKUlT_T0_E_clISt17integral_constantIbLb1EES1P_IbLb0EEEEDaS1L_S1M_EUlS1L_E_NS1_11comp_targetILNS1_3genE5ELNS1_11target_archE942ELNS1_3gpuE9ELNS1_3repE0EEENS1_30default_config_static_selectorELNS0_4arch9wavefront6targetE1EEEvSZ_: ; @_ZN7rocprim17ROCPRIM_400000_NS6detail17trampoline_kernelINS0_13select_configILj256ELj13ELNS0_17block_load_methodE3ELS4_3ELS4_3ELNS0_20block_scan_algorithmE0ELj4294967295EEENS1_25partition_config_selectorILNS1_17partition_subalgoE3EjNS0_10empty_typeEbEEZZNS1_14partition_implILS8_3ELb0ES6_jNS0_17counting_iteratorIjlEEPS9_SE_NS0_5tupleIJPjSE_EEENSF_IJSE_SE_EEES9_SG_JZNS1_25segmented_radix_sort_implINS0_14default_configELb1EPK12hip_bfloat16PSL_PKlPlN2at6native12_GLOBAL__N_18offset_tEEE10hipError_tPvRmT1_PNSt15iterator_traitsISZ_E10value_typeET2_T3_PNS10_IS15_E10value_typeET4_jRbjT5_S1B_jjP12ihipStream_tbEUljE_EEESW_SX_SY_S15_S19_S1B_T6_T7_T9_mT8_S1D_bDpT10_ENKUlT_T0_E_clISt17integral_constantIbLb1EES1P_IbLb0EEEEDaS1L_S1M_EUlS1L_E_NS1_11comp_targetILNS1_3genE5ELNS1_11target_archE942ELNS1_3gpuE9ELNS1_3repE0EEENS1_30default_config_static_selectorELNS0_4arch9wavefront6targetE1EEEvSZ_
; %bb.0:
	.section	.rodata,"a",@progbits
	.p2align	6, 0x0
	.amdhsa_kernel _ZN7rocprim17ROCPRIM_400000_NS6detail17trampoline_kernelINS0_13select_configILj256ELj13ELNS0_17block_load_methodE3ELS4_3ELS4_3ELNS0_20block_scan_algorithmE0ELj4294967295EEENS1_25partition_config_selectorILNS1_17partition_subalgoE3EjNS0_10empty_typeEbEEZZNS1_14partition_implILS8_3ELb0ES6_jNS0_17counting_iteratorIjlEEPS9_SE_NS0_5tupleIJPjSE_EEENSF_IJSE_SE_EEES9_SG_JZNS1_25segmented_radix_sort_implINS0_14default_configELb1EPK12hip_bfloat16PSL_PKlPlN2at6native12_GLOBAL__N_18offset_tEEE10hipError_tPvRmT1_PNSt15iterator_traitsISZ_E10value_typeET2_T3_PNS10_IS15_E10value_typeET4_jRbjT5_S1B_jjP12ihipStream_tbEUljE_EEESW_SX_SY_S15_S19_S1B_T6_T7_T9_mT8_S1D_bDpT10_ENKUlT_T0_E_clISt17integral_constantIbLb1EES1P_IbLb0EEEEDaS1L_S1M_EUlS1L_E_NS1_11comp_targetILNS1_3genE5ELNS1_11target_archE942ELNS1_3gpuE9ELNS1_3repE0EEENS1_30default_config_static_selectorELNS0_4arch9wavefront6targetE1EEEvSZ_
		.amdhsa_group_segment_fixed_size 0
		.amdhsa_private_segment_fixed_size 0
		.amdhsa_kernarg_size 144
		.amdhsa_user_sgpr_count 6
		.amdhsa_user_sgpr_private_segment_buffer 1
		.amdhsa_user_sgpr_dispatch_ptr 0
		.amdhsa_user_sgpr_queue_ptr 0
		.amdhsa_user_sgpr_kernarg_segment_ptr 1
		.amdhsa_user_sgpr_dispatch_id 0
		.amdhsa_user_sgpr_flat_scratch_init 0
		.amdhsa_user_sgpr_kernarg_preload_length 0
		.amdhsa_user_sgpr_kernarg_preload_offset 0
		.amdhsa_user_sgpr_private_segment_size 0
		.amdhsa_uses_dynamic_stack 0
		.amdhsa_system_sgpr_private_segment_wavefront_offset 0
		.amdhsa_system_sgpr_workgroup_id_x 1
		.amdhsa_system_sgpr_workgroup_id_y 0
		.amdhsa_system_sgpr_workgroup_id_z 0
		.amdhsa_system_sgpr_workgroup_info 0
		.amdhsa_system_vgpr_workitem_id 0
		.amdhsa_next_free_vgpr 1
		.amdhsa_next_free_sgpr 0
		.amdhsa_accum_offset 4
		.amdhsa_reserve_vcc 0
		.amdhsa_reserve_flat_scratch 0
		.amdhsa_float_round_mode_32 0
		.amdhsa_float_round_mode_16_64 0
		.amdhsa_float_denorm_mode_32 3
		.amdhsa_float_denorm_mode_16_64 3
		.amdhsa_dx10_clamp 1
		.amdhsa_ieee_mode 1
		.amdhsa_fp16_overflow 0
		.amdhsa_tg_split 0
		.amdhsa_exception_fp_ieee_invalid_op 0
		.amdhsa_exception_fp_denorm_src 0
		.amdhsa_exception_fp_ieee_div_zero 0
		.amdhsa_exception_fp_ieee_overflow 0
		.amdhsa_exception_fp_ieee_underflow 0
		.amdhsa_exception_fp_ieee_inexact 0
		.amdhsa_exception_int_div_zero 0
	.end_amdhsa_kernel
	.section	.text._ZN7rocprim17ROCPRIM_400000_NS6detail17trampoline_kernelINS0_13select_configILj256ELj13ELNS0_17block_load_methodE3ELS4_3ELS4_3ELNS0_20block_scan_algorithmE0ELj4294967295EEENS1_25partition_config_selectorILNS1_17partition_subalgoE3EjNS0_10empty_typeEbEEZZNS1_14partition_implILS8_3ELb0ES6_jNS0_17counting_iteratorIjlEEPS9_SE_NS0_5tupleIJPjSE_EEENSF_IJSE_SE_EEES9_SG_JZNS1_25segmented_radix_sort_implINS0_14default_configELb1EPK12hip_bfloat16PSL_PKlPlN2at6native12_GLOBAL__N_18offset_tEEE10hipError_tPvRmT1_PNSt15iterator_traitsISZ_E10value_typeET2_T3_PNS10_IS15_E10value_typeET4_jRbjT5_S1B_jjP12ihipStream_tbEUljE_EEESW_SX_SY_S15_S19_S1B_T6_T7_T9_mT8_S1D_bDpT10_ENKUlT_T0_E_clISt17integral_constantIbLb1EES1P_IbLb0EEEEDaS1L_S1M_EUlS1L_E_NS1_11comp_targetILNS1_3genE5ELNS1_11target_archE942ELNS1_3gpuE9ELNS1_3repE0EEENS1_30default_config_static_selectorELNS0_4arch9wavefront6targetE1EEEvSZ_,"axG",@progbits,_ZN7rocprim17ROCPRIM_400000_NS6detail17trampoline_kernelINS0_13select_configILj256ELj13ELNS0_17block_load_methodE3ELS4_3ELS4_3ELNS0_20block_scan_algorithmE0ELj4294967295EEENS1_25partition_config_selectorILNS1_17partition_subalgoE3EjNS0_10empty_typeEbEEZZNS1_14partition_implILS8_3ELb0ES6_jNS0_17counting_iteratorIjlEEPS9_SE_NS0_5tupleIJPjSE_EEENSF_IJSE_SE_EEES9_SG_JZNS1_25segmented_radix_sort_implINS0_14default_configELb1EPK12hip_bfloat16PSL_PKlPlN2at6native12_GLOBAL__N_18offset_tEEE10hipError_tPvRmT1_PNSt15iterator_traitsISZ_E10value_typeET2_T3_PNS10_IS15_E10value_typeET4_jRbjT5_S1B_jjP12ihipStream_tbEUljE_EEESW_SX_SY_S15_S19_S1B_T6_T7_T9_mT8_S1D_bDpT10_ENKUlT_T0_E_clISt17integral_constantIbLb1EES1P_IbLb0EEEEDaS1L_S1M_EUlS1L_E_NS1_11comp_targetILNS1_3genE5ELNS1_11target_archE942ELNS1_3gpuE9ELNS1_3repE0EEENS1_30default_config_static_selectorELNS0_4arch9wavefront6targetE1EEEvSZ_,comdat
.Lfunc_end1929:
	.size	_ZN7rocprim17ROCPRIM_400000_NS6detail17trampoline_kernelINS0_13select_configILj256ELj13ELNS0_17block_load_methodE3ELS4_3ELS4_3ELNS0_20block_scan_algorithmE0ELj4294967295EEENS1_25partition_config_selectorILNS1_17partition_subalgoE3EjNS0_10empty_typeEbEEZZNS1_14partition_implILS8_3ELb0ES6_jNS0_17counting_iteratorIjlEEPS9_SE_NS0_5tupleIJPjSE_EEENSF_IJSE_SE_EEES9_SG_JZNS1_25segmented_radix_sort_implINS0_14default_configELb1EPK12hip_bfloat16PSL_PKlPlN2at6native12_GLOBAL__N_18offset_tEEE10hipError_tPvRmT1_PNSt15iterator_traitsISZ_E10value_typeET2_T3_PNS10_IS15_E10value_typeET4_jRbjT5_S1B_jjP12ihipStream_tbEUljE_EEESW_SX_SY_S15_S19_S1B_T6_T7_T9_mT8_S1D_bDpT10_ENKUlT_T0_E_clISt17integral_constantIbLb1EES1P_IbLb0EEEEDaS1L_S1M_EUlS1L_E_NS1_11comp_targetILNS1_3genE5ELNS1_11target_archE942ELNS1_3gpuE9ELNS1_3repE0EEENS1_30default_config_static_selectorELNS0_4arch9wavefront6targetE1EEEvSZ_, .Lfunc_end1929-_ZN7rocprim17ROCPRIM_400000_NS6detail17trampoline_kernelINS0_13select_configILj256ELj13ELNS0_17block_load_methodE3ELS4_3ELS4_3ELNS0_20block_scan_algorithmE0ELj4294967295EEENS1_25partition_config_selectorILNS1_17partition_subalgoE3EjNS0_10empty_typeEbEEZZNS1_14partition_implILS8_3ELb0ES6_jNS0_17counting_iteratorIjlEEPS9_SE_NS0_5tupleIJPjSE_EEENSF_IJSE_SE_EEES9_SG_JZNS1_25segmented_radix_sort_implINS0_14default_configELb1EPK12hip_bfloat16PSL_PKlPlN2at6native12_GLOBAL__N_18offset_tEEE10hipError_tPvRmT1_PNSt15iterator_traitsISZ_E10value_typeET2_T3_PNS10_IS15_E10value_typeET4_jRbjT5_S1B_jjP12ihipStream_tbEUljE_EEESW_SX_SY_S15_S19_S1B_T6_T7_T9_mT8_S1D_bDpT10_ENKUlT_T0_E_clISt17integral_constantIbLb1EES1P_IbLb0EEEEDaS1L_S1M_EUlS1L_E_NS1_11comp_targetILNS1_3genE5ELNS1_11target_archE942ELNS1_3gpuE9ELNS1_3repE0EEENS1_30default_config_static_selectorELNS0_4arch9wavefront6targetE1EEEvSZ_
                                        ; -- End function
	.section	.AMDGPU.csdata,"",@progbits
; Kernel info:
; codeLenInByte = 0
; NumSgprs: 4
; NumVgprs: 0
; NumAgprs: 0
; TotalNumVgprs: 0
; ScratchSize: 0
; MemoryBound: 0
; FloatMode: 240
; IeeeMode: 1
; LDSByteSize: 0 bytes/workgroup (compile time only)
; SGPRBlocks: 0
; VGPRBlocks: 0
; NumSGPRsForWavesPerEU: 4
; NumVGPRsForWavesPerEU: 1
; AccumOffset: 4
; Occupancy: 8
; WaveLimiterHint : 0
; COMPUTE_PGM_RSRC2:SCRATCH_EN: 0
; COMPUTE_PGM_RSRC2:USER_SGPR: 6
; COMPUTE_PGM_RSRC2:TRAP_HANDLER: 0
; COMPUTE_PGM_RSRC2:TGID_X_EN: 1
; COMPUTE_PGM_RSRC2:TGID_Y_EN: 0
; COMPUTE_PGM_RSRC2:TGID_Z_EN: 0
; COMPUTE_PGM_RSRC2:TIDIG_COMP_CNT: 0
; COMPUTE_PGM_RSRC3_GFX90A:ACCUM_OFFSET: 0
; COMPUTE_PGM_RSRC3_GFX90A:TG_SPLIT: 0
	.section	.text._ZN7rocprim17ROCPRIM_400000_NS6detail17trampoline_kernelINS0_13select_configILj256ELj13ELNS0_17block_load_methodE3ELS4_3ELS4_3ELNS0_20block_scan_algorithmE0ELj4294967295EEENS1_25partition_config_selectorILNS1_17partition_subalgoE3EjNS0_10empty_typeEbEEZZNS1_14partition_implILS8_3ELb0ES6_jNS0_17counting_iteratorIjlEEPS9_SE_NS0_5tupleIJPjSE_EEENSF_IJSE_SE_EEES9_SG_JZNS1_25segmented_radix_sort_implINS0_14default_configELb1EPK12hip_bfloat16PSL_PKlPlN2at6native12_GLOBAL__N_18offset_tEEE10hipError_tPvRmT1_PNSt15iterator_traitsISZ_E10value_typeET2_T3_PNS10_IS15_E10value_typeET4_jRbjT5_S1B_jjP12ihipStream_tbEUljE_EEESW_SX_SY_S15_S19_S1B_T6_T7_T9_mT8_S1D_bDpT10_ENKUlT_T0_E_clISt17integral_constantIbLb1EES1P_IbLb0EEEEDaS1L_S1M_EUlS1L_E_NS1_11comp_targetILNS1_3genE4ELNS1_11target_archE910ELNS1_3gpuE8ELNS1_3repE0EEENS1_30default_config_static_selectorELNS0_4arch9wavefront6targetE1EEEvSZ_,"axG",@progbits,_ZN7rocprim17ROCPRIM_400000_NS6detail17trampoline_kernelINS0_13select_configILj256ELj13ELNS0_17block_load_methodE3ELS4_3ELS4_3ELNS0_20block_scan_algorithmE0ELj4294967295EEENS1_25partition_config_selectorILNS1_17partition_subalgoE3EjNS0_10empty_typeEbEEZZNS1_14partition_implILS8_3ELb0ES6_jNS0_17counting_iteratorIjlEEPS9_SE_NS0_5tupleIJPjSE_EEENSF_IJSE_SE_EEES9_SG_JZNS1_25segmented_radix_sort_implINS0_14default_configELb1EPK12hip_bfloat16PSL_PKlPlN2at6native12_GLOBAL__N_18offset_tEEE10hipError_tPvRmT1_PNSt15iterator_traitsISZ_E10value_typeET2_T3_PNS10_IS15_E10value_typeET4_jRbjT5_S1B_jjP12ihipStream_tbEUljE_EEESW_SX_SY_S15_S19_S1B_T6_T7_T9_mT8_S1D_bDpT10_ENKUlT_T0_E_clISt17integral_constantIbLb1EES1P_IbLb0EEEEDaS1L_S1M_EUlS1L_E_NS1_11comp_targetILNS1_3genE4ELNS1_11target_archE910ELNS1_3gpuE8ELNS1_3repE0EEENS1_30default_config_static_selectorELNS0_4arch9wavefront6targetE1EEEvSZ_,comdat
	.globl	_ZN7rocprim17ROCPRIM_400000_NS6detail17trampoline_kernelINS0_13select_configILj256ELj13ELNS0_17block_load_methodE3ELS4_3ELS4_3ELNS0_20block_scan_algorithmE0ELj4294967295EEENS1_25partition_config_selectorILNS1_17partition_subalgoE3EjNS0_10empty_typeEbEEZZNS1_14partition_implILS8_3ELb0ES6_jNS0_17counting_iteratorIjlEEPS9_SE_NS0_5tupleIJPjSE_EEENSF_IJSE_SE_EEES9_SG_JZNS1_25segmented_radix_sort_implINS0_14default_configELb1EPK12hip_bfloat16PSL_PKlPlN2at6native12_GLOBAL__N_18offset_tEEE10hipError_tPvRmT1_PNSt15iterator_traitsISZ_E10value_typeET2_T3_PNS10_IS15_E10value_typeET4_jRbjT5_S1B_jjP12ihipStream_tbEUljE_EEESW_SX_SY_S15_S19_S1B_T6_T7_T9_mT8_S1D_bDpT10_ENKUlT_T0_E_clISt17integral_constantIbLb1EES1P_IbLb0EEEEDaS1L_S1M_EUlS1L_E_NS1_11comp_targetILNS1_3genE4ELNS1_11target_archE910ELNS1_3gpuE8ELNS1_3repE0EEENS1_30default_config_static_selectorELNS0_4arch9wavefront6targetE1EEEvSZ_ ; -- Begin function _ZN7rocprim17ROCPRIM_400000_NS6detail17trampoline_kernelINS0_13select_configILj256ELj13ELNS0_17block_load_methodE3ELS4_3ELS4_3ELNS0_20block_scan_algorithmE0ELj4294967295EEENS1_25partition_config_selectorILNS1_17partition_subalgoE3EjNS0_10empty_typeEbEEZZNS1_14partition_implILS8_3ELb0ES6_jNS0_17counting_iteratorIjlEEPS9_SE_NS0_5tupleIJPjSE_EEENSF_IJSE_SE_EEES9_SG_JZNS1_25segmented_radix_sort_implINS0_14default_configELb1EPK12hip_bfloat16PSL_PKlPlN2at6native12_GLOBAL__N_18offset_tEEE10hipError_tPvRmT1_PNSt15iterator_traitsISZ_E10value_typeET2_T3_PNS10_IS15_E10value_typeET4_jRbjT5_S1B_jjP12ihipStream_tbEUljE_EEESW_SX_SY_S15_S19_S1B_T6_T7_T9_mT8_S1D_bDpT10_ENKUlT_T0_E_clISt17integral_constantIbLb1EES1P_IbLb0EEEEDaS1L_S1M_EUlS1L_E_NS1_11comp_targetILNS1_3genE4ELNS1_11target_archE910ELNS1_3gpuE8ELNS1_3repE0EEENS1_30default_config_static_selectorELNS0_4arch9wavefront6targetE1EEEvSZ_
	.p2align	8
	.type	_ZN7rocprim17ROCPRIM_400000_NS6detail17trampoline_kernelINS0_13select_configILj256ELj13ELNS0_17block_load_methodE3ELS4_3ELS4_3ELNS0_20block_scan_algorithmE0ELj4294967295EEENS1_25partition_config_selectorILNS1_17partition_subalgoE3EjNS0_10empty_typeEbEEZZNS1_14partition_implILS8_3ELb0ES6_jNS0_17counting_iteratorIjlEEPS9_SE_NS0_5tupleIJPjSE_EEENSF_IJSE_SE_EEES9_SG_JZNS1_25segmented_radix_sort_implINS0_14default_configELb1EPK12hip_bfloat16PSL_PKlPlN2at6native12_GLOBAL__N_18offset_tEEE10hipError_tPvRmT1_PNSt15iterator_traitsISZ_E10value_typeET2_T3_PNS10_IS15_E10value_typeET4_jRbjT5_S1B_jjP12ihipStream_tbEUljE_EEESW_SX_SY_S15_S19_S1B_T6_T7_T9_mT8_S1D_bDpT10_ENKUlT_T0_E_clISt17integral_constantIbLb1EES1P_IbLb0EEEEDaS1L_S1M_EUlS1L_E_NS1_11comp_targetILNS1_3genE4ELNS1_11target_archE910ELNS1_3gpuE8ELNS1_3repE0EEENS1_30default_config_static_selectorELNS0_4arch9wavefront6targetE1EEEvSZ_,@function
_ZN7rocprim17ROCPRIM_400000_NS6detail17trampoline_kernelINS0_13select_configILj256ELj13ELNS0_17block_load_methodE3ELS4_3ELS4_3ELNS0_20block_scan_algorithmE0ELj4294967295EEENS1_25partition_config_selectorILNS1_17partition_subalgoE3EjNS0_10empty_typeEbEEZZNS1_14partition_implILS8_3ELb0ES6_jNS0_17counting_iteratorIjlEEPS9_SE_NS0_5tupleIJPjSE_EEENSF_IJSE_SE_EEES9_SG_JZNS1_25segmented_radix_sort_implINS0_14default_configELb1EPK12hip_bfloat16PSL_PKlPlN2at6native12_GLOBAL__N_18offset_tEEE10hipError_tPvRmT1_PNSt15iterator_traitsISZ_E10value_typeET2_T3_PNS10_IS15_E10value_typeET4_jRbjT5_S1B_jjP12ihipStream_tbEUljE_EEESW_SX_SY_S15_S19_S1B_T6_T7_T9_mT8_S1D_bDpT10_ENKUlT_T0_E_clISt17integral_constantIbLb1EES1P_IbLb0EEEEDaS1L_S1M_EUlS1L_E_NS1_11comp_targetILNS1_3genE4ELNS1_11target_archE910ELNS1_3gpuE8ELNS1_3repE0EEENS1_30default_config_static_selectorELNS0_4arch9wavefront6targetE1EEEvSZ_: ; @_ZN7rocprim17ROCPRIM_400000_NS6detail17trampoline_kernelINS0_13select_configILj256ELj13ELNS0_17block_load_methodE3ELS4_3ELS4_3ELNS0_20block_scan_algorithmE0ELj4294967295EEENS1_25partition_config_selectorILNS1_17partition_subalgoE3EjNS0_10empty_typeEbEEZZNS1_14partition_implILS8_3ELb0ES6_jNS0_17counting_iteratorIjlEEPS9_SE_NS0_5tupleIJPjSE_EEENSF_IJSE_SE_EEES9_SG_JZNS1_25segmented_radix_sort_implINS0_14default_configELb1EPK12hip_bfloat16PSL_PKlPlN2at6native12_GLOBAL__N_18offset_tEEE10hipError_tPvRmT1_PNSt15iterator_traitsISZ_E10value_typeET2_T3_PNS10_IS15_E10value_typeET4_jRbjT5_S1B_jjP12ihipStream_tbEUljE_EEESW_SX_SY_S15_S19_S1B_T6_T7_T9_mT8_S1D_bDpT10_ENKUlT_T0_E_clISt17integral_constantIbLb1EES1P_IbLb0EEEEDaS1L_S1M_EUlS1L_E_NS1_11comp_targetILNS1_3genE4ELNS1_11target_archE910ELNS1_3gpuE8ELNS1_3repE0EEENS1_30default_config_static_selectorELNS0_4arch9wavefront6targetE1EEEvSZ_
; %bb.0:
	s_load_dwordx2 s[26:27], s[4:5], 0x58
	s_load_dwordx4 s[20:23], s[4:5], 0x48
	s_load_dword s13, s[4:5], 0x8
	s_load_dwordx2 s[28:29], s[4:5], 0x10
	s_load_dword s12, s[4:5], 0x70
	s_load_dword s7, s[4:5], 0x88
	s_load_dwordx4 s[8:11], s[4:5], 0x78
	s_waitcnt lgkmcnt(0)
	s_load_dwordx2 s[30:31], s[22:23], 0x0
	v_pk_mov_b32 v[2:3], s[26:27], s[26:27] op_sel:[0,1]
	s_add_i32 s2, s12, -1
	s_mulk_i32 s12, 0xd00
	s_add_u32 s0, s28, s12
	s_addc_u32 s1, s29, 0
	s_cmp_eq_u32 s6, s2
	s_cselect_b64 s[22:23], -1, 0
	s_cmp_lg_u32 s6, s2
	s_mul_i32 s42, s6, 0xd00
	v_cmp_lt_u64_e32 vcc, s[0:1], v[2:3]
	s_cselect_b64 s[0:1], -1, 0
	s_or_b64 s[2:3], s[0:1], vcc
	s_add_i32 s0, s13, s42
	s_add_i32 s0, s0, s28
	v_add_u32_e32 v2, s0, v0
	s_mov_b64 s[0:1], -1
	s_and_b64 vcc, exec, s[2:3]
	v_lshlrev_b32_e32 v1, 2, v0
	s_cbranch_vccz .LBB1930_2
; %bb.1:
	v_add_u32_e32 v3, 0x100, v2
	v_add_u32_e32 v4, 0x200, v2
	;; [unrolled: 1-line block ×12, first 2 shown]
	ds_write2st64_b32 v1, v2, v3 offset1:4
	ds_write2st64_b32 v1, v4, v5 offset0:8 offset1:12
	ds_write2st64_b32 v1, v6, v7 offset0:16 offset1:20
	;; [unrolled: 1-line block ×5, first 2 shown]
	ds_write_b32 v1, v14 offset:12288
	s_waitcnt lgkmcnt(0)
	s_barrier
	s_mov_b64 s[0:1], 0
.LBB1930_2:
	s_andn2_b64 vcc, exec, s[0:1]
	s_add_i32 s12, s12, s28
	s_cbranch_vccnz .LBB1930_4
; %bb.3:
	v_add_u32_e32 v3, 0x100, v2
	v_add_u32_e32 v4, 0x200, v2
	;; [unrolled: 1-line block ×12, first 2 shown]
	ds_write2st64_b32 v1, v2, v3 offset1:4
	ds_write2st64_b32 v1, v4, v5 offset0:8 offset1:12
	ds_write2st64_b32 v1, v6, v7 offset0:16 offset1:20
	;; [unrolled: 1-line block ×5, first 2 shown]
	ds_write_b32 v1, v14 offset:12288
	s_waitcnt lgkmcnt(0)
	s_barrier
.LBB1930_4:
	v_mul_u32_u24_e32 v33, 13, v0
	v_lshlrev_b32_e32 v2, 2, v33
	s_waitcnt lgkmcnt(0)
	ds_read2_b32 v[30:31], v2 offset1:1
	ds_read2_b32 v[28:29], v2 offset0:2 offset1:3
	ds_read2_b32 v[26:27], v2 offset0:4 offset1:5
	;; [unrolled: 1-line block ×5, first 2 shown]
	ds_read_b32 v32, v2 offset:48
	v_cndmask_b32_e64 v2, 0, 1, s[2:3]
	s_sub_i32 s33, s26, s12
	v_cmp_ne_u32_e64 s[0:1], 1, v2
	s_andn2_b64 vcc, exec, s[2:3]
	s_waitcnt lgkmcnt(0)
	s_barrier
	s_cbranch_vccnz .LBB1930_6
; %bb.5:
	v_add_u32_e32 v2, s9, v30
	v_add_u32_e32 v3, s11, v30
	v_mul_lo_u32 v2, v2, s8
	v_mul_lo_u32 v3, v3, s10
	v_sub_u32_e32 v2, v2, v3
	v_add_u32_e32 v3, s9, v31
	v_add_u32_e32 v4, s11, v31
	v_mul_lo_u32 v3, v3, s8
	v_mul_lo_u32 v4, v4, s10
	v_sub_u32_e32 v3, v3, v4
	;; [unrolled: 5-line block ×6, first 2 shown]
	v_add_u32_e32 v8, s9, v24
	v_add_u32_e32 v9, s11, v24
	v_mul_lo_u32 v8, v8, s8
	v_mul_lo_u32 v9, v9, s10
	v_cmp_lt_u32_e32 vcc, s7, v2
	v_sub_u32_e32 v8, v8, v9
	v_add_u32_e32 v9, s9, v25
	v_add_u32_e32 v10, s11, v25
	v_cndmask_b32_e64 v2, 0, 1, vcc
	v_cmp_lt_u32_e32 vcc, s7, v3
	v_mul_lo_u32 v9, v9, s8
	v_mul_lo_u32 v10, v10, s10
	v_cndmask_b32_e64 v3, 0, 1, vcc
	v_cmp_lt_u32_e32 vcc, s7, v4
	v_sub_u32_e32 v9, v9, v10
	v_add_u32_e32 v10, s9, v22
	v_add_u32_e32 v11, s11, v22
	v_cndmask_b32_e64 v4, 0, 1, vcc
	v_cmp_lt_u32_e32 vcc, s7, v5
	v_mul_lo_u32 v10, v10, s8
	v_mul_lo_u32 v11, v11, s10
	v_cndmask_b32_e64 v5, 0, 1, vcc
	;; [unrolled: 9-line block ×4, first 2 shown]
	v_cmp_lt_u32_e32 vcc, s7, v10
	v_sub_u32_e32 v12, v12, v13
	v_add_u32_e32 v13, s9, v21
	v_add_u32_e32 v14, s11, v21
	v_lshlrev_b16_e32 v3, 8, v3
	v_cndmask_b32_e64 v10, 0, 1, vcc
	v_cmp_lt_u32_e32 vcc, s7, v11
	v_mul_lo_u32 v13, v13, s8
	v_mul_lo_u32 v14, v14, s10
	v_or_b32_e32 v2, v2, v3
	v_lshlrev_b16_e32 v3, 8, v5
	v_cndmask_b32_e64 v11, 0, 1, vcc
	v_cmp_lt_u32_e32 vcc, s7, v12
	v_sub_u32_e32 v13, v13, v14
	v_or_b32_sdwa v3, v4, v3 dst_sel:WORD_1 dst_unused:UNUSED_PAD src0_sel:DWORD src1_sel:DWORD
	v_cndmask_b32_e64 v12, 0, 1, vcc
	v_cmp_lt_u32_e32 vcc, s7, v13
	v_add_u32_e32 v14, s9, v32
	v_add_u32_e32 v15, s11, v32
	v_or_b32_sdwa v37, v2, v3 dst_sel:DWORD dst_unused:UNUSED_PAD src0_sel:WORD_0 src1_sel:DWORD
	v_lshlrev_b16_e32 v2, 8, v7
	v_lshlrev_b16_e32 v3, 8, v9
	v_cndmask_b32_e64 v13, 0, 1, vcc
	v_mul_lo_u32 v14, v14, s8
	v_mul_lo_u32 v15, v15, s10
	v_or_b32_e32 v2, v6, v2
	v_or_b32_sdwa v3, v8, v3 dst_sel:WORD_1 dst_unused:UNUSED_PAD src0_sel:DWORD src1_sel:DWORD
	v_sub_u32_e32 v14, v14, v15
	v_or_b32_sdwa v36, v2, v3 dst_sel:DWORD dst_unused:UNUSED_PAD src0_sel:WORD_0 src1_sel:DWORD
	v_lshlrev_b16_e32 v2, 8, v11
	v_lshlrev_b16_e32 v3, 8, v13
	v_cmp_lt_u32_e32 vcc, s7, v14
	v_or_b32_e32 v2, v10, v2
	v_or_b32_sdwa v3, v12, v3 dst_sel:WORD_1 dst_unused:UNUSED_PAD src0_sel:DWORD src1_sel:DWORD
	v_cndmask_b32_e64 v34, 0, 1, vcc
	v_or_b32_sdwa v35, v2, v3 dst_sel:DWORD dst_unused:UNUSED_PAD src0_sel:WORD_0 src1_sel:DWORD
	s_mov_b64 s[2:3], 0
	s_branch .LBB1930_7
.LBB1930_6:
	s_mov_b64 s[2:3], -1
                                        ; implicit-def: $vgpr34
                                        ; implicit-def: $vgpr35
                                        ; implicit-def: $vgpr36
                                        ; implicit-def: $vgpr37
.LBB1930_7:
	s_load_dwordx2 s[24:25], s[4:5], 0x28
	s_load_dwordx2 s[34:35], s[4:5], 0x68
	s_andn2_b64 vcc, exec, s[2:3]
	s_addk_i32 s33, 0xd00
	s_cbranch_vccnz .LBB1930_35
; %bb.8:
	v_cmp_gt_u32_e32 vcc, s33, v33
	v_mov_b32_e32 v3, 0
	v_mov_b32_e32 v2, 0
	s_and_saveexec_b64 s[2:3], vcc
; %bb.9:
	v_add_u32_e32 v2, s9, v30
	v_add_u32_e32 v4, s11, v30
	v_mul_lo_u32 v2, v2, s8
	v_mul_lo_u32 v4, v4, s10
	v_sub_u32_e32 v2, v2, v4
	v_cmp_lt_u32_e32 vcc, s7, v2
	v_cndmask_b32_e64 v2, 0, 1, vcc
; %bb.10:
	s_or_b64 exec, exec, s[2:3]
	v_add_u32_e32 v4, 1, v33
	v_cmp_gt_u32_e32 vcc, s33, v4
	s_and_saveexec_b64 s[2:3], vcc
; %bb.11:
	v_add_u32_e32 v3, s9, v31
	v_add_u32_e32 v4, s11, v31
	v_mul_lo_u32 v3, v3, s8
	v_mul_lo_u32 v4, v4, s10
	v_sub_u32_e32 v3, v3, v4
	v_cmp_lt_u32_e32 vcc, s7, v3
	v_cndmask_b32_e64 v3, 0, 1, vcc
; %bb.12:
	s_or_b64 exec, exec, s[2:3]
	v_add_u32_e32 v4, 2, v33
	v_cmp_gt_u32_e32 vcc, s33, v4
	v_mov_b32_e32 v5, 0
	v_mov_b32_e32 v4, 0
	s_and_saveexec_b64 s[2:3], vcc
; %bb.13:
	v_add_u32_e32 v4, s9, v28
	v_add_u32_e32 v6, s11, v28
	v_mul_lo_u32 v4, v4, s8
	v_mul_lo_u32 v6, v6, s10
	v_sub_u32_e32 v4, v4, v6
	v_cmp_lt_u32_e32 vcc, s7, v4
	v_cndmask_b32_e64 v4, 0, 1, vcc
; %bb.14:
	s_or_b64 exec, exec, s[2:3]
	v_add_u32_e32 v6, 3, v33
	v_cmp_gt_u32_e32 vcc, s33, v6
	s_and_saveexec_b64 s[2:3], vcc
; %bb.15:
	v_add_u32_e32 v5, s9, v29
	v_add_u32_e32 v6, s11, v29
	v_mul_lo_u32 v5, v5, s8
	v_mul_lo_u32 v6, v6, s10
	v_sub_u32_e32 v5, v5, v6
	v_cmp_lt_u32_e32 vcc, s7, v5
	v_cndmask_b32_e64 v5, 0, 1, vcc
; %bb.16:
	s_or_b64 exec, exec, s[2:3]
	v_add_u32_e32 v6, 4, v33
	;; [unrolled: 28-line block ×6, first 2 shown]
	v_cmp_gt_u32_e32 vcc, s33, v14
	v_mov_b32_e32 v34, 0
	s_and_saveexec_b64 s[2:3], vcc
; %bb.33:
	v_add_u32_e32 v14, s9, v32
	v_add_u32_e32 v15, s11, v32
	v_mul_lo_u32 v14, v14, s8
	v_mul_lo_u32 v15, v15, s10
	v_sub_u32_e32 v14, v14, v15
	v_cmp_lt_u32_e32 vcc, s7, v14
	v_cndmask_b32_e64 v34, 0, 1, vcc
; %bb.34:
	s_or_b64 exec, exec, s[2:3]
	v_lshlrev_b16_e32 v3, 8, v3
	v_or_b32_e32 v2, v2, v3
	v_lshlrev_b16_e32 v3, 8, v5
	v_or_b32_sdwa v3, v4, v3 dst_sel:WORD_1 dst_unused:UNUSED_PAD src0_sel:DWORD src1_sel:DWORD
	v_or_b32_sdwa v37, v2, v3 dst_sel:DWORD dst_unused:UNUSED_PAD src0_sel:WORD_0 src1_sel:DWORD
	v_lshlrev_b16_e32 v2, 8, v7
	v_lshlrev_b16_e32 v3, 8, v9
	v_or_b32_e32 v2, v6, v2
	v_or_b32_sdwa v3, v8, v3 dst_sel:WORD_1 dst_unused:UNUSED_PAD src0_sel:DWORD src1_sel:DWORD
	v_or_b32_sdwa v36, v2, v3 dst_sel:DWORD dst_unused:UNUSED_PAD src0_sel:WORD_0 src1_sel:DWORD
	v_lshlrev_b16_e32 v2, 8, v11
	v_lshlrev_b16_e32 v3, 8, v13
	v_or_b32_e32 v2, v10, v2
	v_or_b32_sdwa v3, v12, v3 dst_sel:WORD_1 dst_unused:UNUSED_PAD src0_sel:DWORD src1_sel:DWORD
	v_or_b32_sdwa v35, v2, v3 dst_sel:DWORD dst_unused:UNUSED_PAD src0_sel:WORD_0 src1_sel:DWORD
.LBB1930_35:
	v_and_b32_e32 v41, 0xff, v37
	v_bfe_u32 v42, v37, 8, 8
	v_bfe_u32 v43, v37, 16, 8
	v_lshrrev_b32_e32 v40, 24, v37
	v_and_b32_e32 v44, 0xff, v36
	v_add3_u32 v3, v42, v41, v43
	v_bfe_u32 v45, v36, 8, 8
	v_bfe_u32 v46, v36, 16, 8
	v_add3_u32 v3, v3, v40, v44
	v_lshrrev_b32_e32 v39, 24, v36
	v_and_b32_e32 v47, 0xff, v35
	v_add3_u32 v3, v3, v45, v46
	v_bfe_u32 v48, v35, 8, 8
	v_bfe_u32 v49, v35, 16, 8
	v_add3_u32 v3, v3, v39, v47
	v_lshrrev_b32_e32 v38, 24, v35
	v_and_b32_e32 v2, 0xff, v34
	v_add3_u32 v3, v3, v48, v49
	v_add3_u32 v52, v3, v38, v2
	v_mbcnt_lo_u32_b32 v2, -1, 0
	v_mbcnt_hi_u32_b32 v50, -1, v2
	v_and_b32_e32 v2, 15, v50
	v_cmp_eq_u32_e64 s[14:15], 0, v2
	v_cmp_lt_u32_e64 s[12:13], 1, v2
	v_cmp_lt_u32_e64 s[10:11], 3, v2
	;; [unrolled: 1-line block ×3, first 2 shown]
	v_and_b32_e32 v2, 16, v50
	v_cmp_eq_u32_e64 s[18:19], 0, v2
	v_or_b32_e32 v2, 63, v0
	s_cmp_lg_u32 s6, 0
	v_cmp_lt_u32_e64 s[2:3], 31, v50
	v_lshrrev_b32_e32 v51, 6, v0
	v_cmp_eq_u32_e64 s[4:5], v2, v0
	s_cbranch_scc0 .LBB1930_66
; %bb.36:
	v_mov_b32_dpp v2, v52 row_shr:1 row_mask:0xf bank_mask:0xf
	v_cndmask_b32_e64 v2, v2, 0, s[14:15]
	v_add_u32_e32 v2, v2, v52
	s_nop 1
	v_mov_b32_dpp v3, v2 row_shr:2 row_mask:0xf bank_mask:0xf
	v_cndmask_b32_e64 v3, 0, v3, s[12:13]
	v_add_u32_e32 v2, v2, v3
	s_nop 1
	;; [unrolled: 4-line block ×4, first 2 shown]
	v_mov_b32_dpp v3, v2 row_bcast:15 row_mask:0xf bank_mask:0xf
	v_cndmask_b32_e64 v3, v3, 0, s[18:19]
	v_add_u32_e32 v2, v2, v3
	s_nop 1
	v_mov_b32_dpp v3, v2 row_bcast:31 row_mask:0xf bank_mask:0xf
	v_cndmask_b32_e64 v3, 0, v3, s[2:3]
	v_add_u32_e32 v2, v2, v3
	s_and_saveexec_b64 s[16:17], s[4:5]
	s_cbranch_execz .LBB1930_38
; %bb.37:
	v_lshlrev_b32_e32 v3, 2, v51
	ds_write_b32 v3, v2
.LBB1930_38:
	s_or_b64 exec, exec, s[16:17]
	v_cmp_gt_u32_e32 vcc, 4, v0
	s_waitcnt lgkmcnt(0)
	s_barrier
	s_and_saveexec_b64 s[16:17], vcc
	s_cbranch_execz .LBB1930_40
; %bb.39:
	ds_read_b32 v3, v1
	v_and_b32_e32 v4, 3, v50
	v_cmp_ne_u32_e32 vcc, 0, v4
	s_waitcnt lgkmcnt(0)
	v_mov_b32_dpp v5, v3 row_shr:1 row_mask:0xf bank_mask:0xf
	v_cndmask_b32_e32 v5, 0, v5, vcc
	v_add_u32_e32 v3, v5, v3
	v_cmp_lt_u32_e32 vcc, 1, v4
	s_nop 0
	v_mov_b32_dpp v5, v3 row_shr:2 row_mask:0xf bank_mask:0xf
	v_cndmask_b32_e32 v4, 0, v5, vcc
	v_add_u32_e32 v3, v3, v4
	ds_write_b32 v1, v3
.LBB1930_40:
	s_or_b64 exec, exec, s[16:17]
	v_cmp_gt_u32_e32 vcc, 64, v0
	v_cmp_lt_u32_e64 s[16:17], 63, v0
	s_waitcnt lgkmcnt(0)
	s_barrier
	s_waitcnt lgkmcnt(0)
                                        ; implicit-def: $vgpr12
	s_and_saveexec_b64 s[36:37], s[16:17]
	s_cbranch_execz .LBB1930_42
; %bb.41:
	v_lshl_add_u32 v3, v51, 2, -4
	ds_read_b32 v12, v3
	s_waitcnt lgkmcnt(0)
	v_add_u32_e32 v2, v12, v2
.LBB1930_42:
	s_or_b64 exec, exec, s[36:37]
	v_add_u32_e32 v3, -1, v50
	v_and_b32_e32 v4, 64, v50
	v_cmp_lt_i32_e64 s[16:17], v3, v4
	v_cndmask_b32_e64 v3, v3, v50, s[16:17]
	v_lshlrev_b32_e32 v3, 2, v3
	ds_bpermute_b32 v13, v3, v2
	v_cmp_eq_u32_e64 s[16:17], 0, v50
	s_and_saveexec_b64 s[36:37], vcc
	s_cbranch_execz .LBB1930_65
; %bb.43:
	v_mov_b32_e32 v11, 0
	ds_read_b32 v2, v11 offset:12
	s_and_saveexec_b64 s[38:39], s[16:17]
	s_cbranch_execz .LBB1930_45
; %bb.44:
	s_add_i32 s40, s6, 64
	s_mov_b32 s41, 0
	s_lshl_b64 s[40:41], s[40:41], 3
	s_add_u32 s40, s34, s40
	v_mov_b32_e32 v3, 1
	s_addc_u32 s41, s35, s41
	s_waitcnt lgkmcnt(0)
	global_store_dwordx2 v11, v[2:3], s[40:41]
.LBB1930_45:
	s_or_b64 exec, exec, s[38:39]
	v_xad_u32 v4, v50, -1, s6
	v_add_u32_e32 v10, 64, v4
	v_lshlrev_b64 v[6:7], 3, v[10:11]
	v_mov_b32_e32 v3, s35
	v_add_co_u32_e32 v6, vcc, s34, v6
	v_addc_co_u32_e32 v7, vcc, v3, v7, vcc
	global_load_dwordx2 v[8:9], v[6:7], off glc
	s_waitcnt vmcnt(0)
	v_cmp_eq_u16_sdwa s[40:41], v9, v11 src0_sel:BYTE_0 src1_sel:DWORD
	s_and_saveexec_b64 s[38:39], s[40:41]
	s_cbranch_execz .LBB1930_51
; %bb.46:
	s_mov_b32 s7, 1
	s_mov_b64 s[40:41], 0
	v_mov_b32_e32 v3, 0
.LBB1930_47:                            ; =>This Loop Header: Depth=1
                                        ;     Child Loop BB1930_48 Depth 2
	s_max_u32 s43, s7, 1
.LBB1930_48:                            ;   Parent Loop BB1930_47 Depth=1
                                        ; =>  This Inner Loop Header: Depth=2
	s_add_i32 s43, s43, -1
	s_cmp_eq_u32 s43, 0
	s_sleep 1
	s_cbranch_scc0 .LBB1930_48
; %bb.49:                               ;   in Loop: Header=BB1930_47 Depth=1
	global_load_dwordx2 v[8:9], v[6:7], off glc
	s_cmp_lt_u32 s7, 32
	s_cselect_b64 s[44:45], -1, 0
	s_cmp_lg_u64 s[44:45], 0
	s_addc_u32 s7, s7, 0
	s_waitcnt vmcnt(0)
	v_cmp_ne_u16_sdwa s[44:45], v9, v3 src0_sel:BYTE_0 src1_sel:DWORD
	s_or_b64 s[40:41], s[44:45], s[40:41]
	s_andn2_b64 exec, exec, s[40:41]
	s_cbranch_execnz .LBB1930_47
; %bb.50:
	s_or_b64 exec, exec, s[40:41]
.LBB1930_51:
	s_or_b64 exec, exec, s[38:39]
	v_and_b32_e32 v14, 63, v50
	v_mov_b32_e32 v3, 2
	v_cmp_ne_u32_e32 vcc, 63, v14
	v_cmp_eq_u16_sdwa s[38:39], v9, v3 src0_sel:BYTE_0 src1_sel:DWORD
	v_lshlrev_b64 v[6:7], v50, -1
	v_addc_co_u32_e32 v11, vcc, 0, v50, vcc
	v_and_b32_e32 v5, s39, v7
	v_lshlrev_b32_e32 v15, 2, v11
	v_or_b32_e32 v5, 0x80000000, v5
	ds_bpermute_b32 v11, v15, v8
	v_and_b32_e32 v10, s38, v6
	v_ffbl_b32_e32 v5, v5
	v_add_u32_e32 v5, 32, v5
	v_ffbl_b32_e32 v10, v10
	v_min_u32_e32 v5, v10, v5
	v_cmp_lt_u32_e32 vcc, v14, v5
	s_waitcnt lgkmcnt(0)
	v_cndmask_b32_e32 v10, 0, v11, vcc
	v_cmp_gt_u32_e32 vcc, 62, v14
	v_add_u32_e32 v8, v10, v8
	v_cndmask_b32_e64 v10, 0, 1, vcc
	v_lshlrev_b32_e32 v10, 1, v10
	v_add_lshl_u32 v16, v10, v50, 2
	ds_bpermute_b32 v10, v16, v8
	v_add_u32_e32 v17, 2, v14
	v_cmp_le_u32_e32 vcc, v17, v5
	v_add_u32_e32 v19, 4, v14
	v_add_u32_e32 v54, 8, v14
	s_waitcnt lgkmcnt(0)
	v_cndmask_b32_e32 v10, 0, v10, vcc
	v_cmp_gt_u32_e32 vcc, 60, v14
	v_add_u32_e32 v8, v8, v10
	v_cndmask_b32_e64 v10, 0, 1, vcc
	v_lshlrev_b32_e32 v10, 2, v10
	v_add_lshl_u32 v18, v10, v50, 2
	ds_bpermute_b32 v10, v18, v8
	v_cmp_le_u32_e32 vcc, v19, v5
	v_add_u32_e32 v57, 16, v14
	v_add_u32_e32 v59, 32, v14
	s_waitcnt lgkmcnt(0)
	v_cndmask_b32_e32 v10, 0, v10, vcc
	v_cmp_gt_u32_e32 vcc, 56, v14
	v_add_u32_e32 v8, v8, v10
	v_cndmask_b32_e64 v10, 0, 1, vcc
	v_lshlrev_b32_e32 v10, 3, v10
	v_add_lshl_u32 v53, v10, v50, 2
	ds_bpermute_b32 v10, v53, v8
	v_cmp_le_u32_e32 vcc, v54, v5
	s_waitcnt lgkmcnt(0)
	v_cndmask_b32_e32 v10, 0, v10, vcc
	v_cmp_gt_u32_e32 vcc, 48, v14
	v_add_u32_e32 v8, v8, v10
	v_cndmask_b32_e64 v10, 0, 1, vcc
	v_lshlrev_b32_e32 v10, 4, v10
	v_add_lshl_u32 v56, v10, v50, 2
	ds_bpermute_b32 v10, v56, v8
	v_cmp_le_u32_e32 vcc, v57, v5
	;; [unrolled: 9-line block ×3, first 2 shown]
	s_waitcnt lgkmcnt(0)
	v_cndmask_b32_e32 v5, 0, v10, vcc
	v_add_u32_e32 v8, v8, v5
	v_mov_b32_e32 v5, 0
	s_branch .LBB1930_53
.LBB1930_52:                            ;   in Loop: Header=BB1930_53 Depth=1
	s_or_b64 exec, exec, s[38:39]
	v_cmp_eq_u16_sdwa s[38:39], v9, v3 src0_sel:BYTE_0 src1_sel:DWORD
	v_and_b32_e32 v10, s39, v7
	v_or_b32_e32 v10, 0x80000000, v10
	ds_bpermute_b32 v60, v15, v8
	v_and_b32_e32 v11, s38, v6
	v_ffbl_b32_e32 v10, v10
	v_add_u32_e32 v10, 32, v10
	v_ffbl_b32_e32 v11, v11
	v_min_u32_e32 v10, v11, v10
	v_cmp_lt_u32_e32 vcc, v14, v10
	s_waitcnt lgkmcnt(0)
	v_cndmask_b32_e32 v11, 0, v60, vcc
	v_add_u32_e32 v8, v11, v8
	ds_bpermute_b32 v11, v16, v8
	v_cmp_le_u32_e32 vcc, v17, v10
	v_subrev_u32_e32 v4, 64, v4
	s_waitcnt lgkmcnt(0)
	v_cndmask_b32_e32 v11, 0, v11, vcc
	v_add_u32_e32 v8, v8, v11
	ds_bpermute_b32 v11, v18, v8
	v_cmp_le_u32_e32 vcc, v19, v10
	s_waitcnt lgkmcnt(0)
	v_cndmask_b32_e32 v11, 0, v11, vcc
	v_add_u32_e32 v8, v8, v11
	ds_bpermute_b32 v11, v53, v8
	v_cmp_le_u32_e32 vcc, v54, v10
	;; [unrolled: 5-line block ×4, first 2 shown]
	s_waitcnt lgkmcnt(0)
	v_cndmask_b32_e32 v10, 0, v11, vcc
	v_add3_u32 v8, v10, v55, v8
.LBB1930_53:                            ; =>This Loop Header: Depth=1
                                        ;     Child Loop BB1930_56 Depth 2
                                        ;       Child Loop BB1930_57 Depth 3
	v_cmp_ne_u16_sdwa s[38:39], v9, v3 src0_sel:BYTE_0 src1_sel:DWORD
	v_cndmask_b32_e64 v9, 0, 1, s[38:39]
	;;#ASMSTART
	;;#ASMEND
	v_cmp_ne_u32_e32 vcc, 0, v9
	s_cmp_lg_u64 vcc, exec
	v_mov_b32_e32 v55, v8
	s_cbranch_scc1 .LBB1930_60
; %bb.54:                               ;   in Loop: Header=BB1930_53 Depth=1
	v_lshlrev_b64 v[8:9], 3, v[4:5]
	v_mov_b32_e32 v11, s35
	v_add_co_u32_e32 v10, vcc, s34, v8
	v_addc_co_u32_e32 v11, vcc, v11, v9, vcc
	global_load_dwordx2 v[8:9], v[10:11], off glc
	s_waitcnt vmcnt(0)
	v_cmp_eq_u16_sdwa s[40:41], v9, v5 src0_sel:BYTE_0 src1_sel:DWORD
	s_and_saveexec_b64 s[38:39], s[40:41]
	s_cbranch_execz .LBB1930_52
; %bb.55:                               ;   in Loop: Header=BB1930_53 Depth=1
	s_mov_b32 s7, 1
	s_mov_b64 s[40:41], 0
.LBB1930_56:                            ;   Parent Loop BB1930_53 Depth=1
                                        ; =>  This Loop Header: Depth=2
                                        ;       Child Loop BB1930_57 Depth 3
	s_max_u32 s43, s7, 1
.LBB1930_57:                            ;   Parent Loop BB1930_53 Depth=1
                                        ;     Parent Loop BB1930_56 Depth=2
                                        ; =>    This Inner Loop Header: Depth=3
	s_add_i32 s43, s43, -1
	s_cmp_eq_u32 s43, 0
	s_sleep 1
	s_cbranch_scc0 .LBB1930_57
; %bb.58:                               ;   in Loop: Header=BB1930_56 Depth=2
	global_load_dwordx2 v[8:9], v[10:11], off glc
	s_cmp_lt_u32 s7, 32
	s_cselect_b64 s[44:45], -1, 0
	s_cmp_lg_u64 s[44:45], 0
	s_addc_u32 s7, s7, 0
	s_waitcnt vmcnt(0)
	v_cmp_ne_u16_sdwa s[44:45], v9, v5 src0_sel:BYTE_0 src1_sel:DWORD
	s_or_b64 s[40:41], s[44:45], s[40:41]
	s_andn2_b64 exec, exec, s[40:41]
	s_cbranch_execnz .LBB1930_56
; %bb.59:                               ;   in Loop: Header=BB1930_53 Depth=1
	s_or_b64 exec, exec, s[40:41]
	s_branch .LBB1930_52
.LBB1930_60:                            ;   in Loop: Header=BB1930_53 Depth=1
                                        ; implicit-def: $vgpr8
                                        ; implicit-def: $vgpr9
	s_cbranch_execz .LBB1930_53
; %bb.61:
	s_and_saveexec_b64 s[38:39], s[16:17]
	s_cbranch_execz .LBB1930_63
; %bb.62:
	s_add_i32 s6, s6, 64
	s_mov_b32 s7, 0
	s_lshl_b64 s[6:7], s[6:7], 3
	s_add_u32 s6, s34, s6
	v_add_u32_e32 v4, v55, v2
	v_mov_b32_e32 v5, 2
	s_addc_u32 s7, s35, s7
	v_mov_b32_e32 v3, 0
	global_store_dwordx2 v3, v[4:5], s[6:7]
	s_movk_i32 s6, 0x3400
	v_add_u32_e64 v3, s6, 0
	ds_write2_b32 v3, v2, v55 offset1:2
.LBB1930_63:
	s_or_b64 exec, exec, s[38:39]
	v_cmp_eq_u32_e32 vcc, 0, v0
	s_and_b64 exec, exec, vcc
	s_cbranch_execz .LBB1930_65
; %bb.64:
	v_mov_b32_e32 v2, 0
	ds_write_b32 v2, v55 offset:12
.LBB1930_65:
	s_or_b64 exec, exec, s[36:37]
	v_mov_b32_e32 v2, 0
	s_waitcnt lgkmcnt(0)
	s_barrier
	ds_read_b32 v2, v2 offset:12
	v_cndmask_b32_e64 v3, v13, v12, s[16:17]
	v_cmp_ne_u32_e32 vcc, 0, v0
	v_cndmask_b32_e32 v3, 0, v3, vcc
	s_movk_i32 s6, 0x3400
	s_waitcnt lgkmcnt(0)
	v_add_u32_e32 v2, v2, v3
	v_add_u32_e32 v3, v2, v41
	v_add_u32_e32 v4, v3, v42
	v_add_u32_e32 v5, v4, v43
	v_add_u32_e32 v6, v5, v40
	v_add_u32_e32 v7, v6, v44
	v_add_u32_e32 v8, v7, v45
	v_add_u32_e32 v9, v8, v46
	v_add_u32_e64 v12, s6, 0
	v_add_u32_e32 v10, v9, v39
	s_barrier
	ds_read2_b32 v[18:19], v12 offset1:2
	v_add_u32_e32 v11, v10, v47
	v_add_u32_e32 v12, v11, v48
	;; [unrolled: 1-line block ×4, first 2 shown]
	s_branch .LBB1930_76
.LBB1930_66:
                                        ; implicit-def: $vgpr19
                                        ; implicit-def: $vgpr2_vgpr3_vgpr4_vgpr5_vgpr6_vgpr7_vgpr8_vgpr9_vgpr10_vgpr11_vgpr12_vgpr13_vgpr14_vgpr15_vgpr16_vgpr17
	s_cbranch_execz .LBB1930_76
; %bb.67:
	s_nop 0
	v_mov_b32_dpp v2, v52 row_shr:1 row_mask:0xf bank_mask:0xf
	v_cndmask_b32_e64 v2, v2, 0, s[14:15]
	v_add_u32_e32 v2, v2, v52
	s_nop 1
	v_mov_b32_dpp v3, v2 row_shr:2 row_mask:0xf bank_mask:0xf
	v_cndmask_b32_e64 v3, 0, v3, s[12:13]
	v_add_u32_e32 v2, v2, v3
	;; [unrolled: 4-line block ×4, first 2 shown]
	s_nop 1
	v_mov_b32_dpp v3, v2 row_bcast:15 row_mask:0xf bank_mask:0xf
	v_cndmask_b32_e64 v3, v3, 0, s[18:19]
	v_add_u32_e32 v2, v2, v3
	s_nop 1
	v_mov_b32_dpp v3, v2 row_bcast:31 row_mask:0xf bank_mask:0xf
	v_cndmask_b32_e64 v3, 0, v3, s[2:3]
	v_add_u32_e32 v2, v2, v3
	s_and_saveexec_b64 s[2:3], s[4:5]
	s_cbranch_execz .LBB1930_69
; %bb.68:
	v_lshlrev_b32_e32 v3, 2, v51
	ds_write_b32 v3, v2
.LBB1930_69:
	s_or_b64 exec, exec, s[2:3]
	v_cmp_gt_u32_e32 vcc, 4, v0
	s_waitcnt lgkmcnt(0)
	s_barrier
	s_and_saveexec_b64 s[2:3], vcc
	s_cbranch_execz .LBB1930_71
; %bb.70:
	ds_read_b32 v3, v1
	v_and_b32_e32 v4, 3, v50
	v_cmp_ne_u32_e32 vcc, 0, v4
	s_waitcnt lgkmcnt(0)
	v_mov_b32_dpp v5, v3 row_shr:1 row_mask:0xf bank_mask:0xf
	v_cndmask_b32_e32 v5, 0, v5, vcc
	v_add_u32_e32 v3, v5, v3
	v_cmp_lt_u32_e32 vcc, 1, v4
	s_nop 0
	v_mov_b32_dpp v5, v3 row_shr:2 row_mask:0xf bank_mask:0xf
	v_cndmask_b32_e32 v4, 0, v5, vcc
	v_add_u32_e32 v3, v3, v4
	ds_write_b32 v1, v3
.LBB1930_71:
	s_or_b64 exec, exec, s[2:3]
	v_cmp_lt_u32_e32 vcc, 63, v0
	v_mov_b32_e32 v4, 0
	v_mov_b32_e32 v3, 0
	s_waitcnt lgkmcnt(0)
	s_barrier
	s_and_saveexec_b64 s[2:3], vcc
	s_cbranch_execz .LBB1930_73
; %bb.72:
	v_lshl_add_u32 v3, v51, 2, -4
	ds_read_b32 v3, v3
.LBB1930_73:
	s_or_b64 exec, exec, s[2:3]
	v_add_u32_e32 v5, -1, v50
	v_and_b32_e32 v6, 64, v50
	v_cmp_lt_i32_e32 vcc, v5, v6
	v_cndmask_b32_e32 v5, v5, v50, vcc
	s_waitcnt lgkmcnt(0)
	v_add_u32_e32 v2, v3, v2
	v_lshlrev_b32_e32 v5, 2, v5
	ds_bpermute_b32 v2, v5, v2
	ds_read_b32 v18, v4 offset:12
	v_cmp_eq_u32_e32 vcc, 0, v0
	s_and_saveexec_b64 s[2:3], vcc
	s_cbranch_execz .LBB1930_75
; %bb.74:
	v_mov_b32_e32 v4, 0
	v_mov_b32_e32 v19, 2
	s_waitcnt lgkmcnt(0)
	global_store_dwordx2 v4, v[18:19], s[34:35] offset:512
.LBB1930_75:
	s_or_b64 exec, exec, s[2:3]
	v_cmp_eq_u32_e64 s[2:3], 0, v50
	s_waitcnt lgkmcnt(1)
	v_cndmask_b32_e64 v2, v2, v3, s[2:3]
	v_cndmask_b32_e64 v2, v2, 0, vcc
	v_add_u32_e32 v3, v2, v41
	v_add_u32_e32 v4, v3, v42
	;; [unrolled: 1-line block ×11, first 2 shown]
	v_mov_b32_e32 v19, 0
	v_add_u32_e32 v14, v13, v38
	s_waitcnt lgkmcnt(0)
	s_barrier
.LBB1930_76:
	s_waitcnt lgkmcnt(0)
	v_add_u32_e32 v33, v18, v33
	v_sub_u32_e32 v2, v2, v19
	v_and_b32_e32 v42, 1, v37
	v_sub_u32_e32 v41, v33, v2
	v_cmp_eq_u32_e32 vcc, 1, v42
	v_cndmask_b32_e32 v2, v41, v2, vcc
	v_lshlrev_b32_e32 v2, 2, v2
	v_lshrrev_b32_e32 v17, 8, v37
	ds_write_b32 v2, v30
	v_sub_u32_e32 v2, v3, v19
	v_sub_u32_e32 v3, v33, v2
	v_and_b32_e32 v17, 1, v17
	v_add_u32_e32 v3, 1, v3
	v_cmp_eq_u32_e32 vcc, 1, v17
	v_cndmask_b32_e32 v2, v3, v2, vcc
	v_lshlrev_b32_e32 v2, 2, v2
	ds_write_b32 v2, v31
	v_sub_u32_e32 v2, v4, v19
	v_mov_b32_e32 v4, 1
	v_sub_u32_e32 v3, v33, v2
	v_and_b32_sdwa v17, v4, v37 dst_sel:DWORD dst_unused:UNUSED_PAD src0_sel:DWORD src1_sel:WORD_1
	v_add_u32_e32 v3, 2, v3
	v_cmp_eq_u32_e32 vcc, 1, v17
	v_cndmask_b32_e32 v2, v3, v2, vcc
	v_lshlrev_b32_e32 v2, 2, v2
	ds_write_b32 v2, v28
	v_sub_u32_e32 v2, v5, v19
	v_sub_u32_e32 v3, v33, v2
	v_and_b32_e32 v5, 1, v40
	v_add_u32_e32 v3, 3, v3
	v_cmp_eq_u32_e32 vcc, 1, v5
	v_cndmask_b32_e32 v2, v3, v2, vcc
	v_lshlrev_b32_e32 v2, 2, v2
	ds_write_b32 v2, v29
	v_sub_u32_e32 v2, v6, v19
	v_sub_u32_e32 v3, v33, v2
	v_and_b32_e32 v5, 1, v36
	v_add_u32_e32 v3, 4, v3
	v_cmp_eq_u32_e32 vcc, 1, v5
	v_cndmask_b32_e32 v2, v3, v2, vcc
	v_lshlrev_b32_e32 v2, 2, v2
	v_lshrrev_b32_e32 v16, 8, v36
	ds_write_b32 v2, v26
	v_sub_u32_e32 v2, v7, v19
	v_sub_u32_e32 v3, v33, v2
	v_and_b32_e32 v5, 1, v16
	v_add_u32_e32 v3, 5, v3
	v_cmp_eq_u32_e32 vcc, 1, v5
	v_cndmask_b32_e32 v2, v3, v2, vcc
	v_lshlrev_b32_e32 v2, 2, v2
	ds_write_b32 v2, v27
	v_sub_u32_e32 v2, v8, v19
	v_sub_u32_e32 v3, v33, v2
	v_and_b32_sdwa v5, v4, v36 dst_sel:DWORD dst_unused:UNUSED_PAD src0_sel:DWORD src1_sel:WORD_1
	v_add_u32_e32 v3, 6, v3
	v_cmp_eq_u32_e32 vcc, 1, v5
	v_cndmask_b32_e32 v2, v3, v2, vcc
	v_lshlrev_b32_e32 v2, 2, v2
	ds_write_b32 v2, v24
	v_sub_u32_e32 v2, v9, v19
	v_sub_u32_e32 v3, v33, v2
	v_and_b32_e32 v5, 1, v39
	v_add_u32_e32 v3, 7, v3
	v_cmp_eq_u32_e32 vcc, 1, v5
	v_cndmask_b32_e32 v2, v3, v2, vcc
	v_lshlrev_b32_e32 v2, 2, v2
	ds_write_b32 v2, v25
	v_sub_u32_e32 v2, v10, v19
	v_sub_u32_e32 v3, v33, v2
	v_and_b32_e32 v5, 1, v35
	v_add_u32_e32 v3, 8, v3
	v_cmp_eq_u32_e32 vcc, 1, v5
	v_cndmask_b32_e32 v2, v3, v2, vcc
	v_lshlrev_b32_e32 v2, 2, v2
	v_lshrrev_b32_e32 v15, 8, v35
	ds_write_b32 v2, v22
	v_sub_u32_e32 v2, v11, v19
	v_sub_u32_e32 v3, v33, v2
	v_and_b32_e32 v5, 1, v15
	v_add_u32_e32 v3, 9, v3
	v_cmp_eq_u32_e32 vcc, 1, v5
	v_cndmask_b32_e32 v2, v3, v2, vcc
	v_lshlrev_b32_e32 v2, 2, v2
	ds_write_b32 v2, v23
	v_sub_u32_e32 v2, v12, v19
	v_sub_u32_e32 v3, v33, v2
	v_and_b32_sdwa v4, v4, v35 dst_sel:DWORD dst_unused:UNUSED_PAD src0_sel:DWORD src1_sel:WORD_1
	v_add_u32_e32 v3, 10, v3
	v_cmp_eq_u32_e32 vcc, 1, v4
	v_cndmask_b32_e32 v2, v3, v2, vcc
	v_lshlrev_b32_e32 v2, 2, v2
	ds_write_b32 v2, v20
	v_sub_u32_e32 v2, v13, v19
	v_sub_u32_e32 v3, v33, v2
	v_and_b32_e32 v4, 1, v38
	v_add_u32_e32 v3, 11, v3
	v_cmp_eq_u32_e32 vcc, 1, v4
	v_cndmask_b32_e32 v2, v3, v2, vcc
	v_lshlrev_b32_e32 v2, 2, v2
	ds_write_b32 v2, v21
	v_sub_u32_e32 v2, v14, v19
	v_sub_u32_e32 v3, v33, v2
	v_and_b32_e32 v4, 1, v34
	v_add_u32_e32 v3, 12, v3
	v_cmp_eq_u32_e32 vcc, 1, v4
	v_cndmask_b32_e32 v2, v3, v2, vcc
	s_add_u32 s2, s28, s42
	v_lshlrev_b32_e32 v2, 2, v2
	s_addc_u32 s3, s29, 0
	ds_write_b32 v2, v32
	s_waitcnt lgkmcnt(0)
	s_barrier
	ds_read2st64_b32 v[12:13], v1 offset1:4
	ds_read2st64_b32 v[10:11], v1 offset0:8 offset1:12
	ds_read2st64_b32 v[8:9], v1 offset0:16 offset1:20
	;; [unrolled: 1-line block ×5, first 2 shown]
	ds_read_b32 v17, v1 offset:12288
	v_mov_b32_e32 v14, s31
	v_add_co_u32_e32 v1, vcc, s30, v19
	s_sub_u32 s2, s26, s2
	v_addc_co_u32_e32 v16, vcc, 0, v14, vcc
	s_subb_u32 s3, s27, s3
	v_mov_b32_e32 v14, s3
	v_add_co_u32_e32 v15, vcc, s2, v18
	v_addc_co_u32_e32 v14, vcc, 0, v14, vcc
	s_and_b64 vcc, exec, s[0:1]
	v_add_co_u32_e64 v19, s[0:1], v15, v1
	v_or_b32_e32 v32, 0x100, v0
	v_or_b32_e32 v31, 0x200, v0
	;; [unrolled: 1-line block ×12, first 2 shown]
	v_addc_co_u32_e64 v21, s[0:1], v14, v16, s[0:1]
	s_cbranch_vccnz .LBB1930_130
; %bb.77:
	v_cmp_ge_u32_e32 vcc, v0, v18
                                        ; implicit-def: $vgpr14_vgpr15
	s_and_saveexec_b64 s[0:1], vcc
	s_xor_b64 s[0:1], exec, s[0:1]
; %bb.78:
	v_not_b32_e32 v14, v0
	v_ashrrev_i32_e32 v15, 31, v14
	v_add_co_u32_e32 v14, vcc, v19, v14
	v_addc_co_u32_e32 v15, vcc, v21, v15, vcc
; %bb.79:
	s_andn2_saveexec_b64 s[0:1], s[0:1]
; %bb.80:
	v_add_co_u32_e32 v14, vcc, v1, v0
	v_addc_co_u32_e32 v15, vcc, 0, v16, vcc
; %bb.81:
	s_or_b64 exec, exec, s[0:1]
	v_lshlrev_b64 v[14:15], 2, v[14:15]
	v_mov_b32_e32 v33, s25
	v_add_co_u32_e32 v14, vcc, s24, v14
	v_addc_co_u32_e32 v15, vcc, v33, v15, vcc
	v_cmp_ge_u32_e32 vcc, v32, v18
	s_waitcnt lgkmcnt(6)
	global_store_dword v[14:15], v12, off
                                        ; implicit-def: $vgpr14_vgpr15
	s_and_saveexec_b64 s[0:1], vcc
	s_xor_b64 s[0:1], exec, s[0:1]
; %bb.82:
	v_xor_b32_e32 v14, 0xfffffeff, v0
	v_ashrrev_i32_e32 v15, 31, v14
	v_add_co_u32_e32 v14, vcc, v19, v14
	v_addc_co_u32_e32 v15, vcc, v21, v15, vcc
; %bb.83:
	s_andn2_saveexec_b64 s[0:1], s[0:1]
; %bb.84:
	v_add_co_u32_e32 v14, vcc, v1, v32
	v_addc_co_u32_e32 v15, vcc, 0, v16, vcc
; %bb.85:
	s_or_b64 exec, exec, s[0:1]
	v_lshlrev_b64 v[14:15], 2, v[14:15]
	v_mov_b32_e32 v33, s25
	v_add_co_u32_e32 v14, vcc, s24, v14
	v_addc_co_u32_e32 v15, vcc, v33, v15, vcc
	v_cmp_ge_u32_e32 vcc, v31, v18
	global_store_dword v[14:15], v13, off
                                        ; implicit-def: $vgpr14_vgpr15
	s_and_saveexec_b64 s[0:1], vcc
	s_xor_b64 s[0:1], exec, s[0:1]
; %bb.86:
	v_xor_b32_e32 v14, 0xfffffdff, v0
	v_ashrrev_i32_e32 v15, 31, v14
	v_add_co_u32_e32 v14, vcc, v19, v14
	v_addc_co_u32_e32 v15, vcc, v21, v15, vcc
; %bb.87:
	s_andn2_saveexec_b64 s[0:1], s[0:1]
; %bb.88:
	v_add_co_u32_e32 v14, vcc, v1, v31
	v_addc_co_u32_e32 v15, vcc, 0, v16, vcc
; %bb.89:
	s_or_b64 exec, exec, s[0:1]
	v_lshlrev_b64 v[14:15], 2, v[14:15]
	v_mov_b32_e32 v33, s25
	v_add_co_u32_e32 v14, vcc, s24, v14
	v_addc_co_u32_e32 v15, vcc, v33, v15, vcc
	v_cmp_ge_u32_e32 vcc, v30, v18
	s_waitcnt lgkmcnt(5)
	global_store_dword v[14:15], v10, off
                                        ; implicit-def: $vgpr14_vgpr15
	s_and_saveexec_b64 s[0:1], vcc
	s_xor_b64 s[0:1], exec, s[0:1]
; %bb.90:
	v_xor_b32_e32 v14, 0xfffffcff, v0
	v_ashrrev_i32_e32 v15, 31, v14
	v_add_co_u32_e32 v14, vcc, v19, v14
	v_addc_co_u32_e32 v15, vcc, v21, v15, vcc
; %bb.91:
	s_andn2_saveexec_b64 s[0:1], s[0:1]
; %bb.92:
	v_add_co_u32_e32 v14, vcc, v1, v30
	v_addc_co_u32_e32 v15, vcc, 0, v16, vcc
; %bb.93:
	s_or_b64 exec, exec, s[0:1]
	v_lshlrev_b64 v[14:15], 2, v[14:15]
	v_mov_b32_e32 v33, s25
	v_add_co_u32_e32 v14, vcc, s24, v14
	v_addc_co_u32_e32 v15, vcc, v33, v15, vcc
	v_cmp_ge_u32_e32 vcc, v29, v18
	global_store_dword v[14:15], v11, off
                                        ; implicit-def: $vgpr14_vgpr15
	s_and_saveexec_b64 s[0:1], vcc
	s_xor_b64 s[0:1], exec, s[0:1]
; %bb.94:
	v_xor_b32_e32 v14, 0xfffffbff, v0
	;; [unrolled: 43-line block ×6, first 2 shown]
	v_ashrrev_i32_e32 v15, 31, v14
	v_add_co_u32_e32 v14, vcc, v19, v14
	v_addc_co_u32_e32 v15, vcc, v21, v15, vcc
; %bb.127:
	s_andn2_saveexec_b64 s[0:1], s[0:1]
; %bb.128:
	v_add_co_u32_e32 v14, vcc, v1, v20
	v_addc_co_u32_e32 v15, vcc, 0, v16, vcc
; %bb.129:
	s_or_b64 exec, exec, s[0:1]
	s_mov_b64 s[0:1], -1
	s_branch .LBB1930_210
.LBB1930_130:
	s_mov_b64 s[0:1], 0
                                        ; implicit-def: $vgpr14_vgpr15
	s_cbranch_execz .LBB1930_210
; %bb.131:
	v_cmp_gt_u32_e32 vcc, s33, v0
	s_and_saveexec_b64 s[2:3], vcc
	s_cbranch_execz .LBB1930_167
; %bb.132:
	v_cmp_ge_u32_e32 vcc, v0, v18
                                        ; implicit-def: $vgpr14_vgpr15
	s_and_saveexec_b64 s[4:5], vcc
	s_xor_b64 s[4:5], exec, s[4:5]
; %bb.133:
	v_not_b32_e32 v14, v0
	v_ashrrev_i32_e32 v15, 31, v14
	v_add_co_u32_e32 v14, vcc, v19, v14
	v_addc_co_u32_e32 v15, vcc, v21, v15, vcc
; %bb.134:
	s_andn2_saveexec_b64 s[4:5], s[4:5]
; %bb.135:
	v_add_co_u32_e32 v14, vcc, v1, v0
	v_addc_co_u32_e32 v15, vcc, 0, v16, vcc
; %bb.136:
	s_or_b64 exec, exec, s[4:5]
	v_lshlrev_b64 v[14:15], 2, v[14:15]
	v_mov_b32_e32 v33, s25
	v_add_co_u32_e32 v14, vcc, s24, v14
	v_addc_co_u32_e32 v15, vcc, v33, v15, vcc
	s_waitcnt lgkmcnt(6)
	global_store_dword v[14:15], v12, off
	s_or_b64 exec, exec, s[2:3]
	v_cmp_gt_u32_e32 vcc, s33, v32
	s_and_saveexec_b64 s[2:3], vcc
	s_cbranch_execnz .LBB1930_168
.LBB1930_137:
	s_or_b64 exec, exec, s[2:3]
	v_cmp_gt_u32_e32 vcc, s33, v31
	s_and_saveexec_b64 s[2:3], vcc
	s_cbranch_execz .LBB1930_173
.LBB1930_138:
	v_cmp_ge_u32_e32 vcc, v31, v18
                                        ; implicit-def: $vgpr12_vgpr13
	s_and_saveexec_b64 s[4:5], vcc
	s_xor_b64 s[4:5], exec, s[4:5]
	s_cbranch_execz .LBB1930_140
; %bb.139:
	s_waitcnt lgkmcnt(6)
	v_xor_b32_e32 v12, 0xfffffdff, v0
	v_ashrrev_i32_e32 v13, 31, v12
	v_add_co_u32_e32 v12, vcc, v19, v12
	v_addc_co_u32_e32 v13, vcc, v21, v13, vcc
                                        ; implicit-def: $vgpr31
.LBB1930_140:
	s_andn2_saveexec_b64 s[4:5], s[4:5]
	s_cbranch_execz .LBB1930_142
; %bb.141:
	s_waitcnt lgkmcnt(6)
	v_add_co_u32_e32 v12, vcc, v1, v31
	v_addc_co_u32_e32 v13, vcc, 0, v16, vcc
.LBB1930_142:
	s_or_b64 exec, exec, s[4:5]
	s_waitcnt lgkmcnt(6)
	v_lshlrev_b64 v[12:13], 2, v[12:13]
	v_mov_b32_e32 v14, s25
	v_add_co_u32_e32 v12, vcc, s24, v12
	v_addc_co_u32_e32 v13, vcc, v14, v13, vcc
	s_waitcnt lgkmcnt(5)
	global_store_dword v[12:13], v10, off
	s_or_b64 exec, exec, s[2:3]
	v_cmp_gt_u32_e32 vcc, s33, v30
	s_and_saveexec_b64 s[2:3], vcc
	s_cbranch_execnz .LBB1930_174
.LBB1930_143:
	s_or_b64 exec, exec, s[2:3]
	v_cmp_gt_u32_e32 vcc, s33, v29
	s_and_saveexec_b64 s[2:3], vcc
	s_cbranch_execz .LBB1930_179
.LBB1930_144:
	v_cmp_ge_u32_e32 vcc, v29, v18
                                        ; implicit-def: $vgpr10_vgpr11
	s_and_saveexec_b64 s[4:5], vcc
	s_xor_b64 s[4:5], exec, s[4:5]
	s_cbranch_execz .LBB1930_146
; %bb.145:
	s_waitcnt lgkmcnt(5)
	v_xor_b32_e32 v10, 0xfffffbff, v0
	v_ashrrev_i32_e32 v11, 31, v10
	v_add_co_u32_e32 v10, vcc, v19, v10
	v_addc_co_u32_e32 v11, vcc, v21, v11, vcc
                                        ; implicit-def: $vgpr29
.LBB1930_146:
	s_andn2_saveexec_b64 s[4:5], s[4:5]
	s_cbranch_execz .LBB1930_148
; %bb.147:
	s_waitcnt lgkmcnt(5)
	v_add_co_u32_e32 v10, vcc, v1, v29
	v_addc_co_u32_e32 v11, vcc, 0, v16, vcc
.LBB1930_148:
	s_or_b64 exec, exec, s[4:5]
	s_waitcnt lgkmcnt(5)
	v_lshlrev_b64 v[10:11], 2, v[10:11]
	v_mov_b32_e32 v12, s25
	v_add_co_u32_e32 v10, vcc, s24, v10
	v_addc_co_u32_e32 v11, vcc, v12, v11, vcc
	s_waitcnt lgkmcnt(4)
	global_store_dword v[10:11], v8, off
	s_or_b64 exec, exec, s[2:3]
	v_cmp_gt_u32_e32 vcc, s33, v28
	s_and_saveexec_b64 s[2:3], vcc
	s_cbranch_execnz .LBB1930_180
.LBB1930_149:
	s_or_b64 exec, exec, s[2:3]
	v_cmp_gt_u32_e32 vcc, s33, v27
	s_and_saveexec_b64 s[2:3], vcc
	s_cbranch_execz .LBB1930_185
.LBB1930_150:
	v_cmp_ge_u32_e32 vcc, v27, v18
                                        ; implicit-def: $vgpr8_vgpr9
	s_and_saveexec_b64 s[4:5], vcc
	s_xor_b64 s[4:5], exec, s[4:5]
	s_cbranch_execz .LBB1930_152
; %bb.151:
	s_waitcnt lgkmcnt(4)
	v_xor_b32_e32 v8, 0xfffff9ff, v0
	v_ashrrev_i32_e32 v9, 31, v8
	v_add_co_u32_e32 v8, vcc, v19, v8
	v_addc_co_u32_e32 v9, vcc, v21, v9, vcc
                                        ; implicit-def: $vgpr27
.LBB1930_152:
	s_andn2_saveexec_b64 s[4:5], s[4:5]
	s_cbranch_execz .LBB1930_154
; %bb.153:
	s_waitcnt lgkmcnt(4)
	v_add_co_u32_e32 v8, vcc, v1, v27
	v_addc_co_u32_e32 v9, vcc, 0, v16, vcc
.LBB1930_154:
	s_or_b64 exec, exec, s[4:5]
	s_waitcnt lgkmcnt(4)
	v_lshlrev_b64 v[8:9], 2, v[8:9]
	v_mov_b32_e32 v10, s25
	v_add_co_u32_e32 v8, vcc, s24, v8
	v_addc_co_u32_e32 v9, vcc, v10, v9, vcc
	s_waitcnt lgkmcnt(3)
	global_store_dword v[8:9], v6, off
	s_or_b64 exec, exec, s[2:3]
	v_cmp_gt_u32_e32 vcc, s33, v26
	s_and_saveexec_b64 s[2:3], vcc
	s_cbranch_execnz .LBB1930_186
.LBB1930_155:
	s_or_b64 exec, exec, s[2:3]
	v_cmp_gt_u32_e32 vcc, s33, v25
	s_and_saveexec_b64 s[2:3], vcc
	s_cbranch_execz .LBB1930_191
.LBB1930_156:
	v_cmp_ge_u32_e32 vcc, v25, v18
                                        ; implicit-def: $vgpr6_vgpr7
	s_and_saveexec_b64 s[4:5], vcc
	s_xor_b64 s[4:5], exec, s[4:5]
	s_cbranch_execz .LBB1930_158
; %bb.157:
	s_waitcnt lgkmcnt(3)
	v_xor_b32_e32 v6, 0xfffff7ff, v0
	v_ashrrev_i32_e32 v7, 31, v6
	v_add_co_u32_e32 v6, vcc, v19, v6
	v_addc_co_u32_e32 v7, vcc, v21, v7, vcc
                                        ; implicit-def: $vgpr25
.LBB1930_158:
	s_andn2_saveexec_b64 s[4:5], s[4:5]
	s_cbranch_execz .LBB1930_160
; %bb.159:
	s_waitcnt lgkmcnt(3)
	v_add_co_u32_e32 v6, vcc, v1, v25
	v_addc_co_u32_e32 v7, vcc, 0, v16, vcc
.LBB1930_160:
	s_or_b64 exec, exec, s[4:5]
	s_waitcnt lgkmcnt(3)
	v_lshlrev_b64 v[6:7], 2, v[6:7]
	v_mov_b32_e32 v8, s25
	v_add_co_u32_e32 v6, vcc, s24, v6
	v_addc_co_u32_e32 v7, vcc, v8, v7, vcc
	s_waitcnt lgkmcnt(2)
	global_store_dword v[6:7], v4, off
	s_or_b64 exec, exec, s[2:3]
	v_cmp_gt_u32_e32 vcc, s33, v24
	s_and_saveexec_b64 s[2:3], vcc
	s_cbranch_execnz .LBB1930_192
.LBB1930_161:
	s_or_b64 exec, exec, s[2:3]
	v_cmp_gt_u32_e32 vcc, s33, v23
	s_and_saveexec_b64 s[2:3], vcc
	s_cbranch_execz .LBB1930_197
.LBB1930_162:
	v_cmp_ge_u32_e32 vcc, v23, v18
                                        ; implicit-def: $vgpr4_vgpr5
	s_and_saveexec_b64 s[4:5], vcc
	s_xor_b64 s[4:5], exec, s[4:5]
	s_cbranch_execz .LBB1930_164
; %bb.163:
	s_waitcnt lgkmcnt(2)
	v_xor_b32_e32 v4, 0xfffff5ff, v0
	v_ashrrev_i32_e32 v5, 31, v4
	v_add_co_u32_e32 v4, vcc, v19, v4
	v_addc_co_u32_e32 v5, vcc, v21, v5, vcc
                                        ; implicit-def: $vgpr23
.LBB1930_164:
	s_andn2_saveexec_b64 s[4:5], s[4:5]
	s_cbranch_execz .LBB1930_166
; %bb.165:
	s_waitcnt lgkmcnt(2)
	v_add_co_u32_e32 v4, vcc, v1, v23
	v_addc_co_u32_e32 v5, vcc, 0, v16, vcc
.LBB1930_166:
	s_or_b64 exec, exec, s[4:5]
	s_waitcnt lgkmcnt(2)
	v_lshlrev_b64 v[4:5], 2, v[4:5]
	v_mov_b32_e32 v6, s25
	v_add_co_u32_e32 v4, vcc, s24, v4
	v_addc_co_u32_e32 v5, vcc, v6, v5, vcc
	s_waitcnt lgkmcnt(1)
	global_store_dword v[4:5], v2, off
	s_or_b64 exec, exec, s[2:3]
	v_cmp_gt_u32_e32 vcc, s33, v22
	s_and_saveexec_b64 s[2:3], vcc
	s_cbranch_execz .LBB1930_203
	s_branch .LBB1930_198
.LBB1930_167:
	s_or_b64 exec, exec, s[2:3]
	v_cmp_gt_u32_e32 vcc, s33, v32
	s_and_saveexec_b64 s[2:3], vcc
	s_cbranch_execz .LBB1930_137
.LBB1930_168:
	v_cmp_ge_u32_e32 vcc, v32, v18
                                        ; implicit-def: $vgpr14_vgpr15
	s_and_saveexec_b64 s[4:5], vcc
	s_xor_b64 s[4:5], exec, s[4:5]
	s_cbranch_execz .LBB1930_170
; %bb.169:
	s_waitcnt lgkmcnt(6)
	v_xor_b32_e32 v12, 0xfffffeff, v0
	v_ashrrev_i32_e32 v15, 31, v12
	v_add_co_u32_e32 v14, vcc, v19, v12
	v_addc_co_u32_e32 v15, vcc, v21, v15, vcc
                                        ; implicit-def: $vgpr32
.LBB1930_170:
	s_andn2_saveexec_b64 s[4:5], s[4:5]
; %bb.171:
	v_add_co_u32_e32 v14, vcc, v1, v32
	v_addc_co_u32_e32 v15, vcc, 0, v16, vcc
; %bb.172:
	s_or_b64 exec, exec, s[4:5]
	v_lshlrev_b64 v[14:15], 2, v[14:15]
	s_waitcnt lgkmcnt(6)
	v_mov_b32_e32 v12, s25
	v_add_co_u32_e32 v14, vcc, s24, v14
	v_addc_co_u32_e32 v15, vcc, v12, v15, vcc
	global_store_dword v[14:15], v13, off
	s_or_b64 exec, exec, s[2:3]
	v_cmp_gt_u32_e32 vcc, s33, v31
	s_and_saveexec_b64 s[2:3], vcc
	s_cbranch_execnz .LBB1930_138
.LBB1930_173:
	s_or_b64 exec, exec, s[2:3]
	v_cmp_gt_u32_e32 vcc, s33, v30
	s_and_saveexec_b64 s[2:3], vcc
	s_cbranch_execz .LBB1930_143
.LBB1930_174:
	v_cmp_ge_u32_e32 vcc, v30, v18
                                        ; implicit-def: $vgpr12_vgpr13
	s_and_saveexec_b64 s[4:5], vcc
	s_xor_b64 s[4:5], exec, s[4:5]
	s_cbranch_execz .LBB1930_176
; %bb.175:
	s_waitcnt lgkmcnt(5)
	v_xor_b32_e32 v10, 0xfffffcff, v0
	v_ashrrev_i32_e32 v13, 31, v10
	v_add_co_u32_e32 v12, vcc, v19, v10
	v_addc_co_u32_e32 v13, vcc, v21, v13, vcc
                                        ; implicit-def: $vgpr30
.LBB1930_176:
	s_andn2_saveexec_b64 s[4:5], s[4:5]
	s_cbranch_execz .LBB1930_178
; %bb.177:
	s_waitcnt lgkmcnt(6)
	v_add_co_u32_e32 v12, vcc, v1, v30
	v_addc_co_u32_e32 v13, vcc, 0, v16, vcc
.LBB1930_178:
	s_or_b64 exec, exec, s[4:5]
	s_waitcnt lgkmcnt(6)
	v_lshlrev_b64 v[12:13], 2, v[12:13]
	s_waitcnt lgkmcnt(5)
	v_mov_b32_e32 v10, s25
	v_add_co_u32_e32 v12, vcc, s24, v12
	v_addc_co_u32_e32 v13, vcc, v10, v13, vcc
	global_store_dword v[12:13], v11, off
	s_or_b64 exec, exec, s[2:3]
	v_cmp_gt_u32_e32 vcc, s33, v29
	s_and_saveexec_b64 s[2:3], vcc
	s_cbranch_execnz .LBB1930_144
.LBB1930_179:
	s_or_b64 exec, exec, s[2:3]
	v_cmp_gt_u32_e32 vcc, s33, v28
	s_and_saveexec_b64 s[2:3], vcc
	s_cbranch_execz .LBB1930_149
.LBB1930_180:
	v_cmp_ge_u32_e32 vcc, v28, v18
                                        ; implicit-def: $vgpr10_vgpr11
	s_and_saveexec_b64 s[4:5], vcc
	s_xor_b64 s[4:5], exec, s[4:5]
	s_cbranch_execz .LBB1930_182
; %bb.181:
	s_waitcnt lgkmcnt(4)
	v_xor_b32_e32 v8, 0xfffffaff, v0
	v_ashrrev_i32_e32 v11, 31, v8
	v_add_co_u32_e32 v10, vcc, v19, v8
	v_addc_co_u32_e32 v11, vcc, v21, v11, vcc
                                        ; implicit-def: $vgpr28
.LBB1930_182:
	s_andn2_saveexec_b64 s[4:5], s[4:5]
	s_cbranch_execz .LBB1930_184
; %bb.183:
	s_waitcnt lgkmcnt(5)
	v_add_co_u32_e32 v10, vcc, v1, v28
	v_addc_co_u32_e32 v11, vcc, 0, v16, vcc
.LBB1930_184:
	s_or_b64 exec, exec, s[4:5]
	s_waitcnt lgkmcnt(5)
	v_lshlrev_b64 v[10:11], 2, v[10:11]
	s_waitcnt lgkmcnt(4)
	v_mov_b32_e32 v8, s25
	v_add_co_u32_e32 v10, vcc, s24, v10
	v_addc_co_u32_e32 v11, vcc, v8, v11, vcc
	global_store_dword v[10:11], v9, off
	s_or_b64 exec, exec, s[2:3]
	v_cmp_gt_u32_e32 vcc, s33, v27
	s_and_saveexec_b64 s[2:3], vcc
	s_cbranch_execnz .LBB1930_150
.LBB1930_185:
	s_or_b64 exec, exec, s[2:3]
	v_cmp_gt_u32_e32 vcc, s33, v26
	s_and_saveexec_b64 s[2:3], vcc
	s_cbranch_execz .LBB1930_155
.LBB1930_186:
	v_cmp_ge_u32_e32 vcc, v26, v18
                                        ; implicit-def: $vgpr8_vgpr9
	s_and_saveexec_b64 s[4:5], vcc
	s_xor_b64 s[4:5], exec, s[4:5]
	s_cbranch_execz .LBB1930_188
; %bb.187:
	s_waitcnt lgkmcnt(3)
	v_xor_b32_e32 v6, 0xfffff8ff, v0
	v_ashrrev_i32_e32 v9, 31, v6
	v_add_co_u32_e32 v8, vcc, v19, v6
	v_addc_co_u32_e32 v9, vcc, v21, v9, vcc
                                        ; implicit-def: $vgpr26
.LBB1930_188:
	s_andn2_saveexec_b64 s[4:5], s[4:5]
	s_cbranch_execz .LBB1930_190
; %bb.189:
	s_waitcnt lgkmcnt(4)
	v_add_co_u32_e32 v8, vcc, v1, v26
	v_addc_co_u32_e32 v9, vcc, 0, v16, vcc
.LBB1930_190:
	s_or_b64 exec, exec, s[4:5]
	s_waitcnt lgkmcnt(4)
	v_lshlrev_b64 v[8:9], 2, v[8:9]
	s_waitcnt lgkmcnt(3)
	v_mov_b32_e32 v6, s25
	v_add_co_u32_e32 v8, vcc, s24, v8
	v_addc_co_u32_e32 v9, vcc, v6, v9, vcc
	global_store_dword v[8:9], v7, off
	s_or_b64 exec, exec, s[2:3]
	v_cmp_gt_u32_e32 vcc, s33, v25
	s_and_saveexec_b64 s[2:3], vcc
	s_cbranch_execnz .LBB1930_156
.LBB1930_191:
	s_or_b64 exec, exec, s[2:3]
	v_cmp_gt_u32_e32 vcc, s33, v24
	s_and_saveexec_b64 s[2:3], vcc
	s_cbranch_execz .LBB1930_161
.LBB1930_192:
	v_cmp_ge_u32_e32 vcc, v24, v18
                                        ; implicit-def: $vgpr6_vgpr7
	s_and_saveexec_b64 s[4:5], vcc
	s_xor_b64 s[4:5], exec, s[4:5]
	s_cbranch_execz .LBB1930_194
; %bb.193:
	s_waitcnt lgkmcnt(2)
	v_xor_b32_e32 v4, 0xfffff6ff, v0
	v_ashrrev_i32_e32 v7, 31, v4
	v_add_co_u32_e32 v6, vcc, v19, v4
	v_addc_co_u32_e32 v7, vcc, v21, v7, vcc
                                        ; implicit-def: $vgpr24
.LBB1930_194:
	s_andn2_saveexec_b64 s[4:5], s[4:5]
	s_cbranch_execz .LBB1930_196
; %bb.195:
	s_waitcnt lgkmcnt(3)
	v_add_co_u32_e32 v6, vcc, v1, v24
	v_addc_co_u32_e32 v7, vcc, 0, v16, vcc
.LBB1930_196:
	s_or_b64 exec, exec, s[4:5]
	s_waitcnt lgkmcnt(3)
	v_lshlrev_b64 v[6:7], 2, v[6:7]
	s_waitcnt lgkmcnt(2)
	v_mov_b32_e32 v4, s25
	v_add_co_u32_e32 v6, vcc, s24, v6
	v_addc_co_u32_e32 v7, vcc, v4, v7, vcc
	global_store_dword v[6:7], v5, off
	s_or_b64 exec, exec, s[2:3]
	v_cmp_gt_u32_e32 vcc, s33, v23
	s_and_saveexec_b64 s[2:3], vcc
	s_cbranch_execnz .LBB1930_162
.LBB1930_197:
	s_or_b64 exec, exec, s[2:3]
	v_cmp_gt_u32_e32 vcc, s33, v22
	s_and_saveexec_b64 s[2:3], vcc
	s_cbranch_execz .LBB1930_203
.LBB1930_198:
	v_cmp_ge_u32_e32 vcc, v22, v18
                                        ; implicit-def: $vgpr4_vgpr5
	s_and_saveexec_b64 s[4:5], vcc
	s_xor_b64 s[4:5], exec, s[4:5]
	s_cbranch_execz .LBB1930_200
; %bb.199:
	s_waitcnt lgkmcnt(1)
	v_xor_b32_e32 v2, 0xfffff4ff, v0
	v_ashrrev_i32_e32 v5, 31, v2
	v_add_co_u32_e32 v4, vcc, v19, v2
	v_addc_co_u32_e32 v5, vcc, v21, v5, vcc
                                        ; implicit-def: $vgpr22
.LBB1930_200:
	s_andn2_saveexec_b64 s[4:5], s[4:5]
	s_cbranch_execz .LBB1930_202
; %bb.201:
	s_waitcnt lgkmcnt(2)
	v_add_co_u32_e32 v4, vcc, v1, v22
	v_addc_co_u32_e32 v5, vcc, 0, v16, vcc
.LBB1930_202:
	s_or_b64 exec, exec, s[4:5]
	s_waitcnt lgkmcnt(2)
	v_lshlrev_b64 v[4:5], 2, v[4:5]
	s_waitcnt lgkmcnt(1)
	v_mov_b32_e32 v2, s25
	v_add_co_u32_e32 v4, vcc, s24, v4
	v_addc_co_u32_e32 v5, vcc, v2, v5, vcc
	global_store_dword v[4:5], v3, off
.LBB1930_203:
	s_or_b64 exec, exec, s[2:3]
	v_cmp_gt_u32_e32 vcc, s33, v20
                                        ; implicit-def: $vgpr14_vgpr15
	s_and_saveexec_b64 s[2:3], vcc
	s_cbranch_execz .LBB1930_209
; %bb.204:
	v_cmp_ge_u32_e32 vcc, v20, v18
                                        ; implicit-def: $vgpr14_vgpr15
	s_and_saveexec_b64 s[4:5], vcc
	s_xor_b64 s[4:5], exec, s[4:5]
	s_cbranch_execz .LBB1930_206
; %bb.205:
	s_waitcnt lgkmcnt(1)
	v_xor_b32_e32 v2, 0xfffff3ff, v0
	v_ashrrev_i32_e32 v3, 31, v2
	v_add_co_u32_e32 v14, vcc, v19, v2
	v_addc_co_u32_e32 v15, vcc, v21, v3, vcc
                                        ; implicit-def: $vgpr20
.LBB1930_206:
	s_andn2_saveexec_b64 s[4:5], s[4:5]
; %bb.207:
	v_add_co_u32_e32 v14, vcc, v1, v20
	v_addc_co_u32_e32 v15, vcc, 0, v16, vcc
; %bb.208:
	s_or_b64 exec, exec, s[4:5]
	s_or_b64 s[0:1], s[0:1], exec
.LBB1930_209:
	s_or_b64 exec, exec, s[2:3]
.LBB1930_210:
	s_and_saveexec_b64 s[2:3], s[0:1]
	s_cbranch_execz .LBB1930_212
; %bb.211:
	s_waitcnt lgkmcnt(1)
	v_lshlrev_b64 v[2:3], 2, v[14:15]
	v_mov_b32_e32 v4, s25
	v_add_co_u32_e32 v2, vcc, s24, v2
	v_addc_co_u32_e32 v3, vcc, v4, v3, vcc
	s_waitcnt lgkmcnt(0)
	global_store_dword v[2:3], v17, off
.LBB1930_212:
	s_or_b64 exec, exec, s[2:3]
	v_cmp_eq_u32_e32 vcc, 0, v0
	s_and_b64 s[0:1], vcc, s[22:23]
	s_and_saveexec_b64 s[2:3], s[0:1]
	s_cbranch_execz .LBB1930_214
; %bb.213:
	v_add_co_u32_e32 v0, vcc, v1, v18
	s_waitcnt lgkmcnt(1)
	v_mov_b32_e32 v2, 0
	v_addc_co_u32_e32 v1, vcc, 0, v16, vcc
	global_store_dwordx2 v2, v[0:1], s[20:21]
.LBB1930_214:
	s_endpgm
	.section	.rodata,"a",@progbits
	.p2align	6, 0x0
	.amdhsa_kernel _ZN7rocprim17ROCPRIM_400000_NS6detail17trampoline_kernelINS0_13select_configILj256ELj13ELNS0_17block_load_methodE3ELS4_3ELS4_3ELNS0_20block_scan_algorithmE0ELj4294967295EEENS1_25partition_config_selectorILNS1_17partition_subalgoE3EjNS0_10empty_typeEbEEZZNS1_14partition_implILS8_3ELb0ES6_jNS0_17counting_iteratorIjlEEPS9_SE_NS0_5tupleIJPjSE_EEENSF_IJSE_SE_EEES9_SG_JZNS1_25segmented_radix_sort_implINS0_14default_configELb1EPK12hip_bfloat16PSL_PKlPlN2at6native12_GLOBAL__N_18offset_tEEE10hipError_tPvRmT1_PNSt15iterator_traitsISZ_E10value_typeET2_T3_PNS10_IS15_E10value_typeET4_jRbjT5_S1B_jjP12ihipStream_tbEUljE_EEESW_SX_SY_S15_S19_S1B_T6_T7_T9_mT8_S1D_bDpT10_ENKUlT_T0_E_clISt17integral_constantIbLb1EES1P_IbLb0EEEEDaS1L_S1M_EUlS1L_E_NS1_11comp_targetILNS1_3genE4ELNS1_11target_archE910ELNS1_3gpuE8ELNS1_3repE0EEENS1_30default_config_static_selectorELNS0_4arch9wavefront6targetE1EEEvSZ_
		.amdhsa_group_segment_fixed_size 13324
		.amdhsa_private_segment_fixed_size 0
		.amdhsa_kernarg_size 144
		.amdhsa_user_sgpr_count 6
		.amdhsa_user_sgpr_private_segment_buffer 1
		.amdhsa_user_sgpr_dispatch_ptr 0
		.amdhsa_user_sgpr_queue_ptr 0
		.amdhsa_user_sgpr_kernarg_segment_ptr 1
		.amdhsa_user_sgpr_dispatch_id 0
		.amdhsa_user_sgpr_flat_scratch_init 0
		.amdhsa_user_sgpr_kernarg_preload_length 0
		.amdhsa_user_sgpr_kernarg_preload_offset 0
		.amdhsa_user_sgpr_private_segment_size 0
		.amdhsa_uses_dynamic_stack 0
		.amdhsa_system_sgpr_private_segment_wavefront_offset 0
		.amdhsa_system_sgpr_workgroup_id_x 1
		.amdhsa_system_sgpr_workgroup_id_y 0
		.amdhsa_system_sgpr_workgroup_id_z 0
		.amdhsa_system_sgpr_workgroup_info 0
		.amdhsa_system_vgpr_workitem_id 0
		.amdhsa_next_free_vgpr 61
		.amdhsa_next_free_sgpr 46
		.amdhsa_accum_offset 64
		.amdhsa_reserve_vcc 1
		.amdhsa_reserve_flat_scratch 0
		.amdhsa_float_round_mode_32 0
		.amdhsa_float_round_mode_16_64 0
		.amdhsa_float_denorm_mode_32 3
		.amdhsa_float_denorm_mode_16_64 3
		.amdhsa_dx10_clamp 1
		.amdhsa_ieee_mode 1
		.amdhsa_fp16_overflow 0
		.amdhsa_tg_split 0
		.amdhsa_exception_fp_ieee_invalid_op 0
		.amdhsa_exception_fp_denorm_src 0
		.amdhsa_exception_fp_ieee_div_zero 0
		.amdhsa_exception_fp_ieee_overflow 0
		.amdhsa_exception_fp_ieee_underflow 0
		.amdhsa_exception_fp_ieee_inexact 0
		.amdhsa_exception_int_div_zero 0
	.end_amdhsa_kernel
	.section	.text._ZN7rocprim17ROCPRIM_400000_NS6detail17trampoline_kernelINS0_13select_configILj256ELj13ELNS0_17block_load_methodE3ELS4_3ELS4_3ELNS0_20block_scan_algorithmE0ELj4294967295EEENS1_25partition_config_selectorILNS1_17partition_subalgoE3EjNS0_10empty_typeEbEEZZNS1_14partition_implILS8_3ELb0ES6_jNS0_17counting_iteratorIjlEEPS9_SE_NS0_5tupleIJPjSE_EEENSF_IJSE_SE_EEES9_SG_JZNS1_25segmented_radix_sort_implINS0_14default_configELb1EPK12hip_bfloat16PSL_PKlPlN2at6native12_GLOBAL__N_18offset_tEEE10hipError_tPvRmT1_PNSt15iterator_traitsISZ_E10value_typeET2_T3_PNS10_IS15_E10value_typeET4_jRbjT5_S1B_jjP12ihipStream_tbEUljE_EEESW_SX_SY_S15_S19_S1B_T6_T7_T9_mT8_S1D_bDpT10_ENKUlT_T0_E_clISt17integral_constantIbLb1EES1P_IbLb0EEEEDaS1L_S1M_EUlS1L_E_NS1_11comp_targetILNS1_3genE4ELNS1_11target_archE910ELNS1_3gpuE8ELNS1_3repE0EEENS1_30default_config_static_selectorELNS0_4arch9wavefront6targetE1EEEvSZ_,"axG",@progbits,_ZN7rocprim17ROCPRIM_400000_NS6detail17trampoline_kernelINS0_13select_configILj256ELj13ELNS0_17block_load_methodE3ELS4_3ELS4_3ELNS0_20block_scan_algorithmE0ELj4294967295EEENS1_25partition_config_selectorILNS1_17partition_subalgoE3EjNS0_10empty_typeEbEEZZNS1_14partition_implILS8_3ELb0ES6_jNS0_17counting_iteratorIjlEEPS9_SE_NS0_5tupleIJPjSE_EEENSF_IJSE_SE_EEES9_SG_JZNS1_25segmented_radix_sort_implINS0_14default_configELb1EPK12hip_bfloat16PSL_PKlPlN2at6native12_GLOBAL__N_18offset_tEEE10hipError_tPvRmT1_PNSt15iterator_traitsISZ_E10value_typeET2_T3_PNS10_IS15_E10value_typeET4_jRbjT5_S1B_jjP12ihipStream_tbEUljE_EEESW_SX_SY_S15_S19_S1B_T6_T7_T9_mT8_S1D_bDpT10_ENKUlT_T0_E_clISt17integral_constantIbLb1EES1P_IbLb0EEEEDaS1L_S1M_EUlS1L_E_NS1_11comp_targetILNS1_3genE4ELNS1_11target_archE910ELNS1_3gpuE8ELNS1_3repE0EEENS1_30default_config_static_selectorELNS0_4arch9wavefront6targetE1EEEvSZ_,comdat
.Lfunc_end1930:
	.size	_ZN7rocprim17ROCPRIM_400000_NS6detail17trampoline_kernelINS0_13select_configILj256ELj13ELNS0_17block_load_methodE3ELS4_3ELS4_3ELNS0_20block_scan_algorithmE0ELj4294967295EEENS1_25partition_config_selectorILNS1_17partition_subalgoE3EjNS0_10empty_typeEbEEZZNS1_14partition_implILS8_3ELb0ES6_jNS0_17counting_iteratorIjlEEPS9_SE_NS0_5tupleIJPjSE_EEENSF_IJSE_SE_EEES9_SG_JZNS1_25segmented_radix_sort_implINS0_14default_configELb1EPK12hip_bfloat16PSL_PKlPlN2at6native12_GLOBAL__N_18offset_tEEE10hipError_tPvRmT1_PNSt15iterator_traitsISZ_E10value_typeET2_T3_PNS10_IS15_E10value_typeET4_jRbjT5_S1B_jjP12ihipStream_tbEUljE_EEESW_SX_SY_S15_S19_S1B_T6_T7_T9_mT8_S1D_bDpT10_ENKUlT_T0_E_clISt17integral_constantIbLb1EES1P_IbLb0EEEEDaS1L_S1M_EUlS1L_E_NS1_11comp_targetILNS1_3genE4ELNS1_11target_archE910ELNS1_3gpuE8ELNS1_3repE0EEENS1_30default_config_static_selectorELNS0_4arch9wavefront6targetE1EEEvSZ_, .Lfunc_end1930-_ZN7rocprim17ROCPRIM_400000_NS6detail17trampoline_kernelINS0_13select_configILj256ELj13ELNS0_17block_load_methodE3ELS4_3ELS4_3ELNS0_20block_scan_algorithmE0ELj4294967295EEENS1_25partition_config_selectorILNS1_17partition_subalgoE3EjNS0_10empty_typeEbEEZZNS1_14partition_implILS8_3ELb0ES6_jNS0_17counting_iteratorIjlEEPS9_SE_NS0_5tupleIJPjSE_EEENSF_IJSE_SE_EEES9_SG_JZNS1_25segmented_radix_sort_implINS0_14default_configELb1EPK12hip_bfloat16PSL_PKlPlN2at6native12_GLOBAL__N_18offset_tEEE10hipError_tPvRmT1_PNSt15iterator_traitsISZ_E10value_typeET2_T3_PNS10_IS15_E10value_typeET4_jRbjT5_S1B_jjP12ihipStream_tbEUljE_EEESW_SX_SY_S15_S19_S1B_T6_T7_T9_mT8_S1D_bDpT10_ENKUlT_T0_E_clISt17integral_constantIbLb1EES1P_IbLb0EEEEDaS1L_S1M_EUlS1L_E_NS1_11comp_targetILNS1_3genE4ELNS1_11target_archE910ELNS1_3gpuE8ELNS1_3repE0EEENS1_30default_config_static_selectorELNS0_4arch9wavefront6targetE1EEEvSZ_
                                        ; -- End function
	.section	.AMDGPU.csdata,"",@progbits
; Kernel info:
; codeLenInByte = 7756
; NumSgprs: 50
; NumVgprs: 61
; NumAgprs: 0
; TotalNumVgprs: 61
; ScratchSize: 0
; MemoryBound: 0
; FloatMode: 240
; IeeeMode: 1
; LDSByteSize: 13324 bytes/workgroup (compile time only)
; SGPRBlocks: 6
; VGPRBlocks: 7
; NumSGPRsForWavesPerEU: 50
; NumVGPRsForWavesPerEU: 61
; AccumOffset: 64
; Occupancy: 4
; WaveLimiterHint : 0
; COMPUTE_PGM_RSRC2:SCRATCH_EN: 0
; COMPUTE_PGM_RSRC2:USER_SGPR: 6
; COMPUTE_PGM_RSRC2:TRAP_HANDLER: 0
; COMPUTE_PGM_RSRC2:TGID_X_EN: 1
; COMPUTE_PGM_RSRC2:TGID_Y_EN: 0
; COMPUTE_PGM_RSRC2:TGID_Z_EN: 0
; COMPUTE_PGM_RSRC2:TIDIG_COMP_CNT: 0
; COMPUTE_PGM_RSRC3_GFX90A:ACCUM_OFFSET: 15
; COMPUTE_PGM_RSRC3_GFX90A:TG_SPLIT: 0
	.section	.text._ZN7rocprim17ROCPRIM_400000_NS6detail17trampoline_kernelINS0_13select_configILj256ELj13ELNS0_17block_load_methodE3ELS4_3ELS4_3ELNS0_20block_scan_algorithmE0ELj4294967295EEENS1_25partition_config_selectorILNS1_17partition_subalgoE3EjNS0_10empty_typeEbEEZZNS1_14partition_implILS8_3ELb0ES6_jNS0_17counting_iteratorIjlEEPS9_SE_NS0_5tupleIJPjSE_EEENSF_IJSE_SE_EEES9_SG_JZNS1_25segmented_radix_sort_implINS0_14default_configELb1EPK12hip_bfloat16PSL_PKlPlN2at6native12_GLOBAL__N_18offset_tEEE10hipError_tPvRmT1_PNSt15iterator_traitsISZ_E10value_typeET2_T3_PNS10_IS15_E10value_typeET4_jRbjT5_S1B_jjP12ihipStream_tbEUljE_EEESW_SX_SY_S15_S19_S1B_T6_T7_T9_mT8_S1D_bDpT10_ENKUlT_T0_E_clISt17integral_constantIbLb1EES1P_IbLb0EEEEDaS1L_S1M_EUlS1L_E_NS1_11comp_targetILNS1_3genE3ELNS1_11target_archE908ELNS1_3gpuE7ELNS1_3repE0EEENS1_30default_config_static_selectorELNS0_4arch9wavefront6targetE1EEEvSZ_,"axG",@progbits,_ZN7rocprim17ROCPRIM_400000_NS6detail17trampoline_kernelINS0_13select_configILj256ELj13ELNS0_17block_load_methodE3ELS4_3ELS4_3ELNS0_20block_scan_algorithmE0ELj4294967295EEENS1_25partition_config_selectorILNS1_17partition_subalgoE3EjNS0_10empty_typeEbEEZZNS1_14partition_implILS8_3ELb0ES6_jNS0_17counting_iteratorIjlEEPS9_SE_NS0_5tupleIJPjSE_EEENSF_IJSE_SE_EEES9_SG_JZNS1_25segmented_radix_sort_implINS0_14default_configELb1EPK12hip_bfloat16PSL_PKlPlN2at6native12_GLOBAL__N_18offset_tEEE10hipError_tPvRmT1_PNSt15iterator_traitsISZ_E10value_typeET2_T3_PNS10_IS15_E10value_typeET4_jRbjT5_S1B_jjP12ihipStream_tbEUljE_EEESW_SX_SY_S15_S19_S1B_T6_T7_T9_mT8_S1D_bDpT10_ENKUlT_T0_E_clISt17integral_constantIbLb1EES1P_IbLb0EEEEDaS1L_S1M_EUlS1L_E_NS1_11comp_targetILNS1_3genE3ELNS1_11target_archE908ELNS1_3gpuE7ELNS1_3repE0EEENS1_30default_config_static_selectorELNS0_4arch9wavefront6targetE1EEEvSZ_,comdat
	.globl	_ZN7rocprim17ROCPRIM_400000_NS6detail17trampoline_kernelINS0_13select_configILj256ELj13ELNS0_17block_load_methodE3ELS4_3ELS4_3ELNS0_20block_scan_algorithmE0ELj4294967295EEENS1_25partition_config_selectorILNS1_17partition_subalgoE3EjNS0_10empty_typeEbEEZZNS1_14partition_implILS8_3ELb0ES6_jNS0_17counting_iteratorIjlEEPS9_SE_NS0_5tupleIJPjSE_EEENSF_IJSE_SE_EEES9_SG_JZNS1_25segmented_radix_sort_implINS0_14default_configELb1EPK12hip_bfloat16PSL_PKlPlN2at6native12_GLOBAL__N_18offset_tEEE10hipError_tPvRmT1_PNSt15iterator_traitsISZ_E10value_typeET2_T3_PNS10_IS15_E10value_typeET4_jRbjT5_S1B_jjP12ihipStream_tbEUljE_EEESW_SX_SY_S15_S19_S1B_T6_T7_T9_mT8_S1D_bDpT10_ENKUlT_T0_E_clISt17integral_constantIbLb1EES1P_IbLb0EEEEDaS1L_S1M_EUlS1L_E_NS1_11comp_targetILNS1_3genE3ELNS1_11target_archE908ELNS1_3gpuE7ELNS1_3repE0EEENS1_30default_config_static_selectorELNS0_4arch9wavefront6targetE1EEEvSZ_ ; -- Begin function _ZN7rocprim17ROCPRIM_400000_NS6detail17trampoline_kernelINS0_13select_configILj256ELj13ELNS0_17block_load_methodE3ELS4_3ELS4_3ELNS0_20block_scan_algorithmE0ELj4294967295EEENS1_25partition_config_selectorILNS1_17partition_subalgoE3EjNS0_10empty_typeEbEEZZNS1_14partition_implILS8_3ELb0ES6_jNS0_17counting_iteratorIjlEEPS9_SE_NS0_5tupleIJPjSE_EEENSF_IJSE_SE_EEES9_SG_JZNS1_25segmented_radix_sort_implINS0_14default_configELb1EPK12hip_bfloat16PSL_PKlPlN2at6native12_GLOBAL__N_18offset_tEEE10hipError_tPvRmT1_PNSt15iterator_traitsISZ_E10value_typeET2_T3_PNS10_IS15_E10value_typeET4_jRbjT5_S1B_jjP12ihipStream_tbEUljE_EEESW_SX_SY_S15_S19_S1B_T6_T7_T9_mT8_S1D_bDpT10_ENKUlT_T0_E_clISt17integral_constantIbLb1EES1P_IbLb0EEEEDaS1L_S1M_EUlS1L_E_NS1_11comp_targetILNS1_3genE3ELNS1_11target_archE908ELNS1_3gpuE7ELNS1_3repE0EEENS1_30default_config_static_selectorELNS0_4arch9wavefront6targetE1EEEvSZ_
	.p2align	8
	.type	_ZN7rocprim17ROCPRIM_400000_NS6detail17trampoline_kernelINS0_13select_configILj256ELj13ELNS0_17block_load_methodE3ELS4_3ELS4_3ELNS0_20block_scan_algorithmE0ELj4294967295EEENS1_25partition_config_selectorILNS1_17partition_subalgoE3EjNS0_10empty_typeEbEEZZNS1_14partition_implILS8_3ELb0ES6_jNS0_17counting_iteratorIjlEEPS9_SE_NS0_5tupleIJPjSE_EEENSF_IJSE_SE_EEES9_SG_JZNS1_25segmented_radix_sort_implINS0_14default_configELb1EPK12hip_bfloat16PSL_PKlPlN2at6native12_GLOBAL__N_18offset_tEEE10hipError_tPvRmT1_PNSt15iterator_traitsISZ_E10value_typeET2_T3_PNS10_IS15_E10value_typeET4_jRbjT5_S1B_jjP12ihipStream_tbEUljE_EEESW_SX_SY_S15_S19_S1B_T6_T7_T9_mT8_S1D_bDpT10_ENKUlT_T0_E_clISt17integral_constantIbLb1EES1P_IbLb0EEEEDaS1L_S1M_EUlS1L_E_NS1_11comp_targetILNS1_3genE3ELNS1_11target_archE908ELNS1_3gpuE7ELNS1_3repE0EEENS1_30default_config_static_selectorELNS0_4arch9wavefront6targetE1EEEvSZ_,@function
_ZN7rocprim17ROCPRIM_400000_NS6detail17trampoline_kernelINS0_13select_configILj256ELj13ELNS0_17block_load_methodE3ELS4_3ELS4_3ELNS0_20block_scan_algorithmE0ELj4294967295EEENS1_25partition_config_selectorILNS1_17partition_subalgoE3EjNS0_10empty_typeEbEEZZNS1_14partition_implILS8_3ELb0ES6_jNS0_17counting_iteratorIjlEEPS9_SE_NS0_5tupleIJPjSE_EEENSF_IJSE_SE_EEES9_SG_JZNS1_25segmented_radix_sort_implINS0_14default_configELb1EPK12hip_bfloat16PSL_PKlPlN2at6native12_GLOBAL__N_18offset_tEEE10hipError_tPvRmT1_PNSt15iterator_traitsISZ_E10value_typeET2_T3_PNS10_IS15_E10value_typeET4_jRbjT5_S1B_jjP12ihipStream_tbEUljE_EEESW_SX_SY_S15_S19_S1B_T6_T7_T9_mT8_S1D_bDpT10_ENKUlT_T0_E_clISt17integral_constantIbLb1EES1P_IbLb0EEEEDaS1L_S1M_EUlS1L_E_NS1_11comp_targetILNS1_3genE3ELNS1_11target_archE908ELNS1_3gpuE7ELNS1_3repE0EEENS1_30default_config_static_selectorELNS0_4arch9wavefront6targetE1EEEvSZ_: ; @_ZN7rocprim17ROCPRIM_400000_NS6detail17trampoline_kernelINS0_13select_configILj256ELj13ELNS0_17block_load_methodE3ELS4_3ELS4_3ELNS0_20block_scan_algorithmE0ELj4294967295EEENS1_25partition_config_selectorILNS1_17partition_subalgoE3EjNS0_10empty_typeEbEEZZNS1_14partition_implILS8_3ELb0ES6_jNS0_17counting_iteratorIjlEEPS9_SE_NS0_5tupleIJPjSE_EEENSF_IJSE_SE_EEES9_SG_JZNS1_25segmented_radix_sort_implINS0_14default_configELb1EPK12hip_bfloat16PSL_PKlPlN2at6native12_GLOBAL__N_18offset_tEEE10hipError_tPvRmT1_PNSt15iterator_traitsISZ_E10value_typeET2_T3_PNS10_IS15_E10value_typeET4_jRbjT5_S1B_jjP12ihipStream_tbEUljE_EEESW_SX_SY_S15_S19_S1B_T6_T7_T9_mT8_S1D_bDpT10_ENKUlT_T0_E_clISt17integral_constantIbLb1EES1P_IbLb0EEEEDaS1L_S1M_EUlS1L_E_NS1_11comp_targetILNS1_3genE3ELNS1_11target_archE908ELNS1_3gpuE7ELNS1_3repE0EEENS1_30default_config_static_selectorELNS0_4arch9wavefront6targetE1EEEvSZ_
; %bb.0:
	.section	.rodata,"a",@progbits
	.p2align	6, 0x0
	.amdhsa_kernel _ZN7rocprim17ROCPRIM_400000_NS6detail17trampoline_kernelINS0_13select_configILj256ELj13ELNS0_17block_load_methodE3ELS4_3ELS4_3ELNS0_20block_scan_algorithmE0ELj4294967295EEENS1_25partition_config_selectorILNS1_17partition_subalgoE3EjNS0_10empty_typeEbEEZZNS1_14partition_implILS8_3ELb0ES6_jNS0_17counting_iteratorIjlEEPS9_SE_NS0_5tupleIJPjSE_EEENSF_IJSE_SE_EEES9_SG_JZNS1_25segmented_radix_sort_implINS0_14default_configELb1EPK12hip_bfloat16PSL_PKlPlN2at6native12_GLOBAL__N_18offset_tEEE10hipError_tPvRmT1_PNSt15iterator_traitsISZ_E10value_typeET2_T3_PNS10_IS15_E10value_typeET4_jRbjT5_S1B_jjP12ihipStream_tbEUljE_EEESW_SX_SY_S15_S19_S1B_T6_T7_T9_mT8_S1D_bDpT10_ENKUlT_T0_E_clISt17integral_constantIbLb1EES1P_IbLb0EEEEDaS1L_S1M_EUlS1L_E_NS1_11comp_targetILNS1_3genE3ELNS1_11target_archE908ELNS1_3gpuE7ELNS1_3repE0EEENS1_30default_config_static_selectorELNS0_4arch9wavefront6targetE1EEEvSZ_
		.amdhsa_group_segment_fixed_size 0
		.amdhsa_private_segment_fixed_size 0
		.amdhsa_kernarg_size 144
		.amdhsa_user_sgpr_count 6
		.amdhsa_user_sgpr_private_segment_buffer 1
		.amdhsa_user_sgpr_dispatch_ptr 0
		.amdhsa_user_sgpr_queue_ptr 0
		.amdhsa_user_sgpr_kernarg_segment_ptr 1
		.amdhsa_user_sgpr_dispatch_id 0
		.amdhsa_user_sgpr_flat_scratch_init 0
		.amdhsa_user_sgpr_kernarg_preload_length 0
		.amdhsa_user_sgpr_kernarg_preload_offset 0
		.amdhsa_user_sgpr_private_segment_size 0
		.amdhsa_uses_dynamic_stack 0
		.amdhsa_system_sgpr_private_segment_wavefront_offset 0
		.amdhsa_system_sgpr_workgroup_id_x 1
		.amdhsa_system_sgpr_workgroup_id_y 0
		.amdhsa_system_sgpr_workgroup_id_z 0
		.amdhsa_system_sgpr_workgroup_info 0
		.amdhsa_system_vgpr_workitem_id 0
		.amdhsa_next_free_vgpr 1
		.amdhsa_next_free_sgpr 0
		.amdhsa_accum_offset 4
		.amdhsa_reserve_vcc 0
		.amdhsa_reserve_flat_scratch 0
		.amdhsa_float_round_mode_32 0
		.amdhsa_float_round_mode_16_64 0
		.amdhsa_float_denorm_mode_32 3
		.amdhsa_float_denorm_mode_16_64 3
		.amdhsa_dx10_clamp 1
		.amdhsa_ieee_mode 1
		.amdhsa_fp16_overflow 0
		.amdhsa_tg_split 0
		.amdhsa_exception_fp_ieee_invalid_op 0
		.amdhsa_exception_fp_denorm_src 0
		.amdhsa_exception_fp_ieee_div_zero 0
		.amdhsa_exception_fp_ieee_overflow 0
		.amdhsa_exception_fp_ieee_underflow 0
		.amdhsa_exception_fp_ieee_inexact 0
		.amdhsa_exception_int_div_zero 0
	.end_amdhsa_kernel
	.section	.text._ZN7rocprim17ROCPRIM_400000_NS6detail17trampoline_kernelINS0_13select_configILj256ELj13ELNS0_17block_load_methodE3ELS4_3ELS4_3ELNS0_20block_scan_algorithmE0ELj4294967295EEENS1_25partition_config_selectorILNS1_17partition_subalgoE3EjNS0_10empty_typeEbEEZZNS1_14partition_implILS8_3ELb0ES6_jNS0_17counting_iteratorIjlEEPS9_SE_NS0_5tupleIJPjSE_EEENSF_IJSE_SE_EEES9_SG_JZNS1_25segmented_radix_sort_implINS0_14default_configELb1EPK12hip_bfloat16PSL_PKlPlN2at6native12_GLOBAL__N_18offset_tEEE10hipError_tPvRmT1_PNSt15iterator_traitsISZ_E10value_typeET2_T3_PNS10_IS15_E10value_typeET4_jRbjT5_S1B_jjP12ihipStream_tbEUljE_EEESW_SX_SY_S15_S19_S1B_T6_T7_T9_mT8_S1D_bDpT10_ENKUlT_T0_E_clISt17integral_constantIbLb1EES1P_IbLb0EEEEDaS1L_S1M_EUlS1L_E_NS1_11comp_targetILNS1_3genE3ELNS1_11target_archE908ELNS1_3gpuE7ELNS1_3repE0EEENS1_30default_config_static_selectorELNS0_4arch9wavefront6targetE1EEEvSZ_,"axG",@progbits,_ZN7rocprim17ROCPRIM_400000_NS6detail17trampoline_kernelINS0_13select_configILj256ELj13ELNS0_17block_load_methodE3ELS4_3ELS4_3ELNS0_20block_scan_algorithmE0ELj4294967295EEENS1_25partition_config_selectorILNS1_17partition_subalgoE3EjNS0_10empty_typeEbEEZZNS1_14partition_implILS8_3ELb0ES6_jNS0_17counting_iteratorIjlEEPS9_SE_NS0_5tupleIJPjSE_EEENSF_IJSE_SE_EEES9_SG_JZNS1_25segmented_radix_sort_implINS0_14default_configELb1EPK12hip_bfloat16PSL_PKlPlN2at6native12_GLOBAL__N_18offset_tEEE10hipError_tPvRmT1_PNSt15iterator_traitsISZ_E10value_typeET2_T3_PNS10_IS15_E10value_typeET4_jRbjT5_S1B_jjP12ihipStream_tbEUljE_EEESW_SX_SY_S15_S19_S1B_T6_T7_T9_mT8_S1D_bDpT10_ENKUlT_T0_E_clISt17integral_constantIbLb1EES1P_IbLb0EEEEDaS1L_S1M_EUlS1L_E_NS1_11comp_targetILNS1_3genE3ELNS1_11target_archE908ELNS1_3gpuE7ELNS1_3repE0EEENS1_30default_config_static_selectorELNS0_4arch9wavefront6targetE1EEEvSZ_,comdat
.Lfunc_end1931:
	.size	_ZN7rocprim17ROCPRIM_400000_NS6detail17trampoline_kernelINS0_13select_configILj256ELj13ELNS0_17block_load_methodE3ELS4_3ELS4_3ELNS0_20block_scan_algorithmE0ELj4294967295EEENS1_25partition_config_selectorILNS1_17partition_subalgoE3EjNS0_10empty_typeEbEEZZNS1_14partition_implILS8_3ELb0ES6_jNS0_17counting_iteratorIjlEEPS9_SE_NS0_5tupleIJPjSE_EEENSF_IJSE_SE_EEES9_SG_JZNS1_25segmented_radix_sort_implINS0_14default_configELb1EPK12hip_bfloat16PSL_PKlPlN2at6native12_GLOBAL__N_18offset_tEEE10hipError_tPvRmT1_PNSt15iterator_traitsISZ_E10value_typeET2_T3_PNS10_IS15_E10value_typeET4_jRbjT5_S1B_jjP12ihipStream_tbEUljE_EEESW_SX_SY_S15_S19_S1B_T6_T7_T9_mT8_S1D_bDpT10_ENKUlT_T0_E_clISt17integral_constantIbLb1EES1P_IbLb0EEEEDaS1L_S1M_EUlS1L_E_NS1_11comp_targetILNS1_3genE3ELNS1_11target_archE908ELNS1_3gpuE7ELNS1_3repE0EEENS1_30default_config_static_selectorELNS0_4arch9wavefront6targetE1EEEvSZ_, .Lfunc_end1931-_ZN7rocprim17ROCPRIM_400000_NS6detail17trampoline_kernelINS0_13select_configILj256ELj13ELNS0_17block_load_methodE3ELS4_3ELS4_3ELNS0_20block_scan_algorithmE0ELj4294967295EEENS1_25partition_config_selectorILNS1_17partition_subalgoE3EjNS0_10empty_typeEbEEZZNS1_14partition_implILS8_3ELb0ES6_jNS0_17counting_iteratorIjlEEPS9_SE_NS0_5tupleIJPjSE_EEENSF_IJSE_SE_EEES9_SG_JZNS1_25segmented_radix_sort_implINS0_14default_configELb1EPK12hip_bfloat16PSL_PKlPlN2at6native12_GLOBAL__N_18offset_tEEE10hipError_tPvRmT1_PNSt15iterator_traitsISZ_E10value_typeET2_T3_PNS10_IS15_E10value_typeET4_jRbjT5_S1B_jjP12ihipStream_tbEUljE_EEESW_SX_SY_S15_S19_S1B_T6_T7_T9_mT8_S1D_bDpT10_ENKUlT_T0_E_clISt17integral_constantIbLb1EES1P_IbLb0EEEEDaS1L_S1M_EUlS1L_E_NS1_11comp_targetILNS1_3genE3ELNS1_11target_archE908ELNS1_3gpuE7ELNS1_3repE0EEENS1_30default_config_static_selectorELNS0_4arch9wavefront6targetE1EEEvSZ_
                                        ; -- End function
	.section	.AMDGPU.csdata,"",@progbits
; Kernel info:
; codeLenInByte = 0
; NumSgprs: 4
; NumVgprs: 0
; NumAgprs: 0
; TotalNumVgprs: 0
; ScratchSize: 0
; MemoryBound: 0
; FloatMode: 240
; IeeeMode: 1
; LDSByteSize: 0 bytes/workgroup (compile time only)
; SGPRBlocks: 0
; VGPRBlocks: 0
; NumSGPRsForWavesPerEU: 4
; NumVGPRsForWavesPerEU: 1
; AccumOffset: 4
; Occupancy: 8
; WaveLimiterHint : 0
; COMPUTE_PGM_RSRC2:SCRATCH_EN: 0
; COMPUTE_PGM_RSRC2:USER_SGPR: 6
; COMPUTE_PGM_RSRC2:TRAP_HANDLER: 0
; COMPUTE_PGM_RSRC2:TGID_X_EN: 1
; COMPUTE_PGM_RSRC2:TGID_Y_EN: 0
; COMPUTE_PGM_RSRC2:TGID_Z_EN: 0
; COMPUTE_PGM_RSRC2:TIDIG_COMP_CNT: 0
; COMPUTE_PGM_RSRC3_GFX90A:ACCUM_OFFSET: 0
; COMPUTE_PGM_RSRC3_GFX90A:TG_SPLIT: 0
	.section	.text._ZN7rocprim17ROCPRIM_400000_NS6detail17trampoline_kernelINS0_13select_configILj256ELj13ELNS0_17block_load_methodE3ELS4_3ELS4_3ELNS0_20block_scan_algorithmE0ELj4294967295EEENS1_25partition_config_selectorILNS1_17partition_subalgoE3EjNS0_10empty_typeEbEEZZNS1_14partition_implILS8_3ELb0ES6_jNS0_17counting_iteratorIjlEEPS9_SE_NS0_5tupleIJPjSE_EEENSF_IJSE_SE_EEES9_SG_JZNS1_25segmented_radix_sort_implINS0_14default_configELb1EPK12hip_bfloat16PSL_PKlPlN2at6native12_GLOBAL__N_18offset_tEEE10hipError_tPvRmT1_PNSt15iterator_traitsISZ_E10value_typeET2_T3_PNS10_IS15_E10value_typeET4_jRbjT5_S1B_jjP12ihipStream_tbEUljE_EEESW_SX_SY_S15_S19_S1B_T6_T7_T9_mT8_S1D_bDpT10_ENKUlT_T0_E_clISt17integral_constantIbLb1EES1P_IbLb0EEEEDaS1L_S1M_EUlS1L_E_NS1_11comp_targetILNS1_3genE2ELNS1_11target_archE906ELNS1_3gpuE6ELNS1_3repE0EEENS1_30default_config_static_selectorELNS0_4arch9wavefront6targetE1EEEvSZ_,"axG",@progbits,_ZN7rocprim17ROCPRIM_400000_NS6detail17trampoline_kernelINS0_13select_configILj256ELj13ELNS0_17block_load_methodE3ELS4_3ELS4_3ELNS0_20block_scan_algorithmE0ELj4294967295EEENS1_25partition_config_selectorILNS1_17partition_subalgoE3EjNS0_10empty_typeEbEEZZNS1_14partition_implILS8_3ELb0ES6_jNS0_17counting_iteratorIjlEEPS9_SE_NS0_5tupleIJPjSE_EEENSF_IJSE_SE_EEES9_SG_JZNS1_25segmented_radix_sort_implINS0_14default_configELb1EPK12hip_bfloat16PSL_PKlPlN2at6native12_GLOBAL__N_18offset_tEEE10hipError_tPvRmT1_PNSt15iterator_traitsISZ_E10value_typeET2_T3_PNS10_IS15_E10value_typeET4_jRbjT5_S1B_jjP12ihipStream_tbEUljE_EEESW_SX_SY_S15_S19_S1B_T6_T7_T9_mT8_S1D_bDpT10_ENKUlT_T0_E_clISt17integral_constantIbLb1EES1P_IbLb0EEEEDaS1L_S1M_EUlS1L_E_NS1_11comp_targetILNS1_3genE2ELNS1_11target_archE906ELNS1_3gpuE6ELNS1_3repE0EEENS1_30default_config_static_selectorELNS0_4arch9wavefront6targetE1EEEvSZ_,comdat
	.globl	_ZN7rocprim17ROCPRIM_400000_NS6detail17trampoline_kernelINS0_13select_configILj256ELj13ELNS0_17block_load_methodE3ELS4_3ELS4_3ELNS0_20block_scan_algorithmE0ELj4294967295EEENS1_25partition_config_selectorILNS1_17partition_subalgoE3EjNS0_10empty_typeEbEEZZNS1_14partition_implILS8_3ELb0ES6_jNS0_17counting_iteratorIjlEEPS9_SE_NS0_5tupleIJPjSE_EEENSF_IJSE_SE_EEES9_SG_JZNS1_25segmented_radix_sort_implINS0_14default_configELb1EPK12hip_bfloat16PSL_PKlPlN2at6native12_GLOBAL__N_18offset_tEEE10hipError_tPvRmT1_PNSt15iterator_traitsISZ_E10value_typeET2_T3_PNS10_IS15_E10value_typeET4_jRbjT5_S1B_jjP12ihipStream_tbEUljE_EEESW_SX_SY_S15_S19_S1B_T6_T7_T9_mT8_S1D_bDpT10_ENKUlT_T0_E_clISt17integral_constantIbLb1EES1P_IbLb0EEEEDaS1L_S1M_EUlS1L_E_NS1_11comp_targetILNS1_3genE2ELNS1_11target_archE906ELNS1_3gpuE6ELNS1_3repE0EEENS1_30default_config_static_selectorELNS0_4arch9wavefront6targetE1EEEvSZ_ ; -- Begin function _ZN7rocprim17ROCPRIM_400000_NS6detail17trampoline_kernelINS0_13select_configILj256ELj13ELNS0_17block_load_methodE3ELS4_3ELS4_3ELNS0_20block_scan_algorithmE0ELj4294967295EEENS1_25partition_config_selectorILNS1_17partition_subalgoE3EjNS0_10empty_typeEbEEZZNS1_14partition_implILS8_3ELb0ES6_jNS0_17counting_iteratorIjlEEPS9_SE_NS0_5tupleIJPjSE_EEENSF_IJSE_SE_EEES9_SG_JZNS1_25segmented_radix_sort_implINS0_14default_configELb1EPK12hip_bfloat16PSL_PKlPlN2at6native12_GLOBAL__N_18offset_tEEE10hipError_tPvRmT1_PNSt15iterator_traitsISZ_E10value_typeET2_T3_PNS10_IS15_E10value_typeET4_jRbjT5_S1B_jjP12ihipStream_tbEUljE_EEESW_SX_SY_S15_S19_S1B_T6_T7_T9_mT8_S1D_bDpT10_ENKUlT_T0_E_clISt17integral_constantIbLb1EES1P_IbLb0EEEEDaS1L_S1M_EUlS1L_E_NS1_11comp_targetILNS1_3genE2ELNS1_11target_archE906ELNS1_3gpuE6ELNS1_3repE0EEENS1_30default_config_static_selectorELNS0_4arch9wavefront6targetE1EEEvSZ_
	.p2align	8
	.type	_ZN7rocprim17ROCPRIM_400000_NS6detail17trampoline_kernelINS0_13select_configILj256ELj13ELNS0_17block_load_methodE3ELS4_3ELS4_3ELNS0_20block_scan_algorithmE0ELj4294967295EEENS1_25partition_config_selectorILNS1_17partition_subalgoE3EjNS0_10empty_typeEbEEZZNS1_14partition_implILS8_3ELb0ES6_jNS0_17counting_iteratorIjlEEPS9_SE_NS0_5tupleIJPjSE_EEENSF_IJSE_SE_EEES9_SG_JZNS1_25segmented_radix_sort_implINS0_14default_configELb1EPK12hip_bfloat16PSL_PKlPlN2at6native12_GLOBAL__N_18offset_tEEE10hipError_tPvRmT1_PNSt15iterator_traitsISZ_E10value_typeET2_T3_PNS10_IS15_E10value_typeET4_jRbjT5_S1B_jjP12ihipStream_tbEUljE_EEESW_SX_SY_S15_S19_S1B_T6_T7_T9_mT8_S1D_bDpT10_ENKUlT_T0_E_clISt17integral_constantIbLb1EES1P_IbLb0EEEEDaS1L_S1M_EUlS1L_E_NS1_11comp_targetILNS1_3genE2ELNS1_11target_archE906ELNS1_3gpuE6ELNS1_3repE0EEENS1_30default_config_static_selectorELNS0_4arch9wavefront6targetE1EEEvSZ_,@function
_ZN7rocprim17ROCPRIM_400000_NS6detail17trampoline_kernelINS0_13select_configILj256ELj13ELNS0_17block_load_methodE3ELS4_3ELS4_3ELNS0_20block_scan_algorithmE0ELj4294967295EEENS1_25partition_config_selectorILNS1_17partition_subalgoE3EjNS0_10empty_typeEbEEZZNS1_14partition_implILS8_3ELb0ES6_jNS0_17counting_iteratorIjlEEPS9_SE_NS0_5tupleIJPjSE_EEENSF_IJSE_SE_EEES9_SG_JZNS1_25segmented_radix_sort_implINS0_14default_configELb1EPK12hip_bfloat16PSL_PKlPlN2at6native12_GLOBAL__N_18offset_tEEE10hipError_tPvRmT1_PNSt15iterator_traitsISZ_E10value_typeET2_T3_PNS10_IS15_E10value_typeET4_jRbjT5_S1B_jjP12ihipStream_tbEUljE_EEESW_SX_SY_S15_S19_S1B_T6_T7_T9_mT8_S1D_bDpT10_ENKUlT_T0_E_clISt17integral_constantIbLb1EES1P_IbLb0EEEEDaS1L_S1M_EUlS1L_E_NS1_11comp_targetILNS1_3genE2ELNS1_11target_archE906ELNS1_3gpuE6ELNS1_3repE0EEENS1_30default_config_static_selectorELNS0_4arch9wavefront6targetE1EEEvSZ_: ; @_ZN7rocprim17ROCPRIM_400000_NS6detail17trampoline_kernelINS0_13select_configILj256ELj13ELNS0_17block_load_methodE3ELS4_3ELS4_3ELNS0_20block_scan_algorithmE0ELj4294967295EEENS1_25partition_config_selectorILNS1_17partition_subalgoE3EjNS0_10empty_typeEbEEZZNS1_14partition_implILS8_3ELb0ES6_jNS0_17counting_iteratorIjlEEPS9_SE_NS0_5tupleIJPjSE_EEENSF_IJSE_SE_EEES9_SG_JZNS1_25segmented_radix_sort_implINS0_14default_configELb1EPK12hip_bfloat16PSL_PKlPlN2at6native12_GLOBAL__N_18offset_tEEE10hipError_tPvRmT1_PNSt15iterator_traitsISZ_E10value_typeET2_T3_PNS10_IS15_E10value_typeET4_jRbjT5_S1B_jjP12ihipStream_tbEUljE_EEESW_SX_SY_S15_S19_S1B_T6_T7_T9_mT8_S1D_bDpT10_ENKUlT_T0_E_clISt17integral_constantIbLb1EES1P_IbLb0EEEEDaS1L_S1M_EUlS1L_E_NS1_11comp_targetILNS1_3genE2ELNS1_11target_archE906ELNS1_3gpuE6ELNS1_3repE0EEENS1_30default_config_static_selectorELNS0_4arch9wavefront6targetE1EEEvSZ_
; %bb.0:
	.section	.rodata,"a",@progbits
	.p2align	6, 0x0
	.amdhsa_kernel _ZN7rocprim17ROCPRIM_400000_NS6detail17trampoline_kernelINS0_13select_configILj256ELj13ELNS0_17block_load_methodE3ELS4_3ELS4_3ELNS0_20block_scan_algorithmE0ELj4294967295EEENS1_25partition_config_selectorILNS1_17partition_subalgoE3EjNS0_10empty_typeEbEEZZNS1_14partition_implILS8_3ELb0ES6_jNS0_17counting_iteratorIjlEEPS9_SE_NS0_5tupleIJPjSE_EEENSF_IJSE_SE_EEES9_SG_JZNS1_25segmented_radix_sort_implINS0_14default_configELb1EPK12hip_bfloat16PSL_PKlPlN2at6native12_GLOBAL__N_18offset_tEEE10hipError_tPvRmT1_PNSt15iterator_traitsISZ_E10value_typeET2_T3_PNS10_IS15_E10value_typeET4_jRbjT5_S1B_jjP12ihipStream_tbEUljE_EEESW_SX_SY_S15_S19_S1B_T6_T7_T9_mT8_S1D_bDpT10_ENKUlT_T0_E_clISt17integral_constantIbLb1EES1P_IbLb0EEEEDaS1L_S1M_EUlS1L_E_NS1_11comp_targetILNS1_3genE2ELNS1_11target_archE906ELNS1_3gpuE6ELNS1_3repE0EEENS1_30default_config_static_selectorELNS0_4arch9wavefront6targetE1EEEvSZ_
		.amdhsa_group_segment_fixed_size 0
		.amdhsa_private_segment_fixed_size 0
		.amdhsa_kernarg_size 144
		.amdhsa_user_sgpr_count 6
		.amdhsa_user_sgpr_private_segment_buffer 1
		.amdhsa_user_sgpr_dispatch_ptr 0
		.amdhsa_user_sgpr_queue_ptr 0
		.amdhsa_user_sgpr_kernarg_segment_ptr 1
		.amdhsa_user_sgpr_dispatch_id 0
		.amdhsa_user_sgpr_flat_scratch_init 0
		.amdhsa_user_sgpr_kernarg_preload_length 0
		.amdhsa_user_sgpr_kernarg_preload_offset 0
		.amdhsa_user_sgpr_private_segment_size 0
		.amdhsa_uses_dynamic_stack 0
		.amdhsa_system_sgpr_private_segment_wavefront_offset 0
		.amdhsa_system_sgpr_workgroup_id_x 1
		.amdhsa_system_sgpr_workgroup_id_y 0
		.amdhsa_system_sgpr_workgroup_id_z 0
		.amdhsa_system_sgpr_workgroup_info 0
		.amdhsa_system_vgpr_workitem_id 0
		.amdhsa_next_free_vgpr 1
		.amdhsa_next_free_sgpr 0
		.amdhsa_accum_offset 4
		.amdhsa_reserve_vcc 0
		.amdhsa_reserve_flat_scratch 0
		.amdhsa_float_round_mode_32 0
		.amdhsa_float_round_mode_16_64 0
		.amdhsa_float_denorm_mode_32 3
		.amdhsa_float_denorm_mode_16_64 3
		.amdhsa_dx10_clamp 1
		.amdhsa_ieee_mode 1
		.amdhsa_fp16_overflow 0
		.amdhsa_tg_split 0
		.amdhsa_exception_fp_ieee_invalid_op 0
		.amdhsa_exception_fp_denorm_src 0
		.amdhsa_exception_fp_ieee_div_zero 0
		.amdhsa_exception_fp_ieee_overflow 0
		.amdhsa_exception_fp_ieee_underflow 0
		.amdhsa_exception_fp_ieee_inexact 0
		.amdhsa_exception_int_div_zero 0
	.end_amdhsa_kernel
	.section	.text._ZN7rocprim17ROCPRIM_400000_NS6detail17trampoline_kernelINS0_13select_configILj256ELj13ELNS0_17block_load_methodE3ELS4_3ELS4_3ELNS0_20block_scan_algorithmE0ELj4294967295EEENS1_25partition_config_selectorILNS1_17partition_subalgoE3EjNS0_10empty_typeEbEEZZNS1_14partition_implILS8_3ELb0ES6_jNS0_17counting_iteratorIjlEEPS9_SE_NS0_5tupleIJPjSE_EEENSF_IJSE_SE_EEES9_SG_JZNS1_25segmented_radix_sort_implINS0_14default_configELb1EPK12hip_bfloat16PSL_PKlPlN2at6native12_GLOBAL__N_18offset_tEEE10hipError_tPvRmT1_PNSt15iterator_traitsISZ_E10value_typeET2_T3_PNS10_IS15_E10value_typeET4_jRbjT5_S1B_jjP12ihipStream_tbEUljE_EEESW_SX_SY_S15_S19_S1B_T6_T7_T9_mT8_S1D_bDpT10_ENKUlT_T0_E_clISt17integral_constantIbLb1EES1P_IbLb0EEEEDaS1L_S1M_EUlS1L_E_NS1_11comp_targetILNS1_3genE2ELNS1_11target_archE906ELNS1_3gpuE6ELNS1_3repE0EEENS1_30default_config_static_selectorELNS0_4arch9wavefront6targetE1EEEvSZ_,"axG",@progbits,_ZN7rocprim17ROCPRIM_400000_NS6detail17trampoline_kernelINS0_13select_configILj256ELj13ELNS0_17block_load_methodE3ELS4_3ELS4_3ELNS0_20block_scan_algorithmE0ELj4294967295EEENS1_25partition_config_selectorILNS1_17partition_subalgoE3EjNS0_10empty_typeEbEEZZNS1_14partition_implILS8_3ELb0ES6_jNS0_17counting_iteratorIjlEEPS9_SE_NS0_5tupleIJPjSE_EEENSF_IJSE_SE_EEES9_SG_JZNS1_25segmented_radix_sort_implINS0_14default_configELb1EPK12hip_bfloat16PSL_PKlPlN2at6native12_GLOBAL__N_18offset_tEEE10hipError_tPvRmT1_PNSt15iterator_traitsISZ_E10value_typeET2_T3_PNS10_IS15_E10value_typeET4_jRbjT5_S1B_jjP12ihipStream_tbEUljE_EEESW_SX_SY_S15_S19_S1B_T6_T7_T9_mT8_S1D_bDpT10_ENKUlT_T0_E_clISt17integral_constantIbLb1EES1P_IbLb0EEEEDaS1L_S1M_EUlS1L_E_NS1_11comp_targetILNS1_3genE2ELNS1_11target_archE906ELNS1_3gpuE6ELNS1_3repE0EEENS1_30default_config_static_selectorELNS0_4arch9wavefront6targetE1EEEvSZ_,comdat
.Lfunc_end1932:
	.size	_ZN7rocprim17ROCPRIM_400000_NS6detail17trampoline_kernelINS0_13select_configILj256ELj13ELNS0_17block_load_methodE3ELS4_3ELS4_3ELNS0_20block_scan_algorithmE0ELj4294967295EEENS1_25partition_config_selectorILNS1_17partition_subalgoE3EjNS0_10empty_typeEbEEZZNS1_14partition_implILS8_3ELb0ES6_jNS0_17counting_iteratorIjlEEPS9_SE_NS0_5tupleIJPjSE_EEENSF_IJSE_SE_EEES9_SG_JZNS1_25segmented_radix_sort_implINS0_14default_configELb1EPK12hip_bfloat16PSL_PKlPlN2at6native12_GLOBAL__N_18offset_tEEE10hipError_tPvRmT1_PNSt15iterator_traitsISZ_E10value_typeET2_T3_PNS10_IS15_E10value_typeET4_jRbjT5_S1B_jjP12ihipStream_tbEUljE_EEESW_SX_SY_S15_S19_S1B_T6_T7_T9_mT8_S1D_bDpT10_ENKUlT_T0_E_clISt17integral_constantIbLb1EES1P_IbLb0EEEEDaS1L_S1M_EUlS1L_E_NS1_11comp_targetILNS1_3genE2ELNS1_11target_archE906ELNS1_3gpuE6ELNS1_3repE0EEENS1_30default_config_static_selectorELNS0_4arch9wavefront6targetE1EEEvSZ_, .Lfunc_end1932-_ZN7rocprim17ROCPRIM_400000_NS6detail17trampoline_kernelINS0_13select_configILj256ELj13ELNS0_17block_load_methodE3ELS4_3ELS4_3ELNS0_20block_scan_algorithmE0ELj4294967295EEENS1_25partition_config_selectorILNS1_17partition_subalgoE3EjNS0_10empty_typeEbEEZZNS1_14partition_implILS8_3ELb0ES6_jNS0_17counting_iteratorIjlEEPS9_SE_NS0_5tupleIJPjSE_EEENSF_IJSE_SE_EEES9_SG_JZNS1_25segmented_radix_sort_implINS0_14default_configELb1EPK12hip_bfloat16PSL_PKlPlN2at6native12_GLOBAL__N_18offset_tEEE10hipError_tPvRmT1_PNSt15iterator_traitsISZ_E10value_typeET2_T3_PNS10_IS15_E10value_typeET4_jRbjT5_S1B_jjP12ihipStream_tbEUljE_EEESW_SX_SY_S15_S19_S1B_T6_T7_T9_mT8_S1D_bDpT10_ENKUlT_T0_E_clISt17integral_constantIbLb1EES1P_IbLb0EEEEDaS1L_S1M_EUlS1L_E_NS1_11comp_targetILNS1_3genE2ELNS1_11target_archE906ELNS1_3gpuE6ELNS1_3repE0EEENS1_30default_config_static_selectorELNS0_4arch9wavefront6targetE1EEEvSZ_
                                        ; -- End function
	.section	.AMDGPU.csdata,"",@progbits
; Kernel info:
; codeLenInByte = 0
; NumSgprs: 4
; NumVgprs: 0
; NumAgprs: 0
; TotalNumVgprs: 0
; ScratchSize: 0
; MemoryBound: 0
; FloatMode: 240
; IeeeMode: 1
; LDSByteSize: 0 bytes/workgroup (compile time only)
; SGPRBlocks: 0
; VGPRBlocks: 0
; NumSGPRsForWavesPerEU: 4
; NumVGPRsForWavesPerEU: 1
; AccumOffset: 4
; Occupancy: 8
; WaveLimiterHint : 0
; COMPUTE_PGM_RSRC2:SCRATCH_EN: 0
; COMPUTE_PGM_RSRC2:USER_SGPR: 6
; COMPUTE_PGM_RSRC2:TRAP_HANDLER: 0
; COMPUTE_PGM_RSRC2:TGID_X_EN: 1
; COMPUTE_PGM_RSRC2:TGID_Y_EN: 0
; COMPUTE_PGM_RSRC2:TGID_Z_EN: 0
; COMPUTE_PGM_RSRC2:TIDIG_COMP_CNT: 0
; COMPUTE_PGM_RSRC3_GFX90A:ACCUM_OFFSET: 0
; COMPUTE_PGM_RSRC3_GFX90A:TG_SPLIT: 0
	.section	.text._ZN7rocprim17ROCPRIM_400000_NS6detail17trampoline_kernelINS0_13select_configILj256ELj13ELNS0_17block_load_methodE3ELS4_3ELS4_3ELNS0_20block_scan_algorithmE0ELj4294967295EEENS1_25partition_config_selectorILNS1_17partition_subalgoE3EjNS0_10empty_typeEbEEZZNS1_14partition_implILS8_3ELb0ES6_jNS0_17counting_iteratorIjlEEPS9_SE_NS0_5tupleIJPjSE_EEENSF_IJSE_SE_EEES9_SG_JZNS1_25segmented_radix_sort_implINS0_14default_configELb1EPK12hip_bfloat16PSL_PKlPlN2at6native12_GLOBAL__N_18offset_tEEE10hipError_tPvRmT1_PNSt15iterator_traitsISZ_E10value_typeET2_T3_PNS10_IS15_E10value_typeET4_jRbjT5_S1B_jjP12ihipStream_tbEUljE_EEESW_SX_SY_S15_S19_S1B_T6_T7_T9_mT8_S1D_bDpT10_ENKUlT_T0_E_clISt17integral_constantIbLb1EES1P_IbLb0EEEEDaS1L_S1M_EUlS1L_E_NS1_11comp_targetILNS1_3genE10ELNS1_11target_archE1200ELNS1_3gpuE4ELNS1_3repE0EEENS1_30default_config_static_selectorELNS0_4arch9wavefront6targetE1EEEvSZ_,"axG",@progbits,_ZN7rocprim17ROCPRIM_400000_NS6detail17trampoline_kernelINS0_13select_configILj256ELj13ELNS0_17block_load_methodE3ELS4_3ELS4_3ELNS0_20block_scan_algorithmE0ELj4294967295EEENS1_25partition_config_selectorILNS1_17partition_subalgoE3EjNS0_10empty_typeEbEEZZNS1_14partition_implILS8_3ELb0ES6_jNS0_17counting_iteratorIjlEEPS9_SE_NS0_5tupleIJPjSE_EEENSF_IJSE_SE_EEES9_SG_JZNS1_25segmented_radix_sort_implINS0_14default_configELb1EPK12hip_bfloat16PSL_PKlPlN2at6native12_GLOBAL__N_18offset_tEEE10hipError_tPvRmT1_PNSt15iterator_traitsISZ_E10value_typeET2_T3_PNS10_IS15_E10value_typeET4_jRbjT5_S1B_jjP12ihipStream_tbEUljE_EEESW_SX_SY_S15_S19_S1B_T6_T7_T9_mT8_S1D_bDpT10_ENKUlT_T0_E_clISt17integral_constantIbLb1EES1P_IbLb0EEEEDaS1L_S1M_EUlS1L_E_NS1_11comp_targetILNS1_3genE10ELNS1_11target_archE1200ELNS1_3gpuE4ELNS1_3repE0EEENS1_30default_config_static_selectorELNS0_4arch9wavefront6targetE1EEEvSZ_,comdat
	.globl	_ZN7rocprim17ROCPRIM_400000_NS6detail17trampoline_kernelINS0_13select_configILj256ELj13ELNS0_17block_load_methodE3ELS4_3ELS4_3ELNS0_20block_scan_algorithmE0ELj4294967295EEENS1_25partition_config_selectorILNS1_17partition_subalgoE3EjNS0_10empty_typeEbEEZZNS1_14partition_implILS8_3ELb0ES6_jNS0_17counting_iteratorIjlEEPS9_SE_NS0_5tupleIJPjSE_EEENSF_IJSE_SE_EEES9_SG_JZNS1_25segmented_radix_sort_implINS0_14default_configELb1EPK12hip_bfloat16PSL_PKlPlN2at6native12_GLOBAL__N_18offset_tEEE10hipError_tPvRmT1_PNSt15iterator_traitsISZ_E10value_typeET2_T3_PNS10_IS15_E10value_typeET4_jRbjT5_S1B_jjP12ihipStream_tbEUljE_EEESW_SX_SY_S15_S19_S1B_T6_T7_T9_mT8_S1D_bDpT10_ENKUlT_T0_E_clISt17integral_constantIbLb1EES1P_IbLb0EEEEDaS1L_S1M_EUlS1L_E_NS1_11comp_targetILNS1_3genE10ELNS1_11target_archE1200ELNS1_3gpuE4ELNS1_3repE0EEENS1_30default_config_static_selectorELNS0_4arch9wavefront6targetE1EEEvSZ_ ; -- Begin function _ZN7rocprim17ROCPRIM_400000_NS6detail17trampoline_kernelINS0_13select_configILj256ELj13ELNS0_17block_load_methodE3ELS4_3ELS4_3ELNS0_20block_scan_algorithmE0ELj4294967295EEENS1_25partition_config_selectorILNS1_17partition_subalgoE3EjNS0_10empty_typeEbEEZZNS1_14partition_implILS8_3ELb0ES6_jNS0_17counting_iteratorIjlEEPS9_SE_NS0_5tupleIJPjSE_EEENSF_IJSE_SE_EEES9_SG_JZNS1_25segmented_radix_sort_implINS0_14default_configELb1EPK12hip_bfloat16PSL_PKlPlN2at6native12_GLOBAL__N_18offset_tEEE10hipError_tPvRmT1_PNSt15iterator_traitsISZ_E10value_typeET2_T3_PNS10_IS15_E10value_typeET4_jRbjT5_S1B_jjP12ihipStream_tbEUljE_EEESW_SX_SY_S15_S19_S1B_T6_T7_T9_mT8_S1D_bDpT10_ENKUlT_T0_E_clISt17integral_constantIbLb1EES1P_IbLb0EEEEDaS1L_S1M_EUlS1L_E_NS1_11comp_targetILNS1_3genE10ELNS1_11target_archE1200ELNS1_3gpuE4ELNS1_3repE0EEENS1_30default_config_static_selectorELNS0_4arch9wavefront6targetE1EEEvSZ_
	.p2align	8
	.type	_ZN7rocprim17ROCPRIM_400000_NS6detail17trampoline_kernelINS0_13select_configILj256ELj13ELNS0_17block_load_methodE3ELS4_3ELS4_3ELNS0_20block_scan_algorithmE0ELj4294967295EEENS1_25partition_config_selectorILNS1_17partition_subalgoE3EjNS0_10empty_typeEbEEZZNS1_14partition_implILS8_3ELb0ES6_jNS0_17counting_iteratorIjlEEPS9_SE_NS0_5tupleIJPjSE_EEENSF_IJSE_SE_EEES9_SG_JZNS1_25segmented_radix_sort_implINS0_14default_configELb1EPK12hip_bfloat16PSL_PKlPlN2at6native12_GLOBAL__N_18offset_tEEE10hipError_tPvRmT1_PNSt15iterator_traitsISZ_E10value_typeET2_T3_PNS10_IS15_E10value_typeET4_jRbjT5_S1B_jjP12ihipStream_tbEUljE_EEESW_SX_SY_S15_S19_S1B_T6_T7_T9_mT8_S1D_bDpT10_ENKUlT_T0_E_clISt17integral_constantIbLb1EES1P_IbLb0EEEEDaS1L_S1M_EUlS1L_E_NS1_11comp_targetILNS1_3genE10ELNS1_11target_archE1200ELNS1_3gpuE4ELNS1_3repE0EEENS1_30default_config_static_selectorELNS0_4arch9wavefront6targetE1EEEvSZ_,@function
_ZN7rocprim17ROCPRIM_400000_NS6detail17trampoline_kernelINS0_13select_configILj256ELj13ELNS0_17block_load_methodE3ELS4_3ELS4_3ELNS0_20block_scan_algorithmE0ELj4294967295EEENS1_25partition_config_selectorILNS1_17partition_subalgoE3EjNS0_10empty_typeEbEEZZNS1_14partition_implILS8_3ELb0ES6_jNS0_17counting_iteratorIjlEEPS9_SE_NS0_5tupleIJPjSE_EEENSF_IJSE_SE_EEES9_SG_JZNS1_25segmented_radix_sort_implINS0_14default_configELb1EPK12hip_bfloat16PSL_PKlPlN2at6native12_GLOBAL__N_18offset_tEEE10hipError_tPvRmT1_PNSt15iterator_traitsISZ_E10value_typeET2_T3_PNS10_IS15_E10value_typeET4_jRbjT5_S1B_jjP12ihipStream_tbEUljE_EEESW_SX_SY_S15_S19_S1B_T6_T7_T9_mT8_S1D_bDpT10_ENKUlT_T0_E_clISt17integral_constantIbLb1EES1P_IbLb0EEEEDaS1L_S1M_EUlS1L_E_NS1_11comp_targetILNS1_3genE10ELNS1_11target_archE1200ELNS1_3gpuE4ELNS1_3repE0EEENS1_30default_config_static_selectorELNS0_4arch9wavefront6targetE1EEEvSZ_: ; @_ZN7rocprim17ROCPRIM_400000_NS6detail17trampoline_kernelINS0_13select_configILj256ELj13ELNS0_17block_load_methodE3ELS4_3ELS4_3ELNS0_20block_scan_algorithmE0ELj4294967295EEENS1_25partition_config_selectorILNS1_17partition_subalgoE3EjNS0_10empty_typeEbEEZZNS1_14partition_implILS8_3ELb0ES6_jNS0_17counting_iteratorIjlEEPS9_SE_NS0_5tupleIJPjSE_EEENSF_IJSE_SE_EEES9_SG_JZNS1_25segmented_radix_sort_implINS0_14default_configELb1EPK12hip_bfloat16PSL_PKlPlN2at6native12_GLOBAL__N_18offset_tEEE10hipError_tPvRmT1_PNSt15iterator_traitsISZ_E10value_typeET2_T3_PNS10_IS15_E10value_typeET4_jRbjT5_S1B_jjP12ihipStream_tbEUljE_EEESW_SX_SY_S15_S19_S1B_T6_T7_T9_mT8_S1D_bDpT10_ENKUlT_T0_E_clISt17integral_constantIbLb1EES1P_IbLb0EEEEDaS1L_S1M_EUlS1L_E_NS1_11comp_targetILNS1_3genE10ELNS1_11target_archE1200ELNS1_3gpuE4ELNS1_3repE0EEENS1_30default_config_static_selectorELNS0_4arch9wavefront6targetE1EEEvSZ_
; %bb.0:
	.section	.rodata,"a",@progbits
	.p2align	6, 0x0
	.amdhsa_kernel _ZN7rocprim17ROCPRIM_400000_NS6detail17trampoline_kernelINS0_13select_configILj256ELj13ELNS0_17block_load_methodE3ELS4_3ELS4_3ELNS0_20block_scan_algorithmE0ELj4294967295EEENS1_25partition_config_selectorILNS1_17partition_subalgoE3EjNS0_10empty_typeEbEEZZNS1_14partition_implILS8_3ELb0ES6_jNS0_17counting_iteratorIjlEEPS9_SE_NS0_5tupleIJPjSE_EEENSF_IJSE_SE_EEES9_SG_JZNS1_25segmented_radix_sort_implINS0_14default_configELb1EPK12hip_bfloat16PSL_PKlPlN2at6native12_GLOBAL__N_18offset_tEEE10hipError_tPvRmT1_PNSt15iterator_traitsISZ_E10value_typeET2_T3_PNS10_IS15_E10value_typeET4_jRbjT5_S1B_jjP12ihipStream_tbEUljE_EEESW_SX_SY_S15_S19_S1B_T6_T7_T9_mT8_S1D_bDpT10_ENKUlT_T0_E_clISt17integral_constantIbLb1EES1P_IbLb0EEEEDaS1L_S1M_EUlS1L_E_NS1_11comp_targetILNS1_3genE10ELNS1_11target_archE1200ELNS1_3gpuE4ELNS1_3repE0EEENS1_30default_config_static_selectorELNS0_4arch9wavefront6targetE1EEEvSZ_
		.amdhsa_group_segment_fixed_size 0
		.amdhsa_private_segment_fixed_size 0
		.amdhsa_kernarg_size 144
		.amdhsa_user_sgpr_count 6
		.amdhsa_user_sgpr_private_segment_buffer 1
		.amdhsa_user_sgpr_dispatch_ptr 0
		.amdhsa_user_sgpr_queue_ptr 0
		.amdhsa_user_sgpr_kernarg_segment_ptr 1
		.amdhsa_user_sgpr_dispatch_id 0
		.amdhsa_user_sgpr_flat_scratch_init 0
		.amdhsa_user_sgpr_kernarg_preload_length 0
		.amdhsa_user_sgpr_kernarg_preload_offset 0
		.amdhsa_user_sgpr_private_segment_size 0
		.amdhsa_uses_dynamic_stack 0
		.amdhsa_system_sgpr_private_segment_wavefront_offset 0
		.amdhsa_system_sgpr_workgroup_id_x 1
		.amdhsa_system_sgpr_workgroup_id_y 0
		.amdhsa_system_sgpr_workgroup_id_z 0
		.amdhsa_system_sgpr_workgroup_info 0
		.amdhsa_system_vgpr_workitem_id 0
		.amdhsa_next_free_vgpr 1
		.amdhsa_next_free_sgpr 0
		.amdhsa_accum_offset 4
		.amdhsa_reserve_vcc 0
		.amdhsa_reserve_flat_scratch 0
		.amdhsa_float_round_mode_32 0
		.amdhsa_float_round_mode_16_64 0
		.amdhsa_float_denorm_mode_32 3
		.amdhsa_float_denorm_mode_16_64 3
		.amdhsa_dx10_clamp 1
		.amdhsa_ieee_mode 1
		.amdhsa_fp16_overflow 0
		.amdhsa_tg_split 0
		.amdhsa_exception_fp_ieee_invalid_op 0
		.amdhsa_exception_fp_denorm_src 0
		.amdhsa_exception_fp_ieee_div_zero 0
		.amdhsa_exception_fp_ieee_overflow 0
		.amdhsa_exception_fp_ieee_underflow 0
		.amdhsa_exception_fp_ieee_inexact 0
		.amdhsa_exception_int_div_zero 0
	.end_amdhsa_kernel
	.section	.text._ZN7rocprim17ROCPRIM_400000_NS6detail17trampoline_kernelINS0_13select_configILj256ELj13ELNS0_17block_load_methodE3ELS4_3ELS4_3ELNS0_20block_scan_algorithmE0ELj4294967295EEENS1_25partition_config_selectorILNS1_17partition_subalgoE3EjNS0_10empty_typeEbEEZZNS1_14partition_implILS8_3ELb0ES6_jNS0_17counting_iteratorIjlEEPS9_SE_NS0_5tupleIJPjSE_EEENSF_IJSE_SE_EEES9_SG_JZNS1_25segmented_radix_sort_implINS0_14default_configELb1EPK12hip_bfloat16PSL_PKlPlN2at6native12_GLOBAL__N_18offset_tEEE10hipError_tPvRmT1_PNSt15iterator_traitsISZ_E10value_typeET2_T3_PNS10_IS15_E10value_typeET4_jRbjT5_S1B_jjP12ihipStream_tbEUljE_EEESW_SX_SY_S15_S19_S1B_T6_T7_T9_mT8_S1D_bDpT10_ENKUlT_T0_E_clISt17integral_constantIbLb1EES1P_IbLb0EEEEDaS1L_S1M_EUlS1L_E_NS1_11comp_targetILNS1_3genE10ELNS1_11target_archE1200ELNS1_3gpuE4ELNS1_3repE0EEENS1_30default_config_static_selectorELNS0_4arch9wavefront6targetE1EEEvSZ_,"axG",@progbits,_ZN7rocprim17ROCPRIM_400000_NS6detail17trampoline_kernelINS0_13select_configILj256ELj13ELNS0_17block_load_methodE3ELS4_3ELS4_3ELNS0_20block_scan_algorithmE0ELj4294967295EEENS1_25partition_config_selectorILNS1_17partition_subalgoE3EjNS0_10empty_typeEbEEZZNS1_14partition_implILS8_3ELb0ES6_jNS0_17counting_iteratorIjlEEPS9_SE_NS0_5tupleIJPjSE_EEENSF_IJSE_SE_EEES9_SG_JZNS1_25segmented_radix_sort_implINS0_14default_configELb1EPK12hip_bfloat16PSL_PKlPlN2at6native12_GLOBAL__N_18offset_tEEE10hipError_tPvRmT1_PNSt15iterator_traitsISZ_E10value_typeET2_T3_PNS10_IS15_E10value_typeET4_jRbjT5_S1B_jjP12ihipStream_tbEUljE_EEESW_SX_SY_S15_S19_S1B_T6_T7_T9_mT8_S1D_bDpT10_ENKUlT_T0_E_clISt17integral_constantIbLb1EES1P_IbLb0EEEEDaS1L_S1M_EUlS1L_E_NS1_11comp_targetILNS1_3genE10ELNS1_11target_archE1200ELNS1_3gpuE4ELNS1_3repE0EEENS1_30default_config_static_selectorELNS0_4arch9wavefront6targetE1EEEvSZ_,comdat
.Lfunc_end1933:
	.size	_ZN7rocprim17ROCPRIM_400000_NS6detail17trampoline_kernelINS0_13select_configILj256ELj13ELNS0_17block_load_methodE3ELS4_3ELS4_3ELNS0_20block_scan_algorithmE0ELj4294967295EEENS1_25partition_config_selectorILNS1_17partition_subalgoE3EjNS0_10empty_typeEbEEZZNS1_14partition_implILS8_3ELb0ES6_jNS0_17counting_iteratorIjlEEPS9_SE_NS0_5tupleIJPjSE_EEENSF_IJSE_SE_EEES9_SG_JZNS1_25segmented_radix_sort_implINS0_14default_configELb1EPK12hip_bfloat16PSL_PKlPlN2at6native12_GLOBAL__N_18offset_tEEE10hipError_tPvRmT1_PNSt15iterator_traitsISZ_E10value_typeET2_T3_PNS10_IS15_E10value_typeET4_jRbjT5_S1B_jjP12ihipStream_tbEUljE_EEESW_SX_SY_S15_S19_S1B_T6_T7_T9_mT8_S1D_bDpT10_ENKUlT_T0_E_clISt17integral_constantIbLb1EES1P_IbLb0EEEEDaS1L_S1M_EUlS1L_E_NS1_11comp_targetILNS1_3genE10ELNS1_11target_archE1200ELNS1_3gpuE4ELNS1_3repE0EEENS1_30default_config_static_selectorELNS0_4arch9wavefront6targetE1EEEvSZ_, .Lfunc_end1933-_ZN7rocprim17ROCPRIM_400000_NS6detail17trampoline_kernelINS0_13select_configILj256ELj13ELNS0_17block_load_methodE3ELS4_3ELS4_3ELNS0_20block_scan_algorithmE0ELj4294967295EEENS1_25partition_config_selectorILNS1_17partition_subalgoE3EjNS0_10empty_typeEbEEZZNS1_14partition_implILS8_3ELb0ES6_jNS0_17counting_iteratorIjlEEPS9_SE_NS0_5tupleIJPjSE_EEENSF_IJSE_SE_EEES9_SG_JZNS1_25segmented_radix_sort_implINS0_14default_configELb1EPK12hip_bfloat16PSL_PKlPlN2at6native12_GLOBAL__N_18offset_tEEE10hipError_tPvRmT1_PNSt15iterator_traitsISZ_E10value_typeET2_T3_PNS10_IS15_E10value_typeET4_jRbjT5_S1B_jjP12ihipStream_tbEUljE_EEESW_SX_SY_S15_S19_S1B_T6_T7_T9_mT8_S1D_bDpT10_ENKUlT_T0_E_clISt17integral_constantIbLb1EES1P_IbLb0EEEEDaS1L_S1M_EUlS1L_E_NS1_11comp_targetILNS1_3genE10ELNS1_11target_archE1200ELNS1_3gpuE4ELNS1_3repE0EEENS1_30default_config_static_selectorELNS0_4arch9wavefront6targetE1EEEvSZ_
                                        ; -- End function
	.section	.AMDGPU.csdata,"",@progbits
; Kernel info:
; codeLenInByte = 0
; NumSgprs: 4
; NumVgprs: 0
; NumAgprs: 0
; TotalNumVgprs: 0
; ScratchSize: 0
; MemoryBound: 0
; FloatMode: 240
; IeeeMode: 1
; LDSByteSize: 0 bytes/workgroup (compile time only)
; SGPRBlocks: 0
; VGPRBlocks: 0
; NumSGPRsForWavesPerEU: 4
; NumVGPRsForWavesPerEU: 1
; AccumOffset: 4
; Occupancy: 8
; WaveLimiterHint : 0
; COMPUTE_PGM_RSRC2:SCRATCH_EN: 0
; COMPUTE_PGM_RSRC2:USER_SGPR: 6
; COMPUTE_PGM_RSRC2:TRAP_HANDLER: 0
; COMPUTE_PGM_RSRC2:TGID_X_EN: 1
; COMPUTE_PGM_RSRC2:TGID_Y_EN: 0
; COMPUTE_PGM_RSRC2:TGID_Z_EN: 0
; COMPUTE_PGM_RSRC2:TIDIG_COMP_CNT: 0
; COMPUTE_PGM_RSRC3_GFX90A:ACCUM_OFFSET: 0
; COMPUTE_PGM_RSRC3_GFX90A:TG_SPLIT: 0
	.section	.text._ZN7rocprim17ROCPRIM_400000_NS6detail17trampoline_kernelINS0_13select_configILj256ELj13ELNS0_17block_load_methodE3ELS4_3ELS4_3ELNS0_20block_scan_algorithmE0ELj4294967295EEENS1_25partition_config_selectorILNS1_17partition_subalgoE3EjNS0_10empty_typeEbEEZZNS1_14partition_implILS8_3ELb0ES6_jNS0_17counting_iteratorIjlEEPS9_SE_NS0_5tupleIJPjSE_EEENSF_IJSE_SE_EEES9_SG_JZNS1_25segmented_radix_sort_implINS0_14default_configELb1EPK12hip_bfloat16PSL_PKlPlN2at6native12_GLOBAL__N_18offset_tEEE10hipError_tPvRmT1_PNSt15iterator_traitsISZ_E10value_typeET2_T3_PNS10_IS15_E10value_typeET4_jRbjT5_S1B_jjP12ihipStream_tbEUljE_EEESW_SX_SY_S15_S19_S1B_T6_T7_T9_mT8_S1D_bDpT10_ENKUlT_T0_E_clISt17integral_constantIbLb1EES1P_IbLb0EEEEDaS1L_S1M_EUlS1L_E_NS1_11comp_targetILNS1_3genE9ELNS1_11target_archE1100ELNS1_3gpuE3ELNS1_3repE0EEENS1_30default_config_static_selectorELNS0_4arch9wavefront6targetE1EEEvSZ_,"axG",@progbits,_ZN7rocprim17ROCPRIM_400000_NS6detail17trampoline_kernelINS0_13select_configILj256ELj13ELNS0_17block_load_methodE3ELS4_3ELS4_3ELNS0_20block_scan_algorithmE0ELj4294967295EEENS1_25partition_config_selectorILNS1_17partition_subalgoE3EjNS0_10empty_typeEbEEZZNS1_14partition_implILS8_3ELb0ES6_jNS0_17counting_iteratorIjlEEPS9_SE_NS0_5tupleIJPjSE_EEENSF_IJSE_SE_EEES9_SG_JZNS1_25segmented_radix_sort_implINS0_14default_configELb1EPK12hip_bfloat16PSL_PKlPlN2at6native12_GLOBAL__N_18offset_tEEE10hipError_tPvRmT1_PNSt15iterator_traitsISZ_E10value_typeET2_T3_PNS10_IS15_E10value_typeET4_jRbjT5_S1B_jjP12ihipStream_tbEUljE_EEESW_SX_SY_S15_S19_S1B_T6_T7_T9_mT8_S1D_bDpT10_ENKUlT_T0_E_clISt17integral_constantIbLb1EES1P_IbLb0EEEEDaS1L_S1M_EUlS1L_E_NS1_11comp_targetILNS1_3genE9ELNS1_11target_archE1100ELNS1_3gpuE3ELNS1_3repE0EEENS1_30default_config_static_selectorELNS0_4arch9wavefront6targetE1EEEvSZ_,comdat
	.globl	_ZN7rocprim17ROCPRIM_400000_NS6detail17trampoline_kernelINS0_13select_configILj256ELj13ELNS0_17block_load_methodE3ELS4_3ELS4_3ELNS0_20block_scan_algorithmE0ELj4294967295EEENS1_25partition_config_selectorILNS1_17partition_subalgoE3EjNS0_10empty_typeEbEEZZNS1_14partition_implILS8_3ELb0ES6_jNS0_17counting_iteratorIjlEEPS9_SE_NS0_5tupleIJPjSE_EEENSF_IJSE_SE_EEES9_SG_JZNS1_25segmented_radix_sort_implINS0_14default_configELb1EPK12hip_bfloat16PSL_PKlPlN2at6native12_GLOBAL__N_18offset_tEEE10hipError_tPvRmT1_PNSt15iterator_traitsISZ_E10value_typeET2_T3_PNS10_IS15_E10value_typeET4_jRbjT5_S1B_jjP12ihipStream_tbEUljE_EEESW_SX_SY_S15_S19_S1B_T6_T7_T9_mT8_S1D_bDpT10_ENKUlT_T0_E_clISt17integral_constantIbLb1EES1P_IbLb0EEEEDaS1L_S1M_EUlS1L_E_NS1_11comp_targetILNS1_3genE9ELNS1_11target_archE1100ELNS1_3gpuE3ELNS1_3repE0EEENS1_30default_config_static_selectorELNS0_4arch9wavefront6targetE1EEEvSZ_ ; -- Begin function _ZN7rocprim17ROCPRIM_400000_NS6detail17trampoline_kernelINS0_13select_configILj256ELj13ELNS0_17block_load_methodE3ELS4_3ELS4_3ELNS0_20block_scan_algorithmE0ELj4294967295EEENS1_25partition_config_selectorILNS1_17partition_subalgoE3EjNS0_10empty_typeEbEEZZNS1_14partition_implILS8_3ELb0ES6_jNS0_17counting_iteratorIjlEEPS9_SE_NS0_5tupleIJPjSE_EEENSF_IJSE_SE_EEES9_SG_JZNS1_25segmented_radix_sort_implINS0_14default_configELb1EPK12hip_bfloat16PSL_PKlPlN2at6native12_GLOBAL__N_18offset_tEEE10hipError_tPvRmT1_PNSt15iterator_traitsISZ_E10value_typeET2_T3_PNS10_IS15_E10value_typeET4_jRbjT5_S1B_jjP12ihipStream_tbEUljE_EEESW_SX_SY_S15_S19_S1B_T6_T7_T9_mT8_S1D_bDpT10_ENKUlT_T0_E_clISt17integral_constantIbLb1EES1P_IbLb0EEEEDaS1L_S1M_EUlS1L_E_NS1_11comp_targetILNS1_3genE9ELNS1_11target_archE1100ELNS1_3gpuE3ELNS1_3repE0EEENS1_30default_config_static_selectorELNS0_4arch9wavefront6targetE1EEEvSZ_
	.p2align	8
	.type	_ZN7rocprim17ROCPRIM_400000_NS6detail17trampoline_kernelINS0_13select_configILj256ELj13ELNS0_17block_load_methodE3ELS4_3ELS4_3ELNS0_20block_scan_algorithmE0ELj4294967295EEENS1_25partition_config_selectorILNS1_17partition_subalgoE3EjNS0_10empty_typeEbEEZZNS1_14partition_implILS8_3ELb0ES6_jNS0_17counting_iteratorIjlEEPS9_SE_NS0_5tupleIJPjSE_EEENSF_IJSE_SE_EEES9_SG_JZNS1_25segmented_radix_sort_implINS0_14default_configELb1EPK12hip_bfloat16PSL_PKlPlN2at6native12_GLOBAL__N_18offset_tEEE10hipError_tPvRmT1_PNSt15iterator_traitsISZ_E10value_typeET2_T3_PNS10_IS15_E10value_typeET4_jRbjT5_S1B_jjP12ihipStream_tbEUljE_EEESW_SX_SY_S15_S19_S1B_T6_T7_T9_mT8_S1D_bDpT10_ENKUlT_T0_E_clISt17integral_constantIbLb1EES1P_IbLb0EEEEDaS1L_S1M_EUlS1L_E_NS1_11comp_targetILNS1_3genE9ELNS1_11target_archE1100ELNS1_3gpuE3ELNS1_3repE0EEENS1_30default_config_static_selectorELNS0_4arch9wavefront6targetE1EEEvSZ_,@function
_ZN7rocprim17ROCPRIM_400000_NS6detail17trampoline_kernelINS0_13select_configILj256ELj13ELNS0_17block_load_methodE3ELS4_3ELS4_3ELNS0_20block_scan_algorithmE0ELj4294967295EEENS1_25partition_config_selectorILNS1_17partition_subalgoE3EjNS0_10empty_typeEbEEZZNS1_14partition_implILS8_3ELb0ES6_jNS0_17counting_iteratorIjlEEPS9_SE_NS0_5tupleIJPjSE_EEENSF_IJSE_SE_EEES9_SG_JZNS1_25segmented_radix_sort_implINS0_14default_configELb1EPK12hip_bfloat16PSL_PKlPlN2at6native12_GLOBAL__N_18offset_tEEE10hipError_tPvRmT1_PNSt15iterator_traitsISZ_E10value_typeET2_T3_PNS10_IS15_E10value_typeET4_jRbjT5_S1B_jjP12ihipStream_tbEUljE_EEESW_SX_SY_S15_S19_S1B_T6_T7_T9_mT8_S1D_bDpT10_ENKUlT_T0_E_clISt17integral_constantIbLb1EES1P_IbLb0EEEEDaS1L_S1M_EUlS1L_E_NS1_11comp_targetILNS1_3genE9ELNS1_11target_archE1100ELNS1_3gpuE3ELNS1_3repE0EEENS1_30default_config_static_selectorELNS0_4arch9wavefront6targetE1EEEvSZ_: ; @_ZN7rocprim17ROCPRIM_400000_NS6detail17trampoline_kernelINS0_13select_configILj256ELj13ELNS0_17block_load_methodE3ELS4_3ELS4_3ELNS0_20block_scan_algorithmE0ELj4294967295EEENS1_25partition_config_selectorILNS1_17partition_subalgoE3EjNS0_10empty_typeEbEEZZNS1_14partition_implILS8_3ELb0ES6_jNS0_17counting_iteratorIjlEEPS9_SE_NS0_5tupleIJPjSE_EEENSF_IJSE_SE_EEES9_SG_JZNS1_25segmented_radix_sort_implINS0_14default_configELb1EPK12hip_bfloat16PSL_PKlPlN2at6native12_GLOBAL__N_18offset_tEEE10hipError_tPvRmT1_PNSt15iterator_traitsISZ_E10value_typeET2_T3_PNS10_IS15_E10value_typeET4_jRbjT5_S1B_jjP12ihipStream_tbEUljE_EEESW_SX_SY_S15_S19_S1B_T6_T7_T9_mT8_S1D_bDpT10_ENKUlT_T0_E_clISt17integral_constantIbLb1EES1P_IbLb0EEEEDaS1L_S1M_EUlS1L_E_NS1_11comp_targetILNS1_3genE9ELNS1_11target_archE1100ELNS1_3gpuE3ELNS1_3repE0EEENS1_30default_config_static_selectorELNS0_4arch9wavefront6targetE1EEEvSZ_
; %bb.0:
	.section	.rodata,"a",@progbits
	.p2align	6, 0x0
	.amdhsa_kernel _ZN7rocprim17ROCPRIM_400000_NS6detail17trampoline_kernelINS0_13select_configILj256ELj13ELNS0_17block_load_methodE3ELS4_3ELS4_3ELNS0_20block_scan_algorithmE0ELj4294967295EEENS1_25partition_config_selectorILNS1_17partition_subalgoE3EjNS0_10empty_typeEbEEZZNS1_14partition_implILS8_3ELb0ES6_jNS0_17counting_iteratorIjlEEPS9_SE_NS0_5tupleIJPjSE_EEENSF_IJSE_SE_EEES9_SG_JZNS1_25segmented_radix_sort_implINS0_14default_configELb1EPK12hip_bfloat16PSL_PKlPlN2at6native12_GLOBAL__N_18offset_tEEE10hipError_tPvRmT1_PNSt15iterator_traitsISZ_E10value_typeET2_T3_PNS10_IS15_E10value_typeET4_jRbjT5_S1B_jjP12ihipStream_tbEUljE_EEESW_SX_SY_S15_S19_S1B_T6_T7_T9_mT8_S1D_bDpT10_ENKUlT_T0_E_clISt17integral_constantIbLb1EES1P_IbLb0EEEEDaS1L_S1M_EUlS1L_E_NS1_11comp_targetILNS1_3genE9ELNS1_11target_archE1100ELNS1_3gpuE3ELNS1_3repE0EEENS1_30default_config_static_selectorELNS0_4arch9wavefront6targetE1EEEvSZ_
		.amdhsa_group_segment_fixed_size 0
		.amdhsa_private_segment_fixed_size 0
		.amdhsa_kernarg_size 144
		.amdhsa_user_sgpr_count 6
		.amdhsa_user_sgpr_private_segment_buffer 1
		.amdhsa_user_sgpr_dispatch_ptr 0
		.amdhsa_user_sgpr_queue_ptr 0
		.amdhsa_user_sgpr_kernarg_segment_ptr 1
		.amdhsa_user_sgpr_dispatch_id 0
		.amdhsa_user_sgpr_flat_scratch_init 0
		.amdhsa_user_sgpr_kernarg_preload_length 0
		.amdhsa_user_sgpr_kernarg_preload_offset 0
		.amdhsa_user_sgpr_private_segment_size 0
		.amdhsa_uses_dynamic_stack 0
		.amdhsa_system_sgpr_private_segment_wavefront_offset 0
		.amdhsa_system_sgpr_workgroup_id_x 1
		.amdhsa_system_sgpr_workgroup_id_y 0
		.amdhsa_system_sgpr_workgroup_id_z 0
		.amdhsa_system_sgpr_workgroup_info 0
		.amdhsa_system_vgpr_workitem_id 0
		.amdhsa_next_free_vgpr 1
		.amdhsa_next_free_sgpr 0
		.amdhsa_accum_offset 4
		.amdhsa_reserve_vcc 0
		.amdhsa_reserve_flat_scratch 0
		.amdhsa_float_round_mode_32 0
		.amdhsa_float_round_mode_16_64 0
		.amdhsa_float_denorm_mode_32 3
		.amdhsa_float_denorm_mode_16_64 3
		.amdhsa_dx10_clamp 1
		.amdhsa_ieee_mode 1
		.amdhsa_fp16_overflow 0
		.amdhsa_tg_split 0
		.amdhsa_exception_fp_ieee_invalid_op 0
		.amdhsa_exception_fp_denorm_src 0
		.amdhsa_exception_fp_ieee_div_zero 0
		.amdhsa_exception_fp_ieee_overflow 0
		.amdhsa_exception_fp_ieee_underflow 0
		.amdhsa_exception_fp_ieee_inexact 0
		.amdhsa_exception_int_div_zero 0
	.end_amdhsa_kernel
	.section	.text._ZN7rocprim17ROCPRIM_400000_NS6detail17trampoline_kernelINS0_13select_configILj256ELj13ELNS0_17block_load_methodE3ELS4_3ELS4_3ELNS0_20block_scan_algorithmE0ELj4294967295EEENS1_25partition_config_selectorILNS1_17partition_subalgoE3EjNS0_10empty_typeEbEEZZNS1_14partition_implILS8_3ELb0ES6_jNS0_17counting_iteratorIjlEEPS9_SE_NS0_5tupleIJPjSE_EEENSF_IJSE_SE_EEES9_SG_JZNS1_25segmented_radix_sort_implINS0_14default_configELb1EPK12hip_bfloat16PSL_PKlPlN2at6native12_GLOBAL__N_18offset_tEEE10hipError_tPvRmT1_PNSt15iterator_traitsISZ_E10value_typeET2_T3_PNS10_IS15_E10value_typeET4_jRbjT5_S1B_jjP12ihipStream_tbEUljE_EEESW_SX_SY_S15_S19_S1B_T6_T7_T9_mT8_S1D_bDpT10_ENKUlT_T0_E_clISt17integral_constantIbLb1EES1P_IbLb0EEEEDaS1L_S1M_EUlS1L_E_NS1_11comp_targetILNS1_3genE9ELNS1_11target_archE1100ELNS1_3gpuE3ELNS1_3repE0EEENS1_30default_config_static_selectorELNS0_4arch9wavefront6targetE1EEEvSZ_,"axG",@progbits,_ZN7rocprim17ROCPRIM_400000_NS6detail17trampoline_kernelINS0_13select_configILj256ELj13ELNS0_17block_load_methodE3ELS4_3ELS4_3ELNS0_20block_scan_algorithmE0ELj4294967295EEENS1_25partition_config_selectorILNS1_17partition_subalgoE3EjNS0_10empty_typeEbEEZZNS1_14partition_implILS8_3ELb0ES6_jNS0_17counting_iteratorIjlEEPS9_SE_NS0_5tupleIJPjSE_EEENSF_IJSE_SE_EEES9_SG_JZNS1_25segmented_radix_sort_implINS0_14default_configELb1EPK12hip_bfloat16PSL_PKlPlN2at6native12_GLOBAL__N_18offset_tEEE10hipError_tPvRmT1_PNSt15iterator_traitsISZ_E10value_typeET2_T3_PNS10_IS15_E10value_typeET4_jRbjT5_S1B_jjP12ihipStream_tbEUljE_EEESW_SX_SY_S15_S19_S1B_T6_T7_T9_mT8_S1D_bDpT10_ENKUlT_T0_E_clISt17integral_constantIbLb1EES1P_IbLb0EEEEDaS1L_S1M_EUlS1L_E_NS1_11comp_targetILNS1_3genE9ELNS1_11target_archE1100ELNS1_3gpuE3ELNS1_3repE0EEENS1_30default_config_static_selectorELNS0_4arch9wavefront6targetE1EEEvSZ_,comdat
.Lfunc_end1934:
	.size	_ZN7rocprim17ROCPRIM_400000_NS6detail17trampoline_kernelINS0_13select_configILj256ELj13ELNS0_17block_load_methodE3ELS4_3ELS4_3ELNS0_20block_scan_algorithmE0ELj4294967295EEENS1_25partition_config_selectorILNS1_17partition_subalgoE3EjNS0_10empty_typeEbEEZZNS1_14partition_implILS8_3ELb0ES6_jNS0_17counting_iteratorIjlEEPS9_SE_NS0_5tupleIJPjSE_EEENSF_IJSE_SE_EEES9_SG_JZNS1_25segmented_radix_sort_implINS0_14default_configELb1EPK12hip_bfloat16PSL_PKlPlN2at6native12_GLOBAL__N_18offset_tEEE10hipError_tPvRmT1_PNSt15iterator_traitsISZ_E10value_typeET2_T3_PNS10_IS15_E10value_typeET4_jRbjT5_S1B_jjP12ihipStream_tbEUljE_EEESW_SX_SY_S15_S19_S1B_T6_T7_T9_mT8_S1D_bDpT10_ENKUlT_T0_E_clISt17integral_constantIbLb1EES1P_IbLb0EEEEDaS1L_S1M_EUlS1L_E_NS1_11comp_targetILNS1_3genE9ELNS1_11target_archE1100ELNS1_3gpuE3ELNS1_3repE0EEENS1_30default_config_static_selectorELNS0_4arch9wavefront6targetE1EEEvSZ_, .Lfunc_end1934-_ZN7rocprim17ROCPRIM_400000_NS6detail17trampoline_kernelINS0_13select_configILj256ELj13ELNS0_17block_load_methodE3ELS4_3ELS4_3ELNS0_20block_scan_algorithmE0ELj4294967295EEENS1_25partition_config_selectorILNS1_17partition_subalgoE3EjNS0_10empty_typeEbEEZZNS1_14partition_implILS8_3ELb0ES6_jNS0_17counting_iteratorIjlEEPS9_SE_NS0_5tupleIJPjSE_EEENSF_IJSE_SE_EEES9_SG_JZNS1_25segmented_radix_sort_implINS0_14default_configELb1EPK12hip_bfloat16PSL_PKlPlN2at6native12_GLOBAL__N_18offset_tEEE10hipError_tPvRmT1_PNSt15iterator_traitsISZ_E10value_typeET2_T3_PNS10_IS15_E10value_typeET4_jRbjT5_S1B_jjP12ihipStream_tbEUljE_EEESW_SX_SY_S15_S19_S1B_T6_T7_T9_mT8_S1D_bDpT10_ENKUlT_T0_E_clISt17integral_constantIbLb1EES1P_IbLb0EEEEDaS1L_S1M_EUlS1L_E_NS1_11comp_targetILNS1_3genE9ELNS1_11target_archE1100ELNS1_3gpuE3ELNS1_3repE0EEENS1_30default_config_static_selectorELNS0_4arch9wavefront6targetE1EEEvSZ_
                                        ; -- End function
	.section	.AMDGPU.csdata,"",@progbits
; Kernel info:
; codeLenInByte = 0
; NumSgprs: 4
; NumVgprs: 0
; NumAgprs: 0
; TotalNumVgprs: 0
; ScratchSize: 0
; MemoryBound: 0
; FloatMode: 240
; IeeeMode: 1
; LDSByteSize: 0 bytes/workgroup (compile time only)
; SGPRBlocks: 0
; VGPRBlocks: 0
; NumSGPRsForWavesPerEU: 4
; NumVGPRsForWavesPerEU: 1
; AccumOffset: 4
; Occupancy: 8
; WaveLimiterHint : 0
; COMPUTE_PGM_RSRC2:SCRATCH_EN: 0
; COMPUTE_PGM_RSRC2:USER_SGPR: 6
; COMPUTE_PGM_RSRC2:TRAP_HANDLER: 0
; COMPUTE_PGM_RSRC2:TGID_X_EN: 1
; COMPUTE_PGM_RSRC2:TGID_Y_EN: 0
; COMPUTE_PGM_RSRC2:TGID_Z_EN: 0
; COMPUTE_PGM_RSRC2:TIDIG_COMP_CNT: 0
; COMPUTE_PGM_RSRC3_GFX90A:ACCUM_OFFSET: 0
; COMPUTE_PGM_RSRC3_GFX90A:TG_SPLIT: 0
	.section	.text._ZN7rocprim17ROCPRIM_400000_NS6detail17trampoline_kernelINS0_13select_configILj256ELj13ELNS0_17block_load_methodE3ELS4_3ELS4_3ELNS0_20block_scan_algorithmE0ELj4294967295EEENS1_25partition_config_selectorILNS1_17partition_subalgoE3EjNS0_10empty_typeEbEEZZNS1_14partition_implILS8_3ELb0ES6_jNS0_17counting_iteratorIjlEEPS9_SE_NS0_5tupleIJPjSE_EEENSF_IJSE_SE_EEES9_SG_JZNS1_25segmented_radix_sort_implINS0_14default_configELb1EPK12hip_bfloat16PSL_PKlPlN2at6native12_GLOBAL__N_18offset_tEEE10hipError_tPvRmT1_PNSt15iterator_traitsISZ_E10value_typeET2_T3_PNS10_IS15_E10value_typeET4_jRbjT5_S1B_jjP12ihipStream_tbEUljE_EEESW_SX_SY_S15_S19_S1B_T6_T7_T9_mT8_S1D_bDpT10_ENKUlT_T0_E_clISt17integral_constantIbLb1EES1P_IbLb0EEEEDaS1L_S1M_EUlS1L_E_NS1_11comp_targetILNS1_3genE8ELNS1_11target_archE1030ELNS1_3gpuE2ELNS1_3repE0EEENS1_30default_config_static_selectorELNS0_4arch9wavefront6targetE1EEEvSZ_,"axG",@progbits,_ZN7rocprim17ROCPRIM_400000_NS6detail17trampoline_kernelINS0_13select_configILj256ELj13ELNS0_17block_load_methodE3ELS4_3ELS4_3ELNS0_20block_scan_algorithmE0ELj4294967295EEENS1_25partition_config_selectorILNS1_17partition_subalgoE3EjNS0_10empty_typeEbEEZZNS1_14partition_implILS8_3ELb0ES6_jNS0_17counting_iteratorIjlEEPS9_SE_NS0_5tupleIJPjSE_EEENSF_IJSE_SE_EEES9_SG_JZNS1_25segmented_radix_sort_implINS0_14default_configELb1EPK12hip_bfloat16PSL_PKlPlN2at6native12_GLOBAL__N_18offset_tEEE10hipError_tPvRmT1_PNSt15iterator_traitsISZ_E10value_typeET2_T3_PNS10_IS15_E10value_typeET4_jRbjT5_S1B_jjP12ihipStream_tbEUljE_EEESW_SX_SY_S15_S19_S1B_T6_T7_T9_mT8_S1D_bDpT10_ENKUlT_T0_E_clISt17integral_constantIbLb1EES1P_IbLb0EEEEDaS1L_S1M_EUlS1L_E_NS1_11comp_targetILNS1_3genE8ELNS1_11target_archE1030ELNS1_3gpuE2ELNS1_3repE0EEENS1_30default_config_static_selectorELNS0_4arch9wavefront6targetE1EEEvSZ_,comdat
	.globl	_ZN7rocprim17ROCPRIM_400000_NS6detail17trampoline_kernelINS0_13select_configILj256ELj13ELNS0_17block_load_methodE3ELS4_3ELS4_3ELNS0_20block_scan_algorithmE0ELj4294967295EEENS1_25partition_config_selectorILNS1_17partition_subalgoE3EjNS0_10empty_typeEbEEZZNS1_14partition_implILS8_3ELb0ES6_jNS0_17counting_iteratorIjlEEPS9_SE_NS0_5tupleIJPjSE_EEENSF_IJSE_SE_EEES9_SG_JZNS1_25segmented_radix_sort_implINS0_14default_configELb1EPK12hip_bfloat16PSL_PKlPlN2at6native12_GLOBAL__N_18offset_tEEE10hipError_tPvRmT1_PNSt15iterator_traitsISZ_E10value_typeET2_T3_PNS10_IS15_E10value_typeET4_jRbjT5_S1B_jjP12ihipStream_tbEUljE_EEESW_SX_SY_S15_S19_S1B_T6_T7_T9_mT8_S1D_bDpT10_ENKUlT_T0_E_clISt17integral_constantIbLb1EES1P_IbLb0EEEEDaS1L_S1M_EUlS1L_E_NS1_11comp_targetILNS1_3genE8ELNS1_11target_archE1030ELNS1_3gpuE2ELNS1_3repE0EEENS1_30default_config_static_selectorELNS0_4arch9wavefront6targetE1EEEvSZ_ ; -- Begin function _ZN7rocprim17ROCPRIM_400000_NS6detail17trampoline_kernelINS0_13select_configILj256ELj13ELNS0_17block_load_methodE3ELS4_3ELS4_3ELNS0_20block_scan_algorithmE0ELj4294967295EEENS1_25partition_config_selectorILNS1_17partition_subalgoE3EjNS0_10empty_typeEbEEZZNS1_14partition_implILS8_3ELb0ES6_jNS0_17counting_iteratorIjlEEPS9_SE_NS0_5tupleIJPjSE_EEENSF_IJSE_SE_EEES9_SG_JZNS1_25segmented_radix_sort_implINS0_14default_configELb1EPK12hip_bfloat16PSL_PKlPlN2at6native12_GLOBAL__N_18offset_tEEE10hipError_tPvRmT1_PNSt15iterator_traitsISZ_E10value_typeET2_T3_PNS10_IS15_E10value_typeET4_jRbjT5_S1B_jjP12ihipStream_tbEUljE_EEESW_SX_SY_S15_S19_S1B_T6_T7_T9_mT8_S1D_bDpT10_ENKUlT_T0_E_clISt17integral_constantIbLb1EES1P_IbLb0EEEEDaS1L_S1M_EUlS1L_E_NS1_11comp_targetILNS1_3genE8ELNS1_11target_archE1030ELNS1_3gpuE2ELNS1_3repE0EEENS1_30default_config_static_selectorELNS0_4arch9wavefront6targetE1EEEvSZ_
	.p2align	8
	.type	_ZN7rocprim17ROCPRIM_400000_NS6detail17trampoline_kernelINS0_13select_configILj256ELj13ELNS0_17block_load_methodE3ELS4_3ELS4_3ELNS0_20block_scan_algorithmE0ELj4294967295EEENS1_25partition_config_selectorILNS1_17partition_subalgoE3EjNS0_10empty_typeEbEEZZNS1_14partition_implILS8_3ELb0ES6_jNS0_17counting_iteratorIjlEEPS9_SE_NS0_5tupleIJPjSE_EEENSF_IJSE_SE_EEES9_SG_JZNS1_25segmented_radix_sort_implINS0_14default_configELb1EPK12hip_bfloat16PSL_PKlPlN2at6native12_GLOBAL__N_18offset_tEEE10hipError_tPvRmT1_PNSt15iterator_traitsISZ_E10value_typeET2_T3_PNS10_IS15_E10value_typeET4_jRbjT5_S1B_jjP12ihipStream_tbEUljE_EEESW_SX_SY_S15_S19_S1B_T6_T7_T9_mT8_S1D_bDpT10_ENKUlT_T0_E_clISt17integral_constantIbLb1EES1P_IbLb0EEEEDaS1L_S1M_EUlS1L_E_NS1_11comp_targetILNS1_3genE8ELNS1_11target_archE1030ELNS1_3gpuE2ELNS1_3repE0EEENS1_30default_config_static_selectorELNS0_4arch9wavefront6targetE1EEEvSZ_,@function
_ZN7rocprim17ROCPRIM_400000_NS6detail17trampoline_kernelINS0_13select_configILj256ELj13ELNS0_17block_load_methodE3ELS4_3ELS4_3ELNS0_20block_scan_algorithmE0ELj4294967295EEENS1_25partition_config_selectorILNS1_17partition_subalgoE3EjNS0_10empty_typeEbEEZZNS1_14partition_implILS8_3ELb0ES6_jNS0_17counting_iteratorIjlEEPS9_SE_NS0_5tupleIJPjSE_EEENSF_IJSE_SE_EEES9_SG_JZNS1_25segmented_radix_sort_implINS0_14default_configELb1EPK12hip_bfloat16PSL_PKlPlN2at6native12_GLOBAL__N_18offset_tEEE10hipError_tPvRmT1_PNSt15iterator_traitsISZ_E10value_typeET2_T3_PNS10_IS15_E10value_typeET4_jRbjT5_S1B_jjP12ihipStream_tbEUljE_EEESW_SX_SY_S15_S19_S1B_T6_T7_T9_mT8_S1D_bDpT10_ENKUlT_T0_E_clISt17integral_constantIbLb1EES1P_IbLb0EEEEDaS1L_S1M_EUlS1L_E_NS1_11comp_targetILNS1_3genE8ELNS1_11target_archE1030ELNS1_3gpuE2ELNS1_3repE0EEENS1_30default_config_static_selectorELNS0_4arch9wavefront6targetE1EEEvSZ_: ; @_ZN7rocprim17ROCPRIM_400000_NS6detail17trampoline_kernelINS0_13select_configILj256ELj13ELNS0_17block_load_methodE3ELS4_3ELS4_3ELNS0_20block_scan_algorithmE0ELj4294967295EEENS1_25partition_config_selectorILNS1_17partition_subalgoE3EjNS0_10empty_typeEbEEZZNS1_14partition_implILS8_3ELb0ES6_jNS0_17counting_iteratorIjlEEPS9_SE_NS0_5tupleIJPjSE_EEENSF_IJSE_SE_EEES9_SG_JZNS1_25segmented_radix_sort_implINS0_14default_configELb1EPK12hip_bfloat16PSL_PKlPlN2at6native12_GLOBAL__N_18offset_tEEE10hipError_tPvRmT1_PNSt15iterator_traitsISZ_E10value_typeET2_T3_PNS10_IS15_E10value_typeET4_jRbjT5_S1B_jjP12ihipStream_tbEUljE_EEESW_SX_SY_S15_S19_S1B_T6_T7_T9_mT8_S1D_bDpT10_ENKUlT_T0_E_clISt17integral_constantIbLb1EES1P_IbLb0EEEEDaS1L_S1M_EUlS1L_E_NS1_11comp_targetILNS1_3genE8ELNS1_11target_archE1030ELNS1_3gpuE2ELNS1_3repE0EEENS1_30default_config_static_selectorELNS0_4arch9wavefront6targetE1EEEvSZ_
; %bb.0:
	.section	.rodata,"a",@progbits
	.p2align	6, 0x0
	.amdhsa_kernel _ZN7rocprim17ROCPRIM_400000_NS6detail17trampoline_kernelINS0_13select_configILj256ELj13ELNS0_17block_load_methodE3ELS4_3ELS4_3ELNS0_20block_scan_algorithmE0ELj4294967295EEENS1_25partition_config_selectorILNS1_17partition_subalgoE3EjNS0_10empty_typeEbEEZZNS1_14partition_implILS8_3ELb0ES6_jNS0_17counting_iteratorIjlEEPS9_SE_NS0_5tupleIJPjSE_EEENSF_IJSE_SE_EEES9_SG_JZNS1_25segmented_radix_sort_implINS0_14default_configELb1EPK12hip_bfloat16PSL_PKlPlN2at6native12_GLOBAL__N_18offset_tEEE10hipError_tPvRmT1_PNSt15iterator_traitsISZ_E10value_typeET2_T3_PNS10_IS15_E10value_typeET4_jRbjT5_S1B_jjP12ihipStream_tbEUljE_EEESW_SX_SY_S15_S19_S1B_T6_T7_T9_mT8_S1D_bDpT10_ENKUlT_T0_E_clISt17integral_constantIbLb1EES1P_IbLb0EEEEDaS1L_S1M_EUlS1L_E_NS1_11comp_targetILNS1_3genE8ELNS1_11target_archE1030ELNS1_3gpuE2ELNS1_3repE0EEENS1_30default_config_static_selectorELNS0_4arch9wavefront6targetE1EEEvSZ_
		.amdhsa_group_segment_fixed_size 0
		.amdhsa_private_segment_fixed_size 0
		.amdhsa_kernarg_size 144
		.amdhsa_user_sgpr_count 6
		.amdhsa_user_sgpr_private_segment_buffer 1
		.amdhsa_user_sgpr_dispatch_ptr 0
		.amdhsa_user_sgpr_queue_ptr 0
		.amdhsa_user_sgpr_kernarg_segment_ptr 1
		.amdhsa_user_sgpr_dispatch_id 0
		.amdhsa_user_sgpr_flat_scratch_init 0
		.amdhsa_user_sgpr_kernarg_preload_length 0
		.amdhsa_user_sgpr_kernarg_preload_offset 0
		.amdhsa_user_sgpr_private_segment_size 0
		.amdhsa_uses_dynamic_stack 0
		.amdhsa_system_sgpr_private_segment_wavefront_offset 0
		.amdhsa_system_sgpr_workgroup_id_x 1
		.amdhsa_system_sgpr_workgroup_id_y 0
		.amdhsa_system_sgpr_workgroup_id_z 0
		.amdhsa_system_sgpr_workgroup_info 0
		.amdhsa_system_vgpr_workitem_id 0
		.amdhsa_next_free_vgpr 1
		.amdhsa_next_free_sgpr 0
		.amdhsa_accum_offset 4
		.amdhsa_reserve_vcc 0
		.amdhsa_reserve_flat_scratch 0
		.amdhsa_float_round_mode_32 0
		.amdhsa_float_round_mode_16_64 0
		.amdhsa_float_denorm_mode_32 3
		.amdhsa_float_denorm_mode_16_64 3
		.amdhsa_dx10_clamp 1
		.amdhsa_ieee_mode 1
		.amdhsa_fp16_overflow 0
		.amdhsa_tg_split 0
		.amdhsa_exception_fp_ieee_invalid_op 0
		.amdhsa_exception_fp_denorm_src 0
		.amdhsa_exception_fp_ieee_div_zero 0
		.amdhsa_exception_fp_ieee_overflow 0
		.amdhsa_exception_fp_ieee_underflow 0
		.amdhsa_exception_fp_ieee_inexact 0
		.amdhsa_exception_int_div_zero 0
	.end_amdhsa_kernel
	.section	.text._ZN7rocprim17ROCPRIM_400000_NS6detail17trampoline_kernelINS0_13select_configILj256ELj13ELNS0_17block_load_methodE3ELS4_3ELS4_3ELNS0_20block_scan_algorithmE0ELj4294967295EEENS1_25partition_config_selectorILNS1_17partition_subalgoE3EjNS0_10empty_typeEbEEZZNS1_14partition_implILS8_3ELb0ES6_jNS0_17counting_iteratorIjlEEPS9_SE_NS0_5tupleIJPjSE_EEENSF_IJSE_SE_EEES9_SG_JZNS1_25segmented_radix_sort_implINS0_14default_configELb1EPK12hip_bfloat16PSL_PKlPlN2at6native12_GLOBAL__N_18offset_tEEE10hipError_tPvRmT1_PNSt15iterator_traitsISZ_E10value_typeET2_T3_PNS10_IS15_E10value_typeET4_jRbjT5_S1B_jjP12ihipStream_tbEUljE_EEESW_SX_SY_S15_S19_S1B_T6_T7_T9_mT8_S1D_bDpT10_ENKUlT_T0_E_clISt17integral_constantIbLb1EES1P_IbLb0EEEEDaS1L_S1M_EUlS1L_E_NS1_11comp_targetILNS1_3genE8ELNS1_11target_archE1030ELNS1_3gpuE2ELNS1_3repE0EEENS1_30default_config_static_selectorELNS0_4arch9wavefront6targetE1EEEvSZ_,"axG",@progbits,_ZN7rocprim17ROCPRIM_400000_NS6detail17trampoline_kernelINS0_13select_configILj256ELj13ELNS0_17block_load_methodE3ELS4_3ELS4_3ELNS0_20block_scan_algorithmE0ELj4294967295EEENS1_25partition_config_selectorILNS1_17partition_subalgoE3EjNS0_10empty_typeEbEEZZNS1_14partition_implILS8_3ELb0ES6_jNS0_17counting_iteratorIjlEEPS9_SE_NS0_5tupleIJPjSE_EEENSF_IJSE_SE_EEES9_SG_JZNS1_25segmented_radix_sort_implINS0_14default_configELb1EPK12hip_bfloat16PSL_PKlPlN2at6native12_GLOBAL__N_18offset_tEEE10hipError_tPvRmT1_PNSt15iterator_traitsISZ_E10value_typeET2_T3_PNS10_IS15_E10value_typeET4_jRbjT5_S1B_jjP12ihipStream_tbEUljE_EEESW_SX_SY_S15_S19_S1B_T6_T7_T9_mT8_S1D_bDpT10_ENKUlT_T0_E_clISt17integral_constantIbLb1EES1P_IbLb0EEEEDaS1L_S1M_EUlS1L_E_NS1_11comp_targetILNS1_3genE8ELNS1_11target_archE1030ELNS1_3gpuE2ELNS1_3repE0EEENS1_30default_config_static_selectorELNS0_4arch9wavefront6targetE1EEEvSZ_,comdat
.Lfunc_end1935:
	.size	_ZN7rocprim17ROCPRIM_400000_NS6detail17trampoline_kernelINS0_13select_configILj256ELj13ELNS0_17block_load_methodE3ELS4_3ELS4_3ELNS0_20block_scan_algorithmE0ELj4294967295EEENS1_25partition_config_selectorILNS1_17partition_subalgoE3EjNS0_10empty_typeEbEEZZNS1_14partition_implILS8_3ELb0ES6_jNS0_17counting_iteratorIjlEEPS9_SE_NS0_5tupleIJPjSE_EEENSF_IJSE_SE_EEES9_SG_JZNS1_25segmented_radix_sort_implINS0_14default_configELb1EPK12hip_bfloat16PSL_PKlPlN2at6native12_GLOBAL__N_18offset_tEEE10hipError_tPvRmT1_PNSt15iterator_traitsISZ_E10value_typeET2_T3_PNS10_IS15_E10value_typeET4_jRbjT5_S1B_jjP12ihipStream_tbEUljE_EEESW_SX_SY_S15_S19_S1B_T6_T7_T9_mT8_S1D_bDpT10_ENKUlT_T0_E_clISt17integral_constantIbLb1EES1P_IbLb0EEEEDaS1L_S1M_EUlS1L_E_NS1_11comp_targetILNS1_3genE8ELNS1_11target_archE1030ELNS1_3gpuE2ELNS1_3repE0EEENS1_30default_config_static_selectorELNS0_4arch9wavefront6targetE1EEEvSZ_, .Lfunc_end1935-_ZN7rocprim17ROCPRIM_400000_NS6detail17trampoline_kernelINS0_13select_configILj256ELj13ELNS0_17block_load_methodE3ELS4_3ELS4_3ELNS0_20block_scan_algorithmE0ELj4294967295EEENS1_25partition_config_selectorILNS1_17partition_subalgoE3EjNS0_10empty_typeEbEEZZNS1_14partition_implILS8_3ELb0ES6_jNS0_17counting_iteratorIjlEEPS9_SE_NS0_5tupleIJPjSE_EEENSF_IJSE_SE_EEES9_SG_JZNS1_25segmented_radix_sort_implINS0_14default_configELb1EPK12hip_bfloat16PSL_PKlPlN2at6native12_GLOBAL__N_18offset_tEEE10hipError_tPvRmT1_PNSt15iterator_traitsISZ_E10value_typeET2_T3_PNS10_IS15_E10value_typeET4_jRbjT5_S1B_jjP12ihipStream_tbEUljE_EEESW_SX_SY_S15_S19_S1B_T6_T7_T9_mT8_S1D_bDpT10_ENKUlT_T0_E_clISt17integral_constantIbLb1EES1P_IbLb0EEEEDaS1L_S1M_EUlS1L_E_NS1_11comp_targetILNS1_3genE8ELNS1_11target_archE1030ELNS1_3gpuE2ELNS1_3repE0EEENS1_30default_config_static_selectorELNS0_4arch9wavefront6targetE1EEEvSZ_
                                        ; -- End function
	.section	.AMDGPU.csdata,"",@progbits
; Kernel info:
; codeLenInByte = 0
; NumSgprs: 4
; NumVgprs: 0
; NumAgprs: 0
; TotalNumVgprs: 0
; ScratchSize: 0
; MemoryBound: 0
; FloatMode: 240
; IeeeMode: 1
; LDSByteSize: 0 bytes/workgroup (compile time only)
; SGPRBlocks: 0
; VGPRBlocks: 0
; NumSGPRsForWavesPerEU: 4
; NumVGPRsForWavesPerEU: 1
; AccumOffset: 4
; Occupancy: 8
; WaveLimiterHint : 0
; COMPUTE_PGM_RSRC2:SCRATCH_EN: 0
; COMPUTE_PGM_RSRC2:USER_SGPR: 6
; COMPUTE_PGM_RSRC2:TRAP_HANDLER: 0
; COMPUTE_PGM_RSRC2:TGID_X_EN: 1
; COMPUTE_PGM_RSRC2:TGID_Y_EN: 0
; COMPUTE_PGM_RSRC2:TGID_Z_EN: 0
; COMPUTE_PGM_RSRC2:TIDIG_COMP_CNT: 0
; COMPUTE_PGM_RSRC3_GFX90A:ACCUM_OFFSET: 0
; COMPUTE_PGM_RSRC3_GFX90A:TG_SPLIT: 0
	.section	.text._ZN7rocprim17ROCPRIM_400000_NS6detail17trampoline_kernelINS0_13select_configILj256ELj13ELNS0_17block_load_methodE3ELS4_3ELS4_3ELNS0_20block_scan_algorithmE0ELj4294967295EEENS1_25partition_config_selectorILNS1_17partition_subalgoE3EjNS0_10empty_typeEbEEZZNS1_14partition_implILS8_3ELb0ES6_jNS0_17counting_iteratorIjlEEPS9_SE_NS0_5tupleIJPjSE_EEENSF_IJSE_SE_EEES9_SG_JZNS1_25segmented_radix_sort_implINS0_14default_configELb1EPK12hip_bfloat16PSL_PKlPlN2at6native12_GLOBAL__N_18offset_tEEE10hipError_tPvRmT1_PNSt15iterator_traitsISZ_E10value_typeET2_T3_PNS10_IS15_E10value_typeET4_jRbjT5_S1B_jjP12ihipStream_tbEUljE_EEESW_SX_SY_S15_S19_S1B_T6_T7_T9_mT8_S1D_bDpT10_ENKUlT_T0_E_clISt17integral_constantIbLb0EES1P_IbLb1EEEEDaS1L_S1M_EUlS1L_E_NS1_11comp_targetILNS1_3genE0ELNS1_11target_archE4294967295ELNS1_3gpuE0ELNS1_3repE0EEENS1_30default_config_static_selectorELNS0_4arch9wavefront6targetE1EEEvSZ_,"axG",@progbits,_ZN7rocprim17ROCPRIM_400000_NS6detail17trampoline_kernelINS0_13select_configILj256ELj13ELNS0_17block_load_methodE3ELS4_3ELS4_3ELNS0_20block_scan_algorithmE0ELj4294967295EEENS1_25partition_config_selectorILNS1_17partition_subalgoE3EjNS0_10empty_typeEbEEZZNS1_14partition_implILS8_3ELb0ES6_jNS0_17counting_iteratorIjlEEPS9_SE_NS0_5tupleIJPjSE_EEENSF_IJSE_SE_EEES9_SG_JZNS1_25segmented_radix_sort_implINS0_14default_configELb1EPK12hip_bfloat16PSL_PKlPlN2at6native12_GLOBAL__N_18offset_tEEE10hipError_tPvRmT1_PNSt15iterator_traitsISZ_E10value_typeET2_T3_PNS10_IS15_E10value_typeET4_jRbjT5_S1B_jjP12ihipStream_tbEUljE_EEESW_SX_SY_S15_S19_S1B_T6_T7_T9_mT8_S1D_bDpT10_ENKUlT_T0_E_clISt17integral_constantIbLb0EES1P_IbLb1EEEEDaS1L_S1M_EUlS1L_E_NS1_11comp_targetILNS1_3genE0ELNS1_11target_archE4294967295ELNS1_3gpuE0ELNS1_3repE0EEENS1_30default_config_static_selectorELNS0_4arch9wavefront6targetE1EEEvSZ_,comdat
	.globl	_ZN7rocprim17ROCPRIM_400000_NS6detail17trampoline_kernelINS0_13select_configILj256ELj13ELNS0_17block_load_methodE3ELS4_3ELS4_3ELNS0_20block_scan_algorithmE0ELj4294967295EEENS1_25partition_config_selectorILNS1_17partition_subalgoE3EjNS0_10empty_typeEbEEZZNS1_14partition_implILS8_3ELb0ES6_jNS0_17counting_iteratorIjlEEPS9_SE_NS0_5tupleIJPjSE_EEENSF_IJSE_SE_EEES9_SG_JZNS1_25segmented_radix_sort_implINS0_14default_configELb1EPK12hip_bfloat16PSL_PKlPlN2at6native12_GLOBAL__N_18offset_tEEE10hipError_tPvRmT1_PNSt15iterator_traitsISZ_E10value_typeET2_T3_PNS10_IS15_E10value_typeET4_jRbjT5_S1B_jjP12ihipStream_tbEUljE_EEESW_SX_SY_S15_S19_S1B_T6_T7_T9_mT8_S1D_bDpT10_ENKUlT_T0_E_clISt17integral_constantIbLb0EES1P_IbLb1EEEEDaS1L_S1M_EUlS1L_E_NS1_11comp_targetILNS1_3genE0ELNS1_11target_archE4294967295ELNS1_3gpuE0ELNS1_3repE0EEENS1_30default_config_static_selectorELNS0_4arch9wavefront6targetE1EEEvSZ_ ; -- Begin function _ZN7rocprim17ROCPRIM_400000_NS6detail17trampoline_kernelINS0_13select_configILj256ELj13ELNS0_17block_load_methodE3ELS4_3ELS4_3ELNS0_20block_scan_algorithmE0ELj4294967295EEENS1_25partition_config_selectorILNS1_17partition_subalgoE3EjNS0_10empty_typeEbEEZZNS1_14partition_implILS8_3ELb0ES6_jNS0_17counting_iteratorIjlEEPS9_SE_NS0_5tupleIJPjSE_EEENSF_IJSE_SE_EEES9_SG_JZNS1_25segmented_radix_sort_implINS0_14default_configELb1EPK12hip_bfloat16PSL_PKlPlN2at6native12_GLOBAL__N_18offset_tEEE10hipError_tPvRmT1_PNSt15iterator_traitsISZ_E10value_typeET2_T3_PNS10_IS15_E10value_typeET4_jRbjT5_S1B_jjP12ihipStream_tbEUljE_EEESW_SX_SY_S15_S19_S1B_T6_T7_T9_mT8_S1D_bDpT10_ENKUlT_T0_E_clISt17integral_constantIbLb0EES1P_IbLb1EEEEDaS1L_S1M_EUlS1L_E_NS1_11comp_targetILNS1_3genE0ELNS1_11target_archE4294967295ELNS1_3gpuE0ELNS1_3repE0EEENS1_30default_config_static_selectorELNS0_4arch9wavefront6targetE1EEEvSZ_
	.p2align	8
	.type	_ZN7rocprim17ROCPRIM_400000_NS6detail17trampoline_kernelINS0_13select_configILj256ELj13ELNS0_17block_load_methodE3ELS4_3ELS4_3ELNS0_20block_scan_algorithmE0ELj4294967295EEENS1_25partition_config_selectorILNS1_17partition_subalgoE3EjNS0_10empty_typeEbEEZZNS1_14partition_implILS8_3ELb0ES6_jNS0_17counting_iteratorIjlEEPS9_SE_NS0_5tupleIJPjSE_EEENSF_IJSE_SE_EEES9_SG_JZNS1_25segmented_radix_sort_implINS0_14default_configELb1EPK12hip_bfloat16PSL_PKlPlN2at6native12_GLOBAL__N_18offset_tEEE10hipError_tPvRmT1_PNSt15iterator_traitsISZ_E10value_typeET2_T3_PNS10_IS15_E10value_typeET4_jRbjT5_S1B_jjP12ihipStream_tbEUljE_EEESW_SX_SY_S15_S19_S1B_T6_T7_T9_mT8_S1D_bDpT10_ENKUlT_T0_E_clISt17integral_constantIbLb0EES1P_IbLb1EEEEDaS1L_S1M_EUlS1L_E_NS1_11comp_targetILNS1_3genE0ELNS1_11target_archE4294967295ELNS1_3gpuE0ELNS1_3repE0EEENS1_30default_config_static_selectorELNS0_4arch9wavefront6targetE1EEEvSZ_,@function
_ZN7rocprim17ROCPRIM_400000_NS6detail17trampoline_kernelINS0_13select_configILj256ELj13ELNS0_17block_load_methodE3ELS4_3ELS4_3ELNS0_20block_scan_algorithmE0ELj4294967295EEENS1_25partition_config_selectorILNS1_17partition_subalgoE3EjNS0_10empty_typeEbEEZZNS1_14partition_implILS8_3ELb0ES6_jNS0_17counting_iteratorIjlEEPS9_SE_NS0_5tupleIJPjSE_EEENSF_IJSE_SE_EEES9_SG_JZNS1_25segmented_radix_sort_implINS0_14default_configELb1EPK12hip_bfloat16PSL_PKlPlN2at6native12_GLOBAL__N_18offset_tEEE10hipError_tPvRmT1_PNSt15iterator_traitsISZ_E10value_typeET2_T3_PNS10_IS15_E10value_typeET4_jRbjT5_S1B_jjP12ihipStream_tbEUljE_EEESW_SX_SY_S15_S19_S1B_T6_T7_T9_mT8_S1D_bDpT10_ENKUlT_T0_E_clISt17integral_constantIbLb0EES1P_IbLb1EEEEDaS1L_S1M_EUlS1L_E_NS1_11comp_targetILNS1_3genE0ELNS1_11target_archE4294967295ELNS1_3gpuE0ELNS1_3repE0EEENS1_30default_config_static_selectorELNS0_4arch9wavefront6targetE1EEEvSZ_: ; @_ZN7rocprim17ROCPRIM_400000_NS6detail17trampoline_kernelINS0_13select_configILj256ELj13ELNS0_17block_load_methodE3ELS4_3ELS4_3ELNS0_20block_scan_algorithmE0ELj4294967295EEENS1_25partition_config_selectorILNS1_17partition_subalgoE3EjNS0_10empty_typeEbEEZZNS1_14partition_implILS8_3ELb0ES6_jNS0_17counting_iteratorIjlEEPS9_SE_NS0_5tupleIJPjSE_EEENSF_IJSE_SE_EEES9_SG_JZNS1_25segmented_radix_sort_implINS0_14default_configELb1EPK12hip_bfloat16PSL_PKlPlN2at6native12_GLOBAL__N_18offset_tEEE10hipError_tPvRmT1_PNSt15iterator_traitsISZ_E10value_typeET2_T3_PNS10_IS15_E10value_typeET4_jRbjT5_S1B_jjP12ihipStream_tbEUljE_EEESW_SX_SY_S15_S19_S1B_T6_T7_T9_mT8_S1D_bDpT10_ENKUlT_T0_E_clISt17integral_constantIbLb0EES1P_IbLb1EEEEDaS1L_S1M_EUlS1L_E_NS1_11comp_targetILNS1_3genE0ELNS1_11target_archE4294967295ELNS1_3gpuE0ELNS1_3repE0EEENS1_30default_config_static_selectorELNS0_4arch9wavefront6targetE1EEEvSZ_
; %bb.0:
	.section	.rodata,"a",@progbits
	.p2align	6, 0x0
	.amdhsa_kernel _ZN7rocprim17ROCPRIM_400000_NS6detail17trampoline_kernelINS0_13select_configILj256ELj13ELNS0_17block_load_methodE3ELS4_3ELS4_3ELNS0_20block_scan_algorithmE0ELj4294967295EEENS1_25partition_config_selectorILNS1_17partition_subalgoE3EjNS0_10empty_typeEbEEZZNS1_14partition_implILS8_3ELb0ES6_jNS0_17counting_iteratorIjlEEPS9_SE_NS0_5tupleIJPjSE_EEENSF_IJSE_SE_EEES9_SG_JZNS1_25segmented_radix_sort_implINS0_14default_configELb1EPK12hip_bfloat16PSL_PKlPlN2at6native12_GLOBAL__N_18offset_tEEE10hipError_tPvRmT1_PNSt15iterator_traitsISZ_E10value_typeET2_T3_PNS10_IS15_E10value_typeET4_jRbjT5_S1B_jjP12ihipStream_tbEUljE_EEESW_SX_SY_S15_S19_S1B_T6_T7_T9_mT8_S1D_bDpT10_ENKUlT_T0_E_clISt17integral_constantIbLb0EES1P_IbLb1EEEEDaS1L_S1M_EUlS1L_E_NS1_11comp_targetILNS1_3genE0ELNS1_11target_archE4294967295ELNS1_3gpuE0ELNS1_3repE0EEENS1_30default_config_static_selectorELNS0_4arch9wavefront6targetE1EEEvSZ_
		.amdhsa_group_segment_fixed_size 0
		.amdhsa_private_segment_fixed_size 0
		.amdhsa_kernarg_size 152
		.amdhsa_user_sgpr_count 6
		.amdhsa_user_sgpr_private_segment_buffer 1
		.amdhsa_user_sgpr_dispatch_ptr 0
		.amdhsa_user_sgpr_queue_ptr 0
		.amdhsa_user_sgpr_kernarg_segment_ptr 1
		.amdhsa_user_sgpr_dispatch_id 0
		.amdhsa_user_sgpr_flat_scratch_init 0
		.amdhsa_user_sgpr_kernarg_preload_length 0
		.amdhsa_user_sgpr_kernarg_preload_offset 0
		.amdhsa_user_sgpr_private_segment_size 0
		.amdhsa_uses_dynamic_stack 0
		.amdhsa_system_sgpr_private_segment_wavefront_offset 0
		.amdhsa_system_sgpr_workgroup_id_x 1
		.amdhsa_system_sgpr_workgroup_id_y 0
		.amdhsa_system_sgpr_workgroup_id_z 0
		.amdhsa_system_sgpr_workgroup_info 0
		.amdhsa_system_vgpr_workitem_id 0
		.amdhsa_next_free_vgpr 1
		.amdhsa_next_free_sgpr 0
		.amdhsa_accum_offset 4
		.amdhsa_reserve_vcc 0
		.amdhsa_reserve_flat_scratch 0
		.amdhsa_float_round_mode_32 0
		.amdhsa_float_round_mode_16_64 0
		.amdhsa_float_denorm_mode_32 3
		.amdhsa_float_denorm_mode_16_64 3
		.amdhsa_dx10_clamp 1
		.amdhsa_ieee_mode 1
		.amdhsa_fp16_overflow 0
		.amdhsa_tg_split 0
		.amdhsa_exception_fp_ieee_invalid_op 0
		.amdhsa_exception_fp_denorm_src 0
		.amdhsa_exception_fp_ieee_div_zero 0
		.amdhsa_exception_fp_ieee_overflow 0
		.amdhsa_exception_fp_ieee_underflow 0
		.amdhsa_exception_fp_ieee_inexact 0
		.amdhsa_exception_int_div_zero 0
	.end_amdhsa_kernel
	.section	.text._ZN7rocprim17ROCPRIM_400000_NS6detail17trampoline_kernelINS0_13select_configILj256ELj13ELNS0_17block_load_methodE3ELS4_3ELS4_3ELNS0_20block_scan_algorithmE0ELj4294967295EEENS1_25partition_config_selectorILNS1_17partition_subalgoE3EjNS0_10empty_typeEbEEZZNS1_14partition_implILS8_3ELb0ES6_jNS0_17counting_iteratorIjlEEPS9_SE_NS0_5tupleIJPjSE_EEENSF_IJSE_SE_EEES9_SG_JZNS1_25segmented_radix_sort_implINS0_14default_configELb1EPK12hip_bfloat16PSL_PKlPlN2at6native12_GLOBAL__N_18offset_tEEE10hipError_tPvRmT1_PNSt15iterator_traitsISZ_E10value_typeET2_T3_PNS10_IS15_E10value_typeET4_jRbjT5_S1B_jjP12ihipStream_tbEUljE_EEESW_SX_SY_S15_S19_S1B_T6_T7_T9_mT8_S1D_bDpT10_ENKUlT_T0_E_clISt17integral_constantIbLb0EES1P_IbLb1EEEEDaS1L_S1M_EUlS1L_E_NS1_11comp_targetILNS1_3genE0ELNS1_11target_archE4294967295ELNS1_3gpuE0ELNS1_3repE0EEENS1_30default_config_static_selectorELNS0_4arch9wavefront6targetE1EEEvSZ_,"axG",@progbits,_ZN7rocprim17ROCPRIM_400000_NS6detail17trampoline_kernelINS0_13select_configILj256ELj13ELNS0_17block_load_methodE3ELS4_3ELS4_3ELNS0_20block_scan_algorithmE0ELj4294967295EEENS1_25partition_config_selectorILNS1_17partition_subalgoE3EjNS0_10empty_typeEbEEZZNS1_14partition_implILS8_3ELb0ES6_jNS0_17counting_iteratorIjlEEPS9_SE_NS0_5tupleIJPjSE_EEENSF_IJSE_SE_EEES9_SG_JZNS1_25segmented_radix_sort_implINS0_14default_configELb1EPK12hip_bfloat16PSL_PKlPlN2at6native12_GLOBAL__N_18offset_tEEE10hipError_tPvRmT1_PNSt15iterator_traitsISZ_E10value_typeET2_T3_PNS10_IS15_E10value_typeET4_jRbjT5_S1B_jjP12ihipStream_tbEUljE_EEESW_SX_SY_S15_S19_S1B_T6_T7_T9_mT8_S1D_bDpT10_ENKUlT_T0_E_clISt17integral_constantIbLb0EES1P_IbLb1EEEEDaS1L_S1M_EUlS1L_E_NS1_11comp_targetILNS1_3genE0ELNS1_11target_archE4294967295ELNS1_3gpuE0ELNS1_3repE0EEENS1_30default_config_static_selectorELNS0_4arch9wavefront6targetE1EEEvSZ_,comdat
.Lfunc_end1936:
	.size	_ZN7rocprim17ROCPRIM_400000_NS6detail17trampoline_kernelINS0_13select_configILj256ELj13ELNS0_17block_load_methodE3ELS4_3ELS4_3ELNS0_20block_scan_algorithmE0ELj4294967295EEENS1_25partition_config_selectorILNS1_17partition_subalgoE3EjNS0_10empty_typeEbEEZZNS1_14partition_implILS8_3ELb0ES6_jNS0_17counting_iteratorIjlEEPS9_SE_NS0_5tupleIJPjSE_EEENSF_IJSE_SE_EEES9_SG_JZNS1_25segmented_radix_sort_implINS0_14default_configELb1EPK12hip_bfloat16PSL_PKlPlN2at6native12_GLOBAL__N_18offset_tEEE10hipError_tPvRmT1_PNSt15iterator_traitsISZ_E10value_typeET2_T3_PNS10_IS15_E10value_typeET4_jRbjT5_S1B_jjP12ihipStream_tbEUljE_EEESW_SX_SY_S15_S19_S1B_T6_T7_T9_mT8_S1D_bDpT10_ENKUlT_T0_E_clISt17integral_constantIbLb0EES1P_IbLb1EEEEDaS1L_S1M_EUlS1L_E_NS1_11comp_targetILNS1_3genE0ELNS1_11target_archE4294967295ELNS1_3gpuE0ELNS1_3repE0EEENS1_30default_config_static_selectorELNS0_4arch9wavefront6targetE1EEEvSZ_, .Lfunc_end1936-_ZN7rocprim17ROCPRIM_400000_NS6detail17trampoline_kernelINS0_13select_configILj256ELj13ELNS0_17block_load_methodE3ELS4_3ELS4_3ELNS0_20block_scan_algorithmE0ELj4294967295EEENS1_25partition_config_selectorILNS1_17partition_subalgoE3EjNS0_10empty_typeEbEEZZNS1_14partition_implILS8_3ELb0ES6_jNS0_17counting_iteratorIjlEEPS9_SE_NS0_5tupleIJPjSE_EEENSF_IJSE_SE_EEES9_SG_JZNS1_25segmented_radix_sort_implINS0_14default_configELb1EPK12hip_bfloat16PSL_PKlPlN2at6native12_GLOBAL__N_18offset_tEEE10hipError_tPvRmT1_PNSt15iterator_traitsISZ_E10value_typeET2_T3_PNS10_IS15_E10value_typeET4_jRbjT5_S1B_jjP12ihipStream_tbEUljE_EEESW_SX_SY_S15_S19_S1B_T6_T7_T9_mT8_S1D_bDpT10_ENKUlT_T0_E_clISt17integral_constantIbLb0EES1P_IbLb1EEEEDaS1L_S1M_EUlS1L_E_NS1_11comp_targetILNS1_3genE0ELNS1_11target_archE4294967295ELNS1_3gpuE0ELNS1_3repE0EEENS1_30default_config_static_selectorELNS0_4arch9wavefront6targetE1EEEvSZ_
                                        ; -- End function
	.section	.AMDGPU.csdata,"",@progbits
; Kernel info:
; codeLenInByte = 0
; NumSgprs: 4
; NumVgprs: 0
; NumAgprs: 0
; TotalNumVgprs: 0
; ScratchSize: 0
; MemoryBound: 0
; FloatMode: 240
; IeeeMode: 1
; LDSByteSize: 0 bytes/workgroup (compile time only)
; SGPRBlocks: 0
; VGPRBlocks: 0
; NumSGPRsForWavesPerEU: 4
; NumVGPRsForWavesPerEU: 1
; AccumOffset: 4
; Occupancy: 8
; WaveLimiterHint : 0
; COMPUTE_PGM_RSRC2:SCRATCH_EN: 0
; COMPUTE_PGM_RSRC2:USER_SGPR: 6
; COMPUTE_PGM_RSRC2:TRAP_HANDLER: 0
; COMPUTE_PGM_RSRC2:TGID_X_EN: 1
; COMPUTE_PGM_RSRC2:TGID_Y_EN: 0
; COMPUTE_PGM_RSRC2:TGID_Z_EN: 0
; COMPUTE_PGM_RSRC2:TIDIG_COMP_CNT: 0
; COMPUTE_PGM_RSRC3_GFX90A:ACCUM_OFFSET: 0
; COMPUTE_PGM_RSRC3_GFX90A:TG_SPLIT: 0
	.section	.text._ZN7rocprim17ROCPRIM_400000_NS6detail17trampoline_kernelINS0_13select_configILj256ELj13ELNS0_17block_load_methodE3ELS4_3ELS4_3ELNS0_20block_scan_algorithmE0ELj4294967295EEENS1_25partition_config_selectorILNS1_17partition_subalgoE3EjNS0_10empty_typeEbEEZZNS1_14partition_implILS8_3ELb0ES6_jNS0_17counting_iteratorIjlEEPS9_SE_NS0_5tupleIJPjSE_EEENSF_IJSE_SE_EEES9_SG_JZNS1_25segmented_radix_sort_implINS0_14default_configELb1EPK12hip_bfloat16PSL_PKlPlN2at6native12_GLOBAL__N_18offset_tEEE10hipError_tPvRmT1_PNSt15iterator_traitsISZ_E10value_typeET2_T3_PNS10_IS15_E10value_typeET4_jRbjT5_S1B_jjP12ihipStream_tbEUljE_EEESW_SX_SY_S15_S19_S1B_T6_T7_T9_mT8_S1D_bDpT10_ENKUlT_T0_E_clISt17integral_constantIbLb0EES1P_IbLb1EEEEDaS1L_S1M_EUlS1L_E_NS1_11comp_targetILNS1_3genE5ELNS1_11target_archE942ELNS1_3gpuE9ELNS1_3repE0EEENS1_30default_config_static_selectorELNS0_4arch9wavefront6targetE1EEEvSZ_,"axG",@progbits,_ZN7rocprim17ROCPRIM_400000_NS6detail17trampoline_kernelINS0_13select_configILj256ELj13ELNS0_17block_load_methodE3ELS4_3ELS4_3ELNS0_20block_scan_algorithmE0ELj4294967295EEENS1_25partition_config_selectorILNS1_17partition_subalgoE3EjNS0_10empty_typeEbEEZZNS1_14partition_implILS8_3ELb0ES6_jNS0_17counting_iteratorIjlEEPS9_SE_NS0_5tupleIJPjSE_EEENSF_IJSE_SE_EEES9_SG_JZNS1_25segmented_radix_sort_implINS0_14default_configELb1EPK12hip_bfloat16PSL_PKlPlN2at6native12_GLOBAL__N_18offset_tEEE10hipError_tPvRmT1_PNSt15iterator_traitsISZ_E10value_typeET2_T3_PNS10_IS15_E10value_typeET4_jRbjT5_S1B_jjP12ihipStream_tbEUljE_EEESW_SX_SY_S15_S19_S1B_T6_T7_T9_mT8_S1D_bDpT10_ENKUlT_T0_E_clISt17integral_constantIbLb0EES1P_IbLb1EEEEDaS1L_S1M_EUlS1L_E_NS1_11comp_targetILNS1_3genE5ELNS1_11target_archE942ELNS1_3gpuE9ELNS1_3repE0EEENS1_30default_config_static_selectorELNS0_4arch9wavefront6targetE1EEEvSZ_,comdat
	.globl	_ZN7rocprim17ROCPRIM_400000_NS6detail17trampoline_kernelINS0_13select_configILj256ELj13ELNS0_17block_load_methodE3ELS4_3ELS4_3ELNS0_20block_scan_algorithmE0ELj4294967295EEENS1_25partition_config_selectorILNS1_17partition_subalgoE3EjNS0_10empty_typeEbEEZZNS1_14partition_implILS8_3ELb0ES6_jNS0_17counting_iteratorIjlEEPS9_SE_NS0_5tupleIJPjSE_EEENSF_IJSE_SE_EEES9_SG_JZNS1_25segmented_radix_sort_implINS0_14default_configELb1EPK12hip_bfloat16PSL_PKlPlN2at6native12_GLOBAL__N_18offset_tEEE10hipError_tPvRmT1_PNSt15iterator_traitsISZ_E10value_typeET2_T3_PNS10_IS15_E10value_typeET4_jRbjT5_S1B_jjP12ihipStream_tbEUljE_EEESW_SX_SY_S15_S19_S1B_T6_T7_T9_mT8_S1D_bDpT10_ENKUlT_T0_E_clISt17integral_constantIbLb0EES1P_IbLb1EEEEDaS1L_S1M_EUlS1L_E_NS1_11comp_targetILNS1_3genE5ELNS1_11target_archE942ELNS1_3gpuE9ELNS1_3repE0EEENS1_30default_config_static_selectorELNS0_4arch9wavefront6targetE1EEEvSZ_ ; -- Begin function _ZN7rocprim17ROCPRIM_400000_NS6detail17trampoline_kernelINS0_13select_configILj256ELj13ELNS0_17block_load_methodE3ELS4_3ELS4_3ELNS0_20block_scan_algorithmE0ELj4294967295EEENS1_25partition_config_selectorILNS1_17partition_subalgoE3EjNS0_10empty_typeEbEEZZNS1_14partition_implILS8_3ELb0ES6_jNS0_17counting_iteratorIjlEEPS9_SE_NS0_5tupleIJPjSE_EEENSF_IJSE_SE_EEES9_SG_JZNS1_25segmented_radix_sort_implINS0_14default_configELb1EPK12hip_bfloat16PSL_PKlPlN2at6native12_GLOBAL__N_18offset_tEEE10hipError_tPvRmT1_PNSt15iterator_traitsISZ_E10value_typeET2_T3_PNS10_IS15_E10value_typeET4_jRbjT5_S1B_jjP12ihipStream_tbEUljE_EEESW_SX_SY_S15_S19_S1B_T6_T7_T9_mT8_S1D_bDpT10_ENKUlT_T0_E_clISt17integral_constantIbLb0EES1P_IbLb1EEEEDaS1L_S1M_EUlS1L_E_NS1_11comp_targetILNS1_3genE5ELNS1_11target_archE942ELNS1_3gpuE9ELNS1_3repE0EEENS1_30default_config_static_selectorELNS0_4arch9wavefront6targetE1EEEvSZ_
	.p2align	8
	.type	_ZN7rocprim17ROCPRIM_400000_NS6detail17trampoline_kernelINS0_13select_configILj256ELj13ELNS0_17block_load_methodE3ELS4_3ELS4_3ELNS0_20block_scan_algorithmE0ELj4294967295EEENS1_25partition_config_selectorILNS1_17partition_subalgoE3EjNS0_10empty_typeEbEEZZNS1_14partition_implILS8_3ELb0ES6_jNS0_17counting_iteratorIjlEEPS9_SE_NS0_5tupleIJPjSE_EEENSF_IJSE_SE_EEES9_SG_JZNS1_25segmented_radix_sort_implINS0_14default_configELb1EPK12hip_bfloat16PSL_PKlPlN2at6native12_GLOBAL__N_18offset_tEEE10hipError_tPvRmT1_PNSt15iterator_traitsISZ_E10value_typeET2_T3_PNS10_IS15_E10value_typeET4_jRbjT5_S1B_jjP12ihipStream_tbEUljE_EEESW_SX_SY_S15_S19_S1B_T6_T7_T9_mT8_S1D_bDpT10_ENKUlT_T0_E_clISt17integral_constantIbLb0EES1P_IbLb1EEEEDaS1L_S1M_EUlS1L_E_NS1_11comp_targetILNS1_3genE5ELNS1_11target_archE942ELNS1_3gpuE9ELNS1_3repE0EEENS1_30default_config_static_selectorELNS0_4arch9wavefront6targetE1EEEvSZ_,@function
_ZN7rocprim17ROCPRIM_400000_NS6detail17trampoline_kernelINS0_13select_configILj256ELj13ELNS0_17block_load_methodE3ELS4_3ELS4_3ELNS0_20block_scan_algorithmE0ELj4294967295EEENS1_25partition_config_selectorILNS1_17partition_subalgoE3EjNS0_10empty_typeEbEEZZNS1_14partition_implILS8_3ELb0ES6_jNS0_17counting_iteratorIjlEEPS9_SE_NS0_5tupleIJPjSE_EEENSF_IJSE_SE_EEES9_SG_JZNS1_25segmented_radix_sort_implINS0_14default_configELb1EPK12hip_bfloat16PSL_PKlPlN2at6native12_GLOBAL__N_18offset_tEEE10hipError_tPvRmT1_PNSt15iterator_traitsISZ_E10value_typeET2_T3_PNS10_IS15_E10value_typeET4_jRbjT5_S1B_jjP12ihipStream_tbEUljE_EEESW_SX_SY_S15_S19_S1B_T6_T7_T9_mT8_S1D_bDpT10_ENKUlT_T0_E_clISt17integral_constantIbLb0EES1P_IbLb1EEEEDaS1L_S1M_EUlS1L_E_NS1_11comp_targetILNS1_3genE5ELNS1_11target_archE942ELNS1_3gpuE9ELNS1_3repE0EEENS1_30default_config_static_selectorELNS0_4arch9wavefront6targetE1EEEvSZ_: ; @_ZN7rocprim17ROCPRIM_400000_NS6detail17trampoline_kernelINS0_13select_configILj256ELj13ELNS0_17block_load_methodE3ELS4_3ELS4_3ELNS0_20block_scan_algorithmE0ELj4294967295EEENS1_25partition_config_selectorILNS1_17partition_subalgoE3EjNS0_10empty_typeEbEEZZNS1_14partition_implILS8_3ELb0ES6_jNS0_17counting_iteratorIjlEEPS9_SE_NS0_5tupleIJPjSE_EEENSF_IJSE_SE_EEES9_SG_JZNS1_25segmented_radix_sort_implINS0_14default_configELb1EPK12hip_bfloat16PSL_PKlPlN2at6native12_GLOBAL__N_18offset_tEEE10hipError_tPvRmT1_PNSt15iterator_traitsISZ_E10value_typeET2_T3_PNS10_IS15_E10value_typeET4_jRbjT5_S1B_jjP12ihipStream_tbEUljE_EEESW_SX_SY_S15_S19_S1B_T6_T7_T9_mT8_S1D_bDpT10_ENKUlT_T0_E_clISt17integral_constantIbLb0EES1P_IbLb1EEEEDaS1L_S1M_EUlS1L_E_NS1_11comp_targetILNS1_3genE5ELNS1_11target_archE942ELNS1_3gpuE9ELNS1_3repE0EEENS1_30default_config_static_selectorELNS0_4arch9wavefront6targetE1EEEvSZ_
; %bb.0:
	.section	.rodata,"a",@progbits
	.p2align	6, 0x0
	.amdhsa_kernel _ZN7rocprim17ROCPRIM_400000_NS6detail17trampoline_kernelINS0_13select_configILj256ELj13ELNS0_17block_load_methodE3ELS4_3ELS4_3ELNS0_20block_scan_algorithmE0ELj4294967295EEENS1_25partition_config_selectorILNS1_17partition_subalgoE3EjNS0_10empty_typeEbEEZZNS1_14partition_implILS8_3ELb0ES6_jNS0_17counting_iteratorIjlEEPS9_SE_NS0_5tupleIJPjSE_EEENSF_IJSE_SE_EEES9_SG_JZNS1_25segmented_radix_sort_implINS0_14default_configELb1EPK12hip_bfloat16PSL_PKlPlN2at6native12_GLOBAL__N_18offset_tEEE10hipError_tPvRmT1_PNSt15iterator_traitsISZ_E10value_typeET2_T3_PNS10_IS15_E10value_typeET4_jRbjT5_S1B_jjP12ihipStream_tbEUljE_EEESW_SX_SY_S15_S19_S1B_T6_T7_T9_mT8_S1D_bDpT10_ENKUlT_T0_E_clISt17integral_constantIbLb0EES1P_IbLb1EEEEDaS1L_S1M_EUlS1L_E_NS1_11comp_targetILNS1_3genE5ELNS1_11target_archE942ELNS1_3gpuE9ELNS1_3repE0EEENS1_30default_config_static_selectorELNS0_4arch9wavefront6targetE1EEEvSZ_
		.amdhsa_group_segment_fixed_size 0
		.amdhsa_private_segment_fixed_size 0
		.amdhsa_kernarg_size 152
		.amdhsa_user_sgpr_count 6
		.amdhsa_user_sgpr_private_segment_buffer 1
		.amdhsa_user_sgpr_dispatch_ptr 0
		.amdhsa_user_sgpr_queue_ptr 0
		.amdhsa_user_sgpr_kernarg_segment_ptr 1
		.amdhsa_user_sgpr_dispatch_id 0
		.amdhsa_user_sgpr_flat_scratch_init 0
		.amdhsa_user_sgpr_kernarg_preload_length 0
		.amdhsa_user_sgpr_kernarg_preload_offset 0
		.amdhsa_user_sgpr_private_segment_size 0
		.amdhsa_uses_dynamic_stack 0
		.amdhsa_system_sgpr_private_segment_wavefront_offset 0
		.amdhsa_system_sgpr_workgroup_id_x 1
		.amdhsa_system_sgpr_workgroup_id_y 0
		.amdhsa_system_sgpr_workgroup_id_z 0
		.amdhsa_system_sgpr_workgroup_info 0
		.amdhsa_system_vgpr_workitem_id 0
		.amdhsa_next_free_vgpr 1
		.amdhsa_next_free_sgpr 0
		.amdhsa_accum_offset 4
		.amdhsa_reserve_vcc 0
		.amdhsa_reserve_flat_scratch 0
		.amdhsa_float_round_mode_32 0
		.amdhsa_float_round_mode_16_64 0
		.amdhsa_float_denorm_mode_32 3
		.amdhsa_float_denorm_mode_16_64 3
		.amdhsa_dx10_clamp 1
		.amdhsa_ieee_mode 1
		.amdhsa_fp16_overflow 0
		.amdhsa_tg_split 0
		.amdhsa_exception_fp_ieee_invalid_op 0
		.amdhsa_exception_fp_denorm_src 0
		.amdhsa_exception_fp_ieee_div_zero 0
		.amdhsa_exception_fp_ieee_overflow 0
		.amdhsa_exception_fp_ieee_underflow 0
		.amdhsa_exception_fp_ieee_inexact 0
		.amdhsa_exception_int_div_zero 0
	.end_amdhsa_kernel
	.section	.text._ZN7rocprim17ROCPRIM_400000_NS6detail17trampoline_kernelINS0_13select_configILj256ELj13ELNS0_17block_load_methodE3ELS4_3ELS4_3ELNS0_20block_scan_algorithmE0ELj4294967295EEENS1_25partition_config_selectorILNS1_17partition_subalgoE3EjNS0_10empty_typeEbEEZZNS1_14partition_implILS8_3ELb0ES6_jNS0_17counting_iteratorIjlEEPS9_SE_NS0_5tupleIJPjSE_EEENSF_IJSE_SE_EEES9_SG_JZNS1_25segmented_radix_sort_implINS0_14default_configELb1EPK12hip_bfloat16PSL_PKlPlN2at6native12_GLOBAL__N_18offset_tEEE10hipError_tPvRmT1_PNSt15iterator_traitsISZ_E10value_typeET2_T3_PNS10_IS15_E10value_typeET4_jRbjT5_S1B_jjP12ihipStream_tbEUljE_EEESW_SX_SY_S15_S19_S1B_T6_T7_T9_mT8_S1D_bDpT10_ENKUlT_T0_E_clISt17integral_constantIbLb0EES1P_IbLb1EEEEDaS1L_S1M_EUlS1L_E_NS1_11comp_targetILNS1_3genE5ELNS1_11target_archE942ELNS1_3gpuE9ELNS1_3repE0EEENS1_30default_config_static_selectorELNS0_4arch9wavefront6targetE1EEEvSZ_,"axG",@progbits,_ZN7rocprim17ROCPRIM_400000_NS6detail17trampoline_kernelINS0_13select_configILj256ELj13ELNS0_17block_load_methodE3ELS4_3ELS4_3ELNS0_20block_scan_algorithmE0ELj4294967295EEENS1_25partition_config_selectorILNS1_17partition_subalgoE3EjNS0_10empty_typeEbEEZZNS1_14partition_implILS8_3ELb0ES6_jNS0_17counting_iteratorIjlEEPS9_SE_NS0_5tupleIJPjSE_EEENSF_IJSE_SE_EEES9_SG_JZNS1_25segmented_radix_sort_implINS0_14default_configELb1EPK12hip_bfloat16PSL_PKlPlN2at6native12_GLOBAL__N_18offset_tEEE10hipError_tPvRmT1_PNSt15iterator_traitsISZ_E10value_typeET2_T3_PNS10_IS15_E10value_typeET4_jRbjT5_S1B_jjP12ihipStream_tbEUljE_EEESW_SX_SY_S15_S19_S1B_T6_T7_T9_mT8_S1D_bDpT10_ENKUlT_T0_E_clISt17integral_constantIbLb0EES1P_IbLb1EEEEDaS1L_S1M_EUlS1L_E_NS1_11comp_targetILNS1_3genE5ELNS1_11target_archE942ELNS1_3gpuE9ELNS1_3repE0EEENS1_30default_config_static_selectorELNS0_4arch9wavefront6targetE1EEEvSZ_,comdat
.Lfunc_end1937:
	.size	_ZN7rocprim17ROCPRIM_400000_NS6detail17trampoline_kernelINS0_13select_configILj256ELj13ELNS0_17block_load_methodE3ELS4_3ELS4_3ELNS0_20block_scan_algorithmE0ELj4294967295EEENS1_25partition_config_selectorILNS1_17partition_subalgoE3EjNS0_10empty_typeEbEEZZNS1_14partition_implILS8_3ELb0ES6_jNS0_17counting_iteratorIjlEEPS9_SE_NS0_5tupleIJPjSE_EEENSF_IJSE_SE_EEES9_SG_JZNS1_25segmented_radix_sort_implINS0_14default_configELb1EPK12hip_bfloat16PSL_PKlPlN2at6native12_GLOBAL__N_18offset_tEEE10hipError_tPvRmT1_PNSt15iterator_traitsISZ_E10value_typeET2_T3_PNS10_IS15_E10value_typeET4_jRbjT5_S1B_jjP12ihipStream_tbEUljE_EEESW_SX_SY_S15_S19_S1B_T6_T7_T9_mT8_S1D_bDpT10_ENKUlT_T0_E_clISt17integral_constantIbLb0EES1P_IbLb1EEEEDaS1L_S1M_EUlS1L_E_NS1_11comp_targetILNS1_3genE5ELNS1_11target_archE942ELNS1_3gpuE9ELNS1_3repE0EEENS1_30default_config_static_selectorELNS0_4arch9wavefront6targetE1EEEvSZ_, .Lfunc_end1937-_ZN7rocprim17ROCPRIM_400000_NS6detail17trampoline_kernelINS0_13select_configILj256ELj13ELNS0_17block_load_methodE3ELS4_3ELS4_3ELNS0_20block_scan_algorithmE0ELj4294967295EEENS1_25partition_config_selectorILNS1_17partition_subalgoE3EjNS0_10empty_typeEbEEZZNS1_14partition_implILS8_3ELb0ES6_jNS0_17counting_iteratorIjlEEPS9_SE_NS0_5tupleIJPjSE_EEENSF_IJSE_SE_EEES9_SG_JZNS1_25segmented_radix_sort_implINS0_14default_configELb1EPK12hip_bfloat16PSL_PKlPlN2at6native12_GLOBAL__N_18offset_tEEE10hipError_tPvRmT1_PNSt15iterator_traitsISZ_E10value_typeET2_T3_PNS10_IS15_E10value_typeET4_jRbjT5_S1B_jjP12ihipStream_tbEUljE_EEESW_SX_SY_S15_S19_S1B_T6_T7_T9_mT8_S1D_bDpT10_ENKUlT_T0_E_clISt17integral_constantIbLb0EES1P_IbLb1EEEEDaS1L_S1M_EUlS1L_E_NS1_11comp_targetILNS1_3genE5ELNS1_11target_archE942ELNS1_3gpuE9ELNS1_3repE0EEENS1_30default_config_static_selectorELNS0_4arch9wavefront6targetE1EEEvSZ_
                                        ; -- End function
	.section	.AMDGPU.csdata,"",@progbits
; Kernel info:
; codeLenInByte = 0
; NumSgprs: 4
; NumVgprs: 0
; NumAgprs: 0
; TotalNumVgprs: 0
; ScratchSize: 0
; MemoryBound: 0
; FloatMode: 240
; IeeeMode: 1
; LDSByteSize: 0 bytes/workgroup (compile time only)
; SGPRBlocks: 0
; VGPRBlocks: 0
; NumSGPRsForWavesPerEU: 4
; NumVGPRsForWavesPerEU: 1
; AccumOffset: 4
; Occupancy: 8
; WaveLimiterHint : 0
; COMPUTE_PGM_RSRC2:SCRATCH_EN: 0
; COMPUTE_PGM_RSRC2:USER_SGPR: 6
; COMPUTE_PGM_RSRC2:TRAP_HANDLER: 0
; COMPUTE_PGM_RSRC2:TGID_X_EN: 1
; COMPUTE_PGM_RSRC2:TGID_Y_EN: 0
; COMPUTE_PGM_RSRC2:TGID_Z_EN: 0
; COMPUTE_PGM_RSRC2:TIDIG_COMP_CNT: 0
; COMPUTE_PGM_RSRC3_GFX90A:ACCUM_OFFSET: 0
; COMPUTE_PGM_RSRC3_GFX90A:TG_SPLIT: 0
	.section	.text._ZN7rocprim17ROCPRIM_400000_NS6detail17trampoline_kernelINS0_13select_configILj256ELj13ELNS0_17block_load_methodE3ELS4_3ELS4_3ELNS0_20block_scan_algorithmE0ELj4294967295EEENS1_25partition_config_selectorILNS1_17partition_subalgoE3EjNS0_10empty_typeEbEEZZNS1_14partition_implILS8_3ELb0ES6_jNS0_17counting_iteratorIjlEEPS9_SE_NS0_5tupleIJPjSE_EEENSF_IJSE_SE_EEES9_SG_JZNS1_25segmented_radix_sort_implINS0_14default_configELb1EPK12hip_bfloat16PSL_PKlPlN2at6native12_GLOBAL__N_18offset_tEEE10hipError_tPvRmT1_PNSt15iterator_traitsISZ_E10value_typeET2_T3_PNS10_IS15_E10value_typeET4_jRbjT5_S1B_jjP12ihipStream_tbEUljE_EEESW_SX_SY_S15_S19_S1B_T6_T7_T9_mT8_S1D_bDpT10_ENKUlT_T0_E_clISt17integral_constantIbLb0EES1P_IbLb1EEEEDaS1L_S1M_EUlS1L_E_NS1_11comp_targetILNS1_3genE4ELNS1_11target_archE910ELNS1_3gpuE8ELNS1_3repE0EEENS1_30default_config_static_selectorELNS0_4arch9wavefront6targetE1EEEvSZ_,"axG",@progbits,_ZN7rocprim17ROCPRIM_400000_NS6detail17trampoline_kernelINS0_13select_configILj256ELj13ELNS0_17block_load_methodE3ELS4_3ELS4_3ELNS0_20block_scan_algorithmE0ELj4294967295EEENS1_25partition_config_selectorILNS1_17partition_subalgoE3EjNS0_10empty_typeEbEEZZNS1_14partition_implILS8_3ELb0ES6_jNS0_17counting_iteratorIjlEEPS9_SE_NS0_5tupleIJPjSE_EEENSF_IJSE_SE_EEES9_SG_JZNS1_25segmented_radix_sort_implINS0_14default_configELb1EPK12hip_bfloat16PSL_PKlPlN2at6native12_GLOBAL__N_18offset_tEEE10hipError_tPvRmT1_PNSt15iterator_traitsISZ_E10value_typeET2_T3_PNS10_IS15_E10value_typeET4_jRbjT5_S1B_jjP12ihipStream_tbEUljE_EEESW_SX_SY_S15_S19_S1B_T6_T7_T9_mT8_S1D_bDpT10_ENKUlT_T0_E_clISt17integral_constantIbLb0EES1P_IbLb1EEEEDaS1L_S1M_EUlS1L_E_NS1_11comp_targetILNS1_3genE4ELNS1_11target_archE910ELNS1_3gpuE8ELNS1_3repE0EEENS1_30default_config_static_selectorELNS0_4arch9wavefront6targetE1EEEvSZ_,comdat
	.globl	_ZN7rocprim17ROCPRIM_400000_NS6detail17trampoline_kernelINS0_13select_configILj256ELj13ELNS0_17block_load_methodE3ELS4_3ELS4_3ELNS0_20block_scan_algorithmE0ELj4294967295EEENS1_25partition_config_selectorILNS1_17partition_subalgoE3EjNS0_10empty_typeEbEEZZNS1_14partition_implILS8_3ELb0ES6_jNS0_17counting_iteratorIjlEEPS9_SE_NS0_5tupleIJPjSE_EEENSF_IJSE_SE_EEES9_SG_JZNS1_25segmented_radix_sort_implINS0_14default_configELb1EPK12hip_bfloat16PSL_PKlPlN2at6native12_GLOBAL__N_18offset_tEEE10hipError_tPvRmT1_PNSt15iterator_traitsISZ_E10value_typeET2_T3_PNS10_IS15_E10value_typeET4_jRbjT5_S1B_jjP12ihipStream_tbEUljE_EEESW_SX_SY_S15_S19_S1B_T6_T7_T9_mT8_S1D_bDpT10_ENKUlT_T0_E_clISt17integral_constantIbLb0EES1P_IbLb1EEEEDaS1L_S1M_EUlS1L_E_NS1_11comp_targetILNS1_3genE4ELNS1_11target_archE910ELNS1_3gpuE8ELNS1_3repE0EEENS1_30default_config_static_selectorELNS0_4arch9wavefront6targetE1EEEvSZ_ ; -- Begin function _ZN7rocprim17ROCPRIM_400000_NS6detail17trampoline_kernelINS0_13select_configILj256ELj13ELNS0_17block_load_methodE3ELS4_3ELS4_3ELNS0_20block_scan_algorithmE0ELj4294967295EEENS1_25partition_config_selectorILNS1_17partition_subalgoE3EjNS0_10empty_typeEbEEZZNS1_14partition_implILS8_3ELb0ES6_jNS0_17counting_iteratorIjlEEPS9_SE_NS0_5tupleIJPjSE_EEENSF_IJSE_SE_EEES9_SG_JZNS1_25segmented_radix_sort_implINS0_14default_configELb1EPK12hip_bfloat16PSL_PKlPlN2at6native12_GLOBAL__N_18offset_tEEE10hipError_tPvRmT1_PNSt15iterator_traitsISZ_E10value_typeET2_T3_PNS10_IS15_E10value_typeET4_jRbjT5_S1B_jjP12ihipStream_tbEUljE_EEESW_SX_SY_S15_S19_S1B_T6_T7_T9_mT8_S1D_bDpT10_ENKUlT_T0_E_clISt17integral_constantIbLb0EES1P_IbLb1EEEEDaS1L_S1M_EUlS1L_E_NS1_11comp_targetILNS1_3genE4ELNS1_11target_archE910ELNS1_3gpuE8ELNS1_3repE0EEENS1_30default_config_static_selectorELNS0_4arch9wavefront6targetE1EEEvSZ_
	.p2align	8
	.type	_ZN7rocprim17ROCPRIM_400000_NS6detail17trampoline_kernelINS0_13select_configILj256ELj13ELNS0_17block_load_methodE3ELS4_3ELS4_3ELNS0_20block_scan_algorithmE0ELj4294967295EEENS1_25partition_config_selectorILNS1_17partition_subalgoE3EjNS0_10empty_typeEbEEZZNS1_14partition_implILS8_3ELb0ES6_jNS0_17counting_iteratorIjlEEPS9_SE_NS0_5tupleIJPjSE_EEENSF_IJSE_SE_EEES9_SG_JZNS1_25segmented_radix_sort_implINS0_14default_configELb1EPK12hip_bfloat16PSL_PKlPlN2at6native12_GLOBAL__N_18offset_tEEE10hipError_tPvRmT1_PNSt15iterator_traitsISZ_E10value_typeET2_T3_PNS10_IS15_E10value_typeET4_jRbjT5_S1B_jjP12ihipStream_tbEUljE_EEESW_SX_SY_S15_S19_S1B_T6_T7_T9_mT8_S1D_bDpT10_ENKUlT_T0_E_clISt17integral_constantIbLb0EES1P_IbLb1EEEEDaS1L_S1M_EUlS1L_E_NS1_11comp_targetILNS1_3genE4ELNS1_11target_archE910ELNS1_3gpuE8ELNS1_3repE0EEENS1_30default_config_static_selectorELNS0_4arch9wavefront6targetE1EEEvSZ_,@function
_ZN7rocprim17ROCPRIM_400000_NS6detail17trampoline_kernelINS0_13select_configILj256ELj13ELNS0_17block_load_methodE3ELS4_3ELS4_3ELNS0_20block_scan_algorithmE0ELj4294967295EEENS1_25partition_config_selectorILNS1_17partition_subalgoE3EjNS0_10empty_typeEbEEZZNS1_14partition_implILS8_3ELb0ES6_jNS0_17counting_iteratorIjlEEPS9_SE_NS0_5tupleIJPjSE_EEENSF_IJSE_SE_EEES9_SG_JZNS1_25segmented_radix_sort_implINS0_14default_configELb1EPK12hip_bfloat16PSL_PKlPlN2at6native12_GLOBAL__N_18offset_tEEE10hipError_tPvRmT1_PNSt15iterator_traitsISZ_E10value_typeET2_T3_PNS10_IS15_E10value_typeET4_jRbjT5_S1B_jjP12ihipStream_tbEUljE_EEESW_SX_SY_S15_S19_S1B_T6_T7_T9_mT8_S1D_bDpT10_ENKUlT_T0_E_clISt17integral_constantIbLb0EES1P_IbLb1EEEEDaS1L_S1M_EUlS1L_E_NS1_11comp_targetILNS1_3genE4ELNS1_11target_archE910ELNS1_3gpuE8ELNS1_3repE0EEENS1_30default_config_static_selectorELNS0_4arch9wavefront6targetE1EEEvSZ_: ; @_ZN7rocprim17ROCPRIM_400000_NS6detail17trampoline_kernelINS0_13select_configILj256ELj13ELNS0_17block_load_methodE3ELS4_3ELS4_3ELNS0_20block_scan_algorithmE0ELj4294967295EEENS1_25partition_config_selectorILNS1_17partition_subalgoE3EjNS0_10empty_typeEbEEZZNS1_14partition_implILS8_3ELb0ES6_jNS0_17counting_iteratorIjlEEPS9_SE_NS0_5tupleIJPjSE_EEENSF_IJSE_SE_EEES9_SG_JZNS1_25segmented_radix_sort_implINS0_14default_configELb1EPK12hip_bfloat16PSL_PKlPlN2at6native12_GLOBAL__N_18offset_tEEE10hipError_tPvRmT1_PNSt15iterator_traitsISZ_E10value_typeET2_T3_PNS10_IS15_E10value_typeET4_jRbjT5_S1B_jjP12ihipStream_tbEUljE_EEESW_SX_SY_S15_S19_S1B_T6_T7_T9_mT8_S1D_bDpT10_ENKUlT_T0_E_clISt17integral_constantIbLb0EES1P_IbLb1EEEEDaS1L_S1M_EUlS1L_E_NS1_11comp_targetILNS1_3genE4ELNS1_11target_archE910ELNS1_3gpuE8ELNS1_3repE0EEENS1_30default_config_static_selectorELNS0_4arch9wavefront6targetE1EEEvSZ_
; %bb.0:
	s_load_dwordx2 s[28:29], s[4:5], 0x10
	s_load_dwordx2 s[24:25], s[4:5], 0x28
	;; [unrolled: 1-line block ×3, first 2 shown]
	s_load_dwordx4 s[20:23], s[4:5], 0x48
	s_load_dword s14, s[4:5], 0x90
	s_load_dwordx2 s[30:31], s[4:5], 0x68
	s_load_dwordx4 s[8:11], s[4:5], 0x80
	v_cmp_eq_u32_e64 s[0:1], 0, v0
	s_and_saveexec_b64 s[2:3], s[0:1]
	s_cbranch_execz .LBB1938_4
; %bb.1:
	s_mov_b64 s[12:13], exec
	v_mbcnt_lo_u32_b32 v1, s12, 0
	v_mbcnt_hi_u32_b32 v1, s13, v1
	v_cmp_eq_u32_e32 vcc, 0, v1
                                        ; implicit-def: $vgpr2
	s_and_saveexec_b64 s[6:7], vcc
	s_cbranch_execz .LBB1938_3
; %bb.2:
	s_load_dwordx2 s[16:17], s[4:5], 0x78
	s_bcnt1_i32_b64 s12, s[12:13]
	v_mov_b32_e32 v2, 0
	v_mov_b32_e32 v3, s12
	s_waitcnt lgkmcnt(0)
	global_atomic_add v2, v2, v3, s[16:17] glc
.LBB1938_3:
	s_or_b64 exec, exec, s[6:7]
	s_waitcnt vmcnt(0)
	v_readfirstlane_b32 s6, v2
	v_add_u32_e32 v1, s6, v1
	v_mov_b32_e32 v2, 0
	ds_write_b32 v2, v1
.LBB1938_4:
	s_or_b64 exec, exec, s[2:3]
	v_mov_b32_e32 v1, 0
	s_load_dword s2, s[4:5], 0x8
	s_load_dword s6, s[4:5], 0x70
	s_waitcnt lgkmcnt(0)
	s_barrier
	ds_read_b32 v2, v1
	s_waitcnt lgkmcnt(0)
	s_barrier
	global_load_dwordx2 v[20:21], v1, s[22:23]
	s_add_i32 s7, s2, s28
	s_movk_i32 s2, 0xd00
	s_add_i32 s4, s6, -1
	s_mulk_i32 s6, 0xd00
	v_mul_lo_u32 v34, v2, s2
	s_add_u32 s2, s28, s6
	v_readfirstlane_b32 s40, v2
	s_addc_u32 s3, s29, 0
	s_cmp_eq_u32 s40, s4
	v_pk_mov_b32 v[2:3], s[26:27], s[26:27] op_sel:[0,1]
	s_cselect_b64 s[22:23], -1, 0
	s_cmp_lg_u32 s40, s4
	v_cmp_lt_u64_e32 vcc, s[2:3], v[2:3]
	s_cselect_b64 s[2:3], -1, 0
	s_or_b64 s[4:5], vcc, s[2:3]
	v_add_u32_e32 v1, s7, v34
	s_mov_b64 s[2:3], -1
	s_and_b64 vcc, exec, s[4:5]
	v_add_u32_e32 v2, v1, v0
	v_lshlrev_b32_e32 v1, 2, v0
	s_cbranch_vccz .LBB1938_6
; %bb.5:
	v_add_u32_e32 v3, 0x100, v2
	v_add_u32_e32 v4, 0x200, v2
	;; [unrolled: 1-line block ×12, first 2 shown]
	ds_write2st64_b32 v1, v2, v3 offset1:4
	ds_write2st64_b32 v1, v4, v5 offset0:8 offset1:12
	ds_write2st64_b32 v1, v6, v7 offset0:16 offset1:20
	;; [unrolled: 1-line block ×5, first 2 shown]
	ds_write_b32 v1, v14 offset:12288
	s_waitcnt lgkmcnt(0)
	s_barrier
	s_mov_b64 s[2:3], 0
.LBB1938_6:
	s_andn2_b64 vcc, exec, s[2:3]
	s_add_i32 s6, s6, s28
	s_cbranch_vccnz .LBB1938_8
; %bb.7:
	v_add_u32_e32 v3, 0x100, v2
	v_add_u32_e32 v4, 0x200, v2
	;; [unrolled: 1-line block ×12, first 2 shown]
	ds_write2st64_b32 v1, v2, v3 offset1:4
	ds_write2st64_b32 v1, v4, v5 offset0:8 offset1:12
	ds_write2st64_b32 v1, v6, v7 offset0:16 offset1:20
	;; [unrolled: 1-line block ×5, first 2 shown]
	ds_write_b32 v1, v14 offset:12288
	s_waitcnt lgkmcnt(0)
	s_barrier
.LBB1938_8:
	v_mul_u32_u24_e32 v36, 13, v0
	v_lshlrev_b32_e32 v2, 2, v36
	ds_read2_b32 v[32:33], v2 offset1:1
	ds_read2_b32 v[30:31], v2 offset0:2 offset1:3
	ds_read2_b32 v[28:29], v2 offset0:4 offset1:5
	ds_read2_b32 v[26:27], v2 offset0:6 offset1:7
	ds_read2_b32 v[24:25], v2 offset0:8 offset1:9
	ds_read2_b32 v[22:23], v2 offset0:10 offset1:11
	ds_read_b32 v35, v2 offset:48
	v_cndmask_b32_e64 v2, 0, 1, s[4:5]
	s_sub_i32 s33, s26, s6
	v_cmp_ne_u32_e64 s[2:3], 1, v2
	s_andn2_b64 vcc, exec, s[4:5]
	s_waitcnt lgkmcnt(0)
	s_barrier
	s_cbranch_vccnz .LBB1938_10
; %bb.9:
	v_add_u32_e32 v2, s9, v32
	v_add_u32_e32 v3, s11, v32
	v_mul_lo_u32 v2, v2, s8
	v_mul_lo_u32 v3, v3, s10
	v_sub_u32_e32 v2, v2, v3
	v_add_u32_e32 v3, s9, v33
	v_add_u32_e32 v4, s11, v33
	v_mul_lo_u32 v3, v3, s8
	v_mul_lo_u32 v4, v4, s10
	v_sub_u32_e32 v3, v3, v4
	;; [unrolled: 5-line block ×6, first 2 shown]
	v_add_u32_e32 v8, s9, v26
	v_add_u32_e32 v9, s11, v26
	v_mul_lo_u32 v8, v8, s8
	v_mul_lo_u32 v9, v9, s10
	v_cmp_lt_u32_e32 vcc, s14, v2
	v_sub_u32_e32 v8, v8, v9
	v_add_u32_e32 v9, s9, v27
	v_add_u32_e32 v10, s11, v27
	v_cndmask_b32_e64 v2, 0, 1, vcc
	v_cmp_lt_u32_e32 vcc, s14, v3
	v_mul_lo_u32 v9, v9, s8
	v_mul_lo_u32 v10, v10, s10
	v_cndmask_b32_e64 v3, 0, 1, vcc
	v_cmp_lt_u32_e32 vcc, s14, v4
	v_sub_u32_e32 v9, v9, v10
	v_add_u32_e32 v10, s9, v24
	v_add_u32_e32 v11, s11, v24
	v_cndmask_b32_e64 v4, 0, 1, vcc
	v_cmp_lt_u32_e32 vcc, s14, v5
	v_mul_lo_u32 v10, v10, s8
	v_mul_lo_u32 v11, v11, s10
	v_cndmask_b32_e64 v5, 0, 1, vcc
	;; [unrolled: 9-line block ×4, first 2 shown]
	v_cmp_lt_u32_e32 vcc, s14, v10
	v_sub_u32_e32 v12, v12, v13
	v_add_u32_e32 v13, s9, v23
	v_add_u32_e32 v14, s11, v23
	v_lshlrev_b16_e32 v3, 8, v3
	v_cndmask_b32_e64 v10, 0, 1, vcc
	v_cmp_lt_u32_e32 vcc, s14, v11
	v_mul_lo_u32 v13, v13, s8
	v_mul_lo_u32 v14, v14, s10
	v_or_b32_e32 v2, v2, v3
	v_lshlrev_b16_e32 v3, 8, v5
	v_cndmask_b32_e64 v11, 0, 1, vcc
	v_cmp_lt_u32_e32 vcc, s14, v12
	v_sub_u32_e32 v13, v13, v14
	v_or_b32_sdwa v3, v4, v3 dst_sel:WORD_1 dst_unused:UNUSED_PAD src0_sel:DWORD src1_sel:DWORD
	v_cndmask_b32_e64 v12, 0, 1, vcc
	v_cmp_lt_u32_e32 vcc, s14, v13
	v_add_u32_e32 v14, s9, v35
	v_add_u32_e32 v15, s11, v35
	v_or_b32_sdwa v40, v2, v3 dst_sel:DWORD dst_unused:UNUSED_PAD src0_sel:WORD_0 src1_sel:DWORD
	v_lshlrev_b16_e32 v2, 8, v7
	v_lshlrev_b16_e32 v3, 8, v9
	v_cndmask_b32_e64 v13, 0, 1, vcc
	v_mul_lo_u32 v14, v14, s8
	v_mul_lo_u32 v15, v15, s10
	v_or_b32_e32 v2, v6, v2
	v_or_b32_sdwa v3, v8, v3 dst_sel:WORD_1 dst_unused:UNUSED_PAD src0_sel:DWORD src1_sel:DWORD
	v_sub_u32_e32 v14, v14, v15
	v_or_b32_sdwa v39, v2, v3 dst_sel:DWORD dst_unused:UNUSED_PAD src0_sel:WORD_0 src1_sel:DWORD
	v_lshlrev_b16_e32 v2, 8, v11
	v_lshlrev_b16_e32 v3, 8, v13
	v_cmp_lt_u32_e32 vcc, s14, v14
	v_or_b32_e32 v2, v10, v2
	v_or_b32_sdwa v3, v12, v3 dst_sel:WORD_1 dst_unused:UNUSED_PAD src0_sel:DWORD src1_sel:DWORD
	v_cndmask_b32_e64 v37, 0, 1, vcc
	v_or_b32_sdwa v38, v2, v3 dst_sel:DWORD dst_unused:UNUSED_PAD src0_sel:WORD_0 src1_sel:DWORD
	s_addk_i32 s33, 0xd00
	s_cbranch_execz .LBB1938_11
	s_branch .LBB1938_38
.LBB1938_10:
                                        ; implicit-def: $vgpr37
                                        ; implicit-def: $vgpr38
                                        ; implicit-def: $vgpr39
                                        ; implicit-def: $vgpr40
	s_addk_i32 s33, 0xd00
.LBB1938_11:
	v_cmp_gt_u32_e32 vcc, s33, v36
	v_mov_b32_e32 v3, 0
	v_mov_b32_e32 v2, 0
	s_and_saveexec_b64 s[4:5], vcc
; %bb.12:
	v_add_u32_e32 v2, s9, v32
	v_add_u32_e32 v4, s11, v32
	v_mul_lo_u32 v2, v2, s8
	v_mul_lo_u32 v4, v4, s10
	v_sub_u32_e32 v2, v2, v4
	v_cmp_lt_u32_e32 vcc, s14, v2
	v_cndmask_b32_e64 v2, 0, 1, vcc
; %bb.13:
	s_or_b64 exec, exec, s[4:5]
	v_add_u32_e32 v4, 1, v36
	v_cmp_gt_u32_e32 vcc, s33, v4
	s_and_saveexec_b64 s[4:5], vcc
; %bb.14:
	v_add_u32_e32 v3, s9, v33
	v_add_u32_e32 v4, s11, v33
	v_mul_lo_u32 v3, v3, s8
	v_mul_lo_u32 v4, v4, s10
	v_sub_u32_e32 v3, v3, v4
	v_cmp_lt_u32_e32 vcc, s14, v3
	v_cndmask_b32_e64 v3, 0, 1, vcc
; %bb.15:
	s_or_b64 exec, exec, s[4:5]
	v_add_u32_e32 v4, 2, v36
	v_cmp_gt_u32_e32 vcc, s33, v4
	v_mov_b32_e32 v5, 0
	v_mov_b32_e32 v4, 0
	s_and_saveexec_b64 s[4:5], vcc
; %bb.16:
	v_add_u32_e32 v4, s9, v30
	v_add_u32_e32 v6, s11, v30
	v_mul_lo_u32 v4, v4, s8
	v_mul_lo_u32 v6, v6, s10
	v_sub_u32_e32 v4, v4, v6
	v_cmp_lt_u32_e32 vcc, s14, v4
	v_cndmask_b32_e64 v4, 0, 1, vcc
; %bb.17:
	s_or_b64 exec, exec, s[4:5]
	v_add_u32_e32 v6, 3, v36
	v_cmp_gt_u32_e32 vcc, s33, v6
	s_and_saveexec_b64 s[4:5], vcc
; %bb.18:
	v_add_u32_e32 v5, s9, v31
	v_add_u32_e32 v6, s11, v31
	v_mul_lo_u32 v5, v5, s8
	v_mul_lo_u32 v6, v6, s10
	v_sub_u32_e32 v5, v5, v6
	v_cmp_lt_u32_e32 vcc, s14, v5
	v_cndmask_b32_e64 v5, 0, 1, vcc
; %bb.19:
	s_or_b64 exec, exec, s[4:5]
	v_add_u32_e32 v6, 4, v36
	;; [unrolled: 28-line block ×6, first 2 shown]
	v_cmp_gt_u32_e32 vcc, s33, v14
	v_mov_b32_e32 v37, 0
	s_and_saveexec_b64 s[4:5], vcc
; %bb.36:
	v_add_u32_e32 v14, s9, v35
	v_add_u32_e32 v15, s11, v35
	v_mul_lo_u32 v14, v14, s8
	v_mul_lo_u32 v15, v15, s10
	v_sub_u32_e32 v14, v14, v15
	v_cmp_lt_u32_e32 vcc, s14, v14
	v_cndmask_b32_e64 v37, 0, 1, vcc
; %bb.37:
	s_or_b64 exec, exec, s[4:5]
	v_lshlrev_b16_e32 v3, 8, v3
	v_or_b32_e32 v2, v2, v3
	v_lshlrev_b16_e32 v3, 8, v5
	v_or_b32_sdwa v3, v4, v3 dst_sel:WORD_1 dst_unused:UNUSED_PAD src0_sel:DWORD src1_sel:DWORD
	v_or_b32_sdwa v40, v2, v3 dst_sel:DWORD dst_unused:UNUSED_PAD src0_sel:WORD_0 src1_sel:DWORD
	v_lshlrev_b16_e32 v2, 8, v7
	v_lshlrev_b16_e32 v3, 8, v9
	v_or_b32_e32 v2, v6, v2
	v_or_b32_sdwa v3, v8, v3 dst_sel:WORD_1 dst_unused:UNUSED_PAD src0_sel:DWORD src1_sel:DWORD
	v_or_b32_sdwa v39, v2, v3 dst_sel:DWORD dst_unused:UNUSED_PAD src0_sel:WORD_0 src1_sel:DWORD
	v_lshlrev_b16_e32 v2, 8, v11
	v_lshlrev_b16_e32 v3, 8, v13
	v_or_b32_e32 v2, v10, v2
	v_or_b32_sdwa v3, v12, v3 dst_sel:WORD_1 dst_unused:UNUSED_PAD src0_sel:DWORD src1_sel:DWORD
	v_or_b32_sdwa v38, v2, v3 dst_sel:DWORD dst_unused:UNUSED_PAD src0_sel:WORD_0 src1_sel:DWORD
.LBB1938_38:
	v_and_b32_e32 v44, 0xff, v40
	v_bfe_u32 v45, v40, 8, 8
	v_bfe_u32 v46, v40, 16, 8
	v_lshrrev_b32_e32 v43, 24, v40
	v_and_b32_e32 v47, 0xff, v39
	v_add3_u32 v3, v45, v44, v46
	v_bfe_u32 v48, v39, 8, 8
	v_bfe_u32 v49, v39, 16, 8
	v_add3_u32 v3, v3, v43, v47
	v_lshrrev_b32_e32 v42, 24, v39
	v_and_b32_e32 v50, 0xff, v38
	v_add3_u32 v3, v3, v48, v49
	v_bfe_u32 v51, v38, 8, 8
	v_bfe_u32 v52, v38, 16, 8
	v_add3_u32 v3, v3, v42, v50
	v_lshrrev_b32_e32 v41, 24, v38
	v_and_b32_e32 v2, 0xff, v37
	v_add3_u32 v3, v3, v51, v52
	v_add3_u32 v55, v3, v41, v2
	v_mbcnt_lo_u32_b32 v2, -1, 0
	v_mbcnt_hi_u32_b32 v53, -1, v2
	v_and_b32_e32 v2, 15, v53
	v_cmp_eq_u32_e64 s[16:17], 0, v2
	v_cmp_lt_u32_e64 s[14:15], 1, v2
	v_cmp_lt_u32_e64 s[12:13], 3, v2
	;; [unrolled: 1-line block ×3, first 2 shown]
	v_and_b32_e32 v2, 16, v53
	v_cmp_eq_u32_e64 s[8:9], 0, v2
	v_or_b32_e32 v2, 63, v0
	s_cmp_lg_u32 s40, 0
	v_cmp_lt_u32_e64 s[4:5], 31, v53
	v_lshrrev_b32_e32 v54, 6, v0
	v_cmp_eq_u32_e64 s[6:7], v2, v0
	s_cbranch_scc0 .LBB1938_65
; %bb.39:
	v_mov_b32_dpp v2, v55 row_shr:1 row_mask:0xf bank_mask:0xf
	v_cndmask_b32_e64 v2, v2, 0, s[16:17]
	v_add_u32_e32 v2, v2, v55
	s_nop 1
	v_mov_b32_dpp v3, v2 row_shr:2 row_mask:0xf bank_mask:0xf
	v_cndmask_b32_e64 v3, 0, v3, s[14:15]
	v_add_u32_e32 v2, v2, v3
	s_nop 1
	;; [unrolled: 4-line block ×4, first 2 shown]
	v_mov_b32_dpp v3, v2 row_bcast:15 row_mask:0xf bank_mask:0xf
	v_cndmask_b32_e64 v3, v3, 0, s[8:9]
	v_add_u32_e32 v2, v2, v3
	s_nop 1
	v_mov_b32_dpp v3, v2 row_bcast:31 row_mask:0xf bank_mask:0xf
	v_cndmask_b32_e64 v3, 0, v3, s[4:5]
	v_add_u32_e32 v2, v2, v3
	s_and_saveexec_b64 s[18:19], s[6:7]
	s_cbranch_execz .LBB1938_41
; %bb.40:
	v_lshlrev_b32_e32 v3, 2, v54
	ds_write_b32 v3, v2
.LBB1938_41:
	s_or_b64 exec, exec, s[18:19]
	v_cmp_gt_u32_e32 vcc, 4, v0
	s_waitcnt lgkmcnt(0)
	s_barrier
	s_and_saveexec_b64 s[18:19], vcc
	s_cbranch_execz .LBB1938_43
; %bb.42:
	ds_read_b32 v3, v1
	v_and_b32_e32 v4, 3, v53
	v_cmp_ne_u32_e32 vcc, 0, v4
	s_waitcnt lgkmcnt(0)
	v_mov_b32_dpp v5, v3 row_shr:1 row_mask:0xf bank_mask:0xf
	v_cndmask_b32_e32 v5, 0, v5, vcc
	v_add_u32_e32 v3, v5, v3
	v_cmp_lt_u32_e32 vcc, 1, v4
	s_nop 0
	v_mov_b32_dpp v5, v3 row_shr:2 row_mask:0xf bank_mask:0xf
	v_cndmask_b32_e32 v4, 0, v5, vcc
	v_add_u32_e32 v3, v3, v4
	ds_write_b32 v1, v3
.LBB1938_43:
	s_or_b64 exec, exec, s[18:19]
	v_cmp_gt_u32_e32 vcc, 64, v0
	v_cmp_lt_u32_e64 s[18:19], 63, v0
	s_waitcnt lgkmcnt(0)
	s_barrier
	s_waitcnt lgkmcnt(0)
                                        ; implicit-def: $vgpr12
	s_and_saveexec_b64 s[34:35], s[18:19]
	s_cbranch_execz .LBB1938_45
; %bb.44:
	v_lshl_add_u32 v3, v54, 2, -4
	ds_read_b32 v12, v3
	s_waitcnt lgkmcnt(0)
	v_add_u32_e32 v2, v12, v2
.LBB1938_45:
	s_or_b64 exec, exec, s[34:35]
	v_add_u32_e32 v3, -1, v53
	v_and_b32_e32 v4, 64, v53
	v_cmp_lt_i32_e64 s[18:19], v3, v4
	v_cndmask_b32_e64 v3, v3, v53, s[18:19]
	v_lshlrev_b32_e32 v3, 2, v3
	ds_bpermute_b32 v13, v3, v2
	v_cmp_eq_u32_e64 s[18:19], 0, v53
	s_and_saveexec_b64 s[34:35], vcc
	s_cbranch_execz .LBB1938_64
; %bb.46:
	v_mov_b32_e32 v9, 0
	ds_read_b32 v2, v9 offset:12
	s_and_saveexec_b64 s[36:37], s[18:19]
	s_cbranch_execz .LBB1938_48
; %bb.47:
	s_add_i32 s38, s40, 64
	s_mov_b32 s39, 0
	s_lshl_b64 s[38:39], s[38:39], 3
	s_add_u32 s38, s30, s38
	v_mov_b32_e32 v3, 1
	s_addc_u32 s39, s31, s39
	s_waitcnt lgkmcnt(0)
	global_store_dwordx2 v9, v[2:3], s[38:39]
.LBB1938_48:
	s_or_b64 exec, exec, s[36:37]
	v_xad_u32 v4, v53, -1, s40
	v_add_u32_e32 v8, 64, v4
	v_lshlrev_b64 v[6:7], 3, v[8:9]
	v_mov_b32_e32 v3, s31
	v_add_co_u32_e32 v10, vcc, s30, v6
	v_addc_co_u32_e32 v11, vcc, v3, v7, vcc
	global_load_dwordx2 v[6:7], v[10:11], off glc
	s_waitcnt vmcnt(0)
	v_cmp_eq_u16_sdwa s[38:39], v7, v9 src0_sel:BYTE_0 src1_sel:DWORD
	s_and_saveexec_b64 s[36:37], s[38:39]
	s_cbranch_execz .LBB1938_52
; %bb.49:
	s_mov_b64 s[38:39], 0
	v_mov_b32_e32 v3, 0
.LBB1938_50:                            ; =>This Inner Loop Header: Depth=1
	global_load_dwordx2 v[6:7], v[10:11], off glc
	s_waitcnt vmcnt(0)
	v_cmp_ne_u16_sdwa s[42:43], v7, v3 src0_sel:BYTE_0 src1_sel:DWORD
	s_or_b64 s[38:39], s[42:43], s[38:39]
	s_andn2_b64 exec, exec, s[38:39]
	s_cbranch_execnz .LBB1938_50
; %bb.51:
	s_or_b64 exec, exec, s[38:39]
.LBB1938_52:
	s_or_b64 exec, exec, s[36:37]
	v_and_b32_e32 v14, 63, v53
	v_mov_b32_e32 v3, 2
	v_cmp_ne_u32_e32 vcc, 63, v14
	v_cmp_eq_u16_sdwa s[36:37], v7, v3 src0_sel:BYTE_0 src1_sel:DWORD
	v_lshlrev_b64 v[8:9], v53, -1
	v_addc_co_u32_e32 v11, vcc, 0, v53, vcc
	v_and_b32_e32 v5, s37, v9
	v_lshlrev_b32_e32 v15, 2, v11
	v_or_b32_e32 v5, 0x80000000, v5
	ds_bpermute_b32 v11, v15, v6
	v_and_b32_e32 v10, s36, v8
	v_ffbl_b32_e32 v5, v5
	v_add_u32_e32 v5, 32, v5
	v_ffbl_b32_e32 v10, v10
	v_min_u32_e32 v5, v10, v5
	v_cmp_lt_u32_e32 vcc, v14, v5
	s_waitcnt lgkmcnt(0)
	v_cndmask_b32_e32 v10, 0, v11, vcc
	v_cmp_gt_u32_e32 vcc, 62, v14
	v_add_u32_e32 v6, v10, v6
	v_cndmask_b32_e64 v10, 0, 1, vcc
	v_lshlrev_b32_e32 v10, 1, v10
	v_add_lshl_u32 v16, v10, v53, 2
	ds_bpermute_b32 v10, v16, v6
	v_add_u32_e32 v17, 2, v14
	v_cmp_le_u32_e32 vcc, v17, v5
	v_add_u32_e32 v19, 4, v14
	v_add_u32_e32 v57, 8, v14
	s_waitcnt lgkmcnt(0)
	v_cndmask_b32_e32 v10, 0, v10, vcc
	v_cmp_gt_u32_e32 vcc, 60, v14
	v_add_u32_e32 v6, v6, v10
	v_cndmask_b32_e64 v10, 0, 1, vcc
	v_lshlrev_b32_e32 v10, 2, v10
	v_add_lshl_u32 v18, v10, v53, 2
	ds_bpermute_b32 v10, v18, v6
	v_cmp_le_u32_e32 vcc, v19, v5
	v_add_u32_e32 v60, 16, v14
	v_add_u32_e32 v62, 32, v14
	s_waitcnt lgkmcnt(0)
	v_cndmask_b32_e32 v10, 0, v10, vcc
	v_cmp_gt_u32_e32 vcc, 56, v14
	v_add_u32_e32 v6, v6, v10
	v_cndmask_b32_e64 v10, 0, 1, vcc
	v_lshlrev_b32_e32 v10, 3, v10
	v_add_lshl_u32 v56, v10, v53, 2
	ds_bpermute_b32 v10, v56, v6
	v_cmp_le_u32_e32 vcc, v57, v5
	s_waitcnt lgkmcnt(0)
	v_cndmask_b32_e32 v10, 0, v10, vcc
	v_cmp_gt_u32_e32 vcc, 48, v14
	v_add_u32_e32 v6, v6, v10
	v_cndmask_b32_e64 v10, 0, 1, vcc
	v_lshlrev_b32_e32 v10, 4, v10
	v_add_lshl_u32 v59, v10, v53, 2
	ds_bpermute_b32 v10, v59, v6
	v_cmp_le_u32_e32 vcc, v60, v5
	;; [unrolled: 9-line block ×3, first 2 shown]
	s_waitcnt lgkmcnt(0)
	v_cndmask_b32_e32 v5, 0, v10, vcc
	v_add_u32_e32 v6, v6, v5
	v_mov_b32_e32 v5, 0
	s_branch .LBB1938_54
.LBB1938_53:                            ;   in Loop: Header=BB1938_54 Depth=1
	s_or_b64 exec, exec, s[36:37]
	v_cmp_eq_u16_sdwa s[36:37], v7, v3 src0_sel:BYTE_0 src1_sel:DWORD
	v_and_b32_e32 v10, s37, v9
	v_or_b32_e32 v10, 0x80000000, v10
	ds_bpermute_b32 v63, v15, v6
	v_and_b32_e32 v11, s36, v8
	v_ffbl_b32_e32 v10, v10
	v_add_u32_e32 v10, 32, v10
	v_ffbl_b32_e32 v11, v11
	v_min_u32_e32 v10, v11, v10
	v_cmp_lt_u32_e32 vcc, v14, v10
	s_waitcnt lgkmcnt(0)
	v_cndmask_b32_e32 v11, 0, v63, vcc
	v_add_u32_e32 v6, v11, v6
	ds_bpermute_b32 v11, v16, v6
	v_cmp_le_u32_e32 vcc, v17, v10
	v_subrev_u32_e32 v4, 64, v4
	s_waitcnt lgkmcnt(0)
	v_cndmask_b32_e32 v11, 0, v11, vcc
	v_add_u32_e32 v6, v6, v11
	ds_bpermute_b32 v11, v18, v6
	v_cmp_le_u32_e32 vcc, v19, v10
	s_waitcnt lgkmcnt(0)
	v_cndmask_b32_e32 v11, 0, v11, vcc
	v_add_u32_e32 v6, v6, v11
	ds_bpermute_b32 v11, v56, v6
	v_cmp_le_u32_e32 vcc, v57, v10
	;; [unrolled: 5-line block ×4, first 2 shown]
	s_waitcnt lgkmcnt(0)
	v_cndmask_b32_e32 v10, 0, v11, vcc
	v_add3_u32 v6, v10, v58, v6
.LBB1938_54:                            ; =>This Loop Header: Depth=1
                                        ;     Child Loop BB1938_57 Depth 2
	v_cmp_ne_u16_sdwa s[36:37], v7, v3 src0_sel:BYTE_0 src1_sel:DWORD
	v_cndmask_b32_e64 v7, 0, 1, s[36:37]
	;;#ASMSTART
	;;#ASMEND
	v_cmp_ne_u32_e32 vcc, 0, v7
	s_cmp_lg_u64 vcc, exec
	v_mov_b32_e32 v58, v6
	s_cbranch_scc1 .LBB1938_59
; %bb.55:                               ;   in Loop: Header=BB1938_54 Depth=1
	v_lshlrev_b64 v[6:7], 3, v[4:5]
	v_mov_b32_e32 v11, s31
	v_add_co_u32_e32 v10, vcc, s30, v6
	v_addc_co_u32_e32 v11, vcc, v11, v7, vcc
	global_load_dwordx2 v[6:7], v[10:11], off glc
	s_waitcnt vmcnt(0)
	v_cmp_eq_u16_sdwa s[38:39], v7, v5 src0_sel:BYTE_0 src1_sel:DWORD
	s_and_saveexec_b64 s[36:37], s[38:39]
	s_cbranch_execz .LBB1938_53
; %bb.56:                               ;   in Loop: Header=BB1938_54 Depth=1
	s_mov_b64 s[38:39], 0
.LBB1938_57:                            ;   Parent Loop BB1938_54 Depth=1
                                        ; =>  This Inner Loop Header: Depth=2
	global_load_dwordx2 v[6:7], v[10:11], off glc
	s_waitcnt vmcnt(0)
	v_cmp_ne_u16_sdwa s[42:43], v7, v5 src0_sel:BYTE_0 src1_sel:DWORD
	s_or_b64 s[38:39], s[42:43], s[38:39]
	s_andn2_b64 exec, exec, s[38:39]
	s_cbranch_execnz .LBB1938_57
; %bb.58:                               ;   in Loop: Header=BB1938_54 Depth=1
	s_or_b64 exec, exec, s[38:39]
	s_branch .LBB1938_53
.LBB1938_59:                            ;   in Loop: Header=BB1938_54 Depth=1
                                        ; implicit-def: $vgpr6
                                        ; implicit-def: $vgpr7
	s_cbranch_execz .LBB1938_54
; %bb.60:
	s_and_saveexec_b64 s[36:37], s[18:19]
	s_cbranch_execz .LBB1938_62
; %bb.61:
	s_add_i32 s38, s40, 64
	s_mov_b32 s39, 0
	s_lshl_b64 s[38:39], s[38:39], 3
	s_add_u32 s38, s30, s38
	v_add_u32_e32 v4, v58, v2
	v_mov_b32_e32 v5, 2
	s_addc_u32 s39, s31, s39
	v_mov_b32_e32 v3, 0
	global_store_dwordx2 v3, v[4:5], s[38:39]
	s_movk_i32 s38, 0x3400
	v_add_u32_e64 v3, s38, 0
	ds_write2_b32 v3, v2, v58 offset1:2
.LBB1938_62:
	s_or_b64 exec, exec, s[36:37]
	s_and_b64 exec, exec, s[0:1]
	s_cbranch_execz .LBB1938_64
; %bb.63:
	v_mov_b32_e32 v2, 0
	ds_write_b32 v2, v58 offset:12
.LBB1938_64:
	s_or_b64 exec, exec, s[34:35]
	v_mov_b32_e32 v2, 0
	s_waitcnt lgkmcnt(0)
	s_barrier
	ds_read_b32 v2, v2 offset:12
	v_cndmask_b32_e64 v3, v13, v12, s[18:19]
	v_cndmask_b32_e64 v3, v3, 0, s[0:1]
	s_movk_i32 s18, 0x3400
	v_add_u32_e64 v12, s18, 0
	s_waitcnt lgkmcnt(0)
	v_add_u32_e32 v2, v2, v3
	v_add_u32_e32 v3, v2, v44
	;; [unrolled: 1-line block ×9, first 2 shown]
	s_barrier
	ds_read2_b32 v[18:19], v12 offset1:2
	v_add_u32_e32 v11, v10, v50
	v_add_u32_e32 v12, v11, v51
	v_add_u32_e32 v13, v12, v52
	v_add_u32_e32 v14, v13, v41
	s_branch .LBB1938_75
.LBB1938_65:
                                        ; implicit-def: $vgpr19
                                        ; implicit-def: $vgpr2_vgpr3_vgpr4_vgpr5_vgpr6_vgpr7_vgpr8_vgpr9_vgpr10_vgpr11_vgpr12_vgpr13_vgpr14_vgpr15_vgpr16_vgpr17
	s_cbranch_execz .LBB1938_75
; %bb.66:
	s_nop 0
	v_mov_b32_dpp v2, v55 row_shr:1 row_mask:0xf bank_mask:0xf
	v_cndmask_b32_e64 v2, v2, 0, s[16:17]
	v_add_u32_e32 v2, v2, v55
	s_nop 1
	v_mov_b32_dpp v3, v2 row_shr:2 row_mask:0xf bank_mask:0xf
	v_cndmask_b32_e64 v3, 0, v3, s[14:15]
	v_add_u32_e32 v2, v2, v3
	;; [unrolled: 4-line block ×4, first 2 shown]
	s_nop 1
	v_mov_b32_dpp v3, v2 row_bcast:15 row_mask:0xf bank_mask:0xf
	v_cndmask_b32_e64 v3, v3, 0, s[8:9]
	v_add_u32_e32 v2, v2, v3
	s_nop 1
	v_mov_b32_dpp v3, v2 row_bcast:31 row_mask:0xf bank_mask:0xf
	v_cndmask_b32_e64 v3, 0, v3, s[4:5]
	v_add_u32_e32 v2, v2, v3
	s_and_saveexec_b64 s[4:5], s[6:7]
	s_cbranch_execz .LBB1938_68
; %bb.67:
	v_lshlrev_b32_e32 v3, 2, v54
	ds_write_b32 v3, v2
.LBB1938_68:
	s_or_b64 exec, exec, s[4:5]
	v_cmp_gt_u32_e32 vcc, 4, v0
	s_waitcnt lgkmcnt(0)
	s_barrier
	s_and_saveexec_b64 s[4:5], vcc
	s_cbranch_execz .LBB1938_70
; %bb.69:
	ds_read_b32 v3, v1
	v_and_b32_e32 v4, 3, v53
	v_cmp_ne_u32_e32 vcc, 0, v4
	s_waitcnt lgkmcnt(0)
	v_mov_b32_dpp v5, v3 row_shr:1 row_mask:0xf bank_mask:0xf
	v_cndmask_b32_e32 v5, 0, v5, vcc
	v_add_u32_e32 v3, v5, v3
	v_cmp_lt_u32_e32 vcc, 1, v4
	s_nop 0
	v_mov_b32_dpp v5, v3 row_shr:2 row_mask:0xf bank_mask:0xf
	v_cndmask_b32_e32 v4, 0, v5, vcc
	v_add_u32_e32 v3, v3, v4
	ds_write_b32 v1, v3
.LBB1938_70:
	s_or_b64 exec, exec, s[4:5]
	v_cmp_lt_u32_e32 vcc, 63, v0
	v_mov_b32_e32 v4, 0
	v_mov_b32_e32 v3, 0
	s_waitcnt lgkmcnt(0)
	s_barrier
	s_and_saveexec_b64 s[4:5], vcc
	s_cbranch_execz .LBB1938_72
; %bb.71:
	v_lshl_add_u32 v3, v54, 2, -4
	ds_read_b32 v3, v3
.LBB1938_72:
	s_or_b64 exec, exec, s[4:5]
	v_add_u32_e32 v5, -1, v53
	v_and_b32_e32 v6, 64, v53
	v_cmp_lt_i32_e32 vcc, v5, v6
	v_cndmask_b32_e32 v5, v5, v53, vcc
	s_waitcnt lgkmcnt(0)
	v_add_u32_e32 v2, v3, v2
	v_lshlrev_b32_e32 v5, 2, v5
	ds_bpermute_b32 v2, v5, v2
	ds_read_b32 v18, v4 offset:12
	s_and_saveexec_b64 s[4:5], s[0:1]
	s_cbranch_execz .LBB1938_74
; %bb.73:
	v_mov_b32_e32 v4, 0
	v_mov_b32_e32 v19, 2
	s_waitcnt lgkmcnt(0)
	global_store_dwordx2 v4, v[18:19], s[30:31] offset:512
.LBB1938_74:
	s_or_b64 exec, exec, s[4:5]
	v_cmp_eq_u32_e32 vcc, 0, v53
	s_waitcnt lgkmcnt(1)
	v_cndmask_b32_e32 v2, v2, v3, vcc
	v_cndmask_b32_e64 v2, v2, 0, s[0:1]
	v_add_u32_e32 v3, v2, v44
	v_add_u32_e32 v4, v3, v45
	;; [unrolled: 1-line block ×11, first 2 shown]
	v_mov_b32_e32 v19, 0
	v_add_u32_e32 v14, v13, v41
	s_waitcnt lgkmcnt(0)
	s_barrier
.LBB1938_75:
	s_waitcnt lgkmcnt(0)
	v_add_u32_e32 v36, v18, v36
	v_sub_u32_e32 v2, v2, v19
	v_and_b32_e32 v45, 1, v40
	v_sub_u32_e32 v44, v36, v2
	v_cmp_eq_u32_e32 vcc, 1, v45
	v_cndmask_b32_e32 v2, v44, v2, vcc
	v_lshlrev_b32_e32 v2, 2, v2
	v_lshrrev_b32_e32 v17, 8, v40
	ds_write_b32 v2, v32
	v_sub_u32_e32 v2, v3, v19
	v_sub_u32_e32 v3, v36, v2
	v_and_b32_e32 v17, 1, v17
	v_add_u32_e32 v3, 1, v3
	v_cmp_eq_u32_e32 vcc, 1, v17
	v_cndmask_b32_e32 v2, v3, v2, vcc
	v_lshlrev_b32_e32 v2, 2, v2
	ds_write_b32 v2, v33
	v_sub_u32_e32 v2, v4, v19
	v_mov_b32_e32 v4, 1
	v_sub_u32_e32 v3, v36, v2
	v_and_b32_sdwa v17, v4, v40 dst_sel:DWORD dst_unused:UNUSED_PAD src0_sel:DWORD src1_sel:WORD_1
	v_add_u32_e32 v3, 2, v3
	v_cmp_eq_u32_e32 vcc, 1, v17
	v_cndmask_b32_e32 v2, v3, v2, vcc
	v_lshlrev_b32_e32 v2, 2, v2
	ds_write_b32 v2, v30
	v_sub_u32_e32 v2, v5, v19
	v_sub_u32_e32 v3, v36, v2
	v_and_b32_e32 v5, 1, v43
	v_add_u32_e32 v3, 3, v3
	v_cmp_eq_u32_e32 vcc, 1, v5
	v_cndmask_b32_e32 v2, v3, v2, vcc
	v_lshlrev_b32_e32 v2, 2, v2
	ds_write_b32 v2, v31
	v_sub_u32_e32 v2, v6, v19
	v_sub_u32_e32 v3, v36, v2
	v_and_b32_e32 v5, 1, v39
	v_add_u32_e32 v3, 4, v3
	v_cmp_eq_u32_e32 vcc, 1, v5
	v_cndmask_b32_e32 v2, v3, v2, vcc
	v_lshlrev_b32_e32 v2, 2, v2
	v_lshrrev_b32_e32 v16, 8, v39
	ds_write_b32 v2, v28
	v_sub_u32_e32 v2, v7, v19
	v_sub_u32_e32 v3, v36, v2
	v_and_b32_e32 v5, 1, v16
	v_add_u32_e32 v3, 5, v3
	v_cmp_eq_u32_e32 vcc, 1, v5
	v_cndmask_b32_e32 v2, v3, v2, vcc
	v_lshlrev_b32_e32 v2, 2, v2
	ds_write_b32 v2, v29
	v_sub_u32_e32 v2, v8, v19
	v_sub_u32_e32 v3, v36, v2
	v_and_b32_sdwa v5, v4, v39 dst_sel:DWORD dst_unused:UNUSED_PAD src0_sel:DWORD src1_sel:WORD_1
	v_add_u32_e32 v3, 6, v3
	v_cmp_eq_u32_e32 vcc, 1, v5
	v_cndmask_b32_e32 v2, v3, v2, vcc
	v_lshlrev_b32_e32 v2, 2, v2
	ds_write_b32 v2, v26
	v_sub_u32_e32 v2, v9, v19
	v_sub_u32_e32 v3, v36, v2
	v_and_b32_e32 v5, 1, v42
	v_add_u32_e32 v3, 7, v3
	v_cmp_eq_u32_e32 vcc, 1, v5
	v_cndmask_b32_e32 v2, v3, v2, vcc
	v_lshlrev_b32_e32 v2, 2, v2
	ds_write_b32 v2, v27
	v_sub_u32_e32 v2, v10, v19
	v_sub_u32_e32 v3, v36, v2
	v_and_b32_e32 v5, 1, v38
	v_add_u32_e32 v3, 8, v3
	v_cmp_eq_u32_e32 vcc, 1, v5
	v_cndmask_b32_e32 v2, v3, v2, vcc
	v_lshlrev_b32_e32 v2, 2, v2
	v_lshrrev_b32_e32 v15, 8, v38
	ds_write_b32 v2, v24
	v_sub_u32_e32 v2, v11, v19
	v_sub_u32_e32 v3, v36, v2
	v_and_b32_e32 v5, 1, v15
	v_add_u32_e32 v3, 9, v3
	v_cmp_eq_u32_e32 vcc, 1, v5
	v_cndmask_b32_e32 v2, v3, v2, vcc
	v_lshlrev_b32_e32 v2, 2, v2
	ds_write_b32 v2, v25
	v_sub_u32_e32 v2, v12, v19
	v_sub_u32_e32 v3, v36, v2
	v_and_b32_sdwa v4, v4, v38 dst_sel:DWORD dst_unused:UNUSED_PAD src0_sel:DWORD src1_sel:WORD_1
	v_add_u32_e32 v3, 10, v3
	v_cmp_eq_u32_e32 vcc, 1, v4
	v_cndmask_b32_e32 v2, v3, v2, vcc
	v_lshlrev_b32_e32 v2, 2, v2
	ds_write_b32 v2, v22
	v_sub_u32_e32 v2, v13, v19
	v_sub_u32_e32 v3, v36, v2
	v_and_b32_e32 v4, 1, v41
	v_add_u32_e32 v3, 11, v3
	v_cmp_eq_u32_e32 vcc, 1, v4
	v_cndmask_b32_e32 v2, v3, v2, vcc
	v_lshlrev_b32_e32 v2, 2, v2
	ds_write_b32 v2, v23
	v_sub_u32_e32 v2, v14, v19
	v_sub_u32_e32 v3, v36, v2
	v_and_b32_e32 v4, 1, v37
	v_add_u32_e32 v3, 12, v3
	v_cmp_eq_u32_e32 vcc, 1, v4
	v_cndmask_b32_e32 v2, v3, v2, vcc
	v_lshlrev_b32_e32 v2, 2, v2
	ds_write_b32 v2, v35
	s_waitcnt lgkmcnt(0)
	s_barrier
	ds_read2st64_b32 v[12:13], v1 offset1:4
	ds_read2st64_b32 v[10:11], v1 offset0:8 offset1:12
	ds_read2st64_b32 v[8:9], v1 offset0:16 offset1:20
	;; [unrolled: 1-line block ×5, first 2 shown]
	ds_read_b32 v17, v1 offset:12288
	s_waitcnt vmcnt(0)
	v_add_co_u32_e32 v1, vcc, v20, v19
	v_addc_co_u32_e32 v16, vcc, 0, v21, vcc
	v_mov_b32_e32 v14, s29
	v_add_co_u32_e32 v15, vcc, s28, v34
	v_addc_co_u32_e32 v14, vcc, 0, v14, vcc
	v_mov_b32_e32 v19, s27
	v_sub_co_u32_e32 v15, vcc, s26, v15
	v_subb_co_u32_e32 v14, vcc, v19, v14, vcc
	v_add_co_u32_e32 v15, vcc, v15, v18
	v_addc_co_u32_e32 v14, vcc, 0, v14, vcc
	s_and_b64 vcc, exec, s[2:3]
	v_add_co_u32_e64 v19, s[2:3], v15, v1
	v_or_b32_e32 v33, 0x100, v0
	v_or_b32_e32 v32, 0x200, v0
	;; [unrolled: 1-line block ×12, first 2 shown]
	v_addc_co_u32_e64 v20, s[2:3], v14, v16, s[2:3]
	s_cbranch_vccnz .LBB1938_132
; %bb.76:
	v_cmp_ge_u32_e32 vcc, v0, v18
                                        ; implicit-def: $vgpr14_vgpr15
	s_and_saveexec_b64 s[2:3], vcc
	s_xor_b64 s[2:3], exec, s[2:3]
; %bb.77:
	v_not_b32_e32 v14, v0
	v_ashrrev_i32_e32 v15, 31, v14
	v_add_co_u32_e32 v14, vcc, v19, v14
	v_addc_co_u32_e32 v15, vcc, v20, v15, vcc
; %bb.78:
	s_andn2_saveexec_b64 s[2:3], s[2:3]
; %bb.79:
	v_add_co_u32_e32 v14, vcc, v1, v0
	v_addc_co_u32_e32 v15, vcc, 0, v16, vcc
; %bb.80:
	s_or_b64 exec, exec, s[2:3]
	v_lshlrev_b64 v[14:15], 2, v[14:15]
	v_mov_b32_e32 v21, s25
	v_add_co_u32_e32 v14, vcc, s24, v14
	v_addc_co_u32_e32 v15, vcc, v21, v15, vcc
	v_cmp_ge_u32_e32 vcc, v33, v18
	s_waitcnt lgkmcnt(6)
	global_store_dword v[14:15], v12, off
                                        ; implicit-def: $vgpr14_vgpr15
	s_and_saveexec_b64 s[2:3], vcc
	s_xor_b64 s[2:3], exec, s[2:3]
; %bb.81:
	v_xor_b32_e32 v14, 0xfffffeff, v0
	v_ashrrev_i32_e32 v15, 31, v14
	v_add_co_u32_e32 v14, vcc, v19, v14
	v_addc_co_u32_e32 v15, vcc, v20, v15, vcc
; %bb.82:
	s_andn2_saveexec_b64 s[2:3], s[2:3]
; %bb.83:
	v_add_co_u32_e32 v14, vcc, v1, v33
	v_addc_co_u32_e32 v15, vcc, 0, v16, vcc
; %bb.84:
	s_or_b64 exec, exec, s[2:3]
	v_lshlrev_b64 v[14:15], 2, v[14:15]
	v_mov_b32_e32 v21, s25
	v_add_co_u32_e32 v14, vcc, s24, v14
	v_addc_co_u32_e32 v15, vcc, v21, v15, vcc
	v_cmp_ge_u32_e32 vcc, v32, v18
	global_store_dword v[14:15], v13, off
                                        ; implicit-def: $vgpr14_vgpr15
	s_and_saveexec_b64 s[2:3], vcc
	s_xor_b64 s[2:3], exec, s[2:3]
; %bb.85:
	v_xor_b32_e32 v14, 0xfffffdff, v0
	v_ashrrev_i32_e32 v15, 31, v14
	v_add_co_u32_e32 v14, vcc, v19, v14
	v_addc_co_u32_e32 v15, vcc, v20, v15, vcc
; %bb.86:
	s_andn2_saveexec_b64 s[2:3], s[2:3]
; %bb.87:
	v_add_co_u32_e32 v14, vcc, v1, v32
	v_addc_co_u32_e32 v15, vcc, 0, v16, vcc
; %bb.88:
	s_or_b64 exec, exec, s[2:3]
	v_lshlrev_b64 v[14:15], 2, v[14:15]
	v_mov_b32_e32 v21, s25
	v_add_co_u32_e32 v14, vcc, s24, v14
	v_addc_co_u32_e32 v15, vcc, v21, v15, vcc
	v_cmp_ge_u32_e32 vcc, v31, v18
	s_waitcnt lgkmcnt(5)
	global_store_dword v[14:15], v10, off
                                        ; implicit-def: $vgpr14_vgpr15
	s_and_saveexec_b64 s[2:3], vcc
	s_xor_b64 s[2:3], exec, s[2:3]
; %bb.89:
	v_xor_b32_e32 v14, 0xfffffcff, v0
	v_ashrrev_i32_e32 v15, 31, v14
	v_add_co_u32_e32 v14, vcc, v19, v14
	v_addc_co_u32_e32 v15, vcc, v20, v15, vcc
; %bb.90:
	s_andn2_saveexec_b64 s[2:3], s[2:3]
; %bb.91:
	v_add_co_u32_e32 v14, vcc, v1, v31
	v_addc_co_u32_e32 v15, vcc, 0, v16, vcc
; %bb.92:
	s_or_b64 exec, exec, s[2:3]
	v_lshlrev_b64 v[14:15], 2, v[14:15]
	v_mov_b32_e32 v21, s25
	v_add_co_u32_e32 v14, vcc, s24, v14
	v_addc_co_u32_e32 v15, vcc, v21, v15, vcc
	v_cmp_ge_u32_e32 vcc, v30, v18
	global_store_dword v[14:15], v11, off
                                        ; implicit-def: $vgpr14_vgpr15
	s_and_saveexec_b64 s[2:3], vcc
	s_xor_b64 s[2:3], exec, s[2:3]
; %bb.93:
	v_xor_b32_e32 v14, 0xfffffbff, v0
	;; [unrolled: 43-line block ×6, first 2 shown]
	v_ashrrev_i32_e32 v15, 31, v14
	v_add_co_u32_e32 v14, vcc, v19, v14
	v_addc_co_u32_e32 v15, vcc, v20, v15, vcc
; %bb.126:
	s_andn2_saveexec_b64 s[2:3], s[2:3]
; %bb.127:
	v_add_co_u32_e32 v14, vcc, v1, v22
	v_addc_co_u32_e32 v15, vcc, 0, v16, vcc
; %bb.128:
	s_or_b64 exec, exec, s[2:3]
	s_mov_b64 s[2:3], -1
.LBB1938_129:
	s_and_saveexec_b64 s[4:5], s[2:3]
	s_cbranch_execz .LBB1938_212
.LBB1938_130:
	s_waitcnt lgkmcnt(1)
	v_lshlrev_b64 v[2:3], 2, v[14:15]
	v_mov_b32_e32 v0, s25
	v_add_co_u32_e32 v2, vcc, s24, v2
	v_addc_co_u32_e32 v3, vcc, v0, v3, vcc
	s_waitcnt lgkmcnt(0)
	global_store_dword v[2:3], v17, off
	s_or_b64 exec, exec, s[4:5]
	s_and_b64 s[0:1], s[0:1], s[22:23]
	s_and_saveexec_b64 s[2:3], s[0:1]
	s_cbranch_execnz .LBB1938_213
.LBB1938_131:
	s_endpgm
.LBB1938_132:
	s_mov_b64 s[2:3], 0
                                        ; implicit-def: $vgpr14_vgpr15
	s_cbranch_execz .LBB1938_129
; %bb.133:
	v_cmp_gt_u32_e32 vcc, s33, v0
	s_and_saveexec_b64 s[4:5], vcc
	s_cbranch_execz .LBB1938_169
; %bb.134:
	v_cmp_ge_u32_e32 vcc, v0, v18
                                        ; implicit-def: $vgpr14_vgpr15
	s_and_saveexec_b64 s[6:7], vcc
	s_xor_b64 s[6:7], exec, s[6:7]
; %bb.135:
	v_not_b32_e32 v14, v0
	v_ashrrev_i32_e32 v15, 31, v14
	v_add_co_u32_e32 v14, vcc, v19, v14
	v_addc_co_u32_e32 v15, vcc, v20, v15, vcc
; %bb.136:
	s_andn2_saveexec_b64 s[6:7], s[6:7]
; %bb.137:
	v_add_co_u32_e32 v14, vcc, v1, v0
	v_addc_co_u32_e32 v15, vcc, 0, v16, vcc
; %bb.138:
	s_or_b64 exec, exec, s[6:7]
	v_lshlrev_b64 v[14:15], 2, v[14:15]
	v_mov_b32_e32 v21, s25
	v_add_co_u32_e32 v14, vcc, s24, v14
	v_addc_co_u32_e32 v15, vcc, v21, v15, vcc
	s_waitcnt lgkmcnt(6)
	global_store_dword v[14:15], v12, off
	s_or_b64 exec, exec, s[4:5]
	v_cmp_gt_u32_e32 vcc, s33, v33
	s_and_saveexec_b64 s[4:5], vcc
	s_cbranch_execnz .LBB1938_170
.LBB1938_139:
	s_or_b64 exec, exec, s[4:5]
	v_cmp_gt_u32_e32 vcc, s33, v32
	s_and_saveexec_b64 s[4:5], vcc
	s_cbranch_execz .LBB1938_175
.LBB1938_140:
	v_cmp_ge_u32_e32 vcc, v32, v18
                                        ; implicit-def: $vgpr12_vgpr13
	s_and_saveexec_b64 s[6:7], vcc
	s_xor_b64 s[6:7], exec, s[6:7]
	s_cbranch_execz .LBB1938_142
; %bb.141:
	s_waitcnt lgkmcnt(6)
	v_xor_b32_e32 v12, 0xfffffdff, v0
	v_ashrrev_i32_e32 v13, 31, v12
	v_add_co_u32_e32 v12, vcc, v19, v12
	v_addc_co_u32_e32 v13, vcc, v20, v13, vcc
                                        ; implicit-def: $vgpr32
.LBB1938_142:
	s_andn2_saveexec_b64 s[6:7], s[6:7]
	s_cbranch_execz .LBB1938_144
; %bb.143:
	s_waitcnt lgkmcnt(6)
	v_add_co_u32_e32 v12, vcc, v1, v32
	v_addc_co_u32_e32 v13, vcc, 0, v16, vcc
.LBB1938_144:
	s_or_b64 exec, exec, s[6:7]
	s_waitcnt lgkmcnt(6)
	v_lshlrev_b64 v[12:13], 2, v[12:13]
	v_mov_b32_e32 v14, s25
	v_add_co_u32_e32 v12, vcc, s24, v12
	v_addc_co_u32_e32 v13, vcc, v14, v13, vcc
	s_waitcnt lgkmcnt(5)
	global_store_dword v[12:13], v10, off
	s_or_b64 exec, exec, s[4:5]
	v_cmp_gt_u32_e32 vcc, s33, v31
	s_and_saveexec_b64 s[4:5], vcc
	s_cbranch_execnz .LBB1938_176
.LBB1938_145:
	s_or_b64 exec, exec, s[4:5]
	v_cmp_gt_u32_e32 vcc, s33, v30
	s_and_saveexec_b64 s[4:5], vcc
	s_cbranch_execz .LBB1938_181
.LBB1938_146:
	v_cmp_ge_u32_e32 vcc, v30, v18
                                        ; implicit-def: $vgpr10_vgpr11
	s_and_saveexec_b64 s[6:7], vcc
	s_xor_b64 s[6:7], exec, s[6:7]
	s_cbranch_execz .LBB1938_148
; %bb.147:
	s_waitcnt lgkmcnt(5)
	v_xor_b32_e32 v10, 0xfffffbff, v0
	v_ashrrev_i32_e32 v11, 31, v10
	v_add_co_u32_e32 v10, vcc, v19, v10
	v_addc_co_u32_e32 v11, vcc, v20, v11, vcc
                                        ; implicit-def: $vgpr30
.LBB1938_148:
	s_andn2_saveexec_b64 s[6:7], s[6:7]
	s_cbranch_execz .LBB1938_150
; %bb.149:
	s_waitcnt lgkmcnt(5)
	v_add_co_u32_e32 v10, vcc, v1, v30
	v_addc_co_u32_e32 v11, vcc, 0, v16, vcc
.LBB1938_150:
	s_or_b64 exec, exec, s[6:7]
	s_waitcnt lgkmcnt(5)
	v_lshlrev_b64 v[10:11], 2, v[10:11]
	v_mov_b32_e32 v12, s25
	v_add_co_u32_e32 v10, vcc, s24, v10
	v_addc_co_u32_e32 v11, vcc, v12, v11, vcc
	s_waitcnt lgkmcnt(4)
	global_store_dword v[10:11], v8, off
	s_or_b64 exec, exec, s[4:5]
	v_cmp_gt_u32_e32 vcc, s33, v29
	s_and_saveexec_b64 s[4:5], vcc
	s_cbranch_execnz .LBB1938_182
.LBB1938_151:
	s_or_b64 exec, exec, s[4:5]
	v_cmp_gt_u32_e32 vcc, s33, v28
	s_and_saveexec_b64 s[4:5], vcc
	s_cbranch_execz .LBB1938_187
.LBB1938_152:
	v_cmp_ge_u32_e32 vcc, v28, v18
                                        ; implicit-def: $vgpr8_vgpr9
	s_and_saveexec_b64 s[6:7], vcc
	s_xor_b64 s[6:7], exec, s[6:7]
	s_cbranch_execz .LBB1938_154
; %bb.153:
	s_waitcnt lgkmcnt(4)
	v_xor_b32_e32 v8, 0xfffff9ff, v0
	v_ashrrev_i32_e32 v9, 31, v8
	v_add_co_u32_e32 v8, vcc, v19, v8
	v_addc_co_u32_e32 v9, vcc, v20, v9, vcc
                                        ; implicit-def: $vgpr28
.LBB1938_154:
	s_andn2_saveexec_b64 s[6:7], s[6:7]
	s_cbranch_execz .LBB1938_156
; %bb.155:
	s_waitcnt lgkmcnt(4)
	v_add_co_u32_e32 v8, vcc, v1, v28
	v_addc_co_u32_e32 v9, vcc, 0, v16, vcc
.LBB1938_156:
	s_or_b64 exec, exec, s[6:7]
	s_waitcnt lgkmcnt(4)
	v_lshlrev_b64 v[8:9], 2, v[8:9]
	v_mov_b32_e32 v10, s25
	v_add_co_u32_e32 v8, vcc, s24, v8
	v_addc_co_u32_e32 v9, vcc, v10, v9, vcc
	s_waitcnt lgkmcnt(3)
	global_store_dword v[8:9], v6, off
	s_or_b64 exec, exec, s[4:5]
	v_cmp_gt_u32_e32 vcc, s33, v27
	s_and_saveexec_b64 s[4:5], vcc
	s_cbranch_execnz .LBB1938_188
.LBB1938_157:
	s_or_b64 exec, exec, s[4:5]
	v_cmp_gt_u32_e32 vcc, s33, v26
	s_and_saveexec_b64 s[4:5], vcc
	s_cbranch_execz .LBB1938_193
.LBB1938_158:
	v_cmp_ge_u32_e32 vcc, v26, v18
                                        ; implicit-def: $vgpr6_vgpr7
	s_and_saveexec_b64 s[6:7], vcc
	s_xor_b64 s[6:7], exec, s[6:7]
	s_cbranch_execz .LBB1938_160
; %bb.159:
	s_waitcnt lgkmcnt(3)
	v_xor_b32_e32 v6, 0xfffff7ff, v0
	v_ashrrev_i32_e32 v7, 31, v6
	v_add_co_u32_e32 v6, vcc, v19, v6
	v_addc_co_u32_e32 v7, vcc, v20, v7, vcc
                                        ; implicit-def: $vgpr26
.LBB1938_160:
	s_andn2_saveexec_b64 s[6:7], s[6:7]
	s_cbranch_execz .LBB1938_162
; %bb.161:
	s_waitcnt lgkmcnt(3)
	v_add_co_u32_e32 v6, vcc, v1, v26
	v_addc_co_u32_e32 v7, vcc, 0, v16, vcc
.LBB1938_162:
	s_or_b64 exec, exec, s[6:7]
	s_waitcnt lgkmcnt(3)
	v_lshlrev_b64 v[6:7], 2, v[6:7]
	v_mov_b32_e32 v8, s25
	v_add_co_u32_e32 v6, vcc, s24, v6
	v_addc_co_u32_e32 v7, vcc, v8, v7, vcc
	s_waitcnt lgkmcnt(2)
	global_store_dword v[6:7], v4, off
	s_or_b64 exec, exec, s[4:5]
	v_cmp_gt_u32_e32 vcc, s33, v25
	s_and_saveexec_b64 s[4:5], vcc
	s_cbranch_execnz .LBB1938_194
.LBB1938_163:
	s_or_b64 exec, exec, s[4:5]
	v_cmp_gt_u32_e32 vcc, s33, v24
	s_and_saveexec_b64 s[4:5], vcc
	s_cbranch_execz .LBB1938_199
.LBB1938_164:
	v_cmp_ge_u32_e32 vcc, v24, v18
                                        ; implicit-def: $vgpr4_vgpr5
	s_and_saveexec_b64 s[6:7], vcc
	s_xor_b64 s[6:7], exec, s[6:7]
	s_cbranch_execz .LBB1938_166
; %bb.165:
	s_waitcnt lgkmcnt(2)
	v_xor_b32_e32 v4, 0xfffff5ff, v0
	v_ashrrev_i32_e32 v5, 31, v4
	v_add_co_u32_e32 v4, vcc, v19, v4
	v_addc_co_u32_e32 v5, vcc, v20, v5, vcc
                                        ; implicit-def: $vgpr24
.LBB1938_166:
	s_andn2_saveexec_b64 s[6:7], s[6:7]
	s_cbranch_execz .LBB1938_168
; %bb.167:
	s_waitcnt lgkmcnt(2)
	v_add_co_u32_e32 v4, vcc, v1, v24
	v_addc_co_u32_e32 v5, vcc, 0, v16, vcc
.LBB1938_168:
	s_or_b64 exec, exec, s[6:7]
	s_waitcnt lgkmcnt(2)
	v_lshlrev_b64 v[4:5], 2, v[4:5]
	v_mov_b32_e32 v6, s25
	v_add_co_u32_e32 v4, vcc, s24, v4
	v_addc_co_u32_e32 v5, vcc, v6, v5, vcc
	s_waitcnt lgkmcnt(1)
	global_store_dword v[4:5], v2, off
	s_or_b64 exec, exec, s[4:5]
	v_cmp_gt_u32_e32 vcc, s33, v23
	s_and_saveexec_b64 s[4:5], vcc
	s_cbranch_execz .LBB1938_205
	s_branch .LBB1938_200
.LBB1938_169:
	s_or_b64 exec, exec, s[4:5]
	v_cmp_gt_u32_e32 vcc, s33, v33
	s_and_saveexec_b64 s[4:5], vcc
	s_cbranch_execz .LBB1938_139
.LBB1938_170:
	v_cmp_ge_u32_e32 vcc, v33, v18
                                        ; implicit-def: $vgpr14_vgpr15
	s_and_saveexec_b64 s[6:7], vcc
	s_xor_b64 s[6:7], exec, s[6:7]
	s_cbranch_execz .LBB1938_172
; %bb.171:
	s_waitcnt lgkmcnt(6)
	v_xor_b32_e32 v12, 0xfffffeff, v0
	v_ashrrev_i32_e32 v15, 31, v12
	v_add_co_u32_e32 v14, vcc, v19, v12
	v_addc_co_u32_e32 v15, vcc, v20, v15, vcc
                                        ; implicit-def: $vgpr33
.LBB1938_172:
	s_andn2_saveexec_b64 s[6:7], s[6:7]
; %bb.173:
	v_add_co_u32_e32 v14, vcc, v1, v33
	v_addc_co_u32_e32 v15, vcc, 0, v16, vcc
; %bb.174:
	s_or_b64 exec, exec, s[6:7]
	v_lshlrev_b64 v[14:15], 2, v[14:15]
	s_waitcnt lgkmcnt(6)
	v_mov_b32_e32 v12, s25
	v_add_co_u32_e32 v14, vcc, s24, v14
	v_addc_co_u32_e32 v15, vcc, v12, v15, vcc
	global_store_dword v[14:15], v13, off
	s_or_b64 exec, exec, s[4:5]
	v_cmp_gt_u32_e32 vcc, s33, v32
	s_and_saveexec_b64 s[4:5], vcc
	s_cbranch_execnz .LBB1938_140
.LBB1938_175:
	s_or_b64 exec, exec, s[4:5]
	v_cmp_gt_u32_e32 vcc, s33, v31
	s_and_saveexec_b64 s[4:5], vcc
	s_cbranch_execz .LBB1938_145
.LBB1938_176:
	v_cmp_ge_u32_e32 vcc, v31, v18
                                        ; implicit-def: $vgpr12_vgpr13
	s_and_saveexec_b64 s[6:7], vcc
	s_xor_b64 s[6:7], exec, s[6:7]
	s_cbranch_execz .LBB1938_178
; %bb.177:
	s_waitcnt lgkmcnt(5)
	v_xor_b32_e32 v10, 0xfffffcff, v0
	v_ashrrev_i32_e32 v13, 31, v10
	v_add_co_u32_e32 v12, vcc, v19, v10
	v_addc_co_u32_e32 v13, vcc, v20, v13, vcc
                                        ; implicit-def: $vgpr31
.LBB1938_178:
	s_andn2_saveexec_b64 s[6:7], s[6:7]
	s_cbranch_execz .LBB1938_180
; %bb.179:
	s_waitcnt lgkmcnt(6)
	v_add_co_u32_e32 v12, vcc, v1, v31
	v_addc_co_u32_e32 v13, vcc, 0, v16, vcc
.LBB1938_180:
	s_or_b64 exec, exec, s[6:7]
	s_waitcnt lgkmcnt(6)
	v_lshlrev_b64 v[12:13], 2, v[12:13]
	s_waitcnt lgkmcnt(5)
	v_mov_b32_e32 v10, s25
	v_add_co_u32_e32 v12, vcc, s24, v12
	v_addc_co_u32_e32 v13, vcc, v10, v13, vcc
	global_store_dword v[12:13], v11, off
	s_or_b64 exec, exec, s[4:5]
	v_cmp_gt_u32_e32 vcc, s33, v30
	s_and_saveexec_b64 s[4:5], vcc
	s_cbranch_execnz .LBB1938_146
.LBB1938_181:
	s_or_b64 exec, exec, s[4:5]
	v_cmp_gt_u32_e32 vcc, s33, v29
	s_and_saveexec_b64 s[4:5], vcc
	s_cbranch_execz .LBB1938_151
.LBB1938_182:
	v_cmp_ge_u32_e32 vcc, v29, v18
                                        ; implicit-def: $vgpr10_vgpr11
	s_and_saveexec_b64 s[6:7], vcc
	s_xor_b64 s[6:7], exec, s[6:7]
	s_cbranch_execz .LBB1938_184
; %bb.183:
	s_waitcnt lgkmcnt(4)
	v_xor_b32_e32 v8, 0xfffffaff, v0
	v_ashrrev_i32_e32 v11, 31, v8
	v_add_co_u32_e32 v10, vcc, v19, v8
	v_addc_co_u32_e32 v11, vcc, v20, v11, vcc
                                        ; implicit-def: $vgpr29
.LBB1938_184:
	s_andn2_saveexec_b64 s[6:7], s[6:7]
	s_cbranch_execz .LBB1938_186
; %bb.185:
	s_waitcnt lgkmcnt(5)
	v_add_co_u32_e32 v10, vcc, v1, v29
	v_addc_co_u32_e32 v11, vcc, 0, v16, vcc
.LBB1938_186:
	s_or_b64 exec, exec, s[6:7]
	s_waitcnt lgkmcnt(5)
	v_lshlrev_b64 v[10:11], 2, v[10:11]
	s_waitcnt lgkmcnt(4)
	v_mov_b32_e32 v8, s25
	v_add_co_u32_e32 v10, vcc, s24, v10
	v_addc_co_u32_e32 v11, vcc, v8, v11, vcc
	global_store_dword v[10:11], v9, off
	s_or_b64 exec, exec, s[4:5]
	v_cmp_gt_u32_e32 vcc, s33, v28
	s_and_saveexec_b64 s[4:5], vcc
	s_cbranch_execnz .LBB1938_152
.LBB1938_187:
	s_or_b64 exec, exec, s[4:5]
	v_cmp_gt_u32_e32 vcc, s33, v27
	s_and_saveexec_b64 s[4:5], vcc
	s_cbranch_execz .LBB1938_157
.LBB1938_188:
	v_cmp_ge_u32_e32 vcc, v27, v18
                                        ; implicit-def: $vgpr8_vgpr9
	s_and_saveexec_b64 s[6:7], vcc
	s_xor_b64 s[6:7], exec, s[6:7]
	s_cbranch_execz .LBB1938_190
; %bb.189:
	s_waitcnt lgkmcnt(3)
	v_xor_b32_e32 v6, 0xfffff8ff, v0
	v_ashrrev_i32_e32 v9, 31, v6
	v_add_co_u32_e32 v8, vcc, v19, v6
	v_addc_co_u32_e32 v9, vcc, v20, v9, vcc
                                        ; implicit-def: $vgpr27
.LBB1938_190:
	s_andn2_saveexec_b64 s[6:7], s[6:7]
	s_cbranch_execz .LBB1938_192
; %bb.191:
	s_waitcnt lgkmcnt(4)
	v_add_co_u32_e32 v8, vcc, v1, v27
	v_addc_co_u32_e32 v9, vcc, 0, v16, vcc
.LBB1938_192:
	s_or_b64 exec, exec, s[6:7]
	s_waitcnt lgkmcnt(4)
	v_lshlrev_b64 v[8:9], 2, v[8:9]
	s_waitcnt lgkmcnt(3)
	v_mov_b32_e32 v6, s25
	v_add_co_u32_e32 v8, vcc, s24, v8
	v_addc_co_u32_e32 v9, vcc, v6, v9, vcc
	global_store_dword v[8:9], v7, off
	s_or_b64 exec, exec, s[4:5]
	v_cmp_gt_u32_e32 vcc, s33, v26
	s_and_saveexec_b64 s[4:5], vcc
	s_cbranch_execnz .LBB1938_158
.LBB1938_193:
	s_or_b64 exec, exec, s[4:5]
	v_cmp_gt_u32_e32 vcc, s33, v25
	s_and_saveexec_b64 s[4:5], vcc
	s_cbranch_execz .LBB1938_163
.LBB1938_194:
	v_cmp_ge_u32_e32 vcc, v25, v18
                                        ; implicit-def: $vgpr6_vgpr7
	s_and_saveexec_b64 s[6:7], vcc
	s_xor_b64 s[6:7], exec, s[6:7]
	s_cbranch_execz .LBB1938_196
; %bb.195:
	s_waitcnt lgkmcnt(2)
	v_xor_b32_e32 v4, 0xfffff6ff, v0
	v_ashrrev_i32_e32 v7, 31, v4
	v_add_co_u32_e32 v6, vcc, v19, v4
	v_addc_co_u32_e32 v7, vcc, v20, v7, vcc
                                        ; implicit-def: $vgpr25
.LBB1938_196:
	s_andn2_saveexec_b64 s[6:7], s[6:7]
	s_cbranch_execz .LBB1938_198
; %bb.197:
	s_waitcnt lgkmcnt(3)
	v_add_co_u32_e32 v6, vcc, v1, v25
	v_addc_co_u32_e32 v7, vcc, 0, v16, vcc
.LBB1938_198:
	s_or_b64 exec, exec, s[6:7]
	s_waitcnt lgkmcnt(3)
	v_lshlrev_b64 v[6:7], 2, v[6:7]
	s_waitcnt lgkmcnt(2)
	v_mov_b32_e32 v4, s25
	v_add_co_u32_e32 v6, vcc, s24, v6
	v_addc_co_u32_e32 v7, vcc, v4, v7, vcc
	global_store_dword v[6:7], v5, off
	s_or_b64 exec, exec, s[4:5]
	v_cmp_gt_u32_e32 vcc, s33, v24
	s_and_saveexec_b64 s[4:5], vcc
	s_cbranch_execnz .LBB1938_164
.LBB1938_199:
	s_or_b64 exec, exec, s[4:5]
	v_cmp_gt_u32_e32 vcc, s33, v23
	s_and_saveexec_b64 s[4:5], vcc
	s_cbranch_execz .LBB1938_205
.LBB1938_200:
	v_cmp_ge_u32_e32 vcc, v23, v18
                                        ; implicit-def: $vgpr4_vgpr5
	s_and_saveexec_b64 s[6:7], vcc
	s_xor_b64 s[6:7], exec, s[6:7]
	s_cbranch_execz .LBB1938_202
; %bb.201:
	s_waitcnt lgkmcnt(1)
	v_xor_b32_e32 v2, 0xfffff4ff, v0
	v_ashrrev_i32_e32 v5, 31, v2
	v_add_co_u32_e32 v4, vcc, v19, v2
	v_addc_co_u32_e32 v5, vcc, v20, v5, vcc
                                        ; implicit-def: $vgpr23
.LBB1938_202:
	s_andn2_saveexec_b64 s[6:7], s[6:7]
	s_cbranch_execz .LBB1938_204
; %bb.203:
	s_waitcnt lgkmcnt(2)
	v_add_co_u32_e32 v4, vcc, v1, v23
	v_addc_co_u32_e32 v5, vcc, 0, v16, vcc
.LBB1938_204:
	s_or_b64 exec, exec, s[6:7]
	s_waitcnt lgkmcnt(2)
	v_lshlrev_b64 v[4:5], 2, v[4:5]
	s_waitcnt lgkmcnt(1)
	v_mov_b32_e32 v2, s25
	v_add_co_u32_e32 v4, vcc, s24, v4
	v_addc_co_u32_e32 v5, vcc, v2, v5, vcc
	global_store_dword v[4:5], v3, off
.LBB1938_205:
	s_or_b64 exec, exec, s[4:5]
	v_cmp_gt_u32_e32 vcc, s33, v22
                                        ; implicit-def: $vgpr14_vgpr15
	s_and_saveexec_b64 s[4:5], vcc
	s_cbranch_execz .LBB1938_211
; %bb.206:
	v_cmp_ge_u32_e32 vcc, v22, v18
                                        ; implicit-def: $vgpr14_vgpr15
	s_and_saveexec_b64 s[6:7], vcc
	s_xor_b64 s[6:7], exec, s[6:7]
	s_cbranch_execz .LBB1938_208
; %bb.207:
	v_xor_b32_e32 v0, 0xfffff3ff, v0
	s_waitcnt lgkmcnt(1)
	v_ashrrev_i32_e32 v2, 31, v0
	v_add_co_u32_e32 v14, vcc, v19, v0
	v_addc_co_u32_e32 v15, vcc, v20, v2, vcc
                                        ; implicit-def: $vgpr22
.LBB1938_208:
	s_andn2_saveexec_b64 s[6:7], s[6:7]
; %bb.209:
	v_add_co_u32_e32 v14, vcc, v1, v22
	v_addc_co_u32_e32 v15, vcc, 0, v16, vcc
; %bb.210:
	s_or_b64 exec, exec, s[6:7]
	s_or_b64 s[2:3], s[2:3], exec
.LBB1938_211:
	s_or_b64 exec, exec, s[4:5]
	s_and_saveexec_b64 s[4:5], s[2:3]
	s_cbranch_execnz .LBB1938_130
.LBB1938_212:
	s_or_b64 exec, exec, s[4:5]
	s_and_b64 s[0:1], s[0:1], s[22:23]
	s_and_saveexec_b64 s[2:3], s[0:1]
	s_cbranch_execz .LBB1938_131
.LBB1938_213:
	v_add_co_u32_e32 v0, vcc, v1, v18
	s_waitcnt lgkmcnt(1)
	v_mov_b32_e32 v2, 0
	v_addc_co_u32_e32 v1, vcc, 0, v16, vcc
	global_store_dwordx2 v2, v[0:1], s[20:21]
	s_endpgm
	.section	.rodata,"a",@progbits
	.p2align	6, 0x0
	.amdhsa_kernel _ZN7rocprim17ROCPRIM_400000_NS6detail17trampoline_kernelINS0_13select_configILj256ELj13ELNS0_17block_load_methodE3ELS4_3ELS4_3ELNS0_20block_scan_algorithmE0ELj4294967295EEENS1_25partition_config_selectorILNS1_17partition_subalgoE3EjNS0_10empty_typeEbEEZZNS1_14partition_implILS8_3ELb0ES6_jNS0_17counting_iteratorIjlEEPS9_SE_NS0_5tupleIJPjSE_EEENSF_IJSE_SE_EEES9_SG_JZNS1_25segmented_radix_sort_implINS0_14default_configELb1EPK12hip_bfloat16PSL_PKlPlN2at6native12_GLOBAL__N_18offset_tEEE10hipError_tPvRmT1_PNSt15iterator_traitsISZ_E10value_typeET2_T3_PNS10_IS15_E10value_typeET4_jRbjT5_S1B_jjP12ihipStream_tbEUljE_EEESW_SX_SY_S15_S19_S1B_T6_T7_T9_mT8_S1D_bDpT10_ENKUlT_T0_E_clISt17integral_constantIbLb0EES1P_IbLb1EEEEDaS1L_S1M_EUlS1L_E_NS1_11comp_targetILNS1_3genE4ELNS1_11target_archE910ELNS1_3gpuE8ELNS1_3repE0EEENS1_30default_config_static_selectorELNS0_4arch9wavefront6targetE1EEEvSZ_
		.amdhsa_group_segment_fixed_size 13324
		.amdhsa_private_segment_fixed_size 0
		.amdhsa_kernarg_size 152
		.amdhsa_user_sgpr_count 6
		.amdhsa_user_sgpr_private_segment_buffer 1
		.amdhsa_user_sgpr_dispatch_ptr 0
		.amdhsa_user_sgpr_queue_ptr 0
		.amdhsa_user_sgpr_kernarg_segment_ptr 1
		.amdhsa_user_sgpr_dispatch_id 0
		.amdhsa_user_sgpr_flat_scratch_init 0
		.amdhsa_user_sgpr_kernarg_preload_length 0
		.amdhsa_user_sgpr_kernarg_preload_offset 0
		.amdhsa_user_sgpr_private_segment_size 0
		.amdhsa_uses_dynamic_stack 0
		.amdhsa_system_sgpr_private_segment_wavefront_offset 0
		.amdhsa_system_sgpr_workgroup_id_x 1
		.amdhsa_system_sgpr_workgroup_id_y 0
		.amdhsa_system_sgpr_workgroup_id_z 0
		.amdhsa_system_sgpr_workgroup_info 0
		.amdhsa_system_vgpr_workitem_id 0
		.amdhsa_next_free_vgpr 64
		.amdhsa_next_free_sgpr 44
		.amdhsa_accum_offset 64
		.amdhsa_reserve_vcc 1
		.amdhsa_reserve_flat_scratch 0
		.amdhsa_float_round_mode_32 0
		.amdhsa_float_round_mode_16_64 0
		.amdhsa_float_denorm_mode_32 3
		.amdhsa_float_denorm_mode_16_64 3
		.amdhsa_dx10_clamp 1
		.amdhsa_ieee_mode 1
		.amdhsa_fp16_overflow 0
		.amdhsa_tg_split 0
		.amdhsa_exception_fp_ieee_invalid_op 0
		.amdhsa_exception_fp_denorm_src 0
		.amdhsa_exception_fp_ieee_div_zero 0
		.amdhsa_exception_fp_ieee_overflow 0
		.amdhsa_exception_fp_ieee_underflow 0
		.amdhsa_exception_fp_ieee_inexact 0
		.amdhsa_exception_int_div_zero 0
	.end_amdhsa_kernel
	.section	.text._ZN7rocprim17ROCPRIM_400000_NS6detail17trampoline_kernelINS0_13select_configILj256ELj13ELNS0_17block_load_methodE3ELS4_3ELS4_3ELNS0_20block_scan_algorithmE0ELj4294967295EEENS1_25partition_config_selectorILNS1_17partition_subalgoE3EjNS0_10empty_typeEbEEZZNS1_14partition_implILS8_3ELb0ES6_jNS0_17counting_iteratorIjlEEPS9_SE_NS0_5tupleIJPjSE_EEENSF_IJSE_SE_EEES9_SG_JZNS1_25segmented_radix_sort_implINS0_14default_configELb1EPK12hip_bfloat16PSL_PKlPlN2at6native12_GLOBAL__N_18offset_tEEE10hipError_tPvRmT1_PNSt15iterator_traitsISZ_E10value_typeET2_T3_PNS10_IS15_E10value_typeET4_jRbjT5_S1B_jjP12ihipStream_tbEUljE_EEESW_SX_SY_S15_S19_S1B_T6_T7_T9_mT8_S1D_bDpT10_ENKUlT_T0_E_clISt17integral_constantIbLb0EES1P_IbLb1EEEEDaS1L_S1M_EUlS1L_E_NS1_11comp_targetILNS1_3genE4ELNS1_11target_archE910ELNS1_3gpuE8ELNS1_3repE0EEENS1_30default_config_static_selectorELNS0_4arch9wavefront6targetE1EEEvSZ_,"axG",@progbits,_ZN7rocprim17ROCPRIM_400000_NS6detail17trampoline_kernelINS0_13select_configILj256ELj13ELNS0_17block_load_methodE3ELS4_3ELS4_3ELNS0_20block_scan_algorithmE0ELj4294967295EEENS1_25partition_config_selectorILNS1_17partition_subalgoE3EjNS0_10empty_typeEbEEZZNS1_14partition_implILS8_3ELb0ES6_jNS0_17counting_iteratorIjlEEPS9_SE_NS0_5tupleIJPjSE_EEENSF_IJSE_SE_EEES9_SG_JZNS1_25segmented_radix_sort_implINS0_14default_configELb1EPK12hip_bfloat16PSL_PKlPlN2at6native12_GLOBAL__N_18offset_tEEE10hipError_tPvRmT1_PNSt15iterator_traitsISZ_E10value_typeET2_T3_PNS10_IS15_E10value_typeET4_jRbjT5_S1B_jjP12ihipStream_tbEUljE_EEESW_SX_SY_S15_S19_S1B_T6_T7_T9_mT8_S1D_bDpT10_ENKUlT_T0_E_clISt17integral_constantIbLb0EES1P_IbLb1EEEEDaS1L_S1M_EUlS1L_E_NS1_11comp_targetILNS1_3genE4ELNS1_11target_archE910ELNS1_3gpuE8ELNS1_3repE0EEENS1_30default_config_static_selectorELNS0_4arch9wavefront6targetE1EEEvSZ_,comdat
.Lfunc_end1938:
	.size	_ZN7rocprim17ROCPRIM_400000_NS6detail17trampoline_kernelINS0_13select_configILj256ELj13ELNS0_17block_load_methodE3ELS4_3ELS4_3ELNS0_20block_scan_algorithmE0ELj4294967295EEENS1_25partition_config_selectorILNS1_17partition_subalgoE3EjNS0_10empty_typeEbEEZZNS1_14partition_implILS8_3ELb0ES6_jNS0_17counting_iteratorIjlEEPS9_SE_NS0_5tupleIJPjSE_EEENSF_IJSE_SE_EEES9_SG_JZNS1_25segmented_radix_sort_implINS0_14default_configELb1EPK12hip_bfloat16PSL_PKlPlN2at6native12_GLOBAL__N_18offset_tEEE10hipError_tPvRmT1_PNSt15iterator_traitsISZ_E10value_typeET2_T3_PNS10_IS15_E10value_typeET4_jRbjT5_S1B_jjP12ihipStream_tbEUljE_EEESW_SX_SY_S15_S19_S1B_T6_T7_T9_mT8_S1D_bDpT10_ENKUlT_T0_E_clISt17integral_constantIbLb0EES1P_IbLb1EEEEDaS1L_S1M_EUlS1L_E_NS1_11comp_targetILNS1_3genE4ELNS1_11target_archE910ELNS1_3gpuE8ELNS1_3repE0EEENS1_30default_config_static_selectorELNS0_4arch9wavefront6targetE1EEEvSZ_, .Lfunc_end1938-_ZN7rocprim17ROCPRIM_400000_NS6detail17trampoline_kernelINS0_13select_configILj256ELj13ELNS0_17block_load_methodE3ELS4_3ELS4_3ELNS0_20block_scan_algorithmE0ELj4294967295EEENS1_25partition_config_selectorILNS1_17partition_subalgoE3EjNS0_10empty_typeEbEEZZNS1_14partition_implILS8_3ELb0ES6_jNS0_17counting_iteratorIjlEEPS9_SE_NS0_5tupleIJPjSE_EEENSF_IJSE_SE_EEES9_SG_JZNS1_25segmented_radix_sort_implINS0_14default_configELb1EPK12hip_bfloat16PSL_PKlPlN2at6native12_GLOBAL__N_18offset_tEEE10hipError_tPvRmT1_PNSt15iterator_traitsISZ_E10value_typeET2_T3_PNS10_IS15_E10value_typeET4_jRbjT5_S1B_jjP12ihipStream_tbEUljE_EEESW_SX_SY_S15_S19_S1B_T6_T7_T9_mT8_S1D_bDpT10_ENKUlT_T0_E_clISt17integral_constantIbLb0EES1P_IbLb1EEEEDaS1L_S1M_EUlS1L_E_NS1_11comp_targetILNS1_3genE4ELNS1_11target_archE910ELNS1_3gpuE8ELNS1_3repE0EEENS1_30default_config_static_selectorELNS0_4arch9wavefront6targetE1EEEvSZ_
                                        ; -- End function
	.section	.AMDGPU.csdata,"",@progbits
; Kernel info:
; codeLenInByte = 7816
; NumSgprs: 48
; NumVgprs: 64
; NumAgprs: 0
; TotalNumVgprs: 64
; ScratchSize: 0
; MemoryBound: 0
; FloatMode: 240
; IeeeMode: 1
; LDSByteSize: 13324 bytes/workgroup (compile time only)
; SGPRBlocks: 5
; VGPRBlocks: 7
; NumSGPRsForWavesPerEU: 48
; NumVGPRsForWavesPerEU: 64
; AccumOffset: 64
; Occupancy: 4
; WaveLimiterHint : 0
; COMPUTE_PGM_RSRC2:SCRATCH_EN: 0
; COMPUTE_PGM_RSRC2:USER_SGPR: 6
; COMPUTE_PGM_RSRC2:TRAP_HANDLER: 0
; COMPUTE_PGM_RSRC2:TGID_X_EN: 1
; COMPUTE_PGM_RSRC2:TGID_Y_EN: 0
; COMPUTE_PGM_RSRC2:TGID_Z_EN: 0
; COMPUTE_PGM_RSRC2:TIDIG_COMP_CNT: 0
; COMPUTE_PGM_RSRC3_GFX90A:ACCUM_OFFSET: 15
; COMPUTE_PGM_RSRC3_GFX90A:TG_SPLIT: 0
	.section	.text._ZN7rocprim17ROCPRIM_400000_NS6detail17trampoline_kernelINS0_13select_configILj256ELj13ELNS0_17block_load_methodE3ELS4_3ELS4_3ELNS0_20block_scan_algorithmE0ELj4294967295EEENS1_25partition_config_selectorILNS1_17partition_subalgoE3EjNS0_10empty_typeEbEEZZNS1_14partition_implILS8_3ELb0ES6_jNS0_17counting_iteratorIjlEEPS9_SE_NS0_5tupleIJPjSE_EEENSF_IJSE_SE_EEES9_SG_JZNS1_25segmented_radix_sort_implINS0_14default_configELb1EPK12hip_bfloat16PSL_PKlPlN2at6native12_GLOBAL__N_18offset_tEEE10hipError_tPvRmT1_PNSt15iterator_traitsISZ_E10value_typeET2_T3_PNS10_IS15_E10value_typeET4_jRbjT5_S1B_jjP12ihipStream_tbEUljE_EEESW_SX_SY_S15_S19_S1B_T6_T7_T9_mT8_S1D_bDpT10_ENKUlT_T0_E_clISt17integral_constantIbLb0EES1P_IbLb1EEEEDaS1L_S1M_EUlS1L_E_NS1_11comp_targetILNS1_3genE3ELNS1_11target_archE908ELNS1_3gpuE7ELNS1_3repE0EEENS1_30default_config_static_selectorELNS0_4arch9wavefront6targetE1EEEvSZ_,"axG",@progbits,_ZN7rocprim17ROCPRIM_400000_NS6detail17trampoline_kernelINS0_13select_configILj256ELj13ELNS0_17block_load_methodE3ELS4_3ELS4_3ELNS0_20block_scan_algorithmE0ELj4294967295EEENS1_25partition_config_selectorILNS1_17partition_subalgoE3EjNS0_10empty_typeEbEEZZNS1_14partition_implILS8_3ELb0ES6_jNS0_17counting_iteratorIjlEEPS9_SE_NS0_5tupleIJPjSE_EEENSF_IJSE_SE_EEES9_SG_JZNS1_25segmented_radix_sort_implINS0_14default_configELb1EPK12hip_bfloat16PSL_PKlPlN2at6native12_GLOBAL__N_18offset_tEEE10hipError_tPvRmT1_PNSt15iterator_traitsISZ_E10value_typeET2_T3_PNS10_IS15_E10value_typeET4_jRbjT5_S1B_jjP12ihipStream_tbEUljE_EEESW_SX_SY_S15_S19_S1B_T6_T7_T9_mT8_S1D_bDpT10_ENKUlT_T0_E_clISt17integral_constantIbLb0EES1P_IbLb1EEEEDaS1L_S1M_EUlS1L_E_NS1_11comp_targetILNS1_3genE3ELNS1_11target_archE908ELNS1_3gpuE7ELNS1_3repE0EEENS1_30default_config_static_selectorELNS0_4arch9wavefront6targetE1EEEvSZ_,comdat
	.globl	_ZN7rocprim17ROCPRIM_400000_NS6detail17trampoline_kernelINS0_13select_configILj256ELj13ELNS0_17block_load_methodE3ELS4_3ELS4_3ELNS0_20block_scan_algorithmE0ELj4294967295EEENS1_25partition_config_selectorILNS1_17partition_subalgoE3EjNS0_10empty_typeEbEEZZNS1_14partition_implILS8_3ELb0ES6_jNS0_17counting_iteratorIjlEEPS9_SE_NS0_5tupleIJPjSE_EEENSF_IJSE_SE_EEES9_SG_JZNS1_25segmented_radix_sort_implINS0_14default_configELb1EPK12hip_bfloat16PSL_PKlPlN2at6native12_GLOBAL__N_18offset_tEEE10hipError_tPvRmT1_PNSt15iterator_traitsISZ_E10value_typeET2_T3_PNS10_IS15_E10value_typeET4_jRbjT5_S1B_jjP12ihipStream_tbEUljE_EEESW_SX_SY_S15_S19_S1B_T6_T7_T9_mT8_S1D_bDpT10_ENKUlT_T0_E_clISt17integral_constantIbLb0EES1P_IbLb1EEEEDaS1L_S1M_EUlS1L_E_NS1_11comp_targetILNS1_3genE3ELNS1_11target_archE908ELNS1_3gpuE7ELNS1_3repE0EEENS1_30default_config_static_selectorELNS0_4arch9wavefront6targetE1EEEvSZ_ ; -- Begin function _ZN7rocprim17ROCPRIM_400000_NS6detail17trampoline_kernelINS0_13select_configILj256ELj13ELNS0_17block_load_methodE3ELS4_3ELS4_3ELNS0_20block_scan_algorithmE0ELj4294967295EEENS1_25partition_config_selectorILNS1_17partition_subalgoE3EjNS0_10empty_typeEbEEZZNS1_14partition_implILS8_3ELb0ES6_jNS0_17counting_iteratorIjlEEPS9_SE_NS0_5tupleIJPjSE_EEENSF_IJSE_SE_EEES9_SG_JZNS1_25segmented_radix_sort_implINS0_14default_configELb1EPK12hip_bfloat16PSL_PKlPlN2at6native12_GLOBAL__N_18offset_tEEE10hipError_tPvRmT1_PNSt15iterator_traitsISZ_E10value_typeET2_T3_PNS10_IS15_E10value_typeET4_jRbjT5_S1B_jjP12ihipStream_tbEUljE_EEESW_SX_SY_S15_S19_S1B_T6_T7_T9_mT8_S1D_bDpT10_ENKUlT_T0_E_clISt17integral_constantIbLb0EES1P_IbLb1EEEEDaS1L_S1M_EUlS1L_E_NS1_11comp_targetILNS1_3genE3ELNS1_11target_archE908ELNS1_3gpuE7ELNS1_3repE0EEENS1_30default_config_static_selectorELNS0_4arch9wavefront6targetE1EEEvSZ_
	.p2align	8
	.type	_ZN7rocprim17ROCPRIM_400000_NS6detail17trampoline_kernelINS0_13select_configILj256ELj13ELNS0_17block_load_methodE3ELS4_3ELS4_3ELNS0_20block_scan_algorithmE0ELj4294967295EEENS1_25partition_config_selectorILNS1_17partition_subalgoE3EjNS0_10empty_typeEbEEZZNS1_14partition_implILS8_3ELb0ES6_jNS0_17counting_iteratorIjlEEPS9_SE_NS0_5tupleIJPjSE_EEENSF_IJSE_SE_EEES9_SG_JZNS1_25segmented_radix_sort_implINS0_14default_configELb1EPK12hip_bfloat16PSL_PKlPlN2at6native12_GLOBAL__N_18offset_tEEE10hipError_tPvRmT1_PNSt15iterator_traitsISZ_E10value_typeET2_T3_PNS10_IS15_E10value_typeET4_jRbjT5_S1B_jjP12ihipStream_tbEUljE_EEESW_SX_SY_S15_S19_S1B_T6_T7_T9_mT8_S1D_bDpT10_ENKUlT_T0_E_clISt17integral_constantIbLb0EES1P_IbLb1EEEEDaS1L_S1M_EUlS1L_E_NS1_11comp_targetILNS1_3genE3ELNS1_11target_archE908ELNS1_3gpuE7ELNS1_3repE0EEENS1_30default_config_static_selectorELNS0_4arch9wavefront6targetE1EEEvSZ_,@function
_ZN7rocprim17ROCPRIM_400000_NS6detail17trampoline_kernelINS0_13select_configILj256ELj13ELNS0_17block_load_methodE3ELS4_3ELS4_3ELNS0_20block_scan_algorithmE0ELj4294967295EEENS1_25partition_config_selectorILNS1_17partition_subalgoE3EjNS0_10empty_typeEbEEZZNS1_14partition_implILS8_3ELb0ES6_jNS0_17counting_iteratorIjlEEPS9_SE_NS0_5tupleIJPjSE_EEENSF_IJSE_SE_EEES9_SG_JZNS1_25segmented_radix_sort_implINS0_14default_configELb1EPK12hip_bfloat16PSL_PKlPlN2at6native12_GLOBAL__N_18offset_tEEE10hipError_tPvRmT1_PNSt15iterator_traitsISZ_E10value_typeET2_T3_PNS10_IS15_E10value_typeET4_jRbjT5_S1B_jjP12ihipStream_tbEUljE_EEESW_SX_SY_S15_S19_S1B_T6_T7_T9_mT8_S1D_bDpT10_ENKUlT_T0_E_clISt17integral_constantIbLb0EES1P_IbLb1EEEEDaS1L_S1M_EUlS1L_E_NS1_11comp_targetILNS1_3genE3ELNS1_11target_archE908ELNS1_3gpuE7ELNS1_3repE0EEENS1_30default_config_static_selectorELNS0_4arch9wavefront6targetE1EEEvSZ_: ; @_ZN7rocprim17ROCPRIM_400000_NS6detail17trampoline_kernelINS0_13select_configILj256ELj13ELNS0_17block_load_methodE3ELS4_3ELS4_3ELNS0_20block_scan_algorithmE0ELj4294967295EEENS1_25partition_config_selectorILNS1_17partition_subalgoE3EjNS0_10empty_typeEbEEZZNS1_14partition_implILS8_3ELb0ES6_jNS0_17counting_iteratorIjlEEPS9_SE_NS0_5tupleIJPjSE_EEENSF_IJSE_SE_EEES9_SG_JZNS1_25segmented_radix_sort_implINS0_14default_configELb1EPK12hip_bfloat16PSL_PKlPlN2at6native12_GLOBAL__N_18offset_tEEE10hipError_tPvRmT1_PNSt15iterator_traitsISZ_E10value_typeET2_T3_PNS10_IS15_E10value_typeET4_jRbjT5_S1B_jjP12ihipStream_tbEUljE_EEESW_SX_SY_S15_S19_S1B_T6_T7_T9_mT8_S1D_bDpT10_ENKUlT_T0_E_clISt17integral_constantIbLb0EES1P_IbLb1EEEEDaS1L_S1M_EUlS1L_E_NS1_11comp_targetILNS1_3genE3ELNS1_11target_archE908ELNS1_3gpuE7ELNS1_3repE0EEENS1_30default_config_static_selectorELNS0_4arch9wavefront6targetE1EEEvSZ_
; %bb.0:
	.section	.rodata,"a",@progbits
	.p2align	6, 0x0
	.amdhsa_kernel _ZN7rocprim17ROCPRIM_400000_NS6detail17trampoline_kernelINS0_13select_configILj256ELj13ELNS0_17block_load_methodE3ELS4_3ELS4_3ELNS0_20block_scan_algorithmE0ELj4294967295EEENS1_25partition_config_selectorILNS1_17partition_subalgoE3EjNS0_10empty_typeEbEEZZNS1_14partition_implILS8_3ELb0ES6_jNS0_17counting_iteratorIjlEEPS9_SE_NS0_5tupleIJPjSE_EEENSF_IJSE_SE_EEES9_SG_JZNS1_25segmented_radix_sort_implINS0_14default_configELb1EPK12hip_bfloat16PSL_PKlPlN2at6native12_GLOBAL__N_18offset_tEEE10hipError_tPvRmT1_PNSt15iterator_traitsISZ_E10value_typeET2_T3_PNS10_IS15_E10value_typeET4_jRbjT5_S1B_jjP12ihipStream_tbEUljE_EEESW_SX_SY_S15_S19_S1B_T6_T7_T9_mT8_S1D_bDpT10_ENKUlT_T0_E_clISt17integral_constantIbLb0EES1P_IbLb1EEEEDaS1L_S1M_EUlS1L_E_NS1_11comp_targetILNS1_3genE3ELNS1_11target_archE908ELNS1_3gpuE7ELNS1_3repE0EEENS1_30default_config_static_selectorELNS0_4arch9wavefront6targetE1EEEvSZ_
		.amdhsa_group_segment_fixed_size 0
		.amdhsa_private_segment_fixed_size 0
		.amdhsa_kernarg_size 152
		.amdhsa_user_sgpr_count 6
		.amdhsa_user_sgpr_private_segment_buffer 1
		.amdhsa_user_sgpr_dispatch_ptr 0
		.amdhsa_user_sgpr_queue_ptr 0
		.amdhsa_user_sgpr_kernarg_segment_ptr 1
		.amdhsa_user_sgpr_dispatch_id 0
		.amdhsa_user_sgpr_flat_scratch_init 0
		.amdhsa_user_sgpr_kernarg_preload_length 0
		.amdhsa_user_sgpr_kernarg_preload_offset 0
		.amdhsa_user_sgpr_private_segment_size 0
		.amdhsa_uses_dynamic_stack 0
		.amdhsa_system_sgpr_private_segment_wavefront_offset 0
		.amdhsa_system_sgpr_workgroup_id_x 1
		.amdhsa_system_sgpr_workgroup_id_y 0
		.amdhsa_system_sgpr_workgroup_id_z 0
		.amdhsa_system_sgpr_workgroup_info 0
		.amdhsa_system_vgpr_workitem_id 0
		.amdhsa_next_free_vgpr 1
		.amdhsa_next_free_sgpr 0
		.amdhsa_accum_offset 4
		.amdhsa_reserve_vcc 0
		.amdhsa_reserve_flat_scratch 0
		.amdhsa_float_round_mode_32 0
		.amdhsa_float_round_mode_16_64 0
		.amdhsa_float_denorm_mode_32 3
		.amdhsa_float_denorm_mode_16_64 3
		.amdhsa_dx10_clamp 1
		.amdhsa_ieee_mode 1
		.amdhsa_fp16_overflow 0
		.amdhsa_tg_split 0
		.amdhsa_exception_fp_ieee_invalid_op 0
		.amdhsa_exception_fp_denorm_src 0
		.amdhsa_exception_fp_ieee_div_zero 0
		.amdhsa_exception_fp_ieee_overflow 0
		.amdhsa_exception_fp_ieee_underflow 0
		.amdhsa_exception_fp_ieee_inexact 0
		.amdhsa_exception_int_div_zero 0
	.end_amdhsa_kernel
	.section	.text._ZN7rocprim17ROCPRIM_400000_NS6detail17trampoline_kernelINS0_13select_configILj256ELj13ELNS0_17block_load_methodE3ELS4_3ELS4_3ELNS0_20block_scan_algorithmE0ELj4294967295EEENS1_25partition_config_selectorILNS1_17partition_subalgoE3EjNS0_10empty_typeEbEEZZNS1_14partition_implILS8_3ELb0ES6_jNS0_17counting_iteratorIjlEEPS9_SE_NS0_5tupleIJPjSE_EEENSF_IJSE_SE_EEES9_SG_JZNS1_25segmented_radix_sort_implINS0_14default_configELb1EPK12hip_bfloat16PSL_PKlPlN2at6native12_GLOBAL__N_18offset_tEEE10hipError_tPvRmT1_PNSt15iterator_traitsISZ_E10value_typeET2_T3_PNS10_IS15_E10value_typeET4_jRbjT5_S1B_jjP12ihipStream_tbEUljE_EEESW_SX_SY_S15_S19_S1B_T6_T7_T9_mT8_S1D_bDpT10_ENKUlT_T0_E_clISt17integral_constantIbLb0EES1P_IbLb1EEEEDaS1L_S1M_EUlS1L_E_NS1_11comp_targetILNS1_3genE3ELNS1_11target_archE908ELNS1_3gpuE7ELNS1_3repE0EEENS1_30default_config_static_selectorELNS0_4arch9wavefront6targetE1EEEvSZ_,"axG",@progbits,_ZN7rocprim17ROCPRIM_400000_NS6detail17trampoline_kernelINS0_13select_configILj256ELj13ELNS0_17block_load_methodE3ELS4_3ELS4_3ELNS0_20block_scan_algorithmE0ELj4294967295EEENS1_25partition_config_selectorILNS1_17partition_subalgoE3EjNS0_10empty_typeEbEEZZNS1_14partition_implILS8_3ELb0ES6_jNS0_17counting_iteratorIjlEEPS9_SE_NS0_5tupleIJPjSE_EEENSF_IJSE_SE_EEES9_SG_JZNS1_25segmented_radix_sort_implINS0_14default_configELb1EPK12hip_bfloat16PSL_PKlPlN2at6native12_GLOBAL__N_18offset_tEEE10hipError_tPvRmT1_PNSt15iterator_traitsISZ_E10value_typeET2_T3_PNS10_IS15_E10value_typeET4_jRbjT5_S1B_jjP12ihipStream_tbEUljE_EEESW_SX_SY_S15_S19_S1B_T6_T7_T9_mT8_S1D_bDpT10_ENKUlT_T0_E_clISt17integral_constantIbLb0EES1P_IbLb1EEEEDaS1L_S1M_EUlS1L_E_NS1_11comp_targetILNS1_3genE3ELNS1_11target_archE908ELNS1_3gpuE7ELNS1_3repE0EEENS1_30default_config_static_selectorELNS0_4arch9wavefront6targetE1EEEvSZ_,comdat
.Lfunc_end1939:
	.size	_ZN7rocprim17ROCPRIM_400000_NS6detail17trampoline_kernelINS0_13select_configILj256ELj13ELNS0_17block_load_methodE3ELS4_3ELS4_3ELNS0_20block_scan_algorithmE0ELj4294967295EEENS1_25partition_config_selectorILNS1_17partition_subalgoE3EjNS0_10empty_typeEbEEZZNS1_14partition_implILS8_3ELb0ES6_jNS0_17counting_iteratorIjlEEPS9_SE_NS0_5tupleIJPjSE_EEENSF_IJSE_SE_EEES9_SG_JZNS1_25segmented_radix_sort_implINS0_14default_configELb1EPK12hip_bfloat16PSL_PKlPlN2at6native12_GLOBAL__N_18offset_tEEE10hipError_tPvRmT1_PNSt15iterator_traitsISZ_E10value_typeET2_T3_PNS10_IS15_E10value_typeET4_jRbjT5_S1B_jjP12ihipStream_tbEUljE_EEESW_SX_SY_S15_S19_S1B_T6_T7_T9_mT8_S1D_bDpT10_ENKUlT_T0_E_clISt17integral_constantIbLb0EES1P_IbLb1EEEEDaS1L_S1M_EUlS1L_E_NS1_11comp_targetILNS1_3genE3ELNS1_11target_archE908ELNS1_3gpuE7ELNS1_3repE0EEENS1_30default_config_static_selectorELNS0_4arch9wavefront6targetE1EEEvSZ_, .Lfunc_end1939-_ZN7rocprim17ROCPRIM_400000_NS6detail17trampoline_kernelINS0_13select_configILj256ELj13ELNS0_17block_load_methodE3ELS4_3ELS4_3ELNS0_20block_scan_algorithmE0ELj4294967295EEENS1_25partition_config_selectorILNS1_17partition_subalgoE3EjNS0_10empty_typeEbEEZZNS1_14partition_implILS8_3ELb0ES6_jNS0_17counting_iteratorIjlEEPS9_SE_NS0_5tupleIJPjSE_EEENSF_IJSE_SE_EEES9_SG_JZNS1_25segmented_radix_sort_implINS0_14default_configELb1EPK12hip_bfloat16PSL_PKlPlN2at6native12_GLOBAL__N_18offset_tEEE10hipError_tPvRmT1_PNSt15iterator_traitsISZ_E10value_typeET2_T3_PNS10_IS15_E10value_typeET4_jRbjT5_S1B_jjP12ihipStream_tbEUljE_EEESW_SX_SY_S15_S19_S1B_T6_T7_T9_mT8_S1D_bDpT10_ENKUlT_T0_E_clISt17integral_constantIbLb0EES1P_IbLb1EEEEDaS1L_S1M_EUlS1L_E_NS1_11comp_targetILNS1_3genE3ELNS1_11target_archE908ELNS1_3gpuE7ELNS1_3repE0EEENS1_30default_config_static_selectorELNS0_4arch9wavefront6targetE1EEEvSZ_
                                        ; -- End function
	.section	.AMDGPU.csdata,"",@progbits
; Kernel info:
; codeLenInByte = 0
; NumSgprs: 4
; NumVgprs: 0
; NumAgprs: 0
; TotalNumVgprs: 0
; ScratchSize: 0
; MemoryBound: 0
; FloatMode: 240
; IeeeMode: 1
; LDSByteSize: 0 bytes/workgroup (compile time only)
; SGPRBlocks: 0
; VGPRBlocks: 0
; NumSGPRsForWavesPerEU: 4
; NumVGPRsForWavesPerEU: 1
; AccumOffset: 4
; Occupancy: 8
; WaveLimiterHint : 0
; COMPUTE_PGM_RSRC2:SCRATCH_EN: 0
; COMPUTE_PGM_RSRC2:USER_SGPR: 6
; COMPUTE_PGM_RSRC2:TRAP_HANDLER: 0
; COMPUTE_PGM_RSRC2:TGID_X_EN: 1
; COMPUTE_PGM_RSRC2:TGID_Y_EN: 0
; COMPUTE_PGM_RSRC2:TGID_Z_EN: 0
; COMPUTE_PGM_RSRC2:TIDIG_COMP_CNT: 0
; COMPUTE_PGM_RSRC3_GFX90A:ACCUM_OFFSET: 0
; COMPUTE_PGM_RSRC3_GFX90A:TG_SPLIT: 0
	.section	.text._ZN7rocprim17ROCPRIM_400000_NS6detail17trampoline_kernelINS0_13select_configILj256ELj13ELNS0_17block_load_methodE3ELS4_3ELS4_3ELNS0_20block_scan_algorithmE0ELj4294967295EEENS1_25partition_config_selectorILNS1_17partition_subalgoE3EjNS0_10empty_typeEbEEZZNS1_14partition_implILS8_3ELb0ES6_jNS0_17counting_iteratorIjlEEPS9_SE_NS0_5tupleIJPjSE_EEENSF_IJSE_SE_EEES9_SG_JZNS1_25segmented_radix_sort_implINS0_14default_configELb1EPK12hip_bfloat16PSL_PKlPlN2at6native12_GLOBAL__N_18offset_tEEE10hipError_tPvRmT1_PNSt15iterator_traitsISZ_E10value_typeET2_T3_PNS10_IS15_E10value_typeET4_jRbjT5_S1B_jjP12ihipStream_tbEUljE_EEESW_SX_SY_S15_S19_S1B_T6_T7_T9_mT8_S1D_bDpT10_ENKUlT_T0_E_clISt17integral_constantIbLb0EES1P_IbLb1EEEEDaS1L_S1M_EUlS1L_E_NS1_11comp_targetILNS1_3genE2ELNS1_11target_archE906ELNS1_3gpuE6ELNS1_3repE0EEENS1_30default_config_static_selectorELNS0_4arch9wavefront6targetE1EEEvSZ_,"axG",@progbits,_ZN7rocprim17ROCPRIM_400000_NS6detail17trampoline_kernelINS0_13select_configILj256ELj13ELNS0_17block_load_methodE3ELS4_3ELS4_3ELNS0_20block_scan_algorithmE0ELj4294967295EEENS1_25partition_config_selectorILNS1_17partition_subalgoE3EjNS0_10empty_typeEbEEZZNS1_14partition_implILS8_3ELb0ES6_jNS0_17counting_iteratorIjlEEPS9_SE_NS0_5tupleIJPjSE_EEENSF_IJSE_SE_EEES9_SG_JZNS1_25segmented_radix_sort_implINS0_14default_configELb1EPK12hip_bfloat16PSL_PKlPlN2at6native12_GLOBAL__N_18offset_tEEE10hipError_tPvRmT1_PNSt15iterator_traitsISZ_E10value_typeET2_T3_PNS10_IS15_E10value_typeET4_jRbjT5_S1B_jjP12ihipStream_tbEUljE_EEESW_SX_SY_S15_S19_S1B_T6_T7_T9_mT8_S1D_bDpT10_ENKUlT_T0_E_clISt17integral_constantIbLb0EES1P_IbLb1EEEEDaS1L_S1M_EUlS1L_E_NS1_11comp_targetILNS1_3genE2ELNS1_11target_archE906ELNS1_3gpuE6ELNS1_3repE0EEENS1_30default_config_static_selectorELNS0_4arch9wavefront6targetE1EEEvSZ_,comdat
	.globl	_ZN7rocprim17ROCPRIM_400000_NS6detail17trampoline_kernelINS0_13select_configILj256ELj13ELNS0_17block_load_methodE3ELS4_3ELS4_3ELNS0_20block_scan_algorithmE0ELj4294967295EEENS1_25partition_config_selectorILNS1_17partition_subalgoE3EjNS0_10empty_typeEbEEZZNS1_14partition_implILS8_3ELb0ES6_jNS0_17counting_iteratorIjlEEPS9_SE_NS0_5tupleIJPjSE_EEENSF_IJSE_SE_EEES9_SG_JZNS1_25segmented_radix_sort_implINS0_14default_configELb1EPK12hip_bfloat16PSL_PKlPlN2at6native12_GLOBAL__N_18offset_tEEE10hipError_tPvRmT1_PNSt15iterator_traitsISZ_E10value_typeET2_T3_PNS10_IS15_E10value_typeET4_jRbjT5_S1B_jjP12ihipStream_tbEUljE_EEESW_SX_SY_S15_S19_S1B_T6_T7_T9_mT8_S1D_bDpT10_ENKUlT_T0_E_clISt17integral_constantIbLb0EES1P_IbLb1EEEEDaS1L_S1M_EUlS1L_E_NS1_11comp_targetILNS1_3genE2ELNS1_11target_archE906ELNS1_3gpuE6ELNS1_3repE0EEENS1_30default_config_static_selectorELNS0_4arch9wavefront6targetE1EEEvSZ_ ; -- Begin function _ZN7rocprim17ROCPRIM_400000_NS6detail17trampoline_kernelINS0_13select_configILj256ELj13ELNS0_17block_load_methodE3ELS4_3ELS4_3ELNS0_20block_scan_algorithmE0ELj4294967295EEENS1_25partition_config_selectorILNS1_17partition_subalgoE3EjNS0_10empty_typeEbEEZZNS1_14partition_implILS8_3ELb0ES6_jNS0_17counting_iteratorIjlEEPS9_SE_NS0_5tupleIJPjSE_EEENSF_IJSE_SE_EEES9_SG_JZNS1_25segmented_radix_sort_implINS0_14default_configELb1EPK12hip_bfloat16PSL_PKlPlN2at6native12_GLOBAL__N_18offset_tEEE10hipError_tPvRmT1_PNSt15iterator_traitsISZ_E10value_typeET2_T3_PNS10_IS15_E10value_typeET4_jRbjT5_S1B_jjP12ihipStream_tbEUljE_EEESW_SX_SY_S15_S19_S1B_T6_T7_T9_mT8_S1D_bDpT10_ENKUlT_T0_E_clISt17integral_constantIbLb0EES1P_IbLb1EEEEDaS1L_S1M_EUlS1L_E_NS1_11comp_targetILNS1_3genE2ELNS1_11target_archE906ELNS1_3gpuE6ELNS1_3repE0EEENS1_30default_config_static_selectorELNS0_4arch9wavefront6targetE1EEEvSZ_
	.p2align	8
	.type	_ZN7rocprim17ROCPRIM_400000_NS6detail17trampoline_kernelINS0_13select_configILj256ELj13ELNS0_17block_load_methodE3ELS4_3ELS4_3ELNS0_20block_scan_algorithmE0ELj4294967295EEENS1_25partition_config_selectorILNS1_17partition_subalgoE3EjNS0_10empty_typeEbEEZZNS1_14partition_implILS8_3ELb0ES6_jNS0_17counting_iteratorIjlEEPS9_SE_NS0_5tupleIJPjSE_EEENSF_IJSE_SE_EEES9_SG_JZNS1_25segmented_radix_sort_implINS0_14default_configELb1EPK12hip_bfloat16PSL_PKlPlN2at6native12_GLOBAL__N_18offset_tEEE10hipError_tPvRmT1_PNSt15iterator_traitsISZ_E10value_typeET2_T3_PNS10_IS15_E10value_typeET4_jRbjT5_S1B_jjP12ihipStream_tbEUljE_EEESW_SX_SY_S15_S19_S1B_T6_T7_T9_mT8_S1D_bDpT10_ENKUlT_T0_E_clISt17integral_constantIbLb0EES1P_IbLb1EEEEDaS1L_S1M_EUlS1L_E_NS1_11comp_targetILNS1_3genE2ELNS1_11target_archE906ELNS1_3gpuE6ELNS1_3repE0EEENS1_30default_config_static_selectorELNS0_4arch9wavefront6targetE1EEEvSZ_,@function
_ZN7rocprim17ROCPRIM_400000_NS6detail17trampoline_kernelINS0_13select_configILj256ELj13ELNS0_17block_load_methodE3ELS4_3ELS4_3ELNS0_20block_scan_algorithmE0ELj4294967295EEENS1_25partition_config_selectorILNS1_17partition_subalgoE3EjNS0_10empty_typeEbEEZZNS1_14partition_implILS8_3ELb0ES6_jNS0_17counting_iteratorIjlEEPS9_SE_NS0_5tupleIJPjSE_EEENSF_IJSE_SE_EEES9_SG_JZNS1_25segmented_radix_sort_implINS0_14default_configELb1EPK12hip_bfloat16PSL_PKlPlN2at6native12_GLOBAL__N_18offset_tEEE10hipError_tPvRmT1_PNSt15iterator_traitsISZ_E10value_typeET2_T3_PNS10_IS15_E10value_typeET4_jRbjT5_S1B_jjP12ihipStream_tbEUljE_EEESW_SX_SY_S15_S19_S1B_T6_T7_T9_mT8_S1D_bDpT10_ENKUlT_T0_E_clISt17integral_constantIbLb0EES1P_IbLb1EEEEDaS1L_S1M_EUlS1L_E_NS1_11comp_targetILNS1_3genE2ELNS1_11target_archE906ELNS1_3gpuE6ELNS1_3repE0EEENS1_30default_config_static_selectorELNS0_4arch9wavefront6targetE1EEEvSZ_: ; @_ZN7rocprim17ROCPRIM_400000_NS6detail17trampoline_kernelINS0_13select_configILj256ELj13ELNS0_17block_load_methodE3ELS4_3ELS4_3ELNS0_20block_scan_algorithmE0ELj4294967295EEENS1_25partition_config_selectorILNS1_17partition_subalgoE3EjNS0_10empty_typeEbEEZZNS1_14partition_implILS8_3ELb0ES6_jNS0_17counting_iteratorIjlEEPS9_SE_NS0_5tupleIJPjSE_EEENSF_IJSE_SE_EEES9_SG_JZNS1_25segmented_radix_sort_implINS0_14default_configELb1EPK12hip_bfloat16PSL_PKlPlN2at6native12_GLOBAL__N_18offset_tEEE10hipError_tPvRmT1_PNSt15iterator_traitsISZ_E10value_typeET2_T3_PNS10_IS15_E10value_typeET4_jRbjT5_S1B_jjP12ihipStream_tbEUljE_EEESW_SX_SY_S15_S19_S1B_T6_T7_T9_mT8_S1D_bDpT10_ENKUlT_T0_E_clISt17integral_constantIbLb0EES1P_IbLb1EEEEDaS1L_S1M_EUlS1L_E_NS1_11comp_targetILNS1_3genE2ELNS1_11target_archE906ELNS1_3gpuE6ELNS1_3repE0EEENS1_30default_config_static_selectorELNS0_4arch9wavefront6targetE1EEEvSZ_
; %bb.0:
	.section	.rodata,"a",@progbits
	.p2align	6, 0x0
	.amdhsa_kernel _ZN7rocprim17ROCPRIM_400000_NS6detail17trampoline_kernelINS0_13select_configILj256ELj13ELNS0_17block_load_methodE3ELS4_3ELS4_3ELNS0_20block_scan_algorithmE0ELj4294967295EEENS1_25partition_config_selectorILNS1_17partition_subalgoE3EjNS0_10empty_typeEbEEZZNS1_14partition_implILS8_3ELb0ES6_jNS0_17counting_iteratorIjlEEPS9_SE_NS0_5tupleIJPjSE_EEENSF_IJSE_SE_EEES9_SG_JZNS1_25segmented_radix_sort_implINS0_14default_configELb1EPK12hip_bfloat16PSL_PKlPlN2at6native12_GLOBAL__N_18offset_tEEE10hipError_tPvRmT1_PNSt15iterator_traitsISZ_E10value_typeET2_T3_PNS10_IS15_E10value_typeET4_jRbjT5_S1B_jjP12ihipStream_tbEUljE_EEESW_SX_SY_S15_S19_S1B_T6_T7_T9_mT8_S1D_bDpT10_ENKUlT_T0_E_clISt17integral_constantIbLb0EES1P_IbLb1EEEEDaS1L_S1M_EUlS1L_E_NS1_11comp_targetILNS1_3genE2ELNS1_11target_archE906ELNS1_3gpuE6ELNS1_3repE0EEENS1_30default_config_static_selectorELNS0_4arch9wavefront6targetE1EEEvSZ_
		.amdhsa_group_segment_fixed_size 0
		.amdhsa_private_segment_fixed_size 0
		.amdhsa_kernarg_size 152
		.amdhsa_user_sgpr_count 6
		.amdhsa_user_sgpr_private_segment_buffer 1
		.amdhsa_user_sgpr_dispatch_ptr 0
		.amdhsa_user_sgpr_queue_ptr 0
		.amdhsa_user_sgpr_kernarg_segment_ptr 1
		.amdhsa_user_sgpr_dispatch_id 0
		.amdhsa_user_sgpr_flat_scratch_init 0
		.amdhsa_user_sgpr_kernarg_preload_length 0
		.amdhsa_user_sgpr_kernarg_preload_offset 0
		.amdhsa_user_sgpr_private_segment_size 0
		.amdhsa_uses_dynamic_stack 0
		.amdhsa_system_sgpr_private_segment_wavefront_offset 0
		.amdhsa_system_sgpr_workgroup_id_x 1
		.amdhsa_system_sgpr_workgroup_id_y 0
		.amdhsa_system_sgpr_workgroup_id_z 0
		.amdhsa_system_sgpr_workgroup_info 0
		.amdhsa_system_vgpr_workitem_id 0
		.amdhsa_next_free_vgpr 1
		.amdhsa_next_free_sgpr 0
		.amdhsa_accum_offset 4
		.amdhsa_reserve_vcc 0
		.amdhsa_reserve_flat_scratch 0
		.amdhsa_float_round_mode_32 0
		.amdhsa_float_round_mode_16_64 0
		.amdhsa_float_denorm_mode_32 3
		.amdhsa_float_denorm_mode_16_64 3
		.amdhsa_dx10_clamp 1
		.amdhsa_ieee_mode 1
		.amdhsa_fp16_overflow 0
		.amdhsa_tg_split 0
		.amdhsa_exception_fp_ieee_invalid_op 0
		.amdhsa_exception_fp_denorm_src 0
		.amdhsa_exception_fp_ieee_div_zero 0
		.amdhsa_exception_fp_ieee_overflow 0
		.amdhsa_exception_fp_ieee_underflow 0
		.amdhsa_exception_fp_ieee_inexact 0
		.amdhsa_exception_int_div_zero 0
	.end_amdhsa_kernel
	.section	.text._ZN7rocprim17ROCPRIM_400000_NS6detail17trampoline_kernelINS0_13select_configILj256ELj13ELNS0_17block_load_methodE3ELS4_3ELS4_3ELNS0_20block_scan_algorithmE0ELj4294967295EEENS1_25partition_config_selectorILNS1_17partition_subalgoE3EjNS0_10empty_typeEbEEZZNS1_14partition_implILS8_3ELb0ES6_jNS0_17counting_iteratorIjlEEPS9_SE_NS0_5tupleIJPjSE_EEENSF_IJSE_SE_EEES9_SG_JZNS1_25segmented_radix_sort_implINS0_14default_configELb1EPK12hip_bfloat16PSL_PKlPlN2at6native12_GLOBAL__N_18offset_tEEE10hipError_tPvRmT1_PNSt15iterator_traitsISZ_E10value_typeET2_T3_PNS10_IS15_E10value_typeET4_jRbjT5_S1B_jjP12ihipStream_tbEUljE_EEESW_SX_SY_S15_S19_S1B_T6_T7_T9_mT8_S1D_bDpT10_ENKUlT_T0_E_clISt17integral_constantIbLb0EES1P_IbLb1EEEEDaS1L_S1M_EUlS1L_E_NS1_11comp_targetILNS1_3genE2ELNS1_11target_archE906ELNS1_3gpuE6ELNS1_3repE0EEENS1_30default_config_static_selectorELNS0_4arch9wavefront6targetE1EEEvSZ_,"axG",@progbits,_ZN7rocprim17ROCPRIM_400000_NS6detail17trampoline_kernelINS0_13select_configILj256ELj13ELNS0_17block_load_methodE3ELS4_3ELS4_3ELNS0_20block_scan_algorithmE0ELj4294967295EEENS1_25partition_config_selectorILNS1_17partition_subalgoE3EjNS0_10empty_typeEbEEZZNS1_14partition_implILS8_3ELb0ES6_jNS0_17counting_iteratorIjlEEPS9_SE_NS0_5tupleIJPjSE_EEENSF_IJSE_SE_EEES9_SG_JZNS1_25segmented_radix_sort_implINS0_14default_configELb1EPK12hip_bfloat16PSL_PKlPlN2at6native12_GLOBAL__N_18offset_tEEE10hipError_tPvRmT1_PNSt15iterator_traitsISZ_E10value_typeET2_T3_PNS10_IS15_E10value_typeET4_jRbjT5_S1B_jjP12ihipStream_tbEUljE_EEESW_SX_SY_S15_S19_S1B_T6_T7_T9_mT8_S1D_bDpT10_ENKUlT_T0_E_clISt17integral_constantIbLb0EES1P_IbLb1EEEEDaS1L_S1M_EUlS1L_E_NS1_11comp_targetILNS1_3genE2ELNS1_11target_archE906ELNS1_3gpuE6ELNS1_3repE0EEENS1_30default_config_static_selectorELNS0_4arch9wavefront6targetE1EEEvSZ_,comdat
.Lfunc_end1940:
	.size	_ZN7rocprim17ROCPRIM_400000_NS6detail17trampoline_kernelINS0_13select_configILj256ELj13ELNS0_17block_load_methodE3ELS4_3ELS4_3ELNS0_20block_scan_algorithmE0ELj4294967295EEENS1_25partition_config_selectorILNS1_17partition_subalgoE3EjNS0_10empty_typeEbEEZZNS1_14partition_implILS8_3ELb0ES6_jNS0_17counting_iteratorIjlEEPS9_SE_NS0_5tupleIJPjSE_EEENSF_IJSE_SE_EEES9_SG_JZNS1_25segmented_radix_sort_implINS0_14default_configELb1EPK12hip_bfloat16PSL_PKlPlN2at6native12_GLOBAL__N_18offset_tEEE10hipError_tPvRmT1_PNSt15iterator_traitsISZ_E10value_typeET2_T3_PNS10_IS15_E10value_typeET4_jRbjT5_S1B_jjP12ihipStream_tbEUljE_EEESW_SX_SY_S15_S19_S1B_T6_T7_T9_mT8_S1D_bDpT10_ENKUlT_T0_E_clISt17integral_constantIbLb0EES1P_IbLb1EEEEDaS1L_S1M_EUlS1L_E_NS1_11comp_targetILNS1_3genE2ELNS1_11target_archE906ELNS1_3gpuE6ELNS1_3repE0EEENS1_30default_config_static_selectorELNS0_4arch9wavefront6targetE1EEEvSZ_, .Lfunc_end1940-_ZN7rocprim17ROCPRIM_400000_NS6detail17trampoline_kernelINS0_13select_configILj256ELj13ELNS0_17block_load_methodE3ELS4_3ELS4_3ELNS0_20block_scan_algorithmE0ELj4294967295EEENS1_25partition_config_selectorILNS1_17partition_subalgoE3EjNS0_10empty_typeEbEEZZNS1_14partition_implILS8_3ELb0ES6_jNS0_17counting_iteratorIjlEEPS9_SE_NS0_5tupleIJPjSE_EEENSF_IJSE_SE_EEES9_SG_JZNS1_25segmented_radix_sort_implINS0_14default_configELb1EPK12hip_bfloat16PSL_PKlPlN2at6native12_GLOBAL__N_18offset_tEEE10hipError_tPvRmT1_PNSt15iterator_traitsISZ_E10value_typeET2_T3_PNS10_IS15_E10value_typeET4_jRbjT5_S1B_jjP12ihipStream_tbEUljE_EEESW_SX_SY_S15_S19_S1B_T6_T7_T9_mT8_S1D_bDpT10_ENKUlT_T0_E_clISt17integral_constantIbLb0EES1P_IbLb1EEEEDaS1L_S1M_EUlS1L_E_NS1_11comp_targetILNS1_3genE2ELNS1_11target_archE906ELNS1_3gpuE6ELNS1_3repE0EEENS1_30default_config_static_selectorELNS0_4arch9wavefront6targetE1EEEvSZ_
                                        ; -- End function
	.section	.AMDGPU.csdata,"",@progbits
; Kernel info:
; codeLenInByte = 0
; NumSgprs: 4
; NumVgprs: 0
; NumAgprs: 0
; TotalNumVgprs: 0
; ScratchSize: 0
; MemoryBound: 0
; FloatMode: 240
; IeeeMode: 1
; LDSByteSize: 0 bytes/workgroup (compile time only)
; SGPRBlocks: 0
; VGPRBlocks: 0
; NumSGPRsForWavesPerEU: 4
; NumVGPRsForWavesPerEU: 1
; AccumOffset: 4
; Occupancy: 8
; WaveLimiterHint : 0
; COMPUTE_PGM_RSRC2:SCRATCH_EN: 0
; COMPUTE_PGM_RSRC2:USER_SGPR: 6
; COMPUTE_PGM_RSRC2:TRAP_HANDLER: 0
; COMPUTE_PGM_RSRC2:TGID_X_EN: 1
; COMPUTE_PGM_RSRC2:TGID_Y_EN: 0
; COMPUTE_PGM_RSRC2:TGID_Z_EN: 0
; COMPUTE_PGM_RSRC2:TIDIG_COMP_CNT: 0
; COMPUTE_PGM_RSRC3_GFX90A:ACCUM_OFFSET: 0
; COMPUTE_PGM_RSRC3_GFX90A:TG_SPLIT: 0
	.section	.text._ZN7rocprim17ROCPRIM_400000_NS6detail17trampoline_kernelINS0_13select_configILj256ELj13ELNS0_17block_load_methodE3ELS4_3ELS4_3ELNS0_20block_scan_algorithmE0ELj4294967295EEENS1_25partition_config_selectorILNS1_17partition_subalgoE3EjNS0_10empty_typeEbEEZZNS1_14partition_implILS8_3ELb0ES6_jNS0_17counting_iteratorIjlEEPS9_SE_NS0_5tupleIJPjSE_EEENSF_IJSE_SE_EEES9_SG_JZNS1_25segmented_radix_sort_implINS0_14default_configELb1EPK12hip_bfloat16PSL_PKlPlN2at6native12_GLOBAL__N_18offset_tEEE10hipError_tPvRmT1_PNSt15iterator_traitsISZ_E10value_typeET2_T3_PNS10_IS15_E10value_typeET4_jRbjT5_S1B_jjP12ihipStream_tbEUljE_EEESW_SX_SY_S15_S19_S1B_T6_T7_T9_mT8_S1D_bDpT10_ENKUlT_T0_E_clISt17integral_constantIbLb0EES1P_IbLb1EEEEDaS1L_S1M_EUlS1L_E_NS1_11comp_targetILNS1_3genE10ELNS1_11target_archE1200ELNS1_3gpuE4ELNS1_3repE0EEENS1_30default_config_static_selectorELNS0_4arch9wavefront6targetE1EEEvSZ_,"axG",@progbits,_ZN7rocprim17ROCPRIM_400000_NS6detail17trampoline_kernelINS0_13select_configILj256ELj13ELNS0_17block_load_methodE3ELS4_3ELS4_3ELNS0_20block_scan_algorithmE0ELj4294967295EEENS1_25partition_config_selectorILNS1_17partition_subalgoE3EjNS0_10empty_typeEbEEZZNS1_14partition_implILS8_3ELb0ES6_jNS0_17counting_iteratorIjlEEPS9_SE_NS0_5tupleIJPjSE_EEENSF_IJSE_SE_EEES9_SG_JZNS1_25segmented_radix_sort_implINS0_14default_configELb1EPK12hip_bfloat16PSL_PKlPlN2at6native12_GLOBAL__N_18offset_tEEE10hipError_tPvRmT1_PNSt15iterator_traitsISZ_E10value_typeET2_T3_PNS10_IS15_E10value_typeET4_jRbjT5_S1B_jjP12ihipStream_tbEUljE_EEESW_SX_SY_S15_S19_S1B_T6_T7_T9_mT8_S1D_bDpT10_ENKUlT_T0_E_clISt17integral_constantIbLb0EES1P_IbLb1EEEEDaS1L_S1M_EUlS1L_E_NS1_11comp_targetILNS1_3genE10ELNS1_11target_archE1200ELNS1_3gpuE4ELNS1_3repE0EEENS1_30default_config_static_selectorELNS0_4arch9wavefront6targetE1EEEvSZ_,comdat
	.globl	_ZN7rocprim17ROCPRIM_400000_NS6detail17trampoline_kernelINS0_13select_configILj256ELj13ELNS0_17block_load_methodE3ELS4_3ELS4_3ELNS0_20block_scan_algorithmE0ELj4294967295EEENS1_25partition_config_selectorILNS1_17partition_subalgoE3EjNS0_10empty_typeEbEEZZNS1_14partition_implILS8_3ELb0ES6_jNS0_17counting_iteratorIjlEEPS9_SE_NS0_5tupleIJPjSE_EEENSF_IJSE_SE_EEES9_SG_JZNS1_25segmented_radix_sort_implINS0_14default_configELb1EPK12hip_bfloat16PSL_PKlPlN2at6native12_GLOBAL__N_18offset_tEEE10hipError_tPvRmT1_PNSt15iterator_traitsISZ_E10value_typeET2_T3_PNS10_IS15_E10value_typeET4_jRbjT5_S1B_jjP12ihipStream_tbEUljE_EEESW_SX_SY_S15_S19_S1B_T6_T7_T9_mT8_S1D_bDpT10_ENKUlT_T0_E_clISt17integral_constantIbLb0EES1P_IbLb1EEEEDaS1L_S1M_EUlS1L_E_NS1_11comp_targetILNS1_3genE10ELNS1_11target_archE1200ELNS1_3gpuE4ELNS1_3repE0EEENS1_30default_config_static_selectorELNS0_4arch9wavefront6targetE1EEEvSZ_ ; -- Begin function _ZN7rocprim17ROCPRIM_400000_NS6detail17trampoline_kernelINS0_13select_configILj256ELj13ELNS0_17block_load_methodE3ELS4_3ELS4_3ELNS0_20block_scan_algorithmE0ELj4294967295EEENS1_25partition_config_selectorILNS1_17partition_subalgoE3EjNS0_10empty_typeEbEEZZNS1_14partition_implILS8_3ELb0ES6_jNS0_17counting_iteratorIjlEEPS9_SE_NS0_5tupleIJPjSE_EEENSF_IJSE_SE_EEES9_SG_JZNS1_25segmented_radix_sort_implINS0_14default_configELb1EPK12hip_bfloat16PSL_PKlPlN2at6native12_GLOBAL__N_18offset_tEEE10hipError_tPvRmT1_PNSt15iterator_traitsISZ_E10value_typeET2_T3_PNS10_IS15_E10value_typeET4_jRbjT5_S1B_jjP12ihipStream_tbEUljE_EEESW_SX_SY_S15_S19_S1B_T6_T7_T9_mT8_S1D_bDpT10_ENKUlT_T0_E_clISt17integral_constantIbLb0EES1P_IbLb1EEEEDaS1L_S1M_EUlS1L_E_NS1_11comp_targetILNS1_3genE10ELNS1_11target_archE1200ELNS1_3gpuE4ELNS1_3repE0EEENS1_30default_config_static_selectorELNS0_4arch9wavefront6targetE1EEEvSZ_
	.p2align	8
	.type	_ZN7rocprim17ROCPRIM_400000_NS6detail17trampoline_kernelINS0_13select_configILj256ELj13ELNS0_17block_load_methodE3ELS4_3ELS4_3ELNS0_20block_scan_algorithmE0ELj4294967295EEENS1_25partition_config_selectorILNS1_17partition_subalgoE3EjNS0_10empty_typeEbEEZZNS1_14partition_implILS8_3ELb0ES6_jNS0_17counting_iteratorIjlEEPS9_SE_NS0_5tupleIJPjSE_EEENSF_IJSE_SE_EEES9_SG_JZNS1_25segmented_radix_sort_implINS0_14default_configELb1EPK12hip_bfloat16PSL_PKlPlN2at6native12_GLOBAL__N_18offset_tEEE10hipError_tPvRmT1_PNSt15iterator_traitsISZ_E10value_typeET2_T3_PNS10_IS15_E10value_typeET4_jRbjT5_S1B_jjP12ihipStream_tbEUljE_EEESW_SX_SY_S15_S19_S1B_T6_T7_T9_mT8_S1D_bDpT10_ENKUlT_T0_E_clISt17integral_constantIbLb0EES1P_IbLb1EEEEDaS1L_S1M_EUlS1L_E_NS1_11comp_targetILNS1_3genE10ELNS1_11target_archE1200ELNS1_3gpuE4ELNS1_3repE0EEENS1_30default_config_static_selectorELNS0_4arch9wavefront6targetE1EEEvSZ_,@function
_ZN7rocprim17ROCPRIM_400000_NS6detail17trampoline_kernelINS0_13select_configILj256ELj13ELNS0_17block_load_methodE3ELS4_3ELS4_3ELNS0_20block_scan_algorithmE0ELj4294967295EEENS1_25partition_config_selectorILNS1_17partition_subalgoE3EjNS0_10empty_typeEbEEZZNS1_14partition_implILS8_3ELb0ES6_jNS0_17counting_iteratorIjlEEPS9_SE_NS0_5tupleIJPjSE_EEENSF_IJSE_SE_EEES9_SG_JZNS1_25segmented_radix_sort_implINS0_14default_configELb1EPK12hip_bfloat16PSL_PKlPlN2at6native12_GLOBAL__N_18offset_tEEE10hipError_tPvRmT1_PNSt15iterator_traitsISZ_E10value_typeET2_T3_PNS10_IS15_E10value_typeET4_jRbjT5_S1B_jjP12ihipStream_tbEUljE_EEESW_SX_SY_S15_S19_S1B_T6_T7_T9_mT8_S1D_bDpT10_ENKUlT_T0_E_clISt17integral_constantIbLb0EES1P_IbLb1EEEEDaS1L_S1M_EUlS1L_E_NS1_11comp_targetILNS1_3genE10ELNS1_11target_archE1200ELNS1_3gpuE4ELNS1_3repE0EEENS1_30default_config_static_selectorELNS0_4arch9wavefront6targetE1EEEvSZ_: ; @_ZN7rocprim17ROCPRIM_400000_NS6detail17trampoline_kernelINS0_13select_configILj256ELj13ELNS0_17block_load_methodE3ELS4_3ELS4_3ELNS0_20block_scan_algorithmE0ELj4294967295EEENS1_25partition_config_selectorILNS1_17partition_subalgoE3EjNS0_10empty_typeEbEEZZNS1_14partition_implILS8_3ELb0ES6_jNS0_17counting_iteratorIjlEEPS9_SE_NS0_5tupleIJPjSE_EEENSF_IJSE_SE_EEES9_SG_JZNS1_25segmented_radix_sort_implINS0_14default_configELb1EPK12hip_bfloat16PSL_PKlPlN2at6native12_GLOBAL__N_18offset_tEEE10hipError_tPvRmT1_PNSt15iterator_traitsISZ_E10value_typeET2_T3_PNS10_IS15_E10value_typeET4_jRbjT5_S1B_jjP12ihipStream_tbEUljE_EEESW_SX_SY_S15_S19_S1B_T6_T7_T9_mT8_S1D_bDpT10_ENKUlT_T0_E_clISt17integral_constantIbLb0EES1P_IbLb1EEEEDaS1L_S1M_EUlS1L_E_NS1_11comp_targetILNS1_3genE10ELNS1_11target_archE1200ELNS1_3gpuE4ELNS1_3repE0EEENS1_30default_config_static_selectorELNS0_4arch9wavefront6targetE1EEEvSZ_
; %bb.0:
	.section	.rodata,"a",@progbits
	.p2align	6, 0x0
	.amdhsa_kernel _ZN7rocprim17ROCPRIM_400000_NS6detail17trampoline_kernelINS0_13select_configILj256ELj13ELNS0_17block_load_methodE3ELS4_3ELS4_3ELNS0_20block_scan_algorithmE0ELj4294967295EEENS1_25partition_config_selectorILNS1_17partition_subalgoE3EjNS0_10empty_typeEbEEZZNS1_14partition_implILS8_3ELb0ES6_jNS0_17counting_iteratorIjlEEPS9_SE_NS0_5tupleIJPjSE_EEENSF_IJSE_SE_EEES9_SG_JZNS1_25segmented_radix_sort_implINS0_14default_configELb1EPK12hip_bfloat16PSL_PKlPlN2at6native12_GLOBAL__N_18offset_tEEE10hipError_tPvRmT1_PNSt15iterator_traitsISZ_E10value_typeET2_T3_PNS10_IS15_E10value_typeET4_jRbjT5_S1B_jjP12ihipStream_tbEUljE_EEESW_SX_SY_S15_S19_S1B_T6_T7_T9_mT8_S1D_bDpT10_ENKUlT_T0_E_clISt17integral_constantIbLb0EES1P_IbLb1EEEEDaS1L_S1M_EUlS1L_E_NS1_11comp_targetILNS1_3genE10ELNS1_11target_archE1200ELNS1_3gpuE4ELNS1_3repE0EEENS1_30default_config_static_selectorELNS0_4arch9wavefront6targetE1EEEvSZ_
		.amdhsa_group_segment_fixed_size 0
		.amdhsa_private_segment_fixed_size 0
		.amdhsa_kernarg_size 152
		.amdhsa_user_sgpr_count 6
		.amdhsa_user_sgpr_private_segment_buffer 1
		.amdhsa_user_sgpr_dispatch_ptr 0
		.amdhsa_user_sgpr_queue_ptr 0
		.amdhsa_user_sgpr_kernarg_segment_ptr 1
		.amdhsa_user_sgpr_dispatch_id 0
		.amdhsa_user_sgpr_flat_scratch_init 0
		.amdhsa_user_sgpr_kernarg_preload_length 0
		.amdhsa_user_sgpr_kernarg_preload_offset 0
		.amdhsa_user_sgpr_private_segment_size 0
		.amdhsa_uses_dynamic_stack 0
		.amdhsa_system_sgpr_private_segment_wavefront_offset 0
		.amdhsa_system_sgpr_workgroup_id_x 1
		.amdhsa_system_sgpr_workgroup_id_y 0
		.amdhsa_system_sgpr_workgroup_id_z 0
		.amdhsa_system_sgpr_workgroup_info 0
		.amdhsa_system_vgpr_workitem_id 0
		.amdhsa_next_free_vgpr 1
		.amdhsa_next_free_sgpr 0
		.amdhsa_accum_offset 4
		.amdhsa_reserve_vcc 0
		.amdhsa_reserve_flat_scratch 0
		.amdhsa_float_round_mode_32 0
		.amdhsa_float_round_mode_16_64 0
		.amdhsa_float_denorm_mode_32 3
		.amdhsa_float_denorm_mode_16_64 3
		.amdhsa_dx10_clamp 1
		.amdhsa_ieee_mode 1
		.amdhsa_fp16_overflow 0
		.amdhsa_tg_split 0
		.amdhsa_exception_fp_ieee_invalid_op 0
		.amdhsa_exception_fp_denorm_src 0
		.amdhsa_exception_fp_ieee_div_zero 0
		.amdhsa_exception_fp_ieee_overflow 0
		.amdhsa_exception_fp_ieee_underflow 0
		.amdhsa_exception_fp_ieee_inexact 0
		.amdhsa_exception_int_div_zero 0
	.end_amdhsa_kernel
	.section	.text._ZN7rocprim17ROCPRIM_400000_NS6detail17trampoline_kernelINS0_13select_configILj256ELj13ELNS0_17block_load_methodE3ELS4_3ELS4_3ELNS0_20block_scan_algorithmE0ELj4294967295EEENS1_25partition_config_selectorILNS1_17partition_subalgoE3EjNS0_10empty_typeEbEEZZNS1_14partition_implILS8_3ELb0ES6_jNS0_17counting_iteratorIjlEEPS9_SE_NS0_5tupleIJPjSE_EEENSF_IJSE_SE_EEES9_SG_JZNS1_25segmented_radix_sort_implINS0_14default_configELb1EPK12hip_bfloat16PSL_PKlPlN2at6native12_GLOBAL__N_18offset_tEEE10hipError_tPvRmT1_PNSt15iterator_traitsISZ_E10value_typeET2_T3_PNS10_IS15_E10value_typeET4_jRbjT5_S1B_jjP12ihipStream_tbEUljE_EEESW_SX_SY_S15_S19_S1B_T6_T7_T9_mT8_S1D_bDpT10_ENKUlT_T0_E_clISt17integral_constantIbLb0EES1P_IbLb1EEEEDaS1L_S1M_EUlS1L_E_NS1_11comp_targetILNS1_3genE10ELNS1_11target_archE1200ELNS1_3gpuE4ELNS1_3repE0EEENS1_30default_config_static_selectorELNS0_4arch9wavefront6targetE1EEEvSZ_,"axG",@progbits,_ZN7rocprim17ROCPRIM_400000_NS6detail17trampoline_kernelINS0_13select_configILj256ELj13ELNS0_17block_load_methodE3ELS4_3ELS4_3ELNS0_20block_scan_algorithmE0ELj4294967295EEENS1_25partition_config_selectorILNS1_17partition_subalgoE3EjNS0_10empty_typeEbEEZZNS1_14partition_implILS8_3ELb0ES6_jNS0_17counting_iteratorIjlEEPS9_SE_NS0_5tupleIJPjSE_EEENSF_IJSE_SE_EEES9_SG_JZNS1_25segmented_radix_sort_implINS0_14default_configELb1EPK12hip_bfloat16PSL_PKlPlN2at6native12_GLOBAL__N_18offset_tEEE10hipError_tPvRmT1_PNSt15iterator_traitsISZ_E10value_typeET2_T3_PNS10_IS15_E10value_typeET4_jRbjT5_S1B_jjP12ihipStream_tbEUljE_EEESW_SX_SY_S15_S19_S1B_T6_T7_T9_mT8_S1D_bDpT10_ENKUlT_T0_E_clISt17integral_constantIbLb0EES1P_IbLb1EEEEDaS1L_S1M_EUlS1L_E_NS1_11comp_targetILNS1_3genE10ELNS1_11target_archE1200ELNS1_3gpuE4ELNS1_3repE0EEENS1_30default_config_static_selectorELNS0_4arch9wavefront6targetE1EEEvSZ_,comdat
.Lfunc_end1941:
	.size	_ZN7rocprim17ROCPRIM_400000_NS6detail17trampoline_kernelINS0_13select_configILj256ELj13ELNS0_17block_load_methodE3ELS4_3ELS4_3ELNS0_20block_scan_algorithmE0ELj4294967295EEENS1_25partition_config_selectorILNS1_17partition_subalgoE3EjNS0_10empty_typeEbEEZZNS1_14partition_implILS8_3ELb0ES6_jNS0_17counting_iteratorIjlEEPS9_SE_NS0_5tupleIJPjSE_EEENSF_IJSE_SE_EEES9_SG_JZNS1_25segmented_radix_sort_implINS0_14default_configELb1EPK12hip_bfloat16PSL_PKlPlN2at6native12_GLOBAL__N_18offset_tEEE10hipError_tPvRmT1_PNSt15iterator_traitsISZ_E10value_typeET2_T3_PNS10_IS15_E10value_typeET4_jRbjT5_S1B_jjP12ihipStream_tbEUljE_EEESW_SX_SY_S15_S19_S1B_T6_T7_T9_mT8_S1D_bDpT10_ENKUlT_T0_E_clISt17integral_constantIbLb0EES1P_IbLb1EEEEDaS1L_S1M_EUlS1L_E_NS1_11comp_targetILNS1_3genE10ELNS1_11target_archE1200ELNS1_3gpuE4ELNS1_3repE0EEENS1_30default_config_static_selectorELNS0_4arch9wavefront6targetE1EEEvSZ_, .Lfunc_end1941-_ZN7rocprim17ROCPRIM_400000_NS6detail17trampoline_kernelINS0_13select_configILj256ELj13ELNS0_17block_load_methodE3ELS4_3ELS4_3ELNS0_20block_scan_algorithmE0ELj4294967295EEENS1_25partition_config_selectorILNS1_17partition_subalgoE3EjNS0_10empty_typeEbEEZZNS1_14partition_implILS8_3ELb0ES6_jNS0_17counting_iteratorIjlEEPS9_SE_NS0_5tupleIJPjSE_EEENSF_IJSE_SE_EEES9_SG_JZNS1_25segmented_radix_sort_implINS0_14default_configELb1EPK12hip_bfloat16PSL_PKlPlN2at6native12_GLOBAL__N_18offset_tEEE10hipError_tPvRmT1_PNSt15iterator_traitsISZ_E10value_typeET2_T3_PNS10_IS15_E10value_typeET4_jRbjT5_S1B_jjP12ihipStream_tbEUljE_EEESW_SX_SY_S15_S19_S1B_T6_T7_T9_mT8_S1D_bDpT10_ENKUlT_T0_E_clISt17integral_constantIbLb0EES1P_IbLb1EEEEDaS1L_S1M_EUlS1L_E_NS1_11comp_targetILNS1_3genE10ELNS1_11target_archE1200ELNS1_3gpuE4ELNS1_3repE0EEENS1_30default_config_static_selectorELNS0_4arch9wavefront6targetE1EEEvSZ_
                                        ; -- End function
	.section	.AMDGPU.csdata,"",@progbits
; Kernel info:
; codeLenInByte = 0
; NumSgprs: 4
; NumVgprs: 0
; NumAgprs: 0
; TotalNumVgprs: 0
; ScratchSize: 0
; MemoryBound: 0
; FloatMode: 240
; IeeeMode: 1
; LDSByteSize: 0 bytes/workgroup (compile time only)
; SGPRBlocks: 0
; VGPRBlocks: 0
; NumSGPRsForWavesPerEU: 4
; NumVGPRsForWavesPerEU: 1
; AccumOffset: 4
; Occupancy: 8
; WaveLimiterHint : 0
; COMPUTE_PGM_RSRC2:SCRATCH_EN: 0
; COMPUTE_PGM_RSRC2:USER_SGPR: 6
; COMPUTE_PGM_RSRC2:TRAP_HANDLER: 0
; COMPUTE_PGM_RSRC2:TGID_X_EN: 1
; COMPUTE_PGM_RSRC2:TGID_Y_EN: 0
; COMPUTE_PGM_RSRC2:TGID_Z_EN: 0
; COMPUTE_PGM_RSRC2:TIDIG_COMP_CNT: 0
; COMPUTE_PGM_RSRC3_GFX90A:ACCUM_OFFSET: 0
; COMPUTE_PGM_RSRC3_GFX90A:TG_SPLIT: 0
	.section	.text._ZN7rocprim17ROCPRIM_400000_NS6detail17trampoline_kernelINS0_13select_configILj256ELj13ELNS0_17block_load_methodE3ELS4_3ELS4_3ELNS0_20block_scan_algorithmE0ELj4294967295EEENS1_25partition_config_selectorILNS1_17partition_subalgoE3EjNS0_10empty_typeEbEEZZNS1_14partition_implILS8_3ELb0ES6_jNS0_17counting_iteratorIjlEEPS9_SE_NS0_5tupleIJPjSE_EEENSF_IJSE_SE_EEES9_SG_JZNS1_25segmented_radix_sort_implINS0_14default_configELb1EPK12hip_bfloat16PSL_PKlPlN2at6native12_GLOBAL__N_18offset_tEEE10hipError_tPvRmT1_PNSt15iterator_traitsISZ_E10value_typeET2_T3_PNS10_IS15_E10value_typeET4_jRbjT5_S1B_jjP12ihipStream_tbEUljE_EEESW_SX_SY_S15_S19_S1B_T6_T7_T9_mT8_S1D_bDpT10_ENKUlT_T0_E_clISt17integral_constantIbLb0EES1P_IbLb1EEEEDaS1L_S1M_EUlS1L_E_NS1_11comp_targetILNS1_3genE9ELNS1_11target_archE1100ELNS1_3gpuE3ELNS1_3repE0EEENS1_30default_config_static_selectorELNS0_4arch9wavefront6targetE1EEEvSZ_,"axG",@progbits,_ZN7rocprim17ROCPRIM_400000_NS6detail17trampoline_kernelINS0_13select_configILj256ELj13ELNS0_17block_load_methodE3ELS4_3ELS4_3ELNS0_20block_scan_algorithmE0ELj4294967295EEENS1_25partition_config_selectorILNS1_17partition_subalgoE3EjNS0_10empty_typeEbEEZZNS1_14partition_implILS8_3ELb0ES6_jNS0_17counting_iteratorIjlEEPS9_SE_NS0_5tupleIJPjSE_EEENSF_IJSE_SE_EEES9_SG_JZNS1_25segmented_radix_sort_implINS0_14default_configELb1EPK12hip_bfloat16PSL_PKlPlN2at6native12_GLOBAL__N_18offset_tEEE10hipError_tPvRmT1_PNSt15iterator_traitsISZ_E10value_typeET2_T3_PNS10_IS15_E10value_typeET4_jRbjT5_S1B_jjP12ihipStream_tbEUljE_EEESW_SX_SY_S15_S19_S1B_T6_T7_T9_mT8_S1D_bDpT10_ENKUlT_T0_E_clISt17integral_constantIbLb0EES1P_IbLb1EEEEDaS1L_S1M_EUlS1L_E_NS1_11comp_targetILNS1_3genE9ELNS1_11target_archE1100ELNS1_3gpuE3ELNS1_3repE0EEENS1_30default_config_static_selectorELNS0_4arch9wavefront6targetE1EEEvSZ_,comdat
	.globl	_ZN7rocprim17ROCPRIM_400000_NS6detail17trampoline_kernelINS0_13select_configILj256ELj13ELNS0_17block_load_methodE3ELS4_3ELS4_3ELNS0_20block_scan_algorithmE0ELj4294967295EEENS1_25partition_config_selectorILNS1_17partition_subalgoE3EjNS0_10empty_typeEbEEZZNS1_14partition_implILS8_3ELb0ES6_jNS0_17counting_iteratorIjlEEPS9_SE_NS0_5tupleIJPjSE_EEENSF_IJSE_SE_EEES9_SG_JZNS1_25segmented_radix_sort_implINS0_14default_configELb1EPK12hip_bfloat16PSL_PKlPlN2at6native12_GLOBAL__N_18offset_tEEE10hipError_tPvRmT1_PNSt15iterator_traitsISZ_E10value_typeET2_T3_PNS10_IS15_E10value_typeET4_jRbjT5_S1B_jjP12ihipStream_tbEUljE_EEESW_SX_SY_S15_S19_S1B_T6_T7_T9_mT8_S1D_bDpT10_ENKUlT_T0_E_clISt17integral_constantIbLb0EES1P_IbLb1EEEEDaS1L_S1M_EUlS1L_E_NS1_11comp_targetILNS1_3genE9ELNS1_11target_archE1100ELNS1_3gpuE3ELNS1_3repE0EEENS1_30default_config_static_selectorELNS0_4arch9wavefront6targetE1EEEvSZ_ ; -- Begin function _ZN7rocprim17ROCPRIM_400000_NS6detail17trampoline_kernelINS0_13select_configILj256ELj13ELNS0_17block_load_methodE3ELS4_3ELS4_3ELNS0_20block_scan_algorithmE0ELj4294967295EEENS1_25partition_config_selectorILNS1_17partition_subalgoE3EjNS0_10empty_typeEbEEZZNS1_14partition_implILS8_3ELb0ES6_jNS0_17counting_iteratorIjlEEPS9_SE_NS0_5tupleIJPjSE_EEENSF_IJSE_SE_EEES9_SG_JZNS1_25segmented_radix_sort_implINS0_14default_configELb1EPK12hip_bfloat16PSL_PKlPlN2at6native12_GLOBAL__N_18offset_tEEE10hipError_tPvRmT1_PNSt15iterator_traitsISZ_E10value_typeET2_T3_PNS10_IS15_E10value_typeET4_jRbjT5_S1B_jjP12ihipStream_tbEUljE_EEESW_SX_SY_S15_S19_S1B_T6_T7_T9_mT8_S1D_bDpT10_ENKUlT_T0_E_clISt17integral_constantIbLb0EES1P_IbLb1EEEEDaS1L_S1M_EUlS1L_E_NS1_11comp_targetILNS1_3genE9ELNS1_11target_archE1100ELNS1_3gpuE3ELNS1_3repE0EEENS1_30default_config_static_selectorELNS0_4arch9wavefront6targetE1EEEvSZ_
	.p2align	8
	.type	_ZN7rocprim17ROCPRIM_400000_NS6detail17trampoline_kernelINS0_13select_configILj256ELj13ELNS0_17block_load_methodE3ELS4_3ELS4_3ELNS0_20block_scan_algorithmE0ELj4294967295EEENS1_25partition_config_selectorILNS1_17partition_subalgoE3EjNS0_10empty_typeEbEEZZNS1_14partition_implILS8_3ELb0ES6_jNS0_17counting_iteratorIjlEEPS9_SE_NS0_5tupleIJPjSE_EEENSF_IJSE_SE_EEES9_SG_JZNS1_25segmented_radix_sort_implINS0_14default_configELb1EPK12hip_bfloat16PSL_PKlPlN2at6native12_GLOBAL__N_18offset_tEEE10hipError_tPvRmT1_PNSt15iterator_traitsISZ_E10value_typeET2_T3_PNS10_IS15_E10value_typeET4_jRbjT5_S1B_jjP12ihipStream_tbEUljE_EEESW_SX_SY_S15_S19_S1B_T6_T7_T9_mT8_S1D_bDpT10_ENKUlT_T0_E_clISt17integral_constantIbLb0EES1P_IbLb1EEEEDaS1L_S1M_EUlS1L_E_NS1_11comp_targetILNS1_3genE9ELNS1_11target_archE1100ELNS1_3gpuE3ELNS1_3repE0EEENS1_30default_config_static_selectorELNS0_4arch9wavefront6targetE1EEEvSZ_,@function
_ZN7rocprim17ROCPRIM_400000_NS6detail17trampoline_kernelINS0_13select_configILj256ELj13ELNS0_17block_load_methodE3ELS4_3ELS4_3ELNS0_20block_scan_algorithmE0ELj4294967295EEENS1_25partition_config_selectorILNS1_17partition_subalgoE3EjNS0_10empty_typeEbEEZZNS1_14partition_implILS8_3ELb0ES6_jNS0_17counting_iteratorIjlEEPS9_SE_NS0_5tupleIJPjSE_EEENSF_IJSE_SE_EEES9_SG_JZNS1_25segmented_radix_sort_implINS0_14default_configELb1EPK12hip_bfloat16PSL_PKlPlN2at6native12_GLOBAL__N_18offset_tEEE10hipError_tPvRmT1_PNSt15iterator_traitsISZ_E10value_typeET2_T3_PNS10_IS15_E10value_typeET4_jRbjT5_S1B_jjP12ihipStream_tbEUljE_EEESW_SX_SY_S15_S19_S1B_T6_T7_T9_mT8_S1D_bDpT10_ENKUlT_T0_E_clISt17integral_constantIbLb0EES1P_IbLb1EEEEDaS1L_S1M_EUlS1L_E_NS1_11comp_targetILNS1_3genE9ELNS1_11target_archE1100ELNS1_3gpuE3ELNS1_3repE0EEENS1_30default_config_static_selectorELNS0_4arch9wavefront6targetE1EEEvSZ_: ; @_ZN7rocprim17ROCPRIM_400000_NS6detail17trampoline_kernelINS0_13select_configILj256ELj13ELNS0_17block_load_methodE3ELS4_3ELS4_3ELNS0_20block_scan_algorithmE0ELj4294967295EEENS1_25partition_config_selectorILNS1_17partition_subalgoE3EjNS0_10empty_typeEbEEZZNS1_14partition_implILS8_3ELb0ES6_jNS0_17counting_iteratorIjlEEPS9_SE_NS0_5tupleIJPjSE_EEENSF_IJSE_SE_EEES9_SG_JZNS1_25segmented_radix_sort_implINS0_14default_configELb1EPK12hip_bfloat16PSL_PKlPlN2at6native12_GLOBAL__N_18offset_tEEE10hipError_tPvRmT1_PNSt15iterator_traitsISZ_E10value_typeET2_T3_PNS10_IS15_E10value_typeET4_jRbjT5_S1B_jjP12ihipStream_tbEUljE_EEESW_SX_SY_S15_S19_S1B_T6_T7_T9_mT8_S1D_bDpT10_ENKUlT_T0_E_clISt17integral_constantIbLb0EES1P_IbLb1EEEEDaS1L_S1M_EUlS1L_E_NS1_11comp_targetILNS1_3genE9ELNS1_11target_archE1100ELNS1_3gpuE3ELNS1_3repE0EEENS1_30default_config_static_selectorELNS0_4arch9wavefront6targetE1EEEvSZ_
; %bb.0:
	.section	.rodata,"a",@progbits
	.p2align	6, 0x0
	.amdhsa_kernel _ZN7rocprim17ROCPRIM_400000_NS6detail17trampoline_kernelINS0_13select_configILj256ELj13ELNS0_17block_load_methodE3ELS4_3ELS4_3ELNS0_20block_scan_algorithmE0ELj4294967295EEENS1_25partition_config_selectorILNS1_17partition_subalgoE3EjNS0_10empty_typeEbEEZZNS1_14partition_implILS8_3ELb0ES6_jNS0_17counting_iteratorIjlEEPS9_SE_NS0_5tupleIJPjSE_EEENSF_IJSE_SE_EEES9_SG_JZNS1_25segmented_radix_sort_implINS0_14default_configELb1EPK12hip_bfloat16PSL_PKlPlN2at6native12_GLOBAL__N_18offset_tEEE10hipError_tPvRmT1_PNSt15iterator_traitsISZ_E10value_typeET2_T3_PNS10_IS15_E10value_typeET4_jRbjT5_S1B_jjP12ihipStream_tbEUljE_EEESW_SX_SY_S15_S19_S1B_T6_T7_T9_mT8_S1D_bDpT10_ENKUlT_T0_E_clISt17integral_constantIbLb0EES1P_IbLb1EEEEDaS1L_S1M_EUlS1L_E_NS1_11comp_targetILNS1_3genE9ELNS1_11target_archE1100ELNS1_3gpuE3ELNS1_3repE0EEENS1_30default_config_static_selectorELNS0_4arch9wavefront6targetE1EEEvSZ_
		.amdhsa_group_segment_fixed_size 0
		.amdhsa_private_segment_fixed_size 0
		.amdhsa_kernarg_size 152
		.amdhsa_user_sgpr_count 6
		.amdhsa_user_sgpr_private_segment_buffer 1
		.amdhsa_user_sgpr_dispatch_ptr 0
		.amdhsa_user_sgpr_queue_ptr 0
		.amdhsa_user_sgpr_kernarg_segment_ptr 1
		.amdhsa_user_sgpr_dispatch_id 0
		.amdhsa_user_sgpr_flat_scratch_init 0
		.amdhsa_user_sgpr_kernarg_preload_length 0
		.amdhsa_user_sgpr_kernarg_preload_offset 0
		.amdhsa_user_sgpr_private_segment_size 0
		.amdhsa_uses_dynamic_stack 0
		.amdhsa_system_sgpr_private_segment_wavefront_offset 0
		.amdhsa_system_sgpr_workgroup_id_x 1
		.amdhsa_system_sgpr_workgroup_id_y 0
		.amdhsa_system_sgpr_workgroup_id_z 0
		.amdhsa_system_sgpr_workgroup_info 0
		.amdhsa_system_vgpr_workitem_id 0
		.amdhsa_next_free_vgpr 1
		.amdhsa_next_free_sgpr 0
		.amdhsa_accum_offset 4
		.amdhsa_reserve_vcc 0
		.amdhsa_reserve_flat_scratch 0
		.amdhsa_float_round_mode_32 0
		.amdhsa_float_round_mode_16_64 0
		.amdhsa_float_denorm_mode_32 3
		.amdhsa_float_denorm_mode_16_64 3
		.amdhsa_dx10_clamp 1
		.amdhsa_ieee_mode 1
		.amdhsa_fp16_overflow 0
		.amdhsa_tg_split 0
		.amdhsa_exception_fp_ieee_invalid_op 0
		.amdhsa_exception_fp_denorm_src 0
		.amdhsa_exception_fp_ieee_div_zero 0
		.amdhsa_exception_fp_ieee_overflow 0
		.amdhsa_exception_fp_ieee_underflow 0
		.amdhsa_exception_fp_ieee_inexact 0
		.amdhsa_exception_int_div_zero 0
	.end_amdhsa_kernel
	.section	.text._ZN7rocprim17ROCPRIM_400000_NS6detail17trampoline_kernelINS0_13select_configILj256ELj13ELNS0_17block_load_methodE3ELS4_3ELS4_3ELNS0_20block_scan_algorithmE0ELj4294967295EEENS1_25partition_config_selectorILNS1_17partition_subalgoE3EjNS0_10empty_typeEbEEZZNS1_14partition_implILS8_3ELb0ES6_jNS0_17counting_iteratorIjlEEPS9_SE_NS0_5tupleIJPjSE_EEENSF_IJSE_SE_EEES9_SG_JZNS1_25segmented_radix_sort_implINS0_14default_configELb1EPK12hip_bfloat16PSL_PKlPlN2at6native12_GLOBAL__N_18offset_tEEE10hipError_tPvRmT1_PNSt15iterator_traitsISZ_E10value_typeET2_T3_PNS10_IS15_E10value_typeET4_jRbjT5_S1B_jjP12ihipStream_tbEUljE_EEESW_SX_SY_S15_S19_S1B_T6_T7_T9_mT8_S1D_bDpT10_ENKUlT_T0_E_clISt17integral_constantIbLb0EES1P_IbLb1EEEEDaS1L_S1M_EUlS1L_E_NS1_11comp_targetILNS1_3genE9ELNS1_11target_archE1100ELNS1_3gpuE3ELNS1_3repE0EEENS1_30default_config_static_selectorELNS0_4arch9wavefront6targetE1EEEvSZ_,"axG",@progbits,_ZN7rocprim17ROCPRIM_400000_NS6detail17trampoline_kernelINS0_13select_configILj256ELj13ELNS0_17block_load_methodE3ELS4_3ELS4_3ELNS0_20block_scan_algorithmE0ELj4294967295EEENS1_25partition_config_selectorILNS1_17partition_subalgoE3EjNS0_10empty_typeEbEEZZNS1_14partition_implILS8_3ELb0ES6_jNS0_17counting_iteratorIjlEEPS9_SE_NS0_5tupleIJPjSE_EEENSF_IJSE_SE_EEES9_SG_JZNS1_25segmented_radix_sort_implINS0_14default_configELb1EPK12hip_bfloat16PSL_PKlPlN2at6native12_GLOBAL__N_18offset_tEEE10hipError_tPvRmT1_PNSt15iterator_traitsISZ_E10value_typeET2_T3_PNS10_IS15_E10value_typeET4_jRbjT5_S1B_jjP12ihipStream_tbEUljE_EEESW_SX_SY_S15_S19_S1B_T6_T7_T9_mT8_S1D_bDpT10_ENKUlT_T0_E_clISt17integral_constantIbLb0EES1P_IbLb1EEEEDaS1L_S1M_EUlS1L_E_NS1_11comp_targetILNS1_3genE9ELNS1_11target_archE1100ELNS1_3gpuE3ELNS1_3repE0EEENS1_30default_config_static_selectorELNS0_4arch9wavefront6targetE1EEEvSZ_,comdat
.Lfunc_end1942:
	.size	_ZN7rocprim17ROCPRIM_400000_NS6detail17trampoline_kernelINS0_13select_configILj256ELj13ELNS0_17block_load_methodE3ELS4_3ELS4_3ELNS0_20block_scan_algorithmE0ELj4294967295EEENS1_25partition_config_selectorILNS1_17partition_subalgoE3EjNS0_10empty_typeEbEEZZNS1_14partition_implILS8_3ELb0ES6_jNS0_17counting_iteratorIjlEEPS9_SE_NS0_5tupleIJPjSE_EEENSF_IJSE_SE_EEES9_SG_JZNS1_25segmented_radix_sort_implINS0_14default_configELb1EPK12hip_bfloat16PSL_PKlPlN2at6native12_GLOBAL__N_18offset_tEEE10hipError_tPvRmT1_PNSt15iterator_traitsISZ_E10value_typeET2_T3_PNS10_IS15_E10value_typeET4_jRbjT5_S1B_jjP12ihipStream_tbEUljE_EEESW_SX_SY_S15_S19_S1B_T6_T7_T9_mT8_S1D_bDpT10_ENKUlT_T0_E_clISt17integral_constantIbLb0EES1P_IbLb1EEEEDaS1L_S1M_EUlS1L_E_NS1_11comp_targetILNS1_3genE9ELNS1_11target_archE1100ELNS1_3gpuE3ELNS1_3repE0EEENS1_30default_config_static_selectorELNS0_4arch9wavefront6targetE1EEEvSZ_, .Lfunc_end1942-_ZN7rocprim17ROCPRIM_400000_NS6detail17trampoline_kernelINS0_13select_configILj256ELj13ELNS0_17block_load_methodE3ELS4_3ELS4_3ELNS0_20block_scan_algorithmE0ELj4294967295EEENS1_25partition_config_selectorILNS1_17partition_subalgoE3EjNS0_10empty_typeEbEEZZNS1_14partition_implILS8_3ELb0ES6_jNS0_17counting_iteratorIjlEEPS9_SE_NS0_5tupleIJPjSE_EEENSF_IJSE_SE_EEES9_SG_JZNS1_25segmented_radix_sort_implINS0_14default_configELb1EPK12hip_bfloat16PSL_PKlPlN2at6native12_GLOBAL__N_18offset_tEEE10hipError_tPvRmT1_PNSt15iterator_traitsISZ_E10value_typeET2_T3_PNS10_IS15_E10value_typeET4_jRbjT5_S1B_jjP12ihipStream_tbEUljE_EEESW_SX_SY_S15_S19_S1B_T6_T7_T9_mT8_S1D_bDpT10_ENKUlT_T0_E_clISt17integral_constantIbLb0EES1P_IbLb1EEEEDaS1L_S1M_EUlS1L_E_NS1_11comp_targetILNS1_3genE9ELNS1_11target_archE1100ELNS1_3gpuE3ELNS1_3repE0EEENS1_30default_config_static_selectorELNS0_4arch9wavefront6targetE1EEEvSZ_
                                        ; -- End function
	.section	.AMDGPU.csdata,"",@progbits
; Kernel info:
; codeLenInByte = 0
; NumSgprs: 4
; NumVgprs: 0
; NumAgprs: 0
; TotalNumVgprs: 0
; ScratchSize: 0
; MemoryBound: 0
; FloatMode: 240
; IeeeMode: 1
; LDSByteSize: 0 bytes/workgroup (compile time only)
; SGPRBlocks: 0
; VGPRBlocks: 0
; NumSGPRsForWavesPerEU: 4
; NumVGPRsForWavesPerEU: 1
; AccumOffset: 4
; Occupancy: 8
; WaveLimiterHint : 0
; COMPUTE_PGM_RSRC2:SCRATCH_EN: 0
; COMPUTE_PGM_RSRC2:USER_SGPR: 6
; COMPUTE_PGM_RSRC2:TRAP_HANDLER: 0
; COMPUTE_PGM_RSRC2:TGID_X_EN: 1
; COMPUTE_PGM_RSRC2:TGID_Y_EN: 0
; COMPUTE_PGM_RSRC2:TGID_Z_EN: 0
; COMPUTE_PGM_RSRC2:TIDIG_COMP_CNT: 0
; COMPUTE_PGM_RSRC3_GFX90A:ACCUM_OFFSET: 0
; COMPUTE_PGM_RSRC3_GFX90A:TG_SPLIT: 0
	.section	.text._ZN7rocprim17ROCPRIM_400000_NS6detail17trampoline_kernelINS0_13select_configILj256ELj13ELNS0_17block_load_methodE3ELS4_3ELS4_3ELNS0_20block_scan_algorithmE0ELj4294967295EEENS1_25partition_config_selectorILNS1_17partition_subalgoE3EjNS0_10empty_typeEbEEZZNS1_14partition_implILS8_3ELb0ES6_jNS0_17counting_iteratorIjlEEPS9_SE_NS0_5tupleIJPjSE_EEENSF_IJSE_SE_EEES9_SG_JZNS1_25segmented_radix_sort_implINS0_14default_configELb1EPK12hip_bfloat16PSL_PKlPlN2at6native12_GLOBAL__N_18offset_tEEE10hipError_tPvRmT1_PNSt15iterator_traitsISZ_E10value_typeET2_T3_PNS10_IS15_E10value_typeET4_jRbjT5_S1B_jjP12ihipStream_tbEUljE_EEESW_SX_SY_S15_S19_S1B_T6_T7_T9_mT8_S1D_bDpT10_ENKUlT_T0_E_clISt17integral_constantIbLb0EES1P_IbLb1EEEEDaS1L_S1M_EUlS1L_E_NS1_11comp_targetILNS1_3genE8ELNS1_11target_archE1030ELNS1_3gpuE2ELNS1_3repE0EEENS1_30default_config_static_selectorELNS0_4arch9wavefront6targetE1EEEvSZ_,"axG",@progbits,_ZN7rocprim17ROCPRIM_400000_NS6detail17trampoline_kernelINS0_13select_configILj256ELj13ELNS0_17block_load_methodE3ELS4_3ELS4_3ELNS0_20block_scan_algorithmE0ELj4294967295EEENS1_25partition_config_selectorILNS1_17partition_subalgoE3EjNS0_10empty_typeEbEEZZNS1_14partition_implILS8_3ELb0ES6_jNS0_17counting_iteratorIjlEEPS9_SE_NS0_5tupleIJPjSE_EEENSF_IJSE_SE_EEES9_SG_JZNS1_25segmented_radix_sort_implINS0_14default_configELb1EPK12hip_bfloat16PSL_PKlPlN2at6native12_GLOBAL__N_18offset_tEEE10hipError_tPvRmT1_PNSt15iterator_traitsISZ_E10value_typeET2_T3_PNS10_IS15_E10value_typeET4_jRbjT5_S1B_jjP12ihipStream_tbEUljE_EEESW_SX_SY_S15_S19_S1B_T6_T7_T9_mT8_S1D_bDpT10_ENKUlT_T0_E_clISt17integral_constantIbLb0EES1P_IbLb1EEEEDaS1L_S1M_EUlS1L_E_NS1_11comp_targetILNS1_3genE8ELNS1_11target_archE1030ELNS1_3gpuE2ELNS1_3repE0EEENS1_30default_config_static_selectorELNS0_4arch9wavefront6targetE1EEEvSZ_,comdat
	.globl	_ZN7rocprim17ROCPRIM_400000_NS6detail17trampoline_kernelINS0_13select_configILj256ELj13ELNS0_17block_load_methodE3ELS4_3ELS4_3ELNS0_20block_scan_algorithmE0ELj4294967295EEENS1_25partition_config_selectorILNS1_17partition_subalgoE3EjNS0_10empty_typeEbEEZZNS1_14partition_implILS8_3ELb0ES6_jNS0_17counting_iteratorIjlEEPS9_SE_NS0_5tupleIJPjSE_EEENSF_IJSE_SE_EEES9_SG_JZNS1_25segmented_radix_sort_implINS0_14default_configELb1EPK12hip_bfloat16PSL_PKlPlN2at6native12_GLOBAL__N_18offset_tEEE10hipError_tPvRmT1_PNSt15iterator_traitsISZ_E10value_typeET2_T3_PNS10_IS15_E10value_typeET4_jRbjT5_S1B_jjP12ihipStream_tbEUljE_EEESW_SX_SY_S15_S19_S1B_T6_T7_T9_mT8_S1D_bDpT10_ENKUlT_T0_E_clISt17integral_constantIbLb0EES1P_IbLb1EEEEDaS1L_S1M_EUlS1L_E_NS1_11comp_targetILNS1_3genE8ELNS1_11target_archE1030ELNS1_3gpuE2ELNS1_3repE0EEENS1_30default_config_static_selectorELNS0_4arch9wavefront6targetE1EEEvSZ_ ; -- Begin function _ZN7rocprim17ROCPRIM_400000_NS6detail17trampoline_kernelINS0_13select_configILj256ELj13ELNS0_17block_load_methodE3ELS4_3ELS4_3ELNS0_20block_scan_algorithmE0ELj4294967295EEENS1_25partition_config_selectorILNS1_17partition_subalgoE3EjNS0_10empty_typeEbEEZZNS1_14partition_implILS8_3ELb0ES6_jNS0_17counting_iteratorIjlEEPS9_SE_NS0_5tupleIJPjSE_EEENSF_IJSE_SE_EEES9_SG_JZNS1_25segmented_radix_sort_implINS0_14default_configELb1EPK12hip_bfloat16PSL_PKlPlN2at6native12_GLOBAL__N_18offset_tEEE10hipError_tPvRmT1_PNSt15iterator_traitsISZ_E10value_typeET2_T3_PNS10_IS15_E10value_typeET4_jRbjT5_S1B_jjP12ihipStream_tbEUljE_EEESW_SX_SY_S15_S19_S1B_T6_T7_T9_mT8_S1D_bDpT10_ENKUlT_T0_E_clISt17integral_constantIbLb0EES1P_IbLb1EEEEDaS1L_S1M_EUlS1L_E_NS1_11comp_targetILNS1_3genE8ELNS1_11target_archE1030ELNS1_3gpuE2ELNS1_3repE0EEENS1_30default_config_static_selectorELNS0_4arch9wavefront6targetE1EEEvSZ_
	.p2align	8
	.type	_ZN7rocprim17ROCPRIM_400000_NS6detail17trampoline_kernelINS0_13select_configILj256ELj13ELNS0_17block_load_methodE3ELS4_3ELS4_3ELNS0_20block_scan_algorithmE0ELj4294967295EEENS1_25partition_config_selectorILNS1_17partition_subalgoE3EjNS0_10empty_typeEbEEZZNS1_14partition_implILS8_3ELb0ES6_jNS0_17counting_iteratorIjlEEPS9_SE_NS0_5tupleIJPjSE_EEENSF_IJSE_SE_EEES9_SG_JZNS1_25segmented_radix_sort_implINS0_14default_configELb1EPK12hip_bfloat16PSL_PKlPlN2at6native12_GLOBAL__N_18offset_tEEE10hipError_tPvRmT1_PNSt15iterator_traitsISZ_E10value_typeET2_T3_PNS10_IS15_E10value_typeET4_jRbjT5_S1B_jjP12ihipStream_tbEUljE_EEESW_SX_SY_S15_S19_S1B_T6_T7_T9_mT8_S1D_bDpT10_ENKUlT_T0_E_clISt17integral_constantIbLb0EES1P_IbLb1EEEEDaS1L_S1M_EUlS1L_E_NS1_11comp_targetILNS1_3genE8ELNS1_11target_archE1030ELNS1_3gpuE2ELNS1_3repE0EEENS1_30default_config_static_selectorELNS0_4arch9wavefront6targetE1EEEvSZ_,@function
_ZN7rocprim17ROCPRIM_400000_NS6detail17trampoline_kernelINS0_13select_configILj256ELj13ELNS0_17block_load_methodE3ELS4_3ELS4_3ELNS0_20block_scan_algorithmE0ELj4294967295EEENS1_25partition_config_selectorILNS1_17partition_subalgoE3EjNS0_10empty_typeEbEEZZNS1_14partition_implILS8_3ELb0ES6_jNS0_17counting_iteratorIjlEEPS9_SE_NS0_5tupleIJPjSE_EEENSF_IJSE_SE_EEES9_SG_JZNS1_25segmented_radix_sort_implINS0_14default_configELb1EPK12hip_bfloat16PSL_PKlPlN2at6native12_GLOBAL__N_18offset_tEEE10hipError_tPvRmT1_PNSt15iterator_traitsISZ_E10value_typeET2_T3_PNS10_IS15_E10value_typeET4_jRbjT5_S1B_jjP12ihipStream_tbEUljE_EEESW_SX_SY_S15_S19_S1B_T6_T7_T9_mT8_S1D_bDpT10_ENKUlT_T0_E_clISt17integral_constantIbLb0EES1P_IbLb1EEEEDaS1L_S1M_EUlS1L_E_NS1_11comp_targetILNS1_3genE8ELNS1_11target_archE1030ELNS1_3gpuE2ELNS1_3repE0EEENS1_30default_config_static_selectorELNS0_4arch9wavefront6targetE1EEEvSZ_: ; @_ZN7rocprim17ROCPRIM_400000_NS6detail17trampoline_kernelINS0_13select_configILj256ELj13ELNS0_17block_load_methodE3ELS4_3ELS4_3ELNS0_20block_scan_algorithmE0ELj4294967295EEENS1_25partition_config_selectorILNS1_17partition_subalgoE3EjNS0_10empty_typeEbEEZZNS1_14partition_implILS8_3ELb0ES6_jNS0_17counting_iteratorIjlEEPS9_SE_NS0_5tupleIJPjSE_EEENSF_IJSE_SE_EEES9_SG_JZNS1_25segmented_radix_sort_implINS0_14default_configELb1EPK12hip_bfloat16PSL_PKlPlN2at6native12_GLOBAL__N_18offset_tEEE10hipError_tPvRmT1_PNSt15iterator_traitsISZ_E10value_typeET2_T3_PNS10_IS15_E10value_typeET4_jRbjT5_S1B_jjP12ihipStream_tbEUljE_EEESW_SX_SY_S15_S19_S1B_T6_T7_T9_mT8_S1D_bDpT10_ENKUlT_T0_E_clISt17integral_constantIbLb0EES1P_IbLb1EEEEDaS1L_S1M_EUlS1L_E_NS1_11comp_targetILNS1_3genE8ELNS1_11target_archE1030ELNS1_3gpuE2ELNS1_3repE0EEENS1_30default_config_static_selectorELNS0_4arch9wavefront6targetE1EEEvSZ_
; %bb.0:
	.section	.rodata,"a",@progbits
	.p2align	6, 0x0
	.amdhsa_kernel _ZN7rocprim17ROCPRIM_400000_NS6detail17trampoline_kernelINS0_13select_configILj256ELj13ELNS0_17block_load_methodE3ELS4_3ELS4_3ELNS0_20block_scan_algorithmE0ELj4294967295EEENS1_25partition_config_selectorILNS1_17partition_subalgoE3EjNS0_10empty_typeEbEEZZNS1_14partition_implILS8_3ELb0ES6_jNS0_17counting_iteratorIjlEEPS9_SE_NS0_5tupleIJPjSE_EEENSF_IJSE_SE_EEES9_SG_JZNS1_25segmented_radix_sort_implINS0_14default_configELb1EPK12hip_bfloat16PSL_PKlPlN2at6native12_GLOBAL__N_18offset_tEEE10hipError_tPvRmT1_PNSt15iterator_traitsISZ_E10value_typeET2_T3_PNS10_IS15_E10value_typeET4_jRbjT5_S1B_jjP12ihipStream_tbEUljE_EEESW_SX_SY_S15_S19_S1B_T6_T7_T9_mT8_S1D_bDpT10_ENKUlT_T0_E_clISt17integral_constantIbLb0EES1P_IbLb1EEEEDaS1L_S1M_EUlS1L_E_NS1_11comp_targetILNS1_3genE8ELNS1_11target_archE1030ELNS1_3gpuE2ELNS1_3repE0EEENS1_30default_config_static_selectorELNS0_4arch9wavefront6targetE1EEEvSZ_
		.amdhsa_group_segment_fixed_size 0
		.amdhsa_private_segment_fixed_size 0
		.amdhsa_kernarg_size 152
		.amdhsa_user_sgpr_count 6
		.amdhsa_user_sgpr_private_segment_buffer 1
		.amdhsa_user_sgpr_dispatch_ptr 0
		.amdhsa_user_sgpr_queue_ptr 0
		.amdhsa_user_sgpr_kernarg_segment_ptr 1
		.amdhsa_user_sgpr_dispatch_id 0
		.amdhsa_user_sgpr_flat_scratch_init 0
		.amdhsa_user_sgpr_kernarg_preload_length 0
		.amdhsa_user_sgpr_kernarg_preload_offset 0
		.amdhsa_user_sgpr_private_segment_size 0
		.amdhsa_uses_dynamic_stack 0
		.amdhsa_system_sgpr_private_segment_wavefront_offset 0
		.amdhsa_system_sgpr_workgroup_id_x 1
		.amdhsa_system_sgpr_workgroup_id_y 0
		.amdhsa_system_sgpr_workgroup_id_z 0
		.amdhsa_system_sgpr_workgroup_info 0
		.amdhsa_system_vgpr_workitem_id 0
		.amdhsa_next_free_vgpr 1
		.amdhsa_next_free_sgpr 0
		.amdhsa_accum_offset 4
		.amdhsa_reserve_vcc 0
		.amdhsa_reserve_flat_scratch 0
		.amdhsa_float_round_mode_32 0
		.amdhsa_float_round_mode_16_64 0
		.amdhsa_float_denorm_mode_32 3
		.amdhsa_float_denorm_mode_16_64 3
		.amdhsa_dx10_clamp 1
		.amdhsa_ieee_mode 1
		.amdhsa_fp16_overflow 0
		.amdhsa_tg_split 0
		.amdhsa_exception_fp_ieee_invalid_op 0
		.amdhsa_exception_fp_denorm_src 0
		.amdhsa_exception_fp_ieee_div_zero 0
		.amdhsa_exception_fp_ieee_overflow 0
		.amdhsa_exception_fp_ieee_underflow 0
		.amdhsa_exception_fp_ieee_inexact 0
		.amdhsa_exception_int_div_zero 0
	.end_amdhsa_kernel
	.section	.text._ZN7rocprim17ROCPRIM_400000_NS6detail17trampoline_kernelINS0_13select_configILj256ELj13ELNS0_17block_load_methodE3ELS4_3ELS4_3ELNS0_20block_scan_algorithmE0ELj4294967295EEENS1_25partition_config_selectorILNS1_17partition_subalgoE3EjNS0_10empty_typeEbEEZZNS1_14partition_implILS8_3ELb0ES6_jNS0_17counting_iteratorIjlEEPS9_SE_NS0_5tupleIJPjSE_EEENSF_IJSE_SE_EEES9_SG_JZNS1_25segmented_radix_sort_implINS0_14default_configELb1EPK12hip_bfloat16PSL_PKlPlN2at6native12_GLOBAL__N_18offset_tEEE10hipError_tPvRmT1_PNSt15iterator_traitsISZ_E10value_typeET2_T3_PNS10_IS15_E10value_typeET4_jRbjT5_S1B_jjP12ihipStream_tbEUljE_EEESW_SX_SY_S15_S19_S1B_T6_T7_T9_mT8_S1D_bDpT10_ENKUlT_T0_E_clISt17integral_constantIbLb0EES1P_IbLb1EEEEDaS1L_S1M_EUlS1L_E_NS1_11comp_targetILNS1_3genE8ELNS1_11target_archE1030ELNS1_3gpuE2ELNS1_3repE0EEENS1_30default_config_static_selectorELNS0_4arch9wavefront6targetE1EEEvSZ_,"axG",@progbits,_ZN7rocprim17ROCPRIM_400000_NS6detail17trampoline_kernelINS0_13select_configILj256ELj13ELNS0_17block_load_methodE3ELS4_3ELS4_3ELNS0_20block_scan_algorithmE0ELj4294967295EEENS1_25partition_config_selectorILNS1_17partition_subalgoE3EjNS0_10empty_typeEbEEZZNS1_14partition_implILS8_3ELb0ES6_jNS0_17counting_iteratorIjlEEPS9_SE_NS0_5tupleIJPjSE_EEENSF_IJSE_SE_EEES9_SG_JZNS1_25segmented_radix_sort_implINS0_14default_configELb1EPK12hip_bfloat16PSL_PKlPlN2at6native12_GLOBAL__N_18offset_tEEE10hipError_tPvRmT1_PNSt15iterator_traitsISZ_E10value_typeET2_T3_PNS10_IS15_E10value_typeET4_jRbjT5_S1B_jjP12ihipStream_tbEUljE_EEESW_SX_SY_S15_S19_S1B_T6_T7_T9_mT8_S1D_bDpT10_ENKUlT_T0_E_clISt17integral_constantIbLb0EES1P_IbLb1EEEEDaS1L_S1M_EUlS1L_E_NS1_11comp_targetILNS1_3genE8ELNS1_11target_archE1030ELNS1_3gpuE2ELNS1_3repE0EEENS1_30default_config_static_selectorELNS0_4arch9wavefront6targetE1EEEvSZ_,comdat
.Lfunc_end1943:
	.size	_ZN7rocprim17ROCPRIM_400000_NS6detail17trampoline_kernelINS0_13select_configILj256ELj13ELNS0_17block_load_methodE3ELS4_3ELS4_3ELNS0_20block_scan_algorithmE0ELj4294967295EEENS1_25partition_config_selectorILNS1_17partition_subalgoE3EjNS0_10empty_typeEbEEZZNS1_14partition_implILS8_3ELb0ES6_jNS0_17counting_iteratorIjlEEPS9_SE_NS0_5tupleIJPjSE_EEENSF_IJSE_SE_EEES9_SG_JZNS1_25segmented_radix_sort_implINS0_14default_configELb1EPK12hip_bfloat16PSL_PKlPlN2at6native12_GLOBAL__N_18offset_tEEE10hipError_tPvRmT1_PNSt15iterator_traitsISZ_E10value_typeET2_T3_PNS10_IS15_E10value_typeET4_jRbjT5_S1B_jjP12ihipStream_tbEUljE_EEESW_SX_SY_S15_S19_S1B_T6_T7_T9_mT8_S1D_bDpT10_ENKUlT_T0_E_clISt17integral_constantIbLb0EES1P_IbLb1EEEEDaS1L_S1M_EUlS1L_E_NS1_11comp_targetILNS1_3genE8ELNS1_11target_archE1030ELNS1_3gpuE2ELNS1_3repE0EEENS1_30default_config_static_selectorELNS0_4arch9wavefront6targetE1EEEvSZ_, .Lfunc_end1943-_ZN7rocprim17ROCPRIM_400000_NS6detail17trampoline_kernelINS0_13select_configILj256ELj13ELNS0_17block_load_methodE3ELS4_3ELS4_3ELNS0_20block_scan_algorithmE0ELj4294967295EEENS1_25partition_config_selectorILNS1_17partition_subalgoE3EjNS0_10empty_typeEbEEZZNS1_14partition_implILS8_3ELb0ES6_jNS0_17counting_iteratorIjlEEPS9_SE_NS0_5tupleIJPjSE_EEENSF_IJSE_SE_EEES9_SG_JZNS1_25segmented_radix_sort_implINS0_14default_configELb1EPK12hip_bfloat16PSL_PKlPlN2at6native12_GLOBAL__N_18offset_tEEE10hipError_tPvRmT1_PNSt15iterator_traitsISZ_E10value_typeET2_T3_PNS10_IS15_E10value_typeET4_jRbjT5_S1B_jjP12ihipStream_tbEUljE_EEESW_SX_SY_S15_S19_S1B_T6_T7_T9_mT8_S1D_bDpT10_ENKUlT_T0_E_clISt17integral_constantIbLb0EES1P_IbLb1EEEEDaS1L_S1M_EUlS1L_E_NS1_11comp_targetILNS1_3genE8ELNS1_11target_archE1030ELNS1_3gpuE2ELNS1_3repE0EEENS1_30default_config_static_selectorELNS0_4arch9wavefront6targetE1EEEvSZ_
                                        ; -- End function
	.section	.AMDGPU.csdata,"",@progbits
; Kernel info:
; codeLenInByte = 0
; NumSgprs: 4
; NumVgprs: 0
; NumAgprs: 0
; TotalNumVgprs: 0
; ScratchSize: 0
; MemoryBound: 0
; FloatMode: 240
; IeeeMode: 1
; LDSByteSize: 0 bytes/workgroup (compile time only)
; SGPRBlocks: 0
; VGPRBlocks: 0
; NumSGPRsForWavesPerEU: 4
; NumVGPRsForWavesPerEU: 1
; AccumOffset: 4
; Occupancy: 8
; WaveLimiterHint : 0
; COMPUTE_PGM_RSRC2:SCRATCH_EN: 0
; COMPUTE_PGM_RSRC2:USER_SGPR: 6
; COMPUTE_PGM_RSRC2:TRAP_HANDLER: 0
; COMPUTE_PGM_RSRC2:TGID_X_EN: 1
; COMPUTE_PGM_RSRC2:TGID_Y_EN: 0
; COMPUTE_PGM_RSRC2:TGID_Z_EN: 0
; COMPUTE_PGM_RSRC2:TIDIG_COMP_CNT: 0
; COMPUTE_PGM_RSRC3_GFX90A:ACCUM_OFFSET: 0
; COMPUTE_PGM_RSRC3_GFX90A:TG_SPLIT: 0
	.section	.text._ZN7rocprim17ROCPRIM_400000_NS6detail17trampoline_kernelINS0_14default_configENS1_36segmented_radix_sort_config_selectorI12hip_bfloat16lEEZNS1_25segmented_radix_sort_implIS3_Lb1EPKS5_PS5_PKlPlN2at6native12_GLOBAL__N_18offset_tEEE10hipError_tPvRmT1_PNSt15iterator_traitsISL_E10value_typeET2_T3_PNSM_ISR_E10value_typeET4_jRbjT5_SX_jjP12ihipStream_tbEUlT_E_NS1_11comp_targetILNS1_3genE0ELNS1_11target_archE4294967295ELNS1_3gpuE0ELNS1_3repE0EEENS1_30default_config_static_selectorELNS0_4arch9wavefront6targetE1EEEvSL_,"axG",@progbits,_ZN7rocprim17ROCPRIM_400000_NS6detail17trampoline_kernelINS0_14default_configENS1_36segmented_radix_sort_config_selectorI12hip_bfloat16lEEZNS1_25segmented_radix_sort_implIS3_Lb1EPKS5_PS5_PKlPlN2at6native12_GLOBAL__N_18offset_tEEE10hipError_tPvRmT1_PNSt15iterator_traitsISL_E10value_typeET2_T3_PNSM_ISR_E10value_typeET4_jRbjT5_SX_jjP12ihipStream_tbEUlT_E_NS1_11comp_targetILNS1_3genE0ELNS1_11target_archE4294967295ELNS1_3gpuE0ELNS1_3repE0EEENS1_30default_config_static_selectorELNS0_4arch9wavefront6targetE1EEEvSL_,comdat
	.globl	_ZN7rocprim17ROCPRIM_400000_NS6detail17trampoline_kernelINS0_14default_configENS1_36segmented_radix_sort_config_selectorI12hip_bfloat16lEEZNS1_25segmented_radix_sort_implIS3_Lb1EPKS5_PS5_PKlPlN2at6native12_GLOBAL__N_18offset_tEEE10hipError_tPvRmT1_PNSt15iterator_traitsISL_E10value_typeET2_T3_PNSM_ISR_E10value_typeET4_jRbjT5_SX_jjP12ihipStream_tbEUlT_E_NS1_11comp_targetILNS1_3genE0ELNS1_11target_archE4294967295ELNS1_3gpuE0ELNS1_3repE0EEENS1_30default_config_static_selectorELNS0_4arch9wavefront6targetE1EEEvSL_ ; -- Begin function _ZN7rocprim17ROCPRIM_400000_NS6detail17trampoline_kernelINS0_14default_configENS1_36segmented_radix_sort_config_selectorI12hip_bfloat16lEEZNS1_25segmented_radix_sort_implIS3_Lb1EPKS5_PS5_PKlPlN2at6native12_GLOBAL__N_18offset_tEEE10hipError_tPvRmT1_PNSt15iterator_traitsISL_E10value_typeET2_T3_PNSM_ISR_E10value_typeET4_jRbjT5_SX_jjP12ihipStream_tbEUlT_E_NS1_11comp_targetILNS1_3genE0ELNS1_11target_archE4294967295ELNS1_3gpuE0ELNS1_3repE0EEENS1_30default_config_static_selectorELNS0_4arch9wavefront6targetE1EEEvSL_
	.p2align	8
	.type	_ZN7rocprim17ROCPRIM_400000_NS6detail17trampoline_kernelINS0_14default_configENS1_36segmented_radix_sort_config_selectorI12hip_bfloat16lEEZNS1_25segmented_radix_sort_implIS3_Lb1EPKS5_PS5_PKlPlN2at6native12_GLOBAL__N_18offset_tEEE10hipError_tPvRmT1_PNSt15iterator_traitsISL_E10value_typeET2_T3_PNSM_ISR_E10value_typeET4_jRbjT5_SX_jjP12ihipStream_tbEUlT_E_NS1_11comp_targetILNS1_3genE0ELNS1_11target_archE4294967295ELNS1_3gpuE0ELNS1_3repE0EEENS1_30default_config_static_selectorELNS0_4arch9wavefront6targetE1EEEvSL_,@function
_ZN7rocprim17ROCPRIM_400000_NS6detail17trampoline_kernelINS0_14default_configENS1_36segmented_radix_sort_config_selectorI12hip_bfloat16lEEZNS1_25segmented_radix_sort_implIS3_Lb1EPKS5_PS5_PKlPlN2at6native12_GLOBAL__N_18offset_tEEE10hipError_tPvRmT1_PNSt15iterator_traitsISL_E10value_typeET2_T3_PNSM_ISR_E10value_typeET4_jRbjT5_SX_jjP12ihipStream_tbEUlT_E_NS1_11comp_targetILNS1_3genE0ELNS1_11target_archE4294967295ELNS1_3gpuE0ELNS1_3repE0EEENS1_30default_config_static_selectorELNS0_4arch9wavefront6targetE1EEEvSL_: ; @_ZN7rocprim17ROCPRIM_400000_NS6detail17trampoline_kernelINS0_14default_configENS1_36segmented_radix_sort_config_selectorI12hip_bfloat16lEEZNS1_25segmented_radix_sort_implIS3_Lb1EPKS5_PS5_PKlPlN2at6native12_GLOBAL__N_18offset_tEEE10hipError_tPvRmT1_PNSt15iterator_traitsISL_E10value_typeET2_T3_PNSM_ISR_E10value_typeET4_jRbjT5_SX_jjP12ihipStream_tbEUlT_E_NS1_11comp_targetILNS1_3genE0ELNS1_11target_archE4294967295ELNS1_3gpuE0ELNS1_3repE0EEENS1_30default_config_static_selectorELNS0_4arch9wavefront6targetE1EEEvSL_
; %bb.0:
	.section	.rodata,"a",@progbits
	.p2align	6, 0x0
	.amdhsa_kernel _ZN7rocprim17ROCPRIM_400000_NS6detail17trampoline_kernelINS0_14default_configENS1_36segmented_radix_sort_config_selectorI12hip_bfloat16lEEZNS1_25segmented_radix_sort_implIS3_Lb1EPKS5_PS5_PKlPlN2at6native12_GLOBAL__N_18offset_tEEE10hipError_tPvRmT1_PNSt15iterator_traitsISL_E10value_typeET2_T3_PNSM_ISR_E10value_typeET4_jRbjT5_SX_jjP12ihipStream_tbEUlT_E_NS1_11comp_targetILNS1_3genE0ELNS1_11target_archE4294967295ELNS1_3gpuE0ELNS1_3repE0EEENS1_30default_config_static_selectorELNS0_4arch9wavefront6targetE1EEEvSL_
		.amdhsa_group_segment_fixed_size 0
		.amdhsa_private_segment_fixed_size 0
		.amdhsa_kernarg_size 96
		.amdhsa_user_sgpr_count 6
		.amdhsa_user_sgpr_private_segment_buffer 1
		.amdhsa_user_sgpr_dispatch_ptr 0
		.amdhsa_user_sgpr_queue_ptr 0
		.amdhsa_user_sgpr_kernarg_segment_ptr 1
		.amdhsa_user_sgpr_dispatch_id 0
		.amdhsa_user_sgpr_flat_scratch_init 0
		.amdhsa_user_sgpr_kernarg_preload_length 0
		.amdhsa_user_sgpr_kernarg_preload_offset 0
		.amdhsa_user_sgpr_private_segment_size 0
		.amdhsa_uses_dynamic_stack 0
		.amdhsa_system_sgpr_private_segment_wavefront_offset 0
		.amdhsa_system_sgpr_workgroup_id_x 1
		.amdhsa_system_sgpr_workgroup_id_y 0
		.amdhsa_system_sgpr_workgroup_id_z 0
		.amdhsa_system_sgpr_workgroup_info 0
		.amdhsa_system_vgpr_workitem_id 0
		.amdhsa_next_free_vgpr 1
		.amdhsa_next_free_sgpr 0
		.amdhsa_accum_offset 4
		.amdhsa_reserve_vcc 0
		.amdhsa_reserve_flat_scratch 0
		.amdhsa_float_round_mode_32 0
		.amdhsa_float_round_mode_16_64 0
		.amdhsa_float_denorm_mode_32 3
		.amdhsa_float_denorm_mode_16_64 3
		.amdhsa_dx10_clamp 1
		.amdhsa_ieee_mode 1
		.amdhsa_fp16_overflow 0
		.amdhsa_tg_split 0
		.amdhsa_exception_fp_ieee_invalid_op 0
		.amdhsa_exception_fp_denorm_src 0
		.amdhsa_exception_fp_ieee_div_zero 0
		.amdhsa_exception_fp_ieee_overflow 0
		.amdhsa_exception_fp_ieee_underflow 0
		.amdhsa_exception_fp_ieee_inexact 0
		.amdhsa_exception_int_div_zero 0
	.end_amdhsa_kernel
	.section	.text._ZN7rocprim17ROCPRIM_400000_NS6detail17trampoline_kernelINS0_14default_configENS1_36segmented_radix_sort_config_selectorI12hip_bfloat16lEEZNS1_25segmented_radix_sort_implIS3_Lb1EPKS5_PS5_PKlPlN2at6native12_GLOBAL__N_18offset_tEEE10hipError_tPvRmT1_PNSt15iterator_traitsISL_E10value_typeET2_T3_PNSM_ISR_E10value_typeET4_jRbjT5_SX_jjP12ihipStream_tbEUlT_E_NS1_11comp_targetILNS1_3genE0ELNS1_11target_archE4294967295ELNS1_3gpuE0ELNS1_3repE0EEENS1_30default_config_static_selectorELNS0_4arch9wavefront6targetE1EEEvSL_,"axG",@progbits,_ZN7rocprim17ROCPRIM_400000_NS6detail17trampoline_kernelINS0_14default_configENS1_36segmented_radix_sort_config_selectorI12hip_bfloat16lEEZNS1_25segmented_radix_sort_implIS3_Lb1EPKS5_PS5_PKlPlN2at6native12_GLOBAL__N_18offset_tEEE10hipError_tPvRmT1_PNSt15iterator_traitsISL_E10value_typeET2_T3_PNSM_ISR_E10value_typeET4_jRbjT5_SX_jjP12ihipStream_tbEUlT_E_NS1_11comp_targetILNS1_3genE0ELNS1_11target_archE4294967295ELNS1_3gpuE0ELNS1_3repE0EEENS1_30default_config_static_selectorELNS0_4arch9wavefront6targetE1EEEvSL_,comdat
.Lfunc_end1944:
	.size	_ZN7rocprim17ROCPRIM_400000_NS6detail17trampoline_kernelINS0_14default_configENS1_36segmented_radix_sort_config_selectorI12hip_bfloat16lEEZNS1_25segmented_radix_sort_implIS3_Lb1EPKS5_PS5_PKlPlN2at6native12_GLOBAL__N_18offset_tEEE10hipError_tPvRmT1_PNSt15iterator_traitsISL_E10value_typeET2_T3_PNSM_ISR_E10value_typeET4_jRbjT5_SX_jjP12ihipStream_tbEUlT_E_NS1_11comp_targetILNS1_3genE0ELNS1_11target_archE4294967295ELNS1_3gpuE0ELNS1_3repE0EEENS1_30default_config_static_selectorELNS0_4arch9wavefront6targetE1EEEvSL_, .Lfunc_end1944-_ZN7rocprim17ROCPRIM_400000_NS6detail17trampoline_kernelINS0_14default_configENS1_36segmented_radix_sort_config_selectorI12hip_bfloat16lEEZNS1_25segmented_radix_sort_implIS3_Lb1EPKS5_PS5_PKlPlN2at6native12_GLOBAL__N_18offset_tEEE10hipError_tPvRmT1_PNSt15iterator_traitsISL_E10value_typeET2_T3_PNSM_ISR_E10value_typeET4_jRbjT5_SX_jjP12ihipStream_tbEUlT_E_NS1_11comp_targetILNS1_3genE0ELNS1_11target_archE4294967295ELNS1_3gpuE0ELNS1_3repE0EEENS1_30default_config_static_selectorELNS0_4arch9wavefront6targetE1EEEvSL_
                                        ; -- End function
	.section	.AMDGPU.csdata,"",@progbits
; Kernel info:
; codeLenInByte = 0
; NumSgprs: 4
; NumVgprs: 0
; NumAgprs: 0
; TotalNumVgprs: 0
; ScratchSize: 0
; MemoryBound: 0
; FloatMode: 240
; IeeeMode: 1
; LDSByteSize: 0 bytes/workgroup (compile time only)
; SGPRBlocks: 0
; VGPRBlocks: 0
; NumSGPRsForWavesPerEU: 4
; NumVGPRsForWavesPerEU: 1
; AccumOffset: 4
; Occupancy: 8
; WaveLimiterHint : 0
; COMPUTE_PGM_RSRC2:SCRATCH_EN: 0
; COMPUTE_PGM_RSRC2:USER_SGPR: 6
; COMPUTE_PGM_RSRC2:TRAP_HANDLER: 0
; COMPUTE_PGM_RSRC2:TGID_X_EN: 1
; COMPUTE_PGM_RSRC2:TGID_Y_EN: 0
; COMPUTE_PGM_RSRC2:TGID_Z_EN: 0
; COMPUTE_PGM_RSRC2:TIDIG_COMP_CNT: 0
; COMPUTE_PGM_RSRC3_GFX90A:ACCUM_OFFSET: 0
; COMPUTE_PGM_RSRC3_GFX90A:TG_SPLIT: 0
	.section	.text._ZN7rocprim17ROCPRIM_400000_NS6detail17trampoline_kernelINS0_14default_configENS1_36segmented_radix_sort_config_selectorI12hip_bfloat16lEEZNS1_25segmented_radix_sort_implIS3_Lb1EPKS5_PS5_PKlPlN2at6native12_GLOBAL__N_18offset_tEEE10hipError_tPvRmT1_PNSt15iterator_traitsISL_E10value_typeET2_T3_PNSM_ISR_E10value_typeET4_jRbjT5_SX_jjP12ihipStream_tbEUlT_E_NS1_11comp_targetILNS1_3genE5ELNS1_11target_archE942ELNS1_3gpuE9ELNS1_3repE0EEENS1_30default_config_static_selectorELNS0_4arch9wavefront6targetE1EEEvSL_,"axG",@progbits,_ZN7rocprim17ROCPRIM_400000_NS6detail17trampoline_kernelINS0_14default_configENS1_36segmented_radix_sort_config_selectorI12hip_bfloat16lEEZNS1_25segmented_radix_sort_implIS3_Lb1EPKS5_PS5_PKlPlN2at6native12_GLOBAL__N_18offset_tEEE10hipError_tPvRmT1_PNSt15iterator_traitsISL_E10value_typeET2_T3_PNSM_ISR_E10value_typeET4_jRbjT5_SX_jjP12ihipStream_tbEUlT_E_NS1_11comp_targetILNS1_3genE5ELNS1_11target_archE942ELNS1_3gpuE9ELNS1_3repE0EEENS1_30default_config_static_selectorELNS0_4arch9wavefront6targetE1EEEvSL_,comdat
	.globl	_ZN7rocprim17ROCPRIM_400000_NS6detail17trampoline_kernelINS0_14default_configENS1_36segmented_radix_sort_config_selectorI12hip_bfloat16lEEZNS1_25segmented_radix_sort_implIS3_Lb1EPKS5_PS5_PKlPlN2at6native12_GLOBAL__N_18offset_tEEE10hipError_tPvRmT1_PNSt15iterator_traitsISL_E10value_typeET2_T3_PNSM_ISR_E10value_typeET4_jRbjT5_SX_jjP12ihipStream_tbEUlT_E_NS1_11comp_targetILNS1_3genE5ELNS1_11target_archE942ELNS1_3gpuE9ELNS1_3repE0EEENS1_30default_config_static_selectorELNS0_4arch9wavefront6targetE1EEEvSL_ ; -- Begin function _ZN7rocprim17ROCPRIM_400000_NS6detail17trampoline_kernelINS0_14default_configENS1_36segmented_radix_sort_config_selectorI12hip_bfloat16lEEZNS1_25segmented_radix_sort_implIS3_Lb1EPKS5_PS5_PKlPlN2at6native12_GLOBAL__N_18offset_tEEE10hipError_tPvRmT1_PNSt15iterator_traitsISL_E10value_typeET2_T3_PNSM_ISR_E10value_typeET4_jRbjT5_SX_jjP12ihipStream_tbEUlT_E_NS1_11comp_targetILNS1_3genE5ELNS1_11target_archE942ELNS1_3gpuE9ELNS1_3repE0EEENS1_30default_config_static_selectorELNS0_4arch9wavefront6targetE1EEEvSL_
	.p2align	8
	.type	_ZN7rocprim17ROCPRIM_400000_NS6detail17trampoline_kernelINS0_14default_configENS1_36segmented_radix_sort_config_selectorI12hip_bfloat16lEEZNS1_25segmented_radix_sort_implIS3_Lb1EPKS5_PS5_PKlPlN2at6native12_GLOBAL__N_18offset_tEEE10hipError_tPvRmT1_PNSt15iterator_traitsISL_E10value_typeET2_T3_PNSM_ISR_E10value_typeET4_jRbjT5_SX_jjP12ihipStream_tbEUlT_E_NS1_11comp_targetILNS1_3genE5ELNS1_11target_archE942ELNS1_3gpuE9ELNS1_3repE0EEENS1_30default_config_static_selectorELNS0_4arch9wavefront6targetE1EEEvSL_,@function
_ZN7rocprim17ROCPRIM_400000_NS6detail17trampoline_kernelINS0_14default_configENS1_36segmented_radix_sort_config_selectorI12hip_bfloat16lEEZNS1_25segmented_radix_sort_implIS3_Lb1EPKS5_PS5_PKlPlN2at6native12_GLOBAL__N_18offset_tEEE10hipError_tPvRmT1_PNSt15iterator_traitsISL_E10value_typeET2_T3_PNSM_ISR_E10value_typeET4_jRbjT5_SX_jjP12ihipStream_tbEUlT_E_NS1_11comp_targetILNS1_3genE5ELNS1_11target_archE942ELNS1_3gpuE9ELNS1_3repE0EEENS1_30default_config_static_selectorELNS0_4arch9wavefront6targetE1EEEvSL_: ; @_ZN7rocprim17ROCPRIM_400000_NS6detail17trampoline_kernelINS0_14default_configENS1_36segmented_radix_sort_config_selectorI12hip_bfloat16lEEZNS1_25segmented_radix_sort_implIS3_Lb1EPKS5_PS5_PKlPlN2at6native12_GLOBAL__N_18offset_tEEE10hipError_tPvRmT1_PNSt15iterator_traitsISL_E10value_typeET2_T3_PNSM_ISR_E10value_typeET4_jRbjT5_SX_jjP12ihipStream_tbEUlT_E_NS1_11comp_targetILNS1_3genE5ELNS1_11target_archE942ELNS1_3gpuE9ELNS1_3repE0EEENS1_30default_config_static_selectorELNS0_4arch9wavefront6targetE1EEEvSL_
; %bb.0:
	.section	.rodata,"a",@progbits
	.p2align	6, 0x0
	.amdhsa_kernel _ZN7rocprim17ROCPRIM_400000_NS6detail17trampoline_kernelINS0_14default_configENS1_36segmented_radix_sort_config_selectorI12hip_bfloat16lEEZNS1_25segmented_radix_sort_implIS3_Lb1EPKS5_PS5_PKlPlN2at6native12_GLOBAL__N_18offset_tEEE10hipError_tPvRmT1_PNSt15iterator_traitsISL_E10value_typeET2_T3_PNSM_ISR_E10value_typeET4_jRbjT5_SX_jjP12ihipStream_tbEUlT_E_NS1_11comp_targetILNS1_3genE5ELNS1_11target_archE942ELNS1_3gpuE9ELNS1_3repE0EEENS1_30default_config_static_selectorELNS0_4arch9wavefront6targetE1EEEvSL_
		.amdhsa_group_segment_fixed_size 0
		.amdhsa_private_segment_fixed_size 0
		.amdhsa_kernarg_size 96
		.amdhsa_user_sgpr_count 6
		.amdhsa_user_sgpr_private_segment_buffer 1
		.amdhsa_user_sgpr_dispatch_ptr 0
		.amdhsa_user_sgpr_queue_ptr 0
		.amdhsa_user_sgpr_kernarg_segment_ptr 1
		.amdhsa_user_sgpr_dispatch_id 0
		.amdhsa_user_sgpr_flat_scratch_init 0
		.amdhsa_user_sgpr_kernarg_preload_length 0
		.amdhsa_user_sgpr_kernarg_preload_offset 0
		.amdhsa_user_sgpr_private_segment_size 0
		.amdhsa_uses_dynamic_stack 0
		.amdhsa_system_sgpr_private_segment_wavefront_offset 0
		.amdhsa_system_sgpr_workgroup_id_x 1
		.amdhsa_system_sgpr_workgroup_id_y 0
		.amdhsa_system_sgpr_workgroup_id_z 0
		.amdhsa_system_sgpr_workgroup_info 0
		.amdhsa_system_vgpr_workitem_id 0
		.amdhsa_next_free_vgpr 1
		.amdhsa_next_free_sgpr 0
		.amdhsa_accum_offset 4
		.amdhsa_reserve_vcc 0
		.amdhsa_reserve_flat_scratch 0
		.amdhsa_float_round_mode_32 0
		.amdhsa_float_round_mode_16_64 0
		.amdhsa_float_denorm_mode_32 3
		.amdhsa_float_denorm_mode_16_64 3
		.amdhsa_dx10_clamp 1
		.amdhsa_ieee_mode 1
		.amdhsa_fp16_overflow 0
		.amdhsa_tg_split 0
		.amdhsa_exception_fp_ieee_invalid_op 0
		.amdhsa_exception_fp_denorm_src 0
		.amdhsa_exception_fp_ieee_div_zero 0
		.amdhsa_exception_fp_ieee_overflow 0
		.amdhsa_exception_fp_ieee_underflow 0
		.amdhsa_exception_fp_ieee_inexact 0
		.amdhsa_exception_int_div_zero 0
	.end_amdhsa_kernel
	.section	.text._ZN7rocprim17ROCPRIM_400000_NS6detail17trampoline_kernelINS0_14default_configENS1_36segmented_radix_sort_config_selectorI12hip_bfloat16lEEZNS1_25segmented_radix_sort_implIS3_Lb1EPKS5_PS5_PKlPlN2at6native12_GLOBAL__N_18offset_tEEE10hipError_tPvRmT1_PNSt15iterator_traitsISL_E10value_typeET2_T3_PNSM_ISR_E10value_typeET4_jRbjT5_SX_jjP12ihipStream_tbEUlT_E_NS1_11comp_targetILNS1_3genE5ELNS1_11target_archE942ELNS1_3gpuE9ELNS1_3repE0EEENS1_30default_config_static_selectorELNS0_4arch9wavefront6targetE1EEEvSL_,"axG",@progbits,_ZN7rocprim17ROCPRIM_400000_NS6detail17trampoline_kernelINS0_14default_configENS1_36segmented_radix_sort_config_selectorI12hip_bfloat16lEEZNS1_25segmented_radix_sort_implIS3_Lb1EPKS5_PS5_PKlPlN2at6native12_GLOBAL__N_18offset_tEEE10hipError_tPvRmT1_PNSt15iterator_traitsISL_E10value_typeET2_T3_PNSM_ISR_E10value_typeET4_jRbjT5_SX_jjP12ihipStream_tbEUlT_E_NS1_11comp_targetILNS1_3genE5ELNS1_11target_archE942ELNS1_3gpuE9ELNS1_3repE0EEENS1_30default_config_static_selectorELNS0_4arch9wavefront6targetE1EEEvSL_,comdat
.Lfunc_end1945:
	.size	_ZN7rocprim17ROCPRIM_400000_NS6detail17trampoline_kernelINS0_14default_configENS1_36segmented_radix_sort_config_selectorI12hip_bfloat16lEEZNS1_25segmented_radix_sort_implIS3_Lb1EPKS5_PS5_PKlPlN2at6native12_GLOBAL__N_18offset_tEEE10hipError_tPvRmT1_PNSt15iterator_traitsISL_E10value_typeET2_T3_PNSM_ISR_E10value_typeET4_jRbjT5_SX_jjP12ihipStream_tbEUlT_E_NS1_11comp_targetILNS1_3genE5ELNS1_11target_archE942ELNS1_3gpuE9ELNS1_3repE0EEENS1_30default_config_static_selectorELNS0_4arch9wavefront6targetE1EEEvSL_, .Lfunc_end1945-_ZN7rocprim17ROCPRIM_400000_NS6detail17trampoline_kernelINS0_14default_configENS1_36segmented_radix_sort_config_selectorI12hip_bfloat16lEEZNS1_25segmented_radix_sort_implIS3_Lb1EPKS5_PS5_PKlPlN2at6native12_GLOBAL__N_18offset_tEEE10hipError_tPvRmT1_PNSt15iterator_traitsISL_E10value_typeET2_T3_PNSM_ISR_E10value_typeET4_jRbjT5_SX_jjP12ihipStream_tbEUlT_E_NS1_11comp_targetILNS1_3genE5ELNS1_11target_archE942ELNS1_3gpuE9ELNS1_3repE0EEENS1_30default_config_static_selectorELNS0_4arch9wavefront6targetE1EEEvSL_
                                        ; -- End function
	.section	.AMDGPU.csdata,"",@progbits
; Kernel info:
; codeLenInByte = 0
; NumSgprs: 4
; NumVgprs: 0
; NumAgprs: 0
; TotalNumVgprs: 0
; ScratchSize: 0
; MemoryBound: 0
; FloatMode: 240
; IeeeMode: 1
; LDSByteSize: 0 bytes/workgroup (compile time only)
; SGPRBlocks: 0
; VGPRBlocks: 0
; NumSGPRsForWavesPerEU: 4
; NumVGPRsForWavesPerEU: 1
; AccumOffset: 4
; Occupancy: 8
; WaveLimiterHint : 0
; COMPUTE_PGM_RSRC2:SCRATCH_EN: 0
; COMPUTE_PGM_RSRC2:USER_SGPR: 6
; COMPUTE_PGM_RSRC2:TRAP_HANDLER: 0
; COMPUTE_PGM_RSRC2:TGID_X_EN: 1
; COMPUTE_PGM_RSRC2:TGID_Y_EN: 0
; COMPUTE_PGM_RSRC2:TGID_Z_EN: 0
; COMPUTE_PGM_RSRC2:TIDIG_COMP_CNT: 0
; COMPUTE_PGM_RSRC3_GFX90A:ACCUM_OFFSET: 0
; COMPUTE_PGM_RSRC3_GFX90A:TG_SPLIT: 0
	.text
	.p2align	2                               ; -- Begin function _ZN7rocprim17ROCPRIM_400000_NS6detail40segmented_radix_sort_single_block_helperI12hip_bfloat16lLj256ELj8ELb1EE4sortIPKS3_PS3_PKlPlEEbT_T0_T1_T2_jjjjRNS4_12storage_typeE
	.type	_ZN7rocprim17ROCPRIM_400000_NS6detail40segmented_radix_sort_single_block_helperI12hip_bfloat16lLj256ELj8ELb1EE4sortIPKS3_PS3_PKlPlEEbT_T0_T1_T2_jjjjRNS4_12storage_typeE,@function
_ZN7rocprim17ROCPRIM_400000_NS6detail40segmented_radix_sort_single_block_helperI12hip_bfloat16lLj256ELj8ELb1EE4sortIPKS3_PS3_PKlPlEEbT_T0_T1_T2_jjjjRNS4_12storage_typeE: ; @_ZN7rocprim17ROCPRIM_400000_NS6detail40segmented_radix_sort_single_block_helperI12hip_bfloat16lLj256ELj8ELb1EE4sortIPKS3_PS3_PKlPlEEbT_T0_T1_T2_jjjjRNS4_12storage_typeE
; %bb.0:
	s_waitcnt vmcnt(0) expcnt(0) lgkmcnt(0)
	s_or_saveexec_b64 s[4:5], -1
	buffer_store_dword v40, off, s[0:3], s32 ; 4-byte Folded Spill
	s_mov_b64 exec, s[4:5]
	v_writelane_b32 v40, s34, 0
	v_writelane_b32 v40, s35, 1
	;; [unrolled: 1-line block ×16, first 2 shown]
	v_sub_u32_e32 v148, v9, v8
	s_movk_i32 s4, 0x801
	v_cmp_gt_u32_e32 vcc, s4, v148
	s_and_saveexec_b64 s[38:39], vcc
	s_cbranch_execz .LBB1946_199
; %bb.1:
	s_movk_i32 s4, 0x400
	v_cmp_lt_u32_e32 vcc, s4, v148
	v_bfe_u32 v16, v31, 10, 10
	v_bfe_u32 v17, v31, 20, 10
	v_mbcnt_lo_u32_b32 v14, -1, 0
	s_and_saveexec_b64 s[4:5], vcc
	s_xor_b64 s[40:41], exec, s[4:5]
	s_cbranch_execz .LBB1946_79
; %bb.2:
	s_load_dwordx2 s[4:5], s[8:9], 0x0
	v_mov_b32_e32 v9, 0
	v_mbcnt_hi_u32_b32 v28, -1, v14
	v_lshlrev_b64 v[20:21], 1, v[8:9]
	v_and_b32_e32 v29, 63, v28
	s_waitcnt lgkmcnt(0)
	s_cmp_lt_u32 s12, s4
	s_cselect_b32 s6, 12, 18
	s_cmp_lt_u32 s13, s5
	s_cselect_b32 s4, 14, 20
	s_add_u32 s4, s8, s4
	s_addc_u32 s5, s9, 0
	s_add_u32 s6, s8, s6
	global_load_ushort v18, v9, s[4:5]
	s_addc_u32 s7, s9, 0
	global_load_ushort v19, v9, s[6:7]
	v_add_co_u32_e32 v0, vcc, v0, v20
	v_addc_co_u32_e32 v1, vcc, v1, v21, vcc
	v_lshlrev_b32_e32 v14, 1, v29
	v_and_b32_e32 v22, 0x3ff, v31
	v_mov_b32_e32 v23, -1
	v_add_co_u32_e32 v24, vcc, v0, v14
	v_addc_co_u32_e32 v25, vcc, 0, v1, vcc
	v_mov_b32_e32 v15, v9
	s_waitcnt vmcnt(1)
	v_mad_u32_u24 v0, v17, v18, v16
	s_waitcnt vmcnt(0)
	v_mad_u64_u32 v[0:1], s[4:5], v0, v19, v[22:23]
	v_lshlrev_b32_e32 v1, 3, v0
	v_and_b32_e32 v14, 0xfffffe00, v1
	v_lshlrev_b64 v[16:17], 1, v[14:15]
	v_add_co_u32_e32 v16, vcc, v24, v16
	v_or_b32_e32 v1, v14, v29
	v_addc_co_u32_e32 v17, vcc, v25, v17, vcc
	v_cmp_lt_u32_e32 vcc, v1, v148
	v_mov_b32_e32 v24, -1
	s_and_saveexec_b64 s[4:5], vcc
	s_cbranch_execz .LBB1946_4
; %bb.3:
	flat_load_ushort v24, v[16:17]
.LBB1946_4:
	s_or_b64 exec, exec, s[4:5]
	v_or_b32_e32 v18, 64, v1
	v_cmp_lt_u32_e64 s[4:5], v18, v148
	s_and_saveexec_b64 s[6:7], s[4:5]
	s_cbranch_execz .LBB1946_6
; %bb.5:
	flat_load_ushort v23, v[16:17] offset:128
.LBB1946_6:
	s_or_b64 exec, exec, s[6:7]
	v_or_b32_e32 v18, 0x80, v1
	v_cmp_lt_u32_e64 s[6:7], v18, v148
	v_mov_b32_e32 v25, -1
	v_mov_b32_e32 v26, -1
	s_and_saveexec_b64 s[10:11], s[6:7]
	s_cbranch_execz .LBB1946_8
; %bb.7:
	flat_load_ushort v26, v[16:17] offset:256
.LBB1946_8:
	s_or_b64 exec, exec, s[10:11]
	v_or_b32_e32 v18, 0xc0, v1
	v_cmp_lt_u32_e64 s[10:11], v18, v148
	s_and_saveexec_b64 s[14:15], s[10:11]
	s_cbranch_execz .LBB1946_10
; %bb.9:
	flat_load_ushort v25, v[16:17] offset:384
.LBB1946_10:
	s_or_b64 exec, exec, s[14:15]
	v_or_b32_e32 v18, 0x100, v1
	v_cmp_lt_u32_e64 s[20:21], v18, v148
	v_mov_b32_e32 v27, -1
	v_mov_b32_e32 v30, -1
	s_and_saveexec_b64 s[14:15], s[20:21]
	s_cbranch_execz .LBB1946_12
; %bb.11:
	flat_load_ushort v30, v[16:17] offset:512
.LBB1946_12:
	;; [unrolled: 18-line block ×3, first 2 shown]
	s_or_b64 exec, exec, s[18:19]
	v_or_b32_e32 v1, 0x1c0, v1
	v_cmp_lt_u32_e64 s[18:19], v1, v148
	s_and_saveexec_b64 s[22:23], s[18:19]
	s_cbranch_execz .LBB1946_18
; %bb.17:
	flat_load_ushort v31, v[16:17] offset:896
.LBB1946_18:
	s_or_b64 exec, exec, s[22:23]
	v_lshlrev_b64 v[8:9], 3, v[8:9]
	v_add_co_u32_e64 v1, s[22:23], v4, v8
	v_addc_co_u32_e64 v4, s[22:23], v5, v9, s[22:23]
	v_lshlrev_b32_e32 v5, 3, v29
	v_add_co_u32_e64 v1, s[22:23], v1, v5
	v_addc_co_u32_e64 v16, s[22:23], 0, v4, s[22:23]
	v_lshlrev_b64 v[4:5], 3, v[14:15]
	v_add_co_u32_e64 v4, s[22:23], v1, v4
	v_addc_co_u32_e64 v5, s[22:23], v16, v5, s[22:23]
                                        ; implicit-def: $vgpr16_vgpr17
	s_and_saveexec_b64 s[22:23], vcc
	s_cbranch_execnz .LBB1946_112
; %bb.19:
	s_or_b64 exec, exec, s[22:23]
                                        ; implicit-def: $vgpr18_vgpr19
	s_and_saveexec_b64 s[22:23], s[4:5]
	s_cbranch_execnz .LBB1946_113
.LBB1946_20:
	s_or_b64 exec, exec, s[22:23]
                                        ; implicit-def: $vgpr66_vgpr67
	s_and_saveexec_b64 s[4:5], s[6:7]
	s_cbranch_execnz .LBB1946_114
.LBB1946_21:
	s_or_b64 exec, exec, s[4:5]
                                        ; implicit-def: $vgpr68_vgpr69
	s_and_saveexec_b64 s[4:5], s[10:11]
	s_cbranch_execnz .LBB1946_115
.LBB1946_22:
	s_or_b64 exec, exec, s[4:5]
                                        ; implicit-def: $vgpr80_vgpr81
	s_and_saveexec_b64 s[4:5], s[20:21]
	s_cbranch_execnz .LBB1946_116
.LBB1946_23:
	s_or_b64 exec, exec, s[4:5]
                                        ; implicit-def: $vgpr86_vgpr87
	s_and_saveexec_b64 s[4:5], s[14:15]
	s_cbranch_execnz .LBB1946_117
.LBB1946_24:
	s_or_b64 exec, exec, s[4:5]
                                        ; implicit-def: $vgpr102_vgpr103
	s_and_saveexec_b64 s[4:5], s[16:17]
	s_cbranch_execnz .LBB1946_118
.LBB1946_25:
	s_or_b64 exec, exec, s[4:5]
                                        ; implicit-def: $vgpr114_vgpr115
	s_and_saveexec_b64 s[4:5], s[18:19]
	s_cbranch_execz .LBB1946_27
.LBB1946_26:
	flat_load_dwordx2 v[114:115], v[4:5] offset:3584
.LBB1946_27:
	s_or_b64 exec, exec, s[4:5]
	v_mov_b32_e32 v1, 0x7fff
	s_waitcnt vmcnt(0) lgkmcnt(0)
	v_cmp_gt_i16_e32 vcc, 0, v24
	v_cndmask_b32_e64 v4, v1, 0, vcc
	v_cmp_gt_i16_e32 vcc, 0, v23
	v_xor_b32_e32 v71, v4, v24
	v_cndmask_b32_e64 v4, v1, 0, vcc
	v_cmp_gt_i16_e32 vcc, 0, v26
	v_xor_b32_e32 v83, v4, v23
	v_cndmask_b32_e64 v4, v1, 0, vcc
	v_cmp_gt_i16_e32 vcc, 0, v25
	v_xor_b32_e32 v85, v4, v26
	v_cndmask_b32_e64 v4, v1, 0, vcc
	v_cmp_gt_i16_e32 vcc, 0, v30
	v_xor_b32_e32 v97, v4, v25
	v_cndmask_b32_e64 v4, v1, 0, vcc
	v_cmp_gt_i16_e32 vcc, 0, v27
	v_xor_b32_e32 v99, v4, v30
	v_cndmask_b32_e64 v4, v1, 0, vcc
	v_cmp_gt_i16_e32 vcc, 0, v32
	v_xor_b32_e32 v101, v4, v27
	v_cndmask_b32_e64 v4, v1, 0, vcc
	v_cmp_gt_i16_e32 vcc, 0, v31
	v_xor_b32_e32 v113, v4, v32
	v_cndmask_b32_e64 v4, v1, 0, vcc
	v_add_co_u32_e32 v23, vcc, 16, v12
	v_xor_b32_e32 v177, v4, v31
	v_addc_co_u32_e32 v149, vcc, 0, v13, vcc
	v_lshlrev_b32_e32 v4, 4, v22
	v_add_co_u32_e32 v4, vcc, v12, v4
	s_getpc_b64 s[4:5]
	s_add_u32 s4, s4, _ZN7rocprim17ROCPRIM_400000_NS16block_radix_sortI12hip_bfloat16Lj256ELj8ElLj1ELj1ELj8ELNS0_26block_radix_rank_algorithmE2ELNS0_18block_padding_hintE2ELNS0_4arch9wavefront6targetE1EE19radix_bits_per_passE@rel32@lo+4
	s_addc_u32 s5, s5, _ZN7rocprim17ROCPRIM_400000_NS16block_radix_sortI12hip_bfloat16Lj256ELj8ElLj1ELj1ELj8ELNS0_26block_radix_rank_algorithmE2ELNS0_18block_padding_hintE2ELNS0_4arch9wavefront6targetE1EE19radix_bits_per_passE@rel32@hi+12
	v_addc_co_u32_e32 v5, vcc, 0, v13, vcc
	v_and_b32_e32 v24, 15, v28
	s_load_dword s46, s[4:5], 0x0
	v_cmp_eq_u32_e32 vcc, 0, v24
	v_cmp_lt_u32_e64 s[4:5], 1, v24
	v_cmp_lt_u32_e64 s[6:7], 3, v24
	;; [unrolled: 1-line block ×3, first 2 shown]
	v_and_b32_e32 v24, 16, v28
	v_cmp_eq_u32_e64 s[30:31], 0, v24
	v_and_b32_e32 v24, 0x3c0, v22
	v_min_u32_e32 v24, 0xc0, v24
	v_or_b32_e32 v24, 63, v24
	v_cmp_eq_u32_e64 s[16:17], v24, v22
	v_add_u32_e32 v24, -1, v28
	v_and_b32_e32 v25, 64, v28
	v_cmp_lt_i32_e64 s[22:23], v24, v25
	v_lshrrev_b32_e32 v30, 6, v22
	v_cndmask_b32_e64 v24, v24, v28, s[22:23]
	v_lshlrev_b32_e32 v151, 2, v24
	v_lshlrev_b32_e32 v24, 2, v30
	v_add_co_u32_e64 v24, s[26:27], v12, v24
	v_lshlrev_b32_e32 v14, 2, v22
	v_addc_co_u32_e64 v25, s[26:27], 0, v13, s[26:27]
	v_add_co_u32_e64 v26, s[26:27], v12, v14
	v_addc_co_u32_e64 v27, s[26:27], 0, v13, s[26:27]
	v_and_b32_e32 v14, 3, v28
	v_mov_b32_e32 v15, 0
	v_cmp_eq_u32_e64 s[26:27], 0, v14
	v_cmp_lt_u32_e64 s[28:29], 1, v14
	v_add_u32_e32 v14, -1, v30
	v_lshlrev_b64 v[30:31], 2, v[14:15]
	v_add_co_u32_e64 v38, s[34:35], v12, v30
	v_addc_co_u32_e64 v39, s[34:35], v13, v31, s[34:35]
	v_lshlrev_b32_e32 v14, 3, v22
	s_movk_i32 s34, 0x1e00
	v_and_or_b32 v14, v14, s34, v29
	v_cmp_lt_u32_e64 s[14:15], 31, v28
	v_cmp_eq_u32_e64 s[22:23], 0, v28
	v_lshlrev_b32_e32 v28, 1, v14
	v_add_co_u32_e64 v54, s[34:35], v12, v28
	v_addc_co_u32_e64 v55, s[34:35], 0, v13, s[34:35]
	v_lshrrev_b32_e32 v150, 6, v0
	v_cmp_gt_u32_e64 s[18:19], 4, v22
	v_cmp_lt_u32_e64 s[20:21], 63, v22
	v_cmp_eq_u32_e64 s[24:25], 0, v22
	v_mad_u64_u32 v[64:65], s[34:35], v14, 6, v[54:55]
	v_sub_u32_e32 v160, v11, v10
	s_mov_b64 s[42:43], 0
	s_movk_i32 s47, 0x8000
	s_waitcnt lgkmcnt(0)
	s_barrier
	s_branch .LBB1946_29
.LBB1946_28:                            ;   in Loop: Header=BB1946_29 Depth=1
	s_or_b64 exec, exec, s[36:37]
	s_and_b64 s[34:35], exec, s[44:45]
	s_or_b64 s[42:43], s[34:35], s[42:43]
	s_andn2_b64 exec, exec, s[42:43]
	s_cbranch_execz .LBB1946_53
.LBB1946_29:                            ; =>This Inner Loop Header: Depth=1
	s_waitcnt vmcnt(0)
	v_pk_mov_b32 v[52:53], v[16:17], v[16:17] op_sel:[0,1]
	v_pk_mov_b32 v[50:51], v[18:19], v[18:19] op_sel:[0,1]
	v_mov_b32_e32 v176, v71
	v_min_u32_e32 v18, s46, v160
	v_mov_b32_e32 v14, v15
	v_mov_b32_e32 v16, v15
	v_mov_b32_e32 v17, v15
	flat_store_dwordx4 v[4:5], v[14:17] offset:16
	v_cmp_ne_u16_e64 s[34:35], s47, v176
	v_lshlrev_b32_e64 v14, v18, -1
	v_not_b32_e32 v18, v14
	v_cndmask_b32_e64 v14, v1, v176, s[34:35]
	v_lshrrev_b32_sdwa v14, v10, v14 dst_sel:DWORD dst_unused:UNUSED_PAD src0_sel:DWORD src1_sel:WORD_0
	v_and_b32_e32 v14, v14, v18
	v_lshlrev_b32_e32 v16, 2, v14
	v_add_lshl_u32 v16, v16, v150, 2
	v_pk_mov_b32 v[48:49], v[66:67], v[66:67] op_sel:[0,1]
	v_add_co_u32_e64 v66, s[34:35], v23, v16
	v_addc_co_u32_e64 v67, s[34:35], 0, v149, s[34:35]
	v_and_b32_e32 v16, 1, v14
	v_add_co_u32_e64 v17, s[34:35], -1, v16
	v_addc_co_u32_e64 v19, s[34:35], 0, -1, s[34:35]
	v_cmp_ne_u32_e64 s[34:35], 0, v16
	v_xor_b32_e32 v16, s35, v19
	v_xor_b32_e32 v17, s34, v17
	v_pk_mov_b32 v[36:37], v[68:69], v[68:69] op_sel:[0,1]
	v_and_b32_e32 v19, exec_hi, v16
	v_and_b32_e32 v68, exec_lo, v17
	v_lshlrev_b32_e32 v17, 30, v14
	v_mov_b32_e32 v16, v15
	v_cmp_gt_i64_e64 s[34:35], 0, v[16:17]
	v_not_b32_e32 v16, v17
	v_ashrrev_i32_e32 v16, 31, v16
	v_xor_b32_e32 v17, s35, v16
	v_xor_b32_e32 v16, s34, v16
	v_and_b32_e32 v19, v19, v17
	v_and_b32_e32 v68, v68, v16
	v_lshlrev_b32_e32 v17, 29, v14
	v_mov_b32_e32 v16, v15
	v_cmp_gt_i64_e64 s[34:35], 0, v[16:17]
	v_not_b32_e32 v16, v17
	v_ashrrev_i32_e32 v16, 31, v16
	v_xor_b32_e32 v17, s35, v16
	v_xor_b32_e32 v16, s34, v16
	v_and_b32_e32 v19, v19, v17
	v_and_b32_e32 v68, v68, v16
	;; [unrolled: 9-line block ×5, first 2 shown]
	v_lshlrev_b32_e32 v17, 25, v14
	v_mov_b32_e32 v16, v15
	v_cmp_gt_i64_e64 s[34:35], 0, v[16:17]
	v_not_b32_e32 v16, v17
	v_ashrrev_i32_e32 v16, 31, v16
	v_xor_b32_e32 v17, s35, v16
	v_xor_b32_e32 v16, s34, v16
	v_and_b32_e32 v19, v19, v17
	v_lshlrev_b32_e32 v17, 24, v14
	v_and_b32_e32 v68, v68, v16
	v_mov_b32_e32 v16, v15
	v_not_b32_e32 v14, v17
	v_cmp_gt_i64_e64 s[34:35], 0, v[16:17]
	v_ashrrev_i32_e32 v14, 31, v14
	v_xor_b32_e32 v16, s35, v14
	v_xor_b32_e32 v14, s34, v14
	v_and_b32_e32 v17, v19, v16
	v_and_b32_e32 v16, v68, v14
	v_mbcnt_lo_u32_b32 v14, v16, 0
	v_mbcnt_hi_u32_b32 v14, v17, v14
	v_cmp_eq_u32_e64 s[34:35], 0, v14
	v_cmp_ne_u64_e64 s[36:37], 0, v[16:17]
	v_pk_mov_b32 v[34:35], v[80:81], v[80:81] op_sel:[0,1]
	v_pk_mov_b32 v[32:33], v[86:87], v[86:87] op_sel:[0,1]
	;; [unrolled: 1-line block ×4, first 2 shown]
	v_mov_b32_e32 v167, v83
	v_mov_b32_e32 v166, v85
	;; [unrolled: 1-line block ×7, first 2 shown]
	s_and_b64 s[36:37], s[36:37], s[34:35]
	s_waitcnt lgkmcnt(0)
	s_barrier
	s_waitcnt lgkmcnt(0)
	; wave barrier
	s_and_saveexec_b64 s[34:35], s[36:37]
	s_cbranch_execz .LBB1946_31
; %bb.30:                               ;   in Loop: Header=BB1946_29 Depth=1
	v_bcnt_u32_b32 v16, v16, 0
	v_bcnt_u32_b32 v16, v17, v16
	flat_store_dword v[66:67], v16
.LBB1946_31:                            ;   in Loop: Header=BB1946_29 Depth=1
	s_or_b64 exec, exec, s[34:35]
	v_cmp_ne_u16_e64 s[34:35], s47, v167
	v_cndmask_b32_e64 v16, v1, v167, s[34:35]
	v_lshrrev_b32_sdwa v16, v10, v16 dst_sel:DWORD dst_unused:UNUSED_PAD src0_sel:DWORD src1_sel:WORD_0
	v_and_b32_e32 v19, v16, v18
	v_lshlrev_b32_e32 v16, 2, v19
	v_add_lshl_u32 v16, v16, v150, 2
	v_add_co_u32_e64 v68, s[34:35], v23, v16
	v_addc_co_u32_e64 v69, s[34:35], 0, v149, s[34:35]
	; wave barrier
	flat_load_dword v98, v[68:69]
	v_and_b32_e32 v16, 1, v19
	v_add_co_u32_e64 v17, s[34:35], -1, v16
	v_addc_co_u32_e64 v70, s[34:35], 0, -1, s[34:35]
	v_cmp_ne_u32_e64 s[34:35], 0, v16
	v_xor_b32_e32 v16, s35, v70
	v_xor_b32_e32 v17, s34, v17
	v_and_b32_e32 v70, exec_hi, v16
	v_and_b32_e32 v71, exec_lo, v17
	v_lshlrev_b32_e32 v17, 30, v19
	v_mov_b32_e32 v16, v15
	v_cmp_gt_i64_e64 s[34:35], 0, v[16:17]
	v_not_b32_e32 v16, v17
	v_ashrrev_i32_e32 v16, 31, v16
	v_xor_b32_e32 v17, s35, v16
	v_xor_b32_e32 v16, s34, v16
	v_and_b32_e32 v70, v70, v17
	v_and_b32_e32 v71, v71, v16
	v_lshlrev_b32_e32 v17, 29, v19
	v_mov_b32_e32 v16, v15
	v_cmp_gt_i64_e64 s[34:35], 0, v[16:17]
	v_not_b32_e32 v16, v17
	v_ashrrev_i32_e32 v16, 31, v16
	v_xor_b32_e32 v17, s35, v16
	v_xor_b32_e32 v16, s34, v16
	v_and_b32_e32 v70, v70, v17
	v_and_b32_e32 v71, v71, v16
	v_lshlrev_b32_e32 v17, 28, v19
	v_mov_b32_e32 v16, v15
	v_cmp_gt_i64_e64 s[34:35], 0, v[16:17]
	v_not_b32_e32 v16, v17
	v_ashrrev_i32_e32 v16, 31, v16
	v_xor_b32_e32 v17, s35, v16
	v_xor_b32_e32 v16, s34, v16
	v_and_b32_e32 v70, v70, v17
	v_and_b32_e32 v71, v71, v16
	v_lshlrev_b32_e32 v17, 27, v19
	v_mov_b32_e32 v16, v15
	v_cmp_gt_i64_e64 s[34:35], 0, v[16:17]
	v_not_b32_e32 v16, v17
	v_ashrrev_i32_e32 v16, 31, v16
	v_xor_b32_e32 v17, s35, v16
	v_xor_b32_e32 v16, s34, v16
	v_and_b32_e32 v70, v70, v17
	v_and_b32_e32 v71, v71, v16
	v_lshlrev_b32_e32 v17, 26, v19
	v_mov_b32_e32 v16, v15
	v_cmp_gt_i64_e64 s[34:35], 0, v[16:17]
	v_not_b32_e32 v16, v17
	v_ashrrev_i32_e32 v16, 31, v16
	v_xor_b32_e32 v17, s35, v16
	v_xor_b32_e32 v16, s34, v16
	v_and_b32_e32 v70, v70, v17
	v_and_b32_e32 v71, v71, v16
	v_lshlrev_b32_e32 v17, 25, v19
	v_mov_b32_e32 v16, v15
	v_cmp_gt_i64_e64 s[34:35], 0, v[16:17]
	v_not_b32_e32 v16, v17
	v_ashrrev_i32_e32 v16, 31, v16
	v_xor_b32_e32 v17, s35, v16
	v_xor_b32_e32 v16, s34, v16
	v_and_b32_e32 v70, v70, v17
	v_and_b32_e32 v71, v71, v16
	v_lshlrev_b32_e32 v17, 24, v19
	v_mov_b32_e32 v16, v15
	v_cmp_gt_i64_e64 s[34:35], 0, v[16:17]
	v_not_b32_e32 v16, v17
	v_ashrrev_i32_e32 v16, 31, v16
	v_xor_b32_e32 v17, s35, v16
	v_xor_b32_e32 v16, s34, v16
	v_and_b32_e32 v16, v71, v16
	v_and_b32_e32 v17, v70, v17
	v_mbcnt_lo_u32_b32 v19, v16, 0
	v_mbcnt_hi_u32_b32 v100, v17, v19
	v_cmp_eq_u32_e64 s[34:35], 0, v100
	v_cmp_ne_u64_e64 s[36:37], 0, v[16:17]
	s_and_b64 s[36:37], s[36:37], s[34:35]
	; wave barrier
	s_and_saveexec_b64 s[34:35], s[36:37]
	s_cbranch_execz .LBB1946_33
; %bb.32:                               ;   in Loop: Header=BB1946_29 Depth=1
	v_bcnt_u32_b32 v16, v16, 0
	v_bcnt_u32_b32 v16, v17, v16
	s_waitcnt vmcnt(0) lgkmcnt(0)
	v_add_u32_e32 v16, v98, v16
	flat_store_dword v[68:69], v16
.LBB1946_33:                            ;   in Loop: Header=BB1946_29 Depth=1
	s_or_b64 exec, exec, s[34:35]
	v_cmp_ne_u16_e64 s[34:35], s47, v166
	v_cndmask_b32_e64 v16, v1, v166, s[34:35]
	v_lshrrev_b32_sdwa v16, v10, v16 dst_sel:DWORD dst_unused:UNUSED_PAD src0_sel:DWORD src1_sel:WORD_0
	v_and_b32_e32 v19, v16, v18
	v_lshlrev_b32_e32 v16, 2, v19
	v_add_lshl_u32 v16, v16, v150, 2
	v_add_co_u32_e64 v70, s[34:35], v23, v16
	v_addc_co_u32_e64 v71, s[34:35], 0, v149, s[34:35]
	; wave barrier
	flat_load_dword v102, v[70:71]
	v_and_b32_e32 v16, 1, v19
	v_add_co_u32_e64 v17, s[34:35], -1, v16
	v_addc_co_u32_e64 v80, s[34:35], 0, -1, s[34:35]
	v_cmp_ne_u32_e64 s[34:35], 0, v16
	v_xor_b32_e32 v16, s35, v80
	v_xor_b32_e32 v17, s34, v17
	v_and_b32_e32 v80, exec_hi, v16
	v_and_b32_e32 v81, exec_lo, v17
	v_lshlrev_b32_e32 v17, 30, v19
	v_mov_b32_e32 v16, v15
	v_cmp_gt_i64_e64 s[34:35], 0, v[16:17]
	v_not_b32_e32 v16, v17
	v_ashrrev_i32_e32 v16, 31, v16
	v_xor_b32_e32 v17, s35, v16
	v_xor_b32_e32 v16, s34, v16
	v_and_b32_e32 v80, v80, v17
	v_and_b32_e32 v81, v81, v16
	v_lshlrev_b32_e32 v17, 29, v19
	v_mov_b32_e32 v16, v15
	v_cmp_gt_i64_e64 s[34:35], 0, v[16:17]
	v_not_b32_e32 v16, v17
	v_ashrrev_i32_e32 v16, 31, v16
	v_xor_b32_e32 v17, s35, v16
	v_xor_b32_e32 v16, s34, v16
	v_and_b32_e32 v80, v80, v17
	v_and_b32_e32 v81, v81, v16
	;; [unrolled: 9-line block ×7, first 2 shown]
	v_mbcnt_lo_u32_b32 v19, v16, 0
	v_mbcnt_hi_u32_b32 v103, v17, v19
	v_cmp_eq_u32_e64 s[34:35], 0, v103
	v_cmp_ne_u64_e64 s[36:37], 0, v[16:17]
	s_and_b64 s[36:37], s[36:37], s[34:35]
	; wave barrier
	s_and_saveexec_b64 s[34:35], s[36:37]
	s_cbranch_execz .LBB1946_35
; %bb.34:                               ;   in Loop: Header=BB1946_29 Depth=1
	v_bcnt_u32_b32 v16, v16, 0
	v_bcnt_u32_b32 v16, v17, v16
	s_waitcnt vmcnt(0) lgkmcnt(0)
	v_add_u32_e32 v16, v102, v16
	flat_store_dword v[70:71], v16
.LBB1946_35:                            ;   in Loop: Header=BB1946_29 Depth=1
	s_or_b64 exec, exec, s[34:35]
	v_cmp_ne_u16_e64 s[34:35], s47, v165
	v_cndmask_b32_e64 v16, v1, v165, s[34:35]
	v_lshrrev_b32_sdwa v16, v10, v16 dst_sel:DWORD dst_unused:UNUSED_PAD src0_sel:DWORD src1_sel:WORD_0
	v_and_b32_e32 v19, v16, v18
	v_lshlrev_b32_e32 v16, 2, v19
	v_add_lshl_u32 v16, v16, v150, 2
	v_add_co_u32_e64 v80, s[34:35], v23, v16
	v_addc_co_u32_e64 v81, s[34:35], 0, v149, s[34:35]
	; wave barrier
	flat_load_dword v112, v[80:81]
	v_and_b32_e32 v16, 1, v19
	v_add_co_u32_e64 v17, s[34:35], -1, v16
	v_addc_co_u32_e64 v82, s[34:35], 0, -1, s[34:35]
	v_cmp_ne_u32_e64 s[34:35], 0, v16
	v_xor_b32_e32 v16, s35, v82
	v_xor_b32_e32 v17, s34, v17
	v_and_b32_e32 v82, exec_hi, v16
	v_and_b32_e32 v83, exec_lo, v17
	v_lshlrev_b32_e32 v17, 30, v19
	v_mov_b32_e32 v16, v15
	v_cmp_gt_i64_e64 s[34:35], 0, v[16:17]
	v_not_b32_e32 v16, v17
	v_ashrrev_i32_e32 v16, 31, v16
	v_xor_b32_e32 v17, s35, v16
	v_xor_b32_e32 v16, s34, v16
	v_and_b32_e32 v82, v82, v17
	v_and_b32_e32 v83, v83, v16
	v_lshlrev_b32_e32 v17, 29, v19
	v_mov_b32_e32 v16, v15
	v_cmp_gt_i64_e64 s[34:35], 0, v[16:17]
	v_not_b32_e32 v16, v17
	v_ashrrev_i32_e32 v16, 31, v16
	v_xor_b32_e32 v17, s35, v16
	v_xor_b32_e32 v16, s34, v16
	v_and_b32_e32 v82, v82, v17
	v_and_b32_e32 v83, v83, v16
	;; [unrolled: 9-line block ×7, first 2 shown]
	v_mbcnt_lo_u32_b32 v19, v16, 0
	v_mbcnt_hi_u32_b32 v114, v17, v19
	v_cmp_eq_u32_e64 s[34:35], 0, v114
	v_cmp_ne_u64_e64 s[36:37], 0, v[16:17]
	s_and_b64 s[36:37], s[36:37], s[34:35]
	; wave barrier
	s_and_saveexec_b64 s[34:35], s[36:37]
	s_cbranch_execz .LBB1946_37
; %bb.36:                               ;   in Loop: Header=BB1946_29 Depth=1
	v_bcnt_u32_b32 v16, v16, 0
	v_bcnt_u32_b32 v16, v17, v16
	s_waitcnt vmcnt(0) lgkmcnt(0)
	v_add_u32_e32 v16, v112, v16
	flat_store_dword v[80:81], v16
.LBB1946_37:                            ;   in Loop: Header=BB1946_29 Depth=1
	s_or_b64 exec, exec, s[34:35]
	v_cmp_ne_u16_e64 s[34:35], s47, v164
	v_cndmask_b32_e64 v16, v1, v164, s[34:35]
	v_lshrrev_b32_sdwa v16, v10, v16 dst_sel:DWORD dst_unused:UNUSED_PAD src0_sel:DWORD src1_sel:WORD_0
	v_and_b32_e32 v19, v16, v18
	v_lshlrev_b32_e32 v16, 2, v19
	v_add_lshl_u32 v16, v16, v150, 2
	v_add_co_u32_e64 v82, s[34:35], v23, v16
	v_addc_co_u32_e64 v83, s[34:35], 0, v149, s[34:35]
	; wave barrier
	flat_load_dword v115, v[82:83]
	v_and_b32_e32 v16, 1, v19
	v_add_co_u32_e64 v17, s[34:35], -1, v16
	v_addc_co_u32_e64 v84, s[34:35], 0, -1, s[34:35]
	v_cmp_ne_u32_e64 s[34:35], 0, v16
	v_xor_b32_e32 v16, s35, v84
	v_xor_b32_e32 v17, s34, v17
	v_and_b32_e32 v84, exec_hi, v16
	v_and_b32_e32 v85, exec_lo, v17
	v_lshlrev_b32_e32 v17, 30, v19
	v_mov_b32_e32 v16, v15
	v_cmp_gt_i64_e64 s[34:35], 0, v[16:17]
	v_not_b32_e32 v16, v17
	v_ashrrev_i32_e32 v16, 31, v16
	v_xor_b32_e32 v17, s35, v16
	v_xor_b32_e32 v16, s34, v16
	v_and_b32_e32 v84, v84, v17
	v_and_b32_e32 v85, v85, v16
	v_lshlrev_b32_e32 v17, 29, v19
	v_mov_b32_e32 v16, v15
	v_cmp_gt_i64_e64 s[34:35], 0, v[16:17]
	v_not_b32_e32 v16, v17
	v_ashrrev_i32_e32 v16, 31, v16
	v_xor_b32_e32 v17, s35, v16
	v_xor_b32_e32 v16, s34, v16
	v_and_b32_e32 v84, v84, v17
	v_and_b32_e32 v85, v85, v16
	;; [unrolled: 9-line block ×7, first 2 shown]
	v_mbcnt_lo_u32_b32 v19, v16, 0
	v_mbcnt_hi_u32_b32 v116, v17, v19
	v_cmp_eq_u32_e64 s[34:35], 0, v116
	v_cmp_ne_u64_e64 s[36:37], 0, v[16:17]
	s_and_b64 s[36:37], s[36:37], s[34:35]
	; wave barrier
	s_and_saveexec_b64 s[34:35], s[36:37]
	s_cbranch_execz .LBB1946_39
; %bb.38:                               ;   in Loop: Header=BB1946_29 Depth=1
	v_bcnt_u32_b32 v16, v16, 0
	v_bcnt_u32_b32 v16, v17, v16
	s_waitcnt vmcnt(0) lgkmcnt(0)
	v_add_u32_e32 v16, v115, v16
	flat_store_dword v[82:83], v16
.LBB1946_39:                            ;   in Loop: Header=BB1946_29 Depth=1
	s_or_b64 exec, exec, s[34:35]
	v_cmp_ne_u16_e64 s[34:35], s47, v163
	v_cndmask_b32_e64 v16, v1, v163, s[34:35]
	v_lshrrev_b32_sdwa v16, v10, v16 dst_sel:DWORD dst_unused:UNUSED_PAD src0_sel:DWORD src1_sel:WORD_0
	v_and_b32_e32 v19, v16, v18
	v_lshlrev_b32_e32 v16, 2, v19
	v_add_lshl_u32 v16, v16, v150, 2
	v_add_co_u32_e64 v84, s[34:35], v23, v16
	v_addc_co_u32_e64 v85, s[34:35], 0, v149, s[34:35]
	; wave barrier
	flat_load_dword v117, v[84:85]
	v_and_b32_e32 v16, 1, v19
	v_add_co_u32_e64 v17, s[34:35], -1, v16
	v_addc_co_u32_e64 v86, s[34:35], 0, -1, s[34:35]
	v_cmp_ne_u32_e64 s[34:35], 0, v16
	v_xor_b32_e32 v16, s35, v86
	v_xor_b32_e32 v17, s34, v17
	v_and_b32_e32 v86, exec_hi, v16
	v_and_b32_e32 v87, exec_lo, v17
	v_lshlrev_b32_e32 v17, 30, v19
	v_mov_b32_e32 v16, v15
	v_cmp_gt_i64_e64 s[34:35], 0, v[16:17]
	v_not_b32_e32 v16, v17
	v_ashrrev_i32_e32 v16, 31, v16
	v_xor_b32_e32 v17, s35, v16
	v_xor_b32_e32 v16, s34, v16
	v_and_b32_e32 v86, v86, v17
	v_and_b32_e32 v87, v87, v16
	v_lshlrev_b32_e32 v17, 29, v19
	v_mov_b32_e32 v16, v15
	v_cmp_gt_i64_e64 s[34:35], 0, v[16:17]
	v_not_b32_e32 v16, v17
	v_ashrrev_i32_e32 v16, 31, v16
	v_xor_b32_e32 v17, s35, v16
	v_xor_b32_e32 v16, s34, v16
	v_and_b32_e32 v86, v86, v17
	v_and_b32_e32 v87, v87, v16
	;; [unrolled: 9-line block ×7, first 2 shown]
	v_mbcnt_lo_u32_b32 v19, v16, 0
	v_mbcnt_hi_u32_b32 v118, v17, v19
	v_cmp_eq_u32_e64 s[34:35], 0, v118
	v_cmp_ne_u64_e64 s[36:37], 0, v[16:17]
	s_and_b64 s[36:37], s[36:37], s[34:35]
	; wave barrier
	s_and_saveexec_b64 s[34:35], s[36:37]
	s_cbranch_execz .LBB1946_41
; %bb.40:                               ;   in Loop: Header=BB1946_29 Depth=1
	v_bcnt_u32_b32 v16, v16, 0
	v_bcnt_u32_b32 v16, v17, v16
	s_waitcnt vmcnt(0) lgkmcnt(0)
	v_add_u32_e32 v16, v117, v16
	flat_store_dword v[84:85], v16
.LBB1946_41:                            ;   in Loop: Header=BB1946_29 Depth=1
	s_or_b64 exec, exec, s[34:35]
	v_cmp_ne_u16_e64 s[34:35], s47, v162
	v_cndmask_b32_e64 v16, v1, v162, s[34:35]
	v_lshrrev_b32_sdwa v16, v10, v16 dst_sel:DWORD dst_unused:UNUSED_PAD src0_sel:DWORD src1_sel:WORD_0
	v_and_b32_e32 v19, v16, v18
	v_lshlrev_b32_e32 v16, 2, v19
	v_add_lshl_u32 v16, v16, v150, 2
	v_add_co_u32_e64 v86, s[34:35], v23, v16
	v_addc_co_u32_e64 v87, s[34:35], 0, v149, s[34:35]
	; wave barrier
	flat_load_dword v119, v[86:87]
	v_and_b32_e32 v16, 1, v19
	v_add_co_u32_e64 v17, s[34:35], -1, v16
	v_addc_co_u32_e64 v96, s[34:35], 0, -1, s[34:35]
	v_cmp_ne_u32_e64 s[34:35], 0, v16
	v_xor_b32_e32 v16, s35, v96
	v_xor_b32_e32 v17, s34, v17
	v_and_b32_e32 v96, exec_hi, v16
	v_and_b32_e32 v97, exec_lo, v17
	v_lshlrev_b32_e32 v17, 30, v19
	v_mov_b32_e32 v16, v15
	v_cmp_gt_i64_e64 s[34:35], 0, v[16:17]
	v_not_b32_e32 v16, v17
	v_ashrrev_i32_e32 v16, 31, v16
	v_xor_b32_e32 v17, s35, v16
	v_xor_b32_e32 v16, s34, v16
	v_and_b32_e32 v96, v96, v17
	v_and_b32_e32 v97, v97, v16
	v_lshlrev_b32_e32 v17, 29, v19
	v_mov_b32_e32 v16, v15
	v_cmp_gt_i64_e64 s[34:35], 0, v[16:17]
	v_not_b32_e32 v16, v17
	v_ashrrev_i32_e32 v16, 31, v16
	v_xor_b32_e32 v17, s35, v16
	v_xor_b32_e32 v16, s34, v16
	v_and_b32_e32 v96, v96, v17
	v_and_b32_e32 v97, v97, v16
	;; [unrolled: 9-line block ×7, first 2 shown]
	v_mbcnt_lo_u32_b32 v19, v16, 0
	v_mbcnt_hi_u32_b32 v128, v17, v19
	v_cmp_eq_u32_e64 s[34:35], 0, v128
	v_cmp_ne_u64_e64 s[36:37], 0, v[16:17]
	s_and_b64 s[36:37], s[36:37], s[34:35]
	; wave barrier
	s_and_saveexec_b64 s[34:35], s[36:37]
	s_cbranch_execz .LBB1946_43
; %bb.42:                               ;   in Loop: Header=BB1946_29 Depth=1
	v_bcnt_u32_b32 v16, v16, 0
	v_bcnt_u32_b32 v16, v17, v16
	s_waitcnt vmcnt(0) lgkmcnt(0)
	v_add_u32_e32 v16, v119, v16
	flat_store_dword v[86:87], v16
.LBB1946_43:                            ;   in Loop: Header=BB1946_29 Depth=1
	s_or_b64 exec, exec, s[34:35]
	v_cmp_ne_u16_e64 s[34:35], s47, v161
	v_cndmask_b32_e64 v16, v1, v161, s[34:35]
	v_lshrrev_b32_sdwa v16, v10, v16 dst_sel:DWORD dst_unused:UNUSED_PAD src0_sel:DWORD src1_sel:WORD_0
	v_and_b32_e32 v18, v16, v18
	v_lshlrev_b32_e32 v16, 2, v18
	v_add_lshl_u32 v16, v16, v150, 2
	v_add_co_u32_e64 v96, s[34:35], v23, v16
	v_addc_co_u32_e64 v97, s[34:35], 0, v149, s[34:35]
	; wave barrier
	flat_load_dword v129, v[96:97]
	v_and_b32_e32 v16, 1, v18
	v_add_co_u32_e64 v17, s[34:35], -1, v16
	v_addc_co_u32_e64 v19, s[34:35], 0, -1, s[34:35]
	v_cmp_ne_u32_e64 s[34:35], 0, v16
	v_xor_b32_e32 v16, s35, v19
	v_xor_b32_e32 v17, s34, v17
	v_and_b32_e32 v19, exec_hi, v16
	v_and_b32_e32 v99, exec_lo, v17
	v_lshlrev_b32_e32 v17, 30, v18
	v_mov_b32_e32 v16, v15
	v_cmp_gt_i64_e64 s[34:35], 0, v[16:17]
	v_not_b32_e32 v16, v17
	v_ashrrev_i32_e32 v16, 31, v16
	v_xor_b32_e32 v17, s35, v16
	v_xor_b32_e32 v16, s34, v16
	v_and_b32_e32 v19, v19, v17
	v_and_b32_e32 v99, v99, v16
	v_lshlrev_b32_e32 v17, 29, v18
	v_mov_b32_e32 v16, v15
	v_cmp_gt_i64_e64 s[34:35], 0, v[16:17]
	v_not_b32_e32 v16, v17
	v_ashrrev_i32_e32 v16, 31, v16
	v_xor_b32_e32 v17, s35, v16
	v_xor_b32_e32 v16, s34, v16
	v_and_b32_e32 v19, v19, v17
	v_and_b32_e32 v99, v99, v16
	;; [unrolled: 9-line block ×7, first 2 shown]
	v_mbcnt_lo_u32_b32 v18, v16, 0
	v_mbcnt_hi_u32_b32 v130, v17, v18
	v_cmp_eq_u32_e64 s[34:35], 0, v130
	v_cmp_ne_u64_e64 s[36:37], 0, v[16:17]
	s_and_b64 s[36:37], s[36:37], s[34:35]
	; wave barrier
	s_and_saveexec_b64 s[34:35], s[36:37]
	s_cbranch_execz .LBB1946_45
; %bb.44:                               ;   in Loop: Header=BB1946_29 Depth=1
	v_bcnt_u32_b32 v16, v16, 0
	v_bcnt_u32_b32 v16, v17, v16
	s_waitcnt vmcnt(0) lgkmcnt(0)
	v_add_u32_e32 v16, v129, v16
	flat_store_dword v[96:97], v16
.LBB1946_45:                            ;   in Loop: Header=BB1946_29 Depth=1
	s_or_b64 exec, exec, s[34:35]
	; wave barrier
	s_waitcnt lgkmcnt(0)
	s_barrier
	flat_load_dwordx4 v[16:19], v[4:5] offset:16
	s_waitcnt vmcnt(0) lgkmcnt(0)
	v_add_u32_e32 v99, v17, v16
	v_add3_u32 v19, v99, v18, v19
	s_nop 1
	v_mov_b32_dpp v99, v19 row_shr:1 row_mask:0xf bank_mask:0xf
	v_cndmask_b32_e64 v99, v99, 0, vcc
	v_add_u32_e32 v19, v99, v19
	s_nop 1
	v_mov_b32_dpp v99, v19 row_shr:2 row_mask:0xf bank_mask:0xf
	v_cndmask_b32_e64 v99, 0, v99, s[4:5]
	v_add_u32_e32 v19, v19, v99
	s_nop 1
	v_mov_b32_dpp v99, v19 row_shr:4 row_mask:0xf bank_mask:0xf
	v_cndmask_b32_e64 v99, 0, v99, s[6:7]
	;; [unrolled: 4-line block ×3, first 2 shown]
	v_add_u32_e32 v19, v19, v99
	s_nop 1
	v_mov_b32_dpp v99, v19 row_bcast:15 row_mask:0xf bank_mask:0xf
	v_cndmask_b32_e64 v99, v99, 0, s[30:31]
	v_add_u32_e32 v19, v19, v99
	s_nop 1
	v_mov_b32_dpp v99, v19 row_bcast:31 row_mask:0xf bank_mask:0xf
	v_cndmask_b32_e64 v99, 0, v99, s[14:15]
	v_add_u32_e32 v19, v19, v99
	s_and_saveexec_b64 s[34:35], s[16:17]
	s_cbranch_execz .LBB1946_47
; %bb.46:                               ;   in Loop: Header=BB1946_29 Depth=1
	flat_store_dword v[24:25], v19
.LBB1946_47:                            ;   in Loop: Header=BB1946_29 Depth=1
	s_or_b64 exec, exec, s[34:35]
	s_waitcnt lgkmcnt(0)
	s_barrier
	s_and_saveexec_b64 s[34:35], s[18:19]
	s_cbranch_execz .LBB1946_49
; %bb.48:                               ;   in Loop: Header=BB1946_29 Depth=1
	flat_load_dword v99, v[26:27]
	s_waitcnt vmcnt(0) lgkmcnt(0)
	s_nop 0
	v_mov_b32_dpp v101, v99 row_shr:1 row_mask:0xf bank_mask:0xf
	v_cndmask_b32_e64 v101, v101, 0, s[26:27]
	v_add_u32_e32 v99, v101, v99
	s_nop 1
	v_mov_b32_dpp v101, v99 row_shr:2 row_mask:0xf bank_mask:0xf
	v_cndmask_b32_e64 v101, 0, v101, s[28:29]
	v_add_u32_e32 v99, v99, v101
	flat_store_dword v[26:27], v99
.LBB1946_49:                            ;   in Loop: Header=BB1946_29 Depth=1
	s_or_b64 exec, exec, s[34:35]
	v_mov_b32_e32 v99, 0
	s_waitcnt lgkmcnt(0)
	s_barrier
	s_and_saveexec_b64 s[34:35], s[20:21]
	s_cbranch_execz .LBB1946_51
; %bb.50:                               ;   in Loop: Header=BB1946_29 Depth=1
	flat_load_dword v99, v[38:39]
.LBB1946_51:                            ;   in Loop: Header=BB1946_29 Depth=1
	s_or_b64 exec, exec, s[34:35]
	s_waitcnt vmcnt(0) lgkmcnt(0)
	v_add_u32_e32 v19, v99, v19
	ds_bpermute_b32 v19, v151, v19
	v_mov_b32_e32 v101, v15
	v_mov_b32_e32 v113, v15
	v_add_u32_e32 v10, 8, v10
	v_cmp_lt_u32_e64 s[34:35], v10, v11
	s_waitcnt lgkmcnt(0)
	v_cndmask_b32_e64 v19, v19, v99, s[22:23]
	v_cndmask_b32_e64 v132, v19, 0, s[24:25]
	v_add_u32_e32 v133, v132, v16
	v_add_u32_e32 v134, v133, v17
	;; [unrolled: 1-line block ×3, first 2 shown]
	flat_store_dwordx4 v[4:5], v[132:135] offset:16
	s_waitcnt lgkmcnt(0)
	s_barrier
	flat_load_dword v16, v[66:67]
	flat_load_dword v17, v[68:69]
	;; [unrolled: 1-line block ×8, first 2 shown]
	v_mov_b32_e32 v71, v15
	v_mov_b32_e32 v83, v15
	v_mov_b32_e32 v85, v15
	v_mov_b32_e32 v97, v15
	v_mov_b32_e32 v99, v15
	s_mov_b64 s[44:45], -1
	s_waitcnt lgkmcnt(0)
                                        ; implicit-def: $vgpr177
	s_waitcnt vmcnt(0) lgkmcnt(0)
	v_add_u32_e32 v14, v16, v14
	v_add3_u32 v70, v100, v98, v17
	v_lshlrev_b64 v[16:17], 1, v[14:15]
	v_add3_u32 v82, v103, v102, v18
	v_add3_u32 v96, v116, v115, v131
	v_add_co_u32_e64 v116, s[36:37], v12, v16
	v_add3_u32 v84, v114, v112, v19
	v_add3_u32 v98, v118, v117, v132
	v_lshlrev_b64 v[18:19], 1, v[70:71]
	v_addc_co_u32_e64 v117, s[36:37], v13, v17, s[36:37]
	v_add_co_u32_e64 v118, s[36:37], v12, v18
	v_add3_u32 v100, v128, v119, v133
	v_lshlrev_b64 v[66:67], 1, v[82:83]
	v_addc_co_u32_e64 v119, s[36:37], v13, v19, s[36:37]
	v_add_co_u32_e64 v128, s[36:37], v12, v66
	;; [unrolled: 4-line block ×3, first 2 shown]
	v_lshlrev_b64 v[80:81], 1, v[96:97]
	v_addc_co_u32_e64 v131, s[36:37], v13, v69, s[36:37]
	v_add_co_u32_e64 v132, s[36:37], v12, v80
	v_lshlrev_b64 v[86:87], 1, v[98:99]
	v_addc_co_u32_e64 v133, s[36:37], v13, v81, s[36:37]
	v_add_co_u32_e64 v134, s[36:37], v12, v86
	;; [unrolled: 3-line block ×4, first 2 shown]
	v_addc_co_u32_e64 v147, s[36:37], v13, v115, s[36:37]
                                        ; implicit-def: $vgpr16_vgpr17
                                        ; implicit-def: $vgpr18_vgpr19
                                        ; implicit-def: $vgpr66_vgpr67
                                        ; implicit-def: $vgpr68_vgpr69
                                        ; implicit-def: $vgpr80_vgpr81
                                        ; implicit-def: $vgpr86_vgpr87
                                        ; implicit-def: $vgpr102_vgpr103
                                        ; implicit-def: $vgpr114_vgpr115
                                        ; implicit-def: $vgpr71
                                        ; implicit-def: $vgpr83
                                        ; implicit-def: $vgpr85
                                        ; implicit-def: $vgpr97
                                        ; implicit-def: $vgpr99
                                        ; implicit-def: $vgpr101
                                        ; implicit-def: $vgpr113
	s_and_saveexec_b64 s[36:37], s[34:35]
	s_cbranch_execz .LBB1946_28
; %bb.52:                               ;   in Loop: Header=BB1946_29 Depth=1
	v_mad_u64_u32 v[16:17], s[34:35], v14, 6, v[116:117]
	s_barrier
	flat_store_short v[116:117], v176
	flat_store_short v[118:119], v167
	flat_store_short v[128:129], v166
	flat_store_short v[130:131], v165
	flat_store_short v[132:133], v164
	flat_store_short v[134:135], v163
	flat_store_short v[144:145], v162
	flat_store_short v[146:147], v161
	s_waitcnt lgkmcnt(0)
	s_barrier
	flat_load_ushort v71, v[54:55]
	flat_load_ushort v83, v[54:55] offset:128
	flat_load_ushort v85, v[54:55] offset:256
	;; [unrolled: 1-line block ×7, first 2 shown]
	s_waitcnt lgkmcnt(0)
	s_barrier
	flat_store_dwordx2 v[16:17], v[52:53]
	v_mad_u64_u32 v[16:17], s[34:35], v70, 6, v[118:119]
	flat_store_dwordx2 v[16:17], v[50:51]
	v_mad_u64_u32 v[16:17], s[34:35], v82, 6, v[128:129]
	;; [unrolled: 2-line block ×7, first 2 shown]
	flat_store_dwordx2 v[16:17], v[28:29]
	s_waitcnt lgkmcnt(0)
	s_barrier
	flat_load_dwordx2 v[16:17], v[64:65]
	flat_load_dwordx2 v[18:19], v[64:65] offset:512
	flat_load_dwordx2 v[66:67], v[64:65] offset:1024
	;; [unrolled: 1-line block ×7, first 2 shown]
	v_add_u32_e32 v160, -8, v160
	s_xor_b64 s[44:45], exec, -1
	s_waitcnt lgkmcnt(0)
	s_barrier
	s_branch .LBB1946_28
.LBB1946_53:
	s_or_b64 exec, exec, s[42:43]
	v_lshlrev_b32_e32 v1, 1, v22
	v_add_co_u32_e32 v4, vcc, v12, v1
	v_addc_co_u32_e32 v5, vcc, 0, v13, vcc
	v_mad_u64_u32 v[10:11], s[4:5], v14, 6, v[116:117]
	s_barrier
	flat_store_short v[116:117], v176
	flat_store_short v[118:119], v167
	;; [unrolled: 1-line block ×8, first 2 shown]
	s_waitcnt lgkmcnt(0)
	s_barrier
	s_waitcnt vmcnt(0)
	flat_load_ushort v66, v[4:5]
	flat_load_ushort v65, v[4:5] offset:512
	flat_load_ushort v64, v[4:5] offset:1024
	;; [unrolled: 1-line block ×7, first 2 shown]
	s_waitcnt lgkmcnt(0)
	s_barrier
	flat_store_dwordx2 v[10:11], v[52:53]
	v_mad_u64_u32 v[10:11], s[4:5], v70, 6, v[118:119]
	flat_store_dwordx2 v[10:11], v[50:51]
	v_mad_u64_u32 v[10:11], s[4:5], v82, 6, v[128:129]
	;; [unrolled: 2-line block ×7, first 2 shown]
	v_mad_u64_u32 v[4:5], s[4:5], v22, 6, v[4:5]
	s_movk_i32 s4, 0x1000
	flat_store_dwordx2 v[10:11], v[28:29]
	v_add_co_u32_e32 v10, vcc, s4, v4
	v_mov_b32_e32 v1, 0x2000
	v_addc_co_u32_e32 v11, vcc, 0, v5, vcc
	v_lshl_or_b32 v1, v22, 3, v1
	v_add_co_u32_e32 v28, vcc, v12, v1
	s_movk_i32 s4, 0x2000
	v_addc_co_u32_e32 v29, vcc, 0, v13, vcc
	v_add_co_u32_e32 v30, vcc, s4, v4
	v_addc_co_u32_e32 v31, vcc, 0, v5, vcc
	s_movk_i32 s4, 0x3000
	v_add_co_u32_e32 v32, vcc, s4, v4
	s_waitcnt lgkmcnt(0)
	s_barrier
	flat_load_dwordx2 v[26:27], v[4:5]
	flat_load_dwordx2 v[24:25], v[4:5] offset:2048
	flat_load_dwordx2 v[18:19], v[10:11]
	flat_load_dwordx2 v[14:15], v[10:11] offset:2048
	v_addc_co_u32_e32 v33, vcc, 0, v5, vcc
	flat_load_dwordx2 v[16:17], v[28:29]
	flat_load_dwordx2 v[12:13], v[30:31] offset:2048
	flat_load_dwordx2 v[10:11], v[32:33]
	flat_load_dwordx2 v[4:5], v[32:33] offset:2048
	v_mov_b32_e32 v1, 0
	v_add_co_u32_e32 v20, vcc, v2, v20
	v_addc_co_u32_e32 v21, vcc, v3, v21, vcc
	v_lshlrev_b64 v[2:3], 1, v[0:1]
	v_add_co_u32_e32 v2, vcc, v20, v2
	v_addc_co_u32_e32 v3, vcc, v21, v3, vcc
	v_cmp_lt_u32_e32 vcc, v0, v148
	s_waitcnt lgkmcnt(0)
	s_barrier
	s_and_saveexec_b64 s[6:7], vcc
	s_cbranch_execz .LBB1946_55
; %bb.54:
	v_mov_b32_e32 v20, 0x7fff
	s_waitcnt vmcnt(0)
	v_cmp_gt_i16_e64 s[4:5], 0, v66
	v_cndmask_b32_e64 v20, v20, 0, s[4:5]
	v_xor_b32_e32 v20, v20, v66
	flat_store_short v[2:3], v20
.LBB1946_55:
	s_or_b64 exec, exec, s[6:7]
	v_add_u32_e32 v20, 0x100, v0
	v_cmp_lt_u32_e64 s[4:5], v20, v148
	s_and_saveexec_b64 s[10:11], s[4:5]
	s_cbranch_execz .LBB1946_57
; %bb.56:
	v_mov_b32_e32 v20, 0x7fff
	s_waitcnt vmcnt(0)
	v_cmp_gt_i16_e64 s[6:7], 0, v65
	v_cndmask_b32_e64 v20, v20, 0, s[6:7]
	v_xor_b32_e32 v20, v20, v65
	flat_store_short v[2:3], v20 offset:512
.LBB1946_57:
	s_or_b64 exec, exec, s[10:11]
	v_add_u32_e32 v20, 0x200, v0
	v_cmp_lt_u32_e64 s[6:7], v20, v148
	s_and_saveexec_b64 s[14:15], s[6:7]
	s_cbranch_execz .LBB1946_59
; %bb.58:
	v_mov_b32_e32 v20, 0x7fff
	s_waitcnt vmcnt(0)
	v_cmp_gt_i16_e64 s[10:11], 0, v64
	v_cndmask_b32_e64 v20, v20, 0, s[10:11]
	v_xor_b32_e32 v20, v20, v64
	flat_store_short v[2:3], v20 offset:1024
.LBB1946_59:
	;; [unrolled: 13-line block ×7, first 2 shown]
	s_or_b64 exec, exec, s[24:25]
	v_add_co_u32_e64 v2, s[22:23], v6, v8
	v_addc_co_u32_e64 v3, s[22:23], v7, v9, s[22:23]
	v_lshlrev_b64 v[0:1], 3, v[0:1]
	v_add_co_u32_e64 v0, s[22:23], v2, v0
	v_addc_co_u32_e64 v1, s[22:23], v3, v1, s[22:23]
	s_and_saveexec_b64 s[22:23], vcc
	s_cbranch_execnz .LBB1946_119
; %bb.70:
	s_or_b64 exec, exec, s[22:23]
	s_and_saveexec_b64 s[22:23], s[4:5]
	s_cbranch_execnz .LBB1946_120
.LBB1946_71:
	s_or_b64 exec, exec, s[22:23]
	s_and_saveexec_b64 s[4:5], s[6:7]
	s_cbranch_execnz .LBB1946_121
.LBB1946_72:
	s_or_b64 exec, exec, s[4:5]
	s_and_saveexec_b64 s[4:5], s[10:11]
	s_cbranch_execnz .LBB1946_122
.LBB1946_73:
	s_or_b64 exec, exec, s[4:5]
	s_and_saveexec_b64 s[4:5], s[20:21]
	s_cbranch_execnz .LBB1946_123
.LBB1946_74:
	s_or_b64 exec, exec, s[4:5]
	s_and_saveexec_b64 s[4:5], s[14:15]
	s_cbranch_execnz .LBB1946_124
.LBB1946_75:
	s_or_b64 exec, exec, s[4:5]
	s_and_saveexec_b64 s[4:5], s[16:17]
	s_cbranch_execnz .LBB1946_125
.LBB1946_76:
	s_or_b64 exec, exec, s[4:5]
	s_and_saveexec_b64 s[4:5], s[18:19]
	s_cbranch_execz .LBB1946_78
.LBB1946_77:
	v_add_co_u32_e32 v0, vcc, 0x3000, v0
	v_addc_co_u32_e32 v1, vcc, 0, v1, vcc
	s_waitcnt vmcnt(0)
	flat_store_dwordx2 v[0:1], v[4:5] offset:2048
.LBB1946_78:
	s_or_b64 exec, exec, s[4:5]
                                        ; implicit-def: $vgpr148
                                        ; implicit-def: $vgpr0
                                        ; implicit-def: $vgpr1
                                        ; implicit-def: $vgpr2
                                        ; implicit-def: $vgpr3
                                        ; implicit-def: $vgpr4
                                        ; implicit-def: $vgpr5
                                        ; implicit-def: $vgpr6
                                        ; implicit-def: $vgpr7
                                        ; implicit-def: $vgpr8
                                        ; implicit-def: $vgpr10
                                        ; implicit-def: $vgpr11
                                        ; implicit-def: $vgpr12
                                        ; implicit-def: $vgpr13
                                        ; implicit-def: $vgpr31
                                        ; implicit-def: $vgpr16
                                        ; implicit-def: $vgpr17
                                        ; implicit-def: $vgpr14
.LBB1946_79:
	s_andn2_saveexec_b64 s[4:5], s[40:41]
	s_cbranch_execz .LBB1946_199
; %bb.80:
	s_movk_i32 s4, 0x200
	v_cmp_lt_u32_e32 vcc, s4, v148
	s_and_saveexec_b64 s[4:5], vcc
	s_xor_b64 s[40:41], exec, s[4:5]
	s_cbranch_execz .LBB1946_140
; %bb.81:
	s_load_dwordx2 s[4:5], s[8:9], 0x0
	v_mov_b32_e32 v9, 0
	s_waitcnt vmcnt(0)
	v_mbcnt_hi_u32_b32 v18, -1, v14
	v_lshlrev_b64 v[36:37], 1, v[8:9]
	v_and_b32_e32 v19, 63, v18
	s_waitcnt lgkmcnt(0)
	s_cmp_lt_u32 s12, s4
	s_cselect_b32 s6, 12, 18
	s_cmp_lt_u32 s13, s5
	s_cselect_b32 s4, 14, 20
	s_add_u32 s4, s8, s4
	s_addc_u32 s5, s9, 0
	s_add_u32 s6, s8, s6
	global_load_ushort v21, v9, s[4:5]
	s_addc_u32 s7, s9, 0
	global_load_ushort v22, v9, s[6:7]
	v_add_co_u32_e32 v0, vcc, v0, v36
	v_addc_co_u32_e32 v1, vcc, v1, v37, vcc
	v_lshlrev_b32_e32 v14, 1, v19
	v_and_b32_e32 v34, 0x3ff, v31
	v_add_co_u32_e32 v23, vcc, v0, v14
	v_addc_co_u32_e32 v24, vcc, 0, v1, vcc
	v_mov_b32_e32 v15, v9
	v_mov_b32_e32 v20, -1
	s_waitcnt vmcnt(1)
	v_mad_u32_u24 v0, v17, v21, v16
	v_mov_b32_e32 v21, -1
	s_waitcnt vmcnt(0)
	v_mad_u64_u32 v[0:1], s[4:5], v0, v22, v[34:35]
	v_lshlrev_b32_e32 v1, 2, v0
	v_and_b32_e32 v14, 0xffffff00, v1
	v_lshlrev_b64 v[16:17], 1, v[14:15]
	v_or_b32_e32 v1, v14, v19
	v_add_co_u32_e32 v16, vcc, v23, v16
	v_addc_co_u32_e32 v17, vcc, v24, v17, vcc
	v_cmp_lt_u32_e64 s[10:11], v1, v148
	s_and_saveexec_b64 s[4:5], s[10:11]
	s_cbranch_execz .LBB1946_83
; %bb.82:
	flat_load_ushort v21, v[16:17]
.LBB1946_83:
	s_or_b64 exec, exec, s[4:5]
	v_or_b32_e32 v22, 64, v1
	v_cmp_lt_u32_e64 s[6:7], v22, v148
	s_and_saveexec_b64 s[4:5], s[6:7]
	s_cbranch_execz .LBB1946_85
; %bb.84:
	flat_load_ushort v20, v[16:17] offset:128
.LBB1946_85:
	s_or_b64 exec, exec, s[4:5]
	v_or_b32_e32 v22, 0x80, v1
	v_cmp_lt_u32_e64 s[4:5], v22, v148
	v_mov_b32_e32 v30, -1
	v_mov_b32_e32 v31, -1
	s_and_saveexec_b64 s[14:15], s[4:5]
	s_cbranch_execz .LBB1946_87
; %bb.86:
	flat_load_ushort v31, v[16:17] offset:256
.LBB1946_87:
	s_or_b64 exec, exec, s[14:15]
	v_or_b32_e32 v1, 0xc0, v1
	v_cmp_lt_u32_e32 vcc, v1, v148
	s_and_saveexec_b64 s[14:15], vcc
	s_cbranch_execz .LBB1946_89
; %bb.88:
	flat_load_ushort v30, v[16:17] offset:384
.LBB1946_89:
	s_or_b64 exec, exec, s[14:15]
	v_lshlrev_b64 v[8:9], 3, v[8:9]
	v_add_co_u32_e64 v1, s[14:15], v4, v8
	v_addc_co_u32_e64 v4, s[14:15], v5, v9, s[14:15]
	v_lshlrev_b32_e32 v5, 3, v19
	v_add_co_u32_e64 v1, s[14:15], v1, v5
	v_addc_co_u32_e64 v16, s[14:15], 0, v4, s[14:15]
	v_lshlrev_b64 v[4:5], 3, v[14:15]
	v_add_co_u32_e64 v4, s[14:15], v1, v4
	v_addc_co_u32_e64 v5, s[14:15], v16, v5, s[14:15]
                                        ; implicit-def: $vgpr22_vgpr23_vgpr24_vgpr25_vgpr26_vgpr27_vgpr28_vgpr29
	s_and_saveexec_b64 s[14:15], s[10:11]
	s_cbranch_execnz .LBB1946_164
; %bb.90:
	s_or_b64 exec, exec, s[14:15]
	s_and_saveexec_b64 s[10:11], s[6:7]
	s_cbranch_execnz .LBB1946_165
.LBB1946_91:
	s_or_b64 exec, exec, s[10:11]
	s_and_saveexec_b64 s[6:7], s[4:5]
	s_cbranch_execnz .LBB1946_166
.LBB1946_92:
	s_or_b64 exec, exec, s[6:7]
	s_and_saveexec_b64 s[4:5], vcc
	s_cbranch_execz .LBB1946_94
.LBB1946_93:
	flat_load_dwordx2 v[28:29], v[4:5] offset:1536
.LBB1946_94:
	s_or_b64 exec, exec, s[4:5]
	v_mov_b32_e32 v1, 0x7fff
	s_waitcnt vmcnt(0) lgkmcnt(0)
	v_cmp_gt_i16_e32 vcc, 0, v21
	v_cndmask_b32_e64 v4, v1, 0, vcc
	v_cmp_gt_i16_e32 vcc, 0, v20
	v_xor_b32_e32 v67, v4, v21
	v_cndmask_b32_e64 v4, v1, 0, vcc
	v_cmp_gt_i16_e32 vcc, 0, v31
	v_xor_b32_e32 v69, v4, v20
	;; [unrolled: 3-line block ×3, first 2 shown]
	v_cndmask_b32_e64 v4, v1, 0, vcc
	v_add_co_u32_e32 v35, vcc, 16, v12
	v_and_b32_e32 v14, 0x3c0, v34
	v_xor_b32_e32 v112, v4, v30
	v_addc_co_u32_e32 v96, vcc, 0, v13, vcc
	v_lshlrev_b32_e32 v4, 4, v34
	v_min_u32_e32 v14, 0xc0, v14
	v_add_co_u32_e32 v38, vcc, v12, v4
	v_or_b32_e32 v14, 63, v14
	s_getpc_b64 s[4:5]
	s_add_u32 s4, s4, _ZN7rocprim17ROCPRIM_400000_NS16block_radix_sortI12hip_bfloat16Lj256ELj4ElLj1ELj1ELj8ELNS0_26block_radix_rank_algorithmE2ELNS0_18block_padding_hintE2ELNS0_4arch9wavefront6targetE1EE19radix_bits_per_passE@rel32@lo+4
	s_addc_u32 s5, s5, _ZN7rocprim17ROCPRIM_400000_NS16block_radix_sortI12hip_bfloat16Lj256ELj4ElLj1ELj1ELj8ELNS0_26block_radix_rank_algorithmE2ELNS0_18block_padding_hintE2ELNS0_4arch9wavefront6targetE1EE19radix_bits_per_passE@rel32@hi+12
	v_addc_co_u32_e32 v39, vcc, 0, v13, vcc
	v_and_b32_e32 v4, 15, v18
	v_cmp_eq_u32_e64 s[16:17], v14, v34
	v_add_u32_e32 v14, -1, v18
	v_and_b32_e32 v15, 64, v18
	s_load_dword s46, s[4:5], 0x0
	v_cmp_eq_u32_e32 vcc, 0, v4
	v_cmp_lt_u32_e64 s[4:5], 1, v4
	v_cmp_lt_u32_e64 s[6:7], 3, v4
	;; [unrolled: 1-line block ×3, first 2 shown]
	v_and_b32_e32 v4, 16, v18
	v_cmp_lt_i32_e64 s[22:23], v14, v15
	v_cmp_eq_u32_e64 s[30:31], 0, v4
	v_lshrrev_b32_e32 v4, 6, v34
	v_cndmask_b32_e64 v14, v14, v18, s[22:23]
	v_lshlrev_b32_e32 v98, 2, v14
	v_lshlrev_b32_e32 v14, 2, v4
	v_add_co_u32_e64 v48, s[26:27], v12, v14
	v_lshlrev_b32_e32 v16, 2, v34
	v_addc_co_u32_e64 v49, s[26:27], 0, v13, s[26:27]
	v_add_co_u32_e64 v50, s[26:27], v12, v16
	v_mov_b32_e32 v5, 0
	v_addc_co_u32_e64 v51, s[26:27], 0, v13, s[26:27]
	v_and_b32_e32 v14, 3, v18
	v_add_u32_e32 v4, -1, v4
	v_cmp_eq_u32_e64 s[26:27], 0, v14
	v_cmp_lt_u32_e64 s[28:29], 1, v14
	v_lshlrev_b64 v[14:15], 2, v[4:5]
	v_add_co_u32_e64 v52, s[34:35], v12, v14
	v_addc_co_u32_e64 v53, s[34:35], v13, v15, s[34:35]
	s_movk_i32 s34, 0xf00
	v_and_or_b32 v4, v16, s34, v19
	v_lshlrev_b32_e32 v14, 1, v4
	v_add_co_u32_e64 v54, s[34:35], v12, v14
	v_addc_co_u32_e64 v55, s[34:35], 0, v13, s[34:35]
	v_lshrrev_b32_e32 v97, 6, v0
	v_cmp_lt_u32_e64 s[14:15], 31, v18
	v_cmp_gt_u32_e64 s[18:19], 4, v34
	v_cmp_lt_u32_e64 s[20:21], 63, v34
	v_cmp_eq_u32_e64 s[22:23], 0, v18
	v_cmp_eq_u32_e64 s[24:25], 0, v34
	v_mad_u64_u32 v[64:65], s[34:35], v4, 6, v[54:55]
	v_sub_u32_e32 v99, v11, v10
	s_mov_b64 s[42:43], 0
	s_movk_i32 s47, 0x8000
	v_mov_b32_e32 v30, v5
	v_mov_b32_e32 v31, v5
	;; [unrolled: 1-line block ×4, first 2 shown]
	s_waitcnt lgkmcnt(0)
	s_barrier
	s_branch .LBB1946_96
.LBB1946_95:                            ;   in Loop: Header=BB1946_96 Depth=1
	s_or_b64 exec, exec, s[36:37]
	s_and_b64 s[34:35], exec, s[44:45]
	s_or_b64 s[42:43], s[34:35], s[42:43]
	s_andn2_b64 exec, exec, s[42:43]
	s_cbranch_execz .LBB1946_126
.LBB1946_96:                            ; =>This Inner Loop Header: Depth=1
	s_waitcnt vmcnt(0)
	v_mov_b32_e32 v103, v67
	v_min_u32_e32 v4, s46, v99
	v_pk_mov_b32 v[14:15], v[22:23], v[22:23] op_sel:[0,1]
	v_lshlrev_b32_e64 v4, v4, -1
	v_cmp_ne_u16_e64 s[34:35], s47, v103
	v_pk_mov_b32 v[16:17], v[24:25], v[24:25] op_sel:[0,1]
	v_pk_mov_b32 v[18:19], v[26:27], v[26:27] op_sel:[0,1]
	;; [unrolled: 1-line block ×3, first 2 shown]
	v_not_b32_e32 v24, v4
	v_cndmask_b32_e64 v4, v1, v103, s[34:35]
	v_lshrrev_b32_sdwa v4, v10, v4 dst_sel:DWORD dst_unused:UNUSED_PAD src0_sel:DWORD src1_sel:WORD_0
	v_and_b32_e32 v4, v4, v24
	v_lshlrev_b32_e32 v22, 2, v4
	v_add_lshl_u32 v22, v22, v97, 2
	v_add_co_u32_e64 v26, s[34:35], v35, v22
	v_addc_co_u32_e64 v27, s[34:35], 0, v96, s[34:35]
	v_and_b32_e32 v22, 1, v4
	v_add_co_u32_e64 v23, s[34:35], -1, v22
	v_addc_co_u32_e64 v25, s[34:35], 0, -1, s[34:35]
	v_cmp_ne_u32_e64 s[34:35], 0, v22
	v_xor_b32_e32 v22, s35, v25
	v_xor_b32_e32 v23, s34, v23
	v_and_b32_e32 v25, exec_hi, v22
	v_and_b32_e32 v28, exec_lo, v23
	v_lshlrev_b32_e32 v23, 30, v4
	v_mov_b32_e32 v22, v5
	v_cmp_gt_i64_e64 s[34:35], 0, v[22:23]
	v_not_b32_e32 v22, v23
	v_ashrrev_i32_e32 v22, 31, v22
	v_xor_b32_e32 v23, s35, v22
	v_xor_b32_e32 v22, s34, v22
	v_and_b32_e32 v25, v25, v23
	v_and_b32_e32 v28, v28, v22
	v_lshlrev_b32_e32 v23, 29, v4
	v_mov_b32_e32 v22, v5
	v_cmp_gt_i64_e64 s[34:35], 0, v[22:23]
	v_not_b32_e32 v22, v23
	v_ashrrev_i32_e32 v22, 31, v22
	v_xor_b32_e32 v23, s35, v22
	v_xor_b32_e32 v22, s34, v22
	v_and_b32_e32 v25, v25, v23
	v_and_b32_e32 v28, v28, v22
	;; [unrolled: 9-line block ×5, first 2 shown]
	v_lshlrev_b32_e32 v23, 25, v4
	v_mov_b32_e32 v22, v5
	v_cmp_gt_i64_e64 s[34:35], 0, v[22:23]
	v_not_b32_e32 v22, v23
	v_ashrrev_i32_e32 v22, 31, v22
	v_xor_b32_e32 v23, s35, v22
	v_xor_b32_e32 v22, s34, v22
	v_and_b32_e32 v25, v25, v23
	v_lshlrev_b32_e32 v23, 24, v4
	v_and_b32_e32 v28, v28, v22
	v_mov_b32_e32 v22, v5
	v_not_b32_e32 v4, v23
	v_cmp_gt_i64_e64 s[34:35], 0, v[22:23]
	v_ashrrev_i32_e32 v4, 31, v4
	v_xor_b32_e32 v22, s35, v4
	v_xor_b32_e32 v4, s34, v4
	v_and_b32_e32 v23, v25, v22
	v_and_b32_e32 v22, v28, v4
	v_mbcnt_lo_u32_b32 v4, v22, 0
	v_mbcnt_hi_u32_b32 v4, v23, v4
	v_cmp_eq_u32_e64 s[34:35], 0, v4
	v_cmp_ne_u64_e64 s[36:37], 0, v[22:23]
	v_mov_b32_e32 v102, v69
	v_mov_b32_e32 v101, v71
	;; [unrolled: 1-line block ×3, first 2 shown]
	s_and_b64 s[36:37], s[36:37], s[34:35]
	flat_store_dwordx4 v[38:39], v[30:33] offset:16
	s_waitcnt lgkmcnt(0)
	s_barrier
	s_waitcnt lgkmcnt(0)
	; wave barrier
	s_and_saveexec_b64 s[34:35], s[36:37]
	s_cbranch_execz .LBB1946_98
; %bb.97:                               ;   in Loop: Header=BB1946_96 Depth=1
	v_bcnt_u32_b32 v22, v22, 0
	v_bcnt_u32_b32 v22, v23, v22
	flat_store_dword v[26:27], v22
.LBB1946_98:                            ;   in Loop: Header=BB1946_96 Depth=1
	s_or_b64 exec, exec, s[34:35]
	v_cmp_ne_u16_e64 s[34:35], s47, v102
	v_cndmask_b32_e64 v22, v1, v102, s[34:35]
	v_lshrrev_b32_sdwa v22, v10, v22 dst_sel:DWORD dst_unused:UNUSED_PAD src0_sel:DWORD src1_sel:WORD_0
	v_and_b32_e32 v25, v22, v24
	v_lshlrev_b32_e32 v22, 2, v25
	v_add_lshl_u32 v22, v22, v97, 2
	v_add_co_u32_e64 v28, s[34:35], v35, v22
	v_addc_co_u32_e64 v29, s[34:35], 0, v96, s[34:35]
	; wave barrier
	flat_load_dword v70, v[28:29]
	v_and_b32_e32 v22, 1, v25
	v_add_co_u32_e64 v23, s[34:35], -1, v22
	v_addc_co_u32_e64 v66, s[34:35], 0, -1, s[34:35]
	v_cmp_ne_u32_e64 s[34:35], 0, v22
	v_xor_b32_e32 v22, s35, v66
	v_xor_b32_e32 v23, s34, v23
	v_and_b32_e32 v66, exec_hi, v22
	v_and_b32_e32 v67, exec_lo, v23
	v_lshlrev_b32_e32 v23, 30, v25
	v_mov_b32_e32 v22, v5
	v_cmp_gt_i64_e64 s[34:35], 0, v[22:23]
	v_not_b32_e32 v22, v23
	v_ashrrev_i32_e32 v22, 31, v22
	v_xor_b32_e32 v23, s35, v22
	v_xor_b32_e32 v22, s34, v22
	v_and_b32_e32 v66, v66, v23
	v_and_b32_e32 v67, v67, v22
	v_lshlrev_b32_e32 v23, 29, v25
	v_mov_b32_e32 v22, v5
	v_cmp_gt_i64_e64 s[34:35], 0, v[22:23]
	v_not_b32_e32 v22, v23
	v_ashrrev_i32_e32 v22, 31, v22
	v_xor_b32_e32 v23, s35, v22
	v_xor_b32_e32 v22, s34, v22
	v_and_b32_e32 v66, v66, v23
	v_and_b32_e32 v67, v67, v22
	;; [unrolled: 9-line block ×7, first 2 shown]
	v_mbcnt_lo_u32_b32 v25, v22, 0
	v_mbcnt_hi_u32_b32 v80, v23, v25
	v_cmp_eq_u32_e64 s[34:35], 0, v80
	v_cmp_ne_u64_e64 s[36:37], 0, v[22:23]
	s_and_b64 s[36:37], s[36:37], s[34:35]
	; wave barrier
	s_and_saveexec_b64 s[34:35], s[36:37]
	s_cbranch_execz .LBB1946_100
; %bb.99:                               ;   in Loop: Header=BB1946_96 Depth=1
	v_bcnt_u32_b32 v22, v22, 0
	v_bcnt_u32_b32 v22, v23, v22
	s_waitcnt vmcnt(0) lgkmcnt(0)
	v_add_u32_e32 v22, v70, v22
	flat_store_dword v[28:29], v22
.LBB1946_100:                           ;   in Loop: Header=BB1946_96 Depth=1
	s_or_b64 exec, exec, s[34:35]
	v_cmp_ne_u16_e64 s[34:35], s47, v101
	v_cndmask_b32_e64 v22, v1, v101, s[34:35]
	v_lshrrev_b32_sdwa v22, v10, v22 dst_sel:DWORD dst_unused:UNUSED_PAD src0_sel:DWORD src1_sel:WORD_0
	v_and_b32_e32 v25, v22, v24
	v_lshlrev_b32_e32 v22, 2, v25
	v_add_lshl_u32 v22, v22, v97, 2
	v_add_co_u32_e64 v66, s[34:35], v35, v22
	v_addc_co_u32_e64 v67, s[34:35], 0, v96, s[34:35]
	; wave barrier
	flat_load_dword v81, v[66:67]
	v_and_b32_e32 v22, 1, v25
	v_add_co_u32_e64 v23, s[34:35], -1, v22
	v_addc_co_u32_e64 v68, s[34:35], 0, -1, s[34:35]
	v_cmp_ne_u32_e64 s[34:35], 0, v22
	v_xor_b32_e32 v22, s35, v68
	v_xor_b32_e32 v23, s34, v23
	v_and_b32_e32 v68, exec_hi, v22
	v_and_b32_e32 v69, exec_lo, v23
	v_lshlrev_b32_e32 v23, 30, v25
	v_mov_b32_e32 v22, v5
	v_cmp_gt_i64_e64 s[34:35], 0, v[22:23]
	v_not_b32_e32 v22, v23
	v_ashrrev_i32_e32 v22, 31, v22
	v_xor_b32_e32 v23, s35, v22
	v_xor_b32_e32 v22, s34, v22
	v_and_b32_e32 v68, v68, v23
	v_and_b32_e32 v69, v69, v22
	v_lshlrev_b32_e32 v23, 29, v25
	v_mov_b32_e32 v22, v5
	v_cmp_gt_i64_e64 s[34:35], 0, v[22:23]
	v_not_b32_e32 v22, v23
	v_ashrrev_i32_e32 v22, 31, v22
	v_xor_b32_e32 v23, s35, v22
	v_xor_b32_e32 v22, s34, v22
	v_and_b32_e32 v68, v68, v23
	v_and_b32_e32 v69, v69, v22
	;; [unrolled: 9-line block ×7, first 2 shown]
	v_mbcnt_lo_u32_b32 v25, v22, 0
	v_mbcnt_hi_u32_b32 v82, v23, v25
	v_cmp_eq_u32_e64 s[34:35], 0, v82
	v_cmp_ne_u64_e64 s[36:37], 0, v[22:23]
	s_and_b64 s[36:37], s[36:37], s[34:35]
	; wave barrier
	s_and_saveexec_b64 s[34:35], s[36:37]
	s_cbranch_execz .LBB1946_102
; %bb.101:                              ;   in Loop: Header=BB1946_96 Depth=1
	v_bcnt_u32_b32 v22, v22, 0
	v_bcnt_u32_b32 v22, v23, v22
	s_waitcnt vmcnt(0) lgkmcnt(0)
	v_add_u32_e32 v22, v81, v22
	flat_store_dword v[66:67], v22
.LBB1946_102:                           ;   in Loop: Header=BB1946_96 Depth=1
	s_or_b64 exec, exec, s[34:35]
	v_cmp_ne_u16_e64 s[34:35], s47, v100
	v_cndmask_b32_e64 v22, v1, v100, s[34:35]
	v_lshrrev_b32_sdwa v22, v10, v22 dst_sel:DWORD dst_unused:UNUSED_PAD src0_sel:DWORD src1_sel:WORD_0
	v_and_b32_e32 v24, v22, v24
	v_lshlrev_b32_e32 v22, 2, v24
	v_add_lshl_u32 v22, v22, v97, 2
	v_add_co_u32_e64 v68, s[34:35], v35, v22
	v_addc_co_u32_e64 v69, s[34:35], 0, v96, s[34:35]
	; wave barrier
	flat_load_dword v83, v[68:69]
	v_and_b32_e32 v22, 1, v24
	v_add_co_u32_e64 v23, s[34:35], -1, v22
	v_addc_co_u32_e64 v25, s[34:35], 0, -1, s[34:35]
	v_cmp_ne_u32_e64 s[34:35], 0, v22
	v_xor_b32_e32 v22, s35, v25
	v_xor_b32_e32 v23, s34, v23
	v_and_b32_e32 v25, exec_hi, v22
	v_and_b32_e32 v71, exec_lo, v23
	v_lshlrev_b32_e32 v23, 30, v24
	v_mov_b32_e32 v22, v5
	v_cmp_gt_i64_e64 s[34:35], 0, v[22:23]
	v_not_b32_e32 v22, v23
	v_ashrrev_i32_e32 v22, 31, v22
	v_xor_b32_e32 v23, s35, v22
	v_xor_b32_e32 v22, s34, v22
	v_and_b32_e32 v25, v25, v23
	v_and_b32_e32 v71, v71, v22
	v_lshlrev_b32_e32 v23, 29, v24
	v_mov_b32_e32 v22, v5
	v_cmp_gt_i64_e64 s[34:35], 0, v[22:23]
	v_not_b32_e32 v22, v23
	v_ashrrev_i32_e32 v22, 31, v22
	v_xor_b32_e32 v23, s35, v22
	v_xor_b32_e32 v22, s34, v22
	v_and_b32_e32 v25, v25, v23
	v_and_b32_e32 v71, v71, v22
	;; [unrolled: 9-line block ×7, first 2 shown]
	v_mbcnt_lo_u32_b32 v24, v22, 0
	v_mbcnt_hi_u32_b32 v84, v23, v24
	v_cmp_eq_u32_e64 s[34:35], 0, v84
	v_cmp_ne_u64_e64 s[36:37], 0, v[22:23]
	s_and_b64 s[36:37], s[36:37], s[34:35]
	; wave barrier
	s_and_saveexec_b64 s[34:35], s[36:37]
	s_cbranch_execz .LBB1946_104
; %bb.103:                              ;   in Loop: Header=BB1946_96 Depth=1
	v_bcnt_u32_b32 v22, v22, 0
	v_bcnt_u32_b32 v22, v23, v22
	s_waitcnt vmcnt(0) lgkmcnt(0)
	v_add_u32_e32 v22, v83, v22
	flat_store_dword v[68:69], v22
.LBB1946_104:                           ;   in Loop: Header=BB1946_96 Depth=1
	s_or_b64 exec, exec, s[34:35]
	; wave barrier
	s_waitcnt lgkmcnt(0)
	s_barrier
	flat_load_dwordx4 v[22:25], v[38:39] offset:16
	s_waitcnt vmcnt(0) lgkmcnt(0)
	v_add_u32_e32 v71, v23, v22
	v_add3_u32 v25, v71, v24, v25
	s_nop 1
	v_mov_b32_dpp v71, v25 row_shr:1 row_mask:0xf bank_mask:0xf
	v_cndmask_b32_e64 v71, v71, 0, vcc
	v_add_u32_e32 v25, v71, v25
	s_nop 1
	v_mov_b32_dpp v71, v25 row_shr:2 row_mask:0xf bank_mask:0xf
	v_cndmask_b32_e64 v71, 0, v71, s[4:5]
	v_add_u32_e32 v25, v25, v71
	s_nop 1
	v_mov_b32_dpp v71, v25 row_shr:4 row_mask:0xf bank_mask:0xf
	v_cndmask_b32_e64 v71, 0, v71, s[6:7]
	;; [unrolled: 4-line block ×3, first 2 shown]
	v_add_u32_e32 v25, v25, v71
	s_nop 1
	v_mov_b32_dpp v71, v25 row_bcast:15 row_mask:0xf bank_mask:0xf
	v_cndmask_b32_e64 v71, v71, 0, s[30:31]
	v_add_u32_e32 v25, v25, v71
	s_nop 1
	v_mov_b32_dpp v71, v25 row_bcast:31 row_mask:0xf bank_mask:0xf
	v_cndmask_b32_e64 v71, 0, v71, s[14:15]
	v_add_u32_e32 v25, v25, v71
	s_and_saveexec_b64 s[34:35], s[16:17]
	s_cbranch_execz .LBB1946_106
; %bb.105:                              ;   in Loop: Header=BB1946_96 Depth=1
	flat_store_dword v[48:49], v25
.LBB1946_106:                           ;   in Loop: Header=BB1946_96 Depth=1
	s_or_b64 exec, exec, s[34:35]
	s_waitcnt lgkmcnt(0)
	s_barrier
	s_and_saveexec_b64 s[34:35], s[18:19]
	s_cbranch_execz .LBB1946_108
; %bb.107:                              ;   in Loop: Header=BB1946_96 Depth=1
	flat_load_dword v71, v[50:51]
	s_waitcnt vmcnt(0) lgkmcnt(0)
	s_nop 0
	v_mov_b32_dpp v85, v71 row_shr:1 row_mask:0xf bank_mask:0xf
	v_cndmask_b32_e64 v85, v85, 0, s[26:27]
	v_add_u32_e32 v71, v85, v71
	s_nop 1
	v_mov_b32_dpp v85, v71 row_shr:2 row_mask:0xf bank_mask:0xf
	v_cndmask_b32_e64 v85, 0, v85, s[28:29]
	v_add_u32_e32 v71, v71, v85
	flat_store_dword v[50:51], v71
.LBB1946_108:                           ;   in Loop: Header=BB1946_96 Depth=1
	s_or_b64 exec, exec, s[34:35]
	v_mov_b32_e32 v71, 0
	s_waitcnt lgkmcnt(0)
	s_barrier
	s_and_saveexec_b64 s[34:35], s[20:21]
	s_cbranch_execz .LBB1946_110
; %bb.109:                              ;   in Loop: Header=BB1946_96 Depth=1
	flat_load_dword v71, v[52:53]
.LBB1946_110:                           ;   in Loop: Header=BB1946_96 Depth=1
	s_or_b64 exec, exec, s[34:35]
	s_waitcnt vmcnt(0) lgkmcnt(0)
	v_add_u32_e32 v25, v71, v25
	ds_bpermute_b32 v25, v98, v25
	v_add_u32_e32 v10, 8, v10
	v_cmp_lt_u32_e64 s[34:35], v10, v11
	s_mov_b64 s[44:45], -1
	s_waitcnt lgkmcnt(0)
	v_cndmask_b32_e64 v25, v25, v71, s[22:23]
	v_cndmask_b32_e64 v112, v25, 0, s[24:25]
	v_add_u32_e32 v113, v112, v22
	v_add_u32_e32 v114, v113, v23
	;; [unrolled: 1-line block ×3, first 2 shown]
	flat_store_dwordx4 v[38:39], v[112:115] offset:16
	s_waitcnt lgkmcnt(0)
	s_barrier
	flat_load_dword v22, v[26:27]
	flat_load_dword v23, v[28:29]
	;; [unrolled: 1-line block ×4, first 2 shown]
	v_mov_b32_e32 v67, v5
	v_mov_b32_e32 v69, v5
	;; [unrolled: 1-line block ×3, first 2 shown]
	s_waitcnt lgkmcnt(0)
                                        ; implicit-def: $vgpr112
	s_waitcnt vmcnt(0) lgkmcnt(0)
	v_add_u32_e32 v4, v22, v4
	v_add3_u32 v66, v80, v70, v23
	v_lshlrev_b64 v[22:23], 1, v[4:5]
	v_add_co_u32_e64 v86, s[36:37], v12, v22
	v_add3_u32 v68, v82, v81, v24
	v_add3_u32 v70, v84, v83, v25
	v_lshlrev_b64 v[24:25], 1, v[66:67]
	v_addc_co_u32_e64 v87, s[36:37], v13, v23, s[36:37]
	v_add_co_u32_e64 v84, s[36:37], v12, v24
	v_lshlrev_b64 v[26:27], 1, v[68:69]
	v_addc_co_u32_e64 v85, s[36:37], v13, v25, s[36:37]
	v_add_co_u32_e64 v82, s[36:37], v12, v26
	v_lshlrev_b64 v[28:29], 1, v[70:71]
	v_addc_co_u32_e64 v83, s[36:37], v13, v27, s[36:37]
	v_add_co_u32_e64 v80, s[36:37], v12, v28
	v_addc_co_u32_e64 v81, s[36:37], v13, v29, s[36:37]
                                        ; implicit-def: $vgpr22_vgpr23_vgpr24_vgpr25_vgpr26_vgpr27_vgpr28_vgpr29
                                        ; implicit-def: $vgpr67
                                        ; implicit-def: $vgpr69
                                        ; implicit-def: $vgpr71
	s_and_saveexec_b64 s[36:37], s[34:35]
	s_cbranch_execz .LBB1946_95
; %bb.111:                              ;   in Loop: Header=BB1946_96 Depth=1
	v_mad_u64_u32 v[22:23], s[34:35], v4, 6, v[86:87]
	s_barrier
	flat_store_short v[86:87], v103
	flat_store_short v[84:85], v102
	;; [unrolled: 1-line block ×4, first 2 shown]
	s_waitcnt lgkmcnt(0)
	s_barrier
	flat_load_ushort v67, v[54:55]
	flat_load_ushort v69, v[54:55] offset:128
	flat_load_ushort v71, v[54:55] offset:256
	;; [unrolled: 1-line block ×3, first 2 shown]
	s_waitcnt lgkmcnt(0)
	s_barrier
	flat_store_dwordx2 v[22:23], v[14:15]
	v_mad_u64_u32 v[22:23], s[34:35], v66, 6, v[84:85]
	flat_store_dwordx2 v[22:23], v[16:17]
	v_mad_u64_u32 v[22:23], s[34:35], v68, 6, v[82:83]
	;; [unrolled: 2-line block ×3, first 2 shown]
	flat_store_dwordx2 v[22:23], v[20:21]
	s_waitcnt lgkmcnt(0)
	s_barrier
	flat_load_dwordx2 v[22:23], v[64:65]
	flat_load_dwordx2 v[24:25], v[64:65] offset:512
	flat_load_dwordx2 v[26:27], v[64:65] offset:1024
	;; [unrolled: 1-line block ×3, first 2 shown]
	v_add_u32_e32 v99, -8, v99
	s_xor_b64 s[44:45], exec, -1
	s_waitcnt lgkmcnt(0)
	s_barrier
	s_branch .LBB1946_95
.LBB1946_112:
	flat_load_dwordx2 v[16:17], v[4:5]
	s_or_b64 exec, exec, s[22:23]
                                        ; implicit-def: $vgpr18_vgpr19
	s_and_saveexec_b64 s[22:23], s[4:5]
	s_cbranch_execz .LBB1946_20
.LBB1946_113:
	flat_load_dwordx2 v[18:19], v[4:5] offset:512
	s_or_b64 exec, exec, s[22:23]
                                        ; implicit-def: $vgpr66_vgpr67
	s_and_saveexec_b64 s[4:5], s[6:7]
	s_cbranch_execz .LBB1946_21
.LBB1946_114:
	flat_load_dwordx2 v[66:67], v[4:5] offset:1024
	s_or_b64 exec, exec, s[4:5]
                                        ; implicit-def: $vgpr68_vgpr69
	s_and_saveexec_b64 s[4:5], s[10:11]
	s_cbranch_execz .LBB1946_22
.LBB1946_115:
	flat_load_dwordx2 v[68:69], v[4:5] offset:1536
	s_or_b64 exec, exec, s[4:5]
                                        ; implicit-def: $vgpr80_vgpr81
	s_and_saveexec_b64 s[4:5], s[20:21]
	s_cbranch_execz .LBB1946_23
.LBB1946_116:
	flat_load_dwordx2 v[80:81], v[4:5] offset:2048
	s_or_b64 exec, exec, s[4:5]
                                        ; implicit-def: $vgpr86_vgpr87
	s_and_saveexec_b64 s[4:5], s[14:15]
	s_cbranch_execz .LBB1946_24
.LBB1946_117:
	flat_load_dwordx2 v[86:87], v[4:5] offset:2560
	s_or_b64 exec, exec, s[4:5]
                                        ; implicit-def: $vgpr102_vgpr103
	s_and_saveexec_b64 s[4:5], s[16:17]
	s_cbranch_execz .LBB1946_25
.LBB1946_118:
	flat_load_dwordx2 v[102:103], v[4:5] offset:3072
	s_or_b64 exec, exec, s[4:5]
                                        ; implicit-def: $vgpr114_vgpr115
	s_and_saveexec_b64 s[4:5], s[18:19]
	s_cbranch_execnz .LBB1946_26
	s_branch .LBB1946_27
.LBB1946_119:
	s_waitcnt vmcnt(0)
	flat_store_dwordx2 v[0:1], v[26:27]
	s_or_b64 exec, exec, s[22:23]
	s_and_saveexec_b64 s[22:23], s[4:5]
	s_cbranch_execz .LBB1946_71
.LBB1946_120:
	s_waitcnt vmcnt(0)
	flat_store_dwordx2 v[0:1], v[24:25] offset:2048
	s_or_b64 exec, exec, s[22:23]
	s_and_saveexec_b64 s[4:5], s[6:7]
	s_cbranch_execz .LBB1946_72
.LBB1946_121:
	v_add_co_u32_e32 v2, vcc, 0x1000, v0
	v_addc_co_u32_e32 v3, vcc, 0, v1, vcc
	s_waitcnt vmcnt(0)
	flat_store_dwordx2 v[2:3], v[18:19]
	s_or_b64 exec, exec, s[4:5]
	s_and_saveexec_b64 s[4:5], s[10:11]
	s_cbranch_execz .LBB1946_73
.LBB1946_122:
	v_add_co_u32_e32 v2, vcc, 0x1000, v0
	v_addc_co_u32_e32 v3, vcc, 0, v1, vcc
	s_waitcnt vmcnt(0)
	flat_store_dwordx2 v[2:3], v[14:15] offset:2048
	s_or_b64 exec, exec, s[4:5]
	s_and_saveexec_b64 s[4:5], s[20:21]
	s_cbranch_execz .LBB1946_74
.LBB1946_123:
	v_add_co_u32_e32 v2, vcc, 0x2000, v0
	v_addc_co_u32_e32 v3, vcc, 0, v1, vcc
	s_waitcnt vmcnt(0)
	flat_store_dwordx2 v[2:3], v[16:17]
	s_or_b64 exec, exec, s[4:5]
	s_and_saveexec_b64 s[4:5], s[14:15]
	s_cbranch_execz .LBB1946_75
.LBB1946_124:
	v_add_co_u32_e32 v2, vcc, 0x2000, v0
	v_addc_co_u32_e32 v3, vcc, 0, v1, vcc
	s_waitcnt vmcnt(0)
	flat_store_dwordx2 v[2:3], v[12:13] offset:2048
	s_or_b64 exec, exec, s[4:5]
	s_and_saveexec_b64 s[4:5], s[16:17]
	s_cbranch_execz .LBB1946_76
.LBB1946_125:
	v_add_co_u32_e32 v2, vcc, 0x3000, v0
	v_addc_co_u32_e32 v3, vcc, 0, v1, vcc
	s_waitcnt vmcnt(0)
	flat_store_dwordx2 v[2:3], v[10:11]
	s_or_b64 exec, exec, s[4:5]
	s_and_saveexec_b64 s[4:5], s[18:19]
	s_cbranch_execnz .LBB1946_77
	s_branch .LBB1946_78
.LBB1946_126:
	s_or_b64 exec, exec, s[42:43]
	v_lshlrev_b32_e32 v1, 1, v34
	v_add_co_u32_e32 v10, vcc, v12, v1
	v_addc_co_u32_e32 v11, vcc, 0, v13, vcc
	v_mad_u64_u32 v[4:5], s[4:5], v4, 6, v[86:87]
	s_barrier
	flat_store_short v[86:87], v103
	flat_store_short v[84:85], v102
	;; [unrolled: 1-line block ×4, first 2 shown]
	s_waitcnt lgkmcnt(0)
	s_barrier
	s_waitcnt vmcnt(0)
	flat_load_ushort v25, v[10:11]
	flat_load_ushort v24, v[10:11] offset:512
	flat_load_ushort v23, v[10:11] offset:1024
	;; [unrolled: 1-line block ×3, first 2 shown]
	s_waitcnt lgkmcnt(0)
	s_barrier
	flat_store_dwordx2 v[4:5], v[14:15]
	v_mad_u64_u32 v[4:5], s[4:5], v66, 6, v[84:85]
	flat_store_dwordx2 v[4:5], v[16:17]
	v_mad_u64_u32 v[4:5], s[4:5], v68, 6, v[82:83]
	;; [unrolled: 2-line block ×3, first 2 shown]
	v_mad_u64_u32 v[16:17], s[4:5], v34, 6, v[10:11]
	s_movk_i32 s4, 0x1000
	v_add_co_u32_e32 v18, vcc, s4, v16
	flat_store_dwordx2 v[4:5], v[20:21]
	s_waitcnt lgkmcnt(0)
	s_barrier
	v_addc_co_u32_e32 v19, vcc, 0, v17, vcc
	flat_load_dwordx2 v[14:15], v[16:17]
	flat_load_dwordx2 v[12:13], v[16:17] offset:2048
	flat_load_dwordx2 v[10:11], v[18:19]
	flat_load_dwordx2 v[4:5], v[18:19] offset:2048
	v_mov_b32_e32 v1, 0
	v_add_co_u32_e32 v16, vcc, v2, v36
	v_addc_co_u32_e32 v17, vcc, v3, v37, vcc
	v_lshlrev_b64 v[2:3], 1, v[0:1]
	v_add_co_u32_e32 v2, vcc, v16, v2
	v_addc_co_u32_e32 v3, vcc, v17, v3, vcc
	v_cmp_lt_u32_e32 vcc, v0, v148
	s_waitcnt lgkmcnt(0)
	s_barrier
	s_and_saveexec_b64 s[6:7], vcc
	s_cbranch_execz .LBB1946_128
; %bb.127:
	v_mov_b32_e32 v16, 0x7fff
	s_waitcnt vmcnt(0)
	v_cmp_gt_i16_e64 s[4:5], 0, v25
	v_cndmask_b32_e64 v16, v16, 0, s[4:5]
	v_xor_b32_e32 v16, v16, v25
	flat_store_short v[2:3], v16
.LBB1946_128:
	s_or_b64 exec, exec, s[6:7]
	v_add_u32_e32 v16, 0x100, v0
	v_cmp_lt_u32_e64 s[4:5], v16, v148
	s_and_saveexec_b64 s[10:11], s[4:5]
	s_cbranch_execz .LBB1946_130
; %bb.129:
	v_mov_b32_e32 v16, 0x7fff
	s_waitcnt vmcnt(0)
	v_cmp_gt_i16_e64 s[6:7], 0, v24
	v_cndmask_b32_e64 v16, v16, 0, s[6:7]
	v_xor_b32_e32 v16, v16, v24
	flat_store_short v[2:3], v16 offset:512
.LBB1946_130:
	s_or_b64 exec, exec, s[10:11]
	v_add_u32_e32 v16, 0x200, v0
	v_cmp_lt_u32_e64 s[6:7], v16, v148
	s_and_saveexec_b64 s[14:15], s[6:7]
	s_cbranch_execz .LBB1946_132
; %bb.131:
	v_mov_b32_e32 v16, 0x7fff
	s_waitcnt vmcnt(0)
	v_cmp_gt_i16_e64 s[10:11], 0, v23
	v_cndmask_b32_e64 v16, v16, 0, s[10:11]
	v_xor_b32_e32 v16, v16, v23
	flat_store_short v[2:3], v16 offset:1024
.LBB1946_132:
	;; [unrolled: 13-line block ×3, first 2 shown]
	s_or_b64 exec, exec, s[16:17]
	v_add_co_u32_e64 v2, s[14:15], v6, v8
	v_addc_co_u32_e64 v3, s[14:15], v7, v9, s[14:15]
	v_lshlrev_b64 v[0:1], 3, v[0:1]
	v_add_co_u32_e64 v0, s[14:15], v2, v0
	v_addc_co_u32_e64 v1, s[14:15], v3, v1, s[14:15]
	s_and_saveexec_b64 s[14:15], vcc
	s_cbranch_execnz .LBB1946_167
; %bb.135:
	s_or_b64 exec, exec, s[14:15]
	s_and_saveexec_b64 s[14:15], s[4:5]
	s_cbranch_execnz .LBB1946_168
.LBB1946_136:
	s_or_b64 exec, exec, s[14:15]
	s_and_saveexec_b64 s[4:5], s[6:7]
	s_cbranch_execnz .LBB1946_169
.LBB1946_137:
	s_or_b64 exec, exec, s[4:5]
	s_and_saveexec_b64 s[4:5], s[10:11]
	s_cbranch_execz .LBB1946_139
.LBB1946_138:
	v_add_co_u32_e32 v0, vcc, 0x1000, v0
	v_addc_co_u32_e32 v1, vcc, 0, v1, vcc
	s_waitcnt vmcnt(0)
	flat_store_dwordx2 v[0:1], v[4:5] offset:2048
.LBB1946_139:
	s_or_b64 exec, exec, s[4:5]
                                        ; implicit-def: $vgpr148
                                        ; implicit-def: $vgpr0
                                        ; implicit-def: $vgpr1
                                        ; implicit-def: $vgpr2
                                        ; implicit-def: $vgpr3
                                        ; implicit-def: $vgpr4
                                        ; implicit-def: $vgpr5
                                        ; implicit-def: $vgpr6
                                        ; implicit-def: $vgpr7
                                        ; implicit-def: $vgpr8
                                        ; implicit-def: $vgpr10
                                        ; implicit-def: $vgpr11
                                        ; implicit-def: $vgpr12
                                        ; implicit-def: $vgpr13
                                        ; implicit-def: $vgpr31
                                        ; implicit-def: $vgpr16
                                        ; implicit-def: $vgpr17
                                        ; implicit-def: $vgpr14
.LBB1946_140:
	s_andn2_saveexec_b64 s[4:5], s[40:41]
	s_cbranch_execz .LBB1946_199
; %bb.141:
	s_load_dwordx2 s[4:5], s[8:9], 0x0
	v_mov_b32_e32 v9, 0
	s_waitcnt vmcnt(0)
	v_and_b32_e32 v26, 0x3ff, v31
	v_lshlrev_b64 v[24:25], 1, v[8:9]
	s_waitcnt lgkmcnt(0)
	s_cmp_lt_u32 s12, s4
	s_cselect_b32 s6, 12, 18
	s_cmp_lt_u32 s13, s5
	s_cselect_b32 s4, 14, 20
	s_add_u32 s4, s8, s4
	s_addc_u32 s5, s9, 0
	s_add_u32 s6, s8, s6
	global_load_ushort v15, v9, s[4:5]
	s_addc_u32 s7, s9, 0
	global_load_ushort v18, v9, s[6:7]
	s_movk_i32 s4, 0x100
	v_cmp_lt_u32_e32 vcc, s4, v148
	s_waitcnt vmcnt(1)
	v_mad_u32_u24 v15, v17, v15, v16
	s_waitcnt vmcnt(0)
	v_mad_u64_u32 v[22:23], s[4:5], v15, v18, v[26:27]
	s_and_saveexec_b64 s[4:5], vcc
	s_xor_b64 s[34:35], exec, s[4:5]
	s_cbranch_execz .LBB1946_179
; %bb.142:
	v_mbcnt_hi_u32_b32 v17, -1, v14
	v_add_co_u32_e32 v0, vcc, v0, v24
	v_and_b32_e32 v16, 63, v17
	v_addc_co_u32_e32 v1, vcc, v1, v25, vcc
	v_lshlrev_b32_e32 v14, 1, v22
	v_lshlrev_b32_e32 v15, 1, v16
	v_and_b32_e32 v14, 0xffffff80, v14
	v_add_co_u32_e32 v18, vcc, v0, v15
	v_mov_b32_e32 v15, v9
	v_addc_co_u32_e32 v19, vcc, 0, v1, vcc
	v_lshlrev_b64 v[0:1], 1, v[14:15]
	v_add_co_u32_e32 v0, vcc, v18, v0
	v_addc_co_u32_e32 v1, vcc, v19, v1, vcc
	v_or_b32_e32 v18, v16, v14
	v_cmp_lt_u32_e32 vcc, v18, v148
	v_mov_b32_e32 v27, -1
	v_mov_b32_e32 v28, -1
	s_and_saveexec_b64 s[4:5], vcc
	s_cbranch_execz .LBB1946_144
; %bb.143:
	flat_load_ushort v28, v[0:1]
.LBB1946_144:
	s_or_b64 exec, exec, s[4:5]
	v_or_b32_e32 v18, 64, v18
	v_cmp_lt_u32_e64 s[4:5], v18, v148
	s_and_saveexec_b64 s[6:7], s[4:5]
	s_cbranch_execz .LBB1946_146
; %bb.145:
	flat_load_ushort v27, v[0:1] offset:128
.LBB1946_146:
	s_or_b64 exec, exec, s[6:7]
	v_lshlrev_b64 v[0:1], 3, v[8:9]
	v_add_co_u32_e64 v4, s[6:7], v4, v0
	v_addc_co_u32_e64 v5, s[6:7], v5, v1, s[6:7]
	v_lshlrev_b32_e32 v8, 3, v16
	v_add_co_u32_e64 v8, s[6:7], v4, v8
	v_addc_co_u32_e64 v9, s[6:7], 0, v5, s[6:7]
	v_lshlrev_b64 v[4:5], 3, v[14:15]
	v_add_co_u32_e64 v4, s[6:7], v8, v4
	v_addc_co_u32_e64 v5, s[6:7], v9, v5, s[6:7]
                                        ; implicit-def: $vgpr18_vgpr19
	s_and_saveexec_b64 s[6:7], vcc
	s_cbranch_execz .LBB1946_148
; %bb.147:
	flat_load_dwordx2 v[18:19], v[4:5]
.LBB1946_148:
	s_or_b64 exec, exec, s[6:7]
                                        ; implicit-def: $vgpr20_vgpr21
	s_and_saveexec_b64 s[6:7], s[4:5]
	s_cbranch_execz .LBB1946_150
; %bb.149:
	flat_load_dwordx2 v[20:21], v[4:5] offset:512
.LBB1946_150:
	s_or_b64 exec, exec, s[6:7]
	v_mov_b32_e32 v23, 0x7fff
	s_waitcnt vmcnt(0) lgkmcnt(0)
	v_cmp_gt_i16_e32 vcc, 0, v28
	v_cndmask_b32_e64 v4, v23, 0, vcc
	v_cmp_gt_i16_e32 vcc, 0, v27
	v_xor_b32_e32 v51, v4, v28
	v_cndmask_b32_e64 v4, v23, 0, vcc
	v_xor_b32_e32 v70, v4, v27
	v_add_co_u32_e32 v27, vcc, 16, v12
	v_and_b32_e32 v15, 0x3c0, v26
	v_addc_co_u32_e32 v64, vcc, 0, v13, vcc
	v_lshlrev_b32_e32 v8, 4, v26
	v_min_u32_e32 v15, 0xc0, v15
	v_add_co_u32_e32 v8, vcc, v12, v8
	v_or_b32_e32 v15, 63, v15
	s_getpc_b64 s[4:5]
	s_add_u32 s4, s4, _ZN7rocprim17ROCPRIM_400000_NS16block_radix_sortI12hip_bfloat16Lj256ELj2ElLj1ELj1ELj8ELNS0_26block_radix_rank_algorithmE2ELNS0_18block_padding_hintE2ELNS0_4arch9wavefront6targetE1EE19radix_bits_per_passE@rel32@lo+4
	s_addc_u32 s5, s5, _ZN7rocprim17ROCPRIM_400000_NS16block_radix_sortI12hip_bfloat16Lj256ELj2ElLj1ELj1ELj8ELNS0_26block_radix_rank_algorithmE2ELNS0_18block_padding_hintE2ELNS0_4arch9wavefront6targetE1EE19radix_bits_per_passE@rel32@hi+12
	v_addc_co_u32_e32 v9, vcc, 0, v13, vcc
	v_and_b32_e32 v14, 15, v17
	v_cmp_eq_u32_e64 s[14:15], v15, v26
	v_add_u32_e32 v15, -1, v17
	v_and_b32_e32 v28, 64, v17
	s_load_dword s42, s[4:5], 0x0
	v_cmp_eq_u32_e32 vcc, 0, v14
	v_cmp_lt_u32_e64 s[4:5], 1, v14
	v_cmp_lt_u32_e64 s[6:7], 3, v14
	v_cmp_lt_u32_e64 s[8:9], 7, v14
	v_and_b32_e32 v14, 16, v17
	v_cmp_lt_i32_e64 s[20:21], v15, v28
	v_cmp_eq_u32_e64 s[10:11], 0, v14
	v_lshrrev_b32_e32 v14, 6, v26
	v_cndmask_b32_e64 v15, v15, v17, s[20:21]
	v_lshlrev_b32_e32 v66, 2, v15
	v_lshlrev_b32_e32 v15, 2, v14
	v_add_co_u32_e64 v28, s[24:25], v12, v15
	v_lshlrev_b32_e32 v4, 2, v26
	v_addc_co_u32_e64 v29, s[24:25], 0, v13, s[24:25]
	v_add_co_u32_e64 v30, s[24:25], v12, v4
	v_addc_co_u32_e64 v31, s[24:25], 0, v13, s[24:25]
	v_and_b32_e32 v4, 3, v17
	v_mov_b32_e32 v5, 0
	v_cmp_eq_u32_e64 s[24:25], 0, v4
	v_cmp_lt_u32_e64 s[26:27], 1, v4
	v_add_u32_e32 v4, -1, v14
	v_lshlrev_b64 v[14:15], 2, v[4:5]
	v_add_co_u32_e64 v32, s[28:29], v12, v14
	v_addc_co_u32_e64 v33, s[28:29], v13, v15, s[28:29]
	v_lshlrev_b32_e32 v4, 1, v26
	s_movk_i32 s28, 0x780
	v_and_or_b32 v4, v4, s28, v16
	v_lshlrev_b32_e32 v14, 1, v4
	v_add_co_u32_e64 v38, s[28:29], v12, v14
	v_addc_co_u32_e64 v39, s[28:29], 0, v13, s[28:29]
	v_lshrrev_b32_e32 v65, 6, v22
	v_cmp_lt_u32_e64 s[12:13], 31, v17
	v_cmp_gt_u32_e64 s[16:17], 4, v26
	v_cmp_lt_u32_e64 s[18:19], 63, v26
	v_cmp_eq_u32_e64 s[20:21], 0, v17
	v_cmp_eq_u32_e64 s[22:23], 0, v26
	v_mad_u64_u32 v[48:49], s[28:29], v4, 6, v[38:39]
	v_sub_u32_e32 v67, v11, v10
	s_mov_b64 s[36:37], 0
	s_movk_i32 s43, 0x8000
	v_mov_b32_e32 v14, v5
	v_mov_b32_e32 v15, v5
	;; [unrolled: 1-line block ×4, first 2 shown]
	s_waitcnt lgkmcnt(0)
	s_barrier
	s_branch .LBB1946_152
.LBB1946_151:                           ;   in Loop: Header=BB1946_152 Depth=1
	s_or_b64 exec, exec, s[30:31]
	s_and_b64 s[28:29], exec, s[40:41]
	s_or_b64 s[36:37], s[28:29], s[36:37]
	s_andn2_b64 exec, exec, s[36:37]
	s_cbranch_execz .LBB1946_170
.LBB1946_152:                           ; =>This Inner Loop Header: Depth=1
	s_waitcnt vmcnt(0)
	v_mov_b32_e32 v69, v51
	v_min_u32_e32 v4, s42, v67
	v_lshlrev_b32_e64 v4, v4, -1
	v_cmp_ne_u16_e64 s[28:29], s43, v69
	v_pk_mov_b32 v[34:35], v[20:21], v[20:21] op_sel:[0,1]
	v_not_b32_e32 v20, v4
	v_cndmask_b32_e64 v4, v23, v69, s[28:29]
	v_lshrrev_b32_sdwa v4, v10, v4 dst_sel:DWORD dst_unused:UNUSED_PAD src0_sel:DWORD src1_sel:WORD_0
	v_and_b32_e32 v4, v4, v20
	v_pk_mov_b32 v[36:37], v[18:19], v[18:19] op_sel:[0,1]
	v_lshlrev_b32_e32 v18, 2, v4
	v_add_lshl_u32 v18, v18, v65, 2
	v_add_co_u32_e64 v50, s[28:29], v27, v18
	v_addc_co_u32_e64 v51, s[28:29], 0, v64, s[28:29]
	v_and_b32_e32 v18, 1, v4
	v_add_co_u32_e64 v19, s[28:29], -1, v18
	v_addc_co_u32_e64 v21, s[28:29], 0, -1, s[28:29]
	v_cmp_ne_u32_e64 s[28:29], 0, v18
	v_xor_b32_e32 v18, s29, v21
	v_xor_b32_e32 v19, s28, v19
	v_and_b32_e32 v21, exec_hi, v18
	v_and_b32_e32 v52, exec_lo, v19
	v_lshlrev_b32_e32 v19, 30, v4
	v_mov_b32_e32 v18, v5
	v_cmp_gt_i64_e64 s[28:29], 0, v[18:19]
	v_not_b32_e32 v18, v19
	v_ashrrev_i32_e32 v18, 31, v18
	v_xor_b32_e32 v19, s29, v18
	v_xor_b32_e32 v18, s28, v18
	v_and_b32_e32 v21, v21, v19
	v_and_b32_e32 v52, v52, v18
	v_lshlrev_b32_e32 v19, 29, v4
	v_mov_b32_e32 v18, v5
	v_cmp_gt_i64_e64 s[28:29], 0, v[18:19]
	v_not_b32_e32 v18, v19
	v_ashrrev_i32_e32 v18, 31, v18
	v_xor_b32_e32 v19, s29, v18
	v_xor_b32_e32 v18, s28, v18
	v_and_b32_e32 v21, v21, v19
	v_and_b32_e32 v52, v52, v18
	;; [unrolled: 9-line block ×5, first 2 shown]
	v_lshlrev_b32_e32 v19, 25, v4
	v_mov_b32_e32 v18, v5
	v_cmp_gt_i64_e64 s[28:29], 0, v[18:19]
	v_not_b32_e32 v18, v19
	v_ashrrev_i32_e32 v18, 31, v18
	v_xor_b32_e32 v19, s29, v18
	v_xor_b32_e32 v18, s28, v18
	v_and_b32_e32 v21, v21, v19
	v_lshlrev_b32_e32 v19, 24, v4
	v_and_b32_e32 v52, v52, v18
	v_mov_b32_e32 v18, v5
	v_not_b32_e32 v4, v19
	v_cmp_gt_i64_e64 s[28:29], 0, v[18:19]
	v_ashrrev_i32_e32 v4, 31, v4
	v_xor_b32_e32 v18, s29, v4
	v_xor_b32_e32 v4, s28, v4
	v_and_b32_e32 v19, v21, v18
	v_and_b32_e32 v18, v52, v4
	v_mbcnt_lo_u32_b32 v4, v18, 0
	v_mbcnt_hi_u32_b32 v4, v19, v4
	v_cmp_eq_u32_e64 s[28:29], 0, v4
	v_cmp_ne_u64_e64 s[30:31], 0, v[18:19]
	v_mov_b32_e32 v68, v70
	s_and_b64 s[30:31], s[30:31], s[28:29]
	flat_store_dwordx4 v[8:9], v[14:17] offset:16
	s_waitcnt lgkmcnt(0)
	s_barrier
	s_waitcnt lgkmcnt(0)
	; wave barrier
	s_and_saveexec_b64 s[28:29], s[30:31]
	s_cbranch_execz .LBB1946_154
; %bb.153:                              ;   in Loop: Header=BB1946_152 Depth=1
	v_bcnt_u32_b32 v18, v18, 0
	v_bcnt_u32_b32 v18, v19, v18
	flat_store_dword v[50:51], v18
.LBB1946_154:                           ;   in Loop: Header=BB1946_152 Depth=1
	s_or_b64 exec, exec, s[28:29]
	v_cmp_ne_u16_e64 s[28:29], s43, v68
	v_cndmask_b32_e64 v18, v23, v68, s[28:29]
	v_lshrrev_b32_sdwa v18, v10, v18 dst_sel:DWORD dst_unused:UNUSED_PAD src0_sel:DWORD src1_sel:WORD_0
	v_and_b32_e32 v20, v18, v20
	v_lshlrev_b32_e32 v18, 2, v20
	v_add_lshl_u32 v18, v18, v65, 2
	v_add_co_u32_e64 v52, s[28:29], v27, v18
	v_addc_co_u32_e64 v53, s[28:29], 0, v64, s[28:29]
	; wave barrier
	flat_load_dword v54, v[52:53]
	v_and_b32_e32 v18, 1, v20
	v_add_co_u32_e64 v19, s[28:29], -1, v18
	v_addc_co_u32_e64 v21, s[28:29], 0, -1, s[28:29]
	v_cmp_ne_u32_e64 s[28:29], 0, v18
	v_xor_b32_e32 v18, s29, v21
	v_xor_b32_e32 v19, s28, v19
	v_and_b32_e32 v21, exec_hi, v18
	v_and_b32_e32 v55, exec_lo, v19
	v_lshlrev_b32_e32 v19, 30, v20
	v_mov_b32_e32 v18, v5
	v_cmp_gt_i64_e64 s[28:29], 0, v[18:19]
	v_not_b32_e32 v18, v19
	v_ashrrev_i32_e32 v18, 31, v18
	v_xor_b32_e32 v19, s29, v18
	v_xor_b32_e32 v18, s28, v18
	v_and_b32_e32 v21, v21, v19
	v_and_b32_e32 v55, v55, v18
	v_lshlrev_b32_e32 v19, 29, v20
	v_mov_b32_e32 v18, v5
	v_cmp_gt_i64_e64 s[28:29], 0, v[18:19]
	v_not_b32_e32 v18, v19
	v_ashrrev_i32_e32 v18, 31, v18
	v_xor_b32_e32 v19, s29, v18
	v_xor_b32_e32 v18, s28, v18
	v_and_b32_e32 v21, v21, v19
	v_and_b32_e32 v55, v55, v18
	;; [unrolled: 9-line block ×7, first 2 shown]
	v_mbcnt_lo_u32_b32 v20, v18, 0
	v_mbcnt_hi_u32_b32 v55, v19, v20
	v_cmp_eq_u32_e64 s[28:29], 0, v55
	v_cmp_ne_u64_e64 s[30:31], 0, v[18:19]
	s_and_b64 s[30:31], s[30:31], s[28:29]
	; wave barrier
	s_and_saveexec_b64 s[28:29], s[30:31]
	s_cbranch_execz .LBB1946_156
; %bb.155:                              ;   in Loop: Header=BB1946_152 Depth=1
	v_bcnt_u32_b32 v18, v18, 0
	v_bcnt_u32_b32 v18, v19, v18
	s_waitcnt vmcnt(0) lgkmcnt(0)
	v_add_u32_e32 v18, v54, v18
	flat_store_dword v[52:53], v18
.LBB1946_156:                           ;   in Loop: Header=BB1946_152 Depth=1
	s_or_b64 exec, exec, s[28:29]
	; wave barrier
	s_waitcnt lgkmcnt(0)
	s_barrier
	flat_load_dwordx4 v[18:21], v[8:9] offset:16
	s_waitcnt vmcnt(0) lgkmcnt(0)
	v_add_u32_e32 v70, v19, v18
	v_add3_u32 v21, v70, v20, v21
	s_nop 1
	v_mov_b32_dpp v70, v21 row_shr:1 row_mask:0xf bank_mask:0xf
	v_cndmask_b32_e64 v70, v70, 0, vcc
	v_add_u32_e32 v21, v70, v21
	s_nop 1
	v_mov_b32_dpp v70, v21 row_shr:2 row_mask:0xf bank_mask:0xf
	v_cndmask_b32_e64 v70, 0, v70, s[4:5]
	v_add_u32_e32 v21, v21, v70
	s_nop 1
	v_mov_b32_dpp v70, v21 row_shr:4 row_mask:0xf bank_mask:0xf
	v_cndmask_b32_e64 v70, 0, v70, s[6:7]
	v_add_u32_e32 v21, v21, v70
	s_nop 1
	v_mov_b32_dpp v70, v21 row_shr:8 row_mask:0xf bank_mask:0xf
	v_cndmask_b32_e64 v70, 0, v70, s[8:9]
	v_add_u32_e32 v21, v21, v70
	s_nop 1
	v_mov_b32_dpp v70, v21 row_bcast:15 row_mask:0xf bank_mask:0xf
	v_cndmask_b32_e64 v70, v70, 0, s[10:11]
	v_add_u32_e32 v21, v21, v70
	s_nop 1
	v_mov_b32_dpp v70, v21 row_bcast:31 row_mask:0xf bank_mask:0xf
	v_cndmask_b32_e64 v70, 0, v70, s[12:13]
	v_add_u32_e32 v21, v21, v70
	s_and_saveexec_b64 s[28:29], s[14:15]
	s_cbranch_execz .LBB1946_158
; %bb.157:                              ;   in Loop: Header=BB1946_152 Depth=1
	flat_store_dword v[28:29], v21
.LBB1946_158:                           ;   in Loop: Header=BB1946_152 Depth=1
	s_or_b64 exec, exec, s[28:29]
	s_waitcnt lgkmcnt(0)
	s_barrier
	s_and_saveexec_b64 s[28:29], s[16:17]
	s_cbranch_execz .LBB1946_160
; %bb.159:                              ;   in Loop: Header=BB1946_152 Depth=1
	flat_load_dword v70, v[30:31]
	s_waitcnt vmcnt(0) lgkmcnt(0)
	s_nop 0
	v_mov_b32_dpp v71, v70 row_shr:1 row_mask:0xf bank_mask:0xf
	v_cndmask_b32_e64 v71, v71, 0, s[24:25]
	v_add_u32_e32 v70, v71, v70
	s_nop 1
	v_mov_b32_dpp v71, v70 row_shr:2 row_mask:0xf bank_mask:0xf
	v_cndmask_b32_e64 v71, 0, v71, s[26:27]
	v_add_u32_e32 v70, v70, v71
	flat_store_dword v[30:31], v70
.LBB1946_160:                           ;   in Loop: Header=BB1946_152 Depth=1
	s_or_b64 exec, exec, s[28:29]
	v_mov_b32_e32 v70, 0
	s_waitcnt lgkmcnt(0)
	s_barrier
	s_and_saveexec_b64 s[28:29], s[18:19]
	s_cbranch_execz .LBB1946_162
; %bb.161:                              ;   in Loop: Header=BB1946_152 Depth=1
	flat_load_dword v70, v[32:33]
.LBB1946_162:                           ;   in Loop: Header=BB1946_152 Depth=1
	s_or_b64 exec, exec, s[28:29]
	s_waitcnt vmcnt(0) lgkmcnt(0)
	v_add_u32_e32 v21, v70, v21
	ds_bpermute_b32 v21, v66, v21
	v_add_u32_e32 v10, 8, v10
	v_cmp_lt_u32_e64 s[28:29], v10, v11
	s_mov_b64 s[40:41], -1
	s_waitcnt lgkmcnt(0)
	v_cndmask_b32_e64 v21, v21, v70, s[20:21]
	v_cndmask_b32_e64 v80, v21, 0, s[22:23]
	v_add_u32_e32 v81, v80, v18
	v_add_u32_e32 v82, v81, v19
	v_add_u32_e32 v83, v82, v20
	flat_store_dwordx4 v[8:9], v[80:83] offset:16
	s_waitcnt lgkmcnt(0)
	s_barrier
	flat_load_dword v18, v[50:51]
	flat_load_dword v19, v[52:53]
	v_mov_b32_e32 v51, v5
	s_waitcnt lgkmcnt(0)
                                        ; implicit-def: $vgpr70
	s_waitcnt vmcnt(0) lgkmcnt(0)
	v_add_u32_e32 v4, v18, v4
	v_add3_u32 v50, v55, v54, v19
	v_lshlrev_b64 v[18:19], 1, v[4:5]
	v_add_co_u32_e64 v52, s[30:31], v12, v18
	v_lshlrev_b64 v[20:21], 1, v[50:51]
	v_addc_co_u32_e64 v53, s[30:31], v13, v19, s[30:31]
	v_add_co_u32_e64 v54, s[30:31], v12, v20
	v_addc_co_u32_e64 v55, s[30:31], v13, v21, s[30:31]
                                        ; implicit-def: $vgpr20_vgpr21
                                        ; implicit-def: $vgpr18_vgpr19
                                        ; implicit-def: $vgpr51
	s_and_saveexec_b64 s[30:31], s[28:29]
	s_cbranch_execz .LBB1946_151
; %bb.163:                              ;   in Loop: Header=BB1946_152 Depth=1
	v_mad_u64_u32 v[18:19], s[28:29], v4, 6, v[52:53]
	s_barrier
	flat_store_short v[52:53], v69
	flat_store_short v[54:55], v68
	s_waitcnt lgkmcnt(0)
	s_barrier
	flat_load_ushort v51, v[38:39]
	flat_load_ushort v70, v[38:39] offset:128
	s_waitcnt lgkmcnt(0)
	s_barrier
	flat_store_dwordx2 v[18:19], v[36:37]
	v_mad_u64_u32 v[18:19], s[28:29], v50, 6, v[54:55]
	flat_store_dwordx2 v[18:19], v[34:35]
	s_waitcnt lgkmcnt(0)
	s_barrier
	flat_load_dwordx2 v[18:19], v[48:49]
	flat_load_dwordx2 v[20:21], v[48:49] offset:512
	v_add_u32_e32 v67, -8, v67
	s_xor_b64 s[40:41], exec, -1
	s_waitcnt lgkmcnt(0)
	s_barrier
	s_branch .LBB1946_151
.LBB1946_164:
	flat_load_dwordx2 v[22:23], v[4:5]
	s_or_b64 exec, exec, s[14:15]
	s_and_saveexec_b64 s[10:11], s[6:7]
	s_cbranch_execz .LBB1946_91
.LBB1946_165:
	flat_load_dwordx2 v[24:25], v[4:5] offset:512
	s_or_b64 exec, exec, s[10:11]
	s_and_saveexec_b64 s[6:7], s[4:5]
	s_cbranch_execz .LBB1946_92
.LBB1946_166:
	flat_load_dwordx2 v[26:27], v[4:5] offset:1024
	s_or_b64 exec, exec, s[6:7]
	s_and_saveexec_b64 s[4:5], vcc
	s_cbranch_execnz .LBB1946_93
	s_branch .LBB1946_94
.LBB1946_167:
	s_waitcnt vmcnt(0)
	flat_store_dwordx2 v[0:1], v[14:15]
	s_or_b64 exec, exec, s[14:15]
	s_and_saveexec_b64 s[14:15], s[4:5]
	s_cbranch_execz .LBB1946_136
.LBB1946_168:
	s_waitcnt vmcnt(0)
	flat_store_dwordx2 v[0:1], v[12:13] offset:2048
	s_or_b64 exec, exec, s[14:15]
	s_and_saveexec_b64 s[4:5], s[6:7]
	s_cbranch_execz .LBB1946_137
.LBB1946_169:
	v_add_co_u32_e32 v2, vcc, 0x1000, v0
	v_addc_co_u32_e32 v3, vcc, 0, v1, vcc
	s_waitcnt vmcnt(0)
	flat_store_dwordx2 v[2:3], v[10:11]
	s_or_b64 exec, exec, s[4:5]
	s_and_saveexec_b64 s[4:5], s[10:11]
	s_cbranch_execnz .LBB1946_138
	s_branch .LBB1946_139
.LBB1946_170:
	s_or_b64 exec, exec, s[36:37]
	v_lshlrev_b32_e32 v5, 1, v26
	v_add_co_u32_e32 v8, vcc, v12, v5
	v_addc_co_u32_e32 v9, vcc, 0, v13, vcc
	v_mad_u64_u32 v[4:5], s[4:5], v4, 6, v[52:53]
	s_barrier
	flat_store_short v[52:53], v69
	flat_store_short v[54:55], v68
	s_waitcnt lgkmcnt(0)
	s_barrier
	flat_load_ushort v11, v[8:9]
	flat_load_ushort v10, v[8:9] offset:512
	s_waitcnt lgkmcnt(0)
	s_barrier
	flat_store_dwordx2 v[4:5], v[36:37]
	v_mad_u64_u32 v[4:5], s[4:5], v50, 6, v[54:55]
	v_mad_u64_u32 v[12:13], s[4:5], v26, 6, v[8:9]
	flat_store_dwordx2 v[4:5], v[34:35]
	s_waitcnt lgkmcnt(0)
	s_barrier
	flat_load_dwordx2 v[8:9], v[12:13]
	flat_load_dwordx2 v[4:5], v[12:13] offset:2048
	v_mov_b32_e32 v23, 0
	v_add_co_u32_e32 v12, vcc, v2, v24
	v_addc_co_u32_e32 v13, vcc, v3, v25, vcc
	v_lshlrev_b64 v[2:3], 1, v[22:23]
	v_add_co_u32_e32 v2, vcc, v12, v2
	v_addc_co_u32_e32 v3, vcc, v13, v3, vcc
	v_cmp_lt_u32_e32 vcc, v22, v148
	s_waitcnt lgkmcnt(0)
	s_barrier
	s_and_saveexec_b64 s[6:7], vcc
	s_cbranch_execz .LBB1946_172
; %bb.171:
	v_mov_b32_e32 v12, 0x7fff
	s_waitcnt vmcnt(0)
	v_cmp_gt_i16_e64 s[4:5], 0, v11
	v_cndmask_b32_e64 v12, v12, 0, s[4:5]
	v_xor_b32_e32 v11, v12, v11
	flat_store_short v[2:3], v11
.LBB1946_172:
	s_or_b64 exec, exec, s[6:7]
	s_waitcnt vmcnt(0)
	v_add_u32_e32 v11, 0x100, v22
	v_cmp_lt_u32_e64 s[4:5], v11, v148
	s_and_saveexec_b64 s[8:9], s[4:5]
	s_cbranch_execz .LBB1946_174
; %bb.173:
	v_mov_b32_e32 v11, 0x7fff
	v_cmp_gt_i16_e64 s[6:7], 0, v10
	v_cndmask_b32_e64 v11, v11, 0, s[6:7]
	v_xor_b32_e32 v10, v11, v10
	flat_store_short v[2:3], v10 offset:512
.LBB1946_174:
	s_or_b64 exec, exec, s[8:9]
	v_add_co_u32_e64 v2, s[6:7], v6, v0
	v_addc_co_u32_e64 v3, s[6:7], v7, v1, s[6:7]
	v_lshlrev_b64 v[0:1], 3, v[22:23]
	v_add_co_u32_e64 v0, s[6:7], v2, v0
	v_addc_co_u32_e64 v1, s[6:7], v3, v1, s[6:7]
	s_and_saveexec_b64 s[6:7], vcc
	s_cbranch_execz .LBB1946_176
; %bb.175:
	flat_store_dwordx2 v[0:1], v[8:9]
.LBB1946_176:
	s_or_b64 exec, exec, s[6:7]
	s_and_saveexec_b64 s[6:7], s[4:5]
	s_cbranch_execz .LBB1946_178
; %bb.177:
	flat_store_dwordx2 v[0:1], v[4:5] offset:2048
.LBB1946_178:
	s_or_b64 exec, exec, s[6:7]
                                        ; implicit-def: $vgpr26
                                        ; implicit-def: $vgpr22_vgpr23
                                        ; implicit-def: $vgpr8_vgpr9
                                        ; implicit-def: $vgpr24_vgpr25
                                        ; implicit-def: $vgpr148
                                        ; implicit-def: $vgpr0
                                        ; implicit-def: $vgpr1
                                        ; implicit-def: $vgpr2
                                        ; implicit-def: $vgpr3
                                        ; implicit-def: $vgpr4
                                        ; implicit-def: $vgpr5
                                        ; implicit-def: $vgpr6
                                        ; implicit-def: $vgpr7
                                        ; implicit-def: $vgpr10
                                        ; implicit-def: $vgpr11
                                        ; implicit-def: $vgpr12
                                        ; implicit-def: $vgpr13
                                        ; implicit-def: $vgpr14
.LBB1946_179:
	s_andn2_saveexec_b64 s[4:5], s[34:35]
	s_cbranch_execz .LBB1946_199
; %bb.180:
	v_mbcnt_hi_u32_b32 v17, -1, v14
	v_bfi_b32 v15, 63, v17, v22
	v_and_b32_e32 v16, 63, v17
	v_and_b32_e32 v14, 0xffffffc0, v22
	v_cmp_lt_u32_e32 vcc, v15, v148
	v_mov_b32_e32 v20, -1
	s_and_saveexec_b64 s[6:7], vcc
	s_cbranch_execz .LBB1946_182
; %bb.181:
	v_add_co_u32_e64 v0, s[4:5], v0, v24
	v_addc_co_u32_e64 v1, s[4:5], v1, v25, s[4:5]
	v_lshlrev_b32_e32 v18, 1, v16
	v_mov_b32_e32 v15, 0
	v_add_co_u32_e64 v18, s[4:5], v0, v18
	v_addc_co_u32_e64 v19, s[4:5], 0, v1, s[4:5]
	v_lshlrev_b64 v[0:1], 1, v[14:15]
	v_add_co_u32_e64 v0, s[4:5], v18, v0
	v_addc_co_u32_e64 v1, s[4:5], v19, v1, s[4:5]
	flat_load_ushort v20, v[0:1]
.LBB1946_182:
	s_or_b64 exec, exec, s[6:7]
	v_lshlrev_b64 v[0:1], 3, v[8:9]
                                        ; implicit-def: $vgpr18_vgpr19
	s_and_saveexec_b64 s[4:5], vcc
	s_cbranch_execz .LBB1946_184
; %bb.183:
	v_add_co_u32_e32 v4, vcc, v4, v0
	v_addc_co_u32_e32 v5, vcc, v5, v1, vcc
	v_lshlrev_b32_e32 v8, 3, v16
	v_mov_b32_e32 v15, 0
	v_add_co_u32_e32 v8, vcc, v4, v8
	v_addc_co_u32_e32 v9, vcc, 0, v5, vcc
	v_lshlrev_b64 v[4:5], 3, v[14:15]
	v_add_co_u32_e32 v4, vcc, v8, v4
	v_addc_co_u32_e32 v5, vcc, v9, v5, vcc
	flat_load_dwordx2 v[18:19], v[4:5]
.LBB1946_184:
	s_or_b64 exec, exec, s[4:5]
	v_mov_b32_e32 v23, 0x7fff
	s_waitcnt vmcnt(0) lgkmcnt(0)
	v_cmp_gt_i16_e32 vcc, 0, v20
	v_cndmask_b32_e64 v4, v23, 0, vcc
	v_xor_b32_e32 v48, v4, v20
	v_add_co_u32_e32 v27, vcc, 16, v12
	v_and_b32_e32 v20, 0x3c0, v26
	v_addc_co_u32_e32 v50, vcc, 0, v13, vcc
	v_lshlrev_b32_e32 v8, 4, v26
	v_min_u32_e32 v15, 0xc0, v20
	v_add_co_u32_e32 v8, vcc, v12, v8
	v_or_b32_e32 v15, 63, v15
	s_getpc_b64 s[4:5]
	s_add_u32 s4, s4, _ZN7rocprim17ROCPRIM_400000_NS16block_radix_sortI12hip_bfloat16Lj256ELj1ElLj1ELj1ELj8ELNS0_26block_radix_rank_algorithmE2ELNS0_18block_padding_hintE2ELNS0_4arch9wavefront6targetE1EE19radix_bits_per_passE@rel32@lo+4
	s_addc_u32 s5, s5, _ZN7rocprim17ROCPRIM_400000_NS16block_radix_sortI12hip_bfloat16Lj256ELj1ElLj1ELj1ELj8ELNS0_26block_radix_rank_algorithmE2ELNS0_18block_padding_hintE2ELNS0_4arch9wavefront6targetE1EE19radix_bits_per_passE@rel32@hi+12
	v_addc_co_u32_e32 v9, vcc, 0, v13, vcc
	v_and_b32_e32 v14, 15, v17
	v_cmp_eq_u32_e64 s[14:15], v15, v26
	v_add_u32_e32 v15, -1, v17
	v_and_b32_e32 v21, 64, v17
	s_load_dword s40, s[4:5], 0x0
	v_cmp_eq_u32_e32 vcc, 0, v14
	v_cmp_lt_u32_e64 s[4:5], 1, v14
	v_cmp_lt_u32_e64 s[6:7], 3, v14
	;; [unrolled: 1-line block ×3, first 2 shown]
	v_and_b32_e32 v14, 16, v17
	v_cmp_lt_i32_e64 s[20:21], v15, v21
	v_cmp_eq_u32_e64 s[10:11], 0, v14
	v_lshrrev_b32_e32 v14, 6, v26
	v_cndmask_b32_e64 v15, v15, v17, s[20:21]
	v_lshlrev_b32_e32 v52, 2, v15
	v_lshlrev_b32_e32 v15, 2, v14
	v_add_co_u32_e64 v28, s[24:25], v12, v15
	v_lshlrev_b32_e32 v4, 2, v26
	v_addc_co_u32_e64 v29, s[24:25], 0, v13, s[24:25]
	v_add_co_u32_e64 v30, s[24:25], v12, v4
	v_addc_co_u32_e64 v31, s[24:25], 0, v13, s[24:25]
	v_and_b32_e32 v4, 3, v17
	v_mov_b32_e32 v5, 0
	v_cmp_eq_u32_e64 s[24:25], 0, v4
	v_cmp_lt_u32_e64 s[26:27], 1, v4
	v_add_u32_e32 v4, -1, v14
	v_lshlrev_b64 v[14:15], 2, v[4:5]
	v_add_co_u32_e64 v32, s[28:29], v12, v14
	v_or_b32_e32 v4, v16, v20
	v_addc_co_u32_e64 v33, s[28:29], v13, v15, s[28:29]
	v_lshlrev_b32_e32 v14, 1, v4
	v_add_co_u32_e64 v36, s[28:29], v12, v14
	v_addc_co_u32_e64 v37, s[28:29], 0, v13, s[28:29]
	v_lshrrev_b32_e32 v51, 6, v22
	v_cmp_lt_u32_e64 s[12:13], 31, v17
	v_cmp_gt_u32_e64 s[16:17], 4, v26
	v_cmp_lt_u32_e64 s[18:19], 63, v26
	v_cmp_eq_u32_e64 s[20:21], 0, v17
	v_cmp_eq_u32_e64 s[22:23], 0, v26
	v_mad_u64_u32 v[38:39], s[28:29], v4, 6, v[36:37]
	v_sub_u32_e32 v53, v11, v10
	s_mov_b64 s[34:35], 0
	v_mov_b32_e32 v14, v5
	v_mov_b32_e32 v15, v5
	;; [unrolled: 1-line block ×4, first 2 shown]
	s_movk_i32 s41, 0x8000
	s_waitcnt lgkmcnt(0)
	s_barrier
	s_branch .LBB1946_186
.LBB1946_185:                           ;   in Loop: Header=BB1946_186 Depth=1
	s_or_b64 exec, exec, s[30:31]
	s_and_b64 s[28:29], exec, s[36:37]
	s_or_b64 s[34:35], s[28:29], s[34:35]
	s_andn2_b64 exec, exec, s[34:35]
	s_cbranch_execz .LBB1946_196
.LBB1946_186:                           ; =>This Inner Loop Header: Depth=1
	s_waitcnt vmcnt(0)
	v_mov_b32_e32 v54, v48
	v_cmp_ne_u16_e64 s[28:29], s41, v54
	v_pk_mov_b32 v[34:35], v[18:19], v[18:19] op_sel:[0,1]
	v_cndmask_b32_e64 v18, v23, v54, s[28:29]
	v_min_u32_e32 v4, s40, v53
	v_lshrrev_b32_sdwa v18, v10, v18 dst_sel:DWORD dst_unused:UNUSED_PAD src0_sel:DWORD src1_sel:WORD_0
	v_bfe_u32 v4, v18, 0, v4
	v_lshlrev_b32_e32 v18, 2, v4
	v_add_lshl_u32 v18, v18, v51, 2
	v_add_co_u32_e64 v48, s[28:29], v27, v18
	v_addc_co_u32_e64 v49, s[28:29], 0, v50, s[28:29]
	v_and_b32_e32 v18, 1, v4
	v_add_co_u32_e64 v19, s[28:29], -1, v18
	v_addc_co_u32_e64 v20, s[28:29], 0, -1, s[28:29]
	v_cmp_ne_u32_e64 s[28:29], 0, v18
	v_xor_b32_e32 v18, s29, v20
	v_xor_b32_e32 v19, s28, v19
	v_and_b32_e32 v20, exec_hi, v18
	v_and_b32_e32 v21, exec_lo, v19
	v_lshlrev_b32_e32 v19, 30, v4
	v_mov_b32_e32 v18, v5
	v_cmp_gt_i64_e64 s[28:29], 0, v[18:19]
	v_not_b32_e32 v18, v19
	v_ashrrev_i32_e32 v18, 31, v18
	v_xor_b32_e32 v19, s29, v18
	v_xor_b32_e32 v18, s28, v18
	v_and_b32_e32 v20, v20, v19
	v_and_b32_e32 v21, v21, v18
	v_lshlrev_b32_e32 v19, 29, v4
	v_mov_b32_e32 v18, v5
	v_cmp_gt_i64_e64 s[28:29], 0, v[18:19]
	v_not_b32_e32 v18, v19
	v_ashrrev_i32_e32 v18, 31, v18
	v_xor_b32_e32 v19, s29, v18
	v_xor_b32_e32 v18, s28, v18
	v_and_b32_e32 v20, v20, v19
	v_and_b32_e32 v21, v21, v18
	;; [unrolled: 9-line block ×5, first 2 shown]
	v_lshlrev_b32_e32 v19, 25, v4
	v_mov_b32_e32 v18, v5
	v_cmp_gt_i64_e64 s[28:29], 0, v[18:19]
	v_not_b32_e32 v18, v19
	v_ashrrev_i32_e32 v18, 31, v18
	v_xor_b32_e32 v19, s29, v18
	v_xor_b32_e32 v18, s28, v18
	v_and_b32_e32 v20, v20, v19
	v_lshlrev_b32_e32 v19, 24, v4
	v_and_b32_e32 v21, v21, v18
	v_mov_b32_e32 v18, v5
	v_not_b32_e32 v4, v19
	v_cmp_gt_i64_e64 s[28:29], 0, v[18:19]
	v_ashrrev_i32_e32 v4, 31, v4
	v_xor_b32_e32 v18, s29, v4
	v_xor_b32_e32 v4, s28, v4
	v_and_b32_e32 v19, v20, v18
	v_and_b32_e32 v18, v21, v4
	v_mbcnt_lo_u32_b32 v4, v18, 0
	v_mbcnt_hi_u32_b32 v4, v19, v4
	v_cmp_eq_u32_e64 s[28:29], 0, v4
	v_cmp_ne_u64_e64 s[30:31], 0, v[18:19]
	s_and_b64 s[30:31], s[30:31], s[28:29]
	flat_store_dwordx4 v[8:9], v[14:17] offset:16
	s_waitcnt lgkmcnt(0)
	s_barrier
	s_waitcnt lgkmcnt(0)
	; wave barrier
	s_and_saveexec_b64 s[28:29], s[30:31]
	s_cbranch_execz .LBB1946_188
; %bb.187:                              ;   in Loop: Header=BB1946_186 Depth=1
	v_bcnt_u32_b32 v18, v18, 0
	v_bcnt_u32_b32 v18, v19, v18
	flat_store_dword v[48:49], v18
.LBB1946_188:                           ;   in Loop: Header=BB1946_186 Depth=1
	s_or_b64 exec, exec, s[28:29]
	; wave barrier
	s_waitcnt lgkmcnt(0)
	s_barrier
	flat_load_dwordx4 v[18:21], v[8:9] offset:16
	s_waitcnt vmcnt(0) lgkmcnt(0)
	v_add_u32_e32 v55, v19, v18
	v_add3_u32 v21, v55, v20, v21
	s_nop 1
	v_mov_b32_dpp v55, v21 row_shr:1 row_mask:0xf bank_mask:0xf
	v_cndmask_b32_e64 v55, v55, 0, vcc
	v_add_u32_e32 v21, v55, v21
	s_nop 1
	v_mov_b32_dpp v55, v21 row_shr:2 row_mask:0xf bank_mask:0xf
	v_cndmask_b32_e64 v55, 0, v55, s[4:5]
	v_add_u32_e32 v21, v21, v55
	s_nop 1
	v_mov_b32_dpp v55, v21 row_shr:4 row_mask:0xf bank_mask:0xf
	v_cndmask_b32_e64 v55, 0, v55, s[6:7]
	;; [unrolled: 4-line block ×3, first 2 shown]
	v_add_u32_e32 v21, v21, v55
	s_nop 1
	v_mov_b32_dpp v55, v21 row_bcast:15 row_mask:0xf bank_mask:0xf
	v_cndmask_b32_e64 v55, v55, 0, s[10:11]
	v_add_u32_e32 v21, v21, v55
	s_nop 1
	v_mov_b32_dpp v55, v21 row_bcast:31 row_mask:0xf bank_mask:0xf
	v_cndmask_b32_e64 v55, 0, v55, s[12:13]
	v_add_u32_e32 v21, v21, v55
	s_and_saveexec_b64 s[28:29], s[14:15]
	s_cbranch_execz .LBB1946_190
; %bb.189:                              ;   in Loop: Header=BB1946_186 Depth=1
	flat_store_dword v[28:29], v21
.LBB1946_190:                           ;   in Loop: Header=BB1946_186 Depth=1
	s_or_b64 exec, exec, s[28:29]
	s_waitcnt lgkmcnt(0)
	s_barrier
	s_and_saveexec_b64 s[28:29], s[16:17]
	s_cbranch_execz .LBB1946_192
; %bb.191:                              ;   in Loop: Header=BB1946_186 Depth=1
	flat_load_dword v55, v[30:31]
	s_waitcnt vmcnt(0) lgkmcnt(0)
	s_nop 0
	v_mov_b32_dpp v64, v55 row_shr:1 row_mask:0xf bank_mask:0xf
	v_cndmask_b32_e64 v64, v64, 0, s[24:25]
	v_add_u32_e32 v55, v64, v55
	s_nop 1
	v_mov_b32_dpp v64, v55 row_shr:2 row_mask:0xf bank_mask:0xf
	v_cndmask_b32_e64 v64, 0, v64, s[26:27]
	v_add_u32_e32 v55, v55, v64
	flat_store_dword v[30:31], v55
.LBB1946_192:                           ;   in Loop: Header=BB1946_186 Depth=1
	s_or_b64 exec, exec, s[28:29]
	v_mov_b32_e32 v55, 0
	s_waitcnt lgkmcnt(0)
	s_barrier
	s_and_saveexec_b64 s[28:29], s[18:19]
	s_cbranch_execz .LBB1946_194
; %bb.193:                              ;   in Loop: Header=BB1946_186 Depth=1
	flat_load_dword v55, v[32:33]
.LBB1946_194:                           ;   in Loop: Header=BB1946_186 Depth=1
	s_or_b64 exec, exec, s[28:29]
	s_waitcnt vmcnt(0) lgkmcnt(0)
	v_add_u32_e32 v21, v55, v21
	ds_bpermute_b32 v21, v52, v21
	v_add_u32_e32 v10, 8, v10
	v_cmp_lt_u32_e64 s[28:29], v10, v11
	s_mov_b64 s[36:37], -1
	s_waitcnt lgkmcnt(0)
	v_cndmask_b32_e64 v21, v21, v55, s[20:21]
	v_cndmask_b32_e64 v64, v21, 0, s[22:23]
	v_add_u32_e32 v65, v64, v18
	v_add_u32_e32 v66, v65, v19
	;; [unrolled: 1-line block ×3, first 2 shown]
	flat_store_dwordx4 v[8:9], v[64:67] offset:16
	s_waitcnt lgkmcnt(0)
	s_barrier
	flat_load_dword v18, v[48:49]
	s_waitcnt lgkmcnt(0)
                                        ; implicit-def: $vgpr48
	s_waitcnt vmcnt(0) lgkmcnt(0)
	v_add_u32_e32 v4, v18, v4
	v_lshlrev_b64 v[18:19], 1, v[4:5]
	v_add_co_u32_e64 v20, s[30:31], v12, v18
	v_addc_co_u32_e64 v21, s[30:31], v13, v19, s[30:31]
                                        ; implicit-def: $vgpr18_vgpr19
	s_and_saveexec_b64 s[30:31], s[28:29]
	s_cbranch_execz .LBB1946_185
; %bb.195:                              ;   in Loop: Header=BB1946_186 Depth=1
	v_mad_u64_u32 v[18:19], s[28:29], v4, 6, v[20:21]
	s_barrier
	flat_store_short v[20:21], v54
	s_waitcnt lgkmcnt(0)
	s_barrier
	flat_load_ushort v48, v[36:37]
	s_waitcnt lgkmcnt(0)
	s_barrier
	flat_store_dwordx2 v[18:19], v[34:35]
	s_waitcnt lgkmcnt(0)
	s_barrier
	flat_load_dwordx2 v[18:19], v[38:39]
	v_add_u32_e32 v53, -8, v53
	s_xor_b64 s[36:37], exec, -1
	s_waitcnt lgkmcnt(0)
	s_barrier
	s_branch .LBB1946_185
.LBB1946_196:
	s_or_b64 exec, exec, s[34:35]
	v_lshlrev_b32_e32 v5, 1, v26
	v_add_co_u32_e32 v10, vcc, v12, v5
	v_addc_co_u32_e32 v11, vcc, 0, v13, vcc
	v_mad_u64_u32 v[4:5], s[4:5], v4, 6, v[20:21]
	s_barrier
	flat_store_short v[20:21], v54
	s_waitcnt lgkmcnt(0)
	s_barrier
	flat_load_ushort v8, v[10:11]
	s_waitcnt lgkmcnt(0)
	s_barrier
	flat_store_dwordx2 v[4:5], v[34:35]
	v_mad_u64_u32 v[4:5], s[4:5], v26, 6, v[10:11]
	s_waitcnt lgkmcnt(0)
	s_barrier
	flat_load_dwordx2 v[4:5], v[4:5]
	v_mov_b32_e32 v23, 0
	v_cmp_lt_u32_e32 vcc, v22, v148
	s_waitcnt lgkmcnt(0)
	s_barrier
	s_and_saveexec_b64 s[4:5], vcc
	s_cbranch_execz .LBB1946_198
; %bb.197:
	v_add_co_u32_e32 v6, vcc, v6, v0
	v_addc_co_u32_e32 v7, vcc, v7, v1, vcc
	v_lshlrev_b64 v[0:1], 3, v[22:23]
	v_add_co_u32_e32 v0, vcc, v6, v0
	v_addc_co_u32_e32 v1, vcc, v7, v1, vcc
	v_mov_b32_e32 v6, 0x7fff
	s_waitcnt vmcnt(0)
	v_cmp_gt_i16_e32 vcc, 0, v8
	v_cndmask_b32_e64 v6, v6, 0, vcc
	v_add_co_u32_e32 v7, vcc, v2, v24
	v_xor_b32_e32 v6, v6, v8
	v_addc_co_u32_e32 v8, vcc, v3, v25, vcc
	v_lshlrev_b64 v[2:3], 1, v[22:23]
	v_add_co_u32_e32 v2, vcc, v7, v2
	v_addc_co_u32_e32 v3, vcc, v8, v3, vcc
	flat_store_short v[2:3], v6
	flat_store_dwordx2 v[0:1], v[4:5]
.LBB1946_198:
	s_or_b64 exec, exec, s[4:5]
.LBB1946_199:
	s_or_b64 exec, exec, s[38:39]
	v_readlane_b32 s30, v40, 14
	v_readlane_b32 s31, v40, 15
	;; [unrolled: 1-line block ×16, first 2 shown]
	s_or_saveexec_b64 s[4:5], -1
	buffer_load_dword v40, off, s[0:3], s32 ; 4-byte Folded Reload
	s_mov_b64 exec, s[4:5]
	s_waitcnt vmcnt(0) lgkmcnt(0)
	s_setpc_b64 s[30:31]
.Lfunc_end1946:
	.size	_ZN7rocprim17ROCPRIM_400000_NS6detail40segmented_radix_sort_single_block_helperI12hip_bfloat16lLj256ELj8ELb1EE4sortIPKS3_PS3_PKlPlEEbT_T0_T1_T2_jjjjRNS4_12storage_typeE, .Lfunc_end1946-_ZN7rocprim17ROCPRIM_400000_NS6detail40segmented_radix_sort_single_block_helperI12hip_bfloat16lLj256ELj8ELb1EE4sortIPKS3_PS3_PKlPlEEbT_T0_T1_T2_jjjjRNS4_12storage_typeE
                                        ; -- End function
	.section	.AMDGPU.csdata,"",@progbits
; Function info:
; codeLenInByte = 17164
; NumSgprs: 52
; NumVgprs: 178
; NumAgprs: 0
; TotalNumVgprs: 178
; ScratchSize: 8
; MemoryBound: 1
	.section	.text._ZN7rocprim17ROCPRIM_400000_NS6detail17trampoline_kernelINS0_14default_configENS1_36segmented_radix_sort_config_selectorI12hip_bfloat16lEEZNS1_25segmented_radix_sort_implIS3_Lb1EPKS5_PS5_PKlPlN2at6native12_GLOBAL__N_18offset_tEEE10hipError_tPvRmT1_PNSt15iterator_traitsISL_E10value_typeET2_T3_PNSM_ISR_E10value_typeET4_jRbjT5_SX_jjP12ihipStream_tbEUlT_E_NS1_11comp_targetILNS1_3genE4ELNS1_11target_archE910ELNS1_3gpuE8ELNS1_3repE0EEENS1_30default_config_static_selectorELNS0_4arch9wavefront6targetE1EEEvSL_,"axG",@progbits,_ZN7rocprim17ROCPRIM_400000_NS6detail17trampoline_kernelINS0_14default_configENS1_36segmented_radix_sort_config_selectorI12hip_bfloat16lEEZNS1_25segmented_radix_sort_implIS3_Lb1EPKS5_PS5_PKlPlN2at6native12_GLOBAL__N_18offset_tEEE10hipError_tPvRmT1_PNSt15iterator_traitsISL_E10value_typeET2_T3_PNSM_ISR_E10value_typeET4_jRbjT5_SX_jjP12ihipStream_tbEUlT_E_NS1_11comp_targetILNS1_3genE4ELNS1_11target_archE910ELNS1_3gpuE8ELNS1_3repE0EEENS1_30default_config_static_selectorELNS0_4arch9wavefront6targetE1EEEvSL_,comdat
	.globl	_ZN7rocprim17ROCPRIM_400000_NS6detail17trampoline_kernelINS0_14default_configENS1_36segmented_radix_sort_config_selectorI12hip_bfloat16lEEZNS1_25segmented_radix_sort_implIS3_Lb1EPKS5_PS5_PKlPlN2at6native12_GLOBAL__N_18offset_tEEE10hipError_tPvRmT1_PNSt15iterator_traitsISL_E10value_typeET2_T3_PNSM_ISR_E10value_typeET4_jRbjT5_SX_jjP12ihipStream_tbEUlT_E_NS1_11comp_targetILNS1_3genE4ELNS1_11target_archE910ELNS1_3gpuE8ELNS1_3repE0EEENS1_30default_config_static_selectorELNS0_4arch9wavefront6targetE1EEEvSL_ ; -- Begin function _ZN7rocprim17ROCPRIM_400000_NS6detail17trampoline_kernelINS0_14default_configENS1_36segmented_radix_sort_config_selectorI12hip_bfloat16lEEZNS1_25segmented_radix_sort_implIS3_Lb1EPKS5_PS5_PKlPlN2at6native12_GLOBAL__N_18offset_tEEE10hipError_tPvRmT1_PNSt15iterator_traitsISL_E10value_typeET2_T3_PNSM_ISR_E10value_typeET4_jRbjT5_SX_jjP12ihipStream_tbEUlT_E_NS1_11comp_targetILNS1_3genE4ELNS1_11target_archE910ELNS1_3gpuE8ELNS1_3repE0EEENS1_30default_config_static_selectorELNS0_4arch9wavefront6targetE1EEEvSL_
	.p2align	8
	.type	_ZN7rocprim17ROCPRIM_400000_NS6detail17trampoline_kernelINS0_14default_configENS1_36segmented_radix_sort_config_selectorI12hip_bfloat16lEEZNS1_25segmented_radix_sort_implIS3_Lb1EPKS5_PS5_PKlPlN2at6native12_GLOBAL__N_18offset_tEEE10hipError_tPvRmT1_PNSt15iterator_traitsISL_E10value_typeET2_T3_PNSM_ISR_E10value_typeET4_jRbjT5_SX_jjP12ihipStream_tbEUlT_E_NS1_11comp_targetILNS1_3genE4ELNS1_11target_archE910ELNS1_3gpuE8ELNS1_3repE0EEENS1_30default_config_static_selectorELNS0_4arch9wavefront6targetE1EEEvSL_,@function
_ZN7rocprim17ROCPRIM_400000_NS6detail17trampoline_kernelINS0_14default_configENS1_36segmented_radix_sort_config_selectorI12hip_bfloat16lEEZNS1_25segmented_radix_sort_implIS3_Lb1EPKS5_PS5_PKlPlN2at6native12_GLOBAL__N_18offset_tEEE10hipError_tPvRmT1_PNSt15iterator_traitsISL_E10value_typeET2_T3_PNSM_ISR_E10value_typeET4_jRbjT5_SX_jjP12ihipStream_tbEUlT_E_NS1_11comp_targetILNS1_3genE4ELNS1_11target_archE910ELNS1_3gpuE8ELNS1_3repE0EEENS1_30default_config_static_selectorELNS0_4arch9wavefront6targetE1EEEvSL_: ; @_ZN7rocprim17ROCPRIM_400000_NS6detail17trampoline_kernelINS0_14default_configENS1_36segmented_radix_sort_config_selectorI12hip_bfloat16lEEZNS1_25segmented_radix_sort_implIS3_Lb1EPKS5_PS5_PKlPlN2at6native12_GLOBAL__N_18offset_tEEE10hipError_tPvRmT1_PNSt15iterator_traitsISL_E10value_typeET2_T3_PNSM_ISR_E10value_typeET4_jRbjT5_SX_jjP12ihipStream_tbEUlT_E_NS1_11comp_targetILNS1_3genE4ELNS1_11target_archE910ELNS1_3gpuE8ELNS1_3repE0EEENS1_30default_config_static_selectorELNS0_4arch9wavefront6targetE1EEEvSL_
; %bb.0:
	s_add_u32 flat_scratch_lo, s6, s10
	s_addc_u32 flat_scratch_hi, s7, 0
	s_mov_b32 s33, s9
	s_mov_b64 s[48:49], s[4:5]
	s_mov_b32 s50, s8
	s_load_dwordx2 s[8:9], s[4:5], 0x38
	s_nop 0
	s_load_dwordx4 s[4:7], s[4:5], 0x40
	s_add_u32 s0, s0, s10
	s_mov_b32 s11, 0
	s_mov_b32 s10, s50
	s_addc_u32 s1, s1, 0
	s_lshl_b64 s[10:11], s[10:11], 2
	s_waitcnt lgkmcnt(0)
	s_add_u32 s8, s8, s10
	s_addc_u32 s9, s9, s11
	s_load_dword s8, s[8:9], 0x0
	s_mov_b32 s32, 0
	s_waitcnt lgkmcnt(0)
	s_add_i32 s51, s8, s5
	s_add_i32 s76, s8, s7
	s_mul_i32 s51, s51, s4
	s_mul_i32 s76, s76, s6
	s_cmp_le_u32 s76, s51
	s_cbranch_scc1 .LBB1947_678
; %bb.1:
	s_load_dword s4, s[48:49], 0x30
	s_load_dwordx4 s[64:67], s[48:49], 0x20
	s_load_dwordx4 s[68:71], s[48:49], 0x50
	s_load_dwordx8 s[56:63], s[48:49], 0x0
	s_waitcnt lgkmcnt(0)
	s_bitcmp1_b32 s4, 0
	s_cselect_b64 s[54:55], -1, 0
	s_sub_i32 s71, s76, s51
	s_cmpk_lt_u32 s71, 0x801
	s_mov_b64 s[4:5], -1
	s_cbranch_scc0 .LBB1947_7
; %bb.2:
	s_and_b32 s4, s68, 1
	v_cndmask_b32_e64 v1, 0, 1, s[54:55]
	v_cmp_ne_u32_e32 vcc, s4, v1
	s_mov_b64 s[4:5], -1
	s_cbranch_vccnz .LBB1947_4
; %bb.3:
	s_add_u32 s8, s48, 0x60
	s_mov_b64 s[4:5], src_shared_base
	s_addc_u32 s9, s49, 0
	s_mov_b32 s12, s50
	s_mov_b32 s13, s33
	v_mov_b32_e32 v31, v0
	v_mov_b32_e32 v41, v0
	;; [unrolled: 1-line block ×16, first 2 shown]
	s_getpc_b64 s[6:7]
	s_add_u32 s6, s6, _ZN7rocprim17ROCPRIM_400000_NS6detail40segmented_radix_sort_single_block_helperI12hip_bfloat16lLj256ELj8ELb1EE4sortIPKS3_PS3_PKlPlEEbT_T0_T1_T2_jjjjRNS4_12storage_typeE@rel32@lo+4
	s_addc_u32 s7, s7, _ZN7rocprim17ROCPRIM_400000_NS6detail40segmented_radix_sort_single_block_helperI12hip_bfloat16lLj256ELj8ELb1EE4sortIPKS3_PS3_PKlPlEEbT_T0_T1_T2_jjjjRNS4_12storage_typeE@rel32@hi+12
	s_swappc_b64 s[30:31], s[6:7]
	v_mov_b32_e32 v0, v41
	s_mov_b64 s[4:5], 0
.LBB1947_4:
	s_andn2_b64 vcc, exec, s[4:5]
	s_cbranch_vccnz .LBB1947_6
; %bb.5:
	s_add_u32 s8, s48, 0x60
	s_mov_b64 s[4:5], src_shared_base
	s_addc_u32 s9, s49, 0
	s_mov_b32 s12, s50
	s_mov_b32 s13, s33
	v_mov_b32_e32 v31, v0
	v_mov_b32_e32 v41, v0
	;; [unrolled: 1-line block ×16, first 2 shown]
	s_getpc_b64 s[6:7]
	s_add_u32 s6, s6, _ZN7rocprim17ROCPRIM_400000_NS6detail40segmented_radix_sort_single_block_helperI12hip_bfloat16lLj256ELj8ELb1EE4sortIPKS3_PS3_PKlPlEEbT_T0_T1_T2_jjjjRNS4_12storage_typeE@rel32@lo+4
	s_addc_u32 s7, s7, _ZN7rocprim17ROCPRIM_400000_NS6detail40segmented_radix_sort_single_block_helperI12hip_bfloat16lLj256ELj8ELb1EE4sortIPKS3_PS3_PKlPlEEbT_T0_T1_T2_jjjjRNS4_12storage_typeE@rel32@hi+12
	s_swappc_b64 s[30:31], s[6:7]
	v_mov_b32_e32 v0, v41
.LBB1947_6:
	s_mov_b64 s[4:5], 0
.LBB1947_7:
	s_andn2_b64 vcc, exec, s[4:5]
	s_cbranch_vccnz .LBB1947_678
; %bb.8:
	s_cmp_ge_u32 s69, s70
	s_cbranch_scc1 .LBB1947_678
; %bb.9:
	v_and_b32_e32 v2, 0x3ff, v0
	v_lshlrev_b32_e32 v5, 1, v2
	v_mov_b32_e32 v6, s61
	v_add_co_u32_e32 v27, vcc, s60, v5
	v_addc_co_u32_e32 v28, vcc, 0, v6, vcc
	v_or_b32_e32 v6, 63, v2
	v_lshlrev_b32_e32 v3, 2, v2
	v_cmp_eq_u32_e64 s[6:7], v6, v2
	v_lshrrev_b32_e32 v6, 4, v2
	v_mad_u32_u24 v33, v2, 12, v3
	v_and_b32_e32 v34, 12, v6
	v_lshlrev_b32_e32 v6, 3, v2
	v_bfe_u32 v39, v0, 20, 10
	v_bfe_u32 v40, v0, 10, 10
	v_mul_u32_u24_e32 v0, 5, v2
	v_mov_b32_e32 v42, 0x410
	v_and_b32_e32 v38, 0x600, v6
	v_add_u32_e32 v41, v33, v3
	v_lshl_add_u32 v43, v0, 2, v42
	v_lshlrev_b32_e32 v0, 4, v2
	v_sub_u32_e32 v44, v41, v0
	v_lshlrev_b32_e32 v0, 3, v38
	v_mov_b32_e32 v6, s67
	v_add_co_u32_e32 v45, vcc, s66, v0
	v_addc_co_u32_e32 v46, vcc, 0, v6, vcc
	v_lshlrev_b32_e32 v6, 1, v38
	v_mov_b32_e32 v7, s61
	v_add_co_u32_e32 v47, vcc, s60, v6
	v_addc_co_u32_e32 v48, vcc, 0, v7, vcc
	v_mov_b32_e32 v7, s59
	v_add_co_u32_e32 v52, vcc, s58, v5
	v_addc_co_u32_e32 v53, vcc, 0, v7, vcc
	;; [unrolled: 3-line block ×5, first 2 shown]
	v_sub_u32_e32 v49, v44, v5
	v_add_u32_e32 v50, 0x400, v5
	v_mov_b32_e32 v5, s63
	v_add_co_u32_e32 v60, vcc, s62, v0
	v_addc_co_u32_e32 v61, vcc, 0, v5, vcc
	v_mov_b32_e32 v0, s57
	v_add_co_u32_e32 v62, vcc, s56, v6
	s_movk_i32 s4, 0x100
	v_and_b32_e32 v1, 3, v2
	s_add_u32 s74, s48, 0x60
	s_movk_i32 s14, 0xff
	v_addc_co_u32_e32 v63, vcc, 0, v0, vcc
	v_mbcnt_lo_u32_b32 v0, -1, 0
	s_mov_b32 s73, 0
	v_mov_b32_e32 v4, 0
	v_or_b32_e32 v24, 0x100, v2
	v_or_b32_e32 v25, 0x200, v2
	;; [unrolled: 1-line block ×7, first 2 shown]
	v_cmp_gt_u32_e64 s[4:5], s4, v2
	v_or_b32_e32 v35, 0x4400, v34
	v_cmp_gt_u32_e64 s[8:9], 4, v2
	v_add_u32_e32 v36, 0x4400, v3
	v_cmp_lt_u32_e64 s[10:11], 63, v2
	v_add_u32_e32 v37, 0x43fc, v34
	s_addc_u32 s75, s49, 0
	v_cmp_eq_u32_e64 s[12:13], 0, v2
	v_cmp_ne_u32_e64 s[14:15], s14, v2
	v_mul_u32_u24_e32 v51, 6, v2
	s_movk_i32 s68, 0x8000
	v_mov_b32_e32 v64, 1
	v_lshlrev_b32_e32 v65, 1, v2
	v_mov_b32_e32 v66, 0x7fff
	v_lshlrev_b32_e32 v67, 2, v1
	v_mbcnt_hi_u32_b32 v68, -1, v0
	s_mov_b32 s77, s69
	s_branch .LBB1947_12
.LBB1947_10:                            ;   in Loop: Header=BB1947_12 Depth=1
	s_waitcnt lgkmcnt(0)
	s_barrier
.LBB1947_11:                            ;   in Loop: Header=BB1947_12 Depth=1
	s_add_i32 s77, s77, 8
	s_cmp_ge_u32 s77, s70
	s_cbranch_scc1 .LBB1947_678
.LBB1947_12:                            ; =>This Loop Header: Depth=1
                                        ;     Child Loop BB1947_16 Depth 2
                                        ;     Child Loop BB1947_66 Depth 2
	;; [unrolled: 1-line block ×8, first 2 shown]
	s_sub_i32 s16, s70, s77
	s_min_u32 s16, s16, 8
	s_lshl_b32 s16, -1, s16
	s_xor_b64 s[54:55], s[54:55], -1
	s_not_b32 s78, s16
	s_cmp_lg_u32 s77, s69
	s_mov_b64 s[16:17], -1
	ds_write2st64_b32 v3, v4, v4 offset1:4
	ds_write2st64_b32 v3, v4, v4 offset0:8 offset1:12
	s_waitcnt lgkmcnt(0)
	s_cbranch_scc0 .LBB1947_346
; %bb.13:                               ;   in Loop: Header=BB1947_12 Depth=1
	s_and_b64 vcc, exec, s[54:55]
	s_cbranch_vccz .LBB1947_179
; %bb.14:                               ;   in Loop: Header=BB1947_12 Depth=1
	s_mov_b32 s22, s71
	s_mov_b32 s72, s51
	s_barrier
	s_waitcnt lgkmcnt(0)
                                        ; implicit-def: $vgpr12
                                        ; implicit-def: $vgpr5
                                        ; implicit-def: $vgpr6
                                        ; implicit-def: $vgpr7
                                        ; implicit-def: $vgpr8
                                        ; implicit-def: $vgpr9
                                        ; implicit-def: $vgpr10
                                        ; implicit-def: $vgpr11
	s_branch .LBB1947_16
.LBB1947_15:                            ;   in Loop: Header=BB1947_16 Depth=2
	s_or_b64 exec, exec, s[16:17]
	s_addk_i32 s22, 0xf800
	s_cmp_ge_u32 s23, s76
	s_mov_b32 s72, s23
	s_cbranch_scc1 .LBB1947_54
.LBB1947_16:                            ;   Parent Loop BB1947_12 Depth=1
                                        ; =>  This Inner Loop Header: Depth=2
	s_add_i32 s23, s72, 0x800
	s_cmp_gt_u32 s23, s76
	s_cbranch_scc1 .LBB1947_19
; %bb.17:                               ;   in Loop: Header=BB1947_16 Depth=2
	s_lshl_b64 s[16:17], s[72:73], 1
	v_mov_b32_e32 v1, s17
	v_add_co_u32_e32 v0, vcc, s16, v27
	v_addc_co_u32_e32 v1, vcc, v28, v1, vcc
	global_load_ushort v14, v[0:1], off
	global_load_ushort v15, v[0:1], off offset:512
	global_load_ushort v16, v[0:1], off offset:1024
	;; [unrolled: 1-line block ×6, first 2 shown]
	v_add_co_u32_e32 v0, vcc, 0xe00, v0
	v_addc_co_u32_e32 v1, vcc, 0, v1, vcc
	s_mov_b64 s[16:17], -1
	s_movk_i32 s24, 0x800
	s_cbranch_execz .LBB1947_20
; %bb.18:                               ;   in Loop: Header=BB1947_16 Depth=2
                                        ; implicit-def: $vgpr11
                                        ; implicit-def: $vgpr10
                                        ; implicit-def: $vgpr9
                                        ; implicit-def: $vgpr8
                                        ; implicit-def: $vgpr7
                                        ; implicit-def: $vgpr6
                                        ; implicit-def: $vgpr5
                                        ; implicit-def: $vgpr12
	v_mov_b32_e32 v13, s22
	s_and_saveexec_b64 s[18:19], s[16:17]
	s_cbranch_execnz .LBB1947_31
	s_branch .LBB1947_32
.LBB1947_19:                            ;   in Loop: Header=BB1947_16 Depth=2
	s_mov_b64 s[16:17], 0
                                        ; implicit-def: $sgpr24
                                        ; implicit-def: $vgpr14
                                        ; implicit-def: $vgpr15
                                        ; implicit-def: $vgpr16
                                        ; implicit-def: $vgpr17
                                        ; implicit-def: $vgpr18
                                        ; implicit-def: $vgpr19
                                        ; implicit-def: $vgpr20
                                        ; implicit-def: $vgpr0_vgpr1
.LBB1947_20:                            ;   in Loop: Header=BB1947_16 Depth=2
	s_lshl_b64 s[18:19], s[72:73], 1
	s_add_u32 s18, s60, s18
	s_addc_u32 s19, s61, s19
	v_cmp_gt_u32_e32 vcc, s22, v2
	s_and_saveexec_b64 s[20:21], vcc
	s_cbranch_execz .LBB1947_48
; %bb.21:                               ;   in Loop: Header=BB1947_16 Depth=2
	global_load_ushort v11, v65, s[18:19]
	s_or_b64 exec, exec, s[20:21]
	v_cmp_gt_u32_e32 vcc, s22, v24
	s_and_saveexec_b64 s[20:21], vcc
	s_cbranch_execnz .LBB1947_49
.LBB1947_22:                            ;   in Loop: Header=BB1947_16 Depth=2
	s_or_b64 exec, exec, s[20:21]
	v_cmp_gt_u32_e32 vcc, s22, v25
	s_and_saveexec_b64 s[20:21], vcc
	s_cbranch_execz .LBB1947_50
.LBB1947_23:                            ;   in Loop: Header=BB1947_16 Depth=2
	global_load_ushort v9, v65, s[18:19] offset:1024
	s_or_b64 exec, exec, s[20:21]
	v_cmp_gt_u32_e32 vcc, s22, v26
	s_and_saveexec_b64 s[20:21], vcc
	s_cbranch_execnz .LBB1947_51
.LBB1947_24:                            ;   in Loop: Header=BB1947_16 Depth=2
	s_or_b64 exec, exec, s[20:21]
	v_cmp_gt_u32_e32 vcc, s22, v29
	s_and_saveexec_b64 s[20:21], vcc
	s_cbranch_execz .LBB1947_52
.LBB1947_25:                            ;   in Loop: Header=BB1947_16 Depth=2
	global_load_ushort v7, v65, s[18:19] offset:2048
	s_or_b64 exec, exec, s[20:21]
	v_cmp_gt_u32_e32 vcc, s22, v30
	s_and_saveexec_b64 s[20:21], vcc
	s_cbranch_execnz .LBB1947_53
.LBB1947_26:                            ;   in Loop: Header=BB1947_16 Depth=2
	s_or_b64 exec, exec, s[20:21]
	v_cmp_gt_u32_e32 vcc, s22, v31
	s_and_saveexec_b64 s[20:21], vcc
	s_cbranch_execz .LBB1947_28
.LBB1947_27:                            ;   in Loop: Header=BB1947_16 Depth=2
	global_load_ushort v5, v65, s[18:19] offset:3072
.LBB1947_28:                            ;   in Loop: Header=BB1947_16 Depth=2
	s_or_b64 exec, exec, s[20:21]
	v_cmp_gt_u32_e32 vcc, s22, v32
                                        ; implicit-def: $sgpr24
                                        ; implicit-def: $vgpr0_vgpr1
	s_and_saveexec_b64 s[20:21], vcc
	s_cbranch_execz .LBB1947_30
; %bb.29:                               ;   in Loop: Header=BB1947_16 Depth=2
	v_mov_b32_e32 v0, s19
	v_add_co_u32_e32 v1, vcc, s18, v65
	s_waitcnt vmcnt(0)
	v_addc_co_u32_e32 v12, vcc, 0, v0, vcc
	v_add_co_u32_e32 v0, vcc, 0xe00, v1
	s_sub_i32 s24, s76, s72
	v_addc_co_u32_e32 v1, vcc, 0, v12, vcc
	s_or_b64 s[16:17], s[16:17], exec
                                        ; implicit-def: $vgpr12
.LBB1947_30:                            ;   in Loop: Header=BB1947_16 Depth=2
	s_or_b64 exec, exec, s[20:21]
	s_waitcnt vmcnt(0)
	v_mov_b32_e32 v14, v11
	v_mov_b32_e32 v15, v10
	;; [unrolled: 1-line block ×8, first 2 shown]
	s_and_saveexec_b64 s[18:19], s[16:17]
	s_cbranch_execz .LBB1947_32
.LBB1947_31:                            ;   in Loop: Header=BB1947_16 Depth=2
	global_load_ushort v12, v[0:1], off
	v_mov_b32_e32 v13, s24
	s_waitcnt vmcnt(1)
	v_mov_b32_e32 v5, v20
	v_mov_b32_e32 v6, v19
	;; [unrolled: 1-line block ×7, first 2 shown]
.LBB1947_32:                            ;   in Loop: Header=BB1947_16 Depth=2
	s_or_b64 exec, exec, s[18:19]
	v_cmp_lt_u32_e32 vcc, v2, v13
	s_and_saveexec_b64 s[16:17], vcc
	s_cbranch_execz .LBB1947_40
; %bb.33:                               ;   in Loop: Header=BB1947_16 Depth=2
	v_cmp_gt_i16_e32 vcc, 0, v11
	v_cndmask_b32_e64 v0, v66, 0, vcc
	v_xor_b32_e32 v0, v0, v11
	v_cmp_ne_u16_e32 vcc, s68, v0
	v_cndmask_b32_e32 v0, v66, v0, vcc
	v_lshrrev_b32_sdwa v0, s77, v0 dst_sel:DWORD dst_unused:UNUSED_PAD src0_sel:DWORD src1_sel:WORD_0
	v_and_b32_e32 v0, s78, v0
	v_lshl_or_b32 v0, v0, 4, v67
	ds_add_u32 v0, v64
	s_or_b64 exec, exec, s[16:17]
	v_cmp_lt_u32_e32 vcc, v24, v13
	s_and_saveexec_b64 s[16:17], vcc
	s_cbranch_execnz .LBB1947_41
.LBB1947_34:                            ;   in Loop: Header=BB1947_16 Depth=2
	s_or_b64 exec, exec, s[16:17]
	v_cmp_lt_u32_e32 vcc, v25, v13
	s_and_saveexec_b64 s[16:17], vcc
	s_cbranch_execz .LBB1947_42
.LBB1947_35:                            ;   in Loop: Header=BB1947_16 Depth=2
	v_cmp_gt_i16_e32 vcc, 0, v9
	v_cndmask_b32_e64 v0, v66, 0, vcc
	v_xor_b32_e32 v0, v0, v9
	v_cmp_ne_u16_e32 vcc, s68, v0
	v_cndmask_b32_e32 v0, v66, v0, vcc
	v_lshrrev_b32_sdwa v0, s77, v0 dst_sel:DWORD dst_unused:UNUSED_PAD src0_sel:DWORD src1_sel:WORD_0
	v_and_b32_e32 v0, s78, v0
	v_lshl_or_b32 v0, v0, 4, v67
	ds_add_u32 v0, v64
	s_or_b64 exec, exec, s[16:17]
	v_cmp_lt_u32_e32 vcc, v26, v13
	s_and_saveexec_b64 s[16:17], vcc
	s_cbranch_execnz .LBB1947_43
.LBB1947_36:                            ;   in Loop: Header=BB1947_16 Depth=2
	s_or_b64 exec, exec, s[16:17]
	v_cmp_lt_u32_e32 vcc, v29, v13
	s_and_saveexec_b64 s[16:17], vcc
	s_cbranch_execz .LBB1947_44
.LBB1947_37:                            ;   in Loop: Header=BB1947_16 Depth=2
	v_cmp_gt_i16_e32 vcc, 0, v7
	v_cndmask_b32_e64 v0, v66, 0, vcc
	v_xor_b32_e32 v0, v0, v7
	v_cmp_ne_u16_e32 vcc, s68, v0
	v_cndmask_b32_e32 v0, v66, v0, vcc
	v_lshrrev_b32_sdwa v0, s77, v0 dst_sel:DWORD dst_unused:UNUSED_PAD src0_sel:DWORD src1_sel:WORD_0
	v_and_b32_e32 v0, s78, v0
	v_lshl_or_b32 v0, v0, 4, v67
	ds_add_u32 v0, v64
	s_or_b64 exec, exec, s[16:17]
	v_cmp_lt_u32_e32 vcc, v30, v13
	s_and_saveexec_b64 s[16:17], vcc
	s_cbranch_execnz .LBB1947_45
.LBB1947_38:                            ;   in Loop: Header=BB1947_16 Depth=2
	s_or_b64 exec, exec, s[16:17]
	v_cmp_lt_u32_e32 vcc, v31, v13
	s_and_saveexec_b64 s[16:17], vcc
	s_cbranch_execz .LBB1947_46
.LBB1947_39:                            ;   in Loop: Header=BB1947_16 Depth=2
	v_cmp_gt_i16_e32 vcc, 0, v5
	v_cndmask_b32_e64 v0, v66, 0, vcc
	v_xor_b32_e32 v0, v0, v5
	v_cmp_ne_u16_e32 vcc, s68, v0
	v_cndmask_b32_e32 v0, v66, v0, vcc
	v_lshrrev_b32_sdwa v0, s77, v0 dst_sel:DWORD dst_unused:UNUSED_PAD src0_sel:DWORD src1_sel:WORD_0
	v_and_b32_e32 v0, s78, v0
	v_lshl_or_b32 v0, v0, 4, v67
	ds_add_u32 v0, v64
	s_or_b64 exec, exec, s[16:17]
	v_cmp_lt_u32_e32 vcc, v32, v13
	s_and_saveexec_b64 s[16:17], vcc
	s_cbranch_execz .LBB1947_15
	s_branch .LBB1947_47
.LBB1947_40:                            ;   in Loop: Header=BB1947_16 Depth=2
	s_or_b64 exec, exec, s[16:17]
	v_cmp_lt_u32_e32 vcc, v24, v13
	s_and_saveexec_b64 s[16:17], vcc
	s_cbranch_execz .LBB1947_34
.LBB1947_41:                            ;   in Loop: Header=BB1947_16 Depth=2
	v_cmp_gt_i16_e32 vcc, 0, v10
	v_cndmask_b32_e64 v0, v66, 0, vcc
	v_xor_b32_e32 v0, v0, v10
	v_cmp_ne_u16_e32 vcc, s68, v0
	v_cndmask_b32_e32 v0, v66, v0, vcc
	v_lshrrev_b32_sdwa v0, s77, v0 dst_sel:DWORD dst_unused:UNUSED_PAD src0_sel:DWORD src1_sel:WORD_0
	v_and_b32_e32 v0, s78, v0
	v_lshl_or_b32 v0, v0, 4, v67
	ds_add_u32 v0, v64
	s_or_b64 exec, exec, s[16:17]
	v_cmp_lt_u32_e32 vcc, v25, v13
	s_and_saveexec_b64 s[16:17], vcc
	s_cbranch_execnz .LBB1947_35
.LBB1947_42:                            ;   in Loop: Header=BB1947_16 Depth=2
	s_or_b64 exec, exec, s[16:17]
	v_cmp_lt_u32_e32 vcc, v26, v13
	s_and_saveexec_b64 s[16:17], vcc
	s_cbranch_execz .LBB1947_36
.LBB1947_43:                            ;   in Loop: Header=BB1947_16 Depth=2
	v_cmp_gt_i16_e32 vcc, 0, v8
	v_cndmask_b32_e64 v0, v66, 0, vcc
	v_xor_b32_e32 v0, v0, v8
	v_cmp_ne_u16_e32 vcc, s68, v0
	v_cndmask_b32_e32 v0, v66, v0, vcc
	v_lshrrev_b32_sdwa v0, s77, v0 dst_sel:DWORD dst_unused:UNUSED_PAD src0_sel:DWORD src1_sel:WORD_0
	v_and_b32_e32 v0, s78, v0
	v_lshl_or_b32 v0, v0, 4, v67
	ds_add_u32 v0, v64
	s_or_b64 exec, exec, s[16:17]
	v_cmp_lt_u32_e32 vcc, v29, v13
	s_and_saveexec_b64 s[16:17], vcc
	s_cbranch_execnz .LBB1947_37
.LBB1947_44:                            ;   in Loop: Header=BB1947_16 Depth=2
	s_or_b64 exec, exec, s[16:17]
	v_cmp_lt_u32_e32 vcc, v30, v13
	s_and_saveexec_b64 s[16:17], vcc
	s_cbranch_execz .LBB1947_38
.LBB1947_45:                            ;   in Loop: Header=BB1947_16 Depth=2
	v_cmp_gt_i16_e32 vcc, 0, v6
	v_cndmask_b32_e64 v0, v66, 0, vcc
	v_xor_b32_e32 v0, v0, v6
	v_cmp_ne_u16_e32 vcc, s68, v0
	v_cndmask_b32_e32 v0, v66, v0, vcc
	v_lshrrev_b32_sdwa v0, s77, v0 dst_sel:DWORD dst_unused:UNUSED_PAD src0_sel:DWORD src1_sel:WORD_0
	v_and_b32_e32 v0, s78, v0
	v_lshl_or_b32 v0, v0, 4, v67
	ds_add_u32 v0, v64
	s_or_b64 exec, exec, s[16:17]
	v_cmp_lt_u32_e32 vcc, v31, v13
	s_and_saveexec_b64 s[16:17], vcc
	s_cbranch_execnz .LBB1947_39
.LBB1947_46:                            ;   in Loop: Header=BB1947_16 Depth=2
	s_or_b64 exec, exec, s[16:17]
	v_cmp_lt_u32_e32 vcc, v32, v13
	s_and_saveexec_b64 s[16:17], vcc
	s_cbranch_execz .LBB1947_15
.LBB1947_47:                            ;   in Loop: Header=BB1947_16 Depth=2
	s_waitcnt vmcnt(0)
	v_cmp_gt_i16_e32 vcc, 0, v12
	v_cndmask_b32_e64 v0, v66, 0, vcc
	v_xor_b32_e32 v0, v0, v12
	v_cmp_ne_u16_e32 vcc, s68, v0
	v_cndmask_b32_e32 v0, v66, v0, vcc
	v_lshrrev_b32_sdwa v0, s77, v0 dst_sel:DWORD dst_unused:UNUSED_PAD src0_sel:DWORD src1_sel:WORD_0
	v_and_b32_e32 v0, s78, v0
	v_lshl_or_b32 v0, v0, 4, v67
	ds_add_u32 v0, v64
	s_branch .LBB1947_15
.LBB1947_48:                            ;   in Loop: Header=BB1947_16 Depth=2
	s_or_b64 exec, exec, s[20:21]
	v_cmp_gt_u32_e32 vcc, s22, v24
	s_and_saveexec_b64 s[20:21], vcc
	s_cbranch_execz .LBB1947_22
.LBB1947_49:                            ;   in Loop: Header=BB1947_16 Depth=2
	global_load_ushort v10, v65, s[18:19] offset:512
	s_or_b64 exec, exec, s[20:21]
	v_cmp_gt_u32_e32 vcc, s22, v25
	s_and_saveexec_b64 s[20:21], vcc
	s_cbranch_execnz .LBB1947_23
.LBB1947_50:                            ;   in Loop: Header=BB1947_16 Depth=2
	s_or_b64 exec, exec, s[20:21]
	v_cmp_gt_u32_e32 vcc, s22, v26
	s_and_saveexec_b64 s[20:21], vcc
	s_cbranch_execz .LBB1947_24
.LBB1947_51:                            ;   in Loop: Header=BB1947_16 Depth=2
	global_load_ushort v8, v65, s[18:19] offset:1536
	s_or_b64 exec, exec, s[20:21]
	v_cmp_gt_u32_e32 vcc, s22, v29
	s_and_saveexec_b64 s[20:21], vcc
	s_cbranch_execnz .LBB1947_25
.LBB1947_52:                            ;   in Loop: Header=BB1947_16 Depth=2
	s_or_b64 exec, exec, s[20:21]
	v_cmp_gt_u32_e32 vcc, s22, v30
	s_and_saveexec_b64 s[20:21], vcc
	s_cbranch_execz .LBB1947_26
.LBB1947_53:                            ;   in Loop: Header=BB1947_16 Depth=2
	global_load_ushort v6, v65, s[18:19] offset:2560
	s_or_b64 exec, exec, s[20:21]
	v_cmp_gt_u32_e32 vcc, s22, v31
	s_and_saveexec_b64 s[20:21], vcc
	s_cbranch_execz .LBB1947_28
	s_branch .LBB1947_27
.LBB1947_54:                            ;   in Loop: Header=BB1947_12 Depth=1
	v_mov_b32_e32 v0, 0
	s_waitcnt lgkmcnt(0)
	s_barrier
	s_and_saveexec_b64 s[16:17], s[4:5]
	s_cbranch_execz .LBB1947_56
; %bb.55:                               ;   in Loop: Header=BB1947_12 Depth=1
	ds_read2_b64 v[6:9], v33 offset1:1
	s_waitcnt lgkmcnt(0)
	v_add_u32_e32 v0, v7, v6
	v_add3_u32 v0, v0, v8, v9
.LBB1947_56:                            ;   in Loop: Header=BB1947_12 Depth=1
	s_or_b64 exec, exec, s[16:17]
	v_and_b32_e32 v1, 15, v68
	v_mov_b32_dpp v5, v0 row_shr:1 row_mask:0xf bank_mask:0xf
	v_cmp_eq_u32_e64 s[16:17], 0, v1
	v_cndmask_b32_e64 v5, v5, 0, s[16:17]
	v_add_u32_e32 v0, v5, v0
	v_cmp_lt_u32_e64 s[18:19], 1, v1
	v_cmp_lt_u32_e64 s[20:21], 3, v1
	v_mov_b32_dpp v5, v0 row_shr:2 row_mask:0xf bank_mask:0xf
	v_cndmask_b32_e64 v5, 0, v5, s[18:19]
	v_add_u32_e32 v0, v0, v5
	v_cmp_lt_u32_e64 s[22:23], 7, v1
	v_cmp_lt_u32_e64 s[26:27], 31, v68
	v_mov_b32_dpp v5, v0 row_shr:4 row_mask:0xf bank_mask:0xf
	v_cndmask_b32_e64 v5, 0, v5, s[20:21]
	v_add_u32_e32 v0, v0, v5
	v_and_b32_e32 v6, 16, v68
	v_cmp_eq_u32_e64 s[24:25], 0, v6
	v_mov_b32_dpp v5, v0 row_shr:8 row_mask:0xf bank_mask:0xf
	v_cndmask_b32_e64 v1, 0, v5, s[22:23]
	v_add_u32_e32 v0, v0, v1
	v_bfe_i32 v5, v68, 4, 1
	s_nop 0
	v_mov_b32_dpp v1, v0 row_bcast:15 row_mask:0xf bank_mask:0xf
	v_and_b32_e32 v1, v5, v1
	v_add_u32_e32 v0, v0, v1
	s_nop 1
	v_mov_b32_dpp v1, v0 row_bcast:31 row_mask:0xf bank_mask:0xf
	v_cndmask_b32_e64 v1, 0, v1, s[26:27]
	v_add_u32_e32 v1, v0, v1
	s_and_saveexec_b64 s[28:29], s[6:7]
	s_cbranch_execz .LBB1947_58
; %bb.57:                               ;   in Loop: Header=BB1947_12 Depth=1
	ds_write_b32 v35, v1
.LBB1947_58:                            ;   in Loop: Header=BB1947_12 Depth=1
	s_or_b64 exec, exec, s[28:29]
	v_and_b32_e32 v0, 3, v68
	s_waitcnt lgkmcnt(0)
	s_barrier
	s_and_saveexec_b64 s[28:29], s[8:9]
	s_cbranch_execz .LBB1947_60
; %bb.59:                               ;   in Loop: Header=BB1947_12 Depth=1
	ds_read_b32 v5, v36
	v_cmp_ne_u32_e32 vcc, 0, v0
	s_waitcnt lgkmcnt(0)
	v_mov_b32_dpp v6, v5 row_shr:1 row_mask:0xf bank_mask:0xf
	v_cndmask_b32_e32 v6, 0, v6, vcc
	v_add_u32_e32 v5, v6, v5
	v_cmp_lt_u32_e32 vcc, 1, v0
	s_nop 0
	v_mov_b32_dpp v6, v5 row_shr:2 row_mask:0xf bank_mask:0xf
	v_cndmask_b32_e32 v6, 0, v6, vcc
	v_add_u32_e32 v5, v5, v6
	ds_write_b32 v36, v5
.LBB1947_60:                            ;   in Loop: Header=BB1947_12 Depth=1
	s_or_b64 exec, exec, s[28:29]
	v_mov_b32_e32 v5, 0
	s_waitcnt lgkmcnt(0)
	s_barrier
	s_and_saveexec_b64 s[28:29], s[10:11]
	s_cbranch_execz .LBB1947_62
; %bb.61:                               ;   in Loop: Header=BB1947_12 Depth=1
	ds_read_b32 v5, v37
.LBB1947_62:                            ;   in Loop: Header=BB1947_12 Depth=1
	s_or_b64 exec, exec, s[28:29]
	v_add_u32_e32 v6, -1, v68
	v_and_b32_e32 v7, 64, v68
	v_cmp_lt_i32_e32 vcc, v6, v7
	v_cndmask_b32_e32 v6, v6, v68, vcc
	s_waitcnt lgkmcnt(0)
	v_add_u32_e32 v1, v5, v1
	v_lshlrev_b32_e32 v69, 2, v6
	ds_bpermute_b32 v1, v69, v1
	v_cmp_eq_u32_e64 s[28:29], 0, v68
	s_waitcnt lgkmcnt(0)
	s_barrier
	s_and_saveexec_b64 s[30:31], s[4:5]
	s_cbranch_execz .LBB1947_64
; %bb.63:                               ;   in Loop: Header=BB1947_12 Depth=1
	v_cndmask_b32_e64 v1, v1, v5, s[28:29]
	v_add_u32_e32 v1, s51, v1
	ds_write_b32 v3, v1
.LBB1947_64:                            ;   in Loop: Header=BB1947_12 Depth=1
	s_or_b64 exec, exec, s[30:31]
	s_load_dword s30, s[74:75], 0x4
	s_load_dword s36, s[74:75], 0xc
	s_waitcnt vmcnt(0)
	v_and_b32_e32 v20, 63, v68
	v_lshlrev_b32_e32 v21, 3, v20
	v_add_co_u32_e32 v77, vcc, v45, v21
	s_waitcnt lgkmcnt(0)
	s_cmp_lt_u32 s33, s30
	s_cselect_b32 s30, 14, 20
	s_add_u32 s30, s74, s30
	s_addc_u32 s31, s75, 0
	global_load_ushort v5, v4, s[30:31]
	v_or_b32_e32 v74, v20, v38
	v_lshlrev_b32_e32 v20, 1, v20
	v_addc_co_u32_e32 v79, vcc, 0, v46, vcc
	v_add_co_u32_e32 v88, vcc, v47, v20
	v_addc_co_u32_e32 v89, vcc, 0, v48, vcc
	s_and_b32 s36, s36, 0xffff
	v_add_co_u32_e32 v90, vcc, 0x380, v88
	v_cmp_eq_u32_e64 s[30:31], 0, v0
	v_cmp_lt_u32_e64 s[34:35], 1, v0
	s_mov_b32 s79, s71
	v_or_b32_e32 v81, 64, v74
	v_or_b32_e32 v82, 0x80, v74
	;; [unrolled: 1-line block ×7, first 2 shown]
	v_addc_co_u32_e32 v91, vcc, 0, v89, vcc
	s_mov_b32 s72, s51
                                        ; implicit-def: $vgpr0_vgpr1
                                        ; implicit-def: $vgpr6_vgpr7
                                        ; implicit-def: $vgpr8_vgpr9
                                        ; implicit-def: $vgpr10_vgpr11
                                        ; implicit-def: $vgpr12_vgpr13
                                        ; implicit-def: $vgpr14_vgpr15
                                        ; implicit-def: $vgpr16_vgpr17
                                        ; implicit-def: $vgpr18_vgpr19
                                        ; implicit-def: $vgpr70
                                        ; implicit-def: $vgpr71
                                        ; implicit-def: $vgpr72
                                        ; implicit-def: $vgpr73
                                        ; implicit-def: $vgpr75
                                        ; implicit-def: $vgpr76
                                        ; implicit-def: $vgpr78
                                        ; implicit-def: $vgpr80
	s_waitcnt vmcnt(0)
	v_mad_u32_u24 v5, v39, v5, v40
	v_mad_u64_u32 v[20:21], s[36:37], v5, s36, v[2:3]
	v_lshrrev_b32_e32 v92, 6, v20
	s_branch .LBB1947_66
.LBB1947_65:                            ;   in Loop: Header=BB1947_66 Depth=2
	s_or_b64 exec, exec, s[36:37]
	s_addk_i32 s79, 0xf800
	s_cmp_lt_u32 s80, s76
	s_mov_b32 s72, s80
	s_cbranch_scc0 .LBB1947_178
.LBB1947_66:                            ;   Parent Loop BB1947_12 Depth=1
                                        ; =>  This Inner Loop Header: Depth=2
	s_add_i32 s80, s72, 0x800
	s_cmp_gt_u32 s80, s76
	s_cbranch_scc1 .LBB1947_69
; %bb.67:                               ;   in Loop: Header=BB1947_66 Depth=2
	s_lshl_b64 s[36:37], s[72:73], 1
	v_mov_b32_e32 v5, s37
	v_add_co_u32_e32 v20, vcc, s36, v88
	v_addc_co_u32_e32 v21, vcc, v89, v5, vcc
	global_load_ushort v5, v[20:21], off
	global_load_ushort v97, v[20:21], off offset:128
	global_load_ushort v101, v[20:21], off offset:256
	;; [unrolled: 1-line block ×6, first 2 shown]
	s_mov_b64 s[36:37], -1
	s_movk_i32 s40, 0x800
	s_cbranch_execz .LBB1947_70
; %bb.68:                               ;   in Loop: Header=BB1947_66 Depth=2
                                        ; implicit-def: $sgpr38
	v_mov_b32_e32 v23, s38
	v_mov_b32_e32 v93, s79
	s_and_saveexec_b64 s[38:39], s[36:37]
	s_cbranch_execnz .LBB1947_85
	s_branch .LBB1947_86
.LBB1947_69:                            ;   in Loop: Header=BB1947_66 Depth=2
	s_mov_b64 s[36:37], 0
                                        ; implicit-def: $sgpr40
                                        ; implicit-def: $vgpr5
                                        ; implicit-def: $vgpr97
                                        ; implicit-def: $vgpr101
                                        ; implicit-def: $vgpr106
                                        ; implicit-def: $vgpr109
                                        ; implicit-def: $vgpr104
                                        ; implicit-def: $vgpr22
.LBB1947_70:                            ;   in Loop: Header=BB1947_66 Depth=2
	s_lshl_b64 s[36:37], s[72:73], 1
	s_waitcnt vmcnt(6)
	v_mov_b32_e32 v5, s37
	v_add_co_u32_e32 v20, vcc, s36, v88
	v_addc_co_u32_e32 v21, vcc, v89, v5, vcc
	v_cmp_gt_u32_e32 vcc, s79, v74
	s_waitcnt vmcnt(5)
	v_mov_b32_e32 v97, -1
	v_mov_b32_e32 v5, -1
	s_and_saveexec_b64 s[36:37], vcc
	s_cbranch_execz .LBB1947_72
; %bb.71:                               ;   in Loop: Header=BB1947_66 Depth=2
	global_load_ushort v5, v[20:21], off
.LBB1947_72:                            ;   in Loop: Header=BB1947_66 Depth=2
	s_or_b64 exec, exec, s[36:37]
	v_cmp_gt_u32_e32 vcc, s79, v81
	s_and_saveexec_b64 s[36:37], vcc
	s_cbranch_execz .LBB1947_74
; %bb.73:                               ;   in Loop: Header=BB1947_66 Depth=2
	global_load_ushort v97, v[20:21], off offset:128
.LBB1947_74:                            ;   in Loop: Header=BB1947_66 Depth=2
	s_or_b64 exec, exec, s[36:37]
	v_cmp_gt_u32_e32 vcc, s79, v82
	s_waitcnt vmcnt(3)
	v_mov_b32_e32 v106, -1
	v_mov_b32_e32 v101, -1
	s_and_saveexec_b64 s[36:37], vcc
	s_cbranch_execz .LBB1947_76
; %bb.75:                               ;   in Loop: Header=BB1947_66 Depth=2
	global_load_ushort v101, v[20:21], off offset:256
.LBB1947_76:                            ;   in Loop: Header=BB1947_66 Depth=2
	s_or_b64 exec, exec, s[36:37]
	v_cmp_gt_u32_e32 vcc, s79, v83
	s_and_saveexec_b64 s[36:37], vcc
	s_cbranch_execz .LBB1947_78
; %bb.77:                               ;   in Loop: Header=BB1947_66 Depth=2
	global_load_ushort v106, v[20:21], off offset:384
.LBB1947_78:                            ;   in Loop: Header=BB1947_66 Depth=2
	s_or_b64 exec, exec, s[36:37]
	v_cmp_gt_u32_e32 vcc, s79, v84
	s_waitcnt vmcnt(1)
	v_mov_b32_e32 v104, -1
	v_mov_b32_e32 v109, -1
	s_and_saveexec_b64 s[36:37], vcc
	s_cbranch_execz .LBB1947_80
; %bb.79:                               ;   in Loop: Header=BB1947_66 Depth=2
	global_load_ushort v109, v[20:21], off offset:512
.LBB1947_80:                            ;   in Loop: Header=BB1947_66 Depth=2
	s_or_b64 exec, exec, s[36:37]
	v_cmp_gt_u32_e32 vcc, s79, v85
	s_and_saveexec_b64 s[36:37], vcc
	s_cbranch_execz .LBB1947_82
; %bb.81:                               ;   in Loop: Header=BB1947_66 Depth=2
	global_load_ushort v104, v[20:21], off offset:640
.LBB1947_82:                            ;   in Loop: Header=BB1947_66 Depth=2
	s_or_b64 exec, exec, s[36:37]
	v_cmp_gt_u32_e32 vcc, s79, v86
	s_waitcnt vmcnt(0)
	v_mov_b32_e32 v22, -1
	s_and_saveexec_b64 s[36:37], vcc
	s_cbranch_execz .LBB1947_84
; %bb.83:                               ;   in Loop: Header=BB1947_66 Depth=2
	global_load_ushort v22, v[20:21], off offset:768
.LBB1947_84:                            ;   in Loop: Header=BB1947_66 Depth=2
	s_or_b64 exec, exec, s[36:37]
	s_sub_i32 s40, s76, s72
	v_cmp_gt_u32_e64 s[36:37], s79, v87
	s_mov_b32 s38, -1
	v_mov_b32_e32 v23, s38
	v_mov_b32_e32 v93, s79
	s_and_saveexec_b64 s[38:39], s[36:37]
	s_cbranch_execz .LBB1947_86
.LBB1947_85:                            ;   in Loop: Header=BB1947_66 Depth=2
	s_lshl_b64 s[36:37], s[72:73], 1
	v_mov_b32_e32 v21, s37
	v_add_co_u32_e32 v20, vcc, s36, v90
	v_addc_co_u32_e32 v21, vcc, v91, v21, vcc
	global_load_ushort v23, v[20:21], off
	v_mov_b32_e32 v93, s40
.LBB1947_86:                            ;   in Loop: Header=BB1947_66 Depth=2
	s_or_b64 exec, exec, s[38:39]
	s_waitcnt vmcnt(6)
	v_cmp_gt_i16_e32 vcc, 0, v5
	v_cndmask_b32_e64 v20, v66, 0, vcc
	v_xor_b32_e32 v94, v20, v5
	v_add_u32_e32 v5, 0x410, v41
	v_cmp_ne_u16_e32 vcc, s68, v94
	ds_write2_b32 v5, v4, v4 offset1:1
	ds_write2_b32 v43, v4, v4 offset0:2 offset1:3
	ds_write_b32 v43, v4 offset:16
	v_cndmask_b32_e32 v5, v66, v94, vcc
	v_lshrrev_b32_sdwa v5, s77, v5 dst_sel:DWORD dst_unused:UNUSED_PAD src0_sel:DWORD src1_sel:WORD_0
	v_and_b32_e32 v20, s78, v5
	v_mad_u32_u24 v5, v20, 5, v92
	v_lshl_add_u32 v95, v5, 2, v42
	v_and_b32_e32 v5, 1, v20
	v_add_co_u32_e32 v21, vcc, -1, v5
	v_addc_co_u32_e64 v96, s[36:37], 0, -1, vcc
	v_cmp_ne_u32_e32 vcc, 0, v5
	v_xor_b32_e32 v5, vcc_hi, v96
	v_and_b32_e32 v96, exec_hi, v5
	v_lshlrev_b32_e32 v5, 30, v20
	v_xor_b32_e32 v21, vcc_lo, v21
	v_cmp_gt_i64_e32 vcc, 0, v[4:5]
	v_not_b32_e32 v5, v5
	v_ashrrev_i32_e32 v5, 31, v5
	v_and_b32_e32 v21, exec_lo, v21
	v_xor_b32_e32 v98, vcc_hi, v5
	v_xor_b32_e32 v5, vcc_lo, v5
	v_and_b32_e32 v21, v21, v5
	v_lshlrev_b32_e32 v5, 29, v20
	v_cmp_gt_i64_e32 vcc, 0, v[4:5]
	v_not_b32_e32 v5, v5
	v_ashrrev_i32_e32 v5, 31, v5
	v_and_b32_e32 v96, v96, v98
	v_xor_b32_e32 v98, vcc_hi, v5
	v_xor_b32_e32 v5, vcc_lo, v5
	v_and_b32_e32 v21, v21, v5
	v_lshlrev_b32_e32 v5, 28, v20
	v_cmp_gt_i64_e32 vcc, 0, v[4:5]
	v_not_b32_e32 v5, v5
	v_ashrrev_i32_e32 v5, 31, v5
	v_and_b32_e32 v96, v96, v98
	;; [unrolled: 8-line block ×5, first 2 shown]
	v_xor_b32_e32 v98, vcc_hi, v5
	v_xor_b32_e32 v5, vcc_lo, v5
	v_and_b32_e32 v96, v96, v98
	v_and_b32_e32 v98, v21, v5
	v_lshlrev_b32_e32 v5, 24, v20
	v_cmp_gt_i64_e32 vcc, 0, v[4:5]
	v_not_b32_e32 v5, v5
	v_ashrrev_i32_e32 v5, 31, v5
	v_xor_b32_e32 v20, vcc_hi, v5
	v_xor_b32_e32 v5, vcc_lo, v5
	v_and_b32_e32 v21, v96, v20
	v_and_b32_e32 v20, v98, v5
	v_mbcnt_lo_u32_b32 v5, v20, 0
	v_mbcnt_hi_u32_b32 v96, v21, v5
	v_cmp_eq_u32_e32 vcc, 0, v96
	v_cmp_ne_u64_e64 s[36:37], 0, v[20:21]
	s_and_b64 s[38:39], s[36:37], vcc
	s_waitcnt lgkmcnt(0)
	s_barrier
	s_waitcnt lgkmcnt(0)
	; wave barrier
	s_and_saveexec_b64 s[36:37], s[38:39]
	s_cbranch_execz .LBB1947_88
; %bb.87:                               ;   in Loop: Header=BB1947_66 Depth=2
	v_bcnt_u32_b32 v5, v20, 0
	v_bcnt_u32_b32 v5, v21, v5
	ds_write_b32 v95, v5
.LBB1947_88:                            ;   in Loop: Header=BB1947_66 Depth=2
	s_or_b64 exec, exec, s[36:37]
	s_waitcnt vmcnt(5)
	v_cmp_gt_i16_e32 vcc, 0, v97
	v_cndmask_b32_e64 v5, v66, 0, vcc
	v_xor_b32_e32 v97, v5, v97
	v_cmp_ne_u16_e32 vcc, s68, v97
	v_cndmask_b32_e32 v5, v66, v97, vcc
	v_lshrrev_b32_sdwa v5, s77, v5 dst_sel:DWORD dst_unused:UNUSED_PAD src0_sel:DWORD src1_sel:WORD_0
	v_and_b32_e32 v20, s78, v5
	v_mul_u32_u24_e32 v5, 5, v20
	v_add_lshl_u32 v5, v5, v92, 2
	; wave barrier
	v_add_u32_e32 v99, 0x410, v5
	ds_read_b32 v98, v5 offset:1040
	v_and_b32_e32 v5, 1, v20
	v_add_co_u32_e32 v21, vcc, -1, v5
	v_addc_co_u32_e64 v100, s[36:37], 0, -1, vcc
	v_cmp_ne_u32_e32 vcc, 0, v5
	v_xor_b32_e32 v5, vcc_hi, v100
	v_and_b32_e32 v100, exec_hi, v5
	v_lshlrev_b32_e32 v5, 30, v20
	v_xor_b32_e32 v21, vcc_lo, v21
	v_cmp_gt_i64_e32 vcc, 0, v[4:5]
	v_not_b32_e32 v5, v5
	v_ashrrev_i32_e32 v5, 31, v5
	v_and_b32_e32 v21, exec_lo, v21
	v_xor_b32_e32 v102, vcc_hi, v5
	v_xor_b32_e32 v5, vcc_lo, v5
	v_and_b32_e32 v21, v21, v5
	v_lshlrev_b32_e32 v5, 29, v20
	v_cmp_gt_i64_e32 vcc, 0, v[4:5]
	v_not_b32_e32 v5, v5
	v_ashrrev_i32_e32 v5, 31, v5
	v_and_b32_e32 v100, v100, v102
	v_xor_b32_e32 v102, vcc_hi, v5
	v_xor_b32_e32 v5, vcc_lo, v5
	v_and_b32_e32 v21, v21, v5
	v_lshlrev_b32_e32 v5, 28, v20
	v_cmp_gt_i64_e32 vcc, 0, v[4:5]
	v_not_b32_e32 v5, v5
	v_ashrrev_i32_e32 v5, 31, v5
	v_and_b32_e32 v100, v100, v102
	;; [unrolled: 8-line block ×5, first 2 shown]
	v_xor_b32_e32 v102, vcc_hi, v5
	v_xor_b32_e32 v5, vcc_lo, v5
	v_and_b32_e32 v100, v100, v102
	v_and_b32_e32 v102, v21, v5
	v_lshlrev_b32_e32 v5, 24, v20
	v_cmp_gt_i64_e32 vcc, 0, v[4:5]
	v_not_b32_e32 v5, v5
	v_ashrrev_i32_e32 v5, 31, v5
	v_xor_b32_e32 v20, vcc_hi, v5
	v_xor_b32_e32 v5, vcc_lo, v5
	v_and_b32_e32 v21, v100, v20
	v_and_b32_e32 v20, v102, v5
	v_mbcnt_lo_u32_b32 v5, v20, 0
	v_mbcnt_hi_u32_b32 v100, v21, v5
	v_cmp_eq_u32_e32 vcc, 0, v100
	v_cmp_ne_u64_e64 s[36:37], 0, v[20:21]
	s_and_b64 s[38:39], s[36:37], vcc
	; wave barrier
	s_and_saveexec_b64 s[36:37], s[38:39]
	s_cbranch_execz .LBB1947_90
; %bb.89:                               ;   in Loop: Header=BB1947_66 Depth=2
	v_bcnt_u32_b32 v5, v20, 0
	v_bcnt_u32_b32 v5, v21, v5
	s_waitcnt lgkmcnt(0)
	v_add_u32_e32 v5, v98, v5
	ds_write_b32 v99, v5
.LBB1947_90:                            ;   in Loop: Header=BB1947_66 Depth=2
	s_or_b64 exec, exec, s[36:37]
	s_waitcnt vmcnt(4)
	v_cmp_gt_i16_e32 vcc, 0, v101
	v_cndmask_b32_e64 v5, v66, 0, vcc
	v_xor_b32_e32 v101, v5, v101
	v_cmp_ne_u16_e32 vcc, s68, v101
	v_cndmask_b32_e32 v5, v66, v101, vcc
	v_lshrrev_b32_sdwa v5, s77, v5 dst_sel:DWORD dst_unused:UNUSED_PAD src0_sel:DWORD src1_sel:WORD_0
	v_and_b32_e32 v20, s78, v5
	v_mul_u32_u24_e32 v5, 5, v20
	v_add_lshl_u32 v5, v5, v92, 2
	; wave barrier
	v_add_u32_e32 v103, 0x410, v5
	ds_read_b32 v102, v5 offset:1040
	v_and_b32_e32 v5, 1, v20
	v_add_co_u32_e32 v21, vcc, -1, v5
	v_addc_co_u32_e64 v105, s[36:37], 0, -1, vcc
	v_cmp_ne_u32_e32 vcc, 0, v5
	v_xor_b32_e32 v5, vcc_hi, v105
	v_and_b32_e32 v105, exec_hi, v5
	v_lshlrev_b32_e32 v5, 30, v20
	v_xor_b32_e32 v21, vcc_lo, v21
	v_cmp_gt_i64_e32 vcc, 0, v[4:5]
	v_not_b32_e32 v5, v5
	v_ashrrev_i32_e32 v5, 31, v5
	v_and_b32_e32 v21, exec_lo, v21
	v_xor_b32_e32 v107, vcc_hi, v5
	v_xor_b32_e32 v5, vcc_lo, v5
	v_and_b32_e32 v21, v21, v5
	v_lshlrev_b32_e32 v5, 29, v20
	v_cmp_gt_i64_e32 vcc, 0, v[4:5]
	v_not_b32_e32 v5, v5
	v_ashrrev_i32_e32 v5, 31, v5
	v_and_b32_e32 v105, v105, v107
	v_xor_b32_e32 v107, vcc_hi, v5
	v_xor_b32_e32 v5, vcc_lo, v5
	v_and_b32_e32 v21, v21, v5
	v_lshlrev_b32_e32 v5, 28, v20
	v_cmp_gt_i64_e32 vcc, 0, v[4:5]
	v_not_b32_e32 v5, v5
	v_ashrrev_i32_e32 v5, 31, v5
	v_and_b32_e32 v105, v105, v107
	;; [unrolled: 8-line block ×5, first 2 shown]
	v_xor_b32_e32 v107, vcc_hi, v5
	v_xor_b32_e32 v5, vcc_lo, v5
	v_and_b32_e32 v105, v105, v107
	v_and_b32_e32 v107, v21, v5
	v_lshlrev_b32_e32 v5, 24, v20
	v_cmp_gt_i64_e32 vcc, 0, v[4:5]
	v_not_b32_e32 v5, v5
	v_ashrrev_i32_e32 v5, 31, v5
	v_xor_b32_e32 v20, vcc_hi, v5
	v_xor_b32_e32 v5, vcc_lo, v5
	v_and_b32_e32 v21, v105, v20
	v_and_b32_e32 v20, v107, v5
	v_mbcnt_lo_u32_b32 v5, v20, 0
	v_mbcnt_hi_u32_b32 v105, v21, v5
	v_cmp_eq_u32_e32 vcc, 0, v105
	v_cmp_ne_u64_e64 s[36:37], 0, v[20:21]
	s_and_b64 s[38:39], s[36:37], vcc
	; wave barrier
	s_and_saveexec_b64 s[36:37], s[38:39]
	s_cbranch_execz .LBB1947_92
; %bb.91:                               ;   in Loop: Header=BB1947_66 Depth=2
	v_bcnt_u32_b32 v5, v20, 0
	v_bcnt_u32_b32 v5, v21, v5
	s_waitcnt lgkmcnt(0)
	v_add_u32_e32 v5, v102, v5
	ds_write_b32 v103, v5
.LBB1947_92:                            ;   in Loop: Header=BB1947_66 Depth=2
	s_or_b64 exec, exec, s[36:37]
	s_waitcnt vmcnt(3)
	v_cmp_gt_i16_e32 vcc, 0, v106
	v_cndmask_b32_e64 v5, v66, 0, vcc
	v_xor_b32_e32 v106, v5, v106
	v_cmp_ne_u16_e32 vcc, s68, v106
	v_cndmask_b32_e32 v5, v66, v106, vcc
	v_lshrrev_b32_sdwa v5, s77, v5 dst_sel:DWORD dst_unused:UNUSED_PAD src0_sel:DWORD src1_sel:WORD_0
	v_and_b32_e32 v20, s78, v5
	v_mul_u32_u24_e32 v5, 5, v20
	v_add_lshl_u32 v5, v5, v92, 2
	; wave barrier
	v_add_u32_e32 v108, 0x410, v5
	ds_read_b32 v107, v5 offset:1040
	v_and_b32_e32 v5, 1, v20
	v_add_co_u32_e32 v21, vcc, -1, v5
	v_addc_co_u32_e64 v110, s[36:37], 0, -1, vcc
	v_cmp_ne_u32_e32 vcc, 0, v5
	v_xor_b32_e32 v5, vcc_hi, v110
	v_and_b32_e32 v110, exec_hi, v5
	v_lshlrev_b32_e32 v5, 30, v20
	v_xor_b32_e32 v21, vcc_lo, v21
	v_cmp_gt_i64_e32 vcc, 0, v[4:5]
	v_not_b32_e32 v5, v5
	v_ashrrev_i32_e32 v5, 31, v5
	v_and_b32_e32 v21, exec_lo, v21
	v_xor_b32_e32 v111, vcc_hi, v5
	v_xor_b32_e32 v5, vcc_lo, v5
	v_and_b32_e32 v21, v21, v5
	v_lshlrev_b32_e32 v5, 29, v20
	v_cmp_gt_i64_e32 vcc, 0, v[4:5]
	v_not_b32_e32 v5, v5
	v_ashrrev_i32_e32 v5, 31, v5
	v_and_b32_e32 v110, v110, v111
	v_xor_b32_e32 v111, vcc_hi, v5
	v_xor_b32_e32 v5, vcc_lo, v5
	v_and_b32_e32 v21, v21, v5
	v_lshlrev_b32_e32 v5, 28, v20
	v_cmp_gt_i64_e32 vcc, 0, v[4:5]
	v_not_b32_e32 v5, v5
	v_ashrrev_i32_e32 v5, 31, v5
	v_and_b32_e32 v110, v110, v111
	;; [unrolled: 8-line block ×5, first 2 shown]
	v_xor_b32_e32 v111, vcc_hi, v5
	v_xor_b32_e32 v5, vcc_lo, v5
	v_and_b32_e32 v110, v110, v111
	v_and_b32_e32 v111, v21, v5
	v_lshlrev_b32_e32 v5, 24, v20
	v_cmp_gt_i64_e32 vcc, 0, v[4:5]
	v_not_b32_e32 v5, v5
	v_ashrrev_i32_e32 v5, 31, v5
	v_xor_b32_e32 v20, vcc_hi, v5
	v_xor_b32_e32 v5, vcc_lo, v5
	v_and_b32_e32 v21, v110, v20
	v_and_b32_e32 v20, v111, v5
	v_mbcnt_lo_u32_b32 v5, v20, 0
	v_mbcnt_hi_u32_b32 v110, v21, v5
	v_cmp_eq_u32_e32 vcc, 0, v110
	v_cmp_ne_u64_e64 s[36:37], 0, v[20:21]
	s_and_b64 s[38:39], s[36:37], vcc
	; wave barrier
	s_and_saveexec_b64 s[36:37], s[38:39]
	s_cbranch_execz .LBB1947_94
; %bb.93:                               ;   in Loop: Header=BB1947_66 Depth=2
	v_bcnt_u32_b32 v5, v20, 0
	v_bcnt_u32_b32 v5, v21, v5
	s_waitcnt lgkmcnt(0)
	v_add_u32_e32 v5, v107, v5
	ds_write_b32 v108, v5
.LBB1947_94:                            ;   in Loop: Header=BB1947_66 Depth=2
	s_or_b64 exec, exec, s[36:37]
	s_waitcnt vmcnt(2)
	v_cmp_gt_i16_e32 vcc, 0, v109
	v_cndmask_b32_e64 v5, v66, 0, vcc
	v_xor_b32_e32 v109, v5, v109
	v_cmp_ne_u16_e32 vcc, s68, v109
	v_cndmask_b32_e32 v5, v66, v109, vcc
	v_lshrrev_b32_sdwa v5, s77, v5 dst_sel:DWORD dst_unused:UNUSED_PAD src0_sel:DWORD src1_sel:WORD_0
	v_and_b32_e32 v20, s78, v5
	v_mul_u32_u24_e32 v5, 5, v20
	v_add_lshl_u32 v5, v5, v92, 2
	; wave barrier
	v_add_u32_e32 v112, 0x410, v5
	ds_read_b32 v111, v5 offset:1040
	v_and_b32_e32 v5, 1, v20
	v_add_co_u32_e32 v21, vcc, -1, v5
	v_addc_co_u32_e64 v113, s[36:37], 0, -1, vcc
	v_cmp_ne_u32_e32 vcc, 0, v5
	v_xor_b32_e32 v5, vcc_hi, v113
	v_and_b32_e32 v113, exec_hi, v5
	v_lshlrev_b32_e32 v5, 30, v20
	v_xor_b32_e32 v21, vcc_lo, v21
	v_cmp_gt_i64_e32 vcc, 0, v[4:5]
	v_not_b32_e32 v5, v5
	v_ashrrev_i32_e32 v5, 31, v5
	v_and_b32_e32 v21, exec_lo, v21
	v_xor_b32_e32 v114, vcc_hi, v5
	v_xor_b32_e32 v5, vcc_lo, v5
	v_and_b32_e32 v21, v21, v5
	v_lshlrev_b32_e32 v5, 29, v20
	v_cmp_gt_i64_e32 vcc, 0, v[4:5]
	v_not_b32_e32 v5, v5
	v_ashrrev_i32_e32 v5, 31, v5
	v_and_b32_e32 v113, v113, v114
	v_xor_b32_e32 v114, vcc_hi, v5
	v_xor_b32_e32 v5, vcc_lo, v5
	v_and_b32_e32 v21, v21, v5
	v_lshlrev_b32_e32 v5, 28, v20
	v_cmp_gt_i64_e32 vcc, 0, v[4:5]
	v_not_b32_e32 v5, v5
	v_ashrrev_i32_e32 v5, 31, v5
	v_and_b32_e32 v113, v113, v114
	;; [unrolled: 8-line block ×5, first 2 shown]
	v_xor_b32_e32 v114, vcc_hi, v5
	v_xor_b32_e32 v5, vcc_lo, v5
	v_and_b32_e32 v113, v113, v114
	v_and_b32_e32 v114, v21, v5
	v_lshlrev_b32_e32 v5, 24, v20
	v_cmp_gt_i64_e32 vcc, 0, v[4:5]
	v_not_b32_e32 v5, v5
	v_ashrrev_i32_e32 v5, 31, v5
	v_xor_b32_e32 v20, vcc_hi, v5
	v_xor_b32_e32 v5, vcc_lo, v5
	v_and_b32_e32 v21, v113, v20
	v_and_b32_e32 v20, v114, v5
	v_mbcnt_lo_u32_b32 v5, v20, 0
	v_mbcnt_hi_u32_b32 v113, v21, v5
	v_cmp_eq_u32_e32 vcc, 0, v113
	v_cmp_ne_u64_e64 s[36:37], 0, v[20:21]
	s_and_b64 s[38:39], s[36:37], vcc
	; wave barrier
	s_and_saveexec_b64 s[36:37], s[38:39]
	s_cbranch_execz .LBB1947_96
; %bb.95:                               ;   in Loop: Header=BB1947_66 Depth=2
	v_bcnt_u32_b32 v5, v20, 0
	v_bcnt_u32_b32 v5, v21, v5
	s_waitcnt lgkmcnt(0)
	v_add_u32_e32 v5, v111, v5
	ds_write_b32 v112, v5
.LBB1947_96:                            ;   in Loop: Header=BB1947_66 Depth=2
	s_or_b64 exec, exec, s[36:37]
	s_waitcnt vmcnt(1)
	v_cmp_gt_i16_e32 vcc, 0, v104
	v_cndmask_b32_e64 v5, v66, 0, vcc
	v_xor_b32_e32 v104, v5, v104
	v_cmp_ne_u16_e32 vcc, s68, v104
	v_cndmask_b32_e32 v5, v66, v104, vcc
	v_lshrrev_b32_sdwa v5, s77, v5 dst_sel:DWORD dst_unused:UNUSED_PAD src0_sel:DWORD src1_sel:WORD_0
	v_and_b32_e32 v20, s78, v5
	v_mul_u32_u24_e32 v5, 5, v20
	v_add_lshl_u32 v5, v5, v92, 2
	; wave barrier
	v_add_u32_e32 v115, 0x410, v5
	ds_read_b32 v114, v5 offset:1040
	v_and_b32_e32 v5, 1, v20
	v_add_co_u32_e32 v21, vcc, -1, v5
	v_addc_co_u32_e64 v116, s[36:37], 0, -1, vcc
	v_cmp_ne_u32_e32 vcc, 0, v5
	v_xor_b32_e32 v5, vcc_hi, v116
	v_and_b32_e32 v116, exec_hi, v5
	v_lshlrev_b32_e32 v5, 30, v20
	v_xor_b32_e32 v21, vcc_lo, v21
	v_cmp_gt_i64_e32 vcc, 0, v[4:5]
	v_not_b32_e32 v5, v5
	v_ashrrev_i32_e32 v5, 31, v5
	v_and_b32_e32 v21, exec_lo, v21
	v_xor_b32_e32 v117, vcc_hi, v5
	v_xor_b32_e32 v5, vcc_lo, v5
	v_and_b32_e32 v21, v21, v5
	v_lshlrev_b32_e32 v5, 29, v20
	v_cmp_gt_i64_e32 vcc, 0, v[4:5]
	v_not_b32_e32 v5, v5
	v_ashrrev_i32_e32 v5, 31, v5
	v_and_b32_e32 v116, v116, v117
	v_xor_b32_e32 v117, vcc_hi, v5
	v_xor_b32_e32 v5, vcc_lo, v5
	v_and_b32_e32 v21, v21, v5
	v_lshlrev_b32_e32 v5, 28, v20
	v_cmp_gt_i64_e32 vcc, 0, v[4:5]
	v_not_b32_e32 v5, v5
	v_ashrrev_i32_e32 v5, 31, v5
	v_and_b32_e32 v116, v116, v117
	;; [unrolled: 8-line block ×5, first 2 shown]
	v_xor_b32_e32 v117, vcc_hi, v5
	v_xor_b32_e32 v5, vcc_lo, v5
	v_and_b32_e32 v116, v116, v117
	v_and_b32_e32 v117, v21, v5
	v_lshlrev_b32_e32 v5, 24, v20
	v_cmp_gt_i64_e32 vcc, 0, v[4:5]
	v_not_b32_e32 v5, v5
	v_ashrrev_i32_e32 v5, 31, v5
	v_xor_b32_e32 v20, vcc_hi, v5
	v_xor_b32_e32 v5, vcc_lo, v5
	v_and_b32_e32 v21, v116, v20
	v_and_b32_e32 v20, v117, v5
	v_mbcnt_lo_u32_b32 v5, v20, 0
	v_mbcnt_hi_u32_b32 v116, v21, v5
	v_cmp_eq_u32_e32 vcc, 0, v116
	v_cmp_ne_u64_e64 s[36:37], 0, v[20:21]
	s_and_b64 s[38:39], s[36:37], vcc
	; wave barrier
	s_and_saveexec_b64 s[36:37], s[38:39]
	s_cbranch_execz .LBB1947_98
; %bb.97:                               ;   in Loop: Header=BB1947_66 Depth=2
	v_bcnt_u32_b32 v5, v20, 0
	v_bcnt_u32_b32 v5, v21, v5
	s_waitcnt lgkmcnt(0)
	v_add_u32_e32 v5, v114, v5
	ds_write_b32 v115, v5
.LBB1947_98:                            ;   in Loop: Header=BB1947_66 Depth=2
	s_or_b64 exec, exec, s[36:37]
	s_waitcnt vmcnt(0)
	v_cmp_gt_i16_e32 vcc, 0, v22
	v_cndmask_b32_e64 v5, v66, 0, vcc
	v_xor_b32_e32 v117, v5, v22
	v_cmp_ne_u16_e32 vcc, s68, v117
	v_cndmask_b32_e32 v5, v66, v117, vcc
	v_lshrrev_b32_sdwa v5, s77, v5 dst_sel:DWORD dst_unused:UNUSED_PAD src0_sel:DWORD src1_sel:WORD_0
	v_and_b32_e32 v20, s78, v5
	v_mul_u32_u24_e32 v5, 5, v20
	v_add_lshl_u32 v5, v5, v92, 2
	; wave barrier
	v_add_u32_e32 v119, 0x410, v5
	ds_read_b32 v118, v5 offset:1040
	v_and_b32_e32 v5, 1, v20
	v_add_co_u32_e32 v21, vcc, -1, v5
	v_addc_co_u32_e64 v22, s[36:37], 0, -1, vcc
	v_cmp_ne_u32_e32 vcc, 0, v5
	v_xor_b32_e32 v5, vcc_hi, v22
	v_and_b32_e32 v22, exec_hi, v5
	v_lshlrev_b32_e32 v5, 30, v20
	v_xor_b32_e32 v21, vcc_lo, v21
	v_cmp_gt_i64_e32 vcc, 0, v[4:5]
	v_not_b32_e32 v5, v5
	v_ashrrev_i32_e32 v5, 31, v5
	v_and_b32_e32 v21, exec_lo, v21
	v_xor_b32_e32 v120, vcc_hi, v5
	v_xor_b32_e32 v5, vcc_lo, v5
	v_and_b32_e32 v21, v21, v5
	v_lshlrev_b32_e32 v5, 29, v20
	v_cmp_gt_i64_e32 vcc, 0, v[4:5]
	v_not_b32_e32 v5, v5
	v_ashrrev_i32_e32 v5, 31, v5
	v_and_b32_e32 v22, v22, v120
	v_xor_b32_e32 v120, vcc_hi, v5
	v_xor_b32_e32 v5, vcc_lo, v5
	v_and_b32_e32 v21, v21, v5
	v_lshlrev_b32_e32 v5, 28, v20
	v_cmp_gt_i64_e32 vcc, 0, v[4:5]
	v_not_b32_e32 v5, v5
	v_ashrrev_i32_e32 v5, 31, v5
	v_and_b32_e32 v22, v22, v120
	;; [unrolled: 8-line block ×5, first 2 shown]
	v_xor_b32_e32 v120, vcc_hi, v5
	v_xor_b32_e32 v5, vcc_lo, v5
	v_and_b32_e32 v22, v22, v120
	v_and_b32_e32 v120, v21, v5
	v_lshlrev_b32_e32 v5, 24, v20
	v_cmp_gt_i64_e32 vcc, 0, v[4:5]
	v_not_b32_e32 v5, v5
	v_ashrrev_i32_e32 v5, 31, v5
	v_xor_b32_e32 v20, vcc_hi, v5
	v_xor_b32_e32 v5, vcc_lo, v5
	v_and_b32_e32 v21, v22, v20
	v_and_b32_e32 v20, v120, v5
	v_mbcnt_lo_u32_b32 v5, v20, 0
	v_mbcnt_hi_u32_b32 v120, v21, v5
	v_cmp_eq_u32_e32 vcc, 0, v120
	v_cmp_ne_u64_e64 s[36:37], 0, v[20:21]
	s_and_b64 s[38:39], s[36:37], vcc
	; wave barrier
	s_and_saveexec_b64 s[36:37], s[38:39]
	s_cbranch_execz .LBB1947_100
; %bb.99:                               ;   in Loop: Header=BB1947_66 Depth=2
	v_bcnt_u32_b32 v5, v20, 0
	v_bcnt_u32_b32 v5, v21, v5
	s_waitcnt lgkmcnt(0)
	v_add_u32_e32 v5, v118, v5
	ds_write_b32 v119, v5
.LBB1947_100:                           ;   in Loop: Header=BB1947_66 Depth=2
	s_or_b64 exec, exec, s[36:37]
	v_cmp_gt_i16_e32 vcc, 0, v23
	v_cndmask_b32_e64 v5, v66, 0, vcc
	v_xor_b32_e32 v121, v5, v23
	v_cmp_ne_u16_e32 vcc, s68, v121
	v_cndmask_b32_e32 v5, v66, v121, vcc
	v_lshrrev_b32_sdwa v5, s77, v5 dst_sel:DWORD dst_unused:UNUSED_PAD src0_sel:DWORD src1_sel:WORD_0
	v_and_b32_e32 v20, s78, v5
	v_mul_u32_u24_e32 v5, 5, v20
	v_add_lshl_u32 v5, v5, v92, 2
	; wave barrier
	v_add_u32_e32 v123, 0x410, v5
	ds_read_b32 v122, v5 offset:1040
	v_and_b32_e32 v5, 1, v20
	v_add_co_u32_e32 v21, vcc, -1, v5
	v_addc_co_u32_e64 v22, s[36:37], 0, -1, vcc
	v_cmp_ne_u32_e32 vcc, 0, v5
	v_xor_b32_e32 v5, vcc_hi, v22
	v_and_b32_e32 v22, exec_hi, v5
	v_lshlrev_b32_e32 v5, 30, v20
	v_xor_b32_e32 v21, vcc_lo, v21
	v_cmp_gt_i64_e32 vcc, 0, v[4:5]
	v_not_b32_e32 v5, v5
	v_ashrrev_i32_e32 v5, 31, v5
	v_and_b32_e32 v21, exec_lo, v21
	v_xor_b32_e32 v23, vcc_hi, v5
	v_xor_b32_e32 v5, vcc_lo, v5
	v_and_b32_e32 v21, v21, v5
	v_lshlrev_b32_e32 v5, 29, v20
	v_cmp_gt_i64_e32 vcc, 0, v[4:5]
	v_not_b32_e32 v5, v5
	v_ashrrev_i32_e32 v5, 31, v5
	v_and_b32_e32 v22, v22, v23
	v_xor_b32_e32 v23, vcc_hi, v5
	v_xor_b32_e32 v5, vcc_lo, v5
	v_and_b32_e32 v21, v21, v5
	v_lshlrev_b32_e32 v5, 28, v20
	v_cmp_gt_i64_e32 vcc, 0, v[4:5]
	v_not_b32_e32 v5, v5
	v_ashrrev_i32_e32 v5, 31, v5
	v_and_b32_e32 v22, v22, v23
	;; [unrolled: 8-line block ×5, first 2 shown]
	v_xor_b32_e32 v23, vcc_hi, v5
	v_xor_b32_e32 v5, vcc_lo, v5
	v_and_b32_e32 v22, v22, v23
	v_and_b32_e32 v23, v21, v5
	v_lshlrev_b32_e32 v5, 24, v20
	v_cmp_gt_i64_e32 vcc, 0, v[4:5]
	v_not_b32_e32 v5, v5
	v_ashrrev_i32_e32 v5, 31, v5
	v_xor_b32_e32 v20, vcc_hi, v5
	v_xor_b32_e32 v5, vcc_lo, v5
	v_and_b32_e32 v21, v22, v20
	v_and_b32_e32 v20, v23, v5
	v_mbcnt_lo_u32_b32 v5, v20, 0
	v_mbcnt_hi_u32_b32 v124, v21, v5
	v_cmp_eq_u32_e32 vcc, 0, v124
	v_cmp_ne_u64_e64 s[36:37], 0, v[20:21]
	s_and_b64 s[38:39], s[36:37], vcc
	; wave barrier
	s_and_saveexec_b64 s[36:37], s[38:39]
	s_cbranch_execz .LBB1947_102
; %bb.101:                              ;   in Loop: Header=BB1947_66 Depth=2
	v_bcnt_u32_b32 v5, v20, 0
	v_bcnt_u32_b32 v5, v21, v5
	s_waitcnt lgkmcnt(0)
	v_add_u32_e32 v5, v122, v5
	ds_write_b32 v123, v5
.LBB1947_102:                           ;   in Loop: Header=BB1947_66 Depth=2
	s_or_b64 exec, exec, s[36:37]
	; wave barrier
	s_waitcnt lgkmcnt(0)
	s_barrier
	ds_read_b32 v5, v41 offset:1040
	ds_read2_b32 v[22:23], v43 offset0:1 offset1:2
	ds_read2_b32 v[20:21], v43 offset0:3 offset1:4
	s_waitcnt lgkmcnt(1)
	v_add3_u32 v125, v22, v5, v23
	s_waitcnt lgkmcnt(0)
	v_add3_u32 v21, v125, v20, v21
	s_nop 1
	v_mov_b32_dpp v125, v21 row_shr:1 row_mask:0xf bank_mask:0xf
	v_cndmask_b32_e64 v125, v125, 0, s[16:17]
	v_add_u32_e32 v21, v125, v21
	s_nop 1
	v_mov_b32_dpp v125, v21 row_shr:2 row_mask:0xf bank_mask:0xf
	v_cndmask_b32_e64 v125, 0, v125, s[18:19]
	v_add_u32_e32 v21, v21, v125
	s_nop 1
	v_mov_b32_dpp v125, v21 row_shr:4 row_mask:0xf bank_mask:0xf
	v_cndmask_b32_e64 v125, 0, v125, s[20:21]
	v_add_u32_e32 v21, v21, v125
	s_nop 1
	v_mov_b32_dpp v125, v21 row_shr:8 row_mask:0xf bank_mask:0xf
	v_cndmask_b32_e64 v125, 0, v125, s[22:23]
	v_add_u32_e32 v21, v21, v125
	s_nop 1
	v_mov_b32_dpp v125, v21 row_bcast:15 row_mask:0xf bank_mask:0xf
	v_cndmask_b32_e64 v125, v125, 0, s[24:25]
	v_add_u32_e32 v21, v21, v125
	s_nop 1
	v_mov_b32_dpp v125, v21 row_bcast:31 row_mask:0xf bank_mask:0xf
	v_cndmask_b32_e64 v125, 0, v125, s[26:27]
	v_add_u32_e32 v21, v21, v125
	s_and_saveexec_b64 s[36:37], s[6:7]
	s_cbranch_execz .LBB1947_104
; %bb.103:                              ;   in Loop: Header=BB1947_66 Depth=2
	ds_write_b32 v34, v21 offset:1024
.LBB1947_104:                           ;   in Loop: Header=BB1947_66 Depth=2
	s_or_b64 exec, exec, s[36:37]
	s_waitcnt lgkmcnt(0)
	s_barrier
	s_and_saveexec_b64 s[36:37], s[8:9]
	s_cbranch_execz .LBB1947_106
; %bb.105:                              ;   in Loop: Header=BB1947_66 Depth=2
	ds_read_b32 v125, v44 offset:1024
	s_waitcnt lgkmcnt(0)
	s_nop 0
	v_mov_b32_dpp v126, v125 row_shr:1 row_mask:0xf bank_mask:0xf
	v_cndmask_b32_e64 v126, v126, 0, s[30:31]
	v_add_u32_e32 v125, v126, v125
	s_nop 1
	v_mov_b32_dpp v126, v125 row_shr:2 row_mask:0xf bank_mask:0xf
	v_cndmask_b32_e64 v126, 0, v126, s[34:35]
	v_add_u32_e32 v125, v125, v126
	ds_write_b32 v44, v125 offset:1024
.LBB1947_106:                           ;   in Loop: Header=BB1947_66 Depth=2
	s_or_b64 exec, exec, s[36:37]
	v_mov_b32_e32 v125, 0
	s_waitcnt lgkmcnt(0)
	s_barrier
	s_and_saveexec_b64 s[36:37], s[10:11]
	s_cbranch_execz .LBB1947_108
; %bb.107:                              ;   in Loop: Header=BB1947_66 Depth=2
	ds_read_b32 v125, v34 offset:1020
.LBB1947_108:                           ;   in Loop: Header=BB1947_66 Depth=2
	s_or_b64 exec, exec, s[36:37]
	s_waitcnt lgkmcnt(0)
	v_add_u32_e32 v21, v125, v21
	ds_bpermute_b32 v21, v69, v21
	s_waitcnt lgkmcnt(0)
	v_cndmask_b32_e64 v21, v21, v125, s[28:29]
	v_cndmask_b32_e64 v21, v21, 0, s[12:13]
	v_add_u32_e32 v5, v21, v5
	ds_write_b32 v41, v21 offset:1040
	v_add_u32_e32 v21, v5, v22
	v_add_u32_e32 v22, v21, v23
	ds_write2_b32 v43, v5, v21 offset0:1 offset1:2
	v_add_u32_e32 v5, v22, v20
	ds_write2_b32 v43, v22, v5 offset0:3 offset1:4
	s_waitcnt lgkmcnt(0)
	s_barrier
	ds_read_b32 v20, v99
	ds_read_b32 v21, v103
	;; [unrolled: 1-line block ×8, first 2 shown]
	ds_read_b32 v99, v41 offset:1040
	v_mov_b32_e32 v5, 0x800
	s_and_saveexec_b64 s[36:37], s[14:15]
	s_cbranch_execz .LBB1947_110
; %bb.109:                              ;   in Loop: Header=BB1947_66 Depth=2
	ds_read_b32 v5, v41 offset:1060
.LBB1947_110:                           ;   in Loop: Header=BB1947_66 Depth=2
	s_or_b64 exec, exec, s[36:37]
	s_waitcnt lgkmcnt(0)
	s_barrier
	s_and_saveexec_b64 s[36:37], s[4:5]
	s_cbranch_execz .LBB1947_112
; %bb.111:                              ;   in Loop: Header=BB1947_66 Depth=2
	ds_read_b32 v103, v3
	s_waitcnt lgkmcnt(0)
	v_sub_u32_e32 v99, v103, v99
	ds_write_b32 v3, v99
.LBB1947_112:                           ;   in Loop: Header=BB1947_66 Depth=2
	s_or_b64 exec, exec, s[36:37]
	v_add_u32_e32 v103, v95, v96
	v_add3_u32 v100, v100, v98, v20
	v_lshlrev_b32_e32 v20, 1, v103
	v_add3_u32 v99, v105, v102, v21
	ds_write_b16 v20, v94 offset:1024
	v_lshlrev_b32_e32 v20, 1, v100
	v_add3_u32 v98, v110, v107, v22
	ds_write_b16 v20, v97 offset:1024
	;; [unrolled: 3-line block ×6, first 2 shown]
	v_lshlrev_b32_e32 v20, 1, v23
	ds_write_b16 v20, v117 offset:1024
	v_lshlrev_b32_e32 v20, 1, v22
	v_cmp_lt_u32_e32 vcc, v2, v93
	ds_write_b16 v20, v121 offset:1024
	s_waitcnt lgkmcnt(0)
	s_barrier
	s_and_saveexec_b64 s[38:39], vcc
	s_cbranch_execz .LBB1947_120
; %bb.113:                              ;   in Loop: Header=BB1947_66 Depth=2
	ds_read_u16 v20, v49 offset:1024
	v_mov_b32_e32 v21, v4
	v_mov_b32_e32 v97, s59
	s_waitcnt lgkmcnt(0)
	v_cmp_ne_u16_e64 s[36:37], s68, v20
	v_cndmask_b32_e64 v94, v66, v20, s[36:37]
	v_lshrrev_b32_sdwa v94, s77, v94 dst_sel:DWORD dst_unused:UNUSED_PAD src0_sel:DWORD src1_sel:WORD_0
	v_and_b32_e32 v94, s78, v94
	v_lshlrev_b32_e32 v94, 2, v94
	ds_read_b32 v94, v94
	v_cmp_gt_i16_e64 s[36:37], 0, v20
	v_cndmask_b32_e64 v101, v66, 0, s[36:37]
	v_xor_b32_e32 v101, v101, v20
	s_waitcnt lgkmcnt(0)
	v_add_u32_e32 v20, v94, v2
	v_lshlrev_b64 v[20:21], 1, v[20:21]
	v_add_co_u32_e64 v20, s[36:37], s58, v20
	v_addc_co_u32_e64 v21, s[36:37], v97, v21, s[36:37]
	global_store_short v[20:21], v101, off
	s_or_b64 exec, exec, s[38:39]
	v_cmp_lt_u32_e64 s[36:37], v24, v93
	s_and_saveexec_b64 s[40:41], s[36:37]
	s_cbranch_execnz .LBB1947_121
.LBB1947_114:                           ;   in Loop: Header=BB1947_66 Depth=2
	s_or_b64 exec, exec, s[40:41]
	v_cmp_lt_u32_e64 s[38:39], v25, v93
	s_and_saveexec_b64 s[42:43], s[38:39]
	s_cbranch_execz .LBB1947_122
.LBB1947_115:                           ;   in Loop: Header=BB1947_66 Depth=2
	ds_read_u16 v20, v50 offset:1024
	v_mov_b32_e32 v21, v4
	v_mov_b32_e32 v97, s59
	s_waitcnt lgkmcnt(0)
	v_cmp_ne_u16_e64 s[40:41], s68, v20
	v_cndmask_b32_e64 v94, v66, v20, s[40:41]
	v_lshrrev_b32_sdwa v94, s77, v94 dst_sel:DWORD dst_unused:UNUSED_PAD src0_sel:DWORD src1_sel:WORD_0
	v_and_b32_e32 v94, s78, v94
	v_lshlrev_b32_e32 v94, 2, v94
	ds_read_b32 v94, v94
	v_cmp_gt_i16_e64 s[40:41], 0, v20
	v_cndmask_b32_e64 v101, v66, 0, s[40:41]
	v_xor_b32_e32 v101, v101, v20
	s_waitcnt lgkmcnt(0)
	v_add_u32_e32 v20, v94, v25
	v_lshlrev_b64 v[20:21], 1, v[20:21]
	v_add_co_u32_e64 v20, s[40:41], s58, v20
	v_addc_co_u32_e64 v21, s[40:41], v97, v21, s[40:41]
	global_store_short v[20:21], v101, off
	s_or_b64 exec, exec, s[42:43]
	v_cmp_lt_u32_e64 s[40:41], v26, v93
	s_and_saveexec_b64 s[44:45], s[40:41]
	s_cbranch_execnz .LBB1947_123
.LBB1947_116:                           ;   in Loop: Header=BB1947_66 Depth=2
	s_or_b64 exec, exec, s[44:45]
	v_cmp_lt_u32_e64 s[42:43], v29, v93
	s_and_saveexec_b64 s[46:47], s[42:43]
	s_cbranch_execz .LBB1947_124
.LBB1947_117:                           ;   in Loop: Header=BB1947_66 Depth=2
	ds_read_u16 v20, v50 offset:2048
	v_mov_b32_e32 v21, v4
	v_mov_b32_e32 v97, s59
	s_waitcnt lgkmcnt(0)
	v_cmp_ne_u16_e64 s[44:45], s68, v20
	v_cndmask_b32_e64 v94, v66, v20, s[44:45]
	v_lshrrev_b32_sdwa v94, s77, v94 dst_sel:DWORD dst_unused:UNUSED_PAD src0_sel:DWORD src1_sel:WORD_0
	v_and_b32_e32 v94, s78, v94
	v_lshlrev_b32_e32 v94, 2, v94
	ds_read_b32 v94, v94
	v_cmp_gt_i16_e64 s[44:45], 0, v20
	v_cndmask_b32_e64 v101, v66, 0, s[44:45]
	v_xor_b32_e32 v101, v101, v20
	s_waitcnt lgkmcnt(0)
	v_add_u32_e32 v20, v94, v29
	v_lshlrev_b64 v[20:21], 1, v[20:21]
	v_add_co_u32_e64 v20, s[44:45], s58, v20
	v_addc_co_u32_e64 v21, s[44:45], v97, v21, s[44:45]
	global_store_short v[20:21], v101, off
	s_or_b64 exec, exec, s[46:47]
	v_cmp_lt_u32_e64 s[44:45], v30, v93
	s_and_saveexec_b64 s[48:49], s[44:45]
	s_cbranch_execnz .LBB1947_125
.LBB1947_118:                           ;   in Loop: Header=BB1947_66 Depth=2
	s_or_b64 exec, exec, s[48:49]
	v_cmp_lt_u32_e64 s[46:47], v31, v93
	s_and_saveexec_b64 s[52:53], s[46:47]
	s_cbranch_execz .LBB1947_126
.LBB1947_119:                           ;   in Loop: Header=BB1947_66 Depth=2
	ds_read_u16 v20, v50 offset:3072
	v_mov_b32_e32 v21, v4
	v_mov_b32_e32 v97, s59
	s_waitcnt lgkmcnt(0)
	v_cmp_ne_u16_e64 s[48:49], s68, v20
	v_cndmask_b32_e64 v94, v66, v20, s[48:49]
	v_lshrrev_b32_sdwa v94, s77, v94 dst_sel:DWORD dst_unused:UNUSED_PAD src0_sel:DWORD src1_sel:WORD_0
	v_and_b32_e32 v94, s78, v94
	v_lshlrev_b32_e32 v94, 2, v94
	ds_read_b32 v94, v94
	v_cmp_gt_i16_e64 s[48:49], 0, v20
	v_cndmask_b32_e64 v101, v66, 0, s[48:49]
	v_xor_b32_e32 v101, v101, v20
	s_waitcnt lgkmcnt(0)
	v_add_u32_e32 v20, v94, v31
	v_lshlrev_b64 v[20:21], 1, v[20:21]
	v_add_co_u32_e64 v20, s[48:49], s58, v20
	v_addc_co_u32_e64 v21, s[48:49], v97, v21, s[48:49]
	global_store_short v[20:21], v101, off
	s_or_b64 exec, exec, s[52:53]
	v_cmp_lt_u32_e64 s[48:49], v32, v93
	s_and_saveexec_b64 s[62:63], s[48:49]
	s_cbranch_execnz .LBB1947_127
	s_branch .LBB1947_128
.LBB1947_120:                           ;   in Loop: Header=BB1947_66 Depth=2
	s_or_b64 exec, exec, s[38:39]
	v_cmp_lt_u32_e64 s[36:37], v24, v93
	s_and_saveexec_b64 s[40:41], s[36:37]
	s_cbranch_execz .LBB1947_114
.LBB1947_121:                           ;   in Loop: Header=BB1947_66 Depth=2
	ds_read_u16 v20, v50 offset:512
	v_mov_b32_e32 v21, v4
	v_mov_b32_e32 v97, s59
	s_waitcnt lgkmcnt(0)
	v_cmp_ne_u16_e64 s[38:39], s68, v20
	v_cndmask_b32_e64 v94, v66, v20, s[38:39]
	v_lshrrev_b32_sdwa v94, s77, v94 dst_sel:DWORD dst_unused:UNUSED_PAD src0_sel:DWORD src1_sel:WORD_0
	v_and_b32_e32 v94, s78, v94
	v_lshlrev_b32_e32 v94, 2, v94
	ds_read_b32 v94, v94
	v_cmp_gt_i16_e64 s[38:39], 0, v20
	v_cndmask_b32_e64 v101, v66, 0, s[38:39]
	v_xor_b32_e32 v101, v101, v20
	s_waitcnt lgkmcnt(0)
	v_add_u32_e32 v20, v94, v24
	v_lshlrev_b64 v[20:21], 1, v[20:21]
	v_add_co_u32_e64 v20, s[38:39], s58, v20
	v_addc_co_u32_e64 v21, s[38:39], v97, v21, s[38:39]
	global_store_short v[20:21], v101, off
	s_or_b64 exec, exec, s[40:41]
	v_cmp_lt_u32_e64 s[38:39], v25, v93
	s_and_saveexec_b64 s[42:43], s[38:39]
	s_cbranch_execnz .LBB1947_115
.LBB1947_122:                           ;   in Loop: Header=BB1947_66 Depth=2
	s_or_b64 exec, exec, s[42:43]
	v_cmp_lt_u32_e64 s[40:41], v26, v93
	s_and_saveexec_b64 s[44:45], s[40:41]
	s_cbranch_execz .LBB1947_116
.LBB1947_123:                           ;   in Loop: Header=BB1947_66 Depth=2
	ds_read_u16 v20, v50 offset:1536
	v_mov_b32_e32 v21, v4
	v_mov_b32_e32 v97, s59
	s_waitcnt lgkmcnt(0)
	v_cmp_ne_u16_e64 s[42:43], s68, v20
	v_cndmask_b32_e64 v94, v66, v20, s[42:43]
	v_lshrrev_b32_sdwa v94, s77, v94 dst_sel:DWORD dst_unused:UNUSED_PAD src0_sel:DWORD src1_sel:WORD_0
	v_and_b32_e32 v94, s78, v94
	v_lshlrev_b32_e32 v94, 2, v94
	ds_read_b32 v94, v94
	v_cmp_gt_i16_e64 s[42:43], 0, v20
	v_cndmask_b32_e64 v101, v66, 0, s[42:43]
	v_xor_b32_e32 v101, v101, v20
	s_waitcnt lgkmcnt(0)
	v_add_u32_e32 v20, v94, v26
	v_lshlrev_b64 v[20:21], 1, v[20:21]
	v_add_co_u32_e64 v20, s[42:43], s58, v20
	v_addc_co_u32_e64 v21, s[42:43], v97, v21, s[42:43]
	global_store_short v[20:21], v101, off
	s_or_b64 exec, exec, s[44:45]
	v_cmp_lt_u32_e64 s[42:43], v29, v93
	s_and_saveexec_b64 s[46:47], s[42:43]
	s_cbranch_execnz .LBB1947_117
.LBB1947_124:                           ;   in Loop: Header=BB1947_66 Depth=2
	s_or_b64 exec, exec, s[46:47]
	v_cmp_lt_u32_e64 s[44:45], v30, v93
	s_and_saveexec_b64 s[48:49], s[44:45]
	s_cbranch_execz .LBB1947_118
.LBB1947_125:                           ;   in Loop: Header=BB1947_66 Depth=2
	ds_read_u16 v20, v50 offset:2560
	v_mov_b32_e32 v21, v4
	v_mov_b32_e32 v97, s59
	s_waitcnt lgkmcnt(0)
	v_cmp_ne_u16_e64 s[46:47], s68, v20
	v_cndmask_b32_e64 v94, v66, v20, s[46:47]
	v_lshrrev_b32_sdwa v94, s77, v94 dst_sel:DWORD dst_unused:UNUSED_PAD src0_sel:DWORD src1_sel:WORD_0
	v_and_b32_e32 v94, s78, v94
	v_lshlrev_b32_e32 v94, 2, v94
	ds_read_b32 v94, v94
	v_cmp_gt_i16_e64 s[46:47], 0, v20
	v_cndmask_b32_e64 v101, v66, 0, s[46:47]
	v_xor_b32_e32 v101, v101, v20
	s_waitcnt lgkmcnt(0)
	v_add_u32_e32 v20, v94, v30
	v_lshlrev_b64 v[20:21], 1, v[20:21]
	v_add_co_u32_e64 v20, s[46:47], s58, v20
	v_addc_co_u32_e64 v21, s[46:47], v97, v21, s[46:47]
	global_store_short v[20:21], v101, off
	s_or_b64 exec, exec, s[48:49]
	v_cmp_lt_u32_e64 s[46:47], v31, v93
	s_and_saveexec_b64 s[52:53], s[46:47]
	s_cbranch_execnz .LBB1947_119
.LBB1947_126:                           ;   in Loop: Header=BB1947_66 Depth=2
	s_or_b64 exec, exec, s[52:53]
	v_cmp_lt_u32_e64 s[48:49], v32, v93
	s_and_saveexec_b64 s[62:63], s[48:49]
	s_cbranch_execz .LBB1947_128
.LBB1947_127:                           ;   in Loop: Header=BB1947_66 Depth=2
	ds_read_u16 v20, v50 offset:3584
	v_mov_b32_e32 v21, v4
	v_mov_b32_e32 v97, s59
	s_waitcnt lgkmcnt(0)
	v_cmp_ne_u16_e64 s[52:53], s68, v20
	v_cndmask_b32_e64 v94, v66, v20, s[52:53]
	v_lshrrev_b32_sdwa v94, s77, v94 dst_sel:DWORD dst_unused:UNUSED_PAD src0_sel:DWORD src1_sel:WORD_0
	v_and_b32_e32 v94, s78, v94
	v_lshlrev_b32_e32 v94, 2, v94
	ds_read_b32 v94, v94
	v_cmp_gt_i16_e64 s[52:53], 0, v20
	v_cndmask_b32_e64 v101, v66, 0, s[52:53]
	v_xor_b32_e32 v101, v101, v20
	s_waitcnt lgkmcnt(0)
	v_add_u32_e32 v20, v94, v32
	v_lshlrev_b64 v[20:21], 1, v[20:21]
	v_add_co_u32_e64 v20, s[52:53], s58, v20
	v_addc_co_u32_e64 v21, s[52:53], v97, v21, s[52:53]
	global_store_short v[20:21], v101, off
.LBB1947_128:                           ;   in Loop: Header=BB1947_66 Depth=2
	s_or_b64 exec, exec, s[62:63]
	s_lshl_b64 s[52:53], s[72:73], 3
	v_mov_b32_e32 v21, s53
	v_add_co_u32_e64 v20, s[52:53], s52, v77
	v_addc_co_u32_e64 v21, s[52:53], v79, v21, s[52:53]
	v_cmp_lt_u32_e64 s[52:53], v74, v93
	s_and_saveexec_b64 s[62:63], s[52:53]
	s_xor_b64 s[52:53], exec, s[62:63]
	s_cbranch_execz .LBB1947_144
; %bb.129:                              ;   in Loop: Header=BB1947_66 Depth=2
	global_load_dwordx2 v[18:19], v[20:21], off
	s_or_b64 exec, exec, s[52:53]
	v_cmp_lt_u32_e64 s[52:53], v81, v93
	s_and_saveexec_b64 s[62:63], s[52:53]
	s_cbranch_execnz .LBB1947_145
.LBB1947_130:                           ;   in Loop: Header=BB1947_66 Depth=2
	s_or_b64 exec, exec, s[62:63]
	v_cmp_lt_u32_e64 s[52:53], v82, v93
	s_and_saveexec_b64 s[62:63], s[52:53]
	s_cbranch_execz .LBB1947_146
.LBB1947_131:                           ;   in Loop: Header=BB1947_66 Depth=2
	global_load_dwordx2 v[14:15], v[20:21], off offset:1024
	s_or_b64 exec, exec, s[62:63]
	v_cmp_lt_u32_e64 s[52:53], v83, v93
	s_and_saveexec_b64 s[62:63], s[52:53]
	s_cbranch_execnz .LBB1947_147
.LBB1947_132:                           ;   in Loop: Header=BB1947_66 Depth=2
	s_or_b64 exec, exec, s[62:63]
	v_cmp_lt_u32_e64 s[52:53], v84, v93
	s_and_saveexec_b64 s[62:63], s[52:53]
	s_cbranch_execz .LBB1947_148
.LBB1947_133:                           ;   in Loop: Header=BB1947_66 Depth=2
	global_load_dwordx2 v[10:11], v[20:21], off offset:2048
	s_or_b64 exec, exec, s[62:63]
	v_cmp_lt_u32_e64 s[52:53], v85, v93
	s_and_saveexec_b64 s[62:63], s[52:53]
	s_cbranch_execnz .LBB1947_149
.LBB1947_134:                           ;   in Loop: Header=BB1947_66 Depth=2
	s_or_b64 exec, exec, s[62:63]
	v_cmp_lt_u32_e64 s[52:53], v86, v93
	s_and_saveexec_b64 s[62:63], s[52:53]
	s_cbranch_execz .LBB1947_150
.LBB1947_135:                           ;   in Loop: Header=BB1947_66 Depth=2
	global_load_dwordx2 v[6:7], v[20:21], off offset:3072
	s_or_b64 exec, exec, s[62:63]
	v_cmp_lt_u32_e64 s[52:53], v87, v93
	s_and_saveexec_b64 s[62:63], s[52:53]
	s_cbranch_execnz .LBB1947_151
.LBB1947_136:                           ;   in Loop: Header=BB1947_66 Depth=2
	s_or_b64 exec, exec, s[62:63]
	s_and_saveexec_b64 s[62:63], vcc
	s_cbranch_execz .LBB1947_152
.LBB1947_137:                           ;   in Loop: Header=BB1947_66 Depth=2
	ds_read_u16 v20, v49 offset:1024
	s_waitcnt lgkmcnt(0)
	v_cmp_ne_u16_e64 s[52:53], s68, v20
	v_cndmask_b32_e64 v20, v66, v20, s[52:53]
	v_lshrrev_b32_sdwa v20, s77, v20 dst_sel:DWORD dst_unused:UNUSED_PAD src0_sel:DWORD src1_sel:WORD_0
	v_and_b32_e32 v80, s78, v20
	s_or_b64 exec, exec, s[62:63]
	s_and_saveexec_b64 s[62:63], s[36:37]
	s_cbranch_execnz .LBB1947_153
.LBB1947_138:                           ;   in Loop: Header=BB1947_66 Depth=2
	s_or_b64 exec, exec, s[62:63]
	s_and_saveexec_b64 s[62:63], s[38:39]
	s_cbranch_execz .LBB1947_154
.LBB1947_139:                           ;   in Loop: Header=BB1947_66 Depth=2
	ds_read_u16 v20, v50 offset:1024
	s_waitcnt lgkmcnt(0)
	v_cmp_ne_u16_e64 s[52:53], s68, v20
	v_cndmask_b32_e64 v20, v66, v20, s[52:53]
	v_lshrrev_b32_sdwa v20, s77, v20 dst_sel:DWORD dst_unused:UNUSED_PAD src0_sel:DWORD src1_sel:WORD_0
	v_and_b32_e32 v76, s78, v20
	s_or_b64 exec, exec, s[62:63]
	s_and_saveexec_b64 s[62:63], s[40:41]
	s_cbranch_execnz .LBB1947_155
.LBB1947_140:                           ;   in Loop: Header=BB1947_66 Depth=2
	s_or_b64 exec, exec, s[62:63]
	s_and_saveexec_b64 s[62:63], s[42:43]
	s_cbranch_execz .LBB1947_156
.LBB1947_141:                           ;   in Loop: Header=BB1947_66 Depth=2
	ds_read_u16 v20, v50 offset:2048
	s_waitcnt lgkmcnt(0)
	v_cmp_ne_u16_e64 s[52:53], s68, v20
	v_cndmask_b32_e64 v20, v66, v20, s[52:53]
	v_lshrrev_b32_sdwa v20, s77, v20 dst_sel:DWORD dst_unused:UNUSED_PAD src0_sel:DWORD src1_sel:WORD_0
	v_and_b32_e32 v73, s78, v20
	s_or_b64 exec, exec, s[62:63]
	s_and_saveexec_b64 s[62:63], s[44:45]
	s_cbranch_execnz .LBB1947_157
.LBB1947_142:                           ;   in Loop: Header=BB1947_66 Depth=2
	s_or_b64 exec, exec, s[62:63]
	s_and_saveexec_b64 s[62:63], s[46:47]
	s_cbranch_execz .LBB1947_158
.LBB1947_143:                           ;   in Loop: Header=BB1947_66 Depth=2
	ds_read_u16 v20, v50 offset:3072
	s_waitcnt lgkmcnt(0)
	v_cmp_ne_u16_e64 s[52:53], s68, v20
	v_cndmask_b32_e64 v20, v66, v20, s[52:53]
	v_lshrrev_b32_sdwa v20, s77, v20 dst_sel:DWORD dst_unused:UNUSED_PAD src0_sel:DWORD src1_sel:WORD_0
	v_and_b32_e32 v71, s78, v20
	s_or_b64 exec, exec, s[62:63]
	s_and_saveexec_b64 s[62:63], s[48:49]
	s_cbranch_execnz .LBB1947_159
	s_branch .LBB1947_160
.LBB1947_144:                           ;   in Loop: Header=BB1947_66 Depth=2
	s_or_b64 exec, exec, s[52:53]
	v_cmp_lt_u32_e64 s[52:53], v81, v93
	s_and_saveexec_b64 s[62:63], s[52:53]
	s_cbranch_execz .LBB1947_130
.LBB1947_145:                           ;   in Loop: Header=BB1947_66 Depth=2
	global_load_dwordx2 v[16:17], v[20:21], off offset:512
	s_or_b64 exec, exec, s[62:63]
	v_cmp_lt_u32_e64 s[52:53], v82, v93
	s_and_saveexec_b64 s[62:63], s[52:53]
	s_cbranch_execnz .LBB1947_131
.LBB1947_146:                           ;   in Loop: Header=BB1947_66 Depth=2
	s_or_b64 exec, exec, s[62:63]
	v_cmp_lt_u32_e64 s[52:53], v83, v93
	s_and_saveexec_b64 s[62:63], s[52:53]
	s_cbranch_execz .LBB1947_132
.LBB1947_147:                           ;   in Loop: Header=BB1947_66 Depth=2
	global_load_dwordx2 v[12:13], v[20:21], off offset:1536
	s_or_b64 exec, exec, s[62:63]
	v_cmp_lt_u32_e64 s[52:53], v84, v93
	s_and_saveexec_b64 s[62:63], s[52:53]
	s_cbranch_execnz .LBB1947_133
.LBB1947_148:                           ;   in Loop: Header=BB1947_66 Depth=2
	s_or_b64 exec, exec, s[62:63]
	v_cmp_lt_u32_e64 s[52:53], v85, v93
	s_and_saveexec_b64 s[62:63], s[52:53]
	s_cbranch_execz .LBB1947_134
.LBB1947_149:                           ;   in Loop: Header=BB1947_66 Depth=2
	global_load_dwordx2 v[8:9], v[20:21], off offset:2560
	s_or_b64 exec, exec, s[62:63]
	v_cmp_lt_u32_e64 s[52:53], v86, v93
	s_and_saveexec_b64 s[62:63], s[52:53]
	s_cbranch_execnz .LBB1947_135
.LBB1947_150:                           ;   in Loop: Header=BB1947_66 Depth=2
	s_or_b64 exec, exec, s[62:63]
	v_cmp_lt_u32_e64 s[52:53], v87, v93
	s_and_saveexec_b64 s[62:63], s[52:53]
	s_cbranch_execz .LBB1947_136
.LBB1947_151:                           ;   in Loop: Header=BB1947_66 Depth=2
	global_load_dwordx2 v[0:1], v[20:21], off offset:3584
	s_or_b64 exec, exec, s[62:63]
	s_and_saveexec_b64 s[62:63], vcc
	s_cbranch_execnz .LBB1947_137
.LBB1947_152:                           ;   in Loop: Header=BB1947_66 Depth=2
	s_or_b64 exec, exec, s[62:63]
	s_and_saveexec_b64 s[62:63], s[36:37]
	s_cbranch_execz .LBB1947_138
.LBB1947_153:                           ;   in Loop: Header=BB1947_66 Depth=2
	ds_read_u16 v20, v50 offset:512
	s_waitcnt lgkmcnt(0)
	v_cmp_ne_u16_e64 s[52:53], s68, v20
	v_cndmask_b32_e64 v20, v66, v20, s[52:53]
	v_lshrrev_b32_sdwa v20, s77, v20 dst_sel:DWORD dst_unused:UNUSED_PAD src0_sel:DWORD src1_sel:WORD_0
	v_and_b32_e32 v78, s78, v20
	s_or_b64 exec, exec, s[62:63]
	s_and_saveexec_b64 s[62:63], s[38:39]
	s_cbranch_execnz .LBB1947_139
.LBB1947_154:                           ;   in Loop: Header=BB1947_66 Depth=2
	s_or_b64 exec, exec, s[62:63]
	s_and_saveexec_b64 s[62:63], s[40:41]
	s_cbranch_execz .LBB1947_140
.LBB1947_155:                           ;   in Loop: Header=BB1947_66 Depth=2
	ds_read_u16 v20, v50 offset:1536
	s_waitcnt lgkmcnt(0)
	v_cmp_ne_u16_e64 s[52:53], s68, v20
	v_cndmask_b32_e64 v20, v66, v20, s[52:53]
	v_lshrrev_b32_sdwa v20, s77, v20 dst_sel:DWORD dst_unused:UNUSED_PAD src0_sel:DWORD src1_sel:WORD_0
	v_and_b32_e32 v75, s78, v20
	s_or_b64 exec, exec, s[62:63]
	s_and_saveexec_b64 s[62:63], s[42:43]
	s_cbranch_execnz .LBB1947_141
.LBB1947_156:                           ;   in Loop: Header=BB1947_66 Depth=2
	s_or_b64 exec, exec, s[62:63]
	s_and_saveexec_b64 s[62:63], s[44:45]
	s_cbranch_execz .LBB1947_142
.LBB1947_157:                           ;   in Loop: Header=BB1947_66 Depth=2
	ds_read_u16 v20, v50 offset:2560
	s_waitcnt lgkmcnt(0)
	v_cmp_ne_u16_e64 s[52:53], s68, v20
	v_cndmask_b32_e64 v20, v66, v20, s[52:53]
	v_lshrrev_b32_sdwa v20, s77, v20 dst_sel:DWORD dst_unused:UNUSED_PAD src0_sel:DWORD src1_sel:WORD_0
	v_and_b32_e32 v72, s78, v20
	s_or_b64 exec, exec, s[62:63]
	s_and_saveexec_b64 s[62:63], s[46:47]
	s_cbranch_execnz .LBB1947_143
.LBB1947_158:                           ;   in Loop: Header=BB1947_66 Depth=2
	s_or_b64 exec, exec, s[62:63]
	s_and_saveexec_b64 s[62:63], s[48:49]
	s_cbranch_execz .LBB1947_160
.LBB1947_159:                           ;   in Loop: Header=BB1947_66 Depth=2
	ds_read_u16 v20, v50 offset:3584
	s_waitcnt lgkmcnt(0)
	v_cmp_ne_u16_e64 s[52:53], s68, v20
	v_cndmask_b32_e64 v20, v66, v20, s[52:53]
	v_lshrrev_b32_sdwa v20, s77, v20 dst_sel:DWORD dst_unused:UNUSED_PAD src0_sel:DWORD src1_sel:WORD_0
	v_and_b32_e32 v70, s78, v20
.LBB1947_160:                           ;   in Loop: Header=BB1947_66 Depth=2
	s_or_b64 exec, exec, s[62:63]
	v_lshlrev_b32_e32 v20, 3, v103
	s_barrier
	s_waitcnt vmcnt(0)
	ds_write_b64 v20, v[18:19] offset:1024
	v_lshlrev_b32_e32 v20, 3, v100
	ds_write_b64 v20, v[16:17] offset:1024
	v_lshlrev_b32_e32 v20, 3, v99
	;; [unrolled: 2-line block ×7, first 2 shown]
	ds_write_b64 v20, v[0:1] offset:1024
	s_waitcnt lgkmcnt(0)
	s_barrier
	s_and_saveexec_b64 s[52:53], vcc
	s_cbranch_execz .LBB1947_168
; %bb.161:                              ;   in Loop: Header=BB1947_66 Depth=2
	v_lshlrev_b32_e32 v20, 2, v80
	ds_read_b32 v20, v20
	v_add_u32_e32 v22, v49, v51
	ds_read_b64 v[22:23], v22 offset:1024
	v_mov_b32_e32 v21, v4
	v_mov_b32_e32 v93, s65
	s_waitcnt lgkmcnt(1)
	v_add_u32_e32 v20, v20, v2
	v_lshlrev_b64 v[20:21], 3, v[20:21]
	v_add_co_u32_e32 v20, vcc, s64, v20
	v_addc_co_u32_e32 v21, vcc, v93, v21, vcc
	s_waitcnt lgkmcnt(0)
	global_store_dwordx2 v[20:21], v[22:23], off
	s_or_b64 exec, exec, s[52:53]
	s_and_saveexec_b64 s[52:53], s[36:37]
	s_cbranch_execnz .LBB1947_169
.LBB1947_162:                           ;   in Loop: Header=BB1947_66 Depth=2
	s_or_b64 exec, exec, s[52:53]
	s_and_saveexec_b64 s[36:37], s[38:39]
	s_cbranch_execz .LBB1947_170
.LBB1947_163:                           ;   in Loop: Header=BB1947_66 Depth=2
	v_lshlrev_b32_e32 v20, 2, v76
	ds_read_b32 v22, v20
	v_add_u32_e32 v20, v50, v51
	ds_read_b64 v[20:21], v20 offset:4096
	v_mov_b32_e32 v23, v4
	v_mov_b32_e32 v93, s65
	s_waitcnt lgkmcnt(1)
	v_add_u32_e32 v22, v22, v25
	v_lshlrev_b64 v[22:23], 3, v[22:23]
	v_add_co_u32_e32 v22, vcc, s64, v22
	v_addc_co_u32_e32 v23, vcc, v93, v23, vcc
	s_waitcnt lgkmcnt(0)
	global_store_dwordx2 v[22:23], v[20:21], off
	s_or_b64 exec, exec, s[36:37]
	s_and_saveexec_b64 s[36:37], s[40:41]
	s_cbranch_execnz .LBB1947_171
.LBB1947_164:                           ;   in Loop: Header=BB1947_66 Depth=2
	s_or_b64 exec, exec, s[36:37]
	s_and_saveexec_b64 s[36:37], s[42:43]
	s_cbranch_execz .LBB1947_172
.LBB1947_165:                           ;   in Loop: Header=BB1947_66 Depth=2
	v_lshlrev_b32_e32 v20, 2, v73
	ds_read_b32 v22, v20
	v_add_u32_e32 v20, v50, v51
	ds_read_b64 v[20:21], v20 offset:8192
	v_mov_b32_e32 v23, v4
	v_mov_b32_e32 v93, s65
	s_waitcnt lgkmcnt(1)
	v_add_u32_e32 v22, v22, v29
	v_lshlrev_b64 v[22:23], 3, v[22:23]
	v_add_co_u32_e32 v22, vcc, s64, v22
	v_addc_co_u32_e32 v23, vcc, v93, v23, vcc
	s_waitcnt lgkmcnt(0)
	global_store_dwordx2 v[22:23], v[20:21], off
	s_or_b64 exec, exec, s[36:37]
	s_and_saveexec_b64 s[36:37], s[44:45]
	s_cbranch_execnz .LBB1947_173
.LBB1947_166:                           ;   in Loop: Header=BB1947_66 Depth=2
	s_or_b64 exec, exec, s[36:37]
	s_and_saveexec_b64 s[36:37], s[46:47]
	s_cbranch_execz .LBB1947_174
.LBB1947_167:                           ;   in Loop: Header=BB1947_66 Depth=2
	v_lshlrev_b32_e32 v20, 2, v71
	ds_read_b32 v22, v20
	v_add_u32_e32 v20, v50, v51
	ds_read_b64 v[20:21], v20 offset:12288
	v_mov_b32_e32 v23, v4
	v_mov_b32_e32 v93, s65
	s_waitcnt lgkmcnt(1)
	v_add_u32_e32 v22, v22, v31
	v_lshlrev_b64 v[22:23], 3, v[22:23]
	v_add_co_u32_e32 v22, vcc, s64, v22
	v_addc_co_u32_e32 v23, vcc, v93, v23, vcc
	s_waitcnt lgkmcnt(0)
	global_store_dwordx2 v[22:23], v[20:21], off
	s_or_b64 exec, exec, s[36:37]
	s_and_saveexec_b64 s[36:37], s[48:49]
	s_cbranch_execnz .LBB1947_175
	s_branch .LBB1947_176
.LBB1947_168:                           ;   in Loop: Header=BB1947_66 Depth=2
	s_or_b64 exec, exec, s[52:53]
	s_and_saveexec_b64 s[52:53], s[36:37]
	s_cbranch_execz .LBB1947_162
.LBB1947_169:                           ;   in Loop: Header=BB1947_66 Depth=2
	v_lshlrev_b32_e32 v20, 2, v78
	ds_read_b32 v22, v20
	v_add_u32_e32 v20, v50, v51
	ds_read_b64 v[20:21], v20 offset:2048
	v_mov_b32_e32 v23, v4
	v_mov_b32_e32 v93, s65
	s_waitcnt lgkmcnt(1)
	v_add_u32_e32 v22, v22, v24
	v_lshlrev_b64 v[22:23], 3, v[22:23]
	v_add_co_u32_e32 v22, vcc, s64, v22
	v_addc_co_u32_e32 v23, vcc, v93, v23, vcc
	s_waitcnt lgkmcnt(0)
	global_store_dwordx2 v[22:23], v[20:21], off
	s_or_b64 exec, exec, s[52:53]
	s_and_saveexec_b64 s[36:37], s[38:39]
	s_cbranch_execnz .LBB1947_163
.LBB1947_170:                           ;   in Loop: Header=BB1947_66 Depth=2
	s_or_b64 exec, exec, s[36:37]
	s_and_saveexec_b64 s[36:37], s[40:41]
	s_cbranch_execz .LBB1947_164
.LBB1947_171:                           ;   in Loop: Header=BB1947_66 Depth=2
	v_lshlrev_b32_e32 v20, 2, v75
	ds_read_b32 v22, v20
	v_add_u32_e32 v20, v50, v51
	ds_read_b64 v[20:21], v20 offset:6144
	v_mov_b32_e32 v23, v4
	v_mov_b32_e32 v93, s65
	s_waitcnt lgkmcnt(1)
	v_add_u32_e32 v22, v22, v26
	v_lshlrev_b64 v[22:23], 3, v[22:23]
	v_add_co_u32_e32 v22, vcc, s64, v22
	v_addc_co_u32_e32 v23, vcc, v93, v23, vcc
	s_waitcnt lgkmcnt(0)
	global_store_dwordx2 v[22:23], v[20:21], off
	s_or_b64 exec, exec, s[36:37]
	s_and_saveexec_b64 s[36:37], s[42:43]
	s_cbranch_execnz .LBB1947_165
.LBB1947_172:                           ;   in Loop: Header=BB1947_66 Depth=2
	s_or_b64 exec, exec, s[36:37]
	s_and_saveexec_b64 s[36:37], s[44:45]
	s_cbranch_execz .LBB1947_166
.LBB1947_173:                           ;   in Loop: Header=BB1947_66 Depth=2
	v_lshlrev_b32_e32 v20, 2, v72
	ds_read_b32 v22, v20
	v_add_u32_e32 v20, v50, v51
	ds_read_b64 v[20:21], v20 offset:10240
	v_mov_b32_e32 v23, v4
	v_mov_b32_e32 v93, s65
	s_waitcnt lgkmcnt(1)
	v_add_u32_e32 v22, v22, v30
	v_lshlrev_b64 v[22:23], 3, v[22:23]
	v_add_co_u32_e32 v22, vcc, s64, v22
	v_addc_co_u32_e32 v23, vcc, v93, v23, vcc
	s_waitcnt lgkmcnt(0)
	global_store_dwordx2 v[22:23], v[20:21], off
	s_or_b64 exec, exec, s[36:37]
	s_and_saveexec_b64 s[36:37], s[46:47]
	s_cbranch_execnz .LBB1947_167
.LBB1947_174:                           ;   in Loop: Header=BB1947_66 Depth=2
	s_or_b64 exec, exec, s[36:37]
	s_and_saveexec_b64 s[36:37], s[48:49]
	s_cbranch_execz .LBB1947_176
.LBB1947_175:                           ;   in Loop: Header=BB1947_66 Depth=2
	v_lshlrev_b32_e32 v20, 2, v70
	ds_read_b32 v22, v20
	v_add_u32_e32 v20, v50, v51
	ds_read_b64 v[20:21], v20 offset:14336
	v_mov_b32_e32 v23, v4
	v_mov_b32_e32 v93, s65
	s_waitcnt lgkmcnt(1)
	v_add_u32_e32 v22, v22, v32
	v_lshlrev_b64 v[22:23], 3, v[22:23]
	v_add_co_u32_e32 v22, vcc, s64, v22
	v_addc_co_u32_e32 v23, vcc, v93, v23, vcc
	s_waitcnt lgkmcnt(0)
	global_store_dwordx2 v[22:23], v[20:21], off
.LBB1947_176:                           ;   in Loop: Header=BB1947_66 Depth=2
	s_or_b64 exec, exec, s[36:37]
	s_barrier
	s_and_saveexec_b64 s[36:37], s[4:5]
	s_cbranch_execz .LBB1947_65
; %bb.177:                              ;   in Loop: Header=BB1947_66 Depth=2
	ds_read_b32 v20, v3
	s_waitcnt lgkmcnt(0)
	v_add_u32_e32 v5, v20, v5
	ds_write_b32 v3, v5
	s_branch .LBB1947_65
.LBB1947_178:                           ;   in Loop: Header=BB1947_12 Depth=1
	s_waitcnt lgkmcnt(0)
	s_barrier
	s_mov_b64 s[16:17], 0
.LBB1947_179:                           ;   in Loop: Header=BB1947_12 Depth=1
	s_and_b64 vcc, exec, s[16:17]
	s_cbranch_vccz .LBB1947_345
; %bb.180:                              ;   in Loop: Header=BB1947_12 Depth=1
	s_mov_b32 s22, s71
	s_mov_b32 s72, s51
	s_barrier
	s_waitcnt lgkmcnt(0)
                                        ; implicit-def: $vgpr12
                                        ; implicit-def: $vgpr5
                                        ; implicit-def: $vgpr6
                                        ; implicit-def: $vgpr7
                                        ; implicit-def: $vgpr8
                                        ; implicit-def: $vgpr9
                                        ; implicit-def: $vgpr10
                                        ; implicit-def: $vgpr11
	s_branch .LBB1947_182
.LBB1947_181:                           ;   in Loop: Header=BB1947_182 Depth=2
	s_or_b64 exec, exec, s[16:17]
	s_addk_i32 s22, 0xf800
	s_cmp_ge_u32 s23, s76
	s_mov_b32 s72, s23
	s_cbranch_scc1 .LBB1947_220
.LBB1947_182:                           ;   Parent Loop BB1947_12 Depth=1
                                        ; =>  This Inner Loop Header: Depth=2
	s_add_i32 s23, s72, 0x800
	s_cmp_gt_u32 s23, s76
	s_cbranch_scc1 .LBB1947_185
; %bb.183:                              ;   in Loop: Header=BB1947_182 Depth=2
	s_lshl_b64 s[16:17], s[72:73], 1
	v_mov_b32_e32 v1, s17
	v_add_co_u32_e32 v0, vcc, s16, v52
	v_addc_co_u32_e32 v1, vcc, v53, v1, vcc
	global_load_ushort v14, v[0:1], off
	global_load_ushort v15, v[0:1], off offset:512
	global_load_ushort v16, v[0:1], off offset:1024
	;; [unrolled: 1-line block ×6, first 2 shown]
	v_add_co_u32_e32 v0, vcc, 0xe00, v0
	v_addc_co_u32_e32 v1, vcc, 0, v1, vcc
	s_mov_b64 s[16:17], -1
	s_movk_i32 s24, 0x800
	s_cbranch_execz .LBB1947_186
; %bb.184:                              ;   in Loop: Header=BB1947_182 Depth=2
                                        ; implicit-def: $vgpr11
                                        ; implicit-def: $vgpr10
                                        ; implicit-def: $vgpr9
                                        ; implicit-def: $vgpr8
                                        ; implicit-def: $vgpr7
                                        ; implicit-def: $vgpr6
                                        ; implicit-def: $vgpr5
                                        ; implicit-def: $vgpr12
	v_mov_b32_e32 v13, s22
	s_and_saveexec_b64 s[18:19], s[16:17]
	s_cbranch_execnz .LBB1947_197
	s_branch .LBB1947_198
.LBB1947_185:                           ;   in Loop: Header=BB1947_182 Depth=2
	s_mov_b64 s[16:17], 0
                                        ; implicit-def: $sgpr24
                                        ; implicit-def: $vgpr14
                                        ; implicit-def: $vgpr15
                                        ; implicit-def: $vgpr16
                                        ; implicit-def: $vgpr17
                                        ; implicit-def: $vgpr18
                                        ; implicit-def: $vgpr19
                                        ; implicit-def: $vgpr20
                                        ; implicit-def: $vgpr0_vgpr1
.LBB1947_186:                           ;   in Loop: Header=BB1947_182 Depth=2
	s_lshl_b64 s[18:19], s[72:73], 1
	s_add_u32 s18, s58, s18
	s_addc_u32 s19, s59, s19
	v_cmp_gt_u32_e32 vcc, s22, v2
	s_and_saveexec_b64 s[20:21], vcc
	s_cbranch_execz .LBB1947_214
; %bb.187:                              ;   in Loop: Header=BB1947_182 Depth=2
	global_load_ushort v11, v65, s[18:19]
	s_or_b64 exec, exec, s[20:21]
	v_cmp_gt_u32_e32 vcc, s22, v24
	s_and_saveexec_b64 s[20:21], vcc
	s_cbranch_execnz .LBB1947_215
.LBB1947_188:                           ;   in Loop: Header=BB1947_182 Depth=2
	s_or_b64 exec, exec, s[20:21]
	v_cmp_gt_u32_e32 vcc, s22, v25
	s_and_saveexec_b64 s[20:21], vcc
	s_cbranch_execz .LBB1947_216
.LBB1947_189:                           ;   in Loop: Header=BB1947_182 Depth=2
	global_load_ushort v9, v65, s[18:19] offset:1024
	s_or_b64 exec, exec, s[20:21]
	v_cmp_gt_u32_e32 vcc, s22, v26
	s_and_saveexec_b64 s[20:21], vcc
	s_cbranch_execnz .LBB1947_217
.LBB1947_190:                           ;   in Loop: Header=BB1947_182 Depth=2
	s_or_b64 exec, exec, s[20:21]
	v_cmp_gt_u32_e32 vcc, s22, v29
	s_and_saveexec_b64 s[20:21], vcc
	s_cbranch_execz .LBB1947_218
.LBB1947_191:                           ;   in Loop: Header=BB1947_182 Depth=2
	global_load_ushort v7, v65, s[18:19] offset:2048
	s_or_b64 exec, exec, s[20:21]
	v_cmp_gt_u32_e32 vcc, s22, v30
	s_and_saveexec_b64 s[20:21], vcc
	s_cbranch_execnz .LBB1947_219
.LBB1947_192:                           ;   in Loop: Header=BB1947_182 Depth=2
	s_or_b64 exec, exec, s[20:21]
	v_cmp_gt_u32_e32 vcc, s22, v31
	s_and_saveexec_b64 s[20:21], vcc
	s_cbranch_execz .LBB1947_194
.LBB1947_193:                           ;   in Loop: Header=BB1947_182 Depth=2
	global_load_ushort v5, v65, s[18:19] offset:3072
.LBB1947_194:                           ;   in Loop: Header=BB1947_182 Depth=2
	s_or_b64 exec, exec, s[20:21]
	v_cmp_gt_u32_e32 vcc, s22, v32
                                        ; implicit-def: $sgpr24
                                        ; implicit-def: $vgpr0_vgpr1
	s_and_saveexec_b64 s[20:21], vcc
	s_cbranch_execz .LBB1947_196
; %bb.195:                              ;   in Loop: Header=BB1947_182 Depth=2
	v_mov_b32_e32 v0, s19
	v_add_co_u32_e32 v1, vcc, s18, v65
	s_waitcnt vmcnt(0)
	v_addc_co_u32_e32 v12, vcc, 0, v0, vcc
	v_add_co_u32_e32 v0, vcc, 0xe00, v1
	s_sub_i32 s24, s76, s72
	v_addc_co_u32_e32 v1, vcc, 0, v12, vcc
	s_or_b64 s[16:17], s[16:17], exec
                                        ; implicit-def: $vgpr12
.LBB1947_196:                           ;   in Loop: Header=BB1947_182 Depth=2
	s_or_b64 exec, exec, s[20:21]
	s_waitcnt vmcnt(0)
	v_mov_b32_e32 v14, v11
	v_mov_b32_e32 v15, v10
	;; [unrolled: 1-line block ×8, first 2 shown]
	s_and_saveexec_b64 s[18:19], s[16:17]
	s_cbranch_execz .LBB1947_198
.LBB1947_197:                           ;   in Loop: Header=BB1947_182 Depth=2
	global_load_ushort v12, v[0:1], off
	v_mov_b32_e32 v13, s24
	s_waitcnt vmcnt(1)
	v_mov_b32_e32 v5, v20
	v_mov_b32_e32 v6, v19
	v_mov_b32_e32 v7, v18
	v_mov_b32_e32 v8, v17
	v_mov_b32_e32 v9, v16
	v_mov_b32_e32 v10, v15
	v_mov_b32_e32 v11, v14
.LBB1947_198:                           ;   in Loop: Header=BB1947_182 Depth=2
	s_or_b64 exec, exec, s[18:19]
	v_cmp_lt_u32_e32 vcc, v2, v13
	s_and_saveexec_b64 s[16:17], vcc
	s_cbranch_execz .LBB1947_206
; %bb.199:                              ;   in Loop: Header=BB1947_182 Depth=2
	v_cmp_gt_i16_e32 vcc, 0, v11
	v_cndmask_b32_e64 v0, v66, 0, vcc
	v_xor_b32_e32 v0, v0, v11
	v_cmp_ne_u16_e32 vcc, s68, v0
	v_cndmask_b32_e32 v0, v66, v0, vcc
	v_lshrrev_b32_sdwa v0, s77, v0 dst_sel:DWORD dst_unused:UNUSED_PAD src0_sel:DWORD src1_sel:WORD_0
	v_and_b32_e32 v0, s78, v0
	v_lshl_or_b32 v0, v0, 4, v67
	ds_add_u32 v0, v64
	s_or_b64 exec, exec, s[16:17]
	v_cmp_lt_u32_e32 vcc, v24, v13
	s_and_saveexec_b64 s[16:17], vcc
	s_cbranch_execnz .LBB1947_207
.LBB1947_200:                           ;   in Loop: Header=BB1947_182 Depth=2
	s_or_b64 exec, exec, s[16:17]
	v_cmp_lt_u32_e32 vcc, v25, v13
	s_and_saveexec_b64 s[16:17], vcc
	s_cbranch_execz .LBB1947_208
.LBB1947_201:                           ;   in Loop: Header=BB1947_182 Depth=2
	v_cmp_gt_i16_e32 vcc, 0, v9
	v_cndmask_b32_e64 v0, v66, 0, vcc
	v_xor_b32_e32 v0, v0, v9
	v_cmp_ne_u16_e32 vcc, s68, v0
	v_cndmask_b32_e32 v0, v66, v0, vcc
	v_lshrrev_b32_sdwa v0, s77, v0 dst_sel:DWORD dst_unused:UNUSED_PAD src0_sel:DWORD src1_sel:WORD_0
	v_and_b32_e32 v0, s78, v0
	v_lshl_or_b32 v0, v0, 4, v67
	ds_add_u32 v0, v64
	s_or_b64 exec, exec, s[16:17]
	v_cmp_lt_u32_e32 vcc, v26, v13
	s_and_saveexec_b64 s[16:17], vcc
	s_cbranch_execnz .LBB1947_209
.LBB1947_202:                           ;   in Loop: Header=BB1947_182 Depth=2
	s_or_b64 exec, exec, s[16:17]
	v_cmp_lt_u32_e32 vcc, v29, v13
	s_and_saveexec_b64 s[16:17], vcc
	s_cbranch_execz .LBB1947_210
.LBB1947_203:                           ;   in Loop: Header=BB1947_182 Depth=2
	v_cmp_gt_i16_e32 vcc, 0, v7
	v_cndmask_b32_e64 v0, v66, 0, vcc
	v_xor_b32_e32 v0, v0, v7
	v_cmp_ne_u16_e32 vcc, s68, v0
	v_cndmask_b32_e32 v0, v66, v0, vcc
	v_lshrrev_b32_sdwa v0, s77, v0 dst_sel:DWORD dst_unused:UNUSED_PAD src0_sel:DWORD src1_sel:WORD_0
	v_and_b32_e32 v0, s78, v0
	v_lshl_or_b32 v0, v0, 4, v67
	ds_add_u32 v0, v64
	s_or_b64 exec, exec, s[16:17]
	v_cmp_lt_u32_e32 vcc, v30, v13
	s_and_saveexec_b64 s[16:17], vcc
	s_cbranch_execnz .LBB1947_211
.LBB1947_204:                           ;   in Loop: Header=BB1947_182 Depth=2
	s_or_b64 exec, exec, s[16:17]
	v_cmp_lt_u32_e32 vcc, v31, v13
	s_and_saveexec_b64 s[16:17], vcc
	s_cbranch_execz .LBB1947_212
.LBB1947_205:                           ;   in Loop: Header=BB1947_182 Depth=2
	v_cmp_gt_i16_e32 vcc, 0, v5
	v_cndmask_b32_e64 v0, v66, 0, vcc
	v_xor_b32_e32 v0, v0, v5
	v_cmp_ne_u16_e32 vcc, s68, v0
	v_cndmask_b32_e32 v0, v66, v0, vcc
	v_lshrrev_b32_sdwa v0, s77, v0 dst_sel:DWORD dst_unused:UNUSED_PAD src0_sel:DWORD src1_sel:WORD_0
	v_and_b32_e32 v0, s78, v0
	v_lshl_or_b32 v0, v0, 4, v67
	ds_add_u32 v0, v64
	s_or_b64 exec, exec, s[16:17]
	v_cmp_lt_u32_e32 vcc, v32, v13
	s_and_saveexec_b64 s[16:17], vcc
	s_cbranch_execz .LBB1947_181
	s_branch .LBB1947_213
.LBB1947_206:                           ;   in Loop: Header=BB1947_182 Depth=2
	s_or_b64 exec, exec, s[16:17]
	v_cmp_lt_u32_e32 vcc, v24, v13
	s_and_saveexec_b64 s[16:17], vcc
	s_cbranch_execz .LBB1947_200
.LBB1947_207:                           ;   in Loop: Header=BB1947_182 Depth=2
	v_cmp_gt_i16_e32 vcc, 0, v10
	v_cndmask_b32_e64 v0, v66, 0, vcc
	v_xor_b32_e32 v0, v0, v10
	v_cmp_ne_u16_e32 vcc, s68, v0
	v_cndmask_b32_e32 v0, v66, v0, vcc
	v_lshrrev_b32_sdwa v0, s77, v0 dst_sel:DWORD dst_unused:UNUSED_PAD src0_sel:DWORD src1_sel:WORD_0
	v_and_b32_e32 v0, s78, v0
	v_lshl_or_b32 v0, v0, 4, v67
	ds_add_u32 v0, v64
	s_or_b64 exec, exec, s[16:17]
	v_cmp_lt_u32_e32 vcc, v25, v13
	s_and_saveexec_b64 s[16:17], vcc
	s_cbranch_execnz .LBB1947_201
.LBB1947_208:                           ;   in Loop: Header=BB1947_182 Depth=2
	s_or_b64 exec, exec, s[16:17]
	v_cmp_lt_u32_e32 vcc, v26, v13
	s_and_saveexec_b64 s[16:17], vcc
	s_cbranch_execz .LBB1947_202
.LBB1947_209:                           ;   in Loop: Header=BB1947_182 Depth=2
	v_cmp_gt_i16_e32 vcc, 0, v8
	v_cndmask_b32_e64 v0, v66, 0, vcc
	v_xor_b32_e32 v0, v0, v8
	v_cmp_ne_u16_e32 vcc, s68, v0
	v_cndmask_b32_e32 v0, v66, v0, vcc
	v_lshrrev_b32_sdwa v0, s77, v0 dst_sel:DWORD dst_unused:UNUSED_PAD src0_sel:DWORD src1_sel:WORD_0
	v_and_b32_e32 v0, s78, v0
	v_lshl_or_b32 v0, v0, 4, v67
	ds_add_u32 v0, v64
	s_or_b64 exec, exec, s[16:17]
	v_cmp_lt_u32_e32 vcc, v29, v13
	s_and_saveexec_b64 s[16:17], vcc
	s_cbranch_execnz .LBB1947_203
.LBB1947_210:                           ;   in Loop: Header=BB1947_182 Depth=2
	s_or_b64 exec, exec, s[16:17]
	v_cmp_lt_u32_e32 vcc, v30, v13
	s_and_saveexec_b64 s[16:17], vcc
	s_cbranch_execz .LBB1947_204
.LBB1947_211:                           ;   in Loop: Header=BB1947_182 Depth=2
	v_cmp_gt_i16_e32 vcc, 0, v6
	v_cndmask_b32_e64 v0, v66, 0, vcc
	v_xor_b32_e32 v0, v0, v6
	v_cmp_ne_u16_e32 vcc, s68, v0
	v_cndmask_b32_e32 v0, v66, v0, vcc
	v_lshrrev_b32_sdwa v0, s77, v0 dst_sel:DWORD dst_unused:UNUSED_PAD src0_sel:DWORD src1_sel:WORD_0
	v_and_b32_e32 v0, s78, v0
	v_lshl_or_b32 v0, v0, 4, v67
	ds_add_u32 v0, v64
	s_or_b64 exec, exec, s[16:17]
	v_cmp_lt_u32_e32 vcc, v31, v13
	s_and_saveexec_b64 s[16:17], vcc
	s_cbranch_execnz .LBB1947_205
.LBB1947_212:                           ;   in Loop: Header=BB1947_182 Depth=2
	s_or_b64 exec, exec, s[16:17]
	v_cmp_lt_u32_e32 vcc, v32, v13
	s_and_saveexec_b64 s[16:17], vcc
	s_cbranch_execz .LBB1947_181
.LBB1947_213:                           ;   in Loop: Header=BB1947_182 Depth=2
	s_waitcnt vmcnt(0)
	v_cmp_gt_i16_e32 vcc, 0, v12
	v_cndmask_b32_e64 v0, v66, 0, vcc
	v_xor_b32_e32 v0, v0, v12
	v_cmp_ne_u16_e32 vcc, s68, v0
	v_cndmask_b32_e32 v0, v66, v0, vcc
	v_lshrrev_b32_sdwa v0, s77, v0 dst_sel:DWORD dst_unused:UNUSED_PAD src0_sel:DWORD src1_sel:WORD_0
	v_and_b32_e32 v0, s78, v0
	v_lshl_or_b32 v0, v0, 4, v67
	ds_add_u32 v0, v64
	s_branch .LBB1947_181
.LBB1947_214:                           ;   in Loop: Header=BB1947_182 Depth=2
	s_or_b64 exec, exec, s[20:21]
	v_cmp_gt_u32_e32 vcc, s22, v24
	s_and_saveexec_b64 s[20:21], vcc
	s_cbranch_execz .LBB1947_188
.LBB1947_215:                           ;   in Loop: Header=BB1947_182 Depth=2
	global_load_ushort v10, v65, s[18:19] offset:512
	s_or_b64 exec, exec, s[20:21]
	v_cmp_gt_u32_e32 vcc, s22, v25
	s_and_saveexec_b64 s[20:21], vcc
	s_cbranch_execnz .LBB1947_189
.LBB1947_216:                           ;   in Loop: Header=BB1947_182 Depth=2
	s_or_b64 exec, exec, s[20:21]
	v_cmp_gt_u32_e32 vcc, s22, v26
	s_and_saveexec_b64 s[20:21], vcc
	s_cbranch_execz .LBB1947_190
.LBB1947_217:                           ;   in Loop: Header=BB1947_182 Depth=2
	global_load_ushort v8, v65, s[18:19] offset:1536
	s_or_b64 exec, exec, s[20:21]
	v_cmp_gt_u32_e32 vcc, s22, v29
	s_and_saveexec_b64 s[20:21], vcc
	s_cbranch_execnz .LBB1947_191
.LBB1947_218:                           ;   in Loop: Header=BB1947_182 Depth=2
	s_or_b64 exec, exec, s[20:21]
	v_cmp_gt_u32_e32 vcc, s22, v30
	s_and_saveexec_b64 s[20:21], vcc
	s_cbranch_execz .LBB1947_192
.LBB1947_219:                           ;   in Loop: Header=BB1947_182 Depth=2
	global_load_ushort v6, v65, s[18:19] offset:2560
	s_or_b64 exec, exec, s[20:21]
	v_cmp_gt_u32_e32 vcc, s22, v31
	s_and_saveexec_b64 s[20:21], vcc
	s_cbranch_execz .LBB1947_194
	s_branch .LBB1947_193
.LBB1947_220:                           ;   in Loop: Header=BB1947_12 Depth=1
	v_mov_b32_e32 v0, 0
	s_waitcnt lgkmcnt(0)
	s_barrier
	s_and_saveexec_b64 s[16:17], s[4:5]
	s_cbranch_execz .LBB1947_222
; %bb.221:                              ;   in Loop: Header=BB1947_12 Depth=1
	ds_read2_b64 v[6:9], v33 offset1:1
	s_waitcnt lgkmcnt(0)
	v_add_u32_e32 v0, v7, v6
	v_add3_u32 v0, v0, v8, v9
.LBB1947_222:                           ;   in Loop: Header=BB1947_12 Depth=1
	s_or_b64 exec, exec, s[16:17]
	v_and_b32_e32 v1, 15, v68
	v_mov_b32_dpp v5, v0 row_shr:1 row_mask:0xf bank_mask:0xf
	v_cmp_eq_u32_e64 s[16:17], 0, v1
	v_cndmask_b32_e64 v5, v5, 0, s[16:17]
	v_add_u32_e32 v0, v5, v0
	v_cmp_lt_u32_e64 s[18:19], 1, v1
	v_cmp_lt_u32_e64 s[20:21], 3, v1
	v_mov_b32_dpp v5, v0 row_shr:2 row_mask:0xf bank_mask:0xf
	v_cndmask_b32_e64 v5, 0, v5, s[18:19]
	v_add_u32_e32 v0, v0, v5
	v_cmp_lt_u32_e64 s[22:23], 7, v1
	v_cmp_lt_u32_e64 s[26:27], 31, v68
	v_mov_b32_dpp v5, v0 row_shr:4 row_mask:0xf bank_mask:0xf
	v_cndmask_b32_e64 v5, 0, v5, s[20:21]
	v_add_u32_e32 v0, v0, v5
	v_and_b32_e32 v6, 16, v68
	v_cmp_eq_u32_e64 s[24:25], 0, v6
	v_mov_b32_dpp v5, v0 row_shr:8 row_mask:0xf bank_mask:0xf
	v_cndmask_b32_e64 v1, 0, v5, s[22:23]
	v_add_u32_e32 v0, v0, v1
	v_bfe_i32 v5, v68, 4, 1
	s_nop 0
	v_mov_b32_dpp v1, v0 row_bcast:15 row_mask:0xf bank_mask:0xf
	v_and_b32_e32 v1, v5, v1
	v_add_u32_e32 v0, v0, v1
	s_nop 1
	v_mov_b32_dpp v1, v0 row_bcast:31 row_mask:0xf bank_mask:0xf
	v_cndmask_b32_e64 v1, 0, v1, s[26:27]
	v_add_u32_e32 v1, v0, v1
	s_and_saveexec_b64 s[28:29], s[6:7]
	s_cbranch_execz .LBB1947_224
; %bb.223:                              ;   in Loop: Header=BB1947_12 Depth=1
	ds_write_b32 v35, v1
.LBB1947_224:                           ;   in Loop: Header=BB1947_12 Depth=1
	s_or_b64 exec, exec, s[28:29]
	v_and_b32_e32 v0, 3, v68
	s_waitcnt lgkmcnt(0)
	s_barrier
	s_and_saveexec_b64 s[28:29], s[8:9]
	s_cbranch_execz .LBB1947_226
; %bb.225:                              ;   in Loop: Header=BB1947_12 Depth=1
	ds_read_b32 v5, v36
	v_cmp_ne_u32_e32 vcc, 0, v0
	s_waitcnt lgkmcnt(0)
	v_mov_b32_dpp v6, v5 row_shr:1 row_mask:0xf bank_mask:0xf
	v_cndmask_b32_e32 v6, 0, v6, vcc
	v_add_u32_e32 v5, v6, v5
	v_cmp_lt_u32_e32 vcc, 1, v0
	s_nop 0
	v_mov_b32_dpp v6, v5 row_shr:2 row_mask:0xf bank_mask:0xf
	v_cndmask_b32_e32 v6, 0, v6, vcc
	v_add_u32_e32 v5, v5, v6
	ds_write_b32 v36, v5
.LBB1947_226:                           ;   in Loop: Header=BB1947_12 Depth=1
	s_or_b64 exec, exec, s[28:29]
	v_mov_b32_e32 v5, 0
	s_waitcnt lgkmcnt(0)
	s_barrier
	s_and_saveexec_b64 s[28:29], s[10:11]
	s_cbranch_execz .LBB1947_228
; %bb.227:                              ;   in Loop: Header=BB1947_12 Depth=1
	ds_read_b32 v5, v37
.LBB1947_228:                           ;   in Loop: Header=BB1947_12 Depth=1
	s_or_b64 exec, exec, s[28:29]
	v_add_u32_e32 v6, -1, v68
	v_and_b32_e32 v7, 64, v68
	v_cmp_lt_i32_e32 vcc, v6, v7
	v_cndmask_b32_e32 v6, v6, v68, vcc
	s_waitcnt lgkmcnt(0)
	v_add_u32_e32 v1, v5, v1
	v_lshlrev_b32_e32 v69, 2, v6
	ds_bpermute_b32 v1, v69, v1
	v_cmp_eq_u32_e64 s[28:29], 0, v68
	s_waitcnt lgkmcnt(0)
	s_barrier
	s_and_saveexec_b64 s[30:31], s[4:5]
	s_cbranch_execz .LBB1947_230
; %bb.229:                              ;   in Loop: Header=BB1947_12 Depth=1
	v_cndmask_b32_e64 v1, v1, v5, s[28:29]
	v_add_u32_e32 v1, s51, v1
	ds_write_b32 v3, v1
.LBB1947_230:                           ;   in Loop: Header=BB1947_12 Depth=1
	s_or_b64 exec, exec, s[30:31]
	s_load_dwordx2 s[30:31], s[74:75], 0x0
	v_and_b32_e32 v21, 63, v68
	v_lshlrev_b32_e32 v22, 3, v21
	v_add_co_u32_e32 v77, vcc, v54, v22
	s_waitcnt lgkmcnt(0)
	s_cmp_lt_u32 s50, s30
	s_cselect_b32 s34, 12, 18
	s_cmp_lt_u32 s33, s31
	s_cselect_b32 s30, 14, 20
	s_add_u32 s30, s74, s30
	s_addc_u32 s31, s75, 0
	s_add_u32 s34, s74, s34
	global_load_ushort v5, v4, s[30:31]
	s_addc_u32 s35, s75, 0
	global_load_ushort v20, v4, s[34:35]
	v_or_b32_e32 v74, v21, v38
	v_lshlrev_b32_e32 v21, 1, v21
	v_addc_co_u32_e32 v79, vcc, 0, v55, vcc
	v_add_co_u32_e32 v88, vcc, v56, v21
	v_addc_co_u32_e32 v89, vcc, 0, v57, vcc
	v_add_co_u32_e32 v90, vcc, 0x380, v88
	v_cmp_eq_u32_e64 s[30:31], 0, v0
	v_cmp_lt_u32_e64 s[34:35], 1, v0
	s_mov_b32 s79, s71
	v_or_b32_e32 v81, 64, v74
	v_or_b32_e32 v82, 0x80, v74
	;; [unrolled: 1-line block ×7, first 2 shown]
	v_addc_co_u32_e32 v91, vcc, 0, v89, vcc
	s_mov_b32 s72, s51
                                        ; implicit-def: $vgpr0_vgpr1
                                        ; implicit-def: $vgpr6_vgpr7
                                        ; implicit-def: $vgpr8_vgpr9
                                        ; implicit-def: $vgpr10_vgpr11
                                        ; implicit-def: $vgpr12_vgpr13
                                        ; implicit-def: $vgpr14_vgpr15
                                        ; implicit-def: $vgpr16_vgpr17
                                        ; implicit-def: $vgpr18_vgpr19
                                        ; implicit-def: $vgpr70
                                        ; implicit-def: $vgpr71
                                        ; implicit-def: $vgpr72
                                        ; implicit-def: $vgpr73
                                        ; implicit-def: $vgpr75
                                        ; implicit-def: $vgpr76
                                        ; implicit-def: $vgpr78
                                        ; implicit-def: $vgpr80
	s_waitcnt vmcnt(1)
	v_mad_u32_u24 v5, v39, v5, v40
	s_waitcnt vmcnt(0)
	v_mad_u64_u32 v[20:21], s[36:37], v5, v20, v[2:3]
	v_lshrrev_b32_e32 v92, 6, v20
	s_branch .LBB1947_232
.LBB1947_231:                           ;   in Loop: Header=BB1947_232 Depth=2
	s_or_b64 exec, exec, s[36:37]
	s_addk_i32 s79, 0xf800
	s_cmp_lt_u32 s80, s76
	s_mov_b32 s72, s80
	s_cbranch_scc0 .LBB1947_344
.LBB1947_232:                           ;   Parent Loop BB1947_12 Depth=1
                                        ; =>  This Inner Loop Header: Depth=2
	s_add_i32 s80, s72, 0x800
	s_cmp_gt_u32 s80, s76
	s_cbranch_scc1 .LBB1947_235
; %bb.233:                              ;   in Loop: Header=BB1947_232 Depth=2
	s_lshl_b64 s[36:37], s[72:73], 1
	v_mov_b32_e32 v5, s37
	v_add_co_u32_e32 v20, vcc, s36, v88
	v_addc_co_u32_e32 v21, vcc, v89, v5, vcc
	global_load_ushort v5, v[20:21], off
	global_load_ushort v97, v[20:21], off offset:128
	global_load_ushort v101, v[20:21], off offset:256
	;; [unrolled: 1-line block ×6, first 2 shown]
	s_mov_b64 s[36:37], -1
	s_movk_i32 s40, 0x800
	s_cbranch_execz .LBB1947_236
; %bb.234:                              ;   in Loop: Header=BB1947_232 Depth=2
                                        ; implicit-def: $sgpr38
	v_mov_b32_e32 v23, s38
	v_mov_b32_e32 v93, s79
	s_and_saveexec_b64 s[38:39], s[36:37]
	s_cbranch_execnz .LBB1947_251
	s_branch .LBB1947_252
.LBB1947_235:                           ;   in Loop: Header=BB1947_232 Depth=2
	s_mov_b64 s[36:37], 0
                                        ; implicit-def: $sgpr40
                                        ; implicit-def: $vgpr5
                                        ; implicit-def: $vgpr97
                                        ; implicit-def: $vgpr101
                                        ; implicit-def: $vgpr106
                                        ; implicit-def: $vgpr109
                                        ; implicit-def: $vgpr104
                                        ; implicit-def: $vgpr22
.LBB1947_236:                           ;   in Loop: Header=BB1947_232 Depth=2
	s_lshl_b64 s[36:37], s[72:73], 1
	s_waitcnt vmcnt(6)
	v_mov_b32_e32 v5, s37
	v_add_co_u32_e32 v20, vcc, s36, v88
	v_addc_co_u32_e32 v21, vcc, v89, v5, vcc
	v_cmp_gt_u32_e32 vcc, s79, v74
	s_waitcnt vmcnt(5)
	v_mov_b32_e32 v97, -1
	v_mov_b32_e32 v5, -1
	s_and_saveexec_b64 s[36:37], vcc
	s_cbranch_execz .LBB1947_238
; %bb.237:                              ;   in Loop: Header=BB1947_232 Depth=2
	global_load_ushort v5, v[20:21], off
.LBB1947_238:                           ;   in Loop: Header=BB1947_232 Depth=2
	s_or_b64 exec, exec, s[36:37]
	v_cmp_gt_u32_e32 vcc, s79, v81
	s_and_saveexec_b64 s[36:37], vcc
	s_cbranch_execz .LBB1947_240
; %bb.239:                              ;   in Loop: Header=BB1947_232 Depth=2
	global_load_ushort v97, v[20:21], off offset:128
.LBB1947_240:                           ;   in Loop: Header=BB1947_232 Depth=2
	s_or_b64 exec, exec, s[36:37]
	v_cmp_gt_u32_e32 vcc, s79, v82
	s_waitcnt vmcnt(3)
	v_mov_b32_e32 v106, -1
	v_mov_b32_e32 v101, -1
	s_and_saveexec_b64 s[36:37], vcc
	s_cbranch_execz .LBB1947_242
; %bb.241:                              ;   in Loop: Header=BB1947_232 Depth=2
	global_load_ushort v101, v[20:21], off offset:256
.LBB1947_242:                           ;   in Loop: Header=BB1947_232 Depth=2
	s_or_b64 exec, exec, s[36:37]
	v_cmp_gt_u32_e32 vcc, s79, v83
	s_and_saveexec_b64 s[36:37], vcc
	s_cbranch_execz .LBB1947_244
; %bb.243:                              ;   in Loop: Header=BB1947_232 Depth=2
	global_load_ushort v106, v[20:21], off offset:384
.LBB1947_244:                           ;   in Loop: Header=BB1947_232 Depth=2
	s_or_b64 exec, exec, s[36:37]
	v_cmp_gt_u32_e32 vcc, s79, v84
	s_waitcnt vmcnt(1)
	v_mov_b32_e32 v104, -1
	v_mov_b32_e32 v109, -1
	s_and_saveexec_b64 s[36:37], vcc
	s_cbranch_execz .LBB1947_246
; %bb.245:                              ;   in Loop: Header=BB1947_232 Depth=2
	global_load_ushort v109, v[20:21], off offset:512
.LBB1947_246:                           ;   in Loop: Header=BB1947_232 Depth=2
	s_or_b64 exec, exec, s[36:37]
	v_cmp_gt_u32_e32 vcc, s79, v85
	s_and_saveexec_b64 s[36:37], vcc
	s_cbranch_execz .LBB1947_248
; %bb.247:                              ;   in Loop: Header=BB1947_232 Depth=2
	global_load_ushort v104, v[20:21], off offset:640
.LBB1947_248:                           ;   in Loop: Header=BB1947_232 Depth=2
	s_or_b64 exec, exec, s[36:37]
	v_cmp_gt_u32_e32 vcc, s79, v86
	s_waitcnt vmcnt(0)
	v_mov_b32_e32 v22, -1
	s_and_saveexec_b64 s[36:37], vcc
	s_cbranch_execz .LBB1947_250
; %bb.249:                              ;   in Loop: Header=BB1947_232 Depth=2
	global_load_ushort v22, v[20:21], off offset:768
.LBB1947_250:                           ;   in Loop: Header=BB1947_232 Depth=2
	s_or_b64 exec, exec, s[36:37]
	s_sub_i32 s40, s76, s72
	v_cmp_gt_u32_e64 s[36:37], s79, v87
	s_mov_b32 s38, -1
	v_mov_b32_e32 v23, s38
	v_mov_b32_e32 v93, s79
	s_and_saveexec_b64 s[38:39], s[36:37]
	s_cbranch_execz .LBB1947_252
.LBB1947_251:                           ;   in Loop: Header=BB1947_232 Depth=2
	s_lshl_b64 s[36:37], s[72:73], 1
	v_mov_b32_e32 v21, s37
	v_add_co_u32_e32 v20, vcc, s36, v90
	v_addc_co_u32_e32 v21, vcc, v91, v21, vcc
	global_load_ushort v23, v[20:21], off
	v_mov_b32_e32 v93, s40
.LBB1947_252:                           ;   in Loop: Header=BB1947_232 Depth=2
	s_or_b64 exec, exec, s[38:39]
	s_waitcnt vmcnt(6)
	v_cmp_gt_i16_e32 vcc, 0, v5
	v_cndmask_b32_e64 v20, v66, 0, vcc
	v_xor_b32_e32 v94, v20, v5
	v_add_u32_e32 v5, 0x410, v41
	v_cmp_ne_u16_e32 vcc, s68, v94
	ds_write2_b32 v5, v4, v4 offset1:1
	ds_write2_b32 v43, v4, v4 offset0:2 offset1:3
	ds_write_b32 v43, v4 offset:16
	v_cndmask_b32_e32 v5, v66, v94, vcc
	v_lshrrev_b32_sdwa v5, s77, v5 dst_sel:DWORD dst_unused:UNUSED_PAD src0_sel:DWORD src1_sel:WORD_0
	v_and_b32_e32 v20, s78, v5
	v_mad_u32_u24 v5, v20, 5, v92
	v_lshl_add_u32 v95, v5, 2, v42
	v_and_b32_e32 v5, 1, v20
	v_add_co_u32_e32 v21, vcc, -1, v5
	v_addc_co_u32_e64 v96, s[36:37], 0, -1, vcc
	v_cmp_ne_u32_e32 vcc, 0, v5
	v_xor_b32_e32 v5, vcc_hi, v96
	v_and_b32_e32 v96, exec_hi, v5
	v_lshlrev_b32_e32 v5, 30, v20
	v_xor_b32_e32 v21, vcc_lo, v21
	v_cmp_gt_i64_e32 vcc, 0, v[4:5]
	v_not_b32_e32 v5, v5
	v_ashrrev_i32_e32 v5, 31, v5
	v_and_b32_e32 v21, exec_lo, v21
	v_xor_b32_e32 v98, vcc_hi, v5
	v_xor_b32_e32 v5, vcc_lo, v5
	v_and_b32_e32 v21, v21, v5
	v_lshlrev_b32_e32 v5, 29, v20
	v_cmp_gt_i64_e32 vcc, 0, v[4:5]
	v_not_b32_e32 v5, v5
	v_ashrrev_i32_e32 v5, 31, v5
	v_and_b32_e32 v96, v96, v98
	v_xor_b32_e32 v98, vcc_hi, v5
	v_xor_b32_e32 v5, vcc_lo, v5
	v_and_b32_e32 v21, v21, v5
	v_lshlrev_b32_e32 v5, 28, v20
	v_cmp_gt_i64_e32 vcc, 0, v[4:5]
	v_not_b32_e32 v5, v5
	v_ashrrev_i32_e32 v5, 31, v5
	v_and_b32_e32 v96, v96, v98
	;; [unrolled: 8-line block ×5, first 2 shown]
	v_xor_b32_e32 v98, vcc_hi, v5
	v_xor_b32_e32 v5, vcc_lo, v5
	v_and_b32_e32 v96, v96, v98
	v_and_b32_e32 v98, v21, v5
	v_lshlrev_b32_e32 v5, 24, v20
	v_cmp_gt_i64_e32 vcc, 0, v[4:5]
	v_not_b32_e32 v5, v5
	v_ashrrev_i32_e32 v5, 31, v5
	v_xor_b32_e32 v20, vcc_hi, v5
	v_xor_b32_e32 v5, vcc_lo, v5
	v_and_b32_e32 v21, v96, v20
	v_and_b32_e32 v20, v98, v5
	v_mbcnt_lo_u32_b32 v5, v20, 0
	v_mbcnt_hi_u32_b32 v96, v21, v5
	v_cmp_eq_u32_e32 vcc, 0, v96
	v_cmp_ne_u64_e64 s[36:37], 0, v[20:21]
	s_and_b64 s[38:39], s[36:37], vcc
	s_waitcnt lgkmcnt(0)
	s_barrier
	s_waitcnt lgkmcnt(0)
	; wave barrier
	s_and_saveexec_b64 s[36:37], s[38:39]
	s_cbranch_execz .LBB1947_254
; %bb.253:                              ;   in Loop: Header=BB1947_232 Depth=2
	v_bcnt_u32_b32 v5, v20, 0
	v_bcnt_u32_b32 v5, v21, v5
	ds_write_b32 v95, v5
.LBB1947_254:                           ;   in Loop: Header=BB1947_232 Depth=2
	s_or_b64 exec, exec, s[36:37]
	s_waitcnt vmcnt(5)
	v_cmp_gt_i16_e32 vcc, 0, v97
	v_cndmask_b32_e64 v5, v66, 0, vcc
	v_xor_b32_e32 v97, v5, v97
	v_cmp_ne_u16_e32 vcc, s68, v97
	v_cndmask_b32_e32 v5, v66, v97, vcc
	v_lshrrev_b32_sdwa v5, s77, v5 dst_sel:DWORD dst_unused:UNUSED_PAD src0_sel:DWORD src1_sel:WORD_0
	v_and_b32_e32 v20, s78, v5
	v_mul_u32_u24_e32 v5, 5, v20
	v_add_lshl_u32 v5, v5, v92, 2
	; wave barrier
	v_add_u32_e32 v99, 0x410, v5
	ds_read_b32 v98, v5 offset:1040
	v_and_b32_e32 v5, 1, v20
	v_add_co_u32_e32 v21, vcc, -1, v5
	v_addc_co_u32_e64 v100, s[36:37], 0, -1, vcc
	v_cmp_ne_u32_e32 vcc, 0, v5
	v_xor_b32_e32 v5, vcc_hi, v100
	v_and_b32_e32 v100, exec_hi, v5
	v_lshlrev_b32_e32 v5, 30, v20
	v_xor_b32_e32 v21, vcc_lo, v21
	v_cmp_gt_i64_e32 vcc, 0, v[4:5]
	v_not_b32_e32 v5, v5
	v_ashrrev_i32_e32 v5, 31, v5
	v_and_b32_e32 v21, exec_lo, v21
	v_xor_b32_e32 v102, vcc_hi, v5
	v_xor_b32_e32 v5, vcc_lo, v5
	v_and_b32_e32 v21, v21, v5
	v_lshlrev_b32_e32 v5, 29, v20
	v_cmp_gt_i64_e32 vcc, 0, v[4:5]
	v_not_b32_e32 v5, v5
	v_ashrrev_i32_e32 v5, 31, v5
	v_and_b32_e32 v100, v100, v102
	v_xor_b32_e32 v102, vcc_hi, v5
	v_xor_b32_e32 v5, vcc_lo, v5
	v_and_b32_e32 v21, v21, v5
	v_lshlrev_b32_e32 v5, 28, v20
	v_cmp_gt_i64_e32 vcc, 0, v[4:5]
	v_not_b32_e32 v5, v5
	v_ashrrev_i32_e32 v5, 31, v5
	v_and_b32_e32 v100, v100, v102
	;; [unrolled: 8-line block ×5, first 2 shown]
	v_xor_b32_e32 v102, vcc_hi, v5
	v_xor_b32_e32 v5, vcc_lo, v5
	v_and_b32_e32 v100, v100, v102
	v_and_b32_e32 v102, v21, v5
	v_lshlrev_b32_e32 v5, 24, v20
	v_cmp_gt_i64_e32 vcc, 0, v[4:5]
	v_not_b32_e32 v5, v5
	v_ashrrev_i32_e32 v5, 31, v5
	v_xor_b32_e32 v20, vcc_hi, v5
	v_xor_b32_e32 v5, vcc_lo, v5
	v_and_b32_e32 v21, v100, v20
	v_and_b32_e32 v20, v102, v5
	v_mbcnt_lo_u32_b32 v5, v20, 0
	v_mbcnt_hi_u32_b32 v100, v21, v5
	v_cmp_eq_u32_e32 vcc, 0, v100
	v_cmp_ne_u64_e64 s[36:37], 0, v[20:21]
	s_and_b64 s[38:39], s[36:37], vcc
	; wave barrier
	s_and_saveexec_b64 s[36:37], s[38:39]
	s_cbranch_execz .LBB1947_256
; %bb.255:                              ;   in Loop: Header=BB1947_232 Depth=2
	v_bcnt_u32_b32 v5, v20, 0
	v_bcnt_u32_b32 v5, v21, v5
	s_waitcnt lgkmcnt(0)
	v_add_u32_e32 v5, v98, v5
	ds_write_b32 v99, v5
.LBB1947_256:                           ;   in Loop: Header=BB1947_232 Depth=2
	s_or_b64 exec, exec, s[36:37]
	s_waitcnt vmcnt(4)
	v_cmp_gt_i16_e32 vcc, 0, v101
	v_cndmask_b32_e64 v5, v66, 0, vcc
	v_xor_b32_e32 v101, v5, v101
	v_cmp_ne_u16_e32 vcc, s68, v101
	v_cndmask_b32_e32 v5, v66, v101, vcc
	v_lshrrev_b32_sdwa v5, s77, v5 dst_sel:DWORD dst_unused:UNUSED_PAD src0_sel:DWORD src1_sel:WORD_0
	v_and_b32_e32 v20, s78, v5
	v_mul_u32_u24_e32 v5, 5, v20
	v_add_lshl_u32 v5, v5, v92, 2
	; wave barrier
	v_add_u32_e32 v103, 0x410, v5
	ds_read_b32 v102, v5 offset:1040
	v_and_b32_e32 v5, 1, v20
	v_add_co_u32_e32 v21, vcc, -1, v5
	v_addc_co_u32_e64 v105, s[36:37], 0, -1, vcc
	v_cmp_ne_u32_e32 vcc, 0, v5
	v_xor_b32_e32 v5, vcc_hi, v105
	v_and_b32_e32 v105, exec_hi, v5
	v_lshlrev_b32_e32 v5, 30, v20
	v_xor_b32_e32 v21, vcc_lo, v21
	v_cmp_gt_i64_e32 vcc, 0, v[4:5]
	v_not_b32_e32 v5, v5
	v_ashrrev_i32_e32 v5, 31, v5
	v_and_b32_e32 v21, exec_lo, v21
	v_xor_b32_e32 v107, vcc_hi, v5
	v_xor_b32_e32 v5, vcc_lo, v5
	v_and_b32_e32 v21, v21, v5
	v_lshlrev_b32_e32 v5, 29, v20
	v_cmp_gt_i64_e32 vcc, 0, v[4:5]
	v_not_b32_e32 v5, v5
	v_ashrrev_i32_e32 v5, 31, v5
	v_and_b32_e32 v105, v105, v107
	v_xor_b32_e32 v107, vcc_hi, v5
	v_xor_b32_e32 v5, vcc_lo, v5
	v_and_b32_e32 v21, v21, v5
	v_lshlrev_b32_e32 v5, 28, v20
	v_cmp_gt_i64_e32 vcc, 0, v[4:5]
	v_not_b32_e32 v5, v5
	v_ashrrev_i32_e32 v5, 31, v5
	v_and_b32_e32 v105, v105, v107
	;; [unrolled: 8-line block ×5, first 2 shown]
	v_xor_b32_e32 v107, vcc_hi, v5
	v_xor_b32_e32 v5, vcc_lo, v5
	v_and_b32_e32 v105, v105, v107
	v_and_b32_e32 v107, v21, v5
	v_lshlrev_b32_e32 v5, 24, v20
	v_cmp_gt_i64_e32 vcc, 0, v[4:5]
	v_not_b32_e32 v5, v5
	v_ashrrev_i32_e32 v5, 31, v5
	v_xor_b32_e32 v20, vcc_hi, v5
	v_xor_b32_e32 v5, vcc_lo, v5
	v_and_b32_e32 v21, v105, v20
	v_and_b32_e32 v20, v107, v5
	v_mbcnt_lo_u32_b32 v5, v20, 0
	v_mbcnt_hi_u32_b32 v105, v21, v5
	v_cmp_eq_u32_e32 vcc, 0, v105
	v_cmp_ne_u64_e64 s[36:37], 0, v[20:21]
	s_and_b64 s[38:39], s[36:37], vcc
	; wave barrier
	s_and_saveexec_b64 s[36:37], s[38:39]
	s_cbranch_execz .LBB1947_258
; %bb.257:                              ;   in Loop: Header=BB1947_232 Depth=2
	v_bcnt_u32_b32 v5, v20, 0
	v_bcnt_u32_b32 v5, v21, v5
	s_waitcnt lgkmcnt(0)
	v_add_u32_e32 v5, v102, v5
	ds_write_b32 v103, v5
.LBB1947_258:                           ;   in Loop: Header=BB1947_232 Depth=2
	s_or_b64 exec, exec, s[36:37]
	s_waitcnt vmcnt(3)
	v_cmp_gt_i16_e32 vcc, 0, v106
	v_cndmask_b32_e64 v5, v66, 0, vcc
	v_xor_b32_e32 v106, v5, v106
	v_cmp_ne_u16_e32 vcc, s68, v106
	v_cndmask_b32_e32 v5, v66, v106, vcc
	v_lshrrev_b32_sdwa v5, s77, v5 dst_sel:DWORD dst_unused:UNUSED_PAD src0_sel:DWORD src1_sel:WORD_0
	v_and_b32_e32 v20, s78, v5
	v_mul_u32_u24_e32 v5, 5, v20
	v_add_lshl_u32 v5, v5, v92, 2
	; wave barrier
	v_add_u32_e32 v108, 0x410, v5
	ds_read_b32 v107, v5 offset:1040
	v_and_b32_e32 v5, 1, v20
	v_add_co_u32_e32 v21, vcc, -1, v5
	v_addc_co_u32_e64 v110, s[36:37], 0, -1, vcc
	v_cmp_ne_u32_e32 vcc, 0, v5
	v_xor_b32_e32 v5, vcc_hi, v110
	v_and_b32_e32 v110, exec_hi, v5
	v_lshlrev_b32_e32 v5, 30, v20
	v_xor_b32_e32 v21, vcc_lo, v21
	v_cmp_gt_i64_e32 vcc, 0, v[4:5]
	v_not_b32_e32 v5, v5
	v_ashrrev_i32_e32 v5, 31, v5
	v_and_b32_e32 v21, exec_lo, v21
	v_xor_b32_e32 v111, vcc_hi, v5
	v_xor_b32_e32 v5, vcc_lo, v5
	v_and_b32_e32 v21, v21, v5
	v_lshlrev_b32_e32 v5, 29, v20
	v_cmp_gt_i64_e32 vcc, 0, v[4:5]
	v_not_b32_e32 v5, v5
	v_ashrrev_i32_e32 v5, 31, v5
	v_and_b32_e32 v110, v110, v111
	v_xor_b32_e32 v111, vcc_hi, v5
	v_xor_b32_e32 v5, vcc_lo, v5
	v_and_b32_e32 v21, v21, v5
	v_lshlrev_b32_e32 v5, 28, v20
	v_cmp_gt_i64_e32 vcc, 0, v[4:5]
	v_not_b32_e32 v5, v5
	v_ashrrev_i32_e32 v5, 31, v5
	v_and_b32_e32 v110, v110, v111
	;; [unrolled: 8-line block ×5, first 2 shown]
	v_xor_b32_e32 v111, vcc_hi, v5
	v_xor_b32_e32 v5, vcc_lo, v5
	v_and_b32_e32 v110, v110, v111
	v_and_b32_e32 v111, v21, v5
	v_lshlrev_b32_e32 v5, 24, v20
	v_cmp_gt_i64_e32 vcc, 0, v[4:5]
	v_not_b32_e32 v5, v5
	v_ashrrev_i32_e32 v5, 31, v5
	v_xor_b32_e32 v20, vcc_hi, v5
	v_xor_b32_e32 v5, vcc_lo, v5
	v_and_b32_e32 v21, v110, v20
	v_and_b32_e32 v20, v111, v5
	v_mbcnt_lo_u32_b32 v5, v20, 0
	v_mbcnt_hi_u32_b32 v110, v21, v5
	v_cmp_eq_u32_e32 vcc, 0, v110
	v_cmp_ne_u64_e64 s[36:37], 0, v[20:21]
	s_and_b64 s[38:39], s[36:37], vcc
	; wave barrier
	s_and_saveexec_b64 s[36:37], s[38:39]
	s_cbranch_execz .LBB1947_260
; %bb.259:                              ;   in Loop: Header=BB1947_232 Depth=2
	v_bcnt_u32_b32 v5, v20, 0
	v_bcnt_u32_b32 v5, v21, v5
	s_waitcnt lgkmcnt(0)
	v_add_u32_e32 v5, v107, v5
	ds_write_b32 v108, v5
.LBB1947_260:                           ;   in Loop: Header=BB1947_232 Depth=2
	s_or_b64 exec, exec, s[36:37]
	s_waitcnt vmcnt(2)
	v_cmp_gt_i16_e32 vcc, 0, v109
	v_cndmask_b32_e64 v5, v66, 0, vcc
	v_xor_b32_e32 v109, v5, v109
	v_cmp_ne_u16_e32 vcc, s68, v109
	v_cndmask_b32_e32 v5, v66, v109, vcc
	v_lshrrev_b32_sdwa v5, s77, v5 dst_sel:DWORD dst_unused:UNUSED_PAD src0_sel:DWORD src1_sel:WORD_0
	v_and_b32_e32 v20, s78, v5
	v_mul_u32_u24_e32 v5, 5, v20
	v_add_lshl_u32 v5, v5, v92, 2
	; wave barrier
	v_add_u32_e32 v112, 0x410, v5
	ds_read_b32 v111, v5 offset:1040
	v_and_b32_e32 v5, 1, v20
	v_add_co_u32_e32 v21, vcc, -1, v5
	v_addc_co_u32_e64 v113, s[36:37], 0, -1, vcc
	v_cmp_ne_u32_e32 vcc, 0, v5
	v_xor_b32_e32 v5, vcc_hi, v113
	v_and_b32_e32 v113, exec_hi, v5
	v_lshlrev_b32_e32 v5, 30, v20
	v_xor_b32_e32 v21, vcc_lo, v21
	v_cmp_gt_i64_e32 vcc, 0, v[4:5]
	v_not_b32_e32 v5, v5
	v_ashrrev_i32_e32 v5, 31, v5
	v_and_b32_e32 v21, exec_lo, v21
	v_xor_b32_e32 v114, vcc_hi, v5
	v_xor_b32_e32 v5, vcc_lo, v5
	v_and_b32_e32 v21, v21, v5
	v_lshlrev_b32_e32 v5, 29, v20
	v_cmp_gt_i64_e32 vcc, 0, v[4:5]
	v_not_b32_e32 v5, v5
	v_ashrrev_i32_e32 v5, 31, v5
	v_and_b32_e32 v113, v113, v114
	v_xor_b32_e32 v114, vcc_hi, v5
	v_xor_b32_e32 v5, vcc_lo, v5
	v_and_b32_e32 v21, v21, v5
	v_lshlrev_b32_e32 v5, 28, v20
	v_cmp_gt_i64_e32 vcc, 0, v[4:5]
	v_not_b32_e32 v5, v5
	v_ashrrev_i32_e32 v5, 31, v5
	v_and_b32_e32 v113, v113, v114
	;; [unrolled: 8-line block ×5, first 2 shown]
	v_xor_b32_e32 v114, vcc_hi, v5
	v_xor_b32_e32 v5, vcc_lo, v5
	v_and_b32_e32 v113, v113, v114
	v_and_b32_e32 v114, v21, v5
	v_lshlrev_b32_e32 v5, 24, v20
	v_cmp_gt_i64_e32 vcc, 0, v[4:5]
	v_not_b32_e32 v5, v5
	v_ashrrev_i32_e32 v5, 31, v5
	v_xor_b32_e32 v20, vcc_hi, v5
	v_xor_b32_e32 v5, vcc_lo, v5
	v_and_b32_e32 v21, v113, v20
	v_and_b32_e32 v20, v114, v5
	v_mbcnt_lo_u32_b32 v5, v20, 0
	v_mbcnt_hi_u32_b32 v113, v21, v5
	v_cmp_eq_u32_e32 vcc, 0, v113
	v_cmp_ne_u64_e64 s[36:37], 0, v[20:21]
	s_and_b64 s[38:39], s[36:37], vcc
	; wave barrier
	s_and_saveexec_b64 s[36:37], s[38:39]
	s_cbranch_execz .LBB1947_262
; %bb.261:                              ;   in Loop: Header=BB1947_232 Depth=2
	v_bcnt_u32_b32 v5, v20, 0
	v_bcnt_u32_b32 v5, v21, v5
	s_waitcnt lgkmcnt(0)
	v_add_u32_e32 v5, v111, v5
	ds_write_b32 v112, v5
.LBB1947_262:                           ;   in Loop: Header=BB1947_232 Depth=2
	s_or_b64 exec, exec, s[36:37]
	s_waitcnt vmcnt(1)
	v_cmp_gt_i16_e32 vcc, 0, v104
	v_cndmask_b32_e64 v5, v66, 0, vcc
	v_xor_b32_e32 v104, v5, v104
	v_cmp_ne_u16_e32 vcc, s68, v104
	v_cndmask_b32_e32 v5, v66, v104, vcc
	v_lshrrev_b32_sdwa v5, s77, v5 dst_sel:DWORD dst_unused:UNUSED_PAD src0_sel:DWORD src1_sel:WORD_0
	v_and_b32_e32 v20, s78, v5
	v_mul_u32_u24_e32 v5, 5, v20
	v_add_lshl_u32 v5, v5, v92, 2
	; wave barrier
	v_add_u32_e32 v115, 0x410, v5
	ds_read_b32 v114, v5 offset:1040
	v_and_b32_e32 v5, 1, v20
	v_add_co_u32_e32 v21, vcc, -1, v5
	v_addc_co_u32_e64 v116, s[36:37], 0, -1, vcc
	v_cmp_ne_u32_e32 vcc, 0, v5
	v_xor_b32_e32 v5, vcc_hi, v116
	v_and_b32_e32 v116, exec_hi, v5
	v_lshlrev_b32_e32 v5, 30, v20
	v_xor_b32_e32 v21, vcc_lo, v21
	v_cmp_gt_i64_e32 vcc, 0, v[4:5]
	v_not_b32_e32 v5, v5
	v_ashrrev_i32_e32 v5, 31, v5
	v_and_b32_e32 v21, exec_lo, v21
	v_xor_b32_e32 v117, vcc_hi, v5
	v_xor_b32_e32 v5, vcc_lo, v5
	v_and_b32_e32 v21, v21, v5
	v_lshlrev_b32_e32 v5, 29, v20
	v_cmp_gt_i64_e32 vcc, 0, v[4:5]
	v_not_b32_e32 v5, v5
	v_ashrrev_i32_e32 v5, 31, v5
	v_and_b32_e32 v116, v116, v117
	v_xor_b32_e32 v117, vcc_hi, v5
	v_xor_b32_e32 v5, vcc_lo, v5
	v_and_b32_e32 v21, v21, v5
	v_lshlrev_b32_e32 v5, 28, v20
	v_cmp_gt_i64_e32 vcc, 0, v[4:5]
	v_not_b32_e32 v5, v5
	v_ashrrev_i32_e32 v5, 31, v5
	v_and_b32_e32 v116, v116, v117
	;; [unrolled: 8-line block ×5, first 2 shown]
	v_xor_b32_e32 v117, vcc_hi, v5
	v_xor_b32_e32 v5, vcc_lo, v5
	v_and_b32_e32 v116, v116, v117
	v_and_b32_e32 v117, v21, v5
	v_lshlrev_b32_e32 v5, 24, v20
	v_cmp_gt_i64_e32 vcc, 0, v[4:5]
	v_not_b32_e32 v5, v5
	v_ashrrev_i32_e32 v5, 31, v5
	v_xor_b32_e32 v20, vcc_hi, v5
	v_xor_b32_e32 v5, vcc_lo, v5
	v_and_b32_e32 v21, v116, v20
	v_and_b32_e32 v20, v117, v5
	v_mbcnt_lo_u32_b32 v5, v20, 0
	v_mbcnt_hi_u32_b32 v116, v21, v5
	v_cmp_eq_u32_e32 vcc, 0, v116
	v_cmp_ne_u64_e64 s[36:37], 0, v[20:21]
	s_and_b64 s[38:39], s[36:37], vcc
	; wave barrier
	s_and_saveexec_b64 s[36:37], s[38:39]
	s_cbranch_execz .LBB1947_264
; %bb.263:                              ;   in Loop: Header=BB1947_232 Depth=2
	v_bcnt_u32_b32 v5, v20, 0
	v_bcnt_u32_b32 v5, v21, v5
	s_waitcnt lgkmcnt(0)
	v_add_u32_e32 v5, v114, v5
	ds_write_b32 v115, v5
.LBB1947_264:                           ;   in Loop: Header=BB1947_232 Depth=2
	s_or_b64 exec, exec, s[36:37]
	s_waitcnt vmcnt(0)
	v_cmp_gt_i16_e32 vcc, 0, v22
	v_cndmask_b32_e64 v5, v66, 0, vcc
	v_xor_b32_e32 v117, v5, v22
	v_cmp_ne_u16_e32 vcc, s68, v117
	v_cndmask_b32_e32 v5, v66, v117, vcc
	v_lshrrev_b32_sdwa v5, s77, v5 dst_sel:DWORD dst_unused:UNUSED_PAD src0_sel:DWORD src1_sel:WORD_0
	v_and_b32_e32 v20, s78, v5
	v_mul_u32_u24_e32 v5, 5, v20
	v_add_lshl_u32 v5, v5, v92, 2
	; wave barrier
	v_add_u32_e32 v119, 0x410, v5
	ds_read_b32 v118, v5 offset:1040
	v_and_b32_e32 v5, 1, v20
	v_add_co_u32_e32 v21, vcc, -1, v5
	v_addc_co_u32_e64 v22, s[36:37], 0, -1, vcc
	v_cmp_ne_u32_e32 vcc, 0, v5
	v_xor_b32_e32 v5, vcc_hi, v22
	v_and_b32_e32 v22, exec_hi, v5
	v_lshlrev_b32_e32 v5, 30, v20
	v_xor_b32_e32 v21, vcc_lo, v21
	v_cmp_gt_i64_e32 vcc, 0, v[4:5]
	v_not_b32_e32 v5, v5
	v_ashrrev_i32_e32 v5, 31, v5
	v_and_b32_e32 v21, exec_lo, v21
	v_xor_b32_e32 v120, vcc_hi, v5
	v_xor_b32_e32 v5, vcc_lo, v5
	v_and_b32_e32 v21, v21, v5
	v_lshlrev_b32_e32 v5, 29, v20
	v_cmp_gt_i64_e32 vcc, 0, v[4:5]
	v_not_b32_e32 v5, v5
	v_ashrrev_i32_e32 v5, 31, v5
	v_and_b32_e32 v22, v22, v120
	v_xor_b32_e32 v120, vcc_hi, v5
	v_xor_b32_e32 v5, vcc_lo, v5
	v_and_b32_e32 v21, v21, v5
	v_lshlrev_b32_e32 v5, 28, v20
	v_cmp_gt_i64_e32 vcc, 0, v[4:5]
	v_not_b32_e32 v5, v5
	v_ashrrev_i32_e32 v5, 31, v5
	v_and_b32_e32 v22, v22, v120
	;; [unrolled: 8-line block ×5, first 2 shown]
	v_xor_b32_e32 v120, vcc_hi, v5
	v_xor_b32_e32 v5, vcc_lo, v5
	v_and_b32_e32 v22, v22, v120
	v_and_b32_e32 v120, v21, v5
	v_lshlrev_b32_e32 v5, 24, v20
	v_cmp_gt_i64_e32 vcc, 0, v[4:5]
	v_not_b32_e32 v5, v5
	v_ashrrev_i32_e32 v5, 31, v5
	v_xor_b32_e32 v20, vcc_hi, v5
	v_xor_b32_e32 v5, vcc_lo, v5
	v_and_b32_e32 v21, v22, v20
	v_and_b32_e32 v20, v120, v5
	v_mbcnt_lo_u32_b32 v5, v20, 0
	v_mbcnt_hi_u32_b32 v120, v21, v5
	v_cmp_eq_u32_e32 vcc, 0, v120
	v_cmp_ne_u64_e64 s[36:37], 0, v[20:21]
	s_and_b64 s[38:39], s[36:37], vcc
	; wave barrier
	s_and_saveexec_b64 s[36:37], s[38:39]
	s_cbranch_execz .LBB1947_266
; %bb.265:                              ;   in Loop: Header=BB1947_232 Depth=2
	v_bcnt_u32_b32 v5, v20, 0
	v_bcnt_u32_b32 v5, v21, v5
	s_waitcnt lgkmcnt(0)
	v_add_u32_e32 v5, v118, v5
	ds_write_b32 v119, v5
.LBB1947_266:                           ;   in Loop: Header=BB1947_232 Depth=2
	s_or_b64 exec, exec, s[36:37]
	v_cmp_gt_i16_e32 vcc, 0, v23
	v_cndmask_b32_e64 v5, v66, 0, vcc
	v_xor_b32_e32 v121, v5, v23
	v_cmp_ne_u16_e32 vcc, s68, v121
	v_cndmask_b32_e32 v5, v66, v121, vcc
	v_lshrrev_b32_sdwa v5, s77, v5 dst_sel:DWORD dst_unused:UNUSED_PAD src0_sel:DWORD src1_sel:WORD_0
	v_and_b32_e32 v20, s78, v5
	v_mul_u32_u24_e32 v5, 5, v20
	v_add_lshl_u32 v5, v5, v92, 2
	; wave barrier
	v_add_u32_e32 v123, 0x410, v5
	ds_read_b32 v122, v5 offset:1040
	v_and_b32_e32 v5, 1, v20
	v_add_co_u32_e32 v21, vcc, -1, v5
	v_addc_co_u32_e64 v22, s[36:37], 0, -1, vcc
	v_cmp_ne_u32_e32 vcc, 0, v5
	v_xor_b32_e32 v5, vcc_hi, v22
	v_and_b32_e32 v22, exec_hi, v5
	v_lshlrev_b32_e32 v5, 30, v20
	v_xor_b32_e32 v21, vcc_lo, v21
	v_cmp_gt_i64_e32 vcc, 0, v[4:5]
	v_not_b32_e32 v5, v5
	v_ashrrev_i32_e32 v5, 31, v5
	v_and_b32_e32 v21, exec_lo, v21
	v_xor_b32_e32 v23, vcc_hi, v5
	v_xor_b32_e32 v5, vcc_lo, v5
	v_and_b32_e32 v21, v21, v5
	v_lshlrev_b32_e32 v5, 29, v20
	v_cmp_gt_i64_e32 vcc, 0, v[4:5]
	v_not_b32_e32 v5, v5
	v_ashrrev_i32_e32 v5, 31, v5
	v_and_b32_e32 v22, v22, v23
	v_xor_b32_e32 v23, vcc_hi, v5
	v_xor_b32_e32 v5, vcc_lo, v5
	v_and_b32_e32 v21, v21, v5
	v_lshlrev_b32_e32 v5, 28, v20
	v_cmp_gt_i64_e32 vcc, 0, v[4:5]
	v_not_b32_e32 v5, v5
	v_ashrrev_i32_e32 v5, 31, v5
	v_and_b32_e32 v22, v22, v23
	;; [unrolled: 8-line block ×5, first 2 shown]
	v_xor_b32_e32 v23, vcc_hi, v5
	v_xor_b32_e32 v5, vcc_lo, v5
	v_and_b32_e32 v22, v22, v23
	v_and_b32_e32 v23, v21, v5
	v_lshlrev_b32_e32 v5, 24, v20
	v_cmp_gt_i64_e32 vcc, 0, v[4:5]
	v_not_b32_e32 v5, v5
	v_ashrrev_i32_e32 v5, 31, v5
	v_xor_b32_e32 v20, vcc_hi, v5
	v_xor_b32_e32 v5, vcc_lo, v5
	v_and_b32_e32 v21, v22, v20
	v_and_b32_e32 v20, v23, v5
	v_mbcnt_lo_u32_b32 v5, v20, 0
	v_mbcnt_hi_u32_b32 v124, v21, v5
	v_cmp_eq_u32_e32 vcc, 0, v124
	v_cmp_ne_u64_e64 s[36:37], 0, v[20:21]
	s_and_b64 s[38:39], s[36:37], vcc
	; wave barrier
	s_and_saveexec_b64 s[36:37], s[38:39]
	s_cbranch_execz .LBB1947_268
; %bb.267:                              ;   in Loop: Header=BB1947_232 Depth=2
	v_bcnt_u32_b32 v5, v20, 0
	v_bcnt_u32_b32 v5, v21, v5
	s_waitcnt lgkmcnt(0)
	v_add_u32_e32 v5, v122, v5
	ds_write_b32 v123, v5
.LBB1947_268:                           ;   in Loop: Header=BB1947_232 Depth=2
	s_or_b64 exec, exec, s[36:37]
	; wave barrier
	s_waitcnt lgkmcnt(0)
	s_barrier
	ds_read_b32 v5, v41 offset:1040
	ds_read2_b32 v[22:23], v43 offset0:1 offset1:2
	ds_read2_b32 v[20:21], v43 offset0:3 offset1:4
	s_waitcnt lgkmcnt(1)
	v_add3_u32 v125, v22, v5, v23
	s_waitcnt lgkmcnt(0)
	v_add3_u32 v21, v125, v20, v21
	s_nop 1
	v_mov_b32_dpp v125, v21 row_shr:1 row_mask:0xf bank_mask:0xf
	v_cndmask_b32_e64 v125, v125, 0, s[16:17]
	v_add_u32_e32 v21, v125, v21
	s_nop 1
	v_mov_b32_dpp v125, v21 row_shr:2 row_mask:0xf bank_mask:0xf
	v_cndmask_b32_e64 v125, 0, v125, s[18:19]
	v_add_u32_e32 v21, v21, v125
	;; [unrolled: 4-line block ×4, first 2 shown]
	s_nop 1
	v_mov_b32_dpp v125, v21 row_bcast:15 row_mask:0xf bank_mask:0xf
	v_cndmask_b32_e64 v125, v125, 0, s[24:25]
	v_add_u32_e32 v21, v21, v125
	s_nop 1
	v_mov_b32_dpp v125, v21 row_bcast:31 row_mask:0xf bank_mask:0xf
	v_cndmask_b32_e64 v125, 0, v125, s[26:27]
	v_add_u32_e32 v21, v21, v125
	s_and_saveexec_b64 s[36:37], s[6:7]
	s_cbranch_execz .LBB1947_270
; %bb.269:                              ;   in Loop: Header=BB1947_232 Depth=2
	ds_write_b32 v34, v21 offset:1024
.LBB1947_270:                           ;   in Loop: Header=BB1947_232 Depth=2
	s_or_b64 exec, exec, s[36:37]
	s_waitcnt lgkmcnt(0)
	s_barrier
	s_and_saveexec_b64 s[36:37], s[8:9]
	s_cbranch_execz .LBB1947_272
; %bb.271:                              ;   in Loop: Header=BB1947_232 Depth=2
	ds_read_b32 v125, v44 offset:1024
	s_waitcnt lgkmcnt(0)
	s_nop 0
	v_mov_b32_dpp v126, v125 row_shr:1 row_mask:0xf bank_mask:0xf
	v_cndmask_b32_e64 v126, v126, 0, s[30:31]
	v_add_u32_e32 v125, v126, v125
	s_nop 1
	v_mov_b32_dpp v126, v125 row_shr:2 row_mask:0xf bank_mask:0xf
	v_cndmask_b32_e64 v126, 0, v126, s[34:35]
	v_add_u32_e32 v125, v125, v126
	ds_write_b32 v44, v125 offset:1024
.LBB1947_272:                           ;   in Loop: Header=BB1947_232 Depth=2
	s_or_b64 exec, exec, s[36:37]
	v_mov_b32_e32 v125, 0
	s_waitcnt lgkmcnt(0)
	s_barrier
	s_and_saveexec_b64 s[36:37], s[10:11]
	s_cbranch_execz .LBB1947_274
; %bb.273:                              ;   in Loop: Header=BB1947_232 Depth=2
	ds_read_b32 v125, v34 offset:1020
.LBB1947_274:                           ;   in Loop: Header=BB1947_232 Depth=2
	s_or_b64 exec, exec, s[36:37]
	s_waitcnt lgkmcnt(0)
	v_add_u32_e32 v21, v125, v21
	ds_bpermute_b32 v21, v69, v21
	s_waitcnt lgkmcnt(0)
	v_cndmask_b32_e64 v21, v21, v125, s[28:29]
	v_cndmask_b32_e64 v21, v21, 0, s[12:13]
	v_add_u32_e32 v5, v21, v5
	ds_write_b32 v41, v21 offset:1040
	v_add_u32_e32 v21, v5, v22
	v_add_u32_e32 v22, v21, v23
	ds_write2_b32 v43, v5, v21 offset0:1 offset1:2
	v_add_u32_e32 v5, v22, v20
	ds_write2_b32 v43, v22, v5 offset0:3 offset1:4
	s_waitcnt lgkmcnt(0)
	s_barrier
	ds_read_b32 v20, v99
	ds_read_b32 v21, v103
	;; [unrolled: 1-line block ×8, first 2 shown]
	ds_read_b32 v99, v41 offset:1040
	v_mov_b32_e32 v5, 0x800
	s_and_saveexec_b64 s[36:37], s[14:15]
	s_cbranch_execz .LBB1947_276
; %bb.275:                              ;   in Loop: Header=BB1947_232 Depth=2
	ds_read_b32 v5, v41 offset:1060
.LBB1947_276:                           ;   in Loop: Header=BB1947_232 Depth=2
	s_or_b64 exec, exec, s[36:37]
	s_waitcnt lgkmcnt(0)
	s_barrier
	s_and_saveexec_b64 s[36:37], s[4:5]
	s_cbranch_execz .LBB1947_278
; %bb.277:                              ;   in Loop: Header=BB1947_232 Depth=2
	ds_read_b32 v103, v3
	s_waitcnt lgkmcnt(0)
	v_sub_u32_e32 v99, v103, v99
	ds_write_b32 v3, v99
.LBB1947_278:                           ;   in Loop: Header=BB1947_232 Depth=2
	s_or_b64 exec, exec, s[36:37]
	v_add_u32_e32 v103, v95, v96
	v_add3_u32 v100, v100, v98, v20
	v_lshlrev_b32_e32 v20, 1, v103
	v_add3_u32 v99, v105, v102, v21
	ds_write_b16 v20, v94 offset:1024
	v_lshlrev_b32_e32 v20, 1, v100
	v_add3_u32 v98, v110, v107, v22
	ds_write_b16 v20, v97 offset:1024
	;; [unrolled: 3-line block ×6, first 2 shown]
	v_lshlrev_b32_e32 v20, 1, v23
	ds_write_b16 v20, v117 offset:1024
	v_lshlrev_b32_e32 v20, 1, v22
	v_cmp_lt_u32_e32 vcc, v2, v93
	ds_write_b16 v20, v121 offset:1024
	s_waitcnt lgkmcnt(0)
	s_barrier
	s_and_saveexec_b64 s[38:39], vcc
	s_cbranch_execz .LBB1947_286
; %bb.279:                              ;   in Loop: Header=BB1947_232 Depth=2
	ds_read_u16 v20, v49 offset:1024
	v_mov_b32_e32 v21, v4
	v_mov_b32_e32 v97, s61
	s_waitcnt lgkmcnt(0)
	v_cmp_ne_u16_e64 s[36:37], s68, v20
	v_cndmask_b32_e64 v94, v66, v20, s[36:37]
	v_lshrrev_b32_sdwa v94, s77, v94 dst_sel:DWORD dst_unused:UNUSED_PAD src0_sel:DWORD src1_sel:WORD_0
	v_and_b32_e32 v94, s78, v94
	v_lshlrev_b32_e32 v94, 2, v94
	ds_read_b32 v94, v94
	v_cmp_gt_i16_e64 s[36:37], 0, v20
	v_cndmask_b32_e64 v101, v66, 0, s[36:37]
	v_xor_b32_e32 v101, v101, v20
	s_waitcnt lgkmcnt(0)
	v_add_u32_e32 v20, v94, v2
	v_lshlrev_b64 v[20:21], 1, v[20:21]
	v_add_co_u32_e64 v20, s[36:37], s60, v20
	v_addc_co_u32_e64 v21, s[36:37], v97, v21, s[36:37]
	global_store_short v[20:21], v101, off
	s_or_b64 exec, exec, s[38:39]
	v_cmp_lt_u32_e64 s[36:37], v24, v93
	s_and_saveexec_b64 s[40:41], s[36:37]
	s_cbranch_execnz .LBB1947_287
.LBB1947_280:                           ;   in Loop: Header=BB1947_232 Depth=2
	s_or_b64 exec, exec, s[40:41]
	v_cmp_lt_u32_e64 s[38:39], v25, v93
	s_and_saveexec_b64 s[42:43], s[38:39]
	s_cbranch_execz .LBB1947_288
.LBB1947_281:                           ;   in Loop: Header=BB1947_232 Depth=2
	ds_read_u16 v20, v50 offset:1024
	v_mov_b32_e32 v21, v4
	v_mov_b32_e32 v97, s61
	s_waitcnt lgkmcnt(0)
	v_cmp_ne_u16_e64 s[40:41], s68, v20
	v_cndmask_b32_e64 v94, v66, v20, s[40:41]
	v_lshrrev_b32_sdwa v94, s77, v94 dst_sel:DWORD dst_unused:UNUSED_PAD src0_sel:DWORD src1_sel:WORD_0
	v_and_b32_e32 v94, s78, v94
	v_lshlrev_b32_e32 v94, 2, v94
	ds_read_b32 v94, v94
	v_cmp_gt_i16_e64 s[40:41], 0, v20
	v_cndmask_b32_e64 v101, v66, 0, s[40:41]
	v_xor_b32_e32 v101, v101, v20
	s_waitcnt lgkmcnt(0)
	v_add_u32_e32 v20, v94, v25
	v_lshlrev_b64 v[20:21], 1, v[20:21]
	v_add_co_u32_e64 v20, s[40:41], s60, v20
	v_addc_co_u32_e64 v21, s[40:41], v97, v21, s[40:41]
	global_store_short v[20:21], v101, off
	s_or_b64 exec, exec, s[42:43]
	v_cmp_lt_u32_e64 s[40:41], v26, v93
	s_and_saveexec_b64 s[44:45], s[40:41]
	s_cbranch_execnz .LBB1947_289
.LBB1947_282:                           ;   in Loop: Header=BB1947_232 Depth=2
	s_or_b64 exec, exec, s[44:45]
	v_cmp_lt_u32_e64 s[42:43], v29, v93
	s_and_saveexec_b64 s[46:47], s[42:43]
	s_cbranch_execz .LBB1947_290
.LBB1947_283:                           ;   in Loop: Header=BB1947_232 Depth=2
	ds_read_u16 v20, v50 offset:2048
	v_mov_b32_e32 v21, v4
	v_mov_b32_e32 v97, s61
	s_waitcnt lgkmcnt(0)
	v_cmp_ne_u16_e64 s[44:45], s68, v20
	v_cndmask_b32_e64 v94, v66, v20, s[44:45]
	v_lshrrev_b32_sdwa v94, s77, v94 dst_sel:DWORD dst_unused:UNUSED_PAD src0_sel:DWORD src1_sel:WORD_0
	v_and_b32_e32 v94, s78, v94
	v_lshlrev_b32_e32 v94, 2, v94
	ds_read_b32 v94, v94
	v_cmp_gt_i16_e64 s[44:45], 0, v20
	v_cndmask_b32_e64 v101, v66, 0, s[44:45]
	v_xor_b32_e32 v101, v101, v20
	s_waitcnt lgkmcnt(0)
	v_add_u32_e32 v20, v94, v29
	v_lshlrev_b64 v[20:21], 1, v[20:21]
	v_add_co_u32_e64 v20, s[44:45], s60, v20
	v_addc_co_u32_e64 v21, s[44:45], v97, v21, s[44:45]
	global_store_short v[20:21], v101, off
	s_or_b64 exec, exec, s[46:47]
	v_cmp_lt_u32_e64 s[44:45], v30, v93
	s_and_saveexec_b64 s[48:49], s[44:45]
	s_cbranch_execnz .LBB1947_291
.LBB1947_284:                           ;   in Loop: Header=BB1947_232 Depth=2
	s_or_b64 exec, exec, s[48:49]
	v_cmp_lt_u32_e64 s[46:47], v31, v93
	s_and_saveexec_b64 s[52:53], s[46:47]
	s_cbranch_execz .LBB1947_292
.LBB1947_285:                           ;   in Loop: Header=BB1947_232 Depth=2
	ds_read_u16 v20, v50 offset:3072
	v_mov_b32_e32 v21, v4
	v_mov_b32_e32 v97, s61
	s_waitcnt lgkmcnt(0)
	v_cmp_ne_u16_e64 s[48:49], s68, v20
	v_cndmask_b32_e64 v94, v66, v20, s[48:49]
	v_lshrrev_b32_sdwa v94, s77, v94 dst_sel:DWORD dst_unused:UNUSED_PAD src0_sel:DWORD src1_sel:WORD_0
	v_and_b32_e32 v94, s78, v94
	v_lshlrev_b32_e32 v94, 2, v94
	ds_read_b32 v94, v94
	v_cmp_gt_i16_e64 s[48:49], 0, v20
	v_cndmask_b32_e64 v101, v66, 0, s[48:49]
	v_xor_b32_e32 v101, v101, v20
	s_waitcnt lgkmcnt(0)
	v_add_u32_e32 v20, v94, v31
	v_lshlrev_b64 v[20:21], 1, v[20:21]
	v_add_co_u32_e64 v20, s[48:49], s60, v20
	v_addc_co_u32_e64 v21, s[48:49], v97, v21, s[48:49]
	global_store_short v[20:21], v101, off
	s_or_b64 exec, exec, s[52:53]
	v_cmp_lt_u32_e64 s[48:49], v32, v93
	s_and_saveexec_b64 s[62:63], s[48:49]
	s_cbranch_execnz .LBB1947_293
	s_branch .LBB1947_294
.LBB1947_286:                           ;   in Loop: Header=BB1947_232 Depth=2
	s_or_b64 exec, exec, s[38:39]
	v_cmp_lt_u32_e64 s[36:37], v24, v93
	s_and_saveexec_b64 s[40:41], s[36:37]
	s_cbranch_execz .LBB1947_280
.LBB1947_287:                           ;   in Loop: Header=BB1947_232 Depth=2
	ds_read_u16 v20, v50 offset:512
	v_mov_b32_e32 v21, v4
	v_mov_b32_e32 v97, s61
	s_waitcnt lgkmcnt(0)
	v_cmp_ne_u16_e64 s[38:39], s68, v20
	v_cndmask_b32_e64 v94, v66, v20, s[38:39]
	v_lshrrev_b32_sdwa v94, s77, v94 dst_sel:DWORD dst_unused:UNUSED_PAD src0_sel:DWORD src1_sel:WORD_0
	v_and_b32_e32 v94, s78, v94
	v_lshlrev_b32_e32 v94, 2, v94
	ds_read_b32 v94, v94
	v_cmp_gt_i16_e64 s[38:39], 0, v20
	v_cndmask_b32_e64 v101, v66, 0, s[38:39]
	v_xor_b32_e32 v101, v101, v20
	s_waitcnt lgkmcnt(0)
	v_add_u32_e32 v20, v94, v24
	v_lshlrev_b64 v[20:21], 1, v[20:21]
	v_add_co_u32_e64 v20, s[38:39], s60, v20
	v_addc_co_u32_e64 v21, s[38:39], v97, v21, s[38:39]
	global_store_short v[20:21], v101, off
	s_or_b64 exec, exec, s[40:41]
	v_cmp_lt_u32_e64 s[38:39], v25, v93
	s_and_saveexec_b64 s[42:43], s[38:39]
	s_cbranch_execnz .LBB1947_281
.LBB1947_288:                           ;   in Loop: Header=BB1947_232 Depth=2
	s_or_b64 exec, exec, s[42:43]
	v_cmp_lt_u32_e64 s[40:41], v26, v93
	s_and_saveexec_b64 s[44:45], s[40:41]
	s_cbranch_execz .LBB1947_282
.LBB1947_289:                           ;   in Loop: Header=BB1947_232 Depth=2
	ds_read_u16 v20, v50 offset:1536
	v_mov_b32_e32 v21, v4
	v_mov_b32_e32 v97, s61
	s_waitcnt lgkmcnt(0)
	v_cmp_ne_u16_e64 s[42:43], s68, v20
	v_cndmask_b32_e64 v94, v66, v20, s[42:43]
	v_lshrrev_b32_sdwa v94, s77, v94 dst_sel:DWORD dst_unused:UNUSED_PAD src0_sel:DWORD src1_sel:WORD_0
	v_and_b32_e32 v94, s78, v94
	v_lshlrev_b32_e32 v94, 2, v94
	ds_read_b32 v94, v94
	v_cmp_gt_i16_e64 s[42:43], 0, v20
	v_cndmask_b32_e64 v101, v66, 0, s[42:43]
	v_xor_b32_e32 v101, v101, v20
	s_waitcnt lgkmcnt(0)
	v_add_u32_e32 v20, v94, v26
	v_lshlrev_b64 v[20:21], 1, v[20:21]
	v_add_co_u32_e64 v20, s[42:43], s60, v20
	v_addc_co_u32_e64 v21, s[42:43], v97, v21, s[42:43]
	global_store_short v[20:21], v101, off
	s_or_b64 exec, exec, s[44:45]
	v_cmp_lt_u32_e64 s[42:43], v29, v93
	s_and_saveexec_b64 s[46:47], s[42:43]
	s_cbranch_execnz .LBB1947_283
.LBB1947_290:                           ;   in Loop: Header=BB1947_232 Depth=2
	s_or_b64 exec, exec, s[46:47]
	v_cmp_lt_u32_e64 s[44:45], v30, v93
	s_and_saveexec_b64 s[48:49], s[44:45]
	s_cbranch_execz .LBB1947_284
.LBB1947_291:                           ;   in Loop: Header=BB1947_232 Depth=2
	ds_read_u16 v20, v50 offset:2560
	v_mov_b32_e32 v21, v4
	v_mov_b32_e32 v97, s61
	s_waitcnt lgkmcnt(0)
	v_cmp_ne_u16_e64 s[46:47], s68, v20
	v_cndmask_b32_e64 v94, v66, v20, s[46:47]
	v_lshrrev_b32_sdwa v94, s77, v94 dst_sel:DWORD dst_unused:UNUSED_PAD src0_sel:DWORD src1_sel:WORD_0
	v_and_b32_e32 v94, s78, v94
	v_lshlrev_b32_e32 v94, 2, v94
	ds_read_b32 v94, v94
	v_cmp_gt_i16_e64 s[46:47], 0, v20
	v_cndmask_b32_e64 v101, v66, 0, s[46:47]
	v_xor_b32_e32 v101, v101, v20
	s_waitcnt lgkmcnt(0)
	v_add_u32_e32 v20, v94, v30
	v_lshlrev_b64 v[20:21], 1, v[20:21]
	v_add_co_u32_e64 v20, s[46:47], s60, v20
	v_addc_co_u32_e64 v21, s[46:47], v97, v21, s[46:47]
	global_store_short v[20:21], v101, off
	s_or_b64 exec, exec, s[48:49]
	v_cmp_lt_u32_e64 s[46:47], v31, v93
	s_and_saveexec_b64 s[52:53], s[46:47]
	s_cbranch_execnz .LBB1947_285
.LBB1947_292:                           ;   in Loop: Header=BB1947_232 Depth=2
	s_or_b64 exec, exec, s[52:53]
	v_cmp_lt_u32_e64 s[48:49], v32, v93
	s_and_saveexec_b64 s[62:63], s[48:49]
	s_cbranch_execz .LBB1947_294
.LBB1947_293:                           ;   in Loop: Header=BB1947_232 Depth=2
	ds_read_u16 v20, v50 offset:3584
	v_mov_b32_e32 v21, v4
	v_mov_b32_e32 v97, s61
	s_waitcnt lgkmcnt(0)
	v_cmp_ne_u16_e64 s[52:53], s68, v20
	v_cndmask_b32_e64 v94, v66, v20, s[52:53]
	v_lshrrev_b32_sdwa v94, s77, v94 dst_sel:DWORD dst_unused:UNUSED_PAD src0_sel:DWORD src1_sel:WORD_0
	v_and_b32_e32 v94, s78, v94
	v_lshlrev_b32_e32 v94, 2, v94
	ds_read_b32 v94, v94
	v_cmp_gt_i16_e64 s[52:53], 0, v20
	v_cndmask_b32_e64 v101, v66, 0, s[52:53]
	v_xor_b32_e32 v101, v101, v20
	s_waitcnt lgkmcnt(0)
	v_add_u32_e32 v20, v94, v32
	v_lshlrev_b64 v[20:21], 1, v[20:21]
	v_add_co_u32_e64 v20, s[52:53], s60, v20
	v_addc_co_u32_e64 v21, s[52:53], v97, v21, s[52:53]
	global_store_short v[20:21], v101, off
.LBB1947_294:                           ;   in Loop: Header=BB1947_232 Depth=2
	s_or_b64 exec, exec, s[62:63]
	s_lshl_b64 s[52:53], s[72:73], 3
	v_mov_b32_e32 v21, s53
	v_add_co_u32_e64 v20, s[52:53], s52, v77
	v_addc_co_u32_e64 v21, s[52:53], v79, v21, s[52:53]
	v_cmp_lt_u32_e64 s[52:53], v74, v93
	s_and_saveexec_b64 s[62:63], s[52:53]
	s_xor_b64 s[52:53], exec, s[62:63]
	s_cbranch_execz .LBB1947_310
; %bb.295:                              ;   in Loop: Header=BB1947_232 Depth=2
	global_load_dwordx2 v[18:19], v[20:21], off
	s_or_b64 exec, exec, s[52:53]
	v_cmp_lt_u32_e64 s[52:53], v81, v93
	s_and_saveexec_b64 s[62:63], s[52:53]
	s_cbranch_execnz .LBB1947_311
.LBB1947_296:                           ;   in Loop: Header=BB1947_232 Depth=2
	s_or_b64 exec, exec, s[62:63]
	v_cmp_lt_u32_e64 s[52:53], v82, v93
	s_and_saveexec_b64 s[62:63], s[52:53]
	s_cbranch_execz .LBB1947_312
.LBB1947_297:                           ;   in Loop: Header=BB1947_232 Depth=2
	global_load_dwordx2 v[14:15], v[20:21], off offset:1024
	s_or_b64 exec, exec, s[62:63]
	v_cmp_lt_u32_e64 s[52:53], v83, v93
	s_and_saveexec_b64 s[62:63], s[52:53]
	s_cbranch_execnz .LBB1947_313
.LBB1947_298:                           ;   in Loop: Header=BB1947_232 Depth=2
	s_or_b64 exec, exec, s[62:63]
	v_cmp_lt_u32_e64 s[52:53], v84, v93
	s_and_saveexec_b64 s[62:63], s[52:53]
	s_cbranch_execz .LBB1947_314
.LBB1947_299:                           ;   in Loop: Header=BB1947_232 Depth=2
	global_load_dwordx2 v[10:11], v[20:21], off offset:2048
	s_or_b64 exec, exec, s[62:63]
	v_cmp_lt_u32_e64 s[52:53], v85, v93
	s_and_saveexec_b64 s[62:63], s[52:53]
	s_cbranch_execnz .LBB1947_315
.LBB1947_300:                           ;   in Loop: Header=BB1947_232 Depth=2
	s_or_b64 exec, exec, s[62:63]
	v_cmp_lt_u32_e64 s[52:53], v86, v93
	s_and_saveexec_b64 s[62:63], s[52:53]
	s_cbranch_execz .LBB1947_316
.LBB1947_301:                           ;   in Loop: Header=BB1947_232 Depth=2
	global_load_dwordx2 v[6:7], v[20:21], off offset:3072
	s_or_b64 exec, exec, s[62:63]
	v_cmp_lt_u32_e64 s[52:53], v87, v93
	s_and_saveexec_b64 s[62:63], s[52:53]
	s_cbranch_execnz .LBB1947_317
.LBB1947_302:                           ;   in Loop: Header=BB1947_232 Depth=2
	s_or_b64 exec, exec, s[62:63]
	s_and_saveexec_b64 s[62:63], vcc
	s_cbranch_execz .LBB1947_318
.LBB1947_303:                           ;   in Loop: Header=BB1947_232 Depth=2
	ds_read_u16 v20, v49 offset:1024
	s_waitcnt lgkmcnt(0)
	v_cmp_ne_u16_e64 s[52:53], s68, v20
	v_cndmask_b32_e64 v20, v66, v20, s[52:53]
	v_lshrrev_b32_sdwa v20, s77, v20 dst_sel:DWORD dst_unused:UNUSED_PAD src0_sel:DWORD src1_sel:WORD_0
	v_and_b32_e32 v80, s78, v20
	s_or_b64 exec, exec, s[62:63]
	s_and_saveexec_b64 s[62:63], s[36:37]
	s_cbranch_execnz .LBB1947_319
.LBB1947_304:                           ;   in Loop: Header=BB1947_232 Depth=2
	s_or_b64 exec, exec, s[62:63]
	s_and_saveexec_b64 s[62:63], s[38:39]
	s_cbranch_execz .LBB1947_320
.LBB1947_305:                           ;   in Loop: Header=BB1947_232 Depth=2
	ds_read_u16 v20, v50 offset:1024
	s_waitcnt lgkmcnt(0)
	v_cmp_ne_u16_e64 s[52:53], s68, v20
	v_cndmask_b32_e64 v20, v66, v20, s[52:53]
	v_lshrrev_b32_sdwa v20, s77, v20 dst_sel:DWORD dst_unused:UNUSED_PAD src0_sel:DWORD src1_sel:WORD_0
	v_and_b32_e32 v76, s78, v20
	s_or_b64 exec, exec, s[62:63]
	s_and_saveexec_b64 s[62:63], s[40:41]
	s_cbranch_execnz .LBB1947_321
.LBB1947_306:                           ;   in Loop: Header=BB1947_232 Depth=2
	s_or_b64 exec, exec, s[62:63]
	s_and_saveexec_b64 s[62:63], s[42:43]
	s_cbranch_execz .LBB1947_322
.LBB1947_307:                           ;   in Loop: Header=BB1947_232 Depth=2
	ds_read_u16 v20, v50 offset:2048
	s_waitcnt lgkmcnt(0)
	v_cmp_ne_u16_e64 s[52:53], s68, v20
	v_cndmask_b32_e64 v20, v66, v20, s[52:53]
	v_lshrrev_b32_sdwa v20, s77, v20 dst_sel:DWORD dst_unused:UNUSED_PAD src0_sel:DWORD src1_sel:WORD_0
	v_and_b32_e32 v73, s78, v20
	s_or_b64 exec, exec, s[62:63]
	s_and_saveexec_b64 s[62:63], s[44:45]
	s_cbranch_execnz .LBB1947_323
.LBB1947_308:                           ;   in Loop: Header=BB1947_232 Depth=2
	s_or_b64 exec, exec, s[62:63]
	s_and_saveexec_b64 s[62:63], s[46:47]
	s_cbranch_execz .LBB1947_324
.LBB1947_309:                           ;   in Loop: Header=BB1947_232 Depth=2
	ds_read_u16 v20, v50 offset:3072
	s_waitcnt lgkmcnt(0)
	v_cmp_ne_u16_e64 s[52:53], s68, v20
	v_cndmask_b32_e64 v20, v66, v20, s[52:53]
	v_lshrrev_b32_sdwa v20, s77, v20 dst_sel:DWORD dst_unused:UNUSED_PAD src0_sel:DWORD src1_sel:WORD_0
	v_and_b32_e32 v71, s78, v20
	s_or_b64 exec, exec, s[62:63]
	s_and_saveexec_b64 s[62:63], s[48:49]
	s_cbranch_execnz .LBB1947_325
	s_branch .LBB1947_326
.LBB1947_310:                           ;   in Loop: Header=BB1947_232 Depth=2
	s_or_b64 exec, exec, s[52:53]
	v_cmp_lt_u32_e64 s[52:53], v81, v93
	s_and_saveexec_b64 s[62:63], s[52:53]
	s_cbranch_execz .LBB1947_296
.LBB1947_311:                           ;   in Loop: Header=BB1947_232 Depth=2
	global_load_dwordx2 v[16:17], v[20:21], off offset:512
	s_or_b64 exec, exec, s[62:63]
	v_cmp_lt_u32_e64 s[52:53], v82, v93
	s_and_saveexec_b64 s[62:63], s[52:53]
	s_cbranch_execnz .LBB1947_297
.LBB1947_312:                           ;   in Loop: Header=BB1947_232 Depth=2
	s_or_b64 exec, exec, s[62:63]
	v_cmp_lt_u32_e64 s[52:53], v83, v93
	s_and_saveexec_b64 s[62:63], s[52:53]
	s_cbranch_execz .LBB1947_298
.LBB1947_313:                           ;   in Loop: Header=BB1947_232 Depth=2
	global_load_dwordx2 v[12:13], v[20:21], off offset:1536
	s_or_b64 exec, exec, s[62:63]
	v_cmp_lt_u32_e64 s[52:53], v84, v93
	s_and_saveexec_b64 s[62:63], s[52:53]
	s_cbranch_execnz .LBB1947_299
.LBB1947_314:                           ;   in Loop: Header=BB1947_232 Depth=2
	s_or_b64 exec, exec, s[62:63]
	v_cmp_lt_u32_e64 s[52:53], v85, v93
	s_and_saveexec_b64 s[62:63], s[52:53]
	s_cbranch_execz .LBB1947_300
.LBB1947_315:                           ;   in Loop: Header=BB1947_232 Depth=2
	global_load_dwordx2 v[8:9], v[20:21], off offset:2560
	s_or_b64 exec, exec, s[62:63]
	v_cmp_lt_u32_e64 s[52:53], v86, v93
	s_and_saveexec_b64 s[62:63], s[52:53]
	s_cbranch_execnz .LBB1947_301
.LBB1947_316:                           ;   in Loop: Header=BB1947_232 Depth=2
	s_or_b64 exec, exec, s[62:63]
	v_cmp_lt_u32_e64 s[52:53], v87, v93
	s_and_saveexec_b64 s[62:63], s[52:53]
	s_cbranch_execz .LBB1947_302
.LBB1947_317:                           ;   in Loop: Header=BB1947_232 Depth=2
	global_load_dwordx2 v[0:1], v[20:21], off offset:3584
	s_or_b64 exec, exec, s[62:63]
	s_and_saveexec_b64 s[62:63], vcc
	s_cbranch_execnz .LBB1947_303
.LBB1947_318:                           ;   in Loop: Header=BB1947_232 Depth=2
	s_or_b64 exec, exec, s[62:63]
	s_and_saveexec_b64 s[62:63], s[36:37]
	s_cbranch_execz .LBB1947_304
.LBB1947_319:                           ;   in Loop: Header=BB1947_232 Depth=2
	ds_read_u16 v20, v50 offset:512
	s_waitcnt lgkmcnt(0)
	v_cmp_ne_u16_e64 s[52:53], s68, v20
	v_cndmask_b32_e64 v20, v66, v20, s[52:53]
	v_lshrrev_b32_sdwa v20, s77, v20 dst_sel:DWORD dst_unused:UNUSED_PAD src0_sel:DWORD src1_sel:WORD_0
	v_and_b32_e32 v78, s78, v20
	s_or_b64 exec, exec, s[62:63]
	s_and_saveexec_b64 s[62:63], s[38:39]
	s_cbranch_execnz .LBB1947_305
.LBB1947_320:                           ;   in Loop: Header=BB1947_232 Depth=2
	s_or_b64 exec, exec, s[62:63]
	s_and_saveexec_b64 s[62:63], s[40:41]
	s_cbranch_execz .LBB1947_306
.LBB1947_321:                           ;   in Loop: Header=BB1947_232 Depth=2
	ds_read_u16 v20, v50 offset:1536
	s_waitcnt lgkmcnt(0)
	v_cmp_ne_u16_e64 s[52:53], s68, v20
	v_cndmask_b32_e64 v20, v66, v20, s[52:53]
	v_lshrrev_b32_sdwa v20, s77, v20 dst_sel:DWORD dst_unused:UNUSED_PAD src0_sel:DWORD src1_sel:WORD_0
	v_and_b32_e32 v75, s78, v20
	s_or_b64 exec, exec, s[62:63]
	s_and_saveexec_b64 s[62:63], s[42:43]
	s_cbranch_execnz .LBB1947_307
.LBB1947_322:                           ;   in Loop: Header=BB1947_232 Depth=2
	s_or_b64 exec, exec, s[62:63]
	s_and_saveexec_b64 s[62:63], s[44:45]
	s_cbranch_execz .LBB1947_308
.LBB1947_323:                           ;   in Loop: Header=BB1947_232 Depth=2
	ds_read_u16 v20, v50 offset:2560
	s_waitcnt lgkmcnt(0)
	v_cmp_ne_u16_e64 s[52:53], s68, v20
	v_cndmask_b32_e64 v20, v66, v20, s[52:53]
	v_lshrrev_b32_sdwa v20, s77, v20 dst_sel:DWORD dst_unused:UNUSED_PAD src0_sel:DWORD src1_sel:WORD_0
	v_and_b32_e32 v72, s78, v20
	s_or_b64 exec, exec, s[62:63]
	s_and_saveexec_b64 s[62:63], s[46:47]
	s_cbranch_execnz .LBB1947_309
.LBB1947_324:                           ;   in Loop: Header=BB1947_232 Depth=2
	s_or_b64 exec, exec, s[62:63]
	s_and_saveexec_b64 s[62:63], s[48:49]
	s_cbranch_execz .LBB1947_326
.LBB1947_325:                           ;   in Loop: Header=BB1947_232 Depth=2
	ds_read_u16 v20, v50 offset:3584
	s_waitcnt lgkmcnt(0)
	v_cmp_ne_u16_e64 s[52:53], s68, v20
	v_cndmask_b32_e64 v20, v66, v20, s[52:53]
	v_lshrrev_b32_sdwa v20, s77, v20 dst_sel:DWORD dst_unused:UNUSED_PAD src0_sel:DWORD src1_sel:WORD_0
	v_and_b32_e32 v70, s78, v20
.LBB1947_326:                           ;   in Loop: Header=BB1947_232 Depth=2
	s_or_b64 exec, exec, s[62:63]
	v_lshlrev_b32_e32 v20, 3, v103
	s_barrier
	s_waitcnt vmcnt(0)
	ds_write_b64 v20, v[18:19] offset:1024
	v_lshlrev_b32_e32 v20, 3, v100
	ds_write_b64 v20, v[16:17] offset:1024
	v_lshlrev_b32_e32 v20, 3, v99
	;; [unrolled: 2-line block ×7, first 2 shown]
	ds_write_b64 v20, v[0:1] offset:1024
	s_waitcnt lgkmcnt(0)
	s_barrier
	s_and_saveexec_b64 s[52:53], vcc
	s_cbranch_execz .LBB1947_334
; %bb.327:                              ;   in Loop: Header=BB1947_232 Depth=2
	v_lshlrev_b32_e32 v20, 2, v80
	ds_read_b32 v20, v20
	v_add_u32_e32 v22, v49, v51
	ds_read_b64 v[22:23], v22 offset:1024
	v_mov_b32_e32 v21, v4
	v_mov_b32_e32 v93, s67
	s_waitcnt lgkmcnt(1)
	v_add_u32_e32 v20, v20, v2
	v_lshlrev_b64 v[20:21], 3, v[20:21]
	v_add_co_u32_e32 v20, vcc, s66, v20
	v_addc_co_u32_e32 v21, vcc, v93, v21, vcc
	s_waitcnt lgkmcnt(0)
	global_store_dwordx2 v[20:21], v[22:23], off
	s_or_b64 exec, exec, s[52:53]
	s_and_saveexec_b64 s[52:53], s[36:37]
	s_cbranch_execnz .LBB1947_335
.LBB1947_328:                           ;   in Loop: Header=BB1947_232 Depth=2
	s_or_b64 exec, exec, s[52:53]
	s_and_saveexec_b64 s[36:37], s[38:39]
	s_cbranch_execz .LBB1947_336
.LBB1947_329:                           ;   in Loop: Header=BB1947_232 Depth=2
	v_lshlrev_b32_e32 v20, 2, v76
	ds_read_b32 v22, v20
	v_add_u32_e32 v20, v50, v51
	ds_read_b64 v[20:21], v20 offset:4096
	v_mov_b32_e32 v23, v4
	v_mov_b32_e32 v93, s67
	s_waitcnt lgkmcnt(1)
	v_add_u32_e32 v22, v22, v25
	v_lshlrev_b64 v[22:23], 3, v[22:23]
	v_add_co_u32_e32 v22, vcc, s66, v22
	v_addc_co_u32_e32 v23, vcc, v93, v23, vcc
	s_waitcnt lgkmcnt(0)
	global_store_dwordx2 v[22:23], v[20:21], off
	s_or_b64 exec, exec, s[36:37]
	s_and_saveexec_b64 s[36:37], s[40:41]
	s_cbranch_execnz .LBB1947_337
.LBB1947_330:                           ;   in Loop: Header=BB1947_232 Depth=2
	s_or_b64 exec, exec, s[36:37]
	s_and_saveexec_b64 s[36:37], s[42:43]
	s_cbranch_execz .LBB1947_338
.LBB1947_331:                           ;   in Loop: Header=BB1947_232 Depth=2
	v_lshlrev_b32_e32 v20, 2, v73
	ds_read_b32 v22, v20
	v_add_u32_e32 v20, v50, v51
	ds_read_b64 v[20:21], v20 offset:8192
	v_mov_b32_e32 v23, v4
	v_mov_b32_e32 v93, s67
	s_waitcnt lgkmcnt(1)
	v_add_u32_e32 v22, v22, v29
	v_lshlrev_b64 v[22:23], 3, v[22:23]
	v_add_co_u32_e32 v22, vcc, s66, v22
	v_addc_co_u32_e32 v23, vcc, v93, v23, vcc
	s_waitcnt lgkmcnt(0)
	global_store_dwordx2 v[22:23], v[20:21], off
	s_or_b64 exec, exec, s[36:37]
	s_and_saveexec_b64 s[36:37], s[44:45]
	s_cbranch_execnz .LBB1947_339
.LBB1947_332:                           ;   in Loop: Header=BB1947_232 Depth=2
	s_or_b64 exec, exec, s[36:37]
	s_and_saveexec_b64 s[36:37], s[46:47]
	s_cbranch_execz .LBB1947_340
.LBB1947_333:                           ;   in Loop: Header=BB1947_232 Depth=2
	v_lshlrev_b32_e32 v20, 2, v71
	ds_read_b32 v22, v20
	v_add_u32_e32 v20, v50, v51
	ds_read_b64 v[20:21], v20 offset:12288
	v_mov_b32_e32 v23, v4
	v_mov_b32_e32 v93, s67
	s_waitcnt lgkmcnt(1)
	v_add_u32_e32 v22, v22, v31
	v_lshlrev_b64 v[22:23], 3, v[22:23]
	v_add_co_u32_e32 v22, vcc, s66, v22
	v_addc_co_u32_e32 v23, vcc, v93, v23, vcc
	s_waitcnt lgkmcnt(0)
	global_store_dwordx2 v[22:23], v[20:21], off
	s_or_b64 exec, exec, s[36:37]
	s_and_saveexec_b64 s[36:37], s[48:49]
	s_cbranch_execnz .LBB1947_341
	s_branch .LBB1947_342
.LBB1947_334:                           ;   in Loop: Header=BB1947_232 Depth=2
	s_or_b64 exec, exec, s[52:53]
	s_and_saveexec_b64 s[52:53], s[36:37]
	s_cbranch_execz .LBB1947_328
.LBB1947_335:                           ;   in Loop: Header=BB1947_232 Depth=2
	v_lshlrev_b32_e32 v20, 2, v78
	ds_read_b32 v22, v20
	v_add_u32_e32 v20, v50, v51
	ds_read_b64 v[20:21], v20 offset:2048
	v_mov_b32_e32 v23, v4
	v_mov_b32_e32 v93, s67
	s_waitcnt lgkmcnt(1)
	v_add_u32_e32 v22, v22, v24
	v_lshlrev_b64 v[22:23], 3, v[22:23]
	v_add_co_u32_e32 v22, vcc, s66, v22
	v_addc_co_u32_e32 v23, vcc, v93, v23, vcc
	s_waitcnt lgkmcnt(0)
	global_store_dwordx2 v[22:23], v[20:21], off
	s_or_b64 exec, exec, s[52:53]
	s_and_saveexec_b64 s[36:37], s[38:39]
	s_cbranch_execnz .LBB1947_329
.LBB1947_336:                           ;   in Loop: Header=BB1947_232 Depth=2
	s_or_b64 exec, exec, s[36:37]
	s_and_saveexec_b64 s[36:37], s[40:41]
	s_cbranch_execz .LBB1947_330
.LBB1947_337:                           ;   in Loop: Header=BB1947_232 Depth=2
	v_lshlrev_b32_e32 v20, 2, v75
	ds_read_b32 v22, v20
	v_add_u32_e32 v20, v50, v51
	ds_read_b64 v[20:21], v20 offset:6144
	v_mov_b32_e32 v23, v4
	v_mov_b32_e32 v93, s67
	s_waitcnt lgkmcnt(1)
	v_add_u32_e32 v22, v22, v26
	v_lshlrev_b64 v[22:23], 3, v[22:23]
	v_add_co_u32_e32 v22, vcc, s66, v22
	v_addc_co_u32_e32 v23, vcc, v93, v23, vcc
	s_waitcnt lgkmcnt(0)
	global_store_dwordx2 v[22:23], v[20:21], off
	s_or_b64 exec, exec, s[36:37]
	s_and_saveexec_b64 s[36:37], s[42:43]
	s_cbranch_execnz .LBB1947_331
.LBB1947_338:                           ;   in Loop: Header=BB1947_232 Depth=2
	s_or_b64 exec, exec, s[36:37]
	s_and_saveexec_b64 s[36:37], s[44:45]
	s_cbranch_execz .LBB1947_332
.LBB1947_339:                           ;   in Loop: Header=BB1947_232 Depth=2
	v_lshlrev_b32_e32 v20, 2, v72
	ds_read_b32 v22, v20
	v_add_u32_e32 v20, v50, v51
	ds_read_b64 v[20:21], v20 offset:10240
	v_mov_b32_e32 v23, v4
	v_mov_b32_e32 v93, s67
	s_waitcnt lgkmcnt(1)
	v_add_u32_e32 v22, v22, v30
	v_lshlrev_b64 v[22:23], 3, v[22:23]
	v_add_co_u32_e32 v22, vcc, s66, v22
	v_addc_co_u32_e32 v23, vcc, v93, v23, vcc
	s_waitcnt lgkmcnt(0)
	global_store_dwordx2 v[22:23], v[20:21], off
	s_or_b64 exec, exec, s[36:37]
	s_and_saveexec_b64 s[36:37], s[46:47]
	s_cbranch_execnz .LBB1947_333
.LBB1947_340:                           ;   in Loop: Header=BB1947_232 Depth=2
	s_or_b64 exec, exec, s[36:37]
	s_and_saveexec_b64 s[36:37], s[48:49]
	s_cbranch_execz .LBB1947_342
.LBB1947_341:                           ;   in Loop: Header=BB1947_232 Depth=2
	v_lshlrev_b32_e32 v20, 2, v70
	ds_read_b32 v22, v20
	v_add_u32_e32 v20, v50, v51
	ds_read_b64 v[20:21], v20 offset:14336
	v_mov_b32_e32 v23, v4
	v_mov_b32_e32 v93, s67
	s_waitcnt lgkmcnt(1)
	v_add_u32_e32 v22, v22, v32
	v_lshlrev_b64 v[22:23], 3, v[22:23]
	v_add_co_u32_e32 v22, vcc, s66, v22
	v_addc_co_u32_e32 v23, vcc, v93, v23, vcc
	s_waitcnt lgkmcnt(0)
	global_store_dwordx2 v[22:23], v[20:21], off
.LBB1947_342:                           ;   in Loop: Header=BB1947_232 Depth=2
	s_or_b64 exec, exec, s[36:37]
	s_barrier
	s_and_saveexec_b64 s[36:37], s[4:5]
	s_cbranch_execz .LBB1947_231
; %bb.343:                              ;   in Loop: Header=BB1947_232 Depth=2
	ds_read_b32 v20, v3
	s_waitcnt lgkmcnt(0)
	v_add_u32_e32 v5, v20, v5
	ds_write_b32 v3, v5
	s_branch .LBB1947_231
.LBB1947_344:                           ;   in Loop: Header=BB1947_12 Depth=1
	s_waitcnt lgkmcnt(0)
	s_barrier
.LBB1947_345:                           ;   in Loop: Header=BB1947_12 Depth=1
	s_mov_b64 s[16:17], 0
.LBB1947_346:                           ;   in Loop: Header=BB1947_12 Depth=1
	s_andn2_b64 vcc, exec, s[16:17]
	s_cbranch_vccnz .LBB1947_11
; %bb.347:                              ;   in Loop: Header=BB1947_12 Depth=1
	s_mov_b64 s[16:17], -1
	s_and_b64 vcc, exec, s[54:55]
	s_cbranch_vccz .LBB1947_513
; %bb.348:                              ;   in Loop: Header=BB1947_12 Depth=1
	s_mov_b32 s22, s71
	s_mov_b32 s72, s51
	s_barrier
	s_waitcnt lgkmcnt(0)
                                        ; implicit-def: $vgpr12
                                        ; implicit-def: $vgpr5
                                        ; implicit-def: $vgpr6
                                        ; implicit-def: $vgpr7
                                        ; implicit-def: $vgpr8
                                        ; implicit-def: $vgpr9
                                        ; implicit-def: $vgpr10
                                        ; implicit-def: $vgpr11
	s_branch .LBB1947_350
.LBB1947_349:                           ;   in Loop: Header=BB1947_350 Depth=2
	s_or_b64 exec, exec, s[16:17]
	s_addk_i32 s22, 0xf800
	s_cmp_ge_u32 s23, s76
	s_mov_b32 s72, s23
	s_cbranch_scc1 .LBB1947_388
.LBB1947_350:                           ;   Parent Loop BB1947_12 Depth=1
                                        ; =>  This Inner Loop Header: Depth=2
	s_add_i32 s23, s72, 0x800
	s_cmp_gt_u32 s23, s76
	s_cbranch_scc1 .LBB1947_353
; %bb.351:                              ;   in Loop: Header=BB1947_350 Depth=2
	s_lshl_b64 s[16:17], s[72:73], 1
	v_mov_b32_e32 v1, s17
	v_add_co_u32_e32 v0, vcc, s16, v58
	v_addc_co_u32_e32 v1, vcc, v59, v1, vcc
	global_load_ushort v14, v[0:1], off
	global_load_ushort v15, v[0:1], off offset:512
	global_load_ushort v16, v[0:1], off offset:1024
	;; [unrolled: 1-line block ×6, first 2 shown]
	v_add_co_u32_e32 v0, vcc, 0xe00, v0
	v_addc_co_u32_e32 v1, vcc, 0, v1, vcc
	s_mov_b64 s[16:17], -1
	s_movk_i32 s24, 0x800
	s_cbranch_execz .LBB1947_354
; %bb.352:                              ;   in Loop: Header=BB1947_350 Depth=2
                                        ; implicit-def: $vgpr11
                                        ; implicit-def: $vgpr10
                                        ; implicit-def: $vgpr9
                                        ; implicit-def: $vgpr8
                                        ; implicit-def: $vgpr7
                                        ; implicit-def: $vgpr6
                                        ; implicit-def: $vgpr5
                                        ; implicit-def: $vgpr12
	v_mov_b32_e32 v13, s22
	s_and_saveexec_b64 s[18:19], s[16:17]
	s_cbranch_execnz .LBB1947_365
	s_branch .LBB1947_366
.LBB1947_353:                           ;   in Loop: Header=BB1947_350 Depth=2
	s_mov_b64 s[16:17], 0
                                        ; implicit-def: $sgpr24
                                        ; implicit-def: $vgpr14
                                        ; implicit-def: $vgpr15
                                        ; implicit-def: $vgpr16
                                        ; implicit-def: $vgpr17
                                        ; implicit-def: $vgpr18
                                        ; implicit-def: $vgpr19
                                        ; implicit-def: $vgpr20
                                        ; implicit-def: $vgpr0_vgpr1
.LBB1947_354:                           ;   in Loop: Header=BB1947_350 Depth=2
	s_lshl_b64 s[18:19], s[72:73], 1
	s_add_u32 s18, s56, s18
	s_addc_u32 s19, s57, s19
	v_cmp_gt_u32_e32 vcc, s22, v2
	s_and_saveexec_b64 s[20:21], vcc
	s_cbranch_execz .LBB1947_382
; %bb.355:                              ;   in Loop: Header=BB1947_350 Depth=2
	global_load_ushort v11, v65, s[18:19]
	s_or_b64 exec, exec, s[20:21]
	v_cmp_gt_u32_e32 vcc, s22, v24
	s_and_saveexec_b64 s[20:21], vcc
	s_cbranch_execnz .LBB1947_383
.LBB1947_356:                           ;   in Loop: Header=BB1947_350 Depth=2
	s_or_b64 exec, exec, s[20:21]
	v_cmp_gt_u32_e32 vcc, s22, v25
	s_and_saveexec_b64 s[20:21], vcc
	s_cbranch_execz .LBB1947_384
.LBB1947_357:                           ;   in Loop: Header=BB1947_350 Depth=2
	global_load_ushort v9, v65, s[18:19] offset:1024
	s_or_b64 exec, exec, s[20:21]
	v_cmp_gt_u32_e32 vcc, s22, v26
	s_and_saveexec_b64 s[20:21], vcc
	s_cbranch_execnz .LBB1947_385
.LBB1947_358:                           ;   in Loop: Header=BB1947_350 Depth=2
	s_or_b64 exec, exec, s[20:21]
	v_cmp_gt_u32_e32 vcc, s22, v29
	s_and_saveexec_b64 s[20:21], vcc
	s_cbranch_execz .LBB1947_386
.LBB1947_359:                           ;   in Loop: Header=BB1947_350 Depth=2
	global_load_ushort v7, v65, s[18:19] offset:2048
	s_or_b64 exec, exec, s[20:21]
	v_cmp_gt_u32_e32 vcc, s22, v30
	s_and_saveexec_b64 s[20:21], vcc
	s_cbranch_execnz .LBB1947_387
.LBB1947_360:                           ;   in Loop: Header=BB1947_350 Depth=2
	s_or_b64 exec, exec, s[20:21]
	v_cmp_gt_u32_e32 vcc, s22, v31
	s_and_saveexec_b64 s[20:21], vcc
	s_cbranch_execz .LBB1947_362
.LBB1947_361:                           ;   in Loop: Header=BB1947_350 Depth=2
	global_load_ushort v5, v65, s[18:19] offset:3072
.LBB1947_362:                           ;   in Loop: Header=BB1947_350 Depth=2
	s_or_b64 exec, exec, s[20:21]
	v_cmp_gt_u32_e32 vcc, s22, v32
                                        ; implicit-def: $sgpr24
                                        ; implicit-def: $vgpr0_vgpr1
	s_and_saveexec_b64 s[20:21], vcc
	s_cbranch_execz .LBB1947_364
; %bb.363:                              ;   in Loop: Header=BB1947_350 Depth=2
	v_mov_b32_e32 v0, s19
	v_add_co_u32_e32 v1, vcc, s18, v65
	s_waitcnt vmcnt(0)
	v_addc_co_u32_e32 v12, vcc, 0, v0, vcc
	v_add_co_u32_e32 v0, vcc, 0xe00, v1
	s_sub_i32 s24, s76, s72
	v_addc_co_u32_e32 v1, vcc, 0, v12, vcc
	s_or_b64 s[16:17], s[16:17], exec
                                        ; implicit-def: $vgpr12
.LBB1947_364:                           ;   in Loop: Header=BB1947_350 Depth=2
	s_or_b64 exec, exec, s[20:21]
	s_waitcnt vmcnt(0)
	v_mov_b32_e32 v14, v11
	v_mov_b32_e32 v15, v10
	;; [unrolled: 1-line block ×8, first 2 shown]
	s_and_saveexec_b64 s[18:19], s[16:17]
	s_cbranch_execz .LBB1947_366
.LBB1947_365:                           ;   in Loop: Header=BB1947_350 Depth=2
	global_load_ushort v12, v[0:1], off
	v_mov_b32_e32 v13, s24
	s_waitcnt vmcnt(1)
	v_mov_b32_e32 v5, v20
	v_mov_b32_e32 v6, v19
	;; [unrolled: 1-line block ×7, first 2 shown]
.LBB1947_366:                           ;   in Loop: Header=BB1947_350 Depth=2
	s_or_b64 exec, exec, s[18:19]
	v_cmp_lt_u32_e32 vcc, v2, v13
	s_and_saveexec_b64 s[16:17], vcc
	s_cbranch_execz .LBB1947_374
; %bb.367:                              ;   in Loop: Header=BB1947_350 Depth=2
	v_cmp_gt_i16_e32 vcc, 0, v11
	v_cndmask_b32_e64 v0, v66, 0, vcc
	v_xor_b32_e32 v0, v0, v11
	v_cmp_ne_u16_e32 vcc, s68, v0
	v_cndmask_b32_e32 v0, v66, v0, vcc
	v_lshrrev_b32_sdwa v0, s69, v0 dst_sel:DWORD dst_unused:UNUSED_PAD src0_sel:DWORD src1_sel:WORD_0
	v_and_b32_e32 v0, s78, v0
	v_lshl_or_b32 v0, v0, 4, v67
	ds_add_u32 v0, v64
	s_or_b64 exec, exec, s[16:17]
	v_cmp_lt_u32_e32 vcc, v24, v13
	s_and_saveexec_b64 s[16:17], vcc
	s_cbranch_execnz .LBB1947_375
.LBB1947_368:                           ;   in Loop: Header=BB1947_350 Depth=2
	s_or_b64 exec, exec, s[16:17]
	v_cmp_lt_u32_e32 vcc, v25, v13
	s_and_saveexec_b64 s[16:17], vcc
	s_cbranch_execz .LBB1947_376
.LBB1947_369:                           ;   in Loop: Header=BB1947_350 Depth=2
	v_cmp_gt_i16_e32 vcc, 0, v9
	v_cndmask_b32_e64 v0, v66, 0, vcc
	v_xor_b32_e32 v0, v0, v9
	v_cmp_ne_u16_e32 vcc, s68, v0
	v_cndmask_b32_e32 v0, v66, v0, vcc
	v_lshrrev_b32_sdwa v0, s69, v0 dst_sel:DWORD dst_unused:UNUSED_PAD src0_sel:DWORD src1_sel:WORD_0
	v_and_b32_e32 v0, s78, v0
	v_lshl_or_b32 v0, v0, 4, v67
	ds_add_u32 v0, v64
	s_or_b64 exec, exec, s[16:17]
	v_cmp_lt_u32_e32 vcc, v26, v13
	s_and_saveexec_b64 s[16:17], vcc
	s_cbranch_execnz .LBB1947_377
.LBB1947_370:                           ;   in Loop: Header=BB1947_350 Depth=2
	s_or_b64 exec, exec, s[16:17]
	v_cmp_lt_u32_e32 vcc, v29, v13
	s_and_saveexec_b64 s[16:17], vcc
	s_cbranch_execz .LBB1947_378
.LBB1947_371:                           ;   in Loop: Header=BB1947_350 Depth=2
	v_cmp_gt_i16_e32 vcc, 0, v7
	v_cndmask_b32_e64 v0, v66, 0, vcc
	v_xor_b32_e32 v0, v0, v7
	v_cmp_ne_u16_e32 vcc, s68, v0
	v_cndmask_b32_e32 v0, v66, v0, vcc
	v_lshrrev_b32_sdwa v0, s69, v0 dst_sel:DWORD dst_unused:UNUSED_PAD src0_sel:DWORD src1_sel:WORD_0
	v_and_b32_e32 v0, s78, v0
	v_lshl_or_b32 v0, v0, 4, v67
	ds_add_u32 v0, v64
	s_or_b64 exec, exec, s[16:17]
	v_cmp_lt_u32_e32 vcc, v30, v13
	s_and_saveexec_b64 s[16:17], vcc
	s_cbranch_execnz .LBB1947_379
.LBB1947_372:                           ;   in Loop: Header=BB1947_350 Depth=2
	s_or_b64 exec, exec, s[16:17]
	v_cmp_lt_u32_e32 vcc, v31, v13
	s_and_saveexec_b64 s[16:17], vcc
	s_cbranch_execz .LBB1947_380
.LBB1947_373:                           ;   in Loop: Header=BB1947_350 Depth=2
	v_cmp_gt_i16_e32 vcc, 0, v5
	v_cndmask_b32_e64 v0, v66, 0, vcc
	v_xor_b32_e32 v0, v0, v5
	v_cmp_ne_u16_e32 vcc, s68, v0
	v_cndmask_b32_e32 v0, v66, v0, vcc
	v_lshrrev_b32_sdwa v0, s69, v0 dst_sel:DWORD dst_unused:UNUSED_PAD src0_sel:DWORD src1_sel:WORD_0
	v_and_b32_e32 v0, s78, v0
	v_lshl_or_b32 v0, v0, 4, v67
	ds_add_u32 v0, v64
	s_or_b64 exec, exec, s[16:17]
	v_cmp_lt_u32_e32 vcc, v32, v13
	s_and_saveexec_b64 s[16:17], vcc
	s_cbranch_execz .LBB1947_349
	s_branch .LBB1947_381
.LBB1947_374:                           ;   in Loop: Header=BB1947_350 Depth=2
	s_or_b64 exec, exec, s[16:17]
	v_cmp_lt_u32_e32 vcc, v24, v13
	s_and_saveexec_b64 s[16:17], vcc
	s_cbranch_execz .LBB1947_368
.LBB1947_375:                           ;   in Loop: Header=BB1947_350 Depth=2
	v_cmp_gt_i16_e32 vcc, 0, v10
	v_cndmask_b32_e64 v0, v66, 0, vcc
	v_xor_b32_e32 v0, v0, v10
	v_cmp_ne_u16_e32 vcc, s68, v0
	v_cndmask_b32_e32 v0, v66, v0, vcc
	v_lshrrev_b32_sdwa v0, s69, v0 dst_sel:DWORD dst_unused:UNUSED_PAD src0_sel:DWORD src1_sel:WORD_0
	v_and_b32_e32 v0, s78, v0
	v_lshl_or_b32 v0, v0, 4, v67
	ds_add_u32 v0, v64
	s_or_b64 exec, exec, s[16:17]
	v_cmp_lt_u32_e32 vcc, v25, v13
	s_and_saveexec_b64 s[16:17], vcc
	s_cbranch_execnz .LBB1947_369
.LBB1947_376:                           ;   in Loop: Header=BB1947_350 Depth=2
	s_or_b64 exec, exec, s[16:17]
	v_cmp_lt_u32_e32 vcc, v26, v13
	s_and_saveexec_b64 s[16:17], vcc
	s_cbranch_execz .LBB1947_370
.LBB1947_377:                           ;   in Loop: Header=BB1947_350 Depth=2
	v_cmp_gt_i16_e32 vcc, 0, v8
	v_cndmask_b32_e64 v0, v66, 0, vcc
	v_xor_b32_e32 v0, v0, v8
	v_cmp_ne_u16_e32 vcc, s68, v0
	v_cndmask_b32_e32 v0, v66, v0, vcc
	v_lshrrev_b32_sdwa v0, s69, v0 dst_sel:DWORD dst_unused:UNUSED_PAD src0_sel:DWORD src1_sel:WORD_0
	v_and_b32_e32 v0, s78, v0
	v_lshl_or_b32 v0, v0, 4, v67
	ds_add_u32 v0, v64
	s_or_b64 exec, exec, s[16:17]
	v_cmp_lt_u32_e32 vcc, v29, v13
	s_and_saveexec_b64 s[16:17], vcc
	s_cbranch_execnz .LBB1947_371
.LBB1947_378:                           ;   in Loop: Header=BB1947_350 Depth=2
	s_or_b64 exec, exec, s[16:17]
	v_cmp_lt_u32_e32 vcc, v30, v13
	s_and_saveexec_b64 s[16:17], vcc
	s_cbranch_execz .LBB1947_372
.LBB1947_379:                           ;   in Loop: Header=BB1947_350 Depth=2
	v_cmp_gt_i16_e32 vcc, 0, v6
	v_cndmask_b32_e64 v0, v66, 0, vcc
	v_xor_b32_e32 v0, v0, v6
	v_cmp_ne_u16_e32 vcc, s68, v0
	v_cndmask_b32_e32 v0, v66, v0, vcc
	v_lshrrev_b32_sdwa v0, s69, v0 dst_sel:DWORD dst_unused:UNUSED_PAD src0_sel:DWORD src1_sel:WORD_0
	v_and_b32_e32 v0, s78, v0
	v_lshl_or_b32 v0, v0, 4, v67
	ds_add_u32 v0, v64
	s_or_b64 exec, exec, s[16:17]
	v_cmp_lt_u32_e32 vcc, v31, v13
	s_and_saveexec_b64 s[16:17], vcc
	s_cbranch_execnz .LBB1947_373
.LBB1947_380:                           ;   in Loop: Header=BB1947_350 Depth=2
	s_or_b64 exec, exec, s[16:17]
	v_cmp_lt_u32_e32 vcc, v32, v13
	s_and_saveexec_b64 s[16:17], vcc
	s_cbranch_execz .LBB1947_349
.LBB1947_381:                           ;   in Loop: Header=BB1947_350 Depth=2
	s_waitcnt vmcnt(0)
	v_cmp_gt_i16_e32 vcc, 0, v12
	v_cndmask_b32_e64 v0, v66, 0, vcc
	v_xor_b32_e32 v0, v0, v12
	v_cmp_ne_u16_e32 vcc, s68, v0
	v_cndmask_b32_e32 v0, v66, v0, vcc
	v_lshrrev_b32_sdwa v0, s69, v0 dst_sel:DWORD dst_unused:UNUSED_PAD src0_sel:DWORD src1_sel:WORD_0
	v_and_b32_e32 v0, s78, v0
	v_lshl_or_b32 v0, v0, 4, v67
	ds_add_u32 v0, v64
	s_branch .LBB1947_349
.LBB1947_382:                           ;   in Loop: Header=BB1947_350 Depth=2
	s_or_b64 exec, exec, s[20:21]
	v_cmp_gt_u32_e32 vcc, s22, v24
	s_and_saveexec_b64 s[20:21], vcc
	s_cbranch_execz .LBB1947_356
.LBB1947_383:                           ;   in Loop: Header=BB1947_350 Depth=2
	global_load_ushort v10, v65, s[18:19] offset:512
	s_or_b64 exec, exec, s[20:21]
	v_cmp_gt_u32_e32 vcc, s22, v25
	s_and_saveexec_b64 s[20:21], vcc
	s_cbranch_execnz .LBB1947_357
.LBB1947_384:                           ;   in Loop: Header=BB1947_350 Depth=2
	s_or_b64 exec, exec, s[20:21]
	v_cmp_gt_u32_e32 vcc, s22, v26
	s_and_saveexec_b64 s[20:21], vcc
	s_cbranch_execz .LBB1947_358
.LBB1947_385:                           ;   in Loop: Header=BB1947_350 Depth=2
	global_load_ushort v8, v65, s[18:19] offset:1536
	s_or_b64 exec, exec, s[20:21]
	v_cmp_gt_u32_e32 vcc, s22, v29
	s_and_saveexec_b64 s[20:21], vcc
	s_cbranch_execnz .LBB1947_359
.LBB1947_386:                           ;   in Loop: Header=BB1947_350 Depth=2
	s_or_b64 exec, exec, s[20:21]
	v_cmp_gt_u32_e32 vcc, s22, v30
	s_and_saveexec_b64 s[20:21], vcc
	s_cbranch_execz .LBB1947_360
.LBB1947_387:                           ;   in Loop: Header=BB1947_350 Depth=2
	global_load_ushort v6, v65, s[18:19] offset:2560
	s_or_b64 exec, exec, s[20:21]
	v_cmp_gt_u32_e32 vcc, s22, v31
	s_and_saveexec_b64 s[20:21], vcc
	s_cbranch_execz .LBB1947_362
	s_branch .LBB1947_361
.LBB1947_388:                           ;   in Loop: Header=BB1947_12 Depth=1
	v_mov_b32_e32 v0, 0
	s_waitcnt lgkmcnt(0)
	s_barrier
	s_and_saveexec_b64 s[16:17], s[4:5]
	s_cbranch_execz .LBB1947_390
; %bb.389:                              ;   in Loop: Header=BB1947_12 Depth=1
	ds_read2_b64 v[6:9], v33 offset1:1
	s_waitcnt lgkmcnt(0)
	v_add_u32_e32 v0, v7, v6
	v_add3_u32 v0, v0, v8, v9
.LBB1947_390:                           ;   in Loop: Header=BB1947_12 Depth=1
	s_or_b64 exec, exec, s[16:17]
	v_and_b32_e32 v1, 15, v68
	v_mov_b32_dpp v5, v0 row_shr:1 row_mask:0xf bank_mask:0xf
	v_cmp_eq_u32_e64 s[16:17], 0, v1
	v_cndmask_b32_e64 v5, v5, 0, s[16:17]
	v_add_u32_e32 v0, v5, v0
	v_cmp_lt_u32_e64 s[18:19], 1, v1
	v_cmp_lt_u32_e64 s[20:21], 3, v1
	v_mov_b32_dpp v5, v0 row_shr:2 row_mask:0xf bank_mask:0xf
	v_cndmask_b32_e64 v5, 0, v5, s[18:19]
	v_add_u32_e32 v0, v0, v5
	v_cmp_lt_u32_e64 s[22:23], 7, v1
	v_cmp_lt_u32_e64 s[26:27], 31, v68
	v_mov_b32_dpp v5, v0 row_shr:4 row_mask:0xf bank_mask:0xf
	v_cndmask_b32_e64 v5, 0, v5, s[20:21]
	v_add_u32_e32 v0, v0, v5
	v_and_b32_e32 v6, 16, v68
	v_cmp_eq_u32_e64 s[24:25], 0, v6
	v_mov_b32_dpp v5, v0 row_shr:8 row_mask:0xf bank_mask:0xf
	v_cndmask_b32_e64 v1, 0, v5, s[22:23]
	v_add_u32_e32 v0, v0, v1
	v_bfe_i32 v5, v68, 4, 1
	s_nop 0
	v_mov_b32_dpp v1, v0 row_bcast:15 row_mask:0xf bank_mask:0xf
	v_and_b32_e32 v1, v5, v1
	v_add_u32_e32 v0, v0, v1
	s_nop 1
	v_mov_b32_dpp v1, v0 row_bcast:31 row_mask:0xf bank_mask:0xf
	v_cndmask_b32_e64 v1, 0, v1, s[26:27]
	v_add_u32_e32 v1, v0, v1
	s_and_saveexec_b64 s[28:29], s[6:7]
	s_cbranch_execz .LBB1947_392
; %bb.391:                              ;   in Loop: Header=BB1947_12 Depth=1
	ds_write_b32 v35, v1
.LBB1947_392:                           ;   in Loop: Header=BB1947_12 Depth=1
	s_or_b64 exec, exec, s[28:29]
	v_and_b32_e32 v0, 3, v68
	s_waitcnt lgkmcnt(0)
	s_barrier
	s_and_saveexec_b64 s[28:29], s[8:9]
	s_cbranch_execz .LBB1947_394
; %bb.393:                              ;   in Loop: Header=BB1947_12 Depth=1
	ds_read_b32 v5, v36
	v_cmp_ne_u32_e32 vcc, 0, v0
	s_waitcnt lgkmcnt(0)
	v_mov_b32_dpp v6, v5 row_shr:1 row_mask:0xf bank_mask:0xf
	v_cndmask_b32_e32 v6, 0, v6, vcc
	v_add_u32_e32 v5, v6, v5
	v_cmp_lt_u32_e32 vcc, 1, v0
	s_nop 0
	v_mov_b32_dpp v6, v5 row_shr:2 row_mask:0xf bank_mask:0xf
	v_cndmask_b32_e32 v6, 0, v6, vcc
	v_add_u32_e32 v5, v5, v6
	ds_write_b32 v36, v5
.LBB1947_394:                           ;   in Loop: Header=BB1947_12 Depth=1
	s_or_b64 exec, exec, s[28:29]
	v_mov_b32_e32 v5, 0
	s_waitcnt lgkmcnt(0)
	s_barrier
	s_and_saveexec_b64 s[28:29], s[10:11]
	s_cbranch_execz .LBB1947_396
; %bb.395:                              ;   in Loop: Header=BB1947_12 Depth=1
	ds_read_b32 v5, v37
.LBB1947_396:                           ;   in Loop: Header=BB1947_12 Depth=1
	s_or_b64 exec, exec, s[28:29]
	v_add_u32_e32 v6, -1, v68
	v_and_b32_e32 v7, 64, v68
	v_cmp_lt_i32_e32 vcc, v6, v7
	v_cndmask_b32_e32 v6, v6, v68, vcc
	s_waitcnt lgkmcnt(0)
	v_add_u32_e32 v1, v5, v1
	v_lshlrev_b32_e32 v69, 2, v6
	ds_bpermute_b32 v1, v69, v1
	v_cmp_eq_u32_e64 s[28:29], 0, v68
	s_waitcnt lgkmcnt(0)
	s_barrier
	s_and_saveexec_b64 s[30:31], s[4:5]
	s_cbranch_execz .LBB1947_398
; %bb.397:                              ;   in Loop: Header=BB1947_12 Depth=1
	v_cndmask_b32_e64 v1, v1, v5, s[28:29]
	v_add_u32_e32 v1, s51, v1
	ds_write_b32 v3, v1
.LBB1947_398:                           ;   in Loop: Header=BB1947_12 Depth=1
	s_or_b64 exec, exec, s[30:31]
	s_load_dwordx2 s[30:31], s[74:75], 0x0
	v_and_b32_e32 v21, 63, v68
	v_lshlrev_b32_e32 v22, 3, v21
	v_add_co_u32_e32 v77, vcc, v60, v22
	s_waitcnt lgkmcnt(0)
	s_cmp_lt_u32 s50, s30
	s_cselect_b32 s34, 12, 18
	s_cmp_lt_u32 s33, s31
	s_cselect_b32 s30, 14, 20
	s_add_u32 s30, s74, s30
	s_addc_u32 s31, s75, 0
	s_add_u32 s34, s74, s34
	global_load_ushort v5, v4, s[30:31]
	s_addc_u32 s35, s75, 0
	global_load_ushort v20, v4, s[34:35]
	v_or_b32_e32 v74, v21, v38
	v_lshlrev_b32_e32 v21, 1, v21
	v_addc_co_u32_e32 v79, vcc, 0, v61, vcc
	v_add_co_u32_e32 v88, vcc, v62, v21
	v_addc_co_u32_e32 v89, vcc, 0, v63, vcc
	v_add_co_u32_e32 v90, vcc, 0x380, v88
	v_cmp_eq_u32_e64 s[30:31], 0, v0
	v_cmp_lt_u32_e64 s[34:35], 1, v0
	s_mov_b32 s79, s71
	v_or_b32_e32 v81, 64, v74
	v_or_b32_e32 v82, 0x80, v74
	;; [unrolled: 1-line block ×7, first 2 shown]
	v_addc_co_u32_e32 v91, vcc, 0, v89, vcc
	s_mov_b32 s72, s51
                                        ; implicit-def: $vgpr0_vgpr1
                                        ; implicit-def: $vgpr6_vgpr7
                                        ; implicit-def: $vgpr8_vgpr9
                                        ; implicit-def: $vgpr10_vgpr11
                                        ; implicit-def: $vgpr12_vgpr13
                                        ; implicit-def: $vgpr14_vgpr15
                                        ; implicit-def: $vgpr16_vgpr17
                                        ; implicit-def: $vgpr18_vgpr19
                                        ; implicit-def: $vgpr70
                                        ; implicit-def: $vgpr71
                                        ; implicit-def: $vgpr72
                                        ; implicit-def: $vgpr73
                                        ; implicit-def: $vgpr75
                                        ; implicit-def: $vgpr76
                                        ; implicit-def: $vgpr78
                                        ; implicit-def: $vgpr80
	s_waitcnt vmcnt(1)
	v_mad_u32_u24 v5, v39, v5, v40
	s_waitcnt vmcnt(0)
	v_mad_u64_u32 v[20:21], s[36:37], v5, v20, v[2:3]
	v_lshrrev_b32_e32 v92, 6, v20
	s_branch .LBB1947_400
.LBB1947_399:                           ;   in Loop: Header=BB1947_400 Depth=2
	s_or_b64 exec, exec, s[36:37]
	s_addk_i32 s79, 0xf800
	s_cmp_lt_u32 s80, s76
	s_mov_b32 s72, s80
	s_cbranch_scc0 .LBB1947_512
.LBB1947_400:                           ;   Parent Loop BB1947_12 Depth=1
                                        ; =>  This Inner Loop Header: Depth=2
	s_add_i32 s80, s72, 0x800
	s_cmp_gt_u32 s80, s76
	s_cbranch_scc1 .LBB1947_403
; %bb.401:                              ;   in Loop: Header=BB1947_400 Depth=2
	s_lshl_b64 s[36:37], s[72:73], 1
	v_mov_b32_e32 v5, s37
	v_add_co_u32_e32 v20, vcc, s36, v88
	v_addc_co_u32_e32 v21, vcc, v89, v5, vcc
	global_load_ushort v5, v[20:21], off
	global_load_ushort v97, v[20:21], off offset:128
	global_load_ushort v101, v[20:21], off offset:256
	global_load_ushort v106, v[20:21], off offset:384
	global_load_ushort v109, v[20:21], off offset:512
	global_load_ushort v104, v[20:21], off offset:640
	global_load_ushort v22, v[20:21], off offset:768
	s_mov_b64 s[36:37], -1
	s_movk_i32 s40, 0x800
	s_cbranch_execz .LBB1947_404
; %bb.402:                              ;   in Loop: Header=BB1947_400 Depth=2
                                        ; implicit-def: $sgpr38
	v_mov_b32_e32 v23, s38
	v_mov_b32_e32 v93, s79
	s_and_saveexec_b64 s[38:39], s[36:37]
	s_cbranch_execnz .LBB1947_419
	s_branch .LBB1947_420
.LBB1947_403:                           ;   in Loop: Header=BB1947_400 Depth=2
	s_mov_b64 s[36:37], 0
                                        ; implicit-def: $sgpr40
                                        ; implicit-def: $vgpr5
                                        ; implicit-def: $vgpr97
                                        ; implicit-def: $vgpr101
                                        ; implicit-def: $vgpr106
                                        ; implicit-def: $vgpr109
                                        ; implicit-def: $vgpr104
                                        ; implicit-def: $vgpr22
.LBB1947_404:                           ;   in Loop: Header=BB1947_400 Depth=2
	s_lshl_b64 s[36:37], s[72:73], 1
	s_waitcnt vmcnt(6)
	v_mov_b32_e32 v5, s37
	v_add_co_u32_e32 v20, vcc, s36, v88
	v_addc_co_u32_e32 v21, vcc, v89, v5, vcc
	v_cmp_gt_u32_e32 vcc, s79, v74
	s_waitcnt vmcnt(5)
	v_mov_b32_e32 v97, -1
	v_mov_b32_e32 v5, -1
	s_and_saveexec_b64 s[36:37], vcc
	s_cbranch_execz .LBB1947_406
; %bb.405:                              ;   in Loop: Header=BB1947_400 Depth=2
	global_load_ushort v5, v[20:21], off
.LBB1947_406:                           ;   in Loop: Header=BB1947_400 Depth=2
	s_or_b64 exec, exec, s[36:37]
	v_cmp_gt_u32_e32 vcc, s79, v81
	s_and_saveexec_b64 s[36:37], vcc
	s_cbranch_execz .LBB1947_408
; %bb.407:                              ;   in Loop: Header=BB1947_400 Depth=2
	global_load_ushort v97, v[20:21], off offset:128
.LBB1947_408:                           ;   in Loop: Header=BB1947_400 Depth=2
	s_or_b64 exec, exec, s[36:37]
	v_cmp_gt_u32_e32 vcc, s79, v82
	s_waitcnt vmcnt(3)
	v_mov_b32_e32 v106, -1
	v_mov_b32_e32 v101, -1
	s_and_saveexec_b64 s[36:37], vcc
	s_cbranch_execz .LBB1947_410
; %bb.409:                              ;   in Loop: Header=BB1947_400 Depth=2
	global_load_ushort v101, v[20:21], off offset:256
.LBB1947_410:                           ;   in Loop: Header=BB1947_400 Depth=2
	s_or_b64 exec, exec, s[36:37]
	v_cmp_gt_u32_e32 vcc, s79, v83
	s_and_saveexec_b64 s[36:37], vcc
	s_cbranch_execz .LBB1947_412
; %bb.411:                              ;   in Loop: Header=BB1947_400 Depth=2
	global_load_ushort v106, v[20:21], off offset:384
.LBB1947_412:                           ;   in Loop: Header=BB1947_400 Depth=2
	s_or_b64 exec, exec, s[36:37]
	v_cmp_gt_u32_e32 vcc, s79, v84
	s_waitcnt vmcnt(1)
	v_mov_b32_e32 v104, -1
	v_mov_b32_e32 v109, -1
	s_and_saveexec_b64 s[36:37], vcc
	s_cbranch_execz .LBB1947_414
; %bb.413:                              ;   in Loop: Header=BB1947_400 Depth=2
	global_load_ushort v109, v[20:21], off offset:512
.LBB1947_414:                           ;   in Loop: Header=BB1947_400 Depth=2
	s_or_b64 exec, exec, s[36:37]
	v_cmp_gt_u32_e32 vcc, s79, v85
	s_and_saveexec_b64 s[36:37], vcc
	s_cbranch_execz .LBB1947_416
; %bb.415:                              ;   in Loop: Header=BB1947_400 Depth=2
	global_load_ushort v104, v[20:21], off offset:640
.LBB1947_416:                           ;   in Loop: Header=BB1947_400 Depth=2
	s_or_b64 exec, exec, s[36:37]
	v_cmp_gt_u32_e32 vcc, s79, v86
	s_waitcnt vmcnt(0)
	v_mov_b32_e32 v22, -1
	s_and_saveexec_b64 s[36:37], vcc
	s_cbranch_execz .LBB1947_418
; %bb.417:                              ;   in Loop: Header=BB1947_400 Depth=2
	global_load_ushort v22, v[20:21], off offset:768
.LBB1947_418:                           ;   in Loop: Header=BB1947_400 Depth=2
	s_or_b64 exec, exec, s[36:37]
	s_sub_i32 s40, s76, s72
	v_cmp_gt_u32_e64 s[36:37], s79, v87
	s_mov_b32 s38, -1
	v_mov_b32_e32 v23, s38
	v_mov_b32_e32 v93, s79
	s_and_saveexec_b64 s[38:39], s[36:37]
	s_cbranch_execz .LBB1947_420
.LBB1947_419:                           ;   in Loop: Header=BB1947_400 Depth=2
	s_lshl_b64 s[36:37], s[72:73], 1
	v_mov_b32_e32 v21, s37
	v_add_co_u32_e32 v20, vcc, s36, v90
	v_addc_co_u32_e32 v21, vcc, v91, v21, vcc
	global_load_ushort v23, v[20:21], off
	v_mov_b32_e32 v93, s40
.LBB1947_420:                           ;   in Loop: Header=BB1947_400 Depth=2
	s_or_b64 exec, exec, s[38:39]
	s_waitcnt vmcnt(6)
	v_cmp_gt_i16_e32 vcc, 0, v5
	v_cndmask_b32_e64 v20, v66, 0, vcc
	v_xor_b32_e32 v94, v20, v5
	v_add_u32_e32 v5, 0x410, v41
	v_cmp_ne_u16_e32 vcc, s68, v94
	ds_write2_b32 v5, v4, v4 offset1:1
	ds_write2_b32 v43, v4, v4 offset0:2 offset1:3
	ds_write_b32 v43, v4 offset:16
	v_cndmask_b32_e32 v5, v66, v94, vcc
	v_lshrrev_b32_sdwa v5, s69, v5 dst_sel:DWORD dst_unused:UNUSED_PAD src0_sel:DWORD src1_sel:WORD_0
	v_and_b32_e32 v20, s78, v5
	v_mad_u32_u24 v5, v20, 5, v92
	v_lshl_add_u32 v95, v5, 2, v42
	v_and_b32_e32 v5, 1, v20
	v_add_co_u32_e32 v21, vcc, -1, v5
	v_addc_co_u32_e64 v96, s[36:37], 0, -1, vcc
	v_cmp_ne_u32_e32 vcc, 0, v5
	v_xor_b32_e32 v5, vcc_hi, v96
	v_and_b32_e32 v96, exec_hi, v5
	v_lshlrev_b32_e32 v5, 30, v20
	v_xor_b32_e32 v21, vcc_lo, v21
	v_cmp_gt_i64_e32 vcc, 0, v[4:5]
	v_not_b32_e32 v5, v5
	v_ashrrev_i32_e32 v5, 31, v5
	v_and_b32_e32 v21, exec_lo, v21
	v_xor_b32_e32 v98, vcc_hi, v5
	v_xor_b32_e32 v5, vcc_lo, v5
	v_and_b32_e32 v21, v21, v5
	v_lshlrev_b32_e32 v5, 29, v20
	v_cmp_gt_i64_e32 vcc, 0, v[4:5]
	v_not_b32_e32 v5, v5
	v_ashrrev_i32_e32 v5, 31, v5
	v_and_b32_e32 v96, v96, v98
	v_xor_b32_e32 v98, vcc_hi, v5
	v_xor_b32_e32 v5, vcc_lo, v5
	v_and_b32_e32 v21, v21, v5
	v_lshlrev_b32_e32 v5, 28, v20
	v_cmp_gt_i64_e32 vcc, 0, v[4:5]
	v_not_b32_e32 v5, v5
	v_ashrrev_i32_e32 v5, 31, v5
	v_and_b32_e32 v96, v96, v98
	;; [unrolled: 8-line block ×5, first 2 shown]
	v_xor_b32_e32 v98, vcc_hi, v5
	v_xor_b32_e32 v5, vcc_lo, v5
	v_and_b32_e32 v96, v96, v98
	v_and_b32_e32 v98, v21, v5
	v_lshlrev_b32_e32 v5, 24, v20
	v_cmp_gt_i64_e32 vcc, 0, v[4:5]
	v_not_b32_e32 v5, v5
	v_ashrrev_i32_e32 v5, 31, v5
	v_xor_b32_e32 v20, vcc_hi, v5
	v_xor_b32_e32 v5, vcc_lo, v5
	v_and_b32_e32 v21, v96, v20
	v_and_b32_e32 v20, v98, v5
	v_mbcnt_lo_u32_b32 v5, v20, 0
	v_mbcnt_hi_u32_b32 v96, v21, v5
	v_cmp_eq_u32_e32 vcc, 0, v96
	v_cmp_ne_u64_e64 s[36:37], 0, v[20:21]
	s_and_b64 s[38:39], s[36:37], vcc
	s_waitcnt lgkmcnt(0)
	s_barrier
	s_waitcnt lgkmcnt(0)
	; wave barrier
	s_and_saveexec_b64 s[36:37], s[38:39]
	s_cbranch_execz .LBB1947_422
; %bb.421:                              ;   in Loop: Header=BB1947_400 Depth=2
	v_bcnt_u32_b32 v5, v20, 0
	v_bcnt_u32_b32 v5, v21, v5
	ds_write_b32 v95, v5
.LBB1947_422:                           ;   in Loop: Header=BB1947_400 Depth=2
	s_or_b64 exec, exec, s[36:37]
	s_waitcnt vmcnt(5)
	v_cmp_gt_i16_e32 vcc, 0, v97
	v_cndmask_b32_e64 v5, v66, 0, vcc
	v_xor_b32_e32 v97, v5, v97
	v_cmp_ne_u16_e32 vcc, s68, v97
	v_cndmask_b32_e32 v5, v66, v97, vcc
	v_lshrrev_b32_sdwa v5, s69, v5 dst_sel:DWORD dst_unused:UNUSED_PAD src0_sel:DWORD src1_sel:WORD_0
	v_and_b32_e32 v20, s78, v5
	v_mul_u32_u24_e32 v5, 5, v20
	v_add_lshl_u32 v5, v5, v92, 2
	; wave barrier
	v_add_u32_e32 v99, 0x410, v5
	ds_read_b32 v98, v5 offset:1040
	v_and_b32_e32 v5, 1, v20
	v_add_co_u32_e32 v21, vcc, -1, v5
	v_addc_co_u32_e64 v100, s[36:37], 0, -1, vcc
	v_cmp_ne_u32_e32 vcc, 0, v5
	v_xor_b32_e32 v5, vcc_hi, v100
	v_and_b32_e32 v100, exec_hi, v5
	v_lshlrev_b32_e32 v5, 30, v20
	v_xor_b32_e32 v21, vcc_lo, v21
	v_cmp_gt_i64_e32 vcc, 0, v[4:5]
	v_not_b32_e32 v5, v5
	v_ashrrev_i32_e32 v5, 31, v5
	v_and_b32_e32 v21, exec_lo, v21
	v_xor_b32_e32 v102, vcc_hi, v5
	v_xor_b32_e32 v5, vcc_lo, v5
	v_and_b32_e32 v21, v21, v5
	v_lshlrev_b32_e32 v5, 29, v20
	v_cmp_gt_i64_e32 vcc, 0, v[4:5]
	v_not_b32_e32 v5, v5
	v_ashrrev_i32_e32 v5, 31, v5
	v_and_b32_e32 v100, v100, v102
	v_xor_b32_e32 v102, vcc_hi, v5
	v_xor_b32_e32 v5, vcc_lo, v5
	v_and_b32_e32 v21, v21, v5
	v_lshlrev_b32_e32 v5, 28, v20
	v_cmp_gt_i64_e32 vcc, 0, v[4:5]
	v_not_b32_e32 v5, v5
	v_ashrrev_i32_e32 v5, 31, v5
	v_and_b32_e32 v100, v100, v102
	;; [unrolled: 8-line block ×5, first 2 shown]
	v_xor_b32_e32 v102, vcc_hi, v5
	v_xor_b32_e32 v5, vcc_lo, v5
	v_and_b32_e32 v100, v100, v102
	v_and_b32_e32 v102, v21, v5
	v_lshlrev_b32_e32 v5, 24, v20
	v_cmp_gt_i64_e32 vcc, 0, v[4:5]
	v_not_b32_e32 v5, v5
	v_ashrrev_i32_e32 v5, 31, v5
	v_xor_b32_e32 v20, vcc_hi, v5
	v_xor_b32_e32 v5, vcc_lo, v5
	v_and_b32_e32 v21, v100, v20
	v_and_b32_e32 v20, v102, v5
	v_mbcnt_lo_u32_b32 v5, v20, 0
	v_mbcnt_hi_u32_b32 v100, v21, v5
	v_cmp_eq_u32_e32 vcc, 0, v100
	v_cmp_ne_u64_e64 s[36:37], 0, v[20:21]
	s_and_b64 s[38:39], s[36:37], vcc
	; wave barrier
	s_and_saveexec_b64 s[36:37], s[38:39]
	s_cbranch_execz .LBB1947_424
; %bb.423:                              ;   in Loop: Header=BB1947_400 Depth=2
	v_bcnt_u32_b32 v5, v20, 0
	v_bcnt_u32_b32 v5, v21, v5
	s_waitcnt lgkmcnt(0)
	v_add_u32_e32 v5, v98, v5
	ds_write_b32 v99, v5
.LBB1947_424:                           ;   in Loop: Header=BB1947_400 Depth=2
	s_or_b64 exec, exec, s[36:37]
	s_waitcnt vmcnt(4)
	v_cmp_gt_i16_e32 vcc, 0, v101
	v_cndmask_b32_e64 v5, v66, 0, vcc
	v_xor_b32_e32 v101, v5, v101
	v_cmp_ne_u16_e32 vcc, s68, v101
	v_cndmask_b32_e32 v5, v66, v101, vcc
	v_lshrrev_b32_sdwa v5, s69, v5 dst_sel:DWORD dst_unused:UNUSED_PAD src0_sel:DWORD src1_sel:WORD_0
	v_and_b32_e32 v20, s78, v5
	v_mul_u32_u24_e32 v5, 5, v20
	v_add_lshl_u32 v5, v5, v92, 2
	; wave barrier
	v_add_u32_e32 v103, 0x410, v5
	ds_read_b32 v102, v5 offset:1040
	v_and_b32_e32 v5, 1, v20
	v_add_co_u32_e32 v21, vcc, -1, v5
	v_addc_co_u32_e64 v105, s[36:37], 0, -1, vcc
	v_cmp_ne_u32_e32 vcc, 0, v5
	v_xor_b32_e32 v5, vcc_hi, v105
	v_and_b32_e32 v105, exec_hi, v5
	v_lshlrev_b32_e32 v5, 30, v20
	v_xor_b32_e32 v21, vcc_lo, v21
	v_cmp_gt_i64_e32 vcc, 0, v[4:5]
	v_not_b32_e32 v5, v5
	v_ashrrev_i32_e32 v5, 31, v5
	v_and_b32_e32 v21, exec_lo, v21
	v_xor_b32_e32 v107, vcc_hi, v5
	v_xor_b32_e32 v5, vcc_lo, v5
	v_and_b32_e32 v21, v21, v5
	v_lshlrev_b32_e32 v5, 29, v20
	v_cmp_gt_i64_e32 vcc, 0, v[4:5]
	v_not_b32_e32 v5, v5
	v_ashrrev_i32_e32 v5, 31, v5
	v_and_b32_e32 v105, v105, v107
	v_xor_b32_e32 v107, vcc_hi, v5
	v_xor_b32_e32 v5, vcc_lo, v5
	v_and_b32_e32 v21, v21, v5
	v_lshlrev_b32_e32 v5, 28, v20
	v_cmp_gt_i64_e32 vcc, 0, v[4:5]
	v_not_b32_e32 v5, v5
	v_ashrrev_i32_e32 v5, 31, v5
	v_and_b32_e32 v105, v105, v107
	;; [unrolled: 8-line block ×5, first 2 shown]
	v_xor_b32_e32 v107, vcc_hi, v5
	v_xor_b32_e32 v5, vcc_lo, v5
	v_and_b32_e32 v105, v105, v107
	v_and_b32_e32 v107, v21, v5
	v_lshlrev_b32_e32 v5, 24, v20
	v_cmp_gt_i64_e32 vcc, 0, v[4:5]
	v_not_b32_e32 v5, v5
	v_ashrrev_i32_e32 v5, 31, v5
	v_xor_b32_e32 v20, vcc_hi, v5
	v_xor_b32_e32 v5, vcc_lo, v5
	v_and_b32_e32 v21, v105, v20
	v_and_b32_e32 v20, v107, v5
	v_mbcnt_lo_u32_b32 v5, v20, 0
	v_mbcnt_hi_u32_b32 v105, v21, v5
	v_cmp_eq_u32_e32 vcc, 0, v105
	v_cmp_ne_u64_e64 s[36:37], 0, v[20:21]
	s_and_b64 s[38:39], s[36:37], vcc
	; wave barrier
	s_and_saveexec_b64 s[36:37], s[38:39]
	s_cbranch_execz .LBB1947_426
; %bb.425:                              ;   in Loop: Header=BB1947_400 Depth=2
	v_bcnt_u32_b32 v5, v20, 0
	v_bcnt_u32_b32 v5, v21, v5
	s_waitcnt lgkmcnt(0)
	v_add_u32_e32 v5, v102, v5
	ds_write_b32 v103, v5
.LBB1947_426:                           ;   in Loop: Header=BB1947_400 Depth=2
	s_or_b64 exec, exec, s[36:37]
	s_waitcnt vmcnt(3)
	v_cmp_gt_i16_e32 vcc, 0, v106
	v_cndmask_b32_e64 v5, v66, 0, vcc
	v_xor_b32_e32 v106, v5, v106
	v_cmp_ne_u16_e32 vcc, s68, v106
	v_cndmask_b32_e32 v5, v66, v106, vcc
	v_lshrrev_b32_sdwa v5, s69, v5 dst_sel:DWORD dst_unused:UNUSED_PAD src0_sel:DWORD src1_sel:WORD_0
	v_and_b32_e32 v20, s78, v5
	v_mul_u32_u24_e32 v5, 5, v20
	v_add_lshl_u32 v5, v5, v92, 2
	; wave barrier
	v_add_u32_e32 v108, 0x410, v5
	ds_read_b32 v107, v5 offset:1040
	v_and_b32_e32 v5, 1, v20
	v_add_co_u32_e32 v21, vcc, -1, v5
	v_addc_co_u32_e64 v110, s[36:37], 0, -1, vcc
	v_cmp_ne_u32_e32 vcc, 0, v5
	v_xor_b32_e32 v5, vcc_hi, v110
	v_and_b32_e32 v110, exec_hi, v5
	v_lshlrev_b32_e32 v5, 30, v20
	v_xor_b32_e32 v21, vcc_lo, v21
	v_cmp_gt_i64_e32 vcc, 0, v[4:5]
	v_not_b32_e32 v5, v5
	v_ashrrev_i32_e32 v5, 31, v5
	v_and_b32_e32 v21, exec_lo, v21
	v_xor_b32_e32 v111, vcc_hi, v5
	v_xor_b32_e32 v5, vcc_lo, v5
	v_and_b32_e32 v21, v21, v5
	v_lshlrev_b32_e32 v5, 29, v20
	v_cmp_gt_i64_e32 vcc, 0, v[4:5]
	v_not_b32_e32 v5, v5
	v_ashrrev_i32_e32 v5, 31, v5
	v_and_b32_e32 v110, v110, v111
	v_xor_b32_e32 v111, vcc_hi, v5
	v_xor_b32_e32 v5, vcc_lo, v5
	v_and_b32_e32 v21, v21, v5
	v_lshlrev_b32_e32 v5, 28, v20
	v_cmp_gt_i64_e32 vcc, 0, v[4:5]
	v_not_b32_e32 v5, v5
	v_ashrrev_i32_e32 v5, 31, v5
	v_and_b32_e32 v110, v110, v111
	;; [unrolled: 8-line block ×5, first 2 shown]
	v_xor_b32_e32 v111, vcc_hi, v5
	v_xor_b32_e32 v5, vcc_lo, v5
	v_and_b32_e32 v110, v110, v111
	v_and_b32_e32 v111, v21, v5
	v_lshlrev_b32_e32 v5, 24, v20
	v_cmp_gt_i64_e32 vcc, 0, v[4:5]
	v_not_b32_e32 v5, v5
	v_ashrrev_i32_e32 v5, 31, v5
	v_xor_b32_e32 v20, vcc_hi, v5
	v_xor_b32_e32 v5, vcc_lo, v5
	v_and_b32_e32 v21, v110, v20
	v_and_b32_e32 v20, v111, v5
	v_mbcnt_lo_u32_b32 v5, v20, 0
	v_mbcnt_hi_u32_b32 v110, v21, v5
	v_cmp_eq_u32_e32 vcc, 0, v110
	v_cmp_ne_u64_e64 s[36:37], 0, v[20:21]
	s_and_b64 s[38:39], s[36:37], vcc
	; wave barrier
	s_and_saveexec_b64 s[36:37], s[38:39]
	s_cbranch_execz .LBB1947_428
; %bb.427:                              ;   in Loop: Header=BB1947_400 Depth=2
	v_bcnt_u32_b32 v5, v20, 0
	v_bcnt_u32_b32 v5, v21, v5
	s_waitcnt lgkmcnt(0)
	v_add_u32_e32 v5, v107, v5
	ds_write_b32 v108, v5
.LBB1947_428:                           ;   in Loop: Header=BB1947_400 Depth=2
	s_or_b64 exec, exec, s[36:37]
	s_waitcnt vmcnt(2)
	v_cmp_gt_i16_e32 vcc, 0, v109
	v_cndmask_b32_e64 v5, v66, 0, vcc
	v_xor_b32_e32 v109, v5, v109
	v_cmp_ne_u16_e32 vcc, s68, v109
	v_cndmask_b32_e32 v5, v66, v109, vcc
	v_lshrrev_b32_sdwa v5, s69, v5 dst_sel:DWORD dst_unused:UNUSED_PAD src0_sel:DWORD src1_sel:WORD_0
	v_and_b32_e32 v20, s78, v5
	v_mul_u32_u24_e32 v5, 5, v20
	v_add_lshl_u32 v5, v5, v92, 2
	; wave barrier
	v_add_u32_e32 v112, 0x410, v5
	ds_read_b32 v111, v5 offset:1040
	v_and_b32_e32 v5, 1, v20
	v_add_co_u32_e32 v21, vcc, -1, v5
	v_addc_co_u32_e64 v113, s[36:37], 0, -1, vcc
	v_cmp_ne_u32_e32 vcc, 0, v5
	v_xor_b32_e32 v5, vcc_hi, v113
	v_and_b32_e32 v113, exec_hi, v5
	v_lshlrev_b32_e32 v5, 30, v20
	v_xor_b32_e32 v21, vcc_lo, v21
	v_cmp_gt_i64_e32 vcc, 0, v[4:5]
	v_not_b32_e32 v5, v5
	v_ashrrev_i32_e32 v5, 31, v5
	v_and_b32_e32 v21, exec_lo, v21
	v_xor_b32_e32 v114, vcc_hi, v5
	v_xor_b32_e32 v5, vcc_lo, v5
	v_and_b32_e32 v21, v21, v5
	v_lshlrev_b32_e32 v5, 29, v20
	v_cmp_gt_i64_e32 vcc, 0, v[4:5]
	v_not_b32_e32 v5, v5
	v_ashrrev_i32_e32 v5, 31, v5
	v_and_b32_e32 v113, v113, v114
	v_xor_b32_e32 v114, vcc_hi, v5
	v_xor_b32_e32 v5, vcc_lo, v5
	v_and_b32_e32 v21, v21, v5
	v_lshlrev_b32_e32 v5, 28, v20
	v_cmp_gt_i64_e32 vcc, 0, v[4:5]
	v_not_b32_e32 v5, v5
	v_ashrrev_i32_e32 v5, 31, v5
	v_and_b32_e32 v113, v113, v114
	v_xor_b32_e32 v114, vcc_hi, v5
	v_xor_b32_e32 v5, vcc_lo, v5
	v_and_b32_e32 v21, v21, v5
	v_lshlrev_b32_e32 v5, 27, v20
	v_cmp_gt_i64_e32 vcc, 0, v[4:5]
	v_not_b32_e32 v5, v5
	v_ashrrev_i32_e32 v5, 31, v5
	v_and_b32_e32 v113, v113, v114
	v_xor_b32_e32 v114, vcc_hi, v5
	v_xor_b32_e32 v5, vcc_lo, v5
	v_and_b32_e32 v21, v21, v5
	v_lshlrev_b32_e32 v5, 26, v20
	v_cmp_gt_i64_e32 vcc, 0, v[4:5]
	v_not_b32_e32 v5, v5
	v_ashrrev_i32_e32 v5, 31, v5
	v_and_b32_e32 v113, v113, v114
	v_xor_b32_e32 v114, vcc_hi, v5
	v_xor_b32_e32 v5, vcc_lo, v5
	v_and_b32_e32 v21, v21, v5
	v_lshlrev_b32_e32 v5, 25, v20
	v_cmp_gt_i64_e32 vcc, 0, v[4:5]
	v_not_b32_e32 v5, v5
	v_ashrrev_i32_e32 v5, 31, v5
	v_and_b32_e32 v113, v113, v114
	v_xor_b32_e32 v114, vcc_hi, v5
	v_xor_b32_e32 v5, vcc_lo, v5
	v_and_b32_e32 v113, v113, v114
	v_and_b32_e32 v114, v21, v5
	v_lshlrev_b32_e32 v5, 24, v20
	v_cmp_gt_i64_e32 vcc, 0, v[4:5]
	v_not_b32_e32 v5, v5
	v_ashrrev_i32_e32 v5, 31, v5
	v_xor_b32_e32 v20, vcc_hi, v5
	v_xor_b32_e32 v5, vcc_lo, v5
	v_and_b32_e32 v21, v113, v20
	v_and_b32_e32 v20, v114, v5
	v_mbcnt_lo_u32_b32 v5, v20, 0
	v_mbcnt_hi_u32_b32 v113, v21, v5
	v_cmp_eq_u32_e32 vcc, 0, v113
	v_cmp_ne_u64_e64 s[36:37], 0, v[20:21]
	s_and_b64 s[38:39], s[36:37], vcc
	; wave barrier
	s_and_saveexec_b64 s[36:37], s[38:39]
	s_cbranch_execz .LBB1947_430
; %bb.429:                              ;   in Loop: Header=BB1947_400 Depth=2
	v_bcnt_u32_b32 v5, v20, 0
	v_bcnt_u32_b32 v5, v21, v5
	s_waitcnt lgkmcnt(0)
	v_add_u32_e32 v5, v111, v5
	ds_write_b32 v112, v5
.LBB1947_430:                           ;   in Loop: Header=BB1947_400 Depth=2
	s_or_b64 exec, exec, s[36:37]
	s_waitcnt vmcnt(1)
	v_cmp_gt_i16_e32 vcc, 0, v104
	v_cndmask_b32_e64 v5, v66, 0, vcc
	v_xor_b32_e32 v104, v5, v104
	v_cmp_ne_u16_e32 vcc, s68, v104
	v_cndmask_b32_e32 v5, v66, v104, vcc
	v_lshrrev_b32_sdwa v5, s69, v5 dst_sel:DWORD dst_unused:UNUSED_PAD src0_sel:DWORD src1_sel:WORD_0
	v_and_b32_e32 v20, s78, v5
	v_mul_u32_u24_e32 v5, 5, v20
	v_add_lshl_u32 v5, v5, v92, 2
	; wave barrier
	v_add_u32_e32 v115, 0x410, v5
	ds_read_b32 v114, v5 offset:1040
	v_and_b32_e32 v5, 1, v20
	v_add_co_u32_e32 v21, vcc, -1, v5
	v_addc_co_u32_e64 v116, s[36:37], 0, -1, vcc
	v_cmp_ne_u32_e32 vcc, 0, v5
	v_xor_b32_e32 v5, vcc_hi, v116
	v_and_b32_e32 v116, exec_hi, v5
	v_lshlrev_b32_e32 v5, 30, v20
	v_xor_b32_e32 v21, vcc_lo, v21
	v_cmp_gt_i64_e32 vcc, 0, v[4:5]
	v_not_b32_e32 v5, v5
	v_ashrrev_i32_e32 v5, 31, v5
	v_and_b32_e32 v21, exec_lo, v21
	v_xor_b32_e32 v117, vcc_hi, v5
	v_xor_b32_e32 v5, vcc_lo, v5
	v_and_b32_e32 v21, v21, v5
	v_lshlrev_b32_e32 v5, 29, v20
	v_cmp_gt_i64_e32 vcc, 0, v[4:5]
	v_not_b32_e32 v5, v5
	v_ashrrev_i32_e32 v5, 31, v5
	v_and_b32_e32 v116, v116, v117
	v_xor_b32_e32 v117, vcc_hi, v5
	v_xor_b32_e32 v5, vcc_lo, v5
	v_and_b32_e32 v21, v21, v5
	v_lshlrev_b32_e32 v5, 28, v20
	v_cmp_gt_i64_e32 vcc, 0, v[4:5]
	v_not_b32_e32 v5, v5
	v_ashrrev_i32_e32 v5, 31, v5
	v_and_b32_e32 v116, v116, v117
	;; [unrolled: 8-line block ×5, first 2 shown]
	v_xor_b32_e32 v117, vcc_hi, v5
	v_xor_b32_e32 v5, vcc_lo, v5
	v_and_b32_e32 v116, v116, v117
	v_and_b32_e32 v117, v21, v5
	v_lshlrev_b32_e32 v5, 24, v20
	v_cmp_gt_i64_e32 vcc, 0, v[4:5]
	v_not_b32_e32 v5, v5
	v_ashrrev_i32_e32 v5, 31, v5
	v_xor_b32_e32 v20, vcc_hi, v5
	v_xor_b32_e32 v5, vcc_lo, v5
	v_and_b32_e32 v21, v116, v20
	v_and_b32_e32 v20, v117, v5
	v_mbcnt_lo_u32_b32 v5, v20, 0
	v_mbcnt_hi_u32_b32 v116, v21, v5
	v_cmp_eq_u32_e32 vcc, 0, v116
	v_cmp_ne_u64_e64 s[36:37], 0, v[20:21]
	s_and_b64 s[38:39], s[36:37], vcc
	; wave barrier
	s_and_saveexec_b64 s[36:37], s[38:39]
	s_cbranch_execz .LBB1947_432
; %bb.431:                              ;   in Loop: Header=BB1947_400 Depth=2
	v_bcnt_u32_b32 v5, v20, 0
	v_bcnt_u32_b32 v5, v21, v5
	s_waitcnt lgkmcnt(0)
	v_add_u32_e32 v5, v114, v5
	ds_write_b32 v115, v5
.LBB1947_432:                           ;   in Loop: Header=BB1947_400 Depth=2
	s_or_b64 exec, exec, s[36:37]
	s_waitcnt vmcnt(0)
	v_cmp_gt_i16_e32 vcc, 0, v22
	v_cndmask_b32_e64 v5, v66, 0, vcc
	v_xor_b32_e32 v117, v5, v22
	v_cmp_ne_u16_e32 vcc, s68, v117
	v_cndmask_b32_e32 v5, v66, v117, vcc
	v_lshrrev_b32_sdwa v5, s69, v5 dst_sel:DWORD dst_unused:UNUSED_PAD src0_sel:DWORD src1_sel:WORD_0
	v_and_b32_e32 v20, s78, v5
	v_mul_u32_u24_e32 v5, 5, v20
	v_add_lshl_u32 v5, v5, v92, 2
	; wave barrier
	v_add_u32_e32 v119, 0x410, v5
	ds_read_b32 v118, v5 offset:1040
	v_and_b32_e32 v5, 1, v20
	v_add_co_u32_e32 v21, vcc, -1, v5
	v_addc_co_u32_e64 v22, s[36:37], 0, -1, vcc
	v_cmp_ne_u32_e32 vcc, 0, v5
	v_xor_b32_e32 v5, vcc_hi, v22
	v_and_b32_e32 v22, exec_hi, v5
	v_lshlrev_b32_e32 v5, 30, v20
	v_xor_b32_e32 v21, vcc_lo, v21
	v_cmp_gt_i64_e32 vcc, 0, v[4:5]
	v_not_b32_e32 v5, v5
	v_ashrrev_i32_e32 v5, 31, v5
	v_and_b32_e32 v21, exec_lo, v21
	v_xor_b32_e32 v120, vcc_hi, v5
	v_xor_b32_e32 v5, vcc_lo, v5
	v_and_b32_e32 v21, v21, v5
	v_lshlrev_b32_e32 v5, 29, v20
	v_cmp_gt_i64_e32 vcc, 0, v[4:5]
	v_not_b32_e32 v5, v5
	v_ashrrev_i32_e32 v5, 31, v5
	v_and_b32_e32 v22, v22, v120
	v_xor_b32_e32 v120, vcc_hi, v5
	v_xor_b32_e32 v5, vcc_lo, v5
	v_and_b32_e32 v21, v21, v5
	v_lshlrev_b32_e32 v5, 28, v20
	v_cmp_gt_i64_e32 vcc, 0, v[4:5]
	v_not_b32_e32 v5, v5
	v_ashrrev_i32_e32 v5, 31, v5
	v_and_b32_e32 v22, v22, v120
	;; [unrolled: 8-line block ×5, first 2 shown]
	v_xor_b32_e32 v120, vcc_hi, v5
	v_xor_b32_e32 v5, vcc_lo, v5
	v_and_b32_e32 v22, v22, v120
	v_and_b32_e32 v120, v21, v5
	v_lshlrev_b32_e32 v5, 24, v20
	v_cmp_gt_i64_e32 vcc, 0, v[4:5]
	v_not_b32_e32 v5, v5
	v_ashrrev_i32_e32 v5, 31, v5
	v_xor_b32_e32 v20, vcc_hi, v5
	v_xor_b32_e32 v5, vcc_lo, v5
	v_and_b32_e32 v21, v22, v20
	v_and_b32_e32 v20, v120, v5
	v_mbcnt_lo_u32_b32 v5, v20, 0
	v_mbcnt_hi_u32_b32 v120, v21, v5
	v_cmp_eq_u32_e32 vcc, 0, v120
	v_cmp_ne_u64_e64 s[36:37], 0, v[20:21]
	s_and_b64 s[38:39], s[36:37], vcc
	; wave barrier
	s_and_saveexec_b64 s[36:37], s[38:39]
	s_cbranch_execz .LBB1947_434
; %bb.433:                              ;   in Loop: Header=BB1947_400 Depth=2
	v_bcnt_u32_b32 v5, v20, 0
	v_bcnt_u32_b32 v5, v21, v5
	s_waitcnt lgkmcnt(0)
	v_add_u32_e32 v5, v118, v5
	ds_write_b32 v119, v5
.LBB1947_434:                           ;   in Loop: Header=BB1947_400 Depth=2
	s_or_b64 exec, exec, s[36:37]
	v_cmp_gt_i16_e32 vcc, 0, v23
	v_cndmask_b32_e64 v5, v66, 0, vcc
	v_xor_b32_e32 v121, v5, v23
	v_cmp_ne_u16_e32 vcc, s68, v121
	v_cndmask_b32_e32 v5, v66, v121, vcc
	v_lshrrev_b32_sdwa v5, s69, v5 dst_sel:DWORD dst_unused:UNUSED_PAD src0_sel:DWORD src1_sel:WORD_0
	v_and_b32_e32 v20, s78, v5
	v_mul_u32_u24_e32 v5, 5, v20
	v_add_lshl_u32 v5, v5, v92, 2
	; wave barrier
	v_add_u32_e32 v123, 0x410, v5
	ds_read_b32 v122, v5 offset:1040
	v_and_b32_e32 v5, 1, v20
	v_add_co_u32_e32 v21, vcc, -1, v5
	v_addc_co_u32_e64 v22, s[36:37], 0, -1, vcc
	v_cmp_ne_u32_e32 vcc, 0, v5
	v_xor_b32_e32 v5, vcc_hi, v22
	v_and_b32_e32 v22, exec_hi, v5
	v_lshlrev_b32_e32 v5, 30, v20
	v_xor_b32_e32 v21, vcc_lo, v21
	v_cmp_gt_i64_e32 vcc, 0, v[4:5]
	v_not_b32_e32 v5, v5
	v_ashrrev_i32_e32 v5, 31, v5
	v_and_b32_e32 v21, exec_lo, v21
	v_xor_b32_e32 v23, vcc_hi, v5
	v_xor_b32_e32 v5, vcc_lo, v5
	v_and_b32_e32 v21, v21, v5
	v_lshlrev_b32_e32 v5, 29, v20
	v_cmp_gt_i64_e32 vcc, 0, v[4:5]
	v_not_b32_e32 v5, v5
	v_ashrrev_i32_e32 v5, 31, v5
	v_and_b32_e32 v22, v22, v23
	v_xor_b32_e32 v23, vcc_hi, v5
	v_xor_b32_e32 v5, vcc_lo, v5
	v_and_b32_e32 v21, v21, v5
	v_lshlrev_b32_e32 v5, 28, v20
	v_cmp_gt_i64_e32 vcc, 0, v[4:5]
	v_not_b32_e32 v5, v5
	v_ashrrev_i32_e32 v5, 31, v5
	v_and_b32_e32 v22, v22, v23
	v_xor_b32_e32 v23, vcc_hi, v5
	v_xor_b32_e32 v5, vcc_lo, v5
	v_and_b32_e32 v21, v21, v5
	v_lshlrev_b32_e32 v5, 27, v20
	v_cmp_gt_i64_e32 vcc, 0, v[4:5]
	v_not_b32_e32 v5, v5
	v_ashrrev_i32_e32 v5, 31, v5
	v_and_b32_e32 v22, v22, v23
	v_xor_b32_e32 v23, vcc_hi, v5
	v_xor_b32_e32 v5, vcc_lo, v5
	v_and_b32_e32 v21, v21, v5
	v_lshlrev_b32_e32 v5, 26, v20
	v_cmp_gt_i64_e32 vcc, 0, v[4:5]
	v_not_b32_e32 v5, v5
	v_ashrrev_i32_e32 v5, 31, v5
	v_and_b32_e32 v22, v22, v23
	v_xor_b32_e32 v23, vcc_hi, v5
	v_xor_b32_e32 v5, vcc_lo, v5
	v_and_b32_e32 v21, v21, v5
	v_lshlrev_b32_e32 v5, 25, v20
	v_cmp_gt_i64_e32 vcc, 0, v[4:5]
	v_not_b32_e32 v5, v5
	v_ashrrev_i32_e32 v5, 31, v5
	v_and_b32_e32 v22, v22, v23
	v_xor_b32_e32 v23, vcc_hi, v5
	v_xor_b32_e32 v5, vcc_lo, v5
	v_and_b32_e32 v22, v22, v23
	v_and_b32_e32 v23, v21, v5
	v_lshlrev_b32_e32 v5, 24, v20
	v_cmp_gt_i64_e32 vcc, 0, v[4:5]
	v_not_b32_e32 v5, v5
	v_ashrrev_i32_e32 v5, 31, v5
	v_xor_b32_e32 v20, vcc_hi, v5
	v_xor_b32_e32 v5, vcc_lo, v5
	v_and_b32_e32 v21, v22, v20
	v_and_b32_e32 v20, v23, v5
	v_mbcnt_lo_u32_b32 v5, v20, 0
	v_mbcnt_hi_u32_b32 v124, v21, v5
	v_cmp_eq_u32_e32 vcc, 0, v124
	v_cmp_ne_u64_e64 s[36:37], 0, v[20:21]
	s_and_b64 s[38:39], s[36:37], vcc
	; wave barrier
	s_and_saveexec_b64 s[36:37], s[38:39]
	s_cbranch_execz .LBB1947_436
; %bb.435:                              ;   in Loop: Header=BB1947_400 Depth=2
	v_bcnt_u32_b32 v5, v20, 0
	v_bcnt_u32_b32 v5, v21, v5
	s_waitcnt lgkmcnt(0)
	v_add_u32_e32 v5, v122, v5
	ds_write_b32 v123, v5
.LBB1947_436:                           ;   in Loop: Header=BB1947_400 Depth=2
	s_or_b64 exec, exec, s[36:37]
	; wave barrier
	s_waitcnt lgkmcnt(0)
	s_barrier
	ds_read_b32 v5, v41 offset:1040
	ds_read2_b32 v[22:23], v43 offset0:1 offset1:2
	ds_read2_b32 v[20:21], v43 offset0:3 offset1:4
	s_waitcnt lgkmcnt(1)
	v_add3_u32 v125, v22, v5, v23
	s_waitcnt lgkmcnt(0)
	v_add3_u32 v21, v125, v20, v21
	s_nop 1
	v_mov_b32_dpp v125, v21 row_shr:1 row_mask:0xf bank_mask:0xf
	v_cndmask_b32_e64 v125, v125, 0, s[16:17]
	v_add_u32_e32 v21, v125, v21
	s_nop 1
	v_mov_b32_dpp v125, v21 row_shr:2 row_mask:0xf bank_mask:0xf
	v_cndmask_b32_e64 v125, 0, v125, s[18:19]
	v_add_u32_e32 v21, v21, v125
	;; [unrolled: 4-line block ×4, first 2 shown]
	s_nop 1
	v_mov_b32_dpp v125, v21 row_bcast:15 row_mask:0xf bank_mask:0xf
	v_cndmask_b32_e64 v125, v125, 0, s[24:25]
	v_add_u32_e32 v21, v21, v125
	s_nop 1
	v_mov_b32_dpp v125, v21 row_bcast:31 row_mask:0xf bank_mask:0xf
	v_cndmask_b32_e64 v125, 0, v125, s[26:27]
	v_add_u32_e32 v21, v21, v125
	s_and_saveexec_b64 s[36:37], s[6:7]
	s_cbranch_execz .LBB1947_438
; %bb.437:                              ;   in Loop: Header=BB1947_400 Depth=2
	ds_write_b32 v34, v21 offset:1024
.LBB1947_438:                           ;   in Loop: Header=BB1947_400 Depth=2
	s_or_b64 exec, exec, s[36:37]
	s_waitcnt lgkmcnt(0)
	s_barrier
	s_and_saveexec_b64 s[36:37], s[8:9]
	s_cbranch_execz .LBB1947_440
; %bb.439:                              ;   in Loop: Header=BB1947_400 Depth=2
	ds_read_b32 v125, v44 offset:1024
	s_waitcnt lgkmcnt(0)
	s_nop 0
	v_mov_b32_dpp v126, v125 row_shr:1 row_mask:0xf bank_mask:0xf
	v_cndmask_b32_e64 v126, v126, 0, s[30:31]
	v_add_u32_e32 v125, v126, v125
	s_nop 1
	v_mov_b32_dpp v126, v125 row_shr:2 row_mask:0xf bank_mask:0xf
	v_cndmask_b32_e64 v126, 0, v126, s[34:35]
	v_add_u32_e32 v125, v125, v126
	ds_write_b32 v44, v125 offset:1024
.LBB1947_440:                           ;   in Loop: Header=BB1947_400 Depth=2
	s_or_b64 exec, exec, s[36:37]
	v_mov_b32_e32 v125, 0
	s_waitcnt lgkmcnt(0)
	s_barrier
	s_and_saveexec_b64 s[36:37], s[10:11]
	s_cbranch_execz .LBB1947_442
; %bb.441:                              ;   in Loop: Header=BB1947_400 Depth=2
	ds_read_b32 v125, v34 offset:1020
.LBB1947_442:                           ;   in Loop: Header=BB1947_400 Depth=2
	s_or_b64 exec, exec, s[36:37]
	s_waitcnt lgkmcnt(0)
	v_add_u32_e32 v21, v125, v21
	ds_bpermute_b32 v21, v69, v21
	s_waitcnt lgkmcnt(0)
	v_cndmask_b32_e64 v21, v21, v125, s[28:29]
	v_cndmask_b32_e64 v21, v21, 0, s[12:13]
	v_add_u32_e32 v5, v21, v5
	ds_write_b32 v41, v21 offset:1040
	v_add_u32_e32 v21, v5, v22
	v_add_u32_e32 v22, v21, v23
	ds_write2_b32 v43, v5, v21 offset0:1 offset1:2
	v_add_u32_e32 v5, v22, v20
	ds_write2_b32 v43, v22, v5 offset0:3 offset1:4
	s_waitcnt lgkmcnt(0)
	s_barrier
	ds_read_b32 v20, v99
	ds_read_b32 v21, v103
	;; [unrolled: 1-line block ×8, first 2 shown]
	ds_read_b32 v99, v41 offset:1040
	v_mov_b32_e32 v5, 0x800
	s_and_saveexec_b64 s[36:37], s[14:15]
	s_cbranch_execz .LBB1947_444
; %bb.443:                              ;   in Loop: Header=BB1947_400 Depth=2
	ds_read_b32 v5, v41 offset:1060
.LBB1947_444:                           ;   in Loop: Header=BB1947_400 Depth=2
	s_or_b64 exec, exec, s[36:37]
	s_waitcnt lgkmcnt(0)
	s_barrier
	s_and_saveexec_b64 s[36:37], s[4:5]
	s_cbranch_execz .LBB1947_446
; %bb.445:                              ;   in Loop: Header=BB1947_400 Depth=2
	ds_read_b32 v103, v3
	s_waitcnt lgkmcnt(0)
	v_sub_u32_e32 v99, v103, v99
	ds_write_b32 v3, v99
.LBB1947_446:                           ;   in Loop: Header=BB1947_400 Depth=2
	s_or_b64 exec, exec, s[36:37]
	v_add_u32_e32 v103, v95, v96
	v_add3_u32 v100, v100, v98, v20
	v_lshlrev_b32_e32 v20, 1, v103
	v_add3_u32 v99, v105, v102, v21
	ds_write_b16 v20, v94 offset:1024
	v_lshlrev_b32_e32 v20, 1, v100
	v_add3_u32 v98, v110, v107, v22
	ds_write_b16 v20, v97 offset:1024
	;; [unrolled: 3-line block ×6, first 2 shown]
	v_lshlrev_b32_e32 v20, 1, v23
	ds_write_b16 v20, v117 offset:1024
	v_lshlrev_b32_e32 v20, 1, v22
	v_cmp_lt_u32_e32 vcc, v2, v93
	ds_write_b16 v20, v121 offset:1024
	s_waitcnt lgkmcnt(0)
	s_barrier
	s_and_saveexec_b64 s[38:39], vcc
	s_cbranch_execz .LBB1947_454
; %bb.447:                              ;   in Loop: Header=BB1947_400 Depth=2
	ds_read_u16 v20, v49 offset:1024
	v_mov_b32_e32 v21, v4
	v_mov_b32_e32 v97, s59
	s_waitcnt lgkmcnt(0)
	v_cmp_ne_u16_e64 s[36:37], s68, v20
	v_cndmask_b32_e64 v94, v66, v20, s[36:37]
	v_lshrrev_b32_sdwa v94, s69, v94 dst_sel:DWORD dst_unused:UNUSED_PAD src0_sel:DWORD src1_sel:WORD_0
	v_and_b32_e32 v94, s78, v94
	v_lshlrev_b32_e32 v94, 2, v94
	ds_read_b32 v94, v94
	v_cmp_gt_i16_e64 s[36:37], 0, v20
	v_cndmask_b32_e64 v101, v66, 0, s[36:37]
	v_xor_b32_e32 v101, v101, v20
	s_waitcnt lgkmcnt(0)
	v_add_u32_e32 v20, v94, v2
	v_lshlrev_b64 v[20:21], 1, v[20:21]
	v_add_co_u32_e64 v20, s[36:37], s58, v20
	v_addc_co_u32_e64 v21, s[36:37], v97, v21, s[36:37]
	global_store_short v[20:21], v101, off
	s_or_b64 exec, exec, s[38:39]
	v_cmp_lt_u32_e64 s[36:37], v24, v93
	s_and_saveexec_b64 s[40:41], s[36:37]
	s_cbranch_execnz .LBB1947_455
.LBB1947_448:                           ;   in Loop: Header=BB1947_400 Depth=2
	s_or_b64 exec, exec, s[40:41]
	v_cmp_lt_u32_e64 s[38:39], v25, v93
	s_and_saveexec_b64 s[42:43], s[38:39]
	s_cbranch_execz .LBB1947_456
.LBB1947_449:                           ;   in Loop: Header=BB1947_400 Depth=2
	ds_read_u16 v20, v50 offset:1024
	v_mov_b32_e32 v21, v4
	v_mov_b32_e32 v97, s59
	s_waitcnt lgkmcnt(0)
	v_cmp_ne_u16_e64 s[40:41], s68, v20
	v_cndmask_b32_e64 v94, v66, v20, s[40:41]
	v_lshrrev_b32_sdwa v94, s69, v94 dst_sel:DWORD dst_unused:UNUSED_PAD src0_sel:DWORD src1_sel:WORD_0
	v_and_b32_e32 v94, s78, v94
	v_lshlrev_b32_e32 v94, 2, v94
	ds_read_b32 v94, v94
	v_cmp_gt_i16_e64 s[40:41], 0, v20
	v_cndmask_b32_e64 v101, v66, 0, s[40:41]
	v_xor_b32_e32 v101, v101, v20
	s_waitcnt lgkmcnt(0)
	v_add_u32_e32 v20, v94, v25
	v_lshlrev_b64 v[20:21], 1, v[20:21]
	v_add_co_u32_e64 v20, s[40:41], s58, v20
	v_addc_co_u32_e64 v21, s[40:41], v97, v21, s[40:41]
	global_store_short v[20:21], v101, off
	s_or_b64 exec, exec, s[42:43]
	v_cmp_lt_u32_e64 s[40:41], v26, v93
	s_and_saveexec_b64 s[44:45], s[40:41]
	s_cbranch_execnz .LBB1947_457
.LBB1947_450:                           ;   in Loop: Header=BB1947_400 Depth=2
	s_or_b64 exec, exec, s[44:45]
	v_cmp_lt_u32_e64 s[42:43], v29, v93
	s_and_saveexec_b64 s[46:47], s[42:43]
	s_cbranch_execz .LBB1947_458
.LBB1947_451:                           ;   in Loop: Header=BB1947_400 Depth=2
	ds_read_u16 v20, v50 offset:2048
	v_mov_b32_e32 v21, v4
	v_mov_b32_e32 v97, s59
	s_waitcnt lgkmcnt(0)
	v_cmp_ne_u16_e64 s[44:45], s68, v20
	v_cndmask_b32_e64 v94, v66, v20, s[44:45]
	v_lshrrev_b32_sdwa v94, s69, v94 dst_sel:DWORD dst_unused:UNUSED_PAD src0_sel:DWORD src1_sel:WORD_0
	v_and_b32_e32 v94, s78, v94
	v_lshlrev_b32_e32 v94, 2, v94
	ds_read_b32 v94, v94
	v_cmp_gt_i16_e64 s[44:45], 0, v20
	v_cndmask_b32_e64 v101, v66, 0, s[44:45]
	v_xor_b32_e32 v101, v101, v20
	s_waitcnt lgkmcnt(0)
	v_add_u32_e32 v20, v94, v29
	v_lshlrev_b64 v[20:21], 1, v[20:21]
	v_add_co_u32_e64 v20, s[44:45], s58, v20
	v_addc_co_u32_e64 v21, s[44:45], v97, v21, s[44:45]
	global_store_short v[20:21], v101, off
	s_or_b64 exec, exec, s[46:47]
	v_cmp_lt_u32_e64 s[44:45], v30, v93
	s_and_saveexec_b64 s[48:49], s[44:45]
	s_cbranch_execnz .LBB1947_459
.LBB1947_452:                           ;   in Loop: Header=BB1947_400 Depth=2
	s_or_b64 exec, exec, s[48:49]
	v_cmp_lt_u32_e64 s[46:47], v31, v93
	s_and_saveexec_b64 s[52:53], s[46:47]
	s_cbranch_execz .LBB1947_460
.LBB1947_453:                           ;   in Loop: Header=BB1947_400 Depth=2
	ds_read_u16 v20, v50 offset:3072
	v_mov_b32_e32 v21, v4
	v_mov_b32_e32 v97, s59
	s_waitcnt lgkmcnt(0)
	v_cmp_ne_u16_e64 s[48:49], s68, v20
	v_cndmask_b32_e64 v94, v66, v20, s[48:49]
	v_lshrrev_b32_sdwa v94, s69, v94 dst_sel:DWORD dst_unused:UNUSED_PAD src0_sel:DWORD src1_sel:WORD_0
	v_and_b32_e32 v94, s78, v94
	v_lshlrev_b32_e32 v94, 2, v94
	ds_read_b32 v94, v94
	v_cmp_gt_i16_e64 s[48:49], 0, v20
	v_cndmask_b32_e64 v101, v66, 0, s[48:49]
	v_xor_b32_e32 v101, v101, v20
	s_waitcnt lgkmcnt(0)
	v_add_u32_e32 v20, v94, v31
	v_lshlrev_b64 v[20:21], 1, v[20:21]
	v_add_co_u32_e64 v20, s[48:49], s58, v20
	v_addc_co_u32_e64 v21, s[48:49], v97, v21, s[48:49]
	global_store_short v[20:21], v101, off
	s_or_b64 exec, exec, s[52:53]
	v_cmp_lt_u32_e64 s[48:49], v32, v93
	s_and_saveexec_b64 s[62:63], s[48:49]
	s_cbranch_execnz .LBB1947_461
	s_branch .LBB1947_462
.LBB1947_454:                           ;   in Loop: Header=BB1947_400 Depth=2
	s_or_b64 exec, exec, s[38:39]
	v_cmp_lt_u32_e64 s[36:37], v24, v93
	s_and_saveexec_b64 s[40:41], s[36:37]
	s_cbranch_execz .LBB1947_448
.LBB1947_455:                           ;   in Loop: Header=BB1947_400 Depth=2
	ds_read_u16 v20, v50 offset:512
	v_mov_b32_e32 v21, v4
	v_mov_b32_e32 v97, s59
	s_waitcnt lgkmcnt(0)
	v_cmp_ne_u16_e64 s[38:39], s68, v20
	v_cndmask_b32_e64 v94, v66, v20, s[38:39]
	v_lshrrev_b32_sdwa v94, s69, v94 dst_sel:DWORD dst_unused:UNUSED_PAD src0_sel:DWORD src1_sel:WORD_0
	v_and_b32_e32 v94, s78, v94
	v_lshlrev_b32_e32 v94, 2, v94
	ds_read_b32 v94, v94
	v_cmp_gt_i16_e64 s[38:39], 0, v20
	v_cndmask_b32_e64 v101, v66, 0, s[38:39]
	v_xor_b32_e32 v101, v101, v20
	s_waitcnt lgkmcnt(0)
	v_add_u32_e32 v20, v94, v24
	v_lshlrev_b64 v[20:21], 1, v[20:21]
	v_add_co_u32_e64 v20, s[38:39], s58, v20
	v_addc_co_u32_e64 v21, s[38:39], v97, v21, s[38:39]
	global_store_short v[20:21], v101, off
	s_or_b64 exec, exec, s[40:41]
	v_cmp_lt_u32_e64 s[38:39], v25, v93
	s_and_saveexec_b64 s[42:43], s[38:39]
	s_cbranch_execnz .LBB1947_449
.LBB1947_456:                           ;   in Loop: Header=BB1947_400 Depth=2
	s_or_b64 exec, exec, s[42:43]
	v_cmp_lt_u32_e64 s[40:41], v26, v93
	s_and_saveexec_b64 s[44:45], s[40:41]
	s_cbranch_execz .LBB1947_450
.LBB1947_457:                           ;   in Loop: Header=BB1947_400 Depth=2
	ds_read_u16 v20, v50 offset:1536
	v_mov_b32_e32 v21, v4
	v_mov_b32_e32 v97, s59
	s_waitcnt lgkmcnt(0)
	v_cmp_ne_u16_e64 s[42:43], s68, v20
	v_cndmask_b32_e64 v94, v66, v20, s[42:43]
	v_lshrrev_b32_sdwa v94, s69, v94 dst_sel:DWORD dst_unused:UNUSED_PAD src0_sel:DWORD src1_sel:WORD_0
	v_and_b32_e32 v94, s78, v94
	v_lshlrev_b32_e32 v94, 2, v94
	ds_read_b32 v94, v94
	v_cmp_gt_i16_e64 s[42:43], 0, v20
	v_cndmask_b32_e64 v101, v66, 0, s[42:43]
	v_xor_b32_e32 v101, v101, v20
	s_waitcnt lgkmcnt(0)
	v_add_u32_e32 v20, v94, v26
	v_lshlrev_b64 v[20:21], 1, v[20:21]
	v_add_co_u32_e64 v20, s[42:43], s58, v20
	v_addc_co_u32_e64 v21, s[42:43], v97, v21, s[42:43]
	global_store_short v[20:21], v101, off
	s_or_b64 exec, exec, s[44:45]
	v_cmp_lt_u32_e64 s[42:43], v29, v93
	s_and_saveexec_b64 s[46:47], s[42:43]
	s_cbranch_execnz .LBB1947_451
.LBB1947_458:                           ;   in Loop: Header=BB1947_400 Depth=2
	s_or_b64 exec, exec, s[46:47]
	v_cmp_lt_u32_e64 s[44:45], v30, v93
	s_and_saveexec_b64 s[48:49], s[44:45]
	s_cbranch_execz .LBB1947_452
.LBB1947_459:                           ;   in Loop: Header=BB1947_400 Depth=2
	ds_read_u16 v20, v50 offset:2560
	v_mov_b32_e32 v21, v4
	v_mov_b32_e32 v97, s59
	s_waitcnt lgkmcnt(0)
	v_cmp_ne_u16_e64 s[46:47], s68, v20
	v_cndmask_b32_e64 v94, v66, v20, s[46:47]
	v_lshrrev_b32_sdwa v94, s69, v94 dst_sel:DWORD dst_unused:UNUSED_PAD src0_sel:DWORD src1_sel:WORD_0
	v_and_b32_e32 v94, s78, v94
	v_lshlrev_b32_e32 v94, 2, v94
	ds_read_b32 v94, v94
	v_cmp_gt_i16_e64 s[46:47], 0, v20
	v_cndmask_b32_e64 v101, v66, 0, s[46:47]
	v_xor_b32_e32 v101, v101, v20
	s_waitcnt lgkmcnt(0)
	v_add_u32_e32 v20, v94, v30
	v_lshlrev_b64 v[20:21], 1, v[20:21]
	v_add_co_u32_e64 v20, s[46:47], s58, v20
	v_addc_co_u32_e64 v21, s[46:47], v97, v21, s[46:47]
	global_store_short v[20:21], v101, off
	s_or_b64 exec, exec, s[48:49]
	v_cmp_lt_u32_e64 s[46:47], v31, v93
	s_and_saveexec_b64 s[52:53], s[46:47]
	s_cbranch_execnz .LBB1947_453
.LBB1947_460:                           ;   in Loop: Header=BB1947_400 Depth=2
	s_or_b64 exec, exec, s[52:53]
	v_cmp_lt_u32_e64 s[48:49], v32, v93
	s_and_saveexec_b64 s[62:63], s[48:49]
	s_cbranch_execz .LBB1947_462
.LBB1947_461:                           ;   in Loop: Header=BB1947_400 Depth=2
	ds_read_u16 v20, v50 offset:3584
	v_mov_b32_e32 v21, v4
	v_mov_b32_e32 v97, s59
	s_waitcnt lgkmcnt(0)
	v_cmp_ne_u16_e64 s[52:53], s68, v20
	v_cndmask_b32_e64 v94, v66, v20, s[52:53]
	v_lshrrev_b32_sdwa v94, s69, v94 dst_sel:DWORD dst_unused:UNUSED_PAD src0_sel:DWORD src1_sel:WORD_0
	v_and_b32_e32 v94, s78, v94
	v_lshlrev_b32_e32 v94, 2, v94
	ds_read_b32 v94, v94
	v_cmp_gt_i16_e64 s[52:53], 0, v20
	v_cndmask_b32_e64 v101, v66, 0, s[52:53]
	v_xor_b32_e32 v101, v101, v20
	s_waitcnt lgkmcnt(0)
	v_add_u32_e32 v20, v94, v32
	v_lshlrev_b64 v[20:21], 1, v[20:21]
	v_add_co_u32_e64 v20, s[52:53], s58, v20
	v_addc_co_u32_e64 v21, s[52:53], v97, v21, s[52:53]
	global_store_short v[20:21], v101, off
.LBB1947_462:                           ;   in Loop: Header=BB1947_400 Depth=2
	s_or_b64 exec, exec, s[62:63]
	s_lshl_b64 s[52:53], s[72:73], 3
	v_mov_b32_e32 v21, s53
	v_add_co_u32_e64 v20, s[52:53], s52, v77
	v_addc_co_u32_e64 v21, s[52:53], v79, v21, s[52:53]
	v_cmp_lt_u32_e64 s[52:53], v74, v93
	s_and_saveexec_b64 s[62:63], s[52:53]
	s_xor_b64 s[52:53], exec, s[62:63]
	s_cbranch_execz .LBB1947_478
; %bb.463:                              ;   in Loop: Header=BB1947_400 Depth=2
	global_load_dwordx2 v[18:19], v[20:21], off
	s_or_b64 exec, exec, s[52:53]
	v_cmp_lt_u32_e64 s[52:53], v81, v93
	s_and_saveexec_b64 s[62:63], s[52:53]
	s_cbranch_execnz .LBB1947_479
.LBB1947_464:                           ;   in Loop: Header=BB1947_400 Depth=2
	s_or_b64 exec, exec, s[62:63]
	v_cmp_lt_u32_e64 s[52:53], v82, v93
	s_and_saveexec_b64 s[62:63], s[52:53]
	s_cbranch_execz .LBB1947_480
.LBB1947_465:                           ;   in Loop: Header=BB1947_400 Depth=2
	global_load_dwordx2 v[14:15], v[20:21], off offset:1024
	s_or_b64 exec, exec, s[62:63]
	v_cmp_lt_u32_e64 s[52:53], v83, v93
	s_and_saveexec_b64 s[62:63], s[52:53]
	s_cbranch_execnz .LBB1947_481
.LBB1947_466:                           ;   in Loop: Header=BB1947_400 Depth=2
	s_or_b64 exec, exec, s[62:63]
	v_cmp_lt_u32_e64 s[52:53], v84, v93
	s_and_saveexec_b64 s[62:63], s[52:53]
	s_cbranch_execz .LBB1947_482
.LBB1947_467:                           ;   in Loop: Header=BB1947_400 Depth=2
	global_load_dwordx2 v[10:11], v[20:21], off offset:2048
	s_or_b64 exec, exec, s[62:63]
	v_cmp_lt_u32_e64 s[52:53], v85, v93
	s_and_saveexec_b64 s[62:63], s[52:53]
	s_cbranch_execnz .LBB1947_483
.LBB1947_468:                           ;   in Loop: Header=BB1947_400 Depth=2
	s_or_b64 exec, exec, s[62:63]
	v_cmp_lt_u32_e64 s[52:53], v86, v93
	s_and_saveexec_b64 s[62:63], s[52:53]
	s_cbranch_execz .LBB1947_484
.LBB1947_469:                           ;   in Loop: Header=BB1947_400 Depth=2
	global_load_dwordx2 v[6:7], v[20:21], off offset:3072
	s_or_b64 exec, exec, s[62:63]
	v_cmp_lt_u32_e64 s[52:53], v87, v93
	s_and_saveexec_b64 s[62:63], s[52:53]
	s_cbranch_execnz .LBB1947_485
.LBB1947_470:                           ;   in Loop: Header=BB1947_400 Depth=2
	s_or_b64 exec, exec, s[62:63]
	s_and_saveexec_b64 s[62:63], vcc
	s_cbranch_execz .LBB1947_486
.LBB1947_471:                           ;   in Loop: Header=BB1947_400 Depth=2
	ds_read_u16 v20, v49 offset:1024
	s_waitcnt lgkmcnt(0)
	v_cmp_ne_u16_e64 s[52:53], s68, v20
	v_cndmask_b32_e64 v20, v66, v20, s[52:53]
	v_lshrrev_b32_sdwa v20, s69, v20 dst_sel:DWORD dst_unused:UNUSED_PAD src0_sel:DWORD src1_sel:WORD_0
	v_and_b32_e32 v80, s78, v20
	s_or_b64 exec, exec, s[62:63]
	s_and_saveexec_b64 s[62:63], s[36:37]
	s_cbranch_execnz .LBB1947_487
.LBB1947_472:                           ;   in Loop: Header=BB1947_400 Depth=2
	s_or_b64 exec, exec, s[62:63]
	s_and_saveexec_b64 s[62:63], s[38:39]
	s_cbranch_execz .LBB1947_488
.LBB1947_473:                           ;   in Loop: Header=BB1947_400 Depth=2
	ds_read_u16 v20, v50 offset:1024
	s_waitcnt lgkmcnt(0)
	v_cmp_ne_u16_e64 s[52:53], s68, v20
	v_cndmask_b32_e64 v20, v66, v20, s[52:53]
	v_lshrrev_b32_sdwa v20, s69, v20 dst_sel:DWORD dst_unused:UNUSED_PAD src0_sel:DWORD src1_sel:WORD_0
	v_and_b32_e32 v76, s78, v20
	s_or_b64 exec, exec, s[62:63]
	s_and_saveexec_b64 s[62:63], s[40:41]
	s_cbranch_execnz .LBB1947_489
.LBB1947_474:                           ;   in Loop: Header=BB1947_400 Depth=2
	s_or_b64 exec, exec, s[62:63]
	s_and_saveexec_b64 s[62:63], s[42:43]
	s_cbranch_execz .LBB1947_490
.LBB1947_475:                           ;   in Loop: Header=BB1947_400 Depth=2
	ds_read_u16 v20, v50 offset:2048
	s_waitcnt lgkmcnt(0)
	v_cmp_ne_u16_e64 s[52:53], s68, v20
	v_cndmask_b32_e64 v20, v66, v20, s[52:53]
	v_lshrrev_b32_sdwa v20, s69, v20 dst_sel:DWORD dst_unused:UNUSED_PAD src0_sel:DWORD src1_sel:WORD_0
	v_and_b32_e32 v73, s78, v20
	s_or_b64 exec, exec, s[62:63]
	s_and_saveexec_b64 s[62:63], s[44:45]
	s_cbranch_execnz .LBB1947_491
.LBB1947_476:                           ;   in Loop: Header=BB1947_400 Depth=2
	s_or_b64 exec, exec, s[62:63]
	s_and_saveexec_b64 s[62:63], s[46:47]
	s_cbranch_execz .LBB1947_492
.LBB1947_477:                           ;   in Loop: Header=BB1947_400 Depth=2
	ds_read_u16 v20, v50 offset:3072
	s_waitcnt lgkmcnt(0)
	v_cmp_ne_u16_e64 s[52:53], s68, v20
	v_cndmask_b32_e64 v20, v66, v20, s[52:53]
	v_lshrrev_b32_sdwa v20, s69, v20 dst_sel:DWORD dst_unused:UNUSED_PAD src0_sel:DWORD src1_sel:WORD_0
	v_and_b32_e32 v71, s78, v20
	s_or_b64 exec, exec, s[62:63]
	s_and_saveexec_b64 s[62:63], s[48:49]
	s_cbranch_execnz .LBB1947_493
	s_branch .LBB1947_494
.LBB1947_478:                           ;   in Loop: Header=BB1947_400 Depth=2
	s_or_b64 exec, exec, s[52:53]
	v_cmp_lt_u32_e64 s[52:53], v81, v93
	s_and_saveexec_b64 s[62:63], s[52:53]
	s_cbranch_execz .LBB1947_464
.LBB1947_479:                           ;   in Loop: Header=BB1947_400 Depth=2
	global_load_dwordx2 v[16:17], v[20:21], off offset:512
	s_or_b64 exec, exec, s[62:63]
	v_cmp_lt_u32_e64 s[52:53], v82, v93
	s_and_saveexec_b64 s[62:63], s[52:53]
	s_cbranch_execnz .LBB1947_465
.LBB1947_480:                           ;   in Loop: Header=BB1947_400 Depth=2
	s_or_b64 exec, exec, s[62:63]
	v_cmp_lt_u32_e64 s[52:53], v83, v93
	s_and_saveexec_b64 s[62:63], s[52:53]
	s_cbranch_execz .LBB1947_466
.LBB1947_481:                           ;   in Loop: Header=BB1947_400 Depth=2
	global_load_dwordx2 v[12:13], v[20:21], off offset:1536
	s_or_b64 exec, exec, s[62:63]
	v_cmp_lt_u32_e64 s[52:53], v84, v93
	s_and_saveexec_b64 s[62:63], s[52:53]
	s_cbranch_execnz .LBB1947_467
.LBB1947_482:                           ;   in Loop: Header=BB1947_400 Depth=2
	s_or_b64 exec, exec, s[62:63]
	v_cmp_lt_u32_e64 s[52:53], v85, v93
	s_and_saveexec_b64 s[62:63], s[52:53]
	s_cbranch_execz .LBB1947_468
.LBB1947_483:                           ;   in Loop: Header=BB1947_400 Depth=2
	global_load_dwordx2 v[8:9], v[20:21], off offset:2560
	s_or_b64 exec, exec, s[62:63]
	v_cmp_lt_u32_e64 s[52:53], v86, v93
	s_and_saveexec_b64 s[62:63], s[52:53]
	s_cbranch_execnz .LBB1947_469
.LBB1947_484:                           ;   in Loop: Header=BB1947_400 Depth=2
	s_or_b64 exec, exec, s[62:63]
	v_cmp_lt_u32_e64 s[52:53], v87, v93
	s_and_saveexec_b64 s[62:63], s[52:53]
	s_cbranch_execz .LBB1947_470
.LBB1947_485:                           ;   in Loop: Header=BB1947_400 Depth=2
	global_load_dwordx2 v[0:1], v[20:21], off offset:3584
	s_or_b64 exec, exec, s[62:63]
	s_and_saveexec_b64 s[62:63], vcc
	s_cbranch_execnz .LBB1947_471
.LBB1947_486:                           ;   in Loop: Header=BB1947_400 Depth=2
	s_or_b64 exec, exec, s[62:63]
	s_and_saveexec_b64 s[62:63], s[36:37]
	s_cbranch_execz .LBB1947_472
.LBB1947_487:                           ;   in Loop: Header=BB1947_400 Depth=2
	ds_read_u16 v20, v50 offset:512
	s_waitcnt lgkmcnt(0)
	v_cmp_ne_u16_e64 s[52:53], s68, v20
	v_cndmask_b32_e64 v20, v66, v20, s[52:53]
	v_lshrrev_b32_sdwa v20, s69, v20 dst_sel:DWORD dst_unused:UNUSED_PAD src0_sel:DWORD src1_sel:WORD_0
	v_and_b32_e32 v78, s78, v20
	s_or_b64 exec, exec, s[62:63]
	s_and_saveexec_b64 s[62:63], s[38:39]
	s_cbranch_execnz .LBB1947_473
.LBB1947_488:                           ;   in Loop: Header=BB1947_400 Depth=2
	s_or_b64 exec, exec, s[62:63]
	s_and_saveexec_b64 s[62:63], s[40:41]
	s_cbranch_execz .LBB1947_474
.LBB1947_489:                           ;   in Loop: Header=BB1947_400 Depth=2
	ds_read_u16 v20, v50 offset:1536
	s_waitcnt lgkmcnt(0)
	v_cmp_ne_u16_e64 s[52:53], s68, v20
	v_cndmask_b32_e64 v20, v66, v20, s[52:53]
	v_lshrrev_b32_sdwa v20, s69, v20 dst_sel:DWORD dst_unused:UNUSED_PAD src0_sel:DWORD src1_sel:WORD_0
	v_and_b32_e32 v75, s78, v20
	s_or_b64 exec, exec, s[62:63]
	s_and_saveexec_b64 s[62:63], s[42:43]
	s_cbranch_execnz .LBB1947_475
.LBB1947_490:                           ;   in Loop: Header=BB1947_400 Depth=2
	s_or_b64 exec, exec, s[62:63]
	s_and_saveexec_b64 s[62:63], s[44:45]
	s_cbranch_execz .LBB1947_476
.LBB1947_491:                           ;   in Loop: Header=BB1947_400 Depth=2
	ds_read_u16 v20, v50 offset:2560
	s_waitcnt lgkmcnt(0)
	v_cmp_ne_u16_e64 s[52:53], s68, v20
	v_cndmask_b32_e64 v20, v66, v20, s[52:53]
	v_lshrrev_b32_sdwa v20, s69, v20 dst_sel:DWORD dst_unused:UNUSED_PAD src0_sel:DWORD src1_sel:WORD_0
	v_and_b32_e32 v72, s78, v20
	s_or_b64 exec, exec, s[62:63]
	s_and_saveexec_b64 s[62:63], s[46:47]
	s_cbranch_execnz .LBB1947_477
.LBB1947_492:                           ;   in Loop: Header=BB1947_400 Depth=2
	s_or_b64 exec, exec, s[62:63]
	s_and_saveexec_b64 s[62:63], s[48:49]
	s_cbranch_execz .LBB1947_494
.LBB1947_493:                           ;   in Loop: Header=BB1947_400 Depth=2
	ds_read_u16 v20, v50 offset:3584
	s_waitcnt lgkmcnt(0)
	v_cmp_ne_u16_e64 s[52:53], s68, v20
	v_cndmask_b32_e64 v20, v66, v20, s[52:53]
	v_lshrrev_b32_sdwa v20, s69, v20 dst_sel:DWORD dst_unused:UNUSED_PAD src0_sel:DWORD src1_sel:WORD_0
	v_and_b32_e32 v70, s78, v20
.LBB1947_494:                           ;   in Loop: Header=BB1947_400 Depth=2
	s_or_b64 exec, exec, s[62:63]
	v_lshlrev_b32_e32 v20, 3, v103
	s_barrier
	s_waitcnt vmcnt(0)
	ds_write_b64 v20, v[18:19] offset:1024
	v_lshlrev_b32_e32 v20, 3, v100
	ds_write_b64 v20, v[16:17] offset:1024
	v_lshlrev_b32_e32 v20, 3, v99
	;; [unrolled: 2-line block ×7, first 2 shown]
	ds_write_b64 v20, v[0:1] offset:1024
	s_waitcnt lgkmcnt(0)
	s_barrier
	s_and_saveexec_b64 s[52:53], vcc
	s_cbranch_execz .LBB1947_502
; %bb.495:                              ;   in Loop: Header=BB1947_400 Depth=2
	v_lshlrev_b32_e32 v20, 2, v80
	ds_read_b32 v20, v20
	v_add_u32_e32 v22, v49, v51
	ds_read_b64 v[22:23], v22 offset:1024
	v_mov_b32_e32 v21, v4
	v_mov_b32_e32 v93, s65
	s_waitcnt lgkmcnt(1)
	v_add_u32_e32 v20, v20, v2
	v_lshlrev_b64 v[20:21], 3, v[20:21]
	v_add_co_u32_e32 v20, vcc, s64, v20
	v_addc_co_u32_e32 v21, vcc, v93, v21, vcc
	s_waitcnt lgkmcnt(0)
	global_store_dwordx2 v[20:21], v[22:23], off
	s_or_b64 exec, exec, s[52:53]
	s_and_saveexec_b64 s[52:53], s[36:37]
	s_cbranch_execnz .LBB1947_503
.LBB1947_496:                           ;   in Loop: Header=BB1947_400 Depth=2
	s_or_b64 exec, exec, s[52:53]
	s_and_saveexec_b64 s[36:37], s[38:39]
	s_cbranch_execz .LBB1947_504
.LBB1947_497:                           ;   in Loop: Header=BB1947_400 Depth=2
	v_lshlrev_b32_e32 v20, 2, v76
	ds_read_b32 v22, v20
	v_add_u32_e32 v20, v50, v51
	ds_read_b64 v[20:21], v20 offset:4096
	v_mov_b32_e32 v23, v4
	v_mov_b32_e32 v93, s65
	s_waitcnt lgkmcnt(1)
	v_add_u32_e32 v22, v22, v25
	v_lshlrev_b64 v[22:23], 3, v[22:23]
	v_add_co_u32_e32 v22, vcc, s64, v22
	v_addc_co_u32_e32 v23, vcc, v93, v23, vcc
	s_waitcnt lgkmcnt(0)
	global_store_dwordx2 v[22:23], v[20:21], off
	s_or_b64 exec, exec, s[36:37]
	s_and_saveexec_b64 s[36:37], s[40:41]
	s_cbranch_execnz .LBB1947_505
.LBB1947_498:                           ;   in Loop: Header=BB1947_400 Depth=2
	s_or_b64 exec, exec, s[36:37]
	s_and_saveexec_b64 s[36:37], s[42:43]
	s_cbranch_execz .LBB1947_506
.LBB1947_499:                           ;   in Loop: Header=BB1947_400 Depth=2
	v_lshlrev_b32_e32 v20, 2, v73
	ds_read_b32 v22, v20
	v_add_u32_e32 v20, v50, v51
	ds_read_b64 v[20:21], v20 offset:8192
	v_mov_b32_e32 v23, v4
	v_mov_b32_e32 v93, s65
	s_waitcnt lgkmcnt(1)
	v_add_u32_e32 v22, v22, v29
	v_lshlrev_b64 v[22:23], 3, v[22:23]
	v_add_co_u32_e32 v22, vcc, s64, v22
	v_addc_co_u32_e32 v23, vcc, v93, v23, vcc
	s_waitcnt lgkmcnt(0)
	global_store_dwordx2 v[22:23], v[20:21], off
	s_or_b64 exec, exec, s[36:37]
	s_and_saveexec_b64 s[36:37], s[44:45]
	s_cbranch_execnz .LBB1947_507
.LBB1947_500:                           ;   in Loop: Header=BB1947_400 Depth=2
	s_or_b64 exec, exec, s[36:37]
	s_and_saveexec_b64 s[36:37], s[46:47]
	s_cbranch_execz .LBB1947_508
.LBB1947_501:                           ;   in Loop: Header=BB1947_400 Depth=2
	v_lshlrev_b32_e32 v20, 2, v71
	ds_read_b32 v22, v20
	v_add_u32_e32 v20, v50, v51
	ds_read_b64 v[20:21], v20 offset:12288
	v_mov_b32_e32 v23, v4
	v_mov_b32_e32 v93, s65
	s_waitcnt lgkmcnt(1)
	v_add_u32_e32 v22, v22, v31
	v_lshlrev_b64 v[22:23], 3, v[22:23]
	v_add_co_u32_e32 v22, vcc, s64, v22
	v_addc_co_u32_e32 v23, vcc, v93, v23, vcc
	s_waitcnt lgkmcnt(0)
	global_store_dwordx2 v[22:23], v[20:21], off
	s_or_b64 exec, exec, s[36:37]
	s_and_saveexec_b64 s[36:37], s[48:49]
	s_cbranch_execnz .LBB1947_509
	s_branch .LBB1947_510
.LBB1947_502:                           ;   in Loop: Header=BB1947_400 Depth=2
	s_or_b64 exec, exec, s[52:53]
	s_and_saveexec_b64 s[52:53], s[36:37]
	s_cbranch_execz .LBB1947_496
.LBB1947_503:                           ;   in Loop: Header=BB1947_400 Depth=2
	v_lshlrev_b32_e32 v20, 2, v78
	ds_read_b32 v22, v20
	v_add_u32_e32 v20, v50, v51
	ds_read_b64 v[20:21], v20 offset:2048
	v_mov_b32_e32 v23, v4
	v_mov_b32_e32 v93, s65
	s_waitcnt lgkmcnt(1)
	v_add_u32_e32 v22, v22, v24
	v_lshlrev_b64 v[22:23], 3, v[22:23]
	v_add_co_u32_e32 v22, vcc, s64, v22
	v_addc_co_u32_e32 v23, vcc, v93, v23, vcc
	s_waitcnt lgkmcnt(0)
	global_store_dwordx2 v[22:23], v[20:21], off
	s_or_b64 exec, exec, s[52:53]
	s_and_saveexec_b64 s[36:37], s[38:39]
	s_cbranch_execnz .LBB1947_497
.LBB1947_504:                           ;   in Loop: Header=BB1947_400 Depth=2
	s_or_b64 exec, exec, s[36:37]
	s_and_saveexec_b64 s[36:37], s[40:41]
	s_cbranch_execz .LBB1947_498
.LBB1947_505:                           ;   in Loop: Header=BB1947_400 Depth=2
	v_lshlrev_b32_e32 v20, 2, v75
	ds_read_b32 v22, v20
	v_add_u32_e32 v20, v50, v51
	ds_read_b64 v[20:21], v20 offset:6144
	v_mov_b32_e32 v23, v4
	v_mov_b32_e32 v93, s65
	s_waitcnt lgkmcnt(1)
	v_add_u32_e32 v22, v22, v26
	v_lshlrev_b64 v[22:23], 3, v[22:23]
	v_add_co_u32_e32 v22, vcc, s64, v22
	v_addc_co_u32_e32 v23, vcc, v93, v23, vcc
	s_waitcnt lgkmcnt(0)
	global_store_dwordx2 v[22:23], v[20:21], off
	s_or_b64 exec, exec, s[36:37]
	s_and_saveexec_b64 s[36:37], s[42:43]
	s_cbranch_execnz .LBB1947_499
.LBB1947_506:                           ;   in Loop: Header=BB1947_400 Depth=2
	s_or_b64 exec, exec, s[36:37]
	s_and_saveexec_b64 s[36:37], s[44:45]
	s_cbranch_execz .LBB1947_500
.LBB1947_507:                           ;   in Loop: Header=BB1947_400 Depth=2
	v_lshlrev_b32_e32 v20, 2, v72
	ds_read_b32 v22, v20
	v_add_u32_e32 v20, v50, v51
	ds_read_b64 v[20:21], v20 offset:10240
	v_mov_b32_e32 v23, v4
	v_mov_b32_e32 v93, s65
	s_waitcnt lgkmcnt(1)
	v_add_u32_e32 v22, v22, v30
	v_lshlrev_b64 v[22:23], 3, v[22:23]
	v_add_co_u32_e32 v22, vcc, s64, v22
	v_addc_co_u32_e32 v23, vcc, v93, v23, vcc
	s_waitcnt lgkmcnt(0)
	global_store_dwordx2 v[22:23], v[20:21], off
	s_or_b64 exec, exec, s[36:37]
	s_and_saveexec_b64 s[36:37], s[46:47]
	s_cbranch_execnz .LBB1947_501
.LBB1947_508:                           ;   in Loop: Header=BB1947_400 Depth=2
	s_or_b64 exec, exec, s[36:37]
	s_and_saveexec_b64 s[36:37], s[48:49]
	s_cbranch_execz .LBB1947_510
.LBB1947_509:                           ;   in Loop: Header=BB1947_400 Depth=2
	v_lshlrev_b32_e32 v20, 2, v70
	ds_read_b32 v22, v20
	v_add_u32_e32 v20, v50, v51
	ds_read_b64 v[20:21], v20 offset:14336
	v_mov_b32_e32 v23, v4
	v_mov_b32_e32 v93, s65
	s_waitcnt lgkmcnt(1)
	v_add_u32_e32 v22, v22, v32
	v_lshlrev_b64 v[22:23], 3, v[22:23]
	v_add_co_u32_e32 v22, vcc, s64, v22
	v_addc_co_u32_e32 v23, vcc, v93, v23, vcc
	s_waitcnt lgkmcnt(0)
	global_store_dwordx2 v[22:23], v[20:21], off
.LBB1947_510:                           ;   in Loop: Header=BB1947_400 Depth=2
	s_or_b64 exec, exec, s[36:37]
	s_barrier
	s_and_saveexec_b64 s[36:37], s[4:5]
	s_cbranch_execz .LBB1947_399
; %bb.511:                              ;   in Loop: Header=BB1947_400 Depth=2
	ds_read_b32 v20, v3
	s_waitcnt lgkmcnt(0)
	v_add_u32_e32 v5, v20, v5
	ds_write_b32 v3, v5
	s_branch .LBB1947_399
.LBB1947_512:                           ;   in Loop: Header=BB1947_12 Depth=1
	s_waitcnt lgkmcnt(0)
	s_barrier
	s_mov_b64 s[16:17], 0
.LBB1947_513:                           ;   in Loop: Header=BB1947_12 Depth=1
	s_and_b64 vcc, exec, s[16:17]
	s_cbranch_vccz .LBB1947_11
; %bb.514:                              ;   in Loop: Header=BB1947_12 Depth=1
	s_mov_b32 s22, s71
	s_mov_b32 s72, s51
	s_barrier
	s_waitcnt lgkmcnt(0)
                                        ; implicit-def: $vgpr12
                                        ; implicit-def: $vgpr5
                                        ; implicit-def: $vgpr6
                                        ; implicit-def: $vgpr7
                                        ; implicit-def: $vgpr8
                                        ; implicit-def: $vgpr9
                                        ; implicit-def: $vgpr10
                                        ; implicit-def: $vgpr11
	s_branch .LBB1947_516
.LBB1947_515:                           ;   in Loop: Header=BB1947_516 Depth=2
	s_or_b64 exec, exec, s[16:17]
	s_addk_i32 s22, 0xf800
	s_cmp_ge_u32 s23, s76
	s_mov_b32 s72, s23
	s_cbranch_scc1 .LBB1947_554
.LBB1947_516:                           ;   Parent Loop BB1947_12 Depth=1
                                        ; =>  This Inner Loop Header: Depth=2
	s_add_i32 s23, s72, 0x800
	s_cmp_gt_u32 s23, s76
	s_cbranch_scc1 .LBB1947_519
; %bb.517:                              ;   in Loop: Header=BB1947_516 Depth=2
	s_lshl_b64 s[16:17], s[72:73], 1
	v_mov_b32_e32 v1, s17
	v_add_co_u32_e32 v0, vcc, s16, v58
	v_addc_co_u32_e32 v1, vcc, v59, v1, vcc
	global_load_ushort v14, v[0:1], off
	global_load_ushort v15, v[0:1], off offset:512
	global_load_ushort v16, v[0:1], off offset:1024
	;; [unrolled: 1-line block ×6, first 2 shown]
	v_add_co_u32_e32 v0, vcc, 0xe00, v0
	v_addc_co_u32_e32 v1, vcc, 0, v1, vcc
	s_mov_b64 s[16:17], -1
	s_movk_i32 s24, 0x800
	s_cbranch_execz .LBB1947_520
; %bb.518:                              ;   in Loop: Header=BB1947_516 Depth=2
                                        ; implicit-def: $vgpr11
                                        ; implicit-def: $vgpr10
                                        ; implicit-def: $vgpr9
                                        ; implicit-def: $vgpr8
                                        ; implicit-def: $vgpr7
                                        ; implicit-def: $vgpr6
                                        ; implicit-def: $vgpr5
                                        ; implicit-def: $vgpr12
	v_mov_b32_e32 v13, s22
	s_and_saveexec_b64 s[18:19], s[16:17]
	s_cbranch_execnz .LBB1947_531
	s_branch .LBB1947_532
.LBB1947_519:                           ;   in Loop: Header=BB1947_516 Depth=2
	s_mov_b64 s[16:17], 0
                                        ; implicit-def: $sgpr24
                                        ; implicit-def: $vgpr14
                                        ; implicit-def: $vgpr15
                                        ; implicit-def: $vgpr16
                                        ; implicit-def: $vgpr17
                                        ; implicit-def: $vgpr18
                                        ; implicit-def: $vgpr19
                                        ; implicit-def: $vgpr20
                                        ; implicit-def: $vgpr0_vgpr1
.LBB1947_520:                           ;   in Loop: Header=BB1947_516 Depth=2
	s_lshl_b64 s[18:19], s[72:73], 1
	s_add_u32 s18, s56, s18
	s_addc_u32 s19, s57, s19
	v_cmp_gt_u32_e32 vcc, s22, v2
	s_and_saveexec_b64 s[20:21], vcc
	s_cbranch_execz .LBB1947_548
; %bb.521:                              ;   in Loop: Header=BB1947_516 Depth=2
	global_load_ushort v11, v65, s[18:19]
	s_or_b64 exec, exec, s[20:21]
	v_cmp_gt_u32_e32 vcc, s22, v24
	s_and_saveexec_b64 s[20:21], vcc
	s_cbranch_execnz .LBB1947_549
.LBB1947_522:                           ;   in Loop: Header=BB1947_516 Depth=2
	s_or_b64 exec, exec, s[20:21]
	v_cmp_gt_u32_e32 vcc, s22, v25
	s_and_saveexec_b64 s[20:21], vcc
	s_cbranch_execz .LBB1947_550
.LBB1947_523:                           ;   in Loop: Header=BB1947_516 Depth=2
	global_load_ushort v9, v65, s[18:19] offset:1024
	s_or_b64 exec, exec, s[20:21]
	v_cmp_gt_u32_e32 vcc, s22, v26
	s_and_saveexec_b64 s[20:21], vcc
	s_cbranch_execnz .LBB1947_551
.LBB1947_524:                           ;   in Loop: Header=BB1947_516 Depth=2
	s_or_b64 exec, exec, s[20:21]
	v_cmp_gt_u32_e32 vcc, s22, v29
	s_and_saveexec_b64 s[20:21], vcc
	s_cbranch_execz .LBB1947_552
.LBB1947_525:                           ;   in Loop: Header=BB1947_516 Depth=2
	global_load_ushort v7, v65, s[18:19] offset:2048
	s_or_b64 exec, exec, s[20:21]
	v_cmp_gt_u32_e32 vcc, s22, v30
	s_and_saveexec_b64 s[20:21], vcc
	s_cbranch_execnz .LBB1947_553
.LBB1947_526:                           ;   in Loop: Header=BB1947_516 Depth=2
	s_or_b64 exec, exec, s[20:21]
	v_cmp_gt_u32_e32 vcc, s22, v31
	s_and_saveexec_b64 s[20:21], vcc
	s_cbranch_execz .LBB1947_528
.LBB1947_527:                           ;   in Loop: Header=BB1947_516 Depth=2
	global_load_ushort v5, v65, s[18:19] offset:3072
.LBB1947_528:                           ;   in Loop: Header=BB1947_516 Depth=2
	s_or_b64 exec, exec, s[20:21]
	v_cmp_gt_u32_e32 vcc, s22, v32
                                        ; implicit-def: $sgpr24
                                        ; implicit-def: $vgpr0_vgpr1
	s_and_saveexec_b64 s[20:21], vcc
	s_cbranch_execz .LBB1947_530
; %bb.529:                              ;   in Loop: Header=BB1947_516 Depth=2
	v_mov_b32_e32 v0, s19
	v_add_co_u32_e32 v1, vcc, s18, v65
	s_waitcnt vmcnt(0)
	v_addc_co_u32_e32 v12, vcc, 0, v0, vcc
	v_add_co_u32_e32 v0, vcc, 0xe00, v1
	s_sub_i32 s24, s76, s72
	v_addc_co_u32_e32 v1, vcc, 0, v12, vcc
	s_or_b64 s[16:17], s[16:17], exec
                                        ; implicit-def: $vgpr12
.LBB1947_530:                           ;   in Loop: Header=BB1947_516 Depth=2
	s_or_b64 exec, exec, s[20:21]
	s_waitcnt vmcnt(0)
	v_mov_b32_e32 v14, v11
	v_mov_b32_e32 v15, v10
	v_mov_b32_e32 v16, v9
	v_mov_b32_e32 v17, v8
	v_mov_b32_e32 v18, v7
	v_mov_b32_e32 v19, v6
	v_mov_b32_e32 v20, v5
	v_mov_b32_e32 v13, s22
	s_and_saveexec_b64 s[18:19], s[16:17]
	s_cbranch_execz .LBB1947_532
.LBB1947_531:                           ;   in Loop: Header=BB1947_516 Depth=2
	global_load_ushort v12, v[0:1], off
	v_mov_b32_e32 v13, s24
	s_waitcnt vmcnt(1)
	v_mov_b32_e32 v5, v20
	v_mov_b32_e32 v6, v19
	;; [unrolled: 1-line block ×7, first 2 shown]
.LBB1947_532:                           ;   in Loop: Header=BB1947_516 Depth=2
	s_or_b64 exec, exec, s[18:19]
	v_cmp_lt_u32_e32 vcc, v2, v13
	s_and_saveexec_b64 s[16:17], vcc
	s_cbranch_execz .LBB1947_540
; %bb.533:                              ;   in Loop: Header=BB1947_516 Depth=2
	v_cmp_gt_i16_e32 vcc, 0, v11
	v_cndmask_b32_e64 v0, v66, 0, vcc
	v_xor_b32_e32 v0, v0, v11
	v_cmp_ne_u16_e32 vcc, s68, v0
	v_cndmask_b32_e32 v0, v66, v0, vcc
	v_lshrrev_b32_sdwa v0, s69, v0 dst_sel:DWORD dst_unused:UNUSED_PAD src0_sel:DWORD src1_sel:WORD_0
	v_and_b32_e32 v0, s78, v0
	v_lshl_or_b32 v0, v0, 4, v67
	ds_add_u32 v0, v64
	s_or_b64 exec, exec, s[16:17]
	v_cmp_lt_u32_e32 vcc, v24, v13
	s_and_saveexec_b64 s[16:17], vcc
	s_cbranch_execnz .LBB1947_541
.LBB1947_534:                           ;   in Loop: Header=BB1947_516 Depth=2
	s_or_b64 exec, exec, s[16:17]
	v_cmp_lt_u32_e32 vcc, v25, v13
	s_and_saveexec_b64 s[16:17], vcc
	s_cbranch_execz .LBB1947_542
.LBB1947_535:                           ;   in Loop: Header=BB1947_516 Depth=2
	v_cmp_gt_i16_e32 vcc, 0, v9
	v_cndmask_b32_e64 v0, v66, 0, vcc
	v_xor_b32_e32 v0, v0, v9
	v_cmp_ne_u16_e32 vcc, s68, v0
	v_cndmask_b32_e32 v0, v66, v0, vcc
	v_lshrrev_b32_sdwa v0, s69, v0 dst_sel:DWORD dst_unused:UNUSED_PAD src0_sel:DWORD src1_sel:WORD_0
	v_and_b32_e32 v0, s78, v0
	v_lshl_or_b32 v0, v0, 4, v67
	ds_add_u32 v0, v64
	s_or_b64 exec, exec, s[16:17]
	v_cmp_lt_u32_e32 vcc, v26, v13
	s_and_saveexec_b64 s[16:17], vcc
	s_cbranch_execnz .LBB1947_543
.LBB1947_536:                           ;   in Loop: Header=BB1947_516 Depth=2
	s_or_b64 exec, exec, s[16:17]
	v_cmp_lt_u32_e32 vcc, v29, v13
	s_and_saveexec_b64 s[16:17], vcc
	s_cbranch_execz .LBB1947_544
.LBB1947_537:                           ;   in Loop: Header=BB1947_516 Depth=2
	v_cmp_gt_i16_e32 vcc, 0, v7
	v_cndmask_b32_e64 v0, v66, 0, vcc
	v_xor_b32_e32 v0, v0, v7
	v_cmp_ne_u16_e32 vcc, s68, v0
	v_cndmask_b32_e32 v0, v66, v0, vcc
	v_lshrrev_b32_sdwa v0, s69, v0 dst_sel:DWORD dst_unused:UNUSED_PAD src0_sel:DWORD src1_sel:WORD_0
	v_and_b32_e32 v0, s78, v0
	v_lshl_or_b32 v0, v0, 4, v67
	ds_add_u32 v0, v64
	s_or_b64 exec, exec, s[16:17]
	v_cmp_lt_u32_e32 vcc, v30, v13
	s_and_saveexec_b64 s[16:17], vcc
	s_cbranch_execnz .LBB1947_545
.LBB1947_538:                           ;   in Loop: Header=BB1947_516 Depth=2
	s_or_b64 exec, exec, s[16:17]
	v_cmp_lt_u32_e32 vcc, v31, v13
	s_and_saveexec_b64 s[16:17], vcc
	s_cbranch_execz .LBB1947_546
.LBB1947_539:                           ;   in Loop: Header=BB1947_516 Depth=2
	v_cmp_gt_i16_e32 vcc, 0, v5
	v_cndmask_b32_e64 v0, v66, 0, vcc
	v_xor_b32_e32 v0, v0, v5
	v_cmp_ne_u16_e32 vcc, s68, v0
	v_cndmask_b32_e32 v0, v66, v0, vcc
	v_lshrrev_b32_sdwa v0, s69, v0 dst_sel:DWORD dst_unused:UNUSED_PAD src0_sel:DWORD src1_sel:WORD_0
	v_and_b32_e32 v0, s78, v0
	v_lshl_or_b32 v0, v0, 4, v67
	ds_add_u32 v0, v64
	s_or_b64 exec, exec, s[16:17]
	v_cmp_lt_u32_e32 vcc, v32, v13
	s_and_saveexec_b64 s[16:17], vcc
	s_cbranch_execz .LBB1947_515
	s_branch .LBB1947_547
.LBB1947_540:                           ;   in Loop: Header=BB1947_516 Depth=2
	s_or_b64 exec, exec, s[16:17]
	v_cmp_lt_u32_e32 vcc, v24, v13
	s_and_saveexec_b64 s[16:17], vcc
	s_cbranch_execz .LBB1947_534
.LBB1947_541:                           ;   in Loop: Header=BB1947_516 Depth=2
	v_cmp_gt_i16_e32 vcc, 0, v10
	v_cndmask_b32_e64 v0, v66, 0, vcc
	v_xor_b32_e32 v0, v0, v10
	v_cmp_ne_u16_e32 vcc, s68, v0
	v_cndmask_b32_e32 v0, v66, v0, vcc
	v_lshrrev_b32_sdwa v0, s69, v0 dst_sel:DWORD dst_unused:UNUSED_PAD src0_sel:DWORD src1_sel:WORD_0
	v_and_b32_e32 v0, s78, v0
	v_lshl_or_b32 v0, v0, 4, v67
	ds_add_u32 v0, v64
	s_or_b64 exec, exec, s[16:17]
	v_cmp_lt_u32_e32 vcc, v25, v13
	s_and_saveexec_b64 s[16:17], vcc
	s_cbranch_execnz .LBB1947_535
.LBB1947_542:                           ;   in Loop: Header=BB1947_516 Depth=2
	s_or_b64 exec, exec, s[16:17]
	v_cmp_lt_u32_e32 vcc, v26, v13
	s_and_saveexec_b64 s[16:17], vcc
	s_cbranch_execz .LBB1947_536
.LBB1947_543:                           ;   in Loop: Header=BB1947_516 Depth=2
	v_cmp_gt_i16_e32 vcc, 0, v8
	v_cndmask_b32_e64 v0, v66, 0, vcc
	v_xor_b32_e32 v0, v0, v8
	v_cmp_ne_u16_e32 vcc, s68, v0
	v_cndmask_b32_e32 v0, v66, v0, vcc
	v_lshrrev_b32_sdwa v0, s69, v0 dst_sel:DWORD dst_unused:UNUSED_PAD src0_sel:DWORD src1_sel:WORD_0
	v_and_b32_e32 v0, s78, v0
	v_lshl_or_b32 v0, v0, 4, v67
	ds_add_u32 v0, v64
	s_or_b64 exec, exec, s[16:17]
	v_cmp_lt_u32_e32 vcc, v29, v13
	s_and_saveexec_b64 s[16:17], vcc
	s_cbranch_execnz .LBB1947_537
.LBB1947_544:                           ;   in Loop: Header=BB1947_516 Depth=2
	s_or_b64 exec, exec, s[16:17]
	v_cmp_lt_u32_e32 vcc, v30, v13
	s_and_saveexec_b64 s[16:17], vcc
	s_cbranch_execz .LBB1947_538
.LBB1947_545:                           ;   in Loop: Header=BB1947_516 Depth=2
	v_cmp_gt_i16_e32 vcc, 0, v6
	v_cndmask_b32_e64 v0, v66, 0, vcc
	v_xor_b32_e32 v0, v0, v6
	v_cmp_ne_u16_e32 vcc, s68, v0
	v_cndmask_b32_e32 v0, v66, v0, vcc
	v_lshrrev_b32_sdwa v0, s69, v0 dst_sel:DWORD dst_unused:UNUSED_PAD src0_sel:DWORD src1_sel:WORD_0
	v_and_b32_e32 v0, s78, v0
	v_lshl_or_b32 v0, v0, 4, v67
	ds_add_u32 v0, v64
	s_or_b64 exec, exec, s[16:17]
	v_cmp_lt_u32_e32 vcc, v31, v13
	s_and_saveexec_b64 s[16:17], vcc
	s_cbranch_execnz .LBB1947_539
.LBB1947_546:                           ;   in Loop: Header=BB1947_516 Depth=2
	s_or_b64 exec, exec, s[16:17]
	v_cmp_lt_u32_e32 vcc, v32, v13
	s_and_saveexec_b64 s[16:17], vcc
	s_cbranch_execz .LBB1947_515
.LBB1947_547:                           ;   in Loop: Header=BB1947_516 Depth=2
	s_waitcnt vmcnt(0)
	v_cmp_gt_i16_e32 vcc, 0, v12
	v_cndmask_b32_e64 v0, v66, 0, vcc
	v_xor_b32_e32 v0, v0, v12
	v_cmp_ne_u16_e32 vcc, s68, v0
	v_cndmask_b32_e32 v0, v66, v0, vcc
	v_lshrrev_b32_sdwa v0, s69, v0 dst_sel:DWORD dst_unused:UNUSED_PAD src0_sel:DWORD src1_sel:WORD_0
	v_and_b32_e32 v0, s78, v0
	v_lshl_or_b32 v0, v0, 4, v67
	ds_add_u32 v0, v64
	s_branch .LBB1947_515
.LBB1947_548:                           ;   in Loop: Header=BB1947_516 Depth=2
	s_or_b64 exec, exec, s[20:21]
	v_cmp_gt_u32_e32 vcc, s22, v24
	s_and_saveexec_b64 s[20:21], vcc
	s_cbranch_execz .LBB1947_522
.LBB1947_549:                           ;   in Loop: Header=BB1947_516 Depth=2
	global_load_ushort v10, v65, s[18:19] offset:512
	s_or_b64 exec, exec, s[20:21]
	v_cmp_gt_u32_e32 vcc, s22, v25
	s_and_saveexec_b64 s[20:21], vcc
	s_cbranch_execnz .LBB1947_523
.LBB1947_550:                           ;   in Loop: Header=BB1947_516 Depth=2
	s_or_b64 exec, exec, s[20:21]
	v_cmp_gt_u32_e32 vcc, s22, v26
	s_and_saveexec_b64 s[20:21], vcc
	s_cbranch_execz .LBB1947_524
.LBB1947_551:                           ;   in Loop: Header=BB1947_516 Depth=2
	global_load_ushort v8, v65, s[18:19] offset:1536
	s_or_b64 exec, exec, s[20:21]
	v_cmp_gt_u32_e32 vcc, s22, v29
	s_and_saveexec_b64 s[20:21], vcc
	s_cbranch_execnz .LBB1947_525
.LBB1947_552:                           ;   in Loop: Header=BB1947_516 Depth=2
	s_or_b64 exec, exec, s[20:21]
	v_cmp_gt_u32_e32 vcc, s22, v30
	s_and_saveexec_b64 s[20:21], vcc
	s_cbranch_execz .LBB1947_526
.LBB1947_553:                           ;   in Loop: Header=BB1947_516 Depth=2
	global_load_ushort v6, v65, s[18:19] offset:2560
	s_or_b64 exec, exec, s[20:21]
	v_cmp_gt_u32_e32 vcc, s22, v31
	s_and_saveexec_b64 s[20:21], vcc
	s_cbranch_execz .LBB1947_528
	s_branch .LBB1947_527
.LBB1947_554:                           ;   in Loop: Header=BB1947_12 Depth=1
	v_mov_b32_e32 v0, 0
	s_waitcnt lgkmcnt(0)
	s_barrier
	s_and_saveexec_b64 s[16:17], s[4:5]
	s_cbranch_execz .LBB1947_556
; %bb.555:                              ;   in Loop: Header=BB1947_12 Depth=1
	ds_read2_b64 v[6:9], v33 offset1:1
	s_waitcnt lgkmcnt(0)
	v_add_u32_e32 v0, v7, v6
	v_add3_u32 v0, v0, v8, v9
.LBB1947_556:                           ;   in Loop: Header=BB1947_12 Depth=1
	s_or_b64 exec, exec, s[16:17]
	v_and_b32_e32 v1, 15, v68
	v_mov_b32_dpp v5, v0 row_shr:1 row_mask:0xf bank_mask:0xf
	v_cmp_eq_u32_e64 s[16:17], 0, v1
	v_cndmask_b32_e64 v5, v5, 0, s[16:17]
	v_add_u32_e32 v0, v5, v0
	v_cmp_lt_u32_e64 s[18:19], 1, v1
	v_cmp_lt_u32_e64 s[20:21], 3, v1
	v_mov_b32_dpp v5, v0 row_shr:2 row_mask:0xf bank_mask:0xf
	v_cndmask_b32_e64 v5, 0, v5, s[18:19]
	v_add_u32_e32 v0, v0, v5
	v_cmp_lt_u32_e64 s[22:23], 7, v1
	v_cmp_lt_u32_e64 s[26:27], 31, v68
	v_mov_b32_dpp v5, v0 row_shr:4 row_mask:0xf bank_mask:0xf
	v_cndmask_b32_e64 v5, 0, v5, s[20:21]
	v_add_u32_e32 v0, v0, v5
	v_and_b32_e32 v6, 16, v68
	v_cmp_eq_u32_e64 s[24:25], 0, v6
	v_mov_b32_dpp v5, v0 row_shr:8 row_mask:0xf bank_mask:0xf
	v_cndmask_b32_e64 v1, 0, v5, s[22:23]
	v_add_u32_e32 v0, v0, v1
	v_bfe_i32 v5, v68, 4, 1
	s_nop 0
	v_mov_b32_dpp v1, v0 row_bcast:15 row_mask:0xf bank_mask:0xf
	v_and_b32_e32 v1, v5, v1
	v_add_u32_e32 v0, v0, v1
	s_nop 1
	v_mov_b32_dpp v1, v0 row_bcast:31 row_mask:0xf bank_mask:0xf
	v_cndmask_b32_e64 v1, 0, v1, s[26:27]
	v_add_u32_e32 v1, v0, v1
	s_and_saveexec_b64 s[28:29], s[6:7]
	s_cbranch_execz .LBB1947_558
; %bb.557:                              ;   in Loop: Header=BB1947_12 Depth=1
	ds_write_b32 v35, v1
.LBB1947_558:                           ;   in Loop: Header=BB1947_12 Depth=1
	s_or_b64 exec, exec, s[28:29]
	v_and_b32_e32 v0, 3, v68
	s_waitcnt lgkmcnt(0)
	s_barrier
	s_and_saveexec_b64 s[28:29], s[8:9]
	s_cbranch_execz .LBB1947_560
; %bb.559:                              ;   in Loop: Header=BB1947_12 Depth=1
	ds_read_b32 v5, v36
	v_cmp_ne_u32_e32 vcc, 0, v0
	s_waitcnt lgkmcnt(0)
	v_mov_b32_dpp v6, v5 row_shr:1 row_mask:0xf bank_mask:0xf
	v_cndmask_b32_e32 v6, 0, v6, vcc
	v_add_u32_e32 v5, v6, v5
	v_cmp_lt_u32_e32 vcc, 1, v0
	s_nop 0
	v_mov_b32_dpp v6, v5 row_shr:2 row_mask:0xf bank_mask:0xf
	v_cndmask_b32_e32 v6, 0, v6, vcc
	v_add_u32_e32 v5, v5, v6
	ds_write_b32 v36, v5
.LBB1947_560:                           ;   in Loop: Header=BB1947_12 Depth=1
	s_or_b64 exec, exec, s[28:29]
	v_mov_b32_e32 v5, 0
	s_waitcnt lgkmcnt(0)
	s_barrier
	s_and_saveexec_b64 s[28:29], s[10:11]
	s_cbranch_execz .LBB1947_562
; %bb.561:                              ;   in Loop: Header=BB1947_12 Depth=1
	ds_read_b32 v5, v37
.LBB1947_562:                           ;   in Loop: Header=BB1947_12 Depth=1
	s_or_b64 exec, exec, s[28:29]
	v_add_u32_e32 v6, -1, v68
	v_and_b32_e32 v7, 64, v68
	v_cmp_lt_i32_e32 vcc, v6, v7
	v_cndmask_b32_e32 v6, v6, v68, vcc
	s_waitcnt lgkmcnt(0)
	v_add_u32_e32 v1, v5, v1
	v_lshlrev_b32_e32 v69, 2, v6
	ds_bpermute_b32 v1, v69, v1
	v_cmp_eq_u32_e64 s[28:29], 0, v68
	s_waitcnt lgkmcnt(0)
	s_barrier
	s_and_saveexec_b64 s[30:31], s[4:5]
	s_cbranch_execz .LBB1947_564
; %bb.563:                              ;   in Loop: Header=BB1947_12 Depth=1
	v_cndmask_b32_e64 v1, v1, v5, s[28:29]
	v_add_u32_e32 v1, s51, v1
	ds_write_b32 v3, v1
.LBB1947_564:                           ;   in Loop: Header=BB1947_12 Depth=1
	s_or_b64 exec, exec, s[30:31]
	s_load_dwordx2 s[30:31], s[74:75], 0x0
	v_and_b32_e32 v21, 63, v68
	v_lshlrev_b32_e32 v22, 3, v21
	v_add_co_u32_e32 v77, vcc, v60, v22
	s_waitcnt lgkmcnt(0)
	s_cmp_lt_u32 s50, s30
	s_cselect_b32 s34, 12, 18
	s_cmp_lt_u32 s33, s31
	s_cselect_b32 s30, 14, 20
	s_add_u32 s30, s74, s30
	s_addc_u32 s31, s75, 0
	s_add_u32 s34, s74, s34
	global_load_ushort v5, v4, s[30:31]
	s_addc_u32 s35, s75, 0
	global_load_ushort v20, v4, s[34:35]
	v_or_b32_e32 v74, v21, v38
	v_lshlrev_b32_e32 v21, 1, v21
	v_addc_co_u32_e32 v79, vcc, 0, v61, vcc
	v_add_co_u32_e32 v88, vcc, v62, v21
	v_addc_co_u32_e32 v89, vcc, 0, v63, vcc
	v_add_co_u32_e32 v90, vcc, 0x380, v88
	v_cmp_eq_u32_e64 s[30:31], 0, v0
	v_cmp_lt_u32_e64 s[34:35], 1, v0
	s_mov_b32 s79, s71
	v_or_b32_e32 v81, 64, v74
	v_or_b32_e32 v82, 0x80, v74
	;; [unrolled: 1-line block ×7, first 2 shown]
	v_addc_co_u32_e32 v91, vcc, 0, v89, vcc
	s_mov_b32 s72, s51
                                        ; implicit-def: $vgpr0_vgpr1
                                        ; implicit-def: $vgpr6_vgpr7
                                        ; implicit-def: $vgpr8_vgpr9
                                        ; implicit-def: $vgpr10_vgpr11
                                        ; implicit-def: $vgpr12_vgpr13
                                        ; implicit-def: $vgpr14_vgpr15
                                        ; implicit-def: $vgpr16_vgpr17
                                        ; implicit-def: $vgpr18_vgpr19
                                        ; implicit-def: $vgpr70
                                        ; implicit-def: $vgpr71
                                        ; implicit-def: $vgpr72
                                        ; implicit-def: $vgpr73
                                        ; implicit-def: $vgpr75
                                        ; implicit-def: $vgpr76
                                        ; implicit-def: $vgpr78
                                        ; implicit-def: $vgpr80
	s_waitcnt vmcnt(1)
	v_mad_u32_u24 v5, v39, v5, v40
	s_waitcnt vmcnt(0)
	v_mad_u64_u32 v[20:21], s[36:37], v5, v20, v[2:3]
	v_lshrrev_b32_e32 v92, 6, v20
	s_branch .LBB1947_566
.LBB1947_565:                           ;   in Loop: Header=BB1947_566 Depth=2
	s_or_b64 exec, exec, s[36:37]
	s_addk_i32 s79, 0xf800
	s_cmp_lt_u32 s80, s76
	s_mov_b32 s72, s80
	s_cbranch_scc0 .LBB1947_10
.LBB1947_566:                           ;   Parent Loop BB1947_12 Depth=1
                                        ; =>  This Inner Loop Header: Depth=2
	s_add_i32 s80, s72, 0x800
	s_cmp_gt_u32 s80, s76
	s_cbranch_scc1 .LBB1947_569
; %bb.567:                              ;   in Loop: Header=BB1947_566 Depth=2
	s_lshl_b64 s[36:37], s[72:73], 1
	v_mov_b32_e32 v5, s37
	v_add_co_u32_e32 v20, vcc, s36, v88
	v_addc_co_u32_e32 v21, vcc, v89, v5, vcc
	global_load_ushort v5, v[20:21], off
	global_load_ushort v97, v[20:21], off offset:128
	global_load_ushort v101, v[20:21], off offset:256
	;; [unrolled: 1-line block ×6, first 2 shown]
	s_mov_b64 s[36:37], -1
	s_movk_i32 s40, 0x800
	s_cbranch_execz .LBB1947_570
; %bb.568:                              ;   in Loop: Header=BB1947_566 Depth=2
                                        ; implicit-def: $sgpr38
	v_mov_b32_e32 v23, s38
	v_mov_b32_e32 v93, s79
	s_and_saveexec_b64 s[38:39], s[36:37]
	s_cbranch_execnz .LBB1947_585
	s_branch .LBB1947_586
.LBB1947_569:                           ;   in Loop: Header=BB1947_566 Depth=2
	s_mov_b64 s[36:37], 0
                                        ; implicit-def: $sgpr40
                                        ; implicit-def: $vgpr5
                                        ; implicit-def: $vgpr97
                                        ; implicit-def: $vgpr101
                                        ; implicit-def: $vgpr106
                                        ; implicit-def: $vgpr109
                                        ; implicit-def: $vgpr104
                                        ; implicit-def: $vgpr22
.LBB1947_570:                           ;   in Loop: Header=BB1947_566 Depth=2
	s_lshl_b64 s[36:37], s[72:73], 1
	s_waitcnt vmcnt(6)
	v_mov_b32_e32 v5, s37
	v_add_co_u32_e32 v20, vcc, s36, v88
	v_addc_co_u32_e32 v21, vcc, v89, v5, vcc
	v_cmp_gt_u32_e32 vcc, s79, v74
	s_waitcnt vmcnt(5)
	v_mov_b32_e32 v97, -1
	v_mov_b32_e32 v5, -1
	s_and_saveexec_b64 s[36:37], vcc
	s_cbranch_execz .LBB1947_572
; %bb.571:                              ;   in Loop: Header=BB1947_566 Depth=2
	global_load_ushort v5, v[20:21], off
.LBB1947_572:                           ;   in Loop: Header=BB1947_566 Depth=2
	s_or_b64 exec, exec, s[36:37]
	v_cmp_gt_u32_e32 vcc, s79, v81
	s_and_saveexec_b64 s[36:37], vcc
	s_cbranch_execz .LBB1947_574
; %bb.573:                              ;   in Loop: Header=BB1947_566 Depth=2
	global_load_ushort v97, v[20:21], off offset:128
.LBB1947_574:                           ;   in Loop: Header=BB1947_566 Depth=2
	s_or_b64 exec, exec, s[36:37]
	v_cmp_gt_u32_e32 vcc, s79, v82
	s_waitcnt vmcnt(3)
	v_mov_b32_e32 v106, -1
	v_mov_b32_e32 v101, -1
	s_and_saveexec_b64 s[36:37], vcc
	s_cbranch_execz .LBB1947_576
; %bb.575:                              ;   in Loop: Header=BB1947_566 Depth=2
	global_load_ushort v101, v[20:21], off offset:256
.LBB1947_576:                           ;   in Loop: Header=BB1947_566 Depth=2
	s_or_b64 exec, exec, s[36:37]
	v_cmp_gt_u32_e32 vcc, s79, v83
	s_and_saveexec_b64 s[36:37], vcc
	s_cbranch_execz .LBB1947_578
; %bb.577:                              ;   in Loop: Header=BB1947_566 Depth=2
	global_load_ushort v106, v[20:21], off offset:384
.LBB1947_578:                           ;   in Loop: Header=BB1947_566 Depth=2
	s_or_b64 exec, exec, s[36:37]
	v_cmp_gt_u32_e32 vcc, s79, v84
	s_waitcnt vmcnt(1)
	v_mov_b32_e32 v104, -1
	v_mov_b32_e32 v109, -1
	s_and_saveexec_b64 s[36:37], vcc
	s_cbranch_execz .LBB1947_580
; %bb.579:                              ;   in Loop: Header=BB1947_566 Depth=2
	global_load_ushort v109, v[20:21], off offset:512
.LBB1947_580:                           ;   in Loop: Header=BB1947_566 Depth=2
	s_or_b64 exec, exec, s[36:37]
	v_cmp_gt_u32_e32 vcc, s79, v85
	s_and_saveexec_b64 s[36:37], vcc
	s_cbranch_execz .LBB1947_582
; %bb.581:                              ;   in Loop: Header=BB1947_566 Depth=2
	global_load_ushort v104, v[20:21], off offset:640
.LBB1947_582:                           ;   in Loop: Header=BB1947_566 Depth=2
	s_or_b64 exec, exec, s[36:37]
	v_cmp_gt_u32_e32 vcc, s79, v86
	s_waitcnt vmcnt(0)
	v_mov_b32_e32 v22, -1
	s_and_saveexec_b64 s[36:37], vcc
	s_cbranch_execz .LBB1947_584
; %bb.583:                              ;   in Loop: Header=BB1947_566 Depth=2
	global_load_ushort v22, v[20:21], off offset:768
.LBB1947_584:                           ;   in Loop: Header=BB1947_566 Depth=2
	s_or_b64 exec, exec, s[36:37]
	s_sub_i32 s40, s76, s72
	v_cmp_gt_u32_e64 s[36:37], s79, v87
	s_mov_b32 s38, -1
	v_mov_b32_e32 v23, s38
	v_mov_b32_e32 v93, s79
	s_and_saveexec_b64 s[38:39], s[36:37]
	s_cbranch_execz .LBB1947_586
.LBB1947_585:                           ;   in Loop: Header=BB1947_566 Depth=2
	s_lshl_b64 s[36:37], s[72:73], 1
	v_mov_b32_e32 v21, s37
	v_add_co_u32_e32 v20, vcc, s36, v90
	v_addc_co_u32_e32 v21, vcc, v91, v21, vcc
	global_load_ushort v23, v[20:21], off
	v_mov_b32_e32 v93, s40
.LBB1947_586:                           ;   in Loop: Header=BB1947_566 Depth=2
	s_or_b64 exec, exec, s[38:39]
	s_waitcnt vmcnt(6)
	v_cmp_gt_i16_e32 vcc, 0, v5
	v_cndmask_b32_e64 v20, v66, 0, vcc
	v_xor_b32_e32 v94, v20, v5
	v_add_u32_e32 v5, 0x410, v41
	v_cmp_ne_u16_e32 vcc, s68, v94
	ds_write2_b32 v5, v4, v4 offset1:1
	ds_write2_b32 v43, v4, v4 offset0:2 offset1:3
	ds_write_b32 v43, v4 offset:16
	v_cndmask_b32_e32 v5, v66, v94, vcc
	v_lshrrev_b32_sdwa v5, s69, v5 dst_sel:DWORD dst_unused:UNUSED_PAD src0_sel:DWORD src1_sel:WORD_0
	v_and_b32_e32 v20, s78, v5
	v_mad_u32_u24 v5, v20, 5, v92
	v_lshl_add_u32 v95, v5, 2, v42
	v_and_b32_e32 v5, 1, v20
	v_add_co_u32_e32 v21, vcc, -1, v5
	v_addc_co_u32_e64 v96, s[36:37], 0, -1, vcc
	v_cmp_ne_u32_e32 vcc, 0, v5
	v_xor_b32_e32 v5, vcc_hi, v96
	v_and_b32_e32 v96, exec_hi, v5
	v_lshlrev_b32_e32 v5, 30, v20
	v_xor_b32_e32 v21, vcc_lo, v21
	v_cmp_gt_i64_e32 vcc, 0, v[4:5]
	v_not_b32_e32 v5, v5
	v_ashrrev_i32_e32 v5, 31, v5
	v_and_b32_e32 v21, exec_lo, v21
	v_xor_b32_e32 v98, vcc_hi, v5
	v_xor_b32_e32 v5, vcc_lo, v5
	v_and_b32_e32 v21, v21, v5
	v_lshlrev_b32_e32 v5, 29, v20
	v_cmp_gt_i64_e32 vcc, 0, v[4:5]
	v_not_b32_e32 v5, v5
	v_ashrrev_i32_e32 v5, 31, v5
	v_and_b32_e32 v96, v96, v98
	v_xor_b32_e32 v98, vcc_hi, v5
	v_xor_b32_e32 v5, vcc_lo, v5
	v_and_b32_e32 v21, v21, v5
	v_lshlrev_b32_e32 v5, 28, v20
	v_cmp_gt_i64_e32 vcc, 0, v[4:5]
	v_not_b32_e32 v5, v5
	v_ashrrev_i32_e32 v5, 31, v5
	v_and_b32_e32 v96, v96, v98
	;; [unrolled: 8-line block ×5, first 2 shown]
	v_xor_b32_e32 v98, vcc_hi, v5
	v_xor_b32_e32 v5, vcc_lo, v5
	v_and_b32_e32 v96, v96, v98
	v_and_b32_e32 v98, v21, v5
	v_lshlrev_b32_e32 v5, 24, v20
	v_cmp_gt_i64_e32 vcc, 0, v[4:5]
	v_not_b32_e32 v5, v5
	v_ashrrev_i32_e32 v5, 31, v5
	v_xor_b32_e32 v20, vcc_hi, v5
	v_xor_b32_e32 v5, vcc_lo, v5
	v_and_b32_e32 v21, v96, v20
	v_and_b32_e32 v20, v98, v5
	v_mbcnt_lo_u32_b32 v5, v20, 0
	v_mbcnt_hi_u32_b32 v96, v21, v5
	v_cmp_eq_u32_e32 vcc, 0, v96
	v_cmp_ne_u64_e64 s[36:37], 0, v[20:21]
	s_and_b64 s[38:39], s[36:37], vcc
	s_waitcnt lgkmcnt(0)
	s_barrier
	s_waitcnt lgkmcnt(0)
	; wave barrier
	s_and_saveexec_b64 s[36:37], s[38:39]
	s_cbranch_execz .LBB1947_588
; %bb.587:                              ;   in Loop: Header=BB1947_566 Depth=2
	v_bcnt_u32_b32 v5, v20, 0
	v_bcnt_u32_b32 v5, v21, v5
	ds_write_b32 v95, v5
.LBB1947_588:                           ;   in Loop: Header=BB1947_566 Depth=2
	s_or_b64 exec, exec, s[36:37]
	s_waitcnt vmcnt(5)
	v_cmp_gt_i16_e32 vcc, 0, v97
	v_cndmask_b32_e64 v5, v66, 0, vcc
	v_xor_b32_e32 v97, v5, v97
	v_cmp_ne_u16_e32 vcc, s68, v97
	v_cndmask_b32_e32 v5, v66, v97, vcc
	v_lshrrev_b32_sdwa v5, s69, v5 dst_sel:DWORD dst_unused:UNUSED_PAD src0_sel:DWORD src1_sel:WORD_0
	v_and_b32_e32 v20, s78, v5
	v_mul_u32_u24_e32 v5, 5, v20
	v_add_lshl_u32 v5, v5, v92, 2
	; wave barrier
	v_add_u32_e32 v99, 0x410, v5
	ds_read_b32 v98, v5 offset:1040
	v_and_b32_e32 v5, 1, v20
	v_add_co_u32_e32 v21, vcc, -1, v5
	v_addc_co_u32_e64 v100, s[36:37], 0, -1, vcc
	v_cmp_ne_u32_e32 vcc, 0, v5
	v_xor_b32_e32 v5, vcc_hi, v100
	v_and_b32_e32 v100, exec_hi, v5
	v_lshlrev_b32_e32 v5, 30, v20
	v_xor_b32_e32 v21, vcc_lo, v21
	v_cmp_gt_i64_e32 vcc, 0, v[4:5]
	v_not_b32_e32 v5, v5
	v_ashrrev_i32_e32 v5, 31, v5
	v_and_b32_e32 v21, exec_lo, v21
	v_xor_b32_e32 v102, vcc_hi, v5
	v_xor_b32_e32 v5, vcc_lo, v5
	v_and_b32_e32 v21, v21, v5
	v_lshlrev_b32_e32 v5, 29, v20
	v_cmp_gt_i64_e32 vcc, 0, v[4:5]
	v_not_b32_e32 v5, v5
	v_ashrrev_i32_e32 v5, 31, v5
	v_and_b32_e32 v100, v100, v102
	v_xor_b32_e32 v102, vcc_hi, v5
	v_xor_b32_e32 v5, vcc_lo, v5
	v_and_b32_e32 v21, v21, v5
	v_lshlrev_b32_e32 v5, 28, v20
	v_cmp_gt_i64_e32 vcc, 0, v[4:5]
	v_not_b32_e32 v5, v5
	v_ashrrev_i32_e32 v5, 31, v5
	v_and_b32_e32 v100, v100, v102
	;; [unrolled: 8-line block ×5, first 2 shown]
	v_xor_b32_e32 v102, vcc_hi, v5
	v_xor_b32_e32 v5, vcc_lo, v5
	v_and_b32_e32 v100, v100, v102
	v_and_b32_e32 v102, v21, v5
	v_lshlrev_b32_e32 v5, 24, v20
	v_cmp_gt_i64_e32 vcc, 0, v[4:5]
	v_not_b32_e32 v5, v5
	v_ashrrev_i32_e32 v5, 31, v5
	v_xor_b32_e32 v20, vcc_hi, v5
	v_xor_b32_e32 v5, vcc_lo, v5
	v_and_b32_e32 v21, v100, v20
	v_and_b32_e32 v20, v102, v5
	v_mbcnt_lo_u32_b32 v5, v20, 0
	v_mbcnt_hi_u32_b32 v100, v21, v5
	v_cmp_eq_u32_e32 vcc, 0, v100
	v_cmp_ne_u64_e64 s[36:37], 0, v[20:21]
	s_and_b64 s[38:39], s[36:37], vcc
	; wave barrier
	s_and_saveexec_b64 s[36:37], s[38:39]
	s_cbranch_execz .LBB1947_590
; %bb.589:                              ;   in Loop: Header=BB1947_566 Depth=2
	v_bcnt_u32_b32 v5, v20, 0
	v_bcnt_u32_b32 v5, v21, v5
	s_waitcnt lgkmcnt(0)
	v_add_u32_e32 v5, v98, v5
	ds_write_b32 v99, v5
.LBB1947_590:                           ;   in Loop: Header=BB1947_566 Depth=2
	s_or_b64 exec, exec, s[36:37]
	s_waitcnt vmcnt(4)
	v_cmp_gt_i16_e32 vcc, 0, v101
	v_cndmask_b32_e64 v5, v66, 0, vcc
	v_xor_b32_e32 v101, v5, v101
	v_cmp_ne_u16_e32 vcc, s68, v101
	v_cndmask_b32_e32 v5, v66, v101, vcc
	v_lshrrev_b32_sdwa v5, s69, v5 dst_sel:DWORD dst_unused:UNUSED_PAD src0_sel:DWORD src1_sel:WORD_0
	v_and_b32_e32 v20, s78, v5
	v_mul_u32_u24_e32 v5, 5, v20
	v_add_lshl_u32 v5, v5, v92, 2
	; wave barrier
	v_add_u32_e32 v103, 0x410, v5
	ds_read_b32 v102, v5 offset:1040
	v_and_b32_e32 v5, 1, v20
	v_add_co_u32_e32 v21, vcc, -1, v5
	v_addc_co_u32_e64 v105, s[36:37], 0, -1, vcc
	v_cmp_ne_u32_e32 vcc, 0, v5
	v_xor_b32_e32 v5, vcc_hi, v105
	v_and_b32_e32 v105, exec_hi, v5
	v_lshlrev_b32_e32 v5, 30, v20
	v_xor_b32_e32 v21, vcc_lo, v21
	v_cmp_gt_i64_e32 vcc, 0, v[4:5]
	v_not_b32_e32 v5, v5
	v_ashrrev_i32_e32 v5, 31, v5
	v_and_b32_e32 v21, exec_lo, v21
	v_xor_b32_e32 v107, vcc_hi, v5
	v_xor_b32_e32 v5, vcc_lo, v5
	v_and_b32_e32 v21, v21, v5
	v_lshlrev_b32_e32 v5, 29, v20
	v_cmp_gt_i64_e32 vcc, 0, v[4:5]
	v_not_b32_e32 v5, v5
	v_ashrrev_i32_e32 v5, 31, v5
	v_and_b32_e32 v105, v105, v107
	v_xor_b32_e32 v107, vcc_hi, v5
	v_xor_b32_e32 v5, vcc_lo, v5
	v_and_b32_e32 v21, v21, v5
	v_lshlrev_b32_e32 v5, 28, v20
	v_cmp_gt_i64_e32 vcc, 0, v[4:5]
	v_not_b32_e32 v5, v5
	v_ashrrev_i32_e32 v5, 31, v5
	v_and_b32_e32 v105, v105, v107
	;; [unrolled: 8-line block ×5, first 2 shown]
	v_xor_b32_e32 v107, vcc_hi, v5
	v_xor_b32_e32 v5, vcc_lo, v5
	v_and_b32_e32 v105, v105, v107
	v_and_b32_e32 v107, v21, v5
	v_lshlrev_b32_e32 v5, 24, v20
	v_cmp_gt_i64_e32 vcc, 0, v[4:5]
	v_not_b32_e32 v5, v5
	v_ashrrev_i32_e32 v5, 31, v5
	v_xor_b32_e32 v20, vcc_hi, v5
	v_xor_b32_e32 v5, vcc_lo, v5
	v_and_b32_e32 v21, v105, v20
	v_and_b32_e32 v20, v107, v5
	v_mbcnt_lo_u32_b32 v5, v20, 0
	v_mbcnt_hi_u32_b32 v105, v21, v5
	v_cmp_eq_u32_e32 vcc, 0, v105
	v_cmp_ne_u64_e64 s[36:37], 0, v[20:21]
	s_and_b64 s[38:39], s[36:37], vcc
	; wave barrier
	s_and_saveexec_b64 s[36:37], s[38:39]
	s_cbranch_execz .LBB1947_592
; %bb.591:                              ;   in Loop: Header=BB1947_566 Depth=2
	v_bcnt_u32_b32 v5, v20, 0
	v_bcnt_u32_b32 v5, v21, v5
	s_waitcnt lgkmcnt(0)
	v_add_u32_e32 v5, v102, v5
	ds_write_b32 v103, v5
.LBB1947_592:                           ;   in Loop: Header=BB1947_566 Depth=2
	s_or_b64 exec, exec, s[36:37]
	s_waitcnt vmcnt(3)
	v_cmp_gt_i16_e32 vcc, 0, v106
	v_cndmask_b32_e64 v5, v66, 0, vcc
	v_xor_b32_e32 v106, v5, v106
	v_cmp_ne_u16_e32 vcc, s68, v106
	v_cndmask_b32_e32 v5, v66, v106, vcc
	v_lshrrev_b32_sdwa v5, s69, v5 dst_sel:DWORD dst_unused:UNUSED_PAD src0_sel:DWORD src1_sel:WORD_0
	v_and_b32_e32 v20, s78, v5
	v_mul_u32_u24_e32 v5, 5, v20
	v_add_lshl_u32 v5, v5, v92, 2
	; wave barrier
	v_add_u32_e32 v108, 0x410, v5
	ds_read_b32 v107, v5 offset:1040
	v_and_b32_e32 v5, 1, v20
	v_add_co_u32_e32 v21, vcc, -1, v5
	v_addc_co_u32_e64 v110, s[36:37], 0, -1, vcc
	v_cmp_ne_u32_e32 vcc, 0, v5
	v_xor_b32_e32 v5, vcc_hi, v110
	v_and_b32_e32 v110, exec_hi, v5
	v_lshlrev_b32_e32 v5, 30, v20
	v_xor_b32_e32 v21, vcc_lo, v21
	v_cmp_gt_i64_e32 vcc, 0, v[4:5]
	v_not_b32_e32 v5, v5
	v_ashrrev_i32_e32 v5, 31, v5
	v_and_b32_e32 v21, exec_lo, v21
	v_xor_b32_e32 v111, vcc_hi, v5
	v_xor_b32_e32 v5, vcc_lo, v5
	v_and_b32_e32 v21, v21, v5
	v_lshlrev_b32_e32 v5, 29, v20
	v_cmp_gt_i64_e32 vcc, 0, v[4:5]
	v_not_b32_e32 v5, v5
	v_ashrrev_i32_e32 v5, 31, v5
	v_and_b32_e32 v110, v110, v111
	v_xor_b32_e32 v111, vcc_hi, v5
	v_xor_b32_e32 v5, vcc_lo, v5
	v_and_b32_e32 v21, v21, v5
	v_lshlrev_b32_e32 v5, 28, v20
	v_cmp_gt_i64_e32 vcc, 0, v[4:5]
	v_not_b32_e32 v5, v5
	v_ashrrev_i32_e32 v5, 31, v5
	v_and_b32_e32 v110, v110, v111
	;; [unrolled: 8-line block ×5, first 2 shown]
	v_xor_b32_e32 v111, vcc_hi, v5
	v_xor_b32_e32 v5, vcc_lo, v5
	v_and_b32_e32 v110, v110, v111
	v_and_b32_e32 v111, v21, v5
	v_lshlrev_b32_e32 v5, 24, v20
	v_cmp_gt_i64_e32 vcc, 0, v[4:5]
	v_not_b32_e32 v5, v5
	v_ashrrev_i32_e32 v5, 31, v5
	v_xor_b32_e32 v20, vcc_hi, v5
	v_xor_b32_e32 v5, vcc_lo, v5
	v_and_b32_e32 v21, v110, v20
	v_and_b32_e32 v20, v111, v5
	v_mbcnt_lo_u32_b32 v5, v20, 0
	v_mbcnt_hi_u32_b32 v110, v21, v5
	v_cmp_eq_u32_e32 vcc, 0, v110
	v_cmp_ne_u64_e64 s[36:37], 0, v[20:21]
	s_and_b64 s[38:39], s[36:37], vcc
	; wave barrier
	s_and_saveexec_b64 s[36:37], s[38:39]
	s_cbranch_execz .LBB1947_594
; %bb.593:                              ;   in Loop: Header=BB1947_566 Depth=2
	v_bcnt_u32_b32 v5, v20, 0
	v_bcnt_u32_b32 v5, v21, v5
	s_waitcnt lgkmcnt(0)
	v_add_u32_e32 v5, v107, v5
	ds_write_b32 v108, v5
.LBB1947_594:                           ;   in Loop: Header=BB1947_566 Depth=2
	s_or_b64 exec, exec, s[36:37]
	s_waitcnt vmcnt(2)
	v_cmp_gt_i16_e32 vcc, 0, v109
	v_cndmask_b32_e64 v5, v66, 0, vcc
	v_xor_b32_e32 v109, v5, v109
	v_cmp_ne_u16_e32 vcc, s68, v109
	v_cndmask_b32_e32 v5, v66, v109, vcc
	v_lshrrev_b32_sdwa v5, s69, v5 dst_sel:DWORD dst_unused:UNUSED_PAD src0_sel:DWORD src1_sel:WORD_0
	v_and_b32_e32 v20, s78, v5
	v_mul_u32_u24_e32 v5, 5, v20
	v_add_lshl_u32 v5, v5, v92, 2
	; wave barrier
	v_add_u32_e32 v112, 0x410, v5
	ds_read_b32 v111, v5 offset:1040
	v_and_b32_e32 v5, 1, v20
	v_add_co_u32_e32 v21, vcc, -1, v5
	v_addc_co_u32_e64 v113, s[36:37], 0, -1, vcc
	v_cmp_ne_u32_e32 vcc, 0, v5
	v_xor_b32_e32 v5, vcc_hi, v113
	v_and_b32_e32 v113, exec_hi, v5
	v_lshlrev_b32_e32 v5, 30, v20
	v_xor_b32_e32 v21, vcc_lo, v21
	v_cmp_gt_i64_e32 vcc, 0, v[4:5]
	v_not_b32_e32 v5, v5
	v_ashrrev_i32_e32 v5, 31, v5
	v_and_b32_e32 v21, exec_lo, v21
	v_xor_b32_e32 v114, vcc_hi, v5
	v_xor_b32_e32 v5, vcc_lo, v5
	v_and_b32_e32 v21, v21, v5
	v_lshlrev_b32_e32 v5, 29, v20
	v_cmp_gt_i64_e32 vcc, 0, v[4:5]
	v_not_b32_e32 v5, v5
	v_ashrrev_i32_e32 v5, 31, v5
	v_and_b32_e32 v113, v113, v114
	v_xor_b32_e32 v114, vcc_hi, v5
	v_xor_b32_e32 v5, vcc_lo, v5
	v_and_b32_e32 v21, v21, v5
	v_lshlrev_b32_e32 v5, 28, v20
	v_cmp_gt_i64_e32 vcc, 0, v[4:5]
	v_not_b32_e32 v5, v5
	v_ashrrev_i32_e32 v5, 31, v5
	v_and_b32_e32 v113, v113, v114
	;; [unrolled: 8-line block ×5, first 2 shown]
	v_xor_b32_e32 v114, vcc_hi, v5
	v_xor_b32_e32 v5, vcc_lo, v5
	v_and_b32_e32 v113, v113, v114
	v_and_b32_e32 v114, v21, v5
	v_lshlrev_b32_e32 v5, 24, v20
	v_cmp_gt_i64_e32 vcc, 0, v[4:5]
	v_not_b32_e32 v5, v5
	v_ashrrev_i32_e32 v5, 31, v5
	v_xor_b32_e32 v20, vcc_hi, v5
	v_xor_b32_e32 v5, vcc_lo, v5
	v_and_b32_e32 v21, v113, v20
	v_and_b32_e32 v20, v114, v5
	v_mbcnt_lo_u32_b32 v5, v20, 0
	v_mbcnt_hi_u32_b32 v113, v21, v5
	v_cmp_eq_u32_e32 vcc, 0, v113
	v_cmp_ne_u64_e64 s[36:37], 0, v[20:21]
	s_and_b64 s[38:39], s[36:37], vcc
	; wave barrier
	s_and_saveexec_b64 s[36:37], s[38:39]
	s_cbranch_execz .LBB1947_596
; %bb.595:                              ;   in Loop: Header=BB1947_566 Depth=2
	v_bcnt_u32_b32 v5, v20, 0
	v_bcnt_u32_b32 v5, v21, v5
	s_waitcnt lgkmcnt(0)
	v_add_u32_e32 v5, v111, v5
	ds_write_b32 v112, v5
.LBB1947_596:                           ;   in Loop: Header=BB1947_566 Depth=2
	s_or_b64 exec, exec, s[36:37]
	s_waitcnt vmcnt(1)
	v_cmp_gt_i16_e32 vcc, 0, v104
	v_cndmask_b32_e64 v5, v66, 0, vcc
	v_xor_b32_e32 v104, v5, v104
	v_cmp_ne_u16_e32 vcc, s68, v104
	v_cndmask_b32_e32 v5, v66, v104, vcc
	v_lshrrev_b32_sdwa v5, s69, v5 dst_sel:DWORD dst_unused:UNUSED_PAD src0_sel:DWORD src1_sel:WORD_0
	v_and_b32_e32 v20, s78, v5
	v_mul_u32_u24_e32 v5, 5, v20
	v_add_lshl_u32 v5, v5, v92, 2
	; wave barrier
	v_add_u32_e32 v115, 0x410, v5
	ds_read_b32 v114, v5 offset:1040
	v_and_b32_e32 v5, 1, v20
	v_add_co_u32_e32 v21, vcc, -1, v5
	v_addc_co_u32_e64 v116, s[36:37], 0, -1, vcc
	v_cmp_ne_u32_e32 vcc, 0, v5
	v_xor_b32_e32 v5, vcc_hi, v116
	v_and_b32_e32 v116, exec_hi, v5
	v_lshlrev_b32_e32 v5, 30, v20
	v_xor_b32_e32 v21, vcc_lo, v21
	v_cmp_gt_i64_e32 vcc, 0, v[4:5]
	v_not_b32_e32 v5, v5
	v_ashrrev_i32_e32 v5, 31, v5
	v_and_b32_e32 v21, exec_lo, v21
	v_xor_b32_e32 v117, vcc_hi, v5
	v_xor_b32_e32 v5, vcc_lo, v5
	v_and_b32_e32 v21, v21, v5
	v_lshlrev_b32_e32 v5, 29, v20
	v_cmp_gt_i64_e32 vcc, 0, v[4:5]
	v_not_b32_e32 v5, v5
	v_ashrrev_i32_e32 v5, 31, v5
	v_and_b32_e32 v116, v116, v117
	v_xor_b32_e32 v117, vcc_hi, v5
	v_xor_b32_e32 v5, vcc_lo, v5
	v_and_b32_e32 v21, v21, v5
	v_lshlrev_b32_e32 v5, 28, v20
	v_cmp_gt_i64_e32 vcc, 0, v[4:5]
	v_not_b32_e32 v5, v5
	v_ashrrev_i32_e32 v5, 31, v5
	v_and_b32_e32 v116, v116, v117
	;; [unrolled: 8-line block ×5, first 2 shown]
	v_xor_b32_e32 v117, vcc_hi, v5
	v_xor_b32_e32 v5, vcc_lo, v5
	v_and_b32_e32 v116, v116, v117
	v_and_b32_e32 v117, v21, v5
	v_lshlrev_b32_e32 v5, 24, v20
	v_cmp_gt_i64_e32 vcc, 0, v[4:5]
	v_not_b32_e32 v5, v5
	v_ashrrev_i32_e32 v5, 31, v5
	v_xor_b32_e32 v20, vcc_hi, v5
	v_xor_b32_e32 v5, vcc_lo, v5
	v_and_b32_e32 v21, v116, v20
	v_and_b32_e32 v20, v117, v5
	v_mbcnt_lo_u32_b32 v5, v20, 0
	v_mbcnt_hi_u32_b32 v116, v21, v5
	v_cmp_eq_u32_e32 vcc, 0, v116
	v_cmp_ne_u64_e64 s[36:37], 0, v[20:21]
	s_and_b64 s[38:39], s[36:37], vcc
	; wave barrier
	s_and_saveexec_b64 s[36:37], s[38:39]
	s_cbranch_execz .LBB1947_598
; %bb.597:                              ;   in Loop: Header=BB1947_566 Depth=2
	v_bcnt_u32_b32 v5, v20, 0
	v_bcnt_u32_b32 v5, v21, v5
	s_waitcnt lgkmcnt(0)
	v_add_u32_e32 v5, v114, v5
	ds_write_b32 v115, v5
.LBB1947_598:                           ;   in Loop: Header=BB1947_566 Depth=2
	s_or_b64 exec, exec, s[36:37]
	s_waitcnt vmcnt(0)
	v_cmp_gt_i16_e32 vcc, 0, v22
	v_cndmask_b32_e64 v5, v66, 0, vcc
	v_xor_b32_e32 v117, v5, v22
	v_cmp_ne_u16_e32 vcc, s68, v117
	v_cndmask_b32_e32 v5, v66, v117, vcc
	v_lshrrev_b32_sdwa v5, s69, v5 dst_sel:DWORD dst_unused:UNUSED_PAD src0_sel:DWORD src1_sel:WORD_0
	v_and_b32_e32 v20, s78, v5
	v_mul_u32_u24_e32 v5, 5, v20
	v_add_lshl_u32 v5, v5, v92, 2
	; wave barrier
	v_add_u32_e32 v119, 0x410, v5
	ds_read_b32 v118, v5 offset:1040
	v_and_b32_e32 v5, 1, v20
	v_add_co_u32_e32 v21, vcc, -1, v5
	v_addc_co_u32_e64 v22, s[36:37], 0, -1, vcc
	v_cmp_ne_u32_e32 vcc, 0, v5
	v_xor_b32_e32 v5, vcc_hi, v22
	v_and_b32_e32 v22, exec_hi, v5
	v_lshlrev_b32_e32 v5, 30, v20
	v_xor_b32_e32 v21, vcc_lo, v21
	v_cmp_gt_i64_e32 vcc, 0, v[4:5]
	v_not_b32_e32 v5, v5
	v_ashrrev_i32_e32 v5, 31, v5
	v_and_b32_e32 v21, exec_lo, v21
	v_xor_b32_e32 v120, vcc_hi, v5
	v_xor_b32_e32 v5, vcc_lo, v5
	v_and_b32_e32 v21, v21, v5
	v_lshlrev_b32_e32 v5, 29, v20
	v_cmp_gt_i64_e32 vcc, 0, v[4:5]
	v_not_b32_e32 v5, v5
	v_ashrrev_i32_e32 v5, 31, v5
	v_and_b32_e32 v22, v22, v120
	v_xor_b32_e32 v120, vcc_hi, v5
	v_xor_b32_e32 v5, vcc_lo, v5
	v_and_b32_e32 v21, v21, v5
	v_lshlrev_b32_e32 v5, 28, v20
	v_cmp_gt_i64_e32 vcc, 0, v[4:5]
	v_not_b32_e32 v5, v5
	v_ashrrev_i32_e32 v5, 31, v5
	v_and_b32_e32 v22, v22, v120
	;; [unrolled: 8-line block ×5, first 2 shown]
	v_xor_b32_e32 v120, vcc_hi, v5
	v_xor_b32_e32 v5, vcc_lo, v5
	v_and_b32_e32 v22, v22, v120
	v_and_b32_e32 v120, v21, v5
	v_lshlrev_b32_e32 v5, 24, v20
	v_cmp_gt_i64_e32 vcc, 0, v[4:5]
	v_not_b32_e32 v5, v5
	v_ashrrev_i32_e32 v5, 31, v5
	v_xor_b32_e32 v20, vcc_hi, v5
	v_xor_b32_e32 v5, vcc_lo, v5
	v_and_b32_e32 v21, v22, v20
	v_and_b32_e32 v20, v120, v5
	v_mbcnt_lo_u32_b32 v5, v20, 0
	v_mbcnt_hi_u32_b32 v120, v21, v5
	v_cmp_eq_u32_e32 vcc, 0, v120
	v_cmp_ne_u64_e64 s[36:37], 0, v[20:21]
	s_and_b64 s[38:39], s[36:37], vcc
	; wave barrier
	s_and_saveexec_b64 s[36:37], s[38:39]
	s_cbranch_execz .LBB1947_600
; %bb.599:                              ;   in Loop: Header=BB1947_566 Depth=2
	v_bcnt_u32_b32 v5, v20, 0
	v_bcnt_u32_b32 v5, v21, v5
	s_waitcnt lgkmcnt(0)
	v_add_u32_e32 v5, v118, v5
	ds_write_b32 v119, v5
.LBB1947_600:                           ;   in Loop: Header=BB1947_566 Depth=2
	s_or_b64 exec, exec, s[36:37]
	v_cmp_gt_i16_e32 vcc, 0, v23
	v_cndmask_b32_e64 v5, v66, 0, vcc
	v_xor_b32_e32 v121, v5, v23
	v_cmp_ne_u16_e32 vcc, s68, v121
	v_cndmask_b32_e32 v5, v66, v121, vcc
	v_lshrrev_b32_sdwa v5, s69, v5 dst_sel:DWORD dst_unused:UNUSED_PAD src0_sel:DWORD src1_sel:WORD_0
	v_and_b32_e32 v20, s78, v5
	v_mul_u32_u24_e32 v5, 5, v20
	v_add_lshl_u32 v5, v5, v92, 2
	; wave barrier
	v_add_u32_e32 v123, 0x410, v5
	ds_read_b32 v122, v5 offset:1040
	v_and_b32_e32 v5, 1, v20
	v_add_co_u32_e32 v21, vcc, -1, v5
	v_addc_co_u32_e64 v22, s[36:37], 0, -1, vcc
	v_cmp_ne_u32_e32 vcc, 0, v5
	v_xor_b32_e32 v5, vcc_hi, v22
	v_and_b32_e32 v22, exec_hi, v5
	v_lshlrev_b32_e32 v5, 30, v20
	v_xor_b32_e32 v21, vcc_lo, v21
	v_cmp_gt_i64_e32 vcc, 0, v[4:5]
	v_not_b32_e32 v5, v5
	v_ashrrev_i32_e32 v5, 31, v5
	v_and_b32_e32 v21, exec_lo, v21
	v_xor_b32_e32 v23, vcc_hi, v5
	v_xor_b32_e32 v5, vcc_lo, v5
	v_and_b32_e32 v21, v21, v5
	v_lshlrev_b32_e32 v5, 29, v20
	v_cmp_gt_i64_e32 vcc, 0, v[4:5]
	v_not_b32_e32 v5, v5
	v_ashrrev_i32_e32 v5, 31, v5
	v_and_b32_e32 v22, v22, v23
	v_xor_b32_e32 v23, vcc_hi, v5
	v_xor_b32_e32 v5, vcc_lo, v5
	v_and_b32_e32 v21, v21, v5
	v_lshlrev_b32_e32 v5, 28, v20
	v_cmp_gt_i64_e32 vcc, 0, v[4:5]
	v_not_b32_e32 v5, v5
	v_ashrrev_i32_e32 v5, 31, v5
	v_and_b32_e32 v22, v22, v23
	;; [unrolled: 8-line block ×5, first 2 shown]
	v_xor_b32_e32 v23, vcc_hi, v5
	v_xor_b32_e32 v5, vcc_lo, v5
	v_and_b32_e32 v22, v22, v23
	v_and_b32_e32 v23, v21, v5
	v_lshlrev_b32_e32 v5, 24, v20
	v_cmp_gt_i64_e32 vcc, 0, v[4:5]
	v_not_b32_e32 v5, v5
	v_ashrrev_i32_e32 v5, 31, v5
	v_xor_b32_e32 v20, vcc_hi, v5
	v_xor_b32_e32 v5, vcc_lo, v5
	v_and_b32_e32 v21, v22, v20
	v_and_b32_e32 v20, v23, v5
	v_mbcnt_lo_u32_b32 v5, v20, 0
	v_mbcnt_hi_u32_b32 v124, v21, v5
	v_cmp_eq_u32_e32 vcc, 0, v124
	v_cmp_ne_u64_e64 s[36:37], 0, v[20:21]
	s_and_b64 s[38:39], s[36:37], vcc
	; wave barrier
	s_and_saveexec_b64 s[36:37], s[38:39]
	s_cbranch_execz .LBB1947_602
; %bb.601:                              ;   in Loop: Header=BB1947_566 Depth=2
	v_bcnt_u32_b32 v5, v20, 0
	v_bcnt_u32_b32 v5, v21, v5
	s_waitcnt lgkmcnt(0)
	v_add_u32_e32 v5, v122, v5
	ds_write_b32 v123, v5
.LBB1947_602:                           ;   in Loop: Header=BB1947_566 Depth=2
	s_or_b64 exec, exec, s[36:37]
	; wave barrier
	s_waitcnt lgkmcnt(0)
	s_barrier
	ds_read_b32 v5, v41 offset:1040
	ds_read2_b32 v[22:23], v43 offset0:1 offset1:2
	ds_read2_b32 v[20:21], v43 offset0:3 offset1:4
	s_waitcnt lgkmcnt(1)
	v_add3_u32 v125, v22, v5, v23
	s_waitcnt lgkmcnt(0)
	v_add3_u32 v21, v125, v20, v21
	s_nop 1
	v_mov_b32_dpp v125, v21 row_shr:1 row_mask:0xf bank_mask:0xf
	v_cndmask_b32_e64 v125, v125, 0, s[16:17]
	v_add_u32_e32 v21, v125, v21
	s_nop 1
	v_mov_b32_dpp v125, v21 row_shr:2 row_mask:0xf bank_mask:0xf
	v_cndmask_b32_e64 v125, 0, v125, s[18:19]
	v_add_u32_e32 v21, v21, v125
	;; [unrolled: 4-line block ×4, first 2 shown]
	s_nop 1
	v_mov_b32_dpp v125, v21 row_bcast:15 row_mask:0xf bank_mask:0xf
	v_cndmask_b32_e64 v125, v125, 0, s[24:25]
	v_add_u32_e32 v21, v21, v125
	s_nop 1
	v_mov_b32_dpp v125, v21 row_bcast:31 row_mask:0xf bank_mask:0xf
	v_cndmask_b32_e64 v125, 0, v125, s[26:27]
	v_add_u32_e32 v21, v21, v125
	s_and_saveexec_b64 s[36:37], s[6:7]
	s_cbranch_execz .LBB1947_604
; %bb.603:                              ;   in Loop: Header=BB1947_566 Depth=2
	ds_write_b32 v34, v21 offset:1024
.LBB1947_604:                           ;   in Loop: Header=BB1947_566 Depth=2
	s_or_b64 exec, exec, s[36:37]
	s_waitcnt lgkmcnt(0)
	s_barrier
	s_and_saveexec_b64 s[36:37], s[8:9]
	s_cbranch_execz .LBB1947_606
; %bb.605:                              ;   in Loop: Header=BB1947_566 Depth=2
	ds_read_b32 v125, v44 offset:1024
	s_waitcnt lgkmcnt(0)
	s_nop 0
	v_mov_b32_dpp v126, v125 row_shr:1 row_mask:0xf bank_mask:0xf
	v_cndmask_b32_e64 v126, v126, 0, s[30:31]
	v_add_u32_e32 v125, v126, v125
	s_nop 1
	v_mov_b32_dpp v126, v125 row_shr:2 row_mask:0xf bank_mask:0xf
	v_cndmask_b32_e64 v126, 0, v126, s[34:35]
	v_add_u32_e32 v125, v125, v126
	ds_write_b32 v44, v125 offset:1024
.LBB1947_606:                           ;   in Loop: Header=BB1947_566 Depth=2
	s_or_b64 exec, exec, s[36:37]
	v_mov_b32_e32 v125, 0
	s_waitcnt lgkmcnt(0)
	s_barrier
	s_and_saveexec_b64 s[36:37], s[10:11]
	s_cbranch_execz .LBB1947_608
; %bb.607:                              ;   in Loop: Header=BB1947_566 Depth=2
	ds_read_b32 v125, v34 offset:1020
.LBB1947_608:                           ;   in Loop: Header=BB1947_566 Depth=2
	s_or_b64 exec, exec, s[36:37]
	s_waitcnt lgkmcnt(0)
	v_add_u32_e32 v21, v125, v21
	ds_bpermute_b32 v21, v69, v21
	s_waitcnt lgkmcnt(0)
	v_cndmask_b32_e64 v21, v21, v125, s[28:29]
	v_cndmask_b32_e64 v21, v21, 0, s[12:13]
	v_add_u32_e32 v5, v21, v5
	ds_write_b32 v41, v21 offset:1040
	v_add_u32_e32 v21, v5, v22
	v_add_u32_e32 v22, v21, v23
	ds_write2_b32 v43, v5, v21 offset0:1 offset1:2
	v_add_u32_e32 v5, v22, v20
	ds_write2_b32 v43, v22, v5 offset0:3 offset1:4
	s_waitcnt lgkmcnt(0)
	s_barrier
	ds_read_b32 v20, v99
	ds_read_b32 v21, v103
	;; [unrolled: 1-line block ×8, first 2 shown]
	ds_read_b32 v99, v41 offset:1040
	v_mov_b32_e32 v5, 0x800
	s_and_saveexec_b64 s[36:37], s[14:15]
	s_cbranch_execz .LBB1947_610
; %bb.609:                              ;   in Loop: Header=BB1947_566 Depth=2
	ds_read_b32 v5, v41 offset:1060
.LBB1947_610:                           ;   in Loop: Header=BB1947_566 Depth=2
	s_or_b64 exec, exec, s[36:37]
	s_waitcnt lgkmcnt(0)
	s_barrier
	s_and_saveexec_b64 s[36:37], s[4:5]
	s_cbranch_execz .LBB1947_612
; %bb.611:                              ;   in Loop: Header=BB1947_566 Depth=2
	ds_read_b32 v103, v3
	s_waitcnt lgkmcnt(0)
	v_sub_u32_e32 v99, v103, v99
	ds_write_b32 v3, v99
.LBB1947_612:                           ;   in Loop: Header=BB1947_566 Depth=2
	s_or_b64 exec, exec, s[36:37]
	v_add_u32_e32 v103, v95, v96
	v_add3_u32 v100, v100, v98, v20
	v_lshlrev_b32_e32 v20, 1, v103
	v_add3_u32 v99, v105, v102, v21
	ds_write_b16 v20, v94 offset:1024
	v_lshlrev_b32_e32 v20, 1, v100
	v_add3_u32 v98, v110, v107, v22
	ds_write_b16 v20, v97 offset:1024
	;; [unrolled: 3-line block ×6, first 2 shown]
	v_lshlrev_b32_e32 v20, 1, v23
	ds_write_b16 v20, v117 offset:1024
	v_lshlrev_b32_e32 v20, 1, v22
	v_cmp_lt_u32_e32 vcc, v2, v93
	ds_write_b16 v20, v121 offset:1024
	s_waitcnt lgkmcnt(0)
	s_barrier
	s_and_saveexec_b64 s[38:39], vcc
	s_cbranch_execz .LBB1947_620
; %bb.613:                              ;   in Loop: Header=BB1947_566 Depth=2
	ds_read_u16 v20, v49 offset:1024
	v_mov_b32_e32 v21, v4
	v_mov_b32_e32 v97, s61
	s_waitcnt lgkmcnt(0)
	v_cmp_ne_u16_e64 s[36:37], s68, v20
	v_cndmask_b32_e64 v94, v66, v20, s[36:37]
	v_lshrrev_b32_sdwa v94, s69, v94 dst_sel:DWORD dst_unused:UNUSED_PAD src0_sel:DWORD src1_sel:WORD_0
	v_and_b32_e32 v94, s78, v94
	v_lshlrev_b32_e32 v94, 2, v94
	ds_read_b32 v94, v94
	v_cmp_gt_i16_e64 s[36:37], 0, v20
	v_cndmask_b32_e64 v101, v66, 0, s[36:37]
	v_xor_b32_e32 v101, v101, v20
	s_waitcnt lgkmcnt(0)
	v_add_u32_e32 v20, v94, v2
	v_lshlrev_b64 v[20:21], 1, v[20:21]
	v_add_co_u32_e64 v20, s[36:37], s60, v20
	v_addc_co_u32_e64 v21, s[36:37], v97, v21, s[36:37]
	global_store_short v[20:21], v101, off
	s_or_b64 exec, exec, s[38:39]
	v_cmp_lt_u32_e64 s[36:37], v24, v93
	s_and_saveexec_b64 s[40:41], s[36:37]
	s_cbranch_execnz .LBB1947_621
.LBB1947_614:                           ;   in Loop: Header=BB1947_566 Depth=2
	s_or_b64 exec, exec, s[40:41]
	v_cmp_lt_u32_e64 s[38:39], v25, v93
	s_and_saveexec_b64 s[42:43], s[38:39]
	s_cbranch_execz .LBB1947_622
.LBB1947_615:                           ;   in Loop: Header=BB1947_566 Depth=2
	ds_read_u16 v20, v50 offset:1024
	v_mov_b32_e32 v21, v4
	v_mov_b32_e32 v97, s61
	s_waitcnt lgkmcnt(0)
	v_cmp_ne_u16_e64 s[40:41], s68, v20
	v_cndmask_b32_e64 v94, v66, v20, s[40:41]
	v_lshrrev_b32_sdwa v94, s69, v94 dst_sel:DWORD dst_unused:UNUSED_PAD src0_sel:DWORD src1_sel:WORD_0
	v_and_b32_e32 v94, s78, v94
	v_lshlrev_b32_e32 v94, 2, v94
	ds_read_b32 v94, v94
	v_cmp_gt_i16_e64 s[40:41], 0, v20
	v_cndmask_b32_e64 v101, v66, 0, s[40:41]
	v_xor_b32_e32 v101, v101, v20
	s_waitcnt lgkmcnt(0)
	v_add_u32_e32 v20, v94, v25
	v_lshlrev_b64 v[20:21], 1, v[20:21]
	v_add_co_u32_e64 v20, s[40:41], s60, v20
	v_addc_co_u32_e64 v21, s[40:41], v97, v21, s[40:41]
	global_store_short v[20:21], v101, off
	s_or_b64 exec, exec, s[42:43]
	v_cmp_lt_u32_e64 s[40:41], v26, v93
	s_and_saveexec_b64 s[44:45], s[40:41]
	s_cbranch_execnz .LBB1947_623
.LBB1947_616:                           ;   in Loop: Header=BB1947_566 Depth=2
	s_or_b64 exec, exec, s[44:45]
	v_cmp_lt_u32_e64 s[42:43], v29, v93
	s_and_saveexec_b64 s[46:47], s[42:43]
	s_cbranch_execz .LBB1947_624
.LBB1947_617:                           ;   in Loop: Header=BB1947_566 Depth=2
	ds_read_u16 v20, v50 offset:2048
	v_mov_b32_e32 v21, v4
	v_mov_b32_e32 v97, s61
	s_waitcnt lgkmcnt(0)
	v_cmp_ne_u16_e64 s[44:45], s68, v20
	v_cndmask_b32_e64 v94, v66, v20, s[44:45]
	v_lshrrev_b32_sdwa v94, s69, v94 dst_sel:DWORD dst_unused:UNUSED_PAD src0_sel:DWORD src1_sel:WORD_0
	v_and_b32_e32 v94, s78, v94
	v_lshlrev_b32_e32 v94, 2, v94
	ds_read_b32 v94, v94
	v_cmp_gt_i16_e64 s[44:45], 0, v20
	v_cndmask_b32_e64 v101, v66, 0, s[44:45]
	v_xor_b32_e32 v101, v101, v20
	s_waitcnt lgkmcnt(0)
	v_add_u32_e32 v20, v94, v29
	v_lshlrev_b64 v[20:21], 1, v[20:21]
	v_add_co_u32_e64 v20, s[44:45], s60, v20
	v_addc_co_u32_e64 v21, s[44:45], v97, v21, s[44:45]
	global_store_short v[20:21], v101, off
	s_or_b64 exec, exec, s[46:47]
	v_cmp_lt_u32_e64 s[44:45], v30, v93
	s_and_saveexec_b64 s[48:49], s[44:45]
	s_cbranch_execnz .LBB1947_625
.LBB1947_618:                           ;   in Loop: Header=BB1947_566 Depth=2
	s_or_b64 exec, exec, s[48:49]
	v_cmp_lt_u32_e64 s[46:47], v31, v93
	s_and_saveexec_b64 s[52:53], s[46:47]
	s_cbranch_execz .LBB1947_626
.LBB1947_619:                           ;   in Loop: Header=BB1947_566 Depth=2
	ds_read_u16 v20, v50 offset:3072
	v_mov_b32_e32 v21, v4
	v_mov_b32_e32 v97, s61
	s_waitcnt lgkmcnt(0)
	v_cmp_ne_u16_e64 s[48:49], s68, v20
	v_cndmask_b32_e64 v94, v66, v20, s[48:49]
	v_lshrrev_b32_sdwa v94, s69, v94 dst_sel:DWORD dst_unused:UNUSED_PAD src0_sel:DWORD src1_sel:WORD_0
	v_and_b32_e32 v94, s78, v94
	v_lshlrev_b32_e32 v94, 2, v94
	ds_read_b32 v94, v94
	v_cmp_gt_i16_e64 s[48:49], 0, v20
	v_cndmask_b32_e64 v101, v66, 0, s[48:49]
	v_xor_b32_e32 v101, v101, v20
	s_waitcnt lgkmcnt(0)
	v_add_u32_e32 v20, v94, v31
	v_lshlrev_b64 v[20:21], 1, v[20:21]
	v_add_co_u32_e64 v20, s[48:49], s60, v20
	v_addc_co_u32_e64 v21, s[48:49], v97, v21, s[48:49]
	global_store_short v[20:21], v101, off
	s_or_b64 exec, exec, s[52:53]
	v_cmp_lt_u32_e64 s[48:49], v32, v93
	s_and_saveexec_b64 s[62:63], s[48:49]
	s_cbranch_execnz .LBB1947_627
	s_branch .LBB1947_628
.LBB1947_620:                           ;   in Loop: Header=BB1947_566 Depth=2
	s_or_b64 exec, exec, s[38:39]
	v_cmp_lt_u32_e64 s[36:37], v24, v93
	s_and_saveexec_b64 s[40:41], s[36:37]
	s_cbranch_execz .LBB1947_614
.LBB1947_621:                           ;   in Loop: Header=BB1947_566 Depth=2
	ds_read_u16 v20, v50 offset:512
	v_mov_b32_e32 v21, v4
	v_mov_b32_e32 v97, s61
	s_waitcnt lgkmcnt(0)
	v_cmp_ne_u16_e64 s[38:39], s68, v20
	v_cndmask_b32_e64 v94, v66, v20, s[38:39]
	v_lshrrev_b32_sdwa v94, s69, v94 dst_sel:DWORD dst_unused:UNUSED_PAD src0_sel:DWORD src1_sel:WORD_0
	v_and_b32_e32 v94, s78, v94
	v_lshlrev_b32_e32 v94, 2, v94
	ds_read_b32 v94, v94
	v_cmp_gt_i16_e64 s[38:39], 0, v20
	v_cndmask_b32_e64 v101, v66, 0, s[38:39]
	v_xor_b32_e32 v101, v101, v20
	s_waitcnt lgkmcnt(0)
	v_add_u32_e32 v20, v94, v24
	v_lshlrev_b64 v[20:21], 1, v[20:21]
	v_add_co_u32_e64 v20, s[38:39], s60, v20
	v_addc_co_u32_e64 v21, s[38:39], v97, v21, s[38:39]
	global_store_short v[20:21], v101, off
	s_or_b64 exec, exec, s[40:41]
	v_cmp_lt_u32_e64 s[38:39], v25, v93
	s_and_saveexec_b64 s[42:43], s[38:39]
	s_cbranch_execnz .LBB1947_615
.LBB1947_622:                           ;   in Loop: Header=BB1947_566 Depth=2
	s_or_b64 exec, exec, s[42:43]
	v_cmp_lt_u32_e64 s[40:41], v26, v93
	s_and_saveexec_b64 s[44:45], s[40:41]
	s_cbranch_execz .LBB1947_616
.LBB1947_623:                           ;   in Loop: Header=BB1947_566 Depth=2
	ds_read_u16 v20, v50 offset:1536
	v_mov_b32_e32 v21, v4
	v_mov_b32_e32 v97, s61
	s_waitcnt lgkmcnt(0)
	v_cmp_ne_u16_e64 s[42:43], s68, v20
	v_cndmask_b32_e64 v94, v66, v20, s[42:43]
	v_lshrrev_b32_sdwa v94, s69, v94 dst_sel:DWORD dst_unused:UNUSED_PAD src0_sel:DWORD src1_sel:WORD_0
	v_and_b32_e32 v94, s78, v94
	v_lshlrev_b32_e32 v94, 2, v94
	ds_read_b32 v94, v94
	v_cmp_gt_i16_e64 s[42:43], 0, v20
	v_cndmask_b32_e64 v101, v66, 0, s[42:43]
	v_xor_b32_e32 v101, v101, v20
	s_waitcnt lgkmcnt(0)
	v_add_u32_e32 v20, v94, v26
	v_lshlrev_b64 v[20:21], 1, v[20:21]
	v_add_co_u32_e64 v20, s[42:43], s60, v20
	v_addc_co_u32_e64 v21, s[42:43], v97, v21, s[42:43]
	global_store_short v[20:21], v101, off
	s_or_b64 exec, exec, s[44:45]
	v_cmp_lt_u32_e64 s[42:43], v29, v93
	s_and_saveexec_b64 s[46:47], s[42:43]
	s_cbranch_execnz .LBB1947_617
.LBB1947_624:                           ;   in Loop: Header=BB1947_566 Depth=2
	s_or_b64 exec, exec, s[46:47]
	v_cmp_lt_u32_e64 s[44:45], v30, v93
	s_and_saveexec_b64 s[48:49], s[44:45]
	s_cbranch_execz .LBB1947_618
.LBB1947_625:                           ;   in Loop: Header=BB1947_566 Depth=2
	ds_read_u16 v20, v50 offset:2560
	v_mov_b32_e32 v21, v4
	v_mov_b32_e32 v97, s61
	s_waitcnt lgkmcnt(0)
	v_cmp_ne_u16_e64 s[46:47], s68, v20
	v_cndmask_b32_e64 v94, v66, v20, s[46:47]
	v_lshrrev_b32_sdwa v94, s69, v94 dst_sel:DWORD dst_unused:UNUSED_PAD src0_sel:DWORD src1_sel:WORD_0
	v_and_b32_e32 v94, s78, v94
	v_lshlrev_b32_e32 v94, 2, v94
	ds_read_b32 v94, v94
	v_cmp_gt_i16_e64 s[46:47], 0, v20
	v_cndmask_b32_e64 v101, v66, 0, s[46:47]
	v_xor_b32_e32 v101, v101, v20
	s_waitcnt lgkmcnt(0)
	v_add_u32_e32 v20, v94, v30
	v_lshlrev_b64 v[20:21], 1, v[20:21]
	v_add_co_u32_e64 v20, s[46:47], s60, v20
	v_addc_co_u32_e64 v21, s[46:47], v97, v21, s[46:47]
	global_store_short v[20:21], v101, off
	s_or_b64 exec, exec, s[48:49]
	v_cmp_lt_u32_e64 s[46:47], v31, v93
	s_and_saveexec_b64 s[52:53], s[46:47]
	s_cbranch_execnz .LBB1947_619
.LBB1947_626:                           ;   in Loop: Header=BB1947_566 Depth=2
	s_or_b64 exec, exec, s[52:53]
	v_cmp_lt_u32_e64 s[48:49], v32, v93
	s_and_saveexec_b64 s[62:63], s[48:49]
	s_cbranch_execz .LBB1947_628
.LBB1947_627:                           ;   in Loop: Header=BB1947_566 Depth=2
	ds_read_u16 v20, v50 offset:3584
	v_mov_b32_e32 v21, v4
	v_mov_b32_e32 v97, s61
	s_waitcnt lgkmcnt(0)
	v_cmp_ne_u16_e64 s[52:53], s68, v20
	v_cndmask_b32_e64 v94, v66, v20, s[52:53]
	v_lshrrev_b32_sdwa v94, s69, v94 dst_sel:DWORD dst_unused:UNUSED_PAD src0_sel:DWORD src1_sel:WORD_0
	v_and_b32_e32 v94, s78, v94
	v_lshlrev_b32_e32 v94, 2, v94
	ds_read_b32 v94, v94
	v_cmp_gt_i16_e64 s[52:53], 0, v20
	v_cndmask_b32_e64 v101, v66, 0, s[52:53]
	v_xor_b32_e32 v101, v101, v20
	s_waitcnt lgkmcnt(0)
	v_add_u32_e32 v20, v94, v32
	v_lshlrev_b64 v[20:21], 1, v[20:21]
	v_add_co_u32_e64 v20, s[52:53], s60, v20
	v_addc_co_u32_e64 v21, s[52:53], v97, v21, s[52:53]
	global_store_short v[20:21], v101, off
.LBB1947_628:                           ;   in Loop: Header=BB1947_566 Depth=2
	s_or_b64 exec, exec, s[62:63]
	s_lshl_b64 s[52:53], s[72:73], 3
	v_mov_b32_e32 v21, s53
	v_add_co_u32_e64 v20, s[52:53], s52, v77
	v_addc_co_u32_e64 v21, s[52:53], v79, v21, s[52:53]
	v_cmp_lt_u32_e64 s[52:53], v74, v93
	s_and_saveexec_b64 s[62:63], s[52:53]
	s_xor_b64 s[52:53], exec, s[62:63]
	s_cbranch_execz .LBB1947_644
; %bb.629:                              ;   in Loop: Header=BB1947_566 Depth=2
	global_load_dwordx2 v[18:19], v[20:21], off
	s_or_b64 exec, exec, s[52:53]
	v_cmp_lt_u32_e64 s[52:53], v81, v93
	s_and_saveexec_b64 s[62:63], s[52:53]
	s_cbranch_execnz .LBB1947_645
.LBB1947_630:                           ;   in Loop: Header=BB1947_566 Depth=2
	s_or_b64 exec, exec, s[62:63]
	v_cmp_lt_u32_e64 s[52:53], v82, v93
	s_and_saveexec_b64 s[62:63], s[52:53]
	s_cbranch_execz .LBB1947_646
.LBB1947_631:                           ;   in Loop: Header=BB1947_566 Depth=2
	global_load_dwordx2 v[14:15], v[20:21], off offset:1024
	s_or_b64 exec, exec, s[62:63]
	v_cmp_lt_u32_e64 s[52:53], v83, v93
	s_and_saveexec_b64 s[62:63], s[52:53]
	s_cbranch_execnz .LBB1947_647
.LBB1947_632:                           ;   in Loop: Header=BB1947_566 Depth=2
	s_or_b64 exec, exec, s[62:63]
	v_cmp_lt_u32_e64 s[52:53], v84, v93
	s_and_saveexec_b64 s[62:63], s[52:53]
	s_cbranch_execz .LBB1947_648
.LBB1947_633:                           ;   in Loop: Header=BB1947_566 Depth=2
	global_load_dwordx2 v[10:11], v[20:21], off offset:2048
	s_or_b64 exec, exec, s[62:63]
	v_cmp_lt_u32_e64 s[52:53], v85, v93
	s_and_saveexec_b64 s[62:63], s[52:53]
	s_cbranch_execnz .LBB1947_649
.LBB1947_634:                           ;   in Loop: Header=BB1947_566 Depth=2
	s_or_b64 exec, exec, s[62:63]
	v_cmp_lt_u32_e64 s[52:53], v86, v93
	s_and_saveexec_b64 s[62:63], s[52:53]
	s_cbranch_execz .LBB1947_650
.LBB1947_635:                           ;   in Loop: Header=BB1947_566 Depth=2
	global_load_dwordx2 v[6:7], v[20:21], off offset:3072
	s_or_b64 exec, exec, s[62:63]
	v_cmp_lt_u32_e64 s[52:53], v87, v93
	s_and_saveexec_b64 s[62:63], s[52:53]
	s_cbranch_execnz .LBB1947_651
.LBB1947_636:                           ;   in Loop: Header=BB1947_566 Depth=2
	s_or_b64 exec, exec, s[62:63]
	s_and_saveexec_b64 s[62:63], vcc
	s_cbranch_execz .LBB1947_652
.LBB1947_637:                           ;   in Loop: Header=BB1947_566 Depth=2
	ds_read_u16 v20, v49 offset:1024
	s_waitcnt lgkmcnt(0)
	v_cmp_ne_u16_e64 s[52:53], s68, v20
	v_cndmask_b32_e64 v20, v66, v20, s[52:53]
	v_lshrrev_b32_sdwa v20, s69, v20 dst_sel:DWORD dst_unused:UNUSED_PAD src0_sel:DWORD src1_sel:WORD_0
	v_and_b32_e32 v80, s78, v20
	s_or_b64 exec, exec, s[62:63]
	s_and_saveexec_b64 s[62:63], s[36:37]
	s_cbranch_execnz .LBB1947_653
.LBB1947_638:                           ;   in Loop: Header=BB1947_566 Depth=2
	s_or_b64 exec, exec, s[62:63]
	s_and_saveexec_b64 s[62:63], s[38:39]
	s_cbranch_execz .LBB1947_654
.LBB1947_639:                           ;   in Loop: Header=BB1947_566 Depth=2
	ds_read_u16 v20, v50 offset:1024
	s_waitcnt lgkmcnt(0)
	v_cmp_ne_u16_e64 s[52:53], s68, v20
	v_cndmask_b32_e64 v20, v66, v20, s[52:53]
	v_lshrrev_b32_sdwa v20, s69, v20 dst_sel:DWORD dst_unused:UNUSED_PAD src0_sel:DWORD src1_sel:WORD_0
	v_and_b32_e32 v76, s78, v20
	s_or_b64 exec, exec, s[62:63]
	s_and_saveexec_b64 s[62:63], s[40:41]
	s_cbranch_execnz .LBB1947_655
.LBB1947_640:                           ;   in Loop: Header=BB1947_566 Depth=2
	s_or_b64 exec, exec, s[62:63]
	s_and_saveexec_b64 s[62:63], s[42:43]
	s_cbranch_execz .LBB1947_656
.LBB1947_641:                           ;   in Loop: Header=BB1947_566 Depth=2
	ds_read_u16 v20, v50 offset:2048
	s_waitcnt lgkmcnt(0)
	v_cmp_ne_u16_e64 s[52:53], s68, v20
	v_cndmask_b32_e64 v20, v66, v20, s[52:53]
	v_lshrrev_b32_sdwa v20, s69, v20 dst_sel:DWORD dst_unused:UNUSED_PAD src0_sel:DWORD src1_sel:WORD_0
	v_and_b32_e32 v73, s78, v20
	s_or_b64 exec, exec, s[62:63]
	s_and_saveexec_b64 s[62:63], s[44:45]
	s_cbranch_execnz .LBB1947_657
.LBB1947_642:                           ;   in Loop: Header=BB1947_566 Depth=2
	s_or_b64 exec, exec, s[62:63]
	s_and_saveexec_b64 s[62:63], s[46:47]
	s_cbranch_execz .LBB1947_658
.LBB1947_643:                           ;   in Loop: Header=BB1947_566 Depth=2
	ds_read_u16 v20, v50 offset:3072
	s_waitcnt lgkmcnt(0)
	v_cmp_ne_u16_e64 s[52:53], s68, v20
	v_cndmask_b32_e64 v20, v66, v20, s[52:53]
	v_lshrrev_b32_sdwa v20, s69, v20 dst_sel:DWORD dst_unused:UNUSED_PAD src0_sel:DWORD src1_sel:WORD_0
	v_and_b32_e32 v71, s78, v20
	s_or_b64 exec, exec, s[62:63]
	s_and_saveexec_b64 s[62:63], s[48:49]
	s_cbranch_execnz .LBB1947_659
	s_branch .LBB1947_660
.LBB1947_644:                           ;   in Loop: Header=BB1947_566 Depth=2
	s_or_b64 exec, exec, s[52:53]
	v_cmp_lt_u32_e64 s[52:53], v81, v93
	s_and_saveexec_b64 s[62:63], s[52:53]
	s_cbranch_execz .LBB1947_630
.LBB1947_645:                           ;   in Loop: Header=BB1947_566 Depth=2
	global_load_dwordx2 v[16:17], v[20:21], off offset:512
	s_or_b64 exec, exec, s[62:63]
	v_cmp_lt_u32_e64 s[52:53], v82, v93
	s_and_saveexec_b64 s[62:63], s[52:53]
	s_cbranch_execnz .LBB1947_631
.LBB1947_646:                           ;   in Loop: Header=BB1947_566 Depth=2
	s_or_b64 exec, exec, s[62:63]
	v_cmp_lt_u32_e64 s[52:53], v83, v93
	s_and_saveexec_b64 s[62:63], s[52:53]
	s_cbranch_execz .LBB1947_632
.LBB1947_647:                           ;   in Loop: Header=BB1947_566 Depth=2
	global_load_dwordx2 v[12:13], v[20:21], off offset:1536
	s_or_b64 exec, exec, s[62:63]
	v_cmp_lt_u32_e64 s[52:53], v84, v93
	s_and_saveexec_b64 s[62:63], s[52:53]
	s_cbranch_execnz .LBB1947_633
.LBB1947_648:                           ;   in Loop: Header=BB1947_566 Depth=2
	s_or_b64 exec, exec, s[62:63]
	v_cmp_lt_u32_e64 s[52:53], v85, v93
	s_and_saveexec_b64 s[62:63], s[52:53]
	s_cbranch_execz .LBB1947_634
.LBB1947_649:                           ;   in Loop: Header=BB1947_566 Depth=2
	global_load_dwordx2 v[8:9], v[20:21], off offset:2560
	s_or_b64 exec, exec, s[62:63]
	v_cmp_lt_u32_e64 s[52:53], v86, v93
	s_and_saveexec_b64 s[62:63], s[52:53]
	s_cbranch_execnz .LBB1947_635
.LBB1947_650:                           ;   in Loop: Header=BB1947_566 Depth=2
	s_or_b64 exec, exec, s[62:63]
	v_cmp_lt_u32_e64 s[52:53], v87, v93
	s_and_saveexec_b64 s[62:63], s[52:53]
	s_cbranch_execz .LBB1947_636
.LBB1947_651:                           ;   in Loop: Header=BB1947_566 Depth=2
	global_load_dwordx2 v[0:1], v[20:21], off offset:3584
	s_or_b64 exec, exec, s[62:63]
	s_and_saveexec_b64 s[62:63], vcc
	s_cbranch_execnz .LBB1947_637
.LBB1947_652:                           ;   in Loop: Header=BB1947_566 Depth=2
	s_or_b64 exec, exec, s[62:63]
	s_and_saveexec_b64 s[62:63], s[36:37]
	s_cbranch_execz .LBB1947_638
.LBB1947_653:                           ;   in Loop: Header=BB1947_566 Depth=2
	ds_read_u16 v20, v50 offset:512
	s_waitcnt lgkmcnt(0)
	v_cmp_ne_u16_e64 s[52:53], s68, v20
	v_cndmask_b32_e64 v20, v66, v20, s[52:53]
	v_lshrrev_b32_sdwa v20, s69, v20 dst_sel:DWORD dst_unused:UNUSED_PAD src0_sel:DWORD src1_sel:WORD_0
	v_and_b32_e32 v78, s78, v20
	s_or_b64 exec, exec, s[62:63]
	s_and_saveexec_b64 s[62:63], s[38:39]
	s_cbranch_execnz .LBB1947_639
.LBB1947_654:                           ;   in Loop: Header=BB1947_566 Depth=2
	s_or_b64 exec, exec, s[62:63]
	s_and_saveexec_b64 s[62:63], s[40:41]
	s_cbranch_execz .LBB1947_640
.LBB1947_655:                           ;   in Loop: Header=BB1947_566 Depth=2
	ds_read_u16 v20, v50 offset:1536
	s_waitcnt lgkmcnt(0)
	v_cmp_ne_u16_e64 s[52:53], s68, v20
	v_cndmask_b32_e64 v20, v66, v20, s[52:53]
	v_lshrrev_b32_sdwa v20, s69, v20 dst_sel:DWORD dst_unused:UNUSED_PAD src0_sel:DWORD src1_sel:WORD_0
	v_and_b32_e32 v75, s78, v20
	s_or_b64 exec, exec, s[62:63]
	s_and_saveexec_b64 s[62:63], s[42:43]
	s_cbranch_execnz .LBB1947_641
.LBB1947_656:                           ;   in Loop: Header=BB1947_566 Depth=2
	s_or_b64 exec, exec, s[62:63]
	s_and_saveexec_b64 s[62:63], s[44:45]
	s_cbranch_execz .LBB1947_642
.LBB1947_657:                           ;   in Loop: Header=BB1947_566 Depth=2
	ds_read_u16 v20, v50 offset:2560
	s_waitcnt lgkmcnt(0)
	v_cmp_ne_u16_e64 s[52:53], s68, v20
	v_cndmask_b32_e64 v20, v66, v20, s[52:53]
	v_lshrrev_b32_sdwa v20, s69, v20 dst_sel:DWORD dst_unused:UNUSED_PAD src0_sel:DWORD src1_sel:WORD_0
	v_and_b32_e32 v72, s78, v20
	s_or_b64 exec, exec, s[62:63]
	s_and_saveexec_b64 s[62:63], s[46:47]
	s_cbranch_execnz .LBB1947_643
.LBB1947_658:                           ;   in Loop: Header=BB1947_566 Depth=2
	s_or_b64 exec, exec, s[62:63]
	s_and_saveexec_b64 s[62:63], s[48:49]
	s_cbranch_execz .LBB1947_660
.LBB1947_659:                           ;   in Loop: Header=BB1947_566 Depth=2
	ds_read_u16 v20, v50 offset:3584
	s_waitcnt lgkmcnt(0)
	v_cmp_ne_u16_e64 s[52:53], s68, v20
	v_cndmask_b32_e64 v20, v66, v20, s[52:53]
	v_lshrrev_b32_sdwa v20, s69, v20 dst_sel:DWORD dst_unused:UNUSED_PAD src0_sel:DWORD src1_sel:WORD_0
	v_and_b32_e32 v70, s78, v20
.LBB1947_660:                           ;   in Loop: Header=BB1947_566 Depth=2
	s_or_b64 exec, exec, s[62:63]
	v_lshlrev_b32_e32 v20, 3, v103
	s_barrier
	s_waitcnt vmcnt(0)
	ds_write_b64 v20, v[18:19] offset:1024
	v_lshlrev_b32_e32 v20, 3, v100
	ds_write_b64 v20, v[16:17] offset:1024
	v_lshlrev_b32_e32 v20, 3, v99
	;; [unrolled: 2-line block ×7, first 2 shown]
	ds_write_b64 v20, v[0:1] offset:1024
	s_waitcnt lgkmcnt(0)
	s_barrier
	s_and_saveexec_b64 s[52:53], vcc
	s_cbranch_execz .LBB1947_668
; %bb.661:                              ;   in Loop: Header=BB1947_566 Depth=2
	v_lshlrev_b32_e32 v20, 2, v80
	ds_read_b32 v20, v20
	v_add_u32_e32 v22, v49, v51
	ds_read_b64 v[22:23], v22 offset:1024
	v_mov_b32_e32 v21, v4
	v_mov_b32_e32 v93, s67
	s_waitcnt lgkmcnt(1)
	v_add_u32_e32 v20, v20, v2
	v_lshlrev_b64 v[20:21], 3, v[20:21]
	v_add_co_u32_e32 v20, vcc, s66, v20
	v_addc_co_u32_e32 v21, vcc, v93, v21, vcc
	s_waitcnt lgkmcnt(0)
	global_store_dwordx2 v[20:21], v[22:23], off
	s_or_b64 exec, exec, s[52:53]
	v_add_u32_e32 v20, v50, v51
	s_and_saveexec_b64 s[52:53], s[36:37]
	s_cbranch_execnz .LBB1947_669
.LBB1947_662:                           ;   in Loop: Header=BB1947_566 Depth=2
	s_or_b64 exec, exec, s[52:53]
	s_and_saveexec_b64 s[36:37], s[38:39]
	s_cbranch_execz .LBB1947_670
.LBB1947_663:                           ;   in Loop: Header=BB1947_566 Depth=2
	v_lshlrev_b32_e32 v21, 2, v76
	ds_read_b32 v21, v21
	ds_read_b64 v[22:23], v20 offset:4096
	v_mov_b32_e32 v95, v4
	v_mov_b32_e32 v93, s67
	s_waitcnt lgkmcnt(1)
	v_add_u32_e32 v94, v21, v25
	v_lshlrev_b64 v[94:95], 3, v[94:95]
	v_add_co_u32_e32 v94, vcc, s66, v94
	v_addc_co_u32_e32 v95, vcc, v93, v95, vcc
	s_waitcnt lgkmcnt(0)
	global_store_dwordx2 v[94:95], v[22:23], off
	s_or_b64 exec, exec, s[36:37]
	s_and_saveexec_b64 s[36:37], s[40:41]
	s_cbranch_execnz .LBB1947_671
.LBB1947_664:                           ;   in Loop: Header=BB1947_566 Depth=2
	s_or_b64 exec, exec, s[36:37]
	s_and_saveexec_b64 s[36:37], s[42:43]
	s_cbranch_execz .LBB1947_672
.LBB1947_665:                           ;   in Loop: Header=BB1947_566 Depth=2
	v_lshlrev_b32_e32 v21, 2, v73
	ds_read_b32 v21, v21
	ds_read_b64 v[22:23], v20 offset:8192
	v_mov_b32_e32 v95, v4
	v_mov_b32_e32 v93, s67
	s_waitcnt lgkmcnt(1)
	v_add_u32_e32 v94, v21, v29
	v_lshlrev_b64 v[94:95], 3, v[94:95]
	v_add_co_u32_e32 v94, vcc, s66, v94
	v_addc_co_u32_e32 v95, vcc, v93, v95, vcc
	s_waitcnt lgkmcnt(0)
	global_store_dwordx2 v[94:95], v[22:23], off
	s_or_b64 exec, exec, s[36:37]
	s_and_saveexec_b64 s[36:37], s[44:45]
	s_cbranch_execnz .LBB1947_673
.LBB1947_666:                           ;   in Loop: Header=BB1947_566 Depth=2
	s_or_b64 exec, exec, s[36:37]
	s_and_saveexec_b64 s[36:37], s[46:47]
	s_cbranch_execz .LBB1947_674
.LBB1947_667:                           ;   in Loop: Header=BB1947_566 Depth=2
	v_lshlrev_b32_e32 v21, 2, v71
	ds_read_b32 v21, v21
	ds_read_b64 v[22:23], v20 offset:12288
	v_mov_b32_e32 v95, v4
	v_mov_b32_e32 v93, s67
	s_waitcnt lgkmcnt(1)
	v_add_u32_e32 v94, v21, v31
	v_lshlrev_b64 v[94:95], 3, v[94:95]
	v_add_co_u32_e32 v94, vcc, s66, v94
	v_addc_co_u32_e32 v95, vcc, v93, v95, vcc
	s_waitcnt lgkmcnt(0)
	global_store_dwordx2 v[94:95], v[22:23], off
	s_or_b64 exec, exec, s[36:37]
	s_and_saveexec_b64 s[36:37], s[48:49]
	s_cbranch_execnz .LBB1947_675
	s_branch .LBB1947_676
.LBB1947_668:                           ;   in Loop: Header=BB1947_566 Depth=2
	s_or_b64 exec, exec, s[52:53]
	v_add_u32_e32 v20, v50, v51
	s_and_saveexec_b64 s[52:53], s[36:37]
	s_cbranch_execz .LBB1947_662
.LBB1947_669:                           ;   in Loop: Header=BB1947_566 Depth=2
	v_lshlrev_b32_e32 v21, 2, v78
	ds_read_b32 v21, v21
	ds_read_b64 v[22:23], v20 offset:2048
	v_mov_b32_e32 v95, v4
	v_mov_b32_e32 v93, s67
	s_waitcnt lgkmcnt(1)
	v_add_u32_e32 v94, v21, v24
	v_lshlrev_b64 v[94:95], 3, v[94:95]
	v_add_co_u32_e32 v94, vcc, s66, v94
	v_addc_co_u32_e32 v95, vcc, v93, v95, vcc
	s_waitcnt lgkmcnt(0)
	global_store_dwordx2 v[94:95], v[22:23], off
	s_or_b64 exec, exec, s[52:53]
	s_and_saveexec_b64 s[36:37], s[38:39]
	s_cbranch_execnz .LBB1947_663
.LBB1947_670:                           ;   in Loop: Header=BB1947_566 Depth=2
	s_or_b64 exec, exec, s[36:37]
	s_and_saveexec_b64 s[36:37], s[40:41]
	s_cbranch_execz .LBB1947_664
.LBB1947_671:                           ;   in Loop: Header=BB1947_566 Depth=2
	v_lshlrev_b32_e32 v21, 2, v75
	ds_read_b32 v21, v21
	ds_read_b64 v[22:23], v20 offset:6144
	v_mov_b32_e32 v95, v4
	v_mov_b32_e32 v93, s67
	s_waitcnt lgkmcnt(1)
	v_add_u32_e32 v94, v21, v26
	v_lshlrev_b64 v[94:95], 3, v[94:95]
	v_add_co_u32_e32 v94, vcc, s66, v94
	v_addc_co_u32_e32 v95, vcc, v93, v95, vcc
	s_waitcnt lgkmcnt(0)
	global_store_dwordx2 v[94:95], v[22:23], off
	s_or_b64 exec, exec, s[36:37]
	s_and_saveexec_b64 s[36:37], s[42:43]
	s_cbranch_execnz .LBB1947_665
.LBB1947_672:                           ;   in Loop: Header=BB1947_566 Depth=2
	s_or_b64 exec, exec, s[36:37]
	s_and_saveexec_b64 s[36:37], s[44:45]
	s_cbranch_execz .LBB1947_666
.LBB1947_673:                           ;   in Loop: Header=BB1947_566 Depth=2
	v_lshlrev_b32_e32 v21, 2, v72
	ds_read_b32 v21, v21
	ds_read_b64 v[22:23], v20 offset:10240
	v_mov_b32_e32 v95, v4
	v_mov_b32_e32 v93, s67
	s_waitcnt lgkmcnt(1)
	v_add_u32_e32 v94, v21, v30
	v_lshlrev_b64 v[94:95], 3, v[94:95]
	v_add_co_u32_e32 v94, vcc, s66, v94
	v_addc_co_u32_e32 v95, vcc, v93, v95, vcc
	s_waitcnt lgkmcnt(0)
	global_store_dwordx2 v[94:95], v[22:23], off
	s_or_b64 exec, exec, s[36:37]
	s_and_saveexec_b64 s[36:37], s[46:47]
	s_cbranch_execnz .LBB1947_667
.LBB1947_674:                           ;   in Loop: Header=BB1947_566 Depth=2
	s_or_b64 exec, exec, s[36:37]
	s_and_saveexec_b64 s[36:37], s[48:49]
	s_cbranch_execz .LBB1947_676
.LBB1947_675:                           ;   in Loop: Header=BB1947_566 Depth=2
	v_lshlrev_b32_e32 v21, 2, v70
	ds_read_b32 v22, v21
	ds_read_b64 v[20:21], v20 offset:14336
	v_mov_b32_e32 v23, v4
	v_mov_b32_e32 v93, s67
	s_waitcnt lgkmcnt(1)
	v_add_u32_e32 v22, v22, v32
	v_lshlrev_b64 v[22:23], 3, v[22:23]
	v_add_co_u32_e32 v22, vcc, s66, v22
	v_addc_co_u32_e32 v23, vcc, v93, v23, vcc
	s_waitcnt lgkmcnt(0)
	global_store_dwordx2 v[22:23], v[20:21], off
.LBB1947_676:                           ;   in Loop: Header=BB1947_566 Depth=2
	s_or_b64 exec, exec, s[36:37]
	s_barrier
	s_and_saveexec_b64 s[36:37], s[4:5]
	s_cbranch_execz .LBB1947_565
; %bb.677:                              ;   in Loop: Header=BB1947_566 Depth=2
	ds_read_b32 v20, v3
	s_waitcnt lgkmcnt(0)
	v_add_u32_e32 v5, v20, v5
	ds_write_b32 v3, v5
	s_branch .LBB1947_565
.LBB1947_678:
	s_endpgm
	.section	.rodata,"a",@progbits
	.p2align	6, 0x0
	.amdhsa_kernel _ZN7rocprim17ROCPRIM_400000_NS6detail17trampoline_kernelINS0_14default_configENS1_36segmented_radix_sort_config_selectorI12hip_bfloat16lEEZNS1_25segmented_radix_sort_implIS3_Lb1EPKS5_PS5_PKlPlN2at6native12_GLOBAL__N_18offset_tEEE10hipError_tPvRmT1_PNSt15iterator_traitsISL_E10value_typeET2_T3_PNSM_ISR_E10value_typeET4_jRbjT5_SX_jjP12ihipStream_tbEUlT_E_NS1_11comp_targetILNS1_3genE4ELNS1_11target_archE910ELNS1_3gpuE8ELNS1_3repE0EEENS1_30default_config_static_selectorELNS0_4arch9wavefront6targetE1EEEvSL_
		.amdhsa_group_segment_fixed_size 17424
		.amdhsa_private_segment_fixed_size 8
		.amdhsa_kernarg_size 352
		.amdhsa_user_sgpr_count 8
		.amdhsa_user_sgpr_private_segment_buffer 1
		.amdhsa_user_sgpr_dispatch_ptr 0
		.amdhsa_user_sgpr_queue_ptr 0
		.amdhsa_user_sgpr_kernarg_segment_ptr 1
		.amdhsa_user_sgpr_dispatch_id 0
		.amdhsa_user_sgpr_flat_scratch_init 1
		.amdhsa_user_sgpr_kernarg_preload_length 0
		.amdhsa_user_sgpr_kernarg_preload_offset 0
		.amdhsa_user_sgpr_private_segment_size 0
		.amdhsa_uses_dynamic_stack 0
		.amdhsa_system_sgpr_private_segment_wavefront_offset 1
		.amdhsa_system_sgpr_workgroup_id_x 1
		.amdhsa_system_sgpr_workgroup_id_y 1
		.amdhsa_system_sgpr_workgroup_id_z 0
		.amdhsa_system_sgpr_workgroup_info 0
		.amdhsa_system_vgpr_workitem_id 2
		.amdhsa_next_free_vgpr 178
		.amdhsa_next_free_sgpr 81
		.amdhsa_accum_offset 180
		.amdhsa_reserve_vcc 1
		.amdhsa_reserve_flat_scratch 1
		.amdhsa_float_round_mode_32 0
		.amdhsa_float_round_mode_16_64 0
		.amdhsa_float_denorm_mode_32 3
		.amdhsa_float_denorm_mode_16_64 3
		.amdhsa_dx10_clamp 1
		.amdhsa_ieee_mode 1
		.amdhsa_fp16_overflow 0
		.amdhsa_tg_split 0
		.amdhsa_exception_fp_ieee_invalid_op 0
		.amdhsa_exception_fp_denorm_src 0
		.amdhsa_exception_fp_ieee_div_zero 0
		.amdhsa_exception_fp_ieee_overflow 0
		.amdhsa_exception_fp_ieee_underflow 0
		.amdhsa_exception_fp_ieee_inexact 0
		.amdhsa_exception_int_div_zero 0
	.end_amdhsa_kernel
	.section	.text._ZN7rocprim17ROCPRIM_400000_NS6detail17trampoline_kernelINS0_14default_configENS1_36segmented_radix_sort_config_selectorI12hip_bfloat16lEEZNS1_25segmented_radix_sort_implIS3_Lb1EPKS5_PS5_PKlPlN2at6native12_GLOBAL__N_18offset_tEEE10hipError_tPvRmT1_PNSt15iterator_traitsISL_E10value_typeET2_T3_PNSM_ISR_E10value_typeET4_jRbjT5_SX_jjP12ihipStream_tbEUlT_E_NS1_11comp_targetILNS1_3genE4ELNS1_11target_archE910ELNS1_3gpuE8ELNS1_3repE0EEENS1_30default_config_static_selectorELNS0_4arch9wavefront6targetE1EEEvSL_,"axG",@progbits,_ZN7rocprim17ROCPRIM_400000_NS6detail17trampoline_kernelINS0_14default_configENS1_36segmented_radix_sort_config_selectorI12hip_bfloat16lEEZNS1_25segmented_radix_sort_implIS3_Lb1EPKS5_PS5_PKlPlN2at6native12_GLOBAL__N_18offset_tEEE10hipError_tPvRmT1_PNSt15iterator_traitsISL_E10value_typeET2_T3_PNSM_ISR_E10value_typeET4_jRbjT5_SX_jjP12ihipStream_tbEUlT_E_NS1_11comp_targetILNS1_3genE4ELNS1_11target_archE910ELNS1_3gpuE8ELNS1_3repE0EEENS1_30default_config_static_selectorELNS0_4arch9wavefront6targetE1EEEvSL_,comdat
.Lfunc_end1947:
	.size	_ZN7rocprim17ROCPRIM_400000_NS6detail17trampoline_kernelINS0_14default_configENS1_36segmented_radix_sort_config_selectorI12hip_bfloat16lEEZNS1_25segmented_radix_sort_implIS3_Lb1EPKS5_PS5_PKlPlN2at6native12_GLOBAL__N_18offset_tEEE10hipError_tPvRmT1_PNSt15iterator_traitsISL_E10value_typeET2_T3_PNSM_ISR_E10value_typeET4_jRbjT5_SX_jjP12ihipStream_tbEUlT_E_NS1_11comp_targetILNS1_3genE4ELNS1_11target_archE910ELNS1_3gpuE8ELNS1_3repE0EEENS1_30default_config_static_selectorELNS0_4arch9wavefront6targetE1EEEvSL_, .Lfunc_end1947-_ZN7rocprim17ROCPRIM_400000_NS6detail17trampoline_kernelINS0_14default_configENS1_36segmented_radix_sort_config_selectorI12hip_bfloat16lEEZNS1_25segmented_radix_sort_implIS3_Lb1EPKS5_PS5_PKlPlN2at6native12_GLOBAL__N_18offset_tEEE10hipError_tPvRmT1_PNSt15iterator_traitsISL_E10value_typeET2_T3_PNSM_ISR_E10value_typeET4_jRbjT5_SX_jjP12ihipStream_tbEUlT_E_NS1_11comp_targetILNS1_3genE4ELNS1_11target_archE910ELNS1_3gpuE8ELNS1_3repE0EEENS1_30default_config_static_selectorELNS0_4arch9wavefront6targetE1EEEvSL_
                                        ; -- End function
	.section	.AMDGPU.csdata,"",@progbits
; Kernel info:
; codeLenInByte = 38640
; NumSgprs: 87
; NumVgprs: 178
; NumAgprs: 0
; TotalNumVgprs: 178
; ScratchSize: 8
; MemoryBound: 0
; FloatMode: 240
; IeeeMode: 1
; LDSByteSize: 17424 bytes/workgroup (compile time only)
; SGPRBlocks: 10
; VGPRBlocks: 22
; NumSGPRsForWavesPerEU: 87
; NumVGPRsForWavesPerEU: 178
; AccumOffset: 180
; Occupancy: 2
; WaveLimiterHint : 1
; COMPUTE_PGM_RSRC2:SCRATCH_EN: 1
; COMPUTE_PGM_RSRC2:USER_SGPR: 8
; COMPUTE_PGM_RSRC2:TRAP_HANDLER: 0
; COMPUTE_PGM_RSRC2:TGID_X_EN: 1
; COMPUTE_PGM_RSRC2:TGID_Y_EN: 1
; COMPUTE_PGM_RSRC2:TGID_Z_EN: 0
; COMPUTE_PGM_RSRC2:TIDIG_COMP_CNT: 2
; COMPUTE_PGM_RSRC3_GFX90A:ACCUM_OFFSET: 44
; COMPUTE_PGM_RSRC3_GFX90A:TG_SPLIT: 0
	.section	.text._ZN7rocprim17ROCPRIM_400000_NS6detail17trampoline_kernelINS0_14default_configENS1_36segmented_radix_sort_config_selectorI12hip_bfloat16lEEZNS1_25segmented_radix_sort_implIS3_Lb1EPKS5_PS5_PKlPlN2at6native12_GLOBAL__N_18offset_tEEE10hipError_tPvRmT1_PNSt15iterator_traitsISL_E10value_typeET2_T3_PNSM_ISR_E10value_typeET4_jRbjT5_SX_jjP12ihipStream_tbEUlT_E_NS1_11comp_targetILNS1_3genE3ELNS1_11target_archE908ELNS1_3gpuE7ELNS1_3repE0EEENS1_30default_config_static_selectorELNS0_4arch9wavefront6targetE1EEEvSL_,"axG",@progbits,_ZN7rocprim17ROCPRIM_400000_NS6detail17trampoline_kernelINS0_14default_configENS1_36segmented_radix_sort_config_selectorI12hip_bfloat16lEEZNS1_25segmented_radix_sort_implIS3_Lb1EPKS5_PS5_PKlPlN2at6native12_GLOBAL__N_18offset_tEEE10hipError_tPvRmT1_PNSt15iterator_traitsISL_E10value_typeET2_T3_PNSM_ISR_E10value_typeET4_jRbjT5_SX_jjP12ihipStream_tbEUlT_E_NS1_11comp_targetILNS1_3genE3ELNS1_11target_archE908ELNS1_3gpuE7ELNS1_3repE0EEENS1_30default_config_static_selectorELNS0_4arch9wavefront6targetE1EEEvSL_,comdat
	.globl	_ZN7rocprim17ROCPRIM_400000_NS6detail17trampoline_kernelINS0_14default_configENS1_36segmented_radix_sort_config_selectorI12hip_bfloat16lEEZNS1_25segmented_radix_sort_implIS3_Lb1EPKS5_PS5_PKlPlN2at6native12_GLOBAL__N_18offset_tEEE10hipError_tPvRmT1_PNSt15iterator_traitsISL_E10value_typeET2_T3_PNSM_ISR_E10value_typeET4_jRbjT5_SX_jjP12ihipStream_tbEUlT_E_NS1_11comp_targetILNS1_3genE3ELNS1_11target_archE908ELNS1_3gpuE7ELNS1_3repE0EEENS1_30default_config_static_selectorELNS0_4arch9wavefront6targetE1EEEvSL_ ; -- Begin function _ZN7rocprim17ROCPRIM_400000_NS6detail17trampoline_kernelINS0_14default_configENS1_36segmented_radix_sort_config_selectorI12hip_bfloat16lEEZNS1_25segmented_radix_sort_implIS3_Lb1EPKS5_PS5_PKlPlN2at6native12_GLOBAL__N_18offset_tEEE10hipError_tPvRmT1_PNSt15iterator_traitsISL_E10value_typeET2_T3_PNSM_ISR_E10value_typeET4_jRbjT5_SX_jjP12ihipStream_tbEUlT_E_NS1_11comp_targetILNS1_3genE3ELNS1_11target_archE908ELNS1_3gpuE7ELNS1_3repE0EEENS1_30default_config_static_selectorELNS0_4arch9wavefront6targetE1EEEvSL_
	.p2align	8
	.type	_ZN7rocprim17ROCPRIM_400000_NS6detail17trampoline_kernelINS0_14default_configENS1_36segmented_radix_sort_config_selectorI12hip_bfloat16lEEZNS1_25segmented_radix_sort_implIS3_Lb1EPKS5_PS5_PKlPlN2at6native12_GLOBAL__N_18offset_tEEE10hipError_tPvRmT1_PNSt15iterator_traitsISL_E10value_typeET2_T3_PNSM_ISR_E10value_typeET4_jRbjT5_SX_jjP12ihipStream_tbEUlT_E_NS1_11comp_targetILNS1_3genE3ELNS1_11target_archE908ELNS1_3gpuE7ELNS1_3repE0EEENS1_30default_config_static_selectorELNS0_4arch9wavefront6targetE1EEEvSL_,@function
_ZN7rocprim17ROCPRIM_400000_NS6detail17trampoline_kernelINS0_14default_configENS1_36segmented_radix_sort_config_selectorI12hip_bfloat16lEEZNS1_25segmented_radix_sort_implIS3_Lb1EPKS5_PS5_PKlPlN2at6native12_GLOBAL__N_18offset_tEEE10hipError_tPvRmT1_PNSt15iterator_traitsISL_E10value_typeET2_T3_PNSM_ISR_E10value_typeET4_jRbjT5_SX_jjP12ihipStream_tbEUlT_E_NS1_11comp_targetILNS1_3genE3ELNS1_11target_archE908ELNS1_3gpuE7ELNS1_3repE0EEENS1_30default_config_static_selectorELNS0_4arch9wavefront6targetE1EEEvSL_: ; @_ZN7rocprim17ROCPRIM_400000_NS6detail17trampoline_kernelINS0_14default_configENS1_36segmented_radix_sort_config_selectorI12hip_bfloat16lEEZNS1_25segmented_radix_sort_implIS3_Lb1EPKS5_PS5_PKlPlN2at6native12_GLOBAL__N_18offset_tEEE10hipError_tPvRmT1_PNSt15iterator_traitsISL_E10value_typeET2_T3_PNSM_ISR_E10value_typeET4_jRbjT5_SX_jjP12ihipStream_tbEUlT_E_NS1_11comp_targetILNS1_3genE3ELNS1_11target_archE908ELNS1_3gpuE7ELNS1_3repE0EEENS1_30default_config_static_selectorELNS0_4arch9wavefront6targetE1EEEvSL_
; %bb.0:
	.section	.rodata,"a",@progbits
	.p2align	6, 0x0
	.amdhsa_kernel _ZN7rocprim17ROCPRIM_400000_NS6detail17trampoline_kernelINS0_14default_configENS1_36segmented_radix_sort_config_selectorI12hip_bfloat16lEEZNS1_25segmented_radix_sort_implIS3_Lb1EPKS5_PS5_PKlPlN2at6native12_GLOBAL__N_18offset_tEEE10hipError_tPvRmT1_PNSt15iterator_traitsISL_E10value_typeET2_T3_PNSM_ISR_E10value_typeET4_jRbjT5_SX_jjP12ihipStream_tbEUlT_E_NS1_11comp_targetILNS1_3genE3ELNS1_11target_archE908ELNS1_3gpuE7ELNS1_3repE0EEENS1_30default_config_static_selectorELNS0_4arch9wavefront6targetE1EEEvSL_
		.amdhsa_group_segment_fixed_size 0
		.amdhsa_private_segment_fixed_size 0
		.amdhsa_kernarg_size 96
		.amdhsa_user_sgpr_count 6
		.amdhsa_user_sgpr_private_segment_buffer 1
		.amdhsa_user_sgpr_dispatch_ptr 0
		.amdhsa_user_sgpr_queue_ptr 0
		.amdhsa_user_sgpr_kernarg_segment_ptr 1
		.amdhsa_user_sgpr_dispatch_id 0
		.amdhsa_user_sgpr_flat_scratch_init 0
		.amdhsa_user_sgpr_kernarg_preload_length 0
		.amdhsa_user_sgpr_kernarg_preload_offset 0
		.amdhsa_user_sgpr_private_segment_size 0
		.amdhsa_uses_dynamic_stack 0
		.amdhsa_system_sgpr_private_segment_wavefront_offset 0
		.amdhsa_system_sgpr_workgroup_id_x 1
		.amdhsa_system_sgpr_workgroup_id_y 0
		.amdhsa_system_sgpr_workgroup_id_z 0
		.amdhsa_system_sgpr_workgroup_info 0
		.amdhsa_system_vgpr_workitem_id 0
		.amdhsa_next_free_vgpr 1
		.amdhsa_next_free_sgpr 0
		.amdhsa_accum_offset 4
		.amdhsa_reserve_vcc 0
		.amdhsa_reserve_flat_scratch 0
		.amdhsa_float_round_mode_32 0
		.amdhsa_float_round_mode_16_64 0
		.amdhsa_float_denorm_mode_32 3
		.amdhsa_float_denorm_mode_16_64 3
		.amdhsa_dx10_clamp 1
		.amdhsa_ieee_mode 1
		.amdhsa_fp16_overflow 0
		.amdhsa_tg_split 0
		.amdhsa_exception_fp_ieee_invalid_op 0
		.amdhsa_exception_fp_denorm_src 0
		.amdhsa_exception_fp_ieee_div_zero 0
		.amdhsa_exception_fp_ieee_overflow 0
		.amdhsa_exception_fp_ieee_underflow 0
		.amdhsa_exception_fp_ieee_inexact 0
		.amdhsa_exception_int_div_zero 0
	.end_amdhsa_kernel
	.section	.text._ZN7rocprim17ROCPRIM_400000_NS6detail17trampoline_kernelINS0_14default_configENS1_36segmented_radix_sort_config_selectorI12hip_bfloat16lEEZNS1_25segmented_radix_sort_implIS3_Lb1EPKS5_PS5_PKlPlN2at6native12_GLOBAL__N_18offset_tEEE10hipError_tPvRmT1_PNSt15iterator_traitsISL_E10value_typeET2_T3_PNSM_ISR_E10value_typeET4_jRbjT5_SX_jjP12ihipStream_tbEUlT_E_NS1_11comp_targetILNS1_3genE3ELNS1_11target_archE908ELNS1_3gpuE7ELNS1_3repE0EEENS1_30default_config_static_selectorELNS0_4arch9wavefront6targetE1EEEvSL_,"axG",@progbits,_ZN7rocprim17ROCPRIM_400000_NS6detail17trampoline_kernelINS0_14default_configENS1_36segmented_radix_sort_config_selectorI12hip_bfloat16lEEZNS1_25segmented_radix_sort_implIS3_Lb1EPKS5_PS5_PKlPlN2at6native12_GLOBAL__N_18offset_tEEE10hipError_tPvRmT1_PNSt15iterator_traitsISL_E10value_typeET2_T3_PNSM_ISR_E10value_typeET4_jRbjT5_SX_jjP12ihipStream_tbEUlT_E_NS1_11comp_targetILNS1_3genE3ELNS1_11target_archE908ELNS1_3gpuE7ELNS1_3repE0EEENS1_30default_config_static_selectorELNS0_4arch9wavefront6targetE1EEEvSL_,comdat
.Lfunc_end1948:
	.size	_ZN7rocprim17ROCPRIM_400000_NS6detail17trampoline_kernelINS0_14default_configENS1_36segmented_radix_sort_config_selectorI12hip_bfloat16lEEZNS1_25segmented_radix_sort_implIS3_Lb1EPKS5_PS5_PKlPlN2at6native12_GLOBAL__N_18offset_tEEE10hipError_tPvRmT1_PNSt15iterator_traitsISL_E10value_typeET2_T3_PNSM_ISR_E10value_typeET4_jRbjT5_SX_jjP12ihipStream_tbEUlT_E_NS1_11comp_targetILNS1_3genE3ELNS1_11target_archE908ELNS1_3gpuE7ELNS1_3repE0EEENS1_30default_config_static_selectorELNS0_4arch9wavefront6targetE1EEEvSL_, .Lfunc_end1948-_ZN7rocprim17ROCPRIM_400000_NS6detail17trampoline_kernelINS0_14default_configENS1_36segmented_radix_sort_config_selectorI12hip_bfloat16lEEZNS1_25segmented_radix_sort_implIS3_Lb1EPKS5_PS5_PKlPlN2at6native12_GLOBAL__N_18offset_tEEE10hipError_tPvRmT1_PNSt15iterator_traitsISL_E10value_typeET2_T3_PNSM_ISR_E10value_typeET4_jRbjT5_SX_jjP12ihipStream_tbEUlT_E_NS1_11comp_targetILNS1_3genE3ELNS1_11target_archE908ELNS1_3gpuE7ELNS1_3repE0EEENS1_30default_config_static_selectorELNS0_4arch9wavefront6targetE1EEEvSL_
                                        ; -- End function
	.section	.AMDGPU.csdata,"",@progbits
; Kernel info:
; codeLenInByte = 0
; NumSgprs: 4
; NumVgprs: 0
; NumAgprs: 0
; TotalNumVgprs: 0
; ScratchSize: 0
; MemoryBound: 0
; FloatMode: 240
; IeeeMode: 1
; LDSByteSize: 0 bytes/workgroup (compile time only)
; SGPRBlocks: 0
; VGPRBlocks: 0
; NumSGPRsForWavesPerEU: 4
; NumVGPRsForWavesPerEU: 1
; AccumOffset: 4
; Occupancy: 8
; WaveLimiterHint : 0
; COMPUTE_PGM_RSRC2:SCRATCH_EN: 0
; COMPUTE_PGM_RSRC2:USER_SGPR: 6
; COMPUTE_PGM_RSRC2:TRAP_HANDLER: 0
; COMPUTE_PGM_RSRC2:TGID_X_EN: 1
; COMPUTE_PGM_RSRC2:TGID_Y_EN: 0
; COMPUTE_PGM_RSRC2:TGID_Z_EN: 0
; COMPUTE_PGM_RSRC2:TIDIG_COMP_CNT: 0
; COMPUTE_PGM_RSRC3_GFX90A:ACCUM_OFFSET: 0
; COMPUTE_PGM_RSRC3_GFX90A:TG_SPLIT: 0
	.section	.text._ZN7rocprim17ROCPRIM_400000_NS6detail17trampoline_kernelINS0_14default_configENS1_36segmented_radix_sort_config_selectorI12hip_bfloat16lEEZNS1_25segmented_radix_sort_implIS3_Lb1EPKS5_PS5_PKlPlN2at6native12_GLOBAL__N_18offset_tEEE10hipError_tPvRmT1_PNSt15iterator_traitsISL_E10value_typeET2_T3_PNSM_ISR_E10value_typeET4_jRbjT5_SX_jjP12ihipStream_tbEUlT_E_NS1_11comp_targetILNS1_3genE2ELNS1_11target_archE906ELNS1_3gpuE6ELNS1_3repE0EEENS1_30default_config_static_selectorELNS0_4arch9wavefront6targetE1EEEvSL_,"axG",@progbits,_ZN7rocprim17ROCPRIM_400000_NS6detail17trampoline_kernelINS0_14default_configENS1_36segmented_radix_sort_config_selectorI12hip_bfloat16lEEZNS1_25segmented_radix_sort_implIS3_Lb1EPKS5_PS5_PKlPlN2at6native12_GLOBAL__N_18offset_tEEE10hipError_tPvRmT1_PNSt15iterator_traitsISL_E10value_typeET2_T3_PNSM_ISR_E10value_typeET4_jRbjT5_SX_jjP12ihipStream_tbEUlT_E_NS1_11comp_targetILNS1_3genE2ELNS1_11target_archE906ELNS1_3gpuE6ELNS1_3repE0EEENS1_30default_config_static_selectorELNS0_4arch9wavefront6targetE1EEEvSL_,comdat
	.globl	_ZN7rocprim17ROCPRIM_400000_NS6detail17trampoline_kernelINS0_14default_configENS1_36segmented_radix_sort_config_selectorI12hip_bfloat16lEEZNS1_25segmented_radix_sort_implIS3_Lb1EPKS5_PS5_PKlPlN2at6native12_GLOBAL__N_18offset_tEEE10hipError_tPvRmT1_PNSt15iterator_traitsISL_E10value_typeET2_T3_PNSM_ISR_E10value_typeET4_jRbjT5_SX_jjP12ihipStream_tbEUlT_E_NS1_11comp_targetILNS1_3genE2ELNS1_11target_archE906ELNS1_3gpuE6ELNS1_3repE0EEENS1_30default_config_static_selectorELNS0_4arch9wavefront6targetE1EEEvSL_ ; -- Begin function _ZN7rocprim17ROCPRIM_400000_NS6detail17trampoline_kernelINS0_14default_configENS1_36segmented_radix_sort_config_selectorI12hip_bfloat16lEEZNS1_25segmented_radix_sort_implIS3_Lb1EPKS5_PS5_PKlPlN2at6native12_GLOBAL__N_18offset_tEEE10hipError_tPvRmT1_PNSt15iterator_traitsISL_E10value_typeET2_T3_PNSM_ISR_E10value_typeET4_jRbjT5_SX_jjP12ihipStream_tbEUlT_E_NS1_11comp_targetILNS1_3genE2ELNS1_11target_archE906ELNS1_3gpuE6ELNS1_3repE0EEENS1_30default_config_static_selectorELNS0_4arch9wavefront6targetE1EEEvSL_
	.p2align	8
	.type	_ZN7rocprim17ROCPRIM_400000_NS6detail17trampoline_kernelINS0_14default_configENS1_36segmented_radix_sort_config_selectorI12hip_bfloat16lEEZNS1_25segmented_radix_sort_implIS3_Lb1EPKS5_PS5_PKlPlN2at6native12_GLOBAL__N_18offset_tEEE10hipError_tPvRmT1_PNSt15iterator_traitsISL_E10value_typeET2_T3_PNSM_ISR_E10value_typeET4_jRbjT5_SX_jjP12ihipStream_tbEUlT_E_NS1_11comp_targetILNS1_3genE2ELNS1_11target_archE906ELNS1_3gpuE6ELNS1_3repE0EEENS1_30default_config_static_selectorELNS0_4arch9wavefront6targetE1EEEvSL_,@function
_ZN7rocprim17ROCPRIM_400000_NS6detail17trampoline_kernelINS0_14default_configENS1_36segmented_radix_sort_config_selectorI12hip_bfloat16lEEZNS1_25segmented_radix_sort_implIS3_Lb1EPKS5_PS5_PKlPlN2at6native12_GLOBAL__N_18offset_tEEE10hipError_tPvRmT1_PNSt15iterator_traitsISL_E10value_typeET2_T3_PNSM_ISR_E10value_typeET4_jRbjT5_SX_jjP12ihipStream_tbEUlT_E_NS1_11comp_targetILNS1_3genE2ELNS1_11target_archE906ELNS1_3gpuE6ELNS1_3repE0EEENS1_30default_config_static_selectorELNS0_4arch9wavefront6targetE1EEEvSL_: ; @_ZN7rocprim17ROCPRIM_400000_NS6detail17trampoline_kernelINS0_14default_configENS1_36segmented_radix_sort_config_selectorI12hip_bfloat16lEEZNS1_25segmented_radix_sort_implIS3_Lb1EPKS5_PS5_PKlPlN2at6native12_GLOBAL__N_18offset_tEEE10hipError_tPvRmT1_PNSt15iterator_traitsISL_E10value_typeET2_T3_PNSM_ISR_E10value_typeET4_jRbjT5_SX_jjP12ihipStream_tbEUlT_E_NS1_11comp_targetILNS1_3genE2ELNS1_11target_archE906ELNS1_3gpuE6ELNS1_3repE0EEENS1_30default_config_static_selectorELNS0_4arch9wavefront6targetE1EEEvSL_
; %bb.0:
	.section	.rodata,"a",@progbits
	.p2align	6, 0x0
	.amdhsa_kernel _ZN7rocprim17ROCPRIM_400000_NS6detail17trampoline_kernelINS0_14default_configENS1_36segmented_radix_sort_config_selectorI12hip_bfloat16lEEZNS1_25segmented_radix_sort_implIS3_Lb1EPKS5_PS5_PKlPlN2at6native12_GLOBAL__N_18offset_tEEE10hipError_tPvRmT1_PNSt15iterator_traitsISL_E10value_typeET2_T3_PNSM_ISR_E10value_typeET4_jRbjT5_SX_jjP12ihipStream_tbEUlT_E_NS1_11comp_targetILNS1_3genE2ELNS1_11target_archE906ELNS1_3gpuE6ELNS1_3repE0EEENS1_30default_config_static_selectorELNS0_4arch9wavefront6targetE1EEEvSL_
		.amdhsa_group_segment_fixed_size 0
		.amdhsa_private_segment_fixed_size 0
		.amdhsa_kernarg_size 96
		.amdhsa_user_sgpr_count 6
		.amdhsa_user_sgpr_private_segment_buffer 1
		.amdhsa_user_sgpr_dispatch_ptr 0
		.amdhsa_user_sgpr_queue_ptr 0
		.amdhsa_user_sgpr_kernarg_segment_ptr 1
		.amdhsa_user_sgpr_dispatch_id 0
		.amdhsa_user_sgpr_flat_scratch_init 0
		.amdhsa_user_sgpr_kernarg_preload_length 0
		.amdhsa_user_sgpr_kernarg_preload_offset 0
		.amdhsa_user_sgpr_private_segment_size 0
		.amdhsa_uses_dynamic_stack 0
		.amdhsa_system_sgpr_private_segment_wavefront_offset 0
		.amdhsa_system_sgpr_workgroup_id_x 1
		.amdhsa_system_sgpr_workgroup_id_y 0
		.amdhsa_system_sgpr_workgroup_id_z 0
		.amdhsa_system_sgpr_workgroup_info 0
		.amdhsa_system_vgpr_workitem_id 0
		.amdhsa_next_free_vgpr 1
		.amdhsa_next_free_sgpr 0
		.amdhsa_accum_offset 4
		.amdhsa_reserve_vcc 0
		.amdhsa_reserve_flat_scratch 0
		.amdhsa_float_round_mode_32 0
		.amdhsa_float_round_mode_16_64 0
		.amdhsa_float_denorm_mode_32 3
		.amdhsa_float_denorm_mode_16_64 3
		.amdhsa_dx10_clamp 1
		.amdhsa_ieee_mode 1
		.amdhsa_fp16_overflow 0
		.amdhsa_tg_split 0
		.amdhsa_exception_fp_ieee_invalid_op 0
		.amdhsa_exception_fp_denorm_src 0
		.amdhsa_exception_fp_ieee_div_zero 0
		.amdhsa_exception_fp_ieee_overflow 0
		.amdhsa_exception_fp_ieee_underflow 0
		.amdhsa_exception_fp_ieee_inexact 0
		.amdhsa_exception_int_div_zero 0
	.end_amdhsa_kernel
	.section	.text._ZN7rocprim17ROCPRIM_400000_NS6detail17trampoline_kernelINS0_14default_configENS1_36segmented_radix_sort_config_selectorI12hip_bfloat16lEEZNS1_25segmented_radix_sort_implIS3_Lb1EPKS5_PS5_PKlPlN2at6native12_GLOBAL__N_18offset_tEEE10hipError_tPvRmT1_PNSt15iterator_traitsISL_E10value_typeET2_T3_PNSM_ISR_E10value_typeET4_jRbjT5_SX_jjP12ihipStream_tbEUlT_E_NS1_11comp_targetILNS1_3genE2ELNS1_11target_archE906ELNS1_3gpuE6ELNS1_3repE0EEENS1_30default_config_static_selectorELNS0_4arch9wavefront6targetE1EEEvSL_,"axG",@progbits,_ZN7rocprim17ROCPRIM_400000_NS6detail17trampoline_kernelINS0_14default_configENS1_36segmented_radix_sort_config_selectorI12hip_bfloat16lEEZNS1_25segmented_radix_sort_implIS3_Lb1EPKS5_PS5_PKlPlN2at6native12_GLOBAL__N_18offset_tEEE10hipError_tPvRmT1_PNSt15iterator_traitsISL_E10value_typeET2_T3_PNSM_ISR_E10value_typeET4_jRbjT5_SX_jjP12ihipStream_tbEUlT_E_NS1_11comp_targetILNS1_3genE2ELNS1_11target_archE906ELNS1_3gpuE6ELNS1_3repE0EEENS1_30default_config_static_selectorELNS0_4arch9wavefront6targetE1EEEvSL_,comdat
.Lfunc_end1949:
	.size	_ZN7rocprim17ROCPRIM_400000_NS6detail17trampoline_kernelINS0_14default_configENS1_36segmented_radix_sort_config_selectorI12hip_bfloat16lEEZNS1_25segmented_radix_sort_implIS3_Lb1EPKS5_PS5_PKlPlN2at6native12_GLOBAL__N_18offset_tEEE10hipError_tPvRmT1_PNSt15iterator_traitsISL_E10value_typeET2_T3_PNSM_ISR_E10value_typeET4_jRbjT5_SX_jjP12ihipStream_tbEUlT_E_NS1_11comp_targetILNS1_3genE2ELNS1_11target_archE906ELNS1_3gpuE6ELNS1_3repE0EEENS1_30default_config_static_selectorELNS0_4arch9wavefront6targetE1EEEvSL_, .Lfunc_end1949-_ZN7rocprim17ROCPRIM_400000_NS6detail17trampoline_kernelINS0_14default_configENS1_36segmented_radix_sort_config_selectorI12hip_bfloat16lEEZNS1_25segmented_radix_sort_implIS3_Lb1EPKS5_PS5_PKlPlN2at6native12_GLOBAL__N_18offset_tEEE10hipError_tPvRmT1_PNSt15iterator_traitsISL_E10value_typeET2_T3_PNSM_ISR_E10value_typeET4_jRbjT5_SX_jjP12ihipStream_tbEUlT_E_NS1_11comp_targetILNS1_3genE2ELNS1_11target_archE906ELNS1_3gpuE6ELNS1_3repE0EEENS1_30default_config_static_selectorELNS0_4arch9wavefront6targetE1EEEvSL_
                                        ; -- End function
	.section	.AMDGPU.csdata,"",@progbits
; Kernel info:
; codeLenInByte = 0
; NumSgprs: 4
; NumVgprs: 0
; NumAgprs: 0
; TotalNumVgprs: 0
; ScratchSize: 0
; MemoryBound: 0
; FloatMode: 240
; IeeeMode: 1
; LDSByteSize: 0 bytes/workgroup (compile time only)
; SGPRBlocks: 0
; VGPRBlocks: 0
; NumSGPRsForWavesPerEU: 4
; NumVGPRsForWavesPerEU: 1
; AccumOffset: 4
; Occupancy: 8
; WaveLimiterHint : 0
; COMPUTE_PGM_RSRC2:SCRATCH_EN: 0
; COMPUTE_PGM_RSRC2:USER_SGPR: 6
; COMPUTE_PGM_RSRC2:TRAP_HANDLER: 0
; COMPUTE_PGM_RSRC2:TGID_X_EN: 1
; COMPUTE_PGM_RSRC2:TGID_Y_EN: 0
; COMPUTE_PGM_RSRC2:TGID_Z_EN: 0
; COMPUTE_PGM_RSRC2:TIDIG_COMP_CNT: 0
; COMPUTE_PGM_RSRC3_GFX90A:ACCUM_OFFSET: 0
; COMPUTE_PGM_RSRC3_GFX90A:TG_SPLIT: 0
	.section	.text._ZN7rocprim17ROCPRIM_400000_NS6detail17trampoline_kernelINS0_14default_configENS1_36segmented_radix_sort_config_selectorI12hip_bfloat16lEEZNS1_25segmented_radix_sort_implIS3_Lb1EPKS5_PS5_PKlPlN2at6native12_GLOBAL__N_18offset_tEEE10hipError_tPvRmT1_PNSt15iterator_traitsISL_E10value_typeET2_T3_PNSM_ISR_E10value_typeET4_jRbjT5_SX_jjP12ihipStream_tbEUlT_E_NS1_11comp_targetILNS1_3genE10ELNS1_11target_archE1201ELNS1_3gpuE5ELNS1_3repE0EEENS1_30default_config_static_selectorELNS0_4arch9wavefront6targetE1EEEvSL_,"axG",@progbits,_ZN7rocprim17ROCPRIM_400000_NS6detail17trampoline_kernelINS0_14default_configENS1_36segmented_radix_sort_config_selectorI12hip_bfloat16lEEZNS1_25segmented_radix_sort_implIS3_Lb1EPKS5_PS5_PKlPlN2at6native12_GLOBAL__N_18offset_tEEE10hipError_tPvRmT1_PNSt15iterator_traitsISL_E10value_typeET2_T3_PNSM_ISR_E10value_typeET4_jRbjT5_SX_jjP12ihipStream_tbEUlT_E_NS1_11comp_targetILNS1_3genE10ELNS1_11target_archE1201ELNS1_3gpuE5ELNS1_3repE0EEENS1_30default_config_static_selectorELNS0_4arch9wavefront6targetE1EEEvSL_,comdat
	.globl	_ZN7rocprim17ROCPRIM_400000_NS6detail17trampoline_kernelINS0_14default_configENS1_36segmented_radix_sort_config_selectorI12hip_bfloat16lEEZNS1_25segmented_radix_sort_implIS3_Lb1EPKS5_PS5_PKlPlN2at6native12_GLOBAL__N_18offset_tEEE10hipError_tPvRmT1_PNSt15iterator_traitsISL_E10value_typeET2_T3_PNSM_ISR_E10value_typeET4_jRbjT5_SX_jjP12ihipStream_tbEUlT_E_NS1_11comp_targetILNS1_3genE10ELNS1_11target_archE1201ELNS1_3gpuE5ELNS1_3repE0EEENS1_30default_config_static_selectorELNS0_4arch9wavefront6targetE1EEEvSL_ ; -- Begin function _ZN7rocprim17ROCPRIM_400000_NS6detail17trampoline_kernelINS0_14default_configENS1_36segmented_radix_sort_config_selectorI12hip_bfloat16lEEZNS1_25segmented_radix_sort_implIS3_Lb1EPKS5_PS5_PKlPlN2at6native12_GLOBAL__N_18offset_tEEE10hipError_tPvRmT1_PNSt15iterator_traitsISL_E10value_typeET2_T3_PNSM_ISR_E10value_typeET4_jRbjT5_SX_jjP12ihipStream_tbEUlT_E_NS1_11comp_targetILNS1_3genE10ELNS1_11target_archE1201ELNS1_3gpuE5ELNS1_3repE0EEENS1_30default_config_static_selectorELNS0_4arch9wavefront6targetE1EEEvSL_
	.p2align	8
	.type	_ZN7rocprim17ROCPRIM_400000_NS6detail17trampoline_kernelINS0_14default_configENS1_36segmented_radix_sort_config_selectorI12hip_bfloat16lEEZNS1_25segmented_radix_sort_implIS3_Lb1EPKS5_PS5_PKlPlN2at6native12_GLOBAL__N_18offset_tEEE10hipError_tPvRmT1_PNSt15iterator_traitsISL_E10value_typeET2_T3_PNSM_ISR_E10value_typeET4_jRbjT5_SX_jjP12ihipStream_tbEUlT_E_NS1_11comp_targetILNS1_3genE10ELNS1_11target_archE1201ELNS1_3gpuE5ELNS1_3repE0EEENS1_30default_config_static_selectorELNS0_4arch9wavefront6targetE1EEEvSL_,@function
_ZN7rocprim17ROCPRIM_400000_NS6detail17trampoline_kernelINS0_14default_configENS1_36segmented_radix_sort_config_selectorI12hip_bfloat16lEEZNS1_25segmented_radix_sort_implIS3_Lb1EPKS5_PS5_PKlPlN2at6native12_GLOBAL__N_18offset_tEEE10hipError_tPvRmT1_PNSt15iterator_traitsISL_E10value_typeET2_T3_PNSM_ISR_E10value_typeET4_jRbjT5_SX_jjP12ihipStream_tbEUlT_E_NS1_11comp_targetILNS1_3genE10ELNS1_11target_archE1201ELNS1_3gpuE5ELNS1_3repE0EEENS1_30default_config_static_selectorELNS0_4arch9wavefront6targetE1EEEvSL_: ; @_ZN7rocprim17ROCPRIM_400000_NS6detail17trampoline_kernelINS0_14default_configENS1_36segmented_radix_sort_config_selectorI12hip_bfloat16lEEZNS1_25segmented_radix_sort_implIS3_Lb1EPKS5_PS5_PKlPlN2at6native12_GLOBAL__N_18offset_tEEE10hipError_tPvRmT1_PNSt15iterator_traitsISL_E10value_typeET2_T3_PNSM_ISR_E10value_typeET4_jRbjT5_SX_jjP12ihipStream_tbEUlT_E_NS1_11comp_targetILNS1_3genE10ELNS1_11target_archE1201ELNS1_3gpuE5ELNS1_3repE0EEENS1_30default_config_static_selectorELNS0_4arch9wavefront6targetE1EEEvSL_
; %bb.0:
	.section	.rodata,"a",@progbits
	.p2align	6, 0x0
	.amdhsa_kernel _ZN7rocprim17ROCPRIM_400000_NS6detail17trampoline_kernelINS0_14default_configENS1_36segmented_radix_sort_config_selectorI12hip_bfloat16lEEZNS1_25segmented_radix_sort_implIS3_Lb1EPKS5_PS5_PKlPlN2at6native12_GLOBAL__N_18offset_tEEE10hipError_tPvRmT1_PNSt15iterator_traitsISL_E10value_typeET2_T3_PNSM_ISR_E10value_typeET4_jRbjT5_SX_jjP12ihipStream_tbEUlT_E_NS1_11comp_targetILNS1_3genE10ELNS1_11target_archE1201ELNS1_3gpuE5ELNS1_3repE0EEENS1_30default_config_static_selectorELNS0_4arch9wavefront6targetE1EEEvSL_
		.amdhsa_group_segment_fixed_size 0
		.amdhsa_private_segment_fixed_size 0
		.amdhsa_kernarg_size 96
		.amdhsa_user_sgpr_count 6
		.amdhsa_user_sgpr_private_segment_buffer 1
		.amdhsa_user_sgpr_dispatch_ptr 0
		.amdhsa_user_sgpr_queue_ptr 0
		.amdhsa_user_sgpr_kernarg_segment_ptr 1
		.amdhsa_user_sgpr_dispatch_id 0
		.amdhsa_user_sgpr_flat_scratch_init 0
		.amdhsa_user_sgpr_kernarg_preload_length 0
		.amdhsa_user_sgpr_kernarg_preload_offset 0
		.amdhsa_user_sgpr_private_segment_size 0
		.amdhsa_uses_dynamic_stack 0
		.amdhsa_system_sgpr_private_segment_wavefront_offset 0
		.amdhsa_system_sgpr_workgroup_id_x 1
		.amdhsa_system_sgpr_workgroup_id_y 0
		.amdhsa_system_sgpr_workgroup_id_z 0
		.amdhsa_system_sgpr_workgroup_info 0
		.amdhsa_system_vgpr_workitem_id 0
		.amdhsa_next_free_vgpr 1
		.amdhsa_next_free_sgpr 0
		.amdhsa_accum_offset 4
		.amdhsa_reserve_vcc 0
		.amdhsa_reserve_flat_scratch 0
		.amdhsa_float_round_mode_32 0
		.amdhsa_float_round_mode_16_64 0
		.amdhsa_float_denorm_mode_32 3
		.amdhsa_float_denorm_mode_16_64 3
		.amdhsa_dx10_clamp 1
		.amdhsa_ieee_mode 1
		.amdhsa_fp16_overflow 0
		.amdhsa_tg_split 0
		.amdhsa_exception_fp_ieee_invalid_op 0
		.amdhsa_exception_fp_denorm_src 0
		.amdhsa_exception_fp_ieee_div_zero 0
		.amdhsa_exception_fp_ieee_overflow 0
		.amdhsa_exception_fp_ieee_underflow 0
		.amdhsa_exception_fp_ieee_inexact 0
		.amdhsa_exception_int_div_zero 0
	.end_amdhsa_kernel
	.section	.text._ZN7rocprim17ROCPRIM_400000_NS6detail17trampoline_kernelINS0_14default_configENS1_36segmented_radix_sort_config_selectorI12hip_bfloat16lEEZNS1_25segmented_radix_sort_implIS3_Lb1EPKS5_PS5_PKlPlN2at6native12_GLOBAL__N_18offset_tEEE10hipError_tPvRmT1_PNSt15iterator_traitsISL_E10value_typeET2_T3_PNSM_ISR_E10value_typeET4_jRbjT5_SX_jjP12ihipStream_tbEUlT_E_NS1_11comp_targetILNS1_3genE10ELNS1_11target_archE1201ELNS1_3gpuE5ELNS1_3repE0EEENS1_30default_config_static_selectorELNS0_4arch9wavefront6targetE1EEEvSL_,"axG",@progbits,_ZN7rocprim17ROCPRIM_400000_NS6detail17trampoline_kernelINS0_14default_configENS1_36segmented_radix_sort_config_selectorI12hip_bfloat16lEEZNS1_25segmented_radix_sort_implIS3_Lb1EPKS5_PS5_PKlPlN2at6native12_GLOBAL__N_18offset_tEEE10hipError_tPvRmT1_PNSt15iterator_traitsISL_E10value_typeET2_T3_PNSM_ISR_E10value_typeET4_jRbjT5_SX_jjP12ihipStream_tbEUlT_E_NS1_11comp_targetILNS1_3genE10ELNS1_11target_archE1201ELNS1_3gpuE5ELNS1_3repE0EEENS1_30default_config_static_selectorELNS0_4arch9wavefront6targetE1EEEvSL_,comdat
.Lfunc_end1950:
	.size	_ZN7rocprim17ROCPRIM_400000_NS6detail17trampoline_kernelINS0_14default_configENS1_36segmented_radix_sort_config_selectorI12hip_bfloat16lEEZNS1_25segmented_radix_sort_implIS3_Lb1EPKS5_PS5_PKlPlN2at6native12_GLOBAL__N_18offset_tEEE10hipError_tPvRmT1_PNSt15iterator_traitsISL_E10value_typeET2_T3_PNSM_ISR_E10value_typeET4_jRbjT5_SX_jjP12ihipStream_tbEUlT_E_NS1_11comp_targetILNS1_3genE10ELNS1_11target_archE1201ELNS1_3gpuE5ELNS1_3repE0EEENS1_30default_config_static_selectorELNS0_4arch9wavefront6targetE1EEEvSL_, .Lfunc_end1950-_ZN7rocprim17ROCPRIM_400000_NS6detail17trampoline_kernelINS0_14default_configENS1_36segmented_radix_sort_config_selectorI12hip_bfloat16lEEZNS1_25segmented_radix_sort_implIS3_Lb1EPKS5_PS5_PKlPlN2at6native12_GLOBAL__N_18offset_tEEE10hipError_tPvRmT1_PNSt15iterator_traitsISL_E10value_typeET2_T3_PNSM_ISR_E10value_typeET4_jRbjT5_SX_jjP12ihipStream_tbEUlT_E_NS1_11comp_targetILNS1_3genE10ELNS1_11target_archE1201ELNS1_3gpuE5ELNS1_3repE0EEENS1_30default_config_static_selectorELNS0_4arch9wavefront6targetE1EEEvSL_
                                        ; -- End function
	.section	.AMDGPU.csdata,"",@progbits
; Kernel info:
; codeLenInByte = 0
; NumSgprs: 4
; NumVgprs: 0
; NumAgprs: 0
; TotalNumVgprs: 0
; ScratchSize: 0
; MemoryBound: 0
; FloatMode: 240
; IeeeMode: 1
; LDSByteSize: 0 bytes/workgroup (compile time only)
; SGPRBlocks: 0
; VGPRBlocks: 0
; NumSGPRsForWavesPerEU: 4
; NumVGPRsForWavesPerEU: 1
; AccumOffset: 4
; Occupancy: 8
; WaveLimiterHint : 0
; COMPUTE_PGM_RSRC2:SCRATCH_EN: 0
; COMPUTE_PGM_RSRC2:USER_SGPR: 6
; COMPUTE_PGM_RSRC2:TRAP_HANDLER: 0
; COMPUTE_PGM_RSRC2:TGID_X_EN: 1
; COMPUTE_PGM_RSRC2:TGID_Y_EN: 0
; COMPUTE_PGM_RSRC2:TGID_Z_EN: 0
; COMPUTE_PGM_RSRC2:TIDIG_COMP_CNT: 0
; COMPUTE_PGM_RSRC3_GFX90A:ACCUM_OFFSET: 0
; COMPUTE_PGM_RSRC3_GFX90A:TG_SPLIT: 0
	.section	.text._ZN7rocprim17ROCPRIM_400000_NS6detail17trampoline_kernelINS0_14default_configENS1_36segmented_radix_sort_config_selectorI12hip_bfloat16lEEZNS1_25segmented_radix_sort_implIS3_Lb1EPKS5_PS5_PKlPlN2at6native12_GLOBAL__N_18offset_tEEE10hipError_tPvRmT1_PNSt15iterator_traitsISL_E10value_typeET2_T3_PNSM_ISR_E10value_typeET4_jRbjT5_SX_jjP12ihipStream_tbEUlT_E_NS1_11comp_targetILNS1_3genE10ELNS1_11target_archE1200ELNS1_3gpuE4ELNS1_3repE0EEENS1_30default_config_static_selectorELNS0_4arch9wavefront6targetE1EEEvSL_,"axG",@progbits,_ZN7rocprim17ROCPRIM_400000_NS6detail17trampoline_kernelINS0_14default_configENS1_36segmented_radix_sort_config_selectorI12hip_bfloat16lEEZNS1_25segmented_radix_sort_implIS3_Lb1EPKS5_PS5_PKlPlN2at6native12_GLOBAL__N_18offset_tEEE10hipError_tPvRmT1_PNSt15iterator_traitsISL_E10value_typeET2_T3_PNSM_ISR_E10value_typeET4_jRbjT5_SX_jjP12ihipStream_tbEUlT_E_NS1_11comp_targetILNS1_3genE10ELNS1_11target_archE1200ELNS1_3gpuE4ELNS1_3repE0EEENS1_30default_config_static_selectorELNS0_4arch9wavefront6targetE1EEEvSL_,comdat
	.globl	_ZN7rocprim17ROCPRIM_400000_NS6detail17trampoline_kernelINS0_14default_configENS1_36segmented_radix_sort_config_selectorI12hip_bfloat16lEEZNS1_25segmented_radix_sort_implIS3_Lb1EPKS5_PS5_PKlPlN2at6native12_GLOBAL__N_18offset_tEEE10hipError_tPvRmT1_PNSt15iterator_traitsISL_E10value_typeET2_T3_PNSM_ISR_E10value_typeET4_jRbjT5_SX_jjP12ihipStream_tbEUlT_E_NS1_11comp_targetILNS1_3genE10ELNS1_11target_archE1200ELNS1_3gpuE4ELNS1_3repE0EEENS1_30default_config_static_selectorELNS0_4arch9wavefront6targetE1EEEvSL_ ; -- Begin function _ZN7rocprim17ROCPRIM_400000_NS6detail17trampoline_kernelINS0_14default_configENS1_36segmented_radix_sort_config_selectorI12hip_bfloat16lEEZNS1_25segmented_radix_sort_implIS3_Lb1EPKS5_PS5_PKlPlN2at6native12_GLOBAL__N_18offset_tEEE10hipError_tPvRmT1_PNSt15iterator_traitsISL_E10value_typeET2_T3_PNSM_ISR_E10value_typeET4_jRbjT5_SX_jjP12ihipStream_tbEUlT_E_NS1_11comp_targetILNS1_3genE10ELNS1_11target_archE1200ELNS1_3gpuE4ELNS1_3repE0EEENS1_30default_config_static_selectorELNS0_4arch9wavefront6targetE1EEEvSL_
	.p2align	8
	.type	_ZN7rocprim17ROCPRIM_400000_NS6detail17trampoline_kernelINS0_14default_configENS1_36segmented_radix_sort_config_selectorI12hip_bfloat16lEEZNS1_25segmented_radix_sort_implIS3_Lb1EPKS5_PS5_PKlPlN2at6native12_GLOBAL__N_18offset_tEEE10hipError_tPvRmT1_PNSt15iterator_traitsISL_E10value_typeET2_T3_PNSM_ISR_E10value_typeET4_jRbjT5_SX_jjP12ihipStream_tbEUlT_E_NS1_11comp_targetILNS1_3genE10ELNS1_11target_archE1200ELNS1_3gpuE4ELNS1_3repE0EEENS1_30default_config_static_selectorELNS0_4arch9wavefront6targetE1EEEvSL_,@function
_ZN7rocprim17ROCPRIM_400000_NS6detail17trampoline_kernelINS0_14default_configENS1_36segmented_radix_sort_config_selectorI12hip_bfloat16lEEZNS1_25segmented_radix_sort_implIS3_Lb1EPKS5_PS5_PKlPlN2at6native12_GLOBAL__N_18offset_tEEE10hipError_tPvRmT1_PNSt15iterator_traitsISL_E10value_typeET2_T3_PNSM_ISR_E10value_typeET4_jRbjT5_SX_jjP12ihipStream_tbEUlT_E_NS1_11comp_targetILNS1_3genE10ELNS1_11target_archE1200ELNS1_3gpuE4ELNS1_3repE0EEENS1_30default_config_static_selectorELNS0_4arch9wavefront6targetE1EEEvSL_: ; @_ZN7rocprim17ROCPRIM_400000_NS6detail17trampoline_kernelINS0_14default_configENS1_36segmented_radix_sort_config_selectorI12hip_bfloat16lEEZNS1_25segmented_radix_sort_implIS3_Lb1EPKS5_PS5_PKlPlN2at6native12_GLOBAL__N_18offset_tEEE10hipError_tPvRmT1_PNSt15iterator_traitsISL_E10value_typeET2_T3_PNSM_ISR_E10value_typeET4_jRbjT5_SX_jjP12ihipStream_tbEUlT_E_NS1_11comp_targetILNS1_3genE10ELNS1_11target_archE1200ELNS1_3gpuE4ELNS1_3repE0EEENS1_30default_config_static_selectorELNS0_4arch9wavefront6targetE1EEEvSL_
; %bb.0:
	.section	.rodata,"a",@progbits
	.p2align	6, 0x0
	.amdhsa_kernel _ZN7rocprim17ROCPRIM_400000_NS6detail17trampoline_kernelINS0_14default_configENS1_36segmented_radix_sort_config_selectorI12hip_bfloat16lEEZNS1_25segmented_radix_sort_implIS3_Lb1EPKS5_PS5_PKlPlN2at6native12_GLOBAL__N_18offset_tEEE10hipError_tPvRmT1_PNSt15iterator_traitsISL_E10value_typeET2_T3_PNSM_ISR_E10value_typeET4_jRbjT5_SX_jjP12ihipStream_tbEUlT_E_NS1_11comp_targetILNS1_3genE10ELNS1_11target_archE1200ELNS1_3gpuE4ELNS1_3repE0EEENS1_30default_config_static_selectorELNS0_4arch9wavefront6targetE1EEEvSL_
		.amdhsa_group_segment_fixed_size 0
		.amdhsa_private_segment_fixed_size 0
		.amdhsa_kernarg_size 96
		.amdhsa_user_sgpr_count 6
		.amdhsa_user_sgpr_private_segment_buffer 1
		.amdhsa_user_sgpr_dispatch_ptr 0
		.amdhsa_user_sgpr_queue_ptr 0
		.amdhsa_user_sgpr_kernarg_segment_ptr 1
		.amdhsa_user_sgpr_dispatch_id 0
		.amdhsa_user_sgpr_flat_scratch_init 0
		.amdhsa_user_sgpr_kernarg_preload_length 0
		.amdhsa_user_sgpr_kernarg_preload_offset 0
		.amdhsa_user_sgpr_private_segment_size 0
		.amdhsa_uses_dynamic_stack 0
		.amdhsa_system_sgpr_private_segment_wavefront_offset 0
		.amdhsa_system_sgpr_workgroup_id_x 1
		.amdhsa_system_sgpr_workgroup_id_y 0
		.amdhsa_system_sgpr_workgroup_id_z 0
		.amdhsa_system_sgpr_workgroup_info 0
		.amdhsa_system_vgpr_workitem_id 0
		.amdhsa_next_free_vgpr 1
		.amdhsa_next_free_sgpr 0
		.amdhsa_accum_offset 4
		.amdhsa_reserve_vcc 0
		.amdhsa_reserve_flat_scratch 0
		.amdhsa_float_round_mode_32 0
		.amdhsa_float_round_mode_16_64 0
		.amdhsa_float_denorm_mode_32 3
		.amdhsa_float_denorm_mode_16_64 3
		.amdhsa_dx10_clamp 1
		.amdhsa_ieee_mode 1
		.amdhsa_fp16_overflow 0
		.amdhsa_tg_split 0
		.amdhsa_exception_fp_ieee_invalid_op 0
		.amdhsa_exception_fp_denorm_src 0
		.amdhsa_exception_fp_ieee_div_zero 0
		.amdhsa_exception_fp_ieee_overflow 0
		.amdhsa_exception_fp_ieee_underflow 0
		.amdhsa_exception_fp_ieee_inexact 0
		.amdhsa_exception_int_div_zero 0
	.end_amdhsa_kernel
	.section	.text._ZN7rocprim17ROCPRIM_400000_NS6detail17trampoline_kernelINS0_14default_configENS1_36segmented_radix_sort_config_selectorI12hip_bfloat16lEEZNS1_25segmented_radix_sort_implIS3_Lb1EPKS5_PS5_PKlPlN2at6native12_GLOBAL__N_18offset_tEEE10hipError_tPvRmT1_PNSt15iterator_traitsISL_E10value_typeET2_T3_PNSM_ISR_E10value_typeET4_jRbjT5_SX_jjP12ihipStream_tbEUlT_E_NS1_11comp_targetILNS1_3genE10ELNS1_11target_archE1200ELNS1_3gpuE4ELNS1_3repE0EEENS1_30default_config_static_selectorELNS0_4arch9wavefront6targetE1EEEvSL_,"axG",@progbits,_ZN7rocprim17ROCPRIM_400000_NS6detail17trampoline_kernelINS0_14default_configENS1_36segmented_radix_sort_config_selectorI12hip_bfloat16lEEZNS1_25segmented_radix_sort_implIS3_Lb1EPKS5_PS5_PKlPlN2at6native12_GLOBAL__N_18offset_tEEE10hipError_tPvRmT1_PNSt15iterator_traitsISL_E10value_typeET2_T3_PNSM_ISR_E10value_typeET4_jRbjT5_SX_jjP12ihipStream_tbEUlT_E_NS1_11comp_targetILNS1_3genE10ELNS1_11target_archE1200ELNS1_3gpuE4ELNS1_3repE0EEENS1_30default_config_static_selectorELNS0_4arch9wavefront6targetE1EEEvSL_,comdat
.Lfunc_end1951:
	.size	_ZN7rocprim17ROCPRIM_400000_NS6detail17trampoline_kernelINS0_14default_configENS1_36segmented_radix_sort_config_selectorI12hip_bfloat16lEEZNS1_25segmented_radix_sort_implIS3_Lb1EPKS5_PS5_PKlPlN2at6native12_GLOBAL__N_18offset_tEEE10hipError_tPvRmT1_PNSt15iterator_traitsISL_E10value_typeET2_T3_PNSM_ISR_E10value_typeET4_jRbjT5_SX_jjP12ihipStream_tbEUlT_E_NS1_11comp_targetILNS1_3genE10ELNS1_11target_archE1200ELNS1_3gpuE4ELNS1_3repE0EEENS1_30default_config_static_selectorELNS0_4arch9wavefront6targetE1EEEvSL_, .Lfunc_end1951-_ZN7rocprim17ROCPRIM_400000_NS6detail17trampoline_kernelINS0_14default_configENS1_36segmented_radix_sort_config_selectorI12hip_bfloat16lEEZNS1_25segmented_radix_sort_implIS3_Lb1EPKS5_PS5_PKlPlN2at6native12_GLOBAL__N_18offset_tEEE10hipError_tPvRmT1_PNSt15iterator_traitsISL_E10value_typeET2_T3_PNSM_ISR_E10value_typeET4_jRbjT5_SX_jjP12ihipStream_tbEUlT_E_NS1_11comp_targetILNS1_3genE10ELNS1_11target_archE1200ELNS1_3gpuE4ELNS1_3repE0EEENS1_30default_config_static_selectorELNS0_4arch9wavefront6targetE1EEEvSL_
                                        ; -- End function
	.section	.AMDGPU.csdata,"",@progbits
; Kernel info:
; codeLenInByte = 0
; NumSgprs: 4
; NumVgprs: 0
; NumAgprs: 0
; TotalNumVgprs: 0
; ScratchSize: 0
; MemoryBound: 0
; FloatMode: 240
; IeeeMode: 1
; LDSByteSize: 0 bytes/workgroup (compile time only)
; SGPRBlocks: 0
; VGPRBlocks: 0
; NumSGPRsForWavesPerEU: 4
; NumVGPRsForWavesPerEU: 1
; AccumOffset: 4
; Occupancy: 8
; WaveLimiterHint : 0
; COMPUTE_PGM_RSRC2:SCRATCH_EN: 0
; COMPUTE_PGM_RSRC2:USER_SGPR: 6
; COMPUTE_PGM_RSRC2:TRAP_HANDLER: 0
; COMPUTE_PGM_RSRC2:TGID_X_EN: 1
; COMPUTE_PGM_RSRC2:TGID_Y_EN: 0
; COMPUTE_PGM_RSRC2:TGID_Z_EN: 0
; COMPUTE_PGM_RSRC2:TIDIG_COMP_CNT: 0
; COMPUTE_PGM_RSRC3_GFX90A:ACCUM_OFFSET: 0
; COMPUTE_PGM_RSRC3_GFX90A:TG_SPLIT: 0
	.section	.text._ZN7rocprim17ROCPRIM_400000_NS6detail17trampoline_kernelINS0_14default_configENS1_36segmented_radix_sort_config_selectorI12hip_bfloat16lEEZNS1_25segmented_radix_sort_implIS3_Lb1EPKS5_PS5_PKlPlN2at6native12_GLOBAL__N_18offset_tEEE10hipError_tPvRmT1_PNSt15iterator_traitsISL_E10value_typeET2_T3_PNSM_ISR_E10value_typeET4_jRbjT5_SX_jjP12ihipStream_tbEUlT_E_NS1_11comp_targetILNS1_3genE9ELNS1_11target_archE1100ELNS1_3gpuE3ELNS1_3repE0EEENS1_30default_config_static_selectorELNS0_4arch9wavefront6targetE1EEEvSL_,"axG",@progbits,_ZN7rocprim17ROCPRIM_400000_NS6detail17trampoline_kernelINS0_14default_configENS1_36segmented_radix_sort_config_selectorI12hip_bfloat16lEEZNS1_25segmented_radix_sort_implIS3_Lb1EPKS5_PS5_PKlPlN2at6native12_GLOBAL__N_18offset_tEEE10hipError_tPvRmT1_PNSt15iterator_traitsISL_E10value_typeET2_T3_PNSM_ISR_E10value_typeET4_jRbjT5_SX_jjP12ihipStream_tbEUlT_E_NS1_11comp_targetILNS1_3genE9ELNS1_11target_archE1100ELNS1_3gpuE3ELNS1_3repE0EEENS1_30default_config_static_selectorELNS0_4arch9wavefront6targetE1EEEvSL_,comdat
	.globl	_ZN7rocprim17ROCPRIM_400000_NS6detail17trampoline_kernelINS0_14default_configENS1_36segmented_radix_sort_config_selectorI12hip_bfloat16lEEZNS1_25segmented_radix_sort_implIS3_Lb1EPKS5_PS5_PKlPlN2at6native12_GLOBAL__N_18offset_tEEE10hipError_tPvRmT1_PNSt15iterator_traitsISL_E10value_typeET2_T3_PNSM_ISR_E10value_typeET4_jRbjT5_SX_jjP12ihipStream_tbEUlT_E_NS1_11comp_targetILNS1_3genE9ELNS1_11target_archE1100ELNS1_3gpuE3ELNS1_3repE0EEENS1_30default_config_static_selectorELNS0_4arch9wavefront6targetE1EEEvSL_ ; -- Begin function _ZN7rocprim17ROCPRIM_400000_NS6detail17trampoline_kernelINS0_14default_configENS1_36segmented_radix_sort_config_selectorI12hip_bfloat16lEEZNS1_25segmented_radix_sort_implIS3_Lb1EPKS5_PS5_PKlPlN2at6native12_GLOBAL__N_18offset_tEEE10hipError_tPvRmT1_PNSt15iterator_traitsISL_E10value_typeET2_T3_PNSM_ISR_E10value_typeET4_jRbjT5_SX_jjP12ihipStream_tbEUlT_E_NS1_11comp_targetILNS1_3genE9ELNS1_11target_archE1100ELNS1_3gpuE3ELNS1_3repE0EEENS1_30default_config_static_selectorELNS0_4arch9wavefront6targetE1EEEvSL_
	.p2align	8
	.type	_ZN7rocprim17ROCPRIM_400000_NS6detail17trampoline_kernelINS0_14default_configENS1_36segmented_radix_sort_config_selectorI12hip_bfloat16lEEZNS1_25segmented_radix_sort_implIS3_Lb1EPKS5_PS5_PKlPlN2at6native12_GLOBAL__N_18offset_tEEE10hipError_tPvRmT1_PNSt15iterator_traitsISL_E10value_typeET2_T3_PNSM_ISR_E10value_typeET4_jRbjT5_SX_jjP12ihipStream_tbEUlT_E_NS1_11comp_targetILNS1_3genE9ELNS1_11target_archE1100ELNS1_3gpuE3ELNS1_3repE0EEENS1_30default_config_static_selectorELNS0_4arch9wavefront6targetE1EEEvSL_,@function
_ZN7rocprim17ROCPRIM_400000_NS6detail17trampoline_kernelINS0_14default_configENS1_36segmented_radix_sort_config_selectorI12hip_bfloat16lEEZNS1_25segmented_radix_sort_implIS3_Lb1EPKS5_PS5_PKlPlN2at6native12_GLOBAL__N_18offset_tEEE10hipError_tPvRmT1_PNSt15iterator_traitsISL_E10value_typeET2_T3_PNSM_ISR_E10value_typeET4_jRbjT5_SX_jjP12ihipStream_tbEUlT_E_NS1_11comp_targetILNS1_3genE9ELNS1_11target_archE1100ELNS1_3gpuE3ELNS1_3repE0EEENS1_30default_config_static_selectorELNS0_4arch9wavefront6targetE1EEEvSL_: ; @_ZN7rocprim17ROCPRIM_400000_NS6detail17trampoline_kernelINS0_14default_configENS1_36segmented_radix_sort_config_selectorI12hip_bfloat16lEEZNS1_25segmented_radix_sort_implIS3_Lb1EPKS5_PS5_PKlPlN2at6native12_GLOBAL__N_18offset_tEEE10hipError_tPvRmT1_PNSt15iterator_traitsISL_E10value_typeET2_T3_PNSM_ISR_E10value_typeET4_jRbjT5_SX_jjP12ihipStream_tbEUlT_E_NS1_11comp_targetILNS1_3genE9ELNS1_11target_archE1100ELNS1_3gpuE3ELNS1_3repE0EEENS1_30default_config_static_selectorELNS0_4arch9wavefront6targetE1EEEvSL_
; %bb.0:
	.section	.rodata,"a",@progbits
	.p2align	6, 0x0
	.amdhsa_kernel _ZN7rocprim17ROCPRIM_400000_NS6detail17trampoline_kernelINS0_14default_configENS1_36segmented_radix_sort_config_selectorI12hip_bfloat16lEEZNS1_25segmented_radix_sort_implIS3_Lb1EPKS5_PS5_PKlPlN2at6native12_GLOBAL__N_18offset_tEEE10hipError_tPvRmT1_PNSt15iterator_traitsISL_E10value_typeET2_T3_PNSM_ISR_E10value_typeET4_jRbjT5_SX_jjP12ihipStream_tbEUlT_E_NS1_11comp_targetILNS1_3genE9ELNS1_11target_archE1100ELNS1_3gpuE3ELNS1_3repE0EEENS1_30default_config_static_selectorELNS0_4arch9wavefront6targetE1EEEvSL_
		.amdhsa_group_segment_fixed_size 0
		.amdhsa_private_segment_fixed_size 0
		.amdhsa_kernarg_size 96
		.amdhsa_user_sgpr_count 6
		.amdhsa_user_sgpr_private_segment_buffer 1
		.amdhsa_user_sgpr_dispatch_ptr 0
		.amdhsa_user_sgpr_queue_ptr 0
		.amdhsa_user_sgpr_kernarg_segment_ptr 1
		.amdhsa_user_sgpr_dispatch_id 0
		.amdhsa_user_sgpr_flat_scratch_init 0
		.amdhsa_user_sgpr_kernarg_preload_length 0
		.amdhsa_user_sgpr_kernarg_preload_offset 0
		.amdhsa_user_sgpr_private_segment_size 0
		.amdhsa_uses_dynamic_stack 0
		.amdhsa_system_sgpr_private_segment_wavefront_offset 0
		.amdhsa_system_sgpr_workgroup_id_x 1
		.amdhsa_system_sgpr_workgroup_id_y 0
		.amdhsa_system_sgpr_workgroup_id_z 0
		.amdhsa_system_sgpr_workgroup_info 0
		.amdhsa_system_vgpr_workitem_id 0
		.amdhsa_next_free_vgpr 1
		.amdhsa_next_free_sgpr 0
		.amdhsa_accum_offset 4
		.amdhsa_reserve_vcc 0
		.amdhsa_reserve_flat_scratch 0
		.amdhsa_float_round_mode_32 0
		.amdhsa_float_round_mode_16_64 0
		.amdhsa_float_denorm_mode_32 3
		.amdhsa_float_denorm_mode_16_64 3
		.amdhsa_dx10_clamp 1
		.amdhsa_ieee_mode 1
		.amdhsa_fp16_overflow 0
		.amdhsa_tg_split 0
		.amdhsa_exception_fp_ieee_invalid_op 0
		.amdhsa_exception_fp_denorm_src 0
		.amdhsa_exception_fp_ieee_div_zero 0
		.amdhsa_exception_fp_ieee_overflow 0
		.amdhsa_exception_fp_ieee_underflow 0
		.amdhsa_exception_fp_ieee_inexact 0
		.amdhsa_exception_int_div_zero 0
	.end_amdhsa_kernel
	.section	.text._ZN7rocprim17ROCPRIM_400000_NS6detail17trampoline_kernelINS0_14default_configENS1_36segmented_radix_sort_config_selectorI12hip_bfloat16lEEZNS1_25segmented_radix_sort_implIS3_Lb1EPKS5_PS5_PKlPlN2at6native12_GLOBAL__N_18offset_tEEE10hipError_tPvRmT1_PNSt15iterator_traitsISL_E10value_typeET2_T3_PNSM_ISR_E10value_typeET4_jRbjT5_SX_jjP12ihipStream_tbEUlT_E_NS1_11comp_targetILNS1_3genE9ELNS1_11target_archE1100ELNS1_3gpuE3ELNS1_3repE0EEENS1_30default_config_static_selectorELNS0_4arch9wavefront6targetE1EEEvSL_,"axG",@progbits,_ZN7rocprim17ROCPRIM_400000_NS6detail17trampoline_kernelINS0_14default_configENS1_36segmented_radix_sort_config_selectorI12hip_bfloat16lEEZNS1_25segmented_radix_sort_implIS3_Lb1EPKS5_PS5_PKlPlN2at6native12_GLOBAL__N_18offset_tEEE10hipError_tPvRmT1_PNSt15iterator_traitsISL_E10value_typeET2_T3_PNSM_ISR_E10value_typeET4_jRbjT5_SX_jjP12ihipStream_tbEUlT_E_NS1_11comp_targetILNS1_3genE9ELNS1_11target_archE1100ELNS1_3gpuE3ELNS1_3repE0EEENS1_30default_config_static_selectorELNS0_4arch9wavefront6targetE1EEEvSL_,comdat
.Lfunc_end1952:
	.size	_ZN7rocprim17ROCPRIM_400000_NS6detail17trampoline_kernelINS0_14default_configENS1_36segmented_radix_sort_config_selectorI12hip_bfloat16lEEZNS1_25segmented_radix_sort_implIS3_Lb1EPKS5_PS5_PKlPlN2at6native12_GLOBAL__N_18offset_tEEE10hipError_tPvRmT1_PNSt15iterator_traitsISL_E10value_typeET2_T3_PNSM_ISR_E10value_typeET4_jRbjT5_SX_jjP12ihipStream_tbEUlT_E_NS1_11comp_targetILNS1_3genE9ELNS1_11target_archE1100ELNS1_3gpuE3ELNS1_3repE0EEENS1_30default_config_static_selectorELNS0_4arch9wavefront6targetE1EEEvSL_, .Lfunc_end1952-_ZN7rocprim17ROCPRIM_400000_NS6detail17trampoline_kernelINS0_14default_configENS1_36segmented_radix_sort_config_selectorI12hip_bfloat16lEEZNS1_25segmented_radix_sort_implIS3_Lb1EPKS5_PS5_PKlPlN2at6native12_GLOBAL__N_18offset_tEEE10hipError_tPvRmT1_PNSt15iterator_traitsISL_E10value_typeET2_T3_PNSM_ISR_E10value_typeET4_jRbjT5_SX_jjP12ihipStream_tbEUlT_E_NS1_11comp_targetILNS1_3genE9ELNS1_11target_archE1100ELNS1_3gpuE3ELNS1_3repE0EEENS1_30default_config_static_selectorELNS0_4arch9wavefront6targetE1EEEvSL_
                                        ; -- End function
	.section	.AMDGPU.csdata,"",@progbits
; Kernel info:
; codeLenInByte = 0
; NumSgprs: 4
; NumVgprs: 0
; NumAgprs: 0
; TotalNumVgprs: 0
; ScratchSize: 0
; MemoryBound: 0
; FloatMode: 240
; IeeeMode: 1
; LDSByteSize: 0 bytes/workgroup (compile time only)
; SGPRBlocks: 0
; VGPRBlocks: 0
; NumSGPRsForWavesPerEU: 4
; NumVGPRsForWavesPerEU: 1
; AccumOffset: 4
; Occupancy: 8
; WaveLimiterHint : 0
; COMPUTE_PGM_RSRC2:SCRATCH_EN: 0
; COMPUTE_PGM_RSRC2:USER_SGPR: 6
; COMPUTE_PGM_RSRC2:TRAP_HANDLER: 0
; COMPUTE_PGM_RSRC2:TGID_X_EN: 1
; COMPUTE_PGM_RSRC2:TGID_Y_EN: 0
; COMPUTE_PGM_RSRC2:TGID_Z_EN: 0
; COMPUTE_PGM_RSRC2:TIDIG_COMP_CNT: 0
; COMPUTE_PGM_RSRC3_GFX90A:ACCUM_OFFSET: 0
; COMPUTE_PGM_RSRC3_GFX90A:TG_SPLIT: 0
	.section	.text._ZN7rocprim17ROCPRIM_400000_NS6detail17trampoline_kernelINS0_14default_configENS1_36segmented_radix_sort_config_selectorI12hip_bfloat16lEEZNS1_25segmented_radix_sort_implIS3_Lb1EPKS5_PS5_PKlPlN2at6native12_GLOBAL__N_18offset_tEEE10hipError_tPvRmT1_PNSt15iterator_traitsISL_E10value_typeET2_T3_PNSM_ISR_E10value_typeET4_jRbjT5_SX_jjP12ihipStream_tbEUlT_E_NS1_11comp_targetILNS1_3genE8ELNS1_11target_archE1030ELNS1_3gpuE2ELNS1_3repE0EEENS1_30default_config_static_selectorELNS0_4arch9wavefront6targetE1EEEvSL_,"axG",@progbits,_ZN7rocprim17ROCPRIM_400000_NS6detail17trampoline_kernelINS0_14default_configENS1_36segmented_radix_sort_config_selectorI12hip_bfloat16lEEZNS1_25segmented_radix_sort_implIS3_Lb1EPKS5_PS5_PKlPlN2at6native12_GLOBAL__N_18offset_tEEE10hipError_tPvRmT1_PNSt15iterator_traitsISL_E10value_typeET2_T3_PNSM_ISR_E10value_typeET4_jRbjT5_SX_jjP12ihipStream_tbEUlT_E_NS1_11comp_targetILNS1_3genE8ELNS1_11target_archE1030ELNS1_3gpuE2ELNS1_3repE0EEENS1_30default_config_static_selectorELNS0_4arch9wavefront6targetE1EEEvSL_,comdat
	.globl	_ZN7rocprim17ROCPRIM_400000_NS6detail17trampoline_kernelINS0_14default_configENS1_36segmented_radix_sort_config_selectorI12hip_bfloat16lEEZNS1_25segmented_radix_sort_implIS3_Lb1EPKS5_PS5_PKlPlN2at6native12_GLOBAL__N_18offset_tEEE10hipError_tPvRmT1_PNSt15iterator_traitsISL_E10value_typeET2_T3_PNSM_ISR_E10value_typeET4_jRbjT5_SX_jjP12ihipStream_tbEUlT_E_NS1_11comp_targetILNS1_3genE8ELNS1_11target_archE1030ELNS1_3gpuE2ELNS1_3repE0EEENS1_30default_config_static_selectorELNS0_4arch9wavefront6targetE1EEEvSL_ ; -- Begin function _ZN7rocprim17ROCPRIM_400000_NS6detail17trampoline_kernelINS0_14default_configENS1_36segmented_radix_sort_config_selectorI12hip_bfloat16lEEZNS1_25segmented_radix_sort_implIS3_Lb1EPKS5_PS5_PKlPlN2at6native12_GLOBAL__N_18offset_tEEE10hipError_tPvRmT1_PNSt15iterator_traitsISL_E10value_typeET2_T3_PNSM_ISR_E10value_typeET4_jRbjT5_SX_jjP12ihipStream_tbEUlT_E_NS1_11comp_targetILNS1_3genE8ELNS1_11target_archE1030ELNS1_3gpuE2ELNS1_3repE0EEENS1_30default_config_static_selectorELNS0_4arch9wavefront6targetE1EEEvSL_
	.p2align	8
	.type	_ZN7rocprim17ROCPRIM_400000_NS6detail17trampoline_kernelINS0_14default_configENS1_36segmented_radix_sort_config_selectorI12hip_bfloat16lEEZNS1_25segmented_radix_sort_implIS3_Lb1EPKS5_PS5_PKlPlN2at6native12_GLOBAL__N_18offset_tEEE10hipError_tPvRmT1_PNSt15iterator_traitsISL_E10value_typeET2_T3_PNSM_ISR_E10value_typeET4_jRbjT5_SX_jjP12ihipStream_tbEUlT_E_NS1_11comp_targetILNS1_3genE8ELNS1_11target_archE1030ELNS1_3gpuE2ELNS1_3repE0EEENS1_30default_config_static_selectorELNS0_4arch9wavefront6targetE1EEEvSL_,@function
_ZN7rocprim17ROCPRIM_400000_NS6detail17trampoline_kernelINS0_14default_configENS1_36segmented_radix_sort_config_selectorI12hip_bfloat16lEEZNS1_25segmented_radix_sort_implIS3_Lb1EPKS5_PS5_PKlPlN2at6native12_GLOBAL__N_18offset_tEEE10hipError_tPvRmT1_PNSt15iterator_traitsISL_E10value_typeET2_T3_PNSM_ISR_E10value_typeET4_jRbjT5_SX_jjP12ihipStream_tbEUlT_E_NS1_11comp_targetILNS1_3genE8ELNS1_11target_archE1030ELNS1_3gpuE2ELNS1_3repE0EEENS1_30default_config_static_selectorELNS0_4arch9wavefront6targetE1EEEvSL_: ; @_ZN7rocprim17ROCPRIM_400000_NS6detail17trampoline_kernelINS0_14default_configENS1_36segmented_radix_sort_config_selectorI12hip_bfloat16lEEZNS1_25segmented_radix_sort_implIS3_Lb1EPKS5_PS5_PKlPlN2at6native12_GLOBAL__N_18offset_tEEE10hipError_tPvRmT1_PNSt15iterator_traitsISL_E10value_typeET2_T3_PNSM_ISR_E10value_typeET4_jRbjT5_SX_jjP12ihipStream_tbEUlT_E_NS1_11comp_targetILNS1_3genE8ELNS1_11target_archE1030ELNS1_3gpuE2ELNS1_3repE0EEENS1_30default_config_static_selectorELNS0_4arch9wavefront6targetE1EEEvSL_
; %bb.0:
	.section	.rodata,"a",@progbits
	.p2align	6, 0x0
	.amdhsa_kernel _ZN7rocprim17ROCPRIM_400000_NS6detail17trampoline_kernelINS0_14default_configENS1_36segmented_radix_sort_config_selectorI12hip_bfloat16lEEZNS1_25segmented_radix_sort_implIS3_Lb1EPKS5_PS5_PKlPlN2at6native12_GLOBAL__N_18offset_tEEE10hipError_tPvRmT1_PNSt15iterator_traitsISL_E10value_typeET2_T3_PNSM_ISR_E10value_typeET4_jRbjT5_SX_jjP12ihipStream_tbEUlT_E_NS1_11comp_targetILNS1_3genE8ELNS1_11target_archE1030ELNS1_3gpuE2ELNS1_3repE0EEENS1_30default_config_static_selectorELNS0_4arch9wavefront6targetE1EEEvSL_
		.amdhsa_group_segment_fixed_size 0
		.amdhsa_private_segment_fixed_size 0
		.amdhsa_kernarg_size 96
		.amdhsa_user_sgpr_count 6
		.amdhsa_user_sgpr_private_segment_buffer 1
		.amdhsa_user_sgpr_dispatch_ptr 0
		.amdhsa_user_sgpr_queue_ptr 0
		.amdhsa_user_sgpr_kernarg_segment_ptr 1
		.amdhsa_user_sgpr_dispatch_id 0
		.amdhsa_user_sgpr_flat_scratch_init 0
		.amdhsa_user_sgpr_kernarg_preload_length 0
		.amdhsa_user_sgpr_kernarg_preload_offset 0
		.amdhsa_user_sgpr_private_segment_size 0
		.amdhsa_uses_dynamic_stack 0
		.amdhsa_system_sgpr_private_segment_wavefront_offset 0
		.amdhsa_system_sgpr_workgroup_id_x 1
		.amdhsa_system_sgpr_workgroup_id_y 0
		.amdhsa_system_sgpr_workgroup_id_z 0
		.amdhsa_system_sgpr_workgroup_info 0
		.amdhsa_system_vgpr_workitem_id 0
		.amdhsa_next_free_vgpr 1
		.amdhsa_next_free_sgpr 0
		.amdhsa_accum_offset 4
		.amdhsa_reserve_vcc 0
		.amdhsa_reserve_flat_scratch 0
		.amdhsa_float_round_mode_32 0
		.amdhsa_float_round_mode_16_64 0
		.amdhsa_float_denorm_mode_32 3
		.amdhsa_float_denorm_mode_16_64 3
		.amdhsa_dx10_clamp 1
		.amdhsa_ieee_mode 1
		.amdhsa_fp16_overflow 0
		.amdhsa_tg_split 0
		.amdhsa_exception_fp_ieee_invalid_op 0
		.amdhsa_exception_fp_denorm_src 0
		.amdhsa_exception_fp_ieee_div_zero 0
		.amdhsa_exception_fp_ieee_overflow 0
		.amdhsa_exception_fp_ieee_underflow 0
		.amdhsa_exception_fp_ieee_inexact 0
		.amdhsa_exception_int_div_zero 0
	.end_amdhsa_kernel
	.section	.text._ZN7rocprim17ROCPRIM_400000_NS6detail17trampoline_kernelINS0_14default_configENS1_36segmented_radix_sort_config_selectorI12hip_bfloat16lEEZNS1_25segmented_radix_sort_implIS3_Lb1EPKS5_PS5_PKlPlN2at6native12_GLOBAL__N_18offset_tEEE10hipError_tPvRmT1_PNSt15iterator_traitsISL_E10value_typeET2_T3_PNSM_ISR_E10value_typeET4_jRbjT5_SX_jjP12ihipStream_tbEUlT_E_NS1_11comp_targetILNS1_3genE8ELNS1_11target_archE1030ELNS1_3gpuE2ELNS1_3repE0EEENS1_30default_config_static_selectorELNS0_4arch9wavefront6targetE1EEEvSL_,"axG",@progbits,_ZN7rocprim17ROCPRIM_400000_NS6detail17trampoline_kernelINS0_14default_configENS1_36segmented_radix_sort_config_selectorI12hip_bfloat16lEEZNS1_25segmented_radix_sort_implIS3_Lb1EPKS5_PS5_PKlPlN2at6native12_GLOBAL__N_18offset_tEEE10hipError_tPvRmT1_PNSt15iterator_traitsISL_E10value_typeET2_T3_PNSM_ISR_E10value_typeET4_jRbjT5_SX_jjP12ihipStream_tbEUlT_E_NS1_11comp_targetILNS1_3genE8ELNS1_11target_archE1030ELNS1_3gpuE2ELNS1_3repE0EEENS1_30default_config_static_selectorELNS0_4arch9wavefront6targetE1EEEvSL_,comdat
.Lfunc_end1953:
	.size	_ZN7rocprim17ROCPRIM_400000_NS6detail17trampoline_kernelINS0_14default_configENS1_36segmented_radix_sort_config_selectorI12hip_bfloat16lEEZNS1_25segmented_radix_sort_implIS3_Lb1EPKS5_PS5_PKlPlN2at6native12_GLOBAL__N_18offset_tEEE10hipError_tPvRmT1_PNSt15iterator_traitsISL_E10value_typeET2_T3_PNSM_ISR_E10value_typeET4_jRbjT5_SX_jjP12ihipStream_tbEUlT_E_NS1_11comp_targetILNS1_3genE8ELNS1_11target_archE1030ELNS1_3gpuE2ELNS1_3repE0EEENS1_30default_config_static_selectorELNS0_4arch9wavefront6targetE1EEEvSL_, .Lfunc_end1953-_ZN7rocprim17ROCPRIM_400000_NS6detail17trampoline_kernelINS0_14default_configENS1_36segmented_radix_sort_config_selectorI12hip_bfloat16lEEZNS1_25segmented_radix_sort_implIS3_Lb1EPKS5_PS5_PKlPlN2at6native12_GLOBAL__N_18offset_tEEE10hipError_tPvRmT1_PNSt15iterator_traitsISL_E10value_typeET2_T3_PNSM_ISR_E10value_typeET4_jRbjT5_SX_jjP12ihipStream_tbEUlT_E_NS1_11comp_targetILNS1_3genE8ELNS1_11target_archE1030ELNS1_3gpuE2ELNS1_3repE0EEENS1_30default_config_static_selectorELNS0_4arch9wavefront6targetE1EEEvSL_
                                        ; -- End function
	.section	.AMDGPU.csdata,"",@progbits
; Kernel info:
; codeLenInByte = 0
; NumSgprs: 4
; NumVgprs: 0
; NumAgprs: 0
; TotalNumVgprs: 0
; ScratchSize: 0
; MemoryBound: 0
; FloatMode: 240
; IeeeMode: 1
; LDSByteSize: 0 bytes/workgroup (compile time only)
; SGPRBlocks: 0
; VGPRBlocks: 0
; NumSGPRsForWavesPerEU: 4
; NumVGPRsForWavesPerEU: 1
; AccumOffset: 4
; Occupancy: 8
; WaveLimiterHint : 0
; COMPUTE_PGM_RSRC2:SCRATCH_EN: 0
; COMPUTE_PGM_RSRC2:USER_SGPR: 6
; COMPUTE_PGM_RSRC2:TRAP_HANDLER: 0
; COMPUTE_PGM_RSRC2:TGID_X_EN: 1
; COMPUTE_PGM_RSRC2:TGID_Y_EN: 0
; COMPUTE_PGM_RSRC2:TGID_Z_EN: 0
; COMPUTE_PGM_RSRC2:TIDIG_COMP_CNT: 0
; COMPUTE_PGM_RSRC3_GFX90A:ACCUM_OFFSET: 0
; COMPUTE_PGM_RSRC3_GFX90A:TG_SPLIT: 0
	.section	.text._ZN7rocprim17ROCPRIM_400000_NS6detail17trampoline_kernelINS0_14default_configENS1_36segmented_radix_sort_config_selectorI12hip_bfloat16lEEZNS1_25segmented_radix_sort_implIS3_Lb1EPKS5_PS5_PKlPlN2at6native12_GLOBAL__N_18offset_tEEE10hipError_tPvRmT1_PNSt15iterator_traitsISL_E10value_typeET2_T3_PNSM_ISR_E10value_typeET4_jRbjT5_SX_jjP12ihipStream_tbEUlT_E0_NS1_11comp_targetILNS1_3genE0ELNS1_11target_archE4294967295ELNS1_3gpuE0ELNS1_3repE0EEENS1_60segmented_radix_sort_warp_sort_medium_config_static_selectorELNS0_4arch9wavefront6targetE1EEEvSL_,"axG",@progbits,_ZN7rocprim17ROCPRIM_400000_NS6detail17trampoline_kernelINS0_14default_configENS1_36segmented_radix_sort_config_selectorI12hip_bfloat16lEEZNS1_25segmented_radix_sort_implIS3_Lb1EPKS5_PS5_PKlPlN2at6native12_GLOBAL__N_18offset_tEEE10hipError_tPvRmT1_PNSt15iterator_traitsISL_E10value_typeET2_T3_PNSM_ISR_E10value_typeET4_jRbjT5_SX_jjP12ihipStream_tbEUlT_E0_NS1_11comp_targetILNS1_3genE0ELNS1_11target_archE4294967295ELNS1_3gpuE0ELNS1_3repE0EEENS1_60segmented_radix_sort_warp_sort_medium_config_static_selectorELNS0_4arch9wavefront6targetE1EEEvSL_,comdat
	.globl	_ZN7rocprim17ROCPRIM_400000_NS6detail17trampoline_kernelINS0_14default_configENS1_36segmented_radix_sort_config_selectorI12hip_bfloat16lEEZNS1_25segmented_radix_sort_implIS3_Lb1EPKS5_PS5_PKlPlN2at6native12_GLOBAL__N_18offset_tEEE10hipError_tPvRmT1_PNSt15iterator_traitsISL_E10value_typeET2_T3_PNSM_ISR_E10value_typeET4_jRbjT5_SX_jjP12ihipStream_tbEUlT_E0_NS1_11comp_targetILNS1_3genE0ELNS1_11target_archE4294967295ELNS1_3gpuE0ELNS1_3repE0EEENS1_60segmented_radix_sort_warp_sort_medium_config_static_selectorELNS0_4arch9wavefront6targetE1EEEvSL_ ; -- Begin function _ZN7rocprim17ROCPRIM_400000_NS6detail17trampoline_kernelINS0_14default_configENS1_36segmented_radix_sort_config_selectorI12hip_bfloat16lEEZNS1_25segmented_radix_sort_implIS3_Lb1EPKS5_PS5_PKlPlN2at6native12_GLOBAL__N_18offset_tEEE10hipError_tPvRmT1_PNSt15iterator_traitsISL_E10value_typeET2_T3_PNSM_ISR_E10value_typeET4_jRbjT5_SX_jjP12ihipStream_tbEUlT_E0_NS1_11comp_targetILNS1_3genE0ELNS1_11target_archE4294967295ELNS1_3gpuE0ELNS1_3repE0EEENS1_60segmented_radix_sort_warp_sort_medium_config_static_selectorELNS0_4arch9wavefront6targetE1EEEvSL_
	.p2align	8
	.type	_ZN7rocprim17ROCPRIM_400000_NS6detail17trampoline_kernelINS0_14default_configENS1_36segmented_radix_sort_config_selectorI12hip_bfloat16lEEZNS1_25segmented_radix_sort_implIS3_Lb1EPKS5_PS5_PKlPlN2at6native12_GLOBAL__N_18offset_tEEE10hipError_tPvRmT1_PNSt15iterator_traitsISL_E10value_typeET2_T3_PNSM_ISR_E10value_typeET4_jRbjT5_SX_jjP12ihipStream_tbEUlT_E0_NS1_11comp_targetILNS1_3genE0ELNS1_11target_archE4294967295ELNS1_3gpuE0ELNS1_3repE0EEENS1_60segmented_radix_sort_warp_sort_medium_config_static_selectorELNS0_4arch9wavefront6targetE1EEEvSL_,@function
_ZN7rocprim17ROCPRIM_400000_NS6detail17trampoline_kernelINS0_14default_configENS1_36segmented_radix_sort_config_selectorI12hip_bfloat16lEEZNS1_25segmented_radix_sort_implIS3_Lb1EPKS5_PS5_PKlPlN2at6native12_GLOBAL__N_18offset_tEEE10hipError_tPvRmT1_PNSt15iterator_traitsISL_E10value_typeET2_T3_PNSM_ISR_E10value_typeET4_jRbjT5_SX_jjP12ihipStream_tbEUlT_E0_NS1_11comp_targetILNS1_3genE0ELNS1_11target_archE4294967295ELNS1_3gpuE0ELNS1_3repE0EEENS1_60segmented_radix_sort_warp_sort_medium_config_static_selectorELNS0_4arch9wavefront6targetE1EEEvSL_: ; @_ZN7rocprim17ROCPRIM_400000_NS6detail17trampoline_kernelINS0_14default_configENS1_36segmented_radix_sort_config_selectorI12hip_bfloat16lEEZNS1_25segmented_radix_sort_implIS3_Lb1EPKS5_PS5_PKlPlN2at6native12_GLOBAL__N_18offset_tEEE10hipError_tPvRmT1_PNSt15iterator_traitsISL_E10value_typeET2_T3_PNSM_ISR_E10value_typeET4_jRbjT5_SX_jjP12ihipStream_tbEUlT_E0_NS1_11comp_targetILNS1_3genE0ELNS1_11target_archE4294967295ELNS1_3gpuE0ELNS1_3repE0EEENS1_60segmented_radix_sort_warp_sort_medium_config_static_selectorELNS0_4arch9wavefront6targetE1EEEvSL_
; %bb.0:
	.section	.rodata,"a",@progbits
	.p2align	6, 0x0
	.amdhsa_kernel _ZN7rocprim17ROCPRIM_400000_NS6detail17trampoline_kernelINS0_14default_configENS1_36segmented_radix_sort_config_selectorI12hip_bfloat16lEEZNS1_25segmented_radix_sort_implIS3_Lb1EPKS5_PS5_PKlPlN2at6native12_GLOBAL__N_18offset_tEEE10hipError_tPvRmT1_PNSt15iterator_traitsISL_E10value_typeET2_T3_PNSM_ISR_E10value_typeET4_jRbjT5_SX_jjP12ihipStream_tbEUlT_E0_NS1_11comp_targetILNS1_3genE0ELNS1_11target_archE4294967295ELNS1_3gpuE0ELNS1_3repE0EEENS1_60segmented_radix_sort_warp_sort_medium_config_static_selectorELNS0_4arch9wavefront6targetE1EEEvSL_
		.amdhsa_group_segment_fixed_size 0
		.amdhsa_private_segment_fixed_size 0
		.amdhsa_kernarg_size 88
		.amdhsa_user_sgpr_count 6
		.amdhsa_user_sgpr_private_segment_buffer 1
		.amdhsa_user_sgpr_dispatch_ptr 0
		.amdhsa_user_sgpr_queue_ptr 0
		.amdhsa_user_sgpr_kernarg_segment_ptr 1
		.amdhsa_user_sgpr_dispatch_id 0
		.amdhsa_user_sgpr_flat_scratch_init 0
		.amdhsa_user_sgpr_kernarg_preload_length 0
		.amdhsa_user_sgpr_kernarg_preload_offset 0
		.amdhsa_user_sgpr_private_segment_size 0
		.amdhsa_uses_dynamic_stack 0
		.amdhsa_system_sgpr_private_segment_wavefront_offset 0
		.amdhsa_system_sgpr_workgroup_id_x 1
		.amdhsa_system_sgpr_workgroup_id_y 0
		.amdhsa_system_sgpr_workgroup_id_z 0
		.amdhsa_system_sgpr_workgroup_info 0
		.amdhsa_system_vgpr_workitem_id 0
		.amdhsa_next_free_vgpr 1
		.amdhsa_next_free_sgpr 0
		.amdhsa_accum_offset 4
		.amdhsa_reserve_vcc 0
		.amdhsa_reserve_flat_scratch 0
		.amdhsa_float_round_mode_32 0
		.amdhsa_float_round_mode_16_64 0
		.amdhsa_float_denorm_mode_32 3
		.amdhsa_float_denorm_mode_16_64 3
		.amdhsa_dx10_clamp 1
		.amdhsa_ieee_mode 1
		.amdhsa_fp16_overflow 0
		.amdhsa_tg_split 0
		.amdhsa_exception_fp_ieee_invalid_op 0
		.amdhsa_exception_fp_denorm_src 0
		.amdhsa_exception_fp_ieee_div_zero 0
		.amdhsa_exception_fp_ieee_overflow 0
		.amdhsa_exception_fp_ieee_underflow 0
		.amdhsa_exception_fp_ieee_inexact 0
		.amdhsa_exception_int_div_zero 0
	.end_amdhsa_kernel
	.section	.text._ZN7rocprim17ROCPRIM_400000_NS6detail17trampoline_kernelINS0_14default_configENS1_36segmented_radix_sort_config_selectorI12hip_bfloat16lEEZNS1_25segmented_radix_sort_implIS3_Lb1EPKS5_PS5_PKlPlN2at6native12_GLOBAL__N_18offset_tEEE10hipError_tPvRmT1_PNSt15iterator_traitsISL_E10value_typeET2_T3_PNSM_ISR_E10value_typeET4_jRbjT5_SX_jjP12ihipStream_tbEUlT_E0_NS1_11comp_targetILNS1_3genE0ELNS1_11target_archE4294967295ELNS1_3gpuE0ELNS1_3repE0EEENS1_60segmented_radix_sort_warp_sort_medium_config_static_selectorELNS0_4arch9wavefront6targetE1EEEvSL_,"axG",@progbits,_ZN7rocprim17ROCPRIM_400000_NS6detail17trampoline_kernelINS0_14default_configENS1_36segmented_radix_sort_config_selectorI12hip_bfloat16lEEZNS1_25segmented_radix_sort_implIS3_Lb1EPKS5_PS5_PKlPlN2at6native12_GLOBAL__N_18offset_tEEE10hipError_tPvRmT1_PNSt15iterator_traitsISL_E10value_typeET2_T3_PNSM_ISR_E10value_typeET4_jRbjT5_SX_jjP12ihipStream_tbEUlT_E0_NS1_11comp_targetILNS1_3genE0ELNS1_11target_archE4294967295ELNS1_3gpuE0ELNS1_3repE0EEENS1_60segmented_radix_sort_warp_sort_medium_config_static_selectorELNS0_4arch9wavefront6targetE1EEEvSL_,comdat
.Lfunc_end1954:
	.size	_ZN7rocprim17ROCPRIM_400000_NS6detail17trampoline_kernelINS0_14default_configENS1_36segmented_radix_sort_config_selectorI12hip_bfloat16lEEZNS1_25segmented_radix_sort_implIS3_Lb1EPKS5_PS5_PKlPlN2at6native12_GLOBAL__N_18offset_tEEE10hipError_tPvRmT1_PNSt15iterator_traitsISL_E10value_typeET2_T3_PNSM_ISR_E10value_typeET4_jRbjT5_SX_jjP12ihipStream_tbEUlT_E0_NS1_11comp_targetILNS1_3genE0ELNS1_11target_archE4294967295ELNS1_3gpuE0ELNS1_3repE0EEENS1_60segmented_radix_sort_warp_sort_medium_config_static_selectorELNS0_4arch9wavefront6targetE1EEEvSL_, .Lfunc_end1954-_ZN7rocprim17ROCPRIM_400000_NS6detail17trampoline_kernelINS0_14default_configENS1_36segmented_radix_sort_config_selectorI12hip_bfloat16lEEZNS1_25segmented_radix_sort_implIS3_Lb1EPKS5_PS5_PKlPlN2at6native12_GLOBAL__N_18offset_tEEE10hipError_tPvRmT1_PNSt15iterator_traitsISL_E10value_typeET2_T3_PNSM_ISR_E10value_typeET4_jRbjT5_SX_jjP12ihipStream_tbEUlT_E0_NS1_11comp_targetILNS1_3genE0ELNS1_11target_archE4294967295ELNS1_3gpuE0ELNS1_3repE0EEENS1_60segmented_radix_sort_warp_sort_medium_config_static_selectorELNS0_4arch9wavefront6targetE1EEEvSL_
                                        ; -- End function
	.section	.AMDGPU.csdata,"",@progbits
; Kernel info:
; codeLenInByte = 0
; NumSgprs: 4
; NumVgprs: 0
; NumAgprs: 0
; TotalNumVgprs: 0
; ScratchSize: 0
; MemoryBound: 0
; FloatMode: 240
; IeeeMode: 1
; LDSByteSize: 0 bytes/workgroup (compile time only)
; SGPRBlocks: 0
; VGPRBlocks: 0
; NumSGPRsForWavesPerEU: 4
; NumVGPRsForWavesPerEU: 1
; AccumOffset: 4
; Occupancy: 8
; WaveLimiterHint : 0
; COMPUTE_PGM_RSRC2:SCRATCH_EN: 0
; COMPUTE_PGM_RSRC2:USER_SGPR: 6
; COMPUTE_PGM_RSRC2:TRAP_HANDLER: 0
; COMPUTE_PGM_RSRC2:TGID_X_EN: 1
; COMPUTE_PGM_RSRC2:TGID_Y_EN: 0
; COMPUTE_PGM_RSRC2:TGID_Z_EN: 0
; COMPUTE_PGM_RSRC2:TIDIG_COMP_CNT: 0
; COMPUTE_PGM_RSRC3_GFX90A:ACCUM_OFFSET: 0
; COMPUTE_PGM_RSRC3_GFX90A:TG_SPLIT: 0
	.section	.text._ZN7rocprim17ROCPRIM_400000_NS6detail17trampoline_kernelINS0_14default_configENS1_36segmented_radix_sort_config_selectorI12hip_bfloat16lEEZNS1_25segmented_radix_sort_implIS3_Lb1EPKS5_PS5_PKlPlN2at6native12_GLOBAL__N_18offset_tEEE10hipError_tPvRmT1_PNSt15iterator_traitsISL_E10value_typeET2_T3_PNSM_ISR_E10value_typeET4_jRbjT5_SX_jjP12ihipStream_tbEUlT_E0_NS1_11comp_targetILNS1_3genE5ELNS1_11target_archE942ELNS1_3gpuE9ELNS1_3repE0EEENS1_60segmented_radix_sort_warp_sort_medium_config_static_selectorELNS0_4arch9wavefront6targetE1EEEvSL_,"axG",@progbits,_ZN7rocprim17ROCPRIM_400000_NS6detail17trampoline_kernelINS0_14default_configENS1_36segmented_radix_sort_config_selectorI12hip_bfloat16lEEZNS1_25segmented_radix_sort_implIS3_Lb1EPKS5_PS5_PKlPlN2at6native12_GLOBAL__N_18offset_tEEE10hipError_tPvRmT1_PNSt15iterator_traitsISL_E10value_typeET2_T3_PNSM_ISR_E10value_typeET4_jRbjT5_SX_jjP12ihipStream_tbEUlT_E0_NS1_11comp_targetILNS1_3genE5ELNS1_11target_archE942ELNS1_3gpuE9ELNS1_3repE0EEENS1_60segmented_radix_sort_warp_sort_medium_config_static_selectorELNS0_4arch9wavefront6targetE1EEEvSL_,comdat
	.globl	_ZN7rocprim17ROCPRIM_400000_NS6detail17trampoline_kernelINS0_14default_configENS1_36segmented_radix_sort_config_selectorI12hip_bfloat16lEEZNS1_25segmented_radix_sort_implIS3_Lb1EPKS5_PS5_PKlPlN2at6native12_GLOBAL__N_18offset_tEEE10hipError_tPvRmT1_PNSt15iterator_traitsISL_E10value_typeET2_T3_PNSM_ISR_E10value_typeET4_jRbjT5_SX_jjP12ihipStream_tbEUlT_E0_NS1_11comp_targetILNS1_3genE5ELNS1_11target_archE942ELNS1_3gpuE9ELNS1_3repE0EEENS1_60segmented_radix_sort_warp_sort_medium_config_static_selectorELNS0_4arch9wavefront6targetE1EEEvSL_ ; -- Begin function _ZN7rocprim17ROCPRIM_400000_NS6detail17trampoline_kernelINS0_14default_configENS1_36segmented_radix_sort_config_selectorI12hip_bfloat16lEEZNS1_25segmented_radix_sort_implIS3_Lb1EPKS5_PS5_PKlPlN2at6native12_GLOBAL__N_18offset_tEEE10hipError_tPvRmT1_PNSt15iterator_traitsISL_E10value_typeET2_T3_PNSM_ISR_E10value_typeET4_jRbjT5_SX_jjP12ihipStream_tbEUlT_E0_NS1_11comp_targetILNS1_3genE5ELNS1_11target_archE942ELNS1_3gpuE9ELNS1_3repE0EEENS1_60segmented_radix_sort_warp_sort_medium_config_static_selectorELNS0_4arch9wavefront6targetE1EEEvSL_
	.p2align	8
	.type	_ZN7rocprim17ROCPRIM_400000_NS6detail17trampoline_kernelINS0_14default_configENS1_36segmented_radix_sort_config_selectorI12hip_bfloat16lEEZNS1_25segmented_radix_sort_implIS3_Lb1EPKS5_PS5_PKlPlN2at6native12_GLOBAL__N_18offset_tEEE10hipError_tPvRmT1_PNSt15iterator_traitsISL_E10value_typeET2_T3_PNSM_ISR_E10value_typeET4_jRbjT5_SX_jjP12ihipStream_tbEUlT_E0_NS1_11comp_targetILNS1_3genE5ELNS1_11target_archE942ELNS1_3gpuE9ELNS1_3repE0EEENS1_60segmented_radix_sort_warp_sort_medium_config_static_selectorELNS0_4arch9wavefront6targetE1EEEvSL_,@function
_ZN7rocprim17ROCPRIM_400000_NS6detail17trampoline_kernelINS0_14default_configENS1_36segmented_radix_sort_config_selectorI12hip_bfloat16lEEZNS1_25segmented_radix_sort_implIS3_Lb1EPKS5_PS5_PKlPlN2at6native12_GLOBAL__N_18offset_tEEE10hipError_tPvRmT1_PNSt15iterator_traitsISL_E10value_typeET2_T3_PNSM_ISR_E10value_typeET4_jRbjT5_SX_jjP12ihipStream_tbEUlT_E0_NS1_11comp_targetILNS1_3genE5ELNS1_11target_archE942ELNS1_3gpuE9ELNS1_3repE0EEENS1_60segmented_radix_sort_warp_sort_medium_config_static_selectorELNS0_4arch9wavefront6targetE1EEEvSL_: ; @_ZN7rocprim17ROCPRIM_400000_NS6detail17trampoline_kernelINS0_14default_configENS1_36segmented_radix_sort_config_selectorI12hip_bfloat16lEEZNS1_25segmented_radix_sort_implIS3_Lb1EPKS5_PS5_PKlPlN2at6native12_GLOBAL__N_18offset_tEEE10hipError_tPvRmT1_PNSt15iterator_traitsISL_E10value_typeET2_T3_PNSM_ISR_E10value_typeET4_jRbjT5_SX_jjP12ihipStream_tbEUlT_E0_NS1_11comp_targetILNS1_3genE5ELNS1_11target_archE942ELNS1_3gpuE9ELNS1_3repE0EEENS1_60segmented_radix_sort_warp_sort_medium_config_static_selectorELNS0_4arch9wavefront6targetE1EEEvSL_
; %bb.0:
	.section	.rodata,"a",@progbits
	.p2align	6, 0x0
	.amdhsa_kernel _ZN7rocprim17ROCPRIM_400000_NS6detail17trampoline_kernelINS0_14default_configENS1_36segmented_radix_sort_config_selectorI12hip_bfloat16lEEZNS1_25segmented_radix_sort_implIS3_Lb1EPKS5_PS5_PKlPlN2at6native12_GLOBAL__N_18offset_tEEE10hipError_tPvRmT1_PNSt15iterator_traitsISL_E10value_typeET2_T3_PNSM_ISR_E10value_typeET4_jRbjT5_SX_jjP12ihipStream_tbEUlT_E0_NS1_11comp_targetILNS1_3genE5ELNS1_11target_archE942ELNS1_3gpuE9ELNS1_3repE0EEENS1_60segmented_radix_sort_warp_sort_medium_config_static_selectorELNS0_4arch9wavefront6targetE1EEEvSL_
		.amdhsa_group_segment_fixed_size 0
		.amdhsa_private_segment_fixed_size 0
		.amdhsa_kernarg_size 88
		.amdhsa_user_sgpr_count 6
		.amdhsa_user_sgpr_private_segment_buffer 1
		.amdhsa_user_sgpr_dispatch_ptr 0
		.amdhsa_user_sgpr_queue_ptr 0
		.amdhsa_user_sgpr_kernarg_segment_ptr 1
		.amdhsa_user_sgpr_dispatch_id 0
		.amdhsa_user_sgpr_flat_scratch_init 0
		.amdhsa_user_sgpr_kernarg_preload_length 0
		.amdhsa_user_sgpr_kernarg_preload_offset 0
		.amdhsa_user_sgpr_private_segment_size 0
		.amdhsa_uses_dynamic_stack 0
		.amdhsa_system_sgpr_private_segment_wavefront_offset 0
		.amdhsa_system_sgpr_workgroup_id_x 1
		.amdhsa_system_sgpr_workgroup_id_y 0
		.amdhsa_system_sgpr_workgroup_id_z 0
		.amdhsa_system_sgpr_workgroup_info 0
		.amdhsa_system_vgpr_workitem_id 0
		.amdhsa_next_free_vgpr 1
		.amdhsa_next_free_sgpr 0
		.amdhsa_accum_offset 4
		.amdhsa_reserve_vcc 0
		.amdhsa_reserve_flat_scratch 0
		.amdhsa_float_round_mode_32 0
		.amdhsa_float_round_mode_16_64 0
		.amdhsa_float_denorm_mode_32 3
		.amdhsa_float_denorm_mode_16_64 3
		.amdhsa_dx10_clamp 1
		.amdhsa_ieee_mode 1
		.amdhsa_fp16_overflow 0
		.amdhsa_tg_split 0
		.amdhsa_exception_fp_ieee_invalid_op 0
		.amdhsa_exception_fp_denorm_src 0
		.amdhsa_exception_fp_ieee_div_zero 0
		.amdhsa_exception_fp_ieee_overflow 0
		.amdhsa_exception_fp_ieee_underflow 0
		.amdhsa_exception_fp_ieee_inexact 0
		.amdhsa_exception_int_div_zero 0
	.end_amdhsa_kernel
	.section	.text._ZN7rocprim17ROCPRIM_400000_NS6detail17trampoline_kernelINS0_14default_configENS1_36segmented_radix_sort_config_selectorI12hip_bfloat16lEEZNS1_25segmented_radix_sort_implIS3_Lb1EPKS5_PS5_PKlPlN2at6native12_GLOBAL__N_18offset_tEEE10hipError_tPvRmT1_PNSt15iterator_traitsISL_E10value_typeET2_T3_PNSM_ISR_E10value_typeET4_jRbjT5_SX_jjP12ihipStream_tbEUlT_E0_NS1_11comp_targetILNS1_3genE5ELNS1_11target_archE942ELNS1_3gpuE9ELNS1_3repE0EEENS1_60segmented_radix_sort_warp_sort_medium_config_static_selectorELNS0_4arch9wavefront6targetE1EEEvSL_,"axG",@progbits,_ZN7rocprim17ROCPRIM_400000_NS6detail17trampoline_kernelINS0_14default_configENS1_36segmented_radix_sort_config_selectorI12hip_bfloat16lEEZNS1_25segmented_radix_sort_implIS3_Lb1EPKS5_PS5_PKlPlN2at6native12_GLOBAL__N_18offset_tEEE10hipError_tPvRmT1_PNSt15iterator_traitsISL_E10value_typeET2_T3_PNSM_ISR_E10value_typeET4_jRbjT5_SX_jjP12ihipStream_tbEUlT_E0_NS1_11comp_targetILNS1_3genE5ELNS1_11target_archE942ELNS1_3gpuE9ELNS1_3repE0EEENS1_60segmented_radix_sort_warp_sort_medium_config_static_selectorELNS0_4arch9wavefront6targetE1EEEvSL_,comdat
.Lfunc_end1955:
	.size	_ZN7rocprim17ROCPRIM_400000_NS6detail17trampoline_kernelINS0_14default_configENS1_36segmented_radix_sort_config_selectorI12hip_bfloat16lEEZNS1_25segmented_radix_sort_implIS3_Lb1EPKS5_PS5_PKlPlN2at6native12_GLOBAL__N_18offset_tEEE10hipError_tPvRmT1_PNSt15iterator_traitsISL_E10value_typeET2_T3_PNSM_ISR_E10value_typeET4_jRbjT5_SX_jjP12ihipStream_tbEUlT_E0_NS1_11comp_targetILNS1_3genE5ELNS1_11target_archE942ELNS1_3gpuE9ELNS1_3repE0EEENS1_60segmented_radix_sort_warp_sort_medium_config_static_selectorELNS0_4arch9wavefront6targetE1EEEvSL_, .Lfunc_end1955-_ZN7rocprim17ROCPRIM_400000_NS6detail17trampoline_kernelINS0_14default_configENS1_36segmented_radix_sort_config_selectorI12hip_bfloat16lEEZNS1_25segmented_radix_sort_implIS3_Lb1EPKS5_PS5_PKlPlN2at6native12_GLOBAL__N_18offset_tEEE10hipError_tPvRmT1_PNSt15iterator_traitsISL_E10value_typeET2_T3_PNSM_ISR_E10value_typeET4_jRbjT5_SX_jjP12ihipStream_tbEUlT_E0_NS1_11comp_targetILNS1_3genE5ELNS1_11target_archE942ELNS1_3gpuE9ELNS1_3repE0EEENS1_60segmented_radix_sort_warp_sort_medium_config_static_selectorELNS0_4arch9wavefront6targetE1EEEvSL_
                                        ; -- End function
	.section	.AMDGPU.csdata,"",@progbits
; Kernel info:
; codeLenInByte = 0
; NumSgprs: 4
; NumVgprs: 0
; NumAgprs: 0
; TotalNumVgprs: 0
; ScratchSize: 0
; MemoryBound: 0
; FloatMode: 240
; IeeeMode: 1
; LDSByteSize: 0 bytes/workgroup (compile time only)
; SGPRBlocks: 0
; VGPRBlocks: 0
; NumSGPRsForWavesPerEU: 4
; NumVGPRsForWavesPerEU: 1
; AccumOffset: 4
; Occupancy: 8
; WaveLimiterHint : 0
; COMPUTE_PGM_RSRC2:SCRATCH_EN: 0
; COMPUTE_PGM_RSRC2:USER_SGPR: 6
; COMPUTE_PGM_RSRC2:TRAP_HANDLER: 0
; COMPUTE_PGM_RSRC2:TGID_X_EN: 1
; COMPUTE_PGM_RSRC2:TGID_Y_EN: 0
; COMPUTE_PGM_RSRC2:TGID_Z_EN: 0
; COMPUTE_PGM_RSRC2:TIDIG_COMP_CNT: 0
; COMPUTE_PGM_RSRC3_GFX90A:ACCUM_OFFSET: 0
; COMPUTE_PGM_RSRC3_GFX90A:TG_SPLIT: 0
	.text
	.p2align	2                               ; -- Begin function _ZN7rocprim17ROCPRIM_400000_NS6detail26segmented_warp_sort_helperINS1_20WarpSortHelperConfigILj16ELj8ELj256EEE12hip_bfloat16lLi256ELb1EvE4sortIPKS5_PS5_PKlPlEEvT_T0_T1_T2_jjjjRNS6_12storage_typeE
	.type	_ZN7rocprim17ROCPRIM_400000_NS6detail26segmented_warp_sort_helperINS1_20WarpSortHelperConfigILj16ELj8ELj256EEE12hip_bfloat16lLi256ELb1EvE4sortIPKS5_PS5_PKlPlEEvT_T0_T1_T2_jjjjRNS6_12storage_typeE,@function
_ZN7rocprim17ROCPRIM_400000_NS6detail26segmented_warp_sort_helperINS1_20WarpSortHelperConfigILj16ELj8ELj256EEE12hip_bfloat16lLi256ELb1EvE4sortIPKS5_PS5_PKlPlEEvT_T0_T1_T2_jjjjRNS6_12storage_typeE: ; @_ZN7rocprim17ROCPRIM_400000_NS6detail26segmented_warp_sort_helperINS1_20WarpSortHelperConfigILj16ELj8ELj256EEE12hip_bfloat16lLi256ELb1EvE4sortIPKS5_PS5_PKlPlEEvT_T0_T1_T2_jjjjRNS6_12storage_typeE
; %bb.0:
	s_waitcnt vmcnt(0) expcnt(0) lgkmcnt(0)
	s_or_saveexec_b64 s[4:5], -1
	buffer_store_dword v40, off, s[0:3], s32 ; 4-byte Folded Spill
	s_mov_b64 exec, s[4:5]
	v_writelane_b32 v40, s34, 0
	v_writelane_b32 v40, s35, 1
	;; [unrolled: 1-line block ×14, first 2 shown]
	v_mbcnt_lo_u32_b32 v11, -1, 0
	v_sub_u32_e32 v10, v9, v8
	v_mov_b32_e32 v9, 0
	v_mbcnt_hi_u32_b32 v11, -1, v11
	v_lshlrev_b64 v[24:25], 1, v[8:9]
	v_lshlrev_b32_e32 v37, 3, v11
	v_add_co_u32_e32 v0, vcc, v0, v24
	v_and_b32_e32 v36, 0x78, v37
	v_addc_co_u32_e32 v1, vcc, v1, v25, vcc
	v_lshlrev_b32_e32 v34, 1, v36
	v_add_co_u32_e32 v0, vcc, v0, v34
	v_addc_co_u32_e32 v1, vcc, 0, v1, vcc
	v_cmp_lt_u32_e32 vcc, v36, v10
	v_mov_b32_e32 v50, -1
	v_mov_b32_e32 v38, -1
	s_and_saveexec_b64 s[4:5], vcc
	s_cbranch_execz .LBB1956_2
; %bb.1:
	flat_load_ushort v38, v[0:1]
.LBB1956_2:
	s_or_b64 exec, exec, s[4:5]
	v_or_b32_e32 v11, 1, v36
	v_cmp_lt_u32_e64 s[4:5], v11, v10
	s_and_saveexec_b64 s[6:7], s[4:5]
	s_cbranch_execz .LBB1956_4
; %bb.3:
	flat_load_ushort v50, v[0:1] offset:2
.LBB1956_4:
	s_or_b64 exec, exec, s[6:7]
	v_or_b32_e32 v11, 2, v36
	v_cmp_lt_u32_e64 s[6:7], v11, v10
	v_mov_b32_e32 v53, -1
	v_mov_b32_e32 v51, -1
	s_and_saveexec_b64 s[10:11], s[6:7]
	s_cbranch_execz .LBB1956_6
; %bb.5:
	flat_load_ushort v51, v[0:1] offset:4
.LBB1956_6:
	s_or_b64 exec, exec, s[10:11]
	v_or_b32_e32 v11, 3, v36
	v_cmp_lt_u32_e64 s[18:19], v11, v10
	s_and_saveexec_b64 s[10:11], s[18:19]
	s_cbranch_execz .LBB1956_8
; %bb.7:
	flat_load_ushort v53, v[0:1] offset:6
.LBB1956_8:
	s_or_b64 exec, exec, s[10:11]
	v_or_b32_e32 v11, 4, v36
	v_cmp_lt_u32_e64 s[10:11], v11, v10
	v_mov_b32_e32 v48, -1
	v_mov_b32_e32 v49, -1
	s_and_saveexec_b64 s[14:15], s[10:11]
	s_cbranch_execz .LBB1956_10
; %bb.9:
	flat_load_ushort v49, v[0:1] offset:8
.LBB1956_10:
	;; [unrolled: 18-line block ×3, first 2 shown]
	s_or_b64 exec, exec, s[16:17]
	v_or_b32_e32 v11, 7, v36
	v_cmp_lt_u32_e64 s[16:17], v11, v10
	s_and_saveexec_b64 s[22:23], s[16:17]
	s_cbranch_execz .LBB1956_16
; %bb.15:
	flat_load_ushort v39, v[0:1] offset:14
.LBB1956_16:
	s_or_b64 exec, exec, s[22:23]
	v_lshlrev_b64 v[0:1], 3, v[8:9]
	v_add_co_u32_e64 v4, s[22:23], v4, v0
	v_addc_co_u32_e64 v5, s[22:23], v5, v1, s[22:23]
	v_lshlrev_b32_e32 v35, 3, v36
	v_add_co_u32_e64 v32, s[22:23], v4, v35
	v_addc_co_u32_e64 v33, s[22:23], 0, v5, s[22:23]
	; wave barrier
                                        ; implicit-def: $vgpr4_vgpr5
	s_and_saveexec_b64 s[22:23], vcc
	s_cbranch_execnz .LBB1956_318
; %bb.17:
	s_or_b64 exec, exec, s[22:23]
	s_and_saveexec_b64 s[22:23], s[4:5]
                                        ; implicit-def: $vgpr8_vgpr9_vgpr10_vgpr11
	s_cbranch_execnz .LBB1956_319
.LBB1956_18:
	s_or_b64 exec, exec, s[22:23]
                                        ; implicit-def: $vgpr26_vgpr27
	s_and_saveexec_b64 s[22:23], s[6:7]
	s_cbranch_execnz .LBB1956_320
.LBB1956_19:
	s_or_b64 exec, exec, s[22:23]
	s_and_saveexec_b64 s[22:23], s[18:19]
                                        ; implicit-def: $vgpr12_vgpr13_vgpr14_vgpr15
	s_cbranch_execnz .LBB1956_321
.LBB1956_20:
	s_or_b64 exec, exec, s[22:23]
                                        ; implicit-def: $vgpr28_vgpr29
	s_and_saveexec_b64 s[22:23], s[10:11]
	s_cbranch_execnz .LBB1956_322
.LBB1956_21:
	s_or_b64 exec, exec, s[22:23]
	s_and_saveexec_b64 s[22:23], s[20:21]
                                        ; implicit-def: $vgpr16_vgpr17_vgpr18_vgpr19
	s_cbranch_execnz .LBB1956_323
.LBB1956_22:
	s_or_b64 exec, exec, s[22:23]
                                        ; implicit-def: $vgpr16_vgpr17
	s_and_saveexec_b64 s[22:23], s[14:15]
	s_cbranch_execnz .LBB1956_324
.LBB1956_23:
	s_or_b64 exec, exec, s[22:23]
	s_and_saveexec_b64 s[22:23], s[16:17]
                                        ; implicit-def: $vgpr20_vgpr21_vgpr22_vgpr23
	s_cbranch_execz .LBB1956_25
.LBB1956_24:
	flat_load_dwordx2 v[22:23], v[32:33] offset:56
.LBB1956_25:
	s_or_b64 exec, exec, s[22:23]
	; wave barrier
	s_load_dwordx2 s[22:23], s[8:9], 0x0
	v_mov_b32_e32 v8, 0
	v_bfe_u32 v13, v31, 20, 10
	v_and_b32_e32 v20, 0x3ff, v31
	s_waitcnt lgkmcnt(0)
	s_cmp_lt_u32 s12, s22
	s_cselect_b32 s22, 12, 18
	s_cmp_lt_u32 s13, s23
	s_cselect_b32 s12, 14, 20
	s_add_u32 s12, s8, s12
	s_addc_u32 s13, s9, 0
	s_add_u32 s8, s8, s22
	s_addc_u32 s9, s9, 0
	global_load_ushort v9, v8, s[12:13]
	global_load_ushort v12, v8, s[8:9]
	v_bfe_u32 v8, v31, 10, 10
	s_movk_i32 s8, 0x800
	s_waitcnt vmcnt(0)
	v_mad_u32_u24 v8, v13, v9, v8
	v_mul_lo_u32 v8, v8, v12
	v_add_lshl_u32 v32, v8, v20, 3
	v_cmp_gt_u32_e64 s[8:9], s8, v32
	s_and_saveexec_b64 s[12:13], s[8:9]
	s_cbranch_execz .LBB1956_307
; %bb.26:
	v_lshlrev_b32_e32 v8, 16, v50
	v_add_f32_e32 v9, 0, v8
	s_mov_b32 s8, 0x7f800000
	v_and_b32_e32 v8, 0x7f800000, v9
	v_cmp_ne_u32_e64 s[8:9], s8, v8
                                        ; implicit-def: $vgpr8
	s_and_saveexec_b64 s[22:23], s[8:9]
	s_xor_b64 s[8:9], exec, s[22:23]
; %bb.27:
	v_bfe_u32 v8, v9, 16, 1
	s_movk_i32 s22, 0x7fff
	v_add3_u32 v8, v9, v8, s22
                                        ; implicit-def: $vgpr9
; %bb.28:
	s_andn2_saveexec_b64 s[22:23], s[8:9]
; %bb.29:
	v_mov_b32_e32 v8, 0
	v_or_b32_e32 v12, 0x10000, v9
	v_cmp_eq_u32_sdwa s[8:9], v9, v8 src0_sel:WORD_0 src1_sel:DWORD
	v_cndmask_b32_e64 v8, v12, v9, s[8:9]
; %bb.30:
	s_or_b64 exec, exec, s[22:23]
	v_lshlrev_b32_e32 v9, 16, v38
	v_add_f32_e32 v12, 0, v9
	s_mov_b32 s8, 0x7f800000
	v_and_b32_e32 v9, 0x7f800000, v12
	v_cmp_ne_u32_e64 s[8:9], s8, v9
                                        ; implicit-def: $vgpr9
	s_and_saveexec_b64 s[22:23], s[8:9]
	s_xor_b64 s[8:9], exec, s[22:23]
; %bb.31:
	v_bfe_u32 v9, v12, 16, 1
	s_movk_i32 s22, 0x7fff
	v_add3_u32 v9, v12, v9, s22
                                        ; implicit-def: $vgpr12
; %bb.32:
	s_andn2_saveexec_b64 s[22:23], s[8:9]
; %bb.33:
	v_mov_b32_e32 v9, 0
	v_or_b32_e32 v13, 0x10000, v12
	v_cmp_eq_u32_sdwa s[8:9], v12, v9 src0_sel:WORD_0 src1_sel:DWORD
	v_cndmask_b32_e64 v9, v13, v12, s[8:9]
; %bb.34:
	s_or_b64 exec, exec, s[22:23]
	s_mov_b32 s8, 0x7060302
	v_perm_b32 v12, v9, v8, s8
	v_mov_b32_e32 v13, 0xffff8000
	v_cmp_lt_i32_e64 s[8:9], -1, v8
	v_cndmask_b32_e64 v8, -1, v13, s[8:9]
	v_cmp_lt_i32_e64 s[8:9], -1, v9
	v_cndmask_b32_e64 v9, -1, v13, s[8:9]
	s_mov_b32 s8, 0x5040100
	v_perm_b32 v8, v9, v8, s8
	v_xor_b32_e32 v8, v8, v12
	v_cmp_gt_u16_sdwa s[22:23], v8, v8 src0_sel:DWORD src1_sel:WORD_1
	v_mov_b32_e32 v33, v50
	v_pk_mov_b32 v[20:21], v[10:11], v[10:11] op_sel:[0,1]
	s_and_saveexec_b64 s[8:9], s[22:23]
; %bb.35:
	v_mov_b32_e32 v33, v38
	v_mov_b32_e32 v38, v50
	v_pk_mov_b32 v[20:21], v[4:5], v[4:5] op_sel:[0,1]
	v_pk_mov_b32 v[4:5], v[10:11], v[10:11] op_sel:[0,1]
; %bb.36:
	s_or_b64 exec, exec, s[8:9]
	v_lshlrev_b32_e32 v8, 16, v53
	v_add_f32_e32 v9, 0, v8
	s_mov_b32 s8, 0x7f800000
	v_and_b32_e32 v8, 0x7f800000, v9
	v_cmp_ne_u32_e64 s[8:9], s8, v8
                                        ; implicit-def: $vgpr8
	s_and_saveexec_b64 s[22:23], s[8:9]
	s_xor_b64 s[8:9], exec, s[22:23]
; %bb.37:
	v_bfe_u32 v8, v9, 16, 1
	s_movk_i32 s22, 0x7fff
	v_add3_u32 v8, v9, v8, s22
                                        ; implicit-def: $vgpr9
; %bb.38:
	s_andn2_saveexec_b64 s[22:23], s[8:9]
; %bb.39:
	v_mov_b32_e32 v8, 0
	v_or_b32_e32 v10, 0x10000, v9
	v_cmp_eq_u32_sdwa s[8:9], v9, v8 src0_sel:WORD_0 src1_sel:DWORD
	v_cndmask_b32_e64 v8, v10, v9, s[8:9]
; %bb.40:
	s_or_b64 exec, exec, s[22:23]
	v_lshlrev_b32_e32 v9, 16, v51
	v_add_f32_e32 v10, 0, v9
	s_mov_b32 s8, 0x7f800000
	v_and_b32_e32 v9, 0x7f800000, v10
	v_cmp_ne_u32_e64 s[8:9], s8, v9
                                        ; implicit-def: $vgpr9
	s_and_saveexec_b64 s[22:23], s[8:9]
	s_xor_b64 s[8:9], exec, s[22:23]
; %bb.41:
	v_bfe_u32 v9, v10, 16, 1
	s_movk_i32 s22, 0x7fff
	v_add3_u32 v9, v10, v9, s22
                                        ; implicit-def: $vgpr10
; %bb.42:
	s_andn2_saveexec_b64 s[22:23], s[8:9]
; %bb.43:
	v_mov_b32_e32 v9, 0
	v_or_b32_e32 v11, 0x10000, v10
	v_cmp_eq_u32_sdwa s[8:9], v10, v9 src0_sel:WORD_0 src1_sel:DWORD
	v_cndmask_b32_e64 v9, v11, v10, s[8:9]
; %bb.44:
	s_or_b64 exec, exec, s[22:23]
	s_mov_b32 s8, 0x7060302
	v_perm_b32 v10, v9, v8, s8
	v_mov_b32_e32 v11, 0xffff8000
	v_cmp_lt_i32_e64 s[8:9], -1, v8
	v_cndmask_b32_e64 v8, -1, v11, s[8:9]
	v_cmp_lt_i32_e64 s[8:9], -1, v9
	v_cndmask_b32_e64 v9, -1, v11, s[8:9]
	s_mov_b32 s8, 0x5040100
	v_perm_b32 v8, v9, v8, s8
	v_xor_b32_e32 v8, v8, v10
	v_cmp_gt_u16_sdwa s[22:23], v8, v8 src0_sel:DWORD src1_sel:WORD_1
	v_mov_b32_e32 v12, v53
	v_pk_mov_b32 v[30:31], v[14:15], v[14:15] op_sel:[0,1]
	s_and_saveexec_b64 s[8:9], s[22:23]
; %bb.45:
	v_mov_b32_e32 v12, v51
	v_mov_b32_e32 v51, v53
	v_pk_mov_b32 v[30:31], v[26:27], v[26:27] op_sel:[0,1]
	v_pk_mov_b32 v[26:27], v[14:15], v[14:15] op_sel:[0,1]
; %bb.46:
	s_or_b64 exec, exec, s[8:9]
	v_lshlrev_b32_e32 v8, 16, v48
	v_add_f32_e32 v9, 0, v8
	s_mov_b32 s8, 0x7f800000
	v_and_b32_e32 v8, 0x7f800000, v9
	v_cmp_ne_u32_e64 s[8:9], s8, v8
                                        ; implicit-def: $vgpr8
	s_and_saveexec_b64 s[22:23], s[8:9]
	s_xor_b64 s[8:9], exec, s[22:23]
; %bb.47:
	v_bfe_u32 v8, v9, 16, 1
	s_movk_i32 s22, 0x7fff
	v_add3_u32 v8, v9, v8, s22
                                        ; implicit-def: $vgpr9
; %bb.48:
	s_andn2_saveexec_b64 s[22:23], s[8:9]
; %bb.49:
	v_mov_b32_e32 v8, 0
	v_or_b32_e32 v10, 0x10000, v9
	v_cmp_eq_u32_sdwa s[8:9], v9, v8 src0_sel:WORD_0 src1_sel:DWORD
	v_cndmask_b32_e64 v8, v10, v9, s[8:9]
; %bb.50:
	s_or_b64 exec, exec, s[22:23]
	v_lshlrev_b32_e32 v9, 16, v49
	v_add_f32_e32 v10, 0, v9
	s_mov_b32 s8, 0x7f800000
	v_and_b32_e32 v9, 0x7f800000, v10
	v_cmp_ne_u32_e64 s[8:9], s8, v9
                                        ; implicit-def: $vgpr9
	s_and_saveexec_b64 s[22:23], s[8:9]
	s_xor_b64 s[8:9], exec, s[22:23]
; %bb.51:
	v_bfe_u32 v9, v10, 16, 1
	s_movk_i32 s22, 0x7fff
	v_add3_u32 v9, v10, v9, s22
                                        ; implicit-def: $vgpr10
; %bb.52:
	s_andn2_saveexec_b64 s[22:23], s[8:9]
; %bb.53:
	v_mov_b32_e32 v9, 0
	v_or_b32_e32 v11, 0x10000, v10
	v_cmp_eq_u32_sdwa s[8:9], v10, v9 src0_sel:WORD_0 src1_sel:DWORD
	v_cndmask_b32_e64 v9, v11, v10, s[8:9]
; %bb.54:
	s_or_b64 exec, exec, s[22:23]
	s_mov_b32 s8, 0x7060302
	v_perm_b32 v10, v9, v8, s8
	v_mov_b32_e32 v11, 0xffff8000
	v_cmp_lt_i32_e64 s[8:9], -1, v8
	v_cndmask_b32_e64 v8, -1, v11, s[8:9]
	v_cmp_lt_i32_e64 s[8:9], -1, v9
	v_cndmask_b32_e64 v9, -1, v11, s[8:9]
	s_mov_b32 s8, 0x5040100
	v_perm_b32 v8, v9, v8, s8
	v_xor_b32_e32 v8, v8, v10
	v_cmp_gt_u16_sdwa s[22:23], v8, v8 src0_sel:DWORD src1_sel:WORD_1
	v_pk_mov_b32 v[8:9], v[18:19], v[18:19] op_sel:[0,1]
	v_mov_b32_e32 v53, v49
	s_and_saveexec_b64 s[8:9], s[22:23]
; %bb.55:
	v_pk_mov_b32 v[8:9], v[28:29], v[28:29] op_sel:[0,1]
	v_pk_mov_b32 v[28:29], v[18:19], v[18:19] op_sel:[0,1]
	v_mov_b32_e32 v53, v48
	v_mov_b32_e32 v48, v49
; %bb.56:
	s_or_b64 exec, exec, s[8:9]
	v_lshlrev_b32_e32 v10, 16, v39
	v_add_f32_e32 v11, 0, v10
	s_mov_b32 s8, 0x7f800000
	v_and_b32_e32 v10, 0x7f800000, v11
	v_cmp_ne_u32_e64 s[8:9], s8, v10
                                        ; implicit-def: $vgpr10
	s_and_saveexec_b64 s[22:23], s[8:9]
	s_xor_b64 s[8:9], exec, s[22:23]
; %bb.57:
	v_bfe_u32 v10, v11, 16, 1
	s_movk_i32 s22, 0x7fff
	v_add3_u32 v10, v11, v10, s22
                                        ; implicit-def: $vgpr11
; %bb.58:
	s_andn2_saveexec_b64 s[22:23], s[8:9]
; %bb.59:
	v_mov_b32_e32 v10, 0
	v_or_b32_e32 v13, 0x10000, v11
	v_cmp_eq_u32_sdwa s[8:9], v11, v10 src0_sel:WORD_0 src1_sel:DWORD
	v_cndmask_b32_e64 v10, v13, v11, s[8:9]
; %bb.60:
	s_or_b64 exec, exec, s[22:23]
	v_lshlrev_b32_e32 v11, 16, v52
	v_add_f32_e32 v13, 0, v11
	s_mov_b32 s8, 0x7f800000
	v_and_b32_e32 v11, 0x7f800000, v13
	v_cmp_ne_u32_e64 s[8:9], s8, v11
                                        ; implicit-def: $vgpr11
	s_and_saveexec_b64 s[22:23], s[8:9]
	s_xor_b64 s[8:9], exec, s[22:23]
; %bb.61:
	v_bfe_u32 v11, v13, 16, 1
	s_movk_i32 s22, 0x7fff
	v_add3_u32 v11, v13, v11, s22
                                        ; implicit-def: $vgpr13
; %bb.62:
	s_andn2_saveexec_b64 s[22:23], s[8:9]
; %bb.63:
	v_mov_b32_e32 v11, 0
	v_or_b32_e32 v14, 0x10000, v13
	v_cmp_eq_u32_sdwa s[8:9], v13, v11 src0_sel:WORD_0 src1_sel:DWORD
	v_cndmask_b32_e64 v11, v14, v13, s[8:9]
; %bb.64:
	s_or_b64 exec, exec, s[22:23]
	s_mov_b32 s8, 0x7060302
	v_perm_b32 v13, v11, v10, s8
	v_mov_b32_e32 v14, 0xffff8000
	v_cmp_lt_i32_e64 s[8:9], -1, v10
	v_cndmask_b32_e64 v10, -1, v14, s[8:9]
	v_cmp_lt_i32_e64 s[8:9], -1, v11
	v_cndmask_b32_e64 v11, -1, v14, s[8:9]
	s_mov_b32 s8, 0x5040100
	v_perm_b32 v10, v11, v10, s8
	v_xor_b32_e32 v10, v10, v13
	v_cmp_gt_u16_sdwa s[22:23], v10, v10 src0_sel:DWORD src1_sel:WORD_1
	v_pk_mov_b32 v[10:11], v[22:23], v[22:23] op_sel:[0,1]
	v_mov_b32_e32 v50, v52
	s_and_saveexec_b64 s[8:9], s[22:23]
; %bb.65:
	v_pk_mov_b32 v[10:11], v[16:17], v[16:17] op_sel:[0,1]
	v_pk_mov_b32 v[16:17], v[22:23], v[22:23] op_sel:[0,1]
	v_mov_b32_e32 v50, v39
	v_mov_b32_e32 v39, v52
; %bb.66:
	s_or_b64 exec, exec, s[8:9]
	v_lshlrev_b32_e32 v13, 16, v51
	v_add_f32_e32 v14, 0, v13
	s_mov_b32 s8, 0x7f800000
	v_and_b32_e32 v13, 0x7f800000, v14
	v_cmp_ne_u32_e64 s[8:9], s8, v13
                                        ; implicit-def: $vgpr13
	s_and_saveexec_b64 s[22:23], s[8:9]
	s_xor_b64 s[8:9], exec, s[22:23]
; %bb.67:
	v_bfe_u32 v13, v14, 16, 1
	s_movk_i32 s22, 0x7fff
	v_add3_u32 v13, v14, v13, s22
                                        ; implicit-def: $vgpr14
; %bb.68:
	s_andn2_saveexec_b64 s[22:23], s[8:9]
; %bb.69:
	v_mov_b32_e32 v13, 0
	v_or_b32_e32 v15, 0x10000, v14
	v_cmp_eq_u32_sdwa s[8:9], v14, v13 src0_sel:WORD_0 src1_sel:DWORD
	v_cndmask_b32_e64 v13, v15, v14, s[8:9]
; %bb.70:
	s_or_b64 exec, exec, s[22:23]
	v_lshlrev_b32_e32 v14, 16, v33
	v_add_f32_e32 v15, 0, v14
	s_mov_b32 s8, 0x7f800000
	v_and_b32_e32 v14, 0x7f800000, v15
	v_cmp_ne_u32_e64 s[8:9], s8, v14
                                        ; implicit-def: $vgpr14
	s_and_saveexec_b64 s[22:23], s[8:9]
	s_xor_b64 s[8:9], exec, s[22:23]
; %bb.71:
	v_bfe_u32 v14, v15, 16, 1
	s_movk_i32 s22, 0x7fff
	v_add3_u32 v14, v15, v14, s22
                                        ; implicit-def: $vgpr15
; %bb.72:
	s_andn2_saveexec_b64 s[22:23], s[8:9]
; %bb.73:
	v_mov_b32_e32 v14, 0
	v_or_b32_e32 v18, 0x10000, v15
	v_cmp_eq_u32_sdwa s[8:9], v15, v14 src0_sel:WORD_0 src1_sel:DWORD
	v_cndmask_b32_e64 v14, v18, v15, s[8:9]
; %bb.74:
	s_or_b64 exec, exec, s[22:23]
	s_mov_b32 s8, 0x7060302
	v_perm_b32 v15, v14, v13, s8
	v_mov_b32_e32 v18, 0xffff8000
	v_cmp_lt_i32_e64 s[8:9], -1, v13
	v_cndmask_b32_e64 v13, -1, v18, s[8:9]
	v_cmp_lt_i32_e64 s[8:9], -1, v14
	v_cndmask_b32_e64 v14, -1, v18, s[8:9]
	s_mov_b32 s8, 0x5040100
	v_perm_b32 v13, v14, v13, s8
	v_xor_b32_e32 v13, v13, v15
	v_cmp_gt_u16_sdwa s[22:23], v13, v13 src0_sel:DWORD src1_sel:WORD_1
	v_mov_b32_e32 v49, v51
	v_pk_mov_b32 v[22:23], v[26:27], v[26:27] op_sel:[0,1]
	s_and_saveexec_b64 s[8:9], s[22:23]
; %bb.75:
	v_mov_b32_e32 v49, v33
	v_mov_b32_e32 v33, v51
	v_pk_mov_b32 v[22:23], v[20:21], v[20:21] op_sel:[0,1]
	v_pk_mov_b32 v[20:21], v[26:27], v[26:27] op_sel:[0,1]
; %bb.76:
	s_or_b64 exec, exec, s[8:9]
	v_lshlrev_b32_e32 v13, 16, v53
	v_add_f32_e32 v14, 0, v13
	s_mov_b32 s8, 0x7f800000
	v_and_b32_e32 v13, 0x7f800000, v14
	v_cmp_ne_u32_e64 s[8:9], s8, v13
                                        ; implicit-def: $vgpr13
	s_and_saveexec_b64 s[22:23], s[8:9]
	s_xor_b64 s[8:9], exec, s[22:23]
; %bb.77:
	v_bfe_u32 v13, v14, 16, 1
	s_movk_i32 s22, 0x7fff
	v_add3_u32 v13, v14, v13, s22
                                        ; implicit-def: $vgpr14
; %bb.78:
	s_andn2_saveexec_b64 s[22:23], s[8:9]
; %bb.79:
	v_mov_b32_e32 v13, 0
	v_or_b32_e32 v15, 0x10000, v14
	v_cmp_eq_u32_sdwa s[8:9], v14, v13 src0_sel:WORD_0 src1_sel:DWORD
	v_cndmask_b32_e64 v13, v15, v14, s[8:9]
; %bb.80:
	s_or_b64 exec, exec, s[22:23]
	v_lshlrev_b32_e32 v14, 16, v12
	v_add_f32_e32 v15, 0, v14
	s_mov_b32 s8, 0x7f800000
	v_and_b32_e32 v14, 0x7f800000, v15
	v_cmp_ne_u32_e64 s[8:9], s8, v14
                                        ; implicit-def: $vgpr14
	s_and_saveexec_b64 s[22:23], s[8:9]
	s_xor_b64 s[8:9], exec, s[22:23]
; %bb.81:
	v_bfe_u32 v14, v15, 16, 1
	s_movk_i32 s22, 0x7fff
	v_add3_u32 v14, v15, v14, s22
                                        ; implicit-def: $vgpr15
; %bb.82:
	s_andn2_saveexec_b64 s[22:23], s[8:9]
; %bb.83:
	v_mov_b32_e32 v14, 0
	v_or_b32_e32 v18, 0x10000, v15
	v_cmp_eq_u32_sdwa s[8:9], v15, v14 src0_sel:WORD_0 src1_sel:DWORD
	v_cndmask_b32_e64 v14, v18, v15, s[8:9]
; %bb.84:
	s_or_b64 exec, exec, s[22:23]
	s_mov_b32 s8, 0x7060302
	v_perm_b32 v15, v14, v13, s8
	v_mov_b32_e32 v18, 0xffff8000
	v_cmp_lt_i32_e64 s[8:9], -1, v13
	v_cndmask_b32_e64 v13, -1, v18, s[8:9]
	v_cmp_lt_i32_e64 s[8:9], -1, v14
	v_cndmask_b32_e64 v14, -1, v18, s[8:9]
	s_mov_b32 s8, 0x5040100
	v_perm_b32 v13, v14, v13, s8
	v_xor_b32_e32 v13, v13, v15
	v_cmp_gt_u16_sdwa s[22:23], v13, v13 src0_sel:DWORD src1_sel:WORD_1
	v_mov_b32_e32 v14, v12
	v_pk_mov_b32 v[18:19], v[28:29], v[28:29] op_sel:[0,1]
	s_and_saveexec_b64 s[8:9], s[22:23]
; %bb.85:
	v_mov_b32_e32 v14, v53
	v_pk_mov_b32 v[18:19], v[30:31], v[30:31] op_sel:[0,1]
	v_pk_mov_b32 v[30:31], v[28:29], v[28:29] op_sel:[0,1]
	v_mov_b32_e32 v53, v12
; %bb.86:
	s_or_b64 exec, exec, s[8:9]
	v_lshlrev_b32_e32 v12, 16, v50
	v_add_f32_e32 v13, 0, v12
	s_mov_b32 s8, 0x7f800000
	v_and_b32_e32 v12, 0x7f800000, v13
	v_cmp_ne_u32_e64 s[8:9], s8, v12
                                        ; implicit-def: $vgpr12
	s_and_saveexec_b64 s[22:23], s[8:9]
	s_xor_b64 s[8:9], exec, s[22:23]
; %bb.87:
	v_bfe_u32 v12, v13, 16, 1
	s_movk_i32 s22, 0x7fff
	v_add3_u32 v12, v13, v12, s22
                                        ; implicit-def: $vgpr13
; %bb.88:
	s_andn2_saveexec_b64 s[22:23], s[8:9]
; %bb.89:
	v_mov_b32_e32 v12, 0
	v_or_b32_e32 v15, 0x10000, v13
	v_cmp_eq_u32_sdwa s[8:9], v13, v12 src0_sel:WORD_0 src1_sel:DWORD
	v_cndmask_b32_e64 v12, v15, v13, s[8:9]
; %bb.90:
	s_or_b64 exec, exec, s[22:23]
	v_lshlrev_b32_e32 v13, 16, v48
	v_add_f32_e32 v15, 0, v13
	s_mov_b32 s8, 0x7f800000
	v_and_b32_e32 v13, 0x7f800000, v15
	v_cmp_ne_u32_e64 s[8:9], s8, v13
                                        ; implicit-def: $vgpr13
	s_and_saveexec_b64 s[22:23], s[8:9]
	s_xor_b64 s[8:9], exec, s[22:23]
; %bb.91:
	v_bfe_u32 v13, v15, 16, 1
	s_movk_i32 s22, 0x7fff
	v_add3_u32 v13, v15, v13, s22
                                        ; implicit-def: $vgpr15
; %bb.92:
	s_andn2_saveexec_b64 s[22:23], s[8:9]
; %bb.93:
	v_mov_b32_e32 v13, 0
	v_or_b32_e32 v26, 0x10000, v15
	v_cmp_eq_u32_sdwa s[8:9], v15, v13 src0_sel:WORD_0 src1_sel:DWORD
	v_cndmask_b32_e64 v13, v26, v15, s[8:9]
; %bb.94:
	s_or_b64 exec, exec, s[22:23]
	s_mov_b32 s8, 0x7060302
	v_perm_b32 v15, v13, v12, s8
	v_mov_b32_e32 v26, 0xffff8000
	v_cmp_lt_i32_e64 s[8:9], -1, v12
	v_cndmask_b32_e64 v12, -1, v26, s[8:9]
	v_cmp_lt_i32_e64 s[8:9], -1, v13
	v_cndmask_b32_e64 v13, -1, v26, s[8:9]
	s_mov_b32 s8, 0x5040100
	v_perm_b32 v12, v13, v12, s8
	v_xor_b32_e32 v12, v12, v15
	v_cmp_gt_u16_sdwa s[22:23], v12, v12 src0_sel:DWORD src1_sel:WORD_1
	v_pk_mov_b32 v[12:13], v[16:17], v[16:17] op_sel:[0,1]
	v_mov_b32_e32 v51, v48
	s_and_saveexec_b64 s[8:9], s[22:23]
; %bb.95:
	v_pk_mov_b32 v[12:13], v[8:9], v[8:9] op_sel:[0,1]
	v_pk_mov_b32 v[8:9], v[16:17], v[16:17] op_sel:[0,1]
	v_mov_b32_e32 v51, v50
	v_mov_b32_e32 v50, v48
; %bb.96:
	s_or_b64 exec, exec, s[8:9]
	v_lshlrev_b32_e32 v15, 16, v33
	v_add_f32_e32 v16, 0, v15
	s_mov_b32 s8, 0x7f800000
	v_and_b32_e32 v15, 0x7f800000, v16
	v_cmp_ne_u32_e64 s[8:9], s8, v15
                                        ; implicit-def: $vgpr15
	s_and_saveexec_b64 s[22:23], s[8:9]
	s_xor_b64 s[8:9], exec, s[22:23]
; %bb.97:
	v_bfe_u32 v15, v16, 16, 1
	s_movk_i32 s22, 0x7fff
	v_add3_u32 v15, v16, v15, s22
                                        ; implicit-def: $vgpr16
; %bb.98:
	s_andn2_saveexec_b64 s[22:23], s[8:9]
; %bb.99:
	v_mov_b32_e32 v15, 0
	v_or_b32_e32 v17, 0x10000, v16
	v_cmp_eq_u32_sdwa s[8:9], v16, v15 src0_sel:WORD_0 src1_sel:DWORD
	v_cndmask_b32_e64 v15, v17, v16, s[8:9]
; %bb.100:
	s_or_b64 exec, exec, s[22:23]
	v_lshlrev_b32_e32 v16, 16, v38
	v_add_f32_e32 v17, 0, v16
	s_mov_b32 s8, 0x7f800000
	v_and_b32_e32 v16, 0x7f800000, v17
	v_cmp_ne_u32_e64 s[8:9], s8, v16
                                        ; implicit-def: $vgpr16
	s_and_saveexec_b64 s[22:23], s[8:9]
	s_xor_b64 s[8:9], exec, s[22:23]
; %bb.101:
	v_bfe_u32 v16, v17, 16, 1
	s_movk_i32 s22, 0x7fff
	v_add3_u32 v16, v17, v16, s22
                                        ; implicit-def: $vgpr17
; %bb.102:
	s_andn2_saveexec_b64 s[22:23], s[8:9]
; %bb.103:
	v_mov_b32_e32 v16, 0
	v_or_b32_e32 v26, 0x10000, v17
	v_cmp_eq_u32_sdwa s[8:9], v17, v16 src0_sel:WORD_0 src1_sel:DWORD
	v_cndmask_b32_e64 v16, v26, v17, s[8:9]
; %bb.104:
	s_or_b64 exec, exec, s[22:23]
	s_mov_b32 s8, 0x7060302
	v_perm_b32 v17, v16, v15, s8
	v_mov_b32_e32 v26, 0xffff8000
	v_cmp_lt_i32_e64 s[8:9], -1, v15
	v_cndmask_b32_e64 v15, -1, v26, s[8:9]
	v_cmp_lt_i32_e64 s[8:9], -1, v16
	v_cndmask_b32_e64 v16, -1, v26, s[8:9]
	s_mov_b32 s8, 0x5040100
	v_perm_b32 v15, v16, v15, s8
	v_xor_b32_e32 v15, v15, v17
	v_cmp_gt_u16_sdwa s[22:23], v15, v15 src0_sel:DWORD src1_sel:WORD_1
	v_mov_b32_e32 v48, v33
	v_pk_mov_b32 v[26:27], v[20:21], v[20:21] op_sel:[0,1]
	s_and_saveexec_b64 s[8:9], s[22:23]
; %bb.105:
	v_mov_b32_e32 v48, v38
	v_mov_b32_e32 v38, v33
	v_pk_mov_b32 v[26:27], v[4:5], v[4:5] op_sel:[0,1]
	v_pk_mov_b32 v[4:5], v[20:21], v[20:21] op_sel:[0,1]
; %bb.106:
	s_or_b64 exec, exec, s[8:9]
	v_lshlrev_b32_e32 v15, 16, v14
	v_add_f32_e32 v16, 0, v15
	s_mov_b32 s8, 0x7f800000
	v_and_b32_e32 v15, 0x7f800000, v16
	v_cmp_ne_u32_e64 s[8:9], s8, v15
                                        ; implicit-def: $vgpr15
	s_and_saveexec_b64 s[22:23], s[8:9]
	s_xor_b64 s[8:9], exec, s[22:23]
; %bb.107:
	v_bfe_u32 v15, v16, 16, 1
	s_movk_i32 s22, 0x7fff
	v_add3_u32 v15, v16, v15, s22
                                        ; implicit-def: $vgpr16
; %bb.108:
	s_andn2_saveexec_b64 s[22:23], s[8:9]
; %bb.109:
	v_mov_b32_e32 v15, 0
	v_or_b32_e32 v17, 0x10000, v16
	v_cmp_eq_u32_sdwa s[8:9], v16, v15 src0_sel:WORD_0 src1_sel:DWORD
	v_cndmask_b32_e64 v15, v17, v16, s[8:9]
; %bb.110:
	s_or_b64 exec, exec, s[22:23]
	v_lshlrev_b32_e32 v16, 16, v49
	v_add_f32_e32 v17, 0, v16
	s_mov_b32 s8, 0x7f800000
	v_and_b32_e32 v16, 0x7f800000, v17
	v_cmp_ne_u32_e64 s[8:9], s8, v16
                                        ; implicit-def: $vgpr16
	s_and_saveexec_b64 s[22:23], s[8:9]
	s_xor_b64 s[8:9], exec, s[22:23]
; %bb.111:
	v_bfe_u32 v16, v17, 16, 1
	s_movk_i32 s22, 0x7fff
	v_add3_u32 v16, v17, v16, s22
                                        ; implicit-def: $vgpr17
; %bb.112:
	s_andn2_saveexec_b64 s[22:23], s[8:9]
; %bb.113:
	v_mov_b32_e32 v16, 0
	v_or_b32_e32 v20, 0x10000, v17
	v_cmp_eq_u32_sdwa s[8:9], v17, v16 src0_sel:WORD_0 src1_sel:DWORD
	v_cndmask_b32_e64 v16, v20, v17, s[8:9]
; %bb.114:
	s_or_b64 exec, exec, s[22:23]
	s_mov_b32 s8, 0x7060302
	v_perm_b32 v17, v16, v15, s8
	v_mov_b32_e32 v20, 0xffff8000
	v_cmp_lt_i32_e64 s[8:9], -1, v15
	v_cndmask_b32_e64 v15, -1, v20, s[8:9]
	v_cmp_lt_i32_e64 s[8:9], -1, v16
	v_cndmask_b32_e64 v16, -1, v20, s[8:9]
	s_mov_b32 s8, 0x5040100
	v_perm_b32 v15, v16, v15, s8
	v_xor_b32_e32 v15, v15, v17
	v_cmp_gt_u16_sdwa s[22:23], v15, v15 src0_sel:DWORD src1_sel:WORD_1
	v_mov_b32_e32 v54, v14
	v_pk_mov_b32 v[20:21], v[30:31], v[30:31] op_sel:[0,1]
	s_and_saveexec_b64 s[8:9], s[22:23]
; %bb.115:
	v_mov_b32_e32 v54, v49
	v_mov_b32_e32 v49, v14
	v_pk_mov_b32 v[20:21], v[22:23], v[22:23] op_sel:[0,1]
	v_pk_mov_b32 v[22:23], v[30:31], v[30:31] op_sel:[0,1]
; %bb.116:
	s_or_b64 exec, exec, s[8:9]
	v_lshlrev_b32_e32 v14, 16, v51
	v_add_f32_e32 v15, 0, v14
	s_mov_b32 s8, 0x7f800000
	v_and_b32_e32 v14, 0x7f800000, v15
	v_cmp_ne_u32_e64 s[8:9], s8, v14
                                        ; implicit-def: $vgpr14
	s_and_saveexec_b64 s[22:23], s[8:9]
	s_xor_b64 s[8:9], exec, s[22:23]
; %bb.117:
	v_bfe_u32 v14, v15, 16, 1
	s_movk_i32 s22, 0x7fff
	v_add3_u32 v14, v15, v14, s22
                                        ; implicit-def: $vgpr15
; %bb.118:
	s_andn2_saveexec_b64 s[22:23], s[8:9]
; %bb.119:
	v_mov_b32_e32 v14, 0
	v_or_b32_e32 v16, 0x10000, v15
	v_cmp_eq_u32_sdwa s[8:9], v15, v14 src0_sel:WORD_0 src1_sel:DWORD
	v_cndmask_b32_e64 v14, v16, v15, s[8:9]
; %bb.120:
	s_or_b64 exec, exec, s[22:23]
	v_lshlrev_b32_e32 v15, 16, v53
	v_add_f32_e32 v16, 0, v15
	s_mov_b32 s8, 0x7f800000
	v_and_b32_e32 v15, 0x7f800000, v16
	v_cmp_ne_u32_e64 s[8:9], s8, v15
                                        ; implicit-def: $vgpr15
	s_and_saveexec_b64 s[22:23], s[8:9]
	s_xor_b64 s[8:9], exec, s[22:23]
; %bb.121:
	v_bfe_u32 v15, v16, 16, 1
	s_movk_i32 s22, 0x7fff
	v_add3_u32 v15, v16, v15, s22
                                        ; implicit-def: $vgpr16
; %bb.122:
	s_andn2_saveexec_b64 s[22:23], s[8:9]
; %bb.123:
	v_mov_b32_e32 v15, 0
	v_or_b32_e32 v17, 0x10000, v16
	v_cmp_eq_u32_sdwa s[8:9], v16, v15 src0_sel:WORD_0 src1_sel:DWORD
	v_cndmask_b32_e64 v15, v17, v16, s[8:9]
; %bb.124:
	s_or_b64 exec, exec, s[22:23]
	s_mov_b32 s8, 0x7060302
	v_perm_b32 v16, v15, v14, s8
	v_mov_b32_e32 v17, 0xffff8000
	v_cmp_lt_i32_e64 s[8:9], -1, v14
	v_cndmask_b32_e64 v14, -1, v17, s[8:9]
	v_cmp_lt_i32_e64 s[8:9], -1, v15
	v_cndmask_b32_e64 v15, -1, v17, s[8:9]
	s_mov_b32 s8, 0x5040100
	v_perm_b32 v14, v15, v14, s8
	v_xor_b32_e32 v14, v14, v16
	v_cmp_gt_u16_sdwa s[22:23], v14, v14 src0_sel:DWORD src1_sel:WORD_1
	v_pk_mov_b32 v[14:15], v[8:9], v[8:9] op_sel:[0,1]
	v_mov_b32_e32 v52, v53
	s_and_saveexec_b64 s[8:9], s[22:23]
; %bb.125:
	v_pk_mov_b32 v[14:15], v[18:19], v[18:19] op_sel:[0,1]
	v_pk_mov_b32 v[18:19], v[8:9], v[8:9] op_sel:[0,1]
	v_mov_b32_e32 v52, v51
	v_mov_b32_e32 v51, v53
; %bb.126:
	s_or_b64 exec, exec, s[8:9]
	v_lshlrev_b32_e32 v8, 16, v39
	v_add_f32_e32 v9, 0, v8
	s_mov_b32 s8, 0x7f800000
	v_and_b32_e32 v8, 0x7f800000, v9
	v_cmp_ne_u32_e64 s[8:9], s8, v8
                                        ; implicit-def: $vgpr8
	s_and_saveexec_b64 s[22:23], s[8:9]
	s_xor_b64 s[8:9], exec, s[22:23]
; %bb.127:
	v_bfe_u32 v8, v9, 16, 1
	s_movk_i32 s22, 0x7fff
	v_add3_u32 v8, v9, v8, s22
                                        ; implicit-def: $vgpr9
; %bb.128:
	s_andn2_saveexec_b64 s[22:23], s[8:9]
; %bb.129:
	v_mov_b32_e32 v8, 0
	v_or_b32_e32 v16, 0x10000, v9
	v_cmp_eq_u32_sdwa s[8:9], v9, v8 src0_sel:WORD_0 src1_sel:DWORD
	v_cndmask_b32_e64 v8, v16, v9, s[8:9]
; %bb.130:
	s_or_b64 exec, exec, s[22:23]
	v_lshlrev_b32_e32 v9, 16, v50
	v_add_f32_e32 v16, 0, v9
	s_mov_b32 s8, 0x7f800000
	v_and_b32_e32 v9, 0x7f800000, v16
	v_cmp_ne_u32_e64 s[8:9], s8, v9
                                        ; implicit-def: $vgpr9
	s_and_saveexec_b64 s[22:23], s[8:9]
	s_xor_b64 s[8:9], exec, s[22:23]
; %bb.131:
	v_bfe_u32 v9, v16, 16, 1
	s_movk_i32 s22, 0x7fff
	v_add3_u32 v9, v16, v9, s22
                                        ; implicit-def: $vgpr16
; %bb.132:
	s_andn2_saveexec_b64 s[22:23], s[8:9]
; %bb.133:
	v_mov_b32_e32 v9, 0
	v_or_b32_e32 v17, 0x10000, v16
	v_cmp_eq_u32_sdwa s[8:9], v16, v9 src0_sel:WORD_0 src1_sel:DWORD
	v_cndmask_b32_e64 v9, v17, v16, s[8:9]
; %bb.134:
	s_or_b64 exec, exec, s[22:23]
	s_mov_b32 s8, 0x7060302
	v_perm_b32 v16, v9, v8, s8
	v_mov_b32_e32 v17, 0xffff8000
	v_cmp_lt_i32_e64 s[8:9], -1, v8
	v_cndmask_b32_e64 v8, -1, v17, s[8:9]
	v_cmp_lt_i32_e64 s[8:9], -1, v9
	v_cndmask_b32_e64 v9, -1, v17, s[8:9]
	s_mov_b32 s8, 0x5040100
	v_perm_b32 v8, v9, v8, s8
	v_xor_b32_e32 v8, v8, v16
	v_cmp_gt_u16_sdwa s[22:23], v8, v8 src0_sel:DWORD src1_sel:WORD_1
	v_pk_mov_b32 v[8:9], v[10:11], v[10:11] op_sel:[0,1]
	v_mov_b32_e32 v33, v50
	s_and_saveexec_b64 s[8:9], s[22:23]
; %bb.135:
	v_pk_mov_b32 v[8:9], v[12:13], v[12:13] op_sel:[0,1]
	v_pk_mov_b32 v[12:13], v[10:11], v[10:11] op_sel:[0,1]
	v_mov_b32_e32 v33, v39
	v_mov_b32_e32 v39, v50
; %bb.136:
	s_or_b64 exec, exec, s[8:9]
	v_lshlrev_b32_e32 v10, 16, v49
	v_add_f32_e32 v11, 0, v10
	s_mov_b32 s8, 0x7f800000
	v_and_b32_e32 v10, 0x7f800000, v11
	v_cmp_ne_u32_e64 s[8:9], s8, v10
                                        ; implicit-def: $vgpr10
	s_and_saveexec_b64 s[22:23], s[8:9]
	s_xor_b64 s[8:9], exec, s[22:23]
; %bb.137:
	v_bfe_u32 v10, v11, 16, 1
	s_movk_i32 s22, 0x7fff
	v_add3_u32 v10, v11, v10, s22
                                        ; implicit-def: $vgpr11
; %bb.138:
	s_andn2_saveexec_b64 s[22:23], s[8:9]
; %bb.139:
	v_mov_b32_e32 v10, 0
	v_or_b32_e32 v16, 0x10000, v11
	v_cmp_eq_u32_sdwa s[8:9], v11, v10 src0_sel:WORD_0 src1_sel:DWORD
	v_cndmask_b32_e64 v10, v16, v11, s[8:9]
; %bb.140:
	s_or_b64 exec, exec, s[22:23]
	v_lshlrev_b32_e32 v11, 16, v48
	v_add_f32_e32 v16, 0, v11
	s_mov_b32 s8, 0x7f800000
	v_and_b32_e32 v11, 0x7f800000, v16
	v_cmp_ne_u32_e64 s[8:9], s8, v11
                                        ; implicit-def: $vgpr11
	s_and_saveexec_b64 s[22:23], s[8:9]
	s_xor_b64 s[8:9], exec, s[22:23]
; %bb.141:
	v_bfe_u32 v11, v16, 16, 1
	s_movk_i32 s22, 0x7fff
	v_add3_u32 v11, v16, v11, s22
                                        ; implicit-def: $vgpr16
; %bb.142:
	s_andn2_saveexec_b64 s[22:23], s[8:9]
; %bb.143:
	v_mov_b32_e32 v11, 0
	v_or_b32_e32 v17, 0x10000, v16
	v_cmp_eq_u32_sdwa s[8:9], v16, v11 src0_sel:WORD_0 src1_sel:DWORD
	v_cndmask_b32_e64 v11, v17, v16, s[8:9]
; %bb.144:
	s_or_b64 exec, exec, s[22:23]
	s_mov_b32 s8, 0x7060302
	v_perm_b32 v16, v11, v10, s8
	v_mov_b32_e32 v17, 0xffff8000
	v_cmp_lt_i32_e64 s[8:9], -1, v10
	v_cndmask_b32_e64 v10, -1, v17, s[8:9]
	v_cmp_lt_i32_e64 s[8:9], -1, v11
	v_cndmask_b32_e64 v11, -1, v17, s[8:9]
	s_mov_b32 s8, 0x5040100
	v_perm_b32 v10, v11, v10, s8
	v_xor_b32_e32 v10, v10, v16
	v_cmp_gt_u16_sdwa s[22:23], v10, v10 src0_sel:DWORD src1_sel:WORD_1
	v_mov_b32_e32 v30, v49
	v_pk_mov_b32 v[28:29], v[22:23], v[22:23] op_sel:[0,1]
	s_and_saveexec_b64 s[8:9], s[22:23]
; %bb.145:
	v_mov_b32_e32 v30, v48
	v_mov_b32_e32 v48, v49
	v_pk_mov_b32 v[28:29], v[26:27], v[26:27] op_sel:[0,1]
	v_pk_mov_b32 v[26:27], v[22:23], v[22:23] op_sel:[0,1]
; %bb.146:
	s_or_b64 exec, exec, s[8:9]
	v_lshlrev_b32_e32 v10, 16, v52
	v_add_f32_e32 v11, 0, v10
	s_mov_b32 s8, 0x7f800000
	v_and_b32_e32 v10, 0x7f800000, v11
	v_cmp_ne_u32_e64 s[8:9], s8, v10
                                        ; implicit-def: $vgpr10
	s_and_saveexec_b64 s[22:23], s[8:9]
	s_xor_b64 s[8:9], exec, s[22:23]
; %bb.147:
	v_bfe_u32 v10, v11, 16, 1
	s_movk_i32 s22, 0x7fff
	v_add3_u32 v10, v11, v10, s22
                                        ; implicit-def: $vgpr11
; %bb.148:
	s_andn2_saveexec_b64 s[22:23], s[8:9]
; %bb.149:
	v_mov_b32_e32 v10, 0
	v_or_b32_e32 v16, 0x10000, v11
	v_cmp_eq_u32_sdwa s[8:9], v11, v10 src0_sel:WORD_0 src1_sel:DWORD
	v_cndmask_b32_e64 v10, v16, v11, s[8:9]
; %bb.150:
	s_or_b64 exec, exec, s[22:23]
	v_lshlrev_b32_e32 v11, 16, v54
	v_add_f32_e32 v16, 0, v11
	s_mov_b32 s8, 0x7f800000
	v_and_b32_e32 v11, 0x7f800000, v16
	v_cmp_ne_u32_e64 s[8:9], s8, v11
                                        ; implicit-def: $vgpr11
	s_and_saveexec_b64 s[22:23], s[8:9]
	s_xor_b64 s[8:9], exec, s[22:23]
; %bb.151:
	v_bfe_u32 v11, v16, 16, 1
	s_movk_i32 s22, 0x7fff
	v_add3_u32 v11, v16, v11, s22
                                        ; implicit-def: $vgpr16
; %bb.152:
	s_andn2_saveexec_b64 s[22:23], s[8:9]
; %bb.153:
	v_mov_b32_e32 v11, 0
	v_or_b32_e32 v17, 0x10000, v16
	v_cmp_eq_u32_sdwa s[8:9], v16, v11 src0_sel:WORD_0 src1_sel:DWORD
	v_cndmask_b32_e64 v11, v17, v16, s[8:9]
; %bb.154:
	s_or_b64 exec, exec, s[22:23]
	s_mov_b32 s8, 0x7060302
	v_perm_b32 v16, v11, v10, s8
	v_mov_b32_e32 v17, 0xffff8000
	v_cmp_lt_i32_e64 s[8:9], -1, v10
	v_cndmask_b32_e64 v10, -1, v17, s[8:9]
	v_cmp_lt_i32_e64 s[8:9], -1, v11
	v_cndmask_b32_e64 v11, -1, v17, s[8:9]
	s_mov_b32 s8, 0x5040100
	v_perm_b32 v10, v11, v10, s8
	v_xor_b32_e32 v10, v10, v16
	v_cmp_gt_u16_sdwa s[22:23], v10, v10 src0_sel:DWORD src1_sel:WORD_1
	v_mov_b32_e32 v50, v54
	v_pk_mov_b32 v[16:17], v[18:19], v[18:19] op_sel:[0,1]
	s_and_saveexec_b64 s[8:9], s[22:23]
; %bb.155:
	v_mov_b32_e32 v50, v52
	v_pk_mov_b32 v[16:17], v[20:21], v[20:21] op_sel:[0,1]
	v_pk_mov_b32 v[20:21], v[18:19], v[18:19] op_sel:[0,1]
	v_mov_b32_e32 v52, v54
; %bb.156:
	s_or_b64 exec, exec, s[8:9]
	v_lshlrev_b32_e32 v10, 16, v33
	v_add_f32_e32 v11, 0, v10
	s_mov_b32 s8, 0x7f800000
	v_and_b32_e32 v10, 0x7f800000, v11
	v_cmp_ne_u32_e64 s[8:9], s8, v10
                                        ; implicit-def: $vgpr10
	s_and_saveexec_b64 s[22:23], s[8:9]
	s_xor_b64 s[8:9], exec, s[22:23]
; %bb.157:
	v_bfe_u32 v10, v11, 16, 1
	s_movk_i32 s22, 0x7fff
	v_add3_u32 v10, v11, v10, s22
                                        ; implicit-def: $vgpr11
; %bb.158:
	s_andn2_saveexec_b64 s[22:23], s[8:9]
; %bb.159:
	v_mov_b32_e32 v10, 0
	v_or_b32_e32 v18, 0x10000, v11
	v_cmp_eq_u32_sdwa s[8:9], v11, v10 src0_sel:WORD_0 src1_sel:DWORD
	v_cndmask_b32_e64 v10, v18, v11, s[8:9]
; %bb.160:
	s_or_b64 exec, exec, s[22:23]
	v_lshlrev_b32_e32 v11, 16, v51
	v_add_f32_e32 v18, 0, v11
	s_mov_b32 s8, 0x7f800000
	v_and_b32_e32 v11, 0x7f800000, v18
	v_cmp_ne_u32_e64 s[8:9], s8, v11
                                        ; implicit-def: $vgpr11
	s_and_saveexec_b64 s[22:23], s[8:9]
	s_xor_b64 s[8:9], exec, s[22:23]
; %bb.161:
	v_bfe_u32 v11, v18, 16, 1
	s_movk_i32 s22, 0x7fff
	v_add3_u32 v11, v18, v11, s22
                                        ; implicit-def: $vgpr18
; %bb.162:
	s_andn2_saveexec_b64 s[22:23], s[8:9]
; %bb.163:
	v_mov_b32_e32 v11, 0
	v_or_b32_e32 v19, 0x10000, v18
	v_cmp_eq_u32_sdwa s[8:9], v18, v11 src0_sel:WORD_0 src1_sel:DWORD
	v_cndmask_b32_e64 v11, v19, v18, s[8:9]
; %bb.164:
	s_or_b64 exec, exec, s[22:23]
	s_mov_b32 s8, 0x7060302
	v_perm_b32 v18, v11, v10, s8
	v_mov_b32_e32 v19, 0xffff8000
	v_cmp_lt_i32_e64 s[8:9], -1, v10
	v_cndmask_b32_e64 v10, -1, v19, s[8:9]
	v_cmp_lt_i32_e64 s[8:9], -1, v11
	v_cndmask_b32_e64 v11, -1, v19, s[8:9]
	s_mov_b32 s8, 0x5040100
	v_perm_b32 v10, v11, v10, s8
	v_xor_b32_e32 v10, v10, v18
	v_cmp_gt_u16_sdwa s[22:23], v10, v10 src0_sel:DWORD src1_sel:WORD_1
	v_pk_mov_b32 v[10:11], v[12:13], v[12:13] op_sel:[0,1]
	v_mov_b32_e32 v49, v51
	s_and_saveexec_b64 s[8:9], s[22:23]
; %bb.165:
	v_pk_mov_b32 v[10:11], v[14:15], v[14:15] op_sel:[0,1]
	v_pk_mov_b32 v[14:15], v[12:13], v[12:13] op_sel:[0,1]
	v_mov_b32_e32 v49, v33
	v_mov_b32_e32 v33, v51
; %bb.166:
	s_or_b64 exec, exec, s[8:9]
	v_lshlrev_b32_e32 v12, 16, v48
	v_add_f32_e32 v13, 0, v12
	s_mov_b32 s8, 0x7f800000
	v_and_b32_e32 v12, 0x7f800000, v13
	v_cmp_ne_u32_e64 s[8:9], s8, v12
                                        ; implicit-def: $vgpr12
	s_and_saveexec_b64 s[22:23], s[8:9]
	s_xor_b64 s[8:9], exec, s[22:23]
; %bb.167:
	v_bfe_u32 v12, v13, 16, 1
	s_movk_i32 s22, 0x7fff
	v_add3_u32 v12, v13, v12, s22
                                        ; implicit-def: $vgpr13
; %bb.168:
	s_andn2_saveexec_b64 s[22:23], s[8:9]
; %bb.169:
	v_mov_b32_e32 v12, 0
	v_or_b32_e32 v18, 0x10000, v13
	v_cmp_eq_u32_sdwa s[8:9], v13, v12 src0_sel:WORD_0 src1_sel:DWORD
	v_cndmask_b32_e64 v12, v18, v13, s[8:9]
; %bb.170:
	s_or_b64 exec, exec, s[22:23]
	v_lshlrev_b32_e32 v13, 16, v38
	v_add_f32_e32 v18, 0, v13
	s_mov_b32 s8, 0x7f800000
	v_and_b32_e32 v13, 0x7f800000, v18
	v_cmp_ne_u32_e64 s[8:9], s8, v13
                                        ; implicit-def: $vgpr13
	s_and_saveexec_b64 s[22:23], s[8:9]
	s_xor_b64 s[8:9], exec, s[22:23]
; %bb.171:
	v_bfe_u32 v13, v18, 16, 1
	s_movk_i32 s22, 0x7fff
	v_add3_u32 v13, v18, v13, s22
                                        ; implicit-def: $vgpr18
; %bb.172:
	s_andn2_saveexec_b64 s[22:23], s[8:9]
; %bb.173:
	v_mov_b32_e32 v13, 0
	v_or_b32_e32 v19, 0x10000, v18
	v_cmp_eq_u32_sdwa s[8:9], v18, v13 src0_sel:WORD_0 src1_sel:DWORD
	v_cndmask_b32_e64 v13, v19, v18, s[8:9]
; %bb.174:
	s_or_b64 exec, exec, s[22:23]
	s_mov_b32 s8, 0x7060302
	v_perm_b32 v18, v13, v12, s8
	v_mov_b32_e32 v19, 0xffff8000
	v_cmp_lt_i32_e64 s[8:9], -1, v12
	v_cndmask_b32_e64 v12, -1, v19, s[8:9]
	v_cmp_lt_i32_e64 s[8:9], -1, v13
	v_cndmask_b32_e64 v13, -1, v19, s[8:9]
	s_mov_b32 s8, 0x5040100
	v_perm_b32 v12, v13, v12, s8
	v_xor_b32_e32 v12, v12, v18
	v_cmp_gt_u16_sdwa s[22:23], v12, v12 src0_sel:DWORD src1_sel:WORD_1
	v_mov_b32_e32 v31, v48
	v_pk_mov_b32 v[22:23], v[26:27], v[26:27] op_sel:[0,1]
	s_and_saveexec_b64 s[8:9], s[22:23]
; %bb.175:
	v_mov_b32_e32 v31, v38
	v_mov_b32_e32 v38, v48
	v_pk_mov_b32 v[22:23], v[4:5], v[4:5] op_sel:[0,1]
	v_pk_mov_b32 v[4:5], v[26:27], v[26:27] op_sel:[0,1]
; %bb.176:
	s_or_b64 exec, exec, s[8:9]
	v_lshlrev_b32_e32 v12, 16, v50
	v_add_f32_e32 v13, 0, v12
	s_mov_b32 s8, 0x7f800000
	v_and_b32_e32 v12, 0x7f800000, v13
	v_cmp_ne_u32_e64 s[8:9], s8, v12
                                        ; implicit-def: $vgpr12
	s_and_saveexec_b64 s[22:23], s[8:9]
	s_xor_b64 s[8:9], exec, s[22:23]
; %bb.177:
	v_bfe_u32 v12, v13, 16, 1
	s_movk_i32 s22, 0x7fff
	v_add3_u32 v12, v13, v12, s22
                                        ; implicit-def: $vgpr13
; %bb.178:
	s_andn2_saveexec_b64 s[22:23], s[8:9]
; %bb.179:
	v_mov_b32_e32 v12, 0
	v_or_b32_e32 v18, 0x10000, v13
	v_cmp_eq_u32_sdwa s[8:9], v13, v12 src0_sel:WORD_0 src1_sel:DWORD
	v_cndmask_b32_e64 v12, v18, v13, s[8:9]
; %bb.180:
	s_or_b64 exec, exec, s[22:23]
	v_lshlrev_b32_e32 v13, 16, v30
	v_add_f32_e32 v18, 0, v13
	s_mov_b32 s8, 0x7f800000
	v_and_b32_e32 v13, 0x7f800000, v18
	v_cmp_ne_u32_e64 s[8:9], s8, v13
                                        ; implicit-def: $vgpr13
	s_and_saveexec_b64 s[22:23], s[8:9]
	s_xor_b64 s[8:9], exec, s[22:23]
; %bb.181:
	v_bfe_u32 v13, v18, 16, 1
	s_movk_i32 s22, 0x7fff
	v_add3_u32 v13, v18, v13, s22
                                        ; implicit-def: $vgpr18
; %bb.182:
	s_andn2_saveexec_b64 s[22:23], s[8:9]
; %bb.183:
	v_mov_b32_e32 v13, 0
	v_or_b32_e32 v19, 0x10000, v18
	v_cmp_eq_u32_sdwa s[8:9], v18, v13 src0_sel:WORD_0 src1_sel:DWORD
	v_cndmask_b32_e64 v13, v19, v18, s[8:9]
; %bb.184:
	s_or_b64 exec, exec, s[22:23]
	s_mov_b32 s8, 0x7060302
	v_perm_b32 v18, v13, v12, s8
	v_mov_b32_e32 v19, 0xffff8000
	v_cmp_lt_i32_e64 s[8:9], -1, v12
	v_cndmask_b32_e64 v12, -1, v19, s[8:9]
	v_cmp_lt_i32_e64 s[8:9], -1, v13
	v_cndmask_b32_e64 v13, -1, v19, s[8:9]
	s_mov_b32 s8, 0x5040100
	v_perm_b32 v12, v13, v12, s8
	v_xor_b32_e32 v12, v12, v18
	v_cmp_gt_u16_sdwa s[22:23], v12, v12 src0_sel:DWORD src1_sel:WORD_1
	v_mov_b32_e32 v48, v50
	v_pk_mov_b32 v[26:27], v[20:21], v[20:21] op_sel:[0,1]
	s_and_saveexec_b64 s[8:9], s[22:23]
; %bb.185:
	v_mov_b32_e32 v48, v30
	v_mov_b32_e32 v30, v50
	v_pk_mov_b32 v[26:27], v[28:29], v[28:29] op_sel:[0,1]
	v_pk_mov_b32 v[28:29], v[20:21], v[20:21] op_sel:[0,1]
; %bb.186:
	s_or_b64 exec, exec, s[8:9]
	v_lshlrev_b32_e32 v12, 16, v49
	v_add_f32_e32 v13, 0, v12
	s_mov_b32 s8, 0x7f800000
	v_and_b32_e32 v12, 0x7f800000, v13
	v_cmp_ne_u32_e64 s[8:9], s8, v12
                                        ; implicit-def: $vgpr12
	s_and_saveexec_b64 s[22:23], s[8:9]
	s_xor_b64 s[8:9], exec, s[22:23]
; %bb.187:
	v_bfe_u32 v12, v13, 16, 1
	s_movk_i32 s22, 0x7fff
	v_add3_u32 v12, v13, v12, s22
                                        ; implicit-def: $vgpr13
; %bb.188:
	s_andn2_saveexec_b64 s[22:23], s[8:9]
; %bb.189:
	v_mov_b32_e32 v12, 0
	v_or_b32_e32 v18, 0x10000, v13
	v_cmp_eq_u32_sdwa s[8:9], v13, v12 src0_sel:WORD_0 src1_sel:DWORD
	v_cndmask_b32_e64 v12, v18, v13, s[8:9]
; %bb.190:
	s_or_b64 exec, exec, s[22:23]
	v_lshlrev_b32_e32 v13, 16, v52
	v_add_f32_e32 v18, 0, v13
	s_mov_b32 s8, 0x7f800000
	v_and_b32_e32 v13, 0x7f800000, v18
	v_cmp_ne_u32_e64 s[8:9], s8, v13
                                        ; implicit-def: $vgpr13
	s_and_saveexec_b64 s[22:23], s[8:9]
	s_xor_b64 s[8:9], exec, s[22:23]
; %bb.191:
	v_bfe_u32 v13, v18, 16, 1
	s_movk_i32 s22, 0x7fff
	v_add3_u32 v13, v18, v13, s22
                                        ; implicit-def: $vgpr18
; %bb.192:
	s_andn2_saveexec_b64 s[22:23], s[8:9]
; %bb.193:
	v_mov_b32_e32 v13, 0
	v_or_b32_e32 v19, 0x10000, v18
	v_cmp_eq_u32_sdwa s[8:9], v18, v13 src0_sel:WORD_0 src1_sel:DWORD
	v_cndmask_b32_e64 v13, v19, v18, s[8:9]
; %bb.194:
	s_or_b64 exec, exec, s[22:23]
	s_mov_b32 s8, 0x7060302
	v_perm_b32 v18, v13, v12, s8
	v_mov_b32_e32 v19, 0xffff8000
	v_cmp_lt_i32_e64 s[8:9], -1, v12
	v_cndmask_b32_e64 v12, -1, v19, s[8:9]
	v_cmp_lt_i32_e64 s[8:9], -1, v13
	v_cndmask_b32_e64 v13, -1, v19, s[8:9]
	s_mov_b32 s8, 0x5040100
	v_perm_b32 v12, v13, v12, s8
	v_xor_b32_e32 v12, v12, v18
	v_cmp_gt_u16_sdwa s[22:23], v12, v12 src0_sel:DWORD src1_sel:WORD_1
	v_pk_mov_b32 v[18:19], v[14:15], v[14:15] op_sel:[0,1]
	v_mov_b32_e32 v53, v52
	s_and_saveexec_b64 s[8:9], s[22:23]
; %bb.195:
	v_pk_mov_b32 v[18:19], v[16:17], v[16:17] op_sel:[0,1]
	v_pk_mov_b32 v[16:17], v[14:15], v[14:15] op_sel:[0,1]
	v_mov_b32_e32 v53, v49
	v_mov_b32_e32 v49, v52
; %bb.196:
	s_or_b64 exec, exec, s[8:9]
	v_lshlrev_b32_e32 v12, 16, v39
	v_add_f32_e32 v13, 0, v12
	s_mov_b32 s8, 0x7f800000
	v_and_b32_e32 v12, 0x7f800000, v13
	v_cmp_ne_u32_e64 s[8:9], s8, v12
                                        ; implicit-def: $vgpr12
	s_and_saveexec_b64 s[22:23], s[8:9]
	s_xor_b64 s[8:9], exec, s[22:23]
; %bb.197:
	v_bfe_u32 v12, v13, 16, 1
	s_movk_i32 s22, 0x7fff
	v_add3_u32 v12, v13, v12, s22
                                        ; implicit-def: $vgpr13
; %bb.198:
	s_andn2_saveexec_b64 s[22:23], s[8:9]
; %bb.199:
	v_mov_b32_e32 v12, 0
	v_or_b32_e32 v14, 0x10000, v13
	v_cmp_eq_u32_sdwa s[8:9], v13, v12 src0_sel:WORD_0 src1_sel:DWORD
	v_cndmask_b32_e64 v12, v14, v13, s[8:9]
; %bb.200:
	s_or_b64 exec, exec, s[22:23]
	v_lshlrev_b32_e32 v13, 16, v33
	v_add_f32_e32 v14, 0, v13
	s_mov_b32 s8, 0x7f800000
	v_and_b32_e32 v13, 0x7f800000, v14
	v_cmp_ne_u32_e64 s[8:9], s8, v13
                                        ; implicit-def: $vgpr13
	s_and_saveexec_b64 s[22:23], s[8:9]
	s_xor_b64 s[8:9], exec, s[22:23]
; %bb.201:
	v_bfe_u32 v13, v14, 16, 1
	s_movk_i32 s22, 0x7fff
	v_add3_u32 v13, v14, v13, s22
                                        ; implicit-def: $vgpr14
; %bb.202:
	s_andn2_saveexec_b64 s[22:23], s[8:9]
; %bb.203:
	v_mov_b32_e32 v13, 0
	v_or_b32_e32 v15, 0x10000, v14
	v_cmp_eq_u32_sdwa s[8:9], v14, v13 src0_sel:WORD_0 src1_sel:DWORD
	v_cndmask_b32_e64 v13, v15, v14, s[8:9]
; %bb.204:
	s_or_b64 exec, exec, s[22:23]
	s_mov_b32 s8, 0x7060302
	v_perm_b32 v14, v13, v12, s8
	v_mov_b32_e32 v15, 0xffff8000
	v_cmp_lt_i32_e64 s[8:9], -1, v12
	v_cndmask_b32_e64 v12, -1, v15, s[8:9]
	v_cmp_lt_i32_e64 s[8:9], -1, v13
	v_cndmask_b32_e64 v13, -1, v15, s[8:9]
	s_mov_b32 s8, 0x5040100
	v_perm_b32 v12, v13, v12, s8
	v_xor_b32_e32 v12, v12, v14
	v_cmp_gt_u16_sdwa s[22:23], v12, v12 src0_sel:DWORD src1_sel:WORD_1
	v_pk_mov_b32 v[12:13], v[8:9], v[8:9] op_sel:[0,1]
	v_mov_b32_e32 v51, v33
	s_and_saveexec_b64 s[8:9], s[22:23]
; %bb.205:
	v_pk_mov_b32 v[12:13], v[10:11], v[10:11] op_sel:[0,1]
	v_pk_mov_b32 v[10:11], v[8:9], v[8:9] op_sel:[0,1]
	v_mov_b32_e32 v51, v39
	v_mov_b32_e32 v39, v33
; %bb.206:
	s_or_b64 exec, exec, s[8:9]
	v_lshlrev_b32_e32 v8, 16, v30
	v_add_f32_e32 v9, 0, v8
	s_mov_b32 s8, 0x7f800000
	v_and_b32_e32 v8, 0x7f800000, v9
	v_cmp_ne_u32_e64 s[8:9], s8, v8
                                        ; implicit-def: $vgpr8
	s_and_saveexec_b64 s[22:23], s[8:9]
	s_xor_b64 s[8:9], exec, s[22:23]
; %bb.207:
	v_bfe_u32 v8, v9, 16, 1
	s_movk_i32 s22, 0x7fff
	v_add3_u32 v8, v9, v8, s22
                                        ; implicit-def: $vgpr9
; %bb.208:
	s_andn2_saveexec_b64 s[22:23], s[8:9]
; %bb.209:
	v_mov_b32_e32 v8, 0
	v_or_b32_e32 v14, 0x10000, v9
	v_cmp_eq_u32_sdwa s[8:9], v9, v8 src0_sel:WORD_0 src1_sel:DWORD
	v_cndmask_b32_e64 v8, v14, v9, s[8:9]
; %bb.210:
	s_or_b64 exec, exec, s[22:23]
	v_lshlrev_b32_e32 v9, 16, v31
	v_add_f32_e32 v14, 0, v9
	s_mov_b32 s8, 0x7f800000
	v_and_b32_e32 v9, 0x7f800000, v14
	v_cmp_ne_u32_e64 s[8:9], s8, v9
                                        ; implicit-def: $vgpr9
	s_and_saveexec_b64 s[22:23], s[8:9]
	s_xor_b64 s[8:9], exec, s[22:23]
; %bb.211:
	v_bfe_u32 v9, v14, 16, 1
	s_movk_i32 s22, 0x7fff
	v_add3_u32 v9, v14, v9, s22
                                        ; implicit-def: $vgpr14
; %bb.212:
	s_andn2_saveexec_b64 s[22:23], s[8:9]
; %bb.213:
	v_mov_b32_e32 v9, 0
	v_or_b32_e32 v15, 0x10000, v14
	v_cmp_eq_u32_sdwa s[8:9], v14, v9 src0_sel:WORD_0 src1_sel:DWORD
	v_cndmask_b32_e64 v9, v15, v14, s[8:9]
; %bb.214:
	s_or_b64 exec, exec, s[22:23]
	s_mov_b32 s8, 0x7060302
	v_perm_b32 v14, v9, v8, s8
	v_mov_b32_e32 v15, 0xffff8000
	v_cmp_lt_i32_e64 s[8:9], -1, v8
	v_cndmask_b32_e64 v8, -1, v15, s[8:9]
	v_cmp_lt_i32_e64 s[8:9], -1, v9
	v_cndmask_b32_e64 v9, -1, v15, s[8:9]
	s_mov_b32 s8, 0x5040100
	v_perm_b32 v8, v9, v8, s8
	v_xor_b32_e32 v8, v8, v14
	v_cmp_gt_u16_sdwa s[22:23], v8, v8 src0_sel:DWORD src1_sel:WORD_1
	v_mov_b32_e32 v33, v30
	v_pk_mov_b32 v[20:21], v[28:29], v[28:29] op_sel:[0,1]
	s_and_saveexec_b64 s[8:9], s[22:23]
; %bb.215:
	v_mov_b32_e32 v33, v31
	v_mov_b32_e32 v31, v30
	v_pk_mov_b32 v[20:21], v[22:23], v[22:23] op_sel:[0,1]
	v_pk_mov_b32 v[22:23], v[28:29], v[28:29] op_sel:[0,1]
; %bb.216:
	s_or_b64 exec, exec, s[8:9]
	v_lshlrev_b32_e32 v8, 16, v53
	v_add_f32_e32 v9, 0, v8
	s_mov_b32 s8, 0x7f800000
	v_and_b32_e32 v8, 0x7f800000, v9
	v_cmp_ne_u32_e64 s[8:9], s8, v8
                                        ; implicit-def: $vgpr8
	s_and_saveexec_b64 s[22:23], s[8:9]
	s_xor_b64 s[8:9], exec, s[22:23]
; %bb.217:
	v_bfe_u32 v8, v9, 16, 1
	s_movk_i32 s22, 0x7fff
	v_add3_u32 v8, v9, v8, s22
                                        ; implicit-def: $vgpr9
; %bb.218:
	s_andn2_saveexec_b64 s[22:23], s[8:9]
; %bb.219:
	v_mov_b32_e32 v8, 0
	v_or_b32_e32 v14, 0x10000, v9
	v_cmp_eq_u32_sdwa s[8:9], v9, v8 src0_sel:WORD_0 src1_sel:DWORD
	v_cndmask_b32_e64 v8, v14, v9, s[8:9]
; %bb.220:
	s_or_b64 exec, exec, s[22:23]
	v_lshlrev_b32_e32 v9, 16, v48
	v_add_f32_e32 v14, 0, v9
	s_mov_b32 s8, 0x7f800000
	v_and_b32_e32 v9, 0x7f800000, v14
	v_cmp_ne_u32_e64 s[8:9], s8, v9
                                        ; implicit-def: $vgpr9
	s_and_saveexec_b64 s[22:23], s[8:9]
	s_xor_b64 s[8:9], exec, s[22:23]
; %bb.221:
	v_bfe_u32 v9, v14, 16, 1
	s_movk_i32 s22, 0x7fff
	v_add3_u32 v9, v14, v9, s22
                                        ; implicit-def: $vgpr14
; %bb.222:
	s_andn2_saveexec_b64 s[22:23], s[8:9]
; %bb.223:
	v_mov_b32_e32 v9, 0
	v_or_b32_e32 v15, 0x10000, v14
	v_cmp_eq_u32_sdwa s[8:9], v14, v9 src0_sel:WORD_0 src1_sel:DWORD
	v_cndmask_b32_e64 v9, v15, v14, s[8:9]
; %bb.224:
	s_or_b64 exec, exec, s[22:23]
	s_mov_b32 s8, 0x7060302
	v_perm_b32 v14, v9, v8, s8
	v_mov_b32_e32 v15, 0xffff8000
	v_cmp_lt_i32_e64 s[8:9], -1, v8
	v_cndmask_b32_e64 v8, -1, v15, s[8:9]
	v_cmp_lt_i32_e64 s[8:9], -1, v9
	v_cndmask_b32_e64 v9, -1, v15, s[8:9]
	s_mov_b32 s8, 0x5040100
	v_perm_b32 v8, v9, v8, s8
	v_xor_b32_e32 v8, v8, v14
	v_cmp_gt_u16_sdwa s[22:23], v8, v8 src0_sel:DWORD src1_sel:WORD_1
	v_mov_b32_e32 v28, v48
	v_pk_mov_b32 v[8:9], v[16:17], v[16:17] op_sel:[0,1]
	s_and_saveexec_b64 s[8:9], s[22:23]
; %bb.225:
	v_mov_b32_e32 v28, v53
	v_pk_mov_b32 v[8:9], v[26:27], v[26:27] op_sel:[0,1]
	v_pk_mov_b32 v[26:27], v[16:17], v[16:17] op_sel:[0,1]
	v_mov_b32_e32 v53, v48
; %bb.226:
	s_or_b64 exec, exec, s[8:9]
	v_lshlrev_b32_e32 v14, 16, v51
	v_add_f32_e32 v15, 0, v14
	s_mov_b32 s8, 0x7f800000
	v_and_b32_e32 v14, 0x7f800000, v15
	v_cmp_ne_u32_e64 s[8:9], s8, v14
                                        ; implicit-def: $vgpr14
	s_and_saveexec_b64 s[22:23], s[8:9]
	s_xor_b64 s[8:9], exec, s[22:23]
; %bb.227:
	v_bfe_u32 v14, v15, 16, 1
	s_movk_i32 s22, 0x7fff
	v_add3_u32 v14, v15, v14, s22
                                        ; implicit-def: $vgpr15
; %bb.228:
	s_andn2_saveexec_b64 s[22:23], s[8:9]
; %bb.229:
	v_mov_b32_e32 v14, 0
	v_or_b32_e32 v16, 0x10000, v15
	v_cmp_eq_u32_sdwa s[8:9], v15, v14 src0_sel:WORD_0 src1_sel:DWORD
	v_cndmask_b32_e64 v14, v16, v15, s[8:9]
; %bb.230:
	s_or_b64 exec, exec, s[22:23]
	v_lshlrev_b32_e32 v15, 16, v49
	v_add_f32_e32 v16, 0, v15
	s_mov_b32 s8, 0x7f800000
	v_and_b32_e32 v15, 0x7f800000, v16
	v_cmp_ne_u32_e64 s[8:9], s8, v15
                                        ; implicit-def: $vgpr15
	s_and_saveexec_b64 s[22:23], s[8:9]
	s_xor_b64 s[8:9], exec, s[22:23]
; %bb.231:
	v_bfe_u32 v15, v16, 16, 1
	s_movk_i32 s22, 0x7fff
	v_add3_u32 v15, v16, v15, s22
                                        ; implicit-def: $vgpr16
; %bb.232:
	s_andn2_saveexec_b64 s[22:23], s[8:9]
; %bb.233:
	v_mov_b32_e32 v15, 0
	v_or_b32_e32 v17, 0x10000, v16
	v_cmp_eq_u32_sdwa s[8:9], v16, v15 src0_sel:WORD_0 src1_sel:DWORD
	v_cndmask_b32_e64 v15, v17, v16, s[8:9]
; %bb.234:
	s_or_b64 exec, exec, s[22:23]
	s_mov_b32 s8, 0x7060302
	v_perm_b32 v16, v15, v14, s8
	v_mov_b32_e32 v17, 0xffff8000
	v_cmp_lt_i32_e64 s[8:9], -1, v14
	v_cndmask_b32_e64 v14, -1, v17, s[8:9]
	v_cmp_lt_i32_e64 s[8:9], -1, v15
	v_cndmask_b32_e64 v15, -1, v17, s[8:9]
	s_mov_b32 s8, 0x5040100
	v_perm_b32 v14, v15, v14, s8
	v_xor_b32_e32 v14, v14, v16
	v_cmp_gt_u16_sdwa s[22:23], v14, v14 src0_sel:DWORD src1_sel:WORD_1
	v_pk_mov_b32 v[16:17], v[10:11], v[10:11] op_sel:[0,1]
	v_mov_b32_e32 v48, v49
	s_and_saveexec_b64 s[8:9], s[22:23]
; %bb.235:
	v_pk_mov_b32 v[16:17], v[18:19], v[18:19] op_sel:[0,1]
	v_pk_mov_b32 v[18:19], v[10:11], v[10:11] op_sel:[0,1]
	v_mov_b32_e32 v48, v51
	v_mov_b32_e32 v51, v49
; %bb.236:
	s_or_b64 exec, exec, s[8:9]
	v_lshlrev_b32_e32 v10, 16, v31
	v_add_f32_e32 v11, 0, v10
	s_mov_b32 s8, 0x7f800000
	v_and_b32_e32 v10, 0x7f800000, v11
	v_cmp_ne_u32_e64 s[8:9], s8, v10
                                        ; implicit-def: $vgpr10
	s_and_saveexec_b64 s[22:23], s[8:9]
	s_xor_b64 s[8:9], exec, s[22:23]
; %bb.237:
	v_bfe_u32 v10, v11, 16, 1
	s_movk_i32 s22, 0x7fff
	v_add3_u32 v10, v11, v10, s22
                                        ; implicit-def: $vgpr11
; %bb.238:
	s_andn2_saveexec_b64 s[22:23], s[8:9]
; %bb.239:
	v_mov_b32_e32 v10, 0
	v_or_b32_e32 v14, 0x10000, v11
	v_cmp_eq_u32_sdwa s[8:9], v11, v10 src0_sel:WORD_0 src1_sel:DWORD
	v_cndmask_b32_e64 v10, v14, v11, s[8:9]
; %bb.240:
	s_or_b64 exec, exec, s[22:23]
	v_lshlrev_b32_e32 v11, 16, v38
	v_add_f32_e32 v14, 0, v11
	s_mov_b32 s8, 0x7f800000
	v_and_b32_e32 v11, 0x7f800000, v14
	v_cmp_ne_u32_e64 s[8:9], s8, v11
                                        ; implicit-def: $vgpr11
	s_and_saveexec_b64 s[22:23], s[8:9]
	s_xor_b64 s[8:9], exec, s[22:23]
; %bb.241:
	v_bfe_u32 v11, v14, 16, 1
	s_movk_i32 s22, 0x7fff
	v_add3_u32 v11, v14, v11, s22
                                        ; implicit-def: $vgpr14
; %bb.242:
	s_andn2_saveexec_b64 s[22:23], s[8:9]
; %bb.243:
	v_mov_b32_e32 v11, 0
	v_or_b32_e32 v15, 0x10000, v14
	v_cmp_eq_u32_sdwa s[8:9], v14, v11 src0_sel:WORD_0 src1_sel:DWORD
	v_cndmask_b32_e64 v11, v15, v14, s[8:9]
; %bb.244:
	s_or_b64 exec, exec, s[22:23]
	s_mov_b32 s8, 0x7060302
	v_perm_b32 v14, v11, v10, s8
	v_mov_b32_e32 v15, 0xffff8000
	v_cmp_lt_i32_e64 s[8:9], -1, v10
	v_cndmask_b32_e64 v10, -1, v15, s[8:9]
	v_cmp_lt_i32_e64 s[8:9], -1, v11
	v_cndmask_b32_e64 v11, -1, v15, s[8:9]
	s_mov_b32 s8, 0x5040100
	v_perm_b32 v10, v11, v10, s8
	v_xor_b32_e32 v10, v10, v14
	v_cmp_gt_u16_sdwa s[22:23], v10, v10 src0_sel:DWORD src1_sel:WORD_1
	v_mov_b32_e32 v50, v31
	v_pk_mov_b32 v[10:11], v[22:23], v[22:23] op_sel:[0,1]
	s_and_saveexec_b64 s[8:9], s[22:23]
; %bb.245:
	v_mov_b32_e32 v50, v38
	v_mov_b32_e32 v38, v31
	v_pk_mov_b32 v[10:11], v[4:5], v[4:5] op_sel:[0,1]
	v_pk_mov_b32 v[4:5], v[22:23], v[22:23] op_sel:[0,1]
; %bb.246:
	s_or_b64 exec, exec, s[8:9]
	v_lshlrev_b32_e32 v14, 16, v28
	v_add_f32_e32 v15, 0, v14
	s_mov_b32 s8, 0x7f800000
	v_and_b32_e32 v14, 0x7f800000, v15
	v_cmp_ne_u32_e64 s[8:9], s8, v14
                                        ; implicit-def: $vgpr14
	s_and_saveexec_b64 s[22:23], s[8:9]
	s_xor_b64 s[8:9], exec, s[22:23]
; %bb.247:
	v_bfe_u32 v14, v15, 16, 1
	s_movk_i32 s22, 0x7fff
	v_add3_u32 v14, v15, v14, s22
                                        ; implicit-def: $vgpr15
; %bb.248:
	s_andn2_saveexec_b64 s[22:23], s[8:9]
; %bb.249:
	v_mov_b32_e32 v14, 0
	v_or_b32_e32 v22, 0x10000, v15
	v_cmp_eq_u32_sdwa s[8:9], v15, v14 src0_sel:WORD_0 src1_sel:DWORD
	v_cndmask_b32_e64 v14, v22, v15, s[8:9]
; %bb.250:
	s_or_b64 exec, exec, s[22:23]
	v_lshlrev_b32_e32 v15, 16, v33
	v_add_f32_e32 v22, 0, v15
	s_mov_b32 s8, 0x7f800000
	v_and_b32_e32 v15, 0x7f800000, v22
	v_cmp_ne_u32_e64 s[8:9], s8, v15
                                        ; implicit-def: $vgpr15
	s_and_saveexec_b64 s[22:23], s[8:9]
	s_xor_b64 s[8:9], exec, s[22:23]
; %bb.251:
	v_bfe_u32 v15, v22, 16, 1
	s_movk_i32 s22, 0x7fff
	v_add3_u32 v15, v22, v15, s22
                                        ; implicit-def: $vgpr22
; %bb.252:
	s_andn2_saveexec_b64 s[22:23], s[8:9]
; %bb.253:
	v_mov_b32_e32 v15, 0
	v_or_b32_e32 v23, 0x10000, v22
	v_cmp_eq_u32_sdwa s[8:9], v22, v15 src0_sel:WORD_0 src1_sel:DWORD
	v_cndmask_b32_e64 v15, v23, v22, s[8:9]
; %bb.254:
	s_or_b64 exec, exec, s[22:23]
	s_mov_b32 s8, 0x7060302
	v_perm_b32 v22, v15, v14, s8
	v_mov_b32_e32 v23, 0xffff8000
	v_cmp_lt_i32_e64 s[8:9], -1, v14
	v_cndmask_b32_e64 v14, -1, v23, s[8:9]
	v_cmp_lt_i32_e64 s[8:9], -1, v15
	v_cndmask_b32_e64 v15, -1, v23, s[8:9]
	s_mov_b32 s8, 0x5040100
	v_perm_b32 v14, v15, v14, s8
	v_xor_b32_e32 v14, v14, v22
	v_cmp_gt_u16_sdwa s[22:23], v14, v14 src0_sel:DWORD src1_sel:WORD_1
	v_mov_b32_e32 v52, v28
	v_pk_mov_b32 v[14:15], v[26:27], v[26:27] op_sel:[0,1]
	s_and_saveexec_b64 s[8:9], s[22:23]
; %bb.255:
	v_mov_b32_e32 v52, v33
	v_mov_b32_e32 v33, v28
	v_pk_mov_b32 v[14:15], v[20:21], v[20:21] op_sel:[0,1]
	v_pk_mov_b32 v[20:21], v[26:27], v[26:27] op_sel:[0,1]
; %bb.256:
	s_or_b64 exec, exec, s[8:9]
	v_lshlrev_b32_e32 v22, 16, v48
	v_add_f32_e32 v23, 0, v22
	s_mov_b32 s8, 0x7f800000
	v_and_b32_e32 v22, 0x7f800000, v23
	v_cmp_ne_u32_e64 s[8:9], s8, v22
                                        ; implicit-def: $vgpr22
	s_and_saveexec_b64 s[22:23], s[8:9]
	s_xor_b64 s[8:9], exec, s[22:23]
; %bb.257:
	v_bfe_u32 v22, v23, 16, 1
	s_movk_i32 s22, 0x7fff
	v_add3_u32 v22, v23, v22, s22
                                        ; implicit-def: $vgpr23
; %bb.258:
	s_andn2_saveexec_b64 s[22:23], s[8:9]
; %bb.259:
	v_mov_b32_e32 v22, 0
	v_or_b32_e32 v26, 0x10000, v23
	v_cmp_eq_u32_sdwa s[8:9], v23, v22 src0_sel:WORD_0 src1_sel:DWORD
	v_cndmask_b32_e64 v22, v26, v23, s[8:9]
; %bb.260:
	s_or_b64 exec, exec, s[22:23]
	v_lshlrev_b32_e32 v23, 16, v53
	v_add_f32_e32 v26, 0, v23
	s_mov_b32 s8, 0x7f800000
	v_and_b32_e32 v23, 0x7f800000, v26
	v_cmp_ne_u32_e64 s[8:9], s8, v23
                                        ; implicit-def: $vgpr23
	s_and_saveexec_b64 s[22:23], s[8:9]
	s_xor_b64 s[8:9], exec, s[22:23]
; %bb.261:
	v_bfe_u32 v23, v26, 16, 1
	s_movk_i32 s22, 0x7fff
	v_add3_u32 v23, v26, v23, s22
                                        ; implicit-def: $vgpr26
; %bb.262:
	s_andn2_saveexec_b64 s[22:23], s[8:9]
; %bb.263:
	v_mov_b32_e32 v23, 0
	v_or_b32_e32 v27, 0x10000, v26
	v_cmp_eq_u32_sdwa s[8:9], v26, v23 src0_sel:WORD_0 src1_sel:DWORD
	v_cndmask_b32_e64 v23, v27, v26, s[8:9]
; %bb.264:
	s_or_b64 exec, exec, s[22:23]
	s_mov_b32 s8, 0x7060302
	v_perm_b32 v26, v23, v22, s8
	v_mov_b32_e32 v27, 0xffff8000
	v_cmp_lt_i32_e64 s[8:9], -1, v22
	v_cndmask_b32_e64 v22, -1, v27, s[8:9]
	v_cmp_lt_i32_e64 s[8:9], -1, v23
	v_cndmask_b32_e64 v23, -1, v27, s[8:9]
	s_mov_b32 s8, 0x5040100
	v_perm_b32 v22, v23, v22, s8
	v_xor_b32_e32 v22, v22, v26
	v_cmp_gt_u16_sdwa s[22:23], v22, v22 src0_sel:DWORD src1_sel:WORD_1
	v_pk_mov_b32 v[30:31], v[18:19], v[18:19] op_sel:[0,1]
	v_mov_b32_e32 v49, v53
	s_and_saveexec_b64 s[8:9], s[22:23]
; %bb.265:
	v_pk_mov_b32 v[30:31], v[8:9], v[8:9] op_sel:[0,1]
	v_pk_mov_b32 v[8:9], v[18:19], v[18:19] op_sel:[0,1]
	v_mov_b32_e32 v49, v48
	v_mov_b32_e32 v48, v53
; %bb.266:
	s_or_b64 exec, exec, s[8:9]
	v_lshlrev_b32_e32 v18, 16, v39
	v_add_f32_e32 v19, 0, v18
	s_mov_b32 s8, 0x7f800000
	v_and_b32_e32 v18, 0x7f800000, v19
	v_cmp_ne_u32_e64 s[8:9], s8, v18
                                        ; implicit-def: $vgpr18
	s_and_saveexec_b64 s[22:23], s[8:9]
	s_xor_b64 s[8:9], exec, s[22:23]
; %bb.267:
	v_bfe_u32 v18, v19, 16, 1
	s_movk_i32 s22, 0x7fff
	v_add3_u32 v18, v19, v18, s22
                                        ; implicit-def: $vgpr19
; %bb.268:
	s_andn2_saveexec_b64 s[22:23], s[8:9]
; %bb.269:
	v_mov_b32_e32 v18, 0
	v_or_b32_e32 v22, 0x10000, v19
	v_cmp_eq_u32_sdwa s[8:9], v19, v18 src0_sel:WORD_0 src1_sel:DWORD
	v_cndmask_b32_e64 v18, v22, v19, s[8:9]
; %bb.270:
	s_or_b64 exec, exec, s[22:23]
	v_lshlrev_b32_e32 v19, 16, v51
	v_add_f32_e32 v22, 0, v19
	s_mov_b32 s8, 0x7f800000
	v_and_b32_e32 v19, 0x7f800000, v22
	v_cmp_ne_u32_e64 s[8:9], s8, v19
                                        ; implicit-def: $vgpr19
	s_and_saveexec_b64 s[22:23], s[8:9]
	s_xor_b64 s[8:9], exec, s[22:23]
; %bb.271:
	v_bfe_u32 v19, v22, 16, 1
	s_movk_i32 s22, 0x7fff
	v_add3_u32 v19, v22, v19, s22
                                        ; implicit-def: $vgpr22
; %bb.272:
	s_andn2_saveexec_b64 s[22:23], s[8:9]
; %bb.273:
	v_mov_b32_e32 v19, 0
	v_or_b32_e32 v23, 0x10000, v22
	v_cmp_eq_u32_sdwa s[8:9], v22, v19 src0_sel:WORD_0 src1_sel:DWORD
	v_cndmask_b32_e64 v19, v23, v22, s[8:9]
; %bb.274:
	s_or_b64 exec, exec, s[22:23]
	s_mov_b32 s8, 0x7060302
	v_perm_b32 v22, v19, v18, s8
	v_mov_b32_e32 v23, 0xffff8000
	v_cmp_lt_i32_e64 s[8:9], -1, v18
	v_cndmask_b32_e64 v18, -1, v23, s[8:9]
	v_cmp_lt_i32_e64 s[8:9], -1, v19
	v_cndmask_b32_e64 v19, -1, v23, s[8:9]
	s_mov_b32 s8, 0x5040100
	v_perm_b32 v18, v19, v18, s8
	v_xor_b32_e32 v18, v18, v22
	v_cmp_gt_u16_sdwa s[22:23], v18, v18 src0_sel:DWORD src1_sel:WORD_1
	v_pk_mov_b32 v[22:23], v[12:13], v[12:13] op_sel:[0,1]
	v_mov_b32_e32 v54, v51
	s_and_saveexec_b64 s[8:9], s[22:23]
; %bb.275:
	v_pk_mov_b32 v[22:23], v[16:17], v[16:17] op_sel:[0,1]
	v_pk_mov_b32 v[16:17], v[12:13], v[12:13] op_sel:[0,1]
	v_mov_b32_e32 v54, v39
	v_mov_b32_e32 v39, v51
; %bb.276:
	s_or_b64 exec, exec, s[8:9]
	v_lshlrev_b32_e32 v12, 16, v33
	v_add_f32_e32 v13, 0, v12
	s_mov_b32 s8, 0x7f800000
	v_and_b32_e32 v12, 0x7f800000, v13
	v_cmp_ne_u32_e64 s[8:9], s8, v12
                                        ; implicit-def: $vgpr12
	s_and_saveexec_b64 s[22:23], s[8:9]
	s_xor_b64 s[8:9], exec, s[22:23]
; %bb.277:
	v_bfe_u32 v12, v13, 16, 1
	s_movk_i32 s22, 0x7fff
	v_add3_u32 v12, v13, v12, s22
                                        ; implicit-def: $vgpr13
; %bb.278:
	s_andn2_saveexec_b64 s[22:23], s[8:9]
; %bb.279:
	v_mov_b32_e32 v12, 0
	v_or_b32_e32 v18, 0x10000, v13
	v_cmp_eq_u32_sdwa s[8:9], v13, v12 src0_sel:WORD_0 src1_sel:DWORD
	v_cndmask_b32_e64 v12, v18, v13, s[8:9]
; %bb.280:
	s_or_b64 exec, exec, s[22:23]
	v_lshlrev_b32_e32 v13, 16, v50
	v_add_f32_e32 v18, 0, v13
	s_mov_b32 s8, 0x7f800000
	v_and_b32_e32 v13, 0x7f800000, v18
	v_cmp_ne_u32_e64 s[8:9], s8, v13
                                        ; implicit-def: $vgpr13
	s_and_saveexec_b64 s[22:23], s[8:9]
	s_xor_b64 s[8:9], exec, s[22:23]
; %bb.281:
	v_bfe_u32 v13, v18, 16, 1
	s_movk_i32 s22, 0x7fff
	v_add3_u32 v13, v18, v13, s22
                                        ; implicit-def: $vgpr18
; %bb.282:
	s_andn2_saveexec_b64 s[22:23], s[8:9]
; %bb.283:
	v_mov_b32_e32 v13, 0
	v_or_b32_e32 v19, 0x10000, v18
	v_cmp_eq_u32_sdwa s[8:9], v18, v13 src0_sel:WORD_0 src1_sel:DWORD
	v_cndmask_b32_e64 v13, v19, v18, s[8:9]
; %bb.284:
	s_or_b64 exec, exec, s[22:23]
	s_mov_b32 s8, 0x7060302
	v_perm_b32 v18, v13, v12, s8
	v_mov_b32_e32 v19, 0xffff8000
	v_cmp_lt_i32_e64 s[8:9], -1, v12
	v_cndmask_b32_e64 v12, -1, v19, s[8:9]
	v_cmp_lt_i32_e64 s[8:9], -1, v13
	v_cndmask_b32_e64 v13, -1, v19, s[8:9]
	s_mov_b32 s8, 0x5040100
	v_perm_b32 v12, v13, v12, s8
	v_xor_b32_e32 v12, v12, v18
	v_cmp_gt_u16_sdwa s[22:23], v12, v12 src0_sel:DWORD src1_sel:WORD_1
	v_mov_b32_e32 v51, v33
	v_pk_mov_b32 v[26:27], v[20:21], v[20:21] op_sel:[0,1]
	s_and_saveexec_b64 s[8:9], s[22:23]
; %bb.285:
	v_mov_b32_e32 v51, v50
	v_mov_b32_e32 v50, v33
	v_pk_mov_b32 v[26:27], v[10:11], v[10:11] op_sel:[0,1]
	v_pk_mov_b32 v[10:11], v[20:21], v[20:21] op_sel:[0,1]
; %bb.286:
	s_or_b64 exec, exec, s[8:9]
	v_lshlrev_b32_e32 v12, 16, v49
	v_add_f32_e32 v13, 0, v12
	s_mov_b32 s8, 0x7f800000
	v_and_b32_e32 v12, 0x7f800000, v13
	v_cmp_ne_u32_e64 s[8:9], s8, v12
                                        ; implicit-def: $vgpr12
	s_and_saveexec_b64 s[22:23], s[8:9]
	s_xor_b64 s[8:9], exec, s[22:23]
; %bb.287:
	v_bfe_u32 v12, v13, 16, 1
	s_movk_i32 s22, 0x7fff
	v_add3_u32 v12, v13, v12, s22
                                        ; implicit-def: $vgpr13
; %bb.288:
	s_andn2_saveexec_b64 s[22:23], s[8:9]
; %bb.289:
	v_mov_b32_e32 v12, 0
	v_or_b32_e32 v18, 0x10000, v13
	v_cmp_eq_u32_sdwa s[8:9], v13, v12 src0_sel:WORD_0 src1_sel:DWORD
	v_cndmask_b32_e64 v12, v18, v13, s[8:9]
; %bb.290:
	s_or_b64 exec, exec, s[22:23]
	v_lshlrev_b32_e32 v13, 16, v52
	v_add_f32_e32 v18, 0, v13
	s_mov_b32 s8, 0x7f800000
	v_and_b32_e32 v13, 0x7f800000, v18
	v_cmp_ne_u32_e64 s[8:9], s8, v13
                                        ; implicit-def: $vgpr13
	s_and_saveexec_b64 s[22:23], s[8:9]
	s_xor_b64 s[8:9], exec, s[22:23]
; %bb.291:
	v_bfe_u32 v13, v18, 16, 1
	s_movk_i32 s22, 0x7fff
	v_add3_u32 v13, v18, v13, s22
                                        ; implicit-def: $vgpr18
; %bb.292:
	s_andn2_saveexec_b64 s[22:23], s[8:9]
; %bb.293:
	v_mov_b32_e32 v13, 0
	v_or_b32_e32 v19, 0x10000, v18
	v_cmp_eq_u32_sdwa s[8:9], v18, v13 src0_sel:WORD_0 src1_sel:DWORD
	v_cndmask_b32_e64 v13, v19, v18, s[8:9]
; %bb.294:
	s_or_b64 exec, exec, s[22:23]
	s_mov_b32 s8, 0x7060302
	v_perm_b32 v18, v13, v12, s8
	v_mov_b32_e32 v19, 0xffff8000
	v_cmp_lt_i32_e64 s[8:9], -1, v12
	v_cndmask_b32_e64 v12, -1, v19, s[8:9]
	v_cmp_lt_i32_e64 s[8:9], -1, v13
	v_cndmask_b32_e64 v13, -1, v19, s[8:9]
	s_mov_b32 s8, 0x5040100
	v_perm_b32 v12, v13, v12, s8
	v_xor_b32_e32 v12, v12, v18
	v_cmp_gt_u16_sdwa s[22:23], v12, v12 src0_sel:DWORD src1_sel:WORD_1
	v_mov_b32_e32 v53, v52
	v_pk_mov_b32 v[28:29], v[8:9], v[8:9] op_sel:[0,1]
	s_and_saveexec_b64 s[8:9], s[22:23]
; %bb.295:
	v_mov_b32_e32 v53, v49
	v_pk_mov_b32 v[28:29], v[14:15], v[14:15] op_sel:[0,1]
	v_pk_mov_b32 v[14:15], v[8:9], v[8:9] op_sel:[0,1]
	v_mov_b32_e32 v49, v52
; %bb.296:
	s_or_b64 exec, exec, s[8:9]
	v_lshlrev_b32_e32 v8, 16, v54
	v_add_f32_e32 v9, 0, v8
	s_mov_b32 s8, 0x7f800000
	v_and_b32_e32 v8, 0x7f800000, v9
	v_cmp_ne_u32_e64 s[8:9], s8, v8
                                        ; implicit-def: $vgpr8
	s_and_saveexec_b64 s[22:23], s[8:9]
	s_xor_b64 s[8:9], exec, s[22:23]
; %bb.297:
	v_bfe_u32 v8, v9, 16, 1
	s_movk_i32 s22, 0x7fff
	v_add3_u32 v8, v9, v8, s22
                                        ; implicit-def: $vgpr9
; %bb.298:
	s_andn2_saveexec_b64 s[22:23], s[8:9]
; %bb.299:
	v_mov_b32_e32 v8, 0
	v_or_b32_e32 v12, 0x10000, v9
	v_cmp_eq_u32_sdwa s[8:9], v9, v8 src0_sel:WORD_0 src1_sel:DWORD
	v_cndmask_b32_e64 v8, v12, v9, s[8:9]
; %bb.300:
	s_or_b64 exec, exec, s[22:23]
	v_lshlrev_b32_e32 v9, 16, v48
	v_add_f32_e32 v12, 0, v9
	s_mov_b32 s8, 0x7f800000
	v_and_b32_e32 v9, 0x7f800000, v12
	v_cmp_ne_u32_e64 s[8:9], s8, v9
                                        ; implicit-def: $vgpr9
	s_and_saveexec_b64 s[22:23], s[8:9]
	s_xor_b64 s[8:9], exec, s[22:23]
; %bb.301:
	v_bfe_u32 v9, v12, 16, 1
	s_movk_i32 s22, 0x7fff
	v_add3_u32 v9, v12, v9, s22
                                        ; implicit-def: $vgpr12
; %bb.302:
	s_andn2_saveexec_b64 s[22:23], s[8:9]
; %bb.303:
	v_mov_b32_e32 v9, 0
	v_or_b32_e32 v13, 0x10000, v12
	v_cmp_eq_u32_sdwa s[8:9], v12, v9 src0_sel:WORD_0 src1_sel:DWORD
	v_cndmask_b32_e64 v9, v13, v12, s[8:9]
; %bb.304:
	s_or_b64 exec, exec, s[22:23]
	s_mov_b32 s8, 0x7060302
	v_perm_b32 v12, v9, v8, s8
	v_mov_b32_e32 v13, 0xffff8000
	v_cmp_lt_i32_e64 s[8:9], -1, v8
	v_cndmask_b32_e64 v8, -1, v13, s[8:9]
	v_cmp_lt_i32_e64 s[8:9], -1, v9
	v_cndmask_b32_e64 v9, -1, v13, s[8:9]
	s_mov_b32 s8, 0x5040100
	v_perm_b32 v8, v9, v8, s8
	v_xor_b32_e32 v8, v8, v12
	v_cmp_gt_u16_sdwa s[22:23], v8, v8 src0_sel:DWORD src1_sel:WORD_1
	v_mov_b32_e32 v52, v54
	v_pk_mov_b32 v[18:19], v[30:31], v[30:31] op_sel:[0,1]
	s_and_saveexec_b64 s[8:9], s[22:23]
; %bb.305:
	v_mov_b32_e32 v52, v48
	v_mov_b32_e32 v48, v54
	v_pk_mov_b32 v[18:19], v[16:17], v[16:17] op_sel:[0,1]
	v_pk_mov_b32 v[16:17], v[30:31], v[30:31] op_sel:[0,1]
; %bb.306:
	s_or_b64 exec, exec, s[8:9]
.LBB1956_307:
	s_or_b64 exec, exec, s[12:13]
	v_and_b32_e32 v8, 0xfffffe00, v32
	s_movk_i32 s8, 0x800
	v_sub_u32_e64 v13, s8, v8 clamp
	v_lshlrev_b32_e32 v12, 1, v8
	v_mad_u64_u32 v[8:9], s[8:9], v8, 6, v[12:13]
	v_lshl_add_u32 v21, v37, 3, v8
	v_add_u32_e32 v30, 0x1010, v21
	ds_write2_b64 v30, v[26:27], v[14:15] offset1:1
	v_add_u32_e32 v30, 0x1020, v21
	s_mov_b32 s26, 0x5040100
	v_lshl_add_u32 v20, v37, 1, v12
	v_add_u32_e32 v9, 0x1000, v21
	ds_write2_b64 v30, v[28:29], v[18:19] offset1:1
	v_perm_b32 v31, v39, v52, s26
	v_perm_b32 v30, v48, v49, s26
	;; [unrolled: 1-line block ×4, first 2 shown]
	ds_write2_b64 v9, v[4:5], v[10:11] offset1:1
	v_add_u32_e32 v54, 0x1030, v21
	ds_write2_b64 v20, v[32:33], v[30:31] offset1:1
	ds_write2_b64 v54, v[16:17], v[22:23] offset1:1
	v_or_b32_e32 v30, 8, v37
	v_min_u32_e32 v30, v13, v30
	v_add_u32_e32 v31, 8, v30
	v_and_b32_e32 v32, 0x3f0, v37
	v_min_u32_e32 v31, v13, v31
	v_and_b32_e32 v33, 8, v37
	v_min_u32_e32 v55, v13, v33
	v_sub_u32_e32 v54, v30, v32
	v_sub_u32_e32 v64, v31, v30
	v_sub_u32_e64 v64, v55, v64 clamp
	v_min_u32_e32 v54, v55, v54
	v_lshl_add_u32 v33, v32, 1, v12
	v_cmp_lt_u32_e64 s[8:9], v64, v54
	; wave barrier
	s_and_saveexec_b64 s[12:13], s[8:9]
	s_cbranch_execz .LBB1956_326
; %bb.308:
	v_lshlrev_b32_e32 v65, 1, v30
	v_lshlrev_b32_e32 v66, 1, v55
	v_add3_u32 v65, v12, v65, v66
	s_mov_b64 s[22:23], 0
	s_mov_b32 s27, 0x7f800000
	s_movk_i32 s28, 0x7fff
	s_mov_b32 s29, 0x7060302
	v_mov_b32_e32 v66, 0
	v_mov_b32_e32 v67, 0xffff8000
	s_branch .LBB1956_310
.LBB1956_309:                           ;   in Loop: Header=BB1956_310 Depth=1
	s_or_b64 exec, exec, s[24:25]
	v_cmp_lt_i32_e64 s[8:9], -1, v69
	v_perm_b32 v71, v70, v69, s29
	v_cndmask_b32_e64 v69, -1, v67, s[8:9]
	v_cmp_lt_i32_e64 s[8:9], -1, v70
	v_cndmask_b32_e64 v70, -1, v67, s[8:9]
	v_perm_b32 v69, v70, v69, s26
	v_xor_b32_e32 v69, v69, v71
	v_add_u32_e32 v70, 1, v68
	v_cmp_gt_u16_sdwa s[8:9], v69, v69 src0_sel:DWORD src1_sel:WORD_1
	v_cndmask_b32_e64 v54, v54, v68, s[8:9]
	v_cndmask_b32_e64 v64, v70, v64, s[8:9]
	v_cmp_ge_u32_e64 s[8:9], v64, v54
	s_or_b64 s[22:23], s[8:9], s[22:23]
	s_andn2_b64 exec, exec, s[22:23]
	s_cbranch_execz .LBB1956_325
.LBB1956_310:                           ; =>This Inner Loop Header: Depth=1
	v_add_u32_e32 v69, v54, v64
	v_lshrrev_b32_e32 v68, 1, v69
	v_not_b32_e32 v70, v68
	v_lshl_add_u32 v70, v70, 1, v65
	ds_read_u16 v71, v70
	v_and_b32_e32 v69, -2, v69
	v_add_u32_e32 v69, v33, v69
	ds_read_u16 v70, v69
	s_waitcnt lgkmcnt(1)
	v_lshlrev_b32_e32 v69, 16, v71
	v_add_f32_e32 v71, 0, v69
	v_and_b32_e32 v69, 0x7f800000, v71
	v_cmp_ne_u32_e64 s[8:9], s27, v69
                                        ; implicit-def: $vgpr69
	s_and_saveexec_b64 s[24:25], s[8:9]
	s_xor_b64 s[8:9], exec, s[24:25]
; %bb.311:                              ;   in Loop: Header=BB1956_310 Depth=1
	v_bfe_u32 v69, v71, 16, 1
	v_add3_u32 v69, v71, v69, s28
                                        ; implicit-def: $vgpr71
; %bb.312:                              ;   in Loop: Header=BB1956_310 Depth=1
	s_andn2_saveexec_b64 s[24:25], s[8:9]
; %bb.313:                              ;   in Loop: Header=BB1956_310 Depth=1
	v_or_b32_e32 v69, 0x10000, v71
	v_cmp_eq_u32_sdwa s[8:9], v71, v66 src0_sel:WORD_0 src1_sel:DWORD
	v_cndmask_b32_e64 v69, v69, v71, s[8:9]
; %bb.314:                              ;   in Loop: Header=BB1956_310 Depth=1
	s_or_b64 exec, exec, s[24:25]
	s_waitcnt lgkmcnt(0)
	v_lshlrev_b32_e32 v70, 16, v70
	v_add_f32_e32 v71, 0, v70
	v_and_b32_e32 v70, 0x7f800000, v71
	v_cmp_ne_u32_e64 s[8:9], s27, v70
                                        ; implicit-def: $vgpr70
	s_and_saveexec_b64 s[24:25], s[8:9]
	s_xor_b64 s[8:9], exec, s[24:25]
; %bb.315:                              ;   in Loop: Header=BB1956_310 Depth=1
	v_bfe_u32 v70, v71, 16, 1
	v_add3_u32 v70, v71, v70, s28
                                        ; implicit-def: $vgpr71
; %bb.316:                              ;   in Loop: Header=BB1956_310 Depth=1
	s_andn2_saveexec_b64 s[24:25], s[8:9]
	s_cbranch_execz .LBB1956_309
; %bb.317:                              ;   in Loop: Header=BB1956_310 Depth=1
	v_or_b32_e32 v70, 0x10000, v71
	v_cmp_eq_u32_sdwa s[8:9], v71, v66 src0_sel:WORD_0 src1_sel:DWORD
	v_cndmask_b32_e64 v70, v70, v71, s[8:9]
	s_branch .LBB1956_309
.LBB1956_318:
	flat_load_dwordx2 v[4:5], v[32:33]
	s_or_b64 exec, exec, s[22:23]
	s_and_saveexec_b64 s[22:23], s[4:5]
                                        ; implicit-def: $vgpr8_vgpr9_vgpr10_vgpr11
	s_cbranch_execz .LBB1956_18
.LBB1956_319:
	flat_load_dwordx2 v[10:11], v[32:33] offset:8
	s_or_b64 exec, exec, s[22:23]
                                        ; implicit-def: $vgpr26_vgpr27
	s_and_saveexec_b64 s[22:23], s[6:7]
	s_cbranch_execz .LBB1956_19
.LBB1956_320:
	flat_load_dwordx2 v[26:27], v[32:33] offset:16
	s_or_b64 exec, exec, s[22:23]
	s_and_saveexec_b64 s[22:23], s[18:19]
                                        ; implicit-def: $vgpr12_vgpr13_vgpr14_vgpr15
	s_cbranch_execz .LBB1956_20
.LBB1956_321:
	flat_load_dwordx2 v[14:15], v[32:33] offset:24
	s_or_b64 exec, exec, s[22:23]
                                        ; implicit-def: $vgpr28_vgpr29
	s_and_saveexec_b64 s[22:23], s[10:11]
	s_cbranch_execz .LBB1956_21
.LBB1956_322:
	flat_load_dwordx2 v[28:29], v[32:33] offset:32
	s_or_b64 exec, exec, s[22:23]
	s_and_saveexec_b64 s[22:23], s[20:21]
                                        ; implicit-def: $vgpr16_vgpr17_vgpr18_vgpr19
	s_cbranch_execz .LBB1956_22
.LBB1956_323:
	flat_load_dwordx2 v[18:19], v[32:33] offset:40
	s_or_b64 exec, exec, s[22:23]
                                        ; implicit-def: $vgpr16_vgpr17
	s_and_saveexec_b64 s[22:23], s[14:15]
	s_cbranch_execz .LBB1956_23
.LBB1956_324:
	flat_load_dwordx2 v[16:17], v[32:33] offset:48
	s_or_b64 exec, exec, s[22:23]
	s_and_saveexec_b64 s[22:23], s[16:17]
                                        ; implicit-def: $vgpr20_vgpr21_vgpr22_vgpr23
	s_cbranch_execnz .LBB1956_24
	s_branch .LBB1956_25
.LBB1956_325:
	s_or_b64 exec, exec, s[22:23]
.LBB1956_326:
	s_or_b64 exec, exec, s[12:13]
	v_add_u32_e32 v54, v64, v32
	v_add_u32_e32 v32, v30, v55
	v_sub_u32_e32 v55, v32, v64
	v_cmp_le_u32_e64 s[8:9], v54, v30
	v_cmp_le_u32_e64 s[12:13], v55, v31
	s_or_b64 s[8:9], s[8:9], s[12:13]
	s_and_saveexec_b64 s[22:23], s[8:9]
	s_cbranch_execz .LBB1956_426
; %bb.327:
	v_cmp_ge_u32_e64 s[8:9], v54, v30
	v_cmp_lt_u32_e64 s[12:13], v54, v30
                                        ; implicit-def: $vgpr32
	s_and_saveexec_b64 s[24:25], s[12:13]
	s_cbranch_execz .LBB1956_329
; %bb.328:
	v_lshl_add_u32 v4, v64, 1, v33
	ds_read_u16 v32, v4
.LBB1956_329:
	s_or_b64 exec, exec, s[24:25]
	v_cmp_ge_u32_e64 s[24:25], v55, v31
	v_cmp_lt_u32_e64 s[12:13], v55, v31
                                        ; implicit-def: $vgpr33
	s_and_saveexec_b64 s[26:27], s[12:13]
	s_cbranch_execz .LBB1956_331
; %bb.330:
	v_lshl_add_u32 v4, v55, 1, v12
	ds_read_u16 v33, v4
.LBB1956_331:
	s_or_b64 exec, exec, s[26:27]
	s_or_b64 s[8:9], s[8:9], s[24:25]
	s_xor_b64 s[8:9], s[8:9], -1
	s_and_saveexec_b64 s[12:13], s[8:9]
	s_cbranch_execz .LBB1956_341
; %bb.332:
	s_waitcnt lgkmcnt(0)
	v_lshlrev_b32_e32 v4, 16, v33
	v_add_f32_e32 v5, 0, v4
	s_mov_b32 s8, 0x7f800000
	v_and_b32_e32 v4, 0x7f800000, v5
	v_cmp_ne_u32_e64 s[8:9], s8, v4
                                        ; implicit-def: $vgpr4
	s_and_saveexec_b64 s[26:27], s[8:9]
	s_xor_b64 s[8:9], exec, s[26:27]
; %bb.333:
	v_bfe_u32 v4, v5, 16, 1
	s_movk_i32 s26, 0x7fff
	v_add3_u32 v4, v5, v4, s26
                                        ; implicit-def: $vgpr5
; %bb.334:
	s_andn2_saveexec_b64 s[26:27], s[8:9]
; %bb.335:
	v_mov_b32_e32 v4, 0
	v_or_b32_e32 v10, 0x10000, v5
	v_cmp_eq_u32_sdwa s[8:9], v5, v4 src0_sel:WORD_0 src1_sel:DWORD
	v_cndmask_b32_e64 v4, v10, v5, s[8:9]
; %bb.336:
	s_or_b64 exec, exec, s[26:27]
	v_lshlrev_b32_e32 v5, 16, v32
	v_add_f32_e32 v10, 0, v5
	s_mov_b32 s8, 0x7f800000
	v_and_b32_e32 v5, 0x7f800000, v10
	v_cmp_ne_u32_e64 s[8:9], s8, v5
                                        ; implicit-def: $vgpr5
	s_and_saveexec_b64 s[26:27], s[8:9]
	s_xor_b64 s[8:9], exec, s[26:27]
; %bb.337:
	v_bfe_u32 v5, v10, 16, 1
	s_movk_i32 s26, 0x7fff
	v_add3_u32 v5, v10, v5, s26
                                        ; implicit-def: $vgpr10
; %bb.338:
	s_andn2_saveexec_b64 s[26:27], s[8:9]
; %bb.339:
	v_mov_b32_e32 v5, 0
	v_or_b32_e32 v11, 0x10000, v10
	v_cmp_eq_u32_sdwa s[8:9], v10, v5 src0_sel:WORD_0 src1_sel:DWORD
	v_cndmask_b32_e64 v5, v11, v10, s[8:9]
; %bb.340:
	s_or_b64 exec, exec, s[26:27]
	s_mov_b32 s8, 0x7060302
	v_perm_b32 v10, v5, v4, s8
	v_mov_b32_e32 v11, 0xffff8000
	v_cmp_lt_i32_e64 s[8:9], -1, v4
	v_cndmask_b32_e64 v4, -1, v11, s[8:9]
	v_cmp_lt_i32_e64 s[8:9], -1, v5
	v_cndmask_b32_e64 v5, -1, v11, s[8:9]
	s_mov_b32 s8, 0x5040100
	v_perm_b32 v4, v5, v4, s8
	v_xor_b32_e32 v4, v4, v10
	v_cmp_le_u16_sdwa s[8:9], v4, v4 src0_sel:DWORD src1_sel:WORD_1
	s_andn2_b64 s[24:25], s[24:25], exec
	s_and_b64 s[8:9], s[8:9], exec
	s_or_b64 s[24:25], s[24:25], s[8:9]
.LBB1956_341:
	s_or_b64 exec, exec, s[12:13]
	v_cndmask_b32_e64 v4, v55, v54, s[24:25]
	v_cndmask_b32_e64 v5, v31, v30, s[24:25]
	v_add_u32_e32 v10, 1, v4
	v_add_u32_e32 v5, -1, v5
	v_min_u32_e32 v5, v10, v5
	v_lshl_add_u32 v5, v5, 1, v12
	ds_read_u16 v11, v5
	v_lshl_add_u32 v4, v4, 3, v8
	ds_read_b64 v[4:5], v4 offset:4096
	v_cndmask_b32_e64 v14, v10, v55, s[24:25]
	v_cndmask_b32_e64 v15, v54, v10, s[24:25]
	s_waitcnt lgkmcnt(1)
	v_cndmask_b32_e64 v38, v11, v33, s[24:25]
	v_cndmask_b32_e64 v39, v32, v11, s[24:25]
	v_cmp_lt_u32_e64 s[8:9], v14, v31
	s_mov_b64 s[26:27], -1
	s_mov_b64 s[12:13], -1
	s_and_saveexec_b64 s[28:29], s[8:9]
	s_cbranch_execz .LBB1956_353
; %bb.342:
	v_cmp_lt_u32_e64 s[8:9], v15, v30
	s_mov_b64 s[30:31], 0
	s_and_saveexec_b64 s[12:13], s[8:9]
	s_cbranch_execz .LBB1956_352
; %bb.343:
	v_lshlrev_b32_e32 v10, 16, v38
	v_add_f32_e32 v11, 0, v10
	s_mov_b32 s8, 0x7f800000
	v_and_b32_e32 v10, 0x7f800000, v11
	v_cmp_ne_u32_e64 s[8:9], s8, v10
                                        ; implicit-def: $vgpr10
	s_and_saveexec_b64 s[30:31], s[8:9]
	s_xor_b64 s[8:9], exec, s[30:31]
; %bb.344:
	v_bfe_u32 v10, v11, 16, 1
	s_movk_i32 s30, 0x7fff
	v_add3_u32 v10, v11, v10, s30
                                        ; implicit-def: $vgpr11
; %bb.345:
	s_andn2_saveexec_b64 s[30:31], s[8:9]
; %bb.346:
	v_mov_b32_e32 v10, 0
	v_or_b32_e32 v16, 0x10000, v11
	v_cmp_eq_u32_sdwa s[8:9], v11, v10 src0_sel:WORD_0 src1_sel:DWORD
	v_cndmask_b32_e64 v10, v16, v11, s[8:9]
; %bb.347:
	s_or_b64 exec, exec, s[30:31]
	v_lshlrev_b32_e32 v11, 16, v39
	v_add_f32_e32 v16, 0, v11
	s_mov_b32 s8, 0x7f800000
	v_and_b32_e32 v11, 0x7f800000, v16
	v_cmp_ne_u32_e64 s[8:9], s8, v11
                                        ; implicit-def: $vgpr11
	s_and_saveexec_b64 s[30:31], s[8:9]
	s_xor_b64 s[8:9], exec, s[30:31]
; %bb.348:
	v_bfe_u32 v11, v16, 16, 1
	s_movk_i32 s30, 0x7fff
	v_add3_u32 v11, v16, v11, s30
                                        ; implicit-def: $vgpr16
; %bb.349:
	s_andn2_saveexec_b64 s[30:31], s[8:9]
; %bb.350:
	v_mov_b32_e32 v11, 0
	v_or_b32_e32 v17, 0x10000, v16
	v_cmp_eq_u32_sdwa s[8:9], v16, v11 src0_sel:WORD_0 src1_sel:DWORD
	v_cndmask_b32_e64 v11, v17, v16, s[8:9]
; %bb.351:
	s_or_b64 exec, exec, s[30:31]
	s_mov_b32 s8, 0x7060302
	v_perm_b32 v16, v11, v10, s8
	v_mov_b32_e32 v17, 0xffff8000
	v_cmp_lt_i32_e64 s[8:9], -1, v10
	v_cndmask_b32_e64 v10, -1, v17, s[8:9]
	v_cmp_lt_i32_e64 s[8:9], -1, v11
	v_cndmask_b32_e64 v11, -1, v17, s[8:9]
	s_mov_b32 s8, 0x5040100
	v_perm_b32 v10, v11, v10, s8
	v_xor_b32_e32 v10, v10, v16
	v_cmp_le_u16_sdwa s[8:9], v10, v10 src0_sel:DWORD src1_sel:WORD_1
	s_and_b64 s[30:31], s[8:9], exec
.LBB1956_352:
	s_or_b64 exec, exec, s[12:13]
	s_orn2_b64 s[12:13], s[30:31], exec
.LBB1956_353:
	s_or_b64 exec, exec, s[28:29]
	v_cndmask_b32_e64 v10, v14, v15, s[12:13]
	v_cndmask_b32_e64 v11, v31, v30, s[12:13]
	v_add_u32_e32 v16, 1, v10
	v_add_u32_e32 v11, -1, v11
	v_min_u32_e32 v11, v16, v11
	v_lshl_add_u32 v11, v11, 1, v12
	ds_read_u16 v17, v11
	v_lshl_add_u32 v10, v10, 3, v8
	ds_read_b64 v[10:11], v10 offset:4096
	v_cndmask_b32_e64 v14, v16, v14, s[12:13]
	v_cndmask_b32_e64 v15, v15, v16, s[12:13]
	s_waitcnt lgkmcnt(1)
	v_cndmask_b32_e64 v50, v17, v38, s[12:13]
	v_cndmask_b32_e64 v51, v39, v17, s[12:13]
	v_cmp_lt_u32_e64 s[8:9], v14, v31
	s_and_saveexec_b64 s[28:29], s[8:9]
	s_cbranch_execz .LBB1956_365
; %bb.354:
	v_cmp_lt_u32_e64 s[8:9], v15, v30
	s_mov_b64 s[30:31], 0
	s_and_saveexec_b64 s[26:27], s[8:9]
	s_cbranch_execz .LBB1956_364
; %bb.355:
	v_lshlrev_b32_e32 v16, 16, v50
	v_add_f32_e32 v17, 0, v16
	s_mov_b32 s8, 0x7f800000
	v_and_b32_e32 v16, 0x7f800000, v17
	v_cmp_ne_u32_e64 s[8:9], s8, v16
                                        ; implicit-def: $vgpr16
	s_and_saveexec_b64 s[30:31], s[8:9]
	s_xor_b64 s[8:9], exec, s[30:31]
; %bb.356:
	v_bfe_u32 v16, v17, 16, 1
	s_movk_i32 s30, 0x7fff
	v_add3_u32 v16, v17, v16, s30
                                        ; implicit-def: $vgpr17
; %bb.357:
	s_andn2_saveexec_b64 s[30:31], s[8:9]
; %bb.358:
	v_mov_b32_e32 v16, 0
	v_or_b32_e32 v18, 0x10000, v17
	v_cmp_eq_u32_sdwa s[8:9], v17, v16 src0_sel:WORD_0 src1_sel:DWORD
	v_cndmask_b32_e64 v16, v18, v17, s[8:9]
; %bb.359:
	s_or_b64 exec, exec, s[30:31]
	v_lshlrev_b32_e32 v17, 16, v51
	v_add_f32_e32 v18, 0, v17
	s_mov_b32 s8, 0x7f800000
	v_and_b32_e32 v17, 0x7f800000, v18
	v_cmp_ne_u32_e64 s[8:9], s8, v17
                                        ; implicit-def: $vgpr17
	s_and_saveexec_b64 s[30:31], s[8:9]
	s_xor_b64 s[8:9], exec, s[30:31]
; %bb.360:
	v_bfe_u32 v17, v18, 16, 1
	s_movk_i32 s30, 0x7fff
	v_add3_u32 v17, v18, v17, s30
                                        ; implicit-def: $vgpr18
; %bb.361:
	s_andn2_saveexec_b64 s[30:31], s[8:9]
; %bb.362:
	v_mov_b32_e32 v17, 0
	v_or_b32_e32 v19, 0x10000, v18
	v_cmp_eq_u32_sdwa s[8:9], v18, v17 src0_sel:WORD_0 src1_sel:DWORD
	v_cndmask_b32_e64 v17, v19, v18, s[8:9]
; %bb.363:
	s_or_b64 exec, exec, s[30:31]
	s_mov_b32 s8, 0x7060302
	v_perm_b32 v18, v17, v16, s8
	v_mov_b32_e32 v19, 0xffff8000
	v_cmp_lt_i32_e64 s[8:9], -1, v16
	v_cndmask_b32_e64 v16, -1, v19, s[8:9]
	v_cmp_lt_i32_e64 s[8:9], -1, v17
	v_cndmask_b32_e64 v17, -1, v19, s[8:9]
	s_mov_b32 s8, 0x5040100
	v_perm_b32 v16, v17, v16, s8
	v_xor_b32_e32 v16, v16, v18
	v_cmp_le_u16_sdwa s[8:9], v16, v16 src0_sel:DWORD src1_sel:WORD_1
	s_and_b64 s[30:31], s[8:9], exec
.LBB1956_364:
	s_or_b64 exec, exec, s[26:27]
	s_orn2_b64 s[26:27], s[30:31], exec
.LBB1956_365:
	s_or_b64 exec, exec, s[28:29]
	v_cndmask_b32_e64 v16, v14, v15, s[26:27]
	v_cndmask_b32_e64 v17, v31, v30, s[26:27]
	v_add_u32_e32 v18, 1, v16
	v_add_u32_e32 v17, -1, v17
	v_min_u32_e32 v17, v18, v17
	v_lshl_add_u32 v17, v17, 1, v12
	ds_read_u16 v17, v17
	v_lshl_add_u32 v16, v16, 3, v8
	ds_read_b64 v[26:27], v16 offset:4096
	v_cndmask_b32_e64 v16, v18, v14, s[26:27]
	v_cmp_lt_u32_e64 s[8:9], v16, v31
	s_waitcnt lgkmcnt(1)
	v_cndmask_b32_e64 v22, v17, v50, s[26:27]
	v_cndmask_b32_e64 v23, v51, v17, s[26:27]
	;; [unrolled: 1-line block ×3, first 2 shown]
	s_mov_b64 s[30:31], -1
	s_mov_b64 s[28:29], -1
	s_and_saveexec_b64 s[34:35], s[8:9]
	s_cbranch_execz .LBB1956_377
; %bb.366:
	v_cmp_lt_u32_e64 s[8:9], v17, v30
	s_mov_b64 s[36:37], 0
	s_and_saveexec_b64 s[28:29], s[8:9]
	s_cbranch_execz .LBB1956_376
; %bb.367:
	v_lshlrev_b32_e32 v14, 16, v22
	v_add_f32_e32 v15, 0, v14
	s_mov_b32 s8, 0x7f800000
	v_and_b32_e32 v14, 0x7f800000, v15
	v_cmp_ne_u32_e64 s[8:9], s8, v14
                                        ; implicit-def: $vgpr14
	s_and_saveexec_b64 s[36:37], s[8:9]
	s_xor_b64 s[8:9], exec, s[36:37]
; %bb.368:
	v_bfe_u32 v14, v15, 16, 1
	s_movk_i32 s36, 0x7fff
	v_add3_u32 v14, v15, v14, s36
                                        ; implicit-def: $vgpr15
; %bb.369:
	s_andn2_saveexec_b64 s[36:37], s[8:9]
; %bb.370:
	v_mov_b32_e32 v14, 0
	v_or_b32_e32 v18, 0x10000, v15
	v_cmp_eq_u32_sdwa s[8:9], v15, v14 src0_sel:WORD_0 src1_sel:DWORD
	v_cndmask_b32_e64 v14, v18, v15, s[8:9]
; %bb.371:
	s_or_b64 exec, exec, s[36:37]
	v_lshlrev_b32_e32 v15, 16, v23
	v_add_f32_e32 v18, 0, v15
	s_mov_b32 s8, 0x7f800000
	v_and_b32_e32 v15, 0x7f800000, v18
	v_cmp_ne_u32_e64 s[8:9], s8, v15
                                        ; implicit-def: $vgpr15
	s_and_saveexec_b64 s[36:37], s[8:9]
	s_xor_b64 s[8:9], exec, s[36:37]
; %bb.372:
	v_bfe_u32 v15, v18, 16, 1
	s_movk_i32 s36, 0x7fff
	v_add3_u32 v15, v18, v15, s36
                                        ; implicit-def: $vgpr18
; %bb.373:
	s_andn2_saveexec_b64 s[36:37], s[8:9]
; %bb.374:
	v_mov_b32_e32 v15, 0
	v_or_b32_e32 v19, 0x10000, v18
	v_cmp_eq_u32_sdwa s[8:9], v18, v15 src0_sel:WORD_0 src1_sel:DWORD
	v_cndmask_b32_e64 v15, v19, v18, s[8:9]
; %bb.375:
	s_or_b64 exec, exec, s[36:37]
	s_mov_b32 s8, 0x7060302
	v_perm_b32 v18, v15, v14, s8
	v_mov_b32_e32 v19, 0xffff8000
	v_cmp_lt_i32_e64 s[8:9], -1, v14
	v_cndmask_b32_e64 v14, -1, v19, s[8:9]
	v_cmp_lt_i32_e64 s[8:9], -1, v15
	v_cndmask_b32_e64 v15, -1, v19, s[8:9]
	s_mov_b32 s8, 0x5040100
	v_perm_b32 v14, v15, v14, s8
	v_xor_b32_e32 v14, v14, v18
	v_cmp_le_u16_sdwa s[8:9], v14, v14 src0_sel:DWORD src1_sel:WORD_1
	s_and_b64 s[36:37], s[8:9], exec
.LBB1956_376:
	s_or_b64 exec, exec, s[28:29]
	s_orn2_b64 s[28:29], s[36:37], exec
.LBB1956_377:
	s_or_b64 exec, exec, s[34:35]
	v_cndmask_b32_e64 v14, v16, v17, s[28:29]
	v_cndmask_b32_e64 v15, v31, v30, s[28:29]
	v_add_u32_e32 v18, 1, v14
	v_add_u32_e32 v15, -1, v15
	v_min_u32_e32 v15, v18, v15
	v_lshl_add_u32 v15, v15, 1, v12
	ds_read_u16 v19, v15
	v_lshl_add_u32 v14, v14, 3, v8
	ds_read_b64 v[14:15], v14 offset:4096
	v_cndmask_b32_e64 v16, v18, v16, s[28:29]
	v_cndmask_b32_e64 v17, v17, v18, s[28:29]
	s_waitcnt lgkmcnt(1)
	v_cndmask_b32_e64 v49, v19, v22, s[28:29]
	v_cndmask_b32_e64 v53, v23, v19, s[28:29]
	v_cmp_lt_u32_e64 s[8:9], v16, v31
	s_and_saveexec_b64 s[34:35], s[8:9]
	s_cbranch_execz .LBB1956_389
; %bb.378:
	v_cmp_lt_u32_e64 s[8:9], v17, v30
	s_mov_b64 s[36:37], 0
	s_and_saveexec_b64 s[30:31], s[8:9]
	s_cbranch_execz .LBB1956_388
; %bb.379:
	v_lshlrev_b32_e32 v18, 16, v49
	v_add_f32_e32 v19, 0, v18
	s_mov_b32 s8, 0x7f800000
	v_and_b32_e32 v18, 0x7f800000, v19
	v_cmp_ne_u32_e64 s[8:9], s8, v18
                                        ; implicit-def: $vgpr18
	s_and_saveexec_b64 s[36:37], s[8:9]
	s_xor_b64 s[8:9], exec, s[36:37]
; %bb.380:
	v_bfe_u32 v18, v19, 16, 1
	s_movk_i32 s36, 0x7fff
	v_add3_u32 v18, v19, v18, s36
                                        ; implicit-def: $vgpr19
; %bb.381:
	s_andn2_saveexec_b64 s[36:37], s[8:9]
; %bb.382:
	v_mov_b32_e32 v18, 0
	v_or_b32_e32 v28, 0x10000, v19
	v_cmp_eq_u32_sdwa s[8:9], v19, v18 src0_sel:WORD_0 src1_sel:DWORD
	v_cndmask_b32_e64 v18, v28, v19, s[8:9]
; %bb.383:
	s_or_b64 exec, exec, s[36:37]
	v_lshlrev_b32_e32 v19, 16, v53
	v_add_f32_e32 v28, 0, v19
	s_mov_b32 s8, 0x7f800000
	v_and_b32_e32 v19, 0x7f800000, v28
	v_cmp_ne_u32_e64 s[8:9], s8, v19
                                        ; implicit-def: $vgpr19
	s_and_saveexec_b64 s[36:37], s[8:9]
	s_xor_b64 s[8:9], exec, s[36:37]
; %bb.384:
	v_bfe_u32 v19, v28, 16, 1
	s_movk_i32 s36, 0x7fff
	v_add3_u32 v19, v28, v19, s36
                                        ; implicit-def: $vgpr28
; %bb.385:
	s_andn2_saveexec_b64 s[36:37], s[8:9]
; %bb.386:
	v_mov_b32_e32 v19, 0
	v_or_b32_e32 v29, 0x10000, v28
	v_cmp_eq_u32_sdwa s[8:9], v28, v19 src0_sel:WORD_0 src1_sel:DWORD
	v_cndmask_b32_e64 v19, v29, v28, s[8:9]
; %bb.387:
	s_or_b64 exec, exec, s[36:37]
	s_mov_b32 s8, 0x7060302
	v_perm_b32 v28, v19, v18, s8
	v_mov_b32_e32 v29, 0xffff8000
	v_cmp_lt_i32_e64 s[8:9], -1, v18
	v_cndmask_b32_e64 v18, -1, v29, s[8:9]
	v_cmp_lt_i32_e64 s[8:9], -1, v19
	v_cndmask_b32_e64 v19, -1, v29, s[8:9]
	s_mov_b32 s8, 0x5040100
	v_perm_b32 v18, v19, v18, s8
	v_xor_b32_e32 v18, v18, v28
	v_cmp_le_u16_sdwa s[8:9], v18, v18 src0_sel:DWORD src1_sel:WORD_1
	s_and_b64 s[36:37], s[8:9], exec
.LBB1956_388:
	s_or_b64 exec, exec, s[30:31]
	s_orn2_b64 s[30:31], s[36:37], exec
.LBB1956_389:
	s_or_b64 exec, exec, s[34:35]
	v_cndmask_b32_e64 v18, v16, v17, s[30:31]
	v_cndmask_b32_e64 v19, v31, v30, s[30:31]
	v_add_u32_e32 v52, 1, v18
	v_add_u32_e32 v19, -1, v19
	v_min_u32_e32 v19, v52, v19
	v_lshl_add_u32 v19, v19, 1, v12
	ds_read_u16 v19, v19
	v_lshl_add_u32 v18, v18, 3, v8
	ds_read_b64 v[28:29], v18 offset:4096
	v_cndmask_b32_e64 v16, v52, v16, s[30:31]
	v_cndmask_b32_e64 v17, v17, v52, s[30:31]
	s_waitcnt lgkmcnt(1)
	v_cndmask_b32_e64 v48, v19, v49, s[30:31]
	v_cndmask_b32_e64 v54, v53, v19, s[30:31]
	v_cmp_lt_u32_e64 s[8:9], v16, v31
	s_mov_b64 s[36:37], -1
	s_mov_b64 s[34:35], -1
	s_and_saveexec_b64 s[38:39], s[8:9]
	s_cbranch_execz .LBB1956_401
; %bb.390:
	v_cmp_lt_u32_e64 s[8:9], v17, v30
	s_mov_b64 s[40:41], 0
	s_and_saveexec_b64 s[34:35], s[8:9]
	s_cbranch_execz .LBB1956_400
; %bb.391:
	v_lshlrev_b32_e32 v18, 16, v48
	v_add_f32_e32 v19, 0, v18
	s_mov_b32 s8, 0x7f800000
	v_and_b32_e32 v18, 0x7f800000, v19
	v_cmp_ne_u32_e64 s[8:9], s8, v18
                                        ; implicit-def: $vgpr18
	s_and_saveexec_b64 s[40:41], s[8:9]
	s_xor_b64 s[8:9], exec, s[40:41]
; %bb.392:
	v_bfe_u32 v18, v19, 16, 1
	s_movk_i32 s40, 0x7fff
	v_add3_u32 v18, v19, v18, s40
                                        ; implicit-def: $vgpr19
; %bb.393:
	s_andn2_saveexec_b64 s[40:41], s[8:9]
; %bb.394:
	v_mov_b32_e32 v18, 0
	v_or_b32_e32 v52, 0x10000, v19
	v_cmp_eq_u32_sdwa s[8:9], v19, v18 src0_sel:WORD_0 src1_sel:DWORD
	v_cndmask_b32_e64 v18, v52, v19, s[8:9]
; %bb.395:
	s_or_b64 exec, exec, s[40:41]
	v_lshlrev_b32_e32 v19, 16, v54
	v_add_f32_e32 v52, 0, v19
	s_mov_b32 s8, 0x7f800000
	v_and_b32_e32 v19, 0x7f800000, v52
	v_cmp_ne_u32_e64 s[8:9], s8, v19
                                        ; implicit-def: $vgpr19
	s_and_saveexec_b64 s[40:41], s[8:9]
	s_xor_b64 s[8:9], exec, s[40:41]
; %bb.396:
	v_bfe_u32 v19, v52, 16, 1
	s_movk_i32 s40, 0x7fff
	v_add3_u32 v19, v52, v19, s40
                                        ; implicit-def: $vgpr52
; %bb.397:
	s_andn2_saveexec_b64 s[40:41], s[8:9]
; %bb.398:
	v_mov_b32_e32 v19, 0
	v_or_b32_e32 v55, 0x10000, v52
	v_cmp_eq_u32_sdwa s[8:9], v52, v19 src0_sel:WORD_0 src1_sel:DWORD
	v_cndmask_b32_e64 v19, v55, v52, s[8:9]
; %bb.399:
	s_or_b64 exec, exec, s[40:41]
	s_mov_b32 s8, 0x7060302
	v_perm_b32 v52, v19, v18, s8
	v_mov_b32_e32 v55, 0xffff8000
	v_cmp_lt_i32_e64 s[8:9], -1, v18
	v_cndmask_b32_e64 v18, -1, v55, s[8:9]
	v_cmp_lt_i32_e64 s[8:9], -1, v19
	v_cndmask_b32_e64 v19, -1, v55, s[8:9]
	s_mov_b32 s8, 0x5040100
	v_perm_b32 v18, v19, v18, s8
	v_xor_b32_e32 v18, v18, v52
	v_cmp_le_u16_sdwa s[8:9], v18, v18 src0_sel:DWORD src1_sel:WORD_1
	s_and_b64 s[40:41], s[8:9], exec
.LBB1956_400:
	s_or_b64 exec, exec, s[34:35]
	s_orn2_b64 s[34:35], s[40:41], exec
.LBB1956_401:
	s_or_b64 exec, exec, s[38:39]
	v_cndmask_b32_e64 v18, v16, v17, s[34:35]
	v_cndmask_b32_e64 v19, v31, v30, s[34:35]
	v_add_u32_e32 v64, 1, v18
	v_add_u32_e32 v19, -1, v19
	v_min_u32_e32 v19, v64, v19
	v_lshl_add_u32 v19, v19, 1, v12
	ds_read_u16 v55, v19
	v_lshl_add_u32 v18, v18, 3, v8
	ds_read_b64 v[18:19], v18 offset:4096
	v_cndmask_b32_e64 v66, v64, v16, s[34:35]
	v_cndmask_b32_e64 v67, v17, v64, s[34:35]
	s_waitcnt lgkmcnt(1)
	v_cndmask_b32_e64 v52, v55, v48, s[34:35]
	v_cndmask_b32_e64 v55, v54, v55, s[34:35]
	v_cmp_lt_u32_e64 s[8:9], v66, v31
	s_and_saveexec_b64 s[38:39], s[8:9]
	s_cbranch_execz .LBB1956_413
; %bb.402:
	v_cmp_lt_u32_e64 s[8:9], v67, v30
	s_mov_b64 s[40:41], 0
	s_and_saveexec_b64 s[36:37], s[8:9]
	s_cbranch_execz .LBB1956_412
; %bb.403:
	v_lshlrev_b32_e32 v16, 16, v52
	v_add_f32_e32 v17, 0, v16
	s_mov_b32 s8, 0x7f800000
	v_and_b32_e32 v16, 0x7f800000, v17
	v_cmp_ne_u32_e64 s[8:9], s8, v16
                                        ; implicit-def: $vgpr16
	s_and_saveexec_b64 s[40:41], s[8:9]
	s_xor_b64 s[8:9], exec, s[40:41]
; %bb.404:
	v_bfe_u32 v16, v17, 16, 1
	s_movk_i32 s40, 0x7fff
	v_add3_u32 v16, v17, v16, s40
                                        ; implicit-def: $vgpr17
; %bb.405:
	s_andn2_saveexec_b64 s[40:41], s[8:9]
; %bb.406:
	v_mov_b32_e32 v16, 0
	v_or_b32_e32 v64, 0x10000, v17
	v_cmp_eq_u32_sdwa s[8:9], v17, v16 src0_sel:WORD_0 src1_sel:DWORD
	v_cndmask_b32_e64 v16, v64, v17, s[8:9]
; %bb.407:
	s_or_b64 exec, exec, s[40:41]
	v_lshlrev_b32_e32 v17, 16, v55
	v_add_f32_e32 v64, 0, v17
	s_mov_b32 s8, 0x7f800000
	v_and_b32_e32 v17, 0x7f800000, v64
	v_cmp_ne_u32_e64 s[8:9], s8, v17
                                        ; implicit-def: $vgpr17
	s_and_saveexec_b64 s[40:41], s[8:9]
	s_xor_b64 s[8:9], exec, s[40:41]
; %bb.408:
	v_bfe_u32 v17, v64, 16, 1
	s_movk_i32 s40, 0x7fff
	v_add3_u32 v17, v64, v17, s40
                                        ; implicit-def: $vgpr64
; %bb.409:
	s_andn2_saveexec_b64 s[40:41], s[8:9]
; %bb.410:
	v_mov_b32_e32 v17, 0
	v_or_b32_e32 v65, 0x10000, v64
	v_cmp_eq_u32_sdwa s[8:9], v64, v17 src0_sel:WORD_0 src1_sel:DWORD
	v_cndmask_b32_e64 v17, v65, v64, s[8:9]
; %bb.411:
	s_or_b64 exec, exec, s[40:41]
	s_mov_b32 s8, 0x7060302
	v_perm_b32 v64, v17, v16, s8
	v_mov_b32_e32 v65, 0xffff8000
	v_cmp_lt_i32_e64 s[8:9], -1, v16
	v_cndmask_b32_e64 v16, -1, v65, s[8:9]
	v_cmp_lt_i32_e64 s[8:9], -1, v17
	v_cndmask_b32_e64 v17, -1, v65, s[8:9]
	s_mov_b32 s8, 0x5040100
	v_perm_b32 v16, v17, v16, s8
	v_xor_b32_e32 v16, v16, v64
	v_cmp_le_u16_sdwa s[8:9], v16, v16 src0_sel:DWORD src1_sel:WORD_1
	s_and_b64 s[40:41], s[8:9], exec
.LBB1956_412:
	s_or_b64 exec, exec, s[36:37]
	s_orn2_b64 s[36:37], s[40:41], exec
.LBB1956_413:
	s_or_b64 exec, exec, s[38:39]
	v_cndmask_b32_e64 v16, v66, v67, s[36:37]
	v_cndmask_b32_e64 v17, v31, v30, s[36:37]
	v_add_u32_e32 v68, 1, v16
	v_add_u32_e32 v17, -1, v17
	v_min_u32_e32 v17, v68, v17
	v_lshl_add_u32 v17, v17, 1, v12
	ds_read_u16 v65, v17
	v_lshl_add_u32 v16, v16, 3, v8
	ds_read_b64 v[16:17], v16 offset:4096
	v_cndmask_b32_e64 v66, v68, v66, s[36:37]
	v_cndmask_b32_e64 v67, v67, v68, s[36:37]
	s_waitcnt lgkmcnt(1)
	v_cndmask_b32_e64 v64, v65, v52, s[36:37]
	v_cndmask_b32_e64 v65, v55, v65, s[36:37]
	v_cmp_lt_u32_e64 s[8:9], v66, v31
	s_mov_b64 s[40:41], -1
	s_and_saveexec_b64 s[38:39], s[8:9]
	s_cbranch_execz .LBB1956_425
; %bb.414:
	v_cmp_lt_u32_e64 s[8:9], v67, v30
	s_mov_b64 s[42:43], 0
	s_and_saveexec_b64 s[40:41], s[8:9]
	s_cbranch_execz .LBB1956_424
; %bb.415:
	v_lshlrev_b32_e32 v30, 16, v64
	v_add_f32_e32 v31, 0, v30
	s_mov_b32 s8, 0x7f800000
	v_and_b32_e32 v30, 0x7f800000, v31
	v_cmp_ne_u32_e64 s[8:9], s8, v30
                                        ; implicit-def: $vgpr30
	s_and_saveexec_b64 s[42:43], s[8:9]
	s_xor_b64 s[8:9], exec, s[42:43]
; %bb.416:
	v_bfe_u32 v30, v31, 16, 1
	s_movk_i32 s42, 0x7fff
	v_add3_u32 v30, v31, v30, s42
                                        ; implicit-def: $vgpr31
; %bb.417:
	s_andn2_saveexec_b64 s[42:43], s[8:9]
; %bb.418:
	v_mov_b32_e32 v30, 0
	v_or_b32_e32 v68, 0x10000, v31
	v_cmp_eq_u32_sdwa s[8:9], v31, v30 src0_sel:WORD_0 src1_sel:DWORD
	v_cndmask_b32_e64 v30, v68, v31, s[8:9]
; %bb.419:
	s_or_b64 exec, exec, s[42:43]
	v_lshlrev_b32_e32 v31, 16, v65
	v_add_f32_e32 v68, 0, v31
	s_mov_b32 s8, 0x7f800000
	v_and_b32_e32 v31, 0x7f800000, v68
	v_cmp_ne_u32_e64 s[8:9], s8, v31
                                        ; implicit-def: $vgpr31
	s_and_saveexec_b64 s[42:43], s[8:9]
	s_xor_b64 s[8:9], exec, s[42:43]
; %bb.420:
	v_bfe_u32 v31, v68, 16, 1
	s_movk_i32 s42, 0x7fff
	v_add3_u32 v31, v68, v31, s42
                                        ; implicit-def: $vgpr68
; %bb.421:
	s_andn2_saveexec_b64 s[42:43], s[8:9]
; %bb.422:
	v_mov_b32_e32 v31, 0
	v_or_b32_e32 v69, 0x10000, v68
	v_cmp_eq_u32_sdwa s[8:9], v68, v31 src0_sel:WORD_0 src1_sel:DWORD
	v_cndmask_b32_e64 v31, v69, v68, s[8:9]
; %bb.423:
	s_or_b64 exec, exec, s[42:43]
	s_mov_b32 s8, 0x7060302
	v_perm_b32 v68, v31, v30, s8
	v_mov_b32_e32 v69, 0xffff8000
	v_cmp_lt_i32_e64 s[8:9], -1, v30
	v_cndmask_b32_e64 v30, -1, v69, s[8:9]
	v_cmp_lt_i32_e64 s[8:9], -1, v31
	v_cndmask_b32_e64 v31, -1, v69, s[8:9]
	s_mov_b32 s8, 0x5040100
	v_perm_b32 v30, v31, v30, s8
	v_xor_b32_e32 v30, v30, v68
	v_cmp_le_u16_sdwa s[8:9], v30, v30 src0_sel:DWORD src1_sel:WORD_1
	s_and_b64 s[42:43], s[8:9], exec
.LBB1956_424:
	s_or_b64 exec, exec, s[40:41]
	s_orn2_b64 s[40:41], s[42:43], exec
.LBB1956_425:
	s_or_b64 exec, exec, s[38:39]
	v_cndmask_b32_e64 v49, v49, v53, s[30:31]
	v_cndmask_b32_e64 v53, v22, v23, s[28:29]
	;; [unrolled: 1-line block ×3, first 2 shown]
	v_lshl_add_u32 v22, v22, 3, v8
	ds_read_b64 v[22:23], v22 offset:4096
	v_cndmask_b32_e64 v52, v52, v55, s[36:37]
	v_cndmask_b32_e64 v48, v48, v54, s[34:35]
	;; [unrolled: 1-line block ×6, first 2 shown]
.LBB1956_426:
	s_or_b64 exec, exec, s[22:23]
	v_add_u32_e32 v30, 0x1000, v21
	s_mov_b32 s26, 0x5040100
	; wave barrier
	ds_write2_b64 v30, v[4:5], v[10:11] offset1:1
	ds_write2_b64 v9, v[26:27], v[14:15] offset0:2 offset1:3
	ds_write2_b64 v9, v[28:29], v[18:19] offset0:4 offset1:5
	v_perm_b32 v31, v39, v52, s26
	v_perm_b32 v30, v48, v49, s26
	v_perm_b32 v33, v53, v51, s26
	v_perm_b32 v32, v50, v38, s26
	ds_write2_b64 v20, v[32:33], v[30:31] offset1:1
	s_waitcnt lgkmcnt(4)
	ds_write2_b64 v9, v[16:17], v[22:23] offset0:6 offset1:7
	v_and_b32_e32 v32, 0x3e0, v37
	v_or_b32_e32 v30, 16, v32
	v_min_u32_e32 v30, v13, v30
	v_add_u32_e32 v31, 16, v30
	v_min_u32_e32 v31, v13, v31
	v_and_b32_e32 v33, 24, v37
	v_min_u32_e32 v55, v13, v33
	v_sub_u32_e32 v54, v30, v32
	v_sub_u32_e32 v64, v31, v30
	v_sub_u32_e64 v64, v55, v64 clamp
	v_min_u32_e32 v54, v55, v54
	v_lshl_add_u32 v33, v32, 1, v12
	v_cmp_lt_u32_e64 s[8:9], v64, v54
	; wave barrier
	s_and_saveexec_b64 s[12:13], s[8:9]
	s_cbranch_execz .LBB1956_438
; %bb.427:
	v_lshlrev_b32_e32 v65, 1, v30
	v_lshlrev_b32_e32 v66, 1, v55
	v_add3_u32 v65, v12, v65, v66
	s_mov_b64 s[22:23], 0
	s_mov_b32 s27, 0x7f800000
	s_movk_i32 s28, 0x7fff
	s_mov_b32 s29, 0x7060302
	v_mov_b32_e32 v66, 0
	v_mov_b32_e32 v67, 0xffff8000
	s_branch .LBB1956_429
.LBB1956_428:                           ;   in Loop: Header=BB1956_429 Depth=1
	s_or_b64 exec, exec, s[24:25]
	v_cmp_lt_i32_e64 s[8:9], -1, v69
	v_perm_b32 v71, v70, v69, s29
	v_cndmask_b32_e64 v69, -1, v67, s[8:9]
	v_cmp_lt_i32_e64 s[8:9], -1, v70
	v_cndmask_b32_e64 v70, -1, v67, s[8:9]
	v_perm_b32 v69, v70, v69, s26
	v_xor_b32_e32 v69, v69, v71
	v_add_u32_e32 v70, 1, v68
	v_cmp_gt_u16_sdwa s[8:9], v69, v69 src0_sel:DWORD src1_sel:WORD_1
	v_cndmask_b32_e64 v54, v54, v68, s[8:9]
	v_cndmask_b32_e64 v64, v70, v64, s[8:9]
	v_cmp_ge_u32_e64 s[8:9], v64, v54
	s_or_b64 s[22:23], s[8:9], s[22:23]
	s_andn2_b64 exec, exec, s[22:23]
	s_cbranch_execz .LBB1956_437
.LBB1956_429:                           ; =>This Inner Loop Header: Depth=1
	v_add_u32_e32 v69, v54, v64
	v_lshrrev_b32_e32 v68, 1, v69
	v_not_b32_e32 v70, v68
	v_lshl_add_u32 v70, v70, 1, v65
	ds_read_u16 v71, v70
	v_and_b32_e32 v69, -2, v69
	v_add_u32_e32 v69, v33, v69
	ds_read_u16 v70, v69
	s_waitcnt lgkmcnt(1)
	v_lshlrev_b32_e32 v69, 16, v71
	v_add_f32_e32 v71, 0, v69
	v_and_b32_e32 v69, 0x7f800000, v71
	v_cmp_ne_u32_e64 s[8:9], s27, v69
                                        ; implicit-def: $vgpr69
	s_and_saveexec_b64 s[24:25], s[8:9]
	s_xor_b64 s[8:9], exec, s[24:25]
; %bb.430:                              ;   in Loop: Header=BB1956_429 Depth=1
	v_bfe_u32 v69, v71, 16, 1
	v_add3_u32 v69, v71, v69, s28
                                        ; implicit-def: $vgpr71
; %bb.431:                              ;   in Loop: Header=BB1956_429 Depth=1
	s_andn2_saveexec_b64 s[24:25], s[8:9]
; %bb.432:                              ;   in Loop: Header=BB1956_429 Depth=1
	v_or_b32_e32 v69, 0x10000, v71
	v_cmp_eq_u32_sdwa s[8:9], v71, v66 src0_sel:WORD_0 src1_sel:DWORD
	v_cndmask_b32_e64 v69, v69, v71, s[8:9]
; %bb.433:                              ;   in Loop: Header=BB1956_429 Depth=1
	s_or_b64 exec, exec, s[24:25]
	s_waitcnt lgkmcnt(0)
	v_lshlrev_b32_e32 v70, 16, v70
	v_add_f32_e32 v71, 0, v70
	v_and_b32_e32 v70, 0x7f800000, v71
	v_cmp_ne_u32_e64 s[8:9], s27, v70
                                        ; implicit-def: $vgpr70
	s_and_saveexec_b64 s[24:25], s[8:9]
	s_xor_b64 s[8:9], exec, s[24:25]
; %bb.434:                              ;   in Loop: Header=BB1956_429 Depth=1
	v_bfe_u32 v70, v71, 16, 1
	v_add3_u32 v70, v71, v70, s28
                                        ; implicit-def: $vgpr71
; %bb.435:                              ;   in Loop: Header=BB1956_429 Depth=1
	s_andn2_saveexec_b64 s[24:25], s[8:9]
	s_cbranch_execz .LBB1956_428
; %bb.436:                              ;   in Loop: Header=BB1956_429 Depth=1
	v_or_b32_e32 v70, 0x10000, v71
	v_cmp_eq_u32_sdwa s[8:9], v71, v66 src0_sel:WORD_0 src1_sel:DWORD
	v_cndmask_b32_e64 v70, v70, v71, s[8:9]
	s_branch .LBB1956_428
.LBB1956_437:
	s_or_b64 exec, exec, s[22:23]
.LBB1956_438:
	s_or_b64 exec, exec, s[12:13]
	v_add_u32_e32 v54, v64, v32
	v_add_u32_e32 v32, v30, v55
	v_sub_u32_e32 v55, v32, v64
	v_cmp_le_u32_e64 s[8:9], v54, v30
	v_cmp_le_u32_e64 s[12:13], v55, v31
	s_or_b64 s[8:9], s[8:9], s[12:13]
	s_and_saveexec_b64 s[22:23], s[8:9]
	s_cbranch_execz .LBB1956_538
; %bb.439:
	v_cmp_ge_u32_e64 s[8:9], v54, v30
	v_cmp_lt_u32_e64 s[12:13], v54, v30
                                        ; implicit-def: $vgpr32
	s_and_saveexec_b64 s[24:25], s[12:13]
	s_cbranch_execz .LBB1956_441
; %bb.440:
	v_lshl_add_u32 v4, v64, 1, v33
	ds_read_u16 v32, v4
.LBB1956_441:
	s_or_b64 exec, exec, s[24:25]
	v_cmp_ge_u32_e64 s[24:25], v55, v31
	v_cmp_lt_u32_e64 s[12:13], v55, v31
                                        ; implicit-def: $vgpr33
	s_and_saveexec_b64 s[26:27], s[12:13]
	s_cbranch_execz .LBB1956_443
; %bb.442:
	v_lshl_add_u32 v4, v55, 1, v12
	ds_read_u16 v33, v4
.LBB1956_443:
	s_or_b64 exec, exec, s[26:27]
	s_or_b64 s[8:9], s[8:9], s[24:25]
	s_xor_b64 s[8:9], s[8:9], -1
	s_and_saveexec_b64 s[12:13], s[8:9]
	s_cbranch_execz .LBB1956_453
; %bb.444:
	s_waitcnt lgkmcnt(0)
	v_lshlrev_b32_e32 v4, 16, v33
	v_add_f32_e32 v5, 0, v4
	s_mov_b32 s8, 0x7f800000
	v_and_b32_e32 v4, 0x7f800000, v5
	v_cmp_ne_u32_e64 s[8:9], s8, v4
                                        ; implicit-def: $vgpr4
	s_and_saveexec_b64 s[26:27], s[8:9]
	s_xor_b64 s[8:9], exec, s[26:27]
; %bb.445:
	v_bfe_u32 v4, v5, 16, 1
	s_movk_i32 s26, 0x7fff
	v_add3_u32 v4, v5, v4, s26
                                        ; implicit-def: $vgpr5
; %bb.446:
	s_andn2_saveexec_b64 s[26:27], s[8:9]
; %bb.447:
	v_mov_b32_e32 v4, 0
	v_or_b32_e32 v10, 0x10000, v5
	v_cmp_eq_u32_sdwa s[8:9], v5, v4 src0_sel:WORD_0 src1_sel:DWORD
	v_cndmask_b32_e64 v4, v10, v5, s[8:9]
; %bb.448:
	s_or_b64 exec, exec, s[26:27]
	v_lshlrev_b32_e32 v5, 16, v32
	v_add_f32_e32 v10, 0, v5
	s_mov_b32 s8, 0x7f800000
	v_and_b32_e32 v5, 0x7f800000, v10
	v_cmp_ne_u32_e64 s[8:9], s8, v5
                                        ; implicit-def: $vgpr5
	s_and_saveexec_b64 s[26:27], s[8:9]
	s_xor_b64 s[8:9], exec, s[26:27]
; %bb.449:
	v_bfe_u32 v5, v10, 16, 1
	s_movk_i32 s26, 0x7fff
	v_add3_u32 v5, v10, v5, s26
                                        ; implicit-def: $vgpr10
; %bb.450:
	s_andn2_saveexec_b64 s[26:27], s[8:9]
; %bb.451:
	v_mov_b32_e32 v5, 0
	v_or_b32_e32 v11, 0x10000, v10
	v_cmp_eq_u32_sdwa s[8:9], v10, v5 src0_sel:WORD_0 src1_sel:DWORD
	v_cndmask_b32_e64 v5, v11, v10, s[8:9]
; %bb.452:
	s_or_b64 exec, exec, s[26:27]
	s_mov_b32 s8, 0x7060302
	v_perm_b32 v10, v5, v4, s8
	v_mov_b32_e32 v11, 0xffff8000
	v_cmp_lt_i32_e64 s[8:9], -1, v4
	v_cndmask_b32_e64 v4, -1, v11, s[8:9]
	v_cmp_lt_i32_e64 s[8:9], -1, v5
	v_cndmask_b32_e64 v5, -1, v11, s[8:9]
	s_mov_b32 s8, 0x5040100
	v_perm_b32 v4, v5, v4, s8
	v_xor_b32_e32 v4, v4, v10
	v_cmp_le_u16_sdwa s[8:9], v4, v4 src0_sel:DWORD src1_sel:WORD_1
	s_andn2_b64 s[24:25], s[24:25], exec
	s_and_b64 s[8:9], s[8:9], exec
	s_or_b64 s[24:25], s[24:25], s[8:9]
.LBB1956_453:
	s_or_b64 exec, exec, s[12:13]
	v_cndmask_b32_e64 v4, v55, v54, s[24:25]
	v_cndmask_b32_e64 v5, v31, v30, s[24:25]
	v_add_u32_e32 v10, 1, v4
	v_add_u32_e32 v5, -1, v5
	v_min_u32_e32 v5, v10, v5
	v_lshl_add_u32 v5, v5, 1, v12
	ds_read_u16 v11, v5
	v_lshl_add_u32 v4, v4, 3, v8
	ds_read_b64 v[4:5], v4 offset:4096
	v_cndmask_b32_e64 v14, v10, v55, s[24:25]
	v_cndmask_b32_e64 v15, v54, v10, s[24:25]
	s_waitcnt lgkmcnt(1)
	v_cndmask_b32_e64 v38, v11, v33, s[24:25]
	v_cndmask_b32_e64 v39, v32, v11, s[24:25]
	v_cmp_lt_u32_e64 s[8:9], v14, v31
	s_mov_b64 s[26:27], -1
	s_mov_b64 s[12:13], -1
	s_and_saveexec_b64 s[28:29], s[8:9]
	s_cbranch_execz .LBB1956_465
; %bb.454:
	v_cmp_lt_u32_e64 s[8:9], v15, v30
	s_mov_b64 s[30:31], 0
	s_and_saveexec_b64 s[12:13], s[8:9]
	s_cbranch_execz .LBB1956_464
; %bb.455:
	v_lshlrev_b32_e32 v10, 16, v38
	v_add_f32_e32 v11, 0, v10
	s_mov_b32 s8, 0x7f800000
	v_and_b32_e32 v10, 0x7f800000, v11
	v_cmp_ne_u32_e64 s[8:9], s8, v10
                                        ; implicit-def: $vgpr10
	s_and_saveexec_b64 s[30:31], s[8:9]
	s_xor_b64 s[8:9], exec, s[30:31]
; %bb.456:
	v_bfe_u32 v10, v11, 16, 1
	s_movk_i32 s30, 0x7fff
	v_add3_u32 v10, v11, v10, s30
                                        ; implicit-def: $vgpr11
; %bb.457:
	s_andn2_saveexec_b64 s[30:31], s[8:9]
; %bb.458:
	v_mov_b32_e32 v10, 0
	v_or_b32_e32 v16, 0x10000, v11
	v_cmp_eq_u32_sdwa s[8:9], v11, v10 src0_sel:WORD_0 src1_sel:DWORD
	v_cndmask_b32_e64 v10, v16, v11, s[8:9]
; %bb.459:
	s_or_b64 exec, exec, s[30:31]
	v_lshlrev_b32_e32 v11, 16, v39
	v_add_f32_e32 v16, 0, v11
	s_mov_b32 s8, 0x7f800000
	v_and_b32_e32 v11, 0x7f800000, v16
	v_cmp_ne_u32_e64 s[8:9], s8, v11
                                        ; implicit-def: $vgpr11
	s_and_saveexec_b64 s[30:31], s[8:9]
	s_xor_b64 s[8:9], exec, s[30:31]
; %bb.460:
	v_bfe_u32 v11, v16, 16, 1
	s_movk_i32 s30, 0x7fff
	v_add3_u32 v11, v16, v11, s30
                                        ; implicit-def: $vgpr16
; %bb.461:
	s_andn2_saveexec_b64 s[30:31], s[8:9]
; %bb.462:
	v_mov_b32_e32 v11, 0
	v_or_b32_e32 v17, 0x10000, v16
	v_cmp_eq_u32_sdwa s[8:9], v16, v11 src0_sel:WORD_0 src1_sel:DWORD
	v_cndmask_b32_e64 v11, v17, v16, s[8:9]
; %bb.463:
	s_or_b64 exec, exec, s[30:31]
	s_mov_b32 s8, 0x7060302
	v_perm_b32 v16, v11, v10, s8
	v_mov_b32_e32 v17, 0xffff8000
	v_cmp_lt_i32_e64 s[8:9], -1, v10
	v_cndmask_b32_e64 v10, -1, v17, s[8:9]
	v_cmp_lt_i32_e64 s[8:9], -1, v11
	v_cndmask_b32_e64 v11, -1, v17, s[8:9]
	s_mov_b32 s8, 0x5040100
	v_perm_b32 v10, v11, v10, s8
	v_xor_b32_e32 v10, v10, v16
	v_cmp_le_u16_sdwa s[8:9], v10, v10 src0_sel:DWORD src1_sel:WORD_1
	s_and_b64 s[30:31], s[8:9], exec
.LBB1956_464:
	s_or_b64 exec, exec, s[12:13]
	s_orn2_b64 s[12:13], s[30:31], exec
.LBB1956_465:
	s_or_b64 exec, exec, s[28:29]
	v_cndmask_b32_e64 v10, v14, v15, s[12:13]
	v_cndmask_b32_e64 v11, v31, v30, s[12:13]
	v_add_u32_e32 v16, 1, v10
	v_add_u32_e32 v11, -1, v11
	v_min_u32_e32 v11, v16, v11
	v_lshl_add_u32 v11, v11, 1, v12
	ds_read_u16 v17, v11
	v_lshl_add_u32 v10, v10, 3, v8
	ds_read_b64 v[10:11], v10 offset:4096
	v_cndmask_b32_e64 v14, v16, v14, s[12:13]
	v_cndmask_b32_e64 v15, v15, v16, s[12:13]
	s_waitcnt lgkmcnt(1)
	v_cndmask_b32_e64 v50, v17, v38, s[12:13]
	v_cndmask_b32_e64 v51, v39, v17, s[12:13]
	v_cmp_lt_u32_e64 s[8:9], v14, v31
	s_and_saveexec_b64 s[28:29], s[8:9]
	s_cbranch_execz .LBB1956_477
; %bb.466:
	v_cmp_lt_u32_e64 s[8:9], v15, v30
	s_mov_b64 s[30:31], 0
	s_and_saveexec_b64 s[26:27], s[8:9]
	s_cbranch_execz .LBB1956_476
; %bb.467:
	v_lshlrev_b32_e32 v16, 16, v50
	v_add_f32_e32 v17, 0, v16
	s_mov_b32 s8, 0x7f800000
	v_and_b32_e32 v16, 0x7f800000, v17
	v_cmp_ne_u32_e64 s[8:9], s8, v16
                                        ; implicit-def: $vgpr16
	s_and_saveexec_b64 s[30:31], s[8:9]
	s_xor_b64 s[8:9], exec, s[30:31]
; %bb.468:
	v_bfe_u32 v16, v17, 16, 1
	s_movk_i32 s30, 0x7fff
	v_add3_u32 v16, v17, v16, s30
                                        ; implicit-def: $vgpr17
; %bb.469:
	s_andn2_saveexec_b64 s[30:31], s[8:9]
; %bb.470:
	v_mov_b32_e32 v16, 0
	v_or_b32_e32 v18, 0x10000, v17
	v_cmp_eq_u32_sdwa s[8:9], v17, v16 src0_sel:WORD_0 src1_sel:DWORD
	v_cndmask_b32_e64 v16, v18, v17, s[8:9]
; %bb.471:
	s_or_b64 exec, exec, s[30:31]
	v_lshlrev_b32_e32 v17, 16, v51
	v_add_f32_e32 v18, 0, v17
	s_mov_b32 s8, 0x7f800000
	v_and_b32_e32 v17, 0x7f800000, v18
	v_cmp_ne_u32_e64 s[8:9], s8, v17
                                        ; implicit-def: $vgpr17
	s_and_saveexec_b64 s[30:31], s[8:9]
	s_xor_b64 s[8:9], exec, s[30:31]
; %bb.472:
	v_bfe_u32 v17, v18, 16, 1
	s_movk_i32 s30, 0x7fff
	v_add3_u32 v17, v18, v17, s30
                                        ; implicit-def: $vgpr18
; %bb.473:
	s_andn2_saveexec_b64 s[30:31], s[8:9]
; %bb.474:
	v_mov_b32_e32 v17, 0
	v_or_b32_e32 v19, 0x10000, v18
	v_cmp_eq_u32_sdwa s[8:9], v18, v17 src0_sel:WORD_0 src1_sel:DWORD
	v_cndmask_b32_e64 v17, v19, v18, s[8:9]
; %bb.475:
	s_or_b64 exec, exec, s[30:31]
	s_mov_b32 s8, 0x7060302
	v_perm_b32 v18, v17, v16, s8
	v_mov_b32_e32 v19, 0xffff8000
	v_cmp_lt_i32_e64 s[8:9], -1, v16
	v_cndmask_b32_e64 v16, -1, v19, s[8:9]
	v_cmp_lt_i32_e64 s[8:9], -1, v17
	v_cndmask_b32_e64 v17, -1, v19, s[8:9]
	s_mov_b32 s8, 0x5040100
	v_perm_b32 v16, v17, v16, s8
	v_xor_b32_e32 v16, v16, v18
	v_cmp_le_u16_sdwa s[8:9], v16, v16 src0_sel:DWORD src1_sel:WORD_1
	s_and_b64 s[30:31], s[8:9], exec
.LBB1956_476:
	s_or_b64 exec, exec, s[26:27]
	s_orn2_b64 s[26:27], s[30:31], exec
.LBB1956_477:
	s_or_b64 exec, exec, s[28:29]
	v_cndmask_b32_e64 v16, v14, v15, s[26:27]
	v_cndmask_b32_e64 v17, v31, v30, s[26:27]
	v_add_u32_e32 v18, 1, v16
	v_add_u32_e32 v17, -1, v17
	v_min_u32_e32 v17, v18, v17
	v_lshl_add_u32 v17, v17, 1, v12
	ds_read_u16 v17, v17
	v_lshl_add_u32 v16, v16, 3, v8
	ds_read_b64 v[26:27], v16 offset:4096
	v_cndmask_b32_e64 v16, v18, v14, s[26:27]
	v_cmp_lt_u32_e64 s[8:9], v16, v31
	s_waitcnt lgkmcnt(1)
	v_cndmask_b32_e64 v22, v17, v50, s[26:27]
	v_cndmask_b32_e64 v23, v51, v17, s[26:27]
	;; [unrolled: 1-line block ×3, first 2 shown]
	s_mov_b64 s[30:31], -1
	s_mov_b64 s[28:29], -1
	s_and_saveexec_b64 s[34:35], s[8:9]
	s_cbranch_execz .LBB1956_489
; %bb.478:
	v_cmp_lt_u32_e64 s[8:9], v17, v30
	s_mov_b64 s[36:37], 0
	s_and_saveexec_b64 s[28:29], s[8:9]
	s_cbranch_execz .LBB1956_488
; %bb.479:
	v_lshlrev_b32_e32 v14, 16, v22
	v_add_f32_e32 v15, 0, v14
	s_mov_b32 s8, 0x7f800000
	v_and_b32_e32 v14, 0x7f800000, v15
	v_cmp_ne_u32_e64 s[8:9], s8, v14
                                        ; implicit-def: $vgpr14
	s_and_saveexec_b64 s[36:37], s[8:9]
	s_xor_b64 s[8:9], exec, s[36:37]
; %bb.480:
	v_bfe_u32 v14, v15, 16, 1
	s_movk_i32 s36, 0x7fff
	v_add3_u32 v14, v15, v14, s36
                                        ; implicit-def: $vgpr15
; %bb.481:
	s_andn2_saveexec_b64 s[36:37], s[8:9]
; %bb.482:
	v_mov_b32_e32 v14, 0
	v_or_b32_e32 v18, 0x10000, v15
	v_cmp_eq_u32_sdwa s[8:9], v15, v14 src0_sel:WORD_0 src1_sel:DWORD
	v_cndmask_b32_e64 v14, v18, v15, s[8:9]
; %bb.483:
	s_or_b64 exec, exec, s[36:37]
	v_lshlrev_b32_e32 v15, 16, v23
	v_add_f32_e32 v18, 0, v15
	s_mov_b32 s8, 0x7f800000
	v_and_b32_e32 v15, 0x7f800000, v18
	v_cmp_ne_u32_e64 s[8:9], s8, v15
                                        ; implicit-def: $vgpr15
	s_and_saveexec_b64 s[36:37], s[8:9]
	s_xor_b64 s[8:9], exec, s[36:37]
; %bb.484:
	v_bfe_u32 v15, v18, 16, 1
	s_movk_i32 s36, 0x7fff
	v_add3_u32 v15, v18, v15, s36
                                        ; implicit-def: $vgpr18
; %bb.485:
	s_andn2_saveexec_b64 s[36:37], s[8:9]
; %bb.486:
	v_mov_b32_e32 v15, 0
	v_or_b32_e32 v19, 0x10000, v18
	v_cmp_eq_u32_sdwa s[8:9], v18, v15 src0_sel:WORD_0 src1_sel:DWORD
	v_cndmask_b32_e64 v15, v19, v18, s[8:9]
; %bb.487:
	s_or_b64 exec, exec, s[36:37]
	s_mov_b32 s8, 0x7060302
	v_perm_b32 v18, v15, v14, s8
	v_mov_b32_e32 v19, 0xffff8000
	v_cmp_lt_i32_e64 s[8:9], -1, v14
	v_cndmask_b32_e64 v14, -1, v19, s[8:9]
	v_cmp_lt_i32_e64 s[8:9], -1, v15
	v_cndmask_b32_e64 v15, -1, v19, s[8:9]
	s_mov_b32 s8, 0x5040100
	v_perm_b32 v14, v15, v14, s8
	v_xor_b32_e32 v14, v14, v18
	v_cmp_le_u16_sdwa s[8:9], v14, v14 src0_sel:DWORD src1_sel:WORD_1
	s_and_b64 s[36:37], s[8:9], exec
.LBB1956_488:
	s_or_b64 exec, exec, s[28:29]
	s_orn2_b64 s[28:29], s[36:37], exec
.LBB1956_489:
	s_or_b64 exec, exec, s[34:35]
	v_cndmask_b32_e64 v14, v16, v17, s[28:29]
	v_cndmask_b32_e64 v15, v31, v30, s[28:29]
	v_add_u32_e32 v18, 1, v14
	v_add_u32_e32 v15, -1, v15
	v_min_u32_e32 v15, v18, v15
	v_lshl_add_u32 v15, v15, 1, v12
	ds_read_u16 v19, v15
	v_lshl_add_u32 v14, v14, 3, v8
	ds_read_b64 v[14:15], v14 offset:4096
	v_cndmask_b32_e64 v16, v18, v16, s[28:29]
	v_cndmask_b32_e64 v17, v17, v18, s[28:29]
	s_waitcnt lgkmcnt(1)
	v_cndmask_b32_e64 v49, v19, v22, s[28:29]
	v_cndmask_b32_e64 v53, v23, v19, s[28:29]
	v_cmp_lt_u32_e64 s[8:9], v16, v31
	s_and_saveexec_b64 s[34:35], s[8:9]
	s_cbranch_execz .LBB1956_501
; %bb.490:
	v_cmp_lt_u32_e64 s[8:9], v17, v30
	s_mov_b64 s[36:37], 0
	s_and_saveexec_b64 s[30:31], s[8:9]
	s_cbranch_execz .LBB1956_500
; %bb.491:
	v_lshlrev_b32_e32 v18, 16, v49
	v_add_f32_e32 v19, 0, v18
	s_mov_b32 s8, 0x7f800000
	v_and_b32_e32 v18, 0x7f800000, v19
	v_cmp_ne_u32_e64 s[8:9], s8, v18
                                        ; implicit-def: $vgpr18
	s_and_saveexec_b64 s[36:37], s[8:9]
	s_xor_b64 s[8:9], exec, s[36:37]
; %bb.492:
	v_bfe_u32 v18, v19, 16, 1
	s_movk_i32 s36, 0x7fff
	v_add3_u32 v18, v19, v18, s36
                                        ; implicit-def: $vgpr19
; %bb.493:
	s_andn2_saveexec_b64 s[36:37], s[8:9]
; %bb.494:
	v_mov_b32_e32 v18, 0
	v_or_b32_e32 v28, 0x10000, v19
	v_cmp_eq_u32_sdwa s[8:9], v19, v18 src0_sel:WORD_0 src1_sel:DWORD
	v_cndmask_b32_e64 v18, v28, v19, s[8:9]
; %bb.495:
	s_or_b64 exec, exec, s[36:37]
	v_lshlrev_b32_e32 v19, 16, v53
	v_add_f32_e32 v28, 0, v19
	s_mov_b32 s8, 0x7f800000
	v_and_b32_e32 v19, 0x7f800000, v28
	v_cmp_ne_u32_e64 s[8:9], s8, v19
                                        ; implicit-def: $vgpr19
	s_and_saveexec_b64 s[36:37], s[8:9]
	s_xor_b64 s[8:9], exec, s[36:37]
; %bb.496:
	v_bfe_u32 v19, v28, 16, 1
	s_movk_i32 s36, 0x7fff
	v_add3_u32 v19, v28, v19, s36
                                        ; implicit-def: $vgpr28
; %bb.497:
	s_andn2_saveexec_b64 s[36:37], s[8:9]
; %bb.498:
	v_mov_b32_e32 v19, 0
	v_or_b32_e32 v29, 0x10000, v28
	v_cmp_eq_u32_sdwa s[8:9], v28, v19 src0_sel:WORD_0 src1_sel:DWORD
	v_cndmask_b32_e64 v19, v29, v28, s[8:9]
; %bb.499:
	s_or_b64 exec, exec, s[36:37]
	s_mov_b32 s8, 0x7060302
	v_perm_b32 v28, v19, v18, s8
	v_mov_b32_e32 v29, 0xffff8000
	v_cmp_lt_i32_e64 s[8:9], -1, v18
	v_cndmask_b32_e64 v18, -1, v29, s[8:9]
	v_cmp_lt_i32_e64 s[8:9], -1, v19
	v_cndmask_b32_e64 v19, -1, v29, s[8:9]
	s_mov_b32 s8, 0x5040100
	v_perm_b32 v18, v19, v18, s8
	v_xor_b32_e32 v18, v18, v28
	v_cmp_le_u16_sdwa s[8:9], v18, v18 src0_sel:DWORD src1_sel:WORD_1
	s_and_b64 s[36:37], s[8:9], exec
.LBB1956_500:
	s_or_b64 exec, exec, s[30:31]
	s_orn2_b64 s[30:31], s[36:37], exec
.LBB1956_501:
	s_or_b64 exec, exec, s[34:35]
	v_cndmask_b32_e64 v18, v16, v17, s[30:31]
	v_cndmask_b32_e64 v19, v31, v30, s[30:31]
	v_add_u32_e32 v52, 1, v18
	v_add_u32_e32 v19, -1, v19
	v_min_u32_e32 v19, v52, v19
	v_lshl_add_u32 v19, v19, 1, v12
	ds_read_u16 v19, v19
	v_lshl_add_u32 v18, v18, 3, v8
	ds_read_b64 v[28:29], v18 offset:4096
	v_cndmask_b32_e64 v16, v52, v16, s[30:31]
	v_cndmask_b32_e64 v17, v17, v52, s[30:31]
	s_waitcnt lgkmcnt(1)
	v_cndmask_b32_e64 v48, v19, v49, s[30:31]
	v_cndmask_b32_e64 v54, v53, v19, s[30:31]
	v_cmp_lt_u32_e64 s[8:9], v16, v31
	s_mov_b64 s[36:37], -1
	s_mov_b64 s[34:35], -1
	s_and_saveexec_b64 s[38:39], s[8:9]
	s_cbranch_execz .LBB1956_513
; %bb.502:
	v_cmp_lt_u32_e64 s[8:9], v17, v30
	s_mov_b64 s[40:41], 0
	s_and_saveexec_b64 s[34:35], s[8:9]
	s_cbranch_execz .LBB1956_512
; %bb.503:
	v_lshlrev_b32_e32 v18, 16, v48
	v_add_f32_e32 v19, 0, v18
	s_mov_b32 s8, 0x7f800000
	v_and_b32_e32 v18, 0x7f800000, v19
	v_cmp_ne_u32_e64 s[8:9], s8, v18
                                        ; implicit-def: $vgpr18
	s_and_saveexec_b64 s[40:41], s[8:9]
	s_xor_b64 s[8:9], exec, s[40:41]
; %bb.504:
	v_bfe_u32 v18, v19, 16, 1
	s_movk_i32 s40, 0x7fff
	v_add3_u32 v18, v19, v18, s40
                                        ; implicit-def: $vgpr19
; %bb.505:
	s_andn2_saveexec_b64 s[40:41], s[8:9]
; %bb.506:
	v_mov_b32_e32 v18, 0
	v_or_b32_e32 v52, 0x10000, v19
	v_cmp_eq_u32_sdwa s[8:9], v19, v18 src0_sel:WORD_0 src1_sel:DWORD
	v_cndmask_b32_e64 v18, v52, v19, s[8:9]
; %bb.507:
	s_or_b64 exec, exec, s[40:41]
	v_lshlrev_b32_e32 v19, 16, v54
	v_add_f32_e32 v52, 0, v19
	s_mov_b32 s8, 0x7f800000
	v_and_b32_e32 v19, 0x7f800000, v52
	v_cmp_ne_u32_e64 s[8:9], s8, v19
                                        ; implicit-def: $vgpr19
	s_and_saveexec_b64 s[40:41], s[8:9]
	s_xor_b64 s[8:9], exec, s[40:41]
; %bb.508:
	v_bfe_u32 v19, v52, 16, 1
	s_movk_i32 s40, 0x7fff
	v_add3_u32 v19, v52, v19, s40
                                        ; implicit-def: $vgpr52
; %bb.509:
	s_andn2_saveexec_b64 s[40:41], s[8:9]
; %bb.510:
	v_mov_b32_e32 v19, 0
	v_or_b32_e32 v55, 0x10000, v52
	v_cmp_eq_u32_sdwa s[8:9], v52, v19 src0_sel:WORD_0 src1_sel:DWORD
	v_cndmask_b32_e64 v19, v55, v52, s[8:9]
; %bb.511:
	s_or_b64 exec, exec, s[40:41]
	s_mov_b32 s8, 0x7060302
	v_perm_b32 v52, v19, v18, s8
	v_mov_b32_e32 v55, 0xffff8000
	v_cmp_lt_i32_e64 s[8:9], -1, v18
	v_cndmask_b32_e64 v18, -1, v55, s[8:9]
	v_cmp_lt_i32_e64 s[8:9], -1, v19
	v_cndmask_b32_e64 v19, -1, v55, s[8:9]
	s_mov_b32 s8, 0x5040100
	v_perm_b32 v18, v19, v18, s8
	v_xor_b32_e32 v18, v18, v52
	v_cmp_le_u16_sdwa s[8:9], v18, v18 src0_sel:DWORD src1_sel:WORD_1
	s_and_b64 s[40:41], s[8:9], exec
.LBB1956_512:
	s_or_b64 exec, exec, s[34:35]
	s_orn2_b64 s[34:35], s[40:41], exec
.LBB1956_513:
	s_or_b64 exec, exec, s[38:39]
	v_cndmask_b32_e64 v18, v16, v17, s[34:35]
	v_cndmask_b32_e64 v19, v31, v30, s[34:35]
	v_add_u32_e32 v64, 1, v18
	v_add_u32_e32 v19, -1, v19
	v_min_u32_e32 v19, v64, v19
	v_lshl_add_u32 v19, v19, 1, v12
	ds_read_u16 v55, v19
	v_lshl_add_u32 v18, v18, 3, v8
	ds_read_b64 v[18:19], v18 offset:4096
	v_cndmask_b32_e64 v66, v64, v16, s[34:35]
	v_cndmask_b32_e64 v67, v17, v64, s[34:35]
	s_waitcnt lgkmcnt(1)
	v_cndmask_b32_e64 v52, v55, v48, s[34:35]
	v_cndmask_b32_e64 v55, v54, v55, s[34:35]
	v_cmp_lt_u32_e64 s[8:9], v66, v31
	s_and_saveexec_b64 s[38:39], s[8:9]
	s_cbranch_execz .LBB1956_525
; %bb.514:
	v_cmp_lt_u32_e64 s[8:9], v67, v30
	s_mov_b64 s[40:41], 0
	s_and_saveexec_b64 s[36:37], s[8:9]
	s_cbranch_execz .LBB1956_524
; %bb.515:
	v_lshlrev_b32_e32 v16, 16, v52
	v_add_f32_e32 v17, 0, v16
	s_mov_b32 s8, 0x7f800000
	v_and_b32_e32 v16, 0x7f800000, v17
	v_cmp_ne_u32_e64 s[8:9], s8, v16
                                        ; implicit-def: $vgpr16
	s_and_saveexec_b64 s[40:41], s[8:9]
	s_xor_b64 s[8:9], exec, s[40:41]
; %bb.516:
	v_bfe_u32 v16, v17, 16, 1
	s_movk_i32 s40, 0x7fff
	v_add3_u32 v16, v17, v16, s40
                                        ; implicit-def: $vgpr17
; %bb.517:
	s_andn2_saveexec_b64 s[40:41], s[8:9]
; %bb.518:
	v_mov_b32_e32 v16, 0
	v_or_b32_e32 v64, 0x10000, v17
	v_cmp_eq_u32_sdwa s[8:9], v17, v16 src0_sel:WORD_0 src1_sel:DWORD
	v_cndmask_b32_e64 v16, v64, v17, s[8:9]
; %bb.519:
	s_or_b64 exec, exec, s[40:41]
	v_lshlrev_b32_e32 v17, 16, v55
	v_add_f32_e32 v64, 0, v17
	s_mov_b32 s8, 0x7f800000
	v_and_b32_e32 v17, 0x7f800000, v64
	v_cmp_ne_u32_e64 s[8:9], s8, v17
                                        ; implicit-def: $vgpr17
	s_and_saveexec_b64 s[40:41], s[8:9]
	s_xor_b64 s[8:9], exec, s[40:41]
; %bb.520:
	v_bfe_u32 v17, v64, 16, 1
	s_movk_i32 s40, 0x7fff
	v_add3_u32 v17, v64, v17, s40
                                        ; implicit-def: $vgpr64
; %bb.521:
	s_andn2_saveexec_b64 s[40:41], s[8:9]
; %bb.522:
	v_mov_b32_e32 v17, 0
	v_or_b32_e32 v65, 0x10000, v64
	v_cmp_eq_u32_sdwa s[8:9], v64, v17 src0_sel:WORD_0 src1_sel:DWORD
	v_cndmask_b32_e64 v17, v65, v64, s[8:9]
; %bb.523:
	s_or_b64 exec, exec, s[40:41]
	s_mov_b32 s8, 0x7060302
	v_perm_b32 v64, v17, v16, s8
	v_mov_b32_e32 v65, 0xffff8000
	v_cmp_lt_i32_e64 s[8:9], -1, v16
	v_cndmask_b32_e64 v16, -1, v65, s[8:9]
	v_cmp_lt_i32_e64 s[8:9], -1, v17
	v_cndmask_b32_e64 v17, -1, v65, s[8:9]
	s_mov_b32 s8, 0x5040100
	v_perm_b32 v16, v17, v16, s8
	v_xor_b32_e32 v16, v16, v64
	v_cmp_le_u16_sdwa s[8:9], v16, v16 src0_sel:DWORD src1_sel:WORD_1
	s_and_b64 s[40:41], s[8:9], exec
.LBB1956_524:
	s_or_b64 exec, exec, s[36:37]
	s_orn2_b64 s[36:37], s[40:41], exec
.LBB1956_525:
	s_or_b64 exec, exec, s[38:39]
	v_cndmask_b32_e64 v16, v66, v67, s[36:37]
	v_cndmask_b32_e64 v17, v31, v30, s[36:37]
	v_add_u32_e32 v68, 1, v16
	v_add_u32_e32 v17, -1, v17
	v_min_u32_e32 v17, v68, v17
	v_lshl_add_u32 v17, v17, 1, v12
	ds_read_u16 v65, v17
	v_lshl_add_u32 v16, v16, 3, v8
	ds_read_b64 v[16:17], v16 offset:4096
	v_cndmask_b32_e64 v66, v68, v66, s[36:37]
	v_cndmask_b32_e64 v67, v67, v68, s[36:37]
	s_waitcnt lgkmcnt(1)
	v_cndmask_b32_e64 v64, v65, v52, s[36:37]
	v_cndmask_b32_e64 v65, v55, v65, s[36:37]
	v_cmp_lt_u32_e64 s[8:9], v66, v31
	s_mov_b64 s[40:41], -1
	s_and_saveexec_b64 s[38:39], s[8:9]
	s_cbranch_execz .LBB1956_537
; %bb.526:
	v_cmp_lt_u32_e64 s[8:9], v67, v30
	s_mov_b64 s[42:43], 0
	s_and_saveexec_b64 s[40:41], s[8:9]
	s_cbranch_execz .LBB1956_536
; %bb.527:
	v_lshlrev_b32_e32 v30, 16, v64
	v_add_f32_e32 v31, 0, v30
	s_mov_b32 s8, 0x7f800000
	v_and_b32_e32 v30, 0x7f800000, v31
	v_cmp_ne_u32_e64 s[8:9], s8, v30
                                        ; implicit-def: $vgpr30
	s_and_saveexec_b64 s[42:43], s[8:9]
	s_xor_b64 s[8:9], exec, s[42:43]
; %bb.528:
	v_bfe_u32 v30, v31, 16, 1
	s_movk_i32 s42, 0x7fff
	v_add3_u32 v30, v31, v30, s42
                                        ; implicit-def: $vgpr31
; %bb.529:
	s_andn2_saveexec_b64 s[42:43], s[8:9]
; %bb.530:
	v_mov_b32_e32 v30, 0
	v_or_b32_e32 v68, 0x10000, v31
	v_cmp_eq_u32_sdwa s[8:9], v31, v30 src0_sel:WORD_0 src1_sel:DWORD
	v_cndmask_b32_e64 v30, v68, v31, s[8:9]
; %bb.531:
	s_or_b64 exec, exec, s[42:43]
	v_lshlrev_b32_e32 v31, 16, v65
	v_add_f32_e32 v68, 0, v31
	s_mov_b32 s8, 0x7f800000
	v_and_b32_e32 v31, 0x7f800000, v68
	v_cmp_ne_u32_e64 s[8:9], s8, v31
                                        ; implicit-def: $vgpr31
	s_and_saveexec_b64 s[42:43], s[8:9]
	s_xor_b64 s[8:9], exec, s[42:43]
; %bb.532:
	v_bfe_u32 v31, v68, 16, 1
	s_movk_i32 s42, 0x7fff
	v_add3_u32 v31, v68, v31, s42
                                        ; implicit-def: $vgpr68
; %bb.533:
	s_andn2_saveexec_b64 s[42:43], s[8:9]
; %bb.534:
	v_mov_b32_e32 v31, 0
	v_or_b32_e32 v69, 0x10000, v68
	v_cmp_eq_u32_sdwa s[8:9], v68, v31 src0_sel:WORD_0 src1_sel:DWORD
	v_cndmask_b32_e64 v31, v69, v68, s[8:9]
; %bb.535:
	s_or_b64 exec, exec, s[42:43]
	s_mov_b32 s8, 0x7060302
	v_perm_b32 v68, v31, v30, s8
	v_mov_b32_e32 v69, 0xffff8000
	v_cmp_lt_i32_e64 s[8:9], -1, v30
	v_cndmask_b32_e64 v30, -1, v69, s[8:9]
	v_cmp_lt_i32_e64 s[8:9], -1, v31
	v_cndmask_b32_e64 v31, -1, v69, s[8:9]
	s_mov_b32 s8, 0x5040100
	v_perm_b32 v30, v31, v30, s8
	v_xor_b32_e32 v30, v30, v68
	v_cmp_le_u16_sdwa s[8:9], v30, v30 src0_sel:DWORD src1_sel:WORD_1
	s_and_b64 s[42:43], s[8:9], exec
.LBB1956_536:
	s_or_b64 exec, exec, s[40:41]
	s_orn2_b64 s[40:41], s[42:43], exec
.LBB1956_537:
	s_or_b64 exec, exec, s[38:39]
	v_cndmask_b32_e64 v49, v49, v53, s[30:31]
	v_cndmask_b32_e64 v53, v22, v23, s[28:29]
	;; [unrolled: 1-line block ×3, first 2 shown]
	v_lshl_add_u32 v22, v22, 3, v8
	ds_read_b64 v[22:23], v22 offset:4096
	v_cndmask_b32_e64 v52, v52, v55, s[36:37]
	v_cndmask_b32_e64 v48, v48, v54, s[34:35]
	;; [unrolled: 1-line block ×6, first 2 shown]
.LBB1956_538:
	s_or_b64 exec, exec, s[22:23]
	v_add_u32_e32 v30, 0x1000, v21
	s_mov_b32 s26, 0x5040100
	; wave barrier
	ds_write2_b64 v30, v[4:5], v[10:11] offset1:1
	ds_write2_b64 v9, v[26:27], v[14:15] offset0:2 offset1:3
	ds_write2_b64 v9, v[28:29], v[18:19] offset0:4 offset1:5
	v_perm_b32 v31, v39, v52, s26
	v_perm_b32 v30, v48, v49, s26
	;; [unrolled: 1-line block ×4, first 2 shown]
	ds_write2_b64 v20, v[32:33], v[30:31] offset1:1
	s_waitcnt lgkmcnt(4)
	ds_write2_b64 v9, v[16:17], v[22:23] offset0:6 offset1:7
	v_and_b32_e32 v32, 0x3c0, v37
	v_or_b32_e32 v30, 32, v32
	v_min_u32_e32 v30, v13, v30
	v_add_u32_e32 v31, 32, v30
	v_min_u32_e32 v31, v13, v31
	v_and_b32_e32 v33, 56, v37
	v_min_u32_e32 v55, v13, v33
	v_sub_u32_e32 v54, v30, v32
	v_sub_u32_e32 v64, v31, v30
	v_sub_u32_e64 v64, v55, v64 clamp
	v_min_u32_e32 v54, v55, v54
	v_lshl_add_u32 v33, v32, 1, v12
	v_cmp_lt_u32_e64 s[8:9], v64, v54
	; wave barrier
	s_and_saveexec_b64 s[12:13], s[8:9]
	s_cbranch_execz .LBB1956_550
; %bb.539:
	v_lshlrev_b32_e32 v65, 1, v30
	v_lshlrev_b32_e32 v66, 1, v55
	v_add3_u32 v65, v12, v65, v66
	s_mov_b64 s[22:23], 0
	s_mov_b32 s27, 0x7f800000
	s_movk_i32 s28, 0x7fff
	s_mov_b32 s29, 0x7060302
	v_mov_b32_e32 v66, 0
	v_mov_b32_e32 v67, 0xffff8000
	s_branch .LBB1956_541
.LBB1956_540:                           ;   in Loop: Header=BB1956_541 Depth=1
	s_or_b64 exec, exec, s[24:25]
	v_cmp_lt_i32_e64 s[8:9], -1, v69
	v_perm_b32 v71, v70, v69, s29
	v_cndmask_b32_e64 v69, -1, v67, s[8:9]
	v_cmp_lt_i32_e64 s[8:9], -1, v70
	v_cndmask_b32_e64 v70, -1, v67, s[8:9]
	v_perm_b32 v69, v70, v69, s26
	v_xor_b32_e32 v69, v69, v71
	v_add_u32_e32 v70, 1, v68
	v_cmp_gt_u16_sdwa s[8:9], v69, v69 src0_sel:DWORD src1_sel:WORD_1
	v_cndmask_b32_e64 v54, v54, v68, s[8:9]
	v_cndmask_b32_e64 v64, v70, v64, s[8:9]
	v_cmp_ge_u32_e64 s[8:9], v64, v54
	s_or_b64 s[22:23], s[8:9], s[22:23]
	s_andn2_b64 exec, exec, s[22:23]
	s_cbranch_execz .LBB1956_549
.LBB1956_541:                           ; =>This Inner Loop Header: Depth=1
	v_add_u32_e32 v69, v54, v64
	v_lshrrev_b32_e32 v68, 1, v69
	v_not_b32_e32 v70, v68
	v_lshl_add_u32 v70, v70, 1, v65
	ds_read_u16 v71, v70
	v_and_b32_e32 v69, -2, v69
	v_add_u32_e32 v69, v33, v69
	ds_read_u16 v70, v69
	s_waitcnt lgkmcnt(1)
	v_lshlrev_b32_e32 v69, 16, v71
	v_add_f32_e32 v71, 0, v69
	v_and_b32_e32 v69, 0x7f800000, v71
	v_cmp_ne_u32_e64 s[8:9], s27, v69
                                        ; implicit-def: $vgpr69
	s_and_saveexec_b64 s[24:25], s[8:9]
	s_xor_b64 s[8:9], exec, s[24:25]
; %bb.542:                              ;   in Loop: Header=BB1956_541 Depth=1
	v_bfe_u32 v69, v71, 16, 1
	v_add3_u32 v69, v71, v69, s28
                                        ; implicit-def: $vgpr71
; %bb.543:                              ;   in Loop: Header=BB1956_541 Depth=1
	s_andn2_saveexec_b64 s[24:25], s[8:9]
; %bb.544:                              ;   in Loop: Header=BB1956_541 Depth=1
	v_or_b32_e32 v69, 0x10000, v71
	v_cmp_eq_u32_sdwa s[8:9], v71, v66 src0_sel:WORD_0 src1_sel:DWORD
	v_cndmask_b32_e64 v69, v69, v71, s[8:9]
; %bb.545:                              ;   in Loop: Header=BB1956_541 Depth=1
	s_or_b64 exec, exec, s[24:25]
	s_waitcnt lgkmcnt(0)
	v_lshlrev_b32_e32 v70, 16, v70
	v_add_f32_e32 v71, 0, v70
	v_and_b32_e32 v70, 0x7f800000, v71
	v_cmp_ne_u32_e64 s[8:9], s27, v70
                                        ; implicit-def: $vgpr70
	s_and_saveexec_b64 s[24:25], s[8:9]
	s_xor_b64 s[8:9], exec, s[24:25]
; %bb.546:                              ;   in Loop: Header=BB1956_541 Depth=1
	v_bfe_u32 v70, v71, 16, 1
	v_add3_u32 v70, v71, v70, s28
                                        ; implicit-def: $vgpr71
; %bb.547:                              ;   in Loop: Header=BB1956_541 Depth=1
	s_andn2_saveexec_b64 s[24:25], s[8:9]
	s_cbranch_execz .LBB1956_540
; %bb.548:                              ;   in Loop: Header=BB1956_541 Depth=1
	v_or_b32_e32 v70, 0x10000, v71
	v_cmp_eq_u32_sdwa s[8:9], v71, v66 src0_sel:WORD_0 src1_sel:DWORD
	v_cndmask_b32_e64 v70, v70, v71, s[8:9]
	s_branch .LBB1956_540
.LBB1956_549:
	s_or_b64 exec, exec, s[22:23]
.LBB1956_550:
	s_or_b64 exec, exec, s[12:13]
	v_add_u32_e32 v54, v64, v32
	v_add_u32_e32 v32, v30, v55
	v_sub_u32_e32 v55, v32, v64
	v_cmp_le_u32_e64 s[8:9], v54, v30
	v_cmp_le_u32_e64 s[12:13], v55, v31
	s_or_b64 s[8:9], s[8:9], s[12:13]
	s_and_saveexec_b64 s[22:23], s[8:9]
	s_cbranch_execz .LBB1956_650
; %bb.551:
	v_cmp_ge_u32_e64 s[8:9], v54, v30
	v_cmp_lt_u32_e64 s[12:13], v54, v30
                                        ; implicit-def: $vgpr32
	s_and_saveexec_b64 s[24:25], s[12:13]
	s_cbranch_execz .LBB1956_553
; %bb.552:
	v_lshl_add_u32 v4, v64, 1, v33
	ds_read_u16 v32, v4
.LBB1956_553:
	s_or_b64 exec, exec, s[24:25]
	v_cmp_ge_u32_e64 s[24:25], v55, v31
	v_cmp_lt_u32_e64 s[12:13], v55, v31
                                        ; implicit-def: $vgpr33
	s_and_saveexec_b64 s[26:27], s[12:13]
	s_cbranch_execz .LBB1956_555
; %bb.554:
	v_lshl_add_u32 v4, v55, 1, v12
	ds_read_u16 v33, v4
.LBB1956_555:
	s_or_b64 exec, exec, s[26:27]
	s_or_b64 s[8:9], s[8:9], s[24:25]
	s_xor_b64 s[8:9], s[8:9], -1
	s_and_saveexec_b64 s[12:13], s[8:9]
	s_cbranch_execz .LBB1956_565
; %bb.556:
	s_waitcnt lgkmcnt(0)
	v_lshlrev_b32_e32 v4, 16, v33
	v_add_f32_e32 v5, 0, v4
	s_mov_b32 s8, 0x7f800000
	v_and_b32_e32 v4, 0x7f800000, v5
	v_cmp_ne_u32_e64 s[8:9], s8, v4
                                        ; implicit-def: $vgpr4
	s_and_saveexec_b64 s[26:27], s[8:9]
	s_xor_b64 s[8:9], exec, s[26:27]
; %bb.557:
	v_bfe_u32 v4, v5, 16, 1
	s_movk_i32 s26, 0x7fff
	v_add3_u32 v4, v5, v4, s26
                                        ; implicit-def: $vgpr5
; %bb.558:
	s_andn2_saveexec_b64 s[26:27], s[8:9]
; %bb.559:
	v_mov_b32_e32 v4, 0
	v_or_b32_e32 v10, 0x10000, v5
	v_cmp_eq_u32_sdwa s[8:9], v5, v4 src0_sel:WORD_0 src1_sel:DWORD
	v_cndmask_b32_e64 v4, v10, v5, s[8:9]
; %bb.560:
	s_or_b64 exec, exec, s[26:27]
	v_lshlrev_b32_e32 v5, 16, v32
	v_add_f32_e32 v10, 0, v5
	s_mov_b32 s8, 0x7f800000
	v_and_b32_e32 v5, 0x7f800000, v10
	v_cmp_ne_u32_e64 s[8:9], s8, v5
                                        ; implicit-def: $vgpr5
	s_and_saveexec_b64 s[26:27], s[8:9]
	s_xor_b64 s[8:9], exec, s[26:27]
; %bb.561:
	v_bfe_u32 v5, v10, 16, 1
	s_movk_i32 s26, 0x7fff
	v_add3_u32 v5, v10, v5, s26
                                        ; implicit-def: $vgpr10
; %bb.562:
	s_andn2_saveexec_b64 s[26:27], s[8:9]
; %bb.563:
	v_mov_b32_e32 v5, 0
	v_or_b32_e32 v11, 0x10000, v10
	v_cmp_eq_u32_sdwa s[8:9], v10, v5 src0_sel:WORD_0 src1_sel:DWORD
	v_cndmask_b32_e64 v5, v11, v10, s[8:9]
; %bb.564:
	s_or_b64 exec, exec, s[26:27]
	s_mov_b32 s8, 0x7060302
	v_perm_b32 v10, v5, v4, s8
	v_mov_b32_e32 v11, 0xffff8000
	v_cmp_lt_i32_e64 s[8:9], -1, v4
	v_cndmask_b32_e64 v4, -1, v11, s[8:9]
	v_cmp_lt_i32_e64 s[8:9], -1, v5
	v_cndmask_b32_e64 v5, -1, v11, s[8:9]
	s_mov_b32 s8, 0x5040100
	v_perm_b32 v4, v5, v4, s8
	v_xor_b32_e32 v4, v4, v10
	v_cmp_le_u16_sdwa s[8:9], v4, v4 src0_sel:DWORD src1_sel:WORD_1
	s_andn2_b64 s[24:25], s[24:25], exec
	s_and_b64 s[8:9], s[8:9], exec
	s_or_b64 s[24:25], s[24:25], s[8:9]
.LBB1956_565:
	s_or_b64 exec, exec, s[12:13]
	v_cndmask_b32_e64 v4, v55, v54, s[24:25]
	v_cndmask_b32_e64 v5, v31, v30, s[24:25]
	v_add_u32_e32 v10, 1, v4
	v_add_u32_e32 v5, -1, v5
	v_min_u32_e32 v5, v10, v5
	v_lshl_add_u32 v5, v5, 1, v12
	ds_read_u16 v11, v5
	v_lshl_add_u32 v4, v4, 3, v8
	ds_read_b64 v[4:5], v4 offset:4096
	v_cndmask_b32_e64 v14, v10, v55, s[24:25]
	v_cndmask_b32_e64 v15, v54, v10, s[24:25]
	s_waitcnt lgkmcnt(1)
	v_cndmask_b32_e64 v38, v11, v33, s[24:25]
	v_cndmask_b32_e64 v39, v32, v11, s[24:25]
	v_cmp_lt_u32_e64 s[8:9], v14, v31
	s_mov_b64 s[26:27], -1
	s_mov_b64 s[12:13], -1
	s_and_saveexec_b64 s[28:29], s[8:9]
	s_cbranch_execz .LBB1956_577
; %bb.566:
	v_cmp_lt_u32_e64 s[8:9], v15, v30
	s_mov_b64 s[30:31], 0
	s_and_saveexec_b64 s[12:13], s[8:9]
	s_cbranch_execz .LBB1956_576
; %bb.567:
	v_lshlrev_b32_e32 v10, 16, v38
	v_add_f32_e32 v11, 0, v10
	s_mov_b32 s8, 0x7f800000
	v_and_b32_e32 v10, 0x7f800000, v11
	v_cmp_ne_u32_e64 s[8:9], s8, v10
                                        ; implicit-def: $vgpr10
	s_and_saveexec_b64 s[30:31], s[8:9]
	s_xor_b64 s[8:9], exec, s[30:31]
; %bb.568:
	v_bfe_u32 v10, v11, 16, 1
	s_movk_i32 s30, 0x7fff
	v_add3_u32 v10, v11, v10, s30
                                        ; implicit-def: $vgpr11
; %bb.569:
	s_andn2_saveexec_b64 s[30:31], s[8:9]
; %bb.570:
	v_mov_b32_e32 v10, 0
	v_or_b32_e32 v16, 0x10000, v11
	v_cmp_eq_u32_sdwa s[8:9], v11, v10 src0_sel:WORD_0 src1_sel:DWORD
	v_cndmask_b32_e64 v10, v16, v11, s[8:9]
; %bb.571:
	s_or_b64 exec, exec, s[30:31]
	v_lshlrev_b32_e32 v11, 16, v39
	v_add_f32_e32 v16, 0, v11
	s_mov_b32 s8, 0x7f800000
	v_and_b32_e32 v11, 0x7f800000, v16
	v_cmp_ne_u32_e64 s[8:9], s8, v11
                                        ; implicit-def: $vgpr11
	s_and_saveexec_b64 s[30:31], s[8:9]
	s_xor_b64 s[8:9], exec, s[30:31]
; %bb.572:
	v_bfe_u32 v11, v16, 16, 1
	s_movk_i32 s30, 0x7fff
	v_add3_u32 v11, v16, v11, s30
                                        ; implicit-def: $vgpr16
; %bb.573:
	s_andn2_saveexec_b64 s[30:31], s[8:9]
; %bb.574:
	v_mov_b32_e32 v11, 0
	v_or_b32_e32 v17, 0x10000, v16
	v_cmp_eq_u32_sdwa s[8:9], v16, v11 src0_sel:WORD_0 src1_sel:DWORD
	v_cndmask_b32_e64 v11, v17, v16, s[8:9]
; %bb.575:
	s_or_b64 exec, exec, s[30:31]
	s_mov_b32 s8, 0x7060302
	v_perm_b32 v16, v11, v10, s8
	v_mov_b32_e32 v17, 0xffff8000
	v_cmp_lt_i32_e64 s[8:9], -1, v10
	v_cndmask_b32_e64 v10, -1, v17, s[8:9]
	v_cmp_lt_i32_e64 s[8:9], -1, v11
	v_cndmask_b32_e64 v11, -1, v17, s[8:9]
	s_mov_b32 s8, 0x5040100
	v_perm_b32 v10, v11, v10, s8
	v_xor_b32_e32 v10, v10, v16
	v_cmp_le_u16_sdwa s[8:9], v10, v10 src0_sel:DWORD src1_sel:WORD_1
	s_and_b64 s[30:31], s[8:9], exec
.LBB1956_576:
	s_or_b64 exec, exec, s[12:13]
	s_orn2_b64 s[12:13], s[30:31], exec
.LBB1956_577:
	s_or_b64 exec, exec, s[28:29]
	v_cndmask_b32_e64 v10, v14, v15, s[12:13]
	v_cndmask_b32_e64 v11, v31, v30, s[12:13]
	v_add_u32_e32 v16, 1, v10
	v_add_u32_e32 v11, -1, v11
	v_min_u32_e32 v11, v16, v11
	v_lshl_add_u32 v11, v11, 1, v12
	ds_read_u16 v17, v11
	v_lshl_add_u32 v10, v10, 3, v8
	ds_read_b64 v[10:11], v10 offset:4096
	v_cndmask_b32_e64 v14, v16, v14, s[12:13]
	v_cndmask_b32_e64 v15, v15, v16, s[12:13]
	s_waitcnt lgkmcnt(1)
	v_cndmask_b32_e64 v50, v17, v38, s[12:13]
	v_cndmask_b32_e64 v51, v39, v17, s[12:13]
	v_cmp_lt_u32_e64 s[8:9], v14, v31
	s_and_saveexec_b64 s[28:29], s[8:9]
	s_cbranch_execz .LBB1956_589
; %bb.578:
	v_cmp_lt_u32_e64 s[8:9], v15, v30
	s_mov_b64 s[30:31], 0
	s_and_saveexec_b64 s[26:27], s[8:9]
	s_cbranch_execz .LBB1956_588
; %bb.579:
	v_lshlrev_b32_e32 v16, 16, v50
	v_add_f32_e32 v17, 0, v16
	s_mov_b32 s8, 0x7f800000
	v_and_b32_e32 v16, 0x7f800000, v17
	v_cmp_ne_u32_e64 s[8:9], s8, v16
                                        ; implicit-def: $vgpr16
	s_and_saveexec_b64 s[30:31], s[8:9]
	s_xor_b64 s[8:9], exec, s[30:31]
; %bb.580:
	v_bfe_u32 v16, v17, 16, 1
	s_movk_i32 s30, 0x7fff
	v_add3_u32 v16, v17, v16, s30
                                        ; implicit-def: $vgpr17
; %bb.581:
	s_andn2_saveexec_b64 s[30:31], s[8:9]
; %bb.582:
	v_mov_b32_e32 v16, 0
	v_or_b32_e32 v18, 0x10000, v17
	v_cmp_eq_u32_sdwa s[8:9], v17, v16 src0_sel:WORD_0 src1_sel:DWORD
	v_cndmask_b32_e64 v16, v18, v17, s[8:9]
; %bb.583:
	s_or_b64 exec, exec, s[30:31]
	v_lshlrev_b32_e32 v17, 16, v51
	v_add_f32_e32 v18, 0, v17
	s_mov_b32 s8, 0x7f800000
	v_and_b32_e32 v17, 0x7f800000, v18
	v_cmp_ne_u32_e64 s[8:9], s8, v17
                                        ; implicit-def: $vgpr17
	s_and_saveexec_b64 s[30:31], s[8:9]
	s_xor_b64 s[8:9], exec, s[30:31]
; %bb.584:
	v_bfe_u32 v17, v18, 16, 1
	s_movk_i32 s30, 0x7fff
	v_add3_u32 v17, v18, v17, s30
                                        ; implicit-def: $vgpr18
; %bb.585:
	s_andn2_saveexec_b64 s[30:31], s[8:9]
; %bb.586:
	v_mov_b32_e32 v17, 0
	v_or_b32_e32 v19, 0x10000, v18
	v_cmp_eq_u32_sdwa s[8:9], v18, v17 src0_sel:WORD_0 src1_sel:DWORD
	v_cndmask_b32_e64 v17, v19, v18, s[8:9]
; %bb.587:
	s_or_b64 exec, exec, s[30:31]
	s_mov_b32 s8, 0x7060302
	v_perm_b32 v18, v17, v16, s8
	v_mov_b32_e32 v19, 0xffff8000
	v_cmp_lt_i32_e64 s[8:9], -1, v16
	v_cndmask_b32_e64 v16, -1, v19, s[8:9]
	v_cmp_lt_i32_e64 s[8:9], -1, v17
	v_cndmask_b32_e64 v17, -1, v19, s[8:9]
	s_mov_b32 s8, 0x5040100
	v_perm_b32 v16, v17, v16, s8
	v_xor_b32_e32 v16, v16, v18
	v_cmp_le_u16_sdwa s[8:9], v16, v16 src0_sel:DWORD src1_sel:WORD_1
	s_and_b64 s[30:31], s[8:9], exec
.LBB1956_588:
	s_or_b64 exec, exec, s[26:27]
	s_orn2_b64 s[26:27], s[30:31], exec
.LBB1956_589:
	s_or_b64 exec, exec, s[28:29]
	v_cndmask_b32_e64 v16, v14, v15, s[26:27]
	v_cndmask_b32_e64 v17, v31, v30, s[26:27]
	v_add_u32_e32 v18, 1, v16
	v_add_u32_e32 v17, -1, v17
	v_min_u32_e32 v17, v18, v17
	v_lshl_add_u32 v17, v17, 1, v12
	ds_read_u16 v17, v17
	v_lshl_add_u32 v16, v16, 3, v8
	ds_read_b64 v[26:27], v16 offset:4096
	v_cndmask_b32_e64 v16, v18, v14, s[26:27]
	v_cmp_lt_u32_e64 s[8:9], v16, v31
	s_waitcnt lgkmcnt(1)
	v_cndmask_b32_e64 v22, v17, v50, s[26:27]
	v_cndmask_b32_e64 v23, v51, v17, s[26:27]
	;; [unrolled: 1-line block ×3, first 2 shown]
	s_mov_b64 s[30:31], -1
	s_mov_b64 s[28:29], -1
	s_and_saveexec_b64 s[34:35], s[8:9]
	s_cbranch_execz .LBB1956_601
; %bb.590:
	v_cmp_lt_u32_e64 s[8:9], v17, v30
	s_mov_b64 s[36:37], 0
	s_and_saveexec_b64 s[28:29], s[8:9]
	s_cbranch_execz .LBB1956_600
; %bb.591:
	v_lshlrev_b32_e32 v14, 16, v22
	v_add_f32_e32 v15, 0, v14
	s_mov_b32 s8, 0x7f800000
	v_and_b32_e32 v14, 0x7f800000, v15
	v_cmp_ne_u32_e64 s[8:9], s8, v14
                                        ; implicit-def: $vgpr14
	s_and_saveexec_b64 s[36:37], s[8:9]
	s_xor_b64 s[8:9], exec, s[36:37]
; %bb.592:
	v_bfe_u32 v14, v15, 16, 1
	s_movk_i32 s36, 0x7fff
	v_add3_u32 v14, v15, v14, s36
                                        ; implicit-def: $vgpr15
; %bb.593:
	s_andn2_saveexec_b64 s[36:37], s[8:9]
; %bb.594:
	v_mov_b32_e32 v14, 0
	v_or_b32_e32 v18, 0x10000, v15
	v_cmp_eq_u32_sdwa s[8:9], v15, v14 src0_sel:WORD_0 src1_sel:DWORD
	v_cndmask_b32_e64 v14, v18, v15, s[8:9]
; %bb.595:
	s_or_b64 exec, exec, s[36:37]
	v_lshlrev_b32_e32 v15, 16, v23
	v_add_f32_e32 v18, 0, v15
	s_mov_b32 s8, 0x7f800000
	v_and_b32_e32 v15, 0x7f800000, v18
	v_cmp_ne_u32_e64 s[8:9], s8, v15
                                        ; implicit-def: $vgpr15
	s_and_saveexec_b64 s[36:37], s[8:9]
	s_xor_b64 s[8:9], exec, s[36:37]
; %bb.596:
	v_bfe_u32 v15, v18, 16, 1
	s_movk_i32 s36, 0x7fff
	v_add3_u32 v15, v18, v15, s36
                                        ; implicit-def: $vgpr18
; %bb.597:
	s_andn2_saveexec_b64 s[36:37], s[8:9]
; %bb.598:
	v_mov_b32_e32 v15, 0
	v_or_b32_e32 v19, 0x10000, v18
	v_cmp_eq_u32_sdwa s[8:9], v18, v15 src0_sel:WORD_0 src1_sel:DWORD
	v_cndmask_b32_e64 v15, v19, v18, s[8:9]
; %bb.599:
	s_or_b64 exec, exec, s[36:37]
	s_mov_b32 s8, 0x7060302
	v_perm_b32 v18, v15, v14, s8
	v_mov_b32_e32 v19, 0xffff8000
	v_cmp_lt_i32_e64 s[8:9], -1, v14
	v_cndmask_b32_e64 v14, -1, v19, s[8:9]
	v_cmp_lt_i32_e64 s[8:9], -1, v15
	v_cndmask_b32_e64 v15, -1, v19, s[8:9]
	s_mov_b32 s8, 0x5040100
	v_perm_b32 v14, v15, v14, s8
	v_xor_b32_e32 v14, v14, v18
	v_cmp_le_u16_sdwa s[8:9], v14, v14 src0_sel:DWORD src1_sel:WORD_1
	s_and_b64 s[36:37], s[8:9], exec
.LBB1956_600:
	s_or_b64 exec, exec, s[28:29]
	s_orn2_b64 s[28:29], s[36:37], exec
.LBB1956_601:
	s_or_b64 exec, exec, s[34:35]
	v_cndmask_b32_e64 v14, v16, v17, s[28:29]
	v_cndmask_b32_e64 v15, v31, v30, s[28:29]
	v_add_u32_e32 v18, 1, v14
	v_add_u32_e32 v15, -1, v15
	v_min_u32_e32 v15, v18, v15
	v_lshl_add_u32 v15, v15, 1, v12
	ds_read_u16 v19, v15
	v_lshl_add_u32 v14, v14, 3, v8
	ds_read_b64 v[14:15], v14 offset:4096
	v_cndmask_b32_e64 v16, v18, v16, s[28:29]
	v_cndmask_b32_e64 v17, v17, v18, s[28:29]
	s_waitcnt lgkmcnt(1)
	v_cndmask_b32_e64 v49, v19, v22, s[28:29]
	v_cndmask_b32_e64 v53, v23, v19, s[28:29]
	v_cmp_lt_u32_e64 s[8:9], v16, v31
	s_and_saveexec_b64 s[34:35], s[8:9]
	s_cbranch_execz .LBB1956_613
; %bb.602:
	v_cmp_lt_u32_e64 s[8:9], v17, v30
	s_mov_b64 s[36:37], 0
	s_and_saveexec_b64 s[30:31], s[8:9]
	s_cbranch_execz .LBB1956_612
; %bb.603:
	v_lshlrev_b32_e32 v18, 16, v49
	v_add_f32_e32 v19, 0, v18
	s_mov_b32 s8, 0x7f800000
	v_and_b32_e32 v18, 0x7f800000, v19
	v_cmp_ne_u32_e64 s[8:9], s8, v18
                                        ; implicit-def: $vgpr18
	s_and_saveexec_b64 s[36:37], s[8:9]
	s_xor_b64 s[8:9], exec, s[36:37]
; %bb.604:
	v_bfe_u32 v18, v19, 16, 1
	s_movk_i32 s36, 0x7fff
	v_add3_u32 v18, v19, v18, s36
                                        ; implicit-def: $vgpr19
; %bb.605:
	s_andn2_saveexec_b64 s[36:37], s[8:9]
; %bb.606:
	v_mov_b32_e32 v18, 0
	v_or_b32_e32 v28, 0x10000, v19
	v_cmp_eq_u32_sdwa s[8:9], v19, v18 src0_sel:WORD_0 src1_sel:DWORD
	v_cndmask_b32_e64 v18, v28, v19, s[8:9]
; %bb.607:
	s_or_b64 exec, exec, s[36:37]
	v_lshlrev_b32_e32 v19, 16, v53
	v_add_f32_e32 v28, 0, v19
	s_mov_b32 s8, 0x7f800000
	v_and_b32_e32 v19, 0x7f800000, v28
	v_cmp_ne_u32_e64 s[8:9], s8, v19
                                        ; implicit-def: $vgpr19
	s_and_saveexec_b64 s[36:37], s[8:9]
	s_xor_b64 s[8:9], exec, s[36:37]
; %bb.608:
	v_bfe_u32 v19, v28, 16, 1
	s_movk_i32 s36, 0x7fff
	v_add3_u32 v19, v28, v19, s36
                                        ; implicit-def: $vgpr28
; %bb.609:
	s_andn2_saveexec_b64 s[36:37], s[8:9]
; %bb.610:
	v_mov_b32_e32 v19, 0
	v_or_b32_e32 v29, 0x10000, v28
	v_cmp_eq_u32_sdwa s[8:9], v28, v19 src0_sel:WORD_0 src1_sel:DWORD
	v_cndmask_b32_e64 v19, v29, v28, s[8:9]
; %bb.611:
	s_or_b64 exec, exec, s[36:37]
	s_mov_b32 s8, 0x7060302
	v_perm_b32 v28, v19, v18, s8
	v_mov_b32_e32 v29, 0xffff8000
	v_cmp_lt_i32_e64 s[8:9], -1, v18
	v_cndmask_b32_e64 v18, -1, v29, s[8:9]
	v_cmp_lt_i32_e64 s[8:9], -1, v19
	v_cndmask_b32_e64 v19, -1, v29, s[8:9]
	s_mov_b32 s8, 0x5040100
	v_perm_b32 v18, v19, v18, s8
	v_xor_b32_e32 v18, v18, v28
	v_cmp_le_u16_sdwa s[8:9], v18, v18 src0_sel:DWORD src1_sel:WORD_1
	s_and_b64 s[36:37], s[8:9], exec
.LBB1956_612:
	s_or_b64 exec, exec, s[30:31]
	s_orn2_b64 s[30:31], s[36:37], exec
.LBB1956_613:
	s_or_b64 exec, exec, s[34:35]
	v_cndmask_b32_e64 v18, v16, v17, s[30:31]
	v_cndmask_b32_e64 v19, v31, v30, s[30:31]
	v_add_u32_e32 v52, 1, v18
	v_add_u32_e32 v19, -1, v19
	v_min_u32_e32 v19, v52, v19
	v_lshl_add_u32 v19, v19, 1, v12
	ds_read_u16 v19, v19
	v_lshl_add_u32 v18, v18, 3, v8
	ds_read_b64 v[28:29], v18 offset:4096
	v_cndmask_b32_e64 v16, v52, v16, s[30:31]
	v_cndmask_b32_e64 v17, v17, v52, s[30:31]
	s_waitcnt lgkmcnt(1)
	v_cndmask_b32_e64 v48, v19, v49, s[30:31]
	v_cndmask_b32_e64 v54, v53, v19, s[30:31]
	v_cmp_lt_u32_e64 s[8:9], v16, v31
	s_mov_b64 s[36:37], -1
	s_mov_b64 s[34:35], -1
	s_and_saveexec_b64 s[38:39], s[8:9]
	s_cbranch_execz .LBB1956_625
; %bb.614:
	v_cmp_lt_u32_e64 s[8:9], v17, v30
	s_mov_b64 s[40:41], 0
	s_and_saveexec_b64 s[34:35], s[8:9]
	s_cbranch_execz .LBB1956_624
; %bb.615:
	v_lshlrev_b32_e32 v18, 16, v48
	v_add_f32_e32 v19, 0, v18
	s_mov_b32 s8, 0x7f800000
	v_and_b32_e32 v18, 0x7f800000, v19
	v_cmp_ne_u32_e64 s[8:9], s8, v18
                                        ; implicit-def: $vgpr18
	s_and_saveexec_b64 s[40:41], s[8:9]
	s_xor_b64 s[8:9], exec, s[40:41]
; %bb.616:
	v_bfe_u32 v18, v19, 16, 1
	s_movk_i32 s40, 0x7fff
	v_add3_u32 v18, v19, v18, s40
                                        ; implicit-def: $vgpr19
; %bb.617:
	s_andn2_saveexec_b64 s[40:41], s[8:9]
; %bb.618:
	v_mov_b32_e32 v18, 0
	v_or_b32_e32 v52, 0x10000, v19
	v_cmp_eq_u32_sdwa s[8:9], v19, v18 src0_sel:WORD_0 src1_sel:DWORD
	v_cndmask_b32_e64 v18, v52, v19, s[8:9]
; %bb.619:
	s_or_b64 exec, exec, s[40:41]
	v_lshlrev_b32_e32 v19, 16, v54
	v_add_f32_e32 v52, 0, v19
	s_mov_b32 s8, 0x7f800000
	v_and_b32_e32 v19, 0x7f800000, v52
	v_cmp_ne_u32_e64 s[8:9], s8, v19
                                        ; implicit-def: $vgpr19
	s_and_saveexec_b64 s[40:41], s[8:9]
	s_xor_b64 s[8:9], exec, s[40:41]
; %bb.620:
	v_bfe_u32 v19, v52, 16, 1
	s_movk_i32 s40, 0x7fff
	v_add3_u32 v19, v52, v19, s40
                                        ; implicit-def: $vgpr52
; %bb.621:
	s_andn2_saveexec_b64 s[40:41], s[8:9]
; %bb.622:
	v_mov_b32_e32 v19, 0
	v_or_b32_e32 v55, 0x10000, v52
	v_cmp_eq_u32_sdwa s[8:9], v52, v19 src0_sel:WORD_0 src1_sel:DWORD
	v_cndmask_b32_e64 v19, v55, v52, s[8:9]
; %bb.623:
	s_or_b64 exec, exec, s[40:41]
	s_mov_b32 s8, 0x7060302
	v_perm_b32 v52, v19, v18, s8
	v_mov_b32_e32 v55, 0xffff8000
	v_cmp_lt_i32_e64 s[8:9], -1, v18
	v_cndmask_b32_e64 v18, -1, v55, s[8:9]
	v_cmp_lt_i32_e64 s[8:9], -1, v19
	v_cndmask_b32_e64 v19, -1, v55, s[8:9]
	s_mov_b32 s8, 0x5040100
	v_perm_b32 v18, v19, v18, s8
	v_xor_b32_e32 v18, v18, v52
	v_cmp_le_u16_sdwa s[8:9], v18, v18 src0_sel:DWORD src1_sel:WORD_1
	s_and_b64 s[40:41], s[8:9], exec
.LBB1956_624:
	s_or_b64 exec, exec, s[34:35]
	s_orn2_b64 s[34:35], s[40:41], exec
.LBB1956_625:
	s_or_b64 exec, exec, s[38:39]
	v_cndmask_b32_e64 v18, v16, v17, s[34:35]
	v_cndmask_b32_e64 v19, v31, v30, s[34:35]
	v_add_u32_e32 v64, 1, v18
	v_add_u32_e32 v19, -1, v19
	v_min_u32_e32 v19, v64, v19
	v_lshl_add_u32 v19, v19, 1, v12
	ds_read_u16 v55, v19
	v_lshl_add_u32 v18, v18, 3, v8
	ds_read_b64 v[18:19], v18 offset:4096
	v_cndmask_b32_e64 v66, v64, v16, s[34:35]
	v_cndmask_b32_e64 v67, v17, v64, s[34:35]
	s_waitcnt lgkmcnt(1)
	v_cndmask_b32_e64 v52, v55, v48, s[34:35]
	v_cndmask_b32_e64 v55, v54, v55, s[34:35]
	v_cmp_lt_u32_e64 s[8:9], v66, v31
	s_and_saveexec_b64 s[38:39], s[8:9]
	s_cbranch_execz .LBB1956_637
; %bb.626:
	v_cmp_lt_u32_e64 s[8:9], v67, v30
	s_mov_b64 s[40:41], 0
	s_and_saveexec_b64 s[36:37], s[8:9]
	s_cbranch_execz .LBB1956_636
; %bb.627:
	v_lshlrev_b32_e32 v16, 16, v52
	v_add_f32_e32 v17, 0, v16
	s_mov_b32 s8, 0x7f800000
	v_and_b32_e32 v16, 0x7f800000, v17
	v_cmp_ne_u32_e64 s[8:9], s8, v16
                                        ; implicit-def: $vgpr16
	s_and_saveexec_b64 s[40:41], s[8:9]
	s_xor_b64 s[8:9], exec, s[40:41]
; %bb.628:
	v_bfe_u32 v16, v17, 16, 1
	s_movk_i32 s40, 0x7fff
	v_add3_u32 v16, v17, v16, s40
                                        ; implicit-def: $vgpr17
; %bb.629:
	s_andn2_saveexec_b64 s[40:41], s[8:9]
; %bb.630:
	v_mov_b32_e32 v16, 0
	v_or_b32_e32 v64, 0x10000, v17
	v_cmp_eq_u32_sdwa s[8:9], v17, v16 src0_sel:WORD_0 src1_sel:DWORD
	v_cndmask_b32_e64 v16, v64, v17, s[8:9]
; %bb.631:
	s_or_b64 exec, exec, s[40:41]
	v_lshlrev_b32_e32 v17, 16, v55
	v_add_f32_e32 v64, 0, v17
	s_mov_b32 s8, 0x7f800000
	v_and_b32_e32 v17, 0x7f800000, v64
	v_cmp_ne_u32_e64 s[8:9], s8, v17
                                        ; implicit-def: $vgpr17
	s_and_saveexec_b64 s[40:41], s[8:9]
	s_xor_b64 s[8:9], exec, s[40:41]
; %bb.632:
	v_bfe_u32 v17, v64, 16, 1
	s_movk_i32 s40, 0x7fff
	v_add3_u32 v17, v64, v17, s40
                                        ; implicit-def: $vgpr64
; %bb.633:
	s_andn2_saveexec_b64 s[40:41], s[8:9]
; %bb.634:
	v_mov_b32_e32 v17, 0
	v_or_b32_e32 v65, 0x10000, v64
	v_cmp_eq_u32_sdwa s[8:9], v64, v17 src0_sel:WORD_0 src1_sel:DWORD
	v_cndmask_b32_e64 v17, v65, v64, s[8:9]
; %bb.635:
	s_or_b64 exec, exec, s[40:41]
	s_mov_b32 s8, 0x7060302
	v_perm_b32 v64, v17, v16, s8
	v_mov_b32_e32 v65, 0xffff8000
	v_cmp_lt_i32_e64 s[8:9], -1, v16
	v_cndmask_b32_e64 v16, -1, v65, s[8:9]
	v_cmp_lt_i32_e64 s[8:9], -1, v17
	v_cndmask_b32_e64 v17, -1, v65, s[8:9]
	s_mov_b32 s8, 0x5040100
	v_perm_b32 v16, v17, v16, s8
	v_xor_b32_e32 v16, v16, v64
	v_cmp_le_u16_sdwa s[8:9], v16, v16 src0_sel:DWORD src1_sel:WORD_1
	s_and_b64 s[40:41], s[8:9], exec
.LBB1956_636:
	s_or_b64 exec, exec, s[36:37]
	s_orn2_b64 s[36:37], s[40:41], exec
.LBB1956_637:
	s_or_b64 exec, exec, s[38:39]
	v_cndmask_b32_e64 v16, v66, v67, s[36:37]
	v_cndmask_b32_e64 v17, v31, v30, s[36:37]
	v_add_u32_e32 v68, 1, v16
	v_add_u32_e32 v17, -1, v17
	v_min_u32_e32 v17, v68, v17
	v_lshl_add_u32 v17, v17, 1, v12
	ds_read_u16 v65, v17
	v_lshl_add_u32 v16, v16, 3, v8
	ds_read_b64 v[16:17], v16 offset:4096
	v_cndmask_b32_e64 v66, v68, v66, s[36:37]
	v_cndmask_b32_e64 v67, v67, v68, s[36:37]
	s_waitcnt lgkmcnt(1)
	v_cndmask_b32_e64 v64, v65, v52, s[36:37]
	v_cndmask_b32_e64 v65, v55, v65, s[36:37]
	v_cmp_lt_u32_e64 s[8:9], v66, v31
	s_mov_b64 s[40:41], -1
	s_and_saveexec_b64 s[38:39], s[8:9]
	s_cbranch_execz .LBB1956_649
; %bb.638:
	v_cmp_lt_u32_e64 s[8:9], v67, v30
	s_mov_b64 s[42:43], 0
	s_and_saveexec_b64 s[40:41], s[8:9]
	s_cbranch_execz .LBB1956_648
; %bb.639:
	v_lshlrev_b32_e32 v30, 16, v64
	v_add_f32_e32 v31, 0, v30
	s_mov_b32 s8, 0x7f800000
	v_and_b32_e32 v30, 0x7f800000, v31
	v_cmp_ne_u32_e64 s[8:9], s8, v30
                                        ; implicit-def: $vgpr30
	s_and_saveexec_b64 s[42:43], s[8:9]
	s_xor_b64 s[8:9], exec, s[42:43]
; %bb.640:
	v_bfe_u32 v30, v31, 16, 1
	s_movk_i32 s42, 0x7fff
	v_add3_u32 v30, v31, v30, s42
                                        ; implicit-def: $vgpr31
; %bb.641:
	s_andn2_saveexec_b64 s[42:43], s[8:9]
; %bb.642:
	v_mov_b32_e32 v30, 0
	v_or_b32_e32 v68, 0x10000, v31
	v_cmp_eq_u32_sdwa s[8:9], v31, v30 src0_sel:WORD_0 src1_sel:DWORD
	v_cndmask_b32_e64 v30, v68, v31, s[8:9]
; %bb.643:
	s_or_b64 exec, exec, s[42:43]
	v_lshlrev_b32_e32 v31, 16, v65
	v_add_f32_e32 v68, 0, v31
	s_mov_b32 s8, 0x7f800000
	v_and_b32_e32 v31, 0x7f800000, v68
	v_cmp_ne_u32_e64 s[8:9], s8, v31
                                        ; implicit-def: $vgpr31
	s_and_saveexec_b64 s[42:43], s[8:9]
	s_xor_b64 s[8:9], exec, s[42:43]
; %bb.644:
	v_bfe_u32 v31, v68, 16, 1
	s_movk_i32 s42, 0x7fff
	v_add3_u32 v31, v68, v31, s42
                                        ; implicit-def: $vgpr68
; %bb.645:
	s_andn2_saveexec_b64 s[42:43], s[8:9]
; %bb.646:
	v_mov_b32_e32 v31, 0
	v_or_b32_e32 v69, 0x10000, v68
	v_cmp_eq_u32_sdwa s[8:9], v68, v31 src0_sel:WORD_0 src1_sel:DWORD
	v_cndmask_b32_e64 v31, v69, v68, s[8:9]
; %bb.647:
	s_or_b64 exec, exec, s[42:43]
	s_mov_b32 s8, 0x7060302
	v_perm_b32 v68, v31, v30, s8
	v_mov_b32_e32 v69, 0xffff8000
	v_cmp_lt_i32_e64 s[8:9], -1, v30
	v_cndmask_b32_e64 v30, -1, v69, s[8:9]
	v_cmp_lt_i32_e64 s[8:9], -1, v31
	v_cndmask_b32_e64 v31, -1, v69, s[8:9]
	s_mov_b32 s8, 0x5040100
	v_perm_b32 v30, v31, v30, s8
	v_xor_b32_e32 v30, v30, v68
	v_cmp_le_u16_sdwa s[8:9], v30, v30 src0_sel:DWORD src1_sel:WORD_1
	s_and_b64 s[42:43], s[8:9], exec
.LBB1956_648:
	s_or_b64 exec, exec, s[40:41]
	s_orn2_b64 s[40:41], s[42:43], exec
.LBB1956_649:
	s_or_b64 exec, exec, s[38:39]
	v_cndmask_b32_e64 v49, v49, v53, s[30:31]
	v_cndmask_b32_e64 v53, v22, v23, s[28:29]
	;; [unrolled: 1-line block ×3, first 2 shown]
	v_lshl_add_u32 v22, v22, 3, v8
	ds_read_b64 v[22:23], v22 offset:4096
	v_cndmask_b32_e64 v52, v52, v55, s[36:37]
	v_cndmask_b32_e64 v48, v48, v54, s[34:35]
	;; [unrolled: 1-line block ×6, first 2 shown]
.LBB1956_650:
	s_or_b64 exec, exec, s[22:23]
	s_mov_b32 s26, 0x5040100
	v_add_u32_e32 v21, 0x1000, v21
	v_perm_b32 v31, v39, v52, s26
	v_perm_b32 v30, v48, v49, s26
	v_perm_b32 v33, v53, v51, s26
	v_perm_b32 v32, v50, v38, s26
	; wave barrier
	ds_write2_b64 v21, v[4:5], v[10:11] offset1:1
	ds_write2_b64 v9, v[26:27], v[14:15] offset0:2 offset1:3
	ds_write2_b64 v9, v[28:29], v[18:19] offset0:4 offset1:5
	ds_write2_b64 v20, v[32:33], v[30:31] offset1:1
	s_waitcnt lgkmcnt(4)
	ds_write2_b64 v9, v[16:17], v[22:23] offset0:6 offset1:7
	v_and_b32_e32 v31, 0x380, v37
	v_or_b32_e32 v9, 64, v31
	v_min_u32_e32 v9, v13, v9
	v_add_u32_e32 v20, 64, v9
	v_min_u32_e32 v20, v13, v20
	v_min_u32_e32 v13, v13, v36
	v_sub_u32_e32 v32, v9, v31
	v_sub_u32_e32 v30, v20, v9
	v_sub_u32_e64 v30, v13, v30 clamp
	v_min_u32_e32 v32, v13, v32
	v_lshl_add_u32 v21, v31, 1, v12
	v_cmp_lt_u32_e64 s[8:9], v30, v32
	; wave barrier
	s_and_saveexec_b64 s[12:13], s[8:9]
	s_cbranch_execz .LBB1956_662
; %bb.651:
	v_lshlrev_b32_e32 v33, 1, v9
	v_lshlrev_b32_e32 v36, 1, v13
	v_add3_u32 v33, v12, v33, v36
	s_mov_b64 s[22:23], 0
	s_mov_b32 s27, 0x7f800000
	s_movk_i32 s28, 0x7fff
	s_mov_b32 s29, 0x7060302
	v_mov_b32_e32 v36, 0
	v_mov_b32_e32 v37, 0xffff8000
	s_branch .LBB1956_653
.LBB1956_652:                           ;   in Loop: Header=BB1956_653 Depth=1
	s_or_b64 exec, exec, s[24:25]
	v_cmp_lt_i32_e64 s[8:9], -1, v55
	v_perm_b32 v65, v64, v55, s29
	v_cndmask_b32_e64 v55, -1, v37, s[8:9]
	v_cmp_lt_i32_e64 s[8:9], -1, v64
	v_cndmask_b32_e64 v64, -1, v37, s[8:9]
	v_perm_b32 v55, v64, v55, s26
	v_xor_b32_e32 v55, v55, v65
	v_add_u32_e32 v64, 1, v54
	v_cmp_gt_u16_sdwa s[8:9], v55, v55 src0_sel:DWORD src1_sel:WORD_1
	v_cndmask_b32_e64 v32, v32, v54, s[8:9]
	v_cndmask_b32_e64 v30, v64, v30, s[8:9]
	v_cmp_ge_u32_e64 s[8:9], v30, v32
	s_or_b64 s[22:23], s[8:9], s[22:23]
	s_andn2_b64 exec, exec, s[22:23]
	s_cbranch_execz .LBB1956_661
.LBB1956_653:                           ; =>This Inner Loop Header: Depth=1
	v_add_u32_e32 v55, v32, v30
	v_lshrrev_b32_e32 v54, 1, v55
	v_not_b32_e32 v64, v54
	v_lshl_add_u32 v64, v64, 1, v33
	ds_read_u16 v65, v64
	v_and_b32_e32 v55, -2, v55
	v_add_u32_e32 v55, v21, v55
	ds_read_u16 v64, v55
	s_waitcnt lgkmcnt(1)
	v_lshlrev_b32_e32 v55, 16, v65
	v_add_f32_e32 v65, 0, v55
	v_and_b32_e32 v55, 0x7f800000, v65
	v_cmp_ne_u32_e64 s[8:9], s27, v55
                                        ; implicit-def: $vgpr55
	s_and_saveexec_b64 s[24:25], s[8:9]
	s_xor_b64 s[8:9], exec, s[24:25]
; %bb.654:                              ;   in Loop: Header=BB1956_653 Depth=1
	v_bfe_u32 v55, v65, 16, 1
	v_add3_u32 v55, v65, v55, s28
                                        ; implicit-def: $vgpr65
; %bb.655:                              ;   in Loop: Header=BB1956_653 Depth=1
	s_andn2_saveexec_b64 s[24:25], s[8:9]
; %bb.656:                              ;   in Loop: Header=BB1956_653 Depth=1
	v_or_b32_e32 v55, 0x10000, v65
	v_cmp_eq_u32_sdwa s[8:9], v65, v36 src0_sel:WORD_0 src1_sel:DWORD
	v_cndmask_b32_e64 v55, v55, v65, s[8:9]
; %bb.657:                              ;   in Loop: Header=BB1956_653 Depth=1
	s_or_b64 exec, exec, s[24:25]
	s_waitcnt lgkmcnt(0)
	v_lshlrev_b32_e32 v64, 16, v64
	v_add_f32_e32 v65, 0, v64
	v_and_b32_e32 v64, 0x7f800000, v65
	v_cmp_ne_u32_e64 s[8:9], s27, v64
                                        ; implicit-def: $vgpr64
	s_and_saveexec_b64 s[24:25], s[8:9]
	s_xor_b64 s[8:9], exec, s[24:25]
; %bb.658:                              ;   in Loop: Header=BB1956_653 Depth=1
	v_bfe_u32 v64, v65, 16, 1
	v_add3_u32 v64, v65, v64, s28
                                        ; implicit-def: $vgpr65
; %bb.659:                              ;   in Loop: Header=BB1956_653 Depth=1
	s_andn2_saveexec_b64 s[24:25], s[8:9]
	s_cbranch_execz .LBB1956_652
; %bb.660:                              ;   in Loop: Header=BB1956_653 Depth=1
	v_or_b32_e32 v64, 0x10000, v65
	v_cmp_eq_u32_sdwa s[8:9], v65, v36 src0_sel:WORD_0 src1_sel:DWORD
	v_cndmask_b32_e64 v64, v64, v65, s[8:9]
	s_branch .LBB1956_652
.LBB1956_661:
	s_or_b64 exec, exec, s[22:23]
.LBB1956_662:
	s_or_b64 exec, exec, s[12:13]
	v_add_u32_e32 v13, v9, v13
	v_add_u32_e32 v32, v30, v31
	v_sub_u32_e32 v33, v13, v30
	v_cmp_le_u32_e64 s[8:9], v32, v9
	v_cmp_le_u32_e64 s[12:13], v33, v20
	s_or_b64 s[8:9], s[8:9], s[12:13]
	s_and_saveexec_b64 s[22:23], s[8:9]
	s_cbranch_execz .LBB1956_762
; %bb.663:
	v_cmp_ge_u32_e64 s[8:9], v32, v9
	v_cmp_lt_u32_e64 s[12:13], v32, v9
                                        ; implicit-def: $vgpr13
	s_and_saveexec_b64 s[24:25], s[12:13]
	s_cbranch_execz .LBB1956_665
; %bb.664:
	v_lshl_add_u32 v4, v30, 1, v21
	ds_read_u16 v13, v4
.LBB1956_665:
	s_or_b64 exec, exec, s[24:25]
	v_cmp_ge_u32_e64 s[24:25], v33, v20
	v_cmp_lt_u32_e64 s[12:13], v33, v20
                                        ; implicit-def: $vgpr21
	s_and_saveexec_b64 s[26:27], s[12:13]
	s_cbranch_execz .LBB1956_667
; %bb.666:
	v_lshl_add_u32 v4, v33, 1, v12
	ds_read_u16 v21, v4
.LBB1956_667:
	s_or_b64 exec, exec, s[26:27]
	s_or_b64 s[8:9], s[8:9], s[24:25]
	s_xor_b64 s[8:9], s[8:9], -1
	s_and_saveexec_b64 s[12:13], s[8:9]
	s_cbranch_execz .LBB1956_677
; %bb.668:
	s_waitcnt lgkmcnt(0)
	v_lshlrev_b32_e32 v4, 16, v21
	v_add_f32_e32 v5, 0, v4
	s_mov_b32 s8, 0x7f800000
	v_and_b32_e32 v4, 0x7f800000, v5
	v_cmp_ne_u32_e64 s[8:9], s8, v4
                                        ; implicit-def: $vgpr4
	s_and_saveexec_b64 s[26:27], s[8:9]
	s_xor_b64 s[8:9], exec, s[26:27]
; %bb.669:
	v_bfe_u32 v4, v5, 16, 1
	s_movk_i32 s26, 0x7fff
	v_add3_u32 v4, v5, v4, s26
                                        ; implicit-def: $vgpr5
; %bb.670:
	s_andn2_saveexec_b64 s[26:27], s[8:9]
; %bb.671:
	v_mov_b32_e32 v4, 0
	v_or_b32_e32 v10, 0x10000, v5
	v_cmp_eq_u32_sdwa s[8:9], v5, v4 src0_sel:WORD_0 src1_sel:DWORD
	v_cndmask_b32_e64 v4, v10, v5, s[8:9]
; %bb.672:
	s_or_b64 exec, exec, s[26:27]
	v_lshlrev_b32_e32 v5, 16, v13
	v_add_f32_e32 v10, 0, v5
	s_mov_b32 s8, 0x7f800000
	v_and_b32_e32 v5, 0x7f800000, v10
	v_cmp_ne_u32_e64 s[8:9], s8, v5
                                        ; implicit-def: $vgpr5
	s_and_saveexec_b64 s[26:27], s[8:9]
	s_xor_b64 s[8:9], exec, s[26:27]
; %bb.673:
	v_bfe_u32 v5, v10, 16, 1
	s_movk_i32 s26, 0x7fff
	v_add3_u32 v5, v10, v5, s26
                                        ; implicit-def: $vgpr10
; %bb.674:
	s_andn2_saveexec_b64 s[26:27], s[8:9]
; %bb.675:
	v_mov_b32_e32 v5, 0
	v_or_b32_e32 v11, 0x10000, v10
	v_cmp_eq_u32_sdwa s[8:9], v10, v5 src0_sel:WORD_0 src1_sel:DWORD
	v_cndmask_b32_e64 v5, v11, v10, s[8:9]
; %bb.676:
	s_or_b64 exec, exec, s[26:27]
	s_mov_b32 s8, 0x7060302
	v_perm_b32 v10, v5, v4, s8
	v_mov_b32_e32 v11, 0xffff8000
	v_cmp_lt_i32_e64 s[8:9], -1, v4
	v_cndmask_b32_e64 v4, -1, v11, s[8:9]
	v_cmp_lt_i32_e64 s[8:9], -1, v5
	v_cndmask_b32_e64 v5, -1, v11, s[8:9]
	s_mov_b32 s8, 0x5040100
	v_perm_b32 v4, v5, v4, s8
	v_xor_b32_e32 v4, v4, v10
	v_cmp_le_u16_sdwa s[8:9], v4, v4 src0_sel:DWORD src1_sel:WORD_1
	s_andn2_b64 s[24:25], s[24:25], exec
	s_and_b64 s[8:9], s[8:9], exec
	s_or_b64 s[24:25], s[24:25], s[8:9]
.LBB1956_677:
	s_or_b64 exec, exec, s[12:13]
	v_cndmask_b32_e64 v4, v33, v32, s[24:25]
	v_cndmask_b32_e64 v5, v20, v9, s[24:25]
	v_add_u32_e32 v10, 1, v4
	v_add_u32_e32 v5, -1, v5
	v_min_u32_e32 v5, v10, v5
	v_lshl_add_u32 v5, v5, 1, v12
	ds_read_u16 v11, v5
	v_lshl_add_u32 v4, v4, 3, v8
	ds_read_b64 v[4:5], v4 offset:4096
	v_cndmask_b32_e64 v14, v10, v33, s[24:25]
	v_cndmask_b32_e64 v15, v32, v10, s[24:25]
	s_waitcnt lgkmcnt(1)
	v_cndmask_b32_e64 v30, v11, v21, s[24:25]
	v_cndmask_b32_e64 v31, v13, v11, s[24:25]
	v_cmp_lt_u32_e64 s[8:9], v14, v20
	s_mov_b64 s[26:27], -1
	s_mov_b64 s[12:13], -1
	s_and_saveexec_b64 s[28:29], s[8:9]
	s_cbranch_execz .LBB1956_689
; %bb.678:
	v_cmp_lt_u32_e64 s[8:9], v15, v9
	s_mov_b64 s[30:31], 0
	s_and_saveexec_b64 s[12:13], s[8:9]
	s_cbranch_execz .LBB1956_688
; %bb.679:
	v_lshlrev_b32_e32 v10, 16, v30
	v_add_f32_e32 v11, 0, v10
	s_mov_b32 s8, 0x7f800000
	v_and_b32_e32 v10, 0x7f800000, v11
	v_cmp_ne_u32_e64 s[8:9], s8, v10
                                        ; implicit-def: $vgpr10
	s_and_saveexec_b64 s[30:31], s[8:9]
	s_xor_b64 s[8:9], exec, s[30:31]
; %bb.680:
	v_bfe_u32 v10, v11, 16, 1
	s_movk_i32 s30, 0x7fff
	v_add3_u32 v10, v11, v10, s30
                                        ; implicit-def: $vgpr11
; %bb.681:
	s_andn2_saveexec_b64 s[30:31], s[8:9]
; %bb.682:
	v_mov_b32_e32 v10, 0
	v_or_b32_e32 v16, 0x10000, v11
	v_cmp_eq_u32_sdwa s[8:9], v11, v10 src0_sel:WORD_0 src1_sel:DWORD
	v_cndmask_b32_e64 v10, v16, v11, s[8:9]
; %bb.683:
	s_or_b64 exec, exec, s[30:31]
	v_lshlrev_b32_e32 v11, 16, v31
	v_add_f32_e32 v16, 0, v11
	s_mov_b32 s8, 0x7f800000
	v_and_b32_e32 v11, 0x7f800000, v16
	v_cmp_ne_u32_e64 s[8:9], s8, v11
                                        ; implicit-def: $vgpr11
	s_and_saveexec_b64 s[30:31], s[8:9]
	s_xor_b64 s[8:9], exec, s[30:31]
; %bb.684:
	v_bfe_u32 v11, v16, 16, 1
	s_movk_i32 s30, 0x7fff
	v_add3_u32 v11, v16, v11, s30
                                        ; implicit-def: $vgpr16
; %bb.685:
	s_andn2_saveexec_b64 s[30:31], s[8:9]
; %bb.686:
	v_mov_b32_e32 v11, 0
	v_or_b32_e32 v17, 0x10000, v16
	v_cmp_eq_u32_sdwa s[8:9], v16, v11 src0_sel:WORD_0 src1_sel:DWORD
	v_cndmask_b32_e64 v11, v17, v16, s[8:9]
; %bb.687:
	s_or_b64 exec, exec, s[30:31]
	s_mov_b32 s8, 0x7060302
	v_perm_b32 v16, v11, v10, s8
	v_mov_b32_e32 v17, 0xffff8000
	v_cmp_lt_i32_e64 s[8:9], -1, v10
	v_cndmask_b32_e64 v10, -1, v17, s[8:9]
	v_cmp_lt_i32_e64 s[8:9], -1, v11
	v_cndmask_b32_e64 v11, -1, v17, s[8:9]
	s_mov_b32 s8, 0x5040100
	v_perm_b32 v10, v11, v10, s8
	v_xor_b32_e32 v10, v10, v16
	v_cmp_le_u16_sdwa s[8:9], v10, v10 src0_sel:DWORD src1_sel:WORD_1
	s_and_b64 s[30:31], s[8:9], exec
.LBB1956_688:
	s_or_b64 exec, exec, s[12:13]
	s_orn2_b64 s[12:13], s[30:31], exec
.LBB1956_689:
	s_or_b64 exec, exec, s[28:29]
	v_cndmask_b32_e64 v10, v14, v15, s[12:13]
	v_cndmask_b32_e64 v11, v20, v9, s[12:13]
	v_add_u32_e32 v16, 1, v10
	v_add_u32_e32 v11, -1, v11
	v_min_u32_e32 v11, v16, v11
	v_lshl_add_u32 v11, v11, 1, v12
	ds_read_u16 v17, v11
	v_lshl_add_u32 v10, v10, 3, v8
	ds_read_b64 v[10:11], v10 offset:4096
	v_cndmask_b32_e64 v14, v16, v14, s[12:13]
	v_cndmask_b32_e64 v15, v15, v16, s[12:13]
	s_waitcnt lgkmcnt(1)
	v_cndmask_b32_e64 v32, v17, v30, s[12:13]
	v_cndmask_b32_e64 v33, v31, v17, s[12:13]
	v_cmp_lt_u32_e64 s[8:9], v14, v20
	s_and_saveexec_b64 s[28:29], s[8:9]
	s_cbranch_execz .LBB1956_701
; %bb.690:
	v_cmp_lt_u32_e64 s[8:9], v15, v9
	s_mov_b64 s[30:31], 0
	s_and_saveexec_b64 s[26:27], s[8:9]
	s_cbranch_execz .LBB1956_700
; %bb.691:
	v_lshlrev_b32_e32 v16, 16, v32
	v_add_f32_e32 v17, 0, v16
	s_mov_b32 s8, 0x7f800000
	v_and_b32_e32 v16, 0x7f800000, v17
	v_cmp_ne_u32_e64 s[8:9], s8, v16
                                        ; implicit-def: $vgpr16
	s_and_saveexec_b64 s[30:31], s[8:9]
	s_xor_b64 s[8:9], exec, s[30:31]
; %bb.692:
	v_bfe_u32 v16, v17, 16, 1
	s_movk_i32 s30, 0x7fff
	v_add3_u32 v16, v17, v16, s30
                                        ; implicit-def: $vgpr17
; %bb.693:
	s_andn2_saveexec_b64 s[30:31], s[8:9]
; %bb.694:
	v_mov_b32_e32 v16, 0
	v_or_b32_e32 v18, 0x10000, v17
	v_cmp_eq_u32_sdwa s[8:9], v17, v16 src0_sel:WORD_0 src1_sel:DWORD
	v_cndmask_b32_e64 v16, v18, v17, s[8:9]
; %bb.695:
	s_or_b64 exec, exec, s[30:31]
	v_lshlrev_b32_e32 v17, 16, v33
	v_add_f32_e32 v18, 0, v17
	s_mov_b32 s8, 0x7f800000
	v_and_b32_e32 v17, 0x7f800000, v18
	v_cmp_ne_u32_e64 s[8:9], s8, v17
                                        ; implicit-def: $vgpr17
	s_and_saveexec_b64 s[30:31], s[8:9]
	s_xor_b64 s[8:9], exec, s[30:31]
; %bb.696:
	v_bfe_u32 v17, v18, 16, 1
	s_movk_i32 s30, 0x7fff
	v_add3_u32 v17, v18, v17, s30
                                        ; implicit-def: $vgpr18
; %bb.697:
	s_andn2_saveexec_b64 s[30:31], s[8:9]
; %bb.698:
	v_mov_b32_e32 v17, 0
	v_or_b32_e32 v19, 0x10000, v18
	v_cmp_eq_u32_sdwa s[8:9], v18, v17 src0_sel:WORD_0 src1_sel:DWORD
	v_cndmask_b32_e64 v17, v19, v18, s[8:9]
; %bb.699:
	s_or_b64 exec, exec, s[30:31]
	s_mov_b32 s8, 0x7060302
	v_perm_b32 v18, v17, v16, s8
	v_mov_b32_e32 v19, 0xffff8000
	v_cmp_lt_i32_e64 s[8:9], -1, v16
	v_cndmask_b32_e64 v16, -1, v19, s[8:9]
	v_cmp_lt_i32_e64 s[8:9], -1, v17
	v_cndmask_b32_e64 v17, -1, v19, s[8:9]
	s_mov_b32 s8, 0x5040100
	v_perm_b32 v16, v17, v16, s8
	v_xor_b32_e32 v16, v16, v18
	v_cmp_le_u16_sdwa s[8:9], v16, v16 src0_sel:DWORD src1_sel:WORD_1
	s_and_b64 s[30:31], s[8:9], exec
.LBB1956_700:
	s_or_b64 exec, exec, s[26:27]
	s_orn2_b64 s[26:27], s[30:31], exec
.LBB1956_701:
	s_or_b64 exec, exec, s[28:29]
	v_cndmask_b32_e64 v16, v14, v15, s[26:27]
	v_cndmask_b32_e64 v17, v20, v9, s[26:27]
	v_add_u32_e32 v18, 1, v16
	v_add_u32_e32 v17, -1, v17
	v_min_u32_e32 v17, v18, v17
	v_lshl_add_u32 v17, v17, 1, v12
	ds_read_u16 v17, v17
	v_lshl_add_u32 v16, v16, 3, v8
	ds_read_b64 v[26:27], v16 offset:4096
	v_cndmask_b32_e64 v16, v18, v14, s[26:27]
	v_cmp_lt_u32_e64 s[8:9], v16, v20
	s_waitcnt lgkmcnt(1)
	v_cndmask_b32_e64 v22, v17, v32, s[26:27]
	v_cndmask_b32_e64 v23, v33, v17, s[26:27]
	;; [unrolled: 1-line block ×3, first 2 shown]
	s_mov_b64 s[30:31], -1
	s_mov_b64 s[28:29], -1
	s_and_saveexec_b64 s[34:35], s[8:9]
	s_cbranch_execz .LBB1956_713
; %bb.702:
	v_cmp_lt_u32_e64 s[8:9], v17, v9
	s_mov_b64 s[36:37], 0
	s_and_saveexec_b64 s[28:29], s[8:9]
	s_cbranch_execz .LBB1956_712
; %bb.703:
	v_lshlrev_b32_e32 v14, 16, v22
	v_add_f32_e32 v15, 0, v14
	s_mov_b32 s8, 0x7f800000
	v_and_b32_e32 v14, 0x7f800000, v15
	v_cmp_ne_u32_e64 s[8:9], s8, v14
                                        ; implicit-def: $vgpr14
	s_and_saveexec_b64 s[36:37], s[8:9]
	s_xor_b64 s[8:9], exec, s[36:37]
; %bb.704:
	v_bfe_u32 v14, v15, 16, 1
	s_movk_i32 s36, 0x7fff
	v_add3_u32 v14, v15, v14, s36
                                        ; implicit-def: $vgpr15
; %bb.705:
	s_andn2_saveexec_b64 s[36:37], s[8:9]
; %bb.706:
	v_mov_b32_e32 v14, 0
	v_or_b32_e32 v18, 0x10000, v15
	v_cmp_eq_u32_sdwa s[8:9], v15, v14 src0_sel:WORD_0 src1_sel:DWORD
	v_cndmask_b32_e64 v14, v18, v15, s[8:9]
; %bb.707:
	s_or_b64 exec, exec, s[36:37]
	v_lshlrev_b32_e32 v15, 16, v23
	v_add_f32_e32 v18, 0, v15
	s_mov_b32 s8, 0x7f800000
	v_and_b32_e32 v15, 0x7f800000, v18
	v_cmp_ne_u32_e64 s[8:9], s8, v15
                                        ; implicit-def: $vgpr15
	s_and_saveexec_b64 s[36:37], s[8:9]
	s_xor_b64 s[8:9], exec, s[36:37]
; %bb.708:
	v_bfe_u32 v15, v18, 16, 1
	s_movk_i32 s36, 0x7fff
	v_add3_u32 v15, v18, v15, s36
                                        ; implicit-def: $vgpr18
; %bb.709:
	s_andn2_saveexec_b64 s[36:37], s[8:9]
; %bb.710:
	v_mov_b32_e32 v15, 0
	v_or_b32_e32 v19, 0x10000, v18
	v_cmp_eq_u32_sdwa s[8:9], v18, v15 src0_sel:WORD_0 src1_sel:DWORD
	v_cndmask_b32_e64 v15, v19, v18, s[8:9]
; %bb.711:
	s_or_b64 exec, exec, s[36:37]
	s_mov_b32 s8, 0x7060302
	v_perm_b32 v18, v15, v14, s8
	v_mov_b32_e32 v19, 0xffff8000
	v_cmp_lt_i32_e64 s[8:9], -1, v14
	v_cndmask_b32_e64 v14, -1, v19, s[8:9]
	v_cmp_lt_i32_e64 s[8:9], -1, v15
	v_cndmask_b32_e64 v15, -1, v19, s[8:9]
	s_mov_b32 s8, 0x5040100
	v_perm_b32 v14, v15, v14, s8
	v_xor_b32_e32 v14, v14, v18
	v_cmp_le_u16_sdwa s[8:9], v14, v14 src0_sel:DWORD src1_sel:WORD_1
	s_and_b64 s[36:37], s[8:9], exec
.LBB1956_712:
	s_or_b64 exec, exec, s[28:29]
	s_orn2_b64 s[28:29], s[36:37], exec
.LBB1956_713:
	s_or_b64 exec, exec, s[34:35]
	v_cndmask_b32_e64 v14, v16, v17, s[28:29]
	v_cndmask_b32_e64 v15, v20, v9, s[28:29]
	v_add_u32_e32 v18, 1, v14
	v_add_u32_e32 v15, -1, v15
	v_min_u32_e32 v15, v18, v15
	v_lshl_add_u32 v15, v15, 1, v12
	ds_read_u16 v19, v15
	v_lshl_add_u32 v14, v14, 3, v8
	ds_read_b64 v[14:15], v14 offset:4096
	v_cndmask_b32_e64 v16, v18, v16, s[28:29]
	v_cndmask_b32_e64 v17, v17, v18, s[28:29]
	s_waitcnt lgkmcnt(1)
	v_cndmask_b32_e64 v36, v19, v22, s[28:29]
	v_cndmask_b32_e64 v37, v23, v19, s[28:29]
	v_cmp_lt_u32_e64 s[8:9], v16, v20
	s_and_saveexec_b64 s[34:35], s[8:9]
	s_cbranch_execz .LBB1956_725
; %bb.714:
	v_cmp_lt_u32_e64 s[8:9], v17, v9
	s_mov_b64 s[36:37], 0
	s_and_saveexec_b64 s[30:31], s[8:9]
	s_cbranch_execz .LBB1956_724
; %bb.715:
	v_lshlrev_b32_e32 v18, 16, v36
	v_add_f32_e32 v19, 0, v18
	s_mov_b32 s8, 0x7f800000
	v_and_b32_e32 v18, 0x7f800000, v19
	v_cmp_ne_u32_e64 s[8:9], s8, v18
                                        ; implicit-def: $vgpr18
	s_and_saveexec_b64 s[36:37], s[8:9]
	s_xor_b64 s[8:9], exec, s[36:37]
; %bb.716:
	v_bfe_u32 v18, v19, 16, 1
	s_movk_i32 s36, 0x7fff
	v_add3_u32 v18, v19, v18, s36
                                        ; implicit-def: $vgpr19
; %bb.717:
	s_andn2_saveexec_b64 s[36:37], s[8:9]
; %bb.718:
	v_mov_b32_e32 v18, 0
	v_or_b32_e32 v28, 0x10000, v19
	v_cmp_eq_u32_sdwa s[8:9], v19, v18 src0_sel:WORD_0 src1_sel:DWORD
	v_cndmask_b32_e64 v18, v28, v19, s[8:9]
; %bb.719:
	s_or_b64 exec, exec, s[36:37]
	v_lshlrev_b32_e32 v19, 16, v37
	v_add_f32_e32 v28, 0, v19
	s_mov_b32 s8, 0x7f800000
	v_and_b32_e32 v19, 0x7f800000, v28
	v_cmp_ne_u32_e64 s[8:9], s8, v19
                                        ; implicit-def: $vgpr19
	s_and_saveexec_b64 s[36:37], s[8:9]
	s_xor_b64 s[8:9], exec, s[36:37]
; %bb.720:
	v_bfe_u32 v19, v28, 16, 1
	s_movk_i32 s36, 0x7fff
	v_add3_u32 v19, v28, v19, s36
                                        ; implicit-def: $vgpr28
; %bb.721:
	s_andn2_saveexec_b64 s[36:37], s[8:9]
; %bb.722:
	v_mov_b32_e32 v19, 0
	v_or_b32_e32 v29, 0x10000, v28
	v_cmp_eq_u32_sdwa s[8:9], v28, v19 src0_sel:WORD_0 src1_sel:DWORD
	v_cndmask_b32_e64 v19, v29, v28, s[8:9]
; %bb.723:
	s_or_b64 exec, exec, s[36:37]
	s_mov_b32 s8, 0x7060302
	v_perm_b32 v28, v19, v18, s8
	v_mov_b32_e32 v29, 0xffff8000
	v_cmp_lt_i32_e64 s[8:9], -1, v18
	v_cndmask_b32_e64 v18, -1, v29, s[8:9]
	v_cmp_lt_i32_e64 s[8:9], -1, v19
	v_cndmask_b32_e64 v19, -1, v29, s[8:9]
	s_mov_b32 s8, 0x5040100
	v_perm_b32 v18, v19, v18, s8
	v_xor_b32_e32 v18, v18, v28
	v_cmp_le_u16_sdwa s[8:9], v18, v18 src0_sel:DWORD src1_sel:WORD_1
	s_and_b64 s[36:37], s[8:9], exec
.LBB1956_724:
	s_or_b64 exec, exec, s[30:31]
	s_orn2_b64 s[30:31], s[36:37], exec
.LBB1956_725:
	s_or_b64 exec, exec, s[34:35]
	v_cndmask_b32_e64 v18, v16, v17, s[30:31]
	v_cndmask_b32_e64 v19, v20, v9, s[30:31]
	v_add_u32_e32 v48, 1, v18
	v_add_u32_e32 v19, -1, v19
	v_min_u32_e32 v19, v48, v19
	v_lshl_add_u32 v19, v19, 1, v12
	ds_read_u16 v19, v19
	v_lshl_add_u32 v18, v18, 3, v8
	ds_read_b64 v[28:29], v18 offset:4096
	v_cndmask_b32_e64 v16, v48, v16, s[30:31]
	v_cndmask_b32_e64 v17, v17, v48, s[30:31]
	s_waitcnt lgkmcnt(1)
	v_cndmask_b32_e64 v38, v19, v36, s[30:31]
	v_cndmask_b32_e64 v39, v37, v19, s[30:31]
	v_cmp_lt_u32_e64 s[8:9], v16, v20
	s_mov_b64 s[36:37], -1
	s_mov_b64 s[34:35], -1
	s_and_saveexec_b64 s[38:39], s[8:9]
	s_cbranch_execz .LBB1956_737
; %bb.726:
	v_cmp_lt_u32_e64 s[8:9], v17, v9
	s_mov_b64 s[40:41], 0
	s_and_saveexec_b64 s[34:35], s[8:9]
	s_cbranch_execz .LBB1956_736
; %bb.727:
	v_lshlrev_b32_e32 v18, 16, v38
	v_add_f32_e32 v19, 0, v18
	s_mov_b32 s8, 0x7f800000
	v_and_b32_e32 v18, 0x7f800000, v19
	v_cmp_ne_u32_e64 s[8:9], s8, v18
                                        ; implicit-def: $vgpr18
	s_and_saveexec_b64 s[40:41], s[8:9]
	s_xor_b64 s[8:9], exec, s[40:41]
; %bb.728:
	v_bfe_u32 v18, v19, 16, 1
	s_movk_i32 s40, 0x7fff
	v_add3_u32 v18, v19, v18, s40
                                        ; implicit-def: $vgpr19
; %bb.729:
	s_andn2_saveexec_b64 s[40:41], s[8:9]
; %bb.730:
	v_mov_b32_e32 v18, 0
	v_or_b32_e32 v48, 0x10000, v19
	v_cmp_eq_u32_sdwa s[8:9], v19, v18 src0_sel:WORD_0 src1_sel:DWORD
	v_cndmask_b32_e64 v18, v48, v19, s[8:9]
; %bb.731:
	s_or_b64 exec, exec, s[40:41]
	v_lshlrev_b32_e32 v19, 16, v39
	v_add_f32_e32 v48, 0, v19
	s_mov_b32 s8, 0x7f800000
	v_and_b32_e32 v19, 0x7f800000, v48
	v_cmp_ne_u32_e64 s[8:9], s8, v19
                                        ; implicit-def: $vgpr19
	s_and_saveexec_b64 s[40:41], s[8:9]
	s_xor_b64 s[8:9], exec, s[40:41]
; %bb.732:
	v_bfe_u32 v19, v48, 16, 1
	s_movk_i32 s40, 0x7fff
	v_add3_u32 v19, v48, v19, s40
                                        ; implicit-def: $vgpr48
; %bb.733:
	s_andn2_saveexec_b64 s[40:41], s[8:9]
; %bb.734:
	v_mov_b32_e32 v19, 0
	v_or_b32_e32 v49, 0x10000, v48
	v_cmp_eq_u32_sdwa s[8:9], v48, v19 src0_sel:WORD_0 src1_sel:DWORD
	v_cndmask_b32_e64 v19, v49, v48, s[8:9]
; %bb.735:
	s_or_b64 exec, exec, s[40:41]
	s_mov_b32 s8, 0x7060302
	v_perm_b32 v48, v19, v18, s8
	v_mov_b32_e32 v49, 0xffff8000
	v_cmp_lt_i32_e64 s[8:9], -1, v18
	v_cndmask_b32_e64 v18, -1, v49, s[8:9]
	v_cmp_lt_i32_e64 s[8:9], -1, v19
	v_cndmask_b32_e64 v19, -1, v49, s[8:9]
	s_mov_b32 s8, 0x5040100
	v_perm_b32 v18, v19, v18, s8
	v_xor_b32_e32 v18, v18, v48
	v_cmp_le_u16_sdwa s[8:9], v18, v18 src0_sel:DWORD src1_sel:WORD_1
	s_and_b64 s[40:41], s[8:9], exec
.LBB1956_736:
	s_or_b64 exec, exec, s[34:35]
	s_orn2_b64 s[34:35], s[40:41], exec
.LBB1956_737:
	s_or_b64 exec, exec, s[38:39]
	v_cndmask_b32_e64 v18, v16, v17, s[34:35]
	v_cndmask_b32_e64 v19, v20, v9, s[34:35]
	v_add_u32_e32 v51, 1, v18
	v_add_u32_e32 v19, -1, v19
	v_min_u32_e32 v19, v51, v19
	v_lshl_add_u32 v19, v19, 1, v12
	ds_read_u16 v49, v19
	v_lshl_add_u32 v18, v18, 3, v8
	ds_read_b64 v[18:19], v18 offset:4096
	v_cndmask_b32_e64 v50, v51, v16, s[34:35]
	v_cndmask_b32_e64 v51, v17, v51, s[34:35]
	s_waitcnt lgkmcnt(1)
	v_cndmask_b32_e64 v48, v49, v38, s[34:35]
	v_cndmask_b32_e64 v49, v39, v49, s[34:35]
	v_cmp_lt_u32_e64 s[8:9], v50, v20
	s_and_saveexec_b64 s[38:39], s[8:9]
	s_cbranch_execz .LBB1956_749
; %bb.738:
	v_cmp_lt_u32_e64 s[8:9], v51, v9
	s_mov_b64 s[40:41], 0
	s_and_saveexec_b64 s[36:37], s[8:9]
	s_cbranch_execz .LBB1956_748
; %bb.739:
	v_lshlrev_b32_e32 v16, 16, v48
	v_add_f32_e32 v17, 0, v16
	s_mov_b32 s8, 0x7f800000
	v_and_b32_e32 v16, 0x7f800000, v17
	v_cmp_ne_u32_e64 s[8:9], s8, v16
                                        ; implicit-def: $vgpr16
	s_and_saveexec_b64 s[40:41], s[8:9]
	s_xor_b64 s[8:9], exec, s[40:41]
; %bb.740:
	v_bfe_u32 v16, v17, 16, 1
	s_movk_i32 s40, 0x7fff
	v_add3_u32 v16, v17, v16, s40
                                        ; implicit-def: $vgpr17
; %bb.741:
	s_andn2_saveexec_b64 s[40:41], s[8:9]
; %bb.742:
	v_mov_b32_e32 v16, 0
	v_or_b32_e32 v52, 0x10000, v17
	v_cmp_eq_u32_sdwa s[8:9], v17, v16 src0_sel:WORD_0 src1_sel:DWORD
	v_cndmask_b32_e64 v16, v52, v17, s[8:9]
; %bb.743:
	s_or_b64 exec, exec, s[40:41]
	v_lshlrev_b32_e32 v17, 16, v49
	v_add_f32_e32 v52, 0, v17
	s_mov_b32 s8, 0x7f800000
	v_and_b32_e32 v17, 0x7f800000, v52
	v_cmp_ne_u32_e64 s[8:9], s8, v17
                                        ; implicit-def: $vgpr17
	s_and_saveexec_b64 s[40:41], s[8:9]
	s_xor_b64 s[8:9], exec, s[40:41]
; %bb.744:
	v_bfe_u32 v17, v52, 16, 1
	s_movk_i32 s40, 0x7fff
	v_add3_u32 v17, v52, v17, s40
                                        ; implicit-def: $vgpr52
; %bb.745:
	s_andn2_saveexec_b64 s[40:41], s[8:9]
; %bb.746:
	v_mov_b32_e32 v17, 0
	v_or_b32_e32 v53, 0x10000, v52
	v_cmp_eq_u32_sdwa s[8:9], v52, v17 src0_sel:WORD_0 src1_sel:DWORD
	v_cndmask_b32_e64 v17, v53, v52, s[8:9]
; %bb.747:
	s_or_b64 exec, exec, s[40:41]
	s_mov_b32 s8, 0x7060302
	v_perm_b32 v52, v17, v16, s8
	v_mov_b32_e32 v53, 0xffff8000
	v_cmp_lt_i32_e64 s[8:9], -1, v16
	v_cndmask_b32_e64 v16, -1, v53, s[8:9]
	v_cmp_lt_i32_e64 s[8:9], -1, v17
	v_cndmask_b32_e64 v17, -1, v53, s[8:9]
	s_mov_b32 s8, 0x5040100
	v_perm_b32 v16, v17, v16, s8
	v_xor_b32_e32 v16, v16, v52
	v_cmp_le_u16_sdwa s[8:9], v16, v16 src0_sel:DWORD src1_sel:WORD_1
	s_and_b64 s[40:41], s[8:9], exec
.LBB1956_748:
	s_or_b64 exec, exec, s[36:37]
	s_orn2_b64 s[36:37], s[40:41], exec
.LBB1956_749:
	s_or_b64 exec, exec, s[38:39]
	v_cndmask_b32_e64 v16, v50, v51, s[36:37]
	v_cndmask_b32_e64 v17, v20, v9, s[36:37]
	v_add_u32_e32 v52, 1, v16
	v_add_u32_e32 v17, -1, v17
	v_min_u32_e32 v17, v52, v17
	v_lshl_add_u32 v12, v17, 1, v12
	ds_read_u16 v53, v12
	v_lshl_add_u32 v12, v16, 3, v8
	ds_read_b64 v[16:17], v12 offset:4096
	v_cndmask_b32_e64 v50, v52, v50, s[36:37]
	v_cndmask_b32_e64 v51, v51, v52, s[36:37]
	s_waitcnt lgkmcnt(1)
	v_cndmask_b32_e64 v12, v53, v48, s[36:37]
	v_cndmask_b32_e64 v54, v49, v53, s[36:37]
	v_cmp_lt_u32_e64 s[8:9], v50, v20
	s_mov_b64 s[40:41], -1
	s_and_saveexec_b64 s[38:39], s[8:9]
	s_cbranch_execz .LBB1956_761
; %bb.750:
	v_cmp_lt_u32_e64 s[8:9], v51, v9
	s_mov_b64 s[42:43], 0
	s_and_saveexec_b64 s[40:41], s[8:9]
	s_cbranch_execz .LBB1956_760
; %bb.751:
	v_lshlrev_b32_e32 v9, 16, v12
	v_add_f32_e32 v20, 0, v9
	s_mov_b32 s8, 0x7f800000
	v_and_b32_e32 v9, 0x7f800000, v20
	v_cmp_ne_u32_e64 s[8:9], s8, v9
                                        ; implicit-def: $vgpr9
	s_and_saveexec_b64 s[42:43], s[8:9]
	s_xor_b64 s[8:9], exec, s[42:43]
; %bb.752:
	v_bfe_u32 v9, v20, 16, 1
	s_movk_i32 s42, 0x7fff
	v_add3_u32 v9, v20, v9, s42
                                        ; implicit-def: $vgpr20
; %bb.753:
	s_andn2_saveexec_b64 s[42:43], s[8:9]
; %bb.754:
	v_mov_b32_e32 v9, 0
	v_or_b32_e32 v52, 0x10000, v20
	v_cmp_eq_u32_sdwa s[8:9], v20, v9 src0_sel:WORD_0 src1_sel:DWORD
	v_cndmask_b32_e64 v9, v52, v20, s[8:9]
; %bb.755:
	s_or_b64 exec, exec, s[42:43]
	v_lshlrev_b32_e32 v20, 16, v54
	v_add_f32_e32 v52, 0, v20
	s_mov_b32 s8, 0x7f800000
	v_and_b32_e32 v20, 0x7f800000, v52
	v_cmp_ne_u32_e64 s[8:9], s8, v20
                                        ; implicit-def: $vgpr20
	s_and_saveexec_b64 s[42:43], s[8:9]
	s_xor_b64 s[8:9], exec, s[42:43]
; %bb.756:
	v_bfe_u32 v20, v52, 16, 1
	s_movk_i32 s42, 0x7fff
	v_add3_u32 v20, v52, v20, s42
                                        ; implicit-def: $vgpr52
; %bb.757:
	s_andn2_saveexec_b64 s[42:43], s[8:9]
; %bb.758:
	v_mov_b32_e32 v20, 0
	v_or_b32_e32 v53, 0x10000, v52
	v_cmp_eq_u32_sdwa s[8:9], v52, v20 src0_sel:WORD_0 src1_sel:DWORD
	v_cndmask_b32_e64 v20, v53, v52, s[8:9]
; %bb.759:
	s_or_b64 exec, exec, s[42:43]
	s_mov_b32 s8, 0x7060302
	v_perm_b32 v52, v20, v9, s8
	v_mov_b32_e32 v53, 0xffff8000
	v_cmp_lt_i32_e64 s[8:9], -1, v9
	v_cndmask_b32_e64 v9, -1, v53, s[8:9]
	v_cmp_lt_i32_e64 s[8:9], -1, v20
	v_cndmask_b32_e64 v20, -1, v53, s[8:9]
	s_mov_b32 s8, 0x5040100
	v_perm_b32 v9, v20, v9, s8
	v_xor_b32_e32 v9, v9, v52
	v_cmp_le_u16_sdwa s[8:9], v9, v9 src0_sel:DWORD src1_sel:WORD_1
	s_and_b64 s[42:43], s[8:9], exec
.LBB1956_760:
	s_or_b64 exec, exec, s[40:41]
	s_orn2_b64 s[40:41], s[42:43], exec
.LBB1956_761:
	s_or_b64 exec, exec, s[38:39]
	v_cndmask_b32_e64 v9, v50, v51, s[40:41]
	v_lshl_add_u32 v8, v9, 3, v8
	v_cndmask_b32_e64 v53, v22, v23, s[28:29]
	ds_read_b64 v[22:23], v8 offset:4096
	v_cndmask_b32_e64 v52, v48, v49, s[36:37]
	v_cndmask_b32_e64 v48, v38, v39, s[34:35]
	;; [unrolled: 1-line block ×7, first 2 shown]
.LBB1956_762:
	s_or_b64 exec, exec, s[22:23]
	v_add_co_u32_e64 v2, s[8:9], v2, v24
	v_addc_co_u32_e64 v3, s[8:9], v3, v25, s[8:9]
	v_add_co_u32_e64 v2, s[8:9], v2, v34
	v_addc_co_u32_e64 v3, s[8:9], 0, v3, s[8:9]
	; wave barrier
	s_waitcnt lgkmcnt(0)
	s_barrier
	s_waitcnt lgkmcnt(0)
	; wave barrier
	s_and_saveexec_b64 s[8:9], vcc
	s_cbranch_execnz .LBB1956_781
; %bb.763:
	s_or_b64 exec, exec, s[8:9]
	s_and_saveexec_b64 s[8:9], s[4:5]
	s_cbranch_execnz .LBB1956_782
.LBB1956_764:
	s_or_b64 exec, exec, s[8:9]
	s_and_saveexec_b64 s[8:9], s[6:7]
	s_cbranch_execnz .LBB1956_783
.LBB1956_765:
	s_or_b64 exec, exec, s[8:9]
	s_and_saveexec_b64 s[8:9], s[18:19]
	s_cbranch_execnz .LBB1956_784
.LBB1956_766:
	s_or_b64 exec, exec, s[8:9]
	s_and_saveexec_b64 s[8:9], s[10:11]
	s_cbranch_execnz .LBB1956_785
.LBB1956_767:
	s_or_b64 exec, exec, s[8:9]
	s_and_saveexec_b64 s[8:9], s[20:21]
	s_cbranch_execnz .LBB1956_786
.LBB1956_768:
	s_or_b64 exec, exec, s[8:9]
	s_and_saveexec_b64 s[8:9], s[14:15]
	s_cbranch_execnz .LBB1956_787
.LBB1956_769:
	s_or_b64 exec, exec, s[8:9]
	s_and_saveexec_b64 s[8:9], s[16:17]
	s_cbranch_execz .LBB1956_771
.LBB1956_770:
	flat_store_short v[2:3], v39 offset:14
.LBB1956_771:
	s_or_b64 exec, exec, s[8:9]
	v_add_co_u32_e64 v0, s[8:9], v6, v0
	v_addc_co_u32_e64 v1, s[8:9], v7, v1, s[8:9]
	v_add_co_u32_e64 v0, s[8:9], v0, v35
	v_addc_co_u32_e64 v1, s[8:9], 0, v1, s[8:9]
	; wave barrier
	s_and_saveexec_b64 s[8:9], vcc
	s_cbranch_execnz .LBB1956_788
; %bb.772:
	s_or_b64 exec, exec, s[8:9]
	s_and_saveexec_b64 s[8:9], s[4:5]
	s_cbranch_execnz .LBB1956_789
.LBB1956_773:
	s_or_b64 exec, exec, s[8:9]
	s_and_saveexec_b64 s[4:5], s[6:7]
	s_cbranch_execnz .LBB1956_790
.LBB1956_774:
	s_or_b64 exec, exec, s[4:5]
	s_and_saveexec_b64 s[4:5], s[18:19]
	s_cbranch_execnz .LBB1956_791
.LBB1956_775:
	s_or_b64 exec, exec, s[4:5]
	s_and_saveexec_b64 s[4:5], s[10:11]
	s_cbranch_execnz .LBB1956_792
.LBB1956_776:
	s_or_b64 exec, exec, s[4:5]
	s_and_saveexec_b64 s[4:5], s[20:21]
	s_cbranch_execnz .LBB1956_793
.LBB1956_777:
	s_or_b64 exec, exec, s[4:5]
	s_and_saveexec_b64 s[4:5], s[14:15]
	s_cbranch_execnz .LBB1956_794
.LBB1956_778:
	s_or_b64 exec, exec, s[4:5]
	s_and_saveexec_b64 s[4:5], s[16:17]
	s_cbranch_execz .LBB1956_780
.LBB1956_779:
	flat_store_dwordx2 v[0:1], v[22:23] offset:56
.LBB1956_780:
	s_or_b64 exec, exec, s[4:5]
	v_readlane_b32 s30, v40, 12
	v_readlane_b32 s31, v40, 13
	;; [unrolled: 1-line block ×14, first 2 shown]
	s_or_saveexec_b64 s[4:5], -1
	buffer_load_dword v40, off, s[0:3], s32 ; 4-byte Folded Reload
	s_mov_b64 exec, s[4:5]
	s_waitcnt vmcnt(0) lgkmcnt(0)
	s_setpc_b64 s[30:31]
.LBB1956_781:
	flat_store_short v[2:3], v38
	s_or_b64 exec, exec, s[8:9]
	s_and_saveexec_b64 s[8:9], s[4:5]
	s_cbranch_execz .LBB1956_764
.LBB1956_782:
	flat_store_short v[2:3], v50 offset:2
	s_or_b64 exec, exec, s[8:9]
	s_and_saveexec_b64 s[8:9], s[6:7]
	s_cbranch_execz .LBB1956_765
.LBB1956_783:
	flat_store_short v[2:3], v51 offset:4
	s_or_b64 exec, exec, s[8:9]
	s_and_saveexec_b64 s[8:9], s[18:19]
	s_cbranch_execz .LBB1956_766
.LBB1956_784:
	flat_store_short v[2:3], v53 offset:6
	s_or_b64 exec, exec, s[8:9]
	s_and_saveexec_b64 s[8:9], s[10:11]
	s_cbranch_execz .LBB1956_767
.LBB1956_785:
	flat_store_short v[2:3], v49 offset:8
	s_or_b64 exec, exec, s[8:9]
	s_and_saveexec_b64 s[8:9], s[20:21]
	s_cbranch_execz .LBB1956_768
.LBB1956_786:
	flat_store_short v[2:3], v48 offset:10
	s_or_b64 exec, exec, s[8:9]
	s_and_saveexec_b64 s[8:9], s[14:15]
	s_cbranch_execz .LBB1956_769
.LBB1956_787:
	flat_store_short v[2:3], v52 offset:12
	s_or_b64 exec, exec, s[8:9]
	s_and_saveexec_b64 s[8:9], s[16:17]
	s_cbranch_execnz .LBB1956_770
	s_branch .LBB1956_771
.LBB1956_788:
	flat_store_dwordx2 v[0:1], v[4:5]
	s_or_b64 exec, exec, s[8:9]
	s_and_saveexec_b64 s[8:9], s[4:5]
	s_cbranch_execz .LBB1956_773
.LBB1956_789:
	flat_store_dwordx2 v[0:1], v[10:11] offset:8
	s_or_b64 exec, exec, s[8:9]
	s_and_saveexec_b64 s[4:5], s[6:7]
	s_cbranch_execz .LBB1956_774
.LBB1956_790:
	flat_store_dwordx2 v[0:1], v[26:27] offset:16
	s_or_b64 exec, exec, s[4:5]
	s_and_saveexec_b64 s[4:5], s[18:19]
	s_cbranch_execz .LBB1956_775
.LBB1956_791:
	flat_store_dwordx2 v[0:1], v[14:15] offset:24
	s_or_b64 exec, exec, s[4:5]
	s_and_saveexec_b64 s[4:5], s[10:11]
	s_cbranch_execz .LBB1956_776
.LBB1956_792:
	flat_store_dwordx2 v[0:1], v[28:29] offset:32
	s_or_b64 exec, exec, s[4:5]
	s_and_saveexec_b64 s[4:5], s[20:21]
	s_cbranch_execz .LBB1956_777
.LBB1956_793:
	flat_store_dwordx2 v[0:1], v[18:19] offset:40
	s_or_b64 exec, exec, s[4:5]
	s_and_saveexec_b64 s[4:5], s[14:15]
	s_cbranch_execz .LBB1956_778
.LBB1956_794:
	flat_store_dwordx2 v[0:1], v[16:17] offset:48
	s_or_b64 exec, exec, s[4:5]
	s_and_saveexec_b64 s[4:5], s[16:17]
	s_cbranch_execnz .LBB1956_779
	s_branch .LBB1956_780
.Lfunc_end1956:
	.size	_ZN7rocprim17ROCPRIM_400000_NS6detail26segmented_warp_sort_helperINS1_20WarpSortHelperConfigILj16ELj8ELj256EEE12hip_bfloat16lLi256ELb1EvE4sortIPKS5_PS5_PKlPlEEvT_T0_T1_T2_jjjjRNS6_12storage_typeE, .Lfunc_end1956-_ZN7rocprim17ROCPRIM_400000_NS6detail26segmented_warp_sort_helperINS1_20WarpSortHelperConfigILj16ELj8ELj256EEE12hip_bfloat16lLi256ELb1EvE4sortIPKS5_PS5_PKlPlEEvT_T0_T1_T2_jjjjRNS6_12storage_typeE
                                        ; -- End function
	.section	.AMDGPU.csdata,"",@progbits
; Function info:
; codeLenInByte = 26960
; NumSgprs: 50
; NumVgprs: 72
; NumAgprs: 0
; TotalNumVgprs: 72
; ScratchSize: 8
; MemoryBound: 0
	.section	.text._ZN7rocprim17ROCPRIM_400000_NS6detail17trampoline_kernelINS0_14default_configENS1_36segmented_radix_sort_config_selectorI12hip_bfloat16lEEZNS1_25segmented_radix_sort_implIS3_Lb1EPKS5_PS5_PKlPlN2at6native12_GLOBAL__N_18offset_tEEE10hipError_tPvRmT1_PNSt15iterator_traitsISL_E10value_typeET2_T3_PNSM_ISR_E10value_typeET4_jRbjT5_SX_jjP12ihipStream_tbEUlT_E0_NS1_11comp_targetILNS1_3genE4ELNS1_11target_archE910ELNS1_3gpuE8ELNS1_3repE0EEENS1_60segmented_radix_sort_warp_sort_medium_config_static_selectorELNS0_4arch9wavefront6targetE1EEEvSL_,"axG",@progbits,_ZN7rocprim17ROCPRIM_400000_NS6detail17trampoline_kernelINS0_14default_configENS1_36segmented_radix_sort_config_selectorI12hip_bfloat16lEEZNS1_25segmented_radix_sort_implIS3_Lb1EPKS5_PS5_PKlPlN2at6native12_GLOBAL__N_18offset_tEEE10hipError_tPvRmT1_PNSt15iterator_traitsISL_E10value_typeET2_T3_PNSM_ISR_E10value_typeET4_jRbjT5_SX_jjP12ihipStream_tbEUlT_E0_NS1_11comp_targetILNS1_3genE4ELNS1_11target_archE910ELNS1_3gpuE8ELNS1_3repE0EEENS1_60segmented_radix_sort_warp_sort_medium_config_static_selectorELNS0_4arch9wavefront6targetE1EEEvSL_,comdat
	.globl	_ZN7rocprim17ROCPRIM_400000_NS6detail17trampoline_kernelINS0_14default_configENS1_36segmented_radix_sort_config_selectorI12hip_bfloat16lEEZNS1_25segmented_radix_sort_implIS3_Lb1EPKS5_PS5_PKlPlN2at6native12_GLOBAL__N_18offset_tEEE10hipError_tPvRmT1_PNSt15iterator_traitsISL_E10value_typeET2_T3_PNSM_ISR_E10value_typeET4_jRbjT5_SX_jjP12ihipStream_tbEUlT_E0_NS1_11comp_targetILNS1_3genE4ELNS1_11target_archE910ELNS1_3gpuE8ELNS1_3repE0EEENS1_60segmented_radix_sort_warp_sort_medium_config_static_selectorELNS0_4arch9wavefront6targetE1EEEvSL_ ; -- Begin function _ZN7rocprim17ROCPRIM_400000_NS6detail17trampoline_kernelINS0_14default_configENS1_36segmented_radix_sort_config_selectorI12hip_bfloat16lEEZNS1_25segmented_radix_sort_implIS3_Lb1EPKS5_PS5_PKlPlN2at6native12_GLOBAL__N_18offset_tEEE10hipError_tPvRmT1_PNSt15iterator_traitsISL_E10value_typeET2_T3_PNSM_ISR_E10value_typeET4_jRbjT5_SX_jjP12ihipStream_tbEUlT_E0_NS1_11comp_targetILNS1_3genE4ELNS1_11target_archE910ELNS1_3gpuE8ELNS1_3repE0EEENS1_60segmented_radix_sort_warp_sort_medium_config_static_selectorELNS0_4arch9wavefront6targetE1EEEvSL_
	.p2align	8
	.type	_ZN7rocprim17ROCPRIM_400000_NS6detail17trampoline_kernelINS0_14default_configENS1_36segmented_radix_sort_config_selectorI12hip_bfloat16lEEZNS1_25segmented_radix_sort_implIS3_Lb1EPKS5_PS5_PKlPlN2at6native12_GLOBAL__N_18offset_tEEE10hipError_tPvRmT1_PNSt15iterator_traitsISL_E10value_typeET2_T3_PNSM_ISR_E10value_typeET4_jRbjT5_SX_jjP12ihipStream_tbEUlT_E0_NS1_11comp_targetILNS1_3genE4ELNS1_11target_archE910ELNS1_3gpuE8ELNS1_3repE0EEENS1_60segmented_radix_sort_warp_sort_medium_config_static_selectorELNS0_4arch9wavefront6targetE1EEEvSL_,@function
_ZN7rocprim17ROCPRIM_400000_NS6detail17trampoline_kernelINS0_14default_configENS1_36segmented_radix_sort_config_selectorI12hip_bfloat16lEEZNS1_25segmented_radix_sort_implIS3_Lb1EPKS5_PS5_PKlPlN2at6native12_GLOBAL__N_18offset_tEEE10hipError_tPvRmT1_PNSt15iterator_traitsISL_E10value_typeET2_T3_PNSM_ISR_E10value_typeET4_jRbjT5_SX_jjP12ihipStream_tbEUlT_E0_NS1_11comp_targetILNS1_3genE4ELNS1_11target_archE910ELNS1_3gpuE8ELNS1_3repE0EEENS1_60segmented_radix_sort_warp_sort_medium_config_static_selectorELNS0_4arch9wavefront6targetE1EEEvSL_: ; @_ZN7rocprim17ROCPRIM_400000_NS6detail17trampoline_kernelINS0_14default_configENS1_36segmented_radix_sort_config_selectorI12hip_bfloat16lEEZNS1_25segmented_radix_sort_implIS3_Lb1EPKS5_PS5_PKlPlN2at6native12_GLOBAL__N_18offset_tEEE10hipError_tPvRmT1_PNSt15iterator_traitsISL_E10value_typeET2_T3_PNSM_ISR_E10value_typeET4_jRbjT5_SX_jjP12ihipStream_tbEUlT_E0_NS1_11comp_targetILNS1_3genE4ELNS1_11target_archE910ELNS1_3gpuE8ELNS1_3repE0EEENS1_60segmented_radix_sort_warp_sort_medium_config_static_selectorELNS0_4arch9wavefront6targetE1EEEvSL_
; %bb.0:
	s_add_u32 flat_scratch_lo, s6, s10
	s_addc_u32 flat_scratch_hi, s7, 0
	s_add_u32 s0, s0, s10
	s_load_dword s6, s[4:5], 0x64
	s_load_dword s10, s[4:5], 0x34
	s_addc_u32 s1, s1, 0
	v_bfe_u32 v1, v0, 10, 10
	v_bfe_u32 v2, v0, 20, 10
	s_waitcnt lgkmcnt(0)
	s_lshr_b32 s7, s6, 16
	s_and_b32 s6, s6, 0xffff
	v_mad_u32_u24 v1, v2, s7, v1
	v_and_b32_e32 v2, 0x3ff, v0
	v_mad_u64_u32 v[2:3], s[6:7], v1, s6, v[2:3]
	v_lshrrev_b32_e32 v1, 4, v2
	v_lshl_add_u32 v2, s8, 4, v1
	v_cmp_gt_u32_e32 vcc, s10, v2
	s_mov_b32 s32, 0
	s_and_saveexec_b64 s[6:7], vcc
	s_cbranch_execz .LBB1957_6
; %bb.1:
	s_load_dwordx2 s[6:7], s[4:5], 0x38
	s_load_dwordx4 s[12:15], s[4:5], 0x40
	v_mov_b32_e32 v3, 0
	v_lshlrev_b64 v[2:3], 2, v[2:3]
	s_waitcnt lgkmcnt(0)
	v_mov_b32_e32 v1, s7
	v_add_co_u32_e32 v2, vcc, s6, v2
	v_addc_co_u32_e32 v3, vcc, v1, v3, vcc
	global_load_dword v1, v[2:3], off
	s_waitcnt vmcnt(0)
	v_add_u32_e32 v2, s13, v1
	v_add_u32_e32 v1, s15, v1
	v_mul_lo_u32 v41, v2, s12
	v_mul_lo_u32 v42, v1, s14
	v_cmp_gt_u32_e32 vcc, v42, v41
	s_and_b64 exec, exec, vcc
	s_cbranch_execz .LBB1957_6
; %bb.2:
	s_load_dword s6, s[4:5], 0x30
	s_load_dwordx4 s[56:59], s[4:5], 0x20
	s_load_dwordx8 s[48:55], s[4:5], 0x0
	s_mov_b32 s46, s8
	s_mov_b32 s33, s9
	s_waitcnt lgkmcnt(0)
	s_bitcmp0_b32 s6, 0
	s_mov_b64 s[6:7], -1
	s_cbranch_scc0 .LBB1957_4
; %bb.3:
	s_add_u32 s8, s4, 0x58
	s_addc_u32 s9, s5, 0
	s_mov_b32 s12, s46
	s_mov_b32 s13, s33
	v_mov_b32_e32 v31, v0
	v_mov_b32_e32 v43, v0
	;; [unrolled: 1-line block ×12, first 2 shown]
	s_getpc_b64 s[6:7]
	s_add_u32 s6, s6, _ZN7rocprim17ROCPRIM_400000_NS6detail26segmented_warp_sort_helperINS1_20WarpSortHelperConfigILj16ELj8ELj256EEE12hip_bfloat16lLi256ELb1EvE4sortIPKS5_PS5_PKlPlEEvT_T0_T1_T2_jjjjRNS6_12storage_typeE@rel32@lo+4
	s_addc_u32 s7, s7, _ZN7rocprim17ROCPRIM_400000_NS6detail26segmented_warp_sort_helperINS1_20WarpSortHelperConfigILj16ELj8ELj256EEE12hip_bfloat16lLi256ELb1EvE4sortIPKS5_PS5_PKlPlEEvT_T0_T1_T2_jjjjRNS6_12storage_typeE@rel32@hi+12
	s_mov_b64 s[50:51], s[4:5]
	s_swappc_b64 s[30:31], s[6:7]
	v_mov_b32_e32 v0, v43
	s_mov_b64 s[4:5], s[50:51]
	s_mov_b64 s[6:7], 0
.LBB1957_4:
	s_andn2_b64 vcc, exec, s[6:7]
	s_cbranch_vccnz .LBB1957_6
; %bb.5:
	s_add_u32 s8, s4, 0x58
	s_addc_u32 s9, s5, 0
	s_mov_b32 s12, s46
	s_mov_b32 s13, s33
	v_mov_b32_e32 v31, v0
	v_mov_b32_e32 v0, s48
	v_mov_b32_e32 v1, s49
	v_mov_b32_e32 v2, s52
	v_mov_b32_e32 v3, s53
	v_mov_b32_e32 v4, s54
	v_mov_b32_e32 v5, s55
	v_mov_b32_e32 v6, s58
	v_mov_b32_e32 v7, s59
	v_mov_b32_e32 v8, v41
	v_mov_b32_e32 v9, v42
	s_getpc_b64 s[4:5]
	s_add_u32 s4, s4, _ZN7rocprim17ROCPRIM_400000_NS6detail26segmented_warp_sort_helperINS1_20WarpSortHelperConfigILj16ELj8ELj256EEE12hip_bfloat16lLi256ELb1EvE4sortIPKS5_PS5_PKlPlEEvT_T0_T1_T2_jjjjRNS6_12storage_typeE@rel32@lo+4
	s_addc_u32 s5, s5, _ZN7rocprim17ROCPRIM_400000_NS6detail26segmented_warp_sort_helperINS1_20WarpSortHelperConfigILj16ELj8ELj256EEE12hip_bfloat16lLi256ELb1EvE4sortIPKS5_PS5_PKlPlEEvT_T0_T1_T2_jjjjRNS6_12storage_typeE@rel32@hi+12
	s_swappc_b64 s[30:31], s[4:5]
.LBB1957_6:
	s_endpgm
	.section	.rodata,"a",@progbits
	.p2align	6, 0x0
	.amdhsa_kernel _ZN7rocprim17ROCPRIM_400000_NS6detail17trampoline_kernelINS0_14default_configENS1_36segmented_radix_sort_config_selectorI12hip_bfloat16lEEZNS1_25segmented_radix_sort_implIS3_Lb1EPKS5_PS5_PKlPlN2at6native12_GLOBAL__N_18offset_tEEE10hipError_tPvRmT1_PNSt15iterator_traitsISL_E10value_typeET2_T3_PNSM_ISR_E10value_typeET4_jRbjT5_SX_jjP12ihipStream_tbEUlT_E0_NS1_11comp_targetILNS1_3genE4ELNS1_11target_archE910ELNS1_3gpuE8ELNS1_3repE0EEENS1_60segmented_radix_sort_warp_sort_medium_config_static_selectorELNS0_4arch9wavefront6targetE1EEEvSL_
		.amdhsa_group_segment_fixed_size 20480
		.amdhsa_private_segment_fixed_size 8
		.amdhsa_kernarg_size 344
		.amdhsa_user_sgpr_count 8
		.amdhsa_user_sgpr_private_segment_buffer 1
		.amdhsa_user_sgpr_dispatch_ptr 0
		.amdhsa_user_sgpr_queue_ptr 0
		.amdhsa_user_sgpr_kernarg_segment_ptr 1
		.amdhsa_user_sgpr_dispatch_id 0
		.amdhsa_user_sgpr_flat_scratch_init 1
		.amdhsa_user_sgpr_kernarg_preload_length 0
		.amdhsa_user_sgpr_kernarg_preload_offset 0
		.amdhsa_user_sgpr_private_segment_size 0
		.amdhsa_uses_dynamic_stack 0
		.amdhsa_system_sgpr_private_segment_wavefront_offset 1
		.amdhsa_system_sgpr_workgroup_id_x 1
		.amdhsa_system_sgpr_workgroup_id_y 1
		.amdhsa_system_sgpr_workgroup_id_z 0
		.amdhsa_system_sgpr_workgroup_info 0
		.amdhsa_system_vgpr_workitem_id 2
		.amdhsa_next_free_vgpr 72
		.amdhsa_next_free_sgpr 60
		.amdhsa_accum_offset 72
		.amdhsa_reserve_vcc 1
		.amdhsa_reserve_flat_scratch 1
		.amdhsa_float_round_mode_32 0
		.amdhsa_float_round_mode_16_64 0
		.amdhsa_float_denorm_mode_32 3
		.amdhsa_float_denorm_mode_16_64 3
		.amdhsa_dx10_clamp 1
		.amdhsa_ieee_mode 1
		.amdhsa_fp16_overflow 0
		.amdhsa_tg_split 0
		.amdhsa_exception_fp_ieee_invalid_op 0
		.amdhsa_exception_fp_denorm_src 0
		.amdhsa_exception_fp_ieee_div_zero 0
		.amdhsa_exception_fp_ieee_overflow 0
		.amdhsa_exception_fp_ieee_underflow 0
		.amdhsa_exception_fp_ieee_inexact 0
		.amdhsa_exception_int_div_zero 0
	.end_amdhsa_kernel
	.section	.text._ZN7rocprim17ROCPRIM_400000_NS6detail17trampoline_kernelINS0_14default_configENS1_36segmented_radix_sort_config_selectorI12hip_bfloat16lEEZNS1_25segmented_radix_sort_implIS3_Lb1EPKS5_PS5_PKlPlN2at6native12_GLOBAL__N_18offset_tEEE10hipError_tPvRmT1_PNSt15iterator_traitsISL_E10value_typeET2_T3_PNSM_ISR_E10value_typeET4_jRbjT5_SX_jjP12ihipStream_tbEUlT_E0_NS1_11comp_targetILNS1_3genE4ELNS1_11target_archE910ELNS1_3gpuE8ELNS1_3repE0EEENS1_60segmented_radix_sort_warp_sort_medium_config_static_selectorELNS0_4arch9wavefront6targetE1EEEvSL_,"axG",@progbits,_ZN7rocprim17ROCPRIM_400000_NS6detail17trampoline_kernelINS0_14default_configENS1_36segmented_radix_sort_config_selectorI12hip_bfloat16lEEZNS1_25segmented_radix_sort_implIS3_Lb1EPKS5_PS5_PKlPlN2at6native12_GLOBAL__N_18offset_tEEE10hipError_tPvRmT1_PNSt15iterator_traitsISL_E10value_typeET2_T3_PNSM_ISR_E10value_typeET4_jRbjT5_SX_jjP12ihipStream_tbEUlT_E0_NS1_11comp_targetILNS1_3genE4ELNS1_11target_archE910ELNS1_3gpuE8ELNS1_3repE0EEENS1_60segmented_radix_sort_warp_sort_medium_config_static_selectorELNS0_4arch9wavefront6targetE1EEEvSL_,comdat
.Lfunc_end1957:
	.size	_ZN7rocprim17ROCPRIM_400000_NS6detail17trampoline_kernelINS0_14default_configENS1_36segmented_radix_sort_config_selectorI12hip_bfloat16lEEZNS1_25segmented_radix_sort_implIS3_Lb1EPKS5_PS5_PKlPlN2at6native12_GLOBAL__N_18offset_tEEE10hipError_tPvRmT1_PNSt15iterator_traitsISL_E10value_typeET2_T3_PNSM_ISR_E10value_typeET4_jRbjT5_SX_jjP12ihipStream_tbEUlT_E0_NS1_11comp_targetILNS1_3genE4ELNS1_11target_archE910ELNS1_3gpuE8ELNS1_3repE0EEENS1_60segmented_radix_sort_warp_sort_medium_config_static_selectorELNS0_4arch9wavefront6targetE1EEEvSL_, .Lfunc_end1957-_ZN7rocprim17ROCPRIM_400000_NS6detail17trampoline_kernelINS0_14default_configENS1_36segmented_radix_sort_config_selectorI12hip_bfloat16lEEZNS1_25segmented_radix_sort_implIS3_Lb1EPKS5_PS5_PKlPlN2at6native12_GLOBAL__N_18offset_tEEE10hipError_tPvRmT1_PNSt15iterator_traitsISL_E10value_typeET2_T3_PNSM_ISR_E10value_typeET4_jRbjT5_SX_jjP12ihipStream_tbEUlT_E0_NS1_11comp_targetILNS1_3genE4ELNS1_11target_archE910ELNS1_3gpuE8ELNS1_3repE0EEENS1_60segmented_radix_sort_warp_sort_medium_config_static_selectorELNS0_4arch9wavefront6targetE1EEEvSL_
                                        ; -- End function
	.section	.AMDGPU.csdata,"",@progbits
; Kernel info:
; codeLenInByte = 464
; NumSgprs: 66
; NumVgprs: 72
; NumAgprs: 0
; TotalNumVgprs: 72
; ScratchSize: 8
; MemoryBound: 0
; FloatMode: 240
; IeeeMode: 1
; LDSByteSize: 20480 bytes/workgroup (compile time only)
; SGPRBlocks: 8
; VGPRBlocks: 8
; NumSGPRsForWavesPerEU: 66
; NumVGPRsForWavesPerEU: 72
; AccumOffset: 72
; Occupancy: 3
; WaveLimiterHint : 0
; COMPUTE_PGM_RSRC2:SCRATCH_EN: 1
; COMPUTE_PGM_RSRC2:USER_SGPR: 8
; COMPUTE_PGM_RSRC2:TRAP_HANDLER: 0
; COMPUTE_PGM_RSRC2:TGID_X_EN: 1
; COMPUTE_PGM_RSRC2:TGID_Y_EN: 1
; COMPUTE_PGM_RSRC2:TGID_Z_EN: 0
; COMPUTE_PGM_RSRC2:TIDIG_COMP_CNT: 2
; COMPUTE_PGM_RSRC3_GFX90A:ACCUM_OFFSET: 17
; COMPUTE_PGM_RSRC3_GFX90A:TG_SPLIT: 0
	.section	.text._ZN7rocprim17ROCPRIM_400000_NS6detail17trampoline_kernelINS0_14default_configENS1_36segmented_radix_sort_config_selectorI12hip_bfloat16lEEZNS1_25segmented_radix_sort_implIS3_Lb1EPKS5_PS5_PKlPlN2at6native12_GLOBAL__N_18offset_tEEE10hipError_tPvRmT1_PNSt15iterator_traitsISL_E10value_typeET2_T3_PNSM_ISR_E10value_typeET4_jRbjT5_SX_jjP12ihipStream_tbEUlT_E0_NS1_11comp_targetILNS1_3genE3ELNS1_11target_archE908ELNS1_3gpuE7ELNS1_3repE0EEENS1_60segmented_radix_sort_warp_sort_medium_config_static_selectorELNS0_4arch9wavefront6targetE1EEEvSL_,"axG",@progbits,_ZN7rocprim17ROCPRIM_400000_NS6detail17trampoline_kernelINS0_14default_configENS1_36segmented_radix_sort_config_selectorI12hip_bfloat16lEEZNS1_25segmented_radix_sort_implIS3_Lb1EPKS5_PS5_PKlPlN2at6native12_GLOBAL__N_18offset_tEEE10hipError_tPvRmT1_PNSt15iterator_traitsISL_E10value_typeET2_T3_PNSM_ISR_E10value_typeET4_jRbjT5_SX_jjP12ihipStream_tbEUlT_E0_NS1_11comp_targetILNS1_3genE3ELNS1_11target_archE908ELNS1_3gpuE7ELNS1_3repE0EEENS1_60segmented_radix_sort_warp_sort_medium_config_static_selectorELNS0_4arch9wavefront6targetE1EEEvSL_,comdat
	.globl	_ZN7rocprim17ROCPRIM_400000_NS6detail17trampoline_kernelINS0_14default_configENS1_36segmented_radix_sort_config_selectorI12hip_bfloat16lEEZNS1_25segmented_radix_sort_implIS3_Lb1EPKS5_PS5_PKlPlN2at6native12_GLOBAL__N_18offset_tEEE10hipError_tPvRmT1_PNSt15iterator_traitsISL_E10value_typeET2_T3_PNSM_ISR_E10value_typeET4_jRbjT5_SX_jjP12ihipStream_tbEUlT_E0_NS1_11comp_targetILNS1_3genE3ELNS1_11target_archE908ELNS1_3gpuE7ELNS1_3repE0EEENS1_60segmented_radix_sort_warp_sort_medium_config_static_selectorELNS0_4arch9wavefront6targetE1EEEvSL_ ; -- Begin function _ZN7rocprim17ROCPRIM_400000_NS6detail17trampoline_kernelINS0_14default_configENS1_36segmented_radix_sort_config_selectorI12hip_bfloat16lEEZNS1_25segmented_radix_sort_implIS3_Lb1EPKS5_PS5_PKlPlN2at6native12_GLOBAL__N_18offset_tEEE10hipError_tPvRmT1_PNSt15iterator_traitsISL_E10value_typeET2_T3_PNSM_ISR_E10value_typeET4_jRbjT5_SX_jjP12ihipStream_tbEUlT_E0_NS1_11comp_targetILNS1_3genE3ELNS1_11target_archE908ELNS1_3gpuE7ELNS1_3repE0EEENS1_60segmented_radix_sort_warp_sort_medium_config_static_selectorELNS0_4arch9wavefront6targetE1EEEvSL_
	.p2align	8
	.type	_ZN7rocprim17ROCPRIM_400000_NS6detail17trampoline_kernelINS0_14default_configENS1_36segmented_radix_sort_config_selectorI12hip_bfloat16lEEZNS1_25segmented_radix_sort_implIS3_Lb1EPKS5_PS5_PKlPlN2at6native12_GLOBAL__N_18offset_tEEE10hipError_tPvRmT1_PNSt15iterator_traitsISL_E10value_typeET2_T3_PNSM_ISR_E10value_typeET4_jRbjT5_SX_jjP12ihipStream_tbEUlT_E0_NS1_11comp_targetILNS1_3genE3ELNS1_11target_archE908ELNS1_3gpuE7ELNS1_3repE0EEENS1_60segmented_radix_sort_warp_sort_medium_config_static_selectorELNS0_4arch9wavefront6targetE1EEEvSL_,@function
_ZN7rocprim17ROCPRIM_400000_NS6detail17trampoline_kernelINS0_14default_configENS1_36segmented_radix_sort_config_selectorI12hip_bfloat16lEEZNS1_25segmented_radix_sort_implIS3_Lb1EPKS5_PS5_PKlPlN2at6native12_GLOBAL__N_18offset_tEEE10hipError_tPvRmT1_PNSt15iterator_traitsISL_E10value_typeET2_T3_PNSM_ISR_E10value_typeET4_jRbjT5_SX_jjP12ihipStream_tbEUlT_E0_NS1_11comp_targetILNS1_3genE3ELNS1_11target_archE908ELNS1_3gpuE7ELNS1_3repE0EEENS1_60segmented_radix_sort_warp_sort_medium_config_static_selectorELNS0_4arch9wavefront6targetE1EEEvSL_: ; @_ZN7rocprim17ROCPRIM_400000_NS6detail17trampoline_kernelINS0_14default_configENS1_36segmented_radix_sort_config_selectorI12hip_bfloat16lEEZNS1_25segmented_radix_sort_implIS3_Lb1EPKS5_PS5_PKlPlN2at6native12_GLOBAL__N_18offset_tEEE10hipError_tPvRmT1_PNSt15iterator_traitsISL_E10value_typeET2_T3_PNSM_ISR_E10value_typeET4_jRbjT5_SX_jjP12ihipStream_tbEUlT_E0_NS1_11comp_targetILNS1_3genE3ELNS1_11target_archE908ELNS1_3gpuE7ELNS1_3repE0EEENS1_60segmented_radix_sort_warp_sort_medium_config_static_selectorELNS0_4arch9wavefront6targetE1EEEvSL_
; %bb.0:
	.section	.rodata,"a",@progbits
	.p2align	6, 0x0
	.amdhsa_kernel _ZN7rocprim17ROCPRIM_400000_NS6detail17trampoline_kernelINS0_14default_configENS1_36segmented_radix_sort_config_selectorI12hip_bfloat16lEEZNS1_25segmented_radix_sort_implIS3_Lb1EPKS5_PS5_PKlPlN2at6native12_GLOBAL__N_18offset_tEEE10hipError_tPvRmT1_PNSt15iterator_traitsISL_E10value_typeET2_T3_PNSM_ISR_E10value_typeET4_jRbjT5_SX_jjP12ihipStream_tbEUlT_E0_NS1_11comp_targetILNS1_3genE3ELNS1_11target_archE908ELNS1_3gpuE7ELNS1_3repE0EEENS1_60segmented_radix_sort_warp_sort_medium_config_static_selectorELNS0_4arch9wavefront6targetE1EEEvSL_
		.amdhsa_group_segment_fixed_size 0
		.amdhsa_private_segment_fixed_size 0
		.amdhsa_kernarg_size 88
		.amdhsa_user_sgpr_count 6
		.amdhsa_user_sgpr_private_segment_buffer 1
		.amdhsa_user_sgpr_dispatch_ptr 0
		.amdhsa_user_sgpr_queue_ptr 0
		.amdhsa_user_sgpr_kernarg_segment_ptr 1
		.amdhsa_user_sgpr_dispatch_id 0
		.amdhsa_user_sgpr_flat_scratch_init 0
		.amdhsa_user_sgpr_kernarg_preload_length 0
		.amdhsa_user_sgpr_kernarg_preload_offset 0
		.amdhsa_user_sgpr_private_segment_size 0
		.amdhsa_uses_dynamic_stack 0
		.amdhsa_system_sgpr_private_segment_wavefront_offset 0
		.amdhsa_system_sgpr_workgroup_id_x 1
		.amdhsa_system_sgpr_workgroup_id_y 0
		.amdhsa_system_sgpr_workgroup_id_z 0
		.amdhsa_system_sgpr_workgroup_info 0
		.amdhsa_system_vgpr_workitem_id 0
		.amdhsa_next_free_vgpr 1
		.amdhsa_next_free_sgpr 0
		.amdhsa_accum_offset 4
		.amdhsa_reserve_vcc 0
		.amdhsa_reserve_flat_scratch 0
		.amdhsa_float_round_mode_32 0
		.amdhsa_float_round_mode_16_64 0
		.amdhsa_float_denorm_mode_32 3
		.amdhsa_float_denorm_mode_16_64 3
		.amdhsa_dx10_clamp 1
		.amdhsa_ieee_mode 1
		.amdhsa_fp16_overflow 0
		.amdhsa_tg_split 0
		.amdhsa_exception_fp_ieee_invalid_op 0
		.amdhsa_exception_fp_denorm_src 0
		.amdhsa_exception_fp_ieee_div_zero 0
		.amdhsa_exception_fp_ieee_overflow 0
		.amdhsa_exception_fp_ieee_underflow 0
		.amdhsa_exception_fp_ieee_inexact 0
		.amdhsa_exception_int_div_zero 0
	.end_amdhsa_kernel
	.section	.text._ZN7rocprim17ROCPRIM_400000_NS6detail17trampoline_kernelINS0_14default_configENS1_36segmented_radix_sort_config_selectorI12hip_bfloat16lEEZNS1_25segmented_radix_sort_implIS3_Lb1EPKS5_PS5_PKlPlN2at6native12_GLOBAL__N_18offset_tEEE10hipError_tPvRmT1_PNSt15iterator_traitsISL_E10value_typeET2_T3_PNSM_ISR_E10value_typeET4_jRbjT5_SX_jjP12ihipStream_tbEUlT_E0_NS1_11comp_targetILNS1_3genE3ELNS1_11target_archE908ELNS1_3gpuE7ELNS1_3repE0EEENS1_60segmented_radix_sort_warp_sort_medium_config_static_selectorELNS0_4arch9wavefront6targetE1EEEvSL_,"axG",@progbits,_ZN7rocprim17ROCPRIM_400000_NS6detail17trampoline_kernelINS0_14default_configENS1_36segmented_radix_sort_config_selectorI12hip_bfloat16lEEZNS1_25segmented_radix_sort_implIS3_Lb1EPKS5_PS5_PKlPlN2at6native12_GLOBAL__N_18offset_tEEE10hipError_tPvRmT1_PNSt15iterator_traitsISL_E10value_typeET2_T3_PNSM_ISR_E10value_typeET4_jRbjT5_SX_jjP12ihipStream_tbEUlT_E0_NS1_11comp_targetILNS1_3genE3ELNS1_11target_archE908ELNS1_3gpuE7ELNS1_3repE0EEENS1_60segmented_radix_sort_warp_sort_medium_config_static_selectorELNS0_4arch9wavefront6targetE1EEEvSL_,comdat
.Lfunc_end1958:
	.size	_ZN7rocprim17ROCPRIM_400000_NS6detail17trampoline_kernelINS0_14default_configENS1_36segmented_radix_sort_config_selectorI12hip_bfloat16lEEZNS1_25segmented_radix_sort_implIS3_Lb1EPKS5_PS5_PKlPlN2at6native12_GLOBAL__N_18offset_tEEE10hipError_tPvRmT1_PNSt15iterator_traitsISL_E10value_typeET2_T3_PNSM_ISR_E10value_typeET4_jRbjT5_SX_jjP12ihipStream_tbEUlT_E0_NS1_11comp_targetILNS1_3genE3ELNS1_11target_archE908ELNS1_3gpuE7ELNS1_3repE0EEENS1_60segmented_radix_sort_warp_sort_medium_config_static_selectorELNS0_4arch9wavefront6targetE1EEEvSL_, .Lfunc_end1958-_ZN7rocprim17ROCPRIM_400000_NS6detail17trampoline_kernelINS0_14default_configENS1_36segmented_radix_sort_config_selectorI12hip_bfloat16lEEZNS1_25segmented_radix_sort_implIS3_Lb1EPKS5_PS5_PKlPlN2at6native12_GLOBAL__N_18offset_tEEE10hipError_tPvRmT1_PNSt15iterator_traitsISL_E10value_typeET2_T3_PNSM_ISR_E10value_typeET4_jRbjT5_SX_jjP12ihipStream_tbEUlT_E0_NS1_11comp_targetILNS1_3genE3ELNS1_11target_archE908ELNS1_3gpuE7ELNS1_3repE0EEENS1_60segmented_radix_sort_warp_sort_medium_config_static_selectorELNS0_4arch9wavefront6targetE1EEEvSL_
                                        ; -- End function
	.section	.AMDGPU.csdata,"",@progbits
; Kernel info:
; codeLenInByte = 0
; NumSgprs: 4
; NumVgprs: 0
; NumAgprs: 0
; TotalNumVgprs: 0
; ScratchSize: 0
; MemoryBound: 0
; FloatMode: 240
; IeeeMode: 1
; LDSByteSize: 0 bytes/workgroup (compile time only)
; SGPRBlocks: 0
; VGPRBlocks: 0
; NumSGPRsForWavesPerEU: 4
; NumVGPRsForWavesPerEU: 1
; AccumOffset: 4
; Occupancy: 8
; WaveLimiterHint : 0
; COMPUTE_PGM_RSRC2:SCRATCH_EN: 0
; COMPUTE_PGM_RSRC2:USER_SGPR: 6
; COMPUTE_PGM_RSRC2:TRAP_HANDLER: 0
; COMPUTE_PGM_RSRC2:TGID_X_EN: 1
; COMPUTE_PGM_RSRC2:TGID_Y_EN: 0
; COMPUTE_PGM_RSRC2:TGID_Z_EN: 0
; COMPUTE_PGM_RSRC2:TIDIG_COMP_CNT: 0
; COMPUTE_PGM_RSRC3_GFX90A:ACCUM_OFFSET: 0
; COMPUTE_PGM_RSRC3_GFX90A:TG_SPLIT: 0
	.section	.text._ZN7rocprim17ROCPRIM_400000_NS6detail17trampoline_kernelINS0_14default_configENS1_36segmented_radix_sort_config_selectorI12hip_bfloat16lEEZNS1_25segmented_radix_sort_implIS3_Lb1EPKS5_PS5_PKlPlN2at6native12_GLOBAL__N_18offset_tEEE10hipError_tPvRmT1_PNSt15iterator_traitsISL_E10value_typeET2_T3_PNSM_ISR_E10value_typeET4_jRbjT5_SX_jjP12ihipStream_tbEUlT_E0_NS1_11comp_targetILNS1_3genE2ELNS1_11target_archE906ELNS1_3gpuE6ELNS1_3repE0EEENS1_60segmented_radix_sort_warp_sort_medium_config_static_selectorELNS0_4arch9wavefront6targetE1EEEvSL_,"axG",@progbits,_ZN7rocprim17ROCPRIM_400000_NS6detail17trampoline_kernelINS0_14default_configENS1_36segmented_radix_sort_config_selectorI12hip_bfloat16lEEZNS1_25segmented_radix_sort_implIS3_Lb1EPKS5_PS5_PKlPlN2at6native12_GLOBAL__N_18offset_tEEE10hipError_tPvRmT1_PNSt15iterator_traitsISL_E10value_typeET2_T3_PNSM_ISR_E10value_typeET4_jRbjT5_SX_jjP12ihipStream_tbEUlT_E0_NS1_11comp_targetILNS1_3genE2ELNS1_11target_archE906ELNS1_3gpuE6ELNS1_3repE0EEENS1_60segmented_radix_sort_warp_sort_medium_config_static_selectorELNS0_4arch9wavefront6targetE1EEEvSL_,comdat
	.globl	_ZN7rocprim17ROCPRIM_400000_NS6detail17trampoline_kernelINS0_14default_configENS1_36segmented_radix_sort_config_selectorI12hip_bfloat16lEEZNS1_25segmented_radix_sort_implIS3_Lb1EPKS5_PS5_PKlPlN2at6native12_GLOBAL__N_18offset_tEEE10hipError_tPvRmT1_PNSt15iterator_traitsISL_E10value_typeET2_T3_PNSM_ISR_E10value_typeET4_jRbjT5_SX_jjP12ihipStream_tbEUlT_E0_NS1_11comp_targetILNS1_3genE2ELNS1_11target_archE906ELNS1_3gpuE6ELNS1_3repE0EEENS1_60segmented_radix_sort_warp_sort_medium_config_static_selectorELNS0_4arch9wavefront6targetE1EEEvSL_ ; -- Begin function _ZN7rocprim17ROCPRIM_400000_NS6detail17trampoline_kernelINS0_14default_configENS1_36segmented_radix_sort_config_selectorI12hip_bfloat16lEEZNS1_25segmented_radix_sort_implIS3_Lb1EPKS5_PS5_PKlPlN2at6native12_GLOBAL__N_18offset_tEEE10hipError_tPvRmT1_PNSt15iterator_traitsISL_E10value_typeET2_T3_PNSM_ISR_E10value_typeET4_jRbjT5_SX_jjP12ihipStream_tbEUlT_E0_NS1_11comp_targetILNS1_3genE2ELNS1_11target_archE906ELNS1_3gpuE6ELNS1_3repE0EEENS1_60segmented_radix_sort_warp_sort_medium_config_static_selectorELNS0_4arch9wavefront6targetE1EEEvSL_
	.p2align	8
	.type	_ZN7rocprim17ROCPRIM_400000_NS6detail17trampoline_kernelINS0_14default_configENS1_36segmented_radix_sort_config_selectorI12hip_bfloat16lEEZNS1_25segmented_radix_sort_implIS3_Lb1EPKS5_PS5_PKlPlN2at6native12_GLOBAL__N_18offset_tEEE10hipError_tPvRmT1_PNSt15iterator_traitsISL_E10value_typeET2_T3_PNSM_ISR_E10value_typeET4_jRbjT5_SX_jjP12ihipStream_tbEUlT_E0_NS1_11comp_targetILNS1_3genE2ELNS1_11target_archE906ELNS1_3gpuE6ELNS1_3repE0EEENS1_60segmented_radix_sort_warp_sort_medium_config_static_selectorELNS0_4arch9wavefront6targetE1EEEvSL_,@function
_ZN7rocprim17ROCPRIM_400000_NS6detail17trampoline_kernelINS0_14default_configENS1_36segmented_radix_sort_config_selectorI12hip_bfloat16lEEZNS1_25segmented_radix_sort_implIS3_Lb1EPKS5_PS5_PKlPlN2at6native12_GLOBAL__N_18offset_tEEE10hipError_tPvRmT1_PNSt15iterator_traitsISL_E10value_typeET2_T3_PNSM_ISR_E10value_typeET4_jRbjT5_SX_jjP12ihipStream_tbEUlT_E0_NS1_11comp_targetILNS1_3genE2ELNS1_11target_archE906ELNS1_3gpuE6ELNS1_3repE0EEENS1_60segmented_radix_sort_warp_sort_medium_config_static_selectorELNS0_4arch9wavefront6targetE1EEEvSL_: ; @_ZN7rocprim17ROCPRIM_400000_NS6detail17trampoline_kernelINS0_14default_configENS1_36segmented_radix_sort_config_selectorI12hip_bfloat16lEEZNS1_25segmented_radix_sort_implIS3_Lb1EPKS5_PS5_PKlPlN2at6native12_GLOBAL__N_18offset_tEEE10hipError_tPvRmT1_PNSt15iterator_traitsISL_E10value_typeET2_T3_PNSM_ISR_E10value_typeET4_jRbjT5_SX_jjP12ihipStream_tbEUlT_E0_NS1_11comp_targetILNS1_3genE2ELNS1_11target_archE906ELNS1_3gpuE6ELNS1_3repE0EEENS1_60segmented_radix_sort_warp_sort_medium_config_static_selectorELNS0_4arch9wavefront6targetE1EEEvSL_
; %bb.0:
	.section	.rodata,"a",@progbits
	.p2align	6, 0x0
	.amdhsa_kernel _ZN7rocprim17ROCPRIM_400000_NS6detail17trampoline_kernelINS0_14default_configENS1_36segmented_radix_sort_config_selectorI12hip_bfloat16lEEZNS1_25segmented_radix_sort_implIS3_Lb1EPKS5_PS5_PKlPlN2at6native12_GLOBAL__N_18offset_tEEE10hipError_tPvRmT1_PNSt15iterator_traitsISL_E10value_typeET2_T3_PNSM_ISR_E10value_typeET4_jRbjT5_SX_jjP12ihipStream_tbEUlT_E0_NS1_11comp_targetILNS1_3genE2ELNS1_11target_archE906ELNS1_3gpuE6ELNS1_3repE0EEENS1_60segmented_radix_sort_warp_sort_medium_config_static_selectorELNS0_4arch9wavefront6targetE1EEEvSL_
		.amdhsa_group_segment_fixed_size 0
		.amdhsa_private_segment_fixed_size 0
		.amdhsa_kernarg_size 88
		.amdhsa_user_sgpr_count 6
		.amdhsa_user_sgpr_private_segment_buffer 1
		.amdhsa_user_sgpr_dispatch_ptr 0
		.amdhsa_user_sgpr_queue_ptr 0
		.amdhsa_user_sgpr_kernarg_segment_ptr 1
		.amdhsa_user_sgpr_dispatch_id 0
		.amdhsa_user_sgpr_flat_scratch_init 0
		.amdhsa_user_sgpr_kernarg_preload_length 0
		.amdhsa_user_sgpr_kernarg_preload_offset 0
		.amdhsa_user_sgpr_private_segment_size 0
		.amdhsa_uses_dynamic_stack 0
		.amdhsa_system_sgpr_private_segment_wavefront_offset 0
		.amdhsa_system_sgpr_workgroup_id_x 1
		.amdhsa_system_sgpr_workgroup_id_y 0
		.amdhsa_system_sgpr_workgroup_id_z 0
		.amdhsa_system_sgpr_workgroup_info 0
		.amdhsa_system_vgpr_workitem_id 0
		.amdhsa_next_free_vgpr 1
		.amdhsa_next_free_sgpr 0
		.amdhsa_accum_offset 4
		.amdhsa_reserve_vcc 0
		.amdhsa_reserve_flat_scratch 0
		.amdhsa_float_round_mode_32 0
		.amdhsa_float_round_mode_16_64 0
		.amdhsa_float_denorm_mode_32 3
		.amdhsa_float_denorm_mode_16_64 3
		.amdhsa_dx10_clamp 1
		.amdhsa_ieee_mode 1
		.amdhsa_fp16_overflow 0
		.amdhsa_tg_split 0
		.amdhsa_exception_fp_ieee_invalid_op 0
		.amdhsa_exception_fp_denorm_src 0
		.amdhsa_exception_fp_ieee_div_zero 0
		.amdhsa_exception_fp_ieee_overflow 0
		.amdhsa_exception_fp_ieee_underflow 0
		.amdhsa_exception_fp_ieee_inexact 0
		.amdhsa_exception_int_div_zero 0
	.end_amdhsa_kernel
	.section	.text._ZN7rocprim17ROCPRIM_400000_NS6detail17trampoline_kernelINS0_14default_configENS1_36segmented_radix_sort_config_selectorI12hip_bfloat16lEEZNS1_25segmented_radix_sort_implIS3_Lb1EPKS5_PS5_PKlPlN2at6native12_GLOBAL__N_18offset_tEEE10hipError_tPvRmT1_PNSt15iterator_traitsISL_E10value_typeET2_T3_PNSM_ISR_E10value_typeET4_jRbjT5_SX_jjP12ihipStream_tbEUlT_E0_NS1_11comp_targetILNS1_3genE2ELNS1_11target_archE906ELNS1_3gpuE6ELNS1_3repE0EEENS1_60segmented_radix_sort_warp_sort_medium_config_static_selectorELNS0_4arch9wavefront6targetE1EEEvSL_,"axG",@progbits,_ZN7rocprim17ROCPRIM_400000_NS6detail17trampoline_kernelINS0_14default_configENS1_36segmented_radix_sort_config_selectorI12hip_bfloat16lEEZNS1_25segmented_radix_sort_implIS3_Lb1EPKS5_PS5_PKlPlN2at6native12_GLOBAL__N_18offset_tEEE10hipError_tPvRmT1_PNSt15iterator_traitsISL_E10value_typeET2_T3_PNSM_ISR_E10value_typeET4_jRbjT5_SX_jjP12ihipStream_tbEUlT_E0_NS1_11comp_targetILNS1_3genE2ELNS1_11target_archE906ELNS1_3gpuE6ELNS1_3repE0EEENS1_60segmented_radix_sort_warp_sort_medium_config_static_selectorELNS0_4arch9wavefront6targetE1EEEvSL_,comdat
.Lfunc_end1959:
	.size	_ZN7rocprim17ROCPRIM_400000_NS6detail17trampoline_kernelINS0_14default_configENS1_36segmented_radix_sort_config_selectorI12hip_bfloat16lEEZNS1_25segmented_radix_sort_implIS3_Lb1EPKS5_PS5_PKlPlN2at6native12_GLOBAL__N_18offset_tEEE10hipError_tPvRmT1_PNSt15iterator_traitsISL_E10value_typeET2_T3_PNSM_ISR_E10value_typeET4_jRbjT5_SX_jjP12ihipStream_tbEUlT_E0_NS1_11comp_targetILNS1_3genE2ELNS1_11target_archE906ELNS1_3gpuE6ELNS1_3repE0EEENS1_60segmented_radix_sort_warp_sort_medium_config_static_selectorELNS0_4arch9wavefront6targetE1EEEvSL_, .Lfunc_end1959-_ZN7rocprim17ROCPRIM_400000_NS6detail17trampoline_kernelINS0_14default_configENS1_36segmented_radix_sort_config_selectorI12hip_bfloat16lEEZNS1_25segmented_radix_sort_implIS3_Lb1EPKS5_PS5_PKlPlN2at6native12_GLOBAL__N_18offset_tEEE10hipError_tPvRmT1_PNSt15iterator_traitsISL_E10value_typeET2_T3_PNSM_ISR_E10value_typeET4_jRbjT5_SX_jjP12ihipStream_tbEUlT_E0_NS1_11comp_targetILNS1_3genE2ELNS1_11target_archE906ELNS1_3gpuE6ELNS1_3repE0EEENS1_60segmented_radix_sort_warp_sort_medium_config_static_selectorELNS0_4arch9wavefront6targetE1EEEvSL_
                                        ; -- End function
	.section	.AMDGPU.csdata,"",@progbits
; Kernel info:
; codeLenInByte = 0
; NumSgprs: 4
; NumVgprs: 0
; NumAgprs: 0
; TotalNumVgprs: 0
; ScratchSize: 0
; MemoryBound: 0
; FloatMode: 240
; IeeeMode: 1
; LDSByteSize: 0 bytes/workgroup (compile time only)
; SGPRBlocks: 0
; VGPRBlocks: 0
; NumSGPRsForWavesPerEU: 4
; NumVGPRsForWavesPerEU: 1
; AccumOffset: 4
; Occupancy: 8
; WaveLimiterHint : 0
; COMPUTE_PGM_RSRC2:SCRATCH_EN: 0
; COMPUTE_PGM_RSRC2:USER_SGPR: 6
; COMPUTE_PGM_RSRC2:TRAP_HANDLER: 0
; COMPUTE_PGM_RSRC2:TGID_X_EN: 1
; COMPUTE_PGM_RSRC2:TGID_Y_EN: 0
; COMPUTE_PGM_RSRC2:TGID_Z_EN: 0
; COMPUTE_PGM_RSRC2:TIDIG_COMP_CNT: 0
; COMPUTE_PGM_RSRC3_GFX90A:ACCUM_OFFSET: 0
; COMPUTE_PGM_RSRC3_GFX90A:TG_SPLIT: 0
	.section	.text._ZN7rocprim17ROCPRIM_400000_NS6detail17trampoline_kernelINS0_14default_configENS1_36segmented_radix_sort_config_selectorI12hip_bfloat16lEEZNS1_25segmented_radix_sort_implIS3_Lb1EPKS5_PS5_PKlPlN2at6native12_GLOBAL__N_18offset_tEEE10hipError_tPvRmT1_PNSt15iterator_traitsISL_E10value_typeET2_T3_PNSM_ISR_E10value_typeET4_jRbjT5_SX_jjP12ihipStream_tbEUlT_E0_NS1_11comp_targetILNS1_3genE10ELNS1_11target_archE1201ELNS1_3gpuE5ELNS1_3repE0EEENS1_60segmented_radix_sort_warp_sort_medium_config_static_selectorELNS0_4arch9wavefront6targetE1EEEvSL_,"axG",@progbits,_ZN7rocprim17ROCPRIM_400000_NS6detail17trampoline_kernelINS0_14default_configENS1_36segmented_radix_sort_config_selectorI12hip_bfloat16lEEZNS1_25segmented_radix_sort_implIS3_Lb1EPKS5_PS5_PKlPlN2at6native12_GLOBAL__N_18offset_tEEE10hipError_tPvRmT1_PNSt15iterator_traitsISL_E10value_typeET2_T3_PNSM_ISR_E10value_typeET4_jRbjT5_SX_jjP12ihipStream_tbEUlT_E0_NS1_11comp_targetILNS1_3genE10ELNS1_11target_archE1201ELNS1_3gpuE5ELNS1_3repE0EEENS1_60segmented_radix_sort_warp_sort_medium_config_static_selectorELNS0_4arch9wavefront6targetE1EEEvSL_,comdat
	.globl	_ZN7rocprim17ROCPRIM_400000_NS6detail17trampoline_kernelINS0_14default_configENS1_36segmented_radix_sort_config_selectorI12hip_bfloat16lEEZNS1_25segmented_radix_sort_implIS3_Lb1EPKS5_PS5_PKlPlN2at6native12_GLOBAL__N_18offset_tEEE10hipError_tPvRmT1_PNSt15iterator_traitsISL_E10value_typeET2_T3_PNSM_ISR_E10value_typeET4_jRbjT5_SX_jjP12ihipStream_tbEUlT_E0_NS1_11comp_targetILNS1_3genE10ELNS1_11target_archE1201ELNS1_3gpuE5ELNS1_3repE0EEENS1_60segmented_radix_sort_warp_sort_medium_config_static_selectorELNS0_4arch9wavefront6targetE1EEEvSL_ ; -- Begin function _ZN7rocprim17ROCPRIM_400000_NS6detail17trampoline_kernelINS0_14default_configENS1_36segmented_radix_sort_config_selectorI12hip_bfloat16lEEZNS1_25segmented_radix_sort_implIS3_Lb1EPKS5_PS5_PKlPlN2at6native12_GLOBAL__N_18offset_tEEE10hipError_tPvRmT1_PNSt15iterator_traitsISL_E10value_typeET2_T3_PNSM_ISR_E10value_typeET4_jRbjT5_SX_jjP12ihipStream_tbEUlT_E0_NS1_11comp_targetILNS1_3genE10ELNS1_11target_archE1201ELNS1_3gpuE5ELNS1_3repE0EEENS1_60segmented_radix_sort_warp_sort_medium_config_static_selectorELNS0_4arch9wavefront6targetE1EEEvSL_
	.p2align	8
	.type	_ZN7rocprim17ROCPRIM_400000_NS6detail17trampoline_kernelINS0_14default_configENS1_36segmented_radix_sort_config_selectorI12hip_bfloat16lEEZNS1_25segmented_radix_sort_implIS3_Lb1EPKS5_PS5_PKlPlN2at6native12_GLOBAL__N_18offset_tEEE10hipError_tPvRmT1_PNSt15iterator_traitsISL_E10value_typeET2_T3_PNSM_ISR_E10value_typeET4_jRbjT5_SX_jjP12ihipStream_tbEUlT_E0_NS1_11comp_targetILNS1_3genE10ELNS1_11target_archE1201ELNS1_3gpuE5ELNS1_3repE0EEENS1_60segmented_radix_sort_warp_sort_medium_config_static_selectorELNS0_4arch9wavefront6targetE1EEEvSL_,@function
_ZN7rocprim17ROCPRIM_400000_NS6detail17trampoline_kernelINS0_14default_configENS1_36segmented_radix_sort_config_selectorI12hip_bfloat16lEEZNS1_25segmented_radix_sort_implIS3_Lb1EPKS5_PS5_PKlPlN2at6native12_GLOBAL__N_18offset_tEEE10hipError_tPvRmT1_PNSt15iterator_traitsISL_E10value_typeET2_T3_PNSM_ISR_E10value_typeET4_jRbjT5_SX_jjP12ihipStream_tbEUlT_E0_NS1_11comp_targetILNS1_3genE10ELNS1_11target_archE1201ELNS1_3gpuE5ELNS1_3repE0EEENS1_60segmented_radix_sort_warp_sort_medium_config_static_selectorELNS0_4arch9wavefront6targetE1EEEvSL_: ; @_ZN7rocprim17ROCPRIM_400000_NS6detail17trampoline_kernelINS0_14default_configENS1_36segmented_radix_sort_config_selectorI12hip_bfloat16lEEZNS1_25segmented_radix_sort_implIS3_Lb1EPKS5_PS5_PKlPlN2at6native12_GLOBAL__N_18offset_tEEE10hipError_tPvRmT1_PNSt15iterator_traitsISL_E10value_typeET2_T3_PNSM_ISR_E10value_typeET4_jRbjT5_SX_jjP12ihipStream_tbEUlT_E0_NS1_11comp_targetILNS1_3genE10ELNS1_11target_archE1201ELNS1_3gpuE5ELNS1_3repE0EEENS1_60segmented_radix_sort_warp_sort_medium_config_static_selectorELNS0_4arch9wavefront6targetE1EEEvSL_
; %bb.0:
	.section	.rodata,"a",@progbits
	.p2align	6, 0x0
	.amdhsa_kernel _ZN7rocprim17ROCPRIM_400000_NS6detail17trampoline_kernelINS0_14default_configENS1_36segmented_radix_sort_config_selectorI12hip_bfloat16lEEZNS1_25segmented_radix_sort_implIS3_Lb1EPKS5_PS5_PKlPlN2at6native12_GLOBAL__N_18offset_tEEE10hipError_tPvRmT1_PNSt15iterator_traitsISL_E10value_typeET2_T3_PNSM_ISR_E10value_typeET4_jRbjT5_SX_jjP12ihipStream_tbEUlT_E0_NS1_11comp_targetILNS1_3genE10ELNS1_11target_archE1201ELNS1_3gpuE5ELNS1_3repE0EEENS1_60segmented_radix_sort_warp_sort_medium_config_static_selectorELNS0_4arch9wavefront6targetE1EEEvSL_
		.amdhsa_group_segment_fixed_size 0
		.amdhsa_private_segment_fixed_size 0
		.amdhsa_kernarg_size 88
		.amdhsa_user_sgpr_count 6
		.amdhsa_user_sgpr_private_segment_buffer 1
		.amdhsa_user_sgpr_dispatch_ptr 0
		.amdhsa_user_sgpr_queue_ptr 0
		.amdhsa_user_sgpr_kernarg_segment_ptr 1
		.amdhsa_user_sgpr_dispatch_id 0
		.amdhsa_user_sgpr_flat_scratch_init 0
		.amdhsa_user_sgpr_kernarg_preload_length 0
		.amdhsa_user_sgpr_kernarg_preload_offset 0
		.amdhsa_user_sgpr_private_segment_size 0
		.amdhsa_uses_dynamic_stack 0
		.amdhsa_system_sgpr_private_segment_wavefront_offset 0
		.amdhsa_system_sgpr_workgroup_id_x 1
		.amdhsa_system_sgpr_workgroup_id_y 0
		.amdhsa_system_sgpr_workgroup_id_z 0
		.amdhsa_system_sgpr_workgroup_info 0
		.amdhsa_system_vgpr_workitem_id 0
		.amdhsa_next_free_vgpr 1
		.amdhsa_next_free_sgpr 0
		.amdhsa_accum_offset 4
		.amdhsa_reserve_vcc 0
		.amdhsa_reserve_flat_scratch 0
		.amdhsa_float_round_mode_32 0
		.amdhsa_float_round_mode_16_64 0
		.amdhsa_float_denorm_mode_32 3
		.amdhsa_float_denorm_mode_16_64 3
		.amdhsa_dx10_clamp 1
		.amdhsa_ieee_mode 1
		.amdhsa_fp16_overflow 0
		.amdhsa_tg_split 0
		.amdhsa_exception_fp_ieee_invalid_op 0
		.amdhsa_exception_fp_denorm_src 0
		.amdhsa_exception_fp_ieee_div_zero 0
		.amdhsa_exception_fp_ieee_overflow 0
		.amdhsa_exception_fp_ieee_underflow 0
		.amdhsa_exception_fp_ieee_inexact 0
		.amdhsa_exception_int_div_zero 0
	.end_amdhsa_kernel
	.section	.text._ZN7rocprim17ROCPRIM_400000_NS6detail17trampoline_kernelINS0_14default_configENS1_36segmented_radix_sort_config_selectorI12hip_bfloat16lEEZNS1_25segmented_radix_sort_implIS3_Lb1EPKS5_PS5_PKlPlN2at6native12_GLOBAL__N_18offset_tEEE10hipError_tPvRmT1_PNSt15iterator_traitsISL_E10value_typeET2_T3_PNSM_ISR_E10value_typeET4_jRbjT5_SX_jjP12ihipStream_tbEUlT_E0_NS1_11comp_targetILNS1_3genE10ELNS1_11target_archE1201ELNS1_3gpuE5ELNS1_3repE0EEENS1_60segmented_radix_sort_warp_sort_medium_config_static_selectorELNS0_4arch9wavefront6targetE1EEEvSL_,"axG",@progbits,_ZN7rocprim17ROCPRIM_400000_NS6detail17trampoline_kernelINS0_14default_configENS1_36segmented_radix_sort_config_selectorI12hip_bfloat16lEEZNS1_25segmented_radix_sort_implIS3_Lb1EPKS5_PS5_PKlPlN2at6native12_GLOBAL__N_18offset_tEEE10hipError_tPvRmT1_PNSt15iterator_traitsISL_E10value_typeET2_T3_PNSM_ISR_E10value_typeET4_jRbjT5_SX_jjP12ihipStream_tbEUlT_E0_NS1_11comp_targetILNS1_3genE10ELNS1_11target_archE1201ELNS1_3gpuE5ELNS1_3repE0EEENS1_60segmented_radix_sort_warp_sort_medium_config_static_selectorELNS0_4arch9wavefront6targetE1EEEvSL_,comdat
.Lfunc_end1960:
	.size	_ZN7rocprim17ROCPRIM_400000_NS6detail17trampoline_kernelINS0_14default_configENS1_36segmented_radix_sort_config_selectorI12hip_bfloat16lEEZNS1_25segmented_radix_sort_implIS3_Lb1EPKS5_PS5_PKlPlN2at6native12_GLOBAL__N_18offset_tEEE10hipError_tPvRmT1_PNSt15iterator_traitsISL_E10value_typeET2_T3_PNSM_ISR_E10value_typeET4_jRbjT5_SX_jjP12ihipStream_tbEUlT_E0_NS1_11comp_targetILNS1_3genE10ELNS1_11target_archE1201ELNS1_3gpuE5ELNS1_3repE0EEENS1_60segmented_radix_sort_warp_sort_medium_config_static_selectorELNS0_4arch9wavefront6targetE1EEEvSL_, .Lfunc_end1960-_ZN7rocprim17ROCPRIM_400000_NS6detail17trampoline_kernelINS0_14default_configENS1_36segmented_radix_sort_config_selectorI12hip_bfloat16lEEZNS1_25segmented_radix_sort_implIS3_Lb1EPKS5_PS5_PKlPlN2at6native12_GLOBAL__N_18offset_tEEE10hipError_tPvRmT1_PNSt15iterator_traitsISL_E10value_typeET2_T3_PNSM_ISR_E10value_typeET4_jRbjT5_SX_jjP12ihipStream_tbEUlT_E0_NS1_11comp_targetILNS1_3genE10ELNS1_11target_archE1201ELNS1_3gpuE5ELNS1_3repE0EEENS1_60segmented_radix_sort_warp_sort_medium_config_static_selectorELNS0_4arch9wavefront6targetE1EEEvSL_
                                        ; -- End function
	.section	.AMDGPU.csdata,"",@progbits
; Kernel info:
; codeLenInByte = 0
; NumSgprs: 4
; NumVgprs: 0
; NumAgprs: 0
; TotalNumVgprs: 0
; ScratchSize: 0
; MemoryBound: 0
; FloatMode: 240
; IeeeMode: 1
; LDSByteSize: 0 bytes/workgroup (compile time only)
; SGPRBlocks: 0
; VGPRBlocks: 0
; NumSGPRsForWavesPerEU: 4
; NumVGPRsForWavesPerEU: 1
; AccumOffset: 4
; Occupancy: 8
; WaveLimiterHint : 0
; COMPUTE_PGM_RSRC2:SCRATCH_EN: 0
; COMPUTE_PGM_RSRC2:USER_SGPR: 6
; COMPUTE_PGM_RSRC2:TRAP_HANDLER: 0
; COMPUTE_PGM_RSRC2:TGID_X_EN: 1
; COMPUTE_PGM_RSRC2:TGID_Y_EN: 0
; COMPUTE_PGM_RSRC2:TGID_Z_EN: 0
; COMPUTE_PGM_RSRC2:TIDIG_COMP_CNT: 0
; COMPUTE_PGM_RSRC3_GFX90A:ACCUM_OFFSET: 0
; COMPUTE_PGM_RSRC3_GFX90A:TG_SPLIT: 0
	.section	.text._ZN7rocprim17ROCPRIM_400000_NS6detail17trampoline_kernelINS0_14default_configENS1_36segmented_radix_sort_config_selectorI12hip_bfloat16lEEZNS1_25segmented_radix_sort_implIS3_Lb1EPKS5_PS5_PKlPlN2at6native12_GLOBAL__N_18offset_tEEE10hipError_tPvRmT1_PNSt15iterator_traitsISL_E10value_typeET2_T3_PNSM_ISR_E10value_typeET4_jRbjT5_SX_jjP12ihipStream_tbEUlT_E0_NS1_11comp_targetILNS1_3genE10ELNS1_11target_archE1200ELNS1_3gpuE4ELNS1_3repE0EEENS1_60segmented_radix_sort_warp_sort_medium_config_static_selectorELNS0_4arch9wavefront6targetE1EEEvSL_,"axG",@progbits,_ZN7rocprim17ROCPRIM_400000_NS6detail17trampoline_kernelINS0_14default_configENS1_36segmented_radix_sort_config_selectorI12hip_bfloat16lEEZNS1_25segmented_radix_sort_implIS3_Lb1EPKS5_PS5_PKlPlN2at6native12_GLOBAL__N_18offset_tEEE10hipError_tPvRmT1_PNSt15iterator_traitsISL_E10value_typeET2_T3_PNSM_ISR_E10value_typeET4_jRbjT5_SX_jjP12ihipStream_tbEUlT_E0_NS1_11comp_targetILNS1_3genE10ELNS1_11target_archE1200ELNS1_3gpuE4ELNS1_3repE0EEENS1_60segmented_radix_sort_warp_sort_medium_config_static_selectorELNS0_4arch9wavefront6targetE1EEEvSL_,comdat
	.globl	_ZN7rocprim17ROCPRIM_400000_NS6detail17trampoline_kernelINS0_14default_configENS1_36segmented_radix_sort_config_selectorI12hip_bfloat16lEEZNS1_25segmented_radix_sort_implIS3_Lb1EPKS5_PS5_PKlPlN2at6native12_GLOBAL__N_18offset_tEEE10hipError_tPvRmT1_PNSt15iterator_traitsISL_E10value_typeET2_T3_PNSM_ISR_E10value_typeET4_jRbjT5_SX_jjP12ihipStream_tbEUlT_E0_NS1_11comp_targetILNS1_3genE10ELNS1_11target_archE1200ELNS1_3gpuE4ELNS1_3repE0EEENS1_60segmented_radix_sort_warp_sort_medium_config_static_selectorELNS0_4arch9wavefront6targetE1EEEvSL_ ; -- Begin function _ZN7rocprim17ROCPRIM_400000_NS6detail17trampoline_kernelINS0_14default_configENS1_36segmented_radix_sort_config_selectorI12hip_bfloat16lEEZNS1_25segmented_radix_sort_implIS3_Lb1EPKS5_PS5_PKlPlN2at6native12_GLOBAL__N_18offset_tEEE10hipError_tPvRmT1_PNSt15iterator_traitsISL_E10value_typeET2_T3_PNSM_ISR_E10value_typeET4_jRbjT5_SX_jjP12ihipStream_tbEUlT_E0_NS1_11comp_targetILNS1_3genE10ELNS1_11target_archE1200ELNS1_3gpuE4ELNS1_3repE0EEENS1_60segmented_radix_sort_warp_sort_medium_config_static_selectorELNS0_4arch9wavefront6targetE1EEEvSL_
	.p2align	8
	.type	_ZN7rocprim17ROCPRIM_400000_NS6detail17trampoline_kernelINS0_14default_configENS1_36segmented_radix_sort_config_selectorI12hip_bfloat16lEEZNS1_25segmented_radix_sort_implIS3_Lb1EPKS5_PS5_PKlPlN2at6native12_GLOBAL__N_18offset_tEEE10hipError_tPvRmT1_PNSt15iterator_traitsISL_E10value_typeET2_T3_PNSM_ISR_E10value_typeET4_jRbjT5_SX_jjP12ihipStream_tbEUlT_E0_NS1_11comp_targetILNS1_3genE10ELNS1_11target_archE1200ELNS1_3gpuE4ELNS1_3repE0EEENS1_60segmented_radix_sort_warp_sort_medium_config_static_selectorELNS0_4arch9wavefront6targetE1EEEvSL_,@function
_ZN7rocprim17ROCPRIM_400000_NS6detail17trampoline_kernelINS0_14default_configENS1_36segmented_radix_sort_config_selectorI12hip_bfloat16lEEZNS1_25segmented_radix_sort_implIS3_Lb1EPKS5_PS5_PKlPlN2at6native12_GLOBAL__N_18offset_tEEE10hipError_tPvRmT1_PNSt15iterator_traitsISL_E10value_typeET2_T3_PNSM_ISR_E10value_typeET4_jRbjT5_SX_jjP12ihipStream_tbEUlT_E0_NS1_11comp_targetILNS1_3genE10ELNS1_11target_archE1200ELNS1_3gpuE4ELNS1_3repE0EEENS1_60segmented_radix_sort_warp_sort_medium_config_static_selectorELNS0_4arch9wavefront6targetE1EEEvSL_: ; @_ZN7rocprim17ROCPRIM_400000_NS6detail17trampoline_kernelINS0_14default_configENS1_36segmented_radix_sort_config_selectorI12hip_bfloat16lEEZNS1_25segmented_radix_sort_implIS3_Lb1EPKS5_PS5_PKlPlN2at6native12_GLOBAL__N_18offset_tEEE10hipError_tPvRmT1_PNSt15iterator_traitsISL_E10value_typeET2_T3_PNSM_ISR_E10value_typeET4_jRbjT5_SX_jjP12ihipStream_tbEUlT_E0_NS1_11comp_targetILNS1_3genE10ELNS1_11target_archE1200ELNS1_3gpuE4ELNS1_3repE0EEENS1_60segmented_radix_sort_warp_sort_medium_config_static_selectorELNS0_4arch9wavefront6targetE1EEEvSL_
; %bb.0:
	.section	.rodata,"a",@progbits
	.p2align	6, 0x0
	.amdhsa_kernel _ZN7rocprim17ROCPRIM_400000_NS6detail17trampoline_kernelINS0_14default_configENS1_36segmented_radix_sort_config_selectorI12hip_bfloat16lEEZNS1_25segmented_radix_sort_implIS3_Lb1EPKS5_PS5_PKlPlN2at6native12_GLOBAL__N_18offset_tEEE10hipError_tPvRmT1_PNSt15iterator_traitsISL_E10value_typeET2_T3_PNSM_ISR_E10value_typeET4_jRbjT5_SX_jjP12ihipStream_tbEUlT_E0_NS1_11comp_targetILNS1_3genE10ELNS1_11target_archE1200ELNS1_3gpuE4ELNS1_3repE0EEENS1_60segmented_radix_sort_warp_sort_medium_config_static_selectorELNS0_4arch9wavefront6targetE1EEEvSL_
		.amdhsa_group_segment_fixed_size 0
		.amdhsa_private_segment_fixed_size 0
		.amdhsa_kernarg_size 88
		.amdhsa_user_sgpr_count 6
		.amdhsa_user_sgpr_private_segment_buffer 1
		.amdhsa_user_sgpr_dispatch_ptr 0
		.amdhsa_user_sgpr_queue_ptr 0
		.amdhsa_user_sgpr_kernarg_segment_ptr 1
		.amdhsa_user_sgpr_dispatch_id 0
		.amdhsa_user_sgpr_flat_scratch_init 0
		.amdhsa_user_sgpr_kernarg_preload_length 0
		.amdhsa_user_sgpr_kernarg_preload_offset 0
		.amdhsa_user_sgpr_private_segment_size 0
		.amdhsa_uses_dynamic_stack 0
		.amdhsa_system_sgpr_private_segment_wavefront_offset 0
		.amdhsa_system_sgpr_workgroup_id_x 1
		.amdhsa_system_sgpr_workgroup_id_y 0
		.amdhsa_system_sgpr_workgroup_id_z 0
		.amdhsa_system_sgpr_workgroup_info 0
		.amdhsa_system_vgpr_workitem_id 0
		.amdhsa_next_free_vgpr 1
		.amdhsa_next_free_sgpr 0
		.amdhsa_accum_offset 4
		.amdhsa_reserve_vcc 0
		.amdhsa_reserve_flat_scratch 0
		.amdhsa_float_round_mode_32 0
		.amdhsa_float_round_mode_16_64 0
		.amdhsa_float_denorm_mode_32 3
		.amdhsa_float_denorm_mode_16_64 3
		.amdhsa_dx10_clamp 1
		.amdhsa_ieee_mode 1
		.amdhsa_fp16_overflow 0
		.amdhsa_tg_split 0
		.amdhsa_exception_fp_ieee_invalid_op 0
		.amdhsa_exception_fp_denorm_src 0
		.amdhsa_exception_fp_ieee_div_zero 0
		.amdhsa_exception_fp_ieee_overflow 0
		.amdhsa_exception_fp_ieee_underflow 0
		.amdhsa_exception_fp_ieee_inexact 0
		.amdhsa_exception_int_div_zero 0
	.end_amdhsa_kernel
	.section	.text._ZN7rocprim17ROCPRIM_400000_NS6detail17trampoline_kernelINS0_14default_configENS1_36segmented_radix_sort_config_selectorI12hip_bfloat16lEEZNS1_25segmented_radix_sort_implIS3_Lb1EPKS5_PS5_PKlPlN2at6native12_GLOBAL__N_18offset_tEEE10hipError_tPvRmT1_PNSt15iterator_traitsISL_E10value_typeET2_T3_PNSM_ISR_E10value_typeET4_jRbjT5_SX_jjP12ihipStream_tbEUlT_E0_NS1_11comp_targetILNS1_3genE10ELNS1_11target_archE1200ELNS1_3gpuE4ELNS1_3repE0EEENS1_60segmented_radix_sort_warp_sort_medium_config_static_selectorELNS0_4arch9wavefront6targetE1EEEvSL_,"axG",@progbits,_ZN7rocprim17ROCPRIM_400000_NS6detail17trampoline_kernelINS0_14default_configENS1_36segmented_radix_sort_config_selectorI12hip_bfloat16lEEZNS1_25segmented_radix_sort_implIS3_Lb1EPKS5_PS5_PKlPlN2at6native12_GLOBAL__N_18offset_tEEE10hipError_tPvRmT1_PNSt15iterator_traitsISL_E10value_typeET2_T3_PNSM_ISR_E10value_typeET4_jRbjT5_SX_jjP12ihipStream_tbEUlT_E0_NS1_11comp_targetILNS1_3genE10ELNS1_11target_archE1200ELNS1_3gpuE4ELNS1_3repE0EEENS1_60segmented_radix_sort_warp_sort_medium_config_static_selectorELNS0_4arch9wavefront6targetE1EEEvSL_,comdat
.Lfunc_end1961:
	.size	_ZN7rocprim17ROCPRIM_400000_NS6detail17trampoline_kernelINS0_14default_configENS1_36segmented_radix_sort_config_selectorI12hip_bfloat16lEEZNS1_25segmented_radix_sort_implIS3_Lb1EPKS5_PS5_PKlPlN2at6native12_GLOBAL__N_18offset_tEEE10hipError_tPvRmT1_PNSt15iterator_traitsISL_E10value_typeET2_T3_PNSM_ISR_E10value_typeET4_jRbjT5_SX_jjP12ihipStream_tbEUlT_E0_NS1_11comp_targetILNS1_3genE10ELNS1_11target_archE1200ELNS1_3gpuE4ELNS1_3repE0EEENS1_60segmented_radix_sort_warp_sort_medium_config_static_selectorELNS0_4arch9wavefront6targetE1EEEvSL_, .Lfunc_end1961-_ZN7rocprim17ROCPRIM_400000_NS6detail17trampoline_kernelINS0_14default_configENS1_36segmented_radix_sort_config_selectorI12hip_bfloat16lEEZNS1_25segmented_radix_sort_implIS3_Lb1EPKS5_PS5_PKlPlN2at6native12_GLOBAL__N_18offset_tEEE10hipError_tPvRmT1_PNSt15iterator_traitsISL_E10value_typeET2_T3_PNSM_ISR_E10value_typeET4_jRbjT5_SX_jjP12ihipStream_tbEUlT_E0_NS1_11comp_targetILNS1_3genE10ELNS1_11target_archE1200ELNS1_3gpuE4ELNS1_3repE0EEENS1_60segmented_radix_sort_warp_sort_medium_config_static_selectorELNS0_4arch9wavefront6targetE1EEEvSL_
                                        ; -- End function
	.section	.AMDGPU.csdata,"",@progbits
; Kernel info:
; codeLenInByte = 0
; NumSgprs: 4
; NumVgprs: 0
; NumAgprs: 0
; TotalNumVgprs: 0
; ScratchSize: 0
; MemoryBound: 0
; FloatMode: 240
; IeeeMode: 1
; LDSByteSize: 0 bytes/workgroup (compile time only)
; SGPRBlocks: 0
; VGPRBlocks: 0
; NumSGPRsForWavesPerEU: 4
; NumVGPRsForWavesPerEU: 1
; AccumOffset: 4
; Occupancy: 8
; WaveLimiterHint : 0
; COMPUTE_PGM_RSRC2:SCRATCH_EN: 0
; COMPUTE_PGM_RSRC2:USER_SGPR: 6
; COMPUTE_PGM_RSRC2:TRAP_HANDLER: 0
; COMPUTE_PGM_RSRC2:TGID_X_EN: 1
; COMPUTE_PGM_RSRC2:TGID_Y_EN: 0
; COMPUTE_PGM_RSRC2:TGID_Z_EN: 0
; COMPUTE_PGM_RSRC2:TIDIG_COMP_CNT: 0
; COMPUTE_PGM_RSRC3_GFX90A:ACCUM_OFFSET: 0
; COMPUTE_PGM_RSRC3_GFX90A:TG_SPLIT: 0
	.section	.text._ZN7rocprim17ROCPRIM_400000_NS6detail17trampoline_kernelINS0_14default_configENS1_36segmented_radix_sort_config_selectorI12hip_bfloat16lEEZNS1_25segmented_radix_sort_implIS3_Lb1EPKS5_PS5_PKlPlN2at6native12_GLOBAL__N_18offset_tEEE10hipError_tPvRmT1_PNSt15iterator_traitsISL_E10value_typeET2_T3_PNSM_ISR_E10value_typeET4_jRbjT5_SX_jjP12ihipStream_tbEUlT_E0_NS1_11comp_targetILNS1_3genE9ELNS1_11target_archE1100ELNS1_3gpuE3ELNS1_3repE0EEENS1_60segmented_radix_sort_warp_sort_medium_config_static_selectorELNS0_4arch9wavefront6targetE1EEEvSL_,"axG",@progbits,_ZN7rocprim17ROCPRIM_400000_NS6detail17trampoline_kernelINS0_14default_configENS1_36segmented_radix_sort_config_selectorI12hip_bfloat16lEEZNS1_25segmented_radix_sort_implIS3_Lb1EPKS5_PS5_PKlPlN2at6native12_GLOBAL__N_18offset_tEEE10hipError_tPvRmT1_PNSt15iterator_traitsISL_E10value_typeET2_T3_PNSM_ISR_E10value_typeET4_jRbjT5_SX_jjP12ihipStream_tbEUlT_E0_NS1_11comp_targetILNS1_3genE9ELNS1_11target_archE1100ELNS1_3gpuE3ELNS1_3repE0EEENS1_60segmented_radix_sort_warp_sort_medium_config_static_selectorELNS0_4arch9wavefront6targetE1EEEvSL_,comdat
	.globl	_ZN7rocprim17ROCPRIM_400000_NS6detail17trampoline_kernelINS0_14default_configENS1_36segmented_radix_sort_config_selectorI12hip_bfloat16lEEZNS1_25segmented_radix_sort_implIS3_Lb1EPKS5_PS5_PKlPlN2at6native12_GLOBAL__N_18offset_tEEE10hipError_tPvRmT1_PNSt15iterator_traitsISL_E10value_typeET2_T3_PNSM_ISR_E10value_typeET4_jRbjT5_SX_jjP12ihipStream_tbEUlT_E0_NS1_11comp_targetILNS1_3genE9ELNS1_11target_archE1100ELNS1_3gpuE3ELNS1_3repE0EEENS1_60segmented_radix_sort_warp_sort_medium_config_static_selectorELNS0_4arch9wavefront6targetE1EEEvSL_ ; -- Begin function _ZN7rocprim17ROCPRIM_400000_NS6detail17trampoline_kernelINS0_14default_configENS1_36segmented_radix_sort_config_selectorI12hip_bfloat16lEEZNS1_25segmented_radix_sort_implIS3_Lb1EPKS5_PS5_PKlPlN2at6native12_GLOBAL__N_18offset_tEEE10hipError_tPvRmT1_PNSt15iterator_traitsISL_E10value_typeET2_T3_PNSM_ISR_E10value_typeET4_jRbjT5_SX_jjP12ihipStream_tbEUlT_E0_NS1_11comp_targetILNS1_3genE9ELNS1_11target_archE1100ELNS1_3gpuE3ELNS1_3repE0EEENS1_60segmented_radix_sort_warp_sort_medium_config_static_selectorELNS0_4arch9wavefront6targetE1EEEvSL_
	.p2align	8
	.type	_ZN7rocprim17ROCPRIM_400000_NS6detail17trampoline_kernelINS0_14default_configENS1_36segmented_radix_sort_config_selectorI12hip_bfloat16lEEZNS1_25segmented_radix_sort_implIS3_Lb1EPKS5_PS5_PKlPlN2at6native12_GLOBAL__N_18offset_tEEE10hipError_tPvRmT1_PNSt15iterator_traitsISL_E10value_typeET2_T3_PNSM_ISR_E10value_typeET4_jRbjT5_SX_jjP12ihipStream_tbEUlT_E0_NS1_11comp_targetILNS1_3genE9ELNS1_11target_archE1100ELNS1_3gpuE3ELNS1_3repE0EEENS1_60segmented_radix_sort_warp_sort_medium_config_static_selectorELNS0_4arch9wavefront6targetE1EEEvSL_,@function
_ZN7rocprim17ROCPRIM_400000_NS6detail17trampoline_kernelINS0_14default_configENS1_36segmented_radix_sort_config_selectorI12hip_bfloat16lEEZNS1_25segmented_radix_sort_implIS3_Lb1EPKS5_PS5_PKlPlN2at6native12_GLOBAL__N_18offset_tEEE10hipError_tPvRmT1_PNSt15iterator_traitsISL_E10value_typeET2_T3_PNSM_ISR_E10value_typeET4_jRbjT5_SX_jjP12ihipStream_tbEUlT_E0_NS1_11comp_targetILNS1_3genE9ELNS1_11target_archE1100ELNS1_3gpuE3ELNS1_3repE0EEENS1_60segmented_radix_sort_warp_sort_medium_config_static_selectorELNS0_4arch9wavefront6targetE1EEEvSL_: ; @_ZN7rocprim17ROCPRIM_400000_NS6detail17trampoline_kernelINS0_14default_configENS1_36segmented_radix_sort_config_selectorI12hip_bfloat16lEEZNS1_25segmented_radix_sort_implIS3_Lb1EPKS5_PS5_PKlPlN2at6native12_GLOBAL__N_18offset_tEEE10hipError_tPvRmT1_PNSt15iterator_traitsISL_E10value_typeET2_T3_PNSM_ISR_E10value_typeET4_jRbjT5_SX_jjP12ihipStream_tbEUlT_E0_NS1_11comp_targetILNS1_3genE9ELNS1_11target_archE1100ELNS1_3gpuE3ELNS1_3repE0EEENS1_60segmented_radix_sort_warp_sort_medium_config_static_selectorELNS0_4arch9wavefront6targetE1EEEvSL_
; %bb.0:
	.section	.rodata,"a",@progbits
	.p2align	6, 0x0
	.amdhsa_kernel _ZN7rocprim17ROCPRIM_400000_NS6detail17trampoline_kernelINS0_14default_configENS1_36segmented_radix_sort_config_selectorI12hip_bfloat16lEEZNS1_25segmented_radix_sort_implIS3_Lb1EPKS5_PS5_PKlPlN2at6native12_GLOBAL__N_18offset_tEEE10hipError_tPvRmT1_PNSt15iterator_traitsISL_E10value_typeET2_T3_PNSM_ISR_E10value_typeET4_jRbjT5_SX_jjP12ihipStream_tbEUlT_E0_NS1_11comp_targetILNS1_3genE9ELNS1_11target_archE1100ELNS1_3gpuE3ELNS1_3repE0EEENS1_60segmented_radix_sort_warp_sort_medium_config_static_selectorELNS0_4arch9wavefront6targetE1EEEvSL_
		.amdhsa_group_segment_fixed_size 0
		.amdhsa_private_segment_fixed_size 0
		.amdhsa_kernarg_size 88
		.amdhsa_user_sgpr_count 6
		.amdhsa_user_sgpr_private_segment_buffer 1
		.amdhsa_user_sgpr_dispatch_ptr 0
		.amdhsa_user_sgpr_queue_ptr 0
		.amdhsa_user_sgpr_kernarg_segment_ptr 1
		.amdhsa_user_sgpr_dispatch_id 0
		.amdhsa_user_sgpr_flat_scratch_init 0
		.amdhsa_user_sgpr_kernarg_preload_length 0
		.amdhsa_user_sgpr_kernarg_preload_offset 0
		.amdhsa_user_sgpr_private_segment_size 0
		.amdhsa_uses_dynamic_stack 0
		.amdhsa_system_sgpr_private_segment_wavefront_offset 0
		.amdhsa_system_sgpr_workgroup_id_x 1
		.amdhsa_system_sgpr_workgroup_id_y 0
		.amdhsa_system_sgpr_workgroup_id_z 0
		.amdhsa_system_sgpr_workgroup_info 0
		.amdhsa_system_vgpr_workitem_id 0
		.amdhsa_next_free_vgpr 1
		.amdhsa_next_free_sgpr 0
		.amdhsa_accum_offset 4
		.amdhsa_reserve_vcc 0
		.amdhsa_reserve_flat_scratch 0
		.amdhsa_float_round_mode_32 0
		.amdhsa_float_round_mode_16_64 0
		.amdhsa_float_denorm_mode_32 3
		.amdhsa_float_denorm_mode_16_64 3
		.amdhsa_dx10_clamp 1
		.amdhsa_ieee_mode 1
		.amdhsa_fp16_overflow 0
		.amdhsa_tg_split 0
		.amdhsa_exception_fp_ieee_invalid_op 0
		.amdhsa_exception_fp_denorm_src 0
		.amdhsa_exception_fp_ieee_div_zero 0
		.amdhsa_exception_fp_ieee_overflow 0
		.amdhsa_exception_fp_ieee_underflow 0
		.amdhsa_exception_fp_ieee_inexact 0
		.amdhsa_exception_int_div_zero 0
	.end_amdhsa_kernel
	.section	.text._ZN7rocprim17ROCPRIM_400000_NS6detail17trampoline_kernelINS0_14default_configENS1_36segmented_radix_sort_config_selectorI12hip_bfloat16lEEZNS1_25segmented_radix_sort_implIS3_Lb1EPKS5_PS5_PKlPlN2at6native12_GLOBAL__N_18offset_tEEE10hipError_tPvRmT1_PNSt15iterator_traitsISL_E10value_typeET2_T3_PNSM_ISR_E10value_typeET4_jRbjT5_SX_jjP12ihipStream_tbEUlT_E0_NS1_11comp_targetILNS1_3genE9ELNS1_11target_archE1100ELNS1_3gpuE3ELNS1_3repE0EEENS1_60segmented_radix_sort_warp_sort_medium_config_static_selectorELNS0_4arch9wavefront6targetE1EEEvSL_,"axG",@progbits,_ZN7rocprim17ROCPRIM_400000_NS6detail17trampoline_kernelINS0_14default_configENS1_36segmented_radix_sort_config_selectorI12hip_bfloat16lEEZNS1_25segmented_radix_sort_implIS3_Lb1EPKS5_PS5_PKlPlN2at6native12_GLOBAL__N_18offset_tEEE10hipError_tPvRmT1_PNSt15iterator_traitsISL_E10value_typeET2_T3_PNSM_ISR_E10value_typeET4_jRbjT5_SX_jjP12ihipStream_tbEUlT_E0_NS1_11comp_targetILNS1_3genE9ELNS1_11target_archE1100ELNS1_3gpuE3ELNS1_3repE0EEENS1_60segmented_radix_sort_warp_sort_medium_config_static_selectorELNS0_4arch9wavefront6targetE1EEEvSL_,comdat
.Lfunc_end1962:
	.size	_ZN7rocprim17ROCPRIM_400000_NS6detail17trampoline_kernelINS0_14default_configENS1_36segmented_radix_sort_config_selectorI12hip_bfloat16lEEZNS1_25segmented_radix_sort_implIS3_Lb1EPKS5_PS5_PKlPlN2at6native12_GLOBAL__N_18offset_tEEE10hipError_tPvRmT1_PNSt15iterator_traitsISL_E10value_typeET2_T3_PNSM_ISR_E10value_typeET4_jRbjT5_SX_jjP12ihipStream_tbEUlT_E0_NS1_11comp_targetILNS1_3genE9ELNS1_11target_archE1100ELNS1_3gpuE3ELNS1_3repE0EEENS1_60segmented_radix_sort_warp_sort_medium_config_static_selectorELNS0_4arch9wavefront6targetE1EEEvSL_, .Lfunc_end1962-_ZN7rocprim17ROCPRIM_400000_NS6detail17trampoline_kernelINS0_14default_configENS1_36segmented_radix_sort_config_selectorI12hip_bfloat16lEEZNS1_25segmented_radix_sort_implIS3_Lb1EPKS5_PS5_PKlPlN2at6native12_GLOBAL__N_18offset_tEEE10hipError_tPvRmT1_PNSt15iterator_traitsISL_E10value_typeET2_T3_PNSM_ISR_E10value_typeET4_jRbjT5_SX_jjP12ihipStream_tbEUlT_E0_NS1_11comp_targetILNS1_3genE9ELNS1_11target_archE1100ELNS1_3gpuE3ELNS1_3repE0EEENS1_60segmented_radix_sort_warp_sort_medium_config_static_selectorELNS0_4arch9wavefront6targetE1EEEvSL_
                                        ; -- End function
	.section	.AMDGPU.csdata,"",@progbits
; Kernel info:
; codeLenInByte = 0
; NumSgprs: 4
; NumVgprs: 0
; NumAgprs: 0
; TotalNumVgprs: 0
; ScratchSize: 0
; MemoryBound: 0
; FloatMode: 240
; IeeeMode: 1
; LDSByteSize: 0 bytes/workgroup (compile time only)
; SGPRBlocks: 0
; VGPRBlocks: 0
; NumSGPRsForWavesPerEU: 4
; NumVGPRsForWavesPerEU: 1
; AccumOffset: 4
; Occupancy: 8
; WaveLimiterHint : 0
; COMPUTE_PGM_RSRC2:SCRATCH_EN: 0
; COMPUTE_PGM_RSRC2:USER_SGPR: 6
; COMPUTE_PGM_RSRC2:TRAP_HANDLER: 0
; COMPUTE_PGM_RSRC2:TGID_X_EN: 1
; COMPUTE_PGM_RSRC2:TGID_Y_EN: 0
; COMPUTE_PGM_RSRC2:TGID_Z_EN: 0
; COMPUTE_PGM_RSRC2:TIDIG_COMP_CNT: 0
; COMPUTE_PGM_RSRC3_GFX90A:ACCUM_OFFSET: 0
; COMPUTE_PGM_RSRC3_GFX90A:TG_SPLIT: 0
	.section	.text._ZN7rocprim17ROCPRIM_400000_NS6detail17trampoline_kernelINS0_14default_configENS1_36segmented_radix_sort_config_selectorI12hip_bfloat16lEEZNS1_25segmented_radix_sort_implIS3_Lb1EPKS5_PS5_PKlPlN2at6native12_GLOBAL__N_18offset_tEEE10hipError_tPvRmT1_PNSt15iterator_traitsISL_E10value_typeET2_T3_PNSM_ISR_E10value_typeET4_jRbjT5_SX_jjP12ihipStream_tbEUlT_E0_NS1_11comp_targetILNS1_3genE8ELNS1_11target_archE1030ELNS1_3gpuE2ELNS1_3repE0EEENS1_60segmented_radix_sort_warp_sort_medium_config_static_selectorELNS0_4arch9wavefront6targetE1EEEvSL_,"axG",@progbits,_ZN7rocprim17ROCPRIM_400000_NS6detail17trampoline_kernelINS0_14default_configENS1_36segmented_radix_sort_config_selectorI12hip_bfloat16lEEZNS1_25segmented_radix_sort_implIS3_Lb1EPKS5_PS5_PKlPlN2at6native12_GLOBAL__N_18offset_tEEE10hipError_tPvRmT1_PNSt15iterator_traitsISL_E10value_typeET2_T3_PNSM_ISR_E10value_typeET4_jRbjT5_SX_jjP12ihipStream_tbEUlT_E0_NS1_11comp_targetILNS1_3genE8ELNS1_11target_archE1030ELNS1_3gpuE2ELNS1_3repE0EEENS1_60segmented_radix_sort_warp_sort_medium_config_static_selectorELNS0_4arch9wavefront6targetE1EEEvSL_,comdat
	.globl	_ZN7rocprim17ROCPRIM_400000_NS6detail17trampoline_kernelINS0_14default_configENS1_36segmented_radix_sort_config_selectorI12hip_bfloat16lEEZNS1_25segmented_radix_sort_implIS3_Lb1EPKS5_PS5_PKlPlN2at6native12_GLOBAL__N_18offset_tEEE10hipError_tPvRmT1_PNSt15iterator_traitsISL_E10value_typeET2_T3_PNSM_ISR_E10value_typeET4_jRbjT5_SX_jjP12ihipStream_tbEUlT_E0_NS1_11comp_targetILNS1_3genE8ELNS1_11target_archE1030ELNS1_3gpuE2ELNS1_3repE0EEENS1_60segmented_radix_sort_warp_sort_medium_config_static_selectorELNS0_4arch9wavefront6targetE1EEEvSL_ ; -- Begin function _ZN7rocprim17ROCPRIM_400000_NS6detail17trampoline_kernelINS0_14default_configENS1_36segmented_radix_sort_config_selectorI12hip_bfloat16lEEZNS1_25segmented_radix_sort_implIS3_Lb1EPKS5_PS5_PKlPlN2at6native12_GLOBAL__N_18offset_tEEE10hipError_tPvRmT1_PNSt15iterator_traitsISL_E10value_typeET2_T3_PNSM_ISR_E10value_typeET4_jRbjT5_SX_jjP12ihipStream_tbEUlT_E0_NS1_11comp_targetILNS1_3genE8ELNS1_11target_archE1030ELNS1_3gpuE2ELNS1_3repE0EEENS1_60segmented_radix_sort_warp_sort_medium_config_static_selectorELNS0_4arch9wavefront6targetE1EEEvSL_
	.p2align	8
	.type	_ZN7rocprim17ROCPRIM_400000_NS6detail17trampoline_kernelINS0_14default_configENS1_36segmented_radix_sort_config_selectorI12hip_bfloat16lEEZNS1_25segmented_radix_sort_implIS3_Lb1EPKS5_PS5_PKlPlN2at6native12_GLOBAL__N_18offset_tEEE10hipError_tPvRmT1_PNSt15iterator_traitsISL_E10value_typeET2_T3_PNSM_ISR_E10value_typeET4_jRbjT5_SX_jjP12ihipStream_tbEUlT_E0_NS1_11comp_targetILNS1_3genE8ELNS1_11target_archE1030ELNS1_3gpuE2ELNS1_3repE0EEENS1_60segmented_radix_sort_warp_sort_medium_config_static_selectorELNS0_4arch9wavefront6targetE1EEEvSL_,@function
_ZN7rocprim17ROCPRIM_400000_NS6detail17trampoline_kernelINS0_14default_configENS1_36segmented_radix_sort_config_selectorI12hip_bfloat16lEEZNS1_25segmented_radix_sort_implIS3_Lb1EPKS5_PS5_PKlPlN2at6native12_GLOBAL__N_18offset_tEEE10hipError_tPvRmT1_PNSt15iterator_traitsISL_E10value_typeET2_T3_PNSM_ISR_E10value_typeET4_jRbjT5_SX_jjP12ihipStream_tbEUlT_E0_NS1_11comp_targetILNS1_3genE8ELNS1_11target_archE1030ELNS1_3gpuE2ELNS1_3repE0EEENS1_60segmented_radix_sort_warp_sort_medium_config_static_selectorELNS0_4arch9wavefront6targetE1EEEvSL_: ; @_ZN7rocprim17ROCPRIM_400000_NS6detail17trampoline_kernelINS0_14default_configENS1_36segmented_radix_sort_config_selectorI12hip_bfloat16lEEZNS1_25segmented_radix_sort_implIS3_Lb1EPKS5_PS5_PKlPlN2at6native12_GLOBAL__N_18offset_tEEE10hipError_tPvRmT1_PNSt15iterator_traitsISL_E10value_typeET2_T3_PNSM_ISR_E10value_typeET4_jRbjT5_SX_jjP12ihipStream_tbEUlT_E0_NS1_11comp_targetILNS1_3genE8ELNS1_11target_archE1030ELNS1_3gpuE2ELNS1_3repE0EEENS1_60segmented_radix_sort_warp_sort_medium_config_static_selectorELNS0_4arch9wavefront6targetE1EEEvSL_
; %bb.0:
	.section	.rodata,"a",@progbits
	.p2align	6, 0x0
	.amdhsa_kernel _ZN7rocprim17ROCPRIM_400000_NS6detail17trampoline_kernelINS0_14default_configENS1_36segmented_radix_sort_config_selectorI12hip_bfloat16lEEZNS1_25segmented_radix_sort_implIS3_Lb1EPKS5_PS5_PKlPlN2at6native12_GLOBAL__N_18offset_tEEE10hipError_tPvRmT1_PNSt15iterator_traitsISL_E10value_typeET2_T3_PNSM_ISR_E10value_typeET4_jRbjT5_SX_jjP12ihipStream_tbEUlT_E0_NS1_11comp_targetILNS1_3genE8ELNS1_11target_archE1030ELNS1_3gpuE2ELNS1_3repE0EEENS1_60segmented_radix_sort_warp_sort_medium_config_static_selectorELNS0_4arch9wavefront6targetE1EEEvSL_
		.amdhsa_group_segment_fixed_size 0
		.amdhsa_private_segment_fixed_size 0
		.amdhsa_kernarg_size 88
		.amdhsa_user_sgpr_count 6
		.amdhsa_user_sgpr_private_segment_buffer 1
		.amdhsa_user_sgpr_dispatch_ptr 0
		.amdhsa_user_sgpr_queue_ptr 0
		.amdhsa_user_sgpr_kernarg_segment_ptr 1
		.amdhsa_user_sgpr_dispatch_id 0
		.amdhsa_user_sgpr_flat_scratch_init 0
		.amdhsa_user_sgpr_kernarg_preload_length 0
		.amdhsa_user_sgpr_kernarg_preload_offset 0
		.amdhsa_user_sgpr_private_segment_size 0
		.amdhsa_uses_dynamic_stack 0
		.amdhsa_system_sgpr_private_segment_wavefront_offset 0
		.amdhsa_system_sgpr_workgroup_id_x 1
		.amdhsa_system_sgpr_workgroup_id_y 0
		.amdhsa_system_sgpr_workgroup_id_z 0
		.amdhsa_system_sgpr_workgroup_info 0
		.amdhsa_system_vgpr_workitem_id 0
		.amdhsa_next_free_vgpr 1
		.amdhsa_next_free_sgpr 0
		.amdhsa_accum_offset 4
		.amdhsa_reserve_vcc 0
		.amdhsa_reserve_flat_scratch 0
		.amdhsa_float_round_mode_32 0
		.amdhsa_float_round_mode_16_64 0
		.amdhsa_float_denorm_mode_32 3
		.amdhsa_float_denorm_mode_16_64 3
		.amdhsa_dx10_clamp 1
		.amdhsa_ieee_mode 1
		.amdhsa_fp16_overflow 0
		.amdhsa_tg_split 0
		.amdhsa_exception_fp_ieee_invalid_op 0
		.amdhsa_exception_fp_denorm_src 0
		.amdhsa_exception_fp_ieee_div_zero 0
		.amdhsa_exception_fp_ieee_overflow 0
		.amdhsa_exception_fp_ieee_underflow 0
		.amdhsa_exception_fp_ieee_inexact 0
		.amdhsa_exception_int_div_zero 0
	.end_amdhsa_kernel
	.section	.text._ZN7rocprim17ROCPRIM_400000_NS6detail17trampoline_kernelINS0_14default_configENS1_36segmented_radix_sort_config_selectorI12hip_bfloat16lEEZNS1_25segmented_radix_sort_implIS3_Lb1EPKS5_PS5_PKlPlN2at6native12_GLOBAL__N_18offset_tEEE10hipError_tPvRmT1_PNSt15iterator_traitsISL_E10value_typeET2_T3_PNSM_ISR_E10value_typeET4_jRbjT5_SX_jjP12ihipStream_tbEUlT_E0_NS1_11comp_targetILNS1_3genE8ELNS1_11target_archE1030ELNS1_3gpuE2ELNS1_3repE0EEENS1_60segmented_radix_sort_warp_sort_medium_config_static_selectorELNS0_4arch9wavefront6targetE1EEEvSL_,"axG",@progbits,_ZN7rocprim17ROCPRIM_400000_NS6detail17trampoline_kernelINS0_14default_configENS1_36segmented_radix_sort_config_selectorI12hip_bfloat16lEEZNS1_25segmented_radix_sort_implIS3_Lb1EPKS5_PS5_PKlPlN2at6native12_GLOBAL__N_18offset_tEEE10hipError_tPvRmT1_PNSt15iterator_traitsISL_E10value_typeET2_T3_PNSM_ISR_E10value_typeET4_jRbjT5_SX_jjP12ihipStream_tbEUlT_E0_NS1_11comp_targetILNS1_3genE8ELNS1_11target_archE1030ELNS1_3gpuE2ELNS1_3repE0EEENS1_60segmented_radix_sort_warp_sort_medium_config_static_selectorELNS0_4arch9wavefront6targetE1EEEvSL_,comdat
.Lfunc_end1963:
	.size	_ZN7rocprim17ROCPRIM_400000_NS6detail17trampoline_kernelINS0_14default_configENS1_36segmented_radix_sort_config_selectorI12hip_bfloat16lEEZNS1_25segmented_radix_sort_implIS3_Lb1EPKS5_PS5_PKlPlN2at6native12_GLOBAL__N_18offset_tEEE10hipError_tPvRmT1_PNSt15iterator_traitsISL_E10value_typeET2_T3_PNSM_ISR_E10value_typeET4_jRbjT5_SX_jjP12ihipStream_tbEUlT_E0_NS1_11comp_targetILNS1_3genE8ELNS1_11target_archE1030ELNS1_3gpuE2ELNS1_3repE0EEENS1_60segmented_radix_sort_warp_sort_medium_config_static_selectorELNS0_4arch9wavefront6targetE1EEEvSL_, .Lfunc_end1963-_ZN7rocprim17ROCPRIM_400000_NS6detail17trampoline_kernelINS0_14default_configENS1_36segmented_radix_sort_config_selectorI12hip_bfloat16lEEZNS1_25segmented_radix_sort_implIS3_Lb1EPKS5_PS5_PKlPlN2at6native12_GLOBAL__N_18offset_tEEE10hipError_tPvRmT1_PNSt15iterator_traitsISL_E10value_typeET2_T3_PNSM_ISR_E10value_typeET4_jRbjT5_SX_jjP12ihipStream_tbEUlT_E0_NS1_11comp_targetILNS1_3genE8ELNS1_11target_archE1030ELNS1_3gpuE2ELNS1_3repE0EEENS1_60segmented_radix_sort_warp_sort_medium_config_static_selectorELNS0_4arch9wavefront6targetE1EEEvSL_
                                        ; -- End function
	.section	.AMDGPU.csdata,"",@progbits
; Kernel info:
; codeLenInByte = 0
; NumSgprs: 4
; NumVgprs: 0
; NumAgprs: 0
; TotalNumVgprs: 0
; ScratchSize: 0
; MemoryBound: 0
; FloatMode: 240
; IeeeMode: 1
; LDSByteSize: 0 bytes/workgroup (compile time only)
; SGPRBlocks: 0
; VGPRBlocks: 0
; NumSGPRsForWavesPerEU: 4
; NumVGPRsForWavesPerEU: 1
; AccumOffset: 4
; Occupancy: 8
; WaveLimiterHint : 0
; COMPUTE_PGM_RSRC2:SCRATCH_EN: 0
; COMPUTE_PGM_RSRC2:USER_SGPR: 6
; COMPUTE_PGM_RSRC2:TRAP_HANDLER: 0
; COMPUTE_PGM_RSRC2:TGID_X_EN: 1
; COMPUTE_PGM_RSRC2:TGID_Y_EN: 0
; COMPUTE_PGM_RSRC2:TGID_Z_EN: 0
; COMPUTE_PGM_RSRC2:TIDIG_COMP_CNT: 0
; COMPUTE_PGM_RSRC3_GFX90A:ACCUM_OFFSET: 0
; COMPUTE_PGM_RSRC3_GFX90A:TG_SPLIT: 0
	.section	.text._ZN7rocprim17ROCPRIM_400000_NS6detail17trampoline_kernelINS0_14default_configENS1_36segmented_radix_sort_config_selectorI12hip_bfloat16lEEZNS1_25segmented_radix_sort_implIS3_Lb1EPKS5_PS5_PKlPlN2at6native12_GLOBAL__N_18offset_tEEE10hipError_tPvRmT1_PNSt15iterator_traitsISL_E10value_typeET2_T3_PNSM_ISR_E10value_typeET4_jRbjT5_SX_jjP12ihipStream_tbEUlT_E1_NS1_11comp_targetILNS1_3genE0ELNS1_11target_archE4294967295ELNS1_3gpuE0ELNS1_3repE0EEENS1_59segmented_radix_sort_warp_sort_small_config_static_selectorELNS0_4arch9wavefront6targetE1EEEvSL_,"axG",@progbits,_ZN7rocprim17ROCPRIM_400000_NS6detail17trampoline_kernelINS0_14default_configENS1_36segmented_radix_sort_config_selectorI12hip_bfloat16lEEZNS1_25segmented_radix_sort_implIS3_Lb1EPKS5_PS5_PKlPlN2at6native12_GLOBAL__N_18offset_tEEE10hipError_tPvRmT1_PNSt15iterator_traitsISL_E10value_typeET2_T3_PNSM_ISR_E10value_typeET4_jRbjT5_SX_jjP12ihipStream_tbEUlT_E1_NS1_11comp_targetILNS1_3genE0ELNS1_11target_archE4294967295ELNS1_3gpuE0ELNS1_3repE0EEENS1_59segmented_radix_sort_warp_sort_small_config_static_selectorELNS0_4arch9wavefront6targetE1EEEvSL_,comdat
	.globl	_ZN7rocprim17ROCPRIM_400000_NS6detail17trampoline_kernelINS0_14default_configENS1_36segmented_radix_sort_config_selectorI12hip_bfloat16lEEZNS1_25segmented_radix_sort_implIS3_Lb1EPKS5_PS5_PKlPlN2at6native12_GLOBAL__N_18offset_tEEE10hipError_tPvRmT1_PNSt15iterator_traitsISL_E10value_typeET2_T3_PNSM_ISR_E10value_typeET4_jRbjT5_SX_jjP12ihipStream_tbEUlT_E1_NS1_11comp_targetILNS1_3genE0ELNS1_11target_archE4294967295ELNS1_3gpuE0ELNS1_3repE0EEENS1_59segmented_radix_sort_warp_sort_small_config_static_selectorELNS0_4arch9wavefront6targetE1EEEvSL_ ; -- Begin function _ZN7rocprim17ROCPRIM_400000_NS6detail17trampoline_kernelINS0_14default_configENS1_36segmented_radix_sort_config_selectorI12hip_bfloat16lEEZNS1_25segmented_radix_sort_implIS3_Lb1EPKS5_PS5_PKlPlN2at6native12_GLOBAL__N_18offset_tEEE10hipError_tPvRmT1_PNSt15iterator_traitsISL_E10value_typeET2_T3_PNSM_ISR_E10value_typeET4_jRbjT5_SX_jjP12ihipStream_tbEUlT_E1_NS1_11comp_targetILNS1_3genE0ELNS1_11target_archE4294967295ELNS1_3gpuE0ELNS1_3repE0EEENS1_59segmented_radix_sort_warp_sort_small_config_static_selectorELNS0_4arch9wavefront6targetE1EEEvSL_
	.p2align	8
	.type	_ZN7rocprim17ROCPRIM_400000_NS6detail17trampoline_kernelINS0_14default_configENS1_36segmented_radix_sort_config_selectorI12hip_bfloat16lEEZNS1_25segmented_radix_sort_implIS3_Lb1EPKS5_PS5_PKlPlN2at6native12_GLOBAL__N_18offset_tEEE10hipError_tPvRmT1_PNSt15iterator_traitsISL_E10value_typeET2_T3_PNSM_ISR_E10value_typeET4_jRbjT5_SX_jjP12ihipStream_tbEUlT_E1_NS1_11comp_targetILNS1_3genE0ELNS1_11target_archE4294967295ELNS1_3gpuE0ELNS1_3repE0EEENS1_59segmented_radix_sort_warp_sort_small_config_static_selectorELNS0_4arch9wavefront6targetE1EEEvSL_,@function
_ZN7rocprim17ROCPRIM_400000_NS6detail17trampoline_kernelINS0_14default_configENS1_36segmented_radix_sort_config_selectorI12hip_bfloat16lEEZNS1_25segmented_radix_sort_implIS3_Lb1EPKS5_PS5_PKlPlN2at6native12_GLOBAL__N_18offset_tEEE10hipError_tPvRmT1_PNSt15iterator_traitsISL_E10value_typeET2_T3_PNSM_ISR_E10value_typeET4_jRbjT5_SX_jjP12ihipStream_tbEUlT_E1_NS1_11comp_targetILNS1_3genE0ELNS1_11target_archE4294967295ELNS1_3gpuE0ELNS1_3repE0EEENS1_59segmented_radix_sort_warp_sort_small_config_static_selectorELNS0_4arch9wavefront6targetE1EEEvSL_: ; @_ZN7rocprim17ROCPRIM_400000_NS6detail17trampoline_kernelINS0_14default_configENS1_36segmented_radix_sort_config_selectorI12hip_bfloat16lEEZNS1_25segmented_radix_sort_implIS3_Lb1EPKS5_PS5_PKlPlN2at6native12_GLOBAL__N_18offset_tEEE10hipError_tPvRmT1_PNSt15iterator_traitsISL_E10value_typeET2_T3_PNSM_ISR_E10value_typeET4_jRbjT5_SX_jjP12ihipStream_tbEUlT_E1_NS1_11comp_targetILNS1_3genE0ELNS1_11target_archE4294967295ELNS1_3gpuE0ELNS1_3repE0EEENS1_59segmented_radix_sort_warp_sort_small_config_static_selectorELNS0_4arch9wavefront6targetE1EEEvSL_
; %bb.0:
	.section	.rodata,"a",@progbits
	.p2align	6, 0x0
	.amdhsa_kernel _ZN7rocprim17ROCPRIM_400000_NS6detail17trampoline_kernelINS0_14default_configENS1_36segmented_radix_sort_config_selectorI12hip_bfloat16lEEZNS1_25segmented_radix_sort_implIS3_Lb1EPKS5_PS5_PKlPlN2at6native12_GLOBAL__N_18offset_tEEE10hipError_tPvRmT1_PNSt15iterator_traitsISL_E10value_typeET2_T3_PNSM_ISR_E10value_typeET4_jRbjT5_SX_jjP12ihipStream_tbEUlT_E1_NS1_11comp_targetILNS1_3genE0ELNS1_11target_archE4294967295ELNS1_3gpuE0ELNS1_3repE0EEENS1_59segmented_radix_sort_warp_sort_small_config_static_selectorELNS0_4arch9wavefront6targetE1EEEvSL_
		.amdhsa_group_segment_fixed_size 0
		.amdhsa_private_segment_fixed_size 0
		.amdhsa_kernarg_size 88
		.amdhsa_user_sgpr_count 6
		.amdhsa_user_sgpr_private_segment_buffer 1
		.amdhsa_user_sgpr_dispatch_ptr 0
		.amdhsa_user_sgpr_queue_ptr 0
		.amdhsa_user_sgpr_kernarg_segment_ptr 1
		.amdhsa_user_sgpr_dispatch_id 0
		.amdhsa_user_sgpr_flat_scratch_init 0
		.amdhsa_user_sgpr_kernarg_preload_length 0
		.amdhsa_user_sgpr_kernarg_preload_offset 0
		.amdhsa_user_sgpr_private_segment_size 0
		.amdhsa_uses_dynamic_stack 0
		.amdhsa_system_sgpr_private_segment_wavefront_offset 0
		.amdhsa_system_sgpr_workgroup_id_x 1
		.amdhsa_system_sgpr_workgroup_id_y 0
		.amdhsa_system_sgpr_workgroup_id_z 0
		.amdhsa_system_sgpr_workgroup_info 0
		.amdhsa_system_vgpr_workitem_id 0
		.amdhsa_next_free_vgpr 1
		.amdhsa_next_free_sgpr 0
		.amdhsa_accum_offset 4
		.amdhsa_reserve_vcc 0
		.amdhsa_reserve_flat_scratch 0
		.amdhsa_float_round_mode_32 0
		.amdhsa_float_round_mode_16_64 0
		.amdhsa_float_denorm_mode_32 3
		.amdhsa_float_denorm_mode_16_64 3
		.amdhsa_dx10_clamp 1
		.amdhsa_ieee_mode 1
		.amdhsa_fp16_overflow 0
		.amdhsa_tg_split 0
		.amdhsa_exception_fp_ieee_invalid_op 0
		.amdhsa_exception_fp_denorm_src 0
		.amdhsa_exception_fp_ieee_div_zero 0
		.amdhsa_exception_fp_ieee_overflow 0
		.amdhsa_exception_fp_ieee_underflow 0
		.amdhsa_exception_fp_ieee_inexact 0
		.amdhsa_exception_int_div_zero 0
	.end_amdhsa_kernel
	.section	.text._ZN7rocprim17ROCPRIM_400000_NS6detail17trampoline_kernelINS0_14default_configENS1_36segmented_radix_sort_config_selectorI12hip_bfloat16lEEZNS1_25segmented_radix_sort_implIS3_Lb1EPKS5_PS5_PKlPlN2at6native12_GLOBAL__N_18offset_tEEE10hipError_tPvRmT1_PNSt15iterator_traitsISL_E10value_typeET2_T3_PNSM_ISR_E10value_typeET4_jRbjT5_SX_jjP12ihipStream_tbEUlT_E1_NS1_11comp_targetILNS1_3genE0ELNS1_11target_archE4294967295ELNS1_3gpuE0ELNS1_3repE0EEENS1_59segmented_radix_sort_warp_sort_small_config_static_selectorELNS0_4arch9wavefront6targetE1EEEvSL_,"axG",@progbits,_ZN7rocprim17ROCPRIM_400000_NS6detail17trampoline_kernelINS0_14default_configENS1_36segmented_radix_sort_config_selectorI12hip_bfloat16lEEZNS1_25segmented_radix_sort_implIS3_Lb1EPKS5_PS5_PKlPlN2at6native12_GLOBAL__N_18offset_tEEE10hipError_tPvRmT1_PNSt15iterator_traitsISL_E10value_typeET2_T3_PNSM_ISR_E10value_typeET4_jRbjT5_SX_jjP12ihipStream_tbEUlT_E1_NS1_11comp_targetILNS1_3genE0ELNS1_11target_archE4294967295ELNS1_3gpuE0ELNS1_3repE0EEENS1_59segmented_radix_sort_warp_sort_small_config_static_selectorELNS0_4arch9wavefront6targetE1EEEvSL_,comdat
.Lfunc_end1964:
	.size	_ZN7rocprim17ROCPRIM_400000_NS6detail17trampoline_kernelINS0_14default_configENS1_36segmented_radix_sort_config_selectorI12hip_bfloat16lEEZNS1_25segmented_radix_sort_implIS3_Lb1EPKS5_PS5_PKlPlN2at6native12_GLOBAL__N_18offset_tEEE10hipError_tPvRmT1_PNSt15iterator_traitsISL_E10value_typeET2_T3_PNSM_ISR_E10value_typeET4_jRbjT5_SX_jjP12ihipStream_tbEUlT_E1_NS1_11comp_targetILNS1_3genE0ELNS1_11target_archE4294967295ELNS1_3gpuE0ELNS1_3repE0EEENS1_59segmented_radix_sort_warp_sort_small_config_static_selectorELNS0_4arch9wavefront6targetE1EEEvSL_, .Lfunc_end1964-_ZN7rocprim17ROCPRIM_400000_NS6detail17trampoline_kernelINS0_14default_configENS1_36segmented_radix_sort_config_selectorI12hip_bfloat16lEEZNS1_25segmented_radix_sort_implIS3_Lb1EPKS5_PS5_PKlPlN2at6native12_GLOBAL__N_18offset_tEEE10hipError_tPvRmT1_PNSt15iterator_traitsISL_E10value_typeET2_T3_PNSM_ISR_E10value_typeET4_jRbjT5_SX_jjP12ihipStream_tbEUlT_E1_NS1_11comp_targetILNS1_3genE0ELNS1_11target_archE4294967295ELNS1_3gpuE0ELNS1_3repE0EEENS1_59segmented_radix_sort_warp_sort_small_config_static_selectorELNS0_4arch9wavefront6targetE1EEEvSL_
                                        ; -- End function
	.section	.AMDGPU.csdata,"",@progbits
; Kernel info:
; codeLenInByte = 0
; NumSgprs: 4
; NumVgprs: 0
; NumAgprs: 0
; TotalNumVgprs: 0
; ScratchSize: 0
; MemoryBound: 0
; FloatMode: 240
; IeeeMode: 1
; LDSByteSize: 0 bytes/workgroup (compile time only)
; SGPRBlocks: 0
; VGPRBlocks: 0
; NumSGPRsForWavesPerEU: 4
; NumVGPRsForWavesPerEU: 1
; AccumOffset: 4
; Occupancy: 8
; WaveLimiterHint : 0
; COMPUTE_PGM_RSRC2:SCRATCH_EN: 0
; COMPUTE_PGM_RSRC2:USER_SGPR: 6
; COMPUTE_PGM_RSRC2:TRAP_HANDLER: 0
; COMPUTE_PGM_RSRC2:TGID_X_EN: 1
; COMPUTE_PGM_RSRC2:TGID_Y_EN: 0
; COMPUTE_PGM_RSRC2:TGID_Z_EN: 0
; COMPUTE_PGM_RSRC2:TIDIG_COMP_CNT: 0
; COMPUTE_PGM_RSRC3_GFX90A:ACCUM_OFFSET: 0
; COMPUTE_PGM_RSRC3_GFX90A:TG_SPLIT: 0
	.section	.text._ZN7rocprim17ROCPRIM_400000_NS6detail17trampoline_kernelINS0_14default_configENS1_36segmented_radix_sort_config_selectorI12hip_bfloat16lEEZNS1_25segmented_radix_sort_implIS3_Lb1EPKS5_PS5_PKlPlN2at6native12_GLOBAL__N_18offset_tEEE10hipError_tPvRmT1_PNSt15iterator_traitsISL_E10value_typeET2_T3_PNSM_ISR_E10value_typeET4_jRbjT5_SX_jjP12ihipStream_tbEUlT_E1_NS1_11comp_targetILNS1_3genE5ELNS1_11target_archE942ELNS1_3gpuE9ELNS1_3repE0EEENS1_59segmented_radix_sort_warp_sort_small_config_static_selectorELNS0_4arch9wavefront6targetE1EEEvSL_,"axG",@progbits,_ZN7rocprim17ROCPRIM_400000_NS6detail17trampoline_kernelINS0_14default_configENS1_36segmented_radix_sort_config_selectorI12hip_bfloat16lEEZNS1_25segmented_radix_sort_implIS3_Lb1EPKS5_PS5_PKlPlN2at6native12_GLOBAL__N_18offset_tEEE10hipError_tPvRmT1_PNSt15iterator_traitsISL_E10value_typeET2_T3_PNSM_ISR_E10value_typeET4_jRbjT5_SX_jjP12ihipStream_tbEUlT_E1_NS1_11comp_targetILNS1_3genE5ELNS1_11target_archE942ELNS1_3gpuE9ELNS1_3repE0EEENS1_59segmented_radix_sort_warp_sort_small_config_static_selectorELNS0_4arch9wavefront6targetE1EEEvSL_,comdat
	.globl	_ZN7rocprim17ROCPRIM_400000_NS6detail17trampoline_kernelINS0_14default_configENS1_36segmented_radix_sort_config_selectorI12hip_bfloat16lEEZNS1_25segmented_radix_sort_implIS3_Lb1EPKS5_PS5_PKlPlN2at6native12_GLOBAL__N_18offset_tEEE10hipError_tPvRmT1_PNSt15iterator_traitsISL_E10value_typeET2_T3_PNSM_ISR_E10value_typeET4_jRbjT5_SX_jjP12ihipStream_tbEUlT_E1_NS1_11comp_targetILNS1_3genE5ELNS1_11target_archE942ELNS1_3gpuE9ELNS1_3repE0EEENS1_59segmented_radix_sort_warp_sort_small_config_static_selectorELNS0_4arch9wavefront6targetE1EEEvSL_ ; -- Begin function _ZN7rocprim17ROCPRIM_400000_NS6detail17trampoline_kernelINS0_14default_configENS1_36segmented_radix_sort_config_selectorI12hip_bfloat16lEEZNS1_25segmented_radix_sort_implIS3_Lb1EPKS5_PS5_PKlPlN2at6native12_GLOBAL__N_18offset_tEEE10hipError_tPvRmT1_PNSt15iterator_traitsISL_E10value_typeET2_T3_PNSM_ISR_E10value_typeET4_jRbjT5_SX_jjP12ihipStream_tbEUlT_E1_NS1_11comp_targetILNS1_3genE5ELNS1_11target_archE942ELNS1_3gpuE9ELNS1_3repE0EEENS1_59segmented_radix_sort_warp_sort_small_config_static_selectorELNS0_4arch9wavefront6targetE1EEEvSL_
	.p2align	8
	.type	_ZN7rocprim17ROCPRIM_400000_NS6detail17trampoline_kernelINS0_14default_configENS1_36segmented_radix_sort_config_selectorI12hip_bfloat16lEEZNS1_25segmented_radix_sort_implIS3_Lb1EPKS5_PS5_PKlPlN2at6native12_GLOBAL__N_18offset_tEEE10hipError_tPvRmT1_PNSt15iterator_traitsISL_E10value_typeET2_T3_PNSM_ISR_E10value_typeET4_jRbjT5_SX_jjP12ihipStream_tbEUlT_E1_NS1_11comp_targetILNS1_3genE5ELNS1_11target_archE942ELNS1_3gpuE9ELNS1_3repE0EEENS1_59segmented_radix_sort_warp_sort_small_config_static_selectorELNS0_4arch9wavefront6targetE1EEEvSL_,@function
_ZN7rocprim17ROCPRIM_400000_NS6detail17trampoline_kernelINS0_14default_configENS1_36segmented_radix_sort_config_selectorI12hip_bfloat16lEEZNS1_25segmented_radix_sort_implIS3_Lb1EPKS5_PS5_PKlPlN2at6native12_GLOBAL__N_18offset_tEEE10hipError_tPvRmT1_PNSt15iterator_traitsISL_E10value_typeET2_T3_PNSM_ISR_E10value_typeET4_jRbjT5_SX_jjP12ihipStream_tbEUlT_E1_NS1_11comp_targetILNS1_3genE5ELNS1_11target_archE942ELNS1_3gpuE9ELNS1_3repE0EEENS1_59segmented_radix_sort_warp_sort_small_config_static_selectorELNS0_4arch9wavefront6targetE1EEEvSL_: ; @_ZN7rocprim17ROCPRIM_400000_NS6detail17trampoline_kernelINS0_14default_configENS1_36segmented_radix_sort_config_selectorI12hip_bfloat16lEEZNS1_25segmented_radix_sort_implIS3_Lb1EPKS5_PS5_PKlPlN2at6native12_GLOBAL__N_18offset_tEEE10hipError_tPvRmT1_PNSt15iterator_traitsISL_E10value_typeET2_T3_PNSM_ISR_E10value_typeET4_jRbjT5_SX_jjP12ihipStream_tbEUlT_E1_NS1_11comp_targetILNS1_3genE5ELNS1_11target_archE942ELNS1_3gpuE9ELNS1_3repE0EEENS1_59segmented_radix_sort_warp_sort_small_config_static_selectorELNS0_4arch9wavefront6targetE1EEEvSL_
; %bb.0:
	.section	.rodata,"a",@progbits
	.p2align	6, 0x0
	.amdhsa_kernel _ZN7rocprim17ROCPRIM_400000_NS6detail17trampoline_kernelINS0_14default_configENS1_36segmented_radix_sort_config_selectorI12hip_bfloat16lEEZNS1_25segmented_radix_sort_implIS3_Lb1EPKS5_PS5_PKlPlN2at6native12_GLOBAL__N_18offset_tEEE10hipError_tPvRmT1_PNSt15iterator_traitsISL_E10value_typeET2_T3_PNSM_ISR_E10value_typeET4_jRbjT5_SX_jjP12ihipStream_tbEUlT_E1_NS1_11comp_targetILNS1_3genE5ELNS1_11target_archE942ELNS1_3gpuE9ELNS1_3repE0EEENS1_59segmented_radix_sort_warp_sort_small_config_static_selectorELNS0_4arch9wavefront6targetE1EEEvSL_
		.amdhsa_group_segment_fixed_size 0
		.amdhsa_private_segment_fixed_size 0
		.amdhsa_kernarg_size 88
		.amdhsa_user_sgpr_count 6
		.amdhsa_user_sgpr_private_segment_buffer 1
		.amdhsa_user_sgpr_dispatch_ptr 0
		.amdhsa_user_sgpr_queue_ptr 0
		.amdhsa_user_sgpr_kernarg_segment_ptr 1
		.amdhsa_user_sgpr_dispatch_id 0
		.amdhsa_user_sgpr_flat_scratch_init 0
		.amdhsa_user_sgpr_kernarg_preload_length 0
		.amdhsa_user_sgpr_kernarg_preload_offset 0
		.amdhsa_user_sgpr_private_segment_size 0
		.amdhsa_uses_dynamic_stack 0
		.amdhsa_system_sgpr_private_segment_wavefront_offset 0
		.amdhsa_system_sgpr_workgroup_id_x 1
		.amdhsa_system_sgpr_workgroup_id_y 0
		.amdhsa_system_sgpr_workgroup_id_z 0
		.amdhsa_system_sgpr_workgroup_info 0
		.amdhsa_system_vgpr_workitem_id 0
		.amdhsa_next_free_vgpr 1
		.amdhsa_next_free_sgpr 0
		.amdhsa_accum_offset 4
		.amdhsa_reserve_vcc 0
		.amdhsa_reserve_flat_scratch 0
		.amdhsa_float_round_mode_32 0
		.amdhsa_float_round_mode_16_64 0
		.amdhsa_float_denorm_mode_32 3
		.amdhsa_float_denorm_mode_16_64 3
		.amdhsa_dx10_clamp 1
		.amdhsa_ieee_mode 1
		.amdhsa_fp16_overflow 0
		.amdhsa_tg_split 0
		.amdhsa_exception_fp_ieee_invalid_op 0
		.amdhsa_exception_fp_denorm_src 0
		.amdhsa_exception_fp_ieee_div_zero 0
		.amdhsa_exception_fp_ieee_overflow 0
		.amdhsa_exception_fp_ieee_underflow 0
		.amdhsa_exception_fp_ieee_inexact 0
		.amdhsa_exception_int_div_zero 0
	.end_amdhsa_kernel
	.section	.text._ZN7rocprim17ROCPRIM_400000_NS6detail17trampoline_kernelINS0_14default_configENS1_36segmented_radix_sort_config_selectorI12hip_bfloat16lEEZNS1_25segmented_radix_sort_implIS3_Lb1EPKS5_PS5_PKlPlN2at6native12_GLOBAL__N_18offset_tEEE10hipError_tPvRmT1_PNSt15iterator_traitsISL_E10value_typeET2_T3_PNSM_ISR_E10value_typeET4_jRbjT5_SX_jjP12ihipStream_tbEUlT_E1_NS1_11comp_targetILNS1_3genE5ELNS1_11target_archE942ELNS1_3gpuE9ELNS1_3repE0EEENS1_59segmented_radix_sort_warp_sort_small_config_static_selectorELNS0_4arch9wavefront6targetE1EEEvSL_,"axG",@progbits,_ZN7rocprim17ROCPRIM_400000_NS6detail17trampoline_kernelINS0_14default_configENS1_36segmented_radix_sort_config_selectorI12hip_bfloat16lEEZNS1_25segmented_radix_sort_implIS3_Lb1EPKS5_PS5_PKlPlN2at6native12_GLOBAL__N_18offset_tEEE10hipError_tPvRmT1_PNSt15iterator_traitsISL_E10value_typeET2_T3_PNSM_ISR_E10value_typeET4_jRbjT5_SX_jjP12ihipStream_tbEUlT_E1_NS1_11comp_targetILNS1_3genE5ELNS1_11target_archE942ELNS1_3gpuE9ELNS1_3repE0EEENS1_59segmented_radix_sort_warp_sort_small_config_static_selectorELNS0_4arch9wavefront6targetE1EEEvSL_,comdat
.Lfunc_end1965:
	.size	_ZN7rocprim17ROCPRIM_400000_NS6detail17trampoline_kernelINS0_14default_configENS1_36segmented_radix_sort_config_selectorI12hip_bfloat16lEEZNS1_25segmented_radix_sort_implIS3_Lb1EPKS5_PS5_PKlPlN2at6native12_GLOBAL__N_18offset_tEEE10hipError_tPvRmT1_PNSt15iterator_traitsISL_E10value_typeET2_T3_PNSM_ISR_E10value_typeET4_jRbjT5_SX_jjP12ihipStream_tbEUlT_E1_NS1_11comp_targetILNS1_3genE5ELNS1_11target_archE942ELNS1_3gpuE9ELNS1_3repE0EEENS1_59segmented_radix_sort_warp_sort_small_config_static_selectorELNS0_4arch9wavefront6targetE1EEEvSL_, .Lfunc_end1965-_ZN7rocprim17ROCPRIM_400000_NS6detail17trampoline_kernelINS0_14default_configENS1_36segmented_radix_sort_config_selectorI12hip_bfloat16lEEZNS1_25segmented_radix_sort_implIS3_Lb1EPKS5_PS5_PKlPlN2at6native12_GLOBAL__N_18offset_tEEE10hipError_tPvRmT1_PNSt15iterator_traitsISL_E10value_typeET2_T3_PNSM_ISR_E10value_typeET4_jRbjT5_SX_jjP12ihipStream_tbEUlT_E1_NS1_11comp_targetILNS1_3genE5ELNS1_11target_archE942ELNS1_3gpuE9ELNS1_3repE0EEENS1_59segmented_radix_sort_warp_sort_small_config_static_selectorELNS0_4arch9wavefront6targetE1EEEvSL_
                                        ; -- End function
	.section	.AMDGPU.csdata,"",@progbits
; Kernel info:
; codeLenInByte = 0
; NumSgprs: 4
; NumVgprs: 0
; NumAgprs: 0
; TotalNumVgprs: 0
; ScratchSize: 0
; MemoryBound: 0
; FloatMode: 240
; IeeeMode: 1
; LDSByteSize: 0 bytes/workgroup (compile time only)
; SGPRBlocks: 0
; VGPRBlocks: 0
; NumSGPRsForWavesPerEU: 4
; NumVGPRsForWavesPerEU: 1
; AccumOffset: 4
; Occupancy: 8
; WaveLimiterHint : 0
; COMPUTE_PGM_RSRC2:SCRATCH_EN: 0
; COMPUTE_PGM_RSRC2:USER_SGPR: 6
; COMPUTE_PGM_RSRC2:TRAP_HANDLER: 0
; COMPUTE_PGM_RSRC2:TGID_X_EN: 1
; COMPUTE_PGM_RSRC2:TGID_Y_EN: 0
; COMPUTE_PGM_RSRC2:TGID_Z_EN: 0
; COMPUTE_PGM_RSRC2:TIDIG_COMP_CNT: 0
; COMPUTE_PGM_RSRC3_GFX90A:ACCUM_OFFSET: 0
; COMPUTE_PGM_RSRC3_GFX90A:TG_SPLIT: 0
	.text
	.p2align	2                               ; -- Begin function _ZN7rocprim17ROCPRIM_400000_NS6detail26segmented_warp_sort_helperINS1_20WarpSortHelperConfigILj8ELj4ELj256EEE12hip_bfloat16lLi256ELb1EvE4sortIPKS5_PS5_PKlPlEEvT_T0_T1_T2_jjjjRNS6_12storage_typeE
	.type	_ZN7rocprim17ROCPRIM_400000_NS6detail26segmented_warp_sort_helperINS1_20WarpSortHelperConfigILj8ELj4ELj256EEE12hip_bfloat16lLi256ELb1EvE4sortIPKS5_PS5_PKlPlEEvT_T0_T1_T2_jjjjRNS6_12storage_typeE,@function
_ZN7rocprim17ROCPRIM_400000_NS6detail26segmented_warp_sort_helperINS1_20WarpSortHelperConfigILj8ELj4ELj256EEE12hip_bfloat16lLi256ELb1EvE4sortIPKS5_PS5_PKlPlEEvT_T0_T1_T2_jjjjRNS6_12storage_typeE: ; @_ZN7rocprim17ROCPRIM_400000_NS6detail26segmented_warp_sort_helperINS1_20WarpSortHelperConfigILj8ELj4ELj256EEE12hip_bfloat16lLi256ELb1EvE4sortIPKS5_PS5_PKlPlEEvT_T0_T1_T2_jjjjRNS6_12storage_typeE
; %bb.0:
	s_waitcnt vmcnt(0) expcnt(0) lgkmcnt(0)
	v_mbcnt_lo_u32_b32 v13, -1, 0
	v_sub_u32_e32 v12, v9, v8
	v_mov_b32_e32 v9, 0
	v_mbcnt_hi_u32_b32 v13, -1, v13
	v_lshlrev_b64 v[28:29], 1, v[8:9]
	v_lshlrev_b32_e32 v34, 2, v13
	v_add_co_u32_e32 v0, vcc, v0, v28
	v_and_b32_e32 v33, 28, v34
	v_addc_co_u32_e32 v1, vcc, v1, v29, vcc
	v_lshlrev_b32_e32 v30, 1, v33
	v_add_co_u32_e32 v0, vcc, v0, v30
	v_addc_co_u32_e32 v1, vcc, 0, v1, vcc
	v_cmp_lt_u32_e32 vcc, v33, v12
	v_mov_b32_e32 v36, -1
	v_mov_b32_e32 v37, -1
	s_and_saveexec_b64 s[4:5], vcc
	s_cbranch_execz .LBB1966_2
; %bb.1:
	flat_load_ushort v37, v[0:1]
.LBB1966_2:
	s_or_b64 exec, exec, s[4:5]
	v_or_b32_e32 v13, 1, v33
	v_cmp_lt_u32_e64 s[4:5], v13, v12
	s_and_saveexec_b64 s[6:7], s[4:5]
	s_cbranch_execz .LBB1966_4
; %bb.3:
	flat_load_ushort v36, v[0:1] offset:2
.LBB1966_4:
	s_or_b64 exec, exec, s[6:7]
	v_or_b32_e32 v13, 2, v33
	v_cmp_lt_u32_e64 s[6:7], v13, v12
	v_mov_b32_e32 v35, -1
	v_mov_b32_e32 v38, -1
	s_and_saveexec_b64 s[10:11], s[6:7]
	s_cbranch_execz .LBB1966_6
; %bb.5:
	flat_load_ushort v38, v[0:1] offset:4
.LBB1966_6:
	s_or_b64 exec, exec, s[10:11]
	v_or_b32_e32 v13, 3, v33
	v_cmp_lt_u32_e64 s[14:15], v13, v12
	s_and_saveexec_b64 s[10:11], s[14:15]
	s_cbranch_execz .LBB1966_8
; %bb.7:
	flat_load_ushort v35, v[0:1] offset:6
.LBB1966_8:
	s_or_b64 exec, exec, s[10:11]
	v_lshlrev_b64 v[0:1], 3, v[8:9]
	v_add_co_u32_e64 v4, s[10:11], v4, v0
	v_addc_co_u32_e64 v5, s[10:11], v5, v1, s[10:11]
	v_lshlrev_b32_e32 v32, 3, v33
	v_add_co_u32_e64 v4, s[10:11], v4, v32
	v_addc_co_u32_e64 v5, s[10:11], 0, v5, s[10:11]
	; wave barrier
                                        ; implicit-def: $vgpr12_vgpr13_vgpr14_vgpr15_vgpr16_vgpr17_vgpr18_vgpr19
	s_and_saveexec_b64 s[10:11], vcc
	s_cbranch_execnz .LBB1966_82
; %bb.9:
	s_or_b64 exec, exec, s[10:11]
	s_and_saveexec_b64 s[10:11], s[4:5]
	s_cbranch_execnz .LBB1966_83
.LBB1966_10:
	s_or_b64 exec, exec, s[10:11]
	s_and_saveexec_b64 s[10:11], s[6:7]
	s_cbranch_execnz .LBB1966_84
.LBB1966_11:
	s_or_b64 exec, exec, s[10:11]
	s_and_saveexec_b64 s[10:11], s[14:15]
	s_cbranch_execz .LBB1966_13
.LBB1966_12:
	flat_load_dwordx2 v[18:19], v[4:5] offset:24
.LBB1966_13:
	s_or_b64 exec, exec, s[10:11]
	; wave barrier
	s_load_dwordx2 s[10:11], s[8:9], 0x0
	v_mov_b32_e32 v4, 0
	v_bfe_u32 v9, v31, 20, 10
	v_and_b32_e32 v20, 0x3ff, v31
	s_waitcnt lgkmcnt(0)
	s_cmp_lt_u32 s12, s10
	s_cselect_b32 s12, 12, 18
	s_cmp_lt_u32 s13, s11
	s_cselect_b32 s10, 14, 20
	s_add_u32 s10, s8, s10
	s_addc_u32 s11, s9, 0
	s_add_u32 s8, s8, s12
	s_addc_u32 s9, s9, 0
	global_load_ushort v5, v4, s[10:11]
	global_load_ushort v8, v4, s[8:9]
	v_bfe_u32 v4, v31, 10, 10
	s_movk_i32 s8, 0x400
	s_waitcnt vmcnt(0)
	v_mad_u32_u24 v4, v9, v5, v4
	v_mul_lo_u32 v4, v4, v8
	v_add_lshl_u32 v4, v4, v20, 2
	v_cmp_gt_u32_e64 s[8:9], s8, v4
	s_and_saveexec_b64 s[12:13], s[8:9]
	s_cbranch_execz .LBB1966_71
; %bb.14:
	v_lshlrev_b32_e32 v5, 16, v36
	v_add_f32_e32 v8, 0, v5
	s_mov_b32 s8, 0x7f800000
	v_and_b32_e32 v5, 0x7f800000, v8
	v_cmp_ne_u32_e64 s[8:9], s8, v5
                                        ; implicit-def: $vgpr5
	s_and_saveexec_b64 s[10:11], s[8:9]
	s_xor_b64 s[8:9], exec, s[10:11]
; %bb.15:
	v_bfe_u32 v5, v8, 16, 1
	s_movk_i32 s10, 0x7fff
	v_add3_u32 v5, v8, v5, s10
                                        ; implicit-def: $vgpr8
; %bb.16:
	s_andn2_saveexec_b64 s[10:11], s[8:9]
; %bb.17:
	v_mov_b32_e32 v5, 0
	v_or_b32_e32 v9, 0x10000, v8
	v_cmp_eq_u32_sdwa s[8:9], v8, v5 src0_sel:WORD_0 src1_sel:DWORD
	v_cndmask_b32_e64 v5, v9, v8, s[8:9]
; %bb.18:
	s_or_b64 exec, exec, s[10:11]
	v_lshlrev_b32_e32 v8, 16, v37
	v_add_f32_e32 v8, 0, v8
	s_mov_b32 s8, 0x7f800000
	v_and_b32_e32 v9, 0x7f800000, v8
	v_cmp_ne_u32_e64 s[8:9], s8, v9
                                        ; implicit-def: $vgpr20
	s_and_saveexec_b64 s[10:11], s[8:9]
	s_xor_b64 s[8:9], exec, s[10:11]
; %bb.19:
	v_bfe_u32 v9, v8, 16, 1
	s_movk_i32 s10, 0x7fff
	v_add3_u32 v20, v8, v9, s10
                                        ; implicit-def: $vgpr8
; %bb.20:
	s_andn2_saveexec_b64 s[10:11], s[8:9]
; %bb.21:
	v_mov_b32_e32 v9, 0
	v_or_b32_e32 v20, 0x10000, v8
	v_cmp_eq_u32_sdwa s[8:9], v8, v9 src0_sel:WORD_0 src1_sel:DWORD
	v_cndmask_b32_e64 v20, v20, v8, s[8:9]
; %bb.22:
	s_or_b64 exec, exec, s[10:11]
	v_lshlrev_b32_e32 v8, 16, v35
	v_add_f32_e32 v8, 0, v8
	s_mov_b32 s8, 0x7f800000
	v_and_b32_e32 v9, 0x7f800000, v8
	v_cmp_ne_u32_e64 s[8:9], s8, v9
                                        ; implicit-def: $vgpr24
	s_and_saveexec_b64 s[10:11], s[8:9]
	s_xor_b64 s[8:9], exec, s[10:11]
; %bb.23:
	v_bfe_u32 v9, v8, 16, 1
	s_movk_i32 s10, 0x7fff
	v_add3_u32 v24, v8, v9, s10
; %bb.24:
	s_andn2_saveexec_b64 s[10:11], s[8:9]
; %bb.25:
	v_mov_b32_e32 v9, 0
	v_or_b32_e32 v21, 0x10000, v8
	v_cmp_eq_u32_sdwa s[8:9], v8, v9 src0_sel:WORD_0 src1_sel:DWORD
	v_cndmask_b32_e64 v24, v21, v8, s[8:9]
; %bb.26:
	s_or_b64 exec, exec, s[10:11]
	v_lshlrev_b32_e32 v9, 16, v38
	v_add_f32_e32 v9, 0, v9
	s_mov_b32 s8, 0x7f800000
	v_and_b32_e32 v21, 0x7f800000, v9
	v_cmp_ne_u32_e64 s[8:9], s8, v21
                                        ; implicit-def: $vgpr25
	s_and_saveexec_b64 s[10:11], s[8:9]
	s_xor_b64 s[8:9], exec, s[10:11]
; %bb.27:
	v_bfe_u32 v21, v9, 16, 1
	s_movk_i32 s10, 0x7fff
	v_add3_u32 v25, v9, v21, s10
; %bb.28:
	s_andn2_saveexec_b64 s[10:11], s[8:9]
; %bb.29:
	v_mov_b32_e32 v21, 0
	v_or_b32_e32 v22, 0x10000, v9
	v_cmp_eq_u32_sdwa s[8:9], v9, v21 src0_sel:WORD_0 src1_sel:DWORD
	v_cndmask_b32_e64 v25, v22, v9, s[8:9]
; %bb.30:
	s_or_b64 exec, exec, s[10:11]
	s_mov_b32 s16, 0x7060302
	v_mov_b32_e32 v26, 0xffff8000
	v_cmp_lt_i32_e64 s[8:9], -1, v5
	v_perm_b32 v21, v20, v5, s16
	v_cndmask_b32_e64 v5, -1, v26, s[8:9]
	v_cmp_lt_i32_e64 s[8:9], -1, v20
	v_cndmask_b32_e64 v20, -1, v26, s[8:9]
	s_mov_b32 s17, 0x5040100
	v_perm_b32 v5, v20, v5, s17
	v_xor_b32_e32 v5, v5, v21
	v_cmp_gt_u16_sdwa s[10:11], v5, v5 src0_sel:DWORD src1_sel:WORD_1
	v_cmp_lt_i32_e64 s[8:9], -1, v24
	v_cndmask_b32_e64 v22, v14, v12, s[10:11]
	v_cndmask_b32_e64 v20, v12, v14, s[10:11]
	v_cndmask_b32_e64 v12, -1, v26, s[8:9]
	v_cmp_lt_i32_e64 s[8:9], -1, v25
	v_cndmask_b32_e64 v23, v15, v13, s[10:11]
	v_cndmask_b32_e64 v21, v13, v15, s[10:11]
	v_cndmask_b32_e64 v13, -1, v26, s[8:9]
	v_perm_b32 v5, v25, v24, s16
	v_perm_b32 v12, v13, v12, s17
	v_xor_b32_e32 v5, v12, v5
	v_cmp_gt_u16_sdwa s[16:17], v5, v5 src0_sel:DWORD src1_sel:WORD_1
	v_mov_b32_e32 v5, v38
	v_pk_mov_b32 v[24:25], v[16:17], v[16:17] op_sel:[0,1]
	v_pk_mov_b32 v[26:27], v[18:19], v[18:19] op_sel:[0,1]
	s_and_saveexec_b64 s[8:9], s[16:17]
; %bb.31:
	v_mov_b32_e32 v5, v35
	v_mov_b32_e32 v35, v38
	;; [unrolled: 1-line block ×3, first 2 shown]
	v_pk_mov_b32 v[24:25], v[18:19], v[18:19] op_sel:[0,1]
	v_pk_mov_b32 v[26:27], v[16:17], v[16:17] op_sel:[0,1]
; %bb.32:
	s_or_b64 exec, exec, s[8:9]
	s_mov_b32 s8, 0x7f800000
	v_and_b32_e32 v8, 0x7f800000, v9
	v_cmp_ne_u32_e64 s[8:9], s8, v8
                                        ; implicit-def: $vgpr8
	s_and_saveexec_b64 s[16:17], s[8:9]
	s_xor_b64 s[8:9], exec, s[16:17]
; %bb.33:
	v_bfe_u32 v8, v9, 16, 1
	s_movk_i32 s16, 0x7fff
	v_add3_u32 v8, v9, v8, s16
; %bb.34:
	s_andn2_saveexec_b64 s[16:17], s[8:9]
; %bb.35:
	v_mov_b32_e32 v8, 0
	v_or_b32_e32 v12, 0x10000, v9
	v_cmp_eq_u32_sdwa s[8:9], v9, v8 src0_sel:WORD_0 src1_sel:DWORD
	v_cndmask_b32_e64 v8, v12, v9, s[8:9]
; %bb.36:
	s_or_b64 exec, exec, s[16:17]
	v_cndmask_b32_e64 v12, v36, v37, s[10:11]
	v_lshlrev_b32_e32 v13, 16, v12
	v_add_f32_e32 v13, 0, v13
	s_mov_b32 s8, 0x7f800000
	v_and_b32_e32 v14, 0x7f800000, v13
	v_cmp_ne_u32_e64 s[8:9], s8, v14
                                        ; implicit-def: $vgpr14
	s_and_saveexec_b64 s[16:17], s[8:9]
	s_xor_b64 s[8:9], exec, s[16:17]
; %bb.37:
	v_bfe_u32 v14, v13, 16, 1
	s_movk_i32 s16, 0x7fff
	v_add3_u32 v14, v13, v14, s16
; %bb.38:
	s_andn2_saveexec_b64 s[16:17], s[8:9]
; %bb.39:
	v_mov_b32_e32 v14, 0
	v_or_b32_e32 v15, 0x10000, v13
	v_cmp_eq_u32_sdwa s[8:9], v13, v14 src0_sel:WORD_0 src1_sel:DWORD
	v_cndmask_b32_e64 v14, v15, v13, s[8:9]
; %bb.40:
	s_or_b64 exec, exec, s[16:17]
	s_mov_b32 s8, 0x7060302
	v_perm_b32 v15, v14, v8, s8
	v_mov_b32_e32 v16, 0xffff8000
	v_cmp_lt_i32_e64 s[8:9], -1, v8
	v_cndmask_b32_e64 v8, -1, v16, s[8:9]
	v_cmp_lt_i32_e64 s[8:9], -1, v14
	v_cndmask_b32_e64 v14, -1, v16, s[8:9]
	s_mov_b32 s8, 0x5040100
	v_perm_b32 v8, v14, v8, s8
	v_xor_b32_e32 v8, v8, v15
	v_cmp_gt_u16_sdwa s[16:17], v8, v8 src0_sel:DWORD src1_sel:WORD_1
	v_mov_b32_e32 v8, v12
	s_and_saveexec_b64 s[8:9], s[16:17]
	s_cbranch_execz .LBB1966_42
; %bb.41:
	v_pk_mov_b32 v[14:15], v[20:21], v[20:21] op_sel:[0,1]
	v_pk_mov_b32 v[16:17], v[22:23], v[22:23] op_sel:[0,1]
	;; [unrolled: 1-line block ×4, first 2 shown]
	v_mov_b32_e32 v20, v26
	v_mov_b32_e32 v21, v27
	v_mov_b32_e32 v16, v24
	v_mov_b32_e32 v17, v25
	v_mov_b32_e32 v18, v22
	v_mov_b32_e32 v19, v23
	v_pk_mov_b32 v[26:27], v[20:21], v[20:21] op_sel:[0,1]
	v_pk_mov_b32 v[24:25], v[18:19], v[18:19] op_sel:[0,1]
	;; [unrolled: 1-line block ×4, first 2 shown]
	v_mov_b32_e32 v8, v5
	v_mov_b32_e32 v5, v12
	;; [unrolled: 1-line block ×3, first 2 shown]
.LBB1966_42:
	s_or_b64 exec, exec, s[8:9]
	s_mov_b32 s8, 0x7f800000
	v_and_b32_e32 v9, 0x7f800000, v13
	v_cmp_ne_u32_e64 s[8:9], s8, v9
                                        ; implicit-def: $vgpr12
	s_and_saveexec_b64 s[16:17], s[8:9]
	s_xor_b64 s[8:9], exec, s[16:17]
; %bb.43:
	v_bfe_u32 v9, v13, 16, 1
	s_movk_i32 s16, 0x7fff
	v_add3_u32 v12, v13, v9, s16
                                        ; implicit-def: $vgpr13
; %bb.44:
	s_andn2_saveexec_b64 s[16:17], s[8:9]
; %bb.45:
	v_mov_b32_e32 v9, 0
	v_or_b32_e32 v12, 0x10000, v13
	v_cmp_eq_u32_sdwa s[8:9], v13, v9 src0_sel:WORD_0 src1_sel:DWORD
	v_cndmask_b32_e64 v12, v12, v13, s[8:9]
; %bb.46:
	s_or_b64 exec, exec, s[16:17]
	v_cndmask_b32_e64 v9, v37, v36, s[10:11]
	v_lshlrev_b32_e32 v13, 16, v9
	v_add_f32_e32 v14, 0, v13
	s_mov_b32 s8, 0x7f800000
	v_and_b32_e32 v13, 0x7f800000, v14
	v_cmp_ne_u32_e64 s[8:9], s8, v13
                                        ; implicit-def: $vgpr13
	s_and_saveexec_b64 s[10:11], s[8:9]
	s_xor_b64 s[8:9], exec, s[10:11]
; %bb.47:
	v_bfe_u32 v13, v14, 16, 1
	s_movk_i32 s10, 0x7fff
	v_add3_u32 v13, v14, v13, s10
                                        ; implicit-def: $vgpr14
; %bb.48:
	s_andn2_saveexec_b64 s[10:11], s[8:9]
; %bb.49:
	v_mov_b32_e32 v13, 0
	v_or_b32_e32 v15, 0x10000, v14
	v_cmp_eq_u32_sdwa s[8:9], v14, v13 src0_sel:WORD_0 src1_sel:DWORD
	v_cndmask_b32_e64 v13, v15, v14, s[8:9]
; %bb.50:
	s_or_b64 exec, exec, s[10:11]
	v_lshlrev_b32_e32 v14, 16, v35
	v_add_f32_e32 v31, 0, v14
	s_mov_b32 s8, 0x7f800000
	v_and_b32_e32 v14, 0x7f800000, v31
	v_cmp_ne_u32_e64 s[8:9], s8, v14
                                        ; implicit-def: $vgpr37
	s_and_saveexec_b64 s[10:11], s[8:9]
	s_xor_b64 s[8:9], exec, s[10:11]
; %bb.51:
	v_bfe_u32 v14, v31, 16, 1
	s_movk_i32 s10, 0x7fff
	v_add3_u32 v37, v31, v14, s10
; %bb.52:
	s_andn2_saveexec_b64 s[10:11], s[8:9]
; %bb.53:
	v_mov_b32_e32 v14, 0
	v_or_b32_e32 v15, 0x10000, v31
	v_cmp_eq_u32_sdwa s[8:9], v31, v14 src0_sel:WORD_0 src1_sel:DWORD
	v_cndmask_b32_e64 v37, v15, v31, s[8:9]
; %bb.54:
	s_or_b64 exec, exec, s[10:11]
	v_lshlrev_b32_e32 v14, 16, v5
	v_add_f32_e32 v36, 0, v14
	s_mov_b32 s8, 0x7f800000
	v_and_b32_e32 v14, 0x7f800000, v36
	v_cmp_ne_u32_e64 s[8:9], s8, v14
                                        ; implicit-def: $vgpr38
	s_and_saveexec_b64 s[10:11], s[8:9]
	s_xor_b64 s[8:9], exec, s[10:11]
; %bb.55:
	v_bfe_u32 v14, v36, 16, 1
	s_movk_i32 s10, 0x7fff
	v_add3_u32 v38, v36, v14, s10
; %bb.56:
	s_andn2_saveexec_b64 s[10:11], s[8:9]
; %bb.57:
	v_mov_b32_e32 v14, 0
	v_or_b32_e32 v15, 0x10000, v36
	v_cmp_eq_u32_sdwa s[8:9], v36, v14 src0_sel:WORD_0 src1_sel:DWORD
	v_cndmask_b32_e64 v38, v15, v36, s[8:9]
; %bb.58:
	s_or_b64 exec, exec, s[10:11]
	s_mov_b32 s10, 0x7060302
	v_mov_b32_e32 v39, 0xffff8000
	v_cmp_lt_i32_e64 s[8:9], -1, v12
	v_perm_b32 v14, v13, v12, s10
	v_cndmask_b32_e64 v12, -1, v39, s[8:9]
	v_cmp_lt_i32_e64 s[8:9], -1, v13
	v_cndmask_b32_e64 v13, -1, v39, s[8:9]
	s_mov_b32 s16, 0x5040100
	v_perm_b32 v12, v13, v12, s16
	v_xor_b32_e32 v12, v12, v14
	v_cmp_gt_u16_sdwa s[8:9], v12, v12 src0_sel:DWORD src1_sel:WORD_1
	v_cndmask_b32_e64 v14, v22, v20, s[8:9]
	v_cndmask_b32_e64 v12, v20, v22, s[8:9]
	v_perm_b32 v20, v38, v37, s10
	v_cmp_lt_i32_e64 s[10:11], -1, v37
	v_cndmask_b32_e64 v15, v23, v21, s[8:9]
	v_cndmask_b32_e64 v13, v21, v23, s[8:9]
	v_cndmask_b32_e64 v21, -1, v39, s[10:11]
	v_cmp_lt_i32_e64 s[10:11], -1, v38
	v_cndmask_b32_e64 v22, -1, v39, s[10:11]
	v_perm_b32 v21, v22, v21, s16
	v_xor_b32_e32 v20, v21, v20
	v_mov_b32_e32 v16, v24
	v_mov_b32_e32 v17, v25
	;; [unrolled: 1-line block ×4, first 2 shown]
	v_cmp_gt_u16_sdwa s[16:17], v20, v20 src0_sel:DWORD src1_sel:WORD_1
	v_mov_b32_e32 v20, v5
	s_and_saveexec_b64 s[10:11], s[16:17]
	s_cbranch_execz .LBB1966_60
; %bb.59:
	v_mov_b32_e32 v48, v12
	v_mov_b32_e32 v49, v13
	;; [unrolled: 1-line block ×8, first 2 shown]
	v_pk_mov_b32 v[12:13], v[48:49], v[48:49] op_sel:[0,1]
	v_mov_b32_e32 v20, v35
	v_mov_b32_e32 v35, v5
	v_pk_mov_b32 v[14:15], v[50:51], v[50:51] op_sel:[0,1]
	v_pk_mov_b32 v[16:17], v[52:53], v[52:53] op_sel:[0,1]
	;; [unrolled: 1-line block ×3, first 2 shown]
	v_mov_b32_e32 v36, v31
.LBB1966_60:
	s_or_b64 exec, exec, s[10:11]
	s_mov_b32 s10, 0x7f800000
	v_and_b32_e32 v5, 0x7f800000, v36
	v_cmp_ne_u32_e64 s[10:11], s10, v5
                                        ; implicit-def: $vgpr5
	s_and_saveexec_b64 s[16:17], s[10:11]
	s_xor_b64 s[10:11], exec, s[16:17]
; %bb.61:
	v_bfe_u32 v5, v36, 16, 1
	s_movk_i32 s16, 0x7fff
	v_add3_u32 v5, v36, v5, s16
                                        ; implicit-def: $vgpr36
; %bb.62:
	s_andn2_saveexec_b64 s[16:17], s[10:11]
; %bb.63:
	v_mov_b32_e32 v5, 0
	v_or_b32_e32 v21, 0x10000, v36
	v_cmp_eq_u32_sdwa s[10:11], v36, v5 src0_sel:WORD_0 src1_sel:DWORD
	v_cndmask_b32_e64 v5, v21, v36, s[10:11]
; %bb.64:
	s_or_b64 exec, exec, s[16:17]
	v_cndmask_b32_e64 v36, v8, v9, s[8:9]
	v_lshlrev_b32_e32 v21, 16, v36
	v_add_f32_e32 v22, 0, v21
	s_mov_b32 s10, 0x7f800000
	v_and_b32_e32 v21, 0x7f800000, v22
	v_cmp_ne_u32_e64 s[10:11], s10, v21
                                        ; implicit-def: $vgpr21
	s_and_saveexec_b64 s[16:17], s[10:11]
	s_xor_b64 s[10:11], exec, s[16:17]
; %bb.65:
	v_bfe_u32 v21, v22, 16, 1
	s_movk_i32 s16, 0x7fff
	v_add3_u32 v21, v22, v21, s16
                                        ; implicit-def: $vgpr22
; %bb.66:
	s_andn2_saveexec_b64 s[16:17], s[10:11]
; %bb.67:
	v_mov_b32_e32 v21, 0
	v_or_b32_e32 v23, 0x10000, v22
	v_cmp_eq_u32_sdwa s[10:11], v22, v21 src0_sel:WORD_0 src1_sel:DWORD
	v_cndmask_b32_e64 v21, v23, v22, s[10:11]
; %bb.68:
	s_or_b64 exec, exec, s[16:17]
	s_mov_b32 s10, 0x7060302
	v_perm_b32 v22, v21, v5, s10
	v_mov_b32_e32 v23, 0xffff8000
	v_cmp_lt_i32_e64 s[10:11], -1, v5
	v_cndmask_b32_e64 v5, -1, v23, s[10:11]
	v_cmp_lt_i32_e64 s[10:11], -1, v21
	v_cndmask_b32_e64 v21, -1, v23, s[10:11]
	s_mov_b32 s10, 0x5040100
	v_perm_b32 v5, v21, v5, s10
	v_xor_b32_e32 v5, v5, v22
	v_cmp_gt_u16_sdwa s[16:17], v5, v5 src0_sel:DWORD src1_sel:WORD_1
	v_mov_b32_e32 v38, v20
	s_and_saveexec_b64 s[10:11], s[16:17]
	s_cbranch_execz .LBB1966_70
; %bb.69:
	v_mov_b32_e32 v48, v12
	v_mov_b32_e32 v49, v13
	;; [unrolled: 1-line block ×8, first 2 shown]
	v_pk_mov_b32 v[12:13], v[48:49], v[48:49] op_sel:[0,1]
	v_pk_mov_b32 v[14:15], v[50:51], v[50:51] op_sel:[0,1]
	;; [unrolled: 1-line block ×4, first 2 shown]
	v_mov_b32_e32 v38, v36
	v_mov_b32_e32 v36, v20
.LBB1966_70:
	s_or_b64 exec, exec, s[10:11]
	v_cndmask_b32_e64 v37, v9, v8, s[8:9]
.LBB1966_71:
	s_or_b64 exec, exec, s[12:13]
	v_and_b32_e32 v24, 0xffffff00, v4
	v_mov_b32_e32 v25, 0
	s_movk_i32 s8, 0x400
	v_lshlrev_b64 v[4:5], 1, v[24:25]
	v_sub_u32_e64 v31, s8, v24 clamp
	v_add_co_u32_e64 v8, s[8:9], v10, v4
	v_addc_co_u32_e64 v9, s[8:9], v11, v5, s[8:9]
	v_mad_u64_u32 v[4:5], s[8:9], v24, 6, v[8:9]
	v_lshlrev_b32_e32 v10, 1, v34
	v_add_co_u32_e64 v10, s[8:9], v8, v10
	v_addc_co_u32_e64 v11, s[8:9], 0, v9, s[8:9]
	v_lshlrev_b32_e32 v20, 3, v34
	v_or_b32_e32 v24, 4, v34
	v_add_co_u32_e64 v22, s[8:9], v4, v20
	s_mov_b32 s18, 0x5040100
	v_min_u32_e32 v39, v31, v24
	v_addc_co_u32_e64 v23, s[8:9], 0, v5, s[8:9]
	v_perm_b32 v27, v35, v38, s18
	v_perm_b32 v26, v36, v37, s18
	v_add_u32_e32 v24, 4, v39
	s_movk_i32 s8, 0x800
	flat_store_dwordx4 v[22:23], v[12:15] offset:2048
	flat_store_dwordx2 v[10:11], v[26:27]
	flat_store_dwordx4 v[22:23], v[16:19] offset:2064
	v_and_b32_e32 v26, 0x1f8, v34
	v_min_u32_e32 v48, v31, v24
	v_and_b32_e32 v24, 4, v34
	v_add_co_u32_e64 v20, s[8:9], s8, v22
	v_min_u32_e32 v27, v31, v24
	v_sub_u32_e32 v24, v39, v26
	v_sub_u32_e32 v49, v48, v39
	v_addc_co_u32_e64 v21, s[8:9], 0, v23, s[8:9]
	v_sub_u32_e64 v49, v27, v49 clamp
	v_min_u32_e32 v50, v27, v24
	v_cmp_lt_u32_e64 s[8:9], v49, v50
	; wave barrier
	s_and_saveexec_b64 s[10:11], s[8:9]
	s_cbranch_execz .LBB1966_86
; %bb.72:
	v_lshlrev_b32_e32 v24, 1, v26
	v_add_co_u32_e64 v51, s[8:9], v8, v24
	v_addc_co_u32_e64 v52, s[8:9], 0, v9, s[8:9]
	v_lshlrev_b32_e32 v24, 1, v39
	v_add_co_u32_e64 v53, s[8:9], v8, v24
	v_addc_co_u32_e64 v54, s[8:9], 0, v9, s[8:9]
	s_mov_b64 s[12:13], 0
	s_mov_b32 s19, 0x7f800000
	s_movk_i32 s20, 0x7fff
	s_mov_b32 s21, 0x7060302
	v_mov_b32_e32 v55, 0xffff8000
	s_branch .LBB1966_74
.LBB1966_73:                            ;   in Loop: Header=BB1966_74 Depth=1
	s_or_b64 exec, exec, s[16:17]
	v_cmp_lt_i32_e64 s[8:9], -1, v24
	v_perm_b32 v66, v65, v24, s21
	v_cndmask_b32_e64 v24, -1, v55, s[8:9]
	v_cmp_lt_i32_e64 s[8:9], -1, v65
	v_cndmask_b32_e64 v65, -1, v55, s[8:9]
	v_perm_b32 v24, v65, v24, s18
	v_xor_b32_e32 v24, v24, v66
	v_add_u32_e32 v65, 1, v64
	v_cmp_gt_u16_sdwa s[8:9], v24, v24 src0_sel:DWORD src1_sel:WORD_1
	v_cndmask_b32_e64 v50, v50, v64, s[8:9]
	v_cndmask_b32_e64 v49, v65, v49, s[8:9]
	v_cmp_ge_u32_e64 s[8:9], v49, v50
	s_or_b64 s[12:13], s[8:9], s[12:13]
	s_andn2_b64 exec, exec, s[12:13]
	s_cbranch_execz .LBB1966_85
.LBB1966_74:                            ; =>This Inner Loop Header: Depth=1
	v_add_u32_e32 v65, v50, v49
	v_lshrrev_b32_e32 v64, 1, v65
	v_xad_u32 v24, v64, -1, v27
	v_lshlrev_b64 v[66:67], 1, v[24:25]
	v_add_co_u32_e64 v66, s[8:9], v53, v66
	v_addc_co_u32_e64 v67, s[8:9], v54, v67, s[8:9]
	flat_load_ushort v24, v[66:67]
	v_and_b32_e32 v65, -2, v65
	v_add_co_u32_e64 v66, s[8:9], v51, v65
	v_addc_co_u32_e64 v67, s[8:9], 0, v52, s[8:9]
	flat_load_ushort v65, v[66:67]
	s_waitcnt vmcnt(0) lgkmcnt(0)
	v_lshlrev_b32_e32 v24, 16, v24
	v_add_f32_e32 v66, 0, v24
	v_and_b32_e32 v24, 0x7f800000, v66
	v_cmp_ne_u32_e64 s[8:9], s19, v24
                                        ; implicit-def: $vgpr24
	s_and_saveexec_b64 s[16:17], s[8:9]
	s_xor_b64 s[8:9], exec, s[16:17]
; %bb.75:                               ;   in Loop: Header=BB1966_74 Depth=1
	v_bfe_u32 v24, v66, 16, 1
	v_add3_u32 v24, v66, v24, s20
                                        ; implicit-def: $vgpr66
; %bb.76:                               ;   in Loop: Header=BB1966_74 Depth=1
	s_andn2_saveexec_b64 s[16:17], s[8:9]
; %bb.77:                               ;   in Loop: Header=BB1966_74 Depth=1
	v_or_b32_e32 v24, 0x10000, v66
	v_cmp_eq_u32_sdwa s[8:9], v66, v25 src0_sel:WORD_0 src1_sel:DWORD
	v_cndmask_b32_e64 v24, v24, v66, s[8:9]
; %bb.78:                               ;   in Loop: Header=BB1966_74 Depth=1
	s_or_b64 exec, exec, s[16:17]
	v_lshlrev_b32_e32 v65, 16, v65
	v_add_f32_e32 v66, 0, v65
	v_and_b32_e32 v65, 0x7f800000, v66
	v_cmp_ne_u32_e64 s[8:9], s19, v65
                                        ; implicit-def: $vgpr65
	s_and_saveexec_b64 s[16:17], s[8:9]
	s_xor_b64 s[8:9], exec, s[16:17]
; %bb.79:                               ;   in Loop: Header=BB1966_74 Depth=1
	v_bfe_u32 v65, v66, 16, 1
	v_add3_u32 v65, v66, v65, s20
                                        ; implicit-def: $vgpr66
; %bb.80:                               ;   in Loop: Header=BB1966_74 Depth=1
	s_andn2_saveexec_b64 s[16:17], s[8:9]
	s_cbranch_execz .LBB1966_73
; %bb.81:                               ;   in Loop: Header=BB1966_74 Depth=1
	v_or_b32_e32 v65, 0x10000, v66
	v_cmp_eq_u32_sdwa s[8:9], v66, v25 src0_sel:WORD_0 src1_sel:DWORD
	v_cndmask_b32_e64 v65, v65, v66, s[8:9]
	s_branch .LBB1966_73
.LBB1966_82:
	flat_load_dwordx2 v[12:13], v[4:5]
	s_or_b64 exec, exec, s[10:11]
	s_and_saveexec_b64 s[10:11], s[4:5]
	s_cbranch_execz .LBB1966_10
.LBB1966_83:
	flat_load_dwordx2 v[14:15], v[4:5] offset:8
	s_or_b64 exec, exec, s[10:11]
	s_and_saveexec_b64 s[10:11], s[6:7]
	s_cbranch_execz .LBB1966_11
.LBB1966_84:
	flat_load_dwordx2 v[16:17], v[4:5] offset:16
	s_or_b64 exec, exec, s[10:11]
	s_and_saveexec_b64 s[10:11], s[14:15]
	s_cbranch_execnz .LBB1966_12
	s_branch .LBB1966_13
.LBB1966_85:
	s_or_b64 exec, exec, s[12:13]
.LBB1966_86:
	s_or_b64 exec, exec, s[10:11]
	v_add_u32_e32 v25, v39, v27
	v_add_u32_e32 v24, v49, v26
	v_sub_u32_e32 v26, v25, v49
	v_cmp_le_u32_e64 s[8:9], v24, v39
	v_cmp_le_u32_e64 s[10:11], v26, v48
	s_or_b64 s[8:9], s[8:9], s[10:11]
	s_and_saveexec_b64 s[12:13], s[8:9]
	s_cbranch_execz .LBB1966_138
; %bb.87:
	v_cmp_ge_u32_e64 s[8:9], v24, v39
	v_cmp_lt_u32_e64 s[10:11], v24, v39
                                        ; implicit-def: $vgpr25
	s_and_saveexec_b64 s[16:17], s[10:11]
	s_cbranch_execz .LBB1966_89
; %bb.88:
	v_mov_b32_e32 v25, 0
	v_lshlrev_b64 v[12:13], 1, v[24:25]
	v_add_co_u32_e64 v12, s[10:11], v8, v12
	v_addc_co_u32_e64 v13, s[10:11], v9, v13, s[10:11]
	flat_load_ushort v25, v[12:13]
.LBB1966_89:
	s_or_b64 exec, exec, s[16:17]
	v_cmp_ge_u32_e64 s[16:17], v26, v48
	v_cmp_lt_u32_e64 s[10:11], v26, v48
                                        ; implicit-def: $vgpr27
	s_and_saveexec_b64 s[18:19], s[10:11]
	s_cbranch_execz .LBB1966_91
; %bb.90:
	v_mov_b32_e32 v27, 0
	v_lshlrev_b64 v[12:13], 1, v[26:27]
	v_add_co_u32_e64 v12, s[10:11], v8, v12
	v_addc_co_u32_e64 v13, s[10:11], v9, v13, s[10:11]
	flat_load_ushort v27, v[12:13]
.LBB1966_91:
	s_or_b64 exec, exec, s[18:19]
	s_or_b64 s[8:9], s[8:9], s[16:17]
	s_xor_b64 s[8:9], s[8:9], -1
	s_and_saveexec_b64 s[10:11], s[8:9]
	s_cbranch_execz .LBB1966_101
; %bb.92:
	s_waitcnt vmcnt(0) lgkmcnt(0)
	v_lshlrev_b32_e32 v12, 16, v27
	v_add_f32_e32 v13, 0, v12
	s_mov_b32 s8, 0x7f800000
	v_and_b32_e32 v12, 0x7f800000, v13
	v_cmp_ne_u32_e64 s[8:9], s8, v12
                                        ; implicit-def: $vgpr12
	s_and_saveexec_b64 s[18:19], s[8:9]
	s_xor_b64 s[8:9], exec, s[18:19]
; %bb.93:
	v_bfe_u32 v12, v13, 16, 1
	s_movk_i32 s18, 0x7fff
	v_add3_u32 v12, v13, v12, s18
                                        ; implicit-def: $vgpr13
; %bb.94:
	s_andn2_saveexec_b64 s[18:19], s[8:9]
; %bb.95:
	v_mov_b32_e32 v12, 0
	v_or_b32_e32 v14, 0x10000, v13
	v_cmp_eq_u32_sdwa s[8:9], v13, v12 src0_sel:WORD_0 src1_sel:DWORD
	v_cndmask_b32_e64 v12, v14, v13, s[8:9]
; %bb.96:
	s_or_b64 exec, exec, s[18:19]
	v_lshlrev_b32_e32 v13, 16, v25
	v_add_f32_e32 v14, 0, v13
	s_mov_b32 s8, 0x7f800000
	v_and_b32_e32 v13, 0x7f800000, v14
	v_cmp_ne_u32_e64 s[8:9], s8, v13
                                        ; implicit-def: $vgpr13
	s_and_saveexec_b64 s[18:19], s[8:9]
	s_xor_b64 s[8:9], exec, s[18:19]
; %bb.97:
	v_bfe_u32 v13, v14, 16, 1
	s_movk_i32 s18, 0x7fff
	v_add3_u32 v13, v14, v13, s18
                                        ; implicit-def: $vgpr14
; %bb.98:
	s_andn2_saveexec_b64 s[18:19], s[8:9]
; %bb.99:
	v_mov_b32_e32 v13, 0
	v_or_b32_e32 v15, 0x10000, v14
	v_cmp_eq_u32_sdwa s[8:9], v14, v13 src0_sel:WORD_0 src1_sel:DWORD
	v_cndmask_b32_e64 v13, v15, v14, s[8:9]
; %bb.100:
	s_or_b64 exec, exec, s[18:19]
	s_mov_b32 s8, 0x7060302
	v_perm_b32 v14, v13, v12, s8
	v_mov_b32_e32 v15, 0xffff8000
	v_cmp_lt_i32_e64 s[8:9], -1, v12
	v_cndmask_b32_e64 v12, -1, v15, s[8:9]
	v_cmp_lt_i32_e64 s[8:9], -1, v13
	v_cndmask_b32_e64 v13, -1, v15, s[8:9]
	s_mov_b32 s8, 0x5040100
	v_perm_b32 v12, v13, v12, s8
	v_xor_b32_e32 v12, v12, v14
	v_cmp_le_u16_sdwa s[8:9], v12, v12 src0_sel:DWORD src1_sel:WORD_1
	s_andn2_b64 s[16:17], s[16:17], exec
	s_and_b64 s[8:9], s[8:9], exec
	s_or_b64 s[16:17], s[16:17], s[8:9]
.LBB1966_101:
	s_or_b64 exec, exec, s[10:11]
	v_cndmask_b32_e64 v14, v26, v24, s[16:17]
	v_cndmask_b32_e64 v16, v48, v39, s[16:17]
	v_mov_b32_e32 v15, 0
	v_lshlrev_b64 v[12:13], 3, v[14:15]
	v_add_u32_e32 v18, 1, v14
	v_add_u32_e32 v14, -1, v16
	v_min_u32_e32 v14, v18, v14
	v_lshlrev_b64 v[16:17], 1, v[14:15]
	v_add_co_u32_e64 v16, s[8:9], v8, v16
	v_addc_co_u32_e64 v17, s[8:9], v9, v17, s[8:9]
	v_add_co_u32_e64 v12, s[8:9], v4, v12
	flat_load_ushort v14, v[16:17]
	v_addc_co_u32_e64 v13, s[8:9], v5, v13, s[8:9]
	flat_load_dwordx2 v[12:13], v[12:13] offset:2048
	v_cndmask_b32_e64 v16, v18, v26, s[16:17]
	s_mov_b64 s[10:11], -1
	v_cndmask_b32_e64 v17, v24, v18, s[16:17]
	v_cmp_lt_u32_e64 s[8:9], v16, v48
	s_mov_b64 s[18:19], -1
	s_waitcnt vmcnt(0) lgkmcnt(0)
	v_cndmask_b32_e64 v24, v14, v27, s[16:17]
	v_cndmask_b32_e64 v26, v25, v14, s[16:17]
	s_and_saveexec_b64 s[20:21], s[8:9]
	s_cbranch_execz .LBB1966_113
; %bb.102:
	v_cmp_lt_u32_e64 s[8:9], v17, v39
	s_mov_b64 s[22:23], 0
	s_and_saveexec_b64 s[18:19], s[8:9]
	s_cbranch_execz .LBB1966_112
; %bb.103:
	v_lshlrev_b32_e32 v14, 16, v24
	v_add_f32_e32 v18, 0, v14
	s_mov_b32 s8, 0x7f800000
	v_and_b32_e32 v14, 0x7f800000, v18
	v_cmp_ne_u32_e64 s[8:9], s8, v14
                                        ; implicit-def: $vgpr14
	s_and_saveexec_b64 s[22:23], s[8:9]
	s_xor_b64 s[8:9], exec, s[22:23]
; %bb.104:
	v_bfe_u32 v14, v18, 16, 1
	s_movk_i32 s22, 0x7fff
	v_add3_u32 v14, v18, v14, s22
                                        ; implicit-def: $vgpr18
; %bb.105:
	s_andn2_saveexec_b64 s[22:23], s[8:9]
; %bb.106:
	v_mov_b32_e32 v14, 0
	v_or_b32_e32 v19, 0x10000, v18
	v_cmp_eq_u32_sdwa s[8:9], v18, v14 src0_sel:WORD_0 src1_sel:DWORD
	v_cndmask_b32_e64 v14, v19, v18, s[8:9]
; %bb.107:
	s_or_b64 exec, exec, s[22:23]
	v_lshlrev_b32_e32 v18, 16, v26
	v_add_f32_e32 v19, 0, v18
	s_mov_b32 s8, 0x7f800000
	v_and_b32_e32 v18, 0x7f800000, v19
	v_cmp_ne_u32_e64 s[8:9], s8, v18
                                        ; implicit-def: $vgpr18
	s_and_saveexec_b64 s[22:23], s[8:9]
	s_xor_b64 s[8:9], exec, s[22:23]
; %bb.108:
	v_bfe_u32 v18, v19, 16, 1
	s_movk_i32 s22, 0x7fff
	v_add3_u32 v18, v19, v18, s22
                                        ; implicit-def: $vgpr19
; %bb.109:
	s_andn2_saveexec_b64 s[22:23], s[8:9]
; %bb.110:
	v_mov_b32_e32 v18, 0
	v_or_b32_e32 v35, 0x10000, v19
	v_cmp_eq_u32_sdwa s[8:9], v19, v18 src0_sel:WORD_0 src1_sel:DWORD
	v_cndmask_b32_e64 v18, v35, v19, s[8:9]
; %bb.111:
	s_or_b64 exec, exec, s[22:23]
	s_mov_b32 s8, 0x7060302
	v_perm_b32 v19, v18, v14, s8
	v_mov_b32_e32 v35, 0xffff8000
	v_cmp_lt_i32_e64 s[8:9], -1, v14
	v_cndmask_b32_e64 v14, -1, v35, s[8:9]
	v_cmp_lt_i32_e64 s[8:9], -1, v18
	v_cndmask_b32_e64 v18, -1, v35, s[8:9]
	s_mov_b32 s8, 0x5040100
	v_perm_b32 v14, v18, v14, s8
	v_xor_b32_e32 v14, v14, v19
	v_cmp_le_u16_sdwa s[8:9], v14, v14 src0_sel:DWORD src1_sel:WORD_1
	s_and_b64 s[22:23], s[8:9], exec
.LBB1966_112:
	s_or_b64 exec, exec, s[18:19]
	s_orn2_b64 s[18:19], s[22:23], exec
.LBB1966_113:
	s_or_b64 exec, exec, s[20:21]
	v_cndmask_b32_e64 v14, v16, v17, s[18:19]
	v_cndmask_b32_e64 v35, v48, v39, s[18:19]
	v_lshlrev_b64 v[18:19], 3, v[14:15]
	v_add_u32_e32 v36, 1, v14
	v_add_u32_e32 v14, -1, v35
	v_min_u32_e32 v14, v36, v14
	v_lshlrev_b64 v[14:15], 1, v[14:15]
	v_add_co_u32_e64 v14, s[8:9], v8, v14
	v_addc_co_u32_e64 v15, s[8:9], v9, v15, s[8:9]
	flat_load_ushort v49, v[14:15]
	v_add_co_u32_e64 v14, s[8:9], v4, v18
	v_addc_co_u32_e64 v15, s[8:9], v5, v19, s[8:9]
	flat_load_dwordx2 v[14:15], v[14:15] offset:2048
	v_cndmask_b32_e64 v37, v36, v16, s[18:19]
	v_cndmask_b32_e64 v38, v17, v36, s[18:19]
	v_cmp_lt_u32_e64 s[8:9], v37, v48
	s_waitcnt vmcnt(0) lgkmcnt(0)
	v_cndmask_b32_e64 v35, v49, v24, s[18:19]
	v_cndmask_b32_e64 v36, v26, v49, s[18:19]
	s_and_saveexec_b64 s[20:21], s[8:9]
	s_cbranch_execz .LBB1966_125
; %bb.114:
	v_cmp_lt_u32_e64 s[8:9], v38, v39
	s_mov_b64 s[22:23], 0
	s_and_saveexec_b64 s[10:11], s[8:9]
	s_cbranch_execz .LBB1966_124
; %bb.115:
	v_lshlrev_b32_e32 v16, 16, v35
	v_add_f32_e32 v17, 0, v16
	s_mov_b32 s8, 0x7f800000
	v_and_b32_e32 v16, 0x7f800000, v17
	v_cmp_ne_u32_e64 s[8:9], s8, v16
                                        ; implicit-def: $vgpr16
	s_and_saveexec_b64 s[22:23], s[8:9]
	s_xor_b64 s[8:9], exec, s[22:23]
; %bb.116:
	v_bfe_u32 v16, v17, 16, 1
	s_movk_i32 s22, 0x7fff
	v_add3_u32 v16, v17, v16, s22
                                        ; implicit-def: $vgpr17
; %bb.117:
	s_andn2_saveexec_b64 s[22:23], s[8:9]
; %bb.118:
	v_mov_b32_e32 v16, 0
	v_or_b32_e32 v18, 0x10000, v17
	v_cmp_eq_u32_sdwa s[8:9], v17, v16 src0_sel:WORD_0 src1_sel:DWORD
	v_cndmask_b32_e64 v16, v18, v17, s[8:9]
; %bb.119:
	s_or_b64 exec, exec, s[22:23]
	v_lshlrev_b32_e32 v17, 16, v36
	v_add_f32_e32 v18, 0, v17
	s_mov_b32 s8, 0x7f800000
	v_and_b32_e32 v17, 0x7f800000, v18
	v_cmp_ne_u32_e64 s[8:9], s8, v17
                                        ; implicit-def: $vgpr17
	s_and_saveexec_b64 s[22:23], s[8:9]
	s_xor_b64 s[8:9], exec, s[22:23]
; %bb.120:
	v_bfe_u32 v17, v18, 16, 1
	s_movk_i32 s22, 0x7fff
	v_add3_u32 v17, v18, v17, s22
                                        ; implicit-def: $vgpr18
; %bb.121:
	s_andn2_saveexec_b64 s[22:23], s[8:9]
; %bb.122:
	v_mov_b32_e32 v17, 0
	v_or_b32_e32 v19, 0x10000, v18
	v_cmp_eq_u32_sdwa s[8:9], v18, v17 src0_sel:WORD_0 src1_sel:DWORD
	v_cndmask_b32_e64 v17, v19, v18, s[8:9]
; %bb.123:
	s_or_b64 exec, exec, s[22:23]
	s_mov_b32 s8, 0x7060302
	v_perm_b32 v18, v17, v16, s8
	v_mov_b32_e32 v19, 0xffff8000
	v_cmp_lt_i32_e64 s[8:9], -1, v16
	v_cndmask_b32_e64 v16, -1, v19, s[8:9]
	v_cmp_lt_i32_e64 s[8:9], -1, v17
	v_cndmask_b32_e64 v17, -1, v19, s[8:9]
	s_mov_b32 s8, 0x5040100
	v_perm_b32 v16, v17, v16, s8
	v_xor_b32_e32 v16, v16, v18
	v_cmp_le_u16_sdwa s[8:9], v16, v16 src0_sel:DWORD src1_sel:WORD_1
	s_and_b64 s[22:23], s[8:9], exec
.LBB1966_124:
	s_or_b64 exec, exec, s[10:11]
	s_orn2_b64 s[10:11], s[22:23], exec
.LBB1966_125:
	s_or_b64 exec, exec, s[20:21]
	v_cndmask_b32_e64 v18, v37, v38, s[10:11]
	v_cndmask_b32_e64 v49, v48, v39, s[10:11]
	v_mov_b32_e32 v19, 0
	v_lshlrev_b64 v[16:17], 3, v[18:19]
	v_add_u32_e32 v52, 1, v18
	v_add_u32_e32 v18, -1, v49
	v_min_u32_e32 v18, v52, v18
	v_lshlrev_b64 v[50:51], 1, v[18:19]
	v_add_co_u32_e64 v50, s[8:9], v8, v50
	v_addc_co_u32_e64 v51, s[8:9], v9, v51, s[8:9]
	v_add_co_u32_e64 v16, s[8:9], v4, v16
	flat_load_ushort v49, v[50:51]
	v_addc_co_u32_e64 v17, s[8:9], v5, v17, s[8:9]
	flat_load_dwordx2 v[16:17], v[16:17] offset:2048
	v_cndmask_b32_e64 v18, v52, v37, s[10:11]
	v_cndmask_b32_e64 v37, v38, v52, s[10:11]
	v_cmp_lt_u32_e64 s[8:9], v18, v48
	s_mov_b64 s[22:23], -1
	s_waitcnt vmcnt(0) lgkmcnt(0)
	v_cndmask_b32_e64 v48, v49, v35, s[10:11]
	v_cndmask_b32_e64 v49, v36, v49, s[10:11]
	s_and_saveexec_b64 s[20:21], s[8:9]
	s_cbranch_execz .LBB1966_137
; %bb.126:
	v_cmp_lt_u32_e64 s[8:9], v37, v39
	s_mov_b64 s[24:25], 0
	s_and_saveexec_b64 s[22:23], s[8:9]
	s_cbranch_execz .LBB1966_136
; %bb.127:
	v_lshlrev_b32_e32 v38, 16, v48
	v_add_f32_e32 v39, 0, v38
	s_mov_b32 s8, 0x7f800000
	v_and_b32_e32 v38, 0x7f800000, v39
	v_cmp_ne_u32_e64 s[8:9], s8, v38
                                        ; implicit-def: $vgpr38
	s_and_saveexec_b64 s[24:25], s[8:9]
	s_xor_b64 s[8:9], exec, s[24:25]
; %bb.128:
	v_bfe_u32 v38, v39, 16, 1
	s_movk_i32 s24, 0x7fff
	v_add3_u32 v38, v39, v38, s24
                                        ; implicit-def: $vgpr39
; %bb.129:
	s_andn2_saveexec_b64 s[24:25], s[8:9]
; %bb.130:
	v_mov_b32_e32 v38, 0
	v_or_b32_e32 v50, 0x10000, v39
	v_cmp_eq_u32_sdwa s[8:9], v39, v38 src0_sel:WORD_0 src1_sel:DWORD
	v_cndmask_b32_e64 v38, v50, v39, s[8:9]
; %bb.131:
	s_or_b64 exec, exec, s[24:25]
	v_lshlrev_b32_e32 v39, 16, v49
	v_add_f32_e32 v50, 0, v39
	s_mov_b32 s8, 0x7f800000
	v_and_b32_e32 v39, 0x7f800000, v50
	v_cmp_ne_u32_e64 s[8:9], s8, v39
                                        ; implicit-def: $vgpr39
	s_and_saveexec_b64 s[24:25], s[8:9]
	s_xor_b64 s[8:9], exec, s[24:25]
; %bb.132:
	v_bfe_u32 v39, v50, 16, 1
	s_movk_i32 s24, 0x7fff
	v_add3_u32 v39, v50, v39, s24
                                        ; implicit-def: $vgpr50
; %bb.133:
	s_andn2_saveexec_b64 s[24:25], s[8:9]
; %bb.134:
	v_mov_b32_e32 v39, 0
	v_or_b32_e32 v51, 0x10000, v50
	v_cmp_eq_u32_sdwa s[8:9], v50, v39 src0_sel:WORD_0 src1_sel:DWORD
	v_cndmask_b32_e64 v39, v51, v50, s[8:9]
; %bb.135:
	s_or_b64 exec, exec, s[24:25]
	s_mov_b32 s8, 0x7060302
	v_perm_b32 v50, v39, v38, s8
	v_mov_b32_e32 v51, 0xffff8000
	v_cmp_lt_i32_e64 s[8:9], -1, v38
	v_cndmask_b32_e64 v38, -1, v51, s[8:9]
	v_cmp_lt_i32_e64 s[8:9], -1, v39
	v_cndmask_b32_e64 v39, -1, v51, s[8:9]
	s_mov_b32 s8, 0x5040100
	v_perm_b32 v38, v39, v38, s8
	v_xor_b32_e32 v38, v38, v50
	v_cmp_le_u16_sdwa s[8:9], v38, v38 src0_sel:DWORD src1_sel:WORD_1
	s_and_b64 s[24:25], s[8:9], exec
.LBB1966_136:
	s_or_b64 exec, exec, s[22:23]
	s_orn2_b64 s[22:23], s[24:25], exec
.LBB1966_137:
	s_or_b64 exec, exec, s[20:21]
	v_cndmask_b32_e64 v18, v18, v37, s[22:23]
	v_lshlrev_b64 v[18:19], 3, v[18:19]
	v_add_co_u32_e64 v18, s[8:9], v4, v18
	v_addc_co_u32_e64 v19, s[8:9], v5, v19, s[8:9]
	flat_load_dwordx2 v[18:19], v[18:19] offset:2048
	v_cndmask_b32_e64 v38, v35, v36, s[10:11]
	v_cndmask_b32_e64 v36, v24, v26, s[18:19]
	;; [unrolled: 1-line block ×4, first 2 shown]
.LBB1966_138:
	s_or_b64 exec, exec, s[12:13]
	s_mov_b32 s18, 0x5040100
	v_perm_b32 v25, v35, v38, s18
	v_perm_b32 v24, v36, v37, s18
	v_and_b32_e32 v26, 0x1f0, v34
	; wave barrier
	flat_store_dwordx4 v[22:23], v[12:15] offset:2048
	flat_store_dwordx2 v[10:11], v[24:25]
	s_waitcnt vmcnt(0) lgkmcnt(0)
	flat_store_dwordx4 v[20:21], v[16:19] offset:16
	v_or_b32_e32 v24, 8, v26
	v_min_u32_e32 v39, v31, v24
	v_add_u32_e32 v24, 8, v39
	v_min_u32_e32 v48, v31, v24
	v_and_b32_e32 v24, 12, v34
	v_min_u32_e32 v27, v31, v24
	v_sub_u32_e32 v24, v39, v26
	v_sub_u32_e32 v25, v48, v39
	v_sub_u32_e64 v49, v27, v25 clamp
	v_min_u32_e32 v50, v27, v24
	v_cmp_lt_u32_e64 s[8:9], v49, v50
	; wave barrier
	s_and_saveexec_b64 s[10:11], s[8:9]
	s_cbranch_execz .LBB1966_150
; %bb.139:
	v_lshlrev_b32_e32 v24, 1, v26
	v_add_co_u32_e64 v51, s[8:9], v8, v24
	v_addc_co_u32_e64 v52, s[8:9], 0, v9, s[8:9]
	v_lshlrev_b32_e32 v24, 1, v39
	v_add_co_u32_e64 v53, s[8:9], v8, v24
	v_addc_co_u32_e64 v54, s[8:9], 0, v9, s[8:9]
	s_mov_b64 s[12:13], 0
	s_mov_b32 s19, 0x7f800000
	s_movk_i32 s20, 0x7fff
	s_mov_b32 s21, 0x7060302
	v_mov_b32_e32 v25, 0
	v_mov_b32_e32 v55, 0xffff8000
	s_branch .LBB1966_141
.LBB1966_140:                           ;   in Loop: Header=BB1966_141 Depth=1
	s_or_b64 exec, exec, s[16:17]
	v_cmp_lt_i32_e64 s[8:9], -1, v24
	v_perm_b32 v66, v65, v24, s21
	v_cndmask_b32_e64 v24, -1, v55, s[8:9]
	v_cmp_lt_i32_e64 s[8:9], -1, v65
	v_cndmask_b32_e64 v65, -1, v55, s[8:9]
	v_perm_b32 v24, v65, v24, s18
	v_xor_b32_e32 v24, v24, v66
	v_add_u32_e32 v65, 1, v64
	v_cmp_gt_u16_sdwa s[8:9], v24, v24 src0_sel:DWORD src1_sel:WORD_1
	v_cndmask_b32_e64 v50, v50, v64, s[8:9]
	v_cndmask_b32_e64 v49, v65, v49, s[8:9]
	v_cmp_ge_u32_e64 s[8:9], v49, v50
	s_or_b64 s[12:13], s[8:9], s[12:13]
	s_andn2_b64 exec, exec, s[12:13]
	s_cbranch_execz .LBB1966_149
.LBB1966_141:                           ; =>This Inner Loop Header: Depth=1
	v_add_u32_e32 v65, v50, v49
	v_lshrrev_b32_e32 v64, 1, v65
	v_xad_u32 v24, v64, -1, v27
	v_lshlrev_b64 v[66:67], 1, v[24:25]
	v_add_co_u32_e64 v66, s[8:9], v53, v66
	v_addc_co_u32_e64 v67, s[8:9], v54, v67, s[8:9]
	flat_load_ushort v24, v[66:67]
	v_and_b32_e32 v65, -2, v65
	v_add_co_u32_e64 v66, s[8:9], v51, v65
	v_addc_co_u32_e64 v67, s[8:9], 0, v52, s[8:9]
	flat_load_ushort v65, v[66:67]
	s_waitcnt vmcnt(0) lgkmcnt(0)
	v_lshlrev_b32_e32 v24, 16, v24
	v_add_f32_e32 v66, 0, v24
	v_and_b32_e32 v24, 0x7f800000, v66
	v_cmp_ne_u32_e64 s[8:9], s19, v24
                                        ; implicit-def: $vgpr24
	s_and_saveexec_b64 s[16:17], s[8:9]
	s_xor_b64 s[8:9], exec, s[16:17]
; %bb.142:                              ;   in Loop: Header=BB1966_141 Depth=1
	v_bfe_u32 v24, v66, 16, 1
	v_add3_u32 v24, v66, v24, s20
                                        ; implicit-def: $vgpr66
; %bb.143:                              ;   in Loop: Header=BB1966_141 Depth=1
	s_andn2_saveexec_b64 s[16:17], s[8:9]
; %bb.144:                              ;   in Loop: Header=BB1966_141 Depth=1
	v_or_b32_e32 v24, 0x10000, v66
	v_cmp_eq_u32_sdwa s[8:9], v66, v25 src0_sel:WORD_0 src1_sel:DWORD
	v_cndmask_b32_e64 v24, v24, v66, s[8:9]
; %bb.145:                              ;   in Loop: Header=BB1966_141 Depth=1
	s_or_b64 exec, exec, s[16:17]
	v_lshlrev_b32_e32 v65, 16, v65
	v_add_f32_e32 v66, 0, v65
	v_and_b32_e32 v65, 0x7f800000, v66
	v_cmp_ne_u32_e64 s[8:9], s19, v65
                                        ; implicit-def: $vgpr65
	s_and_saveexec_b64 s[16:17], s[8:9]
	s_xor_b64 s[8:9], exec, s[16:17]
; %bb.146:                              ;   in Loop: Header=BB1966_141 Depth=1
	v_bfe_u32 v65, v66, 16, 1
	v_add3_u32 v65, v66, v65, s20
                                        ; implicit-def: $vgpr66
; %bb.147:                              ;   in Loop: Header=BB1966_141 Depth=1
	s_andn2_saveexec_b64 s[16:17], s[8:9]
	s_cbranch_execz .LBB1966_140
; %bb.148:                              ;   in Loop: Header=BB1966_141 Depth=1
	v_or_b32_e32 v65, 0x10000, v66
	v_cmp_eq_u32_sdwa s[8:9], v66, v25 src0_sel:WORD_0 src1_sel:DWORD
	v_cndmask_b32_e64 v65, v65, v66, s[8:9]
	s_branch .LBB1966_140
.LBB1966_149:
	s_or_b64 exec, exec, s[12:13]
.LBB1966_150:
	s_or_b64 exec, exec, s[10:11]
	v_add_u32_e32 v25, v39, v27
	v_add_u32_e32 v24, v49, v26
	v_sub_u32_e32 v26, v25, v49
	v_cmp_le_u32_e64 s[8:9], v24, v39
	v_cmp_le_u32_e64 s[10:11], v26, v48
	s_or_b64 s[8:9], s[8:9], s[10:11]
	s_and_saveexec_b64 s[12:13], s[8:9]
	s_cbranch_execz .LBB1966_202
; %bb.151:
	v_cmp_ge_u32_e64 s[8:9], v24, v39
	v_cmp_lt_u32_e64 s[10:11], v24, v39
                                        ; implicit-def: $vgpr25
	s_and_saveexec_b64 s[16:17], s[10:11]
	s_cbranch_execz .LBB1966_153
; %bb.152:
	v_mov_b32_e32 v25, 0
	v_lshlrev_b64 v[12:13], 1, v[24:25]
	v_add_co_u32_e64 v12, s[10:11], v8, v12
	v_addc_co_u32_e64 v13, s[10:11], v9, v13, s[10:11]
	flat_load_ushort v25, v[12:13]
.LBB1966_153:
	s_or_b64 exec, exec, s[16:17]
	v_cmp_ge_u32_e64 s[16:17], v26, v48
	v_cmp_lt_u32_e64 s[10:11], v26, v48
                                        ; implicit-def: $vgpr27
	s_and_saveexec_b64 s[18:19], s[10:11]
	s_cbranch_execz .LBB1966_155
; %bb.154:
	v_mov_b32_e32 v27, 0
	v_lshlrev_b64 v[12:13], 1, v[26:27]
	v_add_co_u32_e64 v12, s[10:11], v8, v12
	v_addc_co_u32_e64 v13, s[10:11], v9, v13, s[10:11]
	flat_load_ushort v27, v[12:13]
.LBB1966_155:
	s_or_b64 exec, exec, s[18:19]
	s_or_b64 s[8:9], s[8:9], s[16:17]
	s_xor_b64 s[8:9], s[8:9], -1
	s_and_saveexec_b64 s[10:11], s[8:9]
	s_cbranch_execz .LBB1966_165
; %bb.156:
	s_waitcnt vmcnt(0) lgkmcnt(0)
	v_lshlrev_b32_e32 v12, 16, v27
	v_add_f32_e32 v13, 0, v12
	s_mov_b32 s8, 0x7f800000
	v_and_b32_e32 v12, 0x7f800000, v13
	v_cmp_ne_u32_e64 s[8:9], s8, v12
                                        ; implicit-def: $vgpr12
	s_and_saveexec_b64 s[18:19], s[8:9]
	s_xor_b64 s[8:9], exec, s[18:19]
; %bb.157:
	v_bfe_u32 v12, v13, 16, 1
	s_movk_i32 s18, 0x7fff
	v_add3_u32 v12, v13, v12, s18
                                        ; implicit-def: $vgpr13
; %bb.158:
	s_andn2_saveexec_b64 s[18:19], s[8:9]
; %bb.159:
	v_mov_b32_e32 v12, 0
	v_or_b32_e32 v14, 0x10000, v13
	v_cmp_eq_u32_sdwa s[8:9], v13, v12 src0_sel:WORD_0 src1_sel:DWORD
	v_cndmask_b32_e64 v12, v14, v13, s[8:9]
; %bb.160:
	s_or_b64 exec, exec, s[18:19]
	v_lshlrev_b32_e32 v13, 16, v25
	v_add_f32_e32 v14, 0, v13
	s_mov_b32 s8, 0x7f800000
	v_and_b32_e32 v13, 0x7f800000, v14
	v_cmp_ne_u32_e64 s[8:9], s8, v13
                                        ; implicit-def: $vgpr13
	s_and_saveexec_b64 s[18:19], s[8:9]
	s_xor_b64 s[8:9], exec, s[18:19]
; %bb.161:
	v_bfe_u32 v13, v14, 16, 1
	s_movk_i32 s18, 0x7fff
	v_add3_u32 v13, v14, v13, s18
                                        ; implicit-def: $vgpr14
; %bb.162:
	s_andn2_saveexec_b64 s[18:19], s[8:9]
; %bb.163:
	v_mov_b32_e32 v13, 0
	v_or_b32_e32 v15, 0x10000, v14
	v_cmp_eq_u32_sdwa s[8:9], v14, v13 src0_sel:WORD_0 src1_sel:DWORD
	v_cndmask_b32_e64 v13, v15, v14, s[8:9]
; %bb.164:
	s_or_b64 exec, exec, s[18:19]
	s_mov_b32 s8, 0x7060302
	v_perm_b32 v14, v13, v12, s8
	v_mov_b32_e32 v15, 0xffff8000
	v_cmp_lt_i32_e64 s[8:9], -1, v12
	v_cndmask_b32_e64 v12, -1, v15, s[8:9]
	v_cmp_lt_i32_e64 s[8:9], -1, v13
	v_cndmask_b32_e64 v13, -1, v15, s[8:9]
	s_mov_b32 s8, 0x5040100
	v_perm_b32 v12, v13, v12, s8
	v_xor_b32_e32 v12, v12, v14
	v_cmp_le_u16_sdwa s[8:9], v12, v12 src0_sel:DWORD src1_sel:WORD_1
	s_andn2_b64 s[16:17], s[16:17], exec
	s_and_b64 s[8:9], s[8:9], exec
	s_or_b64 s[16:17], s[16:17], s[8:9]
.LBB1966_165:
	s_or_b64 exec, exec, s[10:11]
	v_cndmask_b32_e64 v14, v26, v24, s[16:17]
	v_cndmask_b32_e64 v16, v48, v39, s[16:17]
	v_mov_b32_e32 v15, 0
	v_lshlrev_b64 v[12:13], 3, v[14:15]
	v_add_u32_e32 v18, 1, v14
	v_add_u32_e32 v14, -1, v16
	v_min_u32_e32 v14, v18, v14
	v_lshlrev_b64 v[16:17], 1, v[14:15]
	v_add_co_u32_e64 v16, s[8:9], v8, v16
	v_addc_co_u32_e64 v17, s[8:9], v9, v17, s[8:9]
	v_add_co_u32_e64 v12, s[8:9], v4, v12
	flat_load_ushort v14, v[16:17]
	v_addc_co_u32_e64 v13, s[8:9], v5, v13, s[8:9]
	flat_load_dwordx2 v[12:13], v[12:13] offset:2048
	v_cndmask_b32_e64 v16, v18, v26, s[16:17]
	s_mov_b64 s[10:11], -1
	v_cndmask_b32_e64 v17, v24, v18, s[16:17]
	v_cmp_lt_u32_e64 s[8:9], v16, v48
	s_mov_b64 s[18:19], -1
	s_waitcnt vmcnt(0) lgkmcnt(0)
	v_cndmask_b32_e64 v24, v14, v27, s[16:17]
	v_cndmask_b32_e64 v26, v25, v14, s[16:17]
	s_and_saveexec_b64 s[20:21], s[8:9]
	s_cbranch_execz .LBB1966_177
; %bb.166:
	v_cmp_lt_u32_e64 s[8:9], v17, v39
	s_mov_b64 s[22:23], 0
	s_and_saveexec_b64 s[18:19], s[8:9]
	s_cbranch_execz .LBB1966_176
; %bb.167:
	v_lshlrev_b32_e32 v14, 16, v24
	v_add_f32_e32 v18, 0, v14
	s_mov_b32 s8, 0x7f800000
	v_and_b32_e32 v14, 0x7f800000, v18
	v_cmp_ne_u32_e64 s[8:9], s8, v14
                                        ; implicit-def: $vgpr14
	s_and_saveexec_b64 s[22:23], s[8:9]
	s_xor_b64 s[8:9], exec, s[22:23]
; %bb.168:
	v_bfe_u32 v14, v18, 16, 1
	s_movk_i32 s22, 0x7fff
	v_add3_u32 v14, v18, v14, s22
                                        ; implicit-def: $vgpr18
; %bb.169:
	s_andn2_saveexec_b64 s[22:23], s[8:9]
; %bb.170:
	v_mov_b32_e32 v14, 0
	v_or_b32_e32 v19, 0x10000, v18
	v_cmp_eq_u32_sdwa s[8:9], v18, v14 src0_sel:WORD_0 src1_sel:DWORD
	v_cndmask_b32_e64 v14, v19, v18, s[8:9]
; %bb.171:
	s_or_b64 exec, exec, s[22:23]
	v_lshlrev_b32_e32 v18, 16, v26
	v_add_f32_e32 v19, 0, v18
	s_mov_b32 s8, 0x7f800000
	v_and_b32_e32 v18, 0x7f800000, v19
	v_cmp_ne_u32_e64 s[8:9], s8, v18
                                        ; implicit-def: $vgpr18
	s_and_saveexec_b64 s[22:23], s[8:9]
	s_xor_b64 s[8:9], exec, s[22:23]
; %bb.172:
	v_bfe_u32 v18, v19, 16, 1
	s_movk_i32 s22, 0x7fff
	v_add3_u32 v18, v19, v18, s22
                                        ; implicit-def: $vgpr19
; %bb.173:
	s_andn2_saveexec_b64 s[22:23], s[8:9]
; %bb.174:
	v_mov_b32_e32 v18, 0
	v_or_b32_e32 v35, 0x10000, v19
	v_cmp_eq_u32_sdwa s[8:9], v19, v18 src0_sel:WORD_0 src1_sel:DWORD
	v_cndmask_b32_e64 v18, v35, v19, s[8:9]
; %bb.175:
	s_or_b64 exec, exec, s[22:23]
	s_mov_b32 s8, 0x7060302
	v_perm_b32 v19, v18, v14, s8
	v_mov_b32_e32 v35, 0xffff8000
	v_cmp_lt_i32_e64 s[8:9], -1, v14
	v_cndmask_b32_e64 v14, -1, v35, s[8:9]
	v_cmp_lt_i32_e64 s[8:9], -1, v18
	v_cndmask_b32_e64 v18, -1, v35, s[8:9]
	s_mov_b32 s8, 0x5040100
	v_perm_b32 v14, v18, v14, s8
	v_xor_b32_e32 v14, v14, v19
	v_cmp_le_u16_sdwa s[8:9], v14, v14 src0_sel:DWORD src1_sel:WORD_1
	s_and_b64 s[22:23], s[8:9], exec
.LBB1966_176:
	s_or_b64 exec, exec, s[18:19]
	s_orn2_b64 s[18:19], s[22:23], exec
.LBB1966_177:
	s_or_b64 exec, exec, s[20:21]
	v_cndmask_b32_e64 v14, v16, v17, s[18:19]
	v_cndmask_b32_e64 v35, v48, v39, s[18:19]
	v_lshlrev_b64 v[18:19], 3, v[14:15]
	v_add_u32_e32 v36, 1, v14
	v_add_u32_e32 v14, -1, v35
	v_min_u32_e32 v14, v36, v14
	v_lshlrev_b64 v[14:15], 1, v[14:15]
	v_add_co_u32_e64 v14, s[8:9], v8, v14
	v_addc_co_u32_e64 v15, s[8:9], v9, v15, s[8:9]
	flat_load_ushort v49, v[14:15]
	v_add_co_u32_e64 v14, s[8:9], v4, v18
	v_addc_co_u32_e64 v15, s[8:9], v5, v19, s[8:9]
	flat_load_dwordx2 v[14:15], v[14:15] offset:2048
	v_cndmask_b32_e64 v37, v36, v16, s[18:19]
	v_cndmask_b32_e64 v38, v17, v36, s[18:19]
	v_cmp_lt_u32_e64 s[8:9], v37, v48
	s_waitcnt vmcnt(0) lgkmcnt(0)
	v_cndmask_b32_e64 v35, v49, v24, s[18:19]
	v_cndmask_b32_e64 v36, v26, v49, s[18:19]
	s_and_saveexec_b64 s[20:21], s[8:9]
	s_cbranch_execz .LBB1966_189
; %bb.178:
	v_cmp_lt_u32_e64 s[8:9], v38, v39
	s_mov_b64 s[22:23], 0
	s_and_saveexec_b64 s[10:11], s[8:9]
	s_cbranch_execz .LBB1966_188
; %bb.179:
	v_lshlrev_b32_e32 v16, 16, v35
	v_add_f32_e32 v17, 0, v16
	s_mov_b32 s8, 0x7f800000
	v_and_b32_e32 v16, 0x7f800000, v17
	v_cmp_ne_u32_e64 s[8:9], s8, v16
                                        ; implicit-def: $vgpr16
	s_and_saveexec_b64 s[22:23], s[8:9]
	s_xor_b64 s[8:9], exec, s[22:23]
; %bb.180:
	v_bfe_u32 v16, v17, 16, 1
	s_movk_i32 s22, 0x7fff
	v_add3_u32 v16, v17, v16, s22
                                        ; implicit-def: $vgpr17
; %bb.181:
	s_andn2_saveexec_b64 s[22:23], s[8:9]
; %bb.182:
	v_mov_b32_e32 v16, 0
	v_or_b32_e32 v18, 0x10000, v17
	v_cmp_eq_u32_sdwa s[8:9], v17, v16 src0_sel:WORD_0 src1_sel:DWORD
	v_cndmask_b32_e64 v16, v18, v17, s[8:9]
; %bb.183:
	s_or_b64 exec, exec, s[22:23]
	v_lshlrev_b32_e32 v17, 16, v36
	v_add_f32_e32 v18, 0, v17
	s_mov_b32 s8, 0x7f800000
	v_and_b32_e32 v17, 0x7f800000, v18
	v_cmp_ne_u32_e64 s[8:9], s8, v17
                                        ; implicit-def: $vgpr17
	s_and_saveexec_b64 s[22:23], s[8:9]
	s_xor_b64 s[8:9], exec, s[22:23]
; %bb.184:
	v_bfe_u32 v17, v18, 16, 1
	s_movk_i32 s22, 0x7fff
	v_add3_u32 v17, v18, v17, s22
                                        ; implicit-def: $vgpr18
; %bb.185:
	s_andn2_saveexec_b64 s[22:23], s[8:9]
; %bb.186:
	v_mov_b32_e32 v17, 0
	v_or_b32_e32 v19, 0x10000, v18
	v_cmp_eq_u32_sdwa s[8:9], v18, v17 src0_sel:WORD_0 src1_sel:DWORD
	v_cndmask_b32_e64 v17, v19, v18, s[8:9]
; %bb.187:
	s_or_b64 exec, exec, s[22:23]
	s_mov_b32 s8, 0x7060302
	v_perm_b32 v18, v17, v16, s8
	v_mov_b32_e32 v19, 0xffff8000
	v_cmp_lt_i32_e64 s[8:9], -1, v16
	v_cndmask_b32_e64 v16, -1, v19, s[8:9]
	v_cmp_lt_i32_e64 s[8:9], -1, v17
	v_cndmask_b32_e64 v17, -1, v19, s[8:9]
	s_mov_b32 s8, 0x5040100
	v_perm_b32 v16, v17, v16, s8
	v_xor_b32_e32 v16, v16, v18
	v_cmp_le_u16_sdwa s[8:9], v16, v16 src0_sel:DWORD src1_sel:WORD_1
	s_and_b64 s[22:23], s[8:9], exec
.LBB1966_188:
	s_or_b64 exec, exec, s[10:11]
	s_orn2_b64 s[10:11], s[22:23], exec
.LBB1966_189:
	s_or_b64 exec, exec, s[20:21]
	v_cndmask_b32_e64 v18, v37, v38, s[10:11]
	v_cndmask_b32_e64 v49, v48, v39, s[10:11]
	v_mov_b32_e32 v19, 0
	v_lshlrev_b64 v[16:17], 3, v[18:19]
	v_add_u32_e32 v52, 1, v18
	v_add_u32_e32 v18, -1, v49
	v_min_u32_e32 v18, v52, v18
	v_lshlrev_b64 v[50:51], 1, v[18:19]
	v_add_co_u32_e64 v50, s[8:9], v8, v50
	v_addc_co_u32_e64 v51, s[8:9], v9, v51, s[8:9]
	v_add_co_u32_e64 v16, s[8:9], v4, v16
	flat_load_ushort v49, v[50:51]
	v_addc_co_u32_e64 v17, s[8:9], v5, v17, s[8:9]
	flat_load_dwordx2 v[16:17], v[16:17] offset:2048
	v_cndmask_b32_e64 v18, v52, v37, s[10:11]
	v_cndmask_b32_e64 v37, v38, v52, s[10:11]
	v_cmp_lt_u32_e64 s[8:9], v18, v48
	s_mov_b64 s[22:23], -1
	s_waitcnt vmcnt(0) lgkmcnt(0)
	v_cndmask_b32_e64 v48, v49, v35, s[10:11]
	v_cndmask_b32_e64 v49, v36, v49, s[10:11]
	s_and_saveexec_b64 s[20:21], s[8:9]
	s_cbranch_execz .LBB1966_201
; %bb.190:
	v_cmp_lt_u32_e64 s[8:9], v37, v39
	s_mov_b64 s[24:25], 0
	s_and_saveexec_b64 s[22:23], s[8:9]
	s_cbranch_execz .LBB1966_200
; %bb.191:
	v_lshlrev_b32_e32 v38, 16, v48
	v_add_f32_e32 v39, 0, v38
	s_mov_b32 s8, 0x7f800000
	v_and_b32_e32 v38, 0x7f800000, v39
	v_cmp_ne_u32_e64 s[8:9], s8, v38
                                        ; implicit-def: $vgpr38
	s_and_saveexec_b64 s[24:25], s[8:9]
	s_xor_b64 s[8:9], exec, s[24:25]
; %bb.192:
	v_bfe_u32 v38, v39, 16, 1
	s_movk_i32 s24, 0x7fff
	v_add3_u32 v38, v39, v38, s24
                                        ; implicit-def: $vgpr39
; %bb.193:
	s_andn2_saveexec_b64 s[24:25], s[8:9]
; %bb.194:
	v_mov_b32_e32 v38, 0
	v_or_b32_e32 v50, 0x10000, v39
	v_cmp_eq_u32_sdwa s[8:9], v39, v38 src0_sel:WORD_0 src1_sel:DWORD
	v_cndmask_b32_e64 v38, v50, v39, s[8:9]
; %bb.195:
	s_or_b64 exec, exec, s[24:25]
	v_lshlrev_b32_e32 v39, 16, v49
	v_add_f32_e32 v50, 0, v39
	s_mov_b32 s8, 0x7f800000
	v_and_b32_e32 v39, 0x7f800000, v50
	v_cmp_ne_u32_e64 s[8:9], s8, v39
                                        ; implicit-def: $vgpr39
	s_and_saveexec_b64 s[24:25], s[8:9]
	s_xor_b64 s[8:9], exec, s[24:25]
; %bb.196:
	v_bfe_u32 v39, v50, 16, 1
	s_movk_i32 s24, 0x7fff
	v_add3_u32 v39, v50, v39, s24
                                        ; implicit-def: $vgpr50
; %bb.197:
	s_andn2_saveexec_b64 s[24:25], s[8:9]
; %bb.198:
	v_mov_b32_e32 v39, 0
	v_or_b32_e32 v51, 0x10000, v50
	v_cmp_eq_u32_sdwa s[8:9], v50, v39 src0_sel:WORD_0 src1_sel:DWORD
	v_cndmask_b32_e64 v39, v51, v50, s[8:9]
; %bb.199:
	s_or_b64 exec, exec, s[24:25]
	s_mov_b32 s8, 0x7060302
	v_perm_b32 v50, v39, v38, s8
	v_mov_b32_e32 v51, 0xffff8000
	v_cmp_lt_i32_e64 s[8:9], -1, v38
	v_cndmask_b32_e64 v38, -1, v51, s[8:9]
	v_cmp_lt_i32_e64 s[8:9], -1, v39
	v_cndmask_b32_e64 v39, -1, v51, s[8:9]
	s_mov_b32 s8, 0x5040100
	v_perm_b32 v38, v39, v38, s8
	v_xor_b32_e32 v38, v38, v50
	v_cmp_le_u16_sdwa s[8:9], v38, v38 src0_sel:DWORD src1_sel:WORD_1
	s_and_b64 s[24:25], s[8:9], exec
.LBB1966_200:
	s_or_b64 exec, exec, s[22:23]
	s_orn2_b64 s[22:23], s[24:25], exec
.LBB1966_201:
	s_or_b64 exec, exec, s[20:21]
	v_cndmask_b32_e64 v18, v18, v37, s[22:23]
	v_lshlrev_b64 v[18:19], 3, v[18:19]
	v_add_co_u32_e64 v18, s[8:9], v4, v18
	v_addc_co_u32_e64 v19, s[8:9], v5, v19, s[8:9]
	flat_load_dwordx2 v[18:19], v[18:19] offset:2048
	v_cndmask_b32_e64 v38, v35, v36, s[10:11]
	v_cndmask_b32_e64 v36, v24, v26, s[18:19]
	;; [unrolled: 1-line block ×4, first 2 shown]
.LBB1966_202:
	s_or_b64 exec, exec, s[12:13]
	s_mov_b32 s18, 0x5040100
	; wave barrier
	flat_store_dwordx4 v[22:23], v[12:15] offset:2048
	v_perm_b32 v23, v35, v38, s18
	v_perm_b32 v22, v36, v37, s18
	flat_store_dwordx2 v[10:11], v[22:23]
	s_waitcnt vmcnt(0) lgkmcnt(0)
	flat_store_dwordx4 v[20:21], v[16:19] offset:16
	v_and_b32_e32 v20, 0x1e0, v34
	v_or_b32_e32 v10, 16, v20
	v_min_u32_e32 v22, v31, v10
	v_add_u32_e32 v10, 16, v22
	v_min_u32_e32 v23, v31, v10
	v_min_u32_e32 v21, v31, v33
	v_sub_u32_e32 v10, v22, v20
	v_sub_u32_e32 v11, v23, v22
	v_sub_u32_e64 v24, v21, v11 clamp
	v_min_u32_e32 v25, v21, v10
	v_cmp_lt_u32_e64 s[8:9], v24, v25
	; wave barrier
	s_and_saveexec_b64 s[10:11], s[8:9]
	s_cbranch_execz .LBB1966_214
; %bb.203:
	v_lshlrev_b32_e32 v10, 1, v20
	v_add_co_u32_e64 v26, s[8:9], v8, v10
	v_addc_co_u32_e64 v27, s[8:9], 0, v9, s[8:9]
	v_lshlrev_b32_e32 v10, 1, v22
	v_add_co_u32_e64 v31, s[8:9], v8, v10
	v_addc_co_u32_e64 v33, s[8:9], 0, v9, s[8:9]
	s_mov_b64 s[12:13], 0
	s_mov_b32 s19, 0x7f800000
	s_movk_i32 s20, 0x7fff
	s_mov_b32 s21, 0x7060302
	v_mov_b32_e32 v11, 0
	v_mov_b32_e32 v34, 0xffff8000
	s_branch .LBB1966_205
.LBB1966_204:                           ;   in Loop: Header=BB1966_205 Depth=1
	s_or_b64 exec, exec, s[16:17]
	v_cmp_lt_i32_e64 s[8:9], -1, v10
	v_perm_b32 v49, v48, v10, s21
	v_cndmask_b32_e64 v10, -1, v34, s[8:9]
	v_cmp_lt_i32_e64 s[8:9], -1, v48
	v_cndmask_b32_e64 v48, -1, v34, s[8:9]
	v_perm_b32 v10, v48, v10, s18
	v_xor_b32_e32 v10, v10, v49
	v_add_u32_e32 v48, 1, v39
	v_cmp_gt_u16_sdwa s[8:9], v10, v10 src0_sel:DWORD src1_sel:WORD_1
	v_cndmask_b32_e64 v25, v25, v39, s[8:9]
	v_cndmask_b32_e64 v24, v48, v24, s[8:9]
	v_cmp_ge_u32_e64 s[8:9], v24, v25
	s_or_b64 s[12:13], s[8:9], s[12:13]
	s_andn2_b64 exec, exec, s[12:13]
	s_cbranch_execz .LBB1966_213
.LBB1966_205:                           ; =>This Inner Loop Header: Depth=1
	v_add_u32_e32 v48, v25, v24
	v_lshrrev_b32_e32 v39, 1, v48
	v_xad_u32 v10, v39, -1, v21
	v_and_b32_e32 v50, -2, v48
	v_lshlrev_b64 v[48:49], 1, v[10:11]
	v_add_co_u32_e64 v48, s[8:9], v31, v48
	v_addc_co_u32_e64 v49, s[8:9], v33, v49, s[8:9]
	flat_load_ushort v10, v[48:49]
	v_add_co_u32_e64 v48, s[8:9], v26, v50
	v_addc_co_u32_e64 v49, s[8:9], 0, v27, s[8:9]
	flat_load_ushort v48, v[48:49]
	s_waitcnt vmcnt(0) lgkmcnt(0)
	v_lshlrev_b32_e32 v10, 16, v10
	v_add_f32_e32 v49, 0, v10
	v_and_b32_e32 v10, 0x7f800000, v49
	v_cmp_ne_u32_e64 s[8:9], s19, v10
                                        ; implicit-def: $vgpr10
	s_and_saveexec_b64 s[16:17], s[8:9]
	s_xor_b64 s[8:9], exec, s[16:17]
; %bb.206:                              ;   in Loop: Header=BB1966_205 Depth=1
	v_bfe_u32 v10, v49, 16, 1
	v_add3_u32 v10, v49, v10, s20
                                        ; implicit-def: $vgpr49
; %bb.207:                              ;   in Loop: Header=BB1966_205 Depth=1
	s_andn2_saveexec_b64 s[16:17], s[8:9]
; %bb.208:                              ;   in Loop: Header=BB1966_205 Depth=1
	v_or_b32_e32 v10, 0x10000, v49
	v_cmp_eq_u32_sdwa s[8:9], v49, v11 src0_sel:WORD_0 src1_sel:DWORD
	v_cndmask_b32_e64 v10, v10, v49, s[8:9]
; %bb.209:                              ;   in Loop: Header=BB1966_205 Depth=1
	s_or_b64 exec, exec, s[16:17]
	v_lshlrev_b32_e32 v48, 16, v48
	v_add_f32_e32 v49, 0, v48
	v_and_b32_e32 v48, 0x7f800000, v49
	v_cmp_ne_u32_e64 s[8:9], s19, v48
                                        ; implicit-def: $vgpr48
	s_and_saveexec_b64 s[16:17], s[8:9]
	s_xor_b64 s[8:9], exec, s[16:17]
; %bb.210:                              ;   in Loop: Header=BB1966_205 Depth=1
	v_bfe_u32 v48, v49, 16, 1
	v_add3_u32 v48, v49, v48, s20
                                        ; implicit-def: $vgpr49
; %bb.211:                              ;   in Loop: Header=BB1966_205 Depth=1
	s_andn2_saveexec_b64 s[16:17], s[8:9]
	s_cbranch_execz .LBB1966_204
; %bb.212:                              ;   in Loop: Header=BB1966_205 Depth=1
	v_or_b32_e32 v48, 0x10000, v49
	v_cmp_eq_u32_sdwa s[8:9], v49, v11 src0_sel:WORD_0 src1_sel:DWORD
	v_cndmask_b32_e64 v48, v48, v49, s[8:9]
	s_branch .LBB1966_204
.LBB1966_213:
	s_or_b64 exec, exec, s[12:13]
.LBB1966_214:
	s_or_b64 exec, exec, s[10:11]
	v_add_u32_e32 v11, v22, v21
	v_add_u32_e32 v10, v24, v20
	v_sub_u32_e32 v20, v11, v24
	v_cmp_le_u32_e64 s[8:9], v10, v22
	v_cmp_le_u32_e64 s[10:11], v20, v23
	s_or_b64 s[8:9], s[8:9], s[10:11]
	s_and_saveexec_b64 s[12:13], s[8:9]
	s_cbranch_execz .LBB1966_266
; %bb.215:
	v_cmp_ge_u32_e64 s[8:9], v10, v22
	v_cmp_lt_u32_e64 s[10:11], v10, v22
                                        ; implicit-def: $vgpr24
	s_and_saveexec_b64 s[16:17], s[10:11]
	s_cbranch_execz .LBB1966_217
; %bb.216:
	v_mov_b32_e32 v11, 0
	v_lshlrev_b64 v[12:13], 1, v[10:11]
	v_add_co_u32_e64 v12, s[10:11], v8, v12
	v_addc_co_u32_e64 v13, s[10:11], v9, v13, s[10:11]
	flat_load_ushort v24, v[12:13]
.LBB1966_217:
	s_or_b64 exec, exec, s[16:17]
	v_cmp_ge_u32_e64 s[16:17], v20, v23
	v_cmp_lt_u32_e64 s[10:11], v20, v23
                                        ; implicit-def: $vgpr21
	s_and_saveexec_b64 s[18:19], s[10:11]
	s_cbranch_execz .LBB1966_219
; %bb.218:
	v_mov_b32_e32 v21, 0
	v_lshlrev_b64 v[12:13], 1, v[20:21]
	v_add_co_u32_e64 v12, s[10:11], v8, v12
	v_addc_co_u32_e64 v13, s[10:11], v9, v13, s[10:11]
	flat_load_ushort v21, v[12:13]
.LBB1966_219:
	s_or_b64 exec, exec, s[18:19]
	s_or_b64 s[8:9], s[8:9], s[16:17]
	s_xor_b64 s[8:9], s[8:9], -1
	s_and_saveexec_b64 s[10:11], s[8:9]
	s_cbranch_execz .LBB1966_229
; %bb.220:
	s_waitcnt vmcnt(0) lgkmcnt(0)
	v_lshlrev_b32_e32 v11, 16, v21
	v_add_f32_e32 v12, 0, v11
	s_mov_b32 s8, 0x7f800000
	v_and_b32_e32 v11, 0x7f800000, v12
	v_cmp_ne_u32_e64 s[8:9], s8, v11
                                        ; implicit-def: $vgpr11
	s_and_saveexec_b64 s[18:19], s[8:9]
	s_xor_b64 s[8:9], exec, s[18:19]
; %bb.221:
	v_bfe_u32 v11, v12, 16, 1
	s_movk_i32 s18, 0x7fff
	v_add3_u32 v11, v12, v11, s18
                                        ; implicit-def: $vgpr12
; %bb.222:
	s_andn2_saveexec_b64 s[18:19], s[8:9]
; %bb.223:
	v_mov_b32_e32 v11, 0
	v_or_b32_e32 v13, 0x10000, v12
	v_cmp_eq_u32_sdwa s[8:9], v12, v11 src0_sel:WORD_0 src1_sel:DWORD
	v_cndmask_b32_e64 v11, v13, v12, s[8:9]
; %bb.224:
	s_or_b64 exec, exec, s[18:19]
	v_lshlrev_b32_e32 v12, 16, v24
	v_add_f32_e32 v13, 0, v12
	s_mov_b32 s8, 0x7f800000
	v_and_b32_e32 v12, 0x7f800000, v13
	v_cmp_ne_u32_e64 s[8:9], s8, v12
                                        ; implicit-def: $vgpr12
	s_and_saveexec_b64 s[18:19], s[8:9]
	s_xor_b64 s[8:9], exec, s[18:19]
; %bb.225:
	v_bfe_u32 v12, v13, 16, 1
	s_movk_i32 s18, 0x7fff
	v_add3_u32 v12, v13, v12, s18
                                        ; implicit-def: $vgpr13
; %bb.226:
	s_andn2_saveexec_b64 s[18:19], s[8:9]
; %bb.227:
	v_mov_b32_e32 v12, 0
	v_or_b32_e32 v14, 0x10000, v13
	v_cmp_eq_u32_sdwa s[8:9], v13, v12 src0_sel:WORD_0 src1_sel:DWORD
	v_cndmask_b32_e64 v12, v14, v13, s[8:9]
; %bb.228:
	s_or_b64 exec, exec, s[18:19]
	s_mov_b32 s8, 0x7060302
	v_perm_b32 v13, v12, v11, s8
	v_mov_b32_e32 v14, 0xffff8000
	v_cmp_lt_i32_e64 s[8:9], -1, v11
	v_cndmask_b32_e64 v11, -1, v14, s[8:9]
	v_cmp_lt_i32_e64 s[8:9], -1, v12
	v_cndmask_b32_e64 v12, -1, v14, s[8:9]
	s_mov_b32 s8, 0x5040100
	v_perm_b32 v11, v12, v11, s8
	v_xor_b32_e32 v11, v11, v13
	v_cmp_le_u16_sdwa s[8:9], v11, v11 src0_sel:DWORD src1_sel:WORD_1
	s_andn2_b64 s[16:17], s[16:17], exec
	s_and_b64 s[8:9], s[8:9], exec
	s_or_b64 s[16:17], s[16:17], s[8:9]
.LBB1966_229:
	s_or_b64 exec, exec, s[10:11]
	v_cndmask_b32_e64 v14, v20, v10, s[16:17]
	v_cndmask_b32_e64 v11, v23, v22, s[16:17]
	v_mov_b32_e32 v15, 0
	v_add_u32_e32 v18, 1, v14
	v_add_u32_e32 v11, -1, v11
	v_lshlrev_b64 v[12:13], 3, v[14:15]
	v_min_u32_e32 v14, v18, v11
	v_lshlrev_b64 v[16:17], 1, v[14:15]
	v_add_co_u32_e64 v16, s[8:9], v8, v16
	v_addc_co_u32_e64 v17, s[8:9], v9, v17, s[8:9]
	v_add_co_u32_e64 v12, s[8:9], v4, v12
	flat_load_ushort v14, v[16:17]
	v_addc_co_u32_e64 v13, s[8:9], v5, v13, s[8:9]
	flat_load_dwordx2 v[12:13], v[12:13] offset:2048
	v_cndmask_b32_e64 v11, v18, v20, s[16:17]
	s_mov_b64 s[10:11], -1
	v_cndmask_b32_e64 v10, v10, v18, s[16:17]
	v_cmp_lt_u32_e64 s[8:9], v11, v23
	s_mov_b64 s[18:19], -1
	s_waitcnt vmcnt(0) lgkmcnt(0)
	v_cndmask_b32_e64 v20, v14, v21, s[16:17]
	v_cndmask_b32_e64 v25, v24, v14, s[16:17]
	s_and_saveexec_b64 s[20:21], s[8:9]
	s_cbranch_execz .LBB1966_241
; %bb.230:
	v_cmp_lt_u32_e64 s[8:9], v10, v22
	s_mov_b64 s[22:23], 0
	s_and_saveexec_b64 s[18:19], s[8:9]
	s_cbranch_execz .LBB1966_240
; %bb.231:
	v_lshlrev_b32_e32 v14, 16, v20
	v_add_f32_e32 v16, 0, v14
	s_mov_b32 s8, 0x7f800000
	v_and_b32_e32 v14, 0x7f800000, v16
	v_cmp_ne_u32_e64 s[8:9], s8, v14
                                        ; implicit-def: $vgpr14
	s_and_saveexec_b64 s[22:23], s[8:9]
	s_xor_b64 s[8:9], exec, s[22:23]
; %bb.232:
	v_bfe_u32 v14, v16, 16, 1
	s_movk_i32 s22, 0x7fff
	v_add3_u32 v14, v16, v14, s22
                                        ; implicit-def: $vgpr16
; %bb.233:
	s_andn2_saveexec_b64 s[22:23], s[8:9]
; %bb.234:
	v_mov_b32_e32 v14, 0
	v_or_b32_e32 v17, 0x10000, v16
	v_cmp_eq_u32_sdwa s[8:9], v16, v14 src0_sel:WORD_0 src1_sel:DWORD
	v_cndmask_b32_e64 v14, v17, v16, s[8:9]
; %bb.235:
	s_or_b64 exec, exec, s[22:23]
	v_lshlrev_b32_e32 v16, 16, v25
	v_add_f32_e32 v17, 0, v16
	s_mov_b32 s8, 0x7f800000
	v_and_b32_e32 v16, 0x7f800000, v17
	v_cmp_ne_u32_e64 s[8:9], s8, v16
                                        ; implicit-def: $vgpr16
	s_and_saveexec_b64 s[22:23], s[8:9]
	s_xor_b64 s[8:9], exec, s[22:23]
; %bb.236:
	v_bfe_u32 v16, v17, 16, 1
	s_movk_i32 s22, 0x7fff
	v_add3_u32 v16, v17, v16, s22
                                        ; implicit-def: $vgpr17
; %bb.237:
	s_andn2_saveexec_b64 s[22:23], s[8:9]
; %bb.238:
	v_mov_b32_e32 v16, 0
	v_or_b32_e32 v18, 0x10000, v17
	v_cmp_eq_u32_sdwa s[8:9], v17, v16 src0_sel:WORD_0 src1_sel:DWORD
	v_cndmask_b32_e64 v16, v18, v17, s[8:9]
; %bb.239:
	s_or_b64 exec, exec, s[22:23]
	s_mov_b32 s8, 0x7060302
	v_perm_b32 v17, v16, v14, s8
	v_mov_b32_e32 v18, 0xffff8000
	v_cmp_lt_i32_e64 s[8:9], -1, v14
	v_cndmask_b32_e64 v14, -1, v18, s[8:9]
	v_cmp_lt_i32_e64 s[8:9], -1, v16
	v_cndmask_b32_e64 v16, -1, v18, s[8:9]
	s_mov_b32 s8, 0x5040100
	v_perm_b32 v14, v16, v14, s8
	v_xor_b32_e32 v14, v14, v17
	v_cmp_le_u16_sdwa s[8:9], v14, v14 src0_sel:DWORD src1_sel:WORD_1
	s_and_b64 s[22:23], s[8:9], exec
.LBB1966_240:
	s_or_b64 exec, exec, s[18:19]
	s_orn2_b64 s[18:19], s[22:23], exec
.LBB1966_241:
	s_or_b64 exec, exec, s[20:21]
	v_cndmask_b32_e64 v14, v11, v10, s[18:19]
	v_cndmask_b32_e64 v18, v23, v22, s[18:19]
	v_lshlrev_b64 v[16:17], 3, v[14:15]
	v_add_u32_e32 v19, 1, v14
	v_add_u32_e32 v14, -1, v18
	v_min_u32_e32 v14, v19, v14
	v_lshlrev_b64 v[14:15], 1, v[14:15]
	v_add_co_u32_e64 v14, s[8:9], v8, v14
	v_addc_co_u32_e64 v15, s[8:9], v9, v15, s[8:9]
	flat_load_ushort v27, v[14:15]
	v_add_co_u32_e64 v14, s[8:9], v4, v16
	v_addc_co_u32_e64 v15, s[8:9], v5, v17, s[8:9]
	flat_load_dwordx2 v[14:15], v[14:15] offset:2048
	v_cndmask_b32_e64 v18, v19, v11, s[18:19]
	v_cndmask_b32_e64 v19, v10, v19, s[18:19]
	v_cmp_lt_u32_e64 s[8:9], v18, v23
	s_waitcnt vmcnt(0) lgkmcnt(0)
	v_cndmask_b32_e64 v26, v27, v20, s[18:19]
	v_cndmask_b32_e64 v27, v25, v27, s[18:19]
	s_and_saveexec_b64 s[20:21], s[8:9]
	s_cbranch_execz .LBB1966_253
; %bb.242:
	v_cmp_lt_u32_e64 s[8:9], v19, v22
	s_mov_b64 s[22:23], 0
	s_and_saveexec_b64 s[10:11], s[8:9]
	s_cbranch_execz .LBB1966_252
; %bb.243:
	v_lshlrev_b32_e32 v10, 16, v26
	v_add_f32_e32 v11, 0, v10
	s_mov_b32 s8, 0x7f800000
	v_and_b32_e32 v10, 0x7f800000, v11
	v_cmp_ne_u32_e64 s[8:9], s8, v10
                                        ; implicit-def: $vgpr10
	s_and_saveexec_b64 s[22:23], s[8:9]
	s_xor_b64 s[8:9], exec, s[22:23]
; %bb.244:
	v_bfe_u32 v10, v11, 16, 1
	s_movk_i32 s22, 0x7fff
	v_add3_u32 v10, v11, v10, s22
                                        ; implicit-def: $vgpr11
; %bb.245:
	s_andn2_saveexec_b64 s[22:23], s[8:9]
; %bb.246:
	v_mov_b32_e32 v10, 0
	v_or_b32_e32 v16, 0x10000, v11
	v_cmp_eq_u32_sdwa s[8:9], v11, v10 src0_sel:WORD_0 src1_sel:DWORD
	v_cndmask_b32_e64 v10, v16, v11, s[8:9]
; %bb.247:
	s_or_b64 exec, exec, s[22:23]
	v_lshlrev_b32_e32 v11, 16, v27
	v_add_f32_e32 v16, 0, v11
	s_mov_b32 s8, 0x7f800000
	v_and_b32_e32 v11, 0x7f800000, v16
	v_cmp_ne_u32_e64 s[8:9], s8, v11
                                        ; implicit-def: $vgpr11
	s_and_saveexec_b64 s[22:23], s[8:9]
	s_xor_b64 s[8:9], exec, s[22:23]
; %bb.248:
	v_bfe_u32 v11, v16, 16, 1
	s_movk_i32 s22, 0x7fff
	v_add3_u32 v11, v16, v11, s22
                                        ; implicit-def: $vgpr16
; %bb.249:
	s_andn2_saveexec_b64 s[22:23], s[8:9]
; %bb.250:
	v_mov_b32_e32 v11, 0
	v_or_b32_e32 v17, 0x10000, v16
	v_cmp_eq_u32_sdwa s[8:9], v16, v11 src0_sel:WORD_0 src1_sel:DWORD
	v_cndmask_b32_e64 v11, v17, v16, s[8:9]
; %bb.251:
	s_or_b64 exec, exec, s[22:23]
	s_mov_b32 s8, 0x7060302
	v_perm_b32 v16, v11, v10, s8
	v_mov_b32_e32 v17, 0xffff8000
	v_cmp_lt_i32_e64 s[8:9], -1, v10
	v_cndmask_b32_e64 v10, -1, v17, s[8:9]
	v_cmp_lt_i32_e64 s[8:9], -1, v11
	v_cndmask_b32_e64 v11, -1, v17, s[8:9]
	s_mov_b32 s8, 0x5040100
	v_perm_b32 v10, v11, v10, s8
	v_xor_b32_e32 v10, v10, v16
	v_cmp_le_u16_sdwa s[8:9], v10, v10 src0_sel:DWORD src1_sel:WORD_1
	s_and_b64 s[22:23], s[8:9], exec
.LBB1966_252:
	s_or_b64 exec, exec, s[10:11]
	s_orn2_b64 s[10:11], s[22:23], exec
.LBB1966_253:
	s_or_b64 exec, exec, s[20:21]
	v_cndmask_b32_e64 v10, v18, v19, s[10:11]
	v_cndmask_b32_e64 v31, v23, v22, s[10:11]
	v_mov_b32_e32 v11, 0
	v_lshlrev_b64 v[16:17], 3, v[10:11]
	v_add_u32_e32 v33, 1, v10
	v_add_u32_e32 v10, -1, v31
	v_min_u32_e32 v10, v33, v10
	v_lshlrev_b64 v[34:35], 1, v[10:11]
	v_add_co_u32_e64 v8, s[8:9], v8, v34
	v_addc_co_u32_e64 v9, s[8:9], v9, v35, s[8:9]
	flat_load_ushort v31, v[8:9]
	v_add_co_u32_e64 v8, s[8:9], v4, v16
	v_addc_co_u32_e64 v9, s[8:9], v5, v17, s[8:9]
	flat_load_dwordx2 v[16:17], v[8:9] offset:2048
	v_cndmask_b32_e64 v10, v33, v18, s[10:11]
	v_cndmask_b32_e64 v18, v19, v33, s[10:11]
	v_cmp_lt_u32_e64 s[8:9], v10, v23
	s_mov_b64 s[22:23], -1
	s_waitcnt vmcnt(0) lgkmcnt(0)
	v_cndmask_b32_e64 v8, v31, v26, s[10:11]
	v_cndmask_b32_e64 v9, v27, v31, s[10:11]
	s_and_saveexec_b64 s[20:21], s[8:9]
	s_cbranch_execz .LBB1966_265
; %bb.254:
	v_cmp_lt_u32_e64 s[8:9], v18, v22
	s_mov_b64 s[24:25], 0
	s_and_saveexec_b64 s[22:23], s[8:9]
	s_cbranch_execz .LBB1966_264
; %bb.255:
	v_lshlrev_b32_e32 v19, 16, v8
	v_add_f32_e32 v22, 0, v19
	s_mov_b32 s8, 0x7f800000
	v_and_b32_e32 v19, 0x7f800000, v22
	v_cmp_ne_u32_e64 s[8:9], s8, v19
                                        ; implicit-def: $vgpr19
	s_and_saveexec_b64 s[24:25], s[8:9]
	s_xor_b64 s[8:9], exec, s[24:25]
; %bb.256:
	v_bfe_u32 v19, v22, 16, 1
	s_movk_i32 s24, 0x7fff
	v_add3_u32 v19, v22, v19, s24
                                        ; implicit-def: $vgpr22
; %bb.257:
	s_andn2_saveexec_b64 s[24:25], s[8:9]
; %bb.258:
	v_mov_b32_e32 v19, 0
	v_or_b32_e32 v23, 0x10000, v22
	v_cmp_eq_u32_sdwa s[8:9], v22, v19 src0_sel:WORD_0 src1_sel:DWORD
	v_cndmask_b32_e64 v19, v23, v22, s[8:9]
; %bb.259:
	s_or_b64 exec, exec, s[24:25]
	v_lshlrev_b32_e32 v22, 16, v9
	v_add_f32_e32 v23, 0, v22
	s_mov_b32 s8, 0x7f800000
	v_and_b32_e32 v22, 0x7f800000, v23
	v_cmp_ne_u32_e64 s[8:9], s8, v22
                                        ; implicit-def: $vgpr22
	s_and_saveexec_b64 s[24:25], s[8:9]
	s_xor_b64 s[8:9], exec, s[24:25]
; %bb.260:
	v_bfe_u32 v22, v23, 16, 1
	s_movk_i32 s24, 0x7fff
	v_add3_u32 v22, v23, v22, s24
                                        ; implicit-def: $vgpr23
; %bb.261:
	s_andn2_saveexec_b64 s[24:25], s[8:9]
; %bb.262:
	v_mov_b32_e32 v22, 0
	v_or_b32_e32 v31, 0x10000, v23
	v_cmp_eq_u32_sdwa s[8:9], v23, v22 src0_sel:WORD_0 src1_sel:DWORD
	v_cndmask_b32_e64 v22, v31, v23, s[8:9]
; %bb.263:
	s_or_b64 exec, exec, s[24:25]
	s_mov_b32 s8, 0x7060302
	v_perm_b32 v23, v22, v19, s8
	v_mov_b32_e32 v31, 0xffff8000
	v_cmp_lt_i32_e64 s[8:9], -1, v19
	v_cndmask_b32_e64 v19, -1, v31, s[8:9]
	v_cmp_lt_i32_e64 s[8:9], -1, v22
	v_cndmask_b32_e64 v22, -1, v31, s[8:9]
	s_mov_b32 s8, 0x5040100
	v_perm_b32 v19, v22, v19, s8
	v_xor_b32_e32 v19, v19, v23
	v_cmp_le_u16_sdwa s[8:9], v19, v19 src0_sel:DWORD src1_sel:WORD_1
	s_and_b64 s[24:25], s[8:9], exec
.LBB1966_264:
	s_or_b64 exec, exec, s[22:23]
	s_orn2_b64 s[22:23], s[24:25], exec
.LBB1966_265:
	s_or_b64 exec, exec, s[20:21]
	v_cndmask_b32_e64 v10, v10, v18, s[22:23]
	v_lshlrev_b64 v[10:11], 3, v[10:11]
	v_add_co_u32_e64 v4, s[8:9], v4, v10
	v_addc_co_u32_e64 v5, s[8:9], v5, v11, s[8:9]
	flat_load_dwordx2 v[18:19], v[4:5] offset:2048
	v_cndmask_b32_e64 v38, v26, v27, s[10:11]
	v_cndmask_b32_e64 v36, v20, v25, s[18:19]
	;; [unrolled: 1-line block ×4, first 2 shown]
.LBB1966_266:
	s_or_b64 exec, exec, s[12:13]
	v_add_co_u32_e64 v2, s[8:9], v2, v28
	v_addc_co_u32_e64 v3, s[8:9], v3, v29, s[8:9]
	v_add_co_u32_e64 v2, s[8:9], v2, v30
	v_addc_co_u32_e64 v3, s[8:9], 0, v3, s[8:9]
	; wave barrier
	s_waitcnt lgkmcnt(0)
	s_barrier
	s_waitcnt lgkmcnt(0)
	; wave barrier
	s_and_saveexec_b64 s[8:9], vcc
	s_cbranch_execnz .LBB1966_276
; %bb.267:
	s_or_b64 exec, exec, s[8:9]
	s_and_saveexec_b64 s[8:9], s[4:5]
	s_cbranch_execnz .LBB1966_277
.LBB1966_268:
	s_or_b64 exec, exec, s[8:9]
	s_and_saveexec_b64 s[8:9], s[6:7]
	s_cbranch_execnz .LBB1966_278
.LBB1966_269:
	s_or_b64 exec, exec, s[8:9]
	s_and_saveexec_b64 s[8:9], s[14:15]
	s_cbranch_execz .LBB1966_271
.LBB1966_270:
	flat_store_short v[2:3], v35 offset:6
.LBB1966_271:
	s_or_b64 exec, exec, s[8:9]
	v_add_co_u32_e64 v0, s[8:9], v6, v0
	v_addc_co_u32_e64 v1, s[8:9], v7, v1, s[8:9]
	v_add_co_u32_e64 v0, s[8:9], v0, v32
	v_addc_co_u32_e64 v1, s[8:9], 0, v1, s[8:9]
	; wave barrier
	s_and_saveexec_b64 s[8:9], vcc
	s_cbranch_execnz .LBB1966_279
; %bb.272:
	s_or_b64 exec, exec, s[8:9]
	s_and_saveexec_b64 s[8:9], s[4:5]
	s_cbranch_execnz .LBB1966_280
.LBB1966_273:
	s_or_b64 exec, exec, s[8:9]
	s_and_saveexec_b64 s[4:5], s[6:7]
	s_cbranch_execnz .LBB1966_281
.LBB1966_274:
	s_or_b64 exec, exec, s[4:5]
	s_and_saveexec_b64 s[4:5], s[14:15]
	s_cbranch_execnz .LBB1966_282
.LBB1966_275:
	s_or_b64 exec, exec, s[4:5]
	s_waitcnt vmcnt(0) lgkmcnt(0)
	s_setpc_b64 s[30:31]
.LBB1966_276:
	flat_store_short v[2:3], v37
	s_or_b64 exec, exec, s[8:9]
	s_and_saveexec_b64 s[8:9], s[4:5]
	s_cbranch_execz .LBB1966_268
.LBB1966_277:
	flat_store_short v[2:3], v36 offset:2
	s_or_b64 exec, exec, s[8:9]
	s_and_saveexec_b64 s[8:9], s[6:7]
	s_cbranch_execz .LBB1966_269
.LBB1966_278:
	flat_store_short v[2:3], v38 offset:4
	s_or_b64 exec, exec, s[8:9]
	s_and_saveexec_b64 s[8:9], s[14:15]
	s_cbranch_execnz .LBB1966_270
	s_branch .LBB1966_271
.LBB1966_279:
	flat_store_dwordx2 v[0:1], v[12:13]
	s_or_b64 exec, exec, s[8:9]
	s_and_saveexec_b64 s[8:9], s[4:5]
	s_cbranch_execz .LBB1966_273
.LBB1966_280:
	flat_store_dwordx2 v[0:1], v[14:15] offset:8
	s_or_b64 exec, exec, s[8:9]
	s_and_saveexec_b64 s[4:5], s[6:7]
	s_cbranch_execz .LBB1966_274
.LBB1966_281:
	flat_store_dwordx2 v[0:1], v[16:17] offset:16
	s_or_b64 exec, exec, s[4:5]
	s_and_saveexec_b64 s[4:5], s[14:15]
	s_cbranch_execz .LBB1966_275
.LBB1966_282:
	s_waitcnt vmcnt(0)
	flat_store_dwordx2 v[0:1], v[18:19] offset:24
	s_or_b64 exec, exec, s[4:5]
	s_waitcnt vmcnt(0) lgkmcnt(0)
	s_setpc_b64 s[30:31]
.Lfunc_end1966:
	.size	_ZN7rocprim17ROCPRIM_400000_NS6detail26segmented_warp_sort_helperINS1_20WarpSortHelperConfigILj8ELj4ELj256EEE12hip_bfloat16lLi256ELb1EvE4sortIPKS5_PS5_PKlPlEEvT_T0_T1_T2_jjjjRNS6_12storage_typeE, .Lfunc_end1966-_ZN7rocprim17ROCPRIM_400000_NS6detail26segmented_warp_sort_helperINS1_20WarpSortHelperConfigILj8ELj4ELj256EEE12hip_bfloat16lLi256ELb1EvE4sortIPKS5_PS5_PKlPlEEvT_T0_T1_T2_jjjjRNS6_12storage_typeE
                                        ; -- End function
	.section	.AMDGPU.csdata,"",@progbits
; Function info:
; codeLenInByte = 10492
; NumSgprs: 36
; NumVgprs: 68
; NumAgprs: 0
; TotalNumVgprs: 68
; ScratchSize: 0
; MemoryBound: 1
	.section	.text._ZN7rocprim17ROCPRIM_400000_NS6detail17trampoline_kernelINS0_14default_configENS1_36segmented_radix_sort_config_selectorI12hip_bfloat16lEEZNS1_25segmented_radix_sort_implIS3_Lb1EPKS5_PS5_PKlPlN2at6native12_GLOBAL__N_18offset_tEEE10hipError_tPvRmT1_PNSt15iterator_traitsISL_E10value_typeET2_T3_PNSM_ISR_E10value_typeET4_jRbjT5_SX_jjP12ihipStream_tbEUlT_E1_NS1_11comp_targetILNS1_3genE4ELNS1_11target_archE910ELNS1_3gpuE8ELNS1_3repE0EEENS1_59segmented_radix_sort_warp_sort_small_config_static_selectorELNS0_4arch9wavefront6targetE1EEEvSL_,"axG",@progbits,_ZN7rocprim17ROCPRIM_400000_NS6detail17trampoline_kernelINS0_14default_configENS1_36segmented_radix_sort_config_selectorI12hip_bfloat16lEEZNS1_25segmented_radix_sort_implIS3_Lb1EPKS5_PS5_PKlPlN2at6native12_GLOBAL__N_18offset_tEEE10hipError_tPvRmT1_PNSt15iterator_traitsISL_E10value_typeET2_T3_PNSM_ISR_E10value_typeET4_jRbjT5_SX_jjP12ihipStream_tbEUlT_E1_NS1_11comp_targetILNS1_3genE4ELNS1_11target_archE910ELNS1_3gpuE8ELNS1_3repE0EEENS1_59segmented_radix_sort_warp_sort_small_config_static_selectorELNS0_4arch9wavefront6targetE1EEEvSL_,comdat
	.globl	_ZN7rocprim17ROCPRIM_400000_NS6detail17trampoline_kernelINS0_14default_configENS1_36segmented_radix_sort_config_selectorI12hip_bfloat16lEEZNS1_25segmented_radix_sort_implIS3_Lb1EPKS5_PS5_PKlPlN2at6native12_GLOBAL__N_18offset_tEEE10hipError_tPvRmT1_PNSt15iterator_traitsISL_E10value_typeET2_T3_PNSM_ISR_E10value_typeET4_jRbjT5_SX_jjP12ihipStream_tbEUlT_E1_NS1_11comp_targetILNS1_3genE4ELNS1_11target_archE910ELNS1_3gpuE8ELNS1_3repE0EEENS1_59segmented_radix_sort_warp_sort_small_config_static_selectorELNS0_4arch9wavefront6targetE1EEEvSL_ ; -- Begin function _ZN7rocprim17ROCPRIM_400000_NS6detail17trampoline_kernelINS0_14default_configENS1_36segmented_radix_sort_config_selectorI12hip_bfloat16lEEZNS1_25segmented_radix_sort_implIS3_Lb1EPKS5_PS5_PKlPlN2at6native12_GLOBAL__N_18offset_tEEE10hipError_tPvRmT1_PNSt15iterator_traitsISL_E10value_typeET2_T3_PNSM_ISR_E10value_typeET4_jRbjT5_SX_jjP12ihipStream_tbEUlT_E1_NS1_11comp_targetILNS1_3genE4ELNS1_11target_archE910ELNS1_3gpuE8ELNS1_3repE0EEENS1_59segmented_radix_sort_warp_sort_small_config_static_selectorELNS0_4arch9wavefront6targetE1EEEvSL_
	.p2align	8
	.type	_ZN7rocprim17ROCPRIM_400000_NS6detail17trampoline_kernelINS0_14default_configENS1_36segmented_radix_sort_config_selectorI12hip_bfloat16lEEZNS1_25segmented_radix_sort_implIS3_Lb1EPKS5_PS5_PKlPlN2at6native12_GLOBAL__N_18offset_tEEE10hipError_tPvRmT1_PNSt15iterator_traitsISL_E10value_typeET2_T3_PNSM_ISR_E10value_typeET4_jRbjT5_SX_jjP12ihipStream_tbEUlT_E1_NS1_11comp_targetILNS1_3genE4ELNS1_11target_archE910ELNS1_3gpuE8ELNS1_3repE0EEENS1_59segmented_radix_sort_warp_sort_small_config_static_selectorELNS0_4arch9wavefront6targetE1EEEvSL_,@function
_ZN7rocprim17ROCPRIM_400000_NS6detail17trampoline_kernelINS0_14default_configENS1_36segmented_radix_sort_config_selectorI12hip_bfloat16lEEZNS1_25segmented_radix_sort_implIS3_Lb1EPKS5_PS5_PKlPlN2at6native12_GLOBAL__N_18offset_tEEE10hipError_tPvRmT1_PNSt15iterator_traitsISL_E10value_typeET2_T3_PNSM_ISR_E10value_typeET4_jRbjT5_SX_jjP12ihipStream_tbEUlT_E1_NS1_11comp_targetILNS1_3genE4ELNS1_11target_archE910ELNS1_3gpuE8ELNS1_3repE0EEENS1_59segmented_radix_sort_warp_sort_small_config_static_selectorELNS0_4arch9wavefront6targetE1EEEvSL_: ; @_ZN7rocprim17ROCPRIM_400000_NS6detail17trampoline_kernelINS0_14default_configENS1_36segmented_radix_sort_config_selectorI12hip_bfloat16lEEZNS1_25segmented_radix_sort_implIS3_Lb1EPKS5_PS5_PKlPlN2at6native12_GLOBAL__N_18offset_tEEE10hipError_tPvRmT1_PNSt15iterator_traitsISL_E10value_typeET2_T3_PNSM_ISR_E10value_typeET4_jRbjT5_SX_jjP12ihipStream_tbEUlT_E1_NS1_11comp_targetILNS1_3genE4ELNS1_11target_archE910ELNS1_3gpuE8ELNS1_3repE0EEENS1_59segmented_radix_sort_warp_sort_small_config_static_selectorELNS0_4arch9wavefront6targetE1EEEvSL_
; %bb.0:
	s_add_u32 flat_scratch_lo, s6, s10
	s_addc_u32 flat_scratch_hi, s7, 0
	s_add_u32 s0, s0, s10
	s_load_dword s6, s[4:5], 0x64
	s_load_dword s10, s[4:5], 0x34
	s_addc_u32 s1, s1, 0
	v_bfe_u32 v1, v0, 10, 10
	v_bfe_u32 v2, v0, 20, 10
	s_waitcnt lgkmcnt(0)
	s_lshr_b32 s7, s6, 16
	s_and_b32 s6, s6, 0xffff
	v_mad_u32_u24 v1, v2, s7, v1
	v_and_b32_e32 v2, 0x3ff, v0
	v_mad_u64_u32 v[2:3], s[6:7], v1, s6, v[2:3]
	v_lshrrev_b32_e32 v1, 3, v2
	v_lshl_add_u32 v2, s8, 5, v1
	v_cmp_gt_u32_e32 vcc, s10, v2
	s_mov_b32 s32, 0
	s_and_saveexec_b64 s[6:7], vcc
	s_cbranch_execz .LBB1967_6
; %bb.1:
	s_load_dwordx2 s[6:7], s[4:5], 0x38
	s_load_dwordx4 s[12:15], s[4:5], 0x40
	v_mov_b32_e32 v3, 0
	v_lshlrev_b64 v[2:3], 2, v[2:3]
	s_waitcnt lgkmcnt(0)
	v_mov_b32_e32 v1, s7
	v_sub_co_u32_e32 v2, vcc, s6, v2
	v_subb_co_u32_e32 v3, vcc, v1, v3, vcc
	global_load_dword v1, v[2:3], off offset:-4
	s_waitcnt vmcnt(0)
	v_add_u32_e32 v2, s13, v1
	v_add_u32_e32 v1, s15, v1
	v_mul_lo_u32 v40, v2, s12
	v_mul_lo_u32 v41, v1, s14
	v_cmp_gt_u32_e32 vcc, v41, v40
	s_and_b64 exec, exec, vcc
	s_cbranch_execz .LBB1967_6
; %bb.2:
	s_load_dword s6, s[4:5], 0x30
	s_load_dwordx4 s[44:47], s[4:5], 0x20
	s_load_dwordx8 s[36:43], s[4:5], 0x0
	s_mov_b32 s27, s8
	s_mov_b32 s26, s9
	s_waitcnt lgkmcnt(0)
	s_bitcmp0_b32 s6, 0
	s_mov_b64 s[6:7], -1
	s_cbranch_scc0 .LBB1967_4
; %bb.3:
	s_add_u32 s8, s4, 0x58
	s_mov_b64 s[6:7], src_shared_base
	s_addc_u32 s9, s5, 0
	s_mov_b32 s12, s27
	s_mov_b32 s13, s26
	v_mov_b32_e32 v31, v0
	v_mov_b32_e32 v42, v0
	;; [unrolled: 1-line block ×14, first 2 shown]
	s_getpc_b64 s[10:11]
	s_add_u32 s10, s10, _ZN7rocprim17ROCPRIM_400000_NS6detail26segmented_warp_sort_helperINS1_20WarpSortHelperConfigILj8ELj4ELj256EEE12hip_bfloat16lLi256ELb1EvE4sortIPKS5_PS5_PKlPlEEvT_T0_T1_T2_jjjjRNS6_12storage_typeE@rel32@lo+4
	s_addc_u32 s11, s11, _ZN7rocprim17ROCPRIM_400000_NS6detail26segmented_warp_sort_helperINS1_20WarpSortHelperConfigILj8ELj4ELj256EEE12hip_bfloat16lLi256ELb1EvE4sortIPKS5_PS5_PKlPlEEvT_T0_T1_T2_jjjjRNS6_12storage_typeE@rel32@hi+12
	s_mov_b64 s[28:29], s[4:5]
	s_swappc_b64 s[30:31], s[10:11]
	v_mov_b32_e32 v0, v42
	s_mov_b64 s[4:5], s[28:29]
	s_mov_b64 s[6:7], 0
.LBB1967_4:
	s_andn2_b64 vcc, exec, s[6:7]
	s_cbranch_vccnz .LBB1967_6
; %bb.5:
	s_add_u32 s8, s4, 0x58
	s_addc_u32 s9, s5, 0
	s_mov_b64 s[4:5], src_shared_base
	s_mov_b32 s12, s27
	s_mov_b32 s13, s26
	v_mov_b32_e32 v31, v0
	v_mov_b32_e32 v0, s36
	;; [unrolled: 1-line block ×13, first 2 shown]
	s_getpc_b64 s[6:7]
	s_add_u32 s6, s6, _ZN7rocprim17ROCPRIM_400000_NS6detail26segmented_warp_sort_helperINS1_20WarpSortHelperConfigILj8ELj4ELj256EEE12hip_bfloat16lLi256ELb1EvE4sortIPKS5_PS5_PKlPlEEvT_T0_T1_T2_jjjjRNS6_12storage_typeE@rel32@lo+4
	s_addc_u32 s7, s7, _ZN7rocprim17ROCPRIM_400000_NS6detail26segmented_warp_sort_helperINS1_20WarpSortHelperConfigILj8ELj4ELj256EEE12hip_bfloat16lLi256ELb1EvE4sortIPKS5_PS5_PKlPlEEvT_T0_T1_T2_jjjjRNS6_12storage_typeE@rel32@hi+12
	s_swappc_b64 s[30:31], s[6:7]
.LBB1967_6:
	s_endpgm
	.section	.rodata,"a",@progbits
	.p2align	6, 0x0
	.amdhsa_kernel _ZN7rocprim17ROCPRIM_400000_NS6detail17trampoline_kernelINS0_14default_configENS1_36segmented_radix_sort_config_selectorI12hip_bfloat16lEEZNS1_25segmented_radix_sort_implIS3_Lb1EPKS5_PS5_PKlPlN2at6native12_GLOBAL__N_18offset_tEEE10hipError_tPvRmT1_PNSt15iterator_traitsISL_E10value_typeET2_T3_PNSM_ISR_E10value_typeET4_jRbjT5_SX_jjP12ihipStream_tbEUlT_E1_NS1_11comp_targetILNS1_3genE4ELNS1_11target_archE910ELNS1_3gpuE8ELNS1_3repE0EEENS1_59segmented_radix_sort_warp_sort_small_config_static_selectorELNS0_4arch9wavefront6targetE1EEEvSL_
		.amdhsa_group_segment_fixed_size 10240
		.amdhsa_private_segment_fixed_size 0
		.amdhsa_kernarg_size 344
		.amdhsa_user_sgpr_count 8
		.amdhsa_user_sgpr_private_segment_buffer 1
		.amdhsa_user_sgpr_dispatch_ptr 0
		.amdhsa_user_sgpr_queue_ptr 0
		.amdhsa_user_sgpr_kernarg_segment_ptr 1
		.amdhsa_user_sgpr_dispatch_id 0
		.amdhsa_user_sgpr_flat_scratch_init 1
		.amdhsa_user_sgpr_kernarg_preload_length 0
		.amdhsa_user_sgpr_kernarg_preload_offset 0
		.amdhsa_user_sgpr_private_segment_size 0
		.amdhsa_uses_dynamic_stack 0
		.amdhsa_system_sgpr_private_segment_wavefront_offset 0
		.amdhsa_system_sgpr_workgroup_id_x 1
		.amdhsa_system_sgpr_workgroup_id_y 1
		.amdhsa_system_sgpr_workgroup_id_z 0
		.amdhsa_system_sgpr_workgroup_info 0
		.amdhsa_system_vgpr_workitem_id 2
		.amdhsa_next_free_vgpr 68
		.amdhsa_next_free_sgpr 48
		.amdhsa_accum_offset 68
		.amdhsa_reserve_vcc 1
		.amdhsa_reserve_flat_scratch 1
		.amdhsa_float_round_mode_32 0
		.amdhsa_float_round_mode_16_64 0
		.amdhsa_float_denorm_mode_32 3
		.amdhsa_float_denorm_mode_16_64 3
		.amdhsa_dx10_clamp 1
		.amdhsa_ieee_mode 1
		.amdhsa_fp16_overflow 0
		.amdhsa_tg_split 0
		.amdhsa_exception_fp_ieee_invalid_op 0
		.amdhsa_exception_fp_denorm_src 0
		.amdhsa_exception_fp_ieee_div_zero 0
		.amdhsa_exception_fp_ieee_overflow 0
		.amdhsa_exception_fp_ieee_underflow 0
		.amdhsa_exception_fp_ieee_inexact 0
		.amdhsa_exception_int_div_zero 0
	.end_amdhsa_kernel
	.section	.text._ZN7rocprim17ROCPRIM_400000_NS6detail17trampoline_kernelINS0_14default_configENS1_36segmented_radix_sort_config_selectorI12hip_bfloat16lEEZNS1_25segmented_radix_sort_implIS3_Lb1EPKS5_PS5_PKlPlN2at6native12_GLOBAL__N_18offset_tEEE10hipError_tPvRmT1_PNSt15iterator_traitsISL_E10value_typeET2_T3_PNSM_ISR_E10value_typeET4_jRbjT5_SX_jjP12ihipStream_tbEUlT_E1_NS1_11comp_targetILNS1_3genE4ELNS1_11target_archE910ELNS1_3gpuE8ELNS1_3repE0EEENS1_59segmented_radix_sort_warp_sort_small_config_static_selectorELNS0_4arch9wavefront6targetE1EEEvSL_,"axG",@progbits,_ZN7rocprim17ROCPRIM_400000_NS6detail17trampoline_kernelINS0_14default_configENS1_36segmented_radix_sort_config_selectorI12hip_bfloat16lEEZNS1_25segmented_radix_sort_implIS3_Lb1EPKS5_PS5_PKlPlN2at6native12_GLOBAL__N_18offset_tEEE10hipError_tPvRmT1_PNSt15iterator_traitsISL_E10value_typeET2_T3_PNSM_ISR_E10value_typeET4_jRbjT5_SX_jjP12ihipStream_tbEUlT_E1_NS1_11comp_targetILNS1_3genE4ELNS1_11target_archE910ELNS1_3gpuE8ELNS1_3repE0EEENS1_59segmented_radix_sort_warp_sort_small_config_static_selectorELNS0_4arch9wavefront6targetE1EEEvSL_,comdat
.Lfunc_end1967:
	.size	_ZN7rocprim17ROCPRIM_400000_NS6detail17trampoline_kernelINS0_14default_configENS1_36segmented_radix_sort_config_selectorI12hip_bfloat16lEEZNS1_25segmented_radix_sort_implIS3_Lb1EPKS5_PS5_PKlPlN2at6native12_GLOBAL__N_18offset_tEEE10hipError_tPvRmT1_PNSt15iterator_traitsISL_E10value_typeET2_T3_PNSM_ISR_E10value_typeET4_jRbjT5_SX_jjP12ihipStream_tbEUlT_E1_NS1_11comp_targetILNS1_3genE4ELNS1_11target_archE910ELNS1_3gpuE8ELNS1_3repE0EEENS1_59segmented_radix_sort_warp_sort_small_config_static_selectorELNS0_4arch9wavefront6targetE1EEEvSL_, .Lfunc_end1967-_ZN7rocprim17ROCPRIM_400000_NS6detail17trampoline_kernelINS0_14default_configENS1_36segmented_radix_sort_config_selectorI12hip_bfloat16lEEZNS1_25segmented_radix_sort_implIS3_Lb1EPKS5_PS5_PKlPlN2at6native12_GLOBAL__N_18offset_tEEE10hipError_tPvRmT1_PNSt15iterator_traitsISL_E10value_typeET2_T3_PNSM_ISR_E10value_typeET4_jRbjT5_SX_jjP12ihipStream_tbEUlT_E1_NS1_11comp_targetILNS1_3genE4ELNS1_11target_archE910ELNS1_3gpuE8ELNS1_3repE0EEENS1_59segmented_radix_sort_warp_sort_small_config_static_selectorELNS0_4arch9wavefront6targetE1EEEvSL_
                                        ; -- End function
	.section	.AMDGPU.csdata,"",@progbits
; Kernel info:
; codeLenInByte = 488
; NumSgprs: 54
; NumVgprs: 68
; NumAgprs: 0
; TotalNumVgprs: 68
; ScratchSize: 0
; MemoryBound: 0
; FloatMode: 240
; IeeeMode: 1
; LDSByteSize: 10240 bytes/workgroup (compile time only)
; SGPRBlocks: 6
; VGPRBlocks: 8
; NumSGPRsForWavesPerEU: 54
; NumVGPRsForWavesPerEU: 68
; AccumOffset: 68
; Occupancy: 6
; WaveLimiterHint : 0
; COMPUTE_PGM_RSRC2:SCRATCH_EN: 0
; COMPUTE_PGM_RSRC2:USER_SGPR: 8
; COMPUTE_PGM_RSRC2:TRAP_HANDLER: 0
; COMPUTE_PGM_RSRC2:TGID_X_EN: 1
; COMPUTE_PGM_RSRC2:TGID_Y_EN: 1
; COMPUTE_PGM_RSRC2:TGID_Z_EN: 0
; COMPUTE_PGM_RSRC2:TIDIG_COMP_CNT: 2
; COMPUTE_PGM_RSRC3_GFX90A:ACCUM_OFFSET: 16
; COMPUTE_PGM_RSRC3_GFX90A:TG_SPLIT: 0
	.section	.text._ZN7rocprim17ROCPRIM_400000_NS6detail17trampoline_kernelINS0_14default_configENS1_36segmented_radix_sort_config_selectorI12hip_bfloat16lEEZNS1_25segmented_radix_sort_implIS3_Lb1EPKS5_PS5_PKlPlN2at6native12_GLOBAL__N_18offset_tEEE10hipError_tPvRmT1_PNSt15iterator_traitsISL_E10value_typeET2_T3_PNSM_ISR_E10value_typeET4_jRbjT5_SX_jjP12ihipStream_tbEUlT_E1_NS1_11comp_targetILNS1_3genE3ELNS1_11target_archE908ELNS1_3gpuE7ELNS1_3repE0EEENS1_59segmented_radix_sort_warp_sort_small_config_static_selectorELNS0_4arch9wavefront6targetE1EEEvSL_,"axG",@progbits,_ZN7rocprim17ROCPRIM_400000_NS6detail17trampoline_kernelINS0_14default_configENS1_36segmented_radix_sort_config_selectorI12hip_bfloat16lEEZNS1_25segmented_radix_sort_implIS3_Lb1EPKS5_PS5_PKlPlN2at6native12_GLOBAL__N_18offset_tEEE10hipError_tPvRmT1_PNSt15iterator_traitsISL_E10value_typeET2_T3_PNSM_ISR_E10value_typeET4_jRbjT5_SX_jjP12ihipStream_tbEUlT_E1_NS1_11comp_targetILNS1_3genE3ELNS1_11target_archE908ELNS1_3gpuE7ELNS1_3repE0EEENS1_59segmented_radix_sort_warp_sort_small_config_static_selectorELNS0_4arch9wavefront6targetE1EEEvSL_,comdat
	.globl	_ZN7rocprim17ROCPRIM_400000_NS6detail17trampoline_kernelINS0_14default_configENS1_36segmented_radix_sort_config_selectorI12hip_bfloat16lEEZNS1_25segmented_radix_sort_implIS3_Lb1EPKS5_PS5_PKlPlN2at6native12_GLOBAL__N_18offset_tEEE10hipError_tPvRmT1_PNSt15iterator_traitsISL_E10value_typeET2_T3_PNSM_ISR_E10value_typeET4_jRbjT5_SX_jjP12ihipStream_tbEUlT_E1_NS1_11comp_targetILNS1_3genE3ELNS1_11target_archE908ELNS1_3gpuE7ELNS1_3repE0EEENS1_59segmented_radix_sort_warp_sort_small_config_static_selectorELNS0_4arch9wavefront6targetE1EEEvSL_ ; -- Begin function _ZN7rocprim17ROCPRIM_400000_NS6detail17trampoline_kernelINS0_14default_configENS1_36segmented_radix_sort_config_selectorI12hip_bfloat16lEEZNS1_25segmented_radix_sort_implIS3_Lb1EPKS5_PS5_PKlPlN2at6native12_GLOBAL__N_18offset_tEEE10hipError_tPvRmT1_PNSt15iterator_traitsISL_E10value_typeET2_T3_PNSM_ISR_E10value_typeET4_jRbjT5_SX_jjP12ihipStream_tbEUlT_E1_NS1_11comp_targetILNS1_3genE3ELNS1_11target_archE908ELNS1_3gpuE7ELNS1_3repE0EEENS1_59segmented_radix_sort_warp_sort_small_config_static_selectorELNS0_4arch9wavefront6targetE1EEEvSL_
	.p2align	8
	.type	_ZN7rocprim17ROCPRIM_400000_NS6detail17trampoline_kernelINS0_14default_configENS1_36segmented_radix_sort_config_selectorI12hip_bfloat16lEEZNS1_25segmented_radix_sort_implIS3_Lb1EPKS5_PS5_PKlPlN2at6native12_GLOBAL__N_18offset_tEEE10hipError_tPvRmT1_PNSt15iterator_traitsISL_E10value_typeET2_T3_PNSM_ISR_E10value_typeET4_jRbjT5_SX_jjP12ihipStream_tbEUlT_E1_NS1_11comp_targetILNS1_3genE3ELNS1_11target_archE908ELNS1_3gpuE7ELNS1_3repE0EEENS1_59segmented_radix_sort_warp_sort_small_config_static_selectorELNS0_4arch9wavefront6targetE1EEEvSL_,@function
_ZN7rocprim17ROCPRIM_400000_NS6detail17trampoline_kernelINS0_14default_configENS1_36segmented_radix_sort_config_selectorI12hip_bfloat16lEEZNS1_25segmented_radix_sort_implIS3_Lb1EPKS5_PS5_PKlPlN2at6native12_GLOBAL__N_18offset_tEEE10hipError_tPvRmT1_PNSt15iterator_traitsISL_E10value_typeET2_T3_PNSM_ISR_E10value_typeET4_jRbjT5_SX_jjP12ihipStream_tbEUlT_E1_NS1_11comp_targetILNS1_3genE3ELNS1_11target_archE908ELNS1_3gpuE7ELNS1_3repE0EEENS1_59segmented_radix_sort_warp_sort_small_config_static_selectorELNS0_4arch9wavefront6targetE1EEEvSL_: ; @_ZN7rocprim17ROCPRIM_400000_NS6detail17trampoline_kernelINS0_14default_configENS1_36segmented_radix_sort_config_selectorI12hip_bfloat16lEEZNS1_25segmented_radix_sort_implIS3_Lb1EPKS5_PS5_PKlPlN2at6native12_GLOBAL__N_18offset_tEEE10hipError_tPvRmT1_PNSt15iterator_traitsISL_E10value_typeET2_T3_PNSM_ISR_E10value_typeET4_jRbjT5_SX_jjP12ihipStream_tbEUlT_E1_NS1_11comp_targetILNS1_3genE3ELNS1_11target_archE908ELNS1_3gpuE7ELNS1_3repE0EEENS1_59segmented_radix_sort_warp_sort_small_config_static_selectorELNS0_4arch9wavefront6targetE1EEEvSL_
; %bb.0:
	.section	.rodata,"a",@progbits
	.p2align	6, 0x0
	.amdhsa_kernel _ZN7rocprim17ROCPRIM_400000_NS6detail17trampoline_kernelINS0_14default_configENS1_36segmented_radix_sort_config_selectorI12hip_bfloat16lEEZNS1_25segmented_radix_sort_implIS3_Lb1EPKS5_PS5_PKlPlN2at6native12_GLOBAL__N_18offset_tEEE10hipError_tPvRmT1_PNSt15iterator_traitsISL_E10value_typeET2_T3_PNSM_ISR_E10value_typeET4_jRbjT5_SX_jjP12ihipStream_tbEUlT_E1_NS1_11comp_targetILNS1_3genE3ELNS1_11target_archE908ELNS1_3gpuE7ELNS1_3repE0EEENS1_59segmented_radix_sort_warp_sort_small_config_static_selectorELNS0_4arch9wavefront6targetE1EEEvSL_
		.amdhsa_group_segment_fixed_size 0
		.amdhsa_private_segment_fixed_size 0
		.amdhsa_kernarg_size 88
		.amdhsa_user_sgpr_count 6
		.amdhsa_user_sgpr_private_segment_buffer 1
		.amdhsa_user_sgpr_dispatch_ptr 0
		.amdhsa_user_sgpr_queue_ptr 0
		.amdhsa_user_sgpr_kernarg_segment_ptr 1
		.amdhsa_user_sgpr_dispatch_id 0
		.amdhsa_user_sgpr_flat_scratch_init 0
		.amdhsa_user_sgpr_kernarg_preload_length 0
		.amdhsa_user_sgpr_kernarg_preload_offset 0
		.amdhsa_user_sgpr_private_segment_size 0
		.amdhsa_uses_dynamic_stack 0
		.amdhsa_system_sgpr_private_segment_wavefront_offset 0
		.amdhsa_system_sgpr_workgroup_id_x 1
		.amdhsa_system_sgpr_workgroup_id_y 0
		.amdhsa_system_sgpr_workgroup_id_z 0
		.amdhsa_system_sgpr_workgroup_info 0
		.amdhsa_system_vgpr_workitem_id 0
		.amdhsa_next_free_vgpr 1
		.amdhsa_next_free_sgpr 0
		.amdhsa_accum_offset 4
		.amdhsa_reserve_vcc 0
		.amdhsa_reserve_flat_scratch 0
		.amdhsa_float_round_mode_32 0
		.amdhsa_float_round_mode_16_64 0
		.amdhsa_float_denorm_mode_32 3
		.amdhsa_float_denorm_mode_16_64 3
		.amdhsa_dx10_clamp 1
		.amdhsa_ieee_mode 1
		.amdhsa_fp16_overflow 0
		.amdhsa_tg_split 0
		.amdhsa_exception_fp_ieee_invalid_op 0
		.amdhsa_exception_fp_denorm_src 0
		.amdhsa_exception_fp_ieee_div_zero 0
		.amdhsa_exception_fp_ieee_overflow 0
		.amdhsa_exception_fp_ieee_underflow 0
		.amdhsa_exception_fp_ieee_inexact 0
		.amdhsa_exception_int_div_zero 0
	.end_amdhsa_kernel
	.section	.text._ZN7rocprim17ROCPRIM_400000_NS6detail17trampoline_kernelINS0_14default_configENS1_36segmented_radix_sort_config_selectorI12hip_bfloat16lEEZNS1_25segmented_radix_sort_implIS3_Lb1EPKS5_PS5_PKlPlN2at6native12_GLOBAL__N_18offset_tEEE10hipError_tPvRmT1_PNSt15iterator_traitsISL_E10value_typeET2_T3_PNSM_ISR_E10value_typeET4_jRbjT5_SX_jjP12ihipStream_tbEUlT_E1_NS1_11comp_targetILNS1_3genE3ELNS1_11target_archE908ELNS1_3gpuE7ELNS1_3repE0EEENS1_59segmented_radix_sort_warp_sort_small_config_static_selectorELNS0_4arch9wavefront6targetE1EEEvSL_,"axG",@progbits,_ZN7rocprim17ROCPRIM_400000_NS6detail17trampoline_kernelINS0_14default_configENS1_36segmented_radix_sort_config_selectorI12hip_bfloat16lEEZNS1_25segmented_radix_sort_implIS3_Lb1EPKS5_PS5_PKlPlN2at6native12_GLOBAL__N_18offset_tEEE10hipError_tPvRmT1_PNSt15iterator_traitsISL_E10value_typeET2_T3_PNSM_ISR_E10value_typeET4_jRbjT5_SX_jjP12ihipStream_tbEUlT_E1_NS1_11comp_targetILNS1_3genE3ELNS1_11target_archE908ELNS1_3gpuE7ELNS1_3repE0EEENS1_59segmented_radix_sort_warp_sort_small_config_static_selectorELNS0_4arch9wavefront6targetE1EEEvSL_,comdat
.Lfunc_end1968:
	.size	_ZN7rocprim17ROCPRIM_400000_NS6detail17trampoline_kernelINS0_14default_configENS1_36segmented_radix_sort_config_selectorI12hip_bfloat16lEEZNS1_25segmented_radix_sort_implIS3_Lb1EPKS5_PS5_PKlPlN2at6native12_GLOBAL__N_18offset_tEEE10hipError_tPvRmT1_PNSt15iterator_traitsISL_E10value_typeET2_T3_PNSM_ISR_E10value_typeET4_jRbjT5_SX_jjP12ihipStream_tbEUlT_E1_NS1_11comp_targetILNS1_3genE3ELNS1_11target_archE908ELNS1_3gpuE7ELNS1_3repE0EEENS1_59segmented_radix_sort_warp_sort_small_config_static_selectorELNS0_4arch9wavefront6targetE1EEEvSL_, .Lfunc_end1968-_ZN7rocprim17ROCPRIM_400000_NS6detail17trampoline_kernelINS0_14default_configENS1_36segmented_radix_sort_config_selectorI12hip_bfloat16lEEZNS1_25segmented_radix_sort_implIS3_Lb1EPKS5_PS5_PKlPlN2at6native12_GLOBAL__N_18offset_tEEE10hipError_tPvRmT1_PNSt15iterator_traitsISL_E10value_typeET2_T3_PNSM_ISR_E10value_typeET4_jRbjT5_SX_jjP12ihipStream_tbEUlT_E1_NS1_11comp_targetILNS1_3genE3ELNS1_11target_archE908ELNS1_3gpuE7ELNS1_3repE0EEENS1_59segmented_radix_sort_warp_sort_small_config_static_selectorELNS0_4arch9wavefront6targetE1EEEvSL_
                                        ; -- End function
	.section	.AMDGPU.csdata,"",@progbits
; Kernel info:
; codeLenInByte = 0
; NumSgprs: 4
; NumVgprs: 0
; NumAgprs: 0
; TotalNumVgprs: 0
; ScratchSize: 0
; MemoryBound: 0
; FloatMode: 240
; IeeeMode: 1
; LDSByteSize: 0 bytes/workgroup (compile time only)
; SGPRBlocks: 0
; VGPRBlocks: 0
; NumSGPRsForWavesPerEU: 4
; NumVGPRsForWavesPerEU: 1
; AccumOffset: 4
; Occupancy: 8
; WaveLimiterHint : 0
; COMPUTE_PGM_RSRC2:SCRATCH_EN: 0
; COMPUTE_PGM_RSRC2:USER_SGPR: 6
; COMPUTE_PGM_RSRC2:TRAP_HANDLER: 0
; COMPUTE_PGM_RSRC2:TGID_X_EN: 1
; COMPUTE_PGM_RSRC2:TGID_Y_EN: 0
; COMPUTE_PGM_RSRC2:TGID_Z_EN: 0
; COMPUTE_PGM_RSRC2:TIDIG_COMP_CNT: 0
; COMPUTE_PGM_RSRC3_GFX90A:ACCUM_OFFSET: 0
; COMPUTE_PGM_RSRC3_GFX90A:TG_SPLIT: 0
	.section	.text._ZN7rocprim17ROCPRIM_400000_NS6detail17trampoline_kernelINS0_14default_configENS1_36segmented_radix_sort_config_selectorI12hip_bfloat16lEEZNS1_25segmented_radix_sort_implIS3_Lb1EPKS5_PS5_PKlPlN2at6native12_GLOBAL__N_18offset_tEEE10hipError_tPvRmT1_PNSt15iterator_traitsISL_E10value_typeET2_T3_PNSM_ISR_E10value_typeET4_jRbjT5_SX_jjP12ihipStream_tbEUlT_E1_NS1_11comp_targetILNS1_3genE2ELNS1_11target_archE906ELNS1_3gpuE6ELNS1_3repE0EEENS1_59segmented_radix_sort_warp_sort_small_config_static_selectorELNS0_4arch9wavefront6targetE1EEEvSL_,"axG",@progbits,_ZN7rocprim17ROCPRIM_400000_NS6detail17trampoline_kernelINS0_14default_configENS1_36segmented_radix_sort_config_selectorI12hip_bfloat16lEEZNS1_25segmented_radix_sort_implIS3_Lb1EPKS5_PS5_PKlPlN2at6native12_GLOBAL__N_18offset_tEEE10hipError_tPvRmT1_PNSt15iterator_traitsISL_E10value_typeET2_T3_PNSM_ISR_E10value_typeET4_jRbjT5_SX_jjP12ihipStream_tbEUlT_E1_NS1_11comp_targetILNS1_3genE2ELNS1_11target_archE906ELNS1_3gpuE6ELNS1_3repE0EEENS1_59segmented_radix_sort_warp_sort_small_config_static_selectorELNS0_4arch9wavefront6targetE1EEEvSL_,comdat
	.globl	_ZN7rocprim17ROCPRIM_400000_NS6detail17trampoline_kernelINS0_14default_configENS1_36segmented_radix_sort_config_selectorI12hip_bfloat16lEEZNS1_25segmented_radix_sort_implIS3_Lb1EPKS5_PS5_PKlPlN2at6native12_GLOBAL__N_18offset_tEEE10hipError_tPvRmT1_PNSt15iterator_traitsISL_E10value_typeET2_T3_PNSM_ISR_E10value_typeET4_jRbjT5_SX_jjP12ihipStream_tbEUlT_E1_NS1_11comp_targetILNS1_3genE2ELNS1_11target_archE906ELNS1_3gpuE6ELNS1_3repE0EEENS1_59segmented_radix_sort_warp_sort_small_config_static_selectorELNS0_4arch9wavefront6targetE1EEEvSL_ ; -- Begin function _ZN7rocprim17ROCPRIM_400000_NS6detail17trampoline_kernelINS0_14default_configENS1_36segmented_radix_sort_config_selectorI12hip_bfloat16lEEZNS1_25segmented_radix_sort_implIS3_Lb1EPKS5_PS5_PKlPlN2at6native12_GLOBAL__N_18offset_tEEE10hipError_tPvRmT1_PNSt15iterator_traitsISL_E10value_typeET2_T3_PNSM_ISR_E10value_typeET4_jRbjT5_SX_jjP12ihipStream_tbEUlT_E1_NS1_11comp_targetILNS1_3genE2ELNS1_11target_archE906ELNS1_3gpuE6ELNS1_3repE0EEENS1_59segmented_radix_sort_warp_sort_small_config_static_selectorELNS0_4arch9wavefront6targetE1EEEvSL_
	.p2align	8
	.type	_ZN7rocprim17ROCPRIM_400000_NS6detail17trampoline_kernelINS0_14default_configENS1_36segmented_radix_sort_config_selectorI12hip_bfloat16lEEZNS1_25segmented_radix_sort_implIS3_Lb1EPKS5_PS5_PKlPlN2at6native12_GLOBAL__N_18offset_tEEE10hipError_tPvRmT1_PNSt15iterator_traitsISL_E10value_typeET2_T3_PNSM_ISR_E10value_typeET4_jRbjT5_SX_jjP12ihipStream_tbEUlT_E1_NS1_11comp_targetILNS1_3genE2ELNS1_11target_archE906ELNS1_3gpuE6ELNS1_3repE0EEENS1_59segmented_radix_sort_warp_sort_small_config_static_selectorELNS0_4arch9wavefront6targetE1EEEvSL_,@function
_ZN7rocprim17ROCPRIM_400000_NS6detail17trampoline_kernelINS0_14default_configENS1_36segmented_radix_sort_config_selectorI12hip_bfloat16lEEZNS1_25segmented_radix_sort_implIS3_Lb1EPKS5_PS5_PKlPlN2at6native12_GLOBAL__N_18offset_tEEE10hipError_tPvRmT1_PNSt15iterator_traitsISL_E10value_typeET2_T3_PNSM_ISR_E10value_typeET4_jRbjT5_SX_jjP12ihipStream_tbEUlT_E1_NS1_11comp_targetILNS1_3genE2ELNS1_11target_archE906ELNS1_3gpuE6ELNS1_3repE0EEENS1_59segmented_radix_sort_warp_sort_small_config_static_selectorELNS0_4arch9wavefront6targetE1EEEvSL_: ; @_ZN7rocprim17ROCPRIM_400000_NS6detail17trampoline_kernelINS0_14default_configENS1_36segmented_radix_sort_config_selectorI12hip_bfloat16lEEZNS1_25segmented_radix_sort_implIS3_Lb1EPKS5_PS5_PKlPlN2at6native12_GLOBAL__N_18offset_tEEE10hipError_tPvRmT1_PNSt15iterator_traitsISL_E10value_typeET2_T3_PNSM_ISR_E10value_typeET4_jRbjT5_SX_jjP12ihipStream_tbEUlT_E1_NS1_11comp_targetILNS1_3genE2ELNS1_11target_archE906ELNS1_3gpuE6ELNS1_3repE0EEENS1_59segmented_radix_sort_warp_sort_small_config_static_selectorELNS0_4arch9wavefront6targetE1EEEvSL_
; %bb.0:
	.section	.rodata,"a",@progbits
	.p2align	6, 0x0
	.amdhsa_kernel _ZN7rocprim17ROCPRIM_400000_NS6detail17trampoline_kernelINS0_14default_configENS1_36segmented_radix_sort_config_selectorI12hip_bfloat16lEEZNS1_25segmented_radix_sort_implIS3_Lb1EPKS5_PS5_PKlPlN2at6native12_GLOBAL__N_18offset_tEEE10hipError_tPvRmT1_PNSt15iterator_traitsISL_E10value_typeET2_T3_PNSM_ISR_E10value_typeET4_jRbjT5_SX_jjP12ihipStream_tbEUlT_E1_NS1_11comp_targetILNS1_3genE2ELNS1_11target_archE906ELNS1_3gpuE6ELNS1_3repE0EEENS1_59segmented_radix_sort_warp_sort_small_config_static_selectorELNS0_4arch9wavefront6targetE1EEEvSL_
		.amdhsa_group_segment_fixed_size 0
		.amdhsa_private_segment_fixed_size 0
		.amdhsa_kernarg_size 88
		.amdhsa_user_sgpr_count 6
		.amdhsa_user_sgpr_private_segment_buffer 1
		.amdhsa_user_sgpr_dispatch_ptr 0
		.amdhsa_user_sgpr_queue_ptr 0
		.amdhsa_user_sgpr_kernarg_segment_ptr 1
		.amdhsa_user_sgpr_dispatch_id 0
		.amdhsa_user_sgpr_flat_scratch_init 0
		.amdhsa_user_sgpr_kernarg_preload_length 0
		.amdhsa_user_sgpr_kernarg_preload_offset 0
		.amdhsa_user_sgpr_private_segment_size 0
		.amdhsa_uses_dynamic_stack 0
		.amdhsa_system_sgpr_private_segment_wavefront_offset 0
		.amdhsa_system_sgpr_workgroup_id_x 1
		.amdhsa_system_sgpr_workgroup_id_y 0
		.amdhsa_system_sgpr_workgroup_id_z 0
		.amdhsa_system_sgpr_workgroup_info 0
		.amdhsa_system_vgpr_workitem_id 0
		.amdhsa_next_free_vgpr 1
		.amdhsa_next_free_sgpr 0
		.amdhsa_accum_offset 4
		.amdhsa_reserve_vcc 0
		.amdhsa_reserve_flat_scratch 0
		.amdhsa_float_round_mode_32 0
		.amdhsa_float_round_mode_16_64 0
		.amdhsa_float_denorm_mode_32 3
		.amdhsa_float_denorm_mode_16_64 3
		.amdhsa_dx10_clamp 1
		.amdhsa_ieee_mode 1
		.amdhsa_fp16_overflow 0
		.amdhsa_tg_split 0
		.amdhsa_exception_fp_ieee_invalid_op 0
		.amdhsa_exception_fp_denorm_src 0
		.amdhsa_exception_fp_ieee_div_zero 0
		.amdhsa_exception_fp_ieee_overflow 0
		.amdhsa_exception_fp_ieee_underflow 0
		.amdhsa_exception_fp_ieee_inexact 0
		.amdhsa_exception_int_div_zero 0
	.end_amdhsa_kernel
	.section	.text._ZN7rocprim17ROCPRIM_400000_NS6detail17trampoline_kernelINS0_14default_configENS1_36segmented_radix_sort_config_selectorI12hip_bfloat16lEEZNS1_25segmented_radix_sort_implIS3_Lb1EPKS5_PS5_PKlPlN2at6native12_GLOBAL__N_18offset_tEEE10hipError_tPvRmT1_PNSt15iterator_traitsISL_E10value_typeET2_T3_PNSM_ISR_E10value_typeET4_jRbjT5_SX_jjP12ihipStream_tbEUlT_E1_NS1_11comp_targetILNS1_3genE2ELNS1_11target_archE906ELNS1_3gpuE6ELNS1_3repE0EEENS1_59segmented_radix_sort_warp_sort_small_config_static_selectorELNS0_4arch9wavefront6targetE1EEEvSL_,"axG",@progbits,_ZN7rocprim17ROCPRIM_400000_NS6detail17trampoline_kernelINS0_14default_configENS1_36segmented_radix_sort_config_selectorI12hip_bfloat16lEEZNS1_25segmented_radix_sort_implIS3_Lb1EPKS5_PS5_PKlPlN2at6native12_GLOBAL__N_18offset_tEEE10hipError_tPvRmT1_PNSt15iterator_traitsISL_E10value_typeET2_T3_PNSM_ISR_E10value_typeET4_jRbjT5_SX_jjP12ihipStream_tbEUlT_E1_NS1_11comp_targetILNS1_3genE2ELNS1_11target_archE906ELNS1_3gpuE6ELNS1_3repE0EEENS1_59segmented_radix_sort_warp_sort_small_config_static_selectorELNS0_4arch9wavefront6targetE1EEEvSL_,comdat
.Lfunc_end1969:
	.size	_ZN7rocprim17ROCPRIM_400000_NS6detail17trampoline_kernelINS0_14default_configENS1_36segmented_radix_sort_config_selectorI12hip_bfloat16lEEZNS1_25segmented_radix_sort_implIS3_Lb1EPKS5_PS5_PKlPlN2at6native12_GLOBAL__N_18offset_tEEE10hipError_tPvRmT1_PNSt15iterator_traitsISL_E10value_typeET2_T3_PNSM_ISR_E10value_typeET4_jRbjT5_SX_jjP12ihipStream_tbEUlT_E1_NS1_11comp_targetILNS1_3genE2ELNS1_11target_archE906ELNS1_3gpuE6ELNS1_3repE0EEENS1_59segmented_radix_sort_warp_sort_small_config_static_selectorELNS0_4arch9wavefront6targetE1EEEvSL_, .Lfunc_end1969-_ZN7rocprim17ROCPRIM_400000_NS6detail17trampoline_kernelINS0_14default_configENS1_36segmented_radix_sort_config_selectorI12hip_bfloat16lEEZNS1_25segmented_radix_sort_implIS3_Lb1EPKS5_PS5_PKlPlN2at6native12_GLOBAL__N_18offset_tEEE10hipError_tPvRmT1_PNSt15iterator_traitsISL_E10value_typeET2_T3_PNSM_ISR_E10value_typeET4_jRbjT5_SX_jjP12ihipStream_tbEUlT_E1_NS1_11comp_targetILNS1_3genE2ELNS1_11target_archE906ELNS1_3gpuE6ELNS1_3repE0EEENS1_59segmented_radix_sort_warp_sort_small_config_static_selectorELNS0_4arch9wavefront6targetE1EEEvSL_
                                        ; -- End function
	.section	.AMDGPU.csdata,"",@progbits
; Kernel info:
; codeLenInByte = 0
; NumSgprs: 4
; NumVgprs: 0
; NumAgprs: 0
; TotalNumVgprs: 0
; ScratchSize: 0
; MemoryBound: 0
; FloatMode: 240
; IeeeMode: 1
; LDSByteSize: 0 bytes/workgroup (compile time only)
; SGPRBlocks: 0
; VGPRBlocks: 0
; NumSGPRsForWavesPerEU: 4
; NumVGPRsForWavesPerEU: 1
; AccumOffset: 4
; Occupancy: 8
; WaveLimiterHint : 0
; COMPUTE_PGM_RSRC2:SCRATCH_EN: 0
; COMPUTE_PGM_RSRC2:USER_SGPR: 6
; COMPUTE_PGM_RSRC2:TRAP_HANDLER: 0
; COMPUTE_PGM_RSRC2:TGID_X_EN: 1
; COMPUTE_PGM_RSRC2:TGID_Y_EN: 0
; COMPUTE_PGM_RSRC2:TGID_Z_EN: 0
; COMPUTE_PGM_RSRC2:TIDIG_COMP_CNT: 0
; COMPUTE_PGM_RSRC3_GFX90A:ACCUM_OFFSET: 0
; COMPUTE_PGM_RSRC3_GFX90A:TG_SPLIT: 0
	.section	.text._ZN7rocprim17ROCPRIM_400000_NS6detail17trampoline_kernelINS0_14default_configENS1_36segmented_radix_sort_config_selectorI12hip_bfloat16lEEZNS1_25segmented_radix_sort_implIS3_Lb1EPKS5_PS5_PKlPlN2at6native12_GLOBAL__N_18offset_tEEE10hipError_tPvRmT1_PNSt15iterator_traitsISL_E10value_typeET2_T3_PNSM_ISR_E10value_typeET4_jRbjT5_SX_jjP12ihipStream_tbEUlT_E1_NS1_11comp_targetILNS1_3genE10ELNS1_11target_archE1201ELNS1_3gpuE5ELNS1_3repE0EEENS1_59segmented_radix_sort_warp_sort_small_config_static_selectorELNS0_4arch9wavefront6targetE1EEEvSL_,"axG",@progbits,_ZN7rocprim17ROCPRIM_400000_NS6detail17trampoline_kernelINS0_14default_configENS1_36segmented_radix_sort_config_selectorI12hip_bfloat16lEEZNS1_25segmented_radix_sort_implIS3_Lb1EPKS5_PS5_PKlPlN2at6native12_GLOBAL__N_18offset_tEEE10hipError_tPvRmT1_PNSt15iterator_traitsISL_E10value_typeET2_T3_PNSM_ISR_E10value_typeET4_jRbjT5_SX_jjP12ihipStream_tbEUlT_E1_NS1_11comp_targetILNS1_3genE10ELNS1_11target_archE1201ELNS1_3gpuE5ELNS1_3repE0EEENS1_59segmented_radix_sort_warp_sort_small_config_static_selectorELNS0_4arch9wavefront6targetE1EEEvSL_,comdat
	.globl	_ZN7rocprim17ROCPRIM_400000_NS6detail17trampoline_kernelINS0_14default_configENS1_36segmented_radix_sort_config_selectorI12hip_bfloat16lEEZNS1_25segmented_radix_sort_implIS3_Lb1EPKS5_PS5_PKlPlN2at6native12_GLOBAL__N_18offset_tEEE10hipError_tPvRmT1_PNSt15iterator_traitsISL_E10value_typeET2_T3_PNSM_ISR_E10value_typeET4_jRbjT5_SX_jjP12ihipStream_tbEUlT_E1_NS1_11comp_targetILNS1_3genE10ELNS1_11target_archE1201ELNS1_3gpuE5ELNS1_3repE0EEENS1_59segmented_radix_sort_warp_sort_small_config_static_selectorELNS0_4arch9wavefront6targetE1EEEvSL_ ; -- Begin function _ZN7rocprim17ROCPRIM_400000_NS6detail17trampoline_kernelINS0_14default_configENS1_36segmented_radix_sort_config_selectorI12hip_bfloat16lEEZNS1_25segmented_radix_sort_implIS3_Lb1EPKS5_PS5_PKlPlN2at6native12_GLOBAL__N_18offset_tEEE10hipError_tPvRmT1_PNSt15iterator_traitsISL_E10value_typeET2_T3_PNSM_ISR_E10value_typeET4_jRbjT5_SX_jjP12ihipStream_tbEUlT_E1_NS1_11comp_targetILNS1_3genE10ELNS1_11target_archE1201ELNS1_3gpuE5ELNS1_3repE0EEENS1_59segmented_radix_sort_warp_sort_small_config_static_selectorELNS0_4arch9wavefront6targetE1EEEvSL_
	.p2align	8
	.type	_ZN7rocprim17ROCPRIM_400000_NS6detail17trampoline_kernelINS0_14default_configENS1_36segmented_radix_sort_config_selectorI12hip_bfloat16lEEZNS1_25segmented_radix_sort_implIS3_Lb1EPKS5_PS5_PKlPlN2at6native12_GLOBAL__N_18offset_tEEE10hipError_tPvRmT1_PNSt15iterator_traitsISL_E10value_typeET2_T3_PNSM_ISR_E10value_typeET4_jRbjT5_SX_jjP12ihipStream_tbEUlT_E1_NS1_11comp_targetILNS1_3genE10ELNS1_11target_archE1201ELNS1_3gpuE5ELNS1_3repE0EEENS1_59segmented_radix_sort_warp_sort_small_config_static_selectorELNS0_4arch9wavefront6targetE1EEEvSL_,@function
_ZN7rocprim17ROCPRIM_400000_NS6detail17trampoline_kernelINS0_14default_configENS1_36segmented_radix_sort_config_selectorI12hip_bfloat16lEEZNS1_25segmented_radix_sort_implIS3_Lb1EPKS5_PS5_PKlPlN2at6native12_GLOBAL__N_18offset_tEEE10hipError_tPvRmT1_PNSt15iterator_traitsISL_E10value_typeET2_T3_PNSM_ISR_E10value_typeET4_jRbjT5_SX_jjP12ihipStream_tbEUlT_E1_NS1_11comp_targetILNS1_3genE10ELNS1_11target_archE1201ELNS1_3gpuE5ELNS1_3repE0EEENS1_59segmented_radix_sort_warp_sort_small_config_static_selectorELNS0_4arch9wavefront6targetE1EEEvSL_: ; @_ZN7rocprim17ROCPRIM_400000_NS6detail17trampoline_kernelINS0_14default_configENS1_36segmented_radix_sort_config_selectorI12hip_bfloat16lEEZNS1_25segmented_radix_sort_implIS3_Lb1EPKS5_PS5_PKlPlN2at6native12_GLOBAL__N_18offset_tEEE10hipError_tPvRmT1_PNSt15iterator_traitsISL_E10value_typeET2_T3_PNSM_ISR_E10value_typeET4_jRbjT5_SX_jjP12ihipStream_tbEUlT_E1_NS1_11comp_targetILNS1_3genE10ELNS1_11target_archE1201ELNS1_3gpuE5ELNS1_3repE0EEENS1_59segmented_radix_sort_warp_sort_small_config_static_selectorELNS0_4arch9wavefront6targetE1EEEvSL_
; %bb.0:
	.section	.rodata,"a",@progbits
	.p2align	6, 0x0
	.amdhsa_kernel _ZN7rocprim17ROCPRIM_400000_NS6detail17trampoline_kernelINS0_14default_configENS1_36segmented_radix_sort_config_selectorI12hip_bfloat16lEEZNS1_25segmented_radix_sort_implIS3_Lb1EPKS5_PS5_PKlPlN2at6native12_GLOBAL__N_18offset_tEEE10hipError_tPvRmT1_PNSt15iterator_traitsISL_E10value_typeET2_T3_PNSM_ISR_E10value_typeET4_jRbjT5_SX_jjP12ihipStream_tbEUlT_E1_NS1_11comp_targetILNS1_3genE10ELNS1_11target_archE1201ELNS1_3gpuE5ELNS1_3repE0EEENS1_59segmented_radix_sort_warp_sort_small_config_static_selectorELNS0_4arch9wavefront6targetE1EEEvSL_
		.amdhsa_group_segment_fixed_size 0
		.amdhsa_private_segment_fixed_size 0
		.amdhsa_kernarg_size 88
		.amdhsa_user_sgpr_count 6
		.amdhsa_user_sgpr_private_segment_buffer 1
		.amdhsa_user_sgpr_dispatch_ptr 0
		.amdhsa_user_sgpr_queue_ptr 0
		.amdhsa_user_sgpr_kernarg_segment_ptr 1
		.amdhsa_user_sgpr_dispatch_id 0
		.amdhsa_user_sgpr_flat_scratch_init 0
		.amdhsa_user_sgpr_kernarg_preload_length 0
		.amdhsa_user_sgpr_kernarg_preload_offset 0
		.amdhsa_user_sgpr_private_segment_size 0
		.amdhsa_uses_dynamic_stack 0
		.amdhsa_system_sgpr_private_segment_wavefront_offset 0
		.amdhsa_system_sgpr_workgroup_id_x 1
		.amdhsa_system_sgpr_workgroup_id_y 0
		.amdhsa_system_sgpr_workgroup_id_z 0
		.amdhsa_system_sgpr_workgroup_info 0
		.amdhsa_system_vgpr_workitem_id 0
		.amdhsa_next_free_vgpr 1
		.amdhsa_next_free_sgpr 0
		.amdhsa_accum_offset 4
		.amdhsa_reserve_vcc 0
		.amdhsa_reserve_flat_scratch 0
		.amdhsa_float_round_mode_32 0
		.amdhsa_float_round_mode_16_64 0
		.amdhsa_float_denorm_mode_32 3
		.amdhsa_float_denorm_mode_16_64 3
		.amdhsa_dx10_clamp 1
		.amdhsa_ieee_mode 1
		.amdhsa_fp16_overflow 0
		.amdhsa_tg_split 0
		.amdhsa_exception_fp_ieee_invalid_op 0
		.amdhsa_exception_fp_denorm_src 0
		.amdhsa_exception_fp_ieee_div_zero 0
		.amdhsa_exception_fp_ieee_overflow 0
		.amdhsa_exception_fp_ieee_underflow 0
		.amdhsa_exception_fp_ieee_inexact 0
		.amdhsa_exception_int_div_zero 0
	.end_amdhsa_kernel
	.section	.text._ZN7rocprim17ROCPRIM_400000_NS6detail17trampoline_kernelINS0_14default_configENS1_36segmented_radix_sort_config_selectorI12hip_bfloat16lEEZNS1_25segmented_radix_sort_implIS3_Lb1EPKS5_PS5_PKlPlN2at6native12_GLOBAL__N_18offset_tEEE10hipError_tPvRmT1_PNSt15iterator_traitsISL_E10value_typeET2_T3_PNSM_ISR_E10value_typeET4_jRbjT5_SX_jjP12ihipStream_tbEUlT_E1_NS1_11comp_targetILNS1_3genE10ELNS1_11target_archE1201ELNS1_3gpuE5ELNS1_3repE0EEENS1_59segmented_radix_sort_warp_sort_small_config_static_selectorELNS0_4arch9wavefront6targetE1EEEvSL_,"axG",@progbits,_ZN7rocprim17ROCPRIM_400000_NS6detail17trampoline_kernelINS0_14default_configENS1_36segmented_radix_sort_config_selectorI12hip_bfloat16lEEZNS1_25segmented_radix_sort_implIS3_Lb1EPKS5_PS5_PKlPlN2at6native12_GLOBAL__N_18offset_tEEE10hipError_tPvRmT1_PNSt15iterator_traitsISL_E10value_typeET2_T3_PNSM_ISR_E10value_typeET4_jRbjT5_SX_jjP12ihipStream_tbEUlT_E1_NS1_11comp_targetILNS1_3genE10ELNS1_11target_archE1201ELNS1_3gpuE5ELNS1_3repE0EEENS1_59segmented_radix_sort_warp_sort_small_config_static_selectorELNS0_4arch9wavefront6targetE1EEEvSL_,comdat
.Lfunc_end1970:
	.size	_ZN7rocprim17ROCPRIM_400000_NS6detail17trampoline_kernelINS0_14default_configENS1_36segmented_radix_sort_config_selectorI12hip_bfloat16lEEZNS1_25segmented_radix_sort_implIS3_Lb1EPKS5_PS5_PKlPlN2at6native12_GLOBAL__N_18offset_tEEE10hipError_tPvRmT1_PNSt15iterator_traitsISL_E10value_typeET2_T3_PNSM_ISR_E10value_typeET4_jRbjT5_SX_jjP12ihipStream_tbEUlT_E1_NS1_11comp_targetILNS1_3genE10ELNS1_11target_archE1201ELNS1_3gpuE5ELNS1_3repE0EEENS1_59segmented_radix_sort_warp_sort_small_config_static_selectorELNS0_4arch9wavefront6targetE1EEEvSL_, .Lfunc_end1970-_ZN7rocprim17ROCPRIM_400000_NS6detail17trampoline_kernelINS0_14default_configENS1_36segmented_radix_sort_config_selectorI12hip_bfloat16lEEZNS1_25segmented_radix_sort_implIS3_Lb1EPKS5_PS5_PKlPlN2at6native12_GLOBAL__N_18offset_tEEE10hipError_tPvRmT1_PNSt15iterator_traitsISL_E10value_typeET2_T3_PNSM_ISR_E10value_typeET4_jRbjT5_SX_jjP12ihipStream_tbEUlT_E1_NS1_11comp_targetILNS1_3genE10ELNS1_11target_archE1201ELNS1_3gpuE5ELNS1_3repE0EEENS1_59segmented_radix_sort_warp_sort_small_config_static_selectorELNS0_4arch9wavefront6targetE1EEEvSL_
                                        ; -- End function
	.section	.AMDGPU.csdata,"",@progbits
; Kernel info:
; codeLenInByte = 0
; NumSgprs: 4
; NumVgprs: 0
; NumAgprs: 0
; TotalNumVgprs: 0
; ScratchSize: 0
; MemoryBound: 0
; FloatMode: 240
; IeeeMode: 1
; LDSByteSize: 0 bytes/workgroup (compile time only)
; SGPRBlocks: 0
; VGPRBlocks: 0
; NumSGPRsForWavesPerEU: 4
; NumVGPRsForWavesPerEU: 1
; AccumOffset: 4
; Occupancy: 8
; WaveLimiterHint : 0
; COMPUTE_PGM_RSRC2:SCRATCH_EN: 0
; COMPUTE_PGM_RSRC2:USER_SGPR: 6
; COMPUTE_PGM_RSRC2:TRAP_HANDLER: 0
; COMPUTE_PGM_RSRC2:TGID_X_EN: 1
; COMPUTE_PGM_RSRC2:TGID_Y_EN: 0
; COMPUTE_PGM_RSRC2:TGID_Z_EN: 0
; COMPUTE_PGM_RSRC2:TIDIG_COMP_CNT: 0
; COMPUTE_PGM_RSRC3_GFX90A:ACCUM_OFFSET: 0
; COMPUTE_PGM_RSRC3_GFX90A:TG_SPLIT: 0
	.section	.text._ZN7rocprim17ROCPRIM_400000_NS6detail17trampoline_kernelINS0_14default_configENS1_36segmented_radix_sort_config_selectorI12hip_bfloat16lEEZNS1_25segmented_radix_sort_implIS3_Lb1EPKS5_PS5_PKlPlN2at6native12_GLOBAL__N_18offset_tEEE10hipError_tPvRmT1_PNSt15iterator_traitsISL_E10value_typeET2_T3_PNSM_ISR_E10value_typeET4_jRbjT5_SX_jjP12ihipStream_tbEUlT_E1_NS1_11comp_targetILNS1_3genE10ELNS1_11target_archE1200ELNS1_3gpuE4ELNS1_3repE0EEENS1_59segmented_radix_sort_warp_sort_small_config_static_selectorELNS0_4arch9wavefront6targetE1EEEvSL_,"axG",@progbits,_ZN7rocprim17ROCPRIM_400000_NS6detail17trampoline_kernelINS0_14default_configENS1_36segmented_radix_sort_config_selectorI12hip_bfloat16lEEZNS1_25segmented_radix_sort_implIS3_Lb1EPKS5_PS5_PKlPlN2at6native12_GLOBAL__N_18offset_tEEE10hipError_tPvRmT1_PNSt15iterator_traitsISL_E10value_typeET2_T3_PNSM_ISR_E10value_typeET4_jRbjT5_SX_jjP12ihipStream_tbEUlT_E1_NS1_11comp_targetILNS1_3genE10ELNS1_11target_archE1200ELNS1_3gpuE4ELNS1_3repE0EEENS1_59segmented_radix_sort_warp_sort_small_config_static_selectorELNS0_4arch9wavefront6targetE1EEEvSL_,comdat
	.globl	_ZN7rocprim17ROCPRIM_400000_NS6detail17trampoline_kernelINS0_14default_configENS1_36segmented_radix_sort_config_selectorI12hip_bfloat16lEEZNS1_25segmented_radix_sort_implIS3_Lb1EPKS5_PS5_PKlPlN2at6native12_GLOBAL__N_18offset_tEEE10hipError_tPvRmT1_PNSt15iterator_traitsISL_E10value_typeET2_T3_PNSM_ISR_E10value_typeET4_jRbjT5_SX_jjP12ihipStream_tbEUlT_E1_NS1_11comp_targetILNS1_3genE10ELNS1_11target_archE1200ELNS1_3gpuE4ELNS1_3repE0EEENS1_59segmented_radix_sort_warp_sort_small_config_static_selectorELNS0_4arch9wavefront6targetE1EEEvSL_ ; -- Begin function _ZN7rocprim17ROCPRIM_400000_NS6detail17trampoline_kernelINS0_14default_configENS1_36segmented_radix_sort_config_selectorI12hip_bfloat16lEEZNS1_25segmented_radix_sort_implIS3_Lb1EPKS5_PS5_PKlPlN2at6native12_GLOBAL__N_18offset_tEEE10hipError_tPvRmT1_PNSt15iterator_traitsISL_E10value_typeET2_T3_PNSM_ISR_E10value_typeET4_jRbjT5_SX_jjP12ihipStream_tbEUlT_E1_NS1_11comp_targetILNS1_3genE10ELNS1_11target_archE1200ELNS1_3gpuE4ELNS1_3repE0EEENS1_59segmented_radix_sort_warp_sort_small_config_static_selectorELNS0_4arch9wavefront6targetE1EEEvSL_
	.p2align	8
	.type	_ZN7rocprim17ROCPRIM_400000_NS6detail17trampoline_kernelINS0_14default_configENS1_36segmented_radix_sort_config_selectorI12hip_bfloat16lEEZNS1_25segmented_radix_sort_implIS3_Lb1EPKS5_PS5_PKlPlN2at6native12_GLOBAL__N_18offset_tEEE10hipError_tPvRmT1_PNSt15iterator_traitsISL_E10value_typeET2_T3_PNSM_ISR_E10value_typeET4_jRbjT5_SX_jjP12ihipStream_tbEUlT_E1_NS1_11comp_targetILNS1_3genE10ELNS1_11target_archE1200ELNS1_3gpuE4ELNS1_3repE0EEENS1_59segmented_radix_sort_warp_sort_small_config_static_selectorELNS0_4arch9wavefront6targetE1EEEvSL_,@function
_ZN7rocprim17ROCPRIM_400000_NS6detail17trampoline_kernelINS0_14default_configENS1_36segmented_radix_sort_config_selectorI12hip_bfloat16lEEZNS1_25segmented_radix_sort_implIS3_Lb1EPKS5_PS5_PKlPlN2at6native12_GLOBAL__N_18offset_tEEE10hipError_tPvRmT1_PNSt15iterator_traitsISL_E10value_typeET2_T3_PNSM_ISR_E10value_typeET4_jRbjT5_SX_jjP12ihipStream_tbEUlT_E1_NS1_11comp_targetILNS1_3genE10ELNS1_11target_archE1200ELNS1_3gpuE4ELNS1_3repE0EEENS1_59segmented_radix_sort_warp_sort_small_config_static_selectorELNS0_4arch9wavefront6targetE1EEEvSL_: ; @_ZN7rocprim17ROCPRIM_400000_NS6detail17trampoline_kernelINS0_14default_configENS1_36segmented_radix_sort_config_selectorI12hip_bfloat16lEEZNS1_25segmented_radix_sort_implIS3_Lb1EPKS5_PS5_PKlPlN2at6native12_GLOBAL__N_18offset_tEEE10hipError_tPvRmT1_PNSt15iterator_traitsISL_E10value_typeET2_T3_PNSM_ISR_E10value_typeET4_jRbjT5_SX_jjP12ihipStream_tbEUlT_E1_NS1_11comp_targetILNS1_3genE10ELNS1_11target_archE1200ELNS1_3gpuE4ELNS1_3repE0EEENS1_59segmented_radix_sort_warp_sort_small_config_static_selectorELNS0_4arch9wavefront6targetE1EEEvSL_
; %bb.0:
	.section	.rodata,"a",@progbits
	.p2align	6, 0x0
	.amdhsa_kernel _ZN7rocprim17ROCPRIM_400000_NS6detail17trampoline_kernelINS0_14default_configENS1_36segmented_radix_sort_config_selectorI12hip_bfloat16lEEZNS1_25segmented_radix_sort_implIS3_Lb1EPKS5_PS5_PKlPlN2at6native12_GLOBAL__N_18offset_tEEE10hipError_tPvRmT1_PNSt15iterator_traitsISL_E10value_typeET2_T3_PNSM_ISR_E10value_typeET4_jRbjT5_SX_jjP12ihipStream_tbEUlT_E1_NS1_11comp_targetILNS1_3genE10ELNS1_11target_archE1200ELNS1_3gpuE4ELNS1_3repE0EEENS1_59segmented_radix_sort_warp_sort_small_config_static_selectorELNS0_4arch9wavefront6targetE1EEEvSL_
		.amdhsa_group_segment_fixed_size 0
		.amdhsa_private_segment_fixed_size 0
		.amdhsa_kernarg_size 88
		.amdhsa_user_sgpr_count 6
		.amdhsa_user_sgpr_private_segment_buffer 1
		.amdhsa_user_sgpr_dispatch_ptr 0
		.amdhsa_user_sgpr_queue_ptr 0
		.amdhsa_user_sgpr_kernarg_segment_ptr 1
		.amdhsa_user_sgpr_dispatch_id 0
		.amdhsa_user_sgpr_flat_scratch_init 0
		.amdhsa_user_sgpr_kernarg_preload_length 0
		.amdhsa_user_sgpr_kernarg_preload_offset 0
		.amdhsa_user_sgpr_private_segment_size 0
		.amdhsa_uses_dynamic_stack 0
		.amdhsa_system_sgpr_private_segment_wavefront_offset 0
		.amdhsa_system_sgpr_workgroup_id_x 1
		.amdhsa_system_sgpr_workgroup_id_y 0
		.amdhsa_system_sgpr_workgroup_id_z 0
		.amdhsa_system_sgpr_workgroup_info 0
		.amdhsa_system_vgpr_workitem_id 0
		.amdhsa_next_free_vgpr 1
		.amdhsa_next_free_sgpr 0
		.amdhsa_accum_offset 4
		.amdhsa_reserve_vcc 0
		.amdhsa_reserve_flat_scratch 0
		.amdhsa_float_round_mode_32 0
		.amdhsa_float_round_mode_16_64 0
		.amdhsa_float_denorm_mode_32 3
		.amdhsa_float_denorm_mode_16_64 3
		.amdhsa_dx10_clamp 1
		.amdhsa_ieee_mode 1
		.amdhsa_fp16_overflow 0
		.amdhsa_tg_split 0
		.amdhsa_exception_fp_ieee_invalid_op 0
		.amdhsa_exception_fp_denorm_src 0
		.amdhsa_exception_fp_ieee_div_zero 0
		.amdhsa_exception_fp_ieee_overflow 0
		.amdhsa_exception_fp_ieee_underflow 0
		.amdhsa_exception_fp_ieee_inexact 0
		.amdhsa_exception_int_div_zero 0
	.end_amdhsa_kernel
	.section	.text._ZN7rocprim17ROCPRIM_400000_NS6detail17trampoline_kernelINS0_14default_configENS1_36segmented_radix_sort_config_selectorI12hip_bfloat16lEEZNS1_25segmented_radix_sort_implIS3_Lb1EPKS5_PS5_PKlPlN2at6native12_GLOBAL__N_18offset_tEEE10hipError_tPvRmT1_PNSt15iterator_traitsISL_E10value_typeET2_T3_PNSM_ISR_E10value_typeET4_jRbjT5_SX_jjP12ihipStream_tbEUlT_E1_NS1_11comp_targetILNS1_3genE10ELNS1_11target_archE1200ELNS1_3gpuE4ELNS1_3repE0EEENS1_59segmented_radix_sort_warp_sort_small_config_static_selectorELNS0_4arch9wavefront6targetE1EEEvSL_,"axG",@progbits,_ZN7rocprim17ROCPRIM_400000_NS6detail17trampoline_kernelINS0_14default_configENS1_36segmented_radix_sort_config_selectorI12hip_bfloat16lEEZNS1_25segmented_radix_sort_implIS3_Lb1EPKS5_PS5_PKlPlN2at6native12_GLOBAL__N_18offset_tEEE10hipError_tPvRmT1_PNSt15iterator_traitsISL_E10value_typeET2_T3_PNSM_ISR_E10value_typeET4_jRbjT5_SX_jjP12ihipStream_tbEUlT_E1_NS1_11comp_targetILNS1_3genE10ELNS1_11target_archE1200ELNS1_3gpuE4ELNS1_3repE0EEENS1_59segmented_radix_sort_warp_sort_small_config_static_selectorELNS0_4arch9wavefront6targetE1EEEvSL_,comdat
.Lfunc_end1971:
	.size	_ZN7rocprim17ROCPRIM_400000_NS6detail17trampoline_kernelINS0_14default_configENS1_36segmented_radix_sort_config_selectorI12hip_bfloat16lEEZNS1_25segmented_radix_sort_implIS3_Lb1EPKS5_PS5_PKlPlN2at6native12_GLOBAL__N_18offset_tEEE10hipError_tPvRmT1_PNSt15iterator_traitsISL_E10value_typeET2_T3_PNSM_ISR_E10value_typeET4_jRbjT5_SX_jjP12ihipStream_tbEUlT_E1_NS1_11comp_targetILNS1_3genE10ELNS1_11target_archE1200ELNS1_3gpuE4ELNS1_3repE0EEENS1_59segmented_radix_sort_warp_sort_small_config_static_selectorELNS0_4arch9wavefront6targetE1EEEvSL_, .Lfunc_end1971-_ZN7rocprim17ROCPRIM_400000_NS6detail17trampoline_kernelINS0_14default_configENS1_36segmented_radix_sort_config_selectorI12hip_bfloat16lEEZNS1_25segmented_radix_sort_implIS3_Lb1EPKS5_PS5_PKlPlN2at6native12_GLOBAL__N_18offset_tEEE10hipError_tPvRmT1_PNSt15iterator_traitsISL_E10value_typeET2_T3_PNSM_ISR_E10value_typeET4_jRbjT5_SX_jjP12ihipStream_tbEUlT_E1_NS1_11comp_targetILNS1_3genE10ELNS1_11target_archE1200ELNS1_3gpuE4ELNS1_3repE0EEENS1_59segmented_radix_sort_warp_sort_small_config_static_selectorELNS0_4arch9wavefront6targetE1EEEvSL_
                                        ; -- End function
	.section	.AMDGPU.csdata,"",@progbits
; Kernel info:
; codeLenInByte = 0
; NumSgprs: 4
; NumVgprs: 0
; NumAgprs: 0
; TotalNumVgprs: 0
; ScratchSize: 0
; MemoryBound: 0
; FloatMode: 240
; IeeeMode: 1
; LDSByteSize: 0 bytes/workgroup (compile time only)
; SGPRBlocks: 0
; VGPRBlocks: 0
; NumSGPRsForWavesPerEU: 4
; NumVGPRsForWavesPerEU: 1
; AccumOffset: 4
; Occupancy: 8
; WaveLimiterHint : 0
; COMPUTE_PGM_RSRC2:SCRATCH_EN: 0
; COMPUTE_PGM_RSRC2:USER_SGPR: 6
; COMPUTE_PGM_RSRC2:TRAP_HANDLER: 0
; COMPUTE_PGM_RSRC2:TGID_X_EN: 1
; COMPUTE_PGM_RSRC2:TGID_Y_EN: 0
; COMPUTE_PGM_RSRC2:TGID_Z_EN: 0
; COMPUTE_PGM_RSRC2:TIDIG_COMP_CNT: 0
; COMPUTE_PGM_RSRC3_GFX90A:ACCUM_OFFSET: 0
; COMPUTE_PGM_RSRC3_GFX90A:TG_SPLIT: 0
	.section	.text._ZN7rocprim17ROCPRIM_400000_NS6detail17trampoline_kernelINS0_14default_configENS1_36segmented_radix_sort_config_selectorI12hip_bfloat16lEEZNS1_25segmented_radix_sort_implIS3_Lb1EPKS5_PS5_PKlPlN2at6native12_GLOBAL__N_18offset_tEEE10hipError_tPvRmT1_PNSt15iterator_traitsISL_E10value_typeET2_T3_PNSM_ISR_E10value_typeET4_jRbjT5_SX_jjP12ihipStream_tbEUlT_E1_NS1_11comp_targetILNS1_3genE9ELNS1_11target_archE1100ELNS1_3gpuE3ELNS1_3repE0EEENS1_59segmented_radix_sort_warp_sort_small_config_static_selectorELNS0_4arch9wavefront6targetE1EEEvSL_,"axG",@progbits,_ZN7rocprim17ROCPRIM_400000_NS6detail17trampoline_kernelINS0_14default_configENS1_36segmented_radix_sort_config_selectorI12hip_bfloat16lEEZNS1_25segmented_radix_sort_implIS3_Lb1EPKS5_PS5_PKlPlN2at6native12_GLOBAL__N_18offset_tEEE10hipError_tPvRmT1_PNSt15iterator_traitsISL_E10value_typeET2_T3_PNSM_ISR_E10value_typeET4_jRbjT5_SX_jjP12ihipStream_tbEUlT_E1_NS1_11comp_targetILNS1_3genE9ELNS1_11target_archE1100ELNS1_3gpuE3ELNS1_3repE0EEENS1_59segmented_radix_sort_warp_sort_small_config_static_selectorELNS0_4arch9wavefront6targetE1EEEvSL_,comdat
	.globl	_ZN7rocprim17ROCPRIM_400000_NS6detail17trampoline_kernelINS0_14default_configENS1_36segmented_radix_sort_config_selectorI12hip_bfloat16lEEZNS1_25segmented_radix_sort_implIS3_Lb1EPKS5_PS5_PKlPlN2at6native12_GLOBAL__N_18offset_tEEE10hipError_tPvRmT1_PNSt15iterator_traitsISL_E10value_typeET2_T3_PNSM_ISR_E10value_typeET4_jRbjT5_SX_jjP12ihipStream_tbEUlT_E1_NS1_11comp_targetILNS1_3genE9ELNS1_11target_archE1100ELNS1_3gpuE3ELNS1_3repE0EEENS1_59segmented_radix_sort_warp_sort_small_config_static_selectorELNS0_4arch9wavefront6targetE1EEEvSL_ ; -- Begin function _ZN7rocprim17ROCPRIM_400000_NS6detail17trampoline_kernelINS0_14default_configENS1_36segmented_radix_sort_config_selectorI12hip_bfloat16lEEZNS1_25segmented_radix_sort_implIS3_Lb1EPKS5_PS5_PKlPlN2at6native12_GLOBAL__N_18offset_tEEE10hipError_tPvRmT1_PNSt15iterator_traitsISL_E10value_typeET2_T3_PNSM_ISR_E10value_typeET4_jRbjT5_SX_jjP12ihipStream_tbEUlT_E1_NS1_11comp_targetILNS1_3genE9ELNS1_11target_archE1100ELNS1_3gpuE3ELNS1_3repE0EEENS1_59segmented_radix_sort_warp_sort_small_config_static_selectorELNS0_4arch9wavefront6targetE1EEEvSL_
	.p2align	8
	.type	_ZN7rocprim17ROCPRIM_400000_NS6detail17trampoline_kernelINS0_14default_configENS1_36segmented_radix_sort_config_selectorI12hip_bfloat16lEEZNS1_25segmented_radix_sort_implIS3_Lb1EPKS5_PS5_PKlPlN2at6native12_GLOBAL__N_18offset_tEEE10hipError_tPvRmT1_PNSt15iterator_traitsISL_E10value_typeET2_T3_PNSM_ISR_E10value_typeET4_jRbjT5_SX_jjP12ihipStream_tbEUlT_E1_NS1_11comp_targetILNS1_3genE9ELNS1_11target_archE1100ELNS1_3gpuE3ELNS1_3repE0EEENS1_59segmented_radix_sort_warp_sort_small_config_static_selectorELNS0_4arch9wavefront6targetE1EEEvSL_,@function
_ZN7rocprim17ROCPRIM_400000_NS6detail17trampoline_kernelINS0_14default_configENS1_36segmented_radix_sort_config_selectorI12hip_bfloat16lEEZNS1_25segmented_radix_sort_implIS3_Lb1EPKS5_PS5_PKlPlN2at6native12_GLOBAL__N_18offset_tEEE10hipError_tPvRmT1_PNSt15iterator_traitsISL_E10value_typeET2_T3_PNSM_ISR_E10value_typeET4_jRbjT5_SX_jjP12ihipStream_tbEUlT_E1_NS1_11comp_targetILNS1_3genE9ELNS1_11target_archE1100ELNS1_3gpuE3ELNS1_3repE0EEENS1_59segmented_radix_sort_warp_sort_small_config_static_selectorELNS0_4arch9wavefront6targetE1EEEvSL_: ; @_ZN7rocprim17ROCPRIM_400000_NS6detail17trampoline_kernelINS0_14default_configENS1_36segmented_radix_sort_config_selectorI12hip_bfloat16lEEZNS1_25segmented_radix_sort_implIS3_Lb1EPKS5_PS5_PKlPlN2at6native12_GLOBAL__N_18offset_tEEE10hipError_tPvRmT1_PNSt15iterator_traitsISL_E10value_typeET2_T3_PNSM_ISR_E10value_typeET4_jRbjT5_SX_jjP12ihipStream_tbEUlT_E1_NS1_11comp_targetILNS1_3genE9ELNS1_11target_archE1100ELNS1_3gpuE3ELNS1_3repE0EEENS1_59segmented_radix_sort_warp_sort_small_config_static_selectorELNS0_4arch9wavefront6targetE1EEEvSL_
; %bb.0:
	.section	.rodata,"a",@progbits
	.p2align	6, 0x0
	.amdhsa_kernel _ZN7rocprim17ROCPRIM_400000_NS6detail17trampoline_kernelINS0_14default_configENS1_36segmented_radix_sort_config_selectorI12hip_bfloat16lEEZNS1_25segmented_radix_sort_implIS3_Lb1EPKS5_PS5_PKlPlN2at6native12_GLOBAL__N_18offset_tEEE10hipError_tPvRmT1_PNSt15iterator_traitsISL_E10value_typeET2_T3_PNSM_ISR_E10value_typeET4_jRbjT5_SX_jjP12ihipStream_tbEUlT_E1_NS1_11comp_targetILNS1_3genE9ELNS1_11target_archE1100ELNS1_3gpuE3ELNS1_3repE0EEENS1_59segmented_radix_sort_warp_sort_small_config_static_selectorELNS0_4arch9wavefront6targetE1EEEvSL_
		.amdhsa_group_segment_fixed_size 0
		.amdhsa_private_segment_fixed_size 0
		.amdhsa_kernarg_size 88
		.amdhsa_user_sgpr_count 6
		.amdhsa_user_sgpr_private_segment_buffer 1
		.amdhsa_user_sgpr_dispatch_ptr 0
		.amdhsa_user_sgpr_queue_ptr 0
		.amdhsa_user_sgpr_kernarg_segment_ptr 1
		.amdhsa_user_sgpr_dispatch_id 0
		.amdhsa_user_sgpr_flat_scratch_init 0
		.amdhsa_user_sgpr_kernarg_preload_length 0
		.amdhsa_user_sgpr_kernarg_preload_offset 0
		.amdhsa_user_sgpr_private_segment_size 0
		.amdhsa_uses_dynamic_stack 0
		.amdhsa_system_sgpr_private_segment_wavefront_offset 0
		.amdhsa_system_sgpr_workgroup_id_x 1
		.amdhsa_system_sgpr_workgroup_id_y 0
		.amdhsa_system_sgpr_workgroup_id_z 0
		.amdhsa_system_sgpr_workgroup_info 0
		.amdhsa_system_vgpr_workitem_id 0
		.amdhsa_next_free_vgpr 1
		.amdhsa_next_free_sgpr 0
		.amdhsa_accum_offset 4
		.amdhsa_reserve_vcc 0
		.amdhsa_reserve_flat_scratch 0
		.amdhsa_float_round_mode_32 0
		.amdhsa_float_round_mode_16_64 0
		.amdhsa_float_denorm_mode_32 3
		.amdhsa_float_denorm_mode_16_64 3
		.amdhsa_dx10_clamp 1
		.amdhsa_ieee_mode 1
		.amdhsa_fp16_overflow 0
		.amdhsa_tg_split 0
		.amdhsa_exception_fp_ieee_invalid_op 0
		.amdhsa_exception_fp_denorm_src 0
		.amdhsa_exception_fp_ieee_div_zero 0
		.amdhsa_exception_fp_ieee_overflow 0
		.amdhsa_exception_fp_ieee_underflow 0
		.amdhsa_exception_fp_ieee_inexact 0
		.amdhsa_exception_int_div_zero 0
	.end_amdhsa_kernel
	.section	.text._ZN7rocprim17ROCPRIM_400000_NS6detail17trampoline_kernelINS0_14default_configENS1_36segmented_radix_sort_config_selectorI12hip_bfloat16lEEZNS1_25segmented_radix_sort_implIS3_Lb1EPKS5_PS5_PKlPlN2at6native12_GLOBAL__N_18offset_tEEE10hipError_tPvRmT1_PNSt15iterator_traitsISL_E10value_typeET2_T3_PNSM_ISR_E10value_typeET4_jRbjT5_SX_jjP12ihipStream_tbEUlT_E1_NS1_11comp_targetILNS1_3genE9ELNS1_11target_archE1100ELNS1_3gpuE3ELNS1_3repE0EEENS1_59segmented_radix_sort_warp_sort_small_config_static_selectorELNS0_4arch9wavefront6targetE1EEEvSL_,"axG",@progbits,_ZN7rocprim17ROCPRIM_400000_NS6detail17trampoline_kernelINS0_14default_configENS1_36segmented_radix_sort_config_selectorI12hip_bfloat16lEEZNS1_25segmented_radix_sort_implIS3_Lb1EPKS5_PS5_PKlPlN2at6native12_GLOBAL__N_18offset_tEEE10hipError_tPvRmT1_PNSt15iterator_traitsISL_E10value_typeET2_T3_PNSM_ISR_E10value_typeET4_jRbjT5_SX_jjP12ihipStream_tbEUlT_E1_NS1_11comp_targetILNS1_3genE9ELNS1_11target_archE1100ELNS1_3gpuE3ELNS1_3repE0EEENS1_59segmented_radix_sort_warp_sort_small_config_static_selectorELNS0_4arch9wavefront6targetE1EEEvSL_,comdat
.Lfunc_end1972:
	.size	_ZN7rocprim17ROCPRIM_400000_NS6detail17trampoline_kernelINS0_14default_configENS1_36segmented_radix_sort_config_selectorI12hip_bfloat16lEEZNS1_25segmented_radix_sort_implIS3_Lb1EPKS5_PS5_PKlPlN2at6native12_GLOBAL__N_18offset_tEEE10hipError_tPvRmT1_PNSt15iterator_traitsISL_E10value_typeET2_T3_PNSM_ISR_E10value_typeET4_jRbjT5_SX_jjP12ihipStream_tbEUlT_E1_NS1_11comp_targetILNS1_3genE9ELNS1_11target_archE1100ELNS1_3gpuE3ELNS1_3repE0EEENS1_59segmented_radix_sort_warp_sort_small_config_static_selectorELNS0_4arch9wavefront6targetE1EEEvSL_, .Lfunc_end1972-_ZN7rocprim17ROCPRIM_400000_NS6detail17trampoline_kernelINS0_14default_configENS1_36segmented_radix_sort_config_selectorI12hip_bfloat16lEEZNS1_25segmented_radix_sort_implIS3_Lb1EPKS5_PS5_PKlPlN2at6native12_GLOBAL__N_18offset_tEEE10hipError_tPvRmT1_PNSt15iterator_traitsISL_E10value_typeET2_T3_PNSM_ISR_E10value_typeET4_jRbjT5_SX_jjP12ihipStream_tbEUlT_E1_NS1_11comp_targetILNS1_3genE9ELNS1_11target_archE1100ELNS1_3gpuE3ELNS1_3repE0EEENS1_59segmented_radix_sort_warp_sort_small_config_static_selectorELNS0_4arch9wavefront6targetE1EEEvSL_
                                        ; -- End function
	.section	.AMDGPU.csdata,"",@progbits
; Kernel info:
; codeLenInByte = 0
; NumSgprs: 4
; NumVgprs: 0
; NumAgprs: 0
; TotalNumVgprs: 0
; ScratchSize: 0
; MemoryBound: 0
; FloatMode: 240
; IeeeMode: 1
; LDSByteSize: 0 bytes/workgroup (compile time only)
; SGPRBlocks: 0
; VGPRBlocks: 0
; NumSGPRsForWavesPerEU: 4
; NumVGPRsForWavesPerEU: 1
; AccumOffset: 4
; Occupancy: 8
; WaveLimiterHint : 0
; COMPUTE_PGM_RSRC2:SCRATCH_EN: 0
; COMPUTE_PGM_RSRC2:USER_SGPR: 6
; COMPUTE_PGM_RSRC2:TRAP_HANDLER: 0
; COMPUTE_PGM_RSRC2:TGID_X_EN: 1
; COMPUTE_PGM_RSRC2:TGID_Y_EN: 0
; COMPUTE_PGM_RSRC2:TGID_Z_EN: 0
; COMPUTE_PGM_RSRC2:TIDIG_COMP_CNT: 0
; COMPUTE_PGM_RSRC3_GFX90A:ACCUM_OFFSET: 0
; COMPUTE_PGM_RSRC3_GFX90A:TG_SPLIT: 0
	.section	.text._ZN7rocprim17ROCPRIM_400000_NS6detail17trampoline_kernelINS0_14default_configENS1_36segmented_radix_sort_config_selectorI12hip_bfloat16lEEZNS1_25segmented_radix_sort_implIS3_Lb1EPKS5_PS5_PKlPlN2at6native12_GLOBAL__N_18offset_tEEE10hipError_tPvRmT1_PNSt15iterator_traitsISL_E10value_typeET2_T3_PNSM_ISR_E10value_typeET4_jRbjT5_SX_jjP12ihipStream_tbEUlT_E1_NS1_11comp_targetILNS1_3genE8ELNS1_11target_archE1030ELNS1_3gpuE2ELNS1_3repE0EEENS1_59segmented_radix_sort_warp_sort_small_config_static_selectorELNS0_4arch9wavefront6targetE1EEEvSL_,"axG",@progbits,_ZN7rocprim17ROCPRIM_400000_NS6detail17trampoline_kernelINS0_14default_configENS1_36segmented_radix_sort_config_selectorI12hip_bfloat16lEEZNS1_25segmented_radix_sort_implIS3_Lb1EPKS5_PS5_PKlPlN2at6native12_GLOBAL__N_18offset_tEEE10hipError_tPvRmT1_PNSt15iterator_traitsISL_E10value_typeET2_T3_PNSM_ISR_E10value_typeET4_jRbjT5_SX_jjP12ihipStream_tbEUlT_E1_NS1_11comp_targetILNS1_3genE8ELNS1_11target_archE1030ELNS1_3gpuE2ELNS1_3repE0EEENS1_59segmented_radix_sort_warp_sort_small_config_static_selectorELNS0_4arch9wavefront6targetE1EEEvSL_,comdat
	.globl	_ZN7rocprim17ROCPRIM_400000_NS6detail17trampoline_kernelINS0_14default_configENS1_36segmented_radix_sort_config_selectorI12hip_bfloat16lEEZNS1_25segmented_radix_sort_implIS3_Lb1EPKS5_PS5_PKlPlN2at6native12_GLOBAL__N_18offset_tEEE10hipError_tPvRmT1_PNSt15iterator_traitsISL_E10value_typeET2_T3_PNSM_ISR_E10value_typeET4_jRbjT5_SX_jjP12ihipStream_tbEUlT_E1_NS1_11comp_targetILNS1_3genE8ELNS1_11target_archE1030ELNS1_3gpuE2ELNS1_3repE0EEENS1_59segmented_radix_sort_warp_sort_small_config_static_selectorELNS0_4arch9wavefront6targetE1EEEvSL_ ; -- Begin function _ZN7rocprim17ROCPRIM_400000_NS6detail17trampoline_kernelINS0_14default_configENS1_36segmented_radix_sort_config_selectorI12hip_bfloat16lEEZNS1_25segmented_radix_sort_implIS3_Lb1EPKS5_PS5_PKlPlN2at6native12_GLOBAL__N_18offset_tEEE10hipError_tPvRmT1_PNSt15iterator_traitsISL_E10value_typeET2_T3_PNSM_ISR_E10value_typeET4_jRbjT5_SX_jjP12ihipStream_tbEUlT_E1_NS1_11comp_targetILNS1_3genE8ELNS1_11target_archE1030ELNS1_3gpuE2ELNS1_3repE0EEENS1_59segmented_radix_sort_warp_sort_small_config_static_selectorELNS0_4arch9wavefront6targetE1EEEvSL_
	.p2align	8
	.type	_ZN7rocprim17ROCPRIM_400000_NS6detail17trampoline_kernelINS0_14default_configENS1_36segmented_radix_sort_config_selectorI12hip_bfloat16lEEZNS1_25segmented_radix_sort_implIS3_Lb1EPKS5_PS5_PKlPlN2at6native12_GLOBAL__N_18offset_tEEE10hipError_tPvRmT1_PNSt15iterator_traitsISL_E10value_typeET2_T3_PNSM_ISR_E10value_typeET4_jRbjT5_SX_jjP12ihipStream_tbEUlT_E1_NS1_11comp_targetILNS1_3genE8ELNS1_11target_archE1030ELNS1_3gpuE2ELNS1_3repE0EEENS1_59segmented_radix_sort_warp_sort_small_config_static_selectorELNS0_4arch9wavefront6targetE1EEEvSL_,@function
_ZN7rocprim17ROCPRIM_400000_NS6detail17trampoline_kernelINS0_14default_configENS1_36segmented_radix_sort_config_selectorI12hip_bfloat16lEEZNS1_25segmented_radix_sort_implIS3_Lb1EPKS5_PS5_PKlPlN2at6native12_GLOBAL__N_18offset_tEEE10hipError_tPvRmT1_PNSt15iterator_traitsISL_E10value_typeET2_T3_PNSM_ISR_E10value_typeET4_jRbjT5_SX_jjP12ihipStream_tbEUlT_E1_NS1_11comp_targetILNS1_3genE8ELNS1_11target_archE1030ELNS1_3gpuE2ELNS1_3repE0EEENS1_59segmented_radix_sort_warp_sort_small_config_static_selectorELNS0_4arch9wavefront6targetE1EEEvSL_: ; @_ZN7rocprim17ROCPRIM_400000_NS6detail17trampoline_kernelINS0_14default_configENS1_36segmented_radix_sort_config_selectorI12hip_bfloat16lEEZNS1_25segmented_radix_sort_implIS3_Lb1EPKS5_PS5_PKlPlN2at6native12_GLOBAL__N_18offset_tEEE10hipError_tPvRmT1_PNSt15iterator_traitsISL_E10value_typeET2_T3_PNSM_ISR_E10value_typeET4_jRbjT5_SX_jjP12ihipStream_tbEUlT_E1_NS1_11comp_targetILNS1_3genE8ELNS1_11target_archE1030ELNS1_3gpuE2ELNS1_3repE0EEENS1_59segmented_radix_sort_warp_sort_small_config_static_selectorELNS0_4arch9wavefront6targetE1EEEvSL_
; %bb.0:
	.section	.rodata,"a",@progbits
	.p2align	6, 0x0
	.amdhsa_kernel _ZN7rocprim17ROCPRIM_400000_NS6detail17trampoline_kernelINS0_14default_configENS1_36segmented_radix_sort_config_selectorI12hip_bfloat16lEEZNS1_25segmented_radix_sort_implIS3_Lb1EPKS5_PS5_PKlPlN2at6native12_GLOBAL__N_18offset_tEEE10hipError_tPvRmT1_PNSt15iterator_traitsISL_E10value_typeET2_T3_PNSM_ISR_E10value_typeET4_jRbjT5_SX_jjP12ihipStream_tbEUlT_E1_NS1_11comp_targetILNS1_3genE8ELNS1_11target_archE1030ELNS1_3gpuE2ELNS1_3repE0EEENS1_59segmented_radix_sort_warp_sort_small_config_static_selectorELNS0_4arch9wavefront6targetE1EEEvSL_
		.amdhsa_group_segment_fixed_size 0
		.amdhsa_private_segment_fixed_size 0
		.amdhsa_kernarg_size 88
		.amdhsa_user_sgpr_count 6
		.amdhsa_user_sgpr_private_segment_buffer 1
		.amdhsa_user_sgpr_dispatch_ptr 0
		.amdhsa_user_sgpr_queue_ptr 0
		.amdhsa_user_sgpr_kernarg_segment_ptr 1
		.amdhsa_user_sgpr_dispatch_id 0
		.amdhsa_user_sgpr_flat_scratch_init 0
		.amdhsa_user_sgpr_kernarg_preload_length 0
		.amdhsa_user_sgpr_kernarg_preload_offset 0
		.amdhsa_user_sgpr_private_segment_size 0
		.amdhsa_uses_dynamic_stack 0
		.amdhsa_system_sgpr_private_segment_wavefront_offset 0
		.amdhsa_system_sgpr_workgroup_id_x 1
		.amdhsa_system_sgpr_workgroup_id_y 0
		.amdhsa_system_sgpr_workgroup_id_z 0
		.amdhsa_system_sgpr_workgroup_info 0
		.amdhsa_system_vgpr_workitem_id 0
		.amdhsa_next_free_vgpr 1
		.amdhsa_next_free_sgpr 0
		.amdhsa_accum_offset 4
		.amdhsa_reserve_vcc 0
		.amdhsa_reserve_flat_scratch 0
		.amdhsa_float_round_mode_32 0
		.amdhsa_float_round_mode_16_64 0
		.amdhsa_float_denorm_mode_32 3
		.amdhsa_float_denorm_mode_16_64 3
		.amdhsa_dx10_clamp 1
		.amdhsa_ieee_mode 1
		.amdhsa_fp16_overflow 0
		.amdhsa_tg_split 0
		.amdhsa_exception_fp_ieee_invalid_op 0
		.amdhsa_exception_fp_denorm_src 0
		.amdhsa_exception_fp_ieee_div_zero 0
		.amdhsa_exception_fp_ieee_overflow 0
		.amdhsa_exception_fp_ieee_underflow 0
		.amdhsa_exception_fp_ieee_inexact 0
		.amdhsa_exception_int_div_zero 0
	.end_amdhsa_kernel
	.section	.text._ZN7rocprim17ROCPRIM_400000_NS6detail17trampoline_kernelINS0_14default_configENS1_36segmented_radix_sort_config_selectorI12hip_bfloat16lEEZNS1_25segmented_radix_sort_implIS3_Lb1EPKS5_PS5_PKlPlN2at6native12_GLOBAL__N_18offset_tEEE10hipError_tPvRmT1_PNSt15iterator_traitsISL_E10value_typeET2_T3_PNSM_ISR_E10value_typeET4_jRbjT5_SX_jjP12ihipStream_tbEUlT_E1_NS1_11comp_targetILNS1_3genE8ELNS1_11target_archE1030ELNS1_3gpuE2ELNS1_3repE0EEENS1_59segmented_radix_sort_warp_sort_small_config_static_selectorELNS0_4arch9wavefront6targetE1EEEvSL_,"axG",@progbits,_ZN7rocprim17ROCPRIM_400000_NS6detail17trampoline_kernelINS0_14default_configENS1_36segmented_radix_sort_config_selectorI12hip_bfloat16lEEZNS1_25segmented_radix_sort_implIS3_Lb1EPKS5_PS5_PKlPlN2at6native12_GLOBAL__N_18offset_tEEE10hipError_tPvRmT1_PNSt15iterator_traitsISL_E10value_typeET2_T3_PNSM_ISR_E10value_typeET4_jRbjT5_SX_jjP12ihipStream_tbEUlT_E1_NS1_11comp_targetILNS1_3genE8ELNS1_11target_archE1030ELNS1_3gpuE2ELNS1_3repE0EEENS1_59segmented_radix_sort_warp_sort_small_config_static_selectorELNS0_4arch9wavefront6targetE1EEEvSL_,comdat
.Lfunc_end1973:
	.size	_ZN7rocprim17ROCPRIM_400000_NS6detail17trampoline_kernelINS0_14default_configENS1_36segmented_radix_sort_config_selectorI12hip_bfloat16lEEZNS1_25segmented_radix_sort_implIS3_Lb1EPKS5_PS5_PKlPlN2at6native12_GLOBAL__N_18offset_tEEE10hipError_tPvRmT1_PNSt15iterator_traitsISL_E10value_typeET2_T3_PNSM_ISR_E10value_typeET4_jRbjT5_SX_jjP12ihipStream_tbEUlT_E1_NS1_11comp_targetILNS1_3genE8ELNS1_11target_archE1030ELNS1_3gpuE2ELNS1_3repE0EEENS1_59segmented_radix_sort_warp_sort_small_config_static_selectorELNS0_4arch9wavefront6targetE1EEEvSL_, .Lfunc_end1973-_ZN7rocprim17ROCPRIM_400000_NS6detail17trampoline_kernelINS0_14default_configENS1_36segmented_radix_sort_config_selectorI12hip_bfloat16lEEZNS1_25segmented_radix_sort_implIS3_Lb1EPKS5_PS5_PKlPlN2at6native12_GLOBAL__N_18offset_tEEE10hipError_tPvRmT1_PNSt15iterator_traitsISL_E10value_typeET2_T3_PNSM_ISR_E10value_typeET4_jRbjT5_SX_jjP12ihipStream_tbEUlT_E1_NS1_11comp_targetILNS1_3genE8ELNS1_11target_archE1030ELNS1_3gpuE2ELNS1_3repE0EEENS1_59segmented_radix_sort_warp_sort_small_config_static_selectorELNS0_4arch9wavefront6targetE1EEEvSL_
                                        ; -- End function
	.section	.AMDGPU.csdata,"",@progbits
; Kernel info:
; codeLenInByte = 0
; NumSgprs: 4
; NumVgprs: 0
; NumAgprs: 0
; TotalNumVgprs: 0
; ScratchSize: 0
; MemoryBound: 0
; FloatMode: 240
; IeeeMode: 1
; LDSByteSize: 0 bytes/workgroup (compile time only)
; SGPRBlocks: 0
; VGPRBlocks: 0
; NumSGPRsForWavesPerEU: 4
; NumVGPRsForWavesPerEU: 1
; AccumOffset: 4
; Occupancy: 8
; WaveLimiterHint : 0
; COMPUTE_PGM_RSRC2:SCRATCH_EN: 0
; COMPUTE_PGM_RSRC2:USER_SGPR: 6
; COMPUTE_PGM_RSRC2:TRAP_HANDLER: 0
; COMPUTE_PGM_RSRC2:TGID_X_EN: 1
; COMPUTE_PGM_RSRC2:TGID_Y_EN: 0
; COMPUTE_PGM_RSRC2:TGID_Z_EN: 0
; COMPUTE_PGM_RSRC2:TIDIG_COMP_CNT: 0
; COMPUTE_PGM_RSRC3_GFX90A:ACCUM_OFFSET: 0
; COMPUTE_PGM_RSRC3_GFX90A:TG_SPLIT: 0
	.section	.text._ZN7rocprim17ROCPRIM_400000_NS6detail17trampoline_kernelINS0_14default_configENS1_36segmented_radix_sort_config_selectorI12hip_bfloat16lEEZNS1_25segmented_radix_sort_implIS3_Lb1EPKS5_PS5_PKlPlN2at6native12_GLOBAL__N_18offset_tEEE10hipError_tPvRmT1_PNSt15iterator_traitsISL_E10value_typeET2_T3_PNSM_ISR_E10value_typeET4_jRbjT5_SX_jjP12ihipStream_tbEUlT_E2_NS1_11comp_targetILNS1_3genE0ELNS1_11target_archE4294967295ELNS1_3gpuE0ELNS1_3repE0EEENS1_30default_config_static_selectorELNS0_4arch9wavefront6targetE1EEEvSL_,"axG",@progbits,_ZN7rocprim17ROCPRIM_400000_NS6detail17trampoline_kernelINS0_14default_configENS1_36segmented_radix_sort_config_selectorI12hip_bfloat16lEEZNS1_25segmented_radix_sort_implIS3_Lb1EPKS5_PS5_PKlPlN2at6native12_GLOBAL__N_18offset_tEEE10hipError_tPvRmT1_PNSt15iterator_traitsISL_E10value_typeET2_T3_PNSM_ISR_E10value_typeET4_jRbjT5_SX_jjP12ihipStream_tbEUlT_E2_NS1_11comp_targetILNS1_3genE0ELNS1_11target_archE4294967295ELNS1_3gpuE0ELNS1_3repE0EEENS1_30default_config_static_selectorELNS0_4arch9wavefront6targetE1EEEvSL_,comdat
	.globl	_ZN7rocprim17ROCPRIM_400000_NS6detail17trampoline_kernelINS0_14default_configENS1_36segmented_radix_sort_config_selectorI12hip_bfloat16lEEZNS1_25segmented_radix_sort_implIS3_Lb1EPKS5_PS5_PKlPlN2at6native12_GLOBAL__N_18offset_tEEE10hipError_tPvRmT1_PNSt15iterator_traitsISL_E10value_typeET2_T3_PNSM_ISR_E10value_typeET4_jRbjT5_SX_jjP12ihipStream_tbEUlT_E2_NS1_11comp_targetILNS1_3genE0ELNS1_11target_archE4294967295ELNS1_3gpuE0ELNS1_3repE0EEENS1_30default_config_static_selectorELNS0_4arch9wavefront6targetE1EEEvSL_ ; -- Begin function _ZN7rocprim17ROCPRIM_400000_NS6detail17trampoline_kernelINS0_14default_configENS1_36segmented_radix_sort_config_selectorI12hip_bfloat16lEEZNS1_25segmented_radix_sort_implIS3_Lb1EPKS5_PS5_PKlPlN2at6native12_GLOBAL__N_18offset_tEEE10hipError_tPvRmT1_PNSt15iterator_traitsISL_E10value_typeET2_T3_PNSM_ISR_E10value_typeET4_jRbjT5_SX_jjP12ihipStream_tbEUlT_E2_NS1_11comp_targetILNS1_3genE0ELNS1_11target_archE4294967295ELNS1_3gpuE0ELNS1_3repE0EEENS1_30default_config_static_selectorELNS0_4arch9wavefront6targetE1EEEvSL_
	.p2align	8
	.type	_ZN7rocprim17ROCPRIM_400000_NS6detail17trampoline_kernelINS0_14default_configENS1_36segmented_radix_sort_config_selectorI12hip_bfloat16lEEZNS1_25segmented_radix_sort_implIS3_Lb1EPKS5_PS5_PKlPlN2at6native12_GLOBAL__N_18offset_tEEE10hipError_tPvRmT1_PNSt15iterator_traitsISL_E10value_typeET2_T3_PNSM_ISR_E10value_typeET4_jRbjT5_SX_jjP12ihipStream_tbEUlT_E2_NS1_11comp_targetILNS1_3genE0ELNS1_11target_archE4294967295ELNS1_3gpuE0ELNS1_3repE0EEENS1_30default_config_static_selectorELNS0_4arch9wavefront6targetE1EEEvSL_,@function
_ZN7rocprim17ROCPRIM_400000_NS6detail17trampoline_kernelINS0_14default_configENS1_36segmented_radix_sort_config_selectorI12hip_bfloat16lEEZNS1_25segmented_radix_sort_implIS3_Lb1EPKS5_PS5_PKlPlN2at6native12_GLOBAL__N_18offset_tEEE10hipError_tPvRmT1_PNSt15iterator_traitsISL_E10value_typeET2_T3_PNSM_ISR_E10value_typeET4_jRbjT5_SX_jjP12ihipStream_tbEUlT_E2_NS1_11comp_targetILNS1_3genE0ELNS1_11target_archE4294967295ELNS1_3gpuE0ELNS1_3repE0EEENS1_30default_config_static_selectorELNS0_4arch9wavefront6targetE1EEEvSL_: ; @_ZN7rocprim17ROCPRIM_400000_NS6detail17trampoline_kernelINS0_14default_configENS1_36segmented_radix_sort_config_selectorI12hip_bfloat16lEEZNS1_25segmented_radix_sort_implIS3_Lb1EPKS5_PS5_PKlPlN2at6native12_GLOBAL__N_18offset_tEEE10hipError_tPvRmT1_PNSt15iterator_traitsISL_E10value_typeET2_T3_PNSM_ISR_E10value_typeET4_jRbjT5_SX_jjP12ihipStream_tbEUlT_E2_NS1_11comp_targetILNS1_3genE0ELNS1_11target_archE4294967295ELNS1_3gpuE0ELNS1_3repE0EEENS1_30default_config_static_selectorELNS0_4arch9wavefront6targetE1EEEvSL_
; %bb.0:
	.section	.rodata,"a",@progbits
	.p2align	6, 0x0
	.amdhsa_kernel _ZN7rocprim17ROCPRIM_400000_NS6detail17trampoline_kernelINS0_14default_configENS1_36segmented_radix_sort_config_selectorI12hip_bfloat16lEEZNS1_25segmented_radix_sort_implIS3_Lb1EPKS5_PS5_PKlPlN2at6native12_GLOBAL__N_18offset_tEEE10hipError_tPvRmT1_PNSt15iterator_traitsISL_E10value_typeET2_T3_PNSM_ISR_E10value_typeET4_jRbjT5_SX_jjP12ihipStream_tbEUlT_E2_NS1_11comp_targetILNS1_3genE0ELNS1_11target_archE4294967295ELNS1_3gpuE0ELNS1_3repE0EEENS1_30default_config_static_selectorELNS0_4arch9wavefront6targetE1EEEvSL_
		.amdhsa_group_segment_fixed_size 0
		.amdhsa_private_segment_fixed_size 0
		.amdhsa_kernarg_size 80
		.amdhsa_user_sgpr_count 6
		.amdhsa_user_sgpr_private_segment_buffer 1
		.amdhsa_user_sgpr_dispatch_ptr 0
		.amdhsa_user_sgpr_queue_ptr 0
		.amdhsa_user_sgpr_kernarg_segment_ptr 1
		.amdhsa_user_sgpr_dispatch_id 0
		.amdhsa_user_sgpr_flat_scratch_init 0
		.amdhsa_user_sgpr_kernarg_preload_length 0
		.amdhsa_user_sgpr_kernarg_preload_offset 0
		.amdhsa_user_sgpr_private_segment_size 0
		.amdhsa_uses_dynamic_stack 0
		.amdhsa_system_sgpr_private_segment_wavefront_offset 0
		.amdhsa_system_sgpr_workgroup_id_x 1
		.amdhsa_system_sgpr_workgroup_id_y 0
		.amdhsa_system_sgpr_workgroup_id_z 0
		.amdhsa_system_sgpr_workgroup_info 0
		.amdhsa_system_vgpr_workitem_id 0
		.amdhsa_next_free_vgpr 1
		.amdhsa_next_free_sgpr 0
		.amdhsa_accum_offset 4
		.amdhsa_reserve_vcc 0
		.amdhsa_reserve_flat_scratch 0
		.amdhsa_float_round_mode_32 0
		.amdhsa_float_round_mode_16_64 0
		.amdhsa_float_denorm_mode_32 3
		.amdhsa_float_denorm_mode_16_64 3
		.amdhsa_dx10_clamp 1
		.amdhsa_ieee_mode 1
		.amdhsa_fp16_overflow 0
		.amdhsa_tg_split 0
		.amdhsa_exception_fp_ieee_invalid_op 0
		.amdhsa_exception_fp_denorm_src 0
		.amdhsa_exception_fp_ieee_div_zero 0
		.amdhsa_exception_fp_ieee_overflow 0
		.amdhsa_exception_fp_ieee_underflow 0
		.amdhsa_exception_fp_ieee_inexact 0
		.amdhsa_exception_int_div_zero 0
	.end_amdhsa_kernel
	.section	.text._ZN7rocprim17ROCPRIM_400000_NS6detail17trampoline_kernelINS0_14default_configENS1_36segmented_radix_sort_config_selectorI12hip_bfloat16lEEZNS1_25segmented_radix_sort_implIS3_Lb1EPKS5_PS5_PKlPlN2at6native12_GLOBAL__N_18offset_tEEE10hipError_tPvRmT1_PNSt15iterator_traitsISL_E10value_typeET2_T3_PNSM_ISR_E10value_typeET4_jRbjT5_SX_jjP12ihipStream_tbEUlT_E2_NS1_11comp_targetILNS1_3genE0ELNS1_11target_archE4294967295ELNS1_3gpuE0ELNS1_3repE0EEENS1_30default_config_static_selectorELNS0_4arch9wavefront6targetE1EEEvSL_,"axG",@progbits,_ZN7rocprim17ROCPRIM_400000_NS6detail17trampoline_kernelINS0_14default_configENS1_36segmented_radix_sort_config_selectorI12hip_bfloat16lEEZNS1_25segmented_radix_sort_implIS3_Lb1EPKS5_PS5_PKlPlN2at6native12_GLOBAL__N_18offset_tEEE10hipError_tPvRmT1_PNSt15iterator_traitsISL_E10value_typeET2_T3_PNSM_ISR_E10value_typeET4_jRbjT5_SX_jjP12ihipStream_tbEUlT_E2_NS1_11comp_targetILNS1_3genE0ELNS1_11target_archE4294967295ELNS1_3gpuE0ELNS1_3repE0EEENS1_30default_config_static_selectorELNS0_4arch9wavefront6targetE1EEEvSL_,comdat
.Lfunc_end1974:
	.size	_ZN7rocprim17ROCPRIM_400000_NS6detail17trampoline_kernelINS0_14default_configENS1_36segmented_radix_sort_config_selectorI12hip_bfloat16lEEZNS1_25segmented_radix_sort_implIS3_Lb1EPKS5_PS5_PKlPlN2at6native12_GLOBAL__N_18offset_tEEE10hipError_tPvRmT1_PNSt15iterator_traitsISL_E10value_typeET2_T3_PNSM_ISR_E10value_typeET4_jRbjT5_SX_jjP12ihipStream_tbEUlT_E2_NS1_11comp_targetILNS1_3genE0ELNS1_11target_archE4294967295ELNS1_3gpuE0ELNS1_3repE0EEENS1_30default_config_static_selectorELNS0_4arch9wavefront6targetE1EEEvSL_, .Lfunc_end1974-_ZN7rocprim17ROCPRIM_400000_NS6detail17trampoline_kernelINS0_14default_configENS1_36segmented_radix_sort_config_selectorI12hip_bfloat16lEEZNS1_25segmented_radix_sort_implIS3_Lb1EPKS5_PS5_PKlPlN2at6native12_GLOBAL__N_18offset_tEEE10hipError_tPvRmT1_PNSt15iterator_traitsISL_E10value_typeET2_T3_PNSM_ISR_E10value_typeET4_jRbjT5_SX_jjP12ihipStream_tbEUlT_E2_NS1_11comp_targetILNS1_3genE0ELNS1_11target_archE4294967295ELNS1_3gpuE0ELNS1_3repE0EEENS1_30default_config_static_selectorELNS0_4arch9wavefront6targetE1EEEvSL_
                                        ; -- End function
	.section	.AMDGPU.csdata,"",@progbits
; Kernel info:
; codeLenInByte = 0
; NumSgprs: 4
; NumVgprs: 0
; NumAgprs: 0
; TotalNumVgprs: 0
; ScratchSize: 0
; MemoryBound: 0
; FloatMode: 240
; IeeeMode: 1
; LDSByteSize: 0 bytes/workgroup (compile time only)
; SGPRBlocks: 0
; VGPRBlocks: 0
; NumSGPRsForWavesPerEU: 4
; NumVGPRsForWavesPerEU: 1
; AccumOffset: 4
; Occupancy: 8
; WaveLimiterHint : 0
; COMPUTE_PGM_RSRC2:SCRATCH_EN: 0
; COMPUTE_PGM_RSRC2:USER_SGPR: 6
; COMPUTE_PGM_RSRC2:TRAP_HANDLER: 0
; COMPUTE_PGM_RSRC2:TGID_X_EN: 1
; COMPUTE_PGM_RSRC2:TGID_Y_EN: 0
; COMPUTE_PGM_RSRC2:TGID_Z_EN: 0
; COMPUTE_PGM_RSRC2:TIDIG_COMP_CNT: 0
; COMPUTE_PGM_RSRC3_GFX90A:ACCUM_OFFSET: 0
; COMPUTE_PGM_RSRC3_GFX90A:TG_SPLIT: 0
	.section	.text._ZN7rocprim17ROCPRIM_400000_NS6detail17trampoline_kernelINS0_14default_configENS1_36segmented_radix_sort_config_selectorI12hip_bfloat16lEEZNS1_25segmented_radix_sort_implIS3_Lb1EPKS5_PS5_PKlPlN2at6native12_GLOBAL__N_18offset_tEEE10hipError_tPvRmT1_PNSt15iterator_traitsISL_E10value_typeET2_T3_PNSM_ISR_E10value_typeET4_jRbjT5_SX_jjP12ihipStream_tbEUlT_E2_NS1_11comp_targetILNS1_3genE5ELNS1_11target_archE942ELNS1_3gpuE9ELNS1_3repE0EEENS1_30default_config_static_selectorELNS0_4arch9wavefront6targetE1EEEvSL_,"axG",@progbits,_ZN7rocprim17ROCPRIM_400000_NS6detail17trampoline_kernelINS0_14default_configENS1_36segmented_radix_sort_config_selectorI12hip_bfloat16lEEZNS1_25segmented_radix_sort_implIS3_Lb1EPKS5_PS5_PKlPlN2at6native12_GLOBAL__N_18offset_tEEE10hipError_tPvRmT1_PNSt15iterator_traitsISL_E10value_typeET2_T3_PNSM_ISR_E10value_typeET4_jRbjT5_SX_jjP12ihipStream_tbEUlT_E2_NS1_11comp_targetILNS1_3genE5ELNS1_11target_archE942ELNS1_3gpuE9ELNS1_3repE0EEENS1_30default_config_static_selectorELNS0_4arch9wavefront6targetE1EEEvSL_,comdat
	.globl	_ZN7rocprim17ROCPRIM_400000_NS6detail17trampoline_kernelINS0_14default_configENS1_36segmented_radix_sort_config_selectorI12hip_bfloat16lEEZNS1_25segmented_radix_sort_implIS3_Lb1EPKS5_PS5_PKlPlN2at6native12_GLOBAL__N_18offset_tEEE10hipError_tPvRmT1_PNSt15iterator_traitsISL_E10value_typeET2_T3_PNSM_ISR_E10value_typeET4_jRbjT5_SX_jjP12ihipStream_tbEUlT_E2_NS1_11comp_targetILNS1_3genE5ELNS1_11target_archE942ELNS1_3gpuE9ELNS1_3repE0EEENS1_30default_config_static_selectorELNS0_4arch9wavefront6targetE1EEEvSL_ ; -- Begin function _ZN7rocprim17ROCPRIM_400000_NS6detail17trampoline_kernelINS0_14default_configENS1_36segmented_radix_sort_config_selectorI12hip_bfloat16lEEZNS1_25segmented_radix_sort_implIS3_Lb1EPKS5_PS5_PKlPlN2at6native12_GLOBAL__N_18offset_tEEE10hipError_tPvRmT1_PNSt15iterator_traitsISL_E10value_typeET2_T3_PNSM_ISR_E10value_typeET4_jRbjT5_SX_jjP12ihipStream_tbEUlT_E2_NS1_11comp_targetILNS1_3genE5ELNS1_11target_archE942ELNS1_3gpuE9ELNS1_3repE0EEENS1_30default_config_static_selectorELNS0_4arch9wavefront6targetE1EEEvSL_
	.p2align	8
	.type	_ZN7rocprim17ROCPRIM_400000_NS6detail17trampoline_kernelINS0_14default_configENS1_36segmented_radix_sort_config_selectorI12hip_bfloat16lEEZNS1_25segmented_radix_sort_implIS3_Lb1EPKS5_PS5_PKlPlN2at6native12_GLOBAL__N_18offset_tEEE10hipError_tPvRmT1_PNSt15iterator_traitsISL_E10value_typeET2_T3_PNSM_ISR_E10value_typeET4_jRbjT5_SX_jjP12ihipStream_tbEUlT_E2_NS1_11comp_targetILNS1_3genE5ELNS1_11target_archE942ELNS1_3gpuE9ELNS1_3repE0EEENS1_30default_config_static_selectorELNS0_4arch9wavefront6targetE1EEEvSL_,@function
_ZN7rocprim17ROCPRIM_400000_NS6detail17trampoline_kernelINS0_14default_configENS1_36segmented_radix_sort_config_selectorI12hip_bfloat16lEEZNS1_25segmented_radix_sort_implIS3_Lb1EPKS5_PS5_PKlPlN2at6native12_GLOBAL__N_18offset_tEEE10hipError_tPvRmT1_PNSt15iterator_traitsISL_E10value_typeET2_T3_PNSM_ISR_E10value_typeET4_jRbjT5_SX_jjP12ihipStream_tbEUlT_E2_NS1_11comp_targetILNS1_3genE5ELNS1_11target_archE942ELNS1_3gpuE9ELNS1_3repE0EEENS1_30default_config_static_selectorELNS0_4arch9wavefront6targetE1EEEvSL_: ; @_ZN7rocprim17ROCPRIM_400000_NS6detail17trampoline_kernelINS0_14default_configENS1_36segmented_radix_sort_config_selectorI12hip_bfloat16lEEZNS1_25segmented_radix_sort_implIS3_Lb1EPKS5_PS5_PKlPlN2at6native12_GLOBAL__N_18offset_tEEE10hipError_tPvRmT1_PNSt15iterator_traitsISL_E10value_typeET2_T3_PNSM_ISR_E10value_typeET4_jRbjT5_SX_jjP12ihipStream_tbEUlT_E2_NS1_11comp_targetILNS1_3genE5ELNS1_11target_archE942ELNS1_3gpuE9ELNS1_3repE0EEENS1_30default_config_static_selectorELNS0_4arch9wavefront6targetE1EEEvSL_
; %bb.0:
	.section	.rodata,"a",@progbits
	.p2align	6, 0x0
	.amdhsa_kernel _ZN7rocprim17ROCPRIM_400000_NS6detail17trampoline_kernelINS0_14default_configENS1_36segmented_radix_sort_config_selectorI12hip_bfloat16lEEZNS1_25segmented_radix_sort_implIS3_Lb1EPKS5_PS5_PKlPlN2at6native12_GLOBAL__N_18offset_tEEE10hipError_tPvRmT1_PNSt15iterator_traitsISL_E10value_typeET2_T3_PNSM_ISR_E10value_typeET4_jRbjT5_SX_jjP12ihipStream_tbEUlT_E2_NS1_11comp_targetILNS1_3genE5ELNS1_11target_archE942ELNS1_3gpuE9ELNS1_3repE0EEENS1_30default_config_static_selectorELNS0_4arch9wavefront6targetE1EEEvSL_
		.amdhsa_group_segment_fixed_size 0
		.amdhsa_private_segment_fixed_size 0
		.amdhsa_kernarg_size 80
		.amdhsa_user_sgpr_count 6
		.amdhsa_user_sgpr_private_segment_buffer 1
		.amdhsa_user_sgpr_dispatch_ptr 0
		.amdhsa_user_sgpr_queue_ptr 0
		.amdhsa_user_sgpr_kernarg_segment_ptr 1
		.amdhsa_user_sgpr_dispatch_id 0
		.amdhsa_user_sgpr_flat_scratch_init 0
		.amdhsa_user_sgpr_kernarg_preload_length 0
		.amdhsa_user_sgpr_kernarg_preload_offset 0
		.amdhsa_user_sgpr_private_segment_size 0
		.amdhsa_uses_dynamic_stack 0
		.amdhsa_system_sgpr_private_segment_wavefront_offset 0
		.amdhsa_system_sgpr_workgroup_id_x 1
		.amdhsa_system_sgpr_workgroup_id_y 0
		.amdhsa_system_sgpr_workgroup_id_z 0
		.amdhsa_system_sgpr_workgroup_info 0
		.amdhsa_system_vgpr_workitem_id 0
		.amdhsa_next_free_vgpr 1
		.amdhsa_next_free_sgpr 0
		.amdhsa_accum_offset 4
		.amdhsa_reserve_vcc 0
		.amdhsa_reserve_flat_scratch 0
		.amdhsa_float_round_mode_32 0
		.amdhsa_float_round_mode_16_64 0
		.amdhsa_float_denorm_mode_32 3
		.amdhsa_float_denorm_mode_16_64 3
		.amdhsa_dx10_clamp 1
		.amdhsa_ieee_mode 1
		.amdhsa_fp16_overflow 0
		.amdhsa_tg_split 0
		.amdhsa_exception_fp_ieee_invalid_op 0
		.amdhsa_exception_fp_denorm_src 0
		.amdhsa_exception_fp_ieee_div_zero 0
		.amdhsa_exception_fp_ieee_overflow 0
		.amdhsa_exception_fp_ieee_underflow 0
		.amdhsa_exception_fp_ieee_inexact 0
		.amdhsa_exception_int_div_zero 0
	.end_amdhsa_kernel
	.section	.text._ZN7rocprim17ROCPRIM_400000_NS6detail17trampoline_kernelINS0_14default_configENS1_36segmented_radix_sort_config_selectorI12hip_bfloat16lEEZNS1_25segmented_radix_sort_implIS3_Lb1EPKS5_PS5_PKlPlN2at6native12_GLOBAL__N_18offset_tEEE10hipError_tPvRmT1_PNSt15iterator_traitsISL_E10value_typeET2_T3_PNSM_ISR_E10value_typeET4_jRbjT5_SX_jjP12ihipStream_tbEUlT_E2_NS1_11comp_targetILNS1_3genE5ELNS1_11target_archE942ELNS1_3gpuE9ELNS1_3repE0EEENS1_30default_config_static_selectorELNS0_4arch9wavefront6targetE1EEEvSL_,"axG",@progbits,_ZN7rocprim17ROCPRIM_400000_NS6detail17trampoline_kernelINS0_14default_configENS1_36segmented_radix_sort_config_selectorI12hip_bfloat16lEEZNS1_25segmented_radix_sort_implIS3_Lb1EPKS5_PS5_PKlPlN2at6native12_GLOBAL__N_18offset_tEEE10hipError_tPvRmT1_PNSt15iterator_traitsISL_E10value_typeET2_T3_PNSM_ISR_E10value_typeET4_jRbjT5_SX_jjP12ihipStream_tbEUlT_E2_NS1_11comp_targetILNS1_3genE5ELNS1_11target_archE942ELNS1_3gpuE9ELNS1_3repE0EEENS1_30default_config_static_selectorELNS0_4arch9wavefront6targetE1EEEvSL_,comdat
.Lfunc_end1975:
	.size	_ZN7rocprim17ROCPRIM_400000_NS6detail17trampoline_kernelINS0_14default_configENS1_36segmented_radix_sort_config_selectorI12hip_bfloat16lEEZNS1_25segmented_radix_sort_implIS3_Lb1EPKS5_PS5_PKlPlN2at6native12_GLOBAL__N_18offset_tEEE10hipError_tPvRmT1_PNSt15iterator_traitsISL_E10value_typeET2_T3_PNSM_ISR_E10value_typeET4_jRbjT5_SX_jjP12ihipStream_tbEUlT_E2_NS1_11comp_targetILNS1_3genE5ELNS1_11target_archE942ELNS1_3gpuE9ELNS1_3repE0EEENS1_30default_config_static_selectorELNS0_4arch9wavefront6targetE1EEEvSL_, .Lfunc_end1975-_ZN7rocprim17ROCPRIM_400000_NS6detail17trampoline_kernelINS0_14default_configENS1_36segmented_radix_sort_config_selectorI12hip_bfloat16lEEZNS1_25segmented_radix_sort_implIS3_Lb1EPKS5_PS5_PKlPlN2at6native12_GLOBAL__N_18offset_tEEE10hipError_tPvRmT1_PNSt15iterator_traitsISL_E10value_typeET2_T3_PNSM_ISR_E10value_typeET4_jRbjT5_SX_jjP12ihipStream_tbEUlT_E2_NS1_11comp_targetILNS1_3genE5ELNS1_11target_archE942ELNS1_3gpuE9ELNS1_3repE0EEENS1_30default_config_static_selectorELNS0_4arch9wavefront6targetE1EEEvSL_
                                        ; -- End function
	.section	.AMDGPU.csdata,"",@progbits
; Kernel info:
; codeLenInByte = 0
; NumSgprs: 4
; NumVgprs: 0
; NumAgprs: 0
; TotalNumVgprs: 0
; ScratchSize: 0
; MemoryBound: 0
; FloatMode: 240
; IeeeMode: 1
; LDSByteSize: 0 bytes/workgroup (compile time only)
; SGPRBlocks: 0
; VGPRBlocks: 0
; NumSGPRsForWavesPerEU: 4
; NumVGPRsForWavesPerEU: 1
; AccumOffset: 4
; Occupancy: 8
; WaveLimiterHint : 0
; COMPUTE_PGM_RSRC2:SCRATCH_EN: 0
; COMPUTE_PGM_RSRC2:USER_SGPR: 6
; COMPUTE_PGM_RSRC2:TRAP_HANDLER: 0
; COMPUTE_PGM_RSRC2:TGID_X_EN: 1
; COMPUTE_PGM_RSRC2:TGID_Y_EN: 0
; COMPUTE_PGM_RSRC2:TGID_Z_EN: 0
; COMPUTE_PGM_RSRC2:TIDIG_COMP_CNT: 0
; COMPUTE_PGM_RSRC3_GFX90A:ACCUM_OFFSET: 0
; COMPUTE_PGM_RSRC3_GFX90A:TG_SPLIT: 0
	.section	.text._ZN7rocprim17ROCPRIM_400000_NS6detail17trampoline_kernelINS0_14default_configENS1_36segmented_radix_sort_config_selectorI12hip_bfloat16lEEZNS1_25segmented_radix_sort_implIS3_Lb1EPKS5_PS5_PKlPlN2at6native12_GLOBAL__N_18offset_tEEE10hipError_tPvRmT1_PNSt15iterator_traitsISL_E10value_typeET2_T3_PNSM_ISR_E10value_typeET4_jRbjT5_SX_jjP12ihipStream_tbEUlT_E2_NS1_11comp_targetILNS1_3genE4ELNS1_11target_archE910ELNS1_3gpuE8ELNS1_3repE0EEENS1_30default_config_static_selectorELNS0_4arch9wavefront6targetE1EEEvSL_,"axG",@progbits,_ZN7rocprim17ROCPRIM_400000_NS6detail17trampoline_kernelINS0_14default_configENS1_36segmented_radix_sort_config_selectorI12hip_bfloat16lEEZNS1_25segmented_radix_sort_implIS3_Lb1EPKS5_PS5_PKlPlN2at6native12_GLOBAL__N_18offset_tEEE10hipError_tPvRmT1_PNSt15iterator_traitsISL_E10value_typeET2_T3_PNSM_ISR_E10value_typeET4_jRbjT5_SX_jjP12ihipStream_tbEUlT_E2_NS1_11comp_targetILNS1_3genE4ELNS1_11target_archE910ELNS1_3gpuE8ELNS1_3repE0EEENS1_30default_config_static_selectorELNS0_4arch9wavefront6targetE1EEEvSL_,comdat
	.globl	_ZN7rocprim17ROCPRIM_400000_NS6detail17trampoline_kernelINS0_14default_configENS1_36segmented_radix_sort_config_selectorI12hip_bfloat16lEEZNS1_25segmented_radix_sort_implIS3_Lb1EPKS5_PS5_PKlPlN2at6native12_GLOBAL__N_18offset_tEEE10hipError_tPvRmT1_PNSt15iterator_traitsISL_E10value_typeET2_T3_PNSM_ISR_E10value_typeET4_jRbjT5_SX_jjP12ihipStream_tbEUlT_E2_NS1_11comp_targetILNS1_3genE4ELNS1_11target_archE910ELNS1_3gpuE8ELNS1_3repE0EEENS1_30default_config_static_selectorELNS0_4arch9wavefront6targetE1EEEvSL_ ; -- Begin function _ZN7rocprim17ROCPRIM_400000_NS6detail17trampoline_kernelINS0_14default_configENS1_36segmented_radix_sort_config_selectorI12hip_bfloat16lEEZNS1_25segmented_radix_sort_implIS3_Lb1EPKS5_PS5_PKlPlN2at6native12_GLOBAL__N_18offset_tEEE10hipError_tPvRmT1_PNSt15iterator_traitsISL_E10value_typeET2_T3_PNSM_ISR_E10value_typeET4_jRbjT5_SX_jjP12ihipStream_tbEUlT_E2_NS1_11comp_targetILNS1_3genE4ELNS1_11target_archE910ELNS1_3gpuE8ELNS1_3repE0EEENS1_30default_config_static_selectorELNS0_4arch9wavefront6targetE1EEEvSL_
	.p2align	8
	.type	_ZN7rocprim17ROCPRIM_400000_NS6detail17trampoline_kernelINS0_14default_configENS1_36segmented_radix_sort_config_selectorI12hip_bfloat16lEEZNS1_25segmented_radix_sort_implIS3_Lb1EPKS5_PS5_PKlPlN2at6native12_GLOBAL__N_18offset_tEEE10hipError_tPvRmT1_PNSt15iterator_traitsISL_E10value_typeET2_T3_PNSM_ISR_E10value_typeET4_jRbjT5_SX_jjP12ihipStream_tbEUlT_E2_NS1_11comp_targetILNS1_3genE4ELNS1_11target_archE910ELNS1_3gpuE8ELNS1_3repE0EEENS1_30default_config_static_selectorELNS0_4arch9wavefront6targetE1EEEvSL_,@function
_ZN7rocprim17ROCPRIM_400000_NS6detail17trampoline_kernelINS0_14default_configENS1_36segmented_radix_sort_config_selectorI12hip_bfloat16lEEZNS1_25segmented_radix_sort_implIS3_Lb1EPKS5_PS5_PKlPlN2at6native12_GLOBAL__N_18offset_tEEE10hipError_tPvRmT1_PNSt15iterator_traitsISL_E10value_typeET2_T3_PNSM_ISR_E10value_typeET4_jRbjT5_SX_jjP12ihipStream_tbEUlT_E2_NS1_11comp_targetILNS1_3genE4ELNS1_11target_archE910ELNS1_3gpuE8ELNS1_3repE0EEENS1_30default_config_static_selectorELNS0_4arch9wavefront6targetE1EEEvSL_: ; @_ZN7rocprim17ROCPRIM_400000_NS6detail17trampoline_kernelINS0_14default_configENS1_36segmented_radix_sort_config_selectorI12hip_bfloat16lEEZNS1_25segmented_radix_sort_implIS3_Lb1EPKS5_PS5_PKlPlN2at6native12_GLOBAL__N_18offset_tEEE10hipError_tPvRmT1_PNSt15iterator_traitsISL_E10value_typeET2_T3_PNSM_ISR_E10value_typeET4_jRbjT5_SX_jjP12ihipStream_tbEUlT_E2_NS1_11comp_targetILNS1_3genE4ELNS1_11target_archE910ELNS1_3gpuE8ELNS1_3repE0EEENS1_30default_config_static_selectorELNS0_4arch9wavefront6targetE1EEEvSL_
; %bb.0:
	s_add_u32 flat_scratch_lo, s6, s10
	s_addc_u32 flat_scratch_hi, s7, 0
	s_add_u32 s0, s0, s10
	s_mov_b32 s33, s9
	s_mov_b32 s50, s8
	s_load_dwordx4 s[8:11], s[4:5], 0x34
	s_addc_u32 s1, s1, 0
	s_mov_b32 s32, 0
	s_waitcnt lgkmcnt(0)
	s_add_i32 s51, s9, s50
	s_add_i32 s76, s11, s50
	s_mul_i32 s51, s51, s8
	s_mul_i32 s76, s76, s10
	s_cmp_le_u32 s76, s51
	s_cbranch_scc1 .LBB1976_686
; %bb.1:
	s_load_dword s6, s[4:5], 0x30
	s_load_dwordx4 s[64:67], s[4:5], 0x20
	s_load_dwordx4 s[68:71], s[4:5], 0x44
	s_load_dwordx8 s[56:63], s[4:5], 0x0
	s_waitcnt lgkmcnt(0)
	s_bitcmp1_b32 s6, 0
	s_cselect_b64 s[54:55], -1, 0
	s_sub_i32 s71, s76, s51
	s_cmpk_lt_u32 s71, 0x801
	s_mov_b64 s[6:7], -1
	s_cbranch_scc0 .LBB1976_15
; %bb.2:
	s_cmp_lt_u32 s71, 33
	s_cbranch_scc0 .LBB1976_9
; %bb.3:
	s_load_dword s6, s[4:5], 0x5c
	v_bfe_u32 v1, v0, 10, 10
	v_bfe_u32 v3, v0, 20, 10
	v_and_b32_e32 v2, 0x3ff, v0
	s_waitcnt lgkmcnt(0)
	s_lshr_b32 s7, s6, 16
	s_and_b32 s6, s6, 0xffff
	v_mad_u32_u24 v1, v3, s7, v1
	v_mad_u64_u32 v[2:3], s[6:7], v1, s6, v[2:3]
	v_cmp_gt_u32_e32 vcc, 8, v2
	s_and_saveexec_b64 s[26:27], vcc
	s_cbranch_execz .LBB1976_8
; %bb.4:
	s_and_b32 s6, s68, 1
	v_cndmask_b32_e64 v1, 0, 1, s[54:55]
	v_cmp_ne_u32_e32 vcc, s6, v1
	s_mov_b64 s[6:7], -1
	s_cbranch_vccnz .LBB1976_6
; %bb.5:
	s_add_u32 s8, s4, 0x50
	s_mov_b64 s[6:7], src_shared_base
	s_addc_u32 s9, s5, 0
	s_mov_b32 s12, s50
	s_mov_b32 s13, s33
	v_mov_b32_e32 v31, v0
	v_mov_b32_e32 v40, v0
	;; [unrolled: 1-line block ×14, first 2 shown]
	s_getpc_b64 s[10:11]
	s_add_u32 s10, s10, _ZN7rocprim17ROCPRIM_400000_NS6detail26segmented_warp_sort_helperINS1_20WarpSortHelperConfigILj8ELj4ELj256EEE12hip_bfloat16lLi256ELb1EvE4sortIPKS5_PS5_PKlPlEEvT_T0_T1_T2_jjjjRNS6_12storage_typeE@rel32@lo+4
	s_addc_u32 s11, s11, _ZN7rocprim17ROCPRIM_400000_NS6detail26segmented_warp_sort_helperINS1_20WarpSortHelperConfigILj8ELj4ELj256EEE12hip_bfloat16lLi256ELb1EvE4sortIPKS5_PS5_PKlPlEEvT_T0_T1_T2_jjjjRNS6_12storage_typeE@rel32@hi+12
	s_mov_b64 s[28:29], s[4:5]
	s_swappc_b64 s[30:31], s[10:11]
	v_mov_b32_e32 v0, v40
	s_mov_b64 s[4:5], s[28:29]
	s_mov_b64 s[6:7], 0
.LBB1976_6:
	s_andn2_b64 vcc, exec, s[6:7]
	s_cbranch_vccnz .LBB1976_8
; %bb.7:
	s_add_u32 s8, s4, 0x50
	s_mov_b64 s[6:7], src_shared_base
	s_addc_u32 s9, s5, 0
	s_mov_b32 s12, s50
	s_mov_b32 s13, s33
	v_mov_b32_e32 v31, v0
	v_mov_b32_e32 v40, v0
	;; [unrolled: 1-line block ×14, first 2 shown]
	s_getpc_b64 s[10:11]
	s_add_u32 s10, s10, _ZN7rocprim17ROCPRIM_400000_NS6detail26segmented_warp_sort_helperINS1_20WarpSortHelperConfigILj8ELj4ELj256EEE12hip_bfloat16lLi256ELb1EvE4sortIPKS5_PS5_PKlPlEEvT_T0_T1_T2_jjjjRNS6_12storage_typeE@rel32@lo+4
	s_addc_u32 s11, s11, _ZN7rocprim17ROCPRIM_400000_NS6detail26segmented_warp_sort_helperINS1_20WarpSortHelperConfigILj8ELj4ELj256EEE12hip_bfloat16lLi256ELb1EvE4sortIPKS5_PS5_PKlPlEEvT_T0_T1_T2_jjjjRNS6_12storage_typeE@rel32@hi+12
	s_mov_b64 s[28:29], s[4:5]
	s_swappc_b64 s[30:31], s[10:11]
	v_mov_b32_e32 v0, v40
	s_mov_b64 s[4:5], s[28:29]
.LBB1976_8:
	s_or_b64 exec, exec, s[26:27]
	s_mov_b64 s[6:7], 0
.LBB1976_9:
	s_andn2_b64 vcc, exec, s[6:7]
	s_cbranch_vccnz .LBB1976_14
; %bb.10:
	s_and_b32 s6, s68, 1
	v_cndmask_b32_e64 v1, 0, 1, s[54:55]
	v_cmp_ne_u32_e32 vcc, s6, v1
	s_mov_b64 s[6:7], -1
	s_cbranch_vccnz .LBB1976_12
; %bb.11:
	s_add_u32 s8, s4, 0x50
	s_mov_b64 s[6:7], src_shared_base
	s_addc_u32 s9, s5, 0
	s_mov_b32 s12, s50
	s_mov_b32 s13, s33
	v_mov_b32_e32 v31, v0
	v_mov_b32_e32 v41, v0
	;; [unrolled: 1-line block ×16, first 2 shown]
	s_getpc_b64 s[10:11]
	s_add_u32 s10, s10, _ZN7rocprim17ROCPRIM_400000_NS6detail40segmented_radix_sort_single_block_helperI12hip_bfloat16lLj256ELj8ELb1EE4sortIPKS3_PS3_PKlPlEEbT_T0_T1_T2_jjjjRNS4_12storage_typeE@rel32@lo+4
	s_addc_u32 s11, s11, _ZN7rocprim17ROCPRIM_400000_NS6detail40segmented_radix_sort_single_block_helperI12hip_bfloat16lLj256ELj8ELb1EE4sortIPKS3_PS3_PKlPlEEbT_T0_T1_T2_jjjjRNS4_12storage_typeE@rel32@hi+12
	s_mov_b64 s[48:49], s[4:5]
	s_swappc_b64 s[30:31], s[10:11]
	v_mov_b32_e32 v0, v41
	s_mov_b64 s[4:5], s[48:49]
	s_mov_b64 s[6:7], 0
.LBB1976_12:
	s_andn2_b64 vcc, exec, s[6:7]
	s_cbranch_vccnz .LBB1976_14
; %bb.13:
	s_add_u32 s8, s4, 0x50
	s_mov_b64 s[6:7], src_shared_base
	s_addc_u32 s9, s5, 0
	s_mov_b32 s12, s50
	s_mov_b32 s13, s33
	v_mov_b32_e32 v31, v0
	v_mov_b32_e32 v41, v0
	;; [unrolled: 1-line block ×16, first 2 shown]
	s_getpc_b64 s[10:11]
	s_add_u32 s10, s10, _ZN7rocprim17ROCPRIM_400000_NS6detail40segmented_radix_sort_single_block_helperI12hip_bfloat16lLj256ELj8ELb1EE4sortIPKS3_PS3_PKlPlEEbT_T0_T1_T2_jjjjRNS4_12storage_typeE@rel32@lo+4
	s_addc_u32 s11, s11, _ZN7rocprim17ROCPRIM_400000_NS6detail40segmented_radix_sort_single_block_helperI12hip_bfloat16lLj256ELj8ELb1EE4sortIPKS3_PS3_PKlPlEEbT_T0_T1_T2_jjjjRNS4_12storage_typeE@rel32@hi+12
	s_mov_b64 s[48:49], s[4:5]
	s_swappc_b64 s[30:31], s[10:11]
	v_mov_b32_e32 v0, v41
	s_mov_b64 s[4:5], s[48:49]
.LBB1976_14:
	s_mov_b64 s[6:7], 0
.LBB1976_15:
	s_andn2_b64 vcc, exec, s[6:7]
	s_cbranch_vccnz .LBB1976_686
; %bb.16:
	s_cmp_ge_u32 s69, s70
	s_cbranch_scc1 .LBB1976_686
; %bb.17:
	v_and_b32_e32 v2, 0x3ff, v0
	v_lshlrev_b32_e32 v5, 1, v2
	v_mov_b32_e32 v6, s61
	v_add_co_u32_e32 v27, vcc, s60, v5
	s_movk_i32 s6, 0x100
	v_addc_co_u32_e32 v28, vcc, 0, v6, vcc
	v_or_b32_e32 v6, 63, v2
	v_lshlrev_b32_e32 v3, 2, v2
	s_mov_b64 s[12:13], s[4:5]
	v_cmp_gt_u32_e64 s[4:5], s6, v2
	v_cmp_eq_u32_e64 s[6:7], v6, v2
	v_lshrrev_b32_e32 v6, 4, v2
	v_mad_u32_u24 v33, v2, 12, v3
	v_and_b32_e32 v34, 12, v6
	v_lshlrev_b32_e32 v6, 3, v2
	v_bfe_u32 v39, v0, 20, 10
	v_bfe_u32 v40, v0, 10, 10
	v_mul_u32_u24_e32 v0, 5, v2
	v_mov_b32_e32 v42, 0x410
	v_and_b32_e32 v38, 0x600, v6
	v_add_u32_e32 v41, v33, v3
	v_lshl_add_u32 v43, v0, 2, v42
	v_lshlrev_b32_e32 v0, 4, v2
	v_sub_u32_e32 v44, v41, v0
	v_lshlrev_b32_e32 v0, 3, v38
	v_mov_b32_e32 v6, s67
	v_add_co_u32_e32 v45, vcc, s66, v0
	v_addc_co_u32_e32 v46, vcc, 0, v6, vcc
	v_lshlrev_b32_e32 v6, 1, v38
	v_mov_b32_e32 v7, s61
	v_add_co_u32_e32 v47, vcc, s60, v6
	v_addc_co_u32_e32 v48, vcc, 0, v7, vcc
	v_mov_b32_e32 v7, s59
	v_add_co_u32_e32 v52, vcc, s58, v5
	v_addc_co_u32_e32 v53, vcc, 0, v7, vcc
	;; [unrolled: 3-line block ×5, first 2 shown]
	v_sub_u32_e32 v49, v44, v5
	v_add_u32_e32 v50, 0x400, v5
	v_mov_b32_e32 v5, s63
	v_add_co_u32_e32 v60, vcc, s62, v0
	v_addc_co_u32_e32 v61, vcc, 0, v5, vcc
	v_mov_b32_e32 v0, s57
	v_add_co_u32_e32 v62, vcc, s56, v6
	v_and_b32_e32 v1, 3, v2
	s_add_u32 s74, s12, 0x50
	s_movk_i32 s14, 0xff
	v_addc_co_u32_e32 v63, vcc, 0, v0, vcc
	v_mbcnt_lo_u32_b32 v0, -1, 0
	s_mov_b32 s73, 0
	v_mov_b32_e32 v4, 0
	v_or_b32_e32 v24, 0x100, v2
	v_or_b32_e32 v25, 0x200, v2
	;; [unrolled: 1-line block ×8, first 2 shown]
	v_cmp_gt_u32_e64 s[8:9], 4, v2
	v_add_u32_e32 v36, 0x4400, v3
	v_cmp_lt_u32_e64 s[10:11], 63, v2
	v_add_u32_e32 v37, 0x43fc, v34
	s_addc_u32 s75, s13, 0
	v_cmp_eq_u32_e64 s[12:13], 0, v2
	v_cmp_ne_u32_e64 s[14:15], s14, v2
	v_mul_u32_u24_e32 v51, 6, v2
	s_movk_i32 s68, 0x8000
	v_mov_b32_e32 v64, 1
	v_lshlrev_b32_e32 v65, 1, v2
	v_mov_b32_e32 v66, 0x7fff
	v_lshlrev_b32_e32 v67, 2, v1
	v_mbcnt_hi_u32_b32 v68, -1, v0
	s_mov_b32 s77, s69
	s_branch .LBB1976_20
.LBB1976_18:                            ;   in Loop: Header=BB1976_20 Depth=1
	s_waitcnt lgkmcnt(0)
	s_barrier
.LBB1976_19:                            ;   in Loop: Header=BB1976_20 Depth=1
	s_add_i32 s77, s77, 8
	s_cmp_ge_u32 s77, s70
	s_cbranch_scc1 .LBB1976_686
.LBB1976_20:                            ; =>This Loop Header: Depth=1
                                        ;     Child Loop BB1976_24 Depth 2
                                        ;     Child Loop BB1976_74 Depth 2
	;; [unrolled: 1-line block ×8, first 2 shown]
	s_sub_i32 s16, s70, s77
	s_min_u32 s16, s16, 8
	s_lshl_b32 s16, -1, s16
	s_xor_b64 s[54:55], s[54:55], -1
	s_not_b32 s78, s16
	s_cmp_lg_u32 s77, s69
	s_mov_b64 s[16:17], -1
	ds_write2st64_b32 v3, v4, v4 offset1:4
	ds_write2st64_b32 v3, v4, v4 offset0:8 offset1:12
	s_waitcnt lgkmcnt(0)
	s_cbranch_scc0 .LBB1976_354
; %bb.21:                               ;   in Loop: Header=BB1976_20 Depth=1
	s_and_b64 vcc, exec, s[54:55]
	s_cbranch_vccz .LBB1976_187
; %bb.22:                               ;   in Loop: Header=BB1976_20 Depth=1
	s_mov_b32 s22, s71
	s_mov_b32 s72, s51
	s_barrier
	s_waitcnt lgkmcnt(0)
                                        ; implicit-def: $vgpr12
                                        ; implicit-def: $vgpr5
                                        ; implicit-def: $vgpr6
                                        ; implicit-def: $vgpr7
                                        ; implicit-def: $vgpr8
                                        ; implicit-def: $vgpr9
                                        ; implicit-def: $vgpr10
                                        ; implicit-def: $vgpr11
	s_branch .LBB1976_24
.LBB1976_23:                            ;   in Loop: Header=BB1976_24 Depth=2
	s_or_b64 exec, exec, s[16:17]
	s_addk_i32 s22, 0xf800
	s_cmp_ge_u32 s23, s76
	s_mov_b32 s72, s23
	s_cbranch_scc1 .LBB1976_62
.LBB1976_24:                            ;   Parent Loop BB1976_20 Depth=1
                                        ; =>  This Inner Loop Header: Depth=2
	s_add_i32 s23, s72, 0x800
	s_cmp_gt_u32 s23, s76
	s_cbranch_scc1 .LBB1976_27
; %bb.25:                               ;   in Loop: Header=BB1976_24 Depth=2
	s_lshl_b64 s[16:17], s[72:73], 1
	v_mov_b32_e32 v1, s17
	v_add_co_u32_e32 v0, vcc, s16, v27
	v_addc_co_u32_e32 v1, vcc, v28, v1, vcc
	global_load_ushort v14, v[0:1], off
	global_load_ushort v15, v[0:1], off offset:512
	global_load_ushort v16, v[0:1], off offset:1024
	;; [unrolled: 1-line block ×6, first 2 shown]
	v_add_co_u32_e32 v0, vcc, 0xe00, v0
	v_addc_co_u32_e32 v1, vcc, 0, v1, vcc
	s_mov_b64 s[16:17], -1
	s_movk_i32 s24, 0x800
	s_cbranch_execz .LBB1976_28
; %bb.26:                               ;   in Loop: Header=BB1976_24 Depth=2
                                        ; implicit-def: $vgpr11
                                        ; implicit-def: $vgpr10
                                        ; implicit-def: $vgpr9
                                        ; implicit-def: $vgpr8
                                        ; implicit-def: $vgpr7
                                        ; implicit-def: $vgpr6
                                        ; implicit-def: $vgpr5
                                        ; implicit-def: $vgpr12
	v_mov_b32_e32 v13, s22
	s_and_saveexec_b64 s[18:19], s[16:17]
	s_cbranch_execnz .LBB1976_39
	s_branch .LBB1976_40
.LBB1976_27:                            ;   in Loop: Header=BB1976_24 Depth=2
	s_mov_b64 s[16:17], 0
                                        ; implicit-def: $sgpr24
                                        ; implicit-def: $vgpr14
                                        ; implicit-def: $vgpr15
                                        ; implicit-def: $vgpr16
                                        ; implicit-def: $vgpr17
                                        ; implicit-def: $vgpr18
                                        ; implicit-def: $vgpr19
                                        ; implicit-def: $vgpr20
                                        ; implicit-def: $vgpr0_vgpr1
.LBB1976_28:                            ;   in Loop: Header=BB1976_24 Depth=2
	s_lshl_b64 s[18:19], s[72:73], 1
	s_add_u32 s18, s60, s18
	s_addc_u32 s19, s61, s19
	v_cmp_gt_u32_e32 vcc, s22, v2
	s_and_saveexec_b64 s[20:21], vcc
	s_cbranch_execz .LBB1976_56
; %bb.29:                               ;   in Loop: Header=BB1976_24 Depth=2
	global_load_ushort v11, v65, s[18:19]
	s_or_b64 exec, exec, s[20:21]
	v_cmp_gt_u32_e32 vcc, s22, v24
	s_and_saveexec_b64 s[20:21], vcc
	s_cbranch_execnz .LBB1976_57
.LBB1976_30:                            ;   in Loop: Header=BB1976_24 Depth=2
	s_or_b64 exec, exec, s[20:21]
	v_cmp_gt_u32_e32 vcc, s22, v25
	s_and_saveexec_b64 s[20:21], vcc
	s_cbranch_execz .LBB1976_58
.LBB1976_31:                            ;   in Loop: Header=BB1976_24 Depth=2
	global_load_ushort v9, v65, s[18:19] offset:1024
	s_or_b64 exec, exec, s[20:21]
	v_cmp_gt_u32_e32 vcc, s22, v26
	s_and_saveexec_b64 s[20:21], vcc
	s_cbranch_execnz .LBB1976_59
.LBB1976_32:                            ;   in Loop: Header=BB1976_24 Depth=2
	s_or_b64 exec, exec, s[20:21]
	v_cmp_gt_u32_e32 vcc, s22, v29
	s_and_saveexec_b64 s[20:21], vcc
	s_cbranch_execz .LBB1976_60
.LBB1976_33:                            ;   in Loop: Header=BB1976_24 Depth=2
	global_load_ushort v7, v65, s[18:19] offset:2048
	s_or_b64 exec, exec, s[20:21]
	v_cmp_gt_u32_e32 vcc, s22, v30
	s_and_saveexec_b64 s[20:21], vcc
	s_cbranch_execnz .LBB1976_61
.LBB1976_34:                            ;   in Loop: Header=BB1976_24 Depth=2
	s_or_b64 exec, exec, s[20:21]
	v_cmp_gt_u32_e32 vcc, s22, v31
	s_and_saveexec_b64 s[20:21], vcc
	s_cbranch_execz .LBB1976_36
.LBB1976_35:                            ;   in Loop: Header=BB1976_24 Depth=2
	global_load_ushort v5, v65, s[18:19] offset:3072
.LBB1976_36:                            ;   in Loop: Header=BB1976_24 Depth=2
	s_or_b64 exec, exec, s[20:21]
	v_cmp_gt_u32_e32 vcc, s22, v32
                                        ; implicit-def: $sgpr24
                                        ; implicit-def: $vgpr0_vgpr1
	s_and_saveexec_b64 s[20:21], vcc
	s_cbranch_execz .LBB1976_38
; %bb.37:                               ;   in Loop: Header=BB1976_24 Depth=2
	v_mov_b32_e32 v0, s19
	v_add_co_u32_e32 v1, vcc, s18, v65
	s_waitcnt vmcnt(0)
	v_addc_co_u32_e32 v12, vcc, 0, v0, vcc
	v_add_co_u32_e32 v0, vcc, 0xe00, v1
	s_sub_i32 s24, s76, s72
	v_addc_co_u32_e32 v1, vcc, 0, v12, vcc
	s_or_b64 s[16:17], s[16:17], exec
                                        ; implicit-def: $vgpr12
.LBB1976_38:                            ;   in Loop: Header=BB1976_24 Depth=2
	s_or_b64 exec, exec, s[20:21]
	s_waitcnt vmcnt(0)
	v_mov_b32_e32 v14, v11
	v_mov_b32_e32 v15, v10
	;; [unrolled: 1-line block ×8, first 2 shown]
	s_and_saveexec_b64 s[18:19], s[16:17]
	s_cbranch_execz .LBB1976_40
.LBB1976_39:                            ;   in Loop: Header=BB1976_24 Depth=2
	global_load_ushort v12, v[0:1], off
	v_mov_b32_e32 v13, s24
	s_waitcnt vmcnt(1)
	v_mov_b32_e32 v5, v20
	v_mov_b32_e32 v6, v19
	;; [unrolled: 1-line block ×7, first 2 shown]
.LBB1976_40:                            ;   in Loop: Header=BB1976_24 Depth=2
	s_or_b64 exec, exec, s[18:19]
	v_cmp_lt_u32_e32 vcc, v2, v13
	s_and_saveexec_b64 s[16:17], vcc
	s_cbranch_execz .LBB1976_48
; %bb.41:                               ;   in Loop: Header=BB1976_24 Depth=2
	v_cmp_gt_i16_e32 vcc, 0, v11
	v_cndmask_b32_e64 v0, v66, 0, vcc
	v_xor_b32_e32 v0, v0, v11
	v_cmp_ne_u16_e32 vcc, s68, v0
	v_cndmask_b32_e32 v0, v66, v0, vcc
	v_lshrrev_b32_sdwa v0, s77, v0 dst_sel:DWORD dst_unused:UNUSED_PAD src0_sel:DWORD src1_sel:WORD_0
	v_and_b32_e32 v0, s78, v0
	v_lshl_or_b32 v0, v0, 4, v67
	ds_add_u32 v0, v64
	s_or_b64 exec, exec, s[16:17]
	v_cmp_lt_u32_e32 vcc, v24, v13
	s_and_saveexec_b64 s[16:17], vcc
	s_cbranch_execnz .LBB1976_49
.LBB1976_42:                            ;   in Loop: Header=BB1976_24 Depth=2
	s_or_b64 exec, exec, s[16:17]
	v_cmp_lt_u32_e32 vcc, v25, v13
	s_and_saveexec_b64 s[16:17], vcc
	s_cbranch_execz .LBB1976_50
.LBB1976_43:                            ;   in Loop: Header=BB1976_24 Depth=2
	v_cmp_gt_i16_e32 vcc, 0, v9
	v_cndmask_b32_e64 v0, v66, 0, vcc
	v_xor_b32_e32 v0, v0, v9
	v_cmp_ne_u16_e32 vcc, s68, v0
	v_cndmask_b32_e32 v0, v66, v0, vcc
	v_lshrrev_b32_sdwa v0, s77, v0 dst_sel:DWORD dst_unused:UNUSED_PAD src0_sel:DWORD src1_sel:WORD_0
	v_and_b32_e32 v0, s78, v0
	v_lshl_or_b32 v0, v0, 4, v67
	ds_add_u32 v0, v64
	s_or_b64 exec, exec, s[16:17]
	v_cmp_lt_u32_e32 vcc, v26, v13
	s_and_saveexec_b64 s[16:17], vcc
	s_cbranch_execnz .LBB1976_51
.LBB1976_44:                            ;   in Loop: Header=BB1976_24 Depth=2
	s_or_b64 exec, exec, s[16:17]
	v_cmp_lt_u32_e32 vcc, v29, v13
	s_and_saveexec_b64 s[16:17], vcc
	s_cbranch_execz .LBB1976_52
.LBB1976_45:                            ;   in Loop: Header=BB1976_24 Depth=2
	v_cmp_gt_i16_e32 vcc, 0, v7
	v_cndmask_b32_e64 v0, v66, 0, vcc
	v_xor_b32_e32 v0, v0, v7
	v_cmp_ne_u16_e32 vcc, s68, v0
	v_cndmask_b32_e32 v0, v66, v0, vcc
	v_lshrrev_b32_sdwa v0, s77, v0 dst_sel:DWORD dst_unused:UNUSED_PAD src0_sel:DWORD src1_sel:WORD_0
	v_and_b32_e32 v0, s78, v0
	v_lshl_or_b32 v0, v0, 4, v67
	ds_add_u32 v0, v64
	s_or_b64 exec, exec, s[16:17]
	v_cmp_lt_u32_e32 vcc, v30, v13
	s_and_saveexec_b64 s[16:17], vcc
	s_cbranch_execnz .LBB1976_53
.LBB1976_46:                            ;   in Loop: Header=BB1976_24 Depth=2
	s_or_b64 exec, exec, s[16:17]
	v_cmp_lt_u32_e32 vcc, v31, v13
	s_and_saveexec_b64 s[16:17], vcc
	s_cbranch_execz .LBB1976_54
.LBB1976_47:                            ;   in Loop: Header=BB1976_24 Depth=2
	v_cmp_gt_i16_e32 vcc, 0, v5
	v_cndmask_b32_e64 v0, v66, 0, vcc
	v_xor_b32_e32 v0, v0, v5
	v_cmp_ne_u16_e32 vcc, s68, v0
	v_cndmask_b32_e32 v0, v66, v0, vcc
	v_lshrrev_b32_sdwa v0, s77, v0 dst_sel:DWORD dst_unused:UNUSED_PAD src0_sel:DWORD src1_sel:WORD_0
	v_and_b32_e32 v0, s78, v0
	v_lshl_or_b32 v0, v0, 4, v67
	ds_add_u32 v0, v64
	s_or_b64 exec, exec, s[16:17]
	v_cmp_lt_u32_e32 vcc, v32, v13
	s_and_saveexec_b64 s[16:17], vcc
	s_cbranch_execz .LBB1976_23
	s_branch .LBB1976_55
.LBB1976_48:                            ;   in Loop: Header=BB1976_24 Depth=2
	s_or_b64 exec, exec, s[16:17]
	v_cmp_lt_u32_e32 vcc, v24, v13
	s_and_saveexec_b64 s[16:17], vcc
	s_cbranch_execz .LBB1976_42
.LBB1976_49:                            ;   in Loop: Header=BB1976_24 Depth=2
	v_cmp_gt_i16_e32 vcc, 0, v10
	v_cndmask_b32_e64 v0, v66, 0, vcc
	v_xor_b32_e32 v0, v0, v10
	v_cmp_ne_u16_e32 vcc, s68, v0
	v_cndmask_b32_e32 v0, v66, v0, vcc
	v_lshrrev_b32_sdwa v0, s77, v0 dst_sel:DWORD dst_unused:UNUSED_PAD src0_sel:DWORD src1_sel:WORD_0
	v_and_b32_e32 v0, s78, v0
	v_lshl_or_b32 v0, v0, 4, v67
	ds_add_u32 v0, v64
	s_or_b64 exec, exec, s[16:17]
	v_cmp_lt_u32_e32 vcc, v25, v13
	s_and_saveexec_b64 s[16:17], vcc
	s_cbranch_execnz .LBB1976_43
.LBB1976_50:                            ;   in Loop: Header=BB1976_24 Depth=2
	s_or_b64 exec, exec, s[16:17]
	v_cmp_lt_u32_e32 vcc, v26, v13
	s_and_saveexec_b64 s[16:17], vcc
	s_cbranch_execz .LBB1976_44
.LBB1976_51:                            ;   in Loop: Header=BB1976_24 Depth=2
	v_cmp_gt_i16_e32 vcc, 0, v8
	v_cndmask_b32_e64 v0, v66, 0, vcc
	v_xor_b32_e32 v0, v0, v8
	v_cmp_ne_u16_e32 vcc, s68, v0
	v_cndmask_b32_e32 v0, v66, v0, vcc
	v_lshrrev_b32_sdwa v0, s77, v0 dst_sel:DWORD dst_unused:UNUSED_PAD src0_sel:DWORD src1_sel:WORD_0
	v_and_b32_e32 v0, s78, v0
	v_lshl_or_b32 v0, v0, 4, v67
	ds_add_u32 v0, v64
	s_or_b64 exec, exec, s[16:17]
	v_cmp_lt_u32_e32 vcc, v29, v13
	s_and_saveexec_b64 s[16:17], vcc
	s_cbranch_execnz .LBB1976_45
.LBB1976_52:                            ;   in Loop: Header=BB1976_24 Depth=2
	s_or_b64 exec, exec, s[16:17]
	v_cmp_lt_u32_e32 vcc, v30, v13
	s_and_saveexec_b64 s[16:17], vcc
	s_cbranch_execz .LBB1976_46
.LBB1976_53:                            ;   in Loop: Header=BB1976_24 Depth=2
	v_cmp_gt_i16_e32 vcc, 0, v6
	v_cndmask_b32_e64 v0, v66, 0, vcc
	v_xor_b32_e32 v0, v0, v6
	v_cmp_ne_u16_e32 vcc, s68, v0
	v_cndmask_b32_e32 v0, v66, v0, vcc
	v_lshrrev_b32_sdwa v0, s77, v0 dst_sel:DWORD dst_unused:UNUSED_PAD src0_sel:DWORD src1_sel:WORD_0
	v_and_b32_e32 v0, s78, v0
	v_lshl_or_b32 v0, v0, 4, v67
	ds_add_u32 v0, v64
	s_or_b64 exec, exec, s[16:17]
	v_cmp_lt_u32_e32 vcc, v31, v13
	s_and_saveexec_b64 s[16:17], vcc
	s_cbranch_execnz .LBB1976_47
.LBB1976_54:                            ;   in Loop: Header=BB1976_24 Depth=2
	s_or_b64 exec, exec, s[16:17]
	v_cmp_lt_u32_e32 vcc, v32, v13
	s_and_saveexec_b64 s[16:17], vcc
	s_cbranch_execz .LBB1976_23
.LBB1976_55:                            ;   in Loop: Header=BB1976_24 Depth=2
	s_waitcnt vmcnt(0)
	v_cmp_gt_i16_e32 vcc, 0, v12
	v_cndmask_b32_e64 v0, v66, 0, vcc
	v_xor_b32_e32 v0, v0, v12
	v_cmp_ne_u16_e32 vcc, s68, v0
	v_cndmask_b32_e32 v0, v66, v0, vcc
	v_lshrrev_b32_sdwa v0, s77, v0 dst_sel:DWORD dst_unused:UNUSED_PAD src0_sel:DWORD src1_sel:WORD_0
	v_and_b32_e32 v0, s78, v0
	v_lshl_or_b32 v0, v0, 4, v67
	ds_add_u32 v0, v64
	s_branch .LBB1976_23
.LBB1976_56:                            ;   in Loop: Header=BB1976_24 Depth=2
	s_or_b64 exec, exec, s[20:21]
	v_cmp_gt_u32_e32 vcc, s22, v24
	s_and_saveexec_b64 s[20:21], vcc
	s_cbranch_execz .LBB1976_30
.LBB1976_57:                            ;   in Loop: Header=BB1976_24 Depth=2
	global_load_ushort v10, v65, s[18:19] offset:512
	s_or_b64 exec, exec, s[20:21]
	v_cmp_gt_u32_e32 vcc, s22, v25
	s_and_saveexec_b64 s[20:21], vcc
	s_cbranch_execnz .LBB1976_31
.LBB1976_58:                            ;   in Loop: Header=BB1976_24 Depth=2
	s_or_b64 exec, exec, s[20:21]
	v_cmp_gt_u32_e32 vcc, s22, v26
	s_and_saveexec_b64 s[20:21], vcc
	s_cbranch_execz .LBB1976_32
.LBB1976_59:                            ;   in Loop: Header=BB1976_24 Depth=2
	global_load_ushort v8, v65, s[18:19] offset:1536
	s_or_b64 exec, exec, s[20:21]
	v_cmp_gt_u32_e32 vcc, s22, v29
	s_and_saveexec_b64 s[20:21], vcc
	s_cbranch_execnz .LBB1976_33
.LBB1976_60:                            ;   in Loop: Header=BB1976_24 Depth=2
	s_or_b64 exec, exec, s[20:21]
	v_cmp_gt_u32_e32 vcc, s22, v30
	s_and_saveexec_b64 s[20:21], vcc
	s_cbranch_execz .LBB1976_34
.LBB1976_61:                            ;   in Loop: Header=BB1976_24 Depth=2
	global_load_ushort v6, v65, s[18:19] offset:2560
	s_or_b64 exec, exec, s[20:21]
	v_cmp_gt_u32_e32 vcc, s22, v31
	s_and_saveexec_b64 s[20:21], vcc
	s_cbranch_execz .LBB1976_36
	s_branch .LBB1976_35
.LBB1976_62:                            ;   in Loop: Header=BB1976_20 Depth=1
	v_mov_b32_e32 v0, 0
	s_waitcnt lgkmcnt(0)
	s_barrier
	s_and_saveexec_b64 s[16:17], s[4:5]
	s_cbranch_execz .LBB1976_64
; %bb.63:                               ;   in Loop: Header=BB1976_20 Depth=1
	ds_read2_b64 v[6:9], v33 offset1:1
	s_waitcnt lgkmcnt(0)
	v_add_u32_e32 v0, v7, v6
	v_add3_u32 v0, v0, v8, v9
.LBB1976_64:                            ;   in Loop: Header=BB1976_20 Depth=1
	s_or_b64 exec, exec, s[16:17]
	v_and_b32_e32 v1, 15, v68
	v_mov_b32_dpp v5, v0 row_shr:1 row_mask:0xf bank_mask:0xf
	v_cmp_eq_u32_e64 s[16:17], 0, v1
	v_cndmask_b32_e64 v5, v5, 0, s[16:17]
	v_add_u32_e32 v0, v5, v0
	v_cmp_lt_u32_e64 s[18:19], 1, v1
	v_cmp_lt_u32_e64 s[20:21], 3, v1
	v_mov_b32_dpp v5, v0 row_shr:2 row_mask:0xf bank_mask:0xf
	v_cndmask_b32_e64 v5, 0, v5, s[18:19]
	v_add_u32_e32 v0, v0, v5
	v_cmp_lt_u32_e64 s[22:23], 7, v1
	v_cmp_lt_u32_e64 s[26:27], 31, v68
	v_mov_b32_dpp v5, v0 row_shr:4 row_mask:0xf bank_mask:0xf
	v_cndmask_b32_e64 v5, 0, v5, s[20:21]
	v_add_u32_e32 v0, v0, v5
	v_and_b32_e32 v6, 16, v68
	v_cmp_eq_u32_e64 s[24:25], 0, v6
	v_mov_b32_dpp v5, v0 row_shr:8 row_mask:0xf bank_mask:0xf
	v_cndmask_b32_e64 v1, 0, v5, s[22:23]
	v_add_u32_e32 v0, v0, v1
	v_bfe_i32 v5, v68, 4, 1
	s_nop 0
	v_mov_b32_dpp v1, v0 row_bcast:15 row_mask:0xf bank_mask:0xf
	v_and_b32_e32 v1, v5, v1
	v_add_u32_e32 v0, v0, v1
	s_nop 1
	v_mov_b32_dpp v1, v0 row_bcast:31 row_mask:0xf bank_mask:0xf
	v_cndmask_b32_e64 v1, 0, v1, s[26:27]
	v_add_u32_e32 v1, v0, v1
	s_and_saveexec_b64 s[28:29], s[6:7]
	s_cbranch_execz .LBB1976_66
; %bb.65:                               ;   in Loop: Header=BB1976_20 Depth=1
	ds_write_b32 v35, v1
.LBB1976_66:                            ;   in Loop: Header=BB1976_20 Depth=1
	s_or_b64 exec, exec, s[28:29]
	v_and_b32_e32 v0, 3, v68
	s_waitcnt lgkmcnt(0)
	s_barrier
	s_and_saveexec_b64 s[28:29], s[8:9]
	s_cbranch_execz .LBB1976_68
; %bb.67:                               ;   in Loop: Header=BB1976_20 Depth=1
	ds_read_b32 v5, v36
	v_cmp_ne_u32_e32 vcc, 0, v0
	s_waitcnt lgkmcnt(0)
	v_mov_b32_dpp v6, v5 row_shr:1 row_mask:0xf bank_mask:0xf
	v_cndmask_b32_e32 v6, 0, v6, vcc
	v_add_u32_e32 v5, v6, v5
	v_cmp_lt_u32_e32 vcc, 1, v0
	s_nop 0
	v_mov_b32_dpp v6, v5 row_shr:2 row_mask:0xf bank_mask:0xf
	v_cndmask_b32_e32 v6, 0, v6, vcc
	v_add_u32_e32 v5, v5, v6
	ds_write_b32 v36, v5
.LBB1976_68:                            ;   in Loop: Header=BB1976_20 Depth=1
	s_or_b64 exec, exec, s[28:29]
	v_mov_b32_e32 v5, 0
	s_waitcnt lgkmcnt(0)
	s_barrier
	s_and_saveexec_b64 s[28:29], s[10:11]
	s_cbranch_execz .LBB1976_70
; %bb.69:                               ;   in Loop: Header=BB1976_20 Depth=1
	ds_read_b32 v5, v37
.LBB1976_70:                            ;   in Loop: Header=BB1976_20 Depth=1
	s_or_b64 exec, exec, s[28:29]
	v_add_u32_e32 v6, -1, v68
	v_and_b32_e32 v7, 64, v68
	v_cmp_lt_i32_e32 vcc, v6, v7
	v_cndmask_b32_e32 v6, v6, v68, vcc
	s_waitcnt lgkmcnt(0)
	v_add_u32_e32 v1, v5, v1
	v_lshlrev_b32_e32 v69, 2, v6
	ds_bpermute_b32 v1, v69, v1
	v_cmp_eq_u32_e64 s[28:29], 0, v68
	s_waitcnt lgkmcnt(0)
	s_barrier
	s_and_saveexec_b64 s[30:31], s[4:5]
	s_cbranch_execz .LBB1976_72
; %bb.71:                               ;   in Loop: Header=BB1976_20 Depth=1
	v_cndmask_b32_e64 v1, v1, v5, s[28:29]
	v_add_u32_e32 v1, s51, v1
	ds_write_b32 v3, v1
.LBB1976_72:                            ;   in Loop: Header=BB1976_20 Depth=1
	s_or_b64 exec, exec, s[30:31]
	s_load_dword s30, s[74:75], 0x4
	s_load_dword s36, s[74:75], 0xc
	s_waitcnt vmcnt(0)
	v_and_b32_e32 v20, 63, v68
	v_lshlrev_b32_e32 v21, 3, v20
	v_add_co_u32_e32 v77, vcc, v45, v21
	s_waitcnt lgkmcnt(0)
	s_cmp_lt_u32 s33, s30
	s_cselect_b32 s30, 14, 20
	s_add_u32 s30, s74, s30
	s_addc_u32 s31, s75, 0
	global_load_ushort v5, v4, s[30:31]
	v_or_b32_e32 v74, v20, v38
	v_lshlrev_b32_e32 v20, 1, v20
	v_addc_co_u32_e32 v79, vcc, 0, v46, vcc
	v_add_co_u32_e32 v88, vcc, v47, v20
	v_addc_co_u32_e32 v89, vcc, 0, v48, vcc
	s_and_b32 s36, s36, 0xffff
	v_add_co_u32_e32 v90, vcc, 0x380, v88
	v_cmp_eq_u32_e64 s[30:31], 0, v0
	v_cmp_lt_u32_e64 s[34:35], 1, v0
	s_mov_b32 s79, s71
	v_or_b32_e32 v81, 64, v74
	v_or_b32_e32 v82, 0x80, v74
	;; [unrolled: 1-line block ×7, first 2 shown]
	v_addc_co_u32_e32 v91, vcc, 0, v89, vcc
	s_mov_b32 s72, s51
                                        ; implicit-def: $vgpr0_vgpr1
                                        ; implicit-def: $vgpr6_vgpr7
                                        ; implicit-def: $vgpr8_vgpr9
                                        ; implicit-def: $vgpr10_vgpr11
                                        ; implicit-def: $vgpr12_vgpr13
                                        ; implicit-def: $vgpr14_vgpr15
                                        ; implicit-def: $vgpr16_vgpr17
                                        ; implicit-def: $vgpr18_vgpr19
                                        ; implicit-def: $vgpr70
                                        ; implicit-def: $vgpr71
                                        ; implicit-def: $vgpr72
                                        ; implicit-def: $vgpr73
                                        ; implicit-def: $vgpr75
                                        ; implicit-def: $vgpr76
                                        ; implicit-def: $vgpr78
                                        ; implicit-def: $vgpr80
	s_waitcnt vmcnt(0)
	v_mad_u32_u24 v5, v39, v5, v40
	v_mad_u64_u32 v[20:21], s[36:37], v5, s36, v[2:3]
	v_lshrrev_b32_e32 v92, 6, v20
	s_branch .LBB1976_74
.LBB1976_73:                            ;   in Loop: Header=BB1976_74 Depth=2
	s_or_b64 exec, exec, s[36:37]
	s_addk_i32 s79, 0xf800
	s_cmp_lt_u32 s80, s76
	s_mov_b32 s72, s80
	s_cbranch_scc0 .LBB1976_186
.LBB1976_74:                            ;   Parent Loop BB1976_20 Depth=1
                                        ; =>  This Inner Loop Header: Depth=2
	s_add_i32 s80, s72, 0x800
	s_cmp_gt_u32 s80, s76
	s_cbranch_scc1 .LBB1976_77
; %bb.75:                               ;   in Loop: Header=BB1976_74 Depth=2
	s_lshl_b64 s[36:37], s[72:73], 1
	v_mov_b32_e32 v5, s37
	v_add_co_u32_e32 v20, vcc, s36, v88
	v_addc_co_u32_e32 v21, vcc, v89, v5, vcc
	global_load_ushort v5, v[20:21], off
	global_load_ushort v97, v[20:21], off offset:128
	global_load_ushort v101, v[20:21], off offset:256
	;; [unrolled: 1-line block ×6, first 2 shown]
	s_mov_b64 s[36:37], -1
	s_movk_i32 s40, 0x800
	s_cbranch_execz .LBB1976_78
; %bb.76:                               ;   in Loop: Header=BB1976_74 Depth=2
                                        ; implicit-def: $sgpr38
	v_mov_b32_e32 v23, s38
	v_mov_b32_e32 v93, s79
	s_and_saveexec_b64 s[38:39], s[36:37]
	s_cbranch_execnz .LBB1976_93
	s_branch .LBB1976_94
.LBB1976_77:                            ;   in Loop: Header=BB1976_74 Depth=2
	s_mov_b64 s[36:37], 0
                                        ; implicit-def: $sgpr40
                                        ; implicit-def: $vgpr5
                                        ; implicit-def: $vgpr97
                                        ; implicit-def: $vgpr101
                                        ; implicit-def: $vgpr106
                                        ; implicit-def: $vgpr109
                                        ; implicit-def: $vgpr104
                                        ; implicit-def: $vgpr22
.LBB1976_78:                            ;   in Loop: Header=BB1976_74 Depth=2
	s_lshl_b64 s[36:37], s[72:73], 1
	s_waitcnt vmcnt(6)
	v_mov_b32_e32 v5, s37
	v_add_co_u32_e32 v20, vcc, s36, v88
	v_addc_co_u32_e32 v21, vcc, v89, v5, vcc
	v_cmp_gt_u32_e32 vcc, s79, v74
	s_waitcnt vmcnt(5)
	v_mov_b32_e32 v97, -1
	v_mov_b32_e32 v5, -1
	s_and_saveexec_b64 s[36:37], vcc
	s_cbranch_execz .LBB1976_80
; %bb.79:                               ;   in Loop: Header=BB1976_74 Depth=2
	global_load_ushort v5, v[20:21], off
.LBB1976_80:                            ;   in Loop: Header=BB1976_74 Depth=2
	s_or_b64 exec, exec, s[36:37]
	v_cmp_gt_u32_e32 vcc, s79, v81
	s_and_saveexec_b64 s[36:37], vcc
	s_cbranch_execz .LBB1976_82
; %bb.81:                               ;   in Loop: Header=BB1976_74 Depth=2
	global_load_ushort v97, v[20:21], off offset:128
.LBB1976_82:                            ;   in Loop: Header=BB1976_74 Depth=2
	s_or_b64 exec, exec, s[36:37]
	v_cmp_gt_u32_e32 vcc, s79, v82
	s_waitcnt vmcnt(3)
	v_mov_b32_e32 v106, -1
	v_mov_b32_e32 v101, -1
	s_and_saveexec_b64 s[36:37], vcc
	s_cbranch_execz .LBB1976_84
; %bb.83:                               ;   in Loop: Header=BB1976_74 Depth=2
	global_load_ushort v101, v[20:21], off offset:256
.LBB1976_84:                            ;   in Loop: Header=BB1976_74 Depth=2
	s_or_b64 exec, exec, s[36:37]
	v_cmp_gt_u32_e32 vcc, s79, v83
	s_and_saveexec_b64 s[36:37], vcc
	s_cbranch_execz .LBB1976_86
; %bb.85:                               ;   in Loop: Header=BB1976_74 Depth=2
	global_load_ushort v106, v[20:21], off offset:384
.LBB1976_86:                            ;   in Loop: Header=BB1976_74 Depth=2
	s_or_b64 exec, exec, s[36:37]
	v_cmp_gt_u32_e32 vcc, s79, v84
	s_waitcnt vmcnt(1)
	v_mov_b32_e32 v104, -1
	v_mov_b32_e32 v109, -1
	s_and_saveexec_b64 s[36:37], vcc
	s_cbranch_execz .LBB1976_88
; %bb.87:                               ;   in Loop: Header=BB1976_74 Depth=2
	global_load_ushort v109, v[20:21], off offset:512
.LBB1976_88:                            ;   in Loop: Header=BB1976_74 Depth=2
	s_or_b64 exec, exec, s[36:37]
	v_cmp_gt_u32_e32 vcc, s79, v85
	s_and_saveexec_b64 s[36:37], vcc
	s_cbranch_execz .LBB1976_90
; %bb.89:                               ;   in Loop: Header=BB1976_74 Depth=2
	global_load_ushort v104, v[20:21], off offset:640
.LBB1976_90:                            ;   in Loop: Header=BB1976_74 Depth=2
	s_or_b64 exec, exec, s[36:37]
	v_cmp_gt_u32_e32 vcc, s79, v86
	s_waitcnt vmcnt(0)
	v_mov_b32_e32 v22, -1
	s_and_saveexec_b64 s[36:37], vcc
	s_cbranch_execz .LBB1976_92
; %bb.91:                               ;   in Loop: Header=BB1976_74 Depth=2
	global_load_ushort v22, v[20:21], off offset:768
.LBB1976_92:                            ;   in Loop: Header=BB1976_74 Depth=2
	s_or_b64 exec, exec, s[36:37]
	s_sub_i32 s40, s76, s72
	v_cmp_gt_u32_e64 s[36:37], s79, v87
	s_mov_b32 s38, -1
	v_mov_b32_e32 v23, s38
	v_mov_b32_e32 v93, s79
	s_and_saveexec_b64 s[38:39], s[36:37]
	s_cbranch_execz .LBB1976_94
.LBB1976_93:                            ;   in Loop: Header=BB1976_74 Depth=2
	s_lshl_b64 s[36:37], s[72:73], 1
	v_mov_b32_e32 v21, s37
	v_add_co_u32_e32 v20, vcc, s36, v90
	v_addc_co_u32_e32 v21, vcc, v91, v21, vcc
	global_load_ushort v23, v[20:21], off
	v_mov_b32_e32 v93, s40
.LBB1976_94:                            ;   in Loop: Header=BB1976_74 Depth=2
	s_or_b64 exec, exec, s[38:39]
	s_waitcnt vmcnt(6)
	v_cmp_gt_i16_e32 vcc, 0, v5
	v_cndmask_b32_e64 v20, v66, 0, vcc
	v_xor_b32_e32 v94, v20, v5
	v_add_u32_e32 v5, 0x410, v41
	v_cmp_ne_u16_e32 vcc, s68, v94
	ds_write2_b32 v5, v4, v4 offset1:1
	ds_write2_b32 v43, v4, v4 offset0:2 offset1:3
	ds_write_b32 v43, v4 offset:16
	v_cndmask_b32_e32 v5, v66, v94, vcc
	v_lshrrev_b32_sdwa v5, s77, v5 dst_sel:DWORD dst_unused:UNUSED_PAD src0_sel:DWORD src1_sel:WORD_0
	v_and_b32_e32 v20, s78, v5
	v_mad_u32_u24 v5, v20, 5, v92
	v_lshl_add_u32 v95, v5, 2, v42
	v_and_b32_e32 v5, 1, v20
	v_add_co_u32_e32 v21, vcc, -1, v5
	v_addc_co_u32_e64 v96, s[36:37], 0, -1, vcc
	v_cmp_ne_u32_e32 vcc, 0, v5
	v_xor_b32_e32 v5, vcc_hi, v96
	v_and_b32_e32 v96, exec_hi, v5
	v_lshlrev_b32_e32 v5, 30, v20
	v_xor_b32_e32 v21, vcc_lo, v21
	v_cmp_gt_i64_e32 vcc, 0, v[4:5]
	v_not_b32_e32 v5, v5
	v_ashrrev_i32_e32 v5, 31, v5
	v_and_b32_e32 v21, exec_lo, v21
	v_xor_b32_e32 v98, vcc_hi, v5
	v_xor_b32_e32 v5, vcc_lo, v5
	v_and_b32_e32 v21, v21, v5
	v_lshlrev_b32_e32 v5, 29, v20
	v_cmp_gt_i64_e32 vcc, 0, v[4:5]
	v_not_b32_e32 v5, v5
	v_ashrrev_i32_e32 v5, 31, v5
	v_and_b32_e32 v96, v96, v98
	v_xor_b32_e32 v98, vcc_hi, v5
	v_xor_b32_e32 v5, vcc_lo, v5
	v_and_b32_e32 v21, v21, v5
	v_lshlrev_b32_e32 v5, 28, v20
	v_cmp_gt_i64_e32 vcc, 0, v[4:5]
	v_not_b32_e32 v5, v5
	v_ashrrev_i32_e32 v5, 31, v5
	v_and_b32_e32 v96, v96, v98
	;; [unrolled: 8-line block ×5, first 2 shown]
	v_xor_b32_e32 v98, vcc_hi, v5
	v_xor_b32_e32 v5, vcc_lo, v5
	v_and_b32_e32 v96, v96, v98
	v_and_b32_e32 v98, v21, v5
	v_lshlrev_b32_e32 v5, 24, v20
	v_cmp_gt_i64_e32 vcc, 0, v[4:5]
	v_not_b32_e32 v5, v5
	v_ashrrev_i32_e32 v5, 31, v5
	v_xor_b32_e32 v20, vcc_hi, v5
	v_xor_b32_e32 v5, vcc_lo, v5
	v_and_b32_e32 v21, v96, v20
	v_and_b32_e32 v20, v98, v5
	v_mbcnt_lo_u32_b32 v5, v20, 0
	v_mbcnt_hi_u32_b32 v96, v21, v5
	v_cmp_eq_u32_e32 vcc, 0, v96
	v_cmp_ne_u64_e64 s[36:37], 0, v[20:21]
	s_and_b64 s[38:39], s[36:37], vcc
	s_waitcnt lgkmcnt(0)
	s_barrier
	s_waitcnt lgkmcnt(0)
	; wave barrier
	s_and_saveexec_b64 s[36:37], s[38:39]
	s_cbranch_execz .LBB1976_96
; %bb.95:                               ;   in Loop: Header=BB1976_74 Depth=2
	v_bcnt_u32_b32 v5, v20, 0
	v_bcnt_u32_b32 v5, v21, v5
	ds_write_b32 v95, v5
.LBB1976_96:                            ;   in Loop: Header=BB1976_74 Depth=2
	s_or_b64 exec, exec, s[36:37]
	s_waitcnt vmcnt(5)
	v_cmp_gt_i16_e32 vcc, 0, v97
	v_cndmask_b32_e64 v5, v66, 0, vcc
	v_xor_b32_e32 v97, v5, v97
	v_cmp_ne_u16_e32 vcc, s68, v97
	v_cndmask_b32_e32 v5, v66, v97, vcc
	v_lshrrev_b32_sdwa v5, s77, v5 dst_sel:DWORD dst_unused:UNUSED_PAD src0_sel:DWORD src1_sel:WORD_0
	v_and_b32_e32 v20, s78, v5
	v_mul_u32_u24_e32 v5, 5, v20
	v_add_lshl_u32 v5, v5, v92, 2
	; wave barrier
	v_add_u32_e32 v99, 0x410, v5
	ds_read_b32 v98, v5 offset:1040
	v_and_b32_e32 v5, 1, v20
	v_add_co_u32_e32 v21, vcc, -1, v5
	v_addc_co_u32_e64 v100, s[36:37], 0, -1, vcc
	v_cmp_ne_u32_e32 vcc, 0, v5
	v_xor_b32_e32 v5, vcc_hi, v100
	v_and_b32_e32 v100, exec_hi, v5
	v_lshlrev_b32_e32 v5, 30, v20
	v_xor_b32_e32 v21, vcc_lo, v21
	v_cmp_gt_i64_e32 vcc, 0, v[4:5]
	v_not_b32_e32 v5, v5
	v_ashrrev_i32_e32 v5, 31, v5
	v_and_b32_e32 v21, exec_lo, v21
	v_xor_b32_e32 v102, vcc_hi, v5
	v_xor_b32_e32 v5, vcc_lo, v5
	v_and_b32_e32 v21, v21, v5
	v_lshlrev_b32_e32 v5, 29, v20
	v_cmp_gt_i64_e32 vcc, 0, v[4:5]
	v_not_b32_e32 v5, v5
	v_ashrrev_i32_e32 v5, 31, v5
	v_and_b32_e32 v100, v100, v102
	v_xor_b32_e32 v102, vcc_hi, v5
	v_xor_b32_e32 v5, vcc_lo, v5
	v_and_b32_e32 v21, v21, v5
	v_lshlrev_b32_e32 v5, 28, v20
	v_cmp_gt_i64_e32 vcc, 0, v[4:5]
	v_not_b32_e32 v5, v5
	v_ashrrev_i32_e32 v5, 31, v5
	v_and_b32_e32 v100, v100, v102
	;; [unrolled: 8-line block ×5, first 2 shown]
	v_xor_b32_e32 v102, vcc_hi, v5
	v_xor_b32_e32 v5, vcc_lo, v5
	v_and_b32_e32 v100, v100, v102
	v_and_b32_e32 v102, v21, v5
	v_lshlrev_b32_e32 v5, 24, v20
	v_cmp_gt_i64_e32 vcc, 0, v[4:5]
	v_not_b32_e32 v5, v5
	v_ashrrev_i32_e32 v5, 31, v5
	v_xor_b32_e32 v20, vcc_hi, v5
	v_xor_b32_e32 v5, vcc_lo, v5
	v_and_b32_e32 v21, v100, v20
	v_and_b32_e32 v20, v102, v5
	v_mbcnt_lo_u32_b32 v5, v20, 0
	v_mbcnt_hi_u32_b32 v100, v21, v5
	v_cmp_eq_u32_e32 vcc, 0, v100
	v_cmp_ne_u64_e64 s[36:37], 0, v[20:21]
	s_and_b64 s[38:39], s[36:37], vcc
	; wave barrier
	s_and_saveexec_b64 s[36:37], s[38:39]
	s_cbranch_execz .LBB1976_98
; %bb.97:                               ;   in Loop: Header=BB1976_74 Depth=2
	v_bcnt_u32_b32 v5, v20, 0
	v_bcnt_u32_b32 v5, v21, v5
	s_waitcnt lgkmcnt(0)
	v_add_u32_e32 v5, v98, v5
	ds_write_b32 v99, v5
.LBB1976_98:                            ;   in Loop: Header=BB1976_74 Depth=2
	s_or_b64 exec, exec, s[36:37]
	s_waitcnt vmcnt(4)
	v_cmp_gt_i16_e32 vcc, 0, v101
	v_cndmask_b32_e64 v5, v66, 0, vcc
	v_xor_b32_e32 v101, v5, v101
	v_cmp_ne_u16_e32 vcc, s68, v101
	v_cndmask_b32_e32 v5, v66, v101, vcc
	v_lshrrev_b32_sdwa v5, s77, v5 dst_sel:DWORD dst_unused:UNUSED_PAD src0_sel:DWORD src1_sel:WORD_0
	v_and_b32_e32 v20, s78, v5
	v_mul_u32_u24_e32 v5, 5, v20
	v_add_lshl_u32 v5, v5, v92, 2
	; wave barrier
	v_add_u32_e32 v103, 0x410, v5
	ds_read_b32 v102, v5 offset:1040
	v_and_b32_e32 v5, 1, v20
	v_add_co_u32_e32 v21, vcc, -1, v5
	v_addc_co_u32_e64 v105, s[36:37], 0, -1, vcc
	v_cmp_ne_u32_e32 vcc, 0, v5
	v_xor_b32_e32 v5, vcc_hi, v105
	v_and_b32_e32 v105, exec_hi, v5
	v_lshlrev_b32_e32 v5, 30, v20
	v_xor_b32_e32 v21, vcc_lo, v21
	v_cmp_gt_i64_e32 vcc, 0, v[4:5]
	v_not_b32_e32 v5, v5
	v_ashrrev_i32_e32 v5, 31, v5
	v_and_b32_e32 v21, exec_lo, v21
	v_xor_b32_e32 v107, vcc_hi, v5
	v_xor_b32_e32 v5, vcc_lo, v5
	v_and_b32_e32 v21, v21, v5
	v_lshlrev_b32_e32 v5, 29, v20
	v_cmp_gt_i64_e32 vcc, 0, v[4:5]
	v_not_b32_e32 v5, v5
	v_ashrrev_i32_e32 v5, 31, v5
	v_and_b32_e32 v105, v105, v107
	v_xor_b32_e32 v107, vcc_hi, v5
	v_xor_b32_e32 v5, vcc_lo, v5
	v_and_b32_e32 v21, v21, v5
	v_lshlrev_b32_e32 v5, 28, v20
	v_cmp_gt_i64_e32 vcc, 0, v[4:5]
	v_not_b32_e32 v5, v5
	v_ashrrev_i32_e32 v5, 31, v5
	v_and_b32_e32 v105, v105, v107
	;; [unrolled: 8-line block ×5, first 2 shown]
	v_xor_b32_e32 v107, vcc_hi, v5
	v_xor_b32_e32 v5, vcc_lo, v5
	v_and_b32_e32 v105, v105, v107
	v_and_b32_e32 v107, v21, v5
	v_lshlrev_b32_e32 v5, 24, v20
	v_cmp_gt_i64_e32 vcc, 0, v[4:5]
	v_not_b32_e32 v5, v5
	v_ashrrev_i32_e32 v5, 31, v5
	v_xor_b32_e32 v20, vcc_hi, v5
	v_xor_b32_e32 v5, vcc_lo, v5
	v_and_b32_e32 v21, v105, v20
	v_and_b32_e32 v20, v107, v5
	v_mbcnt_lo_u32_b32 v5, v20, 0
	v_mbcnt_hi_u32_b32 v105, v21, v5
	v_cmp_eq_u32_e32 vcc, 0, v105
	v_cmp_ne_u64_e64 s[36:37], 0, v[20:21]
	s_and_b64 s[38:39], s[36:37], vcc
	; wave barrier
	s_and_saveexec_b64 s[36:37], s[38:39]
	s_cbranch_execz .LBB1976_100
; %bb.99:                               ;   in Loop: Header=BB1976_74 Depth=2
	v_bcnt_u32_b32 v5, v20, 0
	v_bcnt_u32_b32 v5, v21, v5
	s_waitcnt lgkmcnt(0)
	v_add_u32_e32 v5, v102, v5
	ds_write_b32 v103, v5
.LBB1976_100:                           ;   in Loop: Header=BB1976_74 Depth=2
	s_or_b64 exec, exec, s[36:37]
	s_waitcnt vmcnt(3)
	v_cmp_gt_i16_e32 vcc, 0, v106
	v_cndmask_b32_e64 v5, v66, 0, vcc
	v_xor_b32_e32 v106, v5, v106
	v_cmp_ne_u16_e32 vcc, s68, v106
	v_cndmask_b32_e32 v5, v66, v106, vcc
	v_lshrrev_b32_sdwa v5, s77, v5 dst_sel:DWORD dst_unused:UNUSED_PAD src0_sel:DWORD src1_sel:WORD_0
	v_and_b32_e32 v20, s78, v5
	v_mul_u32_u24_e32 v5, 5, v20
	v_add_lshl_u32 v5, v5, v92, 2
	; wave barrier
	v_add_u32_e32 v108, 0x410, v5
	ds_read_b32 v107, v5 offset:1040
	v_and_b32_e32 v5, 1, v20
	v_add_co_u32_e32 v21, vcc, -1, v5
	v_addc_co_u32_e64 v110, s[36:37], 0, -1, vcc
	v_cmp_ne_u32_e32 vcc, 0, v5
	v_xor_b32_e32 v5, vcc_hi, v110
	v_and_b32_e32 v110, exec_hi, v5
	v_lshlrev_b32_e32 v5, 30, v20
	v_xor_b32_e32 v21, vcc_lo, v21
	v_cmp_gt_i64_e32 vcc, 0, v[4:5]
	v_not_b32_e32 v5, v5
	v_ashrrev_i32_e32 v5, 31, v5
	v_and_b32_e32 v21, exec_lo, v21
	v_xor_b32_e32 v111, vcc_hi, v5
	v_xor_b32_e32 v5, vcc_lo, v5
	v_and_b32_e32 v21, v21, v5
	v_lshlrev_b32_e32 v5, 29, v20
	v_cmp_gt_i64_e32 vcc, 0, v[4:5]
	v_not_b32_e32 v5, v5
	v_ashrrev_i32_e32 v5, 31, v5
	v_and_b32_e32 v110, v110, v111
	v_xor_b32_e32 v111, vcc_hi, v5
	v_xor_b32_e32 v5, vcc_lo, v5
	v_and_b32_e32 v21, v21, v5
	v_lshlrev_b32_e32 v5, 28, v20
	v_cmp_gt_i64_e32 vcc, 0, v[4:5]
	v_not_b32_e32 v5, v5
	v_ashrrev_i32_e32 v5, 31, v5
	v_and_b32_e32 v110, v110, v111
	;; [unrolled: 8-line block ×5, first 2 shown]
	v_xor_b32_e32 v111, vcc_hi, v5
	v_xor_b32_e32 v5, vcc_lo, v5
	v_and_b32_e32 v110, v110, v111
	v_and_b32_e32 v111, v21, v5
	v_lshlrev_b32_e32 v5, 24, v20
	v_cmp_gt_i64_e32 vcc, 0, v[4:5]
	v_not_b32_e32 v5, v5
	v_ashrrev_i32_e32 v5, 31, v5
	v_xor_b32_e32 v20, vcc_hi, v5
	v_xor_b32_e32 v5, vcc_lo, v5
	v_and_b32_e32 v21, v110, v20
	v_and_b32_e32 v20, v111, v5
	v_mbcnt_lo_u32_b32 v5, v20, 0
	v_mbcnt_hi_u32_b32 v110, v21, v5
	v_cmp_eq_u32_e32 vcc, 0, v110
	v_cmp_ne_u64_e64 s[36:37], 0, v[20:21]
	s_and_b64 s[38:39], s[36:37], vcc
	; wave barrier
	s_and_saveexec_b64 s[36:37], s[38:39]
	s_cbranch_execz .LBB1976_102
; %bb.101:                              ;   in Loop: Header=BB1976_74 Depth=2
	v_bcnt_u32_b32 v5, v20, 0
	v_bcnt_u32_b32 v5, v21, v5
	s_waitcnt lgkmcnt(0)
	v_add_u32_e32 v5, v107, v5
	ds_write_b32 v108, v5
.LBB1976_102:                           ;   in Loop: Header=BB1976_74 Depth=2
	s_or_b64 exec, exec, s[36:37]
	s_waitcnt vmcnt(2)
	v_cmp_gt_i16_e32 vcc, 0, v109
	v_cndmask_b32_e64 v5, v66, 0, vcc
	v_xor_b32_e32 v109, v5, v109
	v_cmp_ne_u16_e32 vcc, s68, v109
	v_cndmask_b32_e32 v5, v66, v109, vcc
	v_lshrrev_b32_sdwa v5, s77, v5 dst_sel:DWORD dst_unused:UNUSED_PAD src0_sel:DWORD src1_sel:WORD_0
	v_and_b32_e32 v20, s78, v5
	v_mul_u32_u24_e32 v5, 5, v20
	v_add_lshl_u32 v5, v5, v92, 2
	; wave barrier
	v_add_u32_e32 v112, 0x410, v5
	ds_read_b32 v111, v5 offset:1040
	v_and_b32_e32 v5, 1, v20
	v_add_co_u32_e32 v21, vcc, -1, v5
	v_addc_co_u32_e64 v113, s[36:37], 0, -1, vcc
	v_cmp_ne_u32_e32 vcc, 0, v5
	v_xor_b32_e32 v5, vcc_hi, v113
	v_and_b32_e32 v113, exec_hi, v5
	v_lshlrev_b32_e32 v5, 30, v20
	v_xor_b32_e32 v21, vcc_lo, v21
	v_cmp_gt_i64_e32 vcc, 0, v[4:5]
	v_not_b32_e32 v5, v5
	v_ashrrev_i32_e32 v5, 31, v5
	v_and_b32_e32 v21, exec_lo, v21
	v_xor_b32_e32 v114, vcc_hi, v5
	v_xor_b32_e32 v5, vcc_lo, v5
	v_and_b32_e32 v21, v21, v5
	v_lshlrev_b32_e32 v5, 29, v20
	v_cmp_gt_i64_e32 vcc, 0, v[4:5]
	v_not_b32_e32 v5, v5
	v_ashrrev_i32_e32 v5, 31, v5
	v_and_b32_e32 v113, v113, v114
	v_xor_b32_e32 v114, vcc_hi, v5
	v_xor_b32_e32 v5, vcc_lo, v5
	v_and_b32_e32 v21, v21, v5
	v_lshlrev_b32_e32 v5, 28, v20
	v_cmp_gt_i64_e32 vcc, 0, v[4:5]
	v_not_b32_e32 v5, v5
	v_ashrrev_i32_e32 v5, 31, v5
	v_and_b32_e32 v113, v113, v114
	;; [unrolled: 8-line block ×5, first 2 shown]
	v_xor_b32_e32 v114, vcc_hi, v5
	v_xor_b32_e32 v5, vcc_lo, v5
	v_and_b32_e32 v113, v113, v114
	v_and_b32_e32 v114, v21, v5
	v_lshlrev_b32_e32 v5, 24, v20
	v_cmp_gt_i64_e32 vcc, 0, v[4:5]
	v_not_b32_e32 v5, v5
	v_ashrrev_i32_e32 v5, 31, v5
	v_xor_b32_e32 v20, vcc_hi, v5
	v_xor_b32_e32 v5, vcc_lo, v5
	v_and_b32_e32 v21, v113, v20
	v_and_b32_e32 v20, v114, v5
	v_mbcnt_lo_u32_b32 v5, v20, 0
	v_mbcnt_hi_u32_b32 v113, v21, v5
	v_cmp_eq_u32_e32 vcc, 0, v113
	v_cmp_ne_u64_e64 s[36:37], 0, v[20:21]
	s_and_b64 s[38:39], s[36:37], vcc
	; wave barrier
	s_and_saveexec_b64 s[36:37], s[38:39]
	s_cbranch_execz .LBB1976_104
; %bb.103:                              ;   in Loop: Header=BB1976_74 Depth=2
	v_bcnt_u32_b32 v5, v20, 0
	v_bcnt_u32_b32 v5, v21, v5
	s_waitcnt lgkmcnt(0)
	v_add_u32_e32 v5, v111, v5
	ds_write_b32 v112, v5
.LBB1976_104:                           ;   in Loop: Header=BB1976_74 Depth=2
	s_or_b64 exec, exec, s[36:37]
	s_waitcnt vmcnt(1)
	v_cmp_gt_i16_e32 vcc, 0, v104
	v_cndmask_b32_e64 v5, v66, 0, vcc
	v_xor_b32_e32 v104, v5, v104
	v_cmp_ne_u16_e32 vcc, s68, v104
	v_cndmask_b32_e32 v5, v66, v104, vcc
	v_lshrrev_b32_sdwa v5, s77, v5 dst_sel:DWORD dst_unused:UNUSED_PAD src0_sel:DWORD src1_sel:WORD_0
	v_and_b32_e32 v20, s78, v5
	v_mul_u32_u24_e32 v5, 5, v20
	v_add_lshl_u32 v5, v5, v92, 2
	; wave barrier
	v_add_u32_e32 v115, 0x410, v5
	ds_read_b32 v114, v5 offset:1040
	v_and_b32_e32 v5, 1, v20
	v_add_co_u32_e32 v21, vcc, -1, v5
	v_addc_co_u32_e64 v116, s[36:37], 0, -1, vcc
	v_cmp_ne_u32_e32 vcc, 0, v5
	v_xor_b32_e32 v5, vcc_hi, v116
	v_and_b32_e32 v116, exec_hi, v5
	v_lshlrev_b32_e32 v5, 30, v20
	v_xor_b32_e32 v21, vcc_lo, v21
	v_cmp_gt_i64_e32 vcc, 0, v[4:5]
	v_not_b32_e32 v5, v5
	v_ashrrev_i32_e32 v5, 31, v5
	v_and_b32_e32 v21, exec_lo, v21
	v_xor_b32_e32 v117, vcc_hi, v5
	v_xor_b32_e32 v5, vcc_lo, v5
	v_and_b32_e32 v21, v21, v5
	v_lshlrev_b32_e32 v5, 29, v20
	v_cmp_gt_i64_e32 vcc, 0, v[4:5]
	v_not_b32_e32 v5, v5
	v_ashrrev_i32_e32 v5, 31, v5
	v_and_b32_e32 v116, v116, v117
	v_xor_b32_e32 v117, vcc_hi, v5
	v_xor_b32_e32 v5, vcc_lo, v5
	v_and_b32_e32 v21, v21, v5
	v_lshlrev_b32_e32 v5, 28, v20
	v_cmp_gt_i64_e32 vcc, 0, v[4:5]
	v_not_b32_e32 v5, v5
	v_ashrrev_i32_e32 v5, 31, v5
	v_and_b32_e32 v116, v116, v117
	;; [unrolled: 8-line block ×5, first 2 shown]
	v_xor_b32_e32 v117, vcc_hi, v5
	v_xor_b32_e32 v5, vcc_lo, v5
	v_and_b32_e32 v116, v116, v117
	v_and_b32_e32 v117, v21, v5
	v_lshlrev_b32_e32 v5, 24, v20
	v_cmp_gt_i64_e32 vcc, 0, v[4:5]
	v_not_b32_e32 v5, v5
	v_ashrrev_i32_e32 v5, 31, v5
	v_xor_b32_e32 v20, vcc_hi, v5
	v_xor_b32_e32 v5, vcc_lo, v5
	v_and_b32_e32 v21, v116, v20
	v_and_b32_e32 v20, v117, v5
	v_mbcnt_lo_u32_b32 v5, v20, 0
	v_mbcnt_hi_u32_b32 v116, v21, v5
	v_cmp_eq_u32_e32 vcc, 0, v116
	v_cmp_ne_u64_e64 s[36:37], 0, v[20:21]
	s_and_b64 s[38:39], s[36:37], vcc
	; wave barrier
	s_and_saveexec_b64 s[36:37], s[38:39]
	s_cbranch_execz .LBB1976_106
; %bb.105:                              ;   in Loop: Header=BB1976_74 Depth=2
	v_bcnt_u32_b32 v5, v20, 0
	v_bcnt_u32_b32 v5, v21, v5
	s_waitcnt lgkmcnt(0)
	v_add_u32_e32 v5, v114, v5
	ds_write_b32 v115, v5
.LBB1976_106:                           ;   in Loop: Header=BB1976_74 Depth=2
	s_or_b64 exec, exec, s[36:37]
	s_waitcnt vmcnt(0)
	v_cmp_gt_i16_e32 vcc, 0, v22
	v_cndmask_b32_e64 v5, v66, 0, vcc
	v_xor_b32_e32 v117, v5, v22
	v_cmp_ne_u16_e32 vcc, s68, v117
	v_cndmask_b32_e32 v5, v66, v117, vcc
	v_lshrrev_b32_sdwa v5, s77, v5 dst_sel:DWORD dst_unused:UNUSED_PAD src0_sel:DWORD src1_sel:WORD_0
	v_and_b32_e32 v20, s78, v5
	v_mul_u32_u24_e32 v5, 5, v20
	v_add_lshl_u32 v5, v5, v92, 2
	; wave barrier
	v_add_u32_e32 v119, 0x410, v5
	ds_read_b32 v118, v5 offset:1040
	v_and_b32_e32 v5, 1, v20
	v_add_co_u32_e32 v21, vcc, -1, v5
	v_addc_co_u32_e64 v22, s[36:37], 0, -1, vcc
	v_cmp_ne_u32_e32 vcc, 0, v5
	v_xor_b32_e32 v5, vcc_hi, v22
	v_and_b32_e32 v22, exec_hi, v5
	v_lshlrev_b32_e32 v5, 30, v20
	v_xor_b32_e32 v21, vcc_lo, v21
	v_cmp_gt_i64_e32 vcc, 0, v[4:5]
	v_not_b32_e32 v5, v5
	v_ashrrev_i32_e32 v5, 31, v5
	v_and_b32_e32 v21, exec_lo, v21
	v_xor_b32_e32 v120, vcc_hi, v5
	v_xor_b32_e32 v5, vcc_lo, v5
	v_and_b32_e32 v21, v21, v5
	v_lshlrev_b32_e32 v5, 29, v20
	v_cmp_gt_i64_e32 vcc, 0, v[4:5]
	v_not_b32_e32 v5, v5
	v_ashrrev_i32_e32 v5, 31, v5
	v_and_b32_e32 v22, v22, v120
	v_xor_b32_e32 v120, vcc_hi, v5
	v_xor_b32_e32 v5, vcc_lo, v5
	v_and_b32_e32 v21, v21, v5
	v_lshlrev_b32_e32 v5, 28, v20
	v_cmp_gt_i64_e32 vcc, 0, v[4:5]
	v_not_b32_e32 v5, v5
	v_ashrrev_i32_e32 v5, 31, v5
	v_and_b32_e32 v22, v22, v120
	;; [unrolled: 8-line block ×5, first 2 shown]
	v_xor_b32_e32 v120, vcc_hi, v5
	v_xor_b32_e32 v5, vcc_lo, v5
	v_and_b32_e32 v22, v22, v120
	v_and_b32_e32 v120, v21, v5
	v_lshlrev_b32_e32 v5, 24, v20
	v_cmp_gt_i64_e32 vcc, 0, v[4:5]
	v_not_b32_e32 v5, v5
	v_ashrrev_i32_e32 v5, 31, v5
	v_xor_b32_e32 v20, vcc_hi, v5
	v_xor_b32_e32 v5, vcc_lo, v5
	v_and_b32_e32 v21, v22, v20
	v_and_b32_e32 v20, v120, v5
	v_mbcnt_lo_u32_b32 v5, v20, 0
	v_mbcnt_hi_u32_b32 v120, v21, v5
	v_cmp_eq_u32_e32 vcc, 0, v120
	v_cmp_ne_u64_e64 s[36:37], 0, v[20:21]
	s_and_b64 s[38:39], s[36:37], vcc
	; wave barrier
	s_and_saveexec_b64 s[36:37], s[38:39]
	s_cbranch_execz .LBB1976_108
; %bb.107:                              ;   in Loop: Header=BB1976_74 Depth=2
	v_bcnt_u32_b32 v5, v20, 0
	v_bcnt_u32_b32 v5, v21, v5
	s_waitcnt lgkmcnt(0)
	v_add_u32_e32 v5, v118, v5
	ds_write_b32 v119, v5
.LBB1976_108:                           ;   in Loop: Header=BB1976_74 Depth=2
	s_or_b64 exec, exec, s[36:37]
	v_cmp_gt_i16_e32 vcc, 0, v23
	v_cndmask_b32_e64 v5, v66, 0, vcc
	v_xor_b32_e32 v121, v5, v23
	v_cmp_ne_u16_e32 vcc, s68, v121
	v_cndmask_b32_e32 v5, v66, v121, vcc
	v_lshrrev_b32_sdwa v5, s77, v5 dst_sel:DWORD dst_unused:UNUSED_PAD src0_sel:DWORD src1_sel:WORD_0
	v_and_b32_e32 v20, s78, v5
	v_mul_u32_u24_e32 v5, 5, v20
	v_add_lshl_u32 v5, v5, v92, 2
	; wave barrier
	v_add_u32_e32 v123, 0x410, v5
	ds_read_b32 v122, v5 offset:1040
	v_and_b32_e32 v5, 1, v20
	v_add_co_u32_e32 v21, vcc, -1, v5
	v_addc_co_u32_e64 v22, s[36:37], 0, -1, vcc
	v_cmp_ne_u32_e32 vcc, 0, v5
	v_xor_b32_e32 v5, vcc_hi, v22
	v_and_b32_e32 v22, exec_hi, v5
	v_lshlrev_b32_e32 v5, 30, v20
	v_xor_b32_e32 v21, vcc_lo, v21
	v_cmp_gt_i64_e32 vcc, 0, v[4:5]
	v_not_b32_e32 v5, v5
	v_ashrrev_i32_e32 v5, 31, v5
	v_and_b32_e32 v21, exec_lo, v21
	v_xor_b32_e32 v23, vcc_hi, v5
	v_xor_b32_e32 v5, vcc_lo, v5
	v_and_b32_e32 v21, v21, v5
	v_lshlrev_b32_e32 v5, 29, v20
	v_cmp_gt_i64_e32 vcc, 0, v[4:5]
	v_not_b32_e32 v5, v5
	v_ashrrev_i32_e32 v5, 31, v5
	v_and_b32_e32 v22, v22, v23
	v_xor_b32_e32 v23, vcc_hi, v5
	v_xor_b32_e32 v5, vcc_lo, v5
	v_and_b32_e32 v21, v21, v5
	v_lshlrev_b32_e32 v5, 28, v20
	v_cmp_gt_i64_e32 vcc, 0, v[4:5]
	v_not_b32_e32 v5, v5
	v_ashrrev_i32_e32 v5, 31, v5
	v_and_b32_e32 v22, v22, v23
	;; [unrolled: 8-line block ×5, first 2 shown]
	v_xor_b32_e32 v23, vcc_hi, v5
	v_xor_b32_e32 v5, vcc_lo, v5
	v_and_b32_e32 v22, v22, v23
	v_and_b32_e32 v23, v21, v5
	v_lshlrev_b32_e32 v5, 24, v20
	v_cmp_gt_i64_e32 vcc, 0, v[4:5]
	v_not_b32_e32 v5, v5
	v_ashrrev_i32_e32 v5, 31, v5
	v_xor_b32_e32 v20, vcc_hi, v5
	v_xor_b32_e32 v5, vcc_lo, v5
	v_and_b32_e32 v21, v22, v20
	v_and_b32_e32 v20, v23, v5
	v_mbcnt_lo_u32_b32 v5, v20, 0
	v_mbcnt_hi_u32_b32 v124, v21, v5
	v_cmp_eq_u32_e32 vcc, 0, v124
	v_cmp_ne_u64_e64 s[36:37], 0, v[20:21]
	s_and_b64 s[38:39], s[36:37], vcc
	; wave barrier
	s_and_saveexec_b64 s[36:37], s[38:39]
	s_cbranch_execz .LBB1976_110
; %bb.109:                              ;   in Loop: Header=BB1976_74 Depth=2
	v_bcnt_u32_b32 v5, v20, 0
	v_bcnt_u32_b32 v5, v21, v5
	s_waitcnt lgkmcnt(0)
	v_add_u32_e32 v5, v122, v5
	ds_write_b32 v123, v5
.LBB1976_110:                           ;   in Loop: Header=BB1976_74 Depth=2
	s_or_b64 exec, exec, s[36:37]
	; wave barrier
	s_waitcnt lgkmcnt(0)
	s_barrier
	ds_read_b32 v5, v41 offset:1040
	ds_read2_b32 v[22:23], v43 offset0:1 offset1:2
	ds_read2_b32 v[20:21], v43 offset0:3 offset1:4
	s_waitcnt lgkmcnt(1)
	v_add3_u32 v125, v22, v5, v23
	s_waitcnt lgkmcnt(0)
	v_add3_u32 v21, v125, v20, v21
	s_nop 1
	v_mov_b32_dpp v125, v21 row_shr:1 row_mask:0xf bank_mask:0xf
	v_cndmask_b32_e64 v125, v125, 0, s[16:17]
	v_add_u32_e32 v21, v125, v21
	s_nop 1
	v_mov_b32_dpp v125, v21 row_shr:2 row_mask:0xf bank_mask:0xf
	v_cndmask_b32_e64 v125, 0, v125, s[18:19]
	v_add_u32_e32 v21, v21, v125
	;; [unrolled: 4-line block ×4, first 2 shown]
	s_nop 1
	v_mov_b32_dpp v125, v21 row_bcast:15 row_mask:0xf bank_mask:0xf
	v_cndmask_b32_e64 v125, v125, 0, s[24:25]
	v_add_u32_e32 v21, v21, v125
	s_nop 1
	v_mov_b32_dpp v125, v21 row_bcast:31 row_mask:0xf bank_mask:0xf
	v_cndmask_b32_e64 v125, 0, v125, s[26:27]
	v_add_u32_e32 v21, v21, v125
	s_and_saveexec_b64 s[36:37], s[6:7]
	s_cbranch_execz .LBB1976_112
; %bb.111:                              ;   in Loop: Header=BB1976_74 Depth=2
	ds_write_b32 v34, v21 offset:1024
.LBB1976_112:                           ;   in Loop: Header=BB1976_74 Depth=2
	s_or_b64 exec, exec, s[36:37]
	s_waitcnt lgkmcnt(0)
	s_barrier
	s_and_saveexec_b64 s[36:37], s[8:9]
	s_cbranch_execz .LBB1976_114
; %bb.113:                              ;   in Loop: Header=BB1976_74 Depth=2
	ds_read_b32 v125, v44 offset:1024
	s_waitcnt lgkmcnt(0)
	s_nop 0
	v_mov_b32_dpp v126, v125 row_shr:1 row_mask:0xf bank_mask:0xf
	v_cndmask_b32_e64 v126, v126, 0, s[30:31]
	v_add_u32_e32 v125, v126, v125
	s_nop 1
	v_mov_b32_dpp v126, v125 row_shr:2 row_mask:0xf bank_mask:0xf
	v_cndmask_b32_e64 v126, 0, v126, s[34:35]
	v_add_u32_e32 v125, v125, v126
	ds_write_b32 v44, v125 offset:1024
.LBB1976_114:                           ;   in Loop: Header=BB1976_74 Depth=2
	s_or_b64 exec, exec, s[36:37]
	v_mov_b32_e32 v125, 0
	s_waitcnt lgkmcnt(0)
	s_barrier
	s_and_saveexec_b64 s[36:37], s[10:11]
	s_cbranch_execz .LBB1976_116
; %bb.115:                              ;   in Loop: Header=BB1976_74 Depth=2
	ds_read_b32 v125, v34 offset:1020
.LBB1976_116:                           ;   in Loop: Header=BB1976_74 Depth=2
	s_or_b64 exec, exec, s[36:37]
	s_waitcnt lgkmcnt(0)
	v_add_u32_e32 v21, v125, v21
	ds_bpermute_b32 v21, v69, v21
	s_waitcnt lgkmcnt(0)
	v_cndmask_b32_e64 v21, v21, v125, s[28:29]
	v_cndmask_b32_e64 v21, v21, 0, s[12:13]
	v_add_u32_e32 v5, v21, v5
	ds_write_b32 v41, v21 offset:1040
	v_add_u32_e32 v21, v5, v22
	v_add_u32_e32 v22, v21, v23
	ds_write2_b32 v43, v5, v21 offset0:1 offset1:2
	v_add_u32_e32 v5, v22, v20
	ds_write2_b32 v43, v22, v5 offset0:3 offset1:4
	s_waitcnt lgkmcnt(0)
	s_barrier
	ds_read_b32 v20, v99
	ds_read_b32 v21, v103
	;; [unrolled: 1-line block ×8, first 2 shown]
	ds_read_b32 v99, v41 offset:1040
	v_mov_b32_e32 v5, 0x800
	s_and_saveexec_b64 s[36:37], s[14:15]
	s_cbranch_execz .LBB1976_118
; %bb.117:                              ;   in Loop: Header=BB1976_74 Depth=2
	ds_read_b32 v5, v41 offset:1060
.LBB1976_118:                           ;   in Loop: Header=BB1976_74 Depth=2
	s_or_b64 exec, exec, s[36:37]
	s_waitcnt lgkmcnt(0)
	s_barrier
	s_and_saveexec_b64 s[36:37], s[4:5]
	s_cbranch_execz .LBB1976_120
; %bb.119:                              ;   in Loop: Header=BB1976_74 Depth=2
	ds_read_b32 v103, v3
	s_waitcnt lgkmcnt(0)
	v_sub_u32_e32 v99, v103, v99
	ds_write_b32 v3, v99
.LBB1976_120:                           ;   in Loop: Header=BB1976_74 Depth=2
	s_or_b64 exec, exec, s[36:37]
	v_add_u32_e32 v103, v95, v96
	v_add3_u32 v100, v100, v98, v20
	v_lshlrev_b32_e32 v20, 1, v103
	v_add3_u32 v99, v105, v102, v21
	ds_write_b16 v20, v94 offset:1024
	v_lshlrev_b32_e32 v20, 1, v100
	v_add3_u32 v98, v110, v107, v22
	ds_write_b16 v20, v97 offset:1024
	;; [unrolled: 3-line block ×6, first 2 shown]
	v_lshlrev_b32_e32 v20, 1, v23
	ds_write_b16 v20, v117 offset:1024
	v_lshlrev_b32_e32 v20, 1, v22
	v_cmp_lt_u32_e32 vcc, v2, v93
	ds_write_b16 v20, v121 offset:1024
	s_waitcnt lgkmcnt(0)
	s_barrier
	s_and_saveexec_b64 s[38:39], vcc
	s_cbranch_execz .LBB1976_128
; %bb.121:                              ;   in Loop: Header=BB1976_74 Depth=2
	ds_read_u16 v20, v49 offset:1024
	v_mov_b32_e32 v21, v4
	v_mov_b32_e32 v97, s59
	s_waitcnt lgkmcnt(0)
	v_cmp_ne_u16_e64 s[36:37], s68, v20
	v_cndmask_b32_e64 v94, v66, v20, s[36:37]
	v_lshrrev_b32_sdwa v94, s77, v94 dst_sel:DWORD dst_unused:UNUSED_PAD src0_sel:DWORD src1_sel:WORD_0
	v_and_b32_e32 v94, s78, v94
	v_lshlrev_b32_e32 v94, 2, v94
	ds_read_b32 v94, v94
	v_cmp_gt_i16_e64 s[36:37], 0, v20
	v_cndmask_b32_e64 v101, v66, 0, s[36:37]
	v_xor_b32_e32 v101, v101, v20
	s_waitcnt lgkmcnt(0)
	v_add_u32_e32 v20, v94, v2
	v_lshlrev_b64 v[20:21], 1, v[20:21]
	v_add_co_u32_e64 v20, s[36:37], s58, v20
	v_addc_co_u32_e64 v21, s[36:37], v97, v21, s[36:37]
	global_store_short v[20:21], v101, off
	s_or_b64 exec, exec, s[38:39]
	v_cmp_lt_u32_e64 s[36:37], v24, v93
	s_and_saveexec_b64 s[40:41], s[36:37]
	s_cbranch_execnz .LBB1976_129
.LBB1976_122:                           ;   in Loop: Header=BB1976_74 Depth=2
	s_or_b64 exec, exec, s[40:41]
	v_cmp_lt_u32_e64 s[38:39], v25, v93
	s_and_saveexec_b64 s[42:43], s[38:39]
	s_cbranch_execz .LBB1976_130
.LBB1976_123:                           ;   in Loop: Header=BB1976_74 Depth=2
	ds_read_u16 v20, v50 offset:1024
	v_mov_b32_e32 v21, v4
	v_mov_b32_e32 v97, s59
	s_waitcnt lgkmcnt(0)
	v_cmp_ne_u16_e64 s[40:41], s68, v20
	v_cndmask_b32_e64 v94, v66, v20, s[40:41]
	v_lshrrev_b32_sdwa v94, s77, v94 dst_sel:DWORD dst_unused:UNUSED_PAD src0_sel:DWORD src1_sel:WORD_0
	v_and_b32_e32 v94, s78, v94
	v_lshlrev_b32_e32 v94, 2, v94
	ds_read_b32 v94, v94
	v_cmp_gt_i16_e64 s[40:41], 0, v20
	v_cndmask_b32_e64 v101, v66, 0, s[40:41]
	v_xor_b32_e32 v101, v101, v20
	s_waitcnt lgkmcnt(0)
	v_add_u32_e32 v20, v94, v25
	v_lshlrev_b64 v[20:21], 1, v[20:21]
	v_add_co_u32_e64 v20, s[40:41], s58, v20
	v_addc_co_u32_e64 v21, s[40:41], v97, v21, s[40:41]
	global_store_short v[20:21], v101, off
	s_or_b64 exec, exec, s[42:43]
	v_cmp_lt_u32_e64 s[40:41], v26, v93
	s_and_saveexec_b64 s[44:45], s[40:41]
	s_cbranch_execnz .LBB1976_131
.LBB1976_124:                           ;   in Loop: Header=BB1976_74 Depth=2
	s_or_b64 exec, exec, s[44:45]
	v_cmp_lt_u32_e64 s[42:43], v29, v93
	s_and_saveexec_b64 s[46:47], s[42:43]
	s_cbranch_execz .LBB1976_132
.LBB1976_125:                           ;   in Loop: Header=BB1976_74 Depth=2
	ds_read_u16 v20, v50 offset:2048
	v_mov_b32_e32 v21, v4
	v_mov_b32_e32 v97, s59
	s_waitcnt lgkmcnt(0)
	v_cmp_ne_u16_e64 s[44:45], s68, v20
	v_cndmask_b32_e64 v94, v66, v20, s[44:45]
	v_lshrrev_b32_sdwa v94, s77, v94 dst_sel:DWORD dst_unused:UNUSED_PAD src0_sel:DWORD src1_sel:WORD_0
	v_and_b32_e32 v94, s78, v94
	v_lshlrev_b32_e32 v94, 2, v94
	ds_read_b32 v94, v94
	v_cmp_gt_i16_e64 s[44:45], 0, v20
	v_cndmask_b32_e64 v101, v66, 0, s[44:45]
	v_xor_b32_e32 v101, v101, v20
	s_waitcnt lgkmcnt(0)
	v_add_u32_e32 v20, v94, v29
	v_lshlrev_b64 v[20:21], 1, v[20:21]
	v_add_co_u32_e64 v20, s[44:45], s58, v20
	v_addc_co_u32_e64 v21, s[44:45], v97, v21, s[44:45]
	global_store_short v[20:21], v101, off
	s_or_b64 exec, exec, s[46:47]
	v_cmp_lt_u32_e64 s[44:45], v30, v93
	s_and_saveexec_b64 s[48:49], s[44:45]
	s_cbranch_execnz .LBB1976_133
.LBB1976_126:                           ;   in Loop: Header=BB1976_74 Depth=2
	s_or_b64 exec, exec, s[48:49]
	v_cmp_lt_u32_e64 s[46:47], v31, v93
	s_and_saveexec_b64 s[52:53], s[46:47]
	s_cbranch_execz .LBB1976_134
.LBB1976_127:                           ;   in Loop: Header=BB1976_74 Depth=2
	ds_read_u16 v20, v50 offset:3072
	v_mov_b32_e32 v21, v4
	v_mov_b32_e32 v97, s59
	s_waitcnt lgkmcnt(0)
	v_cmp_ne_u16_e64 s[48:49], s68, v20
	v_cndmask_b32_e64 v94, v66, v20, s[48:49]
	v_lshrrev_b32_sdwa v94, s77, v94 dst_sel:DWORD dst_unused:UNUSED_PAD src0_sel:DWORD src1_sel:WORD_0
	v_and_b32_e32 v94, s78, v94
	v_lshlrev_b32_e32 v94, 2, v94
	ds_read_b32 v94, v94
	v_cmp_gt_i16_e64 s[48:49], 0, v20
	v_cndmask_b32_e64 v101, v66, 0, s[48:49]
	v_xor_b32_e32 v101, v101, v20
	s_waitcnt lgkmcnt(0)
	v_add_u32_e32 v20, v94, v31
	v_lshlrev_b64 v[20:21], 1, v[20:21]
	v_add_co_u32_e64 v20, s[48:49], s58, v20
	v_addc_co_u32_e64 v21, s[48:49], v97, v21, s[48:49]
	global_store_short v[20:21], v101, off
	s_or_b64 exec, exec, s[52:53]
	v_cmp_lt_u32_e64 s[48:49], v32, v93
	s_and_saveexec_b64 s[62:63], s[48:49]
	s_cbranch_execnz .LBB1976_135
	s_branch .LBB1976_136
.LBB1976_128:                           ;   in Loop: Header=BB1976_74 Depth=2
	s_or_b64 exec, exec, s[38:39]
	v_cmp_lt_u32_e64 s[36:37], v24, v93
	s_and_saveexec_b64 s[40:41], s[36:37]
	s_cbranch_execz .LBB1976_122
.LBB1976_129:                           ;   in Loop: Header=BB1976_74 Depth=2
	ds_read_u16 v20, v50 offset:512
	v_mov_b32_e32 v21, v4
	v_mov_b32_e32 v97, s59
	s_waitcnt lgkmcnt(0)
	v_cmp_ne_u16_e64 s[38:39], s68, v20
	v_cndmask_b32_e64 v94, v66, v20, s[38:39]
	v_lshrrev_b32_sdwa v94, s77, v94 dst_sel:DWORD dst_unused:UNUSED_PAD src0_sel:DWORD src1_sel:WORD_0
	v_and_b32_e32 v94, s78, v94
	v_lshlrev_b32_e32 v94, 2, v94
	ds_read_b32 v94, v94
	v_cmp_gt_i16_e64 s[38:39], 0, v20
	v_cndmask_b32_e64 v101, v66, 0, s[38:39]
	v_xor_b32_e32 v101, v101, v20
	s_waitcnt lgkmcnt(0)
	v_add_u32_e32 v20, v94, v24
	v_lshlrev_b64 v[20:21], 1, v[20:21]
	v_add_co_u32_e64 v20, s[38:39], s58, v20
	v_addc_co_u32_e64 v21, s[38:39], v97, v21, s[38:39]
	global_store_short v[20:21], v101, off
	s_or_b64 exec, exec, s[40:41]
	v_cmp_lt_u32_e64 s[38:39], v25, v93
	s_and_saveexec_b64 s[42:43], s[38:39]
	s_cbranch_execnz .LBB1976_123
.LBB1976_130:                           ;   in Loop: Header=BB1976_74 Depth=2
	s_or_b64 exec, exec, s[42:43]
	v_cmp_lt_u32_e64 s[40:41], v26, v93
	s_and_saveexec_b64 s[44:45], s[40:41]
	s_cbranch_execz .LBB1976_124
.LBB1976_131:                           ;   in Loop: Header=BB1976_74 Depth=2
	ds_read_u16 v20, v50 offset:1536
	v_mov_b32_e32 v21, v4
	v_mov_b32_e32 v97, s59
	s_waitcnt lgkmcnt(0)
	v_cmp_ne_u16_e64 s[42:43], s68, v20
	v_cndmask_b32_e64 v94, v66, v20, s[42:43]
	v_lshrrev_b32_sdwa v94, s77, v94 dst_sel:DWORD dst_unused:UNUSED_PAD src0_sel:DWORD src1_sel:WORD_0
	v_and_b32_e32 v94, s78, v94
	v_lshlrev_b32_e32 v94, 2, v94
	ds_read_b32 v94, v94
	v_cmp_gt_i16_e64 s[42:43], 0, v20
	v_cndmask_b32_e64 v101, v66, 0, s[42:43]
	v_xor_b32_e32 v101, v101, v20
	s_waitcnt lgkmcnt(0)
	v_add_u32_e32 v20, v94, v26
	v_lshlrev_b64 v[20:21], 1, v[20:21]
	v_add_co_u32_e64 v20, s[42:43], s58, v20
	v_addc_co_u32_e64 v21, s[42:43], v97, v21, s[42:43]
	global_store_short v[20:21], v101, off
	s_or_b64 exec, exec, s[44:45]
	v_cmp_lt_u32_e64 s[42:43], v29, v93
	s_and_saveexec_b64 s[46:47], s[42:43]
	s_cbranch_execnz .LBB1976_125
.LBB1976_132:                           ;   in Loop: Header=BB1976_74 Depth=2
	s_or_b64 exec, exec, s[46:47]
	v_cmp_lt_u32_e64 s[44:45], v30, v93
	s_and_saveexec_b64 s[48:49], s[44:45]
	s_cbranch_execz .LBB1976_126
.LBB1976_133:                           ;   in Loop: Header=BB1976_74 Depth=2
	ds_read_u16 v20, v50 offset:2560
	v_mov_b32_e32 v21, v4
	v_mov_b32_e32 v97, s59
	s_waitcnt lgkmcnt(0)
	v_cmp_ne_u16_e64 s[46:47], s68, v20
	v_cndmask_b32_e64 v94, v66, v20, s[46:47]
	v_lshrrev_b32_sdwa v94, s77, v94 dst_sel:DWORD dst_unused:UNUSED_PAD src0_sel:DWORD src1_sel:WORD_0
	v_and_b32_e32 v94, s78, v94
	v_lshlrev_b32_e32 v94, 2, v94
	ds_read_b32 v94, v94
	v_cmp_gt_i16_e64 s[46:47], 0, v20
	v_cndmask_b32_e64 v101, v66, 0, s[46:47]
	v_xor_b32_e32 v101, v101, v20
	s_waitcnt lgkmcnt(0)
	v_add_u32_e32 v20, v94, v30
	v_lshlrev_b64 v[20:21], 1, v[20:21]
	v_add_co_u32_e64 v20, s[46:47], s58, v20
	v_addc_co_u32_e64 v21, s[46:47], v97, v21, s[46:47]
	global_store_short v[20:21], v101, off
	s_or_b64 exec, exec, s[48:49]
	v_cmp_lt_u32_e64 s[46:47], v31, v93
	s_and_saveexec_b64 s[52:53], s[46:47]
	s_cbranch_execnz .LBB1976_127
.LBB1976_134:                           ;   in Loop: Header=BB1976_74 Depth=2
	s_or_b64 exec, exec, s[52:53]
	v_cmp_lt_u32_e64 s[48:49], v32, v93
	s_and_saveexec_b64 s[62:63], s[48:49]
	s_cbranch_execz .LBB1976_136
.LBB1976_135:                           ;   in Loop: Header=BB1976_74 Depth=2
	ds_read_u16 v20, v50 offset:3584
	v_mov_b32_e32 v21, v4
	v_mov_b32_e32 v97, s59
	s_waitcnt lgkmcnt(0)
	v_cmp_ne_u16_e64 s[52:53], s68, v20
	v_cndmask_b32_e64 v94, v66, v20, s[52:53]
	v_lshrrev_b32_sdwa v94, s77, v94 dst_sel:DWORD dst_unused:UNUSED_PAD src0_sel:DWORD src1_sel:WORD_0
	v_and_b32_e32 v94, s78, v94
	v_lshlrev_b32_e32 v94, 2, v94
	ds_read_b32 v94, v94
	v_cmp_gt_i16_e64 s[52:53], 0, v20
	v_cndmask_b32_e64 v101, v66, 0, s[52:53]
	v_xor_b32_e32 v101, v101, v20
	s_waitcnt lgkmcnt(0)
	v_add_u32_e32 v20, v94, v32
	v_lshlrev_b64 v[20:21], 1, v[20:21]
	v_add_co_u32_e64 v20, s[52:53], s58, v20
	v_addc_co_u32_e64 v21, s[52:53], v97, v21, s[52:53]
	global_store_short v[20:21], v101, off
.LBB1976_136:                           ;   in Loop: Header=BB1976_74 Depth=2
	s_or_b64 exec, exec, s[62:63]
	s_lshl_b64 s[52:53], s[72:73], 3
	v_mov_b32_e32 v21, s53
	v_add_co_u32_e64 v20, s[52:53], s52, v77
	v_addc_co_u32_e64 v21, s[52:53], v79, v21, s[52:53]
	v_cmp_lt_u32_e64 s[52:53], v74, v93
	s_and_saveexec_b64 s[62:63], s[52:53]
	s_xor_b64 s[52:53], exec, s[62:63]
	s_cbranch_execz .LBB1976_152
; %bb.137:                              ;   in Loop: Header=BB1976_74 Depth=2
	global_load_dwordx2 v[18:19], v[20:21], off
	s_or_b64 exec, exec, s[52:53]
	v_cmp_lt_u32_e64 s[52:53], v81, v93
	s_and_saveexec_b64 s[62:63], s[52:53]
	s_cbranch_execnz .LBB1976_153
.LBB1976_138:                           ;   in Loop: Header=BB1976_74 Depth=2
	s_or_b64 exec, exec, s[62:63]
	v_cmp_lt_u32_e64 s[52:53], v82, v93
	s_and_saveexec_b64 s[62:63], s[52:53]
	s_cbranch_execz .LBB1976_154
.LBB1976_139:                           ;   in Loop: Header=BB1976_74 Depth=2
	global_load_dwordx2 v[14:15], v[20:21], off offset:1024
	s_or_b64 exec, exec, s[62:63]
	v_cmp_lt_u32_e64 s[52:53], v83, v93
	s_and_saveexec_b64 s[62:63], s[52:53]
	s_cbranch_execnz .LBB1976_155
.LBB1976_140:                           ;   in Loop: Header=BB1976_74 Depth=2
	s_or_b64 exec, exec, s[62:63]
	v_cmp_lt_u32_e64 s[52:53], v84, v93
	s_and_saveexec_b64 s[62:63], s[52:53]
	s_cbranch_execz .LBB1976_156
.LBB1976_141:                           ;   in Loop: Header=BB1976_74 Depth=2
	global_load_dwordx2 v[10:11], v[20:21], off offset:2048
	s_or_b64 exec, exec, s[62:63]
	v_cmp_lt_u32_e64 s[52:53], v85, v93
	s_and_saveexec_b64 s[62:63], s[52:53]
	s_cbranch_execnz .LBB1976_157
.LBB1976_142:                           ;   in Loop: Header=BB1976_74 Depth=2
	s_or_b64 exec, exec, s[62:63]
	v_cmp_lt_u32_e64 s[52:53], v86, v93
	s_and_saveexec_b64 s[62:63], s[52:53]
	s_cbranch_execz .LBB1976_158
.LBB1976_143:                           ;   in Loop: Header=BB1976_74 Depth=2
	global_load_dwordx2 v[6:7], v[20:21], off offset:3072
	s_or_b64 exec, exec, s[62:63]
	v_cmp_lt_u32_e64 s[52:53], v87, v93
	s_and_saveexec_b64 s[62:63], s[52:53]
	s_cbranch_execnz .LBB1976_159
.LBB1976_144:                           ;   in Loop: Header=BB1976_74 Depth=2
	s_or_b64 exec, exec, s[62:63]
	s_and_saveexec_b64 s[62:63], vcc
	s_cbranch_execz .LBB1976_160
.LBB1976_145:                           ;   in Loop: Header=BB1976_74 Depth=2
	ds_read_u16 v20, v49 offset:1024
	s_waitcnt lgkmcnt(0)
	v_cmp_ne_u16_e64 s[52:53], s68, v20
	v_cndmask_b32_e64 v20, v66, v20, s[52:53]
	v_lshrrev_b32_sdwa v20, s77, v20 dst_sel:DWORD dst_unused:UNUSED_PAD src0_sel:DWORD src1_sel:WORD_0
	v_and_b32_e32 v80, s78, v20
	s_or_b64 exec, exec, s[62:63]
	s_and_saveexec_b64 s[62:63], s[36:37]
	s_cbranch_execnz .LBB1976_161
.LBB1976_146:                           ;   in Loop: Header=BB1976_74 Depth=2
	s_or_b64 exec, exec, s[62:63]
	s_and_saveexec_b64 s[62:63], s[38:39]
	s_cbranch_execz .LBB1976_162
.LBB1976_147:                           ;   in Loop: Header=BB1976_74 Depth=2
	ds_read_u16 v20, v50 offset:1024
	s_waitcnt lgkmcnt(0)
	v_cmp_ne_u16_e64 s[52:53], s68, v20
	v_cndmask_b32_e64 v20, v66, v20, s[52:53]
	v_lshrrev_b32_sdwa v20, s77, v20 dst_sel:DWORD dst_unused:UNUSED_PAD src0_sel:DWORD src1_sel:WORD_0
	v_and_b32_e32 v76, s78, v20
	s_or_b64 exec, exec, s[62:63]
	s_and_saveexec_b64 s[62:63], s[40:41]
	s_cbranch_execnz .LBB1976_163
.LBB1976_148:                           ;   in Loop: Header=BB1976_74 Depth=2
	s_or_b64 exec, exec, s[62:63]
	s_and_saveexec_b64 s[62:63], s[42:43]
	s_cbranch_execz .LBB1976_164
.LBB1976_149:                           ;   in Loop: Header=BB1976_74 Depth=2
	ds_read_u16 v20, v50 offset:2048
	s_waitcnt lgkmcnt(0)
	v_cmp_ne_u16_e64 s[52:53], s68, v20
	v_cndmask_b32_e64 v20, v66, v20, s[52:53]
	v_lshrrev_b32_sdwa v20, s77, v20 dst_sel:DWORD dst_unused:UNUSED_PAD src0_sel:DWORD src1_sel:WORD_0
	v_and_b32_e32 v73, s78, v20
	s_or_b64 exec, exec, s[62:63]
	s_and_saveexec_b64 s[62:63], s[44:45]
	s_cbranch_execnz .LBB1976_165
.LBB1976_150:                           ;   in Loop: Header=BB1976_74 Depth=2
	s_or_b64 exec, exec, s[62:63]
	s_and_saveexec_b64 s[62:63], s[46:47]
	s_cbranch_execz .LBB1976_166
.LBB1976_151:                           ;   in Loop: Header=BB1976_74 Depth=2
	ds_read_u16 v20, v50 offset:3072
	s_waitcnt lgkmcnt(0)
	v_cmp_ne_u16_e64 s[52:53], s68, v20
	v_cndmask_b32_e64 v20, v66, v20, s[52:53]
	v_lshrrev_b32_sdwa v20, s77, v20 dst_sel:DWORD dst_unused:UNUSED_PAD src0_sel:DWORD src1_sel:WORD_0
	v_and_b32_e32 v71, s78, v20
	s_or_b64 exec, exec, s[62:63]
	s_and_saveexec_b64 s[62:63], s[48:49]
	s_cbranch_execnz .LBB1976_167
	s_branch .LBB1976_168
.LBB1976_152:                           ;   in Loop: Header=BB1976_74 Depth=2
	s_or_b64 exec, exec, s[52:53]
	v_cmp_lt_u32_e64 s[52:53], v81, v93
	s_and_saveexec_b64 s[62:63], s[52:53]
	s_cbranch_execz .LBB1976_138
.LBB1976_153:                           ;   in Loop: Header=BB1976_74 Depth=2
	global_load_dwordx2 v[16:17], v[20:21], off offset:512
	s_or_b64 exec, exec, s[62:63]
	v_cmp_lt_u32_e64 s[52:53], v82, v93
	s_and_saveexec_b64 s[62:63], s[52:53]
	s_cbranch_execnz .LBB1976_139
.LBB1976_154:                           ;   in Loop: Header=BB1976_74 Depth=2
	s_or_b64 exec, exec, s[62:63]
	v_cmp_lt_u32_e64 s[52:53], v83, v93
	s_and_saveexec_b64 s[62:63], s[52:53]
	s_cbranch_execz .LBB1976_140
.LBB1976_155:                           ;   in Loop: Header=BB1976_74 Depth=2
	global_load_dwordx2 v[12:13], v[20:21], off offset:1536
	s_or_b64 exec, exec, s[62:63]
	v_cmp_lt_u32_e64 s[52:53], v84, v93
	s_and_saveexec_b64 s[62:63], s[52:53]
	s_cbranch_execnz .LBB1976_141
.LBB1976_156:                           ;   in Loop: Header=BB1976_74 Depth=2
	s_or_b64 exec, exec, s[62:63]
	v_cmp_lt_u32_e64 s[52:53], v85, v93
	s_and_saveexec_b64 s[62:63], s[52:53]
	s_cbranch_execz .LBB1976_142
.LBB1976_157:                           ;   in Loop: Header=BB1976_74 Depth=2
	global_load_dwordx2 v[8:9], v[20:21], off offset:2560
	s_or_b64 exec, exec, s[62:63]
	v_cmp_lt_u32_e64 s[52:53], v86, v93
	s_and_saveexec_b64 s[62:63], s[52:53]
	s_cbranch_execnz .LBB1976_143
.LBB1976_158:                           ;   in Loop: Header=BB1976_74 Depth=2
	s_or_b64 exec, exec, s[62:63]
	v_cmp_lt_u32_e64 s[52:53], v87, v93
	s_and_saveexec_b64 s[62:63], s[52:53]
	s_cbranch_execz .LBB1976_144
.LBB1976_159:                           ;   in Loop: Header=BB1976_74 Depth=2
	global_load_dwordx2 v[0:1], v[20:21], off offset:3584
	s_or_b64 exec, exec, s[62:63]
	s_and_saveexec_b64 s[62:63], vcc
	s_cbranch_execnz .LBB1976_145
.LBB1976_160:                           ;   in Loop: Header=BB1976_74 Depth=2
	s_or_b64 exec, exec, s[62:63]
	s_and_saveexec_b64 s[62:63], s[36:37]
	s_cbranch_execz .LBB1976_146
.LBB1976_161:                           ;   in Loop: Header=BB1976_74 Depth=2
	ds_read_u16 v20, v50 offset:512
	s_waitcnt lgkmcnt(0)
	v_cmp_ne_u16_e64 s[52:53], s68, v20
	v_cndmask_b32_e64 v20, v66, v20, s[52:53]
	v_lshrrev_b32_sdwa v20, s77, v20 dst_sel:DWORD dst_unused:UNUSED_PAD src0_sel:DWORD src1_sel:WORD_0
	v_and_b32_e32 v78, s78, v20
	s_or_b64 exec, exec, s[62:63]
	s_and_saveexec_b64 s[62:63], s[38:39]
	s_cbranch_execnz .LBB1976_147
.LBB1976_162:                           ;   in Loop: Header=BB1976_74 Depth=2
	s_or_b64 exec, exec, s[62:63]
	s_and_saveexec_b64 s[62:63], s[40:41]
	s_cbranch_execz .LBB1976_148
.LBB1976_163:                           ;   in Loop: Header=BB1976_74 Depth=2
	ds_read_u16 v20, v50 offset:1536
	s_waitcnt lgkmcnt(0)
	v_cmp_ne_u16_e64 s[52:53], s68, v20
	v_cndmask_b32_e64 v20, v66, v20, s[52:53]
	v_lshrrev_b32_sdwa v20, s77, v20 dst_sel:DWORD dst_unused:UNUSED_PAD src0_sel:DWORD src1_sel:WORD_0
	v_and_b32_e32 v75, s78, v20
	s_or_b64 exec, exec, s[62:63]
	s_and_saveexec_b64 s[62:63], s[42:43]
	s_cbranch_execnz .LBB1976_149
.LBB1976_164:                           ;   in Loop: Header=BB1976_74 Depth=2
	s_or_b64 exec, exec, s[62:63]
	s_and_saveexec_b64 s[62:63], s[44:45]
	s_cbranch_execz .LBB1976_150
.LBB1976_165:                           ;   in Loop: Header=BB1976_74 Depth=2
	ds_read_u16 v20, v50 offset:2560
	s_waitcnt lgkmcnt(0)
	v_cmp_ne_u16_e64 s[52:53], s68, v20
	v_cndmask_b32_e64 v20, v66, v20, s[52:53]
	v_lshrrev_b32_sdwa v20, s77, v20 dst_sel:DWORD dst_unused:UNUSED_PAD src0_sel:DWORD src1_sel:WORD_0
	v_and_b32_e32 v72, s78, v20
	s_or_b64 exec, exec, s[62:63]
	s_and_saveexec_b64 s[62:63], s[46:47]
	s_cbranch_execnz .LBB1976_151
.LBB1976_166:                           ;   in Loop: Header=BB1976_74 Depth=2
	s_or_b64 exec, exec, s[62:63]
	s_and_saveexec_b64 s[62:63], s[48:49]
	s_cbranch_execz .LBB1976_168
.LBB1976_167:                           ;   in Loop: Header=BB1976_74 Depth=2
	ds_read_u16 v20, v50 offset:3584
	s_waitcnt lgkmcnt(0)
	v_cmp_ne_u16_e64 s[52:53], s68, v20
	v_cndmask_b32_e64 v20, v66, v20, s[52:53]
	v_lshrrev_b32_sdwa v20, s77, v20 dst_sel:DWORD dst_unused:UNUSED_PAD src0_sel:DWORD src1_sel:WORD_0
	v_and_b32_e32 v70, s78, v20
.LBB1976_168:                           ;   in Loop: Header=BB1976_74 Depth=2
	s_or_b64 exec, exec, s[62:63]
	v_lshlrev_b32_e32 v20, 3, v103
	s_barrier
	s_waitcnt vmcnt(0)
	ds_write_b64 v20, v[18:19] offset:1024
	v_lshlrev_b32_e32 v20, 3, v100
	ds_write_b64 v20, v[16:17] offset:1024
	v_lshlrev_b32_e32 v20, 3, v99
	;; [unrolled: 2-line block ×7, first 2 shown]
	ds_write_b64 v20, v[0:1] offset:1024
	s_waitcnt lgkmcnt(0)
	s_barrier
	s_and_saveexec_b64 s[52:53], vcc
	s_cbranch_execz .LBB1976_176
; %bb.169:                              ;   in Loop: Header=BB1976_74 Depth=2
	v_lshlrev_b32_e32 v20, 2, v80
	ds_read_b32 v20, v20
	v_add_u32_e32 v22, v49, v51
	ds_read_b64 v[22:23], v22 offset:1024
	v_mov_b32_e32 v21, v4
	v_mov_b32_e32 v93, s65
	s_waitcnt lgkmcnt(1)
	v_add_u32_e32 v20, v20, v2
	v_lshlrev_b64 v[20:21], 3, v[20:21]
	v_add_co_u32_e32 v20, vcc, s64, v20
	v_addc_co_u32_e32 v21, vcc, v93, v21, vcc
	s_waitcnt lgkmcnt(0)
	global_store_dwordx2 v[20:21], v[22:23], off
	s_or_b64 exec, exec, s[52:53]
	s_and_saveexec_b64 s[52:53], s[36:37]
	s_cbranch_execnz .LBB1976_177
.LBB1976_170:                           ;   in Loop: Header=BB1976_74 Depth=2
	s_or_b64 exec, exec, s[52:53]
	s_and_saveexec_b64 s[36:37], s[38:39]
	s_cbranch_execz .LBB1976_178
.LBB1976_171:                           ;   in Loop: Header=BB1976_74 Depth=2
	v_lshlrev_b32_e32 v20, 2, v76
	ds_read_b32 v22, v20
	v_add_u32_e32 v20, v50, v51
	ds_read_b64 v[20:21], v20 offset:4096
	v_mov_b32_e32 v23, v4
	v_mov_b32_e32 v93, s65
	s_waitcnt lgkmcnt(1)
	v_add_u32_e32 v22, v22, v25
	v_lshlrev_b64 v[22:23], 3, v[22:23]
	v_add_co_u32_e32 v22, vcc, s64, v22
	v_addc_co_u32_e32 v23, vcc, v93, v23, vcc
	s_waitcnt lgkmcnt(0)
	global_store_dwordx2 v[22:23], v[20:21], off
	s_or_b64 exec, exec, s[36:37]
	s_and_saveexec_b64 s[36:37], s[40:41]
	s_cbranch_execnz .LBB1976_179
.LBB1976_172:                           ;   in Loop: Header=BB1976_74 Depth=2
	s_or_b64 exec, exec, s[36:37]
	s_and_saveexec_b64 s[36:37], s[42:43]
	s_cbranch_execz .LBB1976_180
.LBB1976_173:                           ;   in Loop: Header=BB1976_74 Depth=2
	v_lshlrev_b32_e32 v20, 2, v73
	ds_read_b32 v22, v20
	v_add_u32_e32 v20, v50, v51
	ds_read_b64 v[20:21], v20 offset:8192
	v_mov_b32_e32 v23, v4
	v_mov_b32_e32 v93, s65
	s_waitcnt lgkmcnt(1)
	v_add_u32_e32 v22, v22, v29
	v_lshlrev_b64 v[22:23], 3, v[22:23]
	v_add_co_u32_e32 v22, vcc, s64, v22
	v_addc_co_u32_e32 v23, vcc, v93, v23, vcc
	s_waitcnt lgkmcnt(0)
	global_store_dwordx2 v[22:23], v[20:21], off
	s_or_b64 exec, exec, s[36:37]
	s_and_saveexec_b64 s[36:37], s[44:45]
	s_cbranch_execnz .LBB1976_181
.LBB1976_174:                           ;   in Loop: Header=BB1976_74 Depth=2
	s_or_b64 exec, exec, s[36:37]
	s_and_saveexec_b64 s[36:37], s[46:47]
	s_cbranch_execz .LBB1976_182
.LBB1976_175:                           ;   in Loop: Header=BB1976_74 Depth=2
	v_lshlrev_b32_e32 v20, 2, v71
	ds_read_b32 v22, v20
	v_add_u32_e32 v20, v50, v51
	ds_read_b64 v[20:21], v20 offset:12288
	v_mov_b32_e32 v23, v4
	v_mov_b32_e32 v93, s65
	s_waitcnt lgkmcnt(1)
	v_add_u32_e32 v22, v22, v31
	v_lshlrev_b64 v[22:23], 3, v[22:23]
	v_add_co_u32_e32 v22, vcc, s64, v22
	v_addc_co_u32_e32 v23, vcc, v93, v23, vcc
	s_waitcnt lgkmcnt(0)
	global_store_dwordx2 v[22:23], v[20:21], off
	s_or_b64 exec, exec, s[36:37]
	s_and_saveexec_b64 s[36:37], s[48:49]
	s_cbranch_execnz .LBB1976_183
	s_branch .LBB1976_184
.LBB1976_176:                           ;   in Loop: Header=BB1976_74 Depth=2
	s_or_b64 exec, exec, s[52:53]
	s_and_saveexec_b64 s[52:53], s[36:37]
	s_cbranch_execz .LBB1976_170
.LBB1976_177:                           ;   in Loop: Header=BB1976_74 Depth=2
	v_lshlrev_b32_e32 v20, 2, v78
	ds_read_b32 v22, v20
	v_add_u32_e32 v20, v50, v51
	ds_read_b64 v[20:21], v20 offset:2048
	v_mov_b32_e32 v23, v4
	v_mov_b32_e32 v93, s65
	s_waitcnt lgkmcnt(1)
	v_add_u32_e32 v22, v22, v24
	v_lshlrev_b64 v[22:23], 3, v[22:23]
	v_add_co_u32_e32 v22, vcc, s64, v22
	v_addc_co_u32_e32 v23, vcc, v93, v23, vcc
	s_waitcnt lgkmcnt(0)
	global_store_dwordx2 v[22:23], v[20:21], off
	s_or_b64 exec, exec, s[52:53]
	s_and_saveexec_b64 s[36:37], s[38:39]
	s_cbranch_execnz .LBB1976_171
.LBB1976_178:                           ;   in Loop: Header=BB1976_74 Depth=2
	s_or_b64 exec, exec, s[36:37]
	s_and_saveexec_b64 s[36:37], s[40:41]
	s_cbranch_execz .LBB1976_172
.LBB1976_179:                           ;   in Loop: Header=BB1976_74 Depth=2
	v_lshlrev_b32_e32 v20, 2, v75
	ds_read_b32 v22, v20
	v_add_u32_e32 v20, v50, v51
	ds_read_b64 v[20:21], v20 offset:6144
	v_mov_b32_e32 v23, v4
	v_mov_b32_e32 v93, s65
	s_waitcnt lgkmcnt(1)
	v_add_u32_e32 v22, v22, v26
	v_lshlrev_b64 v[22:23], 3, v[22:23]
	v_add_co_u32_e32 v22, vcc, s64, v22
	v_addc_co_u32_e32 v23, vcc, v93, v23, vcc
	s_waitcnt lgkmcnt(0)
	global_store_dwordx2 v[22:23], v[20:21], off
	s_or_b64 exec, exec, s[36:37]
	s_and_saveexec_b64 s[36:37], s[42:43]
	s_cbranch_execnz .LBB1976_173
.LBB1976_180:                           ;   in Loop: Header=BB1976_74 Depth=2
	s_or_b64 exec, exec, s[36:37]
	s_and_saveexec_b64 s[36:37], s[44:45]
	s_cbranch_execz .LBB1976_174
.LBB1976_181:                           ;   in Loop: Header=BB1976_74 Depth=2
	v_lshlrev_b32_e32 v20, 2, v72
	ds_read_b32 v22, v20
	v_add_u32_e32 v20, v50, v51
	ds_read_b64 v[20:21], v20 offset:10240
	v_mov_b32_e32 v23, v4
	v_mov_b32_e32 v93, s65
	s_waitcnt lgkmcnt(1)
	v_add_u32_e32 v22, v22, v30
	v_lshlrev_b64 v[22:23], 3, v[22:23]
	v_add_co_u32_e32 v22, vcc, s64, v22
	v_addc_co_u32_e32 v23, vcc, v93, v23, vcc
	s_waitcnt lgkmcnt(0)
	global_store_dwordx2 v[22:23], v[20:21], off
	s_or_b64 exec, exec, s[36:37]
	s_and_saveexec_b64 s[36:37], s[46:47]
	s_cbranch_execnz .LBB1976_175
.LBB1976_182:                           ;   in Loop: Header=BB1976_74 Depth=2
	s_or_b64 exec, exec, s[36:37]
	s_and_saveexec_b64 s[36:37], s[48:49]
	s_cbranch_execz .LBB1976_184
.LBB1976_183:                           ;   in Loop: Header=BB1976_74 Depth=2
	v_lshlrev_b32_e32 v20, 2, v70
	ds_read_b32 v22, v20
	v_add_u32_e32 v20, v50, v51
	ds_read_b64 v[20:21], v20 offset:14336
	v_mov_b32_e32 v23, v4
	v_mov_b32_e32 v93, s65
	s_waitcnt lgkmcnt(1)
	v_add_u32_e32 v22, v22, v32
	v_lshlrev_b64 v[22:23], 3, v[22:23]
	v_add_co_u32_e32 v22, vcc, s64, v22
	v_addc_co_u32_e32 v23, vcc, v93, v23, vcc
	s_waitcnt lgkmcnt(0)
	global_store_dwordx2 v[22:23], v[20:21], off
.LBB1976_184:                           ;   in Loop: Header=BB1976_74 Depth=2
	s_or_b64 exec, exec, s[36:37]
	s_barrier
	s_and_saveexec_b64 s[36:37], s[4:5]
	s_cbranch_execz .LBB1976_73
; %bb.185:                              ;   in Loop: Header=BB1976_74 Depth=2
	ds_read_b32 v20, v3
	s_waitcnt lgkmcnt(0)
	v_add_u32_e32 v5, v20, v5
	ds_write_b32 v3, v5
	s_branch .LBB1976_73
.LBB1976_186:                           ;   in Loop: Header=BB1976_20 Depth=1
	s_waitcnt lgkmcnt(0)
	s_barrier
	s_mov_b64 s[16:17], 0
.LBB1976_187:                           ;   in Loop: Header=BB1976_20 Depth=1
	s_and_b64 vcc, exec, s[16:17]
	s_cbranch_vccz .LBB1976_353
; %bb.188:                              ;   in Loop: Header=BB1976_20 Depth=1
	s_mov_b32 s22, s71
	s_mov_b32 s72, s51
	s_barrier
	s_waitcnt lgkmcnt(0)
                                        ; implicit-def: $vgpr12
                                        ; implicit-def: $vgpr5
                                        ; implicit-def: $vgpr6
                                        ; implicit-def: $vgpr7
                                        ; implicit-def: $vgpr8
                                        ; implicit-def: $vgpr9
                                        ; implicit-def: $vgpr10
                                        ; implicit-def: $vgpr11
	s_branch .LBB1976_190
.LBB1976_189:                           ;   in Loop: Header=BB1976_190 Depth=2
	s_or_b64 exec, exec, s[16:17]
	s_addk_i32 s22, 0xf800
	s_cmp_ge_u32 s23, s76
	s_mov_b32 s72, s23
	s_cbranch_scc1 .LBB1976_228
.LBB1976_190:                           ;   Parent Loop BB1976_20 Depth=1
                                        ; =>  This Inner Loop Header: Depth=2
	s_add_i32 s23, s72, 0x800
	s_cmp_gt_u32 s23, s76
	s_cbranch_scc1 .LBB1976_193
; %bb.191:                              ;   in Loop: Header=BB1976_190 Depth=2
	s_lshl_b64 s[16:17], s[72:73], 1
	v_mov_b32_e32 v1, s17
	v_add_co_u32_e32 v0, vcc, s16, v52
	v_addc_co_u32_e32 v1, vcc, v53, v1, vcc
	global_load_ushort v14, v[0:1], off
	global_load_ushort v15, v[0:1], off offset:512
	global_load_ushort v16, v[0:1], off offset:1024
	;; [unrolled: 1-line block ×6, first 2 shown]
	v_add_co_u32_e32 v0, vcc, 0xe00, v0
	v_addc_co_u32_e32 v1, vcc, 0, v1, vcc
	s_mov_b64 s[16:17], -1
	s_movk_i32 s24, 0x800
	s_cbranch_execz .LBB1976_194
; %bb.192:                              ;   in Loop: Header=BB1976_190 Depth=2
                                        ; implicit-def: $vgpr11
                                        ; implicit-def: $vgpr10
                                        ; implicit-def: $vgpr9
                                        ; implicit-def: $vgpr8
                                        ; implicit-def: $vgpr7
                                        ; implicit-def: $vgpr6
                                        ; implicit-def: $vgpr5
                                        ; implicit-def: $vgpr12
	v_mov_b32_e32 v13, s22
	s_and_saveexec_b64 s[18:19], s[16:17]
	s_cbranch_execnz .LBB1976_205
	s_branch .LBB1976_206
.LBB1976_193:                           ;   in Loop: Header=BB1976_190 Depth=2
	s_mov_b64 s[16:17], 0
                                        ; implicit-def: $sgpr24
                                        ; implicit-def: $vgpr14
                                        ; implicit-def: $vgpr15
                                        ; implicit-def: $vgpr16
                                        ; implicit-def: $vgpr17
                                        ; implicit-def: $vgpr18
                                        ; implicit-def: $vgpr19
                                        ; implicit-def: $vgpr20
                                        ; implicit-def: $vgpr0_vgpr1
.LBB1976_194:                           ;   in Loop: Header=BB1976_190 Depth=2
	s_lshl_b64 s[18:19], s[72:73], 1
	s_add_u32 s18, s58, s18
	s_addc_u32 s19, s59, s19
	v_cmp_gt_u32_e32 vcc, s22, v2
	s_and_saveexec_b64 s[20:21], vcc
	s_cbranch_execz .LBB1976_222
; %bb.195:                              ;   in Loop: Header=BB1976_190 Depth=2
	global_load_ushort v11, v65, s[18:19]
	s_or_b64 exec, exec, s[20:21]
	v_cmp_gt_u32_e32 vcc, s22, v24
	s_and_saveexec_b64 s[20:21], vcc
	s_cbranch_execnz .LBB1976_223
.LBB1976_196:                           ;   in Loop: Header=BB1976_190 Depth=2
	s_or_b64 exec, exec, s[20:21]
	v_cmp_gt_u32_e32 vcc, s22, v25
	s_and_saveexec_b64 s[20:21], vcc
	s_cbranch_execz .LBB1976_224
.LBB1976_197:                           ;   in Loop: Header=BB1976_190 Depth=2
	global_load_ushort v9, v65, s[18:19] offset:1024
	s_or_b64 exec, exec, s[20:21]
	v_cmp_gt_u32_e32 vcc, s22, v26
	s_and_saveexec_b64 s[20:21], vcc
	s_cbranch_execnz .LBB1976_225
.LBB1976_198:                           ;   in Loop: Header=BB1976_190 Depth=2
	s_or_b64 exec, exec, s[20:21]
	v_cmp_gt_u32_e32 vcc, s22, v29
	s_and_saveexec_b64 s[20:21], vcc
	s_cbranch_execz .LBB1976_226
.LBB1976_199:                           ;   in Loop: Header=BB1976_190 Depth=2
	global_load_ushort v7, v65, s[18:19] offset:2048
	s_or_b64 exec, exec, s[20:21]
	v_cmp_gt_u32_e32 vcc, s22, v30
	s_and_saveexec_b64 s[20:21], vcc
	s_cbranch_execnz .LBB1976_227
.LBB1976_200:                           ;   in Loop: Header=BB1976_190 Depth=2
	s_or_b64 exec, exec, s[20:21]
	v_cmp_gt_u32_e32 vcc, s22, v31
	s_and_saveexec_b64 s[20:21], vcc
	s_cbranch_execz .LBB1976_202
.LBB1976_201:                           ;   in Loop: Header=BB1976_190 Depth=2
	global_load_ushort v5, v65, s[18:19] offset:3072
.LBB1976_202:                           ;   in Loop: Header=BB1976_190 Depth=2
	s_or_b64 exec, exec, s[20:21]
	v_cmp_gt_u32_e32 vcc, s22, v32
                                        ; implicit-def: $sgpr24
                                        ; implicit-def: $vgpr0_vgpr1
	s_and_saveexec_b64 s[20:21], vcc
	s_cbranch_execz .LBB1976_204
; %bb.203:                              ;   in Loop: Header=BB1976_190 Depth=2
	v_mov_b32_e32 v0, s19
	v_add_co_u32_e32 v1, vcc, s18, v65
	s_waitcnt vmcnt(0)
	v_addc_co_u32_e32 v12, vcc, 0, v0, vcc
	v_add_co_u32_e32 v0, vcc, 0xe00, v1
	s_sub_i32 s24, s76, s72
	v_addc_co_u32_e32 v1, vcc, 0, v12, vcc
	s_or_b64 s[16:17], s[16:17], exec
                                        ; implicit-def: $vgpr12
.LBB1976_204:                           ;   in Loop: Header=BB1976_190 Depth=2
	s_or_b64 exec, exec, s[20:21]
	s_waitcnt vmcnt(0)
	v_mov_b32_e32 v14, v11
	v_mov_b32_e32 v15, v10
	;; [unrolled: 1-line block ×8, first 2 shown]
	s_and_saveexec_b64 s[18:19], s[16:17]
	s_cbranch_execz .LBB1976_206
.LBB1976_205:                           ;   in Loop: Header=BB1976_190 Depth=2
	global_load_ushort v12, v[0:1], off
	v_mov_b32_e32 v13, s24
	s_waitcnt vmcnt(1)
	v_mov_b32_e32 v5, v20
	v_mov_b32_e32 v6, v19
	;; [unrolled: 1-line block ×7, first 2 shown]
.LBB1976_206:                           ;   in Loop: Header=BB1976_190 Depth=2
	s_or_b64 exec, exec, s[18:19]
	v_cmp_lt_u32_e32 vcc, v2, v13
	s_and_saveexec_b64 s[16:17], vcc
	s_cbranch_execz .LBB1976_214
; %bb.207:                              ;   in Loop: Header=BB1976_190 Depth=2
	v_cmp_gt_i16_e32 vcc, 0, v11
	v_cndmask_b32_e64 v0, v66, 0, vcc
	v_xor_b32_e32 v0, v0, v11
	v_cmp_ne_u16_e32 vcc, s68, v0
	v_cndmask_b32_e32 v0, v66, v0, vcc
	v_lshrrev_b32_sdwa v0, s77, v0 dst_sel:DWORD dst_unused:UNUSED_PAD src0_sel:DWORD src1_sel:WORD_0
	v_and_b32_e32 v0, s78, v0
	v_lshl_or_b32 v0, v0, 4, v67
	ds_add_u32 v0, v64
	s_or_b64 exec, exec, s[16:17]
	v_cmp_lt_u32_e32 vcc, v24, v13
	s_and_saveexec_b64 s[16:17], vcc
	s_cbranch_execnz .LBB1976_215
.LBB1976_208:                           ;   in Loop: Header=BB1976_190 Depth=2
	s_or_b64 exec, exec, s[16:17]
	v_cmp_lt_u32_e32 vcc, v25, v13
	s_and_saveexec_b64 s[16:17], vcc
	s_cbranch_execz .LBB1976_216
.LBB1976_209:                           ;   in Loop: Header=BB1976_190 Depth=2
	v_cmp_gt_i16_e32 vcc, 0, v9
	v_cndmask_b32_e64 v0, v66, 0, vcc
	v_xor_b32_e32 v0, v0, v9
	v_cmp_ne_u16_e32 vcc, s68, v0
	v_cndmask_b32_e32 v0, v66, v0, vcc
	v_lshrrev_b32_sdwa v0, s77, v0 dst_sel:DWORD dst_unused:UNUSED_PAD src0_sel:DWORD src1_sel:WORD_0
	v_and_b32_e32 v0, s78, v0
	v_lshl_or_b32 v0, v0, 4, v67
	ds_add_u32 v0, v64
	s_or_b64 exec, exec, s[16:17]
	v_cmp_lt_u32_e32 vcc, v26, v13
	s_and_saveexec_b64 s[16:17], vcc
	s_cbranch_execnz .LBB1976_217
.LBB1976_210:                           ;   in Loop: Header=BB1976_190 Depth=2
	s_or_b64 exec, exec, s[16:17]
	v_cmp_lt_u32_e32 vcc, v29, v13
	s_and_saveexec_b64 s[16:17], vcc
	s_cbranch_execz .LBB1976_218
.LBB1976_211:                           ;   in Loop: Header=BB1976_190 Depth=2
	v_cmp_gt_i16_e32 vcc, 0, v7
	v_cndmask_b32_e64 v0, v66, 0, vcc
	v_xor_b32_e32 v0, v0, v7
	v_cmp_ne_u16_e32 vcc, s68, v0
	v_cndmask_b32_e32 v0, v66, v0, vcc
	v_lshrrev_b32_sdwa v0, s77, v0 dst_sel:DWORD dst_unused:UNUSED_PAD src0_sel:DWORD src1_sel:WORD_0
	v_and_b32_e32 v0, s78, v0
	v_lshl_or_b32 v0, v0, 4, v67
	ds_add_u32 v0, v64
	s_or_b64 exec, exec, s[16:17]
	v_cmp_lt_u32_e32 vcc, v30, v13
	s_and_saveexec_b64 s[16:17], vcc
	s_cbranch_execnz .LBB1976_219
.LBB1976_212:                           ;   in Loop: Header=BB1976_190 Depth=2
	s_or_b64 exec, exec, s[16:17]
	v_cmp_lt_u32_e32 vcc, v31, v13
	s_and_saveexec_b64 s[16:17], vcc
	s_cbranch_execz .LBB1976_220
.LBB1976_213:                           ;   in Loop: Header=BB1976_190 Depth=2
	v_cmp_gt_i16_e32 vcc, 0, v5
	v_cndmask_b32_e64 v0, v66, 0, vcc
	v_xor_b32_e32 v0, v0, v5
	v_cmp_ne_u16_e32 vcc, s68, v0
	v_cndmask_b32_e32 v0, v66, v0, vcc
	v_lshrrev_b32_sdwa v0, s77, v0 dst_sel:DWORD dst_unused:UNUSED_PAD src0_sel:DWORD src1_sel:WORD_0
	v_and_b32_e32 v0, s78, v0
	v_lshl_or_b32 v0, v0, 4, v67
	ds_add_u32 v0, v64
	s_or_b64 exec, exec, s[16:17]
	v_cmp_lt_u32_e32 vcc, v32, v13
	s_and_saveexec_b64 s[16:17], vcc
	s_cbranch_execz .LBB1976_189
	s_branch .LBB1976_221
.LBB1976_214:                           ;   in Loop: Header=BB1976_190 Depth=2
	s_or_b64 exec, exec, s[16:17]
	v_cmp_lt_u32_e32 vcc, v24, v13
	s_and_saveexec_b64 s[16:17], vcc
	s_cbranch_execz .LBB1976_208
.LBB1976_215:                           ;   in Loop: Header=BB1976_190 Depth=2
	v_cmp_gt_i16_e32 vcc, 0, v10
	v_cndmask_b32_e64 v0, v66, 0, vcc
	v_xor_b32_e32 v0, v0, v10
	v_cmp_ne_u16_e32 vcc, s68, v0
	v_cndmask_b32_e32 v0, v66, v0, vcc
	v_lshrrev_b32_sdwa v0, s77, v0 dst_sel:DWORD dst_unused:UNUSED_PAD src0_sel:DWORD src1_sel:WORD_0
	v_and_b32_e32 v0, s78, v0
	v_lshl_or_b32 v0, v0, 4, v67
	ds_add_u32 v0, v64
	s_or_b64 exec, exec, s[16:17]
	v_cmp_lt_u32_e32 vcc, v25, v13
	s_and_saveexec_b64 s[16:17], vcc
	s_cbranch_execnz .LBB1976_209
.LBB1976_216:                           ;   in Loop: Header=BB1976_190 Depth=2
	s_or_b64 exec, exec, s[16:17]
	v_cmp_lt_u32_e32 vcc, v26, v13
	s_and_saveexec_b64 s[16:17], vcc
	s_cbranch_execz .LBB1976_210
.LBB1976_217:                           ;   in Loop: Header=BB1976_190 Depth=2
	v_cmp_gt_i16_e32 vcc, 0, v8
	v_cndmask_b32_e64 v0, v66, 0, vcc
	v_xor_b32_e32 v0, v0, v8
	v_cmp_ne_u16_e32 vcc, s68, v0
	v_cndmask_b32_e32 v0, v66, v0, vcc
	v_lshrrev_b32_sdwa v0, s77, v0 dst_sel:DWORD dst_unused:UNUSED_PAD src0_sel:DWORD src1_sel:WORD_0
	v_and_b32_e32 v0, s78, v0
	v_lshl_or_b32 v0, v0, 4, v67
	ds_add_u32 v0, v64
	s_or_b64 exec, exec, s[16:17]
	v_cmp_lt_u32_e32 vcc, v29, v13
	s_and_saveexec_b64 s[16:17], vcc
	s_cbranch_execnz .LBB1976_211
.LBB1976_218:                           ;   in Loop: Header=BB1976_190 Depth=2
	s_or_b64 exec, exec, s[16:17]
	v_cmp_lt_u32_e32 vcc, v30, v13
	s_and_saveexec_b64 s[16:17], vcc
	s_cbranch_execz .LBB1976_212
.LBB1976_219:                           ;   in Loop: Header=BB1976_190 Depth=2
	v_cmp_gt_i16_e32 vcc, 0, v6
	v_cndmask_b32_e64 v0, v66, 0, vcc
	v_xor_b32_e32 v0, v0, v6
	v_cmp_ne_u16_e32 vcc, s68, v0
	v_cndmask_b32_e32 v0, v66, v0, vcc
	v_lshrrev_b32_sdwa v0, s77, v0 dst_sel:DWORD dst_unused:UNUSED_PAD src0_sel:DWORD src1_sel:WORD_0
	v_and_b32_e32 v0, s78, v0
	v_lshl_or_b32 v0, v0, 4, v67
	ds_add_u32 v0, v64
	s_or_b64 exec, exec, s[16:17]
	v_cmp_lt_u32_e32 vcc, v31, v13
	s_and_saveexec_b64 s[16:17], vcc
	s_cbranch_execnz .LBB1976_213
.LBB1976_220:                           ;   in Loop: Header=BB1976_190 Depth=2
	s_or_b64 exec, exec, s[16:17]
	v_cmp_lt_u32_e32 vcc, v32, v13
	s_and_saveexec_b64 s[16:17], vcc
	s_cbranch_execz .LBB1976_189
.LBB1976_221:                           ;   in Loop: Header=BB1976_190 Depth=2
	s_waitcnt vmcnt(0)
	v_cmp_gt_i16_e32 vcc, 0, v12
	v_cndmask_b32_e64 v0, v66, 0, vcc
	v_xor_b32_e32 v0, v0, v12
	v_cmp_ne_u16_e32 vcc, s68, v0
	v_cndmask_b32_e32 v0, v66, v0, vcc
	v_lshrrev_b32_sdwa v0, s77, v0 dst_sel:DWORD dst_unused:UNUSED_PAD src0_sel:DWORD src1_sel:WORD_0
	v_and_b32_e32 v0, s78, v0
	v_lshl_or_b32 v0, v0, 4, v67
	ds_add_u32 v0, v64
	s_branch .LBB1976_189
.LBB1976_222:                           ;   in Loop: Header=BB1976_190 Depth=2
	s_or_b64 exec, exec, s[20:21]
	v_cmp_gt_u32_e32 vcc, s22, v24
	s_and_saveexec_b64 s[20:21], vcc
	s_cbranch_execz .LBB1976_196
.LBB1976_223:                           ;   in Loop: Header=BB1976_190 Depth=2
	global_load_ushort v10, v65, s[18:19] offset:512
	s_or_b64 exec, exec, s[20:21]
	v_cmp_gt_u32_e32 vcc, s22, v25
	s_and_saveexec_b64 s[20:21], vcc
	s_cbranch_execnz .LBB1976_197
.LBB1976_224:                           ;   in Loop: Header=BB1976_190 Depth=2
	s_or_b64 exec, exec, s[20:21]
	v_cmp_gt_u32_e32 vcc, s22, v26
	s_and_saveexec_b64 s[20:21], vcc
	s_cbranch_execz .LBB1976_198
.LBB1976_225:                           ;   in Loop: Header=BB1976_190 Depth=2
	global_load_ushort v8, v65, s[18:19] offset:1536
	s_or_b64 exec, exec, s[20:21]
	v_cmp_gt_u32_e32 vcc, s22, v29
	s_and_saveexec_b64 s[20:21], vcc
	s_cbranch_execnz .LBB1976_199
.LBB1976_226:                           ;   in Loop: Header=BB1976_190 Depth=2
	s_or_b64 exec, exec, s[20:21]
	v_cmp_gt_u32_e32 vcc, s22, v30
	s_and_saveexec_b64 s[20:21], vcc
	s_cbranch_execz .LBB1976_200
.LBB1976_227:                           ;   in Loop: Header=BB1976_190 Depth=2
	global_load_ushort v6, v65, s[18:19] offset:2560
	s_or_b64 exec, exec, s[20:21]
	v_cmp_gt_u32_e32 vcc, s22, v31
	s_and_saveexec_b64 s[20:21], vcc
	s_cbranch_execz .LBB1976_202
	s_branch .LBB1976_201
.LBB1976_228:                           ;   in Loop: Header=BB1976_20 Depth=1
	v_mov_b32_e32 v0, 0
	s_waitcnt lgkmcnt(0)
	s_barrier
	s_and_saveexec_b64 s[16:17], s[4:5]
	s_cbranch_execz .LBB1976_230
; %bb.229:                              ;   in Loop: Header=BB1976_20 Depth=1
	ds_read2_b64 v[6:9], v33 offset1:1
	s_waitcnt lgkmcnt(0)
	v_add_u32_e32 v0, v7, v6
	v_add3_u32 v0, v0, v8, v9
.LBB1976_230:                           ;   in Loop: Header=BB1976_20 Depth=1
	s_or_b64 exec, exec, s[16:17]
	v_and_b32_e32 v1, 15, v68
	v_mov_b32_dpp v5, v0 row_shr:1 row_mask:0xf bank_mask:0xf
	v_cmp_eq_u32_e64 s[16:17], 0, v1
	v_cndmask_b32_e64 v5, v5, 0, s[16:17]
	v_add_u32_e32 v0, v5, v0
	v_cmp_lt_u32_e64 s[18:19], 1, v1
	v_cmp_lt_u32_e64 s[20:21], 3, v1
	v_mov_b32_dpp v5, v0 row_shr:2 row_mask:0xf bank_mask:0xf
	v_cndmask_b32_e64 v5, 0, v5, s[18:19]
	v_add_u32_e32 v0, v0, v5
	v_cmp_lt_u32_e64 s[22:23], 7, v1
	v_cmp_lt_u32_e64 s[26:27], 31, v68
	v_mov_b32_dpp v5, v0 row_shr:4 row_mask:0xf bank_mask:0xf
	v_cndmask_b32_e64 v5, 0, v5, s[20:21]
	v_add_u32_e32 v0, v0, v5
	v_and_b32_e32 v6, 16, v68
	v_cmp_eq_u32_e64 s[24:25], 0, v6
	v_mov_b32_dpp v5, v0 row_shr:8 row_mask:0xf bank_mask:0xf
	v_cndmask_b32_e64 v1, 0, v5, s[22:23]
	v_add_u32_e32 v0, v0, v1
	v_bfe_i32 v5, v68, 4, 1
	s_nop 0
	v_mov_b32_dpp v1, v0 row_bcast:15 row_mask:0xf bank_mask:0xf
	v_and_b32_e32 v1, v5, v1
	v_add_u32_e32 v0, v0, v1
	s_nop 1
	v_mov_b32_dpp v1, v0 row_bcast:31 row_mask:0xf bank_mask:0xf
	v_cndmask_b32_e64 v1, 0, v1, s[26:27]
	v_add_u32_e32 v1, v0, v1
	s_and_saveexec_b64 s[28:29], s[6:7]
	s_cbranch_execz .LBB1976_232
; %bb.231:                              ;   in Loop: Header=BB1976_20 Depth=1
	ds_write_b32 v35, v1
.LBB1976_232:                           ;   in Loop: Header=BB1976_20 Depth=1
	s_or_b64 exec, exec, s[28:29]
	v_and_b32_e32 v0, 3, v68
	s_waitcnt lgkmcnt(0)
	s_barrier
	s_and_saveexec_b64 s[28:29], s[8:9]
	s_cbranch_execz .LBB1976_234
; %bb.233:                              ;   in Loop: Header=BB1976_20 Depth=1
	ds_read_b32 v5, v36
	v_cmp_ne_u32_e32 vcc, 0, v0
	s_waitcnt lgkmcnt(0)
	v_mov_b32_dpp v6, v5 row_shr:1 row_mask:0xf bank_mask:0xf
	v_cndmask_b32_e32 v6, 0, v6, vcc
	v_add_u32_e32 v5, v6, v5
	v_cmp_lt_u32_e32 vcc, 1, v0
	s_nop 0
	v_mov_b32_dpp v6, v5 row_shr:2 row_mask:0xf bank_mask:0xf
	v_cndmask_b32_e32 v6, 0, v6, vcc
	v_add_u32_e32 v5, v5, v6
	ds_write_b32 v36, v5
.LBB1976_234:                           ;   in Loop: Header=BB1976_20 Depth=1
	s_or_b64 exec, exec, s[28:29]
	v_mov_b32_e32 v5, 0
	s_waitcnt lgkmcnt(0)
	s_barrier
	s_and_saveexec_b64 s[28:29], s[10:11]
	s_cbranch_execz .LBB1976_236
; %bb.235:                              ;   in Loop: Header=BB1976_20 Depth=1
	ds_read_b32 v5, v37
.LBB1976_236:                           ;   in Loop: Header=BB1976_20 Depth=1
	s_or_b64 exec, exec, s[28:29]
	v_add_u32_e32 v6, -1, v68
	v_and_b32_e32 v7, 64, v68
	v_cmp_lt_i32_e32 vcc, v6, v7
	v_cndmask_b32_e32 v6, v6, v68, vcc
	s_waitcnt lgkmcnt(0)
	v_add_u32_e32 v1, v5, v1
	v_lshlrev_b32_e32 v69, 2, v6
	ds_bpermute_b32 v1, v69, v1
	v_cmp_eq_u32_e64 s[28:29], 0, v68
	s_waitcnt lgkmcnt(0)
	s_barrier
	s_and_saveexec_b64 s[30:31], s[4:5]
	s_cbranch_execz .LBB1976_238
; %bb.237:                              ;   in Loop: Header=BB1976_20 Depth=1
	v_cndmask_b32_e64 v1, v1, v5, s[28:29]
	v_add_u32_e32 v1, s51, v1
	ds_write_b32 v3, v1
.LBB1976_238:                           ;   in Loop: Header=BB1976_20 Depth=1
	s_or_b64 exec, exec, s[30:31]
	s_load_dwordx2 s[30:31], s[74:75], 0x0
	v_and_b32_e32 v21, 63, v68
	v_lshlrev_b32_e32 v22, 3, v21
	v_add_co_u32_e32 v77, vcc, v54, v22
	s_waitcnt lgkmcnt(0)
	s_cmp_lt_u32 s50, s30
	s_cselect_b32 s34, 12, 18
	s_cmp_lt_u32 s33, s31
	s_cselect_b32 s30, 14, 20
	s_add_u32 s30, s74, s30
	s_addc_u32 s31, s75, 0
	s_add_u32 s34, s74, s34
	global_load_ushort v5, v4, s[30:31]
	s_addc_u32 s35, s75, 0
	global_load_ushort v20, v4, s[34:35]
	v_or_b32_e32 v74, v21, v38
	v_lshlrev_b32_e32 v21, 1, v21
	v_addc_co_u32_e32 v79, vcc, 0, v55, vcc
	v_add_co_u32_e32 v88, vcc, v56, v21
	v_addc_co_u32_e32 v89, vcc, 0, v57, vcc
	v_add_co_u32_e32 v90, vcc, 0x380, v88
	v_cmp_eq_u32_e64 s[30:31], 0, v0
	v_cmp_lt_u32_e64 s[34:35], 1, v0
	s_mov_b32 s79, s71
	v_or_b32_e32 v81, 64, v74
	v_or_b32_e32 v82, 0x80, v74
	;; [unrolled: 1-line block ×7, first 2 shown]
	v_addc_co_u32_e32 v91, vcc, 0, v89, vcc
	s_mov_b32 s72, s51
                                        ; implicit-def: $vgpr0_vgpr1
                                        ; implicit-def: $vgpr6_vgpr7
                                        ; implicit-def: $vgpr8_vgpr9
                                        ; implicit-def: $vgpr10_vgpr11
                                        ; implicit-def: $vgpr12_vgpr13
                                        ; implicit-def: $vgpr14_vgpr15
                                        ; implicit-def: $vgpr16_vgpr17
                                        ; implicit-def: $vgpr18_vgpr19
                                        ; implicit-def: $vgpr70
                                        ; implicit-def: $vgpr71
                                        ; implicit-def: $vgpr72
                                        ; implicit-def: $vgpr73
                                        ; implicit-def: $vgpr75
                                        ; implicit-def: $vgpr76
                                        ; implicit-def: $vgpr78
                                        ; implicit-def: $vgpr80
	s_waitcnt vmcnt(1)
	v_mad_u32_u24 v5, v39, v5, v40
	s_waitcnt vmcnt(0)
	v_mad_u64_u32 v[20:21], s[36:37], v5, v20, v[2:3]
	v_lshrrev_b32_e32 v92, 6, v20
	s_branch .LBB1976_240
.LBB1976_239:                           ;   in Loop: Header=BB1976_240 Depth=2
	s_or_b64 exec, exec, s[36:37]
	s_addk_i32 s79, 0xf800
	s_cmp_lt_u32 s80, s76
	s_mov_b32 s72, s80
	s_cbranch_scc0 .LBB1976_352
.LBB1976_240:                           ;   Parent Loop BB1976_20 Depth=1
                                        ; =>  This Inner Loop Header: Depth=2
	s_add_i32 s80, s72, 0x800
	s_cmp_gt_u32 s80, s76
	s_cbranch_scc1 .LBB1976_243
; %bb.241:                              ;   in Loop: Header=BB1976_240 Depth=2
	s_lshl_b64 s[36:37], s[72:73], 1
	v_mov_b32_e32 v5, s37
	v_add_co_u32_e32 v20, vcc, s36, v88
	v_addc_co_u32_e32 v21, vcc, v89, v5, vcc
	global_load_ushort v5, v[20:21], off
	global_load_ushort v97, v[20:21], off offset:128
	global_load_ushort v101, v[20:21], off offset:256
	;; [unrolled: 1-line block ×6, first 2 shown]
	s_mov_b64 s[36:37], -1
	s_movk_i32 s40, 0x800
	s_cbranch_execz .LBB1976_244
; %bb.242:                              ;   in Loop: Header=BB1976_240 Depth=2
                                        ; implicit-def: $sgpr38
	v_mov_b32_e32 v23, s38
	v_mov_b32_e32 v93, s79
	s_and_saveexec_b64 s[38:39], s[36:37]
	s_cbranch_execnz .LBB1976_259
	s_branch .LBB1976_260
.LBB1976_243:                           ;   in Loop: Header=BB1976_240 Depth=2
	s_mov_b64 s[36:37], 0
                                        ; implicit-def: $sgpr40
                                        ; implicit-def: $vgpr5
                                        ; implicit-def: $vgpr97
                                        ; implicit-def: $vgpr101
                                        ; implicit-def: $vgpr106
                                        ; implicit-def: $vgpr109
                                        ; implicit-def: $vgpr104
                                        ; implicit-def: $vgpr22
.LBB1976_244:                           ;   in Loop: Header=BB1976_240 Depth=2
	s_lshl_b64 s[36:37], s[72:73], 1
	s_waitcnt vmcnt(6)
	v_mov_b32_e32 v5, s37
	v_add_co_u32_e32 v20, vcc, s36, v88
	v_addc_co_u32_e32 v21, vcc, v89, v5, vcc
	v_cmp_gt_u32_e32 vcc, s79, v74
	s_waitcnt vmcnt(5)
	v_mov_b32_e32 v97, -1
	v_mov_b32_e32 v5, -1
	s_and_saveexec_b64 s[36:37], vcc
	s_cbranch_execz .LBB1976_246
; %bb.245:                              ;   in Loop: Header=BB1976_240 Depth=2
	global_load_ushort v5, v[20:21], off
.LBB1976_246:                           ;   in Loop: Header=BB1976_240 Depth=2
	s_or_b64 exec, exec, s[36:37]
	v_cmp_gt_u32_e32 vcc, s79, v81
	s_and_saveexec_b64 s[36:37], vcc
	s_cbranch_execz .LBB1976_248
; %bb.247:                              ;   in Loop: Header=BB1976_240 Depth=2
	global_load_ushort v97, v[20:21], off offset:128
.LBB1976_248:                           ;   in Loop: Header=BB1976_240 Depth=2
	s_or_b64 exec, exec, s[36:37]
	v_cmp_gt_u32_e32 vcc, s79, v82
	s_waitcnt vmcnt(3)
	v_mov_b32_e32 v106, -1
	v_mov_b32_e32 v101, -1
	s_and_saveexec_b64 s[36:37], vcc
	s_cbranch_execz .LBB1976_250
; %bb.249:                              ;   in Loop: Header=BB1976_240 Depth=2
	global_load_ushort v101, v[20:21], off offset:256
.LBB1976_250:                           ;   in Loop: Header=BB1976_240 Depth=2
	s_or_b64 exec, exec, s[36:37]
	v_cmp_gt_u32_e32 vcc, s79, v83
	s_and_saveexec_b64 s[36:37], vcc
	s_cbranch_execz .LBB1976_252
; %bb.251:                              ;   in Loop: Header=BB1976_240 Depth=2
	global_load_ushort v106, v[20:21], off offset:384
.LBB1976_252:                           ;   in Loop: Header=BB1976_240 Depth=2
	s_or_b64 exec, exec, s[36:37]
	v_cmp_gt_u32_e32 vcc, s79, v84
	s_waitcnt vmcnt(1)
	v_mov_b32_e32 v104, -1
	v_mov_b32_e32 v109, -1
	s_and_saveexec_b64 s[36:37], vcc
	s_cbranch_execz .LBB1976_254
; %bb.253:                              ;   in Loop: Header=BB1976_240 Depth=2
	global_load_ushort v109, v[20:21], off offset:512
.LBB1976_254:                           ;   in Loop: Header=BB1976_240 Depth=2
	s_or_b64 exec, exec, s[36:37]
	v_cmp_gt_u32_e32 vcc, s79, v85
	s_and_saveexec_b64 s[36:37], vcc
	s_cbranch_execz .LBB1976_256
; %bb.255:                              ;   in Loop: Header=BB1976_240 Depth=2
	global_load_ushort v104, v[20:21], off offset:640
.LBB1976_256:                           ;   in Loop: Header=BB1976_240 Depth=2
	s_or_b64 exec, exec, s[36:37]
	v_cmp_gt_u32_e32 vcc, s79, v86
	s_waitcnt vmcnt(0)
	v_mov_b32_e32 v22, -1
	s_and_saveexec_b64 s[36:37], vcc
	s_cbranch_execz .LBB1976_258
; %bb.257:                              ;   in Loop: Header=BB1976_240 Depth=2
	global_load_ushort v22, v[20:21], off offset:768
.LBB1976_258:                           ;   in Loop: Header=BB1976_240 Depth=2
	s_or_b64 exec, exec, s[36:37]
	s_sub_i32 s40, s76, s72
	v_cmp_gt_u32_e64 s[36:37], s79, v87
	s_mov_b32 s38, -1
	v_mov_b32_e32 v23, s38
	v_mov_b32_e32 v93, s79
	s_and_saveexec_b64 s[38:39], s[36:37]
	s_cbranch_execz .LBB1976_260
.LBB1976_259:                           ;   in Loop: Header=BB1976_240 Depth=2
	s_lshl_b64 s[36:37], s[72:73], 1
	v_mov_b32_e32 v21, s37
	v_add_co_u32_e32 v20, vcc, s36, v90
	v_addc_co_u32_e32 v21, vcc, v91, v21, vcc
	global_load_ushort v23, v[20:21], off
	v_mov_b32_e32 v93, s40
.LBB1976_260:                           ;   in Loop: Header=BB1976_240 Depth=2
	s_or_b64 exec, exec, s[38:39]
	s_waitcnt vmcnt(6)
	v_cmp_gt_i16_e32 vcc, 0, v5
	v_cndmask_b32_e64 v20, v66, 0, vcc
	v_xor_b32_e32 v94, v20, v5
	v_add_u32_e32 v5, 0x410, v41
	v_cmp_ne_u16_e32 vcc, s68, v94
	ds_write2_b32 v5, v4, v4 offset1:1
	ds_write2_b32 v43, v4, v4 offset0:2 offset1:3
	ds_write_b32 v43, v4 offset:16
	v_cndmask_b32_e32 v5, v66, v94, vcc
	v_lshrrev_b32_sdwa v5, s77, v5 dst_sel:DWORD dst_unused:UNUSED_PAD src0_sel:DWORD src1_sel:WORD_0
	v_and_b32_e32 v20, s78, v5
	v_mad_u32_u24 v5, v20, 5, v92
	v_lshl_add_u32 v95, v5, 2, v42
	v_and_b32_e32 v5, 1, v20
	v_add_co_u32_e32 v21, vcc, -1, v5
	v_addc_co_u32_e64 v96, s[36:37], 0, -1, vcc
	v_cmp_ne_u32_e32 vcc, 0, v5
	v_xor_b32_e32 v5, vcc_hi, v96
	v_and_b32_e32 v96, exec_hi, v5
	v_lshlrev_b32_e32 v5, 30, v20
	v_xor_b32_e32 v21, vcc_lo, v21
	v_cmp_gt_i64_e32 vcc, 0, v[4:5]
	v_not_b32_e32 v5, v5
	v_ashrrev_i32_e32 v5, 31, v5
	v_and_b32_e32 v21, exec_lo, v21
	v_xor_b32_e32 v98, vcc_hi, v5
	v_xor_b32_e32 v5, vcc_lo, v5
	v_and_b32_e32 v21, v21, v5
	v_lshlrev_b32_e32 v5, 29, v20
	v_cmp_gt_i64_e32 vcc, 0, v[4:5]
	v_not_b32_e32 v5, v5
	v_ashrrev_i32_e32 v5, 31, v5
	v_and_b32_e32 v96, v96, v98
	v_xor_b32_e32 v98, vcc_hi, v5
	v_xor_b32_e32 v5, vcc_lo, v5
	v_and_b32_e32 v21, v21, v5
	v_lshlrev_b32_e32 v5, 28, v20
	v_cmp_gt_i64_e32 vcc, 0, v[4:5]
	v_not_b32_e32 v5, v5
	v_ashrrev_i32_e32 v5, 31, v5
	v_and_b32_e32 v96, v96, v98
	;; [unrolled: 8-line block ×5, first 2 shown]
	v_xor_b32_e32 v98, vcc_hi, v5
	v_xor_b32_e32 v5, vcc_lo, v5
	v_and_b32_e32 v96, v96, v98
	v_and_b32_e32 v98, v21, v5
	v_lshlrev_b32_e32 v5, 24, v20
	v_cmp_gt_i64_e32 vcc, 0, v[4:5]
	v_not_b32_e32 v5, v5
	v_ashrrev_i32_e32 v5, 31, v5
	v_xor_b32_e32 v20, vcc_hi, v5
	v_xor_b32_e32 v5, vcc_lo, v5
	v_and_b32_e32 v21, v96, v20
	v_and_b32_e32 v20, v98, v5
	v_mbcnt_lo_u32_b32 v5, v20, 0
	v_mbcnt_hi_u32_b32 v96, v21, v5
	v_cmp_eq_u32_e32 vcc, 0, v96
	v_cmp_ne_u64_e64 s[36:37], 0, v[20:21]
	s_and_b64 s[38:39], s[36:37], vcc
	s_waitcnt lgkmcnt(0)
	s_barrier
	s_waitcnt lgkmcnt(0)
	; wave barrier
	s_and_saveexec_b64 s[36:37], s[38:39]
	s_cbranch_execz .LBB1976_262
; %bb.261:                              ;   in Loop: Header=BB1976_240 Depth=2
	v_bcnt_u32_b32 v5, v20, 0
	v_bcnt_u32_b32 v5, v21, v5
	ds_write_b32 v95, v5
.LBB1976_262:                           ;   in Loop: Header=BB1976_240 Depth=2
	s_or_b64 exec, exec, s[36:37]
	s_waitcnt vmcnt(5)
	v_cmp_gt_i16_e32 vcc, 0, v97
	v_cndmask_b32_e64 v5, v66, 0, vcc
	v_xor_b32_e32 v97, v5, v97
	v_cmp_ne_u16_e32 vcc, s68, v97
	v_cndmask_b32_e32 v5, v66, v97, vcc
	v_lshrrev_b32_sdwa v5, s77, v5 dst_sel:DWORD dst_unused:UNUSED_PAD src0_sel:DWORD src1_sel:WORD_0
	v_and_b32_e32 v20, s78, v5
	v_mul_u32_u24_e32 v5, 5, v20
	v_add_lshl_u32 v5, v5, v92, 2
	; wave barrier
	v_add_u32_e32 v99, 0x410, v5
	ds_read_b32 v98, v5 offset:1040
	v_and_b32_e32 v5, 1, v20
	v_add_co_u32_e32 v21, vcc, -1, v5
	v_addc_co_u32_e64 v100, s[36:37], 0, -1, vcc
	v_cmp_ne_u32_e32 vcc, 0, v5
	v_xor_b32_e32 v5, vcc_hi, v100
	v_and_b32_e32 v100, exec_hi, v5
	v_lshlrev_b32_e32 v5, 30, v20
	v_xor_b32_e32 v21, vcc_lo, v21
	v_cmp_gt_i64_e32 vcc, 0, v[4:5]
	v_not_b32_e32 v5, v5
	v_ashrrev_i32_e32 v5, 31, v5
	v_and_b32_e32 v21, exec_lo, v21
	v_xor_b32_e32 v102, vcc_hi, v5
	v_xor_b32_e32 v5, vcc_lo, v5
	v_and_b32_e32 v21, v21, v5
	v_lshlrev_b32_e32 v5, 29, v20
	v_cmp_gt_i64_e32 vcc, 0, v[4:5]
	v_not_b32_e32 v5, v5
	v_ashrrev_i32_e32 v5, 31, v5
	v_and_b32_e32 v100, v100, v102
	v_xor_b32_e32 v102, vcc_hi, v5
	v_xor_b32_e32 v5, vcc_lo, v5
	v_and_b32_e32 v21, v21, v5
	v_lshlrev_b32_e32 v5, 28, v20
	v_cmp_gt_i64_e32 vcc, 0, v[4:5]
	v_not_b32_e32 v5, v5
	v_ashrrev_i32_e32 v5, 31, v5
	v_and_b32_e32 v100, v100, v102
	;; [unrolled: 8-line block ×5, first 2 shown]
	v_xor_b32_e32 v102, vcc_hi, v5
	v_xor_b32_e32 v5, vcc_lo, v5
	v_and_b32_e32 v100, v100, v102
	v_and_b32_e32 v102, v21, v5
	v_lshlrev_b32_e32 v5, 24, v20
	v_cmp_gt_i64_e32 vcc, 0, v[4:5]
	v_not_b32_e32 v5, v5
	v_ashrrev_i32_e32 v5, 31, v5
	v_xor_b32_e32 v20, vcc_hi, v5
	v_xor_b32_e32 v5, vcc_lo, v5
	v_and_b32_e32 v21, v100, v20
	v_and_b32_e32 v20, v102, v5
	v_mbcnt_lo_u32_b32 v5, v20, 0
	v_mbcnt_hi_u32_b32 v100, v21, v5
	v_cmp_eq_u32_e32 vcc, 0, v100
	v_cmp_ne_u64_e64 s[36:37], 0, v[20:21]
	s_and_b64 s[38:39], s[36:37], vcc
	; wave barrier
	s_and_saveexec_b64 s[36:37], s[38:39]
	s_cbranch_execz .LBB1976_264
; %bb.263:                              ;   in Loop: Header=BB1976_240 Depth=2
	v_bcnt_u32_b32 v5, v20, 0
	v_bcnt_u32_b32 v5, v21, v5
	s_waitcnt lgkmcnt(0)
	v_add_u32_e32 v5, v98, v5
	ds_write_b32 v99, v5
.LBB1976_264:                           ;   in Loop: Header=BB1976_240 Depth=2
	s_or_b64 exec, exec, s[36:37]
	s_waitcnt vmcnt(4)
	v_cmp_gt_i16_e32 vcc, 0, v101
	v_cndmask_b32_e64 v5, v66, 0, vcc
	v_xor_b32_e32 v101, v5, v101
	v_cmp_ne_u16_e32 vcc, s68, v101
	v_cndmask_b32_e32 v5, v66, v101, vcc
	v_lshrrev_b32_sdwa v5, s77, v5 dst_sel:DWORD dst_unused:UNUSED_PAD src0_sel:DWORD src1_sel:WORD_0
	v_and_b32_e32 v20, s78, v5
	v_mul_u32_u24_e32 v5, 5, v20
	v_add_lshl_u32 v5, v5, v92, 2
	; wave barrier
	v_add_u32_e32 v103, 0x410, v5
	ds_read_b32 v102, v5 offset:1040
	v_and_b32_e32 v5, 1, v20
	v_add_co_u32_e32 v21, vcc, -1, v5
	v_addc_co_u32_e64 v105, s[36:37], 0, -1, vcc
	v_cmp_ne_u32_e32 vcc, 0, v5
	v_xor_b32_e32 v5, vcc_hi, v105
	v_and_b32_e32 v105, exec_hi, v5
	v_lshlrev_b32_e32 v5, 30, v20
	v_xor_b32_e32 v21, vcc_lo, v21
	v_cmp_gt_i64_e32 vcc, 0, v[4:5]
	v_not_b32_e32 v5, v5
	v_ashrrev_i32_e32 v5, 31, v5
	v_and_b32_e32 v21, exec_lo, v21
	v_xor_b32_e32 v107, vcc_hi, v5
	v_xor_b32_e32 v5, vcc_lo, v5
	v_and_b32_e32 v21, v21, v5
	v_lshlrev_b32_e32 v5, 29, v20
	v_cmp_gt_i64_e32 vcc, 0, v[4:5]
	v_not_b32_e32 v5, v5
	v_ashrrev_i32_e32 v5, 31, v5
	v_and_b32_e32 v105, v105, v107
	v_xor_b32_e32 v107, vcc_hi, v5
	v_xor_b32_e32 v5, vcc_lo, v5
	v_and_b32_e32 v21, v21, v5
	v_lshlrev_b32_e32 v5, 28, v20
	v_cmp_gt_i64_e32 vcc, 0, v[4:5]
	v_not_b32_e32 v5, v5
	v_ashrrev_i32_e32 v5, 31, v5
	v_and_b32_e32 v105, v105, v107
	v_xor_b32_e32 v107, vcc_hi, v5
	v_xor_b32_e32 v5, vcc_lo, v5
	v_and_b32_e32 v21, v21, v5
	v_lshlrev_b32_e32 v5, 27, v20
	v_cmp_gt_i64_e32 vcc, 0, v[4:5]
	v_not_b32_e32 v5, v5
	v_ashrrev_i32_e32 v5, 31, v5
	v_and_b32_e32 v105, v105, v107
	v_xor_b32_e32 v107, vcc_hi, v5
	v_xor_b32_e32 v5, vcc_lo, v5
	v_and_b32_e32 v21, v21, v5
	v_lshlrev_b32_e32 v5, 26, v20
	v_cmp_gt_i64_e32 vcc, 0, v[4:5]
	v_not_b32_e32 v5, v5
	v_ashrrev_i32_e32 v5, 31, v5
	v_and_b32_e32 v105, v105, v107
	v_xor_b32_e32 v107, vcc_hi, v5
	v_xor_b32_e32 v5, vcc_lo, v5
	v_and_b32_e32 v21, v21, v5
	v_lshlrev_b32_e32 v5, 25, v20
	v_cmp_gt_i64_e32 vcc, 0, v[4:5]
	v_not_b32_e32 v5, v5
	v_ashrrev_i32_e32 v5, 31, v5
	v_and_b32_e32 v105, v105, v107
	v_xor_b32_e32 v107, vcc_hi, v5
	v_xor_b32_e32 v5, vcc_lo, v5
	v_and_b32_e32 v105, v105, v107
	v_and_b32_e32 v107, v21, v5
	v_lshlrev_b32_e32 v5, 24, v20
	v_cmp_gt_i64_e32 vcc, 0, v[4:5]
	v_not_b32_e32 v5, v5
	v_ashrrev_i32_e32 v5, 31, v5
	v_xor_b32_e32 v20, vcc_hi, v5
	v_xor_b32_e32 v5, vcc_lo, v5
	v_and_b32_e32 v21, v105, v20
	v_and_b32_e32 v20, v107, v5
	v_mbcnt_lo_u32_b32 v5, v20, 0
	v_mbcnt_hi_u32_b32 v105, v21, v5
	v_cmp_eq_u32_e32 vcc, 0, v105
	v_cmp_ne_u64_e64 s[36:37], 0, v[20:21]
	s_and_b64 s[38:39], s[36:37], vcc
	; wave barrier
	s_and_saveexec_b64 s[36:37], s[38:39]
	s_cbranch_execz .LBB1976_266
; %bb.265:                              ;   in Loop: Header=BB1976_240 Depth=2
	v_bcnt_u32_b32 v5, v20, 0
	v_bcnt_u32_b32 v5, v21, v5
	s_waitcnt lgkmcnt(0)
	v_add_u32_e32 v5, v102, v5
	ds_write_b32 v103, v5
.LBB1976_266:                           ;   in Loop: Header=BB1976_240 Depth=2
	s_or_b64 exec, exec, s[36:37]
	s_waitcnt vmcnt(3)
	v_cmp_gt_i16_e32 vcc, 0, v106
	v_cndmask_b32_e64 v5, v66, 0, vcc
	v_xor_b32_e32 v106, v5, v106
	v_cmp_ne_u16_e32 vcc, s68, v106
	v_cndmask_b32_e32 v5, v66, v106, vcc
	v_lshrrev_b32_sdwa v5, s77, v5 dst_sel:DWORD dst_unused:UNUSED_PAD src0_sel:DWORD src1_sel:WORD_0
	v_and_b32_e32 v20, s78, v5
	v_mul_u32_u24_e32 v5, 5, v20
	v_add_lshl_u32 v5, v5, v92, 2
	; wave barrier
	v_add_u32_e32 v108, 0x410, v5
	ds_read_b32 v107, v5 offset:1040
	v_and_b32_e32 v5, 1, v20
	v_add_co_u32_e32 v21, vcc, -1, v5
	v_addc_co_u32_e64 v110, s[36:37], 0, -1, vcc
	v_cmp_ne_u32_e32 vcc, 0, v5
	v_xor_b32_e32 v5, vcc_hi, v110
	v_and_b32_e32 v110, exec_hi, v5
	v_lshlrev_b32_e32 v5, 30, v20
	v_xor_b32_e32 v21, vcc_lo, v21
	v_cmp_gt_i64_e32 vcc, 0, v[4:5]
	v_not_b32_e32 v5, v5
	v_ashrrev_i32_e32 v5, 31, v5
	v_and_b32_e32 v21, exec_lo, v21
	v_xor_b32_e32 v111, vcc_hi, v5
	v_xor_b32_e32 v5, vcc_lo, v5
	v_and_b32_e32 v21, v21, v5
	v_lshlrev_b32_e32 v5, 29, v20
	v_cmp_gt_i64_e32 vcc, 0, v[4:5]
	v_not_b32_e32 v5, v5
	v_ashrrev_i32_e32 v5, 31, v5
	v_and_b32_e32 v110, v110, v111
	v_xor_b32_e32 v111, vcc_hi, v5
	v_xor_b32_e32 v5, vcc_lo, v5
	v_and_b32_e32 v21, v21, v5
	v_lshlrev_b32_e32 v5, 28, v20
	v_cmp_gt_i64_e32 vcc, 0, v[4:5]
	v_not_b32_e32 v5, v5
	v_ashrrev_i32_e32 v5, 31, v5
	v_and_b32_e32 v110, v110, v111
	;; [unrolled: 8-line block ×5, first 2 shown]
	v_xor_b32_e32 v111, vcc_hi, v5
	v_xor_b32_e32 v5, vcc_lo, v5
	v_and_b32_e32 v110, v110, v111
	v_and_b32_e32 v111, v21, v5
	v_lshlrev_b32_e32 v5, 24, v20
	v_cmp_gt_i64_e32 vcc, 0, v[4:5]
	v_not_b32_e32 v5, v5
	v_ashrrev_i32_e32 v5, 31, v5
	v_xor_b32_e32 v20, vcc_hi, v5
	v_xor_b32_e32 v5, vcc_lo, v5
	v_and_b32_e32 v21, v110, v20
	v_and_b32_e32 v20, v111, v5
	v_mbcnt_lo_u32_b32 v5, v20, 0
	v_mbcnt_hi_u32_b32 v110, v21, v5
	v_cmp_eq_u32_e32 vcc, 0, v110
	v_cmp_ne_u64_e64 s[36:37], 0, v[20:21]
	s_and_b64 s[38:39], s[36:37], vcc
	; wave barrier
	s_and_saveexec_b64 s[36:37], s[38:39]
	s_cbranch_execz .LBB1976_268
; %bb.267:                              ;   in Loop: Header=BB1976_240 Depth=2
	v_bcnt_u32_b32 v5, v20, 0
	v_bcnt_u32_b32 v5, v21, v5
	s_waitcnt lgkmcnt(0)
	v_add_u32_e32 v5, v107, v5
	ds_write_b32 v108, v5
.LBB1976_268:                           ;   in Loop: Header=BB1976_240 Depth=2
	s_or_b64 exec, exec, s[36:37]
	s_waitcnt vmcnt(2)
	v_cmp_gt_i16_e32 vcc, 0, v109
	v_cndmask_b32_e64 v5, v66, 0, vcc
	v_xor_b32_e32 v109, v5, v109
	v_cmp_ne_u16_e32 vcc, s68, v109
	v_cndmask_b32_e32 v5, v66, v109, vcc
	v_lshrrev_b32_sdwa v5, s77, v5 dst_sel:DWORD dst_unused:UNUSED_PAD src0_sel:DWORD src1_sel:WORD_0
	v_and_b32_e32 v20, s78, v5
	v_mul_u32_u24_e32 v5, 5, v20
	v_add_lshl_u32 v5, v5, v92, 2
	; wave barrier
	v_add_u32_e32 v112, 0x410, v5
	ds_read_b32 v111, v5 offset:1040
	v_and_b32_e32 v5, 1, v20
	v_add_co_u32_e32 v21, vcc, -1, v5
	v_addc_co_u32_e64 v113, s[36:37], 0, -1, vcc
	v_cmp_ne_u32_e32 vcc, 0, v5
	v_xor_b32_e32 v5, vcc_hi, v113
	v_and_b32_e32 v113, exec_hi, v5
	v_lshlrev_b32_e32 v5, 30, v20
	v_xor_b32_e32 v21, vcc_lo, v21
	v_cmp_gt_i64_e32 vcc, 0, v[4:5]
	v_not_b32_e32 v5, v5
	v_ashrrev_i32_e32 v5, 31, v5
	v_and_b32_e32 v21, exec_lo, v21
	v_xor_b32_e32 v114, vcc_hi, v5
	v_xor_b32_e32 v5, vcc_lo, v5
	v_and_b32_e32 v21, v21, v5
	v_lshlrev_b32_e32 v5, 29, v20
	v_cmp_gt_i64_e32 vcc, 0, v[4:5]
	v_not_b32_e32 v5, v5
	v_ashrrev_i32_e32 v5, 31, v5
	v_and_b32_e32 v113, v113, v114
	v_xor_b32_e32 v114, vcc_hi, v5
	v_xor_b32_e32 v5, vcc_lo, v5
	v_and_b32_e32 v21, v21, v5
	v_lshlrev_b32_e32 v5, 28, v20
	v_cmp_gt_i64_e32 vcc, 0, v[4:5]
	v_not_b32_e32 v5, v5
	v_ashrrev_i32_e32 v5, 31, v5
	v_and_b32_e32 v113, v113, v114
	;; [unrolled: 8-line block ×5, first 2 shown]
	v_xor_b32_e32 v114, vcc_hi, v5
	v_xor_b32_e32 v5, vcc_lo, v5
	v_and_b32_e32 v113, v113, v114
	v_and_b32_e32 v114, v21, v5
	v_lshlrev_b32_e32 v5, 24, v20
	v_cmp_gt_i64_e32 vcc, 0, v[4:5]
	v_not_b32_e32 v5, v5
	v_ashrrev_i32_e32 v5, 31, v5
	v_xor_b32_e32 v20, vcc_hi, v5
	v_xor_b32_e32 v5, vcc_lo, v5
	v_and_b32_e32 v21, v113, v20
	v_and_b32_e32 v20, v114, v5
	v_mbcnt_lo_u32_b32 v5, v20, 0
	v_mbcnt_hi_u32_b32 v113, v21, v5
	v_cmp_eq_u32_e32 vcc, 0, v113
	v_cmp_ne_u64_e64 s[36:37], 0, v[20:21]
	s_and_b64 s[38:39], s[36:37], vcc
	; wave barrier
	s_and_saveexec_b64 s[36:37], s[38:39]
	s_cbranch_execz .LBB1976_270
; %bb.269:                              ;   in Loop: Header=BB1976_240 Depth=2
	v_bcnt_u32_b32 v5, v20, 0
	v_bcnt_u32_b32 v5, v21, v5
	s_waitcnt lgkmcnt(0)
	v_add_u32_e32 v5, v111, v5
	ds_write_b32 v112, v5
.LBB1976_270:                           ;   in Loop: Header=BB1976_240 Depth=2
	s_or_b64 exec, exec, s[36:37]
	s_waitcnt vmcnt(1)
	v_cmp_gt_i16_e32 vcc, 0, v104
	v_cndmask_b32_e64 v5, v66, 0, vcc
	v_xor_b32_e32 v104, v5, v104
	v_cmp_ne_u16_e32 vcc, s68, v104
	v_cndmask_b32_e32 v5, v66, v104, vcc
	v_lshrrev_b32_sdwa v5, s77, v5 dst_sel:DWORD dst_unused:UNUSED_PAD src0_sel:DWORD src1_sel:WORD_0
	v_and_b32_e32 v20, s78, v5
	v_mul_u32_u24_e32 v5, 5, v20
	v_add_lshl_u32 v5, v5, v92, 2
	; wave barrier
	v_add_u32_e32 v115, 0x410, v5
	ds_read_b32 v114, v5 offset:1040
	v_and_b32_e32 v5, 1, v20
	v_add_co_u32_e32 v21, vcc, -1, v5
	v_addc_co_u32_e64 v116, s[36:37], 0, -1, vcc
	v_cmp_ne_u32_e32 vcc, 0, v5
	v_xor_b32_e32 v5, vcc_hi, v116
	v_and_b32_e32 v116, exec_hi, v5
	v_lshlrev_b32_e32 v5, 30, v20
	v_xor_b32_e32 v21, vcc_lo, v21
	v_cmp_gt_i64_e32 vcc, 0, v[4:5]
	v_not_b32_e32 v5, v5
	v_ashrrev_i32_e32 v5, 31, v5
	v_and_b32_e32 v21, exec_lo, v21
	v_xor_b32_e32 v117, vcc_hi, v5
	v_xor_b32_e32 v5, vcc_lo, v5
	v_and_b32_e32 v21, v21, v5
	v_lshlrev_b32_e32 v5, 29, v20
	v_cmp_gt_i64_e32 vcc, 0, v[4:5]
	v_not_b32_e32 v5, v5
	v_ashrrev_i32_e32 v5, 31, v5
	v_and_b32_e32 v116, v116, v117
	v_xor_b32_e32 v117, vcc_hi, v5
	v_xor_b32_e32 v5, vcc_lo, v5
	v_and_b32_e32 v21, v21, v5
	v_lshlrev_b32_e32 v5, 28, v20
	v_cmp_gt_i64_e32 vcc, 0, v[4:5]
	v_not_b32_e32 v5, v5
	v_ashrrev_i32_e32 v5, 31, v5
	v_and_b32_e32 v116, v116, v117
	;; [unrolled: 8-line block ×5, first 2 shown]
	v_xor_b32_e32 v117, vcc_hi, v5
	v_xor_b32_e32 v5, vcc_lo, v5
	v_and_b32_e32 v116, v116, v117
	v_and_b32_e32 v117, v21, v5
	v_lshlrev_b32_e32 v5, 24, v20
	v_cmp_gt_i64_e32 vcc, 0, v[4:5]
	v_not_b32_e32 v5, v5
	v_ashrrev_i32_e32 v5, 31, v5
	v_xor_b32_e32 v20, vcc_hi, v5
	v_xor_b32_e32 v5, vcc_lo, v5
	v_and_b32_e32 v21, v116, v20
	v_and_b32_e32 v20, v117, v5
	v_mbcnt_lo_u32_b32 v5, v20, 0
	v_mbcnt_hi_u32_b32 v116, v21, v5
	v_cmp_eq_u32_e32 vcc, 0, v116
	v_cmp_ne_u64_e64 s[36:37], 0, v[20:21]
	s_and_b64 s[38:39], s[36:37], vcc
	; wave barrier
	s_and_saveexec_b64 s[36:37], s[38:39]
	s_cbranch_execz .LBB1976_272
; %bb.271:                              ;   in Loop: Header=BB1976_240 Depth=2
	v_bcnt_u32_b32 v5, v20, 0
	v_bcnt_u32_b32 v5, v21, v5
	s_waitcnt lgkmcnt(0)
	v_add_u32_e32 v5, v114, v5
	ds_write_b32 v115, v5
.LBB1976_272:                           ;   in Loop: Header=BB1976_240 Depth=2
	s_or_b64 exec, exec, s[36:37]
	s_waitcnt vmcnt(0)
	v_cmp_gt_i16_e32 vcc, 0, v22
	v_cndmask_b32_e64 v5, v66, 0, vcc
	v_xor_b32_e32 v117, v5, v22
	v_cmp_ne_u16_e32 vcc, s68, v117
	v_cndmask_b32_e32 v5, v66, v117, vcc
	v_lshrrev_b32_sdwa v5, s77, v5 dst_sel:DWORD dst_unused:UNUSED_PAD src0_sel:DWORD src1_sel:WORD_0
	v_and_b32_e32 v20, s78, v5
	v_mul_u32_u24_e32 v5, 5, v20
	v_add_lshl_u32 v5, v5, v92, 2
	; wave barrier
	v_add_u32_e32 v119, 0x410, v5
	ds_read_b32 v118, v5 offset:1040
	v_and_b32_e32 v5, 1, v20
	v_add_co_u32_e32 v21, vcc, -1, v5
	v_addc_co_u32_e64 v22, s[36:37], 0, -1, vcc
	v_cmp_ne_u32_e32 vcc, 0, v5
	v_xor_b32_e32 v5, vcc_hi, v22
	v_and_b32_e32 v22, exec_hi, v5
	v_lshlrev_b32_e32 v5, 30, v20
	v_xor_b32_e32 v21, vcc_lo, v21
	v_cmp_gt_i64_e32 vcc, 0, v[4:5]
	v_not_b32_e32 v5, v5
	v_ashrrev_i32_e32 v5, 31, v5
	v_and_b32_e32 v21, exec_lo, v21
	v_xor_b32_e32 v120, vcc_hi, v5
	v_xor_b32_e32 v5, vcc_lo, v5
	v_and_b32_e32 v21, v21, v5
	v_lshlrev_b32_e32 v5, 29, v20
	v_cmp_gt_i64_e32 vcc, 0, v[4:5]
	v_not_b32_e32 v5, v5
	v_ashrrev_i32_e32 v5, 31, v5
	v_and_b32_e32 v22, v22, v120
	v_xor_b32_e32 v120, vcc_hi, v5
	v_xor_b32_e32 v5, vcc_lo, v5
	v_and_b32_e32 v21, v21, v5
	v_lshlrev_b32_e32 v5, 28, v20
	v_cmp_gt_i64_e32 vcc, 0, v[4:5]
	v_not_b32_e32 v5, v5
	v_ashrrev_i32_e32 v5, 31, v5
	v_and_b32_e32 v22, v22, v120
	;; [unrolled: 8-line block ×5, first 2 shown]
	v_xor_b32_e32 v120, vcc_hi, v5
	v_xor_b32_e32 v5, vcc_lo, v5
	v_and_b32_e32 v22, v22, v120
	v_and_b32_e32 v120, v21, v5
	v_lshlrev_b32_e32 v5, 24, v20
	v_cmp_gt_i64_e32 vcc, 0, v[4:5]
	v_not_b32_e32 v5, v5
	v_ashrrev_i32_e32 v5, 31, v5
	v_xor_b32_e32 v20, vcc_hi, v5
	v_xor_b32_e32 v5, vcc_lo, v5
	v_and_b32_e32 v21, v22, v20
	v_and_b32_e32 v20, v120, v5
	v_mbcnt_lo_u32_b32 v5, v20, 0
	v_mbcnt_hi_u32_b32 v120, v21, v5
	v_cmp_eq_u32_e32 vcc, 0, v120
	v_cmp_ne_u64_e64 s[36:37], 0, v[20:21]
	s_and_b64 s[38:39], s[36:37], vcc
	; wave barrier
	s_and_saveexec_b64 s[36:37], s[38:39]
	s_cbranch_execz .LBB1976_274
; %bb.273:                              ;   in Loop: Header=BB1976_240 Depth=2
	v_bcnt_u32_b32 v5, v20, 0
	v_bcnt_u32_b32 v5, v21, v5
	s_waitcnt lgkmcnt(0)
	v_add_u32_e32 v5, v118, v5
	ds_write_b32 v119, v5
.LBB1976_274:                           ;   in Loop: Header=BB1976_240 Depth=2
	s_or_b64 exec, exec, s[36:37]
	v_cmp_gt_i16_e32 vcc, 0, v23
	v_cndmask_b32_e64 v5, v66, 0, vcc
	v_xor_b32_e32 v121, v5, v23
	v_cmp_ne_u16_e32 vcc, s68, v121
	v_cndmask_b32_e32 v5, v66, v121, vcc
	v_lshrrev_b32_sdwa v5, s77, v5 dst_sel:DWORD dst_unused:UNUSED_PAD src0_sel:DWORD src1_sel:WORD_0
	v_and_b32_e32 v20, s78, v5
	v_mul_u32_u24_e32 v5, 5, v20
	v_add_lshl_u32 v5, v5, v92, 2
	; wave barrier
	v_add_u32_e32 v123, 0x410, v5
	ds_read_b32 v122, v5 offset:1040
	v_and_b32_e32 v5, 1, v20
	v_add_co_u32_e32 v21, vcc, -1, v5
	v_addc_co_u32_e64 v22, s[36:37], 0, -1, vcc
	v_cmp_ne_u32_e32 vcc, 0, v5
	v_xor_b32_e32 v5, vcc_hi, v22
	v_and_b32_e32 v22, exec_hi, v5
	v_lshlrev_b32_e32 v5, 30, v20
	v_xor_b32_e32 v21, vcc_lo, v21
	v_cmp_gt_i64_e32 vcc, 0, v[4:5]
	v_not_b32_e32 v5, v5
	v_ashrrev_i32_e32 v5, 31, v5
	v_and_b32_e32 v21, exec_lo, v21
	v_xor_b32_e32 v23, vcc_hi, v5
	v_xor_b32_e32 v5, vcc_lo, v5
	v_and_b32_e32 v21, v21, v5
	v_lshlrev_b32_e32 v5, 29, v20
	v_cmp_gt_i64_e32 vcc, 0, v[4:5]
	v_not_b32_e32 v5, v5
	v_ashrrev_i32_e32 v5, 31, v5
	v_and_b32_e32 v22, v22, v23
	v_xor_b32_e32 v23, vcc_hi, v5
	v_xor_b32_e32 v5, vcc_lo, v5
	v_and_b32_e32 v21, v21, v5
	v_lshlrev_b32_e32 v5, 28, v20
	v_cmp_gt_i64_e32 vcc, 0, v[4:5]
	v_not_b32_e32 v5, v5
	v_ashrrev_i32_e32 v5, 31, v5
	v_and_b32_e32 v22, v22, v23
	;; [unrolled: 8-line block ×5, first 2 shown]
	v_xor_b32_e32 v23, vcc_hi, v5
	v_xor_b32_e32 v5, vcc_lo, v5
	v_and_b32_e32 v22, v22, v23
	v_and_b32_e32 v23, v21, v5
	v_lshlrev_b32_e32 v5, 24, v20
	v_cmp_gt_i64_e32 vcc, 0, v[4:5]
	v_not_b32_e32 v5, v5
	v_ashrrev_i32_e32 v5, 31, v5
	v_xor_b32_e32 v20, vcc_hi, v5
	v_xor_b32_e32 v5, vcc_lo, v5
	v_and_b32_e32 v21, v22, v20
	v_and_b32_e32 v20, v23, v5
	v_mbcnt_lo_u32_b32 v5, v20, 0
	v_mbcnt_hi_u32_b32 v124, v21, v5
	v_cmp_eq_u32_e32 vcc, 0, v124
	v_cmp_ne_u64_e64 s[36:37], 0, v[20:21]
	s_and_b64 s[38:39], s[36:37], vcc
	; wave barrier
	s_and_saveexec_b64 s[36:37], s[38:39]
	s_cbranch_execz .LBB1976_276
; %bb.275:                              ;   in Loop: Header=BB1976_240 Depth=2
	v_bcnt_u32_b32 v5, v20, 0
	v_bcnt_u32_b32 v5, v21, v5
	s_waitcnt lgkmcnt(0)
	v_add_u32_e32 v5, v122, v5
	ds_write_b32 v123, v5
.LBB1976_276:                           ;   in Loop: Header=BB1976_240 Depth=2
	s_or_b64 exec, exec, s[36:37]
	; wave barrier
	s_waitcnt lgkmcnt(0)
	s_barrier
	ds_read_b32 v5, v41 offset:1040
	ds_read2_b32 v[22:23], v43 offset0:1 offset1:2
	ds_read2_b32 v[20:21], v43 offset0:3 offset1:4
	s_waitcnt lgkmcnt(1)
	v_add3_u32 v125, v22, v5, v23
	s_waitcnt lgkmcnt(0)
	v_add3_u32 v21, v125, v20, v21
	s_nop 1
	v_mov_b32_dpp v125, v21 row_shr:1 row_mask:0xf bank_mask:0xf
	v_cndmask_b32_e64 v125, v125, 0, s[16:17]
	v_add_u32_e32 v21, v125, v21
	s_nop 1
	v_mov_b32_dpp v125, v21 row_shr:2 row_mask:0xf bank_mask:0xf
	v_cndmask_b32_e64 v125, 0, v125, s[18:19]
	v_add_u32_e32 v21, v21, v125
	;; [unrolled: 4-line block ×4, first 2 shown]
	s_nop 1
	v_mov_b32_dpp v125, v21 row_bcast:15 row_mask:0xf bank_mask:0xf
	v_cndmask_b32_e64 v125, v125, 0, s[24:25]
	v_add_u32_e32 v21, v21, v125
	s_nop 1
	v_mov_b32_dpp v125, v21 row_bcast:31 row_mask:0xf bank_mask:0xf
	v_cndmask_b32_e64 v125, 0, v125, s[26:27]
	v_add_u32_e32 v21, v21, v125
	s_and_saveexec_b64 s[36:37], s[6:7]
	s_cbranch_execz .LBB1976_278
; %bb.277:                              ;   in Loop: Header=BB1976_240 Depth=2
	ds_write_b32 v34, v21 offset:1024
.LBB1976_278:                           ;   in Loop: Header=BB1976_240 Depth=2
	s_or_b64 exec, exec, s[36:37]
	s_waitcnt lgkmcnt(0)
	s_barrier
	s_and_saveexec_b64 s[36:37], s[8:9]
	s_cbranch_execz .LBB1976_280
; %bb.279:                              ;   in Loop: Header=BB1976_240 Depth=2
	ds_read_b32 v125, v44 offset:1024
	s_waitcnt lgkmcnt(0)
	s_nop 0
	v_mov_b32_dpp v126, v125 row_shr:1 row_mask:0xf bank_mask:0xf
	v_cndmask_b32_e64 v126, v126, 0, s[30:31]
	v_add_u32_e32 v125, v126, v125
	s_nop 1
	v_mov_b32_dpp v126, v125 row_shr:2 row_mask:0xf bank_mask:0xf
	v_cndmask_b32_e64 v126, 0, v126, s[34:35]
	v_add_u32_e32 v125, v125, v126
	ds_write_b32 v44, v125 offset:1024
.LBB1976_280:                           ;   in Loop: Header=BB1976_240 Depth=2
	s_or_b64 exec, exec, s[36:37]
	v_mov_b32_e32 v125, 0
	s_waitcnt lgkmcnt(0)
	s_barrier
	s_and_saveexec_b64 s[36:37], s[10:11]
	s_cbranch_execz .LBB1976_282
; %bb.281:                              ;   in Loop: Header=BB1976_240 Depth=2
	ds_read_b32 v125, v34 offset:1020
.LBB1976_282:                           ;   in Loop: Header=BB1976_240 Depth=2
	s_or_b64 exec, exec, s[36:37]
	s_waitcnt lgkmcnt(0)
	v_add_u32_e32 v21, v125, v21
	ds_bpermute_b32 v21, v69, v21
	s_waitcnt lgkmcnt(0)
	v_cndmask_b32_e64 v21, v21, v125, s[28:29]
	v_cndmask_b32_e64 v21, v21, 0, s[12:13]
	v_add_u32_e32 v5, v21, v5
	ds_write_b32 v41, v21 offset:1040
	v_add_u32_e32 v21, v5, v22
	v_add_u32_e32 v22, v21, v23
	ds_write2_b32 v43, v5, v21 offset0:1 offset1:2
	v_add_u32_e32 v5, v22, v20
	ds_write2_b32 v43, v22, v5 offset0:3 offset1:4
	s_waitcnt lgkmcnt(0)
	s_barrier
	ds_read_b32 v20, v99
	ds_read_b32 v21, v103
	;; [unrolled: 1-line block ×8, first 2 shown]
	ds_read_b32 v99, v41 offset:1040
	v_mov_b32_e32 v5, 0x800
	s_and_saveexec_b64 s[36:37], s[14:15]
	s_cbranch_execz .LBB1976_284
; %bb.283:                              ;   in Loop: Header=BB1976_240 Depth=2
	ds_read_b32 v5, v41 offset:1060
.LBB1976_284:                           ;   in Loop: Header=BB1976_240 Depth=2
	s_or_b64 exec, exec, s[36:37]
	s_waitcnt lgkmcnt(0)
	s_barrier
	s_and_saveexec_b64 s[36:37], s[4:5]
	s_cbranch_execz .LBB1976_286
; %bb.285:                              ;   in Loop: Header=BB1976_240 Depth=2
	ds_read_b32 v103, v3
	s_waitcnt lgkmcnt(0)
	v_sub_u32_e32 v99, v103, v99
	ds_write_b32 v3, v99
.LBB1976_286:                           ;   in Loop: Header=BB1976_240 Depth=2
	s_or_b64 exec, exec, s[36:37]
	v_add_u32_e32 v103, v95, v96
	v_add3_u32 v100, v100, v98, v20
	v_lshlrev_b32_e32 v20, 1, v103
	v_add3_u32 v99, v105, v102, v21
	ds_write_b16 v20, v94 offset:1024
	v_lshlrev_b32_e32 v20, 1, v100
	v_add3_u32 v98, v110, v107, v22
	ds_write_b16 v20, v97 offset:1024
	;; [unrolled: 3-line block ×6, first 2 shown]
	v_lshlrev_b32_e32 v20, 1, v23
	ds_write_b16 v20, v117 offset:1024
	v_lshlrev_b32_e32 v20, 1, v22
	v_cmp_lt_u32_e32 vcc, v2, v93
	ds_write_b16 v20, v121 offset:1024
	s_waitcnt lgkmcnt(0)
	s_barrier
	s_and_saveexec_b64 s[38:39], vcc
	s_cbranch_execz .LBB1976_294
; %bb.287:                              ;   in Loop: Header=BB1976_240 Depth=2
	ds_read_u16 v20, v49 offset:1024
	v_mov_b32_e32 v21, v4
	v_mov_b32_e32 v97, s61
	s_waitcnt lgkmcnt(0)
	v_cmp_ne_u16_e64 s[36:37], s68, v20
	v_cndmask_b32_e64 v94, v66, v20, s[36:37]
	v_lshrrev_b32_sdwa v94, s77, v94 dst_sel:DWORD dst_unused:UNUSED_PAD src0_sel:DWORD src1_sel:WORD_0
	v_and_b32_e32 v94, s78, v94
	v_lshlrev_b32_e32 v94, 2, v94
	ds_read_b32 v94, v94
	v_cmp_gt_i16_e64 s[36:37], 0, v20
	v_cndmask_b32_e64 v101, v66, 0, s[36:37]
	v_xor_b32_e32 v101, v101, v20
	s_waitcnt lgkmcnt(0)
	v_add_u32_e32 v20, v94, v2
	v_lshlrev_b64 v[20:21], 1, v[20:21]
	v_add_co_u32_e64 v20, s[36:37], s60, v20
	v_addc_co_u32_e64 v21, s[36:37], v97, v21, s[36:37]
	global_store_short v[20:21], v101, off
	s_or_b64 exec, exec, s[38:39]
	v_cmp_lt_u32_e64 s[36:37], v24, v93
	s_and_saveexec_b64 s[40:41], s[36:37]
	s_cbranch_execnz .LBB1976_295
.LBB1976_288:                           ;   in Loop: Header=BB1976_240 Depth=2
	s_or_b64 exec, exec, s[40:41]
	v_cmp_lt_u32_e64 s[38:39], v25, v93
	s_and_saveexec_b64 s[42:43], s[38:39]
	s_cbranch_execz .LBB1976_296
.LBB1976_289:                           ;   in Loop: Header=BB1976_240 Depth=2
	ds_read_u16 v20, v50 offset:1024
	v_mov_b32_e32 v21, v4
	v_mov_b32_e32 v97, s61
	s_waitcnt lgkmcnt(0)
	v_cmp_ne_u16_e64 s[40:41], s68, v20
	v_cndmask_b32_e64 v94, v66, v20, s[40:41]
	v_lshrrev_b32_sdwa v94, s77, v94 dst_sel:DWORD dst_unused:UNUSED_PAD src0_sel:DWORD src1_sel:WORD_0
	v_and_b32_e32 v94, s78, v94
	v_lshlrev_b32_e32 v94, 2, v94
	ds_read_b32 v94, v94
	v_cmp_gt_i16_e64 s[40:41], 0, v20
	v_cndmask_b32_e64 v101, v66, 0, s[40:41]
	v_xor_b32_e32 v101, v101, v20
	s_waitcnt lgkmcnt(0)
	v_add_u32_e32 v20, v94, v25
	v_lshlrev_b64 v[20:21], 1, v[20:21]
	v_add_co_u32_e64 v20, s[40:41], s60, v20
	v_addc_co_u32_e64 v21, s[40:41], v97, v21, s[40:41]
	global_store_short v[20:21], v101, off
	s_or_b64 exec, exec, s[42:43]
	v_cmp_lt_u32_e64 s[40:41], v26, v93
	s_and_saveexec_b64 s[44:45], s[40:41]
	s_cbranch_execnz .LBB1976_297
.LBB1976_290:                           ;   in Loop: Header=BB1976_240 Depth=2
	s_or_b64 exec, exec, s[44:45]
	v_cmp_lt_u32_e64 s[42:43], v29, v93
	s_and_saveexec_b64 s[46:47], s[42:43]
	s_cbranch_execz .LBB1976_298
.LBB1976_291:                           ;   in Loop: Header=BB1976_240 Depth=2
	ds_read_u16 v20, v50 offset:2048
	v_mov_b32_e32 v21, v4
	v_mov_b32_e32 v97, s61
	s_waitcnt lgkmcnt(0)
	v_cmp_ne_u16_e64 s[44:45], s68, v20
	v_cndmask_b32_e64 v94, v66, v20, s[44:45]
	v_lshrrev_b32_sdwa v94, s77, v94 dst_sel:DWORD dst_unused:UNUSED_PAD src0_sel:DWORD src1_sel:WORD_0
	v_and_b32_e32 v94, s78, v94
	v_lshlrev_b32_e32 v94, 2, v94
	ds_read_b32 v94, v94
	v_cmp_gt_i16_e64 s[44:45], 0, v20
	v_cndmask_b32_e64 v101, v66, 0, s[44:45]
	v_xor_b32_e32 v101, v101, v20
	s_waitcnt lgkmcnt(0)
	v_add_u32_e32 v20, v94, v29
	v_lshlrev_b64 v[20:21], 1, v[20:21]
	v_add_co_u32_e64 v20, s[44:45], s60, v20
	v_addc_co_u32_e64 v21, s[44:45], v97, v21, s[44:45]
	global_store_short v[20:21], v101, off
	s_or_b64 exec, exec, s[46:47]
	v_cmp_lt_u32_e64 s[44:45], v30, v93
	s_and_saveexec_b64 s[48:49], s[44:45]
	s_cbranch_execnz .LBB1976_299
.LBB1976_292:                           ;   in Loop: Header=BB1976_240 Depth=2
	s_or_b64 exec, exec, s[48:49]
	v_cmp_lt_u32_e64 s[46:47], v31, v93
	s_and_saveexec_b64 s[52:53], s[46:47]
	s_cbranch_execz .LBB1976_300
.LBB1976_293:                           ;   in Loop: Header=BB1976_240 Depth=2
	ds_read_u16 v20, v50 offset:3072
	v_mov_b32_e32 v21, v4
	v_mov_b32_e32 v97, s61
	s_waitcnt lgkmcnt(0)
	v_cmp_ne_u16_e64 s[48:49], s68, v20
	v_cndmask_b32_e64 v94, v66, v20, s[48:49]
	v_lshrrev_b32_sdwa v94, s77, v94 dst_sel:DWORD dst_unused:UNUSED_PAD src0_sel:DWORD src1_sel:WORD_0
	v_and_b32_e32 v94, s78, v94
	v_lshlrev_b32_e32 v94, 2, v94
	ds_read_b32 v94, v94
	v_cmp_gt_i16_e64 s[48:49], 0, v20
	v_cndmask_b32_e64 v101, v66, 0, s[48:49]
	v_xor_b32_e32 v101, v101, v20
	s_waitcnt lgkmcnt(0)
	v_add_u32_e32 v20, v94, v31
	v_lshlrev_b64 v[20:21], 1, v[20:21]
	v_add_co_u32_e64 v20, s[48:49], s60, v20
	v_addc_co_u32_e64 v21, s[48:49], v97, v21, s[48:49]
	global_store_short v[20:21], v101, off
	s_or_b64 exec, exec, s[52:53]
	v_cmp_lt_u32_e64 s[48:49], v32, v93
	s_and_saveexec_b64 s[62:63], s[48:49]
	s_cbranch_execnz .LBB1976_301
	s_branch .LBB1976_302
.LBB1976_294:                           ;   in Loop: Header=BB1976_240 Depth=2
	s_or_b64 exec, exec, s[38:39]
	v_cmp_lt_u32_e64 s[36:37], v24, v93
	s_and_saveexec_b64 s[40:41], s[36:37]
	s_cbranch_execz .LBB1976_288
.LBB1976_295:                           ;   in Loop: Header=BB1976_240 Depth=2
	ds_read_u16 v20, v50 offset:512
	v_mov_b32_e32 v21, v4
	v_mov_b32_e32 v97, s61
	s_waitcnt lgkmcnt(0)
	v_cmp_ne_u16_e64 s[38:39], s68, v20
	v_cndmask_b32_e64 v94, v66, v20, s[38:39]
	v_lshrrev_b32_sdwa v94, s77, v94 dst_sel:DWORD dst_unused:UNUSED_PAD src0_sel:DWORD src1_sel:WORD_0
	v_and_b32_e32 v94, s78, v94
	v_lshlrev_b32_e32 v94, 2, v94
	ds_read_b32 v94, v94
	v_cmp_gt_i16_e64 s[38:39], 0, v20
	v_cndmask_b32_e64 v101, v66, 0, s[38:39]
	v_xor_b32_e32 v101, v101, v20
	s_waitcnt lgkmcnt(0)
	v_add_u32_e32 v20, v94, v24
	v_lshlrev_b64 v[20:21], 1, v[20:21]
	v_add_co_u32_e64 v20, s[38:39], s60, v20
	v_addc_co_u32_e64 v21, s[38:39], v97, v21, s[38:39]
	global_store_short v[20:21], v101, off
	s_or_b64 exec, exec, s[40:41]
	v_cmp_lt_u32_e64 s[38:39], v25, v93
	s_and_saveexec_b64 s[42:43], s[38:39]
	s_cbranch_execnz .LBB1976_289
.LBB1976_296:                           ;   in Loop: Header=BB1976_240 Depth=2
	s_or_b64 exec, exec, s[42:43]
	v_cmp_lt_u32_e64 s[40:41], v26, v93
	s_and_saveexec_b64 s[44:45], s[40:41]
	s_cbranch_execz .LBB1976_290
.LBB1976_297:                           ;   in Loop: Header=BB1976_240 Depth=2
	ds_read_u16 v20, v50 offset:1536
	v_mov_b32_e32 v21, v4
	v_mov_b32_e32 v97, s61
	s_waitcnt lgkmcnt(0)
	v_cmp_ne_u16_e64 s[42:43], s68, v20
	v_cndmask_b32_e64 v94, v66, v20, s[42:43]
	v_lshrrev_b32_sdwa v94, s77, v94 dst_sel:DWORD dst_unused:UNUSED_PAD src0_sel:DWORD src1_sel:WORD_0
	v_and_b32_e32 v94, s78, v94
	v_lshlrev_b32_e32 v94, 2, v94
	ds_read_b32 v94, v94
	v_cmp_gt_i16_e64 s[42:43], 0, v20
	v_cndmask_b32_e64 v101, v66, 0, s[42:43]
	v_xor_b32_e32 v101, v101, v20
	s_waitcnt lgkmcnt(0)
	v_add_u32_e32 v20, v94, v26
	v_lshlrev_b64 v[20:21], 1, v[20:21]
	v_add_co_u32_e64 v20, s[42:43], s60, v20
	v_addc_co_u32_e64 v21, s[42:43], v97, v21, s[42:43]
	global_store_short v[20:21], v101, off
	s_or_b64 exec, exec, s[44:45]
	v_cmp_lt_u32_e64 s[42:43], v29, v93
	s_and_saveexec_b64 s[46:47], s[42:43]
	s_cbranch_execnz .LBB1976_291
.LBB1976_298:                           ;   in Loop: Header=BB1976_240 Depth=2
	s_or_b64 exec, exec, s[46:47]
	v_cmp_lt_u32_e64 s[44:45], v30, v93
	s_and_saveexec_b64 s[48:49], s[44:45]
	s_cbranch_execz .LBB1976_292
.LBB1976_299:                           ;   in Loop: Header=BB1976_240 Depth=2
	ds_read_u16 v20, v50 offset:2560
	v_mov_b32_e32 v21, v4
	v_mov_b32_e32 v97, s61
	s_waitcnt lgkmcnt(0)
	v_cmp_ne_u16_e64 s[46:47], s68, v20
	v_cndmask_b32_e64 v94, v66, v20, s[46:47]
	v_lshrrev_b32_sdwa v94, s77, v94 dst_sel:DWORD dst_unused:UNUSED_PAD src0_sel:DWORD src1_sel:WORD_0
	v_and_b32_e32 v94, s78, v94
	v_lshlrev_b32_e32 v94, 2, v94
	ds_read_b32 v94, v94
	v_cmp_gt_i16_e64 s[46:47], 0, v20
	v_cndmask_b32_e64 v101, v66, 0, s[46:47]
	v_xor_b32_e32 v101, v101, v20
	s_waitcnt lgkmcnt(0)
	v_add_u32_e32 v20, v94, v30
	v_lshlrev_b64 v[20:21], 1, v[20:21]
	v_add_co_u32_e64 v20, s[46:47], s60, v20
	v_addc_co_u32_e64 v21, s[46:47], v97, v21, s[46:47]
	global_store_short v[20:21], v101, off
	s_or_b64 exec, exec, s[48:49]
	v_cmp_lt_u32_e64 s[46:47], v31, v93
	s_and_saveexec_b64 s[52:53], s[46:47]
	s_cbranch_execnz .LBB1976_293
.LBB1976_300:                           ;   in Loop: Header=BB1976_240 Depth=2
	s_or_b64 exec, exec, s[52:53]
	v_cmp_lt_u32_e64 s[48:49], v32, v93
	s_and_saveexec_b64 s[62:63], s[48:49]
	s_cbranch_execz .LBB1976_302
.LBB1976_301:                           ;   in Loop: Header=BB1976_240 Depth=2
	ds_read_u16 v20, v50 offset:3584
	v_mov_b32_e32 v21, v4
	v_mov_b32_e32 v97, s61
	s_waitcnt lgkmcnt(0)
	v_cmp_ne_u16_e64 s[52:53], s68, v20
	v_cndmask_b32_e64 v94, v66, v20, s[52:53]
	v_lshrrev_b32_sdwa v94, s77, v94 dst_sel:DWORD dst_unused:UNUSED_PAD src0_sel:DWORD src1_sel:WORD_0
	v_and_b32_e32 v94, s78, v94
	v_lshlrev_b32_e32 v94, 2, v94
	ds_read_b32 v94, v94
	v_cmp_gt_i16_e64 s[52:53], 0, v20
	v_cndmask_b32_e64 v101, v66, 0, s[52:53]
	v_xor_b32_e32 v101, v101, v20
	s_waitcnt lgkmcnt(0)
	v_add_u32_e32 v20, v94, v32
	v_lshlrev_b64 v[20:21], 1, v[20:21]
	v_add_co_u32_e64 v20, s[52:53], s60, v20
	v_addc_co_u32_e64 v21, s[52:53], v97, v21, s[52:53]
	global_store_short v[20:21], v101, off
.LBB1976_302:                           ;   in Loop: Header=BB1976_240 Depth=2
	s_or_b64 exec, exec, s[62:63]
	s_lshl_b64 s[52:53], s[72:73], 3
	v_mov_b32_e32 v21, s53
	v_add_co_u32_e64 v20, s[52:53], s52, v77
	v_addc_co_u32_e64 v21, s[52:53], v79, v21, s[52:53]
	v_cmp_lt_u32_e64 s[52:53], v74, v93
	s_and_saveexec_b64 s[62:63], s[52:53]
	s_xor_b64 s[52:53], exec, s[62:63]
	s_cbranch_execz .LBB1976_318
; %bb.303:                              ;   in Loop: Header=BB1976_240 Depth=2
	global_load_dwordx2 v[18:19], v[20:21], off
	s_or_b64 exec, exec, s[52:53]
	v_cmp_lt_u32_e64 s[52:53], v81, v93
	s_and_saveexec_b64 s[62:63], s[52:53]
	s_cbranch_execnz .LBB1976_319
.LBB1976_304:                           ;   in Loop: Header=BB1976_240 Depth=2
	s_or_b64 exec, exec, s[62:63]
	v_cmp_lt_u32_e64 s[52:53], v82, v93
	s_and_saveexec_b64 s[62:63], s[52:53]
	s_cbranch_execz .LBB1976_320
.LBB1976_305:                           ;   in Loop: Header=BB1976_240 Depth=2
	global_load_dwordx2 v[14:15], v[20:21], off offset:1024
	s_or_b64 exec, exec, s[62:63]
	v_cmp_lt_u32_e64 s[52:53], v83, v93
	s_and_saveexec_b64 s[62:63], s[52:53]
	s_cbranch_execnz .LBB1976_321
.LBB1976_306:                           ;   in Loop: Header=BB1976_240 Depth=2
	s_or_b64 exec, exec, s[62:63]
	v_cmp_lt_u32_e64 s[52:53], v84, v93
	s_and_saveexec_b64 s[62:63], s[52:53]
	s_cbranch_execz .LBB1976_322
.LBB1976_307:                           ;   in Loop: Header=BB1976_240 Depth=2
	global_load_dwordx2 v[10:11], v[20:21], off offset:2048
	s_or_b64 exec, exec, s[62:63]
	v_cmp_lt_u32_e64 s[52:53], v85, v93
	s_and_saveexec_b64 s[62:63], s[52:53]
	s_cbranch_execnz .LBB1976_323
.LBB1976_308:                           ;   in Loop: Header=BB1976_240 Depth=2
	s_or_b64 exec, exec, s[62:63]
	v_cmp_lt_u32_e64 s[52:53], v86, v93
	s_and_saveexec_b64 s[62:63], s[52:53]
	s_cbranch_execz .LBB1976_324
.LBB1976_309:                           ;   in Loop: Header=BB1976_240 Depth=2
	global_load_dwordx2 v[6:7], v[20:21], off offset:3072
	s_or_b64 exec, exec, s[62:63]
	v_cmp_lt_u32_e64 s[52:53], v87, v93
	s_and_saveexec_b64 s[62:63], s[52:53]
	s_cbranch_execnz .LBB1976_325
.LBB1976_310:                           ;   in Loop: Header=BB1976_240 Depth=2
	s_or_b64 exec, exec, s[62:63]
	s_and_saveexec_b64 s[62:63], vcc
	s_cbranch_execz .LBB1976_326
.LBB1976_311:                           ;   in Loop: Header=BB1976_240 Depth=2
	ds_read_u16 v20, v49 offset:1024
	s_waitcnt lgkmcnt(0)
	v_cmp_ne_u16_e64 s[52:53], s68, v20
	v_cndmask_b32_e64 v20, v66, v20, s[52:53]
	v_lshrrev_b32_sdwa v20, s77, v20 dst_sel:DWORD dst_unused:UNUSED_PAD src0_sel:DWORD src1_sel:WORD_0
	v_and_b32_e32 v80, s78, v20
	s_or_b64 exec, exec, s[62:63]
	s_and_saveexec_b64 s[62:63], s[36:37]
	s_cbranch_execnz .LBB1976_327
.LBB1976_312:                           ;   in Loop: Header=BB1976_240 Depth=2
	s_or_b64 exec, exec, s[62:63]
	s_and_saveexec_b64 s[62:63], s[38:39]
	s_cbranch_execz .LBB1976_328
.LBB1976_313:                           ;   in Loop: Header=BB1976_240 Depth=2
	ds_read_u16 v20, v50 offset:1024
	s_waitcnt lgkmcnt(0)
	v_cmp_ne_u16_e64 s[52:53], s68, v20
	v_cndmask_b32_e64 v20, v66, v20, s[52:53]
	v_lshrrev_b32_sdwa v20, s77, v20 dst_sel:DWORD dst_unused:UNUSED_PAD src0_sel:DWORD src1_sel:WORD_0
	v_and_b32_e32 v76, s78, v20
	s_or_b64 exec, exec, s[62:63]
	s_and_saveexec_b64 s[62:63], s[40:41]
	s_cbranch_execnz .LBB1976_329
.LBB1976_314:                           ;   in Loop: Header=BB1976_240 Depth=2
	s_or_b64 exec, exec, s[62:63]
	s_and_saveexec_b64 s[62:63], s[42:43]
	s_cbranch_execz .LBB1976_330
.LBB1976_315:                           ;   in Loop: Header=BB1976_240 Depth=2
	ds_read_u16 v20, v50 offset:2048
	s_waitcnt lgkmcnt(0)
	v_cmp_ne_u16_e64 s[52:53], s68, v20
	v_cndmask_b32_e64 v20, v66, v20, s[52:53]
	v_lshrrev_b32_sdwa v20, s77, v20 dst_sel:DWORD dst_unused:UNUSED_PAD src0_sel:DWORD src1_sel:WORD_0
	v_and_b32_e32 v73, s78, v20
	s_or_b64 exec, exec, s[62:63]
	s_and_saveexec_b64 s[62:63], s[44:45]
	s_cbranch_execnz .LBB1976_331
.LBB1976_316:                           ;   in Loop: Header=BB1976_240 Depth=2
	s_or_b64 exec, exec, s[62:63]
	s_and_saveexec_b64 s[62:63], s[46:47]
	s_cbranch_execz .LBB1976_332
.LBB1976_317:                           ;   in Loop: Header=BB1976_240 Depth=2
	ds_read_u16 v20, v50 offset:3072
	s_waitcnt lgkmcnt(0)
	v_cmp_ne_u16_e64 s[52:53], s68, v20
	v_cndmask_b32_e64 v20, v66, v20, s[52:53]
	v_lshrrev_b32_sdwa v20, s77, v20 dst_sel:DWORD dst_unused:UNUSED_PAD src0_sel:DWORD src1_sel:WORD_0
	v_and_b32_e32 v71, s78, v20
	s_or_b64 exec, exec, s[62:63]
	s_and_saveexec_b64 s[62:63], s[48:49]
	s_cbranch_execnz .LBB1976_333
	s_branch .LBB1976_334
.LBB1976_318:                           ;   in Loop: Header=BB1976_240 Depth=2
	s_or_b64 exec, exec, s[52:53]
	v_cmp_lt_u32_e64 s[52:53], v81, v93
	s_and_saveexec_b64 s[62:63], s[52:53]
	s_cbranch_execz .LBB1976_304
.LBB1976_319:                           ;   in Loop: Header=BB1976_240 Depth=2
	global_load_dwordx2 v[16:17], v[20:21], off offset:512
	s_or_b64 exec, exec, s[62:63]
	v_cmp_lt_u32_e64 s[52:53], v82, v93
	s_and_saveexec_b64 s[62:63], s[52:53]
	s_cbranch_execnz .LBB1976_305
.LBB1976_320:                           ;   in Loop: Header=BB1976_240 Depth=2
	s_or_b64 exec, exec, s[62:63]
	v_cmp_lt_u32_e64 s[52:53], v83, v93
	s_and_saveexec_b64 s[62:63], s[52:53]
	s_cbranch_execz .LBB1976_306
.LBB1976_321:                           ;   in Loop: Header=BB1976_240 Depth=2
	global_load_dwordx2 v[12:13], v[20:21], off offset:1536
	s_or_b64 exec, exec, s[62:63]
	v_cmp_lt_u32_e64 s[52:53], v84, v93
	s_and_saveexec_b64 s[62:63], s[52:53]
	s_cbranch_execnz .LBB1976_307
.LBB1976_322:                           ;   in Loop: Header=BB1976_240 Depth=2
	s_or_b64 exec, exec, s[62:63]
	v_cmp_lt_u32_e64 s[52:53], v85, v93
	s_and_saveexec_b64 s[62:63], s[52:53]
	s_cbranch_execz .LBB1976_308
.LBB1976_323:                           ;   in Loop: Header=BB1976_240 Depth=2
	global_load_dwordx2 v[8:9], v[20:21], off offset:2560
	s_or_b64 exec, exec, s[62:63]
	v_cmp_lt_u32_e64 s[52:53], v86, v93
	s_and_saveexec_b64 s[62:63], s[52:53]
	s_cbranch_execnz .LBB1976_309
.LBB1976_324:                           ;   in Loop: Header=BB1976_240 Depth=2
	s_or_b64 exec, exec, s[62:63]
	v_cmp_lt_u32_e64 s[52:53], v87, v93
	s_and_saveexec_b64 s[62:63], s[52:53]
	s_cbranch_execz .LBB1976_310
.LBB1976_325:                           ;   in Loop: Header=BB1976_240 Depth=2
	global_load_dwordx2 v[0:1], v[20:21], off offset:3584
	s_or_b64 exec, exec, s[62:63]
	s_and_saveexec_b64 s[62:63], vcc
	s_cbranch_execnz .LBB1976_311
.LBB1976_326:                           ;   in Loop: Header=BB1976_240 Depth=2
	s_or_b64 exec, exec, s[62:63]
	s_and_saveexec_b64 s[62:63], s[36:37]
	s_cbranch_execz .LBB1976_312
.LBB1976_327:                           ;   in Loop: Header=BB1976_240 Depth=2
	ds_read_u16 v20, v50 offset:512
	s_waitcnt lgkmcnt(0)
	v_cmp_ne_u16_e64 s[52:53], s68, v20
	v_cndmask_b32_e64 v20, v66, v20, s[52:53]
	v_lshrrev_b32_sdwa v20, s77, v20 dst_sel:DWORD dst_unused:UNUSED_PAD src0_sel:DWORD src1_sel:WORD_0
	v_and_b32_e32 v78, s78, v20
	s_or_b64 exec, exec, s[62:63]
	s_and_saveexec_b64 s[62:63], s[38:39]
	s_cbranch_execnz .LBB1976_313
.LBB1976_328:                           ;   in Loop: Header=BB1976_240 Depth=2
	s_or_b64 exec, exec, s[62:63]
	s_and_saveexec_b64 s[62:63], s[40:41]
	s_cbranch_execz .LBB1976_314
.LBB1976_329:                           ;   in Loop: Header=BB1976_240 Depth=2
	ds_read_u16 v20, v50 offset:1536
	s_waitcnt lgkmcnt(0)
	v_cmp_ne_u16_e64 s[52:53], s68, v20
	v_cndmask_b32_e64 v20, v66, v20, s[52:53]
	v_lshrrev_b32_sdwa v20, s77, v20 dst_sel:DWORD dst_unused:UNUSED_PAD src0_sel:DWORD src1_sel:WORD_0
	v_and_b32_e32 v75, s78, v20
	s_or_b64 exec, exec, s[62:63]
	s_and_saveexec_b64 s[62:63], s[42:43]
	s_cbranch_execnz .LBB1976_315
.LBB1976_330:                           ;   in Loop: Header=BB1976_240 Depth=2
	s_or_b64 exec, exec, s[62:63]
	s_and_saveexec_b64 s[62:63], s[44:45]
	s_cbranch_execz .LBB1976_316
.LBB1976_331:                           ;   in Loop: Header=BB1976_240 Depth=2
	ds_read_u16 v20, v50 offset:2560
	s_waitcnt lgkmcnt(0)
	v_cmp_ne_u16_e64 s[52:53], s68, v20
	v_cndmask_b32_e64 v20, v66, v20, s[52:53]
	v_lshrrev_b32_sdwa v20, s77, v20 dst_sel:DWORD dst_unused:UNUSED_PAD src0_sel:DWORD src1_sel:WORD_0
	v_and_b32_e32 v72, s78, v20
	s_or_b64 exec, exec, s[62:63]
	s_and_saveexec_b64 s[62:63], s[46:47]
	s_cbranch_execnz .LBB1976_317
.LBB1976_332:                           ;   in Loop: Header=BB1976_240 Depth=2
	s_or_b64 exec, exec, s[62:63]
	s_and_saveexec_b64 s[62:63], s[48:49]
	s_cbranch_execz .LBB1976_334
.LBB1976_333:                           ;   in Loop: Header=BB1976_240 Depth=2
	ds_read_u16 v20, v50 offset:3584
	s_waitcnt lgkmcnt(0)
	v_cmp_ne_u16_e64 s[52:53], s68, v20
	v_cndmask_b32_e64 v20, v66, v20, s[52:53]
	v_lshrrev_b32_sdwa v20, s77, v20 dst_sel:DWORD dst_unused:UNUSED_PAD src0_sel:DWORD src1_sel:WORD_0
	v_and_b32_e32 v70, s78, v20
.LBB1976_334:                           ;   in Loop: Header=BB1976_240 Depth=2
	s_or_b64 exec, exec, s[62:63]
	v_lshlrev_b32_e32 v20, 3, v103
	s_barrier
	s_waitcnt vmcnt(0)
	ds_write_b64 v20, v[18:19] offset:1024
	v_lshlrev_b32_e32 v20, 3, v100
	ds_write_b64 v20, v[16:17] offset:1024
	v_lshlrev_b32_e32 v20, 3, v99
	;; [unrolled: 2-line block ×7, first 2 shown]
	ds_write_b64 v20, v[0:1] offset:1024
	s_waitcnt lgkmcnt(0)
	s_barrier
	s_and_saveexec_b64 s[52:53], vcc
	s_cbranch_execz .LBB1976_342
; %bb.335:                              ;   in Loop: Header=BB1976_240 Depth=2
	v_lshlrev_b32_e32 v20, 2, v80
	ds_read_b32 v20, v20
	v_add_u32_e32 v22, v49, v51
	ds_read_b64 v[22:23], v22 offset:1024
	v_mov_b32_e32 v21, v4
	v_mov_b32_e32 v93, s67
	s_waitcnt lgkmcnt(1)
	v_add_u32_e32 v20, v20, v2
	v_lshlrev_b64 v[20:21], 3, v[20:21]
	v_add_co_u32_e32 v20, vcc, s66, v20
	v_addc_co_u32_e32 v21, vcc, v93, v21, vcc
	s_waitcnt lgkmcnt(0)
	global_store_dwordx2 v[20:21], v[22:23], off
	s_or_b64 exec, exec, s[52:53]
	s_and_saveexec_b64 s[52:53], s[36:37]
	s_cbranch_execnz .LBB1976_343
.LBB1976_336:                           ;   in Loop: Header=BB1976_240 Depth=2
	s_or_b64 exec, exec, s[52:53]
	s_and_saveexec_b64 s[36:37], s[38:39]
	s_cbranch_execz .LBB1976_344
.LBB1976_337:                           ;   in Loop: Header=BB1976_240 Depth=2
	v_lshlrev_b32_e32 v20, 2, v76
	ds_read_b32 v22, v20
	v_add_u32_e32 v20, v50, v51
	ds_read_b64 v[20:21], v20 offset:4096
	v_mov_b32_e32 v23, v4
	v_mov_b32_e32 v93, s67
	s_waitcnt lgkmcnt(1)
	v_add_u32_e32 v22, v22, v25
	v_lshlrev_b64 v[22:23], 3, v[22:23]
	v_add_co_u32_e32 v22, vcc, s66, v22
	v_addc_co_u32_e32 v23, vcc, v93, v23, vcc
	s_waitcnt lgkmcnt(0)
	global_store_dwordx2 v[22:23], v[20:21], off
	s_or_b64 exec, exec, s[36:37]
	s_and_saveexec_b64 s[36:37], s[40:41]
	s_cbranch_execnz .LBB1976_345
.LBB1976_338:                           ;   in Loop: Header=BB1976_240 Depth=2
	s_or_b64 exec, exec, s[36:37]
	s_and_saveexec_b64 s[36:37], s[42:43]
	s_cbranch_execz .LBB1976_346
.LBB1976_339:                           ;   in Loop: Header=BB1976_240 Depth=2
	v_lshlrev_b32_e32 v20, 2, v73
	ds_read_b32 v22, v20
	v_add_u32_e32 v20, v50, v51
	ds_read_b64 v[20:21], v20 offset:8192
	v_mov_b32_e32 v23, v4
	v_mov_b32_e32 v93, s67
	s_waitcnt lgkmcnt(1)
	v_add_u32_e32 v22, v22, v29
	v_lshlrev_b64 v[22:23], 3, v[22:23]
	v_add_co_u32_e32 v22, vcc, s66, v22
	v_addc_co_u32_e32 v23, vcc, v93, v23, vcc
	s_waitcnt lgkmcnt(0)
	global_store_dwordx2 v[22:23], v[20:21], off
	s_or_b64 exec, exec, s[36:37]
	s_and_saveexec_b64 s[36:37], s[44:45]
	s_cbranch_execnz .LBB1976_347
.LBB1976_340:                           ;   in Loop: Header=BB1976_240 Depth=2
	s_or_b64 exec, exec, s[36:37]
	s_and_saveexec_b64 s[36:37], s[46:47]
	s_cbranch_execz .LBB1976_348
.LBB1976_341:                           ;   in Loop: Header=BB1976_240 Depth=2
	v_lshlrev_b32_e32 v20, 2, v71
	ds_read_b32 v22, v20
	v_add_u32_e32 v20, v50, v51
	ds_read_b64 v[20:21], v20 offset:12288
	v_mov_b32_e32 v23, v4
	v_mov_b32_e32 v93, s67
	s_waitcnt lgkmcnt(1)
	v_add_u32_e32 v22, v22, v31
	v_lshlrev_b64 v[22:23], 3, v[22:23]
	v_add_co_u32_e32 v22, vcc, s66, v22
	v_addc_co_u32_e32 v23, vcc, v93, v23, vcc
	s_waitcnt lgkmcnt(0)
	global_store_dwordx2 v[22:23], v[20:21], off
	s_or_b64 exec, exec, s[36:37]
	s_and_saveexec_b64 s[36:37], s[48:49]
	s_cbranch_execnz .LBB1976_349
	s_branch .LBB1976_350
.LBB1976_342:                           ;   in Loop: Header=BB1976_240 Depth=2
	s_or_b64 exec, exec, s[52:53]
	s_and_saveexec_b64 s[52:53], s[36:37]
	s_cbranch_execz .LBB1976_336
.LBB1976_343:                           ;   in Loop: Header=BB1976_240 Depth=2
	v_lshlrev_b32_e32 v20, 2, v78
	ds_read_b32 v22, v20
	v_add_u32_e32 v20, v50, v51
	ds_read_b64 v[20:21], v20 offset:2048
	v_mov_b32_e32 v23, v4
	v_mov_b32_e32 v93, s67
	s_waitcnt lgkmcnt(1)
	v_add_u32_e32 v22, v22, v24
	v_lshlrev_b64 v[22:23], 3, v[22:23]
	v_add_co_u32_e32 v22, vcc, s66, v22
	v_addc_co_u32_e32 v23, vcc, v93, v23, vcc
	s_waitcnt lgkmcnt(0)
	global_store_dwordx2 v[22:23], v[20:21], off
	s_or_b64 exec, exec, s[52:53]
	s_and_saveexec_b64 s[36:37], s[38:39]
	s_cbranch_execnz .LBB1976_337
.LBB1976_344:                           ;   in Loop: Header=BB1976_240 Depth=2
	s_or_b64 exec, exec, s[36:37]
	s_and_saveexec_b64 s[36:37], s[40:41]
	s_cbranch_execz .LBB1976_338
.LBB1976_345:                           ;   in Loop: Header=BB1976_240 Depth=2
	v_lshlrev_b32_e32 v20, 2, v75
	ds_read_b32 v22, v20
	v_add_u32_e32 v20, v50, v51
	ds_read_b64 v[20:21], v20 offset:6144
	v_mov_b32_e32 v23, v4
	v_mov_b32_e32 v93, s67
	s_waitcnt lgkmcnt(1)
	v_add_u32_e32 v22, v22, v26
	v_lshlrev_b64 v[22:23], 3, v[22:23]
	v_add_co_u32_e32 v22, vcc, s66, v22
	v_addc_co_u32_e32 v23, vcc, v93, v23, vcc
	s_waitcnt lgkmcnt(0)
	global_store_dwordx2 v[22:23], v[20:21], off
	s_or_b64 exec, exec, s[36:37]
	s_and_saveexec_b64 s[36:37], s[42:43]
	s_cbranch_execnz .LBB1976_339
.LBB1976_346:                           ;   in Loop: Header=BB1976_240 Depth=2
	s_or_b64 exec, exec, s[36:37]
	s_and_saveexec_b64 s[36:37], s[44:45]
	s_cbranch_execz .LBB1976_340
.LBB1976_347:                           ;   in Loop: Header=BB1976_240 Depth=2
	v_lshlrev_b32_e32 v20, 2, v72
	ds_read_b32 v22, v20
	v_add_u32_e32 v20, v50, v51
	ds_read_b64 v[20:21], v20 offset:10240
	v_mov_b32_e32 v23, v4
	v_mov_b32_e32 v93, s67
	s_waitcnt lgkmcnt(1)
	v_add_u32_e32 v22, v22, v30
	v_lshlrev_b64 v[22:23], 3, v[22:23]
	v_add_co_u32_e32 v22, vcc, s66, v22
	v_addc_co_u32_e32 v23, vcc, v93, v23, vcc
	s_waitcnt lgkmcnt(0)
	global_store_dwordx2 v[22:23], v[20:21], off
	s_or_b64 exec, exec, s[36:37]
	s_and_saveexec_b64 s[36:37], s[46:47]
	s_cbranch_execnz .LBB1976_341
.LBB1976_348:                           ;   in Loop: Header=BB1976_240 Depth=2
	s_or_b64 exec, exec, s[36:37]
	s_and_saveexec_b64 s[36:37], s[48:49]
	s_cbranch_execz .LBB1976_350
.LBB1976_349:                           ;   in Loop: Header=BB1976_240 Depth=2
	v_lshlrev_b32_e32 v20, 2, v70
	ds_read_b32 v22, v20
	v_add_u32_e32 v20, v50, v51
	ds_read_b64 v[20:21], v20 offset:14336
	v_mov_b32_e32 v23, v4
	v_mov_b32_e32 v93, s67
	s_waitcnt lgkmcnt(1)
	v_add_u32_e32 v22, v22, v32
	v_lshlrev_b64 v[22:23], 3, v[22:23]
	v_add_co_u32_e32 v22, vcc, s66, v22
	v_addc_co_u32_e32 v23, vcc, v93, v23, vcc
	s_waitcnt lgkmcnt(0)
	global_store_dwordx2 v[22:23], v[20:21], off
.LBB1976_350:                           ;   in Loop: Header=BB1976_240 Depth=2
	s_or_b64 exec, exec, s[36:37]
	s_barrier
	s_and_saveexec_b64 s[36:37], s[4:5]
	s_cbranch_execz .LBB1976_239
; %bb.351:                              ;   in Loop: Header=BB1976_240 Depth=2
	ds_read_b32 v20, v3
	s_waitcnt lgkmcnt(0)
	v_add_u32_e32 v5, v20, v5
	ds_write_b32 v3, v5
	s_branch .LBB1976_239
.LBB1976_352:                           ;   in Loop: Header=BB1976_20 Depth=1
	s_waitcnt lgkmcnt(0)
	s_barrier
.LBB1976_353:                           ;   in Loop: Header=BB1976_20 Depth=1
	s_mov_b64 s[16:17], 0
.LBB1976_354:                           ;   in Loop: Header=BB1976_20 Depth=1
	s_andn2_b64 vcc, exec, s[16:17]
	s_cbranch_vccnz .LBB1976_19
; %bb.355:                              ;   in Loop: Header=BB1976_20 Depth=1
	s_mov_b64 s[16:17], -1
	s_and_b64 vcc, exec, s[54:55]
	s_cbranch_vccz .LBB1976_521
; %bb.356:                              ;   in Loop: Header=BB1976_20 Depth=1
	s_mov_b32 s22, s71
	s_mov_b32 s72, s51
	s_barrier
	s_waitcnt lgkmcnt(0)
                                        ; implicit-def: $vgpr12
                                        ; implicit-def: $vgpr5
                                        ; implicit-def: $vgpr6
                                        ; implicit-def: $vgpr7
                                        ; implicit-def: $vgpr8
                                        ; implicit-def: $vgpr9
                                        ; implicit-def: $vgpr10
                                        ; implicit-def: $vgpr11
	s_branch .LBB1976_358
.LBB1976_357:                           ;   in Loop: Header=BB1976_358 Depth=2
	s_or_b64 exec, exec, s[16:17]
	s_addk_i32 s22, 0xf800
	s_cmp_ge_u32 s23, s76
	s_mov_b32 s72, s23
	s_cbranch_scc1 .LBB1976_396
.LBB1976_358:                           ;   Parent Loop BB1976_20 Depth=1
                                        ; =>  This Inner Loop Header: Depth=2
	s_add_i32 s23, s72, 0x800
	s_cmp_gt_u32 s23, s76
	s_cbranch_scc1 .LBB1976_361
; %bb.359:                              ;   in Loop: Header=BB1976_358 Depth=2
	s_lshl_b64 s[16:17], s[72:73], 1
	v_mov_b32_e32 v1, s17
	v_add_co_u32_e32 v0, vcc, s16, v58
	v_addc_co_u32_e32 v1, vcc, v59, v1, vcc
	global_load_ushort v14, v[0:1], off
	global_load_ushort v15, v[0:1], off offset:512
	global_load_ushort v16, v[0:1], off offset:1024
	;; [unrolled: 1-line block ×6, first 2 shown]
	v_add_co_u32_e32 v0, vcc, 0xe00, v0
	v_addc_co_u32_e32 v1, vcc, 0, v1, vcc
	s_mov_b64 s[16:17], -1
	s_movk_i32 s24, 0x800
	s_cbranch_execz .LBB1976_362
; %bb.360:                              ;   in Loop: Header=BB1976_358 Depth=2
                                        ; implicit-def: $vgpr11
                                        ; implicit-def: $vgpr10
                                        ; implicit-def: $vgpr9
                                        ; implicit-def: $vgpr8
                                        ; implicit-def: $vgpr7
                                        ; implicit-def: $vgpr6
                                        ; implicit-def: $vgpr5
                                        ; implicit-def: $vgpr12
	v_mov_b32_e32 v13, s22
	s_and_saveexec_b64 s[18:19], s[16:17]
	s_cbranch_execnz .LBB1976_373
	s_branch .LBB1976_374
.LBB1976_361:                           ;   in Loop: Header=BB1976_358 Depth=2
	s_mov_b64 s[16:17], 0
                                        ; implicit-def: $sgpr24
                                        ; implicit-def: $vgpr14
                                        ; implicit-def: $vgpr15
                                        ; implicit-def: $vgpr16
                                        ; implicit-def: $vgpr17
                                        ; implicit-def: $vgpr18
                                        ; implicit-def: $vgpr19
                                        ; implicit-def: $vgpr20
                                        ; implicit-def: $vgpr0_vgpr1
.LBB1976_362:                           ;   in Loop: Header=BB1976_358 Depth=2
	s_lshl_b64 s[18:19], s[72:73], 1
	s_add_u32 s18, s56, s18
	s_addc_u32 s19, s57, s19
	v_cmp_gt_u32_e32 vcc, s22, v2
	s_and_saveexec_b64 s[20:21], vcc
	s_cbranch_execz .LBB1976_390
; %bb.363:                              ;   in Loop: Header=BB1976_358 Depth=2
	global_load_ushort v11, v65, s[18:19]
	s_or_b64 exec, exec, s[20:21]
	v_cmp_gt_u32_e32 vcc, s22, v24
	s_and_saveexec_b64 s[20:21], vcc
	s_cbranch_execnz .LBB1976_391
.LBB1976_364:                           ;   in Loop: Header=BB1976_358 Depth=2
	s_or_b64 exec, exec, s[20:21]
	v_cmp_gt_u32_e32 vcc, s22, v25
	s_and_saveexec_b64 s[20:21], vcc
	s_cbranch_execz .LBB1976_392
.LBB1976_365:                           ;   in Loop: Header=BB1976_358 Depth=2
	global_load_ushort v9, v65, s[18:19] offset:1024
	s_or_b64 exec, exec, s[20:21]
	v_cmp_gt_u32_e32 vcc, s22, v26
	s_and_saveexec_b64 s[20:21], vcc
	s_cbranch_execnz .LBB1976_393
.LBB1976_366:                           ;   in Loop: Header=BB1976_358 Depth=2
	s_or_b64 exec, exec, s[20:21]
	v_cmp_gt_u32_e32 vcc, s22, v29
	s_and_saveexec_b64 s[20:21], vcc
	s_cbranch_execz .LBB1976_394
.LBB1976_367:                           ;   in Loop: Header=BB1976_358 Depth=2
	global_load_ushort v7, v65, s[18:19] offset:2048
	s_or_b64 exec, exec, s[20:21]
	v_cmp_gt_u32_e32 vcc, s22, v30
	s_and_saveexec_b64 s[20:21], vcc
	s_cbranch_execnz .LBB1976_395
.LBB1976_368:                           ;   in Loop: Header=BB1976_358 Depth=2
	s_or_b64 exec, exec, s[20:21]
	v_cmp_gt_u32_e32 vcc, s22, v31
	s_and_saveexec_b64 s[20:21], vcc
	s_cbranch_execz .LBB1976_370
.LBB1976_369:                           ;   in Loop: Header=BB1976_358 Depth=2
	global_load_ushort v5, v65, s[18:19] offset:3072
.LBB1976_370:                           ;   in Loop: Header=BB1976_358 Depth=2
	s_or_b64 exec, exec, s[20:21]
	v_cmp_gt_u32_e32 vcc, s22, v32
                                        ; implicit-def: $sgpr24
                                        ; implicit-def: $vgpr0_vgpr1
	s_and_saveexec_b64 s[20:21], vcc
	s_cbranch_execz .LBB1976_372
; %bb.371:                              ;   in Loop: Header=BB1976_358 Depth=2
	v_mov_b32_e32 v0, s19
	v_add_co_u32_e32 v1, vcc, s18, v65
	s_waitcnt vmcnt(0)
	v_addc_co_u32_e32 v12, vcc, 0, v0, vcc
	v_add_co_u32_e32 v0, vcc, 0xe00, v1
	s_sub_i32 s24, s76, s72
	v_addc_co_u32_e32 v1, vcc, 0, v12, vcc
	s_or_b64 s[16:17], s[16:17], exec
                                        ; implicit-def: $vgpr12
.LBB1976_372:                           ;   in Loop: Header=BB1976_358 Depth=2
	s_or_b64 exec, exec, s[20:21]
	s_waitcnt vmcnt(0)
	v_mov_b32_e32 v14, v11
	v_mov_b32_e32 v15, v10
	;; [unrolled: 1-line block ×8, first 2 shown]
	s_and_saveexec_b64 s[18:19], s[16:17]
	s_cbranch_execz .LBB1976_374
.LBB1976_373:                           ;   in Loop: Header=BB1976_358 Depth=2
	global_load_ushort v12, v[0:1], off
	v_mov_b32_e32 v13, s24
	s_waitcnt vmcnt(1)
	v_mov_b32_e32 v5, v20
	v_mov_b32_e32 v6, v19
	;; [unrolled: 1-line block ×7, first 2 shown]
.LBB1976_374:                           ;   in Loop: Header=BB1976_358 Depth=2
	s_or_b64 exec, exec, s[18:19]
	v_cmp_lt_u32_e32 vcc, v2, v13
	s_and_saveexec_b64 s[16:17], vcc
	s_cbranch_execz .LBB1976_382
; %bb.375:                              ;   in Loop: Header=BB1976_358 Depth=2
	v_cmp_gt_i16_e32 vcc, 0, v11
	v_cndmask_b32_e64 v0, v66, 0, vcc
	v_xor_b32_e32 v0, v0, v11
	v_cmp_ne_u16_e32 vcc, s68, v0
	v_cndmask_b32_e32 v0, v66, v0, vcc
	v_lshrrev_b32_sdwa v0, s69, v0 dst_sel:DWORD dst_unused:UNUSED_PAD src0_sel:DWORD src1_sel:WORD_0
	v_and_b32_e32 v0, s78, v0
	v_lshl_or_b32 v0, v0, 4, v67
	ds_add_u32 v0, v64
	s_or_b64 exec, exec, s[16:17]
	v_cmp_lt_u32_e32 vcc, v24, v13
	s_and_saveexec_b64 s[16:17], vcc
	s_cbranch_execnz .LBB1976_383
.LBB1976_376:                           ;   in Loop: Header=BB1976_358 Depth=2
	s_or_b64 exec, exec, s[16:17]
	v_cmp_lt_u32_e32 vcc, v25, v13
	s_and_saveexec_b64 s[16:17], vcc
	s_cbranch_execz .LBB1976_384
.LBB1976_377:                           ;   in Loop: Header=BB1976_358 Depth=2
	v_cmp_gt_i16_e32 vcc, 0, v9
	v_cndmask_b32_e64 v0, v66, 0, vcc
	v_xor_b32_e32 v0, v0, v9
	v_cmp_ne_u16_e32 vcc, s68, v0
	v_cndmask_b32_e32 v0, v66, v0, vcc
	v_lshrrev_b32_sdwa v0, s69, v0 dst_sel:DWORD dst_unused:UNUSED_PAD src0_sel:DWORD src1_sel:WORD_0
	v_and_b32_e32 v0, s78, v0
	v_lshl_or_b32 v0, v0, 4, v67
	ds_add_u32 v0, v64
	s_or_b64 exec, exec, s[16:17]
	v_cmp_lt_u32_e32 vcc, v26, v13
	s_and_saveexec_b64 s[16:17], vcc
	s_cbranch_execnz .LBB1976_385
.LBB1976_378:                           ;   in Loop: Header=BB1976_358 Depth=2
	s_or_b64 exec, exec, s[16:17]
	v_cmp_lt_u32_e32 vcc, v29, v13
	s_and_saveexec_b64 s[16:17], vcc
	s_cbranch_execz .LBB1976_386
.LBB1976_379:                           ;   in Loop: Header=BB1976_358 Depth=2
	v_cmp_gt_i16_e32 vcc, 0, v7
	v_cndmask_b32_e64 v0, v66, 0, vcc
	v_xor_b32_e32 v0, v0, v7
	v_cmp_ne_u16_e32 vcc, s68, v0
	v_cndmask_b32_e32 v0, v66, v0, vcc
	v_lshrrev_b32_sdwa v0, s69, v0 dst_sel:DWORD dst_unused:UNUSED_PAD src0_sel:DWORD src1_sel:WORD_0
	v_and_b32_e32 v0, s78, v0
	v_lshl_or_b32 v0, v0, 4, v67
	ds_add_u32 v0, v64
	s_or_b64 exec, exec, s[16:17]
	v_cmp_lt_u32_e32 vcc, v30, v13
	s_and_saveexec_b64 s[16:17], vcc
	s_cbranch_execnz .LBB1976_387
.LBB1976_380:                           ;   in Loop: Header=BB1976_358 Depth=2
	s_or_b64 exec, exec, s[16:17]
	v_cmp_lt_u32_e32 vcc, v31, v13
	s_and_saveexec_b64 s[16:17], vcc
	s_cbranch_execz .LBB1976_388
.LBB1976_381:                           ;   in Loop: Header=BB1976_358 Depth=2
	v_cmp_gt_i16_e32 vcc, 0, v5
	v_cndmask_b32_e64 v0, v66, 0, vcc
	v_xor_b32_e32 v0, v0, v5
	v_cmp_ne_u16_e32 vcc, s68, v0
	v_cndmask_b32_e32 v0, v66, v0, vcc
	v_lshrrev_b32_sdwa v0, s69, v0 dst_sel:DWORD dst_unused:UNUSED_PAD src0_sel:DWORD src1_sel:WORD_0
	v_and_b32_e32 v0, s78, v0
	v_lshl_or_b32 v0, v0, 4, v67
	ds_add_u32 v0, v64
	s_or_b64 exec, exec, s[16:17]
	v_cmp_lt_u32_e32 vcc, v32, v13
	s_and_saveexec_b64 s[16:17], vcc
	s_cbranch_execz .LBB1976_357
	s_branch .LBB1976_389
.LBB1976_382:                           ;   in Loop: Header=BB1976_358 Depth=2
	s_or_b64 exec, exec, s[16:17]
	v_cmp_lt_u32_e32 vcc, v24, v13
	s_and_saveexec_b64 s[16:17], vcc
	s_cbranch_execz .LBB1976_376
.LBB1976_383:                           ;   in Loop: Header=BB1976_358 Depth=2
	v_cmp_gt_i16_e32 vcc, 0, v10
	v_cndmask_b32_e64 v0, v66, 0, vcc
	v_xor_b32_e32 v0, v0, v10
	v_cmp_ne_u16_e32 vcc, s68, v0
	v_cndmask_b32_e32 v0, v66, v0, vcc
	v_lshrrev_b32_sdwa v0, s69, v0 dst_sel:DWORD dst_unused:UNUSED_PAD src0_sel:DWORD src1_sel:WORD_0
	v_and_b32_e32 v0, s78, v0
	v_lshl_or_b32 v0, v0, 4, v67
	ds_add_u32 v0, v64
	s_or_b64 exec, exec, s[16:17]
	v_cmp_lt_u32_e32 vcc, v25, v13
	s_and_saveexec_b64 s[16:17], vcc
	s_cbranch_execnz .LBB1976_377
.LBB1976_384:                           ;   in Loop: Header=BB1976_358 Depth=2
	s_or_b64 exec, exec, s[16:17]
	v_cmp_lt_u32_e32 vcc, v26, v13
	s_and_saveexec_b64 s[16:17], vcc
	s_cbranch_execz .LBB1976_378
.LBB1976_385:                           ;   in Loop: Header=BB1976_358 Depth=2
	v_cmp_gt_i16_e32 vcc, 0, v8
	v_cndmask_b32_e64 v0, v66, 0, vcc
	v_xor_b32_e32 v0, v0, v8
	v_cmp_ne_u16_e32 vcc, s68, v0
	v_cndmask_b32_e32 v0, v66, v0, vcc
	v_lshrrev_b32_sdwa v0, s69, v0 dst_sel:DWORD dst_unused:UNUSED_PAD src0_sel:DWORD src1_sel:WORD_0
	v_and_b32_e32 v0, s78, v0
	v_lshl_or_b32 v0, v0, 4, v67
	ds_add_u32 v0, v64
	s_or_b64 exec, exec, s[16:17]
	v_cmp_lt_u32_e32 vcc, v29, v13
	s_and_saveexec_b64 s[16:17], vcc
	s_cbranch_execnz .LBB1976_379
.LBB1976_386:                           ;   in Loop: Header=BB1976_358 Depth=2
	s_or_b64 exec, exec, s[16:17]
	v_cmp_lt_u32_e32 vcc, v30, v13
	s_and_saveexec_b64 s[16:17], vcc
	s_cbranch_execz .LBB1976_380
.LBB1976_387:                           ;   in Loop: Header=BB1976_358 Depth=2
	v_cmp_gt_i16_e32 vcc, 0, v6
	v_cndmask_b32_e64 v0, v66, 0, vcc
	v_xor_b32_e32 v0, v0, v6
	v_cmp_ne_u16_e32 vcc, s68, v0
	v_cndmask_b32_e32 v0, v66, v0, vcc
	v_lshrrev_b32_sdwa v0, s69, v0 dst_sel:DWORD dst_unused:UNUSED_PAD src0_sel:DWORD src1_sel:WORD_0
	v_and_b32_e32 v0, s78, v0
	v_lshl_or_b32 v0, v0, 4, v67
	ds_add_u32 v0, v64
	s_or_b64 exec, exec, s[16:17]
	v_cmp_lt_u32_e32 vcc, v31, v13
	s_and_saveexec_b64 s[16:17], vcc
	s_cbranch_execnz .LBB1976_381
.LBB1976_388:                           ;   in Loop: Header=BB1976_358 Depth=2
	s_or_b64 exec, exec, s[16:17]
	v_cmp_lt_u32_e32 vcc, v32, v13
	s_and_saveexec_b64 s[16:17], vcc
	s_cbranch_execz .LBB1976_357
.LBB1976_389:                           ;   in Loop: Header=BB1976_358 Depth=2
	s_waitcnt vmcnt(0)
	v_cmp_gt_i16_e32 vcc, 0, v12
	v_cndmask_b32_e64 v0, v66, 0, vcc
	v_xor_b32_e32 v0, v0, v12
	v_cmp_ne_u16_e32 vcc, s68, v0
	v_cndmask_b32_e32 v0, v66, v0, vcc
	v_lshrrev_b32_sdwa v0, s69, v0 dst_sel:DWORD dst_unused:UNUSED_PAD src0_sel:DWORD src1_sel:WORD_0
	v_and_b32_e32 v0, s78, v0
	v_lshl_or_b32 v0, v0, 4, v67
	ds_add_u32 v0, v64
	s_branch .LBB1976_357
.LBB1976_390:                           ;   in Loop: Header=BB1976_358 Depth=2
	s_or_b64 exec, exec, s[20:21]
	v_cmp_gt_u32_e32 vcc, s22, v24
	s_and_saveexec_b64 s[20:21], vcc
	s_cbranch_execz .LBB1976_364
.LBB1976_391:                           ;   in Loop: Header=BB1976_358 Depth=2
	global_load_ushort v10, v65, s[18:19] offset:512
	s_or_b64 exec, exec, s[20:21]
	v_cmp_gt_u32_e32 vcc, s22, v25
	s_and_saveexec_b64 s[20:21], vcc
	s_cbranch_execnz .LBB1976_365
.LBB1976_392:                           ;   in Loop: Header=BB1976_358 Depth=2
	s_or_b64 exec, exec, s[20:21]
	v_cmp_gt_u32_e32 vcc, s22, v26
	s_and_saveexec_b64 s[20:21], vcc
	s_cbranch_execz .LBB1976_366
.LBB1976_393:                           ;   in Loop: Header=BB1976_358 Depth=2
	global_load_ushort v8, v65, s[18:19] offset:1536
	s_or_b64 exec, exec, s[20:21]
	v_cmp_gt_u32_e32 vcc, s22, v29
	s_and_saveexec_b64 s[20:21], vcc
	s_cbranch_execnz .LBB1976_367
.LBB1976_394:                           ;   in Loop: Header=BB1976_358 Depth=2
	s_or_b64 exec, exec, s[20:21]
	v_cmp_gt_u32_e32 vcc, s22, v30
	s_and_saveexec_b64 s[20:21], vcc
	s_cbranch_execz .LBB1976_368
.LBB1976_395:                           ;   in Loop: Header=BB1976_358 Depth=2
	global_load_ushort v6, v65, s[18:19] offset:2560
	s_or_b64 exec, exec, s[20:21]
	v_cmp_gt_u32_e32 vcc, s22, v31
	s_and_saveexec_b64 s[20:21], vcc
	s_cbranch_execz .LBB1976_370
	s_branch .LBB1976_369
.LBB1976_396:                           ;   in Loop: Header=BB1976_20 Depth=1
	v_mov_b32_e32 v0, 0
	s_waitcnt lgkmcnt(0)
	s_barrier
	s_and_saveexec_b64 s[16:17], s[4:5]
	s_cbranch_execz .LBB1976_398
; %bb.397:                              ;   in Loop: Header=BB1976_20 Depth=1
	ds_read2_b64 v[6:9], v33 offset1:1
	s_waitcnt lgkmcnt(0)
	v_add_u32_e32 v0, v7, v6
	v_add3_u32 v0, v0, v8, v9
.LBB1976_398:                           ;   in Loop: Header=BB1976_20 Depth=1
	s_or_b64 exec, exec, s[16:17]
	v_and_b32_e32 v1, 15, v68
	v_mov_b32_dpp v5, v0 row_shr:1 row_mask:0xf bank_mask:0xf
	v_cmp_eq_u32_e64 s[16:17], 0, v1
	v_cndmask_b32_e64 v5, v5, 0, s[16:17]
	v_add_u32_e32 v0, v5, v0
	v_cmp_lt_u32_e64 s[18:19], 1, v1
	v_cmp_lt_u32_e64 s[20:21], 3, v1
	v_mov_b32_dpp v5, v0 row_shr:2 row_mask:0xf bank_mask:0xf
	v_cndmask_b32_e64 v5, 0, v5, s[18:19]
	v_add_u32_e32 v0, v0, v5
	v_cmp_lt_u32_e64 s[22:23], 7, v1
	v_cmp_lt_u32_e64 s[26:27], 31, v68
	v_mov_b32_dpp v5, v0 row_shr:4 row_mask:0xf bank_mask:0xf
	v_cndmask_b32_e64 v5, 0, v5, s[20:21]
	v_add_u32_e32 v0, v0, v5
	v_and_b32_e32 v6, 16, v68
	v_cmp_eq_u32_e64 s[24:25], 0, v6
	v_mov_b32_dpp v5, v0 row_shr:8 row_mask:0xf bank_mask:0xf
	v_cndmask_b32_e64 v1, 0, v5, s[22:23]
	v_add_u32_e32 v0, v0, v1
	v_bfe_i32 v5, v68, 4, 1
	s_nop 0
	v_mov_b32_dpp v1, v0 row_bcast:15 row_mask:0xf bank_mask:0xf
	v_and_b32_e32 v1, v5, v1
	v_add_u32_e32 v0, v0, v1
	s_nop 1
	v_mov_b32_dpp v1, v0 row_bcast:31 row_mask:0xf bank_mask:0xf
	v_cndmask_b32_e64 v1, 0, v1, s[26:27]
	v_add_u32_e32 v1, v0, v1
	s_and_saveexec_b64 s[28:29], s[6:7]
	s_cbranch_execz .LBB1976_400
; %bb.399:                              ;   in Loop: Header=BB1976_20 Depth=1
	ds_write_b32 v35, v1
.LBB1976_400:                           ;   in Loop: Header=BB1976_20 Depth=1
	s_or_b64 exec, exec, s[28:29]
	v_and_b32_e32 v0, 3, v68
	s_waitcnt lgkmcnt(0)
	s_barrier
	s_and_saveexec_b64 s[28:29], s[8:9]
	s_cbranch_execz .LBB1976_402
; %bb.401:                              ;   in Loop: Header=BB1976_20 Depth=1
	ds_read_b32 v5, v36
	v_cmp_ne_u32_e32 vcc, 0, v0
	s_waitcnt lgkmcnt(0)
	v_mov_b32_dpp v6, v5 row_shr:1 row_mask:0xf bank_mask:0xf
	v_cndmask_b32_e32 v6, 0, v6, vcc
	v_add_u32_e32 v5, v6, v5
	v_cmp_lt_u32_e32 vcc, 1, v0
	s_nop 0
	v_mov_b32_dpp v6, v5 row_shr:2 row_mask:0xf bank_mask:0xf
	v_cndmask_b32_e32 v6, 0, v6, vcc
	v_add_u32_e32 v5, v5, v6
	ds_write_b32 v36, v5
.LBB1976_402:                           ;   in Loop: Header=BB1976_20 Depth=1
	s_or_b64 exec, exec, s[28:29]
	v_mov_b32_e32 v5, 0
	s_waitcnt lgkmcnt(0)
	s_barrier
	s_and_saveexec_b64 s[28:29], s[10:11]
	s_cbranch_execz .LBB1976_404
; %bb.403:                              ;   in Loop: Header=BB1976_20 Depth=1
	ds_read_b32 v5, v37
.LBB1976_404:                           ;   in Loop: Header=BB1976_20 Depth=1
	s_or_b64 exec, exec, s[28:29]
	v_add_u32_e32 v6, -1, v68
	v_and_b32_e32 v7, 64, v68
	v_cmp_lt_i32_e32 vcc, v6, v7
	v_cndmask_b32_e32 v6, v6, v68, vcc
	s_waitcnt lgkmcnt(0)
	v_add_u32_e32 v1, v5, v1
	v_lshlrev_b32_e32 v69, 2, v6
	ds_bpermute_b32 v1, v69, v1
	v_cmp_eq_u32_e64 s[28:29], 0, v68
	s_waitcnt lgkmcnt(0)
	s_barrier
	s_and_saveexec_b64 s[30:31], s[4:5]
	s_cbranch_execz .LBB1976_406
; %bb.405:                              ;   in Loop: Header=BB1976_20 Depth=1
	v_cndmask_b32_e64 v1, v1, v5, s[28:29]
	v_add_u32_e32 v1, s51, v1
	ds_write_b32 v3, v1
.LBB1976_406:                           ;   in Loop: Header=BB1976_20 Depth=1
	s_or_b64 exec, exec, s[30:31]
	s_load_dwordx2 s[30:31], s[74:75], 0x0
	v_and_b32_e32 v21, 63, v68
	v_lshlrev_b32_e32 v22, 3, v21
	v_add_co_u32_e32 v77, vcc, v60, v22
	s_waitcnt lgkmcnt(0)
	s_cmp_lt_u32 s50, s30
	s_cselect_b32 s34, 12, 18
	s_cmp_lt_u32 s33, s31
	s_cselect_b32 s30, 14, 20
	s_add_u32 s30, s74, s30
	s_addc_u32 s31, s75, 0
	s_add_u32 s34, s74, s34
	global_load_ushort v5, v4, s[30:31]
	s_addc_u32 s35, s75, 0
	global_load_ushort v20, v4, s[34:35]
	v_or_b32_e32 v74, v21, v38
	v_lshlrev_b32_e32 v21, 1, v21
	v_addc_co_u32_e32 v79, vcc, 0, v61, vcc
	v_add_co_u32_e32 v88, vcc, v62, v21
	v_addc_co_u32_e32 v89, vcc, 0, v63, vcc
	v_add_co_u32_e32 v90, vcc, 0x380, v88
	v_cmp_eq_u32_e64 s[30:31], 0, v0
	v_cmp_lt_u32_e64 s[34:35], 1, v0
	s_mov_b32 s79, s71
	v_or_b32_e32 v81, 64, v74
	v_or_b32_e32 v82, 0x80, v74
	;; [unrolled: 1-line block ×7, first 2 shown]
	v_addc_co_u32_e32 v91, vcc, 0, v89, vcc
	s_mov_b32 s72, s51
                                        ; implicit-def: $vgpr0_vgpr1
                                        ; implicit-def: $vgpr6_vgpr7
                                        ; implicit-def: $vgpr8_vgpr9
                                        ; implicit-def: $vgpr10_vgpr11
                                        ; implicit-def: $vgpr12_vgpr13
                                        ; implicit-def: $vgpr14_vgpr15
                                        ; implicit-def: $vgpr16_vgpr17
                                        ; implicit-def: $vgpr18_vgpr19
                                        ; implicit-def: $vgpr70
                                        ; implicit-def: $vgpr71
                                        ; implicit-def: $vgpr72
                                        ; implicit-def: $vgpr73
                                        ; implicit-def: $vgpr75
                                        ; implicit-def: $vgpr76
                                        ; implicit-def: $vgpr78
                                        ; implicit-def: $vgpr80
	s_waitcnt vmcnt(1)
	v_mad_u32_u24 v5, v39, v5, v40
	s_waitcnt vmcnt(0)
	v_mad_u64_u32 v[20:21], s[36:37], v5, v20, v[2:3]
	v_lshrrev_b32_e32 v92, 6, v20
	s_branch .LBB1976_408
.LBB1976_407:                           ;   in Loop: Header=BB1976_408 Depth=2
	s_or_b64 exec, exec, s[36:37]
	s_addk_i32 s79, 0xf800
	s_cmp_lt_u32 s80, s76
	s_mov_b32 s72, s80
	s_cbranch_scc0 .LBB1976_520
.LBB1976_408:                           ;   Parent Loop BB1976_20 Depth=1
                                        ; =>  This Inner Loop Header: Depth=2
	s_add_i32 s80, s72, 0x800
	s_cmp_gt_u32 s80, s76
	s_cbranch_scc1 .LBB1976_411
; %bb.409:                              ;   in Loop: Header=BB1976_408 Depth=2
	s_lshl_b64 s[36:37], s[72:73], 1
	v_mov_b32_e32 v5, s37
	v_add_co_u32_e32 v20, vcc, s36, v88
	v_addc_co_u32_e32 v21, vcc, v89, v5, vcc
	global_load_ushort v5, v[20:21], off
	global_load_ushort v97, v[20:21], off offset:128
	global_load_ushort v101, v[20:21], off offset:256
	;; [unrolled: 1-line block ×6, first 2 shown]
	s_mov_b64 s[36:37], -1
	s_movk_i32 s40, 0x800
	s_cbranch_execz .LBB1976_412
; %bb.410:                              ;   in Loop: Header=BB1976_408 Depth=2
                                        ; implicit-def: $sgpr38
	v_mov_b32_e32 v23, s38
	v_mov_b32_e32 v93, s79
	s_and_saveexec_b64 s[38:39], s[36:37]
	s_cbranch_execnz .LBB1976_427
	s_branch .LBB1976_428
.LBB1976_411:                           ;   in Loop: Header=BB1976_408 Depth=2
	s_mov_b64 s[36:37], 0
                                        ; implicit-def: $sgpr40
                                        ; implicit-def: $vgpr5
                                        ; implicit-def: $vgpr97
                                        ; implicit-def: $vgpr101
                                        ; implicit-def: $vgpr106
                                        ; implicit-def: $vgpr109
                                        ; implicit-def: $vgpr104
                                        ; implicit-def: $vgpr22
.LBB1976_412:                           ;   in Loop: Header=BB1976_408 Depth=2
	s_lshl_b64 s[36:37], s[72:73], 1
	s_waitcnt vmcnt(6)
	v_mov_b32_e32 v5, s37
	v_add_co_u32_e32 v20, vcc, s36, v88
	v_addc_co_u32_e32 v21, vcc, v89, v5, vcc
	v_cmp_gt_u32_e32 vcc, s79, v74
	s_waitcnt vmcnt(5)
	v_mov_b32_e32 v97, -1
	v_mov_b32_e32 v5, -1
	s_and_saveexec_b64 s[36:37], vcc
	s_cbranch_execz .LBB1976_414
; %bb.413:                              ;   in Loop: Header=BB1976_408 Depth=2
	global_load_ushort v5, v[20:21], off
.LBB1976_414:                           ;   in Loop: Header=BB1976_408 Depth=2
	s_or_b64 exec, exec, s[36:37]
	v_cmp_gt_u32_e32 vcc, s79, v81
	s_and_saveexec_b64 s[36:37], vcc
	s_cbranch_execz .LBB1976_416
; %bb.415:                              ;   in Loop: Header=BB1976_408 Depth=2
	global_load_ushort v97, v[20:21], off offset:128
.LBB1976_416:                           ;   in Loop: Header=BB1976_408 Depth=2
	s_or_b64 exec, exec, s[36:37]
	v_cmp_gt_u32_e32 vcc, s79, v82
	s_waitcnt vmcnt(3)
	v_mov_b32_e32 v106, -1
	v_mov_b32_e32 v101, -1
	s_and_saveexec_b64 s[36:37], vcc
	s_cbranch_execz .LBB1976_418
; %bb.417:                              ;   in Loop: Header=BB1976_408 Depth=2
	global_load_ushort v101, v[20:21], off offset:256
.LBB1976_418:                           ;   in Loop: Header=BB1976_408 Depth=2
	s_or_b64 exec, exec, s[36:37]
	v_cmp_gt_u32_e32 vcc, s79, v83
	s_and_saveexec_b64 s[36:37], vcc
	s_cbranch_execz .LBB1976_420
; %bb.419:                              ;   in Loop: Header=BB1976_408 Depth=2
	global_load_ushort v106, v[20:21], off offset:384
.LBB1976_420:                           ;   in Loop: Header=BB1976_408 Depth=2
	s_or_b64 exec, exec, s[36:37]
	v_cmp_gt_u32_e32 vcc, s79, v84
	s_waitcnt vmcnt(1)
	v_mov_b32_e32 v104, -1
	v_mov_b32_e32 v109, -1
	s_and_saveexec_b64 s[36:37], vcc
	s_cbranch_execz .LBB1976_422
; %bb.421:                              ;   in Loop: Header=BB1976_408 Depth=2
	global_load_ushort v109, v[20:21], off offset:512
.LBB1976_422:                           ;   in Loop: Header=BB1976_408 Depth=2
	s_or_b64 exec, exec, s[36:37]
	v_cmp_gt_u32_e32 vcc, s79, v85
	s_and_saveexec_b64 s[36:37], vcc
	s_cbranch_execz .LBB1976_424
; %bb.423:                              ;   in Loop: Header=BB1976_408 Depth=2
	global_load_ushort v104, v[20:21], off offset:640
.LBB1976_424:                           ;   in Loop: Header=BB1976_408 Depth=2
	s_or_b64 exec, exec, s[36:37]
	v_cmp_gt_u32_e32 vcc, s79, v86
	s_waitcnt vmcnt(0)
	v_mov_b32_e32 v22, -1
	s_and_saveexec_b64 s[36:37], vcc
	s_cbranch_execz .LBB1976_426
; %bb.425:                              ;   in Loop: Header=BB1976_408 Depth=2
	global_load_ushort v22, v[20:21], off offset:768
.LBB1976_426:                           ;   in Loop: Header=BB1976_408 Depth=2
	s_or_b64 exec, exec, s[36:37]
	s_sub_i32 s40, s76, s72
	v_cmp_gt_u32_e64 s[36:37], s79, v87
	s_mov_b32 s38, -1
	v_mov_b32_e32 v23, s38
	v_mov_b32_e32 v93, s79
	s_and_saveexec_b64 s[38:39], s[36:37]
	s_cbranch_execz .LBB1976_428
.LBB1976_427:                           ;   in Loop: Header=BB1976_408 Depth=2
	s_lshl_b64 s[36:37], s[72:73], 1
	v_mov_b32_e32 v21, s37
	v_add_co_u32_e32 v20, vcc, s36, v90
	v_addc_co_u32_e32 v21, vcc, v91, v21, vcc
	global_load_ushort v23, v[20:21], off
	v_mov_b32_e32 v93, s40
.LBB1976_428:                           ;   in Loop: Header=BB1976_408 Depth=2
	s_or_b64 exec, exec, s[38:39]
	s_waitcnt vmcnt(6)
	v_cmp_gt_i16_e32 vcc, 0, v5
	v_cndmask_b32_e64 v20, v66, 0, vcc
	v_xor_b32_e32 v94, v20, v5
	v_add_u32_e32 v5, 0x410, v41
	v_cmp_ne_u16_e32 vcc, s68, v94
	ds_write2_b32 v5, v4, v4 offset1:1
	ds_write2_b32 v43, v4, v4 offset0:2 offset1:3
	ds_write_b32 v43, v4 offset:16
	v_cndmask_b32_e32 v5, v66, v94, vcc
	v_lshrrev_b32_sdwa v5, s69, v5 dst_sel:DWORD dst_unused:UNUSED_PAD src0_sel:DWORD src1_sel:WORD_0
	v_and_b32_e32 v20, s78, v5
	v_mad_u32_u24 v5, v20, 5, v92
	v_lshl_add_u32 v95, v5, 2, v42
	v_and_b32_e32 v5, 1, v20
	v_add_co_u32_e32 v21, vcc, -1, v5
	v_addc_co_u32_e64 v96, s[36:37], 0, -1, vcc
	v_cmp_ne_u32_e32 vcc, 0, v5
	v_xor_b32_e32 v5, vcc_hi, v96
	v_and_b32_e32 v96, exec_hi, v5
	v_lshlrev_b32_e32 v5, 30, v20
	v_xor_b32_e32 v21, vcc_lo, v21
	v_cmp_gt_i64_e32 vcc, 0, v[4:5]
	v_not_b32_e32 v5, v5
	v_ashrrev_i32_e32 v5, 31, v5
	v_and_b32_e32 v21, exec_lo, v21
	v_xor_b32_e32 v98, vcc_hi, v5
	v_xor_b32_e32 v5, vcc_lo, v5
	v_and_b32_e32 v21, v21, v5
	v_lshlrev_b32_e32 v5, 29, v20
	v_cmp_gt_i64_e32 vcc, 0, v[4:5]
	v_not_b32_e32 v5, v5
	v_ashrrev_i32_e32 v5, 31, v5
	v_and_b32_e32 v96, v96, v98
	v_xor_b32_e32 v98, vcc_hi, v5
	v_xor_b32_e32 v5, vcc_lo, v5
	v_and_b32_e32 v21, v21, v5
	v_lshlrev_b32_e32 v5, 28, v20
	v_cmp_gt_i64_e32 vcc, 0, v[4:5]
	v_not_b32_e32 v5, v5
	v_ashrrev_i32_e32 v5, 31, v5
	v_and_b32_e32 v96, v96, v98
	;; [unrolled: 8-line block ×5, first 2 shown]
	v_xor_b32_e32 v98, vcc_hi, v5
	v_xor_b32_e32 v5, vcc_lo, v5
	v_and_b32_e32 v96, v96, v98
	v_and_b32_e32 v98, v21, v5
	v_lshlrev_b32_e32 v5, 24, v20
	v_cmp_gt_i64_e32 vcc, 0, v[4:5]
	v_not_b32_e32 v5, v5
	v_ashrrev_i32_e32 v5, 31, v5
	v_xor_b32_e32 v20, vcc_hi, v5
	v_xor_b32_e32 v5, vcc_lo, v5
	v_and_b32_e32 v21, v96, v20
	v_and_b32_e32 v20, v98, v5
	v_mbcnt_lo_u32_b32 v5, v20, 0
	v_mbcnt_hi_u32_b32 v96, v21, v5
	v_cmp_eq_u32_e32 vcc, 0, v96
	v_cmp_ne_u64_e64 s[36:37], 0, v[20:21]
	s_and_b64 s[38:39], s[36:37], vcc
	s_waitcnt lgkmcnt(0)
	s_barrier
	s_waitcnt lgkmcnt(0)
	; wave barrier
	s_and_saveexec_b64 s[36:37], s[38:39]
	s_cbranch_execz .LBB1976_430
; %bb.429:                              ;   in Loop: Header=BB1976_408 Depth=2
	v_bcnt_u32_b32 v5, v20, 0
	v_bcnt_u32_b32 v5, v21, v5
	ds_write_b32 v95, v5
.LBB1976_430:                           ;   in Loop: Header=BB1976_408 Depth=2
	s_or_b64 exec, exec, s[36:37]
	s_waitcnt vmcnt(5)
	v_cmp_gt_i16_e32 vcc, 0, v97
	v_cndmask_b32_e64 v5, v66, 0, vcc
	v_xor_b32_e32 v97, v5, v97
	v_cmp_ne_u16_e32 vcc, s68, v97
	v_cndmask_b32_e32 v5, v66, v97, vcc
	v_lshrrev_b32_sdwa v5, s69, v5 dst_sel:DWORD dst_unused:UNUSED_PAD src0_sel:DWORD src1_sel:WORD_0
	v_and_b32_e32 v20, s78, v5
	v_mul_u32_u24_e32 v5, 5, v20
	v_add_lshl_u32 v5, v5, v92, 2
	; wave barrier
	v_add_u32_e32 v99, 0x410, v5
	ds_read_b32 v98, v5 offset:1040
	v_and_b32_e32 v5, 1, v20
	v_add_co_u32_e32 v21, vcc, -1, v5
	v_addc_co_u32_e64 v100, s[36:37], 0, -1, vcc
	v_cmp_ne_u32_e32 vcc, 0, v5
	v_xor_b32_e32 v5, vcc_hi, v100
	v_and_b32_e32 v100, exec_hi, v5
	v_lshlrev_b32_e32 v5, 30, v20
	v_xor_b32_e32 v21, vcc_lo, v21
	v_cmp_gt_i64_e32 vcc, 0, v[4:5]
	v_not_b32_e32 v5, v5
	v_ashrrev_i32_e32 v5, 31, v5
	v_and_b32_e32 v21, exec_lo, v21
	v_xor_b32_e32 v102, vcc_hi, v5
	v_xor_b32_e32 v5, vcc_lo, v5
	v_and_b32_e32 v21, v21, v5
	v_lshlrev_b32_e32 v5, 29, v20
	v_cmp_gt_i64_e32 vcc, 0, v[4:5]
	v_not_b32_e32 v5, v5
	v_ashrrev_i32_e32 v5, 31, v5
	v_and_b32_e32 v100, v100, v102
	v_xor_b32_e32 v102, vcc_hi, v5
	v_xor_b32_e32 v5, vcc_lo, v5
	v_and_b32_e32 v21, v21, v5
	v_lshlrev_b32_e32 v5, 28, v20
	v_cmp_gt_i64_e32 vcc, 0, v[4:5]
	v_not_b32_e32 v5, v5
	v_ashrrev_i32_e32 v5, 31, v5
	v_and_b32_e32 v100, v100, v102
	;; [unrolled: 8-line block ×5, first 2 shown]
	v_xor_b32_e32 v102, vcc_hi, v5
	v_xor_b32_e32 v5, vcc_lo, v5
	v_and_b32_e32 v100, v100, v102
	v_and_b32_e32 v102, v21, v5
	v_lshlrev_b32_e32 v5, 24, v20
	v_cmp_gt_i64_e32 vcc, 0, v[4:5]
	v_not_b32_e32 v5, v5
	v_ashrrev_i32_e32 v5, 31, v5
	v_xor_b32_e32 v20, vcc_hi, v5
	v_xor_b32_e32 v5, vcc_lo, v5
	v_and_b32_e32 v21, v100, v20
	v_and_b32_e32 v20, v102, v5
	v_mbcnt_lo_u32_b32 v5, v20, 0
	v_mbcnt_hi_u32_b32 v100, v21, v5
	v_cmp_eq_u32_e32 vcc, 0, v100
	v_cmp_ne_u64_e64 s[36:37], 0, v[20:21]
	s_and_b64 s[38:39], s[36:37], vcc
	; wave barrier
	s_and_saveexec_b64 s[36:37], s[38:39]
	s_cbranch_execz .LBB1976_432
; %bb.431:                              ;   in Loop: Header=BB1976_408 Depth=2
	v_bcnt_u32_b32 v5, v20, 0
	v_bcnt_u32_b32 v5, v21, v5
	s_waitcnt lgkmcnt(0)
	v_add_u32_e32 v5, v98, v5
	ds_write_b32 v99, v5
.LBB1976_432:                           ;   in Loop: Header=BB1976_408 Depth=2
	s_or_b64 exec, exec, s[36:37]
	s_waitcnt vmcnt(4)
	v_cmp_gt_i16_e32 vcc, 0, v101
	v_cndmask_b32_e64 v5, v66, 0, vcc
	v_xor_b32_e32 v101, v5, v101
	v_cmp_ne_u16_e32 vcc, s68, v101
	v_cndmask_b32_e32 v5, v66, v101, vcc
	v_lshrrev_b32_sdwa v5, s69, v5 dst_sel:DWORD dst_unused:UNUSED_PAD src0_sel:DWORD src1_sel:WORD_0
	v_and_b32_e32 v20, s78, v5
	v_mul_u32_u24_e32 v5, 5, v20
	v_add_lshl_u32 v5, v5, v92, 2
	; wave barrier
	v_add_u32_e32 v103, 0x410, v5
	ds_read_b32 v102, v5 offset:1040
	v_and_b32_e32 v5, 1, v20
	v_add_co_u32_e32 v21, vcc, -1, v5
	v_addc_co_u32_e64 v105, s[36:37], 0, -1, vcc
	v_cmp_ne_u32_e32 vcc, 0, v5
	v_xor_b32_e32 v5, vcc_hi, v105
	v_and_b32_e32 v105, exec_hi, v5
	v_lshlrev_b32_e32 v5, 30, v20
	v_xor_b32_e32 v21, vcc_lo, v21
	v_cmp_gt_i64_e32 vcc, 0, v[4:5]
	v_not_b32_e32 v5, v5
	v_ashrrev_i32_e32 v5, 31, v5
	v_and_b32_e32 v21, exec_lo, v21
	v_xor_b32_e32 v107, vcc_hi, v5
	v_xor_b32_e32 v5, vcc_lo, v5
	v_and_b32_e32 v21, v21, v5
	v_lshlrev_b32_e32 v5, 29, v20
	v_cmp_gt_i64_e32 vcc, 0, v[4:5]
	v_not_b32_e32 v5, v5
	v_ashrrev_i32_e32 v5, 31, v5
	v_and_b32_e32 v105, v105, v107
	v_xor_b32_e32 v107, vcc_hi, v5
	v_xor_b32_e32 v5, vcc_lo, v5
	v_and_b32_e32 v21, v21, v5
	v_lshlrev_b32_e32 v5, 28, v20
	v_cmp_gt_i64_e32 vcc, 0, v[4:5]
	v_not_b32_e32 v5, v5
	v_ashrrev_i32_e32 v5, 31, v5
	v_and_b32_e32 v105, v105, v107
	;; [unrolled: 8-line block ×5, first 2 shown]
	v_xor_b32_e32 v107, vcc_hi, v5
	v_xor_b32_e32 v5, vcc_lo, v5
	v_and_b32_e32 v105, v105, v107
	v_and_b32_e32 v107, v21, v5
	v_lshlrev_b32_e32 v5, 24, v20
	v_cmp_gt_i64_e32 vcc, 0, v[4:5]
	v_not_b32_e32 v5, v5
	v_ashrrev_i32_e32 v5, 31, v5
	v_xor_b32_e32 v20, vcc_hi, v5
	v_xor_b32_e32 v5, vcc_lo, v5
	v_and_b32_e32 v21, v105, v20
	v_and_b32_e32 v20, v107, v5
	v_mbcnt_lo_u32_b32 v5, v20, 0
	v_mbcnt_hi_u32_b32 v105, v21, v5
	v_cmp_eq_u32_e32 vcc, 0, v105
	v_cmp_ne_u64_e64 s[36:37], 0, v[20:21]
	s_and_b64 s[38:39], s[36:37], vcc
	; wave barrier
	s_and_saveexec_b64 s[36:37], s[38:39]
	s_cbranch_execz .LBB1976_434
; %bb.433:                              ;   in Loop: Header=BB1976_408 Depth=2
	v_bcnt_u32_b32 v5, v20, 0
	v_bcnt_u32_b32 v5, v21, v5
	s_waitcnt lgkmcnt(0)
	v_add_u32_e32 v5, v102, v5
	ds_write_b32 v103, v5
.LBB1976_434:                           ;   in Loop: Header=BB1976_408 Depth=2
	s_or_b64 exec, exec, s[36:37]
	s_waitcnt vmcnt(3)
	v_cmp_gt_i16_e32 vcc, 0, v106
	v_cndmask_b32_e64 v5, v66, 0, vcc
	v_xor_b32_e32 v106, v5, v106
	v_cmp_ne_u16_e32 vcc, s68, v106
	v_cndmask_b32_e32 v5, v66, v106, vcc
	v_lshrrev_b32_sdwa v5, s69, v5 dst_sel:DWORD dst_unused:UNUSED_PAD src0_sel:DWORD src1_sel:WORD_0
	v_and_b32_e32 v20, s78, v5
	v_mul_u32_u24_e32 v5, 5, v20
	v_add_lshl_u32 v5, v5, v92, 2
	; wave barrier
	v_add_u32_e32 v108, 0x410, v5
	ds_read_b32 v107, v5 offset:1040
	v_and_b32_e32 v5, 1, v20
	v_add_co_u32_e32 v21, vcc, -1, v5
	v_addc_co_u32_e64 v110, s[36:37], 0, -1, vcc
	v_cmp_ne_u32_e32 vcc, 0, v5
	v_xor_b32_e32 v5, vcc_hi, v110
	v_and_b32_e32 v110, exec_hi, v5
	v_lshlrev_b32_e32 v5, 30, v20
	v_xor_b32_e32 v21, vcc_lo, v21
	v_cmp_gt_i64_e32 vcc, 0, v[4:5]
	v_not_b32_e32 v5, v5
	v_ashrrev_i32_e32 v5, 31, v5
	v_and_b32_e32 v21, exec_lo, v21
	v_xor_b32_e32 v111, vcc_hi, v5
	v_xor_b32_e32 v5, vcc_lo, v5
	v_and_b32_e32 v21, v21, v5
	v_lshlrev_b32_e32 v5, 29, v20
	v_cmp_gt_i64_e32 vcc, 0, v[4:5]
	v_not_b32_e32 v5, v5
	v_ashrrev_i32_e32 v5, 31, v5
	v_and_b32_e32 v110, v110, v111
	v_xor_b32_e32 v111, vcc_hi, v5
	v_xor_b32_e32 v5, vcc_lo, v5
	v_and_b32_e32 v21, v21, v5
	v_lshlrev_b32_e32 v5, 28, v20
	v_cmp_gt_i64_e32 vcc, 0, v[4:5]
	v_not_b32_e32 v5, v5
	v_ashrrev_i32_e32 v5, 31, v5
	v_and_b32_e32 v110, v110, v111
	;; [unrolled: 8-line block ×5, first 2 shown]
	v_xor_b32_e32 v111, vcc_hi, v5
	v_xor_b32_e32 v5, vcc_lo, v5
	v_and_b32_e32 v110, v110, v111
	v_and_b32_e32 v111, v21, v5
	v_lshlrev_b32_e32 v5, 24, v20
	v_cmp_gt_i64_e32 vcc, 0, v[4:5]
	v_not_b32_e32 v5, v5
	v_ashrrev_i32_e32 v5, 31, v5
	v_xor_b32_e32 v20, vcc_hi, v5
	v_xor_b32_e32 v5, vcc_lo, v5
	v_and_b32_e32 v21, v110, v20
	v_and_b32_e32 v20, v111, v5
	v_mbcnt_lo_u32_b32 v5, v20, 0
	v_mbcnt_hi_u32_b32 v110, v21, v5
	v_cmp_eq_u32_e32 vcc, 0, v110
	v_cmp_ne_u64_e64 s[36:37], 0, v[20:21]
	s_and_b64 s[38:39], s[36:37], vcc
	; wave barrier
	s_and_saveexec_b64 s[36:37], s[38:39]
	s_cbranch_execz .LBB1976_436
; %bb.435:                              ;   in Loop: Header=BB1976_408 Depth=2
	v_bcnt_u32_b32 v5, v20, 0
	v_bcnt_u32_b32 v5, v21, v5
	s_waitcnt lgkmcnt(0)
	v_add_u32_e32 v5, v107, v5
	ds_write_b32 v108, v5
.LBB1976_436:                           ;   in Loop: Header=BB1976_408 Depth=2
	s_or_b64 exec, exec, s[36:37]
	s_waitcnt vmcnt(2)
	v_cmp_gt_i16_e32 vcc, 0, v109
	v_cndmask_b32_e64 v5, v66, 0, vcc
	v_xor_b32_e32 v109, v5, v109
	v_cmp_ne_u16_e32 vcc, s68, v109
	v_cndmask_b32_e32 v5, v66, v109, vcc
	v_lshrrev_b32_sdwa v5, s69, v5 dst_sel:DWORD dst_unused:UNUSED_PAD src0_sel:DWORD src1_sel:WORD_0
	v_and_b32_e32 v20, s78, v5
	v_mul_u32_u24_e32 v5, 5, v20
	v_add_lshl_u32 v5, v5, v92, 2
	; wave barrier
	v_add_u32_e32 v112, 0x410, v5
	ds_read_b32 v111, v5 offset:1040
	v_and_b32_e32 v5, 1, v20
	v_add_co_u32_e32 v21, vcc, -1, v5
	v_addc_co_u32_e64 v113, s[36:37], 0, -1, vcc
	v_cmp_ne_u32_e32 vcc, 0, v5
	v_xor_b32_e32 v5, vcc_hi, v113
	v_and_b32_e32 v113, exec_hi, v5
	v_lshlrev_b32_e32 v5, 30, v20
	v_xor_b32_e32 v21, vcc_lo, v21
	v_cmp_gt_i64_e32 vcc, 0, v[4:5]
	v_not_b32_e32 v5, v5
	v_ashrrev_i32_e32 v5, 31, v5
	v_and_b32_e32 v21, exec_lo, v21
	v_xor_b32_e32 v114, vcc_hi, v5
	v_xor_b32_e32 v5, vcc_lo, v5
	v_and_b32_e32 v21, v21, v5
	v_lshlrev_b32_e32 v5, 29, v20
	v_cmp_gt_i64_e32 vcc, 0, v[4:5]
	v_not_b32_e32 v5, v5
	v_ashrrev_i32_e32 v5, 31, v5
	v_and_b32_e32 v113, v113, v114
	v_xor_b32_e32 v114, vcc_hi, v5
	v_xor_b32_e32 v5, vcc_lo, v5
	v_and_b32_e32 v21, v21, v5
	v_lshlrev_b32_e32 v5, 28, v20
	v_cmp_gt_i64_e32 vcc, 0, v[4:5]
	v_not_b32_e32 v5, v5
	v_ashrrev_i32_e32 v5, 31, v5
	v_and_b32_e32 v113, v113, v114
	v_xor_b32_e32 v114, vcc_hi, v5
	v_xor_b32_e32 v5, vcc_lo, v5
	v_and_b32_e32 v21, v21, v5
	v_lshlrev_b32_e32 v5, 27, v20
	v_cmp_gt_i64_e32 vcc, 0, v[4:5]
	v_not_b32_e32 v5, v5
	v_ashrrev_i32_e32 v5, 31, v5
	v_and_b32_e32 v113, v113, v114
	v_xor_b32_e32 v114, vcc_hi, v5
	v_xor_b32_e32 v5, vcc_lo, v5
	v_and_b32_e32 v21, v21, v5
	v_lshlrev_b32_e32 v5, 26, v20
	v_cmp_gt_i64_e32 vcc, 0, v[4:5]
	v_not_b32_e32 v5, v5
	v_ashrrev_i32_e32 v5, 31, v5
	v_and_b32_e32 v113, v113, v114
	v_xor_b32_e32 v114, vcc_hi, v5
	v_xor_b32_e32 v5, vcc_lo, v5
	v_and_b32_e32 v21, v21, v5
	v_lshlrev_b32_e32 v5, 25, v20
	v_cmp_gt_i64_e32 vcc, 0, v[4:5]
	v_not_b32_e32 v5, v5
	v_ashrrev_i32_e32 v5, 31, v5
	v_and_b32_e32 v113, v113, v114
	v_xor_b32_e32 v114, vcc_hi, v5
	v_xor_b32_e32 v5, vcc_lo, v5
	v_and_b32_e32 v113, v113, v114
	v_and_b32_e32 v114, v21, v5
	v_lshlrev_b32_e32 v5, 24, v20
	v_cmp_gt_i64_e32 vcc, 0, v[4:5]
	v_not_b32_e32 v5, v5
	v_ashrrev_i32_e32 v5, 31, v5
	v_xor_b32_e32 v20, vcc_hi, v5
	v_xor_b32_e32 v5, vcc_lo, v5
	v_and_b32_e32 v21, v113, v20
	v_and_b32_e32 v20, v114, v5
	v_mbcnt_lo_u32_b32 v5, v20, 0
	v_mbcnt_hi_u32_b32 v113, v21, v5
	v_cmp_eq_u32_e32 vcc, 0, v113
	v_cmp_ne_u64_e64 s[36:37], 0, v[20:21]
	s_and_b64 s[38:39], s[36:37], vcc
	; wave barrier
	s_and_saveexec_b64 s[36:37], s[38:39]
	s_cbranch_execz .LBB1976_438
; %bb.437:                              ;   in Loop: Header=BB1976_408 Depth=2
	v_bcnt_u32_b32 v5, v20, 0
	v_bcnt_u32_b32 v5, v21, v5
	s_waitcnt lgkmcnt(0)
	v_add_u32_e32 v5, v111, v5
	ds_write_b32 v112, v5
.LBB1976_438:                           ;   in Loop: Header=BB1976_408 Depth=2
	s_or_b64 exec, exec, s[36:37]
	s_waitcnt vmcnt(1)
	v_cmp_gt_i16_e32 vcc, 0, v104
	v_cndmask_b32_e64 v5, v66, 0, vcc
	v_xor_b32_e32 v104, v5, v104
	v_cmp_ne_u16_e32 vcc, s68, v104
	v_cndmask_b32_e32 v5, v66, v104, vcc
	v_lshrrev_b32_sdwa v5, s69, v5 dst_sel:DWORD dst_unused:UNUSED_PAD src0_sel:DWORD src1_sel:WORD_0
	v_and_b32_e32 v20, s78, v5
	v_mul_u32_u24_e32 v5, 5, v20
	v_add_lshl_u32 v5, v5, v92, 2
	; wave barrier
	v_add_u32_e32 v115, 0x410, v5
	ds_read_b32 v114, v5 offset:1040
	v_and_b32_e32 v5, 1, v20
	v_add_co_u32_e32 v21, vcc, -1, v5
	v_addc_co_u32_e64 v116, s[36:37], 0, -1, vcc
	v_cmp_ne_u32_e32 vcc, 0, v5
	v_xor_b32_e32 v5, vcc_hi, v116
	v_and_b32_e32 v116, exec_hi, v5
	v_lshlrev_b32_e32 v5, 30, v20
	v_xor_b32_e32 v21, vcc_lo, v21
	v_cmp_gt_i64_e32 vcc, 0, v[4:5]
	v_not_b32_e32 v5, v5
	v_ashrrev_i32_e32 v5, 31, v5
	v_and_b32_e32 v21, exec_lo, v21
	v_xor_b32_e32 v117, vcc_hi, v5
	v_xor_b32_e32 v5, vcc_lo, v5
	v_and_b32_e32 v21, v21, v5
	v_lshlrev_b32_e32 v5, 29, v20
	v_cmp_gt_i64_e32 vcc, 0, v[4:5]
	v_not_b32_e32 v5, v5
	v_ashrrev_i32_e32 v5, 31, v5
	v_and_b32_e32 v116, v116, v117
	v_xor_b32_e32 v117, vcc_hi, v5
	v_xor_b32_e32 v5, vcc_lo, v5
	v_and_b32_e32 v21, v21, v5
	v_lshlrev_b32_e32 v5, 28, v20
	v_cmp_gt_i64_e32 vcc, 0, v[4:5]
	v_not_b32_e32 v5, v5
	v_ashrrev_i32_e32 v5, 31, v5
	v_and_b32_e32 v116, v116, v117
	;; [unrolled: 8-line block ×5, first 2 shown]
	v_xor_b32_e32 v117, vcc_hi, v5
	v_xor_b32_e32 v5, vcc_lo, v5
	v_and_b32_e32 v116, v116, v117
	v_and_b32_e32 v117, v21, v5
	v_lshlrev_b32_e32 v5, 24, v20
	v_cmp_gt_i64_e32 vcc, 0, v[4:5]
	v_not_b32_e32 v5, v5
	v_ashrrev_i32_e32 v5, 31, v5
	v_xor_b32_e32 v20, vcc_hi, v5
	v_xor_b32_e32 v5, vcc_lo, v5
	v_and_b32_e32 v21, v116, v20
	v_and_b32_e32 v20, v117, v5
	v_mbcnt_lo_u32_b32 v5, v20, 0
	v_mbcnt_hi_u32_b32 v116, v21, v5
	v_cmp_eq_u32_e32 vcc, 0, v116
	v_cmp_ne_u64_e64 s[36:37], 0, v[20:21]
	s_and_b64 s[38:39], s[36:37], vcc
	; wave barrier
	s_and_saveexec_b64 s[36:37], s[38:39]
	s_cbranch_execz .LBB1976_440
; %bb.439:                              ;   in Loop: Header=BB1976_408 Depth=2
	v_bcnt_u32_b32 v5, v20, 0
	v_bcnt_u32_b32 v5, v21, v5
	s_waitcnt lgkmcnt(0)
	v_add_u32_e32 v5, v114, v5
	ds_write_b32 v115, v5
.LBB1976_440:                           ;   in Loop: Header=BB1976_408 Depth=2
	s_or_b64 exec, exec, s[36:37]
	s_waitcnt vmcnt(0)
	v_cmp_gt_i16_e32 vcc, 0, v22
	v_cndmask_b32_e64 v5, v66, 0, vcc
	v_xor_b32_e32 v117, v5, v22
	v_cmp_ne_u16_e32 vcc, s68, v117
	v_cndmask_b32_e32 v5, v66, v117, vcc
	v_lshrrev_b32_sdwa v5, s69, v5 dst_sel:DWORD dst_unused:UNUSED_PAD src0_sel:DWORD src1_sel:WORD_0
	v_and_b32_e32 v20, s78, v5
	v_mul_u32_u24_e32 v5, 5, v20
	v_add_lshl_u32 v5, v5, v92, 2
	; wave barrier
	v_add_u32_e32 v119, 0x410, v5
	ds_read_b32 v118, v5 offset:1040
	v_and_b32_e32 v5, 1, v20
	v_add_co_u32_e32 v21, vcc, -1, v5
	v_addc_co_u32_e64 v22, s[36:37], 0, -1, vcc
	v_cmp_ne_u32_e32 vcc, 0, v5
	v_xor_b32_e32 v5, vcc_hi, v22
	v_and_b32_e32 v22, exec_hi, v5
	v_lshlrev_b32_e32 v5, 30, v20
	v_xor_b32_e32 v21, vcc_lo, v21
	v_cmp_gt_i64_e32 vcc, 0, v[4:5]
	v_not_b32_e32 v5, v5
	v_ashrrev_i32_e32 v5, 31, v5
	v_and_b32_e32 v21, exec_lo, v21
	v_xor_b32_e32 v120, vcc_hi, v5
	v_xor_b32_e32 v5, vcc_lo, v5
	v_and_b32_e32 v21, v21, v5
	v_lshlrev_b32_e32 v5, 29, v20
	v_cmp_gt_i64_e32 vcc, 0, v[4:5]
	v_not_b32_e32 v5, v5
	v_ashrrev_i32_e32 v5, 31, v5
	v_and_b32_e32 v22, v22, v120
	v_xor_b32_e32 v120, vcc_hi, v5
	v_xor_b32_e32 v5, vcc_lo, v5
	v_and_b32_e32 v21, v21, v5
	v_lshlrev_b32_e32 v5, 28, v20
	v_cmp_gt_i64_e32 vcc, 0, v[4:5]
	v_not_b32_e32 v5, v5
	v_ashrrev_i32_e32 v5, 31, v5
	v_and_b32_e32 v22, v22, v120
	;; [unrolled: 8-line block ×5, first 2 shown]
	v_xor_b32_e32 v120, vcc_hi, v5
	v_xor_b32_e32 v5, vcc_lo, v5
	v_and_b32_e32 v22, v22, v120
	v_and_b32_e32 v120, v21, v5
	v_lshlrev_b32_e32 v5, 24, v20
	v_cmp_gt_i64_e32 vcc, 0, v[4:5]
	v_not_b32_e32 v5, v5
	v_ashrrev_i32_e32 v5, 31, v5
	v_xor_b32_e32 v20, vcc_hi, v5
	v_xor_b32_e32 v5, vcc_lo, v5
	v_and_b32_e32 v21, v22, v20
	v_and_b32_e32 v20, v120, v5
	v_mbcnt_lo_u32_b32 v5, v20, 0
	v_mbcnt_hi_u32_b32 v120, v21, v5
	v_cmp_eq_u32_e32 vcc, 0, v120
	v_cmp_ne_u64_e64 s[36:37], 0, v[20:21]
	s_and_b64 s[38:39], s[36:37], vcc
	; wave barrier
	s_and_saveexec_b64 s[36:37], s[38:39]
	s_cbranch_execz .LBB1976_442
; %bb.441:                              ;   in Loop: Header=BB1976_408 Depth=2
	v_bcnt_u32_b32 v5, v20, 0
	v_bcnt_u32_b32 v5, v21, v5
	s_waitcnt lgkmcnt(0)
	v_add_u32_e32 v5, v118, v5
	ds_write_b32 v119, v5
.LBB1976_442:                           ;   in Loop: Header=BB1976_408 Depth=2
	s_or_b64 exec, exec, s[36:37]
	v_cmp_gt_i16_e32 vcc, 0, v23
	v_cndmask_b32_e64 v5, v66, 0, vcc
	v_xor_b32_e32 v121, v5, v23
	v_cmp_ne_u16_e32 vcc, s68, v121
	v_cndmask_b32_e32 v5, v66, v121, vcc
	v_lshrrev_b32_sdwa v5, s69, v5 dst_sel:DWORD dst_unused:UNUSED_PAD src0_sel:DWORD src1_sel:WORD_0
	v_and_b32_e32 v20, s78, v5
	v_mul_u32_u24_e32 v5, 5, v20
	v_add_lshl_u32 v5, v5, v92, 2
	; wave barrier
	v_add_u32_e32 v123, 0x410, v5
	ds_read_b32 v122, v5 offset:1040
	v_and_b32_e32 v5, 1, v20
	v_add_co_u32_e32 v21, vcc, -1, v5
	v_addc_co_u32_e64 v22, s[36:37], 0, -1, vcc
	v_cmp_ne_u32_e32 vcc, 0, v5
	v_xor_b32_e32 v5, vcc_hi, v22
	v_and_b32_e32 v22, exec_hi, v5
	v_lshlrev_b32_e32 v5, 30, v20
	v_xor_b32_e32 v21, vcc_lo, v21
	v_cmp_gt_i64_e32 vcc, 0, v[4:5]
	v_not_b32_e32 v5, v5
	v_ashrrev_i32_e32 v5, 31, v5
	v_and_b32_e32 v21, exec_lo, v21
	v_xor_b32_e32 v23, vcc_hi, v5
	v_xor_b32_e32 v5, vcc_lo, v5
	v_and_b32_e32 v21, v21, v5
	v_lshlrev_b32_e32 v5, 29, v20
	v_cmp_gt_i64_e32 vcc, 0, v[4:5]
	v_not_b32_e32 v5, v5
	v_ashrrev_i32_e32 v5, 31, v5
	v_and_b32_e32 v22, v22, v23
	v_xor_b32_e32 v23, vcc_hi, v5
	v_xor_b32_e32 v5, vcc_lo, v5
	v_and_b32_e32 v21, v21, v5
	v_lshlrev_b32_e32 v5, 28, v20
	v_cmp_gt_i64_e32 vcc, 0, v[4:5]
	v_not_b32_e32 v5, v5
	v_ashrrev_i32_e32 v5, 31, v5
	v_and_b32_e32 v22, v22, v23
	;; [unrolled: 8-line block ×5, first 2 shown]
	v_xor_b32_e32 v23, vcc_hi, v5
	v_xor_b32_e32 v5, vcc_lo, v5
	v_and_b32_e32 v22, v22, v23
	v_and_b32_e32 v23, v21, v5
	v_lshlrev_b32_e32 v5, 24, v20
	v_cmp_gt_i64_e32 vcc, 0, v[4:5]
	v_not_b32_e32 v5, v5
	v_ashrrev_i32_e32 v5, 31, v5
	v_xor_b32_e32 v20, vcc_hi, v5
	v_xor_b32_e32 v5, vcc_lo, v5
	v_and_b32_e32 v21, v22, v20
	v_and_b32_e32 v20, v23, v5
	v_mbcnt_lo_u32_b32 v5, v20, 0
	v_mbcnt_hi_u32_b32 v124, v21, v5
	v_cmp_eq_u32_e32 vcc, 0, v124
	v_cmp_ne_u64_e64 s[36:37], 0, v[20:21]
	s_and_b64 s[38:39], s[36:37], vcc
	; wave barrier
	s_and_saveexec_b64 s[36:37], s[38:39]
	s_cbranch_execz .LBB1976_444
; %bb.443:                              ;   in Loop: Header=BB1976_408 Depth=2
	v_bcnt_u32_b32 v5, v20, 0
	v_bcnt_u32_b32 v5, v21, v5
	s_waitcnt lgkmcnt(0)
	v_add_u32_e32 v5, v122, v5
	ds_write_b32 v123, v5
.LBB1976_444:                           ;   in Loop: Header=BB1976_408 Depth=2
	s_or_b64 exec, exec, s[36:37]
	; wave barrier
	s_waitcnt lgkmcnt(0)
	s_barrier
	ds_read_b32 v5, v41 offset:1040
	ds_read2_b32 v[22:23], v43 offset0:1 offset1:2
	ds_read2_b32 v[20:21], v43 offset0:3 offset1:4
	s_waitcnt lgkmcnt(1)
	v_add3_u32 v125, v22, v5, v23
	s_waitcnt lgkmcnt(0)
	v_add3_u32 v21, v125, v20, v21
	s_nop 1
	v_mov_b32_dpp v125, v21 row_shr:1 row_mask:0xf bank_mask:0xf
	v_cndmask_b32_e64 v125, v125, 0, s[16:17]
	v_add_u32_e32 v21, v125, v21
	s_nop 1
	v_mov_b32_dpp v125, v21 row_shr:2 row_mask:0xf bank_mask:0xf
	v_cndmask_b32_e64 v125, 0, v125, s[18:19]
	v_add_u32_e32 v21, v21, v125
	;; [unrolled: 4-line block ×4, first 2 shown]
	s_nop 1
	v_mov_b32_dpp v125, v21 row_bcast:15 row_mask:0xf bank_mask:0xf
	v_cndmask_b32_e64 v125, v125, 0, s[24:25]
	v_add_u32_e32 v21, v21, v125
	s_nop 1
	v_mov_b32_dpp v125, v21 row_bcast:31 row_mask:0xf bank_mask:0xf
	v_cndmask_b32_e64 v125, 0, v125, s[26:27]
	v_add_u32_e32 v21, v21, v125
	s_and_saveexec_b64 s[36:37], s[6:7]
	s_cbranch_execz .LBB1976_446
; %bb.445:                              ;   in Loop: Header=BB1976_408 Depth=2
	ds_write_b32 v34, v21 offset:1024
.LBB1976_446:                           ;   in Loop: Header=BB1976_408 Depth=2
	s_or_b64 exec, exec, s[36:37]
	s_waitcnt lgkmcnt(0)
	s_barrier
	s_and_saveexec_b64 s[36:37], s[8:9]
	s_cbranch_execz .LBB1976_448
; %bb.447:                              ;   in Loop: Header=BB1976_408 Depth=2
	ds_read_b32 v125, v44 offset:1024
	s_waitcnt lgkmcnt(0)
	s_nop 0
	v_mov_b32_dpp v126, v125 row_shr:1 row_mask:0xf bank_mask:0xf
	v_cndmask_b32_e64 v126, v126, 0, s[30:31]
	v_add_u32_e32 v125, v126, v125
	s_nop 1
	v_mov_b32_dpp v126, v125 row_shr:2 row_mask:0xf bank_mask:0xf
	v_cndmask_b32_e64 v126, 0, v126, s[34:35]
	v_add_u32_e32 v125, v125, v126
	ds_write_b32 v44, v125 offset:1024
.LBB1976_448:                           ;   in Loop: Header=BB1976_408 Depth=2
	s_or_b64 exec, exec, s[36:37]
	v_mov_b32_e32 v125, 0
	s_waitcnt lgkmcnt(0)
	s_barrier
	s_and_saveexec_b64 s[36:37], s[10:11]
	s_cbranch_execz .LBB1976_450
; %bb.449:                              ;   in Loop: Header=BB1976_408 Depth=2
	ds_read_b32 v125, v34 offset:1020
.LBB1976_450:                           ;   in Loop: Header=BB1976_408 Depth=2
	s_or_b64 exec, exec, s[36:37]
	s_waitcnt lgkmcnt(0)
	v_add_u32_e32 v21, v125, v21
	ds_bpermute_b32 v21, v69, v21
	s_waitcnt lgkmcnt(0)
	v_cndmask_b32_e64 v21, v21, v125, s[28:29]
	v_cndmask_b32_e64 v21, v21, 0, s[12:13]
	v_add_u32_e32 v5, v21, v5
	ds_write_b32 v41, v21 offset:1040
	v_add_u32_e32 v21, v5, v22
	v_add_u32_e32 v22, v21, v23
	ds_write2_b32 v43, v5, v21 offset0:1 offset1:2
	v_add_u32_e32 v5, v22, v20
	ds_write2_b32 v43, v22, v5 offset0:3 offset1:4
	s_waitcnt lgkmcnt(0)
	s_barrier
	ds_read_b32 v20, v99
	ds_read_b32 v21, v103
	;; [unrolled: 1-line block ×8, first 2 shown]
	ds_read_b32 v99, v41 offset:1040
	v_mov_b32_e32 v5, 0x800
	s_and_saveexec_b64 s[36:37], s[14:15]
	s_cbranch_execz .LBB1976_452
; %bb.451:                              ;   in Loop: Header=BB1976_408 Depth=2
	ds_read_b32 v5, v41 offset:1060
.LBB1976_452:                           ;   in Loop: Header=BB1976_408 Depth=2
	s_or_b64 exec, exec, s[36:37]
	s_waitcnt lgkmcnt(0)
	s_barrier
	s_and_saveexec_b64 s[36:37], s[4:5]
	s_cbranch_execz .LBB1976_454
; %bb.453:                              ;   in Loop: Header=BB1976_408 Depth=2
	ds_read_b32 v103, v3
	s_waitcnt lgkmcnt(0)
	v_sub_u32_e32 v99, v103, v99
	ds_write_b32 v3, v99
.LBB1976_454:                           ;   in Loop: Header=BB1976_408 Depth=2
	s_or_b64 exec, exec, s[36:37]
	v_add_u32_e32 v103, v95, v96
	v_add3_u32 v100, v100, v98, v20
	v_lshlrev_b32_e32 v20, 1, v103
	v_add3_u32 v99, v105, v102, v21
	ds_write_b16 v20, v94 offset:1024
	v_lshlrev_b32_e32 v20, 1, v100
	v_add3_u32 v98, v110, v107, v22
	ds_write_b16 v20, v97 offset:1024
	;; [unrolled: 3-line block ×6, first 2 shown]
	v_lshlrev_b32_e32 v20, 1, v23
	ds_write_b16 v20, v117 offset:1024
	v_lshlrev_b32_e32 v20, 1, v22
	v_cmp_lt_u32_e32 vcc, v2, v93
	ds_write_b16 v20, v121 offset:1024
	s_waitcnt lgkmcnt(0)
	s_barrier
	s_and_saveexec_b64 s[38:39], vcc
	s_cbranch_execz .LBB1976_462
; %bb.455:                              ;   in Loop: Header=BB1976_408 Depth=2
	ds_read_u16 v20, v49 offset:1024
	v_mov_b32_e32 v21, v4
	v_mov_b32_e32 v97, s59
	s_waitcnt lgkmcnt(0)
	v_cmp_ne_u16_e64 s[36:37], s68, v20
	v_cndmask_b32_e64 v94, v66, v20, s[36:37]
	v_lshrrev_b32_sdwa v94, s69, v94 dst_sel:DWORD dst_unused:UNUSED_PAD src0_sel:DWORD src1_sel:WORD_0
	v_and_b32_e32 v94, s78, v94
	v_lshlrev_b32_e32 v94, 2, v94
	ds_read_b32 v94, v94
	v_cmp_gt_i16_e64 s[36:37], 0, v20
	v_cndmask_b32_e64 v101, v66, 0, s[36:37]
	v_xor_b32_e32 v101, v101, v20
	s_waitcnt lgkmcnt(0)
	v_add_u32_e32 v20, v94, v2
	v_lshlrev_b64 v[20:21], 1, v[20:21]
	v_add_co_u32_e64 v20, s[36:37], s58, v20
	v_addc_co_u32_e64 v21, s[36:37], v97, v21, s[36:37]
	global_store_short v[20:21], v101, off
	s_or_b64 exec, exec, s[38:39]
	v_cmp_lt_u32_e64 s[36:37], v24, v93
	s_and_saveexec_b64 s[40:41], s[36:37]
	s_cbranch_execnz .LBB1976_463
.LBB1976_456:                           ;   in Loop: Header=BB1976_408 Depth=2
	s_or_b64 exec, exec, s[40:41]
	v_cmp_lt_u32_e64 s[38:39], v25, v93
	s_and_saveexec_b64 s[42:43], s[38:39]
	s_cbranch_execz .LBB1976_464
.LBB1976_457:                           ;   in Loop: Header=BB1976_408 Depth=2
	ds_read_u16 v20, v50 offset:1024
	v_mov_b32_e32 v21, v4
	v_mov_b32_e32 v97, s59
	s_waitcnt lgkmcnt(0)
	v_cmp_ne_u16_e64 s[40:41], s68, v20
	v_cndmask_b32_e64 v94, v66, v20, s[40:41]
	v_lshrrev_b32_sdwa v94, s69, v94 dst_sel:DWORD dst_unused:UNUSED_PAD src0_sel:DWORD src1_sel:WORD_0
	v_and_b32_e32 v94, s78, v94
	v_lshlrev_b32_e32 v94, 2, v94
	ds_read_b32 v94, v94
	v_cmp_gt_i16_e64 s[40:41], 0, v20
	v_cndmask_b32_e64 v101, v66, 0, s[40:41]
	v_xor_b32_e32 v101, v101, v20
	s_waitcnt lgkmcnt(0)
	v_add_u32_e32 v20, v94, v25
	v_lshlrev_b64 v[20:21], 1, v[20:21]
	v_add_co_u32_e64 v20, s[40:41], s58, v20
	v_addc_co_u32_e64 v21, s[40:41], v97, v21, s[40:41]
	global_store_short v[20:21], v101, off
	s_or_b64 exec, exec, s[42:43]
	v_cmp_lt_u32_e64 s[40:41], v26, v93
	s_and_saveexec_b64 s[44:45], s[40:41]
	s_cbranch_execnz .LBB1976_465
.LBB1976_458:                           ;   in Loop: Header=BB1976_408 Depth=2
	s_or_b64 exec, exec, s[44:45]
	v_cmp_lt_u32_e64 s[42:43], v29, v93
	s_and_saveexec_b64 s[46:47], s[42:43]
	s_cbranch_execz .LBB1976_466
.LBB1976_459:                           ;   in Loop: Header=BB1976_408 Depth=2
	ds_read_u16 v20, v50 offset:2048
	v_mov_b32_e32 v21, v4
	v_mov_b32_e32 v97, s59
	s_waitcnt lgkmcnt(0)
	v_cmp_ne_u16_e64 s[44:45], s68, v20
	v_cndmask_b32_e64 v94, v66, v20, s[44:45]
	v_lshrrev_b32_sdwa v94, s69, v94 dst_sel:DWORD dst_unused:UNUSED_PAD src0_sel:DWORD src1_sel:WORD_0
	v_and_b32_e32 v94, s78, v94
	v_lshlrev_b32_e32 v94, 2, v94
	ds_read_b32 v94, v94
	v_cmp_gt_i16_e64 s[44:45], 0, v20
	v_cndmask_b32_e64 v101, v66, 0, s[44:45]
	v_xor_b32_e32 v101, v101, v20
	s_waitcnt lgkmcnt(0)
	v_add_u32_e32 v20, v94, v29
	v_lshlrev_b64 v[20:21], 1, v[20:21]
	v_add_co_u32_e64 v20, s[44:45], s58, v20
	v_addc_co_u32_e64 v21, s[44:45], v97, v21, s[44:45]
	global_store_short v[20:21], v101, off
	s_or_b64 exec, exec, s[46:47]
	v_cmp_lt_u32_e64 s[44:45], v30, v93
	s_and_saveexec_b64 s[48:49], s[44:45]
	s_cbranch_execnz .LBB1976_467
.LBB1976_460:                           ;   in Loop: Header=BB1976_408 Depth=2
	s_or_b64 exec, exec, s[48:49]
	v_cmp_lt_u32_e64 s[46:47], v31, v93
	s_and_saveexec_b64 s[52:53], s[46:47]
	s_cbranch_execz .LBB1976_468
.LBB1976_461:                           ;   in Loop: Header=BB1976_408 Depth=2
	ds_read_u16 v20, v50 offset:3072
	v_mov_b32_e32 v21, v4
	v_mov_b32_e32 v97, s59
	s_waitcnt lgkmcnt(0)
	v_cmp_ne_u16_e64 s[48:49], s68, v20
	v_cndmask_b32_e64 v94, v66, v20, s[48:49]
	v_lshrrev_b32_sdwa v94, s69, v94 dst_sel:DWORD dst_unused:UNUSED_PAD src0_sel:DWORD src1_sel:WORD_0
	v_and_b32_e32 v94, s78, v94
	v_lshlrev_b32_e32 v94, 2, v94
	ds_read_b32 v94, v94
	v_cmp_gt_i16_e64 s[48:49], 0, v20
	v_cndmask_b32_e64 v101, v66, 0, s[48:49]
	v_xor_b32_e32 v101, v101, v20
	s_waitcnt lgkmcnt(0)
	v_add_u32_e32 v20, v94, v31
	v_lshlrev_b64 v[20:21], 1, v[20:21]
	v_add_co_u32_e64 v20, s[48:49], s58, v20
	v_addc_co_u32_e64 v21, s[48:49], v97, v21, s[48:49]
	global_store_short v[20:21], v101, off
	s_or_b64 exec, exec, s[52:53]
	v_cmp_lt_u32_e64 s[48:49], v32, v93
	s_and_saveexec_b64 s[62:63], s[48:49]
	s_cbranch_execnz .LBB1976_469
	s_branch .LBB1976_470
.LBB1976_462:                           ;   in Loop: Header=BB1976_408 Depth=2
	s_or_b64 exec, exec, s[38:39]
	v_cmp_lt_u32_e64 s[36:37], v24, v93
	s_and_saveexec_b64 s[40:41], s[36:37]
	s_cbranch_execz .LBB1976_456
.LBB1976_463:                           ;   in Loop: Header=BB1976_408 Depth=2
	ds_read_u16 v20, v50 offset:512
	v_mov_b32_e32 v21, v4
	v_mov_b32_e32 v97, s59
	s_waitcnt lgkmcnt(0)
	v_cmp_ne_u16_e64 s[38:39], s68, v20
	v_cndmask_b32_e64 v94, v66, v20, s[38:39]
	v_lshrrev_b32_sdwa v94, s69, v94 dst_sel:DWORD dst_unused:UNUSED_PAD src0_sel:DWORD src1_sel:WORD_0
	v_and_b32_e32 v94, s78, v94
	v_lshlrev_b32_e32 v94, 2, v94
	ds_read_b32 v94, v94
	v_cmp_gt_i16_e64 s[38:39], 0, v20
	v_cndmask_b32_e64 v101, v66, 0, s[38:39]
	v_xor_b32_e32 v101, v101, v20
	s_waitcnt lgkmcnt(0)
	v_add_u32_e32 v20, v94, v24
	v_lshlrev_b64 v[20:21], 1, v[20:21]
	v_add_co_u32_e64 v20, s[38:39], s58, v20
	v_addc_co_u32_e64 v21, s[38:39], v97, v21, s[38:39]
	global_store_short v[20:21], v101, off
	s_or_b64 exec, exec, s[40:41]
	v_cmp_lt_u32_e64 s[38:39], v25, v93
	s_and_saveexec_b64 s[42:43], s[38:39]
	s_cbranch_execnz .LBB1976_457
.LBB1976_464:                           ;   in Loop: Header=BB1976_408 Depth=2
	s_or_b64 exec, exec, s[42:43]
	v_cmp_lt_u32_e64 s[40:41], v26, v93
	s_and_saveexec_b64 s[44:45], s[40:41]
	s_cbranch_execz .LBB1976_458
.LBB1976_465:                           ;   in Loop: Header=BB1976_408 Depth=2
	ds_read_u16 v20, v50 offset:1536
	v_mov_b32_e32 v21, v4
	v_mov_b32_e32 v97, s59
	s_waitcnt lgkmcnt(0)
	v_cmp_ne_u16_e64 s[42:43], s68, v20
	v_cndmask_b32_e64 v94, v66, v20, s[42:43]
	v_lshrrev_b32_sdwa v94, s69, v94 dst_sel:DWORD dst_unused:UNUSED_PAD src0_sel:DWORD src1_sel:WORD_0
	v_and_b32_e32 v94, s78, v94
	v_lshlrev_b32_e32 v94, 2, v94
	ds_read_b32 v94, v94
	v_cmp_gt_i16_e64 s[42:43], 0, v20
	v_cndmask_b32_e64 v101, v66, 0, s[42:43]
	v_xor_b32_e32 v101, v101, v20
	s_waitcnt lgkmcnt(0)
	v_add_u32_e32 v20, v94, v26
	v_lshlrev_b64 v[20:21], 1, v[20:21]
	v_add_co_u32_e64 v20, s[42:43], s58, v20
	v_addc_co_u32_e64 v21, s[42:43], v97, v21, s[42:43]
	global_store_short v[20:21], v101, off
	s_or_b64 exec, exec, s[44:45]
	v_cmp_lt_u32_e64 s[42:43], v29, v93
	s_and_saveexec_b64 s[46:47], s[42:43]
	s_cbranch_execnz .LBB1976_459
.LBB1976_466:                           ;   in Loop: Header=BB1976_408 Depth=2
	s_or_b64 exec, exec, s[46:47]
	v_cmp_lt_u32_e64 s[44:45], v30, v93
	s_and_saveexec_b64 s[48:49], s[44:45]
	s_cbranch_execz .LBB1976_460
.LBB1976_467:                           ;   in Loop: Header=BB1976_408 Depth=2
	ds_read_u16 v20, v50 offset:2560
	v_mov_b32_e32 v21, v4
	v_mov_b32_e32 v97, s59
	s_waitcnt lgkmcnt(0)
	v_cmp_ne_u16_e64 s[46:47], s68, v20
	v_cndmask_b32_e64 v94, v66, v20, s[46:47]
	v_lshrrev_b32_sdwa v94, s69, v94 dst_sel:DWORD dst_unused:UNUSED_PAD src0_sel:DWORD src1_sel:WORD_0
	v_and_b32_e32 v94, s78, v94
	v_lshlrev_b32_e32 v94, 2, v94
	ds_read_b32 v94, v94
	v_cmp_gt_i16_e64 s[46:47], 0, v20
	v_cndmask_b32_e64 v101, v66, 0, s[46:47]
	v_xor_b32_e32 v101, v101, v20
	s_waitcnt lgkmcnt(0)
	v_add_u32_e32 v20, v94, v30
	v_lshlrev_b64 v[20:21], 1, v[20:21]
	v_add_co_u32_e64 v20, s[46:47], s58, v20
	v_addc_co_u32_e64 v21, s[46:47], v97, v21, s[46:47]
	global_store_short v[20:21], v101, off
	s_or_b64 exec, exec, s[48:49]
	v_cmp_lt_u32_e64 s[46:47], v31, v93
	s_and_saveexec_b64 s[52:53], s[46:47]
	s_cbranch_execnz .LBB1976_461
.LBB1976_468:                           ;   in Loop: Header=BB1976_408 Depth=2
	s_or_b64 exec, exec, s[52:53]
	v_cmp_lt_u32_e64 s[48:49], v32, v93
	s_and_saveexec_b64 s[62:63], s[48:49]
	s_cbranch_execz .LBB1976_470
.LBB1976_469:                           ;   in Loop: Header=BB1976_408 Depth=2
	ds_read_u16 v20, v50 offset:3584
	v_mov_b32_e32 v21, v4
	v_mov_b32_e32 v97, s59
	s_waitcnt lgkmcnt(0)
	v_cmp_ne_u16_e64 s[52:53], s68, v20
	v_cndmask_b32_e64 v94, v66, v20, s[52:53]
	v_lshrrev_b32_sdwa v94, s69, v94 dst_sel:DWORD dst_unused:UNUSED_PAD src0_sel:DWORD src1_sel:WORD_0
	v_and_b32_e32 v94, s78, v94
	v_lshlrev_b32_e32 v94, 2, v94
	ds_read_b32 v94, v94
	v_cmp_gt_i16_e64 s[52:53], 0, v20
	v_cndmask_b32_e64 v101, v66, 0, s[52:53]
	v_xor_b32_e32 v101, v101, v20
	s_waitcnt lgkmcnt(0)
	v_add_u32_e32 v20, v94, v32
	v_lshlrev_b64 v[20:21], 1, v[20:21]
	v_add_co_u32_e64 v20, s[52:53], s58, v20
	v_addc_co_u32_e64 v21, s[52:53], v97, v21, s[52:53]
	global_store_short v[20:21], v101, off
.LBB1976_470:                           ;   in Loop: Header=BB1976_408 Depth=2
	s_or_b64 exec, exec, s[62:63]
	s_lshl_b64 s[52:53], s[72:73], 3
	v_mov_b32_e32 v21, s53
	v_add_co_u32_e64 v20, s[52:53], s52, v77
	v_addc_co_u32_e64 v21, s[52:53], v79, v21, s[52:53]
	v_cmp_lt_u32_e64 s[52:53], v74, v93
	s_and_saveexec_b64 s[62:63], s[52:53]
	s_xor_b64 s[52:53], exec, s[62:63]
	s_cbranch_execz .LBB1976_486
; %bb.471:                              ;   in Loop: Header=BB1976_408 Depth=2
	global_load_dwordx2 v[18:19], v[20:21], off
	s_or_b64 exec, exec, s[52:53]
	v_cmp_lt_u32_e64 s[52:53], v81, v93
	s_and_saveexec_b64 s[62:63], s[52:53]
	s_cbranch_execnz .LBB1976_487
.LBB1976_472:                           ;   in Loop: Header=BB1976_408 Depth=2
	s_or_b64 exec, exec, s[62:63]
	v_cmp_lt_u32_e64 s[52:53], v82, v93
	s_and_saveexec_b64 s[62:63], s[52:53]
	s_cbranch_execz .LBB1976_488
.LBB1976_473:                           ;   in Loop: Header=BB1976_408 Depth=2
	global_load_dwordx2 v[14:15], v[20:21], off offset:1024
	s_or_b64 exec, exec, s[62:63]
	v_cmp_lt_u32_e64 s[52:53], v83, v93
	s_and_saveexec_b64 s[62:63], s[52:53]
	s_cbranch_execnz .LBB1976_489
.LBB1976_474:                           ;   in Loop: Header=BB1976_408 Depth=2
	s_or_b64 exec, exec, s[62:63]
	v_cmp_lt_u32_e64 s[52:53], v84, v93
	s_and_saveexec_b64 s[62:63], s[52:53]
	s_cbranch_execz .LBB1976_490
.LBB1976_475:                           ;   in Loop: Header=BB1976_408 Depth=2
	global_load_dwordx2 v[10:11], v[20:21], off offset:2048
	s_or_b64 exec, exec, s[62:63]
	v_cmp_lt_u32_e64 s[52:53], v85, v93
	s_and_saveexec_b64 s[62:63], s[52:53]
	s_cbranch_execnz .LBB1976_491
.LBB1976_476:                           ;   in Loop: Header=BB1976_408 Depth=2
	s_or_b64 exec, exec, s[62:63]
	v_cmp_lt_u32_e64 s[52:53], v86, v93
	s_and_saveexec_b64 s[62:63], s[52:53]
	s_cbranch_execz .LBB1976_492
.LBB1976_477:                           ;   in Loop: Header=BB1976_408 Depth=2
	global_load_dwordx2 v[6:7], v[20:21], off offset:3072
	s_or_b64 exec, exec, s[62:63]
	v_cmp_lt_u32_e64 s[52:53], v87, v93
	s_and_saveexec_b64 s[62:63], s[52:53]
	s_cbranch_execnz .LBB1976_493
.LBB1976_478:                           ;   in Loop: Header=BB1976_408 Depth=2
	s_or_b64 exec, exec, s[62:63]
	s_and_saveexec_b64 s[62:63], vcc
	s_cbranch_execz .LBB1976_494
.LBB1976_479:                           ;   in Loop: Header=BB1976_408 Depth=2
	ds_read_u16 v20, v49 offset:1024
	s_waitcnt lgkmcnt(0)
	v_cmp_ne_u16_e64 s[52:53], s68, v20
	v_cndmask_b32_e64 v20, v66, v20, s[52:53]
	v_lshrrev_b32_sdwa v20, s69, v20 dst_sel:DWORD dst_unused:UNUSED_PAD src0_sel:DWORD src1_sel:WORD_0
	v_and_b32_e32 v80, s78, v20
	s_or_b64 exec, exec, s[62:63]
	s_and_saveexec_b64 s[62:63], s[36:37]
	s_cbranch_execnz .LBB1976_495
.LBB1976_480:                           ;   in Loop: Header=BB1976_408 Depth=2
	s_or_b64 exec, exec, s[62:63]
	s_and_saveexec_b64 s[62:63], s[38:39]
	s_cbranch_execz .LBB1976_496
.LBB1976_481:                           ;   in Loop: Header=BB1976_408 Depth=2
	ds_read_u16 v20, v50 offset:1024
	s_waitcnt lgkmcnt(0)
	v_cmp_ne_u16_e64 s[52:53], s68, v20
	v_cndmask_b32_e64 v20, v66, v20, s[52:53]
	v_lshrrev_b32_sdwa v20, s69, v20 dst_sel:DWORD dst_unused:UNUSED_PAD src0_sel:DWORD src1_sel:WORD_0
	v_and_b32_e32 v76, s78, v20
	s_or_b64 exec, exec, s[62:63]
	s_and_saveexec_b64 s[62:63], s[40:41]
	s_cbranch_execnz .LBB1976_497
.LBB1976_482:                           ;   in Loop: Header=BB1976_408 Depth=2
	s_or_b64 exec, exec, s[62:63]
	s_and_saveexec_b64 s[62:63], s[42:43]
	s_cbranch_execz .LBB1976_498
.LBB1976_483:                           ;   in Loop: Header=BB1976_408 Depth=2
	ds_read_u16 v20, v50 offset:2048
	s_waitcnt lgkmcnt(0)
	v_cmp_ne_u16_e64 s[52:53], s68, v20
	v_cndmask_b32_e64 v20, v66, v20, s[52:53]
	v_lshrrev_b32_sdwa v20, s69, v20 dst_sel:DWORD dst_unused:UNUSED_PAD src0_sel:DWORD src1_sel:WORD_0
	v_and_b32_e32 v73, s78, v20
	s_or_b64 exec, exec, s[62:63]
	s_and_saveexec_b64 s[62:63], s[44:45]
	s_cbranch_execnz .LBB1976_499
.LBB1976_484:                           ;   in Loop: Header=BB1976_408 Depth=2
	s_or_b64 exec, exec, s[62:63]
	s_and_saveexec_b64 s[62:63], s[46:47]
	s_cbranch_execz .LBB1976_500
.LBB1976_485:                           ;   in Loop: Header=BB1976_408 Depth=2
	ds_read_u16 v20, v50 offset:3072
	s_waitcnt lgkmcnt(0)
	v_cmp_ne_u16_e64 s[52:53], s68, v20
	v_cndmask_b32_e64 v20, v66, v20, s[52:53]
	v_lshrrev_b32_sdwa v20, s69, v20 dst_sel:DWORD dst_unused:UNUSED_PAD src0_sel:DWORD src1_sel:WORD_0
	v_and_b32_e32 v71, s78, v20
	s_or_b64 exec, exec, s[62:63]
	s_and_saveexec_b64 s[62:63], s[48:49]
	s_cbranch_execnz .LBB1976_501
	s_branch .LBB1976_502
.LBB1976_486:                           ;   in Loop: Header=BB1976_408 Depth=2
	s_or_b64 exec, exec, s[52:53]
	v_cmp_lt_u32_e64 s[52:53], v81, v93
	s_and_saveexec_b64 s[62:63], s[52:53]
	s_cbranch_execz .LBB1976_472
.LBB1976_487:                           ;   in Loop: Header=BB1976_408 Depth=2
	global_load_dwordx2 v[16:17], v[20:21], off offset:512
	s_or_b64 exec, exec, s[62:63]
	v_cmp_lt_u32_e64 s[52:53], v82, v93
	s_and_saveexec_b64 s[62:63], s[52:53]
	s_cbranch_execnz .LBB1976_473
.LBB1976_488:                           ;   in Loop: Header=BB1976_408 Depth=2
	s_or_b64 exec, exec, s[62:63]
	v_cmp_lt_u32_e64 s[52:53], v83, v93
	s_and_saveexec_b64 s[62:63], s[52:53]
	s_cbranch_execz .LBB1976_474
.LBB1976_489:                           ;   in Loop: Header=BB1976_408 Depth=2
	global_load_dwordx2 v[12:13], v[20:21], off offset:1536
	s_or_b64 exec, exec, s[62:63]
	v_cmp_lt_u32_e64 s[52:53], v84, v93
	s_and_saveexec_b64 s[62:63], s[52:53]
	s_cbranch_execnz .LBB1976_475
.LBB1976_490:                           ;   in Loop: Header=BB1976_408 Depth=2
	s_or_b64 exec, exec, s[62:63]
	v_cmp_lt_u32_e64 s[52:53], v85, v93
	s_and_saveexec_b64 s[62:63], s[52:53]
	s_cbranch_execz .LBB1976_476
.LBB1976_491:                           ;   in Loop: Header=BB1976_408 Depth=2
	global_load_dwordx2 v[8:9], v[20:21], off offset:2560
	s_or_b64 exec, exec, s[62:63]
	v_cmp_lt_u32_e64 s[52:53], v86, v93
	s_and_saveexec_b64 s[62:63], s[52:53]
	s_cbranch_execnz .LBB1976_477
.LBB1976_492:                           ;   in Loop: Header=BB1976_408 Depth=2
	s_or_b64 exec, exec, s[62:63]
	v_cmp_lt_u32_e64 s[52:53], v87, v93
	s_and_saveexec_b64 s[62:63], s[52:53]
	s_cbranch_execz .LBB1976_478
.LBB1976_493:                           ;   in Loop: Header=BB1976_408 Depth=2
	global_load_dwordx2 v[0:1], v[20:21], off offset:3584
	s_or_b64 exec, exec, s[62:63]
	s_and_saveexec_b64 s[62:63], vcc
	s_cbranch_execnz .LBB1976_479
.LBB1976_494:                           ;   in Loop: Header=BB1976_408 Depth=2
	s_or_b64 exec, exec, s[62:63]
	s_and_saveexec_b64 s[62:63], s[36:37]
	s_cbranch_execz .LBB1976_480
.LBB1976_495:                           ;   in Loop: Header=BB1976_408 Depth=2
	ds_read_u16 v20, v50 offset:512
	s_waitcnt lgkmcnt(0)
	v_cmp_ne_u16_e64 s[52:53], s68, v20
	v_cndmask_b32_e64 v20, v66, v20, s[52:53]
	v_lshrrev_b32_sdwa v20, s69, v20 dst_sel:DWORD dst_unused:UNUSED_PAD src0_sel:DWORD src1_sel:WORD_0
	v_and_b32_e32 v78, s78, v20
	s_or_b64 exec, exec, s[62:63]
	s_and_saveexec_b64 s[62:63], s[38:39]
	s_cbranch_execnz .LBB1976_481
.LBB1976_496:                           ;   in Loop: Header=BB1976_408 Depth=2
	s_or_b64 exec, exec, s[62:63]
	s_and_saveexec_b64 s[62:63], s[40:41]
	s_cbranch_execz .LBB1976_482
.LBB1976_497:                           ;   in Loop: Header=BB1976_408 Depth=2
	ds_read_u16 v20, v50 offset:1536
	s_waitcnt lgkmcnt(0)
	v_cmp_ne_u16_e64 s[52:53], s68, v20
	v_cndmask_b32_e64 v20, v66, v20, s[52:53]
	v_lshrrev_b32_sdwa v20, s69, v20 dst_sel:DWORD dst_unused:UNUSED_PAD src0_sel:DWORD src1_sel:WORD_0
	v_and_b32_e32 v75, s78, v20
	s_or_b64 exec, exec, s[62:63]
	s_and_saveexec_b64 s[62:63], s[42:43]
	s_cbranch_execnz .LBB1976_483
.LBB1976_498:                           ;   in Loop: Header=BB1976_408 Depth=2
	s_or_b64 exec, exec, s[62:63]
	s_and_saveexec_b64 s[62:63], s[44:45]
	s_cbranch_execz .LBB1976_484
.LBB1976_499:                           ;   in Loop: Header=BB1976_408 Depth=2
	ds_read_u16 v20, v50 offset:2560
	s_waitcnt lgkmcnt(0)
	v_cmp_ne_u16_e64 s[52:53], s68, v20
	v_cndmask_b32_e64 v20, v66, v20, s[52:53]
	v_lshrrev_b32_sdwa v20, s69, v20 dst_sel:DWORD dst_unused:UNUSED_PAD src0_sel:DWORD src1_sel:WORD_0
	v_and_b32_e32 v72, s78, v20
	s_or_b64 exec, exec, s[62:63]
	s_and_saveexec_b64 s[62:63], s[46:47]
	s_cbranch_execnz .LBB1976_485
.LBB1976_500:                           ;   in Loop: Header=BB1976_408 Depth=2
	s_or_b64 exec, exec, s[62:63]
	s_and_saveexec_b64 s[62:63], s[48:49]
	s_cbranch_execz .LBB1976_502
.LBB1976_501:                           ;   in Loop: Header=BB1976_408 Depth=2
	ds_read_u16 v20, v50 offset:3584
	s_waitcnt lgkmcnt(0)
	v_cmp_ne_u16_e64 s[52:53], s68, v20
	v_cndmask_b32_e64 v20, v66, v20, s[52:53]
	v_lshrrev_b32_sdwa v20, s69, v20 dst_sel:DWORD dst_unused:UNUSED_PAD src0_sel:DWORD src1_sel:WORD_0
	v_and_b32_e32 v70, s78, v20
.LBB1976_502:                           ;   in Loop: Header=BB1976_408 Depth=2
	s_or_b64 exec, exec, s[62:63]
	v_lshlrev_b32_e32 v20, 3, v103
	s_barrier
	s_waitcnt vmcnt(0)
	ds_write_b64 v20, v[18:19] offset:1024
	v_lshlrev_b32_e32 v20, 3, v100
	ds_write_b64 v20, v[16:17] offset:1024
	v_lshlrev_b32_e32 v20, 3, v99
	;; [unrolled: 2-line block ×7, first 2 shown]
	ds_write_b64 v20, v[0:1] offset:1024
	s_waitcnt lgkmcnt(0)
	s_barrier
	s_and_saveexec_b64 s[52:53], vcc
	s_cbranch_execz .LBB1976_510
; %bb.503:                              ;   in Loop: Header=BB1976_408 Depth=2
	v_lshlrev_b32_e32 v20, 2, v80
	ds_read_b32 v20, v20
	v_add_u32_e32 v22, v49, v51
	ds_read_b64 v[22:23], v22 offset:1024
	v_mov_b32_e32 v21, v4
	v_mov_b32_e32 v93, s65
	s_waitcnt lgkmcnt(1)
	v_add_u32_e32 v20, v20, v2
	v_lshlrev_b64 v[20:21], 3, v[20:21]
	v_add_co_u32_e32 v20, vcc, s64, v20
	v_addc_co_u32_e32 v21, vcc, v93, v21, vcc
	s_waitcnt lgkmcnt(0)
	global_store_dwordx2 v[20:21], v[22:23], off
	s_or_b64 exec, exec, s[52:53]
	s_and_saveexec_b64 s[52:53], s[36:37]
	s_cbranch_execnz .LBB1976_511
.LBB1976_504:                           ;   in Loop: Header=BB1976_408 Depth=2
	s_or_b64 exec, exec, s[52:53]
	s_and_saveexec_b64 s[36:37], s[38:39]
	s_cbranch_execz .LBB1976_512
.LBB1976_505:                           ;   in Loop: Header=BB1976_408 Depth=2
	v_lshlrev_b32_e32 v20, 2, v76
	ds_read_b32 v22, v20
	v_add_u32_e32 v20, v50, v51
	ds_read_b64 v[20:21], v20 offset:4096
	v_mov_b32_e32 v23, v4
	v_mov_b32_e32 v93, s65
	s_waitcnt lgkmcnt(1)
	v_add_u32_e32 v22, v22, v25
	v_lshlrev_b64 v[22:23], 3, v[22:23]
	v_add_co_u32_e32 v22, vcc, s64, v22
	v_addc_co_u32_e32 v23, vcc, v93, v23, vcc
	s_waitcnt lgkmcnt(0)
	global_store_dwordx2 v[22:23], v[20:21], off
	s_or_b64 exec, exec, s[36:37]
	s_and_saveexec_b64 s[36:37], s[40:41]
	s_cbranch_execnz .LBB1976_513
.LBB1976_506:                           ;   in Loop: Header=BB1976_408 Depth=2
	s_or_b64 exec, exec, s[36:37]
	s_and_saveexec_b64 s[36:37], s[42:43]
	s_cbranch_execz .LBB1976_514
.LBB1976_507:                           ;   in Loop: Header=BB1976_408 Depth=2
	v_lshlrev_b32_e32 v20, 2, v73
	ds_read_b32 v22, v20
	v_add_u32_e32 v20, v50, v51
	ds_read_b64 v[20:21], v20 offset:8192
	v_mov_b32_e32 v23, v4
	v_mov_b32_e32 v93, s65
	s_waitcnt lgkmcnt(1)
	v_add_u32_e32 v22, v22, v29
	v_lshlrev_b64 v[22:23], 3, v[22:23]
	v_add_co_u32_e32 v22, vcc, s64, v22
	v_addc_co_u32_e32 v23, vcc, v93, v23, vcc
	s_waitcnt lgkmcnt(0)
	global_store_dwordx2 v[22:23], v[20:21], off
	s_or_b64 exec, exec, s[36:37]
	s_and_saveexec_b64 s[36:37], s[44:45]
	s_cbranch_execnz .LBB1976_515
.LBB1976_508:                           ;   in Loop: Header=BB1976_408 Depth=2
	s_or_b64 exec, exec, s[36:37]
	s_and_saveexec_b64 s[36:37], s[46:47]
	s_cbranch_execz .LBB1976_516
.LBB1976_509:                           ;   in Loop: Header=BB1976_408 Depth=2
	v_lshlrev_b32_e32 v20, 2, v71
	ds_read_b32 v22, v20
	v_add_u32_e32 v20, v50, v51
	ds_read_b64 v[20:21], v20 offset:12288
	v_mov_b32_e32 v23, v4
	v_mov_b32_e32 v93, s65
	s_waitcnt lgkmcnt(1)
	v_add_u32_e32 v22, v22, v31
	v_lshlrev_b64 v[22:23], 3, v[22:23]
	v_add_co_u32_e32 v22, vcc, s64, v22
	v_addc_co_u32_e32 v23, vcc, v93, v23, vcc
	s_waitcnt lgkmcnt(0)
	global_store_dwordx2 v[22:23], v[20:21], off
	s_or_b64 exec, exec, s[36:37]
	s_and_saveexec_b64 s[36:37], s[48:49]
	s_cbranch_execnz .LBB1976_517
	s_branch .LBB1976_518
.LBB1976_510:                           ;   in Loop: Header=BB1976_408 Depth=2
	s_or_b64 exec, exec, s[52:53]
	s_and_saveexec_b64 s[52:53], s[36:37]
	s_cbranch_execz .LBB1976_504
.LBB1976_511:                           ;   in Loop: Header=BB1976_408 Depth=2
	v_lshlrev_b32_e32 v20, 2, v78
	ds_read_b32 v22, v20
	v_add_u32_e32 v20, v50, v51
	ds_read_b64 v[20:21], v20 offset:2048
	v_mov_b32_e32 v23, v4
	v_mov_b32_e32 v93, s65
	s_waitcnt lgkmcnt(1)
	v_add_u32_e32 v22, v22, v24
	v_lshlrev_b64 v[22:23], 3, v[22:23]
	v_add_co_u32_e32 v22, vcc, s64, v22
	v_addc_co_u32_e32 v23, vcc, v93, v23, vcc
	s_waitcnt lgkmcnt(0)
	global_store_dwordx2 v[22:23], v[20:21], off
	s_or_b64 exec, exec, s[52:53]
	s_and_saveexec_b64 s[36:37], s[38:39]
	s_cbranch_execnz .LBB1976_505
.LBB1976_512:                           ;   in Loop: Header=BB1976_408 Depth=2
	s_or_b64 exec, exec, s[36:37]
	s_and_saveexec_b64 s[36:37], s[40:41]
	s_cbranch_execz .LBB1976_506
.LBB1976_513:                           ;   in Loop: Header=BB1976_408 Depth=2
	v_lshlrev_b32_e32 v20, 2, v75
	ds_read_b32 v22, v20
	v_add_u32_e32 v20, v50, v51
	ds_read_b64 v[20:21], v20 offset:6144
	v_mov_b32_e32 v23, v4
	v_mov_b32_e32 v93, s65
	s_waitcnt lgkmcnt(1)
	v_add_u32_e32 v22, v22, v26
	v_lshlrev_b64 v[22:23], 3, v[22:23]
	v_add_co_u32_e32 v22, vcc, s64, v22
	v_addc_co_u32_e32 v23, vcc, v93, v23, vcc
	s_waitcnt lgkmcnt(0)
	global_store_dwordx2 v[22:23], v[20:21], off
	s_or_b64 exec, exec, s[36:37]
	s_and_saveexec_b64 s[36:37], s[42:43]
	s_cbranch_execnz .LBB1976_507
.LBB1976_514:                           ;   in Loop: Header=BB1976_408 Depth=2
	s_or_b64 exec, exec, s[36:37]
	s_and_saveexec_b64 s[36:37], s[44:45]
	s_cbranch_execz .LBB1976_508
.LBB1976_515:                           ;   in Loop: Header=BB1976_408 Depth=2
	v_lshlrev_b32_e32 v20, 2, v72
	ds_read_b32 v22, v20
	v_add_u32_e32 v20, v50, v51
	ds_read_b64 v[20:21], v20 offset:10240
	v_mov_b32_e32 v23, v4
	v_mov_b32_e32 v93, s65
	s_waitcnt lgkmcnt(1)
	v_add_u32_e32 v22, v22, v30
	v_lshlrev_b64 v[22:23], 3, v[22:23]
	v_add_co_u32_e32 v22, vcc, s64, v22
	v_addc_co_u32_e32 v23, vcc, v93, v23, vcc
	s_waitcnt lgkmcnt(0)
	global_store_dwordx2 v[22:23], v[20:21], off
	s_or_b64 exec, exec, s[36:37]
	s_and_saveexec_b64 s[36:37], s[46:47]
	s_cbranch_execnz .LBB1976_509
.LBB1976_516:                           ;   in Loop: Header=BB1976_408 Depth=2
	s_or_b64 exec, exec, s[36:37]
	s_and_saveexec_b64 s[36:37], s[48:49]
	s_cbranch_execz .LBB1976_518
.LBB1976_517:                           ;   in Loop: Header=BB1976_408 Depth=2
	v_lshlrev_b32_e32 v20, 2, v70
	ds_read_b32 v22, v20
	v_add_u32_e32 v20, v50, v51
	ds_read_b64 v[20:21], v20 offset:14336
	v_mov_b32_e32 v23, v4
	v_mov_b32_e32 v93, s65
	s_waitcnt lgkmcnt(1)
	v_add_u32_e32 v22, v22, v32
	v_lshlrev_b64 v[22:23], 3, v[22:23]
	v_add_co_u32_e32 v22, vcc, s64, v22
	v_addc_co_u32_e32 v23, vcc, v93, v23, vcc
	s_waitcnt lgkmcnt(0)
	global_store_dwordx2 v[22:23], v[20:21], off
.LBB1976_518:                           ;   in Loop: Header=BB1976_408 Depth=2
	s_or_b64 exec, exec, s[36:37]
	s_barrier
	s_and_saveexec_b64 s[36:37], s[4:5]
	s_cbranch_execz .LBB1976_407
; %bb.519:                              ;   in Loop: Header=BB1976_408 Depth=2
	ds_read_b32 v20, v3
	s_waitcnt lgkmcnt(0)
	v_add_u32_e32 v5, v20, v5
	ds_write_b32 v3, v5
	s_branch .LBB1976_407
.LBB1976_520:                           ;   in Loop: Header=BB1976_20 Depth=1
	s_waitcnt lgkmcnt(0)
	s_barrier
	s_mov_b64 s[16:17], 0
.LBB1976_521:                           ;   in Loop: Header=BB1976_20 Depth=1
	s_and_b64 vcc, exec, s[16:17]
	s_cbranch_vccz .LBB1976_19
; %bb.522:                              ;   in Loop: Header=BB1976_20 Depth=1
	s_mov_b32 s22, s71
	s_mov_b32 s72, s51
	s_barrier
	s_waitcnt lgkmcnt(0)
                                        ; implicit-def: $vgpr12
                                        ; implicit-def: $vgpr5
                                        ; implicit-def: $vgpr6
                                        ; implicit-def: $vgpr7
                                        ; implicit-def: $vgpr8
                                        ; implicit-def: $vgpr9
                                        ; implicit-def: $vgpr10
                                        ; implicit-def: $vgpr11
	s_branch .LBB1976_524
.LBB1976_523:                           ;   in Loop: Header=BB1976_524 Depth=2
	s_or_b64 exec, exec, s[16:17]
	s_addk_i32 s22, 0xf800
	s_cmp_ge_u32 s23, s76
	s_mov_b32 s72, s23
	s_cbranch_scc1 .LBB1976_562
.LBB1976_524:                           ;   Parent Loop BB1976_20 Depth=1
                                        ; =>  This Inner Loop Header: Depth=2
	s_add_i32 s23, s72, 0x800
	s_cmp_gt_u32 s23, s76
	s_cbranch_scc1 .LBB1976_527
; %bb.525:                              ;   in Loop: Header=BB1976_524 Depth=2
	s_lshl_b64 s[16:17], s[72:73], 1
	v_mov_b32_e32 v1, s17
	v_add_co_u32_e32 v0, vcc, s16, v58
	v_addc_co_u32_e32 v1, vcc, v59, v1, vcc
	global_load_ushort v14, v[0:1], off
	global_load_ushort v15, v[0:1], off offset:512
	global_load_ushort v16, v[0:1], off offset:1024
	;; [unrolled: 1-line block ×6, first 2 shown]
	v_add_co_u32_e32 v0, vcc, 0xe00, v0
	v_addc_co_u32_e32 v1, vcc, 0, v1, vcc
	s_mov_b64 s[16:17], -1
	s_movk_i32 s24, 0x800
	s_cbranch_execz .LBB1976_528
; %bb.526:                              ;   in Loop: Header=BB1976_524 Depth=2
                                        ; implicit-def: $vgpr11
                                        ; implicit-def: $vgpr10
                                        ; implicit-def: $vgpr9
                                        ; implicit-def: $vgpr8
                                        ; implicit-def: $vgpr7
                                        ; implicit-def: $vgpr6
                                        ; implicit-def: $vgpr5
                                        ; implicit-def: $vgpr12
	v_mov_b32_e32 v13, s22
	s_and_saveexec_b64 s[18:19], s[16:17]
	s_cbranch_execnz .LBB1976_539
	s_branch .LBB1976_540
.LBB1976_527:                           ;   in Loop: Header=BB1976_524 Depth=2
	s_mov_b64 s[16:17], 0
                                        ; implicit-def: $sgpr24
                                        ; implicit-def: $vgpr14
                                        ; implicit-def: $vgpr15
                                        ; implicit-def: $vgpr16
                                        ; implicit-def: $vgpr17
                                        ; implicit-def: $vgpr18
                                        ; implicit-def: $vgpr19
                                        ; implicit-def: $vgpr20
                                        ; implicit-def: $vgpr0_vgpr1
.LBB1976_528:                           ;   in Loop: Header=BB1976_524 Depth=2
	s_lshl_b64 s[18:19], s[72:73], 1
	s_add_u32 s18, s56, s18
	s_addc_u32 s19, s57, s19
	v_cmp_gt_u32_e32 vcc, s22, v2
	s_and_saveexec_b64 s[20:21], vcc
	s_cbranch_execz .LBB1976_556
; %bb.529:                              ;   in Loop: Header=BB1976_524 Depth=2
	global_load_ushort v11, v65, s[18:19]
	s_or_b64 exec, exec, s[20:21]
	v_cmp_gt_u32_e32 vcc, s22, v24
	s_and_saveexec_b64 s[20:21], vcc
	s_cbranch_execnz .LBB1976_557
.LBB1976_530:                           ;   in Loop: Header=BB1976_524 Depth=2
	s_or_b64 exec, exec, s[20:21]
	v_cmp_gt_u32_e32 vcc, s22, v25
	s_and_saveexec_b64 s[20:21], vcc
	s_cbranch_execz .LBB1976_558
.LBB1976_531:                           ;   in Loop: Header=BB1976_524 Depth=2
	global_load_ushort v9, v65, s[18:19] offset:1024
	s_or_b64 exec, exec, s[20:21]
	v_cmp_gt_u32_e32 vcc, s22, v26
	s_and_saveexec_b64 s[20:21], vcc
	s_cbranch_execnz .LBB1976_559
.LBB1976_532:                           ;   in Loop: Header=BB1976_524 Depth=2
	s_or_b64 exec, exec, s[20:21]
	v_cmp_gt_u32_e32 vcc, s22, v29
	s_and_saveexec_b64 s[20:21], vcc
	s_cbranch_execz .LBB1976_560
.LBB1976_533:                           ;   in Loop: Header=BB1976_524 Depth=2
	global_load_ushort v7, v65, s[18:19] offset:2048
	s_or_b64 exec, exec, s[20:21]
	v_cmp_gt_u32_e32 vcc, s22, v30
	s_and_saveexec_b64 s[20:21], vcc
	s_cbranch_execnz .LBB1976_561
.LBB1976_534:                           ;   in Loop: Header=BB1976_524 Depth=2
	s_or_b64 exec, exec, s[20:21]
	v_cmp_gt_u32_e32 vcc, s22, v31
	s_and_saveexec_b64 s[20:21], vcc
	s_cbranch_execz .LBB1976_536
.LBB1976_535:                           ;   in Loop: Header=BB1976_524 Depth=2
	global_load_ushort v5, v65, s[18:19] offset:3072
.LBB1976_536:                           ;   in Loop: Header=BB1976_524 Depth=2
	s_or_b64 exec, exec, s[20:21]
	v_cmp_gt_u32_e32 vcc, s22, v32
                                        ; implicit-def: $sgpr24
                                        ; implicit-def: $vgpr0_vgpr1
	s_and_saveexec_b64 s[20:21], vcc
	s_cbranch_execz .LBB1976_538
; %bb.537:                              ;   in Loop: Header=BB1976_524 Depth=2
	v_mov_b32_e32 v0, s19
	v_add_co_u32_e32 v1, vcc, s18, v65
	s_waitcnt vmcnt(0)
	v_addc_co_u32_e32 v12, vcc, 0, v0, vcc
	v_add_co_u32_e32 v0, vcc, 0xe00, v1
	s_sub_i32 s24, s76, s72
	v_addc_co_u32_e32 v1, vcc, 0, v12, vcc
	s_or_b64 s[16:17], s[16:17], exec
                                        ; implicit-def: $vgpr12
.LBB1976_538:                           ;   in Loop: Header=BB1976_524 Depth=2
	s_or_b64 exec, exec, s[20:21]
	s_waitcnt vmcnt(0)
	v_mov_b32_e32 v14, v11
	v_mov_b32_e32 v15, v10
	;; [unrolled: 1-line block ×8, first 2 shown]
	s_and_saveexec_b64 s[18:19], s[16:17]
	s_cbranch_execz .LBB1976_540
.LBB1976_539:                           ;   in Loop: Header=BB1976_524 Depth=2
	global_load_ushort v12, v[0:1], off
	v_mov_b32_e32 v13, s24
	s_waitcnt vmcnt(1)
	v_mov_b32_e32 v5, v20
	v_mov_b32_e32 v6, v19
	v_mov_b32_e32 v7, v18
	v_mov_b32_e32 v8, v17
	v_mov_b32_e32 v9, v16
	v_mov_b32_e32 v10, v15
	v_mov_b32_e32 v11, v14
.LBB1976_540:                           ;   in Loop: Header=BB1976_524 Depth=2
	s_or_b64 exec, exec, s[18:19]
	v_cmp_lt_u32_e32 vcc, v2, v13
	s_and_saveexec_b64 s[16:17], vcc
	s_cbranch_execz .LBB1976_548
; %bb.541:                              ;   in Loop: Header=BB1976_524 Depth=2
	v_cmp_gt_i16_e32 vcc, 0, v11
	v_cndmask_b32_e64 v0, v66, 0, vcc
	v_xor_b32_e32 v0, v0, v11
	v_cmp_ne_u16_e32 vcc, s68, v0
	v_cndmask_b32_e32 v0, v66, v0, vcc
	v_lshrrev_b32_sdwa v0, s69, v0 dst_sel:DWORD dst_unused:UNUSED_PAD src0_sel:DWORD src1_sel:WORD_0
	v_and_b32_e32 v0, s78, v0
	v_lshl_or_b32 v0, v0, 4, v67
	ds_add_u32 v0, v64
	s_or_b64 exec, exec, s[16:17]
	v_cmp_lt_u32_e32 vcc, v24, v13
	s_and_saveexec_b64 s[16:17], vcc
	s_cbranch_execnz .LBB1976_549
.LBB1976_542:                           ;   in Loop: Header=BB1976_524 Depth=2
	s_or_b64 exec, exec, s[16:17]
	v_cmp_lt_u32_e32 vcc, v25, v13
	s_and_saveexec_b64 s[16:17], vcc
	s_cbranch_execz .LBB1976_550
.LBB1976_543:                           ;   in Loop: Header=BB1976_524 Depth=2
	v_cmp_gt_i16_e32 vcc, 0, v9
	v_cndmask_b32_e64 v0, v66, 0, vcc
	v_xor_b32_e32 v0, v0, v9
	v_cmp_ne_u16_e32 vcc, s68, v0
	v_cndmask_b32_e32 v0, v66, v0, vcc
	v_lshrrev_b32_sdwa v0, s69, v0 dst_sel:DWORD dst_unused:UNUSED_PAD src0_sel:DWORD src1_sel:WORD_0
	v_and_b32_e32 v0, s78, v0
	v_lshl_or_b32 v0, v0, 4, v67
	ds_add_u32 v0, v64
	s_or_b64 exec, exec, s[16:17]
	v_cmp_lt_u32_e32 vcc, v26, v13
	s_and_saveexec_b64 s[16:17], vcc
	s_cbranch_execnz .LBB1976_551
.LBB1976_544:                           ;   in Loop: Header=BB1976_524 Depth=2
	s_or_b64 exec, exec, s[16:17]
	v_cmp_lt_u32_e32 vcc, v29, v13
	s_and_saveexec_b64 s[16:17], vcc
	s_cbranch_execz .LBB1976_552
.LBB1976_545:                           ;   in Loop: Header=BB1976_524 Depth=2
	v_cmp_gt_i16_e32 vcc, 0, v7
	v_cndmask_b32_e64 v0, v66, 0, vcc
	v_xor_b32_e32 v0, v0, v7
	v_cmp_ne_u16_e32 vcc, s68, v0
	v_cndmask_b32_e32 v0, v66, v0, vcc
	v_lshrrev_b32_sdwa v0, s69, v0 dst_sel:DWORD dst_unused:UNUSED_PAD src0_sel:DWORD src1_sel:WORD_0
	v_and_b32_e32 v0, s78, v0
	v_lshl_or_b32 v0, v0, 4, v67
	ds_add_u32 v0, v64
	s_or_b64 exec, exec, s[16:17]
	v_cmp_lt_u32_e32 vcc, v30, v13
	s_and_saveexec_b64 s[16:17], vcc
	s_cbranch_execnz .LBB1976_553
.LBB1976_546:                           ;   in Loop: Header=BB1976_524 Depth=2
	s_or_b64 exec, exec, s[16:17]
	v_cmp_lt_u32_e32 vcc, v31, v13
	s_and_saveexec_b64 s[16:17], vcc
	s_cbranch_execz .LBB1976_554
.LBB1976_547:                           ;   in Loop: Header=BB1976_524 Depth=2
	v_cmp_gt_i16_e32 vcc, 0, v5
	v_cndmask_b32_e64 v0, v66, 0, vcc
	v_xor_b32_e32 v0, v0, v5
	v_cmp_ne_u16_e32 vcc, s68, v0
	v_cndmask_b32_e32 v0, v66, v0, vcc
	v_lshrrev_b32_sdwa v0, s69, v0 dst_sel:DWORD dst_unused:UNUSED_PAD src0_sel:DWORD src1_sel:WORD_0
	v_and_b32_e32 v0, s78, v0
	v_lshl_or_b32 v0, v0, 4, v67
	ds_add_u32 v0, v64
	s_or_b64 exec, exec, s[16:17]
	v_cmp_lt_u32_e32 vcc, v32, v13
	s_and_saveexec_b64 s[16:17], vcc
	s_cbranch_execz .LBB1976_523
	s_branch .LBB1976_555
.LBB1976_548:                           ;   in Loop: Header=BB1976_524 Depth=2
	s_or_b64 exec, exec, s[16:17]
	v_cmp_lt_u32_e32 vcc, v24, v13
	s_and_saveexec_b64 s[16:17], vcc
	s_cbranch_execz .LBB1976_542
.LBB1976_549:                           ;   in Loop: Header=BB1976_524 Depth=2
	v_cmp_gt_i16_e32 vcc, 0, v10
	v_cndmask_b32_e64 v0, v66, 0, vcc
	v_xor_b32_e32 v0, v0, v10
	v_cmp_ne_u16_e32 vcc, s68, v0
	v_cndmask_b32_e32 v0, v66, v0, vcc
	v_lshrrev_b32_sdwa v0, s69, v0 dst_sel:DWORD dst_unused:UNUSED_PAD src0_sel:DWORD src1_sel:WORD_0
	v_and_b32_e32 v0, s78, v0
	v_lshl_or_b32 v0, v0, 4, v67
	ds_add_u32 v0, v64
	s_or_b64 exec, exec, s[16:17]
	v_cmp_lt_u32_e32 vcc, v25, v13
	s_and_saveexec_b64 s[16:17], vcc
	s_cbranch_execnz .LBB1976_543
.LBB1976_550:                           ;   in Loop: Header=BB1976_524 Depth=2
	s_or_b64 exec, exec, s[16:17]
	v_cmp_lt_u32_e32 vcc, v26, v13
	s_and_saveexec_b64 s[16:17], vcc
	s_cbranch_execz .LBB1976_544
.LBB1976_551:                           ;   in Loop: Header=BB1976_524 Depth=2
	v_cmp_gt_i16_e32 vcc, 0, v8
	v_cndmask_b32_e64 v0, v66, 0, vcc
	v_xor_b32_e32 v0, v0, v8
	v_cmp_ne_u16_e32 vcc, s68, v0
	v_cndmask_b32_e32 v0, v66, v0, vcc
	v_lshrrev_b32_sdwa v0, s69, v0 dst_sel:DWORD dst_unused:UNUSED_PAD src0_sel:DWORD src1_sel:WORD_0
	v_and_b32_e32 v0, s78, v0
	v_lshl_or_b32 v0, v0, 4, v67
	ds_add_u32 v0, v64
	s_or_b64 exec, exec, s[16:17]
	v_cmp_lt_u32_e32 vcc, v29, v13
	s_and_saveexec_b64 s[16:17], vcc
	s_cbranch_execnz .LBB1976_545
.LBB1976_552:                           ;   in Loop: Header=BB1976_524 Depth=2
	s_or_b64 exec, exec, s[16:17]
	v_cmp_lt_u32_e32 vcc, v30, v13
	s_and_saveexec_b64 s[16:17], vcc
	s_cbranch_execz .LBB1976_546
.LBB1976_553:                           ;   in Loop: Header=BB1976_524 Depth=2
	v_cmp_gt_i16_e32 vcc, 0, v6
	v_cndmask_b32_e64 v0, v66, 0, vcc
	v_xor_b32_e32 v0, v0, v6
	v_cmp_ne_u16_e32 vcc, s68, v0
	v_cndmask_b32_e32 v0, v66, v0, vcc
	v_lshrrev_b32_sdwa v0, s69, v0 dst_sel:DWORD dst_unused:UNUSED_PAD src0_sel:DWORD src1_sel:WORD_0
	v_and_b32_e32 v0, s78, v0
	v_lshl_or_b32 v0, v0, 4, v67
	ds_add_u32 v0, v64
	s_or_b64 exec, exec, s[16:17]
	v_cmp_lt_u32_e32 vcc, v31, v13
	s_and_saveexec_b64 s[16:17], vcc
	s_cbranch_execnz .LBB1976_547
.LBB1976_554:                           ;   in Loop: Header=BB1976_524 Depth=2
	s_or_b64 exec, exec, s[16:17]
	v_cmp_lt_u32_e32 vcc, v32, v13
	s_and_saveexec_b64 s[16:17], vcc
	s_cbranch_execz .LBB1976_523
.LBB1976_555:                           ;   in Loop: Header=BB1976_524 Depth=2
	s_waitcnt vmcnt(0)
	v_cmp_gt_i16_e32 vcc, 0, v12
	v_cndmask_b32_e64 v0, v66, 0, vcc
	v_xor_b32_e32 v0, v0, v12
	v_cmp_ne_u16_e32 vcc, s68, v0
	v_cndmask_b32_e32 v0, v66, v0, vcc
	v_lshrrev_b32_sdwa v0, s69, v0 dst_sel:DWORD dst_unused:UNUSED_PAD src0_sel:DWORD src1_sel:WORD_0
	v_and_b32_e32 v0, s78, v0
	v_lshl_or_b32 v0, v0, 4, v67
	ds_add_u32 v0, v64
	s_branch .LBB1976_523
.LBB1976_556:                           ;   in Loop: Header=BB1976_524 Depth=2
	s_or_b64 exec, exec, s[20:21]
	v_cmp_gt_u32_e32 vcc, s22, v24
	s_and_saveexec_b64 s[20:21], vcc
	s_cbranch_execz .LBB1976_530
.LBB1976_557:                           ;   in Loop: Header=BB1976_524 Depth=2
	global_load_ushort v10, v65, s[18:19] offset:512
	s_or_b64 exec, exec, s[20:21]
	v_cmp_gt_u32_e32 vcc, s22, v25
	s_and_saveexec_b64 s[20:21], vcc
	s_cbranch_execnz .LBB1976_531
.LBB1976_558:                           ;   in Loop: Header=BB1976_524 Depth=2
	s_or_b64 exec, exec, s[20:21]
	v_cmp_gt_u32_e32 vcc, s22, v26
	s_and_saveexec_b64 s[20:21], vcc
	s_cbranch_execz .LBB1976_532
.LBB1976_559:                           ;   in Loop: Header=BB1976_524 Depth=2
	global_load_ushort v8, v65, s[18:19] offset:1536
	s_or_b64 exec, exec, s[20:21]
	v_cmp_gt_u32_e32 vcc, s22, v29
	s_and_saveexec_b64 s[20:21], vcc
	s_cbranch_execnz .LBB1976_533
.LBB1976_560:                           ;   in Loop: Header=BB1976_524 Depth=2
	s_or_b64 exec, exec, s[20:21]
	v_cmp_gt_u32_e32 vcc, s22, v30
	s_and_saveexec_b64 s[20:21], vcc
	s_cbranch_execz .LBB1976_534
.LBB1976_561:                           ;   in Loop: Header=BB1976_524 Depth=2
	global_load_ushort v6, v65, s[18:19] offset:2560
	s_or_b64 exec, exec, s[20:21]
	v_cmp_gt_u32_e32 vcc, s22, v31
	s_and_saveexec_b64 s[20:21], vcc
	s_cbranch_execz .LBB1976_536
	s_branch .LBB1976_535
.LBB1976_562:                           ;   in Loop: Header=BB1976_20 Depth=1
	v_mov_b32_e32 v0, 0
	s_waitcnt lgkmcnt(0)
	s_barrier
	s_and_saveexec_b64 s[16:17], s[4:5]
	s_cbranch_execz .LBB1976_564
; %bb.563:                              ;   in Loop: Header=BB1976_20 Depth=1
	ds_read2_b64 v[6:9], v33 offset1:1
	s_waitcnt lgkmcnt(0)
	v_add_u32_e32 v0, v7, v6
	v_add3_u32 v0, v0, v8, v9
.LBB1976_564:                           ;   in Loop: Header=BB1976_20 Depth=1
	s_or_b64 exec, exec, s[16:17]
	v_and_b32_e32 v1, 15, v68
	v_mov_b32_dpp v5, v0 row_shr:1 row_mask:0xf bank_mask:0xf
	v_cmp_eq_u32_e64 s[16:17], 0, v1
	v_cndmask_b32_e64 v5, v5, 0, s[16:17]
	v_add_u32_e32 v0, v5, v0
	v_cmp_lt_u32_e64 s[18:19], 1, v1
	v_cmp_lt_u32_e64 s[20:21], 3, v1
	v_mov_b32_dpp v5, v0 row_shr:2 row_mask:0xf bank_mask:0xf
	v_cndmask_b32_e64 v5, 0, v5, s[18:19]
	v_add_u32_e32 v0, v0, v5
	v_cmp_lt_u32_e64 s[22:23], 7, v1
	v_cmp_lt_u32_e64 s[26:27], 31, v68
	v_mov_b32_dpp v5, v0 row_shr:4 row_mask:0xf bank_mask:0xf
	v_cndmask_b32_e64 v5, 0, v5, s[20:21]
	v_add_u32_e32 v0, v0, v5
	v_and_b32_e32 v6, 16, v68
	v_cmp_eq_u32_e64 s[24:25], 0, v6
	v_mov_b32_dpp v5, v0 row_shr:8 row_mask:0xf bank_mask:0xf
	v_cndmask_b32_e64 v1, 0, v5, s[22:23]
	v_add_u32_e32 v0, v0, v1
	v_bfe_i32 v5, v68, 4, 1
	s_nop 0
	v_mov_b32_dpp v1, v0 row_bcast:15 row_mask:0xf bank_mask:0xf
	v_and_b32_e32 v1, v5, v1
	v_add_u32_e32 v0, v0, v1
	s_nop 1
	v_mov_b32_dpp v1, v0 row_bcast:31 row_mask:0xf bank_mask:0xf
	v_cndmask_b32_e64 v1, 0, v1, s[26:27]
	v_add_u32_e32 v1, v0, v1
	s_and_saveexec_b64 s[28:29], s[6:7]
	s_cbranch_execz .LBB1976_566
; %bb.565:                              ;   in Loop: Header=BB1976_20 Depth=1
	ds_write_b32 v35, v1
.LBB1976_566:                           ;   in Loop: Header=BB1976_20 Depth=1
	s_or_b64 exec, exec, s[28:29]
	v_and_b32_e32 v0, 3, v68
	s_waitcnt lgkmcnt(0)
	s_barrier
	s_and_saveexec_b64 s[28:29], s[8:9]
	s_cbranch_execz .LBB1976_568
; %bb.567:                              ;   in Loop: Header=BB1976_20 Depth=1
	ds_read_b32 v5, v36
	v_cmp_ne_u32_e32 vcc, 0, v0
	s_waitcnt lgkmcnt(0)
	v_mov_b32_dpp v6, v5 row_shr:1 row_mask:0xf bank_mask:0xf
	v_cndmask_b32_e32 v6, 0, v6, vcc
	v_add_u32_e32 v5, v6, v5
	v_cmp_lt_u32_e32 vcc, 1, v0
	s_nop 0
	v_mov_b32_dpp v6, v5 row_shr:2 row_mask:0xf bank_mask:0xf
	v_cndmask_b32_e32 v6, 0, v6, vcc
	v_add_u32_e32 v5, v5, v6
	ds_write_b32 v36, v5
.LBB1976_568:                           ;   in Loop: Header=BB1976_20 Depth=1
	s_or_b64 exec, exec, s[28:29]
	v_mov_b32_e32 v5, 0
	s_waitcnt lgkmcnt(0)
	s_barrier
	s_and_saveexec_b64 s[28:29], s[10:11]
	s_cbranch_execz .LBB1976_570
; %bb.569:                              ;   in Loop: Header=BB1976_20 Depth=1
	ds_read_b32 v5, v37
.LBB1976_570:                           ;   in Loop: Header=BB1976_20 Depth=1
	s_or_b64 exec, exec, s[28:29]
	v_add_u32_e32 v6, -1, v68
	v_and_b32_e32 v7, 64, v68
	v_cmp_lt_i32_e32 vcc, v6, v7
	v_cndmask_b32_e32 v6, v6, v68, vcc
	s_waitcnt lgkmcnt(0)
	v_add_u32_e32 v1, v5, v1
	v_lshlrev_b32_e32 v69, 2, v6
	ds_bpermute_b32 v1, v69, v1
	v_cmp_eq_u32_e64 s[28:29], 0, v68
	s_waitcnt lgkmcnt(0)
	s_barrier
	s_and_saveexec_b64 s[30:31], s[4:5]
	s_cbranch_execz .LBB1976_572
; %bb.571:                              ;   in Loop: Header=BB1976_20 Depth=1
	v_cndmask_b32_e64 v1, v1, v5, s[28:29]
	v_add_u32_e32 v1, s51, v1
	ds_write_b32 v3, v1
.LBB1976_572:                           ;   in Loop: Header=BB1976_20 Depth=1
	s_or_b64 exec, exec, s[30:31]
	s_load_dwordx2 s[30:31], s[74:75], 0x0
	v_and_b32_e32 v21, 63, v68
	v_lshlrev_b32_e32 v22, 3, v21
	v_add_co_u32_e32 v77, vcc, v60, v22
	s_waitcnt lgkmcnt(0)
	s_cmp_lt_u32 s50, s30
	s_cselect_b32 s34, 12, 18
	s_cmp_lt_u32 s33, s31
	s_cselect_b32 s30, 14, 20
	s_add_u32 s30, s74, s30
	s_addc_u32 s31, s75, 0
	s_add_u32 s34, s74, s34
	global_load_ushort v5, v4, s[30:31]
	s_addc_u32 s35, s75, 0
	global_load_ushort v20, v4, s[34:35]
	v_or_b32_e32 v74, v21, v38
	v_lshlrev_b32_e32 v21, 1, v21
	v_addc_co_u32_e32 v79, vcc, 0, v61, vcc
	v_add_co_u32_e32 v88, vcc, v62, v21
	v_addc_co_u32_e32 v89, vcc, 0, v63, vcc
	v_add_co_u32_e32 v90, vcc, 0x380, v88
	v_cmp_eq_u32_e64 s[30:31], 0, v0
	v_cmp_lt_u32_e64 s[34:35], 1, v0
	s_mov_b32 s79, s71
	v_or_b32_e32 v81, 64, v74
	v_or_b32_e32 v82, 0x80, v74
	;; [unrolled: 1-line block ×7, first 2 shown]
	v_addc_co_u32_e32 v91, vcc, 0, v89, vcc
	s_mov_b32 s72, s51
                                        ; implicit-def: $vgpr0_vgpr1
                                        ; implicit-def: $vgpr6_vgpr7
                                        ; implicit-def: $vgpr8_vgpr9
                                        ; implicit-def: $vgpr10_vgpr11
                                        ; implicit-def: $vgpr12_vgpr13
                                        ; implicit-def: $vgpr14_vgpr15
                                        ; implicit-def: $vgpr16_vgpr17
                                        ; implicit-def: $vgpr18_vgpr19
                                        ; implicit-def: $vgpr70
                                        ; implicit-def: $vgpr71
                                        ; implicit-def: $vgpr72
                                        ; implicit-def: $vgpr73
                                        ; implicit-def: $vgpr75
                                        ; implicit-def: $vgpr76
                                        ; implicit-def: $vgpr78
                                        ; implicit-def: $vgpr80
	s_waitcnt vmcnt(1)
	v_mad_u32_u24 v5, v39, v5, v40
	s_waitcnt vmcnt(0)
	v_mad_u64_u32 v[20:21], s[36:37], v5, v20, v[2:3]
	v_lshrrev_b32_e32 v92, 6, v20
	s_branch .LBB1976_574
.LBB1976_573:                           ;   in Loop: Header=BB1976_574 Depth=2
	s_or_b64 exec, exec, s[36:37]
	s_addk_i32 s79, 0xf800
	s_cmp_lt_u32 s80, s76
	s_mov_b32 s72, s80
	s_cbranch_scc0 .LBB1976_18
.LBB1976_574:                           ;   Parent Loop BB1976_20 Depth=1
                                        ; =>  This Inner Loop Header: Depth=2
	s_add_i32 s80, s72, 0x800
	s_cmp_gt_u32 s80, s76
	s_cbranch_scc1 .LBB1976_577
; %bb.575:                              ;   in Loop: Header=BB1976_574 Depth=2
	s_lshl_b64 s[36:37], s[72:73], 1
	v_mov_b32_e32 v5, s37
	v_add_co_u32_e32 v20, vcc, s36, v88
	v_addc_co_u32_e32 v21, vcc, v89, v5, vcc
	global_load_ushort v5, v[20:21], off
	global_load_ushort v97, v[20:21], off offset:128
	global_load_ushort v101, v[20:21], off offset:256
	;; [unrolled: 1-line block ×6, first 2 shown]
	s_mov_b64 s[36:37], -1
	s_movk_i32 s40, 0x800
	s_cbranch_execz .LBB1976_578
; %bb.576:                              ;   in Loop: Header=BB1976_574 Depth=2
                                        ; implicit-def: $sgpr38
	v_mov_b32_e32 v23, s38
	v_mov_b32_e32 v93, s79
	s_and_saveexec_b64 s[38:39], s[36:37]
	s_cbranch_execnz .LBB1976_593
	s_branch .LBB1976_594
.LBB1976_577:                           ;   in Loop: Header=BB1976_574 Depth=2
	s_mov_b64 s[36:37], 0
                                        ; implicit-def: $sgpr40
                                        ; implicit-def: $vgpr5
                                        ; implicit-def: $vgpr97
                                        ; implicit-def: $vgpr101
                                        ; implicit-def: $vgpr106
                                        ; implicit-def: $vgpr109
                                        ; implicit-def: $vgpr104
                                        ; implicit-def: $vgpr22
.LBB1976_578:                           ;   in Loop: Header=BB1976_574 Depth=2
	s_lshl_b64 s[36:37], s[72:73], 1
	s_waitcnt vmcnt(6)
	v_mov_b32_e32 v5, s37
	v_add_co_u32_e32 v20, vcc, s36, v88
	v_addc_co_u32_e32 v21, vcc, v89, v5, vcc
	v_cmp_gt_u32_e32 vcc, s79, v74
	s_waitcnt vmcnt(5)
	v_mov_b32_e32 v97, -1
	v_mov_b32_e32 v5, -1
	s_and_saveexec_b64 s[36:37], vcc
	s_cbranch_execz .LBB1976_580
; %bb.579:                              ;   in Loop: Header=BB1976_574 Depth=2
	global_load_ushort v5, v[20:21], off
.LBB1976_580:                           ;   in Loop: Header=BB1976_574 Depth=2
	s_or_b64 exec, exec, s[36:37]
	v_cmp_gt_u32_e32 vcc, s79, v81
	s_and_saveexec_b64 s[36:37], vcc
	s_cbranch_execz .LBB1976_582
; %bb.581:                              ;   in Loop: Header=BB1976_574 Depth=2
	global_load_ushort v97, v[20:21], off offset:128
.LBB1976_582:                           ;   in Loop: Header=BB1976_574 Depth=2
	s_or_b64 exec, exec, s[36:37]
	v_cmp_gt_u32_e32 vcc, s79, v82
	s_waitcnt vmcnt(3)
	v_mov_b32_e32 v106, -1
	v_mov_b32_e32 v101, -1
	s_and_saveexec_b64 s[36:37], vcc
	s_cbranch_execz .LBB1976_584
; %bb.583:                              ;   in Loop: Header=BB1976_574 Depth=2
	global_load_ushort v101, v[20:21], off offset:256
.LBB1976_584:                           ;   in Loop: Header=BB1976_574 Depth=2
	s_or_b64 exec, exec, s[36:37]
	v_cmp_gt_u32_e32 vcc, s79, v83
	s_and_saveexec_b64 s[36:37], vcc
	s_cbranch_execz .LBB1976_586
; %bb.585:                              ;   in Loop: Header=BB1976_574 Depth=2
	global_load_ushort v106, v[20:21], off offset:384
.LBB1976_586:                           ;   in Loop: Header=BB1976_574 Depth=2
	s_or_b64 exec, exec, s[36:37]
	v_cmp_gt_u32_e32 vcc, s79, v84
	s_waitcnt vmcnt(1)
	v_mov_b32_e32 v104, -1
	v_mov_b32_e32 v109, -1
	s_and_saveexec_b64 s[36:37], vcc
	s_cbranch_execz .LBB1976_588
; %bb.587:                              ;   in Loop: Header=BB1976_574 Depth=2
	global_load_ushort v109, v[20:21], off offset:512
.LBB1976_588:                           ;   in Loop: Header=BB1976_574 Depth=2
	s_or_b64 exec, exec, s[36:37]
	v_cmp_gt_u32_e32 vcc, s79, v85
	s_and_saveexec_b64 s[36:37], vcc
	s_cbranch_execz .LBB1976_590
; %bb.589:                              ;   in Loop: Header=BB1976_574 Depth=2
	global_load_ushort v104, v[20:21], off offset:640
.LBB1976_590:                           ;   in Loop: Header=BB1976_574 Depth=2
	s_or_b64 exec, exec, s[36:37]
	v_cmp_gt_u32_e32 vcc, s79, v86
	s_waitcnt vmcnt(0)
	v_mov_b32_e32 v22, -1
	s_and_saveexec_b64 s[36:37], vcc
	s_cbranch_execz .LBB1976_592
; %bb.591:                              ;   in Loop: Header=BB1976_574 Depth=2
	global_load_ushort v22, v[20:21], off offset:768
.LBB1976_592:                           ;   in Loop: Header=BB1976_574 Depth=2
	s_or_b64 exec, exec, s[36:37]
	s_sub_i32 s40, s76, s72
	v_cmp_gt_u32_e64 s[36:37], s79, v87
	s_mov_b32 s38, -1
	v_mov_b32_e32 v23, s38
	v_mov_b32_e32 v93, s79
	s_and_saveexec_b64 s[38:39], s[36:37]
	s_cbranch_execz .LBB1976_594
.LBB1976_593:                           ;   in Loop: Header=BB1976_574 Depth=2
	s_lshl_b64 s[36:37], s[72:73], 1
	v_mov_b32_e32 v21, s37
	v_add_co_u32_e32 v20, vcc, s36, v90
	v_addc_co_u32_e32 v21, vcc, v91, v21, vcc
	global_load_ushort v23, v[20:21], off
	v_mov_b32_e32 v93, s40
.LBB1976_594:                           ;   in Loop: Header=BB1976_574 Depth=2
	s_or_b64 exec, exec, s[38:39]
	s_waitcnt vmcnt(6)
	v_cmp_gt_i16_e32 vcc, 0, v5
	v_cndmask_b32_e64 v20, v66, 0, vcc
	v_xor_b32_e32 v94, v20, v5
	v_add_u32_e32 v5, 0x410, v41
	v_cmp_ne_u16_e32 vcc, s68, v94
	ds_write2_b32 v5, v4, v4 offset1:1
	ds_write2_b32 v43, v4, v4 offset0:2 offset1:3
	ds_write_b32 v43, v4 offset:16
	v_cndmask_b32_e32 v5, v66, v94, vcc
	v_lshrrev_b32_sdwa v5, s69, v5 dst_sel:DWORD dst_unused:UNUSED_PAD src0_sel:DWORD src1_sel:WORD_0
	v_and_b32_e32 v20, s78, v5
	v_mad_u32_u24 v5, v20, 5, v92
	v_lshl_add_u32 v95, v5, 2, v42
	v_and_b32_e32 v5, 1, v20
	v_add_co_u32_e32 v21, vcc, -1, v5
	v_addc_co_u32_e64 v96, s[36:37], 0, -1, vcc
	v_cmp_ne_u32_e32 vcc, 0, v5
	v_xor_b32_e32 v5, vcc_hi, v96
	v_and_b32_e32 v96, exec_hi, v5
	v_lshlrev_b32_e32 v5, 30, v20
	v_xor_b32_e32 v21, vcc_lo, v21
	v_cmp_gt_i64_e32 vcc, 0, v[4:5]
	v_not_b32_e32 v5, v5
	v_ashrrev_i32_e32 v5, 31, v5
	v_and_b32_e32 v21, exec_lo, v21
	v_xor_b32_e32 v98, vcc_hi, v5
	v_xor_b32_e32 v5, vcc_lo, v5
	v_and_b32_e32 v21, v21, v5
	v_lshlrev_b32_e32 v5, 29, v20
	v_cmp_gt_i64_e32 vcc, 0, v[4:5]
	v_not_b32_e32 v5, v5
	v_ashrrev_i32_e32 v5, 31, v5
	v_and_b32_e32 v96, v96, v98
	v_xor_b32_e32 v98, vcc_hi, v5
	v_xor_b32_e32 v5, vcc_lo, v5
	v_and_b32_e32 v21, v21, v5
	v_lshlrev_b32_e32 v5, 28, v20
	v_cmp_gt_i64_e32 vcc, 0, v[4:5]
	v_not_b32_e32 v5, v5
	v_ashrrev_i32_e32 v5, 31, v5
	v_and_b32_e32 v96, v96, v98
	;; [unrolled: 8-line block ×5, first 2 shown]
	v_xor_b32_e32 v98, vcc_hi, v5
	v_xor_b32_e32 v5, vcc_lo, v5
	v_and_b32_e32 v96, v96, v98
	v_and_b32_e32 v98, v21, v5
	v_lshlrev_b32_e32 v5, 24, v20
	v_cmp_gt_i64_e32 vcc, 0, v[4:5]
	v_not_b32_e32 v5, v5
	v_ashrrev_i32_e32 v5, 31, v5
	v_xor_b32_e32 v20, vcc_hi, v5
	v_xor_b32_e32 v5, vcc_lo, v5
	v_and_b32_e32 v21, v96, v20
	v_and_b32_e32 v20, v98, v5
	v_mbcnt_lo_u32_b32 v5, v20, 0
	v_mbcnt_hi_u32_b32 v96, v21, v5
	v_cmp_eq_u32_e32 vcc, 0, v96
	v_cmp_ne_u64_e64 s[36:37], 0, v[20:21]
	s_and_b64 s[38:39], s[36:37], vcc
	s_waitcnt lgkmcnt(0)
	s_barrier
	s_waitcnt lgkmcnt(0)
	; wave barrier
	s_and_saveexec_b64 s[36:37], s[38:39]
	s_cbranch_execz .LBB1976_596
; %bb.595:                              ;   in Loop: Header=BB1976_574 Depth=2
	v_bcnt_u32_b32 v5, v20, 0
	v_bcnt_u32_b32 v5, v21, v5
	ds_write_b32 v95, v5
.LBB1976_596:                           ;   in Loop: Header=BB1976_574 Depth=2
	s_or_b64 exec, exec, s[36:37]
	s_waitcnt vmcnt(5)
	v_cmp_gt_i16_e32 vcc, 0, v97
	v_cndmask_b32_e64 v5, v66, 0, vcc
	v_xor_b32_e32 v97, v5, v97
	v_cmp_ne_u16_e32 vcc, s68, v97
	v_cndmask_b32_e32 v5, v66, v97, vcc
	v_lshrrev_b32_sdwa v5, s69, v5 dst_sel:DWORD dst_unused:UNUSED_PAD src0_sel:DWORD src1_sel:WORD_0
	v_and_b32_e32 v20, s78, v5
	v_mul_u32_u24_e32 v5, 5, v20
	v_add_lshl_u32 v5, v5, v92, 2
	; wave barrier
	v_add_u32_e32 v99, 0x410, v5
	ds_read_b32 v98, v5 offset:1040
	v_and_b32_e32 v5, 1, v20
	v_add_co_u32_e32 v21, vcc, -1, v5
	v_addc_co_u32_e64 v100, s[36:37], 0, -1, vcc
	v_cmp_ne_u32_e32 vcc, 0, v5
	v_xor_b32_e32 v5, vcc_hi, v100
	v_and_b32_e32 v100, exec_hi, v5
	v_lshlrev_b32_e32 v5, 30, v20
	v_xor_b32_e32 v21, vcc_lo, v21
	v_cmp_gt_i64_e32 vcc, 0, v[4:5]
	v_not_b32_e32 v5, v5
	v_ashrrev_i32_e32 v5, 31, v5
	v_and_b32_e32 v21, exec_lo, v21
	v_xor_b32_e32 v102, vcc_hi, v5
	v_xor_b32_e32 v5, vcc_lo, v5
	v_and_b32_e32 v21, v21, v5
	v_lshlrev_b32_e32 v5, 29, v20
	v_cmp_gt_i64_e32 vcc, 0, v[4:5]
	v_not_b32_e32 v5, v5
	v_ashrrev_i32_e32 v5, 31, v5
	v_and_b32_e32 v100, v100, v102
	v_xor_b32_e32 v102, vcc_hi, v5
	v_xor_b32_e32 v5, vcc_lo, v5
	v_and_b32_e32 v21, v21, v5
	v_lshlrev_b32_e32 v5, 28, v20
	v_cmp_gt_i64_e32 vcc, 0, v[4:5]
	v_not_b32_e32 v5, v5
	v_ashrrev_i32_e32 v5, 31, v5
	v_and_b32_e32 v100, v100, v102
	;; [unrolled: 8-line block ×5, first 2 shown]
	v_xor_b32_e32 v102, vcc_hi, v5
	v_xor_b32_e32 v5, vcc_lo, v5
	v_and_b32_e32 v100, v100, v102
	v_and_b32_e32 v102, v21, v5
	v_lshlrev_b32_e32 v5, 24, v20
	v_cmp_gt_i64_e32 vcc, 0, v[4:5]
	v_not_b32_e32 v5, v5
	v_ashrrev_i32_e32 v5, 31, v5
	v_xor_b32_e32 v20, vcc_hi, v5
	v_xor_b32_e32 v5, vcc_lo, v5
	v_and_b32_e32 v21, v100, v20
	v_and_b32_e32 v20, v102, v5
	v_mbcnt_lo_u32_b32 v5, v20, 0
	v_mbcnt_hi_u32_b32 v100, v21, v5
	v_cmp_eq_u32_e32 vcc, 0, v100
	v_cmp_ne_u64_e64 s[36:37], 0, v[20:21]
	s_and_b64 s[38:39], s[36:37], vcc
	; wave barrier
	s_and_saveexec_b64 s[36:37], s[38:39]
	s_cbranch_execz .LBB1976_598
; %bb.597:                              ;   in Loop: Header=BB1976_574 Depth=2
	v_bcnt_u32_b32 v5, v20, 0
	v_bcnt_u32_b32 v5, v21, v5
	s_waitcnt lgkmcnt(0)
	v_add_u32_e32 v5, v98, v5
	ds_write_b32 v99, v5
.LBB1976_598:                           ;   in Loop: Header=BB1976_574 Depth=2
	s_or_b64 exec, exec, s[36:37]
	s_waitcnt vmcnt(4)
	v_cmp_gt_i16_e32 vcc, 0, v101
	v_cndmask_b32_e64 v5, v66, 0, vcc
	v_xor_b32_e32 v101, v5, v101
	v_cmp_ne_u16_e32 vcc, s68, v101
	v_cndmask_b32_e32 v5, v66, v101, vcc
	v_lshrrev_b32_sdwa v5, s69, v5 dst_sel:DWORD dst_unused:UNUSED_PAD src0_sel:DWORD src1_sel:WORD_0
	v_and_b32_e32 v20, s78, v5
	v_mul_u32_u24_e32 v5, 5, v20
	v_add_lshl_u32 v5, v5, v92, 2
	; wave barrier
	v_add_u32_e32 v103, 0x410, v5
	ds_read_b32 v102, v5 offset:1040
	v_and_b32_e32 v5, 1, v20
	v_add_co_u32_e32 v21, vcc, -1, v5
	v_addc_co_u32_e64 v105, s[36:37], 0, -1, vcc
	v_cmp_ne_u32_e32 vcc, 0, v5
	v_xor_b32_e32 v5, vcc_hi, v105
	v_and_b32_e32 v105, exec_hi, v5
	v_lshlrev_b32_e32 v5, 30, v20
	v_xor_b32_e32 v21, vcc_lo, v21
	v_cmp_gt_i64_e32 vcc, 0, v[4:5]
	v_not_b32_e32 v5, v5
	v_ashrrev_i32_e32 v5, 31, v5
	v_and_b32_e32 v21, exec_lo, v21
	v_xor_b32_e32 v107, vcc_hi, v5
	v_xor_b32_e32 v5, vcc_lo, v5
	v_and_b32_e32 v21, v21, v5
	v_lshlrev_b32_e32 v5, 29, v20
	v_cmp_gt_i64_e32 vcc, 0, v[4:5]
	v_not_b32_e32 v5, v5
	v_ashrrev_i32_e32 v5, 31, v5
	v_and_b32_e32 v105, v105, v107
	v_xor_b32_e32 v107, vcc_hi, v5
	v_xor_b32_e32 v5, vcc_lo, v5
	v_and_b32_e32 v21, v21, v5
	v_lshlrev_b32_e32 v5, 28, v20
	v_cmp_gt_i64_e32 vcc, 0, v[4:5]
	v_not_b32_e32 v5, v5
	v_ashrrev_i32_e32 v5, 31, v5
	v_and_b32_e32 v105, v105, v107
	;; [unrolled: 8-line block ×5, first 2 shown]
	v_xor_b32_e32 v107, vcc_hi, v5
	v_xor_b32_e32 v5, vcc_lo, v5
	v_and_b32_e32 v105, v105, v107
	v_and_b32_e32 v107, v21, v5
	v_lshlrev_b32_e32 v5, 24, v20
	v_cmp_gt_i64_e32 vcc, 0, v[4:5]
	v_not_b32_e32 v5, v5
	v_ashrrev_i32_e32 v5, 31, v5
	v_xor_b32_e32 v20, vcc_hi, v5
	v_xor_b32_e32 v5, vcc_lo, v5
	v_and_b32_e32 v21, v105, v20
	v_and_b32_e32 v20, v107, v5
	v_mbcnt_lo_u32_b32 v5, v20, 0
	v_mbcnt_hi_u32_b32 v105, v21, v5
	v_cmp_eq_u32_e32 vcc, 0, v105
	v_cmp_ne_u64_e64 s[36:37], 0, v[20:21]
	s_and_b64 s[38:39], s[36:37], vcc
	; wave barrier
	s_and_saveexec_b64 s[36:37], s[38:39]
	s_cbranch_execz .LBB1976_600
; %bb.599:                              ;   in Loop: Header=BB1976_574 Depth=2
	v_bcnt_u32_b32 v5, v20, 0
	v_bcnt_u32_b32 v5, v21, v5
	s_waitcnt lgkmcnt(0)
	v_add_u32_e32 v5, v102, v5
	ds_write_b32 v103, v5
.LBB1976_600:                           ;   in Loop: Header=BB1976_574 Depth=2
	s_or_b64 exec, exec, s[36:37]
	s_waitcnt vmcnt(3)
	v_cmp_gt_i16_e32 vcc, 0, v106
	v_cndmask_b32_e64 v5, v66, 0, vcc
	v_xor_b32_e32 v106, v5, v106
	v_cmp_ne_u16_e32 vcc, s68, v106
	v_cndmask_b32_e32 v5, v66, v106, vcc
	v_lshrrev_b32_sdwa v5, s69, v5 dst_sel:DWORD dst_unused:UNUSED_PAD src0_sel:DWORD src1_sel:WORD_0
	v_and_b32_e32 v20, s78, v5
	v_mul_u32_u24_e32 v5, 5, v20
	v_add_lshl_u32 v5, v5, v92, 2
	; wave barrier
	v_add_u32_e32 v108, 0x410, v5
	ds_read_b32 v107, v5 offset:1040
	v_and_b32_e32 v5, 1, v20
	v_add_co_u32_e32 v21, vcc, -1, v5
	v_addc_co_u32_e64 v110, s[36:37], 0, -1, vcc
	v_cmp_ne_u32_e32 vcc, 0, v5
	v_xor_b32_e32 v5, vcc_hi, v110
	v_and_b32_e32 v110, exec_hi, v5
	v_lshlrev_b32_e32 v5, 30, v20
	v_xor_b32_e32 v21, vcc_lo, v21
	v_cmp_gt_i64_e32 vcc, 0, v[4:5]
	v_not_b32_e32 v5, v5
	v_ashrrev_i32_e32 v5, 31, v5
	v_and_b32_e32 v21, exec_lo, v21
	v_xor_b32_e32 v111, vcc_hi, v5
	v_xor_b32_e32 v5, vcc_lo, v5
	v_and_b32_e32 v21, v21, v5
	v_lshlrev_b32_e32 v5, 29, v20
	v_cmp_gt_i64_e32 vcc, 0, v[4:5]
	v_not_b32_e32 v5, v5
	v_ashrrev_i32_e32 v5, 31, v5
	v_and_b32_e32 v110, v110, v111
	v_xor_b32_e32 v111, vcc_hi, v5
	v_xor_b32_e32 v5, vcc_lo, v5
	v_and_b32_e32 v21, v21, v5
	v_lshlrev_b32_e32 v5, 28, v20
	v_cmp_gt_i64_e32 vcc, 0, v[4:5]
	v_not_b32_e32 v5, v5
	v_ashrrev_i32_e32 v5, 31, v5
	v_and_b32_e32 v110, v110, v111
	;; [unrolled: 8-line block ×5, first 2 shown]
	v_xor_b32_e32 v111, vcc_hi, v5
	v_xor_b32_e32 v5, vcc_lo, v5
	v_and_b32_e32 v110, v110, v111
	v_and_b32_e32 v111, v21, v5
	v_lshlrev_b32_e32 v5, 24, v20
	v_cmp_gt_i64_e32 vcc, 0, v[4:5]
	v_not_b32_e32 v5, v5
	v_ashrrev_i32_e32 v5, 31, v5
	v_xor_b32_e32 v20, vcc_hi, v5
	v_xor_b32_e32 v5, vcc_lo, v5
	v_and_b32_e32 v21, v110, v20
	v_and_b32_e32 v20, v111, v5
	v_mbcnt_lo_u32_b32 v5, v20, 0
	v_mbcnt_hi_u32_b32 v110, v21, v5
	v_cmp_eq_u32_e32 vcc, 0, v110
	v_cmp_ne_u64_e64 s[36:37], 0, v[20:21]
	s_and_b64 s[38:39], s[36:37], vcc
	; wave barrier
	s_and_saveexec_b64 s[36:37], s[38:39]
	s_cbranch_execz .LBB1976_602
; %bb.601:                              ;   in Loop: Header=BB1976_574 Depth=2
	v_bcnt_u32_b32 v5, v20, 0
	v_bcnt_u32_b32 v5, v21, v5
	s_waitcnt lgkmcnt(0)
	v_add_u32_e32 v5, v107, v5
	ds_write_b32 v108, v5
.LBB1976_602:                           ;   in Loop: Header=BB1976_574 Depth=2
	s_or_b64 exec, exec, s[36:37]
	s_waitcnt vmcnt(2)
	v_cmp_gt_i16_e32 vcc, 0, v109
	v_cndmask_b32_e64 v5, v66, 0, vcc
	v_xor_b32_e32 v109, v5, v109
	v_cmp_ne_u16_e32 vcc, s68, v109
	v_cndmask_b32_e32 v5, v66, v109, vcc
	v_lshrrev_b32_sdwa v5, s69, v5 dst_sel:DWORD dst_unused:UNUSED_PAD src0_sel:DWORD src1_sel:WORD_0
	v_and_b32_e32 v20, s78, v5
	v_mul_u32_u24_e32 v5, 5, v20
	v_add_lshl_u32 v5, v5, v92, 2
	; wave barrier
	v_add_u32_e32 v112, 0x410, v5
	ds_read_b32 v111, v5 offset:1040
	v_and_b32_e32 v5, 1, v20
	v_add_co_u32_e32 v21, vcc, -1, v5
	v_addc_co_u32_e64 v113, s[36:37], 0, -1, vcc
	v_cmp_ne_u32_e32 vcc, 0, v5
	v_xor_b32_e32 v5, vcc_hi, v113
	v_and_b32_e32 v113, exec_hi, v5
	v_lshlrev_b32_e32 v5, 30, v20
	v_xor_b32_e32 v21, vcc_lo, v21
	v_cmp_gt_i64_e32 vcc, 0, v[4:5]
	v_not_b32_e32 v5, v5
	v_ashrrev_i32_e32 v5, 31, v5
	v_and_b32_e32 v21, exec_lo, v21
	v_xor_b32_e32 v114, vcc_hi, v5
	v_xor_b32_e32 v5, vcc_lo, v5
	v_and_b32_e32 v21, v21, v5
	v_lshlrev_b32_e32 v5, 29, v20
	v_cmp_gt_i64_e32 vcc, 0, v[4:5]
	v_not_b32_e32 v5, v5
	v_ashrrev_i32_e32 v5, 31, v5
	v_and_b32_e32 v113, v113, v114
	v_xor_b32_e32 v114, vcc_hi, v5
	v_xor_b32_e32 v5, vcc_lo, v5
	v_and_b32_e32 v21, v21, v5
	v_lshlrev_b32_e32 v5, 28, v20
	v_cmp_gt_i64_e32 vcc, 0, v[4:5]
	v_not_b32_e32 v5, v5
	v_ashrrev_i32_e32 v5, 31, v5
	v_and_b32_e32 v113, v113, v114
	;; [unrolled: 8-line block ×5, first 2 shown]
	v_xor_b32_e32 v114, vcc_hi, v5
	v_xor_b32_e32 v5, vcc_lo, v5
	v_and_b32_e32 v113, v113, v114
	v_and_b32_e32 v114, v21, v5
	v_lshlrev_b32_e32 v5, 24, v20
	v_cmp_gt_i64_e32 vcc, 0, v[4:5]
	v_not_b32_e32 v5, v5
	v_ashrrev_i32_e32 v5, 31, v5
	v_xor_b32_e32 v20, vcc_hi, v5
	v_xor_b32_e32 v5, vcc_lo, v5
	v_and_b32_e32 v21, v113, v20
	v_and_b32_e32 v20, v114, v5
	v_mbcnt_lo_u32_b32 v5, v20, 0
	v_mbcnt_hi_u32_b32 v113, v21, v5
	v_cmp_eq_u32_e32 vcc, 0, v113
	v_cmp_ne_u64_e64 s[36:37], 0, v[20:21]
	s_and_b64 s[38:39], s[36:37], vcc
	; wave barrier
	s_and_saveexec_b64 s[36:37], s[38:39]
	s_cbranch_execz .LBB1976_604
; %bb.603:                              ;   in Loop: Header=BB1976_574 Depth=2
	v_bcnt_u32_b32 v5, v20, 0
	v_bcnt_u32_b32 v5, v21, v5
	s_waitcnt lgkmcnt(0)
	v_add_u32_e32 v5, v111, v5
	ds_write_b32 v112, v5
.LBB1976_604:                           ;   in Loop: Header=BB1976_574 Depth=2
	s_or_b64 exec, exec, s[36:37]
	s_waitcnt vmcnt(1)
	v_cmp_gt_i16_e32 vcc, 0, v104
	v_cndmask_b32_e64 v5, v66, 0, vcc
	v_xor_b32_e32 v104, v5, v104
	v_cmp_ne_u16_e32 vcc, s68, v104
	v_cndmask_b32_e32 v5, v66, v104, vcc
	v_lshrrev_b32_sdwa v5, s69, v5 dst_sel:DWORD dst_unused:UNUSED_PAD src0_sel:DWORD src1_sel:WORD_0
	v_and_b32_e32 v20, s78, v5
	v_mul_u32_u24_e32 v5, 5, v20
	v_add_lshl_u32 v5, v5, v92, 2
	; wave barrier
	v_add_u32_e32 v115, 0x410, v5
	ds_read_b32 v114, v5 offset:1040
	v_and_b32_e32 v5, 1, v20
	v_add_co_u32_e32 v21, vcc, -1, v5
	v_addc_co_u32_e64 v116, s[36:37], 0, -1, vcc
	v_cmp_ne_u32_e32 vcc, 0, v5
	v_xor_b32_e32 v5, vcc_hi, v116
	v_and_b32_e32 v116, exec_hi, v5
	v_lshlrev_b32_e32 v5, 30, v20
	v_xor_b32_e32 v21, vcc_lo, v21
	v_cmp_gt_i64_e32 vcc, 0, v[4:5]
	v_not_b32_e32 v5, v5
	v_ashrrev_i32_e32 v5, 31, v5
	v_and_b32_e32 v21, exec_lo, v21
	v_xor_b32_e32 v117, vcc_hi, v5
	v_xor_b32_e32 v5, vcc_lo, v5
	v_and_b32_e32 v21, v21, v5
	v_lshlrev_b32_e32 v5, 29, v20
	v_cmp_gt_i64_e32 vcc, 0, v[4:5]
	v_not_b32_e32 v5, v5
	v_ashrrev_i32_e32 v5, 31, v5
	v_and_b32_e32 v116, v116, v117
	v_xor_b32_e32 v117, vcc_hi, v5
	v_xor_b32_e32 v5, vcc_lo, v5
	v_and_b32_e32 v21, v21, v5
	v_lshlrev_b32_e32 v5, 28, v20
	v_cmp_gt_i64_e32 vcc, 0, v[4:5]
	v_not_b32_e32 v5, v5
	v_ashrrev_i32_e32 v5, 31, v5
	v_and_b32_e32 v116, v116, v117
	;; [unrolled: 8-line block ×5, first 2 shown]
	v_xor_b32_e32 v117, vcc_hi, v5
	v_xor_b32_e32 v5, vcc_lo, v5
	v_and_b32_e32 v116, v116, v117
	v_and_b32_e32 v117, v21, v5
	v_lshlrev_b32_e32 v5, 24, v20
	v_cmp_gt_i64_e32 vcc, 0, v[4:5]
	v_not_b32_e32 v5, v5
	v_ashrrev_i32_e32 v5, 31, v5
	v_xor_b32_e32 v20, vcc_hi, v5
	v_xor_b32_e32 v5, vcc_lo, v5
	v_and_b32_e32 v21, v116, v20
	v_and_b32_e32 v20, v117, v5
	v_mbcnt_lo_u32_b32 v5, v20, 0
	v_mbcnt_hi_u32_b32 v116, v21, v5
	v_cmp_eq_u32_e32 vcc, 0, v116
	v_cmp_ne_u64_e64 s[36:37], 0, v[20:21]
	s_and_b64 s[38:39], s[36:37], vcc
	; wave barrier
	s_and_saveexec_b64 s[36:37], s[38:39]
	s_cbranch_execz .LBB1976_606
; %bb.605:                              ;   in Loop: Header=BB1976_574 Depth=2
	v_bcnt_u32_b32 v5, v20, 0
	v_bcnt_u32_b32 v5, v21, v5
	s_waitcnt lgkmcnt(0)
	v_add_u32_e32 v5, v114, v5
	ds_write_b32 v115, v5
.LBB1976_606:                           ;   in Loop: Header=BB1976_574 Depth=2
	s_or_b64 exec, exec, s[36:37]
	s_waitcnt vmcnt(0)
	v_cmp_gt_i16_e32 vcc, 0, v22
	v_cndmask_b32_e64 v5, v66, 0, vcc
	v_xor_b32_e32 v117, v5, v22
	v_cmp_ne_u16_e32 vcc, s68, v117
	v_cndmask_b32_e32 v5, v66, v117, vcc
	v_lshrrev_b32_sdwa v5, s69, v5 dst_sel:DWORD dst_unused:UNUSED_PAD src0_sel:DWORD src1_sel:WORD_0
	v_and_b32_e32 v20, s78, v5
	v_mul_u32_u24_e32 v5, 5, v20
	v_add_lshl_u32 v5, v5, v92, 2
	; wave barrier
	v_add_u32_e32 v119, 0x410, v5
	ds_read_b32 v118, v5 offset:1040
	v_and_b32_e32 v5, 1, v20
	v_add_co_u32_e32 v21, vcc, -1, v5
	v_addc_co_u32_e64 v22, s[36:37], 0, -1, vcc
	v_cmp_ne_u32_e32 vcc, 0, v5
	v_xor_b32_e32 v5, vcc_hi, v22
	v_and_b32_e32 v22, exec_hi, v5
	v_lshlrev_b32_e32 v5, 30, v20
	v_xor_b32_e32 v21, vcc_lo, v21
	v_cmp_gt_i64_e32 vcc, 0, v[4:5]
	v_not_b32_e32 v5, v5
	v_ashrrev_i32_e32 v5, 31, v5
	v_and_b32_e32 v21, exec_lo, v21
	v_xor_b32_e32 v120, vcc_hi, v5
	v_xor_b32_e32 v5, vcc_lo, v5
	v_and_b32_e32 v21, v21, v5
	v_lshlrev_b32_e32 v5, 29, v20
	v_cmp_gt_i64_e32 vcc, 0, v[4:5]
	v_not_b32_e32 v5, v5
	v_ashrrev_i32_e32 v5, 31, v5
	v_and_b32_e32 v22, v22, v120
	v_xor_b32_e32 v120, vcc_hi, v5
	v_xor_b32_e32 v5, vcc_lo, v5
	v_and_b32_e32 v21, v21, v5
	v_lshlrev_b32_e32 v5, 28, v20
	v_cmp_gt_i64_e32 vcc, 0, v[4:5]
	v_not_b32_e32 v5, v5
	v_ashrrev_i32_e32 v5, 31, v5
	v_and_b32_e32 v22, v22, v120
	;; [unrolled: 8-line block ×5, first 2 shown]
	v_xor_b32_e32 v120, vcc_hi, v5
	v_xor_b32_e32 v5, vcc_lo, v5
	v_and_b32_e32 v22, v22, v120
	v_and_b32_e32 v120, v21, v5
	v_lshlrev_b32_e32 v5, 24, v20
	v_cmp_gt_i64_e32 vcc, 0, v[4:5]
	v_not_b32_e32 v5, v5
	v_ashrrev_i32_e32 v5, 31, v5
	v_xor_b32_e32 v20, vcc_hi, v5
	v_xor_b32_e32 v5, vcc_lo, v5
	v_and_b32_e32 v21, v22, v20
	v_and_b32_e32 v20, v120, v5
	v_mbcnt_lo_u32_b32 v5, v20, 0
	v_mbcnt_hi_u32_b32 v120, v21, v5
	v_cmp_eq_u32_e32 vcc, 0, v120
	v_cmp_ne_u64_e64 s[36:37], 0, v[20:21]
	s_and_b64 s[38:39], s[36:37], vcc
	; wave barrier
	s_and_saveexec_b64 s[36:37], s[38:39]
	s_cbranch_execz .LBB1976_608
; %bb.607:                              ;   in Loop: Header=BB1976_574 Depth=2
	v_bcnt_u32_b32 v5, v20, 0
	v_bcnt_u32_b32 v5, v21, v5
	s_waitcnt lgkmcnt(0)
	v_add_u32_e32 v5, v118, v5
	ds_write_b32 v119, v5
.LBB1976_608:                           ;   in Loop: Header=BB1976_574 Depth=2
	s_or_b64 exec, exec, s[36:37]
	v_cmp_gt_i16_e32 vcc, 0, v23
	v_cndmask_b32_e64 v5, v66, 0, vcc
	v_xor_b32_e32 v121, v5, v23
	v_cmp_ne_u16_e32 vcc, s68, v121
	v_cndmask_b32_e32 v5, v66, v121, vcc
	v_lshrrev_b32_sdwa v5, s69, v5 dst_sel:DWORD dst_unused:UNUSED_PAD src0_sel:DWORD src1_sel:WORD_0
	v_and_b32_e32 v20, s78, v5
	v_mul_u32_u24_e32 v5, 5, v20
	v_add_lshl_u32 v5, v5, v92, 2
	; wave barrier
	v_add_u32_e32 v123, 0x410, v5
	ds_read_b32 v122, v5 offset:1040
	v_and_b32_e32 v5, 1, v20
	v_add_co_u32_e32 v21, vcc, -1, v5
	v_addc_co_u32_e64 v22, s[36:37], 0, -1, vcc
	v_cmp_ne_u32_e32 vcc, 0, v5
	v_xor_b32_e32 v5, vcc_hi, v22
	v_and_b32_e32 v22, exec_hi, v5
	v_lshlrev_b32_e32 v5, 30, v20
	v_xor_b32_e32 v21, vcc_lo, v21
	v_cmp_gt_i64_e32 vcc, 0, v[4:5]
	v_not_b32_e32 v5, v5
	v_ashrrev_i32_e32 v5, 31, v5
	v_and_b32_e32 v21, exec_lo, v21
	v_xor_b32_e32 v23, vcc_hi, v5
	v_xor_b32_e32 v5, vcc_lo, v5
	v_and_b32_e32 v21, v21, v5
	v_lshlrev_b32_e32 v5, 29, v20
	v_cmp_gt_i64_e32 vcc, 0, v[4:5]
	v_not_b32_e32 v5, v5
	v_ashrrev_i32_e32 v5, 31, v5
	v_and_b32_e32 v22, v22, v23
	v_xor_b32_e32 v23, vcc_hi, v5
	v_xor_b32_e32 v5, vcc_lo, v5
	v_and_b32_e32 v21, v21, v5
	v_lshlrev_b32_e32 v5, 28, v20
	v_cmp_gt_i64_e32 vcc, 0, v[4:5]
	v_not_b32_e32 v5, v5
	v_ashrrev_i32_e32 v5, 31, v5
	v_and_b32_e32 v22, v22, v23
	;; [unrolled: 8-line block ×5, first 2 shown]
	v_xor_b32_e32 v23, vcc_hi, v5
	v_xor_b32_e32 v5, vcc_lo, v5
	v_and_b32_e32 v22, v22, v23
	v_and_b32_e32 v23, v21, v5
	v_lshlrev_b32_e32 v5, 24, v20
	v_cmp_gt_i64_e32 vcc, 0, v[4:5]
	v_not_b32_e32 v5, v5
	v_ashrrev_i32_e32 v5, 31, v5
	v_xor_b32_e32 v20, vcc_hi, v5
	v_xor_b32_e32 v5, vcc_lo, v5
	v_and_b32_e32 v21, v22, v20
	v_and_b32_e32 v20, v23, v5
	v_mbcnt_lo_u32_b32 v5, v20, 0
	v_mbcnt_hi_u32_b32 v124, v21, v5
	v_cmp_eq_u32_e32 vcc, 0, v124
	v_cmp_ne_u64_e64 s[36:37], 0, v[20:21]
	s_and_b64 s[38:39], s[36:37], vcc
	; wave barrier
	s_and_saveexec_b64 s[36:37], s[38:39]
	s_cbranch_execz .LBB1976_610
; %bb.609:                              ;   in Loop: Header=BB1976_574 Depth=2
	v_bcnt_u32_b32 v5, v20, 0
	v_bcnt_u32_b32 v5, v21, v5
	s_waitcnt lgkmcnt(0)
	v_add_u32_e32 v5, v122, v5
	ds_write_b32 v123, v5
.LBB1976_610:                           ;   in Loop: Header=BB1976_574 Depth=2
	s_or_b64 exec, exec, s[36:37]
	; wave barrier
	s_waitcnt lgkmcnt(0)
	s_barrier
	ds_read_b32 v5, v41 offset:1040
	ds_read2_b32 v[22:23], v43 offset0:1 offset1:2
	ds_read2_b32 v[20:21], v43 offset0:3 offset1:4
	s_waitcnt lgkmcnt(1)
	v_add3_u32 v125, v22, v5, v23
	s_waitcnt lgkmcnt(0)
	v_add3_u32 v21, v125, v20, v21
	s_nop 1
	v_mov_b32_dpp v125, v21 row_shr:1 row_mask:0xf bank_mask:0xf
	v_cndmask_b32_e64 v125, v125, 0, s[16:17]
	v_add_u32_e32 v21, v125, v21
	s_nop 1
	v_mov_b32_dpp v125, v21 row_shr:2 row_mask:0xf bank_mask:0xf
	v_cndmask_b32_e64 v125, 0, v125, s[18:19]
	v_add_u32_e32 v21, v21, v125
	s_nop 1
	v_mov_b32_dpp v125, v21 row_shr:4 row_mask:0xf bank_mask:0xf
	v_cndmask_b32_e64 v125, 0, v125, s[20:21]
	v_add_u32_e32 v21, v21, v125
	s_nop 1
	v_mov_b32_dpp v125, v21 row_shr:8 row_mask:0xf bank_mask:0xf
	v_cndmask_b32_e64 v125, 0, v125, s[22:23]
	v_add_u32_e32 v21, v21, v125
	s_nop 1
	v_mov_b32_dpp v125, v21 row_bcast:15 row_mask:0xf bank_mask:0xf
	v_cndmask_b32_e64 v125, v125, 0, s[24:25]
	v_add_u32_e32 v21, v21, v125
	s_nop 1
	v_mov_b32_dpp v125, v21 row_bcast:31 row_mask:0xf bank_mask:0xf
	v_cndmask_b32_e64 v125, 0, v125, s[26:27]
	v_add_u32_e32 v21, v21, v125
	s_and_saveexec_b64 s[36:37], s[6:7]
	s_cbranch_execz .LBB1976_612
; %bb.611:                              ;   in Loop: Header=BB1976_574 Depth=2
	ds_write_b32 v34, v21 offset:1024
.LBB1976_612:                           ;   in Loop: Header=BB1976_574 Depth=2
	s_or_b64 exec, exec, s[36:37]
	s_waitcnt lgkmcnt(0)
	s_barrier
	s_and_saveexec_b64 s[36:37], s[8:9]
	s_cbranch_execz .LBB1976_614
; %bb.613:                              ;   in Loop: Header=BB1976_574 Depth=2
	ds_read_b32 v125, v44 offset:1024
	s_waitcnt lgkmcnt(0)
	s_nop 0
	v_mov_b32_dpp v126, v125 row_shr:1 row_mask:0xf bank_mask:0xf
	v_cndmask_b32_e64 v126, v126, 0, s[30:31]
	v_add_u32_e32 v125, v126, v125
	s_nop 1
	v_mov_b32_dpp v126, v125 row_shr:2 row_mask:0xf bank_mask:0xf
	v_cndmask_b32_e64 v126, 0, v126, s[34:35]
	v_add_u32_e32 v125, v125, v126
	ds_write_b32 v44, v125 offset:1024
.LBB1976_614:                           ;   in Loop: Header=BB1976_574 Depth=2
	s_or_b64 exec, exec, s[36:37]
	v_mov_b32_e32 v125, 0
	s_waitcnt lgkmcnt(0)
	s_barrier
	s_and_saveexec_b64 s[36:37], s[10:11]
	s_cbranch_execz .LBB1976_616
; %bb.615:                              ;   in Loop: Header=BB1976_574 Depth=2
	ds_read_b32 v125, v34 offset:1020
.LBB1976_616:                           ;   in Loop: Header=BB1976_574 Depth=2
	s_or_b64 exec, exec, s[36:37]
	s_waitcnt lgkmcnt(0)
	v_add_u32_e32 v21, v125, v21
	ds_bpermute_b32 v21, v69, v21
	s_waitcnt lgkmcnt(0)
	v_cndmask_b32_e64 v21, v21, v125, s[28:29]
	v_cndmask_b32_e64 v21, v21, 0, s[12:13]
	v_add_u32_e32 v5, v21, v5
	ds_write_b32 v41, v21 offset:1040
	v_add_u32_e32 v21, v5, v22
	v_add_u32_e32 v22, v21, v23
	ds_write2_b32 v43, v5, v21 offset0:1 offset1:2
	v_add_u32_e32 v5, v22, v20
	ds_write2_b32 v43, v22, v5 offset0:3 offset1:4
	s_waitcnt lgkmcnt(0)
	s_barrier
	ds_read_b32 v20, v99
	ds_read_b32 v21, v103
	;; [unrolled: 1-line block ×8, first 2 shown]
	ds_read_b32 v99, v41 offset:1040
	v_mov_b32_e32 v5, 0x800
	s_and_saveexec_b64 s[36:37], s[14:15]
	s_cbranch_execz .LBB1976_618
; %bb.617:                              ;   in Loop: Header=BB1976_574 Depth=2
	ds_read_b32 v5, v41 offset:1060
.LBB1976_618:                           ;   in Loop: Header=BB1976_574 Depth=2
	s_or_b64 exec, exec, s[36:37]
	s_waitcnt lgkmcnt(0)
	s_barrier
	s_and_saveexec_b64 s[36:37], s[4:5]
	s_cbranch_execz .LBB1976_620
; %bb.619:                              ;   in Loop: Header=BB1976_574 Depth=2
	ds_read_b32 v103, v3
	s_waitcnt lgkmcnt(0)
	v_sub_u32_e32 v99, v103, v99
	ds_write_b32 v3, v99
.LBB1976_620:                           ;   in Loop: Header=BB1976_574 Depth=2
	s_or_b64 exec, exec, s[36:37]
	v_add_u32_e32 v103, v95, v96
	v_add3_u32 v100, v100, v98, v20
	v_lshlrev_b32_e32 v20, 1, v103
	v_add3_u32 v99, v105, v102, v21
	ds_write_b16 v20, v94 offset:1024
	v_lshlrev_b32_e32 v20, 1, v100
	v_add3_u32 v98, v110, v107, v22
	ds_write_b16 v20, v97 offset:1024
	;; [unrolled: 3-line block ×6, first 2 shown]
	v_lshlrev_b32_e32 v20, 1, v23
	ds_write_b16 v20, v117 offset:1024
	v_lshlrev_b32_e32 v20, 1, v22
	v_cmp_lt_u32_e32 vcc, v2, v93
	ds_write_b16 v20, v121 offset:1024
	s_waitcnt lgkmcnt(0)
	s_barrier
	s_and_saveexec_b64 s[38:39], vcc
	s_cbranch_execz .LBB1976_628
; %bb.621:                              ;   in Loop: Header=BB1976_574 Depth=2
	ds_read_u16 v20, v49 offset:1024
	v_mov_b32_e32 v21, v4
	v_mov_b32_e32 v97, s61
	s_waitcnt lgkmcnt(0)
	v_cmp_ne_u16_e64 s[36:37], s68, v20
	v_cndmask_b32_e64 v94, v66, v20, s[36:37]
	v_lshrrev_b32_sdwa v94, s69, v94 dst_sel:DWORD dst_unused:UNUSED_PAD src0_sel:DWORD src1_sel:WORD_0
	v_and_b32_e32 v94, s78, v94
	v_lshlrev_b32_e32 v94, 2, v94
	ds_read_b32 v94, v94
	v_cmp_gt_i16_e64 s[36:37], 0, v20
	v_cndmask_b32_e64 v101, v66, 0, s[36:37]
	v_xor_b32_e32 v101, v101, v20
	s_waitcnt lgkmcnt(0)
	v_add_u32_e32 v20, v94, v2
	v_lshlrev_b64 v[20:21], 1, v[20:21]
	v_add_co_u32_e64 v20, s[36:37], s60, v20
	v_addc_co_u32_e64 v21, s[36:37], v97, v21, s[36:37]
	global_store_short v[20:21], v101, off
	s_or_b64 exec, exec, s[38:39]
	v_cmp_lt_u32_e64 s[36:37], v24, v93
	s_and_saveexec_b64 s[40:41], s[36:37]
	s_cbranch_execnz .LBB1976_629
.LBB1976_622:                           ;   in Loop: Header=BB1976_574 Depth=2
	s_or_b64 exec, exec, s[40:41]
	v_cmp_lt_u32_e64 s[38:39], v25, v93
	s_and_saveexec_b64 s[42:43], s[38:39]
	s_cbranch_execz .LBB1976_630
.LBB1976_623:                           ;   in Loop: Header=BB1976_574 Depth=2
	ds_read_u16 v20, v50 offset:1024
	v_mov_b32_e32 v21, v4
	v_mov_b32_e32 v97, s61
	s_waitcnt lgkmcnt(0)
	v_cmp_ne_u16_e64 s[40:41], s68, v20
	v_cndmask_b32_e64 v94, v66, v20, s[40:41]
	v_lshrrev_b32_sdwa v94, s69, v94 dst_sel:DWORD dst_unused:UNUSED_PAD src0_sel:DWORD src1_sel:WORD_0
	v_and_b32_e32 v94, s78, v94
	v_lshlrev_b32_e32 v94, 2, v94
	ds_read_b32 v94, v94
	v_cmp_gt_i16_e64 s[40:41], 0, v20
	v_cndmask_b32_e64 v101, v66, 0, s[40:41]
	v_xor_b32_e32 v101, v101, v20
	s_waitcnt lgkmcnt(0)
	v_add_u32_e32 v20, v94, v25
	v_lshlrev_b64 v[20:21], 1, v[20:21]
	v_add_co_u32_e64 v20, s[40:41], s60, v20
	v_addc_co_u32_e64 v21, s[40:41], v97, v21, s[40:41]
	global_store_short v[20:21], v101, off
	s_or_b64 exec, exec, s[42:43]
	v_cmp_lt_u32_e64 s[40:41], v26, v93
	s_and_saveexec_b64 s[44:45], s[40:41]
	s_cbranch_execnz .LBB1976_631
.LBB1976_624:                           ;   in Loop: Header=BB1976_574 Depth=2
	s_or_b64 exec, exec, s[44:45]
	v_cmp_lt_u32_e64 s[42:43], v29, v93
	s_and_saveexec_b64 s[46:47], s[42:43]
	s_cbranch_execz .LBB1976_632
.LBB1976_625:                           ;   in Loop: Header=BB1976_574 Depth=2
	ds_read_u16 v20, v50 offset:2048
	v_mov_b32_e32 v21, v4
	v_mov_b32_e32 v97, s61
	s_waitcnt lgkmcnt(0)
	v_cmp_ne_u16_e64 s[44:45], s68, v20
	v_cndmask_b32_e64 v94, v66, v20, s[44:45]
	v_lshrrev_b32_sdwa v94, s69, v94 dst_sel:DWORD dst_unused:UNUSED_PAD src0_sel:DWORD src1_sel:WORD_0
	v_and_b32_e32 v94, s78, v94
	v_lshlrev_b32_e32 v94, 2, v94
	ds_read_b32 v94, v94
	v_cmp_gt_i16_e64 s[44:45], 0, v20
	v_cndmask_b32_e64 v101, v66, 0, s[44:45]
	v_xor_b32_e32 v101, v101, v20
	s_waitcnt lgkmcnt(0)
	v_add_u32_e32 v20, v94, v29
	v_lshlrev_b64 v[20:21], 1, v[20:21]
	v_add_co_u32_e64 v20, s[44:45], s60, v20
	v_addc_co_u32_e64 v21, s[44:45], v97, v21, s[44:45]
	global_store_short v[20:21], v101, off
	s_or_b64 exec, exec, s[46:47]
	v_cmp_lt_u32_e64 s[44:45], v30, v93
	s_and_saveexec_b64 s[48:49], s[44:45]
	s_cbranch_execnz .LBB1976_633
.LBB1976_626:                           ;   in Loop: Header=BB1976_574 Depth=2
	s_or_b64 exec, exec, s[48:49]
	v_cmp_lt_u32_e64 s[46:47], v31, v93
	s_and_saveexec_b64 s[52:53], s[46:47]
	s_cbranch_execz .LBB1976_634
.LBB1976_627:                           ;   in Loop: Header=BB1976_574 Depth=2
	ds_read_u16 v20, v50 offset:3072
	v_mov_b32_e32 v21, v4
	v_mov_b32_e32 v97, s61
	s_waitcnt lgkmcnt(0)
	v_cmp_ne_u16_e64 s[48:49], s68, v20
	v_cndmask_b32_e64 v94, v66, v20, s[48:49]
	v_lshrrev_b32_sdwa v94, s69, v94 dst_sel:DWORD dst_unused:UNUSED_PAD src0_sel:DWORD src1_sel:WORD_0
	v_and_b32_e32 v94, s78, v94
	v_lshlrev_b32_e32 v94, 2, v94
	ds_read_b32 v94, v94
	v_cmp_gt_i16_e64 s[48:49], 0, v20
	v_cndmask_b32_e64 v101, v66, 0, s[48:49]
	v_xor_b32_e32 v101, v101, v20
	s_waitcnt lgkmcnt(0)
	v_add_u32_e32 v20, v94, v31
	v_lshlrev_b64 v[20:21], 1, v[20:21]
	v_add_co_u32_e64 v20, s[48:49], s60, v20
	v_addc_co_u32_e64 v21, s[48:49], v97, v21, s[48:49]
	global_store_short v[20:21], v101, off
	s_or_b64 exec, exec, s[52:53]
	v_cmp_lt_u32_e64 s[48:49], v32, v93
	s_and_saveexec_b64 s[62:63], s[48:49]
	s_cbranch_execnz .LBB1976_635
	s_branch .LBB1976_636
.LBB1976_628:                           ;   in Loop: Header=BB1976_574 Depth=2
	s_or_b64 exec, exec, s[38:39]
	v_cmp_lt_u32_e64 s[36:37], v24, v93
	s_and_saveexec_b64 s[40:41], s[36:37]
	s_cbranch_execz .LBB1976_622
.LBB1976_629:                           ;   in Loop: Header=BB1976_574 Depth=2
	ds_read_u16 v20, v50 offset:512
	v_mov_b32_e32 v21, v4
	v_mov_b32_e32 v97, s61
	s_waitcnt lgkmcnt(0)
	v_cmp_ne_u16_e64 s[38:39], s68, v20
	v_cndmask_b32_e64 v94, v66, v20, s[38:39]
	v_lshrrev_b32_sdwa v94, s69, v94 dst_sel:DWORD dst_unused:UNUSED_PAD src0_sel:DWORD src1_sel:WORD_0
	v_and_b32_e32 v94, s78, v94
	v_lshlrev_b32_e32 v94, 2, v94
	ds_read_b32 v94, v94
	v_cmp_gt_i16_e64 s[38:39], 0, v20
	v_cndmask_b32_e64 v101, v66, 0, s[38:39]
	v_xor_b32_e32 v101, v101, v20
	s_waitcnt lgkmcnt(0)
	v_add_u32_e32 v20, v94, v24
	v_lshlrev_b64 v[20:21], 1, v[20:21]
	v_add_co_u32_e64 v20, s[38:39], s60, v20
	v_addc_co_u32_e64 v21, s[38:39], v97, v21, s[38:39]
	global_store_short v[20:21], v101, off
	s_or_b64 exec, exec, s[40:41]
	v_cmp_lt_u32_e64 s[38:39], v25, v93
	s_and_saveexec_b64 s[42:43], s[38:39]
	s_cbranch_execnz .LBB1976_623
.LBB1976_630:                           ;   in Loop: Header=BB1976_574 Depth=2
	s_or_b64 exec, exec, s[42:43]
	v_cmp_lt_u32_e64 s[40:41], v26, v93
	s_and_saveexec_b64 s[44:45], s[40:41]
	s_cbranch_execz .LBB1976_624
.LBB1976_631:                           ;   in Loop: Header=BB1976_574 Depth=2
	ds_read_u16 v20, v50 offset:1536
	v_mov_b32_e32 v21, v4
	v_mov_b32_e32 v97, s61
	s_waitcnt lgkmcnt(0)
	v_cmp_ne_u16_e64 s[42:43], s68, v20
	v_cndmask_b32_e64 v94, v66, v20, s[42:43]
	v_lshrrev_b32_sdwa v94, s69, v94 dst_sel:DWORD dst_unused:UNUSED_PAD src0_sel:DWORD src1_sel:WORD_0
	v_and_b32_e32 v94, s78, v94
	v_lshlrev_b32_e32 v94, 2, v94
	ds_read_b32 v94, v94
	v_cmp_gt_i16_e64 s[42:43], 0, v20
	v_cndmask_b32_e64 v101, v66, 0, s[42:43]
	v_xor_b32_e32 v101, v101, v20
	s_waitcnt lgkmcnt(0)
	v_add_u32_e32 v20, v94, v26
	v_lshlrev_b64 v[20:21], 1, v[20:21]
	v_add_co_u32_e64 v20, s[42:43], s60, v20
	v_addc_co_u32_e64 v21, s[42:43], v97, v21, s[42:43]
	global_store_short v[20:21], v101, off
	s_or_b64 exec, exec, s[44:45]
	v_cmp_lt_u32_e64 s[42:43], v29, v93
	s_and_saveexec_b64 s[46:47], s[42:43]
	s_cbranch_execnz .LBB1976_625
.LBB1976_632:                           ;   in Loop: Header=BB1976_574 Depth=2
	s_or_b64 exec, exec, s[46:47]
	v_cmp_lt_u32_e64 s[44:45], v30, v93
	s_and_saveexec_b64 s[48:49], s[44:45]
	s_cbranch_execz .LBB1976_626
.LBB1976_633:                           ;   in Loop: Header=BB1976_574 Depth=2
	ds_read_u16 v20, v50 offset:2560
	v_mov_b32_e32 v21, v4
	v_mov_b32_e32 v97, s61
	s_waitcnt lgkmcnt(0)
	v_cmp_ne_u16_e64 s[46:47], s68, v20
	v_cndmask_b32_e64 v94, v66, v20, s[46:47]
	v_lshrrev_b32_sdwa v94, s69, v94 dst_sel:DWORD dst_unused:UNUSED_PAD src0_sel:DWORD src1_sel:WORD_0
	v_and_b32_e32 v94, s78, v94
	v_lshlrev_b32_e32 v94, 2, v94
	ds_read_b32 v94, v94
	v_cmp_gt_i16_e64 s[46:47], 0, v20
	v_cndmask_b32_e64 v101, v66, 0, s[46:47]
	v_xor_b32_e32 v101, v101, v20
	s_waitcnt lgkmcnt(0)
	v_add_u32_e32 v20, v94, v30
	v_lshlrev_b64 v[20:21], 1, v[20:21]
	v_add_co_u32_e64 v20, s[46:47], s60, v20
	v_addc_co_u32_e64 v21, s[46:47], v97, v21, s[46:47]
	global_store_short v[20:21], v101, off
	s_or_b64 exec, exec, s[48:49]
	v_cmp_lt_u32_e64 s[46:47], v31, v93
	s_and_saveexec_b64 s[52:53], s[46:47]
	s_cbranch_execnz .LBB1976_627
.LBB1976_634:                           ;   in Loop: Header=BB1976_574 Depth=2
	s_or_b64 exec, exec, s[52:53]
	v_cmp_lt_u32_e64 s[48:49], v32, v93
	s_and_saveexec_b64 s[62:63], s[48:49]
	s_cbranch_execz .LBB1976_636
.LBB1976_635:                           ;   in Loop: Header=BB1976_574 Depth=2
	ds_read_u16 v20, v50 offset:3584
	v_mov_b32_e32 v21, v4
	v_mov_b32_e32 v97, s61
	s_waitcnt lgkmcnt(0)
	v_cmp_ne_u16_e64 s[52:53], s68, v20
	v_cndmask_b32_e64 v94, v66, v20, s[52:53]
	v_lshrrev_b32_sdwa v94, s69, v94 dst_sel:DWORD dst_unused:UNUSED_PAD src0_sel:DWORD src1_sel:WORD_0
	v_and_b32_e32 v94, s78, v94
	v_lshlrev_b32_e32 v94, 2, v94
	ds_read_b32 v94, v94
	v_cmp_gt_i16_e64 s[52:53], 0, v20
	v_cndmask_b32_e64 v101, v66, 0, s[52:53]
	v_xor_b32_e32 v101, v101, v20
	s_waitcnt lgkmcnt(0)
	v_add_u32_e32 v20, v94, v32
	v_lshlrev_b64 v[20:21], 1, v[20:21]
	v_add_co_u32_e64 v20, s[52:53], s60, v20
	v_addc_co_u32_e64 v21, s[52:53], v97, v21, s[52:53]
	global_store_short v[20:21], v101, off
.LBB1976_636:                           ;   in Loop: Header=BB1976_574 Depth=2
	s_or_b64 exec, exec, s[62:63]
	s_lshl_b64 s[52:53], s[72:73], 3
	v_mov_b32_e32 v21, s53
	v_add_co_u32_e64 v20, s[52:53], s52, v77
	v_addc_co_u32_e64 v21, s[52:53], v79, v21, s[52:53]
	v_cmp_lt_u32_e64 s[52:53], v74, v93
	s_and_saveexec_b64 s[62:63], s[52:53]
	s_xor_b64 s[52:53], exec, s[62:63]
	s_cbranch_execz .LBB1976_652
; %bb.637:                              ;   in Loop: Header=BB1976_574 Depth=2
	global_load_dwordx2 v[18:19], v[20:21], off
	s_or_b64 exec, exec, s[52:53]
	v_cmp_lt_u32_e64 s[52:53], v81, v93
	s_and_saveexec_b64 s[62:63], s[52:53]
	s_cbranch_execnz .LBB1976_653
.LBB1976_638:                           ;   in Loop: Header=BB1976_574 Depth=2
	s_or_b64 exec, exec, s[62:63]
	v_cmp_lt_u32_e64 s[52:53], v82, v93
	s_and_saveexec_b64 s[62:63], s[52:53]
	s_cbranch_execz .LBB1976_654
.LBB1976_639:                           ;   in Loop: Header=BB1976_574 Depth=2
	global_load_dwordx2 v[14:15], v[20:21], off offset:1024
	s_or_b64 exec, exec, s[62:63]
	v_cmp_lt_u32_e64 s[52:53], v83, v93
	s_and_saveexec_b64 s[62:63], s[52:53]
	s_cbranch_execnz .LBB1976_655
.LBB1976_640:                           ;   in Loop: Header=BB1976_574 Depth=2
	s_or_b64 exec, exec, s[62:63]
	v_cmp_lt_u32_e64 s[52:53], v84, v93
	s_and_saveexec_b64 s[62:63], s[52:53]
	s_cbranch_execz .LBB1976_656
.LBB1976_641:                           ;   in Loop: Header=BB1976_574 Depth=2
	global_load_dwordx2 v[10:11], v[20:21], off offset:2048
	s_or_b64 exec, exec, s[62:63]
	v_cmp_lt_u32_e64 s[52:53], v85, v93
	s_and_saveexec_b64 s[62:63], s[52:53]
	s_cbranch_execnz .LBB1976_657
.LBB1976_642:                           ;   in Loop: Header=BB1976_574 Depth=2
	s_or_b64 exec, exec, s[62:63]
	v_cmp_lt_u32_e64 s[52:53], v86, v93
	s_and_saveexec_b64 s[62:63], s[52:53]
	s_cbranch_execz .LBB1976_658
.LBB1976_643:                           ;   in Loop: Header=BB1976_574 Depth=2
	global_load_dwordx2 v[6:7], v[20:21], off offset:3072
	s_or_b64 exec, exec, s[62:63]
	v_cmp_lt_u32_e64 s[52:53], v87, v93
	s_and_saveexec_b64 s[62:63], s[52:53]
	s_cbranch_execnz .LBB1976_659
.LBB1976_644:                           ;   in Loop: Header=BB1976_574 Depth=2
	s_or_b64 exec, exec, s[62:63]
	s_and_saveexec_b64 s[62:63], vcc
	s_cbranch_execz .LBB1976_660
.LBB1976_645:                           ;   in Loop: Header=BB1976_574 Depth=2
	ds_read_u16 v20, v49 offset:1024
	s_waitcnt lgkmcnt(0)
	v_cmp_ne_u16_e64 s[52:53], s68, v20
	v_cndmask_b32_e64 v20, v66, v20, s[52:53]
	v_lshrrev_b32_sdwa v20, s69, v20 dst_sel:DWORD dst_unused:UNUSED_PAD src0_sel:DWORD src1_sel:WORD_0
	v_and_b32_e32 v80, s78, v20
	s_or_b64 exec, exec, s[62:63]
	s_and_saveexec_b64 s[62:63], s[36:37]
	s_cbranch_execnz .LBB1976_661
.LBB1976_646:                           ;   in Loop: Header=BB1976_574 Depth=2
	s_or_b64 exec, exec, s[62:63]
	s_and_saveexec_b64 s[62:63], s[38:39]
	s_cbranch_execz .LBB1976_662
.LBB1976_647:                           ;   in Loop: Header=BB1976_574 Depth=2
	ds_read_u16 v20, v50 offset:1024
	s_waitcnt lgkmcnt(0)
	v_cmp_ne_u16_e64 s[52:53], s68, v20
	v_cndmask_b32_e64 v20, v66, v20, s[52:53]
	v_lshrrev_b32_sdwa v20, s69, v20 dst_sel:DWORD dst_unused:UNUSED_PAD src0_sel:DWORD src1_sel:WORD_0
	v_and_b32_e32 v76, s78, v20
	s_or_b64 exec, exec, s[62:63]
	s_and_saveexec_b64 s[62:63], s[40:41]
	s_cbranch_execnz .LBB1976_663
.LBB1976_648:                           ;   in Loop: Header=BB1976_574 Depth=2
	s_or_b64 exec, exec, s[62:63]
	s_and_saveexec_b64 s[62:63], s[42:43]
	s_cbranch_execz .LBB1976_664
.LBB1976_649:                           ;   in Loop: Header=BB1976_574 Depth=2
	ds_read_u16 v20, v50 offset:2048
	s_waitcnt lgkmcnt(0)
	v_cmp_ne_u16_e64 s[52:53], s68, v20
	v_cndmask_b32_e64 v20, v66, v20, s[52:53]
	v_lshrrev_b32_sdwa v20, s69, v20 dst_sel:DWORD dst_unused:UNUSED_PAD src0_sel:DWORD src1_sel:WORD_0
	v_and_b32_e32 v73, s78, v20
	s_or_b64 exec, exec, s[62:63]
	s_and_saveexec_b64 s[62:63], s[44:45]
	s_cbranch_execnz .LBB1976_665
.LBB1976_650:                           ;   in Loop: Header=BB1976_574 Depth=2
	s_or_b64 exec, exec, s[62:63]
	s_and_saveexec_b64 s[62:63], s[46:47]
	s_cbranch_execz .LBB1976_666
.LBB1976_651:                           ;   in Loop: Header=BB1976_574 Depth=2
	ds_read_u16 v20, v50 offset:3072
	s_waitcnt lgkmcnt(0)
	v_cmp_ne_u16_e64 s[52:53], s68, v20
	v_cndmask_b32_e64 v20, v66, v20, s[52:53]
	v_lshrrev_b32_sdwa v20, s69, v20 dst_sel:DWORD dst_unused:UNUSED_PAD src0_sel:DWORD src1_sel:WORD_0
	v_and_b32_e32 v71, s78, v20
	s_or_b64 exec, exec, s[62:63]
	s_and_saveexec_b64 s[62:63], s[48:49]
	s_cbranch_execnz .LBB1976_667
	s_branch .LBB1976_668
.LBB1976_652:                           ;   in Loop: Header=BB1976_574 Depth=2
	s_or_b64 exec, exec, s[52:53]
	v_cmp_lt_u32_e64 s[52:53], v81, v93
	s_and_saveexec_b64 s[62:63], s[52:53]
	s_cbranch_execz .LBB1976_638
.LBB1976_653:                           ;   in Loop: Header=BB1976_574 Depth=2
	global_load_dwordx2 v[16:17], v[20:21], off offset:512
	s_or_b64 exec, exec, s[62:63]
	v_cmp_lt_u32_e64 s[52:53], v82, v93
	s_and_saveexec_b64 s[62:63], s[52:53]
	s_cbranch_execnz .LBB1976_639
.LBB1976_654:                           ;   in Loop: Header=BB1976_574 Depth=2
	s_or_b64 exec, exec, s[62:63]
	v_cmp_lt_u32_e64 s[52:53], v83, v93
	s_and_saveexec_b64 s[62:63], s[52:53]
	s_cbranch_execz .LBB1976_640
.LBB1976_655:                           ;   in Loop: Header=BB1976_574 Depth=2
	global_load_dwordx2 v[12:13], v[20:21], off offset:1536
	s_or_b64 exec, exec, s[62:63]
	v_cmp_lt_u32_e64 s[52:53], v84, v93
	s_and_saveexec_b64 s[62:63], s[52:53]
	s_cbranch_execnz .LBB1976_641
.LBB1976_656:                           ;   in Loop: Header=BB1976_574 Depth=2
	s_or_b64 exec, exec, s[62:63]
	v_cmp_lt_u32_e64 s[52:53], v85, v93
	s_and_saveexec_b64 s[62:63], s[52:53]
	s_cbranch_execz .LBB1976_642
.LBB1976_657:                           ;   in Loop: Header=BB1976_574 Depth=2
	global_load_dwordx2 v[8:9], v[20:21], off offset:2560
	s_or_b64 exec, exec, s[62:63]
	v_cmp_lt_u32_e64 s[52:53], v86, v93
	s_and_saveexec_b64 s[62:63], s[52:53]
	s_cbranch_execnz .LBB1976_643
.LBB1976_658:                           ;   in Loop: Header=BB1976_574 Depth=2
	s_or_b64 exec, exec, s[62:63]
	v_cmp_lt_u32_e64 s[52:53], v87, v93
	s_and_saveexec_b64 s[62:63], s[52:53]
	s_cbranch_execz .LBB1976_644
.LBB1976_659:                           ;   in Loop: Header=BB1976_574 Depth=2
	global_load_dwordx2 v[0:1], v[20:21], off offset:3584
	s_or_b64 exec, exec, s[62:63]
	s_and_saveexec_b64 s[62:63], vcc
	s_cbranch_execnz .LBB1976_645
.LBB1976_660:                           ;   in Loop: Header=BB1976_574 Depth=2
	s_or_b64 exec, exec, s[62:63]
	s_and_saveexec_b64 s[62:63], s[36:37]
	s_cbranch_execz .LBB1976_646
.LBB1976_661:                           ;   in Loop: Header=BB1976_574 Depth=2
	ds_read_u16 v20, v50 offset:512
	s_waitcnt lgkmcnt(0)
	v_cmp_ne_u16_e64 s[52:53], s68, v20
	v_cndmask_b32_e64 v20, v66, v20, s[52:53]
	v_lshrrev_b32_sdwa v20, s69, v20 dst_sel:DWORD dst_unused:UNUSED_PAD src0_sel:DWORD src1_sel:WORD_0
	v_and_b32_e32 v78, s78, v20
	s_or_b64 exec, exec, s[62:63]
	s_and_saveexec_b64 s[62:63], s[38:39]
	s_cbranch_execnz .LBB1976_647
.LBB1976_662:                           ;   in Loop: Header=BB1976_574 Depth=2
	s_or_b64 exec, exec, s[62:63]
	s_and_saveexec_b64 s[62:63], s[40:41]
	s_cbranch_execz .LBB1976_648
.LBB1976_663:                           ;   in Loop: Header=BB1976_574 Depth=2
	ds_read_u16 v20, v50 offset:1536
	s_waitcnt lgkmcnt(0)
	v_cmp_ne_u16_e64 s[52:53], s68, v20
	v_cndmask_b32_e64 v20, v66, v20, s[52:53]
	v_lshrrev_b32_sdwa v20, s69, v20 dst_sel:DWORD dst_unused:UNUSED_PAD src0_sel:DWORD src1_sel:WORD_0
	v_and_b32_e32 v75, s78, v20
	s_or_b64 exec, exec, s[62:63]
	s_and_saveexec_b64 s[62:63], s[42:43]
	s_cbranch_execnz .LBB1976_649
.LBB1976_664:                           ;   in Loop: Header=BB1976_574 Depth=2
	s_or_b64 exec, exec, s[62:63]
	s_and_saveexec_b64 s[62:63], s[44:45]
	s_cbranch_execz .LBB1976_650
.LBB1976_665:                           ;   in Loop: Header=BB1976_574 Depth=2
	ds_read_u16 v20, v50 offset:2560
	s_waitcnt lgkmcnt(0)
	v_cmp_ne_u16_e64 s[52:53], s68, v20
	v_cndmask_b32_e64 v20, v66, v20, s[52:53]
	v_lshrrev_b32_sdwa v20, s69, v20 dst_sel:DWORD dst_unused:UNUSED_PAD src0_sel:DWORD src1_sel:WORD_0
	v_and_b32_e32 v72, s78, v20
	s_or_b64 exec, exec, s[62:63]
	s_and_saveexec_b64 s[62:63], s[46:47]
	s_cbranch_execnz .LBB1976_651
.LBB1976_666:                           ;   in Loop: Header=BB1976_574 Depth=2
	s_or_b64 exec, exec, s[62:63]
	s_and_saveexec_b64 s[62:63], s[48:49]
	s_cbranch_execz .LBB1976_668
.LBB1976_667:                           ;   in Loop: Header=BB1976_574 Depth=2
	ds_read_u16 v20, v50 offset:3584
	s_waitcnt lgkmcnt(0)
	v_cmp_ne_u16_e64 s[52:53], s68, v20
	v_cndmask_b32_e64 v20, v66, v20, s[52:53]
	v_lshrrev_b32_sdwa v20, s69, v20 dst_sel:DWORD dst_unused:UNUSED_PAD src0_sel:DWORD src1_sel:WORD_0
	v_and_b32_e32 v70, s78, v20
.LBB1976_668:                           ;   in Loop: Header=BB1976_574 Depth=2
	s_or_b64 exec, exec, s[62:63]
	v_lshlrev_b32_e32 v20, 3, v103
	s_barrier
	s_waitcnt vmcnt(0)
	ds_write_b64 v20, v[18:19] offset:1024
	v_lshlrev_b32_e32 v20, 3, v100
	ds_write_b64 v20, v[16:17] offset:1024
	v_lshlrev_b32_e32 v20, 3, v99
	;; [unrolled: 2-line block ×7, first 2 shown]
	ds_write_b64 v20, v[0:1] offset:1024
	s_waitcnt lgkmcnt(0)
	s_barrier
	s_and_saveexec_b64 s[52:53], vcc
	s_cbranch_execz .LBB1976_676
; %bb.669:                              ;   in Loop: Header=BB1976_574 Depth=2
	v_lshlrev_b32_e32 v20, 2, v80
	ds_read_b32 v20, v20
	v_add_u32_e32 v22, v49, v51
	ds_read_b64 v[22:23], v22 offset:1024
	v_mov_b32_e32 v21, v4
	v_mov_b32_e32 v93, s67
	s_waitcnt lgkmcnt(1)
	v_add_u32_e32 v20, v20, v2
	v_lshlrev_b64 v[20:21], 3, v[20:21]
	v_add_co_u32_e32 v20, vcc, s66, v20
	v_addc_co_u32_e32 v21, vcc, v93, v21, vcc
	s_waitcnt lgkmcnt(0)
	global_store_dwordx2 v[20:21], v[22:23], off
	s_or_b64 exec, exec, s[52:53]
	v_add_u32_e32 v20, v50, v51
	s_and_saveexec_b64 s[52:53], s[36:37]
	s_cbranch_execnz .LBB1976_677
.LBB1976_670:                           ;   in Loop: Header=BB1976_574 Depth=2
	s_or_b64 exec, exec, s[52:53]
	s_and_saveexec_b64 s[36:37], s[38:39]
	s_cbranch_execz .LBB1976_678
.LBB1976_671:                           ;   in Loop: Header=BB1976_574 Depth=2
	v_lshlrev_b32_e32 v21, 2, v76
	ds_read_b32 v21, v21
	ds_read_b64 v[22:23], v20 offset:4096
	v_mov_b32_e32 v95, v4
	v_mov_b32_e32 v93, s67
	s_waitcnt lgkmcnt(1)
	v_add_u32_e32 v94, v21, v25
	v_lshlrev_b64 v[94:95], 3, v[94:95]
	v_add_co_u32_e32 v94, vcc, s66, v94
	v_addc_co_u32_e32 v95, vcc, v93, v95, vcc
	s_waitcnt lgkmcnt(0)
	global_store_dwordx2 v[94:95], v[22:23], off
	s_or_b64 exec, exec, s[36:37]
	s_and_saveexec_b64 s[36:37], s[40:41]
	s_cbranch_execnz .LBB1976_679
.LBB1976_672:                           ;   in Loop: Header=BB1976_574 Depth=2
	s_or_b64 exec, exec, s[36:37]
	s_and_saveexec_b64 s[36:37], s[42:43]
	s_cbranch_execz .LBB1976_680
.LBB1976_673:                           ;   in Loop: Header=BB1976_574 Depth=2
	v_lshlrev_b32_e32 v21, 2, v73
	ds_read_b32 v21, v21
	ds_read_b64 v[22:23], v20 offset:8192
	v_mov_b32_e32 v95, v4
	v_mov_b32_e32 v93, s67
	s_waitcnt lgkmcnt(1)
	v_add_u32_e32 v94, v21, v29
	v_lshlrev_b64 v[94:95], 3, v[94:95]
	v_add_co_u32_e32 v94, vcc, s66, v94
	v_addc_co_u32_e32 v95, vcc, v93, v95, vcc
	s_waitcnt lgkmcnt(0)
	global_store_dwordx2 v[94:95], v[22:23], off
	s_or_b64 exec, exec, s[36:37]
	s_and_saveexec_b64 s[36:37], s[44:45]
	s_cbranch_execnz .LBB1976_681
.LBB1976_674:                           ;   in Loop: Header=BB1976_574 Depth=2
	s_or_b64 exec, exec, s[36:37]
	s_and_saveexec_b64 s[36:37], s[46:47]
	s_cbranch_execz .LBB1976_682
.LBB1976_675:                           ;   in Loop: Header=BB1976_574 Depth=2
	v_lshlrev_b32_e32 v21, 2, v71
	ds_read_b32 v21, v21
	ds_read_b64 v[22:23], v20 offset:12288
	v_mov_b32_e32 v95, v4
	v_mov_b32_e32 v93, s67
	s_waitcnt lgkmcnt(1)
	v_add_u32_e32 v94, v21, v31
	v_lshlrev_b64 v[94:95], 3, v[94:95]
	v_add_co_u32_e32 v94, vcc, s66, v94
	v_addc_co_u32_e32 v95, vcc, v93, v95, vcc
	s_waitcnt lgkmcnt(0)
	global_store_dwordx2 v[94:95], v[22:23], off
	s_or_b64 exec, exec, s[36:37]
	s_and_saveexec_b64 s[36:37], s[48:49]
	s_cbranch_execnz .LBB1976_683
	s_branch .LBB1976_684
.LBB1976_676:                           ;   in Loop: Header=BB1976_574 Depth=2
	s_or_b64 exec, exec, s[52:53]
	v_add_u32_e32 v20, v50, v51
	s_and_saveexec_b64 s[52:53], s[36:37]
	s_cbranch_execz .LBB1976_670
.LBB1976_677:                           ;   in Loop: Header=BB1976_574 Depth=2
	v_lshlrev_b32_e32 v21, 2, v78
	ds_read_b32 v21, v21
	ds_read_b64 v[22:23], v20 offset:2048
	v_mov_b32_e32 v95, v4
	v_mov_b32_e32 v93, s67
	s_waitcnt lgkmcnt(1)
	v_add_u32_e32 v94, v21, v24
	v_lshlrev_b64 v[94:95], 3, v[94:95]
	v_add_co_u32_e32 v94, vcc, s66, v94
	v_addc_co_u32_e32 v95, vcc, v93, v95, vcc
	s_waitcnt lgkmcnt(0)
	global_store_dwordx2 v[94:95], v[22:23], off
	s_or_b64 exec, exec, s[52:53]
	s_and_saveexec_b64 s[36:37], s[38:39]
	s_cbranch_execnz .LBB1976_671
.LBB1976_678:                           ;   in Loop: Header=BB1976_574 Depth=2
	s_or_b64 exec, exec, s[36:37]
	s_and_saveexec_b64 s[36:37], s[40:41]
	s_cbranch_execz .LBB1976_672
.LBB1976_679:                           ;   in Loop: Header=BB1976_574 Depth=2
	v_lshlrev_b32_e32 v21, 2, v75
	ds_read_b32 v21, v21
	ds_read_b64 v[22:23], v20 offset:6144
	v_mov_b32_e32 v95, v4
	v_mov_b32_e32 v93, s67
	s_waitcnt lgkmcnt(1)
	v_add_u32_e32 v94, v21, v26
	v_lshlrev_b64 v[94:95], 3, v[94:95]
	v_add_co_u32_e32 v94, vcc, s66, v94
	v_addc_co_u32_e32 v95, vcc, v93, v95, vcc
	s_waitcnt lgkmcnt(0)
	global_store_dwordx2 v[94:95], v[22:23], off
	s_or_b64 exec, exec, s[36:37]
	s_and_saveexec_b64 s[36:37], s[42:43]
	s_cbranch_execnz .LBB1976_673
.LBB1976_680:                           ;   in Loop: Header=BB1976_574 Depth=2
	s_or_b64 exec, exec, s[36:37]
	s_and_saveexec_b64 s[36:37], s[44:45]
	s_cbranch_execz .LBB1976_674
.LBB1976_681:                           ;   in Loop: Header=BB1976_574 Depth=2
	v_lshlrev_b32_e32 v21, 2, v72
	ds_read_b32 v21, v21
	ds_read_b64 v[22:23], v20 offset:10240
	v_mov_b32_e32 v95, v4
	v_mov_b32_e32 v93, s67
	s_waitcnt lgkmcnt(1)
	v_add_u32_e32 v94, v21, v30
	v_lshlrev_b64 v[94:95], 3, v[94:95]
	v_add_co_u32_e32 v94, vcc, s66, v94
	v_addc_co_u32_e32 v95, vcc, v93, v95, vcc
	s_waitcnt lgkmcnt(0)
	global_store_dwordx2 v[94:95], v[22:23], off
	s_or_b64 exec, exec, s[36:37]
	s_and_saveexec_b64 s[36:37], s[46:47]
	s_cbranch_execnz .LBB1976_675
.LBB1976_682:                           ;   in Loop: Header=BB1976_574 Depth=2
	s_or_b64 exec, exec, s[36:37]
	s_and_saveexec_b64 s[36:37], s[48:49]
	s_cbranch_execz .LBB1976_684
.LBB1976_683:                           ;   in Loop: Header=BB1976_574 Depth=2
	v_lshlrev_b32_e32 v21, 2, v70
	ds_read_b32 v22, v21
	ds_read_b64 v[20:21], v20 offset:14336
	v_mov_b32_e32 v23, v4
	v_mov_b32_e32 v93, s67
	s_waitcnt lgkmcnt(1)
	v_add_u32_e32 v22, v22, v32
	v_lshlrev_b64 v[22:23], 3, v[22:23]
	v_add_co_u32_e32 v22, vcc, s66, v22
	v_addc_co_u32_e32 v23, vcc, v93, v23, vcc
	s_waitcnt lgkmcnt(0)
	global_store_dwordx2 v[22:23], v[20:21], off
.LBB1976_684:                           ;   in Loop: Header=BB1976_574 Depth=2
	s_or_b64 exec, exec, s[36:37]
	s_barrier
	s_and_saveexec_b64 s[36:37], s[4:5]
	s_cbranch_execz .LBB1976_573
; %bb.685:                              ;   in Loop: Header=BB1976_574 Depth=2
	ds_read_b32 v20, v3
	s_waitcnt lgkmcnt(0)
	v_add_u32_e32 v5, v20, v5
	ds_write_b32 v3, v5
	s_branch .LBB1976_573
.LBB1976_686:
	s_endpgm
	.section	.rodata,"a",@progbits
	.p2align	6, 0x0
	.amdhsa_kernel _ZN7rocprim17ROCPRIM_400000_NS6detail17trampoline_kernelINS0_14default_configENS1_36segmented_radix_sort_config_selectorI12hip_bfloat16lEEZNS1_25segmented_radix_sort_implIS3_Lb1EPKS5_PS5_PKlPlN2at6native12_GLOBAL__N_18offset_tEEE10hipError_tPvRmT1_PNSt15iterator_traitsISL_E10value_typeET2_T3_PNSM_ISR_E10value_typeET4_jRbjT5_SX_jjP12ihipStream_tbEUlT_E2_NS1_11comp_targetILNS1_3genE4ELNS1_11target_archE910ELNS1_3gpuE8ELNS1_3repE0EEENS1_30default_config_static_selectorELNS0_4arch9wavefront6targetE1EEEvSL_
		.amdhsa_group_segment_fixed_size 17424
		.amdhsa_private_segment_fixed_size 8
		.amdhsa_kernarg_size 336
		.amdhsa_user_sgpr_count 8
		.amdhsa_user_sgpr_private_segment_buffer 1
		.amdhsa_user_sgpr_dispatch_ptr 0
		.amdhsa_user_sgpr_queue_ptr 0
		.amdhsa_user_sgpr_kernarg_segment_ptr 1
		.amdhsa_user_sgpr_dispatch_id 0
		.amdhsa_user_sgpr_flat_scratch_init 1
		.amdhsa_user_sgpr_kernarg_preload_length 0
		.amdhsa_user_sgpr_kernarg_preload_offset 0
		.amdhsa_user_sgpr_private_segment_size 0
		.amdhsa_uses_dynamic_stack 0
		.amdhsa_system_sgpr_private_segment_wavefront_offset 1
		.amdhsa_system_sgpr_workgroup_id_x 1
		.amdhsa_system_sgpr_workgroup_id_y 1
		.amdhsa_system_sgpr_workgroup_id_z 0
		.amdhsa_system_sgpr_workgroup_info 0
		.amdhsa_system_vgpr_workitem_id 2
		.amdhsa_next_free_vgpr 178
		.amdhsa_next_free_sgpr 81
		.amdhsa_accum_offset 180
		.amdhsa_reserve_vcc 1
		.amdhsa_reserve_flat_scratch 1
		.amdhsa_float_round_mode_32 0
		.amdhsa_float_round_mode_16_64 0
		.amdhsa_float_denorm_mode_32 3
		.amdhsa_float_denorm_mode_16_64 3
		.amdhsa_dx10_clamp 1
		.amdhsa_ieee_mode 1
		.amdhsa_fp16_overflow 0
		.amdhsa_tg_split 0
		.amdhsa_exception_fp_ieee_invalid_op 0
		.amdhsa_exception_fp_denorm_src 0
		.amdhsa_exception_fp_ieee_div_zero 0
		.amdhsa_exception_fp_ieee_overflow 0
		.amdhsa_exception_fp_ieee_underflow 0
		.amdhsa_exception_fp_ieee_inexact 0
		.amdhsa_exception_int_div_zero 0
	.end_amdhsa_kernel
	.section	.text._ZN7rocprim17ROCPRIM_400000_NS6detail17trampoline_kernelINS0_14default_configENS1_36segmented_radix_sort_config_selectorI12hip_bfloat16lEEZNS1_25segmented_radix_sort_implIS3_Lb1EPKS5_PS5_PKlPlN2at6native12_GLOBAL__N_18offset_tEEE10hipError_tPvRmT1_PNSt15iterator_traitsISL_E10value_typeET2_T3_PNSM_ISR_E10value_typeET4_jRbjT5_SX_jjP12ihipStream_tbEUlT_E2_NS1_11comp_targetILNS1_3genE4ELNS1_11target_archE910ELNS1_3gpuE8ELNS1_3repE0EEENS1_30default_config_static_selectorELNS0_4arch9wavefront6targetE1EEEvSL_,"axG",@progbits,_ZN7rocprim17ROCPRIM_400000_NS6detail17trampoline_kernelINS0_14default_configENS1_36segmented_radix_sort_config_selectorI12hip_bfloat16lEEZNS1_25segmented_radix_sort_implIS3_Lb1EPKS5_PS5_PKlPlN2at6native12_GLOBAL__N_18offset_tEEE10hipError_tPvRmT1_PNSt15iterator_traitsISL_E10value_typeET2_T3_PNSM_ISR_E10value_typeET4_jRbjT5_SX_jjP12ihipStream_tbEUlT_E2_NS1_11comp_targetILNS1_3genE4ELNS1_11target_archE910ELNS1_3gpuE8ELNS1_3repE0EEENS1_30default_config_static_selectorELNS0_4arch9wavefront6targetE1EEEvSL_,comdat
.Lfunc_end1976:
	.size	_ZN7rocprim17ROCPRIM_400000_NS6detail17trampoline_kernelINS0_14default_configENS1_36segmented_radix_sort_config_selectorI12hip_bfloat16lEEZNS1_25segmented_radix_sort_implIS3_Lb1EPKS5_PS5_PKlPlN2at6native12_GLOBAL__N_18offset_tEEE10hipError_tPvRmT1_PNSt15iterator_traitsISL_E10value_typeET2_T3_PNSM_ISR_E10value_typeET4_jRbjT5_SX_jjP12ihipStream_tbEUlT_E2_NS1_11comp_targetILNS1_3genE4ELNS1_11target_archE910ELNS1_3gpuE8ELNS1_3repE0EEENS1_30default_config_static_selectorELNS0_4arch9wavefront6targetE1EEEvSL_, .Lfunc_end1976-_ZN7rocprim17ROCPRIM_400000_NS6detail17trampoline_kernelINS0_14default_configENS1_36segmented_radix_sort_config_selectorI12hip_bfloat16lEEZNS1_25segmented_radix_sort_implIS3_Lb1EPKS5_PS5_PKlPlN2at6native12_GLOBAL__N_18offset_tEEE10hipError_tPvRmT1_PNSt15iterator_traitsISL_E10value_typeET2_T3_PNSM_ISR_E10value_typeET4_jRbjT5_SX_jjP12ihipStream_tbEUlT_E2_NS1_11comp_targetILNS1_3genE4ELNS1_11target_archE910ELNS1_3gpuE8ELNS1_3repE0EEENS1_30default_config_static_selectorELNS0_4arch9wavefront6targetE1EEEvSL_
                                        ; -- End function
	.section	.AMDGPU.csdata,"",@progbits
; Kernel info:
; codeLenInByte = 38980
; NumSgprs: 87
; NumVgprs: 178
; NumAgprs: 0
; TotalNumVgprs: 178
; ScratchSize: 8
; MemoryBound: 0
; FloatMode: 240
; IeeeMode: 1
; LDSByteSize: 17424 bytes/workgroup (compile time only)
; SGPRBlocks: 10
; VGPRBlocks: 22
; NumSGPRsForWavesPerEU: 87
; NumVGPRsForWavesPerEU: 178
; AccumOffset: 180
; Occupancy: 2
; WaveLimiterHint : 1
; COMPUTE_PGM_RSRC2:SCRATCH_EN: 1
; COMPUTE_PGM_RSRC2:USER_SGPR: 8
; COMPUTE_PGM_RSRC2:TRAP_HANDLER: 0
; COMPUTE_PGM_RSRC2:TGID_X_EN: 1
; COMPUTE_PGM_RSRC2:TGID_Y_EN: 1
; COMPUTE_PGM_RSRC2:TGID_Z_EN: 0
; COMPUTE_PGM_RSRC2:TIDIG_COMP_CNT: 2
; COMPUTE_PGM_RSRC3_GFX90A:ACCUM_OFFSET: 44
; COMPUTE_PGM_RSRC3_GFX90A:TG_SPLIT: 0
	.section	.text._ZN7rocprim17ROCPRIM_400000_NS6detail17trampoline_kernelINS0_14default_configENS1_36segmented_radix_sort_config_selectorI12hip_bfloat16lEEZNS1_25segmented_radix_sort_implIS3_Lb1EPKS5_PS5_PKlPlN2at6native12_GLOBAL__N_18offset_tEEE10hipError_tPvRmT1_PNSt15iterator_traitsISL_E10value_typeET2_T3_PNSM_ISR_E10value_typeET4_jRbjT5_SX_jjP12ihipStream_tbEUlT_E2_NS1_11comp_targetILNS1_3genE3ELNS1_11target_archE908ELNS1_3gpuE7ELNS1_3repE0EEENS1_30default_config_static_selectorELNS0_4arch9wavefront6targetE1EEEvSL_,"axG",@progbits,_ZN7rocprim17ROCPRIM_400000_NS6detail17trampoline_kernelINS0_14default_configENS1_36segmented_radix_sort_config_selectorI12hip_bfloat16lEEZNS1_25segmented_radix_sort_implIS3_Lb1EPKS5_PS5_PKlPlN2at6native12_GLOBAL__N_18offset_tEEE10hipError_tPvRmT1_PNSt15iterator_traitsISL_E10value_typeET2_T3_PNSM_ISR_E10value_typeET4_jRbjT5_SX_jjP12ihipStream_tbEUlT_E2_NS1_11comp_targetILNS1_3genE3ELNS1_11target_archE908ELNS1_3gpuE7ELNS1_3repE0EEENS1_30default_config_static_selectorELNS0_4arch9wavefront6targetE1EEEvSL_,comdat
	.globl	_ZN7rocprim17ROCPRIM_400000_NS6detail17trampoline_kernelINS0_14default_configENS1_36segmented_radix_sort_config_selectorI12hip_bfloat16lEEZNS1_25segmented_radix_sort_implIS3_Lb1EPKS5_PS5_PKlPlN2at6native12_GLOBAL__N_18offset_tEEE10hipError_tPvRmT1_PNSt15iterator_traitsISL_E10value_typeET2_T3_PNSM_ISR_E10value_typeET4_jRbjT5_SX_jjP12ihipStream_tbEUlT_E2_NS1_11comp_targetILNS1_3genE3ELNS1_11target_archE908ELNS1_3gpuE7ELNS1_3repE0EEENS1_30default_config_static_selectorELNS0_4arch9wavefront6targetE1EEEvSL_ ; -- Begin function _ZN7rocprim17ROCPRIM_400000_NS6detail17trampoline_kernelINS0_14default_configENS1_36segmented_radix_sort_config_selectorI12hip_bfloat16lEEZNS1_25segmented_radix_sort_implIS3_Lb1EPKS5_PS5_PKlPlN2at6native12_GLOBAL__N_18offset_tEEE10hipError_tPvRmT1_PNSt15iterator_traitsISL_E10value_typeET2_T3_PNSM_ISR_E10value_typeET4_jRbjT5_SX_jjP12ihipStream_tbEUlT_E2_NS1_11comp_targetILNS1_3genE3ELNS1_11target_archE908ELNS1_3gpuE7ELNS1_3repE0EEENS1_30default_config_static_selectorELNS0_4arch9wavefront6targetE1EEEvSL_
	.p2align	8
	.type	_ZN7rocprim17ROCPRIM_400000_NS6detail17trampoline_kernelINS0_14default_configENS1_36segmented_radix_sort_config_selectorI12hip_bfloat16lEEZNS1_25segmented_radix_sort_implIS3_Lb1EPKS5_PS5_PKlPlN2at6native12_GLOBAL__N_18offset_tEEE10hipError_tPvRmT1_PNSt15iterator_traitsISL_E10value_typeET2_T3_PNSM_ISR_E10value_typeET4_jRbjT5_SX_jjP12ihipStream_tbEUlT_E2_NS1_11comp_targetILNS1_3genE3ELNS1_11target_archE908ELNS1_3gpuE7ELNS1_3repE0EEENS1_30default_config_static_selectorELNS0_4arch9wavefront6targetE1EEEvSL_,@function
_ZN7rocprim17ROCPRIM_400000_NS6detail17trampoline_kernelINS0_14default_configENS1_36segmented_radix_sort_config_selectorI12hip_bfloat16lEEZNS1_25segmented_radix_sort_implIS3_Lb1EPKS5_PS5_PKlPlN2at6native12_GLOBAL__N_18offset_tEEE10hipError_tPvRmT1_PNSt15iterator_traitsISL_E10value_typeET2_T3_PNSM_ISR_E10value_typeET4_jRbjT5_SX_jjP12ihipStream_tbEUlT_E2_NS1_11comp_targetILNS1_3genE3ELNS1_11target_archE908ELNS1_3gpuE7ELNS1_3repE0EEENS1_30default_config_static_selectorELNS0_4arch9wavefront6targetE1EEEvSL_: ; @_ZN7rocprim17ROCPRIM_400000_NS6detail17trampoline_kernelINS0_14default_configENS1_36segmented_radix_sort_config_selectorI12hip_bfloat16lEEZNS1_25segmented_radix_sort_implIS3_Lb1EPKS5_PS5_PKlPlN2at6native12_GLOBAL__N_18offset_tEEE10hipError_tPvRmT1_PNSt15iterator_traitsISL_E10value_typeET2_T3_PNSM_ISR_E10value_typeET4_jRbjT5_SX_jjP12ihipStream_tbEUlT_E2_NS1_11comp_targetILNS1_3genE3ELNS1_11target_archE908ELNS1_3gpuE7ELNS1_3repE0EEENS1_30default_config_static_selectorELNS0_4arch9wavefront6targetE1EEEvSL_
; %bb.0:
	.section	.rodata,"a",@progbits
	.p2align	6, 0x0
	.amdhsa_kernel _ZN7rocprim17ROCPRIM_400000_NS6detail17trampoline_kernelINS0_14default_configENS1_36segmented_radix_sort_config_selectorI12hip_bfloat16lEEZNS1_25segmented_radix_sort_implIS3_Lb1EPKS5_PS5_PKlPlN2at6native12_GLOBAL__N_18offset_tEEE10hipError_tPvRmT1_PNSt15iterator_traitsISL_E10value_typeET2_T3_PNSM_ISR_E10value_typeET4_jRbjT5_SX_jjP12ihipStream_tbEUlT_E2_NS1_11comp_targetILNS1_3genE3ELNS1_11target_archE908ELNS1_3gpuE7ELNS1_3repE0EEENS1_30default_config_static_selectorELNS0_4arch9wavefront6targetE1EEEvSL_
		.amdhsa_group_segment_fixed_size 0
		.amdhsa_private_segment_fixed_size 0
		.amdhsa_kernarg_size 80
		.amdhsa_user_sgpr_count 6
		.amdhsa_user_sgpr_private_segment_buffer 1
		.amdhsa_user_sgpr_dispatch_ptr 0
		.amdhsa_user_sgpr_queue_ptr 0
		.amdhsa_user_sgpr_kernarg_segment_ptr 1
		.amdhsa_user_sgpr_dispatch_id 0
		.amdhsa_user_sgpr_flat_scratch_init 0
		.amdhsa_user_sgpr_kernarg_preload_length 0
		.amdhsa_user_sgpr_kernarg_preload_offset 0
		.amdhsa_user_sgpr_private_segment_size 0
		.amdhsa_uses_dynamic_stack 0
		.amdhsa_system_sgpr_private_segment_wavefront_offset 0
		.amdhsa_system_sgpr_workgroup_id_x 1
		.amdhsa_system_sgpr_workgroup_id_y 0
		.amdhsa_system_sgpr_workgroup_id_z 0
		.amdhsa_system_sgpr_workgroup_info 0
		.amdhsa_system_vgpr_workitem_id 0
		.amdhsa_next_free_vgpr 1
		.amdhsa_next_free_sgpr 0
		.amdhsa_accum_offset 4
		.amdhsa_reserve_vcc 0
		.amdhsa_reserve_flat_scratch 0
		.amdhsa_float_round_mode_32 0
		.amdhsa_float_round_mode_16_64 0
		.amdhsa_float_denorm_mode_32 3
		.amdhsa_float_denorm_mode_16_64 3
		.amdhsa_dx10_clamp 1
		.amdhsa_ieee_mode 1
		.amdhsa_fp16_overflow 0
		.amdhsa_tg_split 0
		.amdhsa_exception_fp_ieee_invalid_op 0
		.amdhsa_exception_fp_denorm_src 0
		.amdhsa_exception_fp_ieee_div_zero 0
		.amdhsa_exception_fp_ieee_overflow 0
		.amdhsa_exception_fp_ieee_underflow 0
		.amdhsa_exception_fp_ieee_inexact 0
		.amdhsa_exception_int_div_zero 0
	.end_amdhsa_kernel
	.section	.text._ZN7rocprim17ROCPRIM_400000_NS6detail17trampoline_kernelINS0_14default_configENS1_36segmented_radix_sort_config_selectorI12hip_bfloat16lEEZNS1_25segmented_radix_sort_implIS3_Lb1EPKS5_PS5_PKlPlN2at6native12_GLOBAL__N_18offset_tEEE10hipError_tPvRmT1_PNSt15iterator_traitsISL_E10value_typeET2_T3_PNSM_ISR_E10value_typeET4_jRbjT5_SX_jjP12ihipStream_tbEUlT_E2_NS1_11comp_targetILNS1_3genE3ELNS1_11target_archE908ELNS1_3gpuE7ELNS1_3repE0EEENS1_30default_config_static_selectorELNS0_4arch9wavefront6targetE1EEEvSL_,"axG",@progbits,_ZN7rocprim17ROCPRIM_400000_NS6detail17trampoline_kernelINS0_14default_configENS1_36segmented_radix_sort_config_selectorI12hip_bfloat16lEEZNS1_25segmented_radix_sort_implIS3_Lb1EPKS5_PS5_PKlPlN2at6native12_GLOBAL__N_18offset_tEEE10hipError_tPvRmT1_PNSt15iterator_traitsISL_E10value_typeET2_T3_PNSM_ISR_E10value_typeET4_jRbjT5_SX_jjP12ihipStream_tbEUlT_E2_NS1_11comp_targetILNS1_3genE3ELNS1_11target_archE908ELNS1_3gpuE7ELNS1_3repE0EEENS1_30default_config_static_selectorELNS0_4arch9wavefront6targetE1EEEvSL_,comdat
.Lfunc_end1977:
	.size	_ZN7rocprim17ROCPRIM_400000_NS6detail17trampoline_kernelINS0_14default_configENS1_36segmented_radix_sort_config_selectorI12hip_bfloat16lEEZNS1_25segmented_radix_sort_implIS3_Lb1EPKS5_PS5_PKlPlN2at6native12_GLOBAL__N_18offset_tEEE10hipError_tPvRmT1_PNSt15iterator_traitsISL_E10value_typeET2_T3_PNSM_ISR_E10value_typeET4_jRbjT5_SX_jjP12ihipStream_tbEUlT_E2_NS1_11comp_targetILNS1_3genE3ELNS1_11target_archE908ELNS1_3gpuE7ELNS1_3repE0EEENS1_30default_config_static_selectorELNS0_4arch9wavefront6targetE1EEEvSL_, .Lfunc_end1977-_ZN7rocprim17ROCPRIM_400000_NS6detail17trampoline_kernelINS0_14default_configENS1_36segmented_radix_sort_config_selectorI12hip_bfloat16lEEZNS1_25segmented_radix_sort_implIS3_Lb1EPKS5_PS5_PKlPlN2at6native12_GLOBAL__N_18offset_tEEE10hipError_tPvRmT1_PNSt15iterator_traitsISL_E10value_typeET2_T3_PNSM_ISR_E10value_typeET4_jRbjT5_SX_jjP12ihipStream_tbEUlT_E2_NS1_11comp_targetILNS1_3genE3ELNS1_11target_archE908ELNS1_3gpuE7ELNS1_3repE0EEENS1_30default_config_static_selectorELNS0_4arch9wavefront6targetE1EEEvSL_
                                        ; -- End function
	.section	.AMDGPU.csdata,"",@progbits
; Kernel info:
; codeLenInByte = 0
; NumSgprs: 4
; NumVgprs: 0
; NumAgprs: 0
; TotalNumVgprs: 0
; ScratchSize: 0
; MemoryBound: 0
; FloatMode: 240
; IeeeMode: 1
; LDSByteSize: 0 bytes/workgroup (compile time only)
; SGPRBlocks: 0
; VGPRBlocks: 0
; NumSGPRsForWavesPerEU: 4
; NumVGPRsForWavesPerEU: 1
; AccumOffset: 4
; Occupancy: 8
; WaveLimiterHint : 0
; COMPUTE_PGM_RSRC2:SCRATCH_EN: 0
; COMPUTE_PGM_RSRC2:USER_SGPR: 6
; COMPUTE_PGM_RSRC2:TRAP_HANDLER: 0
; COMPUTE_PGM_RSRC2:TGID_X_EN: 1
; COMPUTE_PGM_RSRC2:TGID_Y_EN: 0
; COMPUTE_PGM_RSRC2:TGID_Z_EN: 0
; COMPUTE_PGM_RSRC2:TIDIG_COMP_CNT: 0
; COMPUTE_PGM_RSRC3_GFX90A:ACCUM_OFFSET: 0
; COMPUTE_PGM_RSRC3_GFX90A:TG_SPLIT: 0
	.section	.text._ZN7rocprim17ROCPRIM_400000_NS6detail17trampoline_kernelINS0_14default_configENS1_36segmented_radix_sort_config_selectorI12hip_bfloat16lEEZNS1_25segmented_radix_sort_implIS3_Lb1EPKS5_PS5_PKlPlN2at6native12_GLOBAL__N_18offset_tEEE10hipError_tPvRmT1_PNSt15iterator_traitsISL_E10value_typeET2_T3_PNSM_ISR_E10value_typeET4_jRbjT5_SX_jjP12ihipStream_tbEUlT_E2_NS1_11comp_targetILNS1_3genE2ELNS1_11target_archE906ELNS1_3gpuE6ELNS1_3repE0EEENS1_30default_config_static_selectorELNS0_4arch9wavefront6targetE1EEEvSL_,"axG",@progbits,_ZN7rocprim17ROCPRIM_400000_NS6detail17trampoline_kernelINS0_14default_configENS1_36segmented_radix_sort_config_selectorI12hip_bfloat16lEEZNS1_25segmented_radix_sort_implIS3_Lb1EPKS5_PS5_PKlPlN2at6native12_GLOBAL__N_18offset_tEEE10hipError_tPvRmT1_PNSt15iterator_traitsISL_E10value_typeET2_T3_PNSM_ISR_E10value_typeET4_jRbjT5_SX_jjP12ihipStream_tbEUlT_E2_NS1_11comp_targetILNS1_3genE2ELNS1_11target_archE906ELNS1_3gpuE6ELNS1_3repE0EEENS1_30default_config_static_selectorELNS0_4arch9wavefront6targetE1EEEvSL_,comdat
	.globl	_ZN7rocprim17ROCPRIM_400000_NS6detail17trampoline_kernelINS0_14default_configENS1_36segmented_radix_sort_config_selectorI12hip_bfloat16lEEZNS1_25segmented_radix_sort_implIS3_Lb1EPKS5_PS5_PKlPlN2at6native12_GLOBAL__N_18offset_tEEE10hipError_tPvRmT1_PNSt15iterator_traitsISL_E10value_typeET2_T3_PNSM_ISR_E10value_typeET4_jRbjT5_SX_jjP12ihipStream_tbEUlT_E2_NS1_11comp_targetILNS1_3genE2ELNS1_11target_archE906ELNS1_3gpuE6ELNS1_3repE0EEENS1_30default_config_static_selectorELNS0_4arch9wavefront6targetE1EEEvSL_ ; -- Begin function _ZN7rocprim17ROCPRIM_400000_NS6detail17trampoline_kernelINS0_14default_configENS1_36segmented_radix_sort_config_selectorI12hip_bfloat16lEEZNS1_25segmented_radix_sort_implIS3_Lb1EPKS5_PS5_PKlPlN2at6native12_GLOBAL__N_18offset_tEEE10hipError_tPvRmT1_PNSt15iterator_traitsISL_E10value_typeET2_T3_PNSM_ISR_E10value_typeET4_jRbjT5_SX_jjP12ihipStream_tbEUlT_E2_NS1_11comp_targetILNS1_3genE2ELNS1_11target_archE906ELNS1_3gpuE6ELNS1_3repE0EEENS1_30default_config_static_selectorELNS0_4arch9wavefront6targetE1EEEvSL_
	.p2align	8
	.type	_ZN7rocprim17ROCPRIM_400000_NS6detail17trampoline_kernelINS0_14default_configENS1_36segmented_radix_sort_config_selectorI12hip_bfloat16lEEZNS1_25segmented_radix_sort_implIS3_Lb1EPKS5_PS5_PKlPlN2at6native12_GLOBAL__N_18offset_tEEE10hipError_tPvRmT1_PNSt15iterator_traitsISL_E10value_typeET2_T3_PNSM_ISR_E10value_typeET4_jRbjT5_SX_jjP12ihipStream_tbEUlT_E2_NS1_11comp_targetILNS1_3genE2ELNS1_11target_archE906ELNS1_3gpuE6ELNS1_3repE0EEENS1_30default_config_static_selectorELNS0_4arch9wavefront6targetE1EEEvSL_,@function
_ZN7rocprim17ROCPRIM_400000_NS6detail17trampoline_kernelINS0_14default_configENS1_36segmented_radix_sort_config_selectorI12hip_bfloat16lEEZNS1_25segmented_radix_sort_implIS3_Lb1EPKS5_PS5_PKlPlN2at6native12_GLOBAL__N_18offset_tEEE10hipError_tPvRmT1_PNSt15iterator_traitsISL_E10value_typeET2_T3_PNSM_ISR_E10value_typeET4_jRbjT5_SX_jjP12ihipStream_tbEUlT_E2_NS1_11comp_targetILNS1_3genE2ELNS1_11target_archE906ELNS1_3gpuE6ELNS1_3repE0EEENS1_30default_config_static_selectorELNS0_4arch9wavefront6targetE1EEEvSL_: ; @_ZN7rocprim17ROCPRIM_400000_NS6detail17trampoline_kernelINS0_14default_configENS1_36segmented_radix_sort_config_selectorI12hip_bfloat16lEEZNS1_25segmented_radix_sort_implIS3_Lb1EPKS5_PS5_PKlPlN2at6native12_GLOBAL__N_18offset_tEEE10hipError_tPvRmT1_PNSt15iterator_traitsISL_E10value_typeET2_T3_PNSM_ISR_E10value_typeET4_jRbjT5_SX_jjP12ihipStream_tbEUlT_E2_NS1_11comp_targetILNS1_3genE2ELNS1_11target_archE906ELNS1_3gpuE6ELNS1_3repE0EEENS1_30default_config_static_selectorELNS0_4arch9wavefront6targetE1EEEvSL_
; %bb.0:
	.section	.rodata,"a",@progbits
	.p2align	6, 0x0
	.amdhsa_kernel _ZN7rocprim17ROCPRIM_400000_NS6detail17trampoline_kernelINS0_14default_configENS1_36segmented_radix_sort_config_selectorI12hip_bfloat16lEEZNS1_25segmented_radix_sort_implIS3_Lb1EPKS5_PS5_PKlPlN2at6native12_GLOBAL__N_18offset_tEEE10hipError_tPvRmT1_PNSt15iterator_traitsISL_E10value_typeET2_T3_PNSM_ISR_E10value_typeET4_jRbjT5_SX_jjP12ihipStream_tbEUlT_E2_NS1_11comp_targetILNS1_3genE2ELNS1_11target_archE906ELNS1_3gpuE6ELNS1_3repE0EEENS1_30default_config_static_selectorELNS0_4arch9wavefront6targetE1EEEvSL_
		.amdhsa_group_segment_fixed_size 0
		.amdhsa_private_segment_fixed_size 0
		.amdhsa_kernarg_size 80
		.amdhsa_user_sgpr_count 6
		.amdhsa_user_sgpr_private_segment_buffer 1
		.amdhsa_user_sgpr_dispatch_ptr 0
		.amdhsa_user_sgpr_queue_ptr 0
		.amdhsa_user_sgpr_kernarg_segment_ptr 1
		.amdhsa_user_sgpr_dispatch_id 0
		.amdhsa_user_sgpr_flat_scratch_init 0
		.amdhsa_user_sgpr_kernarg_preload_length 0
		.amdhsa_user_sgpr_kernarg_preload_offset 0
		.amdhsa_user_sgpr_private_segment_size 0
		.amdhsa_uses_dynamic_stack 0
		.amdhsa_system_sgpr_private_segment_wavefront_offset 0
		.amdhsa_system_sgpr_workgroup_id_x 1
		.amdhsa_system_sgpr_workgroup_id_y 0
		.amdhsa_system_sgpr_workgroup_id_z 0
		.amdhsa_system_sgpr_workgroup_info 0
		.amdhsa_system_vgpr_workitem_id 0
		.amdhsa_next_free_vgpr 1
		.amdhsa_next_free_sgpr 0
		.amdhsa_accum_offset 4
		.amdhsa_reserve_vcc 0
		.amdhsa_reserve_flat_scratch 0
		.amdhsa_float_round_mode_32 0
		.amdhsa_float_round_mode_16_64 0
		.amdhsa_float_denorm_mode_32 3
		.amdhsa_float_denorm_mode_16_64 3
		.amdhsa_dx10_clamp 1
		.amdhsa_ieee_mode 1
		.amdhsa_fp16_overflow 0
		.amdhsa_tg_split 0
		.amdhsa_exception_fp_ieee_invalid_op 0
		.amdhsa_exception_fp_denorm_src 0
		.amdhsa_exception_fp_ieee_div_zero 0
		.amdhsa_exception_fp_ieee_overflow 0
		.amdhsa_exception_fp_ieee_underflow 0
		.amdhsa_exception_fp_ieee_inexact 0
		.amdhsa_exception_int_div_zero 0
	.end_amdhsa_kernel
	.section	.text._ZN7rocprim17ROCPRIM_400000_NS6detail17trampoline_kernelINS0_14default_configENS1_36segmented_radix_sort_config_selectorI12hip_bfloat16lEEZNS1_25segmented_radix_sort_implIS3_Lb1EPKS5_PS5_PKlPlN2at6native12_GLOBAL__N_18offset_tEEE10hipError_tPvRmT1_PNSt15iterator_traitsISL_E10value_typeET2_T3_PNSM_ISR_E10value_typeET4_jRbjT5_SX_jjP12ihipStream_tbEUlT_E2_NS1_11comp_targetILNS1_3genE2ELNS1_11target_archE906ELNS1_3gpuE6ELNS1_3repE0EEENS1_30default_config_static_selectorELNS0_4arch9wavefront6targetE1EEEvSL_,"axG",@progbits,_ZN7rocprim17ROCPRIM_400000_NS6detail17trampoline_kernelINS0_14default_configENS1_36segmented_radix_sort_config_selectorI12hip_bfloat16lEEZNS1_25segmented_radix_sort_implIS3_Lb1EPKS5_PS5_PKlPlN2at6native12_GLOBAL__N_18offset_tEEE10hipError_tPvRmT1_PNSt15iterator_traitsISL_E10value_typeET2_T3_PNSM_ISR_E10value_typeET4_jRbjT5_SX_jjP12ihipStream_tbEUlT_E2_NS1_11comp_targetILNS1_3genE2ELNS1_11target_archE906ELNS1_3gpuE6ELNS1_3repE0EEENS1_30default_config_static_selectorELNS0_4arch9wavefront6targetE1EEEvSL_,comdat
.Lfunc_end1978:
	.size	_ZN7rocprim17ROCPRIM_400000_NS6detail17trampoline_kernelINS0_14default_configENS1_36segmented_radix_sort_config_selectorI12hip_bfloat16lEEZNS1_25segmented_radix_sort_implIS3_Lb1EPKS5_PS5_PKlPlN2at6native12_GLOBAL__N_18offset_tEEE10hipError_tPvRmT1_PNSt15iterator_traitsISL_E10value_typeET2_T3_PNSM_ISR_E10value_typeET4_jRbjT5_SX_jjP12ihipStream_tbEUlT_E2_NS1_11comp_targetILNS1_3genE2ELNS1_11target_archE906ELNS1_3gpuE6ELNS1_3repE0EEENS1_30default_config_static_selectorELNS0_4arch9wavefront6targetE1EEEvSL_, .Lfunc_end1978-_ZN7rocprim17ROCPRIM_400000_NS6detail17trampoline_kernelINS0_14default_configENS1_36segmented_radix_sort_config_selectorI12hip_bfloat16lEEZNS1_25segmented_radix_sort_implIS3_Lb1EPKS5_PS5_PKlPlN2at6native12_GLOBAL__N_18offset_tEEE10hipError_tPvRmT1_PNSt15iterator_traitsISL_E10value_typeET2_T3_PNSM_ISR_E10value_typeET4_jRbjT5_SX_jjP12ihipStream_tbEUlT_E2_NS1_11comp_targetILNS1_3genE2ELNS1_11target_archE906ELNS1_3gpuE6ELNS1_3repE0EEENS1_30default_config_static_selectorELNS0_4arch9wavefront6targetE1EEEvSL_
                                        ; -- End function
	.section	.AMDGPU.csdata,"",@progbits
; Kernel info:
; codeLenInByte = 0
; NumSgprs: 4
; NumVgprs: 0
; NumAgprs: 0
; TotalNumVgprs: 0
; ScratchSize: 0
; MemoryBound: 0
; FloatMode: 240
; IeeeMode: 1
; LDSByteSize: 0 bytes/workgroup (compile time only)
; SGPRBlocks: 0
; VGPRBlocks: 0
; NumSGPRsForWavesPerEU: 4
; NumVGPRsForWavesPerEU: 1
; AccumOffset: 4
; Occupancy: 8
; WaveLimiterHint : 0
; COMPUTE_PGM_RSRC2:SCRATCH_EN: 0
; COMPUTE_PGM_RSRC2:USER_SGPR: 6
; COMPUTE_PGM_RSRC2:TRAP_HANDLER: 0
; COMPUTE_PGM_RSRC2:TGID_X_EN: 1
; COMPUTE_PGM_RSRC2:TGID_Y_EN: 0
; COMPUTE_PGM_RSRC2:TGID_Z_EN: 0
; COMPUTE_PGM_RSRC2:TIDIG_COMP_CNT: 0
; COMPUTE_PGM_RSRC3_GFX90A:ACCUM_OFFSET: 0
; COMPUTE_PGM_RSRC3_GFX90A:TG_SPLIT: 0
	.section	.text._ZN7rocprim17ROCPRIM_400000_NS6detail17trampoline_kernelINS0_14default_configENS1_36segmented_radix_sort_config_selectorI12hip_bfloat16lEEZNS1_25segmented_radix_sort_implIS3_Lb1EPKS5_PS5_PKlPlN2at6native12_GLOBAL__N_18offset_tEEE10hipError_tPvRmT1_PNSt15iterator_traitsISL_E10value_typeET2_T3_PNSM_ISR_E10value_typeET4_jRbjT5_SX_jjP12ihipStream_tbEUlT_E2_NS1_11comp_targetILNS1_3genE10ELNS1_11target_archE1201ELNS1_3gpuE5ELNS1_3repE0EEENS1_30default_config_static_selectorELNS0_4arch9wavefront6targetE1EEEvSL_,"axG",@progbits,_ZN7rocprim17ROCPRIM_400000_NS6detail17trampoline_kernelINS0_14default_configENS1_36segmented_radix_sort_config_selectorI12hip_bfloat16lEEZNS1_25segmented_radix_sort_implIS3_Lb1EPKS5_PS5_PKlPlN2at6native12_GLOBAL__N_18offset_tEEE10hipError_tPvRmT1_PNSt15iterator_traitsISL_E10value_typeET2_T3_PNSM_ISR_E10value_typeET4_jRbjT5_SX_jjP12ihipStream_tbEUlT_E2_NS1_11comp_targetILNS1_3genE10ELNS1_11target_archE1201ELNS1_3gpuE5ELNS1_3repE0EEENS1_30default_config_static_selectorELNS0_4arch9wavefront6targetE1EEEvSL_,comdat
	.globl	_ZN7rocprim17ROCPRIM_400000_NS6detail17trampoline_kernelINS0_14default_configENS1_36segmented_radix_sort_config_selectorI12hip_bfloat16lEEZNS1_25segmented_radix_sort_implIS3_Lb1EPKS5_PS5_PKlPlN2at6native12_GLOBAL__N_18offset_tEEE10hipError_tPvRmT1_PNSt15iterator_traitsISL_E10value_typeET2_T3_PNSM_ISR_E10value_typeET4_jRbjT5_SX_jjP12ihipStream_tbEUlT_E2_NS1_11comp_targetILNS1_3genE10ELNS1_11target_archE1201ELNS1_3gpuE5ELNS1_3repE0EEENS1_30default_config_static_selectorELNS0_4arch9wavefront6targetE1EEEvSL_ ; -- Begin function _ZN7rocprim17ROCPRIM_400000_NS6detail17trampoline_kernelINS0_14default_configENS1_36segmented_radix_sort_config_selectorI12hip_bfloat16lEEZNS1_25segmented_radix_sort_implIS3_Lb1EPKS5_PS5_PKlPlN2at6native12_GLOBAL__N_18offset_tEEE10hipError_tPvRmT1_PNSt15iterator_traitsISL_E10value_typeET2_T3_PNSM_ISR_E10value_typeET4_jRbjT5_SX_jjP12ihipStream_tbEUlT_E2_NS1_11comp_targetILNS1_3genE10ELNS1_11target_archE1201ELNS1_3gpuE5ELNS1_3repE0EEENS1_30default_config_static_selectorELNS0_4arch9wavefront6targetE1EEEvSL_
	.p2align	8
	.type	_ZN7rocprim17ROCPRIM_400000_NS6detail17trampoline_kernelINS0_14default_configENS1_36segmented_radix_sort_config_selectorI12hip_bfloat16lEEZNS1_25segmented_radix_sort_implIS3_Lb1EPKS5_PS5_PKlPlN2at6native12_GLOBAL__N_18offset_tEEE10hipError_tPvRmT1_PNSt15iterator_traitsISL_E10value_typeET2_T3_PNSM_ISR_E10value_typeET4_jRbjT5_SX_jjP12ihipStream_tbEUlT_E2_NS1_11comp_targetILNS1_3genE10ELNS1_11target_archE1201ELNS1_3gpuE5ELNS1_3repE0EEENS1_30default_config_static_selectorELNS0_4arch9wavefront6targetE1EEEvSL_,@function
_ZN7rocprim17ROCPRIM_400000_NS6detail17trampoline_kernelINS0_14default_configENS1_36segmented_radix_sort_config_selectorI12hip_bfloat16lEEZNS1_25segmented_radix_sort_implIS3_Lb1EPKS5_PS5_PKlPlN2at6native12_GLOBAL__N_18offset_tEEE10hipError_tPvRmT1_PNSt15iterator_traitsISL_E10value_typeET2_T3_PNSM_ISR_E10value_typeET4_jRbjT5_SX_jjP12ihipStream_tbEUlT_E2_NS1_11comp_targetILNS1_3genE10ELNS1_11target_archE1201ELNS1_3gpuE5ELNS1_3repE0EEENS1_30default_config_static_selectorELNS0_4arch9wavefront6targetE1EEEvSL_: ; @_ZN7rocprim17ROCPRIM_400000_NS6detail17trampoline_kernelINS0_14default_configENS1_36segmented_radix_sort_config_selectorI12hip_bfloat16lEEZNS1_25segmented_radix_sort_implIS3_Lb1EPKS5_PS5_PKlPlN2at6native12_GLOBAL__N_18offset_tEEE10hipError_tPvRmT1_PNSt15iterator_traitsISL_E10value_typeET2_T3_PNSM_ISR_E10value_typeET4_jRbjT5_SX_jjP12ihipStream_tbEUlT_E2_NS1_11comp_targetILNS1_3genE10ELNS1_11target_archE1201ELNS1_3gpuE5ELNS1_3repE0EEENS1_30default_config_static_selectorELNS0_4arch9wavefront6targetE1EEEvSL_
; %bb.0:
	.section	.rodata,"a",@progbits
	.p2align	6, 0x0
	.amdhsa_kernel _ZN7rocprim17ROCPRIM_400000_NS6detail17trampoline_kernelINS0_14default_configENS1_36segmented_radix_sort_config_selectorI12hip_bfloat16lEEZNS1_25segmented_radix_sort_implIS3_Lb1EPKS5_PS5_PKlPlN2at6native12_GLOBAL__N_18offset_tEEE10hipError_tPvRmT1_PNSt15iterator_traitsISL_E10value_typeET2_T3_PNSM_ISR_E10value_typeET4_jRbjT5_SX_jjP12ihipStream_tbEUlT_E2_NS1_11comp_targetILNS1_3genE10ELNS1_11target_archE1201ELNS1_3gpuE5ELNS1_3repE0EEENS1_30default_config_static_selectorELNS0_4arch9wavefront6targetE1EEEvSL_
		.amdhsa_group_segment_fixed_size 0
		.amdhsa_private_segment_fixed_size 0
		.amdhsa_kernarg_size 80
		.amdhsa_user_sgpr_count 6
		.amdhsa_user_sgpr_private_segment_buffer 1
		.amdhsa_user_sgpr_dispatch_ptr 0
		.amdhsa_user_sgpr_queue_ptr 0
		.amdhsa_user_sgpr_kernarg_segment_ptr 1
		.amdhsa_user_sgpr_dispatch_id 0
		.amdhsa_user_sgpr_flat_scratch_init 0
		.amdhsa_user_sgpr_kernarg_preload_length 0
		.amdhsa_user_sgpr_kernarg_preload_offset 0
		.amdhsa_user_sgpr_private_segment_size 0
		.amdhsa_uses_dynamic_stack 0
		.amdhsa_system_sgpr_private_segment_wavefront_offset 0
		.amdhsa_system_sgpr_workgroup_id_x 1
		.amdhsa_system_sgpr_workgroup_id_y 0
		.amdhsa_system_sgpr_workgroup_id_z 0
		.amdhsa_system_sgpr_workgroup_info 0
		.amdhsa_system_vgpr_workitem_id 0
		.amdhsa_next_free_vgpr 1
		.amdhsa_next_free_sgpr 0
		.amdhsa_accum_offset 4
		.amdhsa_reserve_vcc 0
		.amdhsa_reserve_flat_scratch 0
		.amdhsa_float_round_mode_32 0
		.amdhsa_float_round_mode_16_64 0
		.amdhsa_float_denorm_mode_32 3
		.amdhsa_float_denorm_mode_16_64 3
		.amdhsa_dx10_clamp 1
		.amdhsa_ieee_mode 1
		.amdhsa_fp16_overflow 0
		.amdhsa_tg_split 0
		.amdhsa_exception_fp_ieee_invalid_op 0
		.amdhsa_exception_fp_denorm_src 0
		.amdhsa_exception_fp_ieee_div_zero 0
		.amdhsa_exception_fp_ieee_overflow 0
		.amdhsa_exception_fp_ieee_underflow 0
		.amdhsa_exception_fp_ieee_inexact 0
		.amdhsa_exception_int_div_zero 0
	.end_amdhsa_kernel
	.section	.text._ZN7rocprim17ROCPRIM_400000_NS6detail17trampoline_kernelINS0_14default_configENS1_36segmented_radix_sort_config_selectorI12hip_bfloat16lEEZNS1_25segmented_radix_sort_implIS3_Lb1EPKS5_PS5_PKlPlN2at6native12_GLOBAL__N_18offset_tEEE10hipError_tPvRmT1_PNSt15iterator_traitsISL_E10value_typeET2_T3_PNSM_ISR_E10value_typeET4_jRbjT5_SX_jjP12ihipStream_tbEUlT_E2_NS1_11comp_targetILNS1_3genE10ELNS1_11target_archE1201ELNS1_3gpuE5ELNS1_3repE0EEENS1_30default_config_static_selectorELNS0_4arch9wavefront6targetE1EEEvSL_,"axG",@progbits,_ZN7rocprim17ROCPRIM_400000_NS6detail17trampoline_kernelINS0_14default_configENS1_36segmented_radix_sort_config_selectorI12hip_bfloat16lEEZNS1_25segmented_radix_sort_implIS3_Lb1EPKS5_PS5_PKlPlN2at6native12_GLOBAL__N_18offset_tEEE10hipError_tPvRmT1_PNSt15iterator_traitsISL_E10value_typeET2_T3_PNSM_ISR_E10value_typeET4_jRbjT5_SX_jjP12ihipStream_tbEUlT_E2_NS1_11comp_targetILNS1_3genE10ELNS1_11target_archE1201ELNS1_3gpuE5ELNS1_3repE0EEENS1_30default_config_static_selectorELNS0_4arch9wavefront6targetE1EEEvSL_,comdat
.Lfunc_end1979:
	.size	_ZN7rocprim17ROCPRIM_400000_NS6detail17trampoline_kernelINS0_14default_configENS1_36segmented_radix_sort_config_selectorI12hip_bfloat16lEEZNS1_25segmented_radix_sort_implIS3_Lb1EPKS5_PS5_PKlPlN2at6native12_GLOBAL__N_18offset_tEEE10hipError_tPvRmT1_PNSt15iterator_traitsISL_E10value_typeET2_T3_PNSM_ISR_E10value_typeET4_jRbjT5_SX_jjP12ihipStream_tbEUlT_E2_NS1_11comp_targetILNS1_3genE10ELNS1_11target_archE1201ELNS1_3gpuE5ELNS1_3repE0EEENS1_30default_config_static_selectorELNS0_4arch9wavefront6targetE1EEEvSL_, .Lfunc_end1979-_ZN7rocprim17ROCPRIM_400000_NS6detail17trampoline_kernelINS0_14default_configENS1_36segmented_radix_sort_config_selectorI12hip_bfloat16lEEZNS1_25segmented_radix_sort_implIS3_Lb1EPKS5_PS5_PKlPlN2at6native12_GLOBAL__N_18offset_tEEE10hipError_tPvRmT1_PNSt15iterator_traitsISL_E10value_typeET2_T3_PNSM_ISR_E10value_typeET4_jRbjT5_SX_jjP12ihipStream_tbEUlT_E2_NS1_11comp_targetILNS1_3genE10ELNS1_11target_archE1201ELNS1_3gpuE5ELNS1_3repE0EEENS1_30default_config_static_selectorELNS0_4arch9wavefront6targetE1EEEvSL_
                                        ; -- End function
	.section	.AMDGPU.csdata,"",@progbits
; Kernel info:
; codeLenInByte = 0
; NumSgprs: 4
; NumVgprs: 0
; NumAgprs: 0
; TotalNumVgprs: 0
; ScratchSize: 0
; MemoryBound: 0
; FloatMode: 240
; IeeeMode: 1
; LDSByteSize: 0 bytes/workgroup (compile time only)
; SGPRBlocks: 0
; VGPRBlocks: 0
; NumSGPRsForWavesPerEU: 4
; NumVGPRsForWavesPerEU: 1
; AccumOffset: 4
; Occupancy: 8
; WaveLimiterHint : 0
; COMPUTE_PGM_RSRC2:SCRATCH_EN: 0
; COMPUTE_PGM_RSRC2:USER_SGPR: 6
; COMPUTE_PGM_RSRC2:TRAP_HANDLER: 0
; COMPUTE_PGM_RSRC2:TGID_X_EN: 1
; COMPUTE_PGM_RSRC2:TGID_Y_EN: 0
; COMPUTE_PGM_RSRC2:TGID_Z_EN: 0
; COMPUTE_PGM_RSRC2:TIDIG_COMP_CNT: 0
; COMPUTE_PGM_RSRC3_GFX90A:ACCUM_OFFSET: 0
; COMPUTE_PGM_RSRC3_GFX90A:TG_SPLIT: 0
	.section	.text._ZN7rocprim17ROCPRIM_400000_NS6detail17trampoline_kernelINS0_14default_configENS1_36segmented_radix_sort_config_selectorI12hip_bfloat16lEEZNS1_25segmented_radix_sort_implIS3_Lb1EPKS5_PS5_PKlPlN2at6native12_GLOBAL__N_18offset_tEEE10hipError_tPvRmT1_PNSt15iterator_traitsISL_E10value_typeET2_T3_PNSM_ISR_E10value_typeET4_jRbjT5_SX_jjP12ihipStream_tbEUlT_E2_NS1_11comp_targetILNS1_3genE10ELNS1_11target_archE1200ELNS1_3gpuE4ELNS1_3repE0EEENS1_30default_config_static_selectorELNS0_4arch9wavefront6targetE1EEEvSL_,"axG",@progbits,_ZN7rocprim17ROCPRIM_400000_NS6detail17trampoline_kernelINS0_14default_configENS1_36segmented_radix_sort_config_selectorI12hip_bfloat16lEEZNS1_25segmented_radix_sort_implIS3_Lb1EPKS5_PS5_PKlPlN2at6native12_GLOBAL__N_18offset_tEEE10hipError_tPvRmT1_PNSt15iterator_traitsISL_E10value_typeET2_T3_PNSM_ISR_E10value_typeET4_jRbjT5_SX_jjP12ihipStream_tbEUlT_E2_NS1_11comp_targetILNS1_3genE10ELNS1_11target_archE1200ELNS1_3gpuE4ELNS1_3repE0EEENS1_30default_config_static_selectorELNS0_4arch9wavefront6targetE1EEEvSL_,comdat
	.globl	_ZN7rocprim17ROCPRIM_400000_NS6detail17trampoline_kernelINS0_14default_configENS1_36segmented_radix_sort_config_selectorI12hip_bfloat16lEEZNS1_25segmented_radix_sort_implIS3_Lb1EPKS5_PS5_PKlPlN2at6native12_GLOBAL__N_18offset_tEEE10hipError_tPvRmT1_PNSt15iterator_traitsISL_E10value_typeET2_T3_PNSM_ISR_E10value_typeET4_jRbjT5_SX_jjP12ihipStream_tbEUlT_E2_NS1_11comp_targetILNS1_3genE10ELNS1_11target_archE1200ELNS1_3gpuE4ELNS1_3repE0EEENS1_30default_config_static_selectorELNS0_4arch9wavefront6targetE1EEEvSL_ ; -- Begin function _ZN7rocprim17ROCPRIM_400000_NS6detail17trampoline_kernelINS0_14default_configENS1_36segmented_radix_sort_config_selectorI12hip_bfloat16lEEZNS1_25segmented_radix_sort_implIS3_Lb1EPKS5_PS5_PKlPlN2at6native12_GLOBAL__N_18offset_tEEE10hipError_tPvRmT1_PNSt15iterator_traitsISL_E10value_typeET2_T3_PNSM_ISR_E10value_typeET4_jRbjT5_SX_jjP12ihipStream_tbEUlT_E2_NS1_11comp_targetILNS1_3genE10ELNS1_11target_archE1200ELNS1_3gpuE4ELNS1_3repE0EEENS1_30default_config_static_selectorELNS0_4arch9wavefront6targetE1EEEvSL_
	.p2align	8
	.type	_ZN7rocprim17ROCPRIM_400000_NS6detail17trampoline_kernelINS0_14default_configENS1_36segmented_radix_sort_config_selectorI12hip_bfloat16lEEZNS1_25segmented_radix_sort_implIS3_Lb1EPKS5_PS5_PKlPlN2at6native12_GLOBAL__N_18offset_tEEE10hipError_tPvRmT1_PNSt15iterator_traitsISL_E10value_typeET2_T3_PNSM_ISR_E10value_typeET4_jRbjT5_SX_jjP12ihipStream_tbEUlT_E2_NS1_11comp_targetILNS1_3genE10ELNS1_11target_archE1200ELNS1_3gpuE4ELNS1_3repE0EEENS1_30default_config_static_selectorELNS0_4arch9wavefront6targetE1EEEvSL_,@function
_ZN7rocprim17ROCPRIM_400000_NS6detail17trampoline_kernelINS0_14default_configENS1_36segmented_radix_sort_config_selectorI12hip_bfloat16lEEZNS1_25segmented_radix_sort_implIS3_Lb1EPKS5_PS5_PKlPlN2at6native12_GLOBAL__N_18offset_tEEE10hipError_tPvRmT1_PNSt15iterator_traitsISL_E10value_typeET2_T3_PNSM_ISR_E10value_typeET4_jRbjT5_SX_jjP12ihipStream_tbEUlT_E2_NS1_11comp_targetILNS1_3genE10ELNS1_11target_archE1200ELNS1_3gpuE4ELNS1_3repE0EEENS1_30default_config_static_selectorELNS0_4arch9wavefront6targetE1EEEvSL_: ; @_ZN7rocprim17ROCPRIM_400000_NS6detail17trampoline_kernelINS0_14default_configENS1_36segmented_radix_sort_config_selectorI12hip_bfloat16lEEZNS1_25segmented_radix_sort_implIS3_Lb1EPKS5_PS5_PKlPlN2at6native12_GLOBAL__N_18offset_tEEE10hipError_tPvRmT1_PNSt15iterator_traitsISL_E10value_typeET2_T3_PNSM_ISR_E10value_typeET4_jRbjT5_SX_jjP12ihipStream_tbEUlT_E2_NS1_11comp_targetILNS1_3genE10ELNS1_11target_archE1200ELNS1_3gpuE4ELNS1_3repE0EEENS1_30default_config_static_selectorELNS0_4arch9wavefront6targetE1EEEvSL_
; %bb.0:
	.section	.rodata,"a",@progbits
	.p2align	6, 0x0
	.amdhsa_kernel _ZN7rocprim17ROCPRIM_400000_NS6detail17trampoline_kernelINS0_14default_configENS1_36segmented_radix_sort_config_selectorI12hip_bfloat16lEEZNS1_25segmented_radix_sort_implIS3_Lb1EPKS5_PS5_PKlPlN2at6native12_GLOBAL__N_18offset_tEEE10hipError_tPvRmT1_PNSt15iterator_traitsISL_E10value_typeET2_T3_PNSM_ISR_E10value_typeET4_jRbjT5_SX_jjP12ihipStream_tbEUlT_E2_NS1_11comp_targetILNS1_3genE10ELNS1_11target_archE1200ELNS1_3gpuE4ELNS1_3repE0EEENS1_30default_config_static_selectorELNS0_4arch9wavefront6targetE1EEEvSL_
		.amdhsa_group_segment_fixed_size 0
		.amdhsa_private_segment_fixed_size 0
		.amdhsa_kernarg_size 80
		.amdhsa_user_sgpr_count 6
		.amdhsa_user_sgpr_private_segment_buffer 1
		.amdhsa_user_sgpr_dispatch_ptr 0
		.amdhsa_user_sgpr_queue_ptr 0
		.amdhsa_user_sgpr_kernarg_segment_ptr 1
		.amdhsa_user_sgpr_dispatch_id 0
		.amdhsa_user_sgpr_flat_scratch_init 0
		.amdhsa_user_sgpr_kernarg_preload_length 0
		.amdhsa_user_sgpr_kernarg_preload_offset 0
		.amdhsa_user_sgpr_private_segment_size 0
		.amdhsa_uses_dynamic_stack 0
		.amdhsa_system_sgpr_private_segment_wavefront_offset 0
		.amdhsa_system_sgpr_workgroup_id_x 1
		.amdhsa_system_sgpr_workgroup_id_y 0
		.amdhsa_system_sgpr_workgroup_id_z 0
		.amdhsa_system_sgpr_workgroup_info 0
		.amdhsa_system_vgpr_workitem_id 0
		.amdhsa_next_free_vgpr 1
		.amdhsa_next_free_sgpr 0
		.amdhsa_accum_offset 4
		.amdhsa_reserve_vcc 0
		.amdhsa_reserve_flat_scratch 0
		.amdhsa_float_round_mode_32 0
		.amdhsa_float_round_mode_16_64 0
		.amdhsa_float_denorm_mode_32 3
		.amdhsa_float_denorm_mode_16_64 3
		.amdhsa_dx10_clamp 1
		.amdhsa_ieee_mode 1
		.amdhsa_fp16_overflow 0
		.amdhsa_tg_split 0
		.amdhsa_exception_fp_ieee_invalid_op 0
		.amdhsa_exception_fp_denorm_src 0
		.amdhsa_exception_fp_ieee_div_zero 0
		.amdhsa_exception_fp_ieee_overflow 0
		.amdhsa_exception_fp_ieee_underflow 0
		.amdhsa_exception_fp_ieee_inexact 0
		.amdhsa_exception_int_div_zero 0
	.end_amdhsa_kernel
	.section	.text._ZN7rocprim17ROCPRIM_400000_NS6detail17trampoline_kernelINS0_14default_configENS1_36segmented_radix_sort_config_selectorI12hip_bfloat16lEEZNS1_25segmented_radix_sort_implIS3_Lb1EPKS5_PS5_PKlPlN2at6native12_GLOBAL__N_18offset_tEEE10hipError_tPvRmT1_PNSt15iterator_traitsISL_E10value_typeET2_T3_PNSM_ISR_E10value_typeET4_jRbjT5_SX_jjP12ihipStream_tbEUlT_E2_NS1_11comp_targetILNS1_3genE10ELNS1_11target_archE1200ELNS1_3gpuE4ELNS1_3repE0EEENS1_30default_config_static_selectorELNS0_4arch9wavefront6targetE1EEEvSL_,"axG",@progbits,_ZN7rocprim17ROCPRIM_400000_NS6detail17trampoline_kernelINS0_14default_configENS1_36segmented_radix_sort_config_selectorI12hip_bfloat16lEEZNS1_25segmented_radix_sort_implIS3_Lb1EPKS5_PS5_PKlPlN2at6native12_GLOBAL__N_18offset_tEEE10hipError_tPvRmT1_PNSt15iterator_traitsISL_E10value_typeET2_T3_PNSM_ISR_E10value_typeET4_jRbjT5_SX_jjP12ihipStream_tbEUlT_E2_NS1_11comp_targetILNS1_3genE10ELNS1_11target_archE1200ELNS1_3gpuE4ELNS1_3repE0EEENS1_30default_config_static_selectorELNS0_4arch9wavefront6targetE1EEEvSL_,comdat
.Lfunc_end1980:
	.size	_ZN7rocprim17ROCPRIM_400000_NS6detail17trampoline_kernelINS0_14default_configENS1_36segmented_radix_sort_config_selectorI12hip_bfloat16lEEZNS1_25segmented_radix_sort_implIS3_Lb1EPKS5_PS5_PKlPlN2at6native12_GLOBAL__N_18offset_tEEE10hipError_tPvRmT1_PNSt15iterator_traitsISL_E10value_typeET2_T3_PNSM_ISR_E10value_typeET4_jRbjT5_SX_jjP12ihipStream_tbEUlT_E2_NS1_11comp_targetILNS1_3genE10ELNS1_11target_archE1200ELNS1_3gpuE4ELNS1_3repE0EEENS1_30default_config_static_selectorELNS0_4arch9wavefront6targetE1EEEvSL_, .Lfunc_end1980-_ZN7rocprim17ROCPRIM_400000_NS6detail17trampoline_kernelINS0_14default_configENS1_36segmented_radix_sort_config_selectorI12hip_bfloat16lEEZNS1_25segmented_radix_sort_implIS3_Lb1EPKS5_PS5_PKlPlN2at6native12_GLOBAL__N_18offset_tEEE10hipError_tPvRmT1_PNSt15iterator_traitsISL_E10value_typeET2_T3_PNSM_ISR_E10value_typeET4_jRbjT5_SX_jjP12ihipStream_tbEUlT_E2_NS1_11comp_targetILNS1_3genE10ELNS1_11target_archE1200ELNS1_3gpuE4ELNS1_3repE0EEENS1_30default_config_static_selectorELNS0_4arch9wavefront6targetE1EEEvSL_
                                        ; -- End function
	.section	.AMDGPU.csdata,"",@progbits
; Kernel info:
; codeLenInByte = 0
; NumSgprs: 4
; NumVgprs: 0
; NumAgprs: 0
; TotalNumVgprs: 0
; ScratchSize: 0
; MemoryBound: 0
; FloatMode: 240
; IeeeMode: 1
; LDSByteSize: 0 bytes/workgroup (compile time only)
; SGPRBlocks: 0
; VGPRBlocks: 0
; NumSGPRsForWavesPerEU: 4
; NumVGPRsForWavesPerEU: 1
; AccumOffset: 4
; Occupancy: 8
; WaveLimiterHint : 0
; COMPUTE_PGM_RSRC2:SCRATCH_EN: 0
; COMPUTE_PGM_RSRC2:USER_SGPR: 6
; COMPUTE_PGM_RSRC2:TRAP_HANDLER: 0
; COMPUTE_PGM_RSRC2:TGID_X_EN: 1
; COMPUTE_PGM_RSRC2:TGID_Y_EN: 0
; COMPUTE_PGM_RSRC2:TGID_Z_EN: 0
; COMPUTE_PGM_RSRC2:TIDIG_COMP_CNT: 0
; COMPUTE_PGM_RSRC3_GFX90A:ACCUM_OFFSET: 0
; COMPUTE_PGM_RSRC3_GFX90A:TG_SPLIT: 0
	.section	.text._ZN7rocprim17ROCPRIM_400000_NS6detail17trampoline_kernelINS0_14default_configENS1_36segmented_radix_sort_config_selectorI12hip_bfloat16lEEZNS1_25segmented_radix_sort_implIS3_Lb1EPKS5_PS5_PKlPlN2at6native12_GLOBAL__N_18offset_tEEE10hipError_tPvRmT1_PNSt15iterator_traitsISL_E10value_typeET2_T3_PNSM_ISR_E10value_typeET4_jRbjT5_SX_jjP12ihipStream_tbEUlT_E2_NS1_11comp_targetILNS1_3genE9ELNS1_11target_archE1100ELNS1_3gpuE3ELNS1_3repE0EEENS1_30default_config_static_selectorELNS0_4arch9wavefront6targetE1EEEvSL_,"axG",@progbits,_ZN7rocprim17ROCPRIM_400000_NS6detail17trampoline_kernelINS0_14default_configENS1_36segmented_radix_sort_config_selectorI12hip_bfloat16lEEZNS1_25segmented_radix_sort_implIS3_Lb1EPKS5_PS5_PKlPlN2at6native12_GLOBAL__N_18offset_tEEE10hipError_tPvRmT1_PNSt15iterator_traitsISL_E10value_typeET2_T3_PNSM_ISR_E10value_typeET4_jRbjT5_SX_jjP12ihipStream_tbEUlT_E2_NS1_11comp_targetILNS1_3genE9ELNS1_11target_archE1100ELNS1_3gpuE3ELNS1_3repE0EEENS1_30default_config_static_selectorELNS0_4arch9wavefront6targetE1EEEvSL_,comdat
	.globl	_ZN7rocprim17ROCPRIM_400000_NS6detail17trampoline_kernelINS0_14default_configENS1_36segmented_radix_sort_config_selectorI12hip_bfloat16lEEZNS1_25segmented_radix_sort_implIS3_Lb1EPKS5_PS5_PKlPlN2at6native12_GLOBAL__N_18offset_tEEE10hipError_tPvRmT1_PNSt15iterator_traitsISL_E10value_typeET2_T3_PNSM_ISR_E10value_typeET4_jRbjT5_SX_jjP12ihipStream_tbEUlT_E2_NS1_11comp_targetILNS1_3genE9ELNS1_11target_archE1100ELNS1_3gpuE3ELNS1_3repE0EEENS1_30default_config_static_selectorELNS0_4arch9wavefront6targetE1EEEvSL_ ; -- Begin function _ZN7rocprim17ROCPRIM_400000_NS6detail17trampoline_kernelINS0_14default_configENS1_36segmented_radix_sort_config_selectorI12hip_bfloat16lEEZNS1_25segmented_radix_sort_implIS3_Lb1EPKS5_PS5_PKlPlN2at6native12_GLOBAL__N_18offset_tEEE10hipError_tPvRmT1_PNSt15iterator_traitsISL_E10value_typeET2_T3_PNSM_ISR_E10value_typeET4_jRbjT5_SX_jjP12ihipStream_tbEUlT_E2_NS1_11comp_targetILNS1_3genE9ELNS1_11target_archE1100ELNS1_3gpuE3ELNS1_3repE0EEENS1_30default_config_static_selectorELNS0_4arch9wavefront6targetE1EEEvSL_
	.p2align	8
	.type	_ZN7rocprim17ROCPRIM_400000_NS6detail17trampoline_kernelINS0_14default_configENS1_36segmented_radix_sort_config_selectorI12hip_bfloat16lEEZNS1_25segmented_radix_sort_implIS3_Lb1EPKS5_PS5_PKlPlN2at6native12_GLOBAL__N_18offset_tEEE10hipError_tPvRmT1_PNSt15iterator_traitsISL_E10value_typeET2_T3_PNSM_ISR_E10value_typeET4_jRbjT5_SX_jjP12ihipStream_tbEUlT_E2_NS1_11comp_targetILNS1_3genE9ELNS1_11target_archE1100ELNS1_3gpuE3ELNS1_3repE0EEENS1_30default_config_static_selectorELNS0_4arch9wavefront6targetE1EEEvSL_,@function
_ZN7rocprim17ROCPRIM_400000_NS6detail17trampoline_kernelINS0_14default_configENS1_36segmented_radix_sort_config_selectorI12hip_bfloat16lEEZNS1_25segmented_radix_sort_implIS3_Lb1EPKS5_PS5_PKlPlN2at6native12_GLOBAL__N_18offset_tEEE10hipError_tPvRmT1_PNSt15iterator_traitsISL_E10value_typeET2_T3_PNSM_ISR_E10value_typeET4_jRbjT5_SX_jjP12ihipStream_tbEUlT_E2_NS1_11comp_targetILNS1_3genE9ELNS1_11target_archE1100ELNS1_3gpuE3ELNS1_3repE0EEENS1_30default_config_static_selectorELNS0_4arch9wavefront6targetE1EEEvSL_: ; @_ZN7rocprim17ROCPRIM_400000_NS6detail17trampoline_kernelINS0_14default_configENS1_36segmented_radix_sort_config_selectorI12hip_bfloat16lEEZNS1_25segmented_radix_sort_implIS3_Lb1EPKS5_PS5_PKlPlN2at6native12_GLOBAL__N_18offset_tEEE10hipError_tPvRmT1_PNSt15iterator_traitsISL_E10value_typeET2_T3_PNSM_ISR_E10value_typeET4_jRbjT5_SX_jjP12ihipStream_tbEUlT_E2_NS1_11comp_targetILNS1_3genE9ELNS1_11target_archE1100ELNS1_3gpuE3ELNS1_3repE0EEENS1_30default_config_static_selectorELNS0_4arch9wavefront6targetE1EEEvSL_
; %bb.0:
	.section	.rodata,"a",@progbits
	.p2align	6, 0x0
	.amdhsa_kernel _ZN7rocprim17ROCPRIM_400000_NS6detail17trampoline_kernelINS0_14default_configENS1_36segmented_radix_sort_config_selectorI12hip_bfloat16lEEZNS1_25segmented_radix_sort_implIS3_Lb1EPKS5_PS5_PKlPlN2at6native12_GLOBAL__N_18offset_tEEE10hipError_tPvRmT1_PNSt15iterator_traitsISL_E10value_typeET2_T3_PNSM_ISR_E10value_typeET4_jRbjT5_SX_jjP12ihipStream_tbEUlT_E2_NS1_11comp_targetILNS1_3genE9ELNS1_11target_archE1100ELNS1_3gpuE3ELNS1_3repE0EEENS1_30default_config_static_selectorELNS0_4arch9wavefront6targetE1EEEvSL_
		.amdhsa_group_segment_fixed_size 0
		.amdhsa_private_segment_fixed_size 0
		.amdhsa_kernarg_size 80
		.amdhsa_user_sgpr_count 6
		.amdhsa_user_sgpr_private_segment_buffer 1
		.amdhsa_user_sgpr_dispatch_ptr 0
		.amdhsa_user_sgpr_queue_ptr 0
		.amdhsa_user_sgpr_kernarg_segment_ptr 1
		.amdhsa_user_sgpr_dispatch_id 0
		.amdhsa_user_sgpr_flat_scratch_init 0
		.amdhsa_user_sgpr_kernarg_preload_length 0
		.amdhsa_user_sgpr_kernarg_preload_offset 0
		.amdhsa_user_sgpr_private_segment_size 0
		.amdhsa_uses_dynamic_stack 0
		.amdhsa_system_sgpr_private_segment_wavefront_offset 0
		.amdhsa_system_sgpr_workgroup_id_x 1
		.amdhsa_system_sgpr_workgroup_id_y 0
		.amdhsa_system_sgpr_workgroup_id_z 0
		.amdhsa_system_sgpr_workgroup_info 0
		.amdhsa_system_vgpr_workitem_id 0
		.amdhsa_next_free_vgpr 1
		.amdhsa_next_free_sgpr 0
		.amdhsa_accum_offset 4
		.amdhsa_reserve_vcc 0
		.amdhsa_reserve_flat_scratch 0
		.amdhsa_float_round_mode_32 0
		.amdhsa_float_round_mode_16_64 0
		.amdhsa_float_denorm_mode_32 3
		.amdhsa_float_denorm_mode_16_64 3
		.amdhsa_dx10_clamp 1
		.amdhsa_ieee_mode 1
		.amdhsa_fp16_overflow 0
		.amdhsa_tg_split 0
		.amdhsa_exception_fp_ieee_invalid_op 0
		.amdhsa_exception_fp_denorm_src 0
		.amdhsa_exception_fp_ieee_div_zero 0
		.amdhsa_exception_fp_ieee_overflow 0
		.amdhsa_exception_fp_ieee_underflow 0
		.amdhsa_exception_fp_ieee_inexact 0
		.amdhsa_exception_int_div_zero 0
	.end_amdhsa_kernel
	.section	.text._ZN7rocprim17ROCPRIM_400000_NS6detail17trampoline_kernelINS0_14default_configENS1_36segmented_radix_sort_config_selectorI12hip_bfloat16lEEZNS1_25segmented_radix_sort_implIS3_Lb1EPKS5_PS5_PKlPlN2at6native12_GLOBAL__N_18offset_tEEE10hipError_tPvRmT1_PNSt15iterator_traitsISL_E10value_typeET2_T3_PNSM_ISR_E10value_typeET4_jRbjT5_SX_jjP12ihipStream_tbEUlT_E2_NS1_11comp_targetILNS1_3genE9ELNS1_11target_archE1100ELNS1_3gpuE3ELNS1_3repE0EEENS1_30default_config_static_selectorELNS0_4arch9wavefront6targetE1EEEvSL_,"axG",@progbits,_ZN7rocprim17ROCPRIM_400000_NS6detail17trampoline_kernelINS0_14default_configENS1_36segmented_radix_sort_config_selectorI12hip_bfloat16lEEZNS1_25segmented_radix_sort_implIS3_Lb1EPKS5_PS5_PKlPlN2at6native12_GLOBAL__N_18offset_tEEE10hipError_tPvRmT1_PNSt15iterator_traitsISL_E10value_typeET2_T3_PNSM_ISR_E10value_typeET4_jRbjT5_SX_jjP12ihipStream_tbEUlT_E2_NS1_11comp_targetILNS1_3genE9ELNS1_11target_archE1100ELNS1_3gpuE3ELNS1_3repE0EEENS1_30default_config_static_selectorELNS0_4arch9wavefront6targetE1EEEvSL_,comdat
.Lfunc_end1981:
	.size	_ZN7rocprim17ROCPRIM_400000_NS6detail17trampoline_kernelINS0_14default_configENS1_36segmented_radix_sort_config_selectorI12hip_bfloat16lEEZNS1_25segmented_radix_sort_implIS3_Lb1EPKS5_PS5_PKlPlN2at6native12_GLOBAL__N_18offset_tEEE10hipError_tPvRmT1_PNSt15iterator_traitsISL_E10value_typeET2_T3_PNSM_ISR_E10value_typeET4_jRbjT5_SX_jjP12ihipStream_tbEUlT_E2_NS1_11comp_targetILNS1_3genE9ELNS1_11target_archE1100ELNS1_3gpuE3ELNS1_3repE0EEENS1_30default_config_static_selectorELNS0_4arch9wavefront6targetE1EEEvSL_, .Lfunc_end1981-_ZN7rocprim17ROCPRIM_400000_NS6detail17trampoline_kernelINS0_14default_configENS1_36segmented_radix_sort_config_selectorI12hip_bfloat16lEEZNS1_25segmented_radix_sort_implIS3_Lb1EPKS5_PS5_PKlPlN2at6native12_GLOBAL__N_18offset_tEEE10hipError_tPvRmT1_PNSt15iterator_traitsISL_E10value_typeET2_T3_PNSM_ISR_E10value_typeET4_jRbjT5_SX_jjP12ihipStream_tbEUlT_E2_NS1_11comp_targetILNS1_3genE9ELNS1_11target_archE1100ELNS1_3gpuE3ELNS1_3repE0EEENS1_30default_config_static_selectorELNS0_4arch9wavefront6targetE1EEEvSL_
                                        ; -- End function
	.section	.AMDGPU.csdata,"",@progbits
; Kernel info:
; codeLenInByte = 0
; NumSgprs: 4
; NumVgprs: 0
; NumAgprs: 0
; TotalNumVgprs: 0
; ScratchSize: 0
; MemoryBound: 0
; FloatMode: 240
; IeeeMode: 1
; LDSByteSize: 0 bytes/workgroup (compile time only)
; SGPRBlocks: 0
; VGPRBlocks: 0
; NumSGPRsForWavesPerEU: 4
; NumVGPRsForWavesPerEU: 1
; AccumOffset: 4
; Occupancy: 8
; WaveLimiterHint : 0
; COMPUTE_PGM_RSRC2:SCRATCH_EN: 0
; COMPUTE_PGM_RSRC2:USER_SGPR: 6
; COMPUTE_PGM_RSRC2:TRAP_HANDLER: 0
; COMPUTE_PGM_RSRC2:TGID_X_EN: 1
; COMPUTE_PGM_RSRC2:TGID_Y_EN: 0
; COMPUTE_PGM_RSRC2:TGID_Z_EN: 0
; COMPUTE_PGM_RSRC2:TIDIG_COMP_CNT: 0
; COMPUTE_PGM_RSRC3_GFX90A:ACCUM_OFFSET: 0
; COMPUTE_PGM_RSRC3_GFX90A:TG_SPLIT: 0
	.section	.text._ZN7rocprim17ROCPRIM_400000_NS6detail17trampoline_kernelINS0_14default_configENS1_36segmented_radix_sort_config_selectorI12hip_bfloat16lEEZNS1_25segmented_radix_sort_implIS3_Lb1EPKS5_PS5_PKlPlN2at6native12_GLOBAL__N_18offset_tEEE10hipError_tPvRmT1_PNSt15iterator_traitsISL_E10value_typeET2_T3_PNSM_ISR_E10value_typeET4_jRbjT5_SX_jjP12ihipStream_tbEUlT_E2_NS1_11comp_targetILNS1_3genE8ELNS1_11target_archE1030ELNS1_3gpuE2ELNS1_3repE0EEENS1_30default_config_static_selectorELNS0_4arch9wavefront6targetE1EEEvSL_,"axG",@progbits,_ZN7rocprim17ROCPRIM_400000_NS6detail17trampoline_kernelINS0_14default_configENS1_36segmented_radix_sort_config_selectorI12hip_bfloat16lEEZNS1_25segmented_radix_sort_implIS3_Lb1EPKS5_PS5_PKlPlN2at6native12_GLOBAL__N_18offset_tEEE10hipError_tPvRmT1_PNSt15iterator_traitsISL_E10value_typeET2_T3_PNSM_ISR_E10value_typeET4_jRbjT5_SX_jjP12ihipStream_tbEUlT_E2_NS1_11comp_targetILNS1_3genE8ELNS1_11target_archE1030ELNS1_3gpuE2ELNS1_3repE0EEENS1_30default_config_static_selectorELNS0_4arch9wavefront6targetE1EEEvSL_,comdat
	.globl	_ZN7rocprim17ROCPRIM_400000_NS6detail17trampoline_kernelINS0_14default_configENS1_36segmented_radix_sort_config_selectorI12hip_bfloat16lEEZNS1_25segmented_radix_sort_implIS3_Lb1EPKS5_PS5_PKlPlN2at6native12_GLOBAL__N_18offset_tEEE10hipError_tPvRmT1_PNSt15iterator_traitsISL_E10value_typeET2_T3_PNSM_ISR_E10value_typeET4_jRbjT5_SX_jjP12ihipStream_tbEUlT_E2_NS1_11comp_targetILNS1_3genE8ELNS1_11target_archE1030ELNS1_3gpuE2ELNS1_3repE0EEENS1_30default_config_static_selectorELNS0_4arch9wavefront6targetE1EEEvSL_ ; -- Begin function _ZN7rocprim17ROCPRIM_400000_NS6detail17trampoline_kernelINS0_14default_configENS1_36segmented_radix_sort_config_selectorI12hip_bfloat16lEEZNS1_25segmented_radix_sort_implIS3_Lb1EPKS5_PS5_PKlPlN2at6native12_GLOBAL__N_18offset_tEEE10hipError_tPvRmT1_PNSt15iterator_traitsISL_E10value_typeET2_T3_PNSM_ISR_E10value_typeET4_jRbjT5_SX_jjP12ihipStream_tbEUlT_E2_NS1_11comp_targetILNS1_3genE8ELNS1_11target_archE1030ELNS1_3gpuE2ELNS1_3repE0EEENS1_30default_config_static_selectorELNS0_4arch9wavefront6targetE1EEEvSL_
	.p2align	8
	.type	_ZN7rocprim17ROCPRIM_400000_NS6detail17trampoline_kernelINS0_14default_configENS1_36segmented_radix_sort_config_selectorI12hip_bfloat16lEEZNS1_25segmented_radix_sort_implIS3_Lb1EPKS5_PS5_PKlPlN2at6native12_GLOBAL__N_18offset_tEEE10hipError_tPvRmT1_PNSt15iterator_traitsISL_E10value_typeET2_T3_PNSM_ISR_E10value_typeET4_jRbjT5_SX_jjP12ihipStream_tbEUlT_E2_NS1_11comp_targetILNS1_3genE8ELNS1_11target_archE1030ELNS1_3gpuE2ELNS1_3repE0EEENS1_30default_config_static_selectorELNS0_4arch9wavefront6targetE1EEEvSL_,@function
_ZN7rocprim17ROCPRIM_400000_NS6detail17trampoline_kernelINS0_14default_configENS1_36segmented_radix_sort_config_selectorI12hip_bfloat16lEEZNS1_25segmented_radix_sort_implIS3_Lb1EPKS5_PS5_PKlPlN2at6native12_GLOBAL__N_18offset_tEEE10hipError_tPvRmT1_PNSt15iterator_traitsISL_E10value_typeET2_T3_PNSM_ISR_E10value_typeET4_jRbjT5_SX_jjP12ihipStream_tbEUlT_E2_NS1_11comp_targetILNS1_3genE8ELNS1_11target_archE1030ELNS1_3gpuE2ELNS1_3repE0EEENS1_30default_config_static_selectorELNS0_4arch9wavefront6targetE1EEEvSL_: ; @_ZN7rocprim17ROCPRIM_400000_NS6detail17trampoline_kernelINS0_14default_configENS1_36segmented_radix_sort_config_selectorI12hip_bfloat16lEEZNS1_25segmented_radix_sort_implIS3_Lb1EPKS5_PS5_PKlPlN2at6native12_GLOBAL__N_18offset_tEEE10hipError_tPvRmT1_PNSt15iterator_traitsISL_E10value_typeET2_T3_PNSM_ISR_E10value_typeET4_jRbjT5_SX_jjP12ihipStream_tbEUlT_E2_NS1_11comp_targetILNS1_3genE8ELNS1_11target_archE1030ELNS1_3gpuE2ELNS1_3repE0EEENS1_30default_config_static_selectorELNS0_4arch9wavefront6targetE1EEEvSL_
; %bb.0:
	.section	.rodata,"a",@progbits
	.p2align	6, 0x0
	.amdhsa_kernel _ZN7rocprim17ROCPRIM_400000_NS6detail17trampoline_kernelINS0_14default_configENS1_36segmented_radix_sort_config_selectorI12hip_bfloat16lEEZNS1_25segmented_radix_sort_implIS3_Lb1EPKS5_PS5_PKlPlN2at6native12_GLOBAL__N_18offset_tEEE10hipError_tPvRmT1_PNSt15iterator_traitsISL_E10value_typeET2_T3_PNSM_ISR_E10value_typeET4_jRbjT5_SX_jjP12ihipStream_tbEUlT_E2_NS1_11comp_targetILNS1_3genE8ELNS1_11target_archE1030ELNS1_3gpuE2ELNS1_3repE0EEENS1_30default_config_static_selectorELNS0_4arch9wavefront6targetE1EEEvSL_
		.amdhsa_group_segment_fixed_size 0
		.amdhsa_private_segment_fixed_size 0
		.amdhsa_kernarg_size 80
		.amdhsa_user_sgpr_count 6
		.amdhsa_user_sgpr_private_segment_buffer 1
		.amdhsa_user_sgpr_dispatch_ptr 0
		.amdhsa_user_sgpr_queue_ptr 0
		.amdhsa_user_sgpr_kernarg_segment_ptr 1
		.amdhsa_user_sgpr_dispatch_id 0
		.amdhsa_user_sgpr_flat_scratch_init 0
		.amdhsa_user_sgpr_kernarg_preload_length 0
		.amdhsa_user_sgpr_kernarg_preload_offset 0
		.amdhsa_user_sgpr_private_segment_size 0
		.amdhsa_uses_dynamic_stack 0
		.amdhsa_system_sgpr_private_segment_wavefront_offset 0
		.amdhsa_system_sgpr_workgroup_id_x 1
		.amdhsa_system_sgpr_workgroup_id_y 0
		.amdhsa_system_sgpr_workgroup_id_z 0
		.amdhsa_system_sgpr_workgroup_info 0
		.amdhsa_system_vgpr_workitem_id 0
		.amdhsa_next_free_vgpr 1
		.amdhsa_next_free_sgpr 0
		.amdhsa_accum_offset 4
		.amdhsa_reserve_vcc 0
		.amdhsa_reserve_flat_scratch 0
		.amdhsa_float_round_mode_32 0
		.amdhsa_float_round_mode_16_64 0
		.amdhsa_float_denorm_mode_32 3
		.amdhsa_float_denorm_mode_16_64 3
		.amdhsa_dx10_clamp 1
		.amdhsa_ieee_mode 1
		.amdhsa_fp16_overflow 0
		.amdhsa_tg_split 0
		.amdhsa_exception_fp_ieee_invalid_op 0
		.amdhsa_exception_fp_denorm_src 0
		.amdhsa_exception_fp_ieee_div_zero 0
		.amdhsa_exception_fp_ieee_overflow 0
		.amdhsa_exception_fp_ieee_underflow 0
		.amdhsa_exception_fp_ieee_inexact 0
		.amdhsa_exception_int_div_zero 0
	.end_amdhsa_kernel
	.section	.text._ZN7rocprim17ROCPRIM_400000_NS6detail17trampoline_kernelINS0_14default_configENS1_36segmented_radix_sort_config_selectorI12hip_bfloat16lEEZNS1_25segmented_radix_sort_implIS3_Lb1EPKS5_PS5_PKlPlN2at6native12_GLOBAL__N_18offset_tEEE10hipError_tPvRmT1_PNSt15iterator_traitsISL_E10value_typeET2_T3_PNSM_ISR_E10value_typeET4_jRbjT5_SX_jjP12ihipStream_tbEUlT_E2_NS1_11comp_targetILNS1_3genE8ELNS1_11target_archE1030ELNS1_3gpuE2ELNS1_3repE0EEENS1_30default_config_static_selectorELNS0_4arch9wavefront6targetE1EEEvSL_,"axG",@progbits,_ZN7rocprim17ROCPRIM_400000_NS6detail17trampoline_kernelINS0_14default_configENS1_36segmented_radix_sort_config_selectorI12hip_bfloat16lEEZNS1_25segmented_radix_sort_implIS3_Lb1EPKS5_PS5_PKlPlN2at6native12_GLOBAL__N_18offset_tEEE10hipError_tPvRmT1_PNSt15iterator_traitsISL_E10value_typeET2_T3_PNSM_ISR_E10value_typeET4_jRbjT5_SX_jjP12ihipStream_tbEUlT_E2_NS1_11comp_targetILNS1_3genE8ELNS1_11target_archE1030ELNS1_3gpuE2ELNS1_3repE0EEENS1_30default_config_static_selectorELNS0_4arch9wavefront6targetE1EEEvSL_,comdat
.Lfunc_end1982:
	.size	_ZN7rocprim17ROCPRIM_400000_NS6detail17trampoline_kernelINS0_14default_configENS1_36segmented_radix_sort_config_selectorI12hip_bfloat16lEEZNS1_25segmented_radix_sort_implIS3_Lb1EPKS5_PS5_PKlPlN2at6native12_GLOBAL__N_18offset_tEEE10hipError_tPvRmT1_PNSt15iterator_traitsISL_E10value_typeET2_T3_PNSM_ISR_E10value_typeET4_jRbjT5_SX_jjP12ihipStream_tbEUlT_E2_NS1_11comp_targetILNS1_3genE8ELNS1_11target_archE1030ELNS1_3gpuE2ELNS1_3repE0EEENS1_30default_config_static_selectorELNS0_4arch9wavefront6targetE1EEEvSL_, .Lfunc_end1982-_ZN7rocprim17ROCPRIM_400000_NS6detail17trampoline_kernelINS0_14default_configENS1_36segmented_radix_sort_config_selectorI12hip_bfloat16lEEZNS1_25segmented_radix_sort_implIS3_Lb1EPKS5_PS5_PKlPlN2at6native12_GLOBAL__N_18offset_tEEE10hipError_tPvRmT1_PNSt15iterator_traitsISL_E10value_typeET2_T3_PNSM_ISR_E10value_typeET4_jRbjT5_SX_jjP12ihipStream_tbEUlT_E2_NS1_11comp_targetILNS1_3genE8ELNS1_11target_archE1030ELNS1_3gpuE2ELNS1_3repE0EEENS1_30default_config_static_selectorELNS0_4arch9wavefront6targetE1EEEvSL_
                                        ; -- End function
	.section	.AMDGPU.csdata,"",@progbits
; Kernel info:
; codeLenInByte = 0
; NumSgprs: 4
; NumVgprs: 0
; NumAgprs: 0
; TotalNumVgprs: 0
; ScratchSize: 0
; MemoryBound: 0
; FloatMode: 240
; IeeeMode: 1
; LDSByteSize: 0 bytes/workgroup (compile time only)
; SGPRBlocks: 0
; VGPRBlocks: 0
; NumSGPRsForWavesPerEU: 4
; NumVGPRsForWavesPerEU: 1
; AccumOffset: 4
; Occupancy: 8
; WaveLimiterHint : 0
; COMPUTE_PGM_RSRC2:SCRATCH_EN: 0
; COMPUTE_PGM_RSRC2:USER_SGPR: 6
; COMPUTE_PGM_RSRC2:TRAP_HANDLER: 0
; COMPUTE_PGM_RSRC2:TGID_X_EN: 1
; COMPUTE_PGM_RSRC2:TGID_Y_EN: 0
; COMPUTE_PGM_RSRC2:TGID_Z_EN: 0
; COMPUTE_PGM_RSRC2:TIDIG_COMP_CNT: 0
; COMPUTE_PGM_RSRC3_GFX90A:ACCUM_OFFSET: 0
; COMPUTE_PGM_RSRC3_GFX90A:TG_SPLIT: 0
	.section	.text._ZN7rocprim17ROCPRIM_400000_NS6detail17trampoline_kernelINS0_13select_configILj256ELj13ELNS0_17block_load_methodE3ELS4_3ELS4_3ELNS0_20block_scan_algorithmE0ELj4294967295EEENS1_25partition_config_selectorILNS1_17partition_subalgoE4EjNS0_10empty_typeEbEEZZNS1_14partition_implILS8_4ELb0ES6_15HIP_vector_typeIjLj2EENS0_17counting_iteratorIjlEEPS9_SG_NS0_5tupleIJPjSI_NS0_16reverse_iteratorISI_EEEEENSH_IJSG_SG_SG_EEES9_SI_JZNS1_25segmented_radix_sort_implINS0_14default_configELb0EPK12hip_bfloat16PSP_PKlPlN2at6native12_GLOBAL__N_18offset_tEEE10hipError_tPvRmT1_PNSt15iterator_traitsIS13_E10value_typeET2_T3_PNS14_IS19_E10value_typeET4_jRbjT5_S1F_jjP12ihipStream_tbEUljE_ZNSN_ISO_Lb0ESR_SS_SU_SV_SZ_EES10_S11_S12_S13_S17_S18_S19_S1C_S1D_jS1E_jS1F_S1F_jjS1H_bEUljE0_EEES10_S11_S12_S19_S1D_S1F_T6_T7_T9_mT8_S1H_bDpT10_ENKUlT_T0_E_clISt17integral_constantIbLb0EES1V_EEDaS1Q_S1R_EUlS1Q_E_NS1_11comp_targetILNS1_3genE0ELNS1_11target_archE4294967295ELNS1_3gpuE0ELNS1_3repE0EEENS1_30default_config_static_selectorELNS0_4arch9wavefront6targetE1EEEvS13_,"axG",@progbits,_ZN7rocprim17ROCPRIM_400000_NS6detail17trampoline_kernelINS0_13select_configILj256ELj13ELNS0_17block_load_methodE3ELS4_3ELS4_3ELNS0_20block_scan_algorithmE0ELj4294967295EEENS1_25partition_config_selectorILNS1_17partition_subalgoE4EjNS0_10empty_typeEbEEZZNS1_14partition_implILS8_4ELb0ES6_15HIP_vector_typeIjLj2EENS0_17counting_iteratorIjlEEPS9_SG_NS0_5tupleIJPjSI_NS0_16reverse_iteratorISI_EEEEENSH_IJSG_SG_SG_EEES9_SI_JZNS1_25segmented_radix_sort_implINS0_14default_configELb0EPK12hip_bfloat16PSP_PKlPlN2at6native12_GLOBAL__N_18offset_tEEE10hipError_tPvRmT1_PNSt15iterator_traitsIS13_E10value_typeET2_T3_PNS14_IS19_E10value_typeET4_jRbjT5_S1F_jjP12ihipStream_tbEUljE_ZNSN_ISO_Lb0ESR_SS_SU_SV_SZ_EES10_S11_S12_S13_S17_S18_S19_S1C_S1D_jS1E_jS1F_S1F_jjS1H_bEUljE0_EEES10_S11_S12_S19_S1D_S1F_T6_T7_T9_mT8_S1H_bDpT10_ENKUlT_T0_E_clISt17integral_constantIbLb0EES1V_EEDaS1Q_S1R_EUlS1Q_E_NS1_11comp_targetILNS1_3genE0ELNS1_11target_archE4294967295ELNS1_3gpuE0ELNS1_3repE0EEENS1_30default_config_static_selectorELNS0_4arch9wavefront6targetE1EEEvS13_,comdat
	.globl	_ZN7rocprim17ROCPRIM_400000_NS6detail17trampoline_kernelINS0_13select_configILj256ELj13ELNS0_17block_load_methodE3ELS4_3ELS4_3ELNS0_20block_scan_algorithmE0ELj4294967295EEENS1_25partition_config_selectorILNS1_17partition_subalgoE4EjNS0_10empty_typeEbEEZZNS1_14partition_implILS8_4ELb0ES6_15HIP_vector_typeIjLj2EENS0_17counting_iteratorIjlEEPS9_SG_NS0_5tupleIJPjSI_NS0_16reverse_iteratorISI_EEEEENSH_IJSG_SG_SG_EEES9_SI_JZNS1_25segmented_radix_sort_implINS0_14default_configELb0EPK12hip_bfloat16PSP_PKlPlN2at6native12_GLOBAL__N_18offset_tEEE10hipError_tPvRmT1_PNSt15iterator_traitsIS13_E10value_typeET2_T3_PNS14_IS19_E10value_typeET4_jRbjT5_S1F_jjP12ihipStream_tbEUljE_ZNSN_ISO_Lb0ESR_SS_SU_SV_SZ_EES10_S11_S12_S13_S17_S18_S19_S1C_S1D_jS1E_jS1F_S1F_jjS1H_bEUljE0_EEES10_S11_S12_S19_S1D_S1F_T6_T7_T9_mT8_S1H_bDpT10_ENKUlT_T0_E_clISt17integral_constantIbLb0EES1V_EEDaS1Q_S1R_EUlS1Q_E_NS1_11comp_targetILNS1_3genE0ELNS1_11target_archE4294967295ELNS1_3gpuE0ELNS1_3repE0EEENS1_30default_config_static_selectorELNS0_4arch9wavefront6targetE1EEEvS13_ ; -- Begin function _ZN7rocprim17ROCPRIM_400000_NS6detail17trampoline_kernelINS0_13select_configILj256ELj13ELNS0_17block_load_methodE3ELS4_3ELS4_3ELNS0_20block_scan_algorithmE0ELj4294967295EEENS1_25partition_config_selectorILNS1_17partition_subalgoE4EjNS0_10empty_typeEbEEZZNS1_14partition_implILS8_4ELb0ES6_15HIP_vector_typeIjLj2EENS0_17counting_iteratorIjlEEPS9_SG_NS0_5tupleIJPjSI_NS0_16reverse_iteratorISI_EEEEENSH_IJSG_SG_SG_EEES9_SI_JZNS1_25segmented_radix_sort_implINS0_14default_configELb0EPK12hip_bfloat16PSP_PKlPlN2at6native12_GLOBAL__N_18offset_tEEE10hipError_tPvRmT1_PNSt15iterator_traitsIS13_E10value_typeET2_T3_PNS14_IS19_E10value_typeET4_jRbjT5_S1F_jjP12ihipStream_tbEUljE_ZNSN_ISO_Lb0ESR_SS_SU_SV_SZ_EES10_S11_S12_S13_S17_S18_S19_S1C_S1D_jS1E_jS1F_S1F_jjS1H_bEUljE0_EEES10_S11_S12_S19_S1D_S1F_T6_T7_T9_mT8_S1H_bDpT10_ENKUlT_T0_E_clISt17integral_constantIbLb0EES1V_EEDaS1Q_S1R_EUlS1Q_E_NS1_11comp_targetILNS1_3genE0ELNS1_11target_archE4294967295ELNS1_3gpuE0ELNS1_3repE0EEENS1_30default_config_static_selectorELNS0_4arch9wavefront6targetE1EEEvS13_
	.p2align	8
	.type	_ZN7rocprim17ROCPRIM_400000_NS6detail17trampoline_kernelINS0_13select_configILj256ELj13ELNS0_17block_load_methodE3ELS4_3ELS4_3ELNS0_20block_scan_algorithmE0ELj4294967295EEENS1_25partition_config_selectorILNS1_17partition_subalgoE4EjNS0_10empty_typeEbEEZZNS1_14partition_implILS8_4ELb0ES6_15HIP_vector_typeIjLj2EENS0_17counting_iteratorIjlEEPS9_SG_NS0_5tupleIJPjSI_NS0_16reverse_iteratorISI_EEEEENSH_IJSG_SG_SG_EEES9_SI_JZNS1_25segmented_radix_sort_implINS0_14default_configELb0EPK12hip_bfloat16PSP_PKlPlN2at6native12_GLOBAL__N_18offset_tEEE10hipError_tPvRmT1_PNSt15iterator_traitsIS13_E10value_typeET2_T3_PNS14_IS19_E10value_typeET4_jRbjT5_S1F_jjP12ihipStream_tbEUljE_ZNSN_ISO_Lb0ESR_SS_SU_SV_SZ_EES10_S11_S12_S13_S17_S18_S19_S1C_S1D_jS1E_jS1F_S1F_jjS1H_bEUljE0_EEES10_S11_S12_S19_S1D_S1F_T6_T7_T9_mT8_S1H_bDpT10_ENKUlT_T0_E_clISt17integral_constantIbLb0EES1V_EEDaS1Q_S1R_EUlS1Q_E_NS1_11comp_targetILNS1_3genE0ELNS1_11target_archE4294967295ELNS1_3gpuE0ELNS1_3repE0EEENS1_30default_config_static_selectorELNS0_4arch9wavefront6targetE1EEEvS13_,@function
_ZN7rocprim17ROCPRIM_400000_NS6detail17trampoline_kernelINS0_13select_configILj256ELj13ELNS0_17block_load_methodE3ELS4_3ELS4_3ELNS0_20block_scan_algorithmE0ELj4294967295EEENS1_25partition_config_selectorILNS1_17partition_subalgoE4EjNS0_10empty_typeEbEEZZNS1_14partition_implILS8_4ELb0ES6_15HIP_vector_typeIjLj2EENS0_17counting_iteratorIjlEEPS9_SG_NS0_5tupleIJPjSI_NS0_16reverse_iteratorISI_EEEEENSH_IJSG_SG_SG_EEES9_SI_JZNS1_25segmented_radix_sort_implINS0_14default_configELb0EPK12hip_bfloat16PSP_PKlPlN2at6native12_GLOBAL__N_18offset_tEEE10hipError_tPvRmT1_PNSt15iterator_traitsIS13_E10value_typeET2_T3_PNS14_IS19_E10value_typeET4_jRbjT5_S1F_jjP12ihipStream_tbEUljE_ZNSN_ISO_Lb0ESR_SS_SU_SV_SZ_EES10_S11_S12_S13_S17_S18_S19_S1C_S1D_jS1E_jS1F_S1F_jjS1H_bEUljE0_EEES10_S11_S12_S19_S1D_S1F_T6_T7_T9_mT8_S1H_bDpT10_ENKUlT_T0_E_clISt17integral_constantIbLb0EES1V_EEDaS1Q_S1R_EUlS1Q_E_NS1_11comp_targetILNS1_3genE0ELNS1_11target_archE4294967295ELNS1_3gpuE0ELNS1_3repE0EEENS1_30default_config_static_selectorELNS0_4arch9wavefront6targetE1EEEvS13_: ; @_ZN7rocprim17ROCPRIM_400000_NS6detail17trampoline_kernelINS0_13select_configILj256ELj13ELNS0_17block_load_methodE3ELS4_3ELS4_3ELNS0_20block_scan_algorithmE0ELj4294967295EEENS1_25partition_config_selectorILNS1_17partition_subalgoE4EjNS0_10empty_typeEbEEZZNS1_14partition_implILS8_4ELb0ES6_15HIP_vector_typeIjLj2EENS0_17counting_iteratorIjlEEPS9_SG_NS0_5tupleIJPjSI_NS0_16reverse_iteratorISI_EEEEENSH_IJSG_SG_SG_EEES9_SI_JZNS1_25segmented_radix_sort_implINS0_14default_configELb0EPK12hip_bfloat16PSP_PKlPlN2at6native12_GLOBAL__N_18offset_tEEE10hipError_tPvRmT1_PNSt15iterator_traitsIS13_E10value_typeET2_T3_PNS14_IS19_E10value_typeET4_jRbjT5_S1F_jjP12ihipStream_tbEUljE_ZNSN_ISO_Lb0ESR_SS_SU_SV_SZ_EES10_S11_S12_S13_S17_S18_S19_S1C_S1D_jS1E_jS1F_S1F_jjS1H_bEUljE0_EEES10_S11_S12_S19_S1D_S1F_T6_T7_T9_mT8_S1H_bDpT10_ENKUlT_T0_E_clISt17integral_constantIbLb0EES1V_EEDaS1Q_S1R_EUlS1Q_E_NS1_11comp_targetILNS1_3genE0ELNS1_11target_archE4294967295ELNS1_3gpuE0ELNS1_3repE0EEENS1_30default_config_static_selectorELNS0_4arch9wavefront6targetE1EEEvS13_
; %bb.0:
	.section	.rodata,"a",@progbits
	.p2align	6, 0x0
	.amdhsa_kernel _ZN7rocprim17ROCPRIM_400000_NS6detail17trampoline_kernelINS0_13select_configILj256ELj13ELNS0_17block_load_methodE3ELS4_3ELS4_3ELNS0_20block_scan_algorithmE0ELj4294967295EEENS1_25partition_config_selectorILNS1_17partition_subalgoE4EjNS0_10empty_typeEbEEZZNS1_14partition_implILS8_4ELb0ES6_15HIP_vector_typeIjLj2EENS0_17counting_iteratorIjlEEPS9_SG_NS0_5tupleIJPjSI_NS0_16reverse_iteratorISI_EEEEENSH_IJSG_SG_SG_EEES9_SI_JZNS1_25segmented_radix_sort_implINS0_14default_configELb0EPK12hip_bfloat16PSP_PKlPlN2at6native12_GLOBAL__N_18offset_tEEE10hipError_tPvRmT1_PNSt15iterator_traitsIS13_E10value_typeET2_T3_PNS14_IS19_E10value_typeET4_jRbjT5_S1F_jjP12ihipStream_tbEUljE_ZNSN_ISO_Lb0ESR_SS_SU_SV_SZ_EES10_S11_S12_S13_S17_S18_S19_S1C_S1D_jS1E_jS1F_S1F_jjS1H_bEUljE0_EEES10_S11_S12_S19_S1D_S1F_T6_T7_T9_mT8_S1H_bDpT10_ENKUlT_T0_E_clISt17integral_constantIbLb0EES1V_EEDaS1Q_S1R_EUlS1Q_E_NS1_11comp_targetILNS1_3genE0ELNS1_11target_archE4294967295ELNS1_3gpuE0ELNS1_3repE0EEENS1_30default_config_static_selectorELNS0_4arch9wavefront6targetE1EEEvS13_
		.amdhsa_group_segment_fixed_size 0
		.amdhsa_private_segment_fixed_size 0
		.amdhsa_kernarg_size 176
		.amdhsa_user_sgpr_count 6
		.amdhsa_user_sgpr_private_segment_buffer 1
		.amdhsa_user_sgpr_dispatch_ptr 0
		.amdhsa_user_sgpr_queue_ptr 0
		.amdhsa_user_sgpr_kernarg_segment_ptr 1
		.amdhsa_user_sgpr_dispatch_id 0
		.amdhsa_user_sgpr_flat_scratch_init 0
		.amdhsa_user_sgpr_kernarg_preload_length 0
		.amdhsa_user_sgpr_kernarg_preload_offset 0
		.amdhsa_user_sgpr_private_segment_size 0
		.amdhsa_uses_dynamic_stack 0
		.amdhsa_system_sgpr_private_segment_wavefront_offset 0
		.amdhsa_system_sgpr_workgroup_id_x 1
		.amdhsa_system_sgpr_workgroup_id_y 0
		.amdhsa_system_sgpr_workgroup_id_z 0
		.amdhsa_system_sgpr_workgroup_info 0
		.amdhsa_system_vgpr_workitem_id 0
		.amdhsa_next_free_vgpr 1
		.amdhsa_next_free_sgpr 0
		.amdhsa_accum_offset 4
		.amdhsa_reserve_vcc 0
		.amdhsa_reserve_flat_scratch 0
		.amdhsa_float_round_mode_32 0
		.amdhsa_float_round_mode_16_64 0
		.amdhsa_float_denorm_mode_32 3
		.amdhsa_float_denorm_mode_16_64 3
		.amdhsa_dx10_clamp 1
		.amdhsa_ieee_mode 1
		.amdhsa_fp16_overflow 0
		.amdhsa_tg_split 0
		.amdhsa_exception_fp_ieee_invalid_op 0
		.amdhsa_exception_fp_denorm_src 0
		.amdhsa_exception_fp_ieee_div_zero 0
		.amdhsa_exception_fp_ieee_overflow 0
		.amdhsa_exception_fp_ieee_underflow 0
		.amdhsa_exception_fp_ieee_inexact 0
		.amdhsa_exception_int_div_zero 0
	.end_amdhsa_kernel
	.section	.text._ZN7rocprim17ROCPRIM_400000_NS6detail17trampoline_kernelINS0_13select_configILj256ELj13ELNS0_17block_load_methodE3ELS4_3ELS4_3ELNS0_20block_scan_algorithmE0ELj4294967295EEENS1_25partition_config_selectorILNS1_17partition_subalgoE4EjNS0_10empty_typeEbEEZZNS1_14partition_implILS8_4ELb0ES6_15HIP_vector_typeIjLj2EENS0_17counting_iteratorIjlEEPS9_SG_NS0_5tupleIJPjSI_NS0_16reverse_iteratorISI_EEEEENSH_IJSG_SG_SG_EEES9_SI_JZNS1_25segmented_radix_sort_implINS0_14default_configELb0EPK12hip_bfloat16PSP_PKlPlN2at6native12_GLOBAL__N_18offset_tEEE10hipError_tPvRmT1_PNSt15iterator_traitsIS13_E10value_typeET2_T3_PNS14_IS19_E10value_typeET4_jRbjT5_S1F_jjP12ihipStream_tbEUljE_ZNSN_ISO_Lb0ESR_SS_SU_SV_SZ_EES10_S11_S12_S13_S17_S18_S19_S1C_S1D_jS1E_jS1F_S1F_jjS1H_bEUljE0_EEES10_S11_S12_S19_S1D_S1F_T6_T7_T9_mT8_S1H_bDpT10_ENKUlT_T0_E_clISt17integral_constantIbLb0EES1V_EEDaS1Q_S1R_EUlS1Q_E_NS1_11comp_targetILNS1_3genE0ELNS1_11target_archE4294967295ELNS1_3gpuE0ELNS1_3repE0EEENS1_30default_config_static_selectorELNS0_4arch9wavefront6targetE1EEEvS13_,"axG",@progbits,_ZN7rocprim17ROCPRIM_400000_NS6detail17trampoline_kernelINS0_13select_configILj256ELj13ELNS0_17block_load_methodE3ELS4_3ELS4_3ELNS0_20block_scan_algorithmE0ELj4294967295EEENS1_25partition_config_selectorILNS1_17partition_subalgoE4EjNS0_10empty_typeEbEEZZNS1_14partition_implILS8_4ELb0ES6_15HIP_vector_typeIjLj2EENS0_17counting_iteratorIjlEEPS9_SG_NS0_5tupleIJPjSI_NS0_16reverse_iteratorISI_EEEEENSH_IJSG_SG_SG_EEES9_SI_JZNS1_25segmented_radix_sort_implINS0_14default_configELb0EPK12hip_bfloat16PSP_PKlPlN2at6native12_GLOBAL__N_18offset_tEEE10hipError_tPvRmT1_PNSt15iterator_traitsIS13_E10value_typeET2_T3_PNS14_IS19_E10value_typeET4_jRbjT5_S1F_jjP12ihipStream_tbEUljE_ZNSN_ISO_Lb0ESR_SS_SU_SV_SZ_EES10_S11_S12_S13_S17_S18_S19_S1C_S1D_jS1E_jS1F_S1F_jjS1H_bEUljE0_EEES10_S11_S12_S19_S1D_S1F_T6_T7_T9_mT8_S1H_bDpT10_ENKUlT_T0_E_clISt17integral_constantIbLb0EES1V_EEDaS1Q_S1R_EUlS1Q_E_NS1_11comp_targetILNS1_3genE0ELNS1_11target_archE4294967295ELNS1_3gpuE0ELNS1_3repE0EEENS1_30default_config_static_selectorELNS0_4arch9wavefront6targetE1EEEvS13_,comdat
.Lfunc_end1983:
	.size	_ZN7rocprim17ROCPRIM_400000_NS6detail17trampoline_kernelINS0_13select_configILj256ELj13ELNS0_17block_load_methodE3ELS4_3ELS4_3ELNS0_20block_scan_algorithmE0ELj4294967295EEENS1_25partition_config_selectorILNS1_17partition_subalgoE4EjNS0_10empty_typeEbEEZZNS1_14partition_implILS8_4ELb0ES6_15HIP_vector_typeIjLj2EENS0_17counting_iteratorIjlEEPS9_SG_NS0_5tupleIJPjSI_NS0_16reverse_iteratorISI_EEEEENSH_IJSG_SG_SG_EEES9_SI_JZNS1_25segmented_radix_sort_implINS0_14default_configELb0EPK12hip_bfloat16PSP_PKlPlN2at6native12_GLOBAL__N_18offset_tEEE10hipError_tPvRmT1_PNSt15iterator_traitsIS13_E10value_typeET2_T3_PNS14_IS19_E10value_typeET4_jRbjT5_S1F_jjP12ihipStream_tbEUljE_ZNSN_ISO_Lb0ESR_SS_SU_SV_SZ_EES10_S11_S12_S13_S17_S18_S19_S1C_S1D_jS1E_jS1F_S1F_jjS1H_bEUljE0_EEES10_S11_S12_S19_S1D_S1F_T6_T7_T9_mT8_S1H_bDpT10_ENKUlT_T0_E_clISt17integral_constantIbLb0EES1V_EEDaS1Q_S1R_EUlS1Q_E_NS1_11comp_targetILNS1_3genE0ELNS1_11target_archE4294967295ELNS1_3gpuE0ELNS1_3repE0EEENS1_30default_config_static_selectorELNS0_4arch9wavefront6targetE1EEEvS13_, .Lfunc_end1983-_ZN7rocprim17ROCPRIM_400000_NS6detail17trampoline_kernelINS0_13select_configILj256ELj13ELNS0_17block_load_methodE3ELS4_3ELS4_3ELNS0_20block_scan_algorithmE0ELj4294967295EEENS1_25partition_config_selectorILNS1_17partition_subalgoE4EjNS0_10empty_typeEbEEZZNS1_14partition_implILS8_4ELb0ES6_15HIP_vector_typeIjLj2EENS0_17counting_iteratorIjlEEPS9_SG_NS0_5tupleIJPjSI_NS0_16reverse_iteratorISI_EEEEENSH_IJSG_SG_SG_EEES9_SI_JZNS1_25segmented_radix_sort_implINS0_14default_configELb0EPK12hip_bfloat16PSP_PKlPlN2at6native12_GLOBAL__N_18offset_tEEE10hipError_tPvRmT1_PNSt15iterator_traitsIS13_E10value_typeET2_T3_PNS14_IS19_E10value_typeET4_jRbjT5_S1F_jjP12ihipStream_tbEUljE_ZNSN_ISO_Lb0ESR_SS_SU_SV_SZ_EES10_S11_S12_S13_S17_S18_S19_S1C_S1D_jS1E_jS1F_S1F_jjS1H_bEUljE0_EEES10_S11_S12_S19_S1D_S1F_T6_T7_T9_mT8_S1H_bDpT10_ENKUlT_T0_E_clISt17integral_constantIbLb0EES1V_EEDaS1Q_S1R_EUlS1Q_E_NS1_11comp_targetILNS1_3genE0ELNS1_11target_archE4294967295ELNS1_3gpuE0ELNS1_3repE0EEENS1_30default_config_static_selectorELNS0_4arch9wavefront6targetE1EEEvS13_
                                        ; -- End function
	.section	.AMDGPU.csdata,"",@progbits
; Kernel info:
; codeLenInByte = 0
; NumSgprs: 4
; NumVgprs: 0
; NumAgprs: 0
; TotalNumVgprs: 0
; ScratchSize: 0
; MemoryBound: 0
; FloatMode: 240
; IeeeMode: 1
; LDSByteSize: 0 bytes/workgroup (compile time only)
; SGPRBlocks: 0
; VGPRBlocks: 0
; NumSGPRsForWavesPerEU: 4
; NumVGPRsForWavesPerEU: 1
; AccumOffset: 4
; Occupancy: 8
; WaveLimiterHint : 0
; COMPUTE_PGM_RSRC2:SCRATCH_EN: 0
; COMPUTE_PGM_RSRC2:USER_SGPR: 6
; COMPUTE_PGM_RSRC2:TRAP_HANDLER: 0
; COMPUTE_PGM_RSRC2:TGID_X_EN: 1
; COMPUTE_PGM_RSRC2:TGID_Y_EN: 0
; COMPUTE_PGM_RSRC2:TGID_Z_EN: 0
; COMPUTE_PGM_RSRC2:TIDIG_COMP_CNT: 0
; COMPUTE_PGM_RSRC3_GFX90A:ACCUM_OFFSET: 0
; COMPUTE_PGM_RSRC3_GFX90A:TG_SPLIT: 0
	.section	.text._ZN7rocprim17ROCPRIM_400000_NS6detail17trampoline_kernelINS0_13select_configILj256ELj13ELNS0_17block_load_methodE3ELS4_3ELS4_3ELNS0_20block_scan_algorithmE0ELj4294967295EEENS1_25partition_config_selectorILNS1_17partition_subalgoE4EjNS0_10empty_typeEbEEZZNS1_14partition_implILS8_4ELb0ES6_15HIP_vector_typeIjLj2EENS0_17counting_iteratorIjlEEPS9_SG_NS0_5tupleIJPjSI_NS0_16reverse_iteratorISI_EEEEENSH_IJSG_SG_SG_EEES9_SI_JZNS1_25segmented_radix_sort_implINS0_14default_configELb0EPK12hip_bfloat16PSP_PKlPlN2at6native12_GLOBAL__N_18offset_tEEE10hipError_tPvRmT1_PNSt15iterator_traitsIS13_E10value_typeET2_T3_PNS14_IS19_E10value_typeET4_jRbjT5_S1F_jjP12ihipStream_tbEUljE_ZNSN_ISO_Lb0ESR_SS_SU_SV_SZ_EES10_S11_S12_S13_S17_S18_S19_S1C_S1D_jS1E_jS1F_S1F_jjS1H_bEUljE0_EEES10_S11_S12_S19_S1D_S1F_T6_T7_T9_mT8_S1H_bDpT10_ENKUlT_T0_E_clISt17integral_constantIbLb0EES1V_EEDaS1Q_S1R_EUlS1Q_E_NS1_11comp_targetILNS1_3genE5ELNS1_11target_archE942ELNS1_3gpuE9ELNS1_3repE0EEENS1_30default_config_static_selectorELNS0_4arch9wavefront6targetE1EEEvS13_,"axG",@progbits,_ZN7rocprim17ROCPRIM_400000_NS6detail17trampoline_kernelINS0_13select_configILj256ELj13ELNS0_17block_load_methodE3ELS4_3ELS4_3ELNS0_20block_scan_algorithmE0ELj4294967295EEENS1_25partition_config_selectorILNS1_17partition_subalgoE4EjNS0_10empty_typeEbEEZZNS1_14partition_implILS8_4ELb0ES6_15HIP_vector_typeIjLj2EENS0_17counting_iteratorIjlEEPS9_SG_NS0_5tupleIJPjSI_NS0_16reverse_iteratorISI_EEEEENSH_IJSG_SG_SG_EEES9_SI_JZNS1_25segmented_radix_sort_implINS0_14default_configELb0EPK12hip_bfloat16PSP_PKlPlN2at6native12_GLOBAL__N_18offset_tEEE10hipError_tPvRmT1_PNSt15iterator_traitsIS13_E10value_typeET2_T3_PNS14_IS19_E10value_typeET4_jRbjT5_S1F_jjP12ihipStream_tbEUljE_ZNSN_ISO_Lb0ESR_SS_SU_SV_SZ_EES10_S11_S12_S13_S17_S18_S19_S1C_S1D_jS1E_jS1F_S1F_jjS1H_bEUljE0_EEES10_S11_S12_S19_S1D_S1F_T6_T7_T9_mT8_S1H_bDpT10_ENKUlT_T0_E_clISt17integral_constantIbLb0EES1V_EEDaS1Q_S1R_EUlS1Q_E_NS1_11comp_targetILNS1_3genE5ELNS1_11target_archE942ELNS1_3gpuE9ELNS1_3repE0EEENS1_30default_config_static_selectorELNS0_4arch9wavefront6targetE1EEEvS13_,comdat
	.globl	_ZN7rocprim17ROCPRIM_400000_NS6detail17trampoline_kernelINS0_13select_configILj256ELj13ELNS0_17block_load_methodE3ELS4_3ELS4_3ELNS0_20block_scan_algorithmE0ELj4294967295EEENS1_25partition_config_selectorILNS1_17partition_subalgoE4EjNS0_10empty_typeEbEEZZNS1_14partition_implILS8_4ELb0ES6_15HIP_vector_typeIjLj2EENS0_17counting_iteratorIjlEEPS9_SG_NS0_5tupleIJPjSI_NS0_16reverse_iteratorISI_EEEEENSH_IJSG_SG_SG_EEES9_SI_JZNS1_25segmented_radix_sort_implINS0_14default_configELb0EPK12hip_bfloat16PSP_PKlPlN2at6native12_GLOBAL__N_18offset_tEEE10hipError_tPvRmT1_PNSt15iterator_traitsIS13_E10value_typeET2_T3_PNS14_IS19_E10value_typeET4_jRbjT5_S1F_jjP12ihipStream_tbEUljE_ZNSN_ISO_Lb0ESR_SS_SU_SV_SZ_EES10_S11_S12_S13_S17_S18_S19_S1C_S1D_jS1E_jS1F_S1F_jjS1H_bEUljE0_EEES10_S11_S12_S19_S1D_S1F_T6_T7_T9_mT8_S1H_bDpT10_ENKUlT_T0_E_clISt17integral_constantIbLb0EES1V_EEDaS1Q_S1R_EUlS1Q_E_NS1_11comp_targetILNS1_3genE5ELNS1_11target_archE942ELNS1_3gpuE9ELNS1_3repE0EEENS1_30default_config_static_selectorELNS0_4arch9wavefront6targetE1EEEvS13_ ; -- Begin function _ZN7rocprim17ROCPRIM_400000_NS6detail17trampoline_kernelINS0_13select_configILj256ELj13ELNS0_17block_load_methodE3ELS4_3ELS4_3ELNS0_20block_scan_algorithmE0ELj4294967295EEENS1_25partition_config_selectorILNS1_17partition_subalgoE4EjNS0_10empty_typeEbEEZZNS1_14partition_implILS8_4ELb0ES6_15HIP_vector_typeIjLj2EENS0_17counting_iteratorIjlEEPS9_SG_NS0_5tupleIJPjSI_NS0_16reverse_iteratorISI_EEEEENSH_IJSG_SG_SG_EEES9_SI_JZNS1_25segmented_radix_sort_implINS0_14default_configELb0EPK12hip_bfloat16PSP_PKlPlN2at6native12_GLOBAL__N_18offset_tEEE10hipError_tPvRmT1_PNSt15iterator_traitsIS13_E10value_typeET2_T3_PNS14_IS19_E10value_typeET4_jRbjT5_S1F_jjP12ihipStream_tbEUljE_ZNSN_ISO_Lb0ESR_SS_SU_SV_SZ_EES10_S11_S12_S13_S17_S18_S19_S1C_S1D_jS1E_jS1F_S1F_jjS1H_bEUljE0_EEES10_S11_S12_S19_S1D_S1F_T6_T7_T9_mT8_S1H_bDpT10_ENKUlT_T0_E_clISt17integral_constantIbLb0EES1V_EEDaS1Q_S1R_EUlS1Q_E_NS1_11comp_targetILNS1_3genE5ELNS1_11target_archE942ELNS1_3gpuE9ELNS1_3repE0EEENS1_30default_config_static_selectorELNS0_4arch9wavefront6targetE1EEEvS13_
	.p2align	8
	.type	_ZN7rocprim17ROCPRIM_400000_NS6detail17trampoline_kernelINS0_13select_configILj256ELj13ELNS0_17block_load_methodE3ELS4_3ELS4_3ELNS0_20block_scan_algorithmE0ELj4294967295EEENS1_25partition_config_selectorILNS1_17partition_subalgoE4EjNS0_10empty_typeEbEEZZNS1_14partition_implILS8_4ELb0ES6_15HIP_vector_typeIjLj2EENS0_17counting_iteratorIjlEEPS9_SG_NS0_5tupleIJPjSI_NS0_16reverse_iteratorISI_EEEEENSH_IJSG_SG_SG_EEES9_SI_JZNS1_25segmented_radix_sort_implINS0_14default_configELb0EPK12hip_bfloat16PSP_PKlPlN2at6native12_GLOBAL__N_18offset_tEEE10hipError_tPvRmT1_PNSt15iterator_traitsIS13_E10value_typeET2_T3_PNS14_IS19_E10value_typeET4_jRbjT5_S1F_jjP12ihipStream_tbEUljE_ZNSN_ISO_Lb0ESR_SS_SU_SV_SZ_EES10_S11_S12_S13_S17_S18_S19_S1C_S1D_jS1E_jS1F_S1F_jjS1H_bEUljE0_EEES10_S11_S12_S19_S1D_S1F_T6_T7_T9_mT8_S1H_bDpT10_ENKUlT_T0_E_clISt17integral_constantIbLb0EES1V_EEDaS1Q_S1R_EUlS1Q_E_NS1_11comp_targetILNS1_3genE5ELNS1_11target_archE942ELNS1_3gpuE9ELNS1_3repE0EEENS1_30default_config_static_selectorELNS0_4arch9wavefront6targetE1EEEvS13_,@function
_ZN7rocprim17ROCPRIM_400000_NS6detail17trampoline_kernelINS0_13select_configILj256ELj13ELNS0_17block_load_methodE3ELS4_3ELS4_3ELNS0_20block_scan_algorithmE0ELj4294967295EEENS1_25partition_config_selectorILNS1_17partition_subalgoE4EjNS0_10empty_typeEbEEZZNS1_14partition_implILS8_4ELb0ES6_15HIP_vector_typeIjLj2EENS0_17counting_iteratorIjlEEPS9_SG_NS0_5tupleIJPjSI_NS0_16reverse_iteratorISI_EEEEENSH_IJSG_SG_SG_EEES9_SI_JZNS1_25segmented_radix_sort_implINS0_14default_configELb0EPK12hip_bfloat16PSP_PKlPlN2at6native12_GLOBAL__N_18offset_tEEE10hipError_tPvRmT1_PNSt15iterator_traitsIS13_E10value_typeET2_T3_PNS14_IS19_E10value_typeET4_jRbjT5_S1F_jjP12ihipStream_tbEUljE_ZNSN_ISO_Lb0ESR_SS_SU_SV_SZ_EES10_S11_S12_S13_S17_S18_S19_S1C_S1D_jS1E_jS1F_S1F_jjS1H_bEUljE0_EEES10_S11_S12_S19_S1D_S1F_T6_T7_T9_mT8_S1H_bDpT10_ENKUlT_T0_E_clISt17integral_constantIbLb0EES1V_EEDaS1Q_S1R_EUlS1Q_E_NS1_11comp_targetILNS1_3genE5ELNS1_11target_archE942ELNS1_3gpuE9ELNS1_3repE0EEENS1_30default_config_static_selectorELNS0_4arch9wavefront6targetE1EEEvS13_: ; @_ZN7rocprim17ROCPRIM_400000_NS6detail17trampoline_kernelINS0_13select_configILj256ELj13ELNS0_17block_load_methodE3ELS4_3ELS4_3ELNS0_20block_scan_algorithmE0ELj4294967295EEENS1_25partition_config_selectorILNS1_17partition_subalgoE4EjNS0_10empty_typeEbEEZZNS1_14partition_implILS8_4ELb0ES6_15HIP_vector_typeIjLj2EENS0_17counting_iteratorIjlEEPS9_SG_NS0_5tupleIJPjSI_NS0_16reverse_iteratorISI_EEEEENSH_IJSG_SG_SG_EEES9_SI_JZNS1_25segmented_radix_sort_implINS0_14default_configELb0EPK12hip_bfloat16PSP_PKlPlN2at6native12_GLOBAL__N_18offset_tEEE10hipError_tPvRmT1_PNSt15iterator_traitsIS13_E10value_typeET2_T3_PNS14_IS19_E10value_typeET4_jRbjT5_S1F_jjP12ihipStream_tbEUljE_ZNSN_ISO_Lb0ESR_SS_SU_SV_SZ_EES10_S11_S12_S13_S17_S18_S19_S1C_S1D_jS1E_jS1F_S1F_jjS1H_bEUljE0_EEES10_S11_S12_S19_S1D_S1F_T6_T7_T9_mT8_S1H_bDpT10_ENKUlT_T0_E_clISt17integral_constantIbLb0EES1V_EEDaS1Q_S1R_EUlS1Q_E_NS1_11comp_targetILNS1_3genE5ELNS1_11target_archE942ELNS1_3gpuE9ELNS1_3repE0EEENS1_30default_config_static_selectorELNS0_4arch9wavefront6targetE1EEEvS13_
; %bb.0:
	.section	.rodata,"a",@progbits
	.p2align	6, 0x0
	.amdhsa_kernel _ZN7rocprim17ROCPRIM_400000_NS6detail17trampoline_kernelINS0_13select_configILj256ELj13ELNS0_17block_load_methodE3ELS4_3ELS4_3ELNS0_20block_scan_algorithmE0ELj4294967295EEENS1_25partition_config_selectorILNS1_17partition_subalgoE4EjNS0_10empty_typeEbEEZZNS1_14partition_implILS8_4ELb0ES6_15HIP_vector_typeIjLj2EENS0_17counting_iteratorIjlEEPS9_SG_NS0_5tupleIJPjSI_NS0_16reverse_iteratorISI_EEEEENSH_IJSG_SG_SG_EEES9_SI_JZNS1_25segmented_radix_sort_implINS0_14default_configELb0EPK12hip_bfloat16PSP_PKlPlN2at6native12_GLOBAL__N_18offset_tEEE10hipError_tPvRmT1_PNSt15iterator_traitsIS13_E10value_typeET2_T3_PNS14_IS19_E10value_typeET4_jRbjT5_S1F_jjP12ihipStream_tbEUljE_ZNSN_ISO_Lb0ESR_SS_SU_SV_SZ_EES10_S11_S12_S13_S17_S18_S19_S1C_S1D_jS1E_jS1F_S1F_jjS1H_bEUljE0_EEES10_S11_S12_S19_S1D_S1F_T6_T7_T9_mT8_S1H_bDpT10_ENKUlT_T0_E_clISt17integral_constantIbLb0EES1V_EEDaS1Q_S1R_EUlS1Q_E_NS1_11comp_targetILNS1_3genE5ELNS1_11target_archE942ELNS1_3gpuE9ELNS1_3repE0EEENS1_30default_config_static_selectorELNS0_4arch9wavefront6targetE1EEEvS13_
		.amdhsa_group_segment_fixed_size 0
		.amdhsa_private_segment_fixed_size 0
		.amdhsa_kernarg_size 176
		.amdhsa_user_sgpr_count 6
		.amdhsa_user_sgpr_private_segment_buffer 1
		.amdhsa_user_sgpr_dispatch_ptr 0
		.amdhsa_user_sgpr_queue_ptr 0
		.amdhsa_user_sgpr_kernarg_segment_ptr 1
		.amdhsa_user_sgpr_dispatch_id 0
		.amdhsa_user_sgpr_flat_scratch_init 0
		.amdhsa_user_sgpr_kernarg_preload_length 0
		.amdhsa_user_sgpr_kernarg_preload_offset 0
		.amdhsa_user_sgpr_private_segment_size 0
		.amdhsa_uses_dynamic_stack 0
		.amdhsa_system_sgpr_private_segment_wavefront_offset 0
		.amdhsa_system_sgpr_workgroup_id_x 1
		.amdhsa_system_sgpr_workgroup_id_y 0
		.amdhsa_system_sgpr_workgroup_id_z 0
		.amdhsa_system_sgpr_workgroup_info 0
		.amdhsa_system_vgpr_workitem_id 0
		.amdhsa_next_free_vgpr 1
		.amdhsa_next_free_sgpr 0
		.amdhsa_accum_offset 4
		.amdhsa_reserve_vcc 0
		.amdhsa_reserve_flat_scratch 0
		.amdhsa_float_round_mode_32 0
		.amdhsa_float_round_mode_16_64 0
		.amdhsa_float_denorm_mode_32 3
		.amdhsa_float_denorm_mode_16_64 3
		.amdhsa_dx10_clamp 1
		.amdhsa_ieee_mode 1
		.amdhsa_fp16_overflow 0
		.amdhsa_tg_split 0
		.amdhsa_exception_fp_ieee_invalid_op 0
		.amdhsa_exception_fp_denorm_src 0
		.amdhsa_exception_fp_ieee_div_zero 0
		.amdhsa_exception_fp_ieee_overflow 0
		.amdhsa_exception_fp_ieee_underflow 0
		.amdhsa_exception_fp_ieee_inexact 0
		.amdhsa_exception_int_div_zero 0
	.end_amdhsa_kernel
	.section	.text._ZN7rocprim17ROCPRIM_400000_NS6detail17trampoline_kernelINS0_13select_configILj256ELj13ELNS0_17block_load_methodE3ELS4_3ELS4_3ELNS0_20block_scan_algorithmE0ELj4294967295EEENS1_25partition_config_selectorILNS1_17partition_subalgoE4EjNS0_10empty_typeEbEEZZNS1_14partition_implILS8_4ELb0ES6_15HIP_vector_typeIjLj2EENS0_17counting_iteratorIjlEEPS9_SG_NS0_5tupleIJPjSI_NS0_16reverse_iteratorISI_EEEEENSH_IJSG_SG_SG_EEES9_SI_JZNS1_25segmented_radix_sort_implINS0_14default_configELb0EPK12hip_bfloat16PSP_PKlPlN2at6native12_GLOBAL__N_18offset_tEEE10hipError_tPvRmT1_PNSt15iterator_traitsIS13_E10value_typeET2_T3_PNS14_IS19_E10value_typeET4_jRbjT5_S1F_jjP12ihipStream_tbEUljE_ZNSN_ISO_Lb0ESR_SS_SU_SV_SZ_EES10_S11_S12_S13_S17_S18_S19_S1C_S1D_jS1E_jS1F_S1F_jjS1H_bEUljE0_EEES10_S11_S12_S19_S1D_S1F_T6_T7_T9_mT8_S1H_bDpT10_ENKUlT_T0_E_clISt17integral_constantIbLb0EES1V_EEDaS1Q_S1R_EUlS1Q_E_NS1_11comp_targetILNS1_3genE5ELNS1_11target_archE942ELNS1_3gpuE9ELNS1_3repE0EEENS1_30default_config_static_selectorELNS0_4arch9wavefront6targetE1EEEvS13_,"axG",@progbits,_ZN7rocprim17ROCPRIM_400000_NS6detail17trampoline_kernelINS0_13select_configILj256ELj13ELNS0_17block_load_methodE3ELS4_3ELS4_3ELNS0_20block_scan_algorithmE0ELj4294967295EEENS1_25partition_config_selectorILNS1_17partition_subalgoE4EjNS0_10empty_typeEbEEZZNS1_14partition_implILS8_4ELb0ES6_15HIP_vector_typeIjLj2EENS0_17counting_iteratorIjlEEPS9_SG_NS0_5tupleIJPjSI_NS0_16reverse_iteratorISI_EEEEENSH_IJSG_SG_SG_EEES9_SI_JZNS1_25segmented_radix_sort_implINS0_14default_configELb0EPK12hip_bfloat16PSP_PKlPlN2at6native12_GLOBAL__N_18offset_tEEE10hipError_tPvRmT1_PNSt15iterator_traitsIS13_E10value_typeET2_T3_PNS14_IS19_E10value_typeET4_jRbjT5_S1F_jjP12ihipStream_tbEUljE_ZNSN_ISO_Lb0ESR_SS_SU_SV_SZ_EES10_S11_S12_S13_S17_S18_S19_S1C_S1D_jS1E_jS1F_S1F_jjS1H_bEUljE0_EEES10_S11_S12_S19_S1D_S1F_T6_T7_T9_mT8_S1H_bDpT10_ENKUlT_T0_E_clISt17integral_constantIbLb0EES1V_EEDaS1Q_S1R_EUlS1Q_E_NS1_11comp_targetILNS1_3genE5ELNS1_11target_archE942ELNS1_3gpuE9ELNS1_3repE0EEENS1_30default_config_static_selectorELNS0_4arch9wavefront6targetE1EEEvS13_,comdat
.Lfunc_end1984:
	.size	_ZN7rocprim17ROCPRIM_400000_NS6detail17trampoline_kernelINS0_13select_configILj256ELj13ELNS0_17block_load_methodE3ELS4_3ELS4_3ELNS0_20block_scan_algorithmE0ELj4294967295EEENS1_25partition_config_selectorILNS1_17partition_subalgoE4EjNS0_10empty_typeEbEEZZNS1_14partition_implILS8_4ELb0ES6_15HIP_vector_typeIjLj2EENS0_17counting_iteratorIjlEEPS9_SG_NS0_5tupleIJPjSI_NS0_16reverse_iteratorISI_EEEEENSH_IJSG_SG_SG_EEES9_SI_JZNS1_25segmented_radix_sort_implINS0_14default_configELb0EPK12hip_bfloat16PSP_PKlPlN2at6native12_GLOBAL__N_18offset_tEEE10hipError_tPvRmT1_PNSt15iterator_traitsIS13_E10value_typeET2_T3_PNS14_IS19_E10value_typeET4_jRbjT5_S1F_jjP12ihipStream_tbEUljE_ZNSN_ISO_Lb0ESR_SS_SU_SV_SZ_EES10_S11_S12_S13_S17_S18_S19_S1C_S1D_jS1E_jS1F_S1F_jjS1H_bEUljE0_EEES10_S11_S12_S19_S1D_S1F_T6_T7_T9_mT8_S1H_bDpT10_ENKUlT_T0_E_clISt17integral_constantIbLb0EES1V_EEDaS1Q_S1R_EUlS1Q_E_NS1_11comp_targetILNS1_3genE5ELNS1_11target_archE942ELNS1_3gpuE9ELNS1_3repE0EEENS1_30default_config_static_selectorELNS0_4arch9wavefront6targetE1EEEvS13_, .Lfunc_end1984-_ZN7rocprim17ROCPRIM_400000_NS6detail17trampoline_kernelINS0_13select_configILj256ELj13ELNS0_17block_load_methodE3ELS4_3ELS4_3ELNS0_20block_scan_algorithmE0ELj4294967295EEENS1_25partition_config_selectorILNS1_17partition_subalgoE4EjNS0_10empty_typeEbEEZZNS1_14partition_implILS8_4ELb0ES6_15HIP_vector_typeIjLj2EENS0_17counting_iteratorIjlEEPS9_SG_NS0_5tupleIJPjSI_NS0_16reverse_iteratorISI_EEEEENSH_IJSG_SG_SG_EEES9_SI_JZNS1_25segmented_radix_sort_implINS0_14default_configELb0EPK12hip_bfloat16PSP_PKlPlN2at6native12_GLOBAL__N_18offset_tEEE10hipError_tPvRmT1_PNSt15iterator_traitsIS13_E10value_typeET2_T3_PNS14_IS19_E10value_typeET4_jRbjT5_S1F_jjP12ihipStream_tbEUljE_ZNSN_ISO_Lb0ESR_SS_SU_SV_SZ_EES10_S11_S12_S13_S17_S18_S19_S1C_S1D_jS1E_jS1F_S1F_jjS1H_bEUljE0_EEES10_S11_S12_S19_S1D_S1F_T6_T7_T9_mT8_S1H_bDpT10_ENKUlT_T0_E_clISt17integral_constantIbLb0EES1V_EEDaS1Q_S1R_EUlS1Q_E_NS1_11comp_targetILNS1_3genE5ELNS1_11target_archE942ELNS1_3gpuE9ELNS1_3repE0EEENS1_30default_config_static_selectorELNS0_4arch9wavefront6targetE1EEEvS13_
                                        ; -- End function
	.section	.AMDGPU.csdata,"",@progbits
; Kernel info:
; codeLenInByte = 0
; NumSgprs: 4
; NumVgprs: 0
; NumAgprs: 0
; TotalNumVgprs: 0
; ScratchSize: 0
; MemoryBound: 0
; FloatMode: 240
; IeeeMode: 1
; LDSByteSize: 0 bytes/workgroup (compile time only)
; SGPRBlocks: 0
; VGPRBlocks: 0
; NumSGPRsForWavesPerEU: 4
; NumVGPRsForWavesPerEU: 1
; AccumOffset: 4
; Occupancy: 8
; WaveLimiterHint : 0
; COMPUTE_PGM_RSRC2:SCRATCH_EN: 0
; COMPUTE_PGM_RSRC2:USER_SGPR: 6
; COMPUTE_PGM_RSRC2:TRAP_HANDLER: 0
; COMPUTE_PGM_RSRC2:TGID_X_EN: 1
; COMPUTE_PGM_RSRC2:TGID_Y_EN: 0
; COMPUTE_PGM_RSRC2:TGID_Z_EN: 0
; COMPUTE_PGM_RSRC2:TIDIG_COMP_CNT: 0
; COMPUTE_PGM_RSRC3_GFX90A:ACCUM_OFFSET: 0
; COMPUTE_PGM_RSRC3_GFX90A:TG_SPLIT: 0
	.section	.text._ZN7rocprim17ROCPRIM_400000_NS6detail17trampoline_kernelINS0_13select_configILj256ELj13ELNS0_17block_load_methodE3ELS4_3ELS4_3ELNS0_20block_scan_algorithmE0ELj4294967295EEENS1_25partition_config_selectorILNS1_17partition_subalgoE4EjNS0_10empty_typeEbEEZZNS1_14partition_implILS8_4ELb0ES6_15HIP_vector_typeIjLj2EENS0_17counting_iteratorIjlEEPS9_SG_NS0_5tupleIJPjSI_NS0_16reverse_iteratorISI_EEEEENSH_IJSG_SG_SG_EEES9_SI_JZNS1_25segmented_radix_sort_implINS0_14default_configELb0EPK12hip_bfloat16PSP_PKlPlN2at6native12_GLOBAL__N_18offset_tEEE10hipError_tPvRmT1_PNSt15iterator_traitsIS13_E10value_typeET2_T3_PNS14_IS19_E10value_typeET4_jRbjT5_S1F_jjP12ihipStream_tbEUljE_ZNSN_ISO_Lb0ESR_SS_SU_SV_SZ_EES10_S11_S12_S13_S17_S18_S19_S1C_S1D_jS1E_jS1F_S1F_jjS1H_bEUljE0_EEES10_S11_S12_S19_S1D_S1F_T6_T7_T9_mT8_S1H_bDpT10_ENKUlT_T0_E_clISt17integral_constantIbLb0EES1V_EEDaS1Q_S1R_EUlS1Q_E_NS1_11comp_targetILNS1_3genE4ELNS1_11target_archE910ELNS1_3gpuE8ELNS1_3repE0EEENS1_30default_config_static_selectorELNS0_4arch9wavefront6targetE1EEEvS13_,"axG",@progbits,_ZN7rocprim17ROCPRIM_400000_NS6detail17trampoline_kernelINS0_13select_configILj256ELj13ELNS0_17block_load_methodE3ELS4_3ELS4_3ELNS0_20block_scan_algorithmE0ELj4294967295EEENS1_25partition_config_selectorILNS1_17partition_subalgoE4EjNS0_10empty_typeEbEEZZNS1_14partition_implILS8_4ELb0ES6_15HIP_vector_typeIjLj2EENS0_17counting_iteratorIjlEEPS9_SG_NS0_5tupleIJPjSI_NS0_16reverse_iteratorISI_EEEEENSH_IJSG_SG_SG_EEES9_SI_JZNS1_25segmented_radix_sort_implINS0_14default_configELb0EPK12hip_bfloat16PSP_PKlPlN2at6native12_GLOBAL__N_18offset_tEEE10hipError_tPvRmT1_PNSt15iterator_traitsIS13_E10value_typeET2_T3_PNS14_IS19_E10value_typeET4_jRbjT5_S1F_jjP12ihipStream_tbEUljE_ZNSN_ISO_Lb0ESR_SS_SU_SV_SZ_EES10_S11_S12_S13_S17_S18_S19_S1C_S1D_jS1E_jS1F_S1F_jjS1H_bEUljE0_EEES10_S11_S12_S19_S1D_S1F_T6_T7_T9_mT8_S1H_bDpT10_ENKUlT_T0_E_clISt17integral_constantIbLb0EES1V_EEDaS1Q_S1R_EUlS1Q_E_NS1_11comp_targetILNS1_3genE4ELNS1_11target_archE910ELNS1_3gpuE8ELNS1_3repE0EEENS1_30default_config_static_selectorELNS0_4arch9wavefront6targetE1EEEvS13_,comdat
	.globl	_ZN7rocprim17ROCPRIM_400000_NS6detail17trampoline_kernelINS0_13select_configILj256ELj13ELNS0_17block_load_methodE3ELS4_3ELS4_3ELNS0_20block_scan_algorithmE0ELj4294967295EEENS1_25partition_config_selectorILNS1_17partition_subalgoE4EjNS0_10empty_typeEbEEZZNS1_14partition_implILS8_4ELb0ES6_15HIP_vector_typeIjLj2EENS0_17counting_iteratorIjlEEPS9_SG_NS0_5tupleIJPjSI_NS0_16reverse_iteratorISI_EEEEENSH_IJSG_SG_SG_EEES9_SI_JZNS1_25segmented_radix_sort_implINS0_14default_configELb0EPK12hip_bfloat16PSP_PKlPlN2at6native12_GLOBAL__N_18offset_tEEE10hipError_tPvRmT1_PNSt15iterator_traitsIS13_E10value_typeET2_T3_PNS14_IS19_E10value_typeET4_jRbjT5_S1F_jjP12ihipStream_tbEUljE_ZNSN_ISO_Lb0ESR_SS_SU_SV_SZ_EES10_S11_S12_S13_S17_S18_S19_S1C_S1D_jS1E_jS1F_S1F_jjS1H_bEUljE0_EEES10_S11_S12_S19_S1D_S1F_T6_T7_T9_mT8_S1H_bDpT10_ENKUlT_T0_E_clISt17integral_constantIbLb0EES1V_EEDaS1Q_S1R_EUlS1Q_E_NS1_11comp_targetILNS1_3genE4ELNS1_11target_archE910ELNS1_3gpuE8ELNS1_3repE0EEENS1_30default_config_static_selectorELNS0_4arch9wavefront6targetE1EEEvS13_ ; -- Begin function _ZN7rocprim17ROCPRIM_400000_NS6detail17trampoline_kernelINS0_13select_configILj256ELj13ELNS0_17block_load_methodE3ELS4_3ELS4_3ELNS0_20block_scan_algorithmE0ELj4294967295EEENS1_25partition_config_selectorILNS1_17partition_subalgoE4EjNS0_10empty_typeEbEEZZNS1_14partition_implILS8_4ELb0ES6_15HIP_vector_typeIjLj2EENS0_17counting_iteratorIjlEEPS9_SG_NS0_5tupleIJPjSI_NS0_16reverse_iteratorISI_EEEEENSH_IJSG_SG_SG_EEES9_SI_JZNS1_25segmented_radix_sort_implINS0_14default_configELb0EPK12hip_bfloat16PSP_PKlPlN2at6native12_GLOBAL__N_18offset_tEEE10hipError_tPvRmT1_PNSt15iterator_traitsIS13_E10value_typeET2_T3_PNS14_IS19_E10value_typeET4_jRbjT5_S1F_jjP12ihipStream_tbEUljE_ZNSN_ISO_Lb0ESR_SS_SU_SV_SZ_EES10_S11_S12_S13_S17_S18_S19_S1C_S1D_jS1E_jS1F_S1F_jjS1H_bEUljE0_EEES10_S11_S12_S19_S1D_S1F_T6_T7_T9_mT8_S1H_bDpT10_ENKUlT_T0_E_clISt17integral_constantIbLb0EES1V_EEDaS1Q_S1R_EUlS1Q_E_NS1_11comp_targetILNS1_3genE4ELNS1_11target_archE910ELNS1_3gpuE8ELNS1_3repE0EEENS1_30default_config_static_selectorELNS0_4arch9wavefront6targetE1EEEvS13_
	.p2align	8
	.type	_ZN7rocprim17ROCPRIM_400000_NS6detail17trampoline_kernelINS0_13select_configILj256ELj13ELNS0_17block_load_methodE3ELS4_3ELS4_3ELNS0_20block_scan_algorithmE0ELj4294967295EEENS1_25partition_config_selectorILNS1_17partition_subalgoE4EjNS0_10empty_typeEbEEZZNS1_14partition_implILS8_4ELb0ES6_15HIP_vector_typeIjLj2EENS0_17counting_iteratorIjlEEPS9_SG_NS0_5tupleIJPjSI_NS0_16reverse_iteratorISI_EEEEENSH_IJSG_SG_SG_EEES9_SI_JZNS1_25segmented_radix_sort_implINS0_14default_configELb0EPK12hip_bfloat16PSP_PKlPlN2at6native12_GLOBAL__N_18offset_tEEE10hipError_tPvRmT1_PNSt15iterator_traitsIS13_E10value_typeET2_T3_PNS14_IS19_E10value_typeET4_jRbjT5_S1F_jjP12ihipStream_tbEUljE_ZNSN_ISO_Lb0ESR_SS_SU_SV_SZ_EES10_S11_S12_S13_S17_S18_S19_S1C_S1D_jS1E_jS1F_S1F_jjS1H_bEUljE0_EEES10_S11_S12_S19_S1D_S1F_T6_T7_T9_mT8_S1H_bDpT10_ENKUlT_T0_E_clISt17integral_constantIbLb0EES1V_EEDaS1Q_S1R_EUlS1Q_E_NS1_11comp_targetILNS1_3genE4ELNS1_11target_archE910ELNS1_3gpuE8ELNS1_3repE0EEENS1_30default_config_static_selectorELNS0_4arch9wavefront6targetE1EEEvS13_,@function
_ZN7rocprim17ROCPRIM_400000_NS6detail17trampoline_kernelINS0_13select_configILj256ELj13ELNS0_17block_load_methodE3ELS4_3ELS4_3ELNS0_20block_scan_algorithmE0ELj4294967295EEENS1_25partition_config_selectorILNS1_17partition_subalgoE4EjNS0_10empty_typeEbEEZZNS1_14partition_implILS8_4ELb0ES6_15HIP_vector_typeIjLj2EENS0_17counting_iteratorIjlEEPS9_SG_NS0_5tupleIJPjSI_NS0_16reverse_iteratorISI_EEEEENSH_IJSG_SG_SG_EEES9_SI_JZNS1_25segmented_radix_sort_implINS0_14default_configELb0EPK12hip_bfloat16PSP_PKlPlN2at6native12_GLOBAL__N_18offset_tEEE10hipError_tPvRmT1_PNSt15iterator_traitsIS13_E10value_typeET2_T3_PNS14_IS19_E10value_typeET4_jRbjT5_S1F_jjP12ihipStream_tbEUljE_ZNSN_ISO_Lb0ESR_SS_SU_SV_SZ_EES10_S11_S12_S13_S17_S18_S19_S1C_S1D_jS1E_jS1F_S1F_jjS1H_bEUljE0_EEES10_S11_S12_S19_S1D_S1F_T6_T7_T9_mT8_S1H_bDpT10_ENKUlT_T0_E_clISt17integral_constantIbLb0EES1V_EEDaS1Q_S1R_EUlS1Q_E_NS1_11comp_targetILNS1_3genE4ELNS1_11target_archE910ELNS1_3gpuE8ELNS1_3repE0EEENS1_30default_config_static_selectorELNS0_4arch9wavefront6targetE1EEEvS13_: ; @_ZN7rocprim17ROCPRIM_400000_NS6detail17trampoline_kernelINS0_13select_configILj256ELj13ELNS0_17block_load_methodE3ELS4_3ELS4_3ELNS0_20block_scan_algorithmE0ELj4294967295EEENS1_25partition_config_selectorILNS1_17partition_subalgoE4EjNS0_10empty_typeEbEEZZNS1_14partition_implILS8_4ELb0ES6_15HIP_vector_typeIjLj2EENS0_17counting_iteratorIjlEEPS9_SG_NS0_5tupleIJPjSI_NS0_16reverse_iteratorISI_EEEEENSH_IJSG_SG_SG_EEES9_SI_JZNS1_25segmented_radix_sort_implINS0_14default_configELb0EPK12hip_bfloat16PSP_PKlPlN2at6native12_GLOBAL__N_18offset_tEEE10hipError_tPvRmT1_PNSt15iterator_traitsIS13_E10value_typeET2_T3_PNS14_IS19_E10value_typeET4_jRbjT5_S1F_jjP12ihipStream_tbEUljE_ZNSN_ISO_Lb0ESR_SS_SU_SV_SZ_EES10_S11_S12_S13_S17_S18_S19_S1C_S1D_jS1E_jS1F_S1F_jjS1H_bEUljE0_EEES10_S11_S12_S19_S1D_S1F_T6_T7_T9_mT8_S1H_bDpT10_ENKUlT_T0_E_clISt17integral_constantIbLb0EES1V_EEDaS1Q_S1R_EUlS1Q_E_NS1_11comp_targetILNS1_3genE4ELNS1_11target_archE910ELNS1_3gpuE8ELNS1_3repE0EEENS1_30default_config_static_selectorELNS0_4arch9wavefront6targetE1EEEvS13_
; %bb.0:
	s_load_dwordx2 s[0:1], s[4:5], 0x68
	s_load_dword s7, s[4:5], 0x8
	s_load_dwordx2 s[56:57], s[4:5], 0x10
	s_load_dwordx4 s[44:47], s[4:5], 0x58
	s_mul_i32 s33, s6, 0xd00
	s_waitcnt lgkmcnt(0)
	v_mov_b32_e32 v3, s1
	v_mov_b32_e32 v2, s0
	s_load_dword s1, s[4:5], 0x80
	s_load_dwordx2 s[60:61], s[4:5], 0xa8
	s_load_dwordx8 s[36:43], s[4:5], 0x88
	s_load_dwordx4 s[48:51], s[46:47], 0x0
	s_waitcnt lgkmcnt(0)
	s_add_i32 s8, s1, -1
	s_mulk_i32 s1, 0xd00
	s_add_u32 s2, s56, s1
	s_addc_u32 s3, s57, 0
	s_cmp_eq_u32 s6, s8
	s_cselect_b64 s[30:31], -1, 0
	s_cmp_lg_u32 s6, s8
	v_cmp_lt_u64_e32 vcc, s[2:3], v[2:3]
	s_cselect_b64 s[2:3], -1, 0
	s_add_i32 s7, s7, s33
	s_or_b64 s[2:3], s[2:3], vcc
	s_add_i32 s7, s7, s56
	v_add_u32_e32 v1, s7, v0
	s_mov_b64 s[8:9], -1
	s_and_b64 vcc, exec, s[2:3]
	s_cbranch_vccz .LBB1985_2
; %bb.1:
	v_add_u32_e32 v2, 0x100, v1
	v_lshlrev_b32_e32 v14, 2, v0
	v_add_u32_e32 v3, 0x200, v1
	v_add_u32_e32 v4, 0x300, v1
	v_add_u32_e32 v5, 0x400, v1
	v_add_u32_e32 v6, 0x500, v1
	v_add_u32_e32 v7, 0x600, v1
	v_add_u32_e32 v8, 0x700, v1
	v_add_u32_e32 v9, 0x800, v1
	v_add_u32_e32 v10, 0x900, v1
	v_add_u32_e32 v11, 0xa00, v1
	v_add_u32_e32 v12, 0xb00, v1
	v_add_u32_e32 v13, 0xc00, v1
	ds_write2st64_b32 v14, v1, v2 offset1:4
	ds_write2st64_b32 v14, v3, v4 offset0:8 offset1:12
	ds_write2st64_b32 v14, v5, v6 offset0:16 offset1:20
	;; [unrolled: 1-line block ×5, first 2 shown]
	ds_write_b32 v14, v13 offset:12288
	s_waitcnt lgkmcnt(0)
	s_barrier
	s_mov_b64 s[8:9], 0
.LBB1985_2:
	s_andn2_b64 vcc, exec, s[8:9]
	s_add_i32 s1, s1, s56
	s_cbranch_vccnz .LBB1985_4
; %bb.3:
	v_add_u32_e32 v2, 0x100, v1
	v_lshlrev_b32_e32 v14, 2, v0
	v_add_u32_e32 v3, 0x200, v1
	v_add_u32_e32 v4, 0x300, v1
	;; [unrolled: 1-line block ×11, first 2 shown]
	ds_write2st64_b32 v14, v1, v2 offset1:4
	ds_write2st64_b32 v14, v3, v4 offset0:8 offset1:12
	ds_write2st64_b32 v14, v5, v6 offset0:16 offset1:20
	;; [unrolled: 1-line block ×5, first 2 shown]
	ds_write_b32 v14, v13 offset:12288
	s_waitcnt lgkmcnt(0)
	s_barrier
.LBB1985_4:
	v_mul_u32_u24_e32 v31, 13, v0
	v_lshlrev_b32_e32 v1, 2, v31
	s_load_dwordx4 s[52:55], s[4:5], 0x28
	s_load_dwordx2 s[34:35], s[4:5], 0x38
	s_waitcnt lgkmcnt(0)
	ds_read2_b32 v[18:19], v1 offset1:1
	ds_read2_b32 v[16:17], v1 offset0:2 offset1:3
	ds_read2_b32 v[14:15], v1 offset0:4 offset1:5
	;; [unrolled: 1-line block ×5, first 2 shown]
	ds_read_b32 v30, v1 offset:48
	v_cndmask_b32_e64 v1, 0, 1, s[2:3]
	s_sub_i32 s7, s0, s1
	v_cmp_ne_u32_e64 s[0:1], 1, v1
	s_andn2_b64 vcc, exec, s[2:3]
	s_waitcnt lgkmcnt(0)
	s_barrier
	s_cbranch_vccnz .LBB1985_32
; %bb.5:
	v_add_u32_e32 v1, s37, v18
	v_add_u32_e32 v2, s39, v18
	v_mul_lo_u32 v1, v1, s36
	v_mul_lo_u32 v2, v2, s38
	v_sub_u32_e32 v1, v1, v2
	v_cmp_lt_u32_e32 vcc, s40, v1
	v_cmp_ge_u32_e64 s[2:3], s40, v1
	s_mov_b64 s[64:65], 0
	s_mov_b64 s[62:63], 0
	s_and_saveexec_b64 s[8:9], s[2:3]
; %bb.6:
	v_add_u32_e32 v1, s42, v18
	v_add_u32_e32 v2, s60, v18
	v_mul_lo_u32 v1, v1, s41
	v_mul_lo_u32 v2, v2, s43
	v_sub_u32_e32 v1, v1, v2
	v_cmp_lt_u32_e64 s[2:3], s61, v1
	s_and_b64 s[62:63], s[2:3], exec
; %bb.7:
	s_or_b64 exec, exec, s[8:9]
	v_add_u32_e32 v1, s37, v19
	v_add_u32_e32 v2, s39, v19
	v_mul_lo_u32 v1, v1, s36
	v_mul_lo_u32 v2, v2, s38
	v_sub_u32_e32 v1, v1, v2
	v_cmp_lt_u32_e64 s[2:3], s40, v1
	v_cmp_ge_u32_e64 s[8:9], s40, v1
	s_and_saveexec_b64 s[10:11], s[8:9]
; %bb.8:
	v_add_u32_e32 v1, s42, v19
	v_add_u32_e32 v2, s60, v19
	v_mul_lo_u32 v1, v1, s41
	v_mul_lo_u32 v2, v2, s43
	v_sub_u32_e32 v1, v1, v2
	v_cmp_lt_u32_e64 s[8:9], s61, v1
	s_and_b64 s[64:65], s[8:9], exec
; %bb.9:
	s_or_b64 exec, exec, s[10:11]
	v_add_u32_e32 v1, s37, v16
	v_add_u32_e32 v2, s39, v16
	v_mul_lo_u32 v1, v1, s36
	v_mul_lo_u32 v2, v2, s38
	v_sub_u32_e32 v1, v1, v2
	v_cmp_lt_u32_e64 s[26:27], s40, v1
	v_cmp_ge_u32_e64 s[8:9], s40, v1
	s_mov_b64 s[68:69], 0
	s_mov_b64 s[66:67], 0
	s_and_saveexec_b64 s[10:11], s[8:9]
; %bb.10:
	v_add_u32_e32 v1, s42, v16
	v_add_u32_e32 v2, s60, v16
	v_mul_lo_u32 v1, v1, s41
	v_mul_lo_u32 v2, v2, s43
	v_sub_u32_e32 v1, v1, v2
	v_cmp_lt_u32_e64 s[8:9], s61, v1
	s_and_b64 s[66:67], s[8:9], exec
; %bb.11:
	s_or_b64 exec, exec, s[10:11]
	v_add_u32_e32 v1, s37, v17
	v_add_u32_e32 v2, s39, v17
	v_mul_lo_u32 v1, v1, s36
	v_mul_lo_u32 v2, v2, s38
	v_sub_u32_e32 v1, v1, v2
	v_cmp_lt_u32_e64 s[8:9], s40, v1
	v_cmp_ge_u32_e64 s[10:11], s40, v1
	s_and_saveexec_b64 s[12:13], s[10:11]
; %bb.12:
	v_add_u32_e32 v1, s42, v17
	v_add_u32_e32 v2, s60, v17
	v_mul_lo_u32 v1, v1, s41
	v_mul_lo_u32 v2, v2, s43
	v_sub_u32_e32 v1, v1, v2
	v_cmp_lt_u32_e64 s[10:11], s61, v1
	s_and_b64 s[68:69], s[10:11], exec
; %bb.13:
	s_or_b64 exec, exec, s[12:13]
	v_add_u32_e32 v1, s37, v14
	v_add_u32_e32 v2, s39, v14
	v_mul_lo_u32 v1, v1, s36
	v_mul_lo_u32 v2, v2, s38
	v_sub_u32_e32 v1, v1, v2
	v_cmp_lt_u32_e64 s[10:11], s40, v1
	v_cmp_ge_u32_e64 s[12:13], s40, v1
	s_mov_b64 s[72:73], 0
	s_mov_b64 s[70:71], 0
	s_and_saveexec_b64 s[14:15], s[12:13]
; %bb.14:
	v_add_u32_e32 v1, s42, v14
	v_add_u32_e32 v2, s60, v14
	v_mul_lo_u32 v1, v1, s41
	v_mul_lo_u32 v2, v2, s43
	v_sub_u32_e32 v1, v1, v2
	v_cmp_lt_u32_e64 s[12:13], s61, v1
	s_and_b64 s[70:71], s[12:13], exec
; %bb.15:
	s_or_b64 exec, exec, s[14:15]
	v_add_u32_e32 v1, s37, v15
	v_add_u32_e32 v2, s39, v15
	v_mul_lo_u32 v1, v1, s36
	v_mul_lo_u32 v2, v2, s38
	v_sub_u32_e32 v1, v1, v2
	v_cmp_lt_u32_e64 s[12:13], s40, v1
	v_cmp_ge_u32_e64 s[14:15], s40, v1
	s_and_saveexec_b64 s[16:17], s[14:15]
; %bb.16:
	v_add_u32_e32 v1, s42, v15
	v_add_u32_e32 v2, s60, v15
	v_mul_lo_u32 v1, v1, s41
	v_mul_lo_u32 v2, v2, s43
	v_sub_u32_e32 v1, v1, v2
	v_cmp_lt_u32_e64 s[14:15], s61, v1
	s_and_b64 s[72:73], s[14:15], exec
; %bb.17:
	s_or_b64 exec, exec, s[16:17]
	v_add_u32_e32 v1, s37, v12
	v_add_u32_e32 v2, s39, v12
	v_mul_lo_u32 v1, v1, s36
	v_mul_lo_u32 v2, v2, s38
	v_sub_u32_e32 v1, v1, v2
	v_cmp_lt_u32_e64 s[14:15], s40, v1
	v_cmp_ge_u32_e64 s[16:17], s40, v1
	s_mov_b64 s[76:77], 0
	s_mov_b64 s[74:75], 0
	s_and_saveexec_b64 s[18:19], s[16:17]
; %bb.18:
	v_add_u32_e32 v1, s42, v12
	v_add_u32_e32 v2, s60, v12
	v_mul_lo_u32 v1, v1, s41
	v_mul_lo_u32 v2, v2, s43
	v_sub_u32_e32 v1, v1, v2
	v_cmp_lt_u32_e64 s[16:17], s61, v1
	s_and_b64 s[74:75], s[16:17], exec
; %bb.19:
	s_or_b64 exec, exec, s[18:19]
	v_add_u32_e32 v1, s37, v13
	v_add_u32_e32 v2, s39, v13
	v_mul_lo_u32 v1, v1, s36
	v_mul_lo_u32 v2, v2, s38
	v_sub_u32_e32 v1, v1, v2
	v_cmp_lt_u32_e64 s[16:17], s40, v1
	v_cmp_ge_u32_e64 s[18:19], s40, v1
	s_and_saveexec_b64 s[20:21], s[18:19]
; %bb.20:
	v_add_u32_e32 v1, s42, v13
	v_add_u32_e32 v2, s60, v13
	v_mul_lo_u32 v1, v1, s41
	v_mul_lo_u32 v2, v2, s43
	v_sub_u32_e32 v1, v1, v2
	v_cmp_lt_u32_e64 s[18:19], s61, v1
	s_and_b64 s[76:77], s[18:19], exec
; %bb.21:
	s_or_b64 exec, exec, s[20:21]
	v_add_u32_e32 v1, s37, v10
	v_add_u32_e32 v2, s39, v10
	v_mul_lo_u32 v1, v1, s36
	v_mul_lo_u32 v2, v2, s38
	v_sub_u32_e32 v1, v1, v2
	v_cmp_lt_u32_e64 s[18:19], s40, v1
	v_cmp_ge_u32_e64 s[20:21], s40, v1
	s_mov_b64 s[82:83], 0
	s_mov_b64 s[80:81], 0
	s_and_saveexec_b64 s[22:23], s[20:21]
; %bb.22:
	v_add_u32_e32 v1, s42, v10
	v_add_u32_e32 v2, s60, v10
	v_mul_lo_u32 v1, v1, s41
	v_mul_lo_u32 v2, v2, s43
	v_sub_u32_e32 v1, v1, v2
	v_cmp_lt_u32_e64 s[20:21], s61, v1
	s_and_b64 s[80:81], s[20:21], exec
; %bb.23:
	s_or_b64 exec, exec, s[22:23]
	v_add_u32_e32 v1, s37, v11
	v_add_u32_e32 v2, s39, v11
	v_mul_lo_u32 v1, v1, s36
	v_mul_lo_u32 v2, v2, s38
	v_sub_u32_e32 v1, v1, v2
	v_cmp_lt_u32_e64 s[20:21], s40, v1
	v_cmp_ge_u32_e64 s[22:23], s40, v1
	s_and_saveexec_b64 s[24:25], s[22:23]
; %bb.24:
	v_add_u32_e32 v1, s42, v11
	v_add_u32_e32 v2, s60, v11
	v_mul_lo_u32 v1, v1, s41
	v_mul_lo_u32 v2, v2, s43
	v_sub_u32_e32 v1, v1, v2
	v_cmp_lt_u32_e64 s[22:23], s61, v1
	s_and_b64 s[82:83], s[22:23], exec
; %bb.25:
	s_or_b64 exec, exec, s[24:25]
	v_add_u32_e32 v1, s37, v8
	v_add_u32_e32 v2, s39, v8
	v_mul_lo_u32 v1, v1, s36
	v_mul_lo_u32 v2, v2, s38
	v_sub_u32_e32 v1, v1, v2
	v_cmp_lt_u32_e64 s[22:23], s40, v1
	v_cmp_ge_u32_e64 s[24:25], s40, v1
	s_mov_b64 s[84:85], 0
	s_mov_b64 s[86:87], 0
	s_and_saveexec_b64 s[28:29], s[24:25]
; %bb.26:
	v_add_u32_e32 v1, s42, v8
	v_add_u32_e32 v2, s60, v8
	v_mul_lo_u32 v1, v1, s41
	v_mul_lo_u32 v2, v2, s43
	v_sub_u32_e32 v1, v1, v2
	v_cmp_lt_u32_e64 s[24:25], s61, v1
	s_and_b64 s[86:87], s[24:25], exec
; %bb.27:
	s_or_b64 exec, exec, s[28:29]
	v_add_u32_e32 v1, s37, v9
	v_add_u32_e32 v2, s39, v9
	v_mul_lo_u32 v1, v1, s36
	v_mul_lo_u32 v2, v2, s38
	v_sub_u32_e32 v1, v1, v2
	v_cmp_lt_u32_e64 s[24:25], s40, v1
	v_cmp_ge_u32_e64 s[28:29], s40, v1
	s_and_saveexec_b64 s[46:47], s[28:29]
; %bb.28:
	v_add_u32_e32 v1, s42, v9
	v_add_u32_e32 v2, s60, v9
	v_mul_lo_u32 v1, v1, s41
	v_mul_lo_u32 v2, v2, s43
	v_sub_u32_e32 v1, v1, v2
	v_cmp_lt_u32_e64 s[28:29], s61, v1
	s_and_b64 s[84:85], s[28:29], exec
; %bb.29:
	s_or_b64 exec, exec, s[46:47]
	v_add_u32_e32 v1, s37, v30
	v_add_u32_e32 v2, s39, v30
	v_mul_lo_u32 v1, v1, s36
	v_mul_lo_u32 v2, v2, s38
	v_sub_u32_e32 v1, v1, v2
	v_cmp_ge_u32_e64 s[28:29], s40, v1
	s_mov_b64 s[46:47], -1
	s_mov_b64 s[78:79], 0
	s_mov_b64 s[58:59], 0
	s_and_saveexec_b64 s[88:89], s[28:29]
; %bb.30:
	v_add_u32_e32 v1, s42, v30
	v_add_u32_e32 v2, s60, v30
	v_mul_lo_u32 v1, v1, s41
	v_mul_lo_u32 v2, v2, s43
	v_sub_u32_e32 v1, v1, v2
	v_cmp_lt_u32_e64 s[28:29], s61, v1
	s_and_b64 s[58:59], s[28:29], exec
	s_xor_b64 s[46:47], exec, -1
; %bb.31:
	s_or_b64 exec, exec, s[88:89]
	v_cndmask_b32_e64 v52, 0, 1, s[86:87]
	v_cndmask_b32_e64 v55, 0, 1, s[24:25]
	;; [unrolled: 1-line block ×22, first 2 shown]
	v_cndmask_b32_e64 v32, 0, 1, vcc
	v_cndmask_b32_e64 v54, 0, 1, s[84:85]
	s_load_dwordx2 s[12:13], s[4:5], 0x78
	s_add_i32 s18, s7, 0xd00
	s_and_b64 vcc, exec, s[78:79]
	s_cbranch_vccnz .LBB1985_33
	s_branch .LBB1985_86
.LBB1985_32:
                                        ; implicit-def: $sgpr46_sgpr47
                                        ; implicit-def: $sgpr58_sgpr59
                                        ; implicit-def: $vgpr54
                                        ; implicit-def: $vgpr52
                                        ; implicit-def: $vgpr50
                                        ; implicit-def: $vgpr48
                                        ; implicit-def: $vgpr46
                                        ; implicit-def: $vgpr44
                                        ; implicit-def: $vgpr42
                                        ; implicit-def: $vgpr40
                                        ; implicit-def: $vgpr38
                                        ; implicit-def: $vgpr32
                                        ; implicit-def: $vgpr34
                                        ; implicit-def: $vgpr36
                                        ; implicit-def: $vgpr39
                                        ; implicit-def: $vgpr41
                                        ; implicit-def: $vgpr43
                                        ; implicit-def: $vgpr45
                                        ; implicit-def: $vgpr47
                                        ; implicit-def: $vgpr49
                                        ; implicit-def: $vgpr51
                                        ; implicit-def: $vgpr53
                                        ; implicit-def: $vgpr55
                                        ; implicit-def: $vgpr33
                                        ; implicit-def: $vgpr35
                                        ; implicit-def: $vgpr37
	s_load_dwordx2 s[12:13], s[4:5], 0x78
	s_add_i32 s18, s7, 0xd00
	s_cbranch_execz .LBB1985_86
.LBB1985_33:
	v_cmp_gt_u32_e32 vcc, s18, v31
	v_mov_b32_e32 v33, 0
	v_mov_b32_e32 v32, 0
	s_and_saveexec_b64 s[4:5], vcc
	s_cbranch_execz .LBB1985_37
; %bb.34:
	v_add_u32_e32 v1, s37, v18
	v_add_u32_e32 v2, s39, v18
	v_mul_lo_u32 v1, v1, s36
	v_mul_lo_u32 v2, v2, s38
	v_sub_u32_e32 v1, v1, v2
	v_cmp_lt_u32_e32 vcc, s40, v1
	v_cmp_ge_u32_e64 s[2:3], s40, v1
	s_mov_b64 s[10:11], 0
	s_and_saveexec_b64 s[8:9], s[2:3]
; %bb.35:
	v_add_u32_e32 v1, s42, v18
	v_add_u32_e32 v2, s60, v18
	v_mul_lo_u32 v1, v1, s41
	v_mul_lo_u32 v2, v2, s43
	v_sub_u32_e32 v1, v1, v2
	v_cmp_lt_u32_e64 s[2:3], s61, v1
	s_and_b64 s[10:11], s[2:3], exec
; %bb.36:
	s_or_b64 exec, exec, s[8:9]
	v_cndmask_b32_e64 v32, 0, 1, vcc
	v_cndmask_b32_e64 v33, 0, 1, s[10:11]
.LBB1985_37:
	s_or_b64 exec, exec, s[4:5]
	v_add_u32_e32 v1, 1, v31
	v_cmp_gt_u32_e32 vcc, s18, v1
	v_mov_b32_e32 v34, 0
	v_mov_b32_e32 v35, 0
	s_and_saveexec_b64 s[4:5], vcc
	s_cbranch_execz .LBB1985_41
; %bb.38:
	v_add_u32_e32 v1, s37, v19
	v_add_u32_e32 v2, s39, v19
	v_mul_lo_u32 v1, v1, s36
	v_mul_lo_u32 v2, v2, s38
	v_sub_u32_e32 v1, v1, v2
	v_cmp_lt_u32_e32 vcc, s40, v1
	v_cmp_ge_u32_e64 s[2:3], s40, v1
	s_mov_b64 s[10:11], 0
	s_and_saveexec_b64 s[8:9], s[2:3]
; %bb.39:
	v_add_u32_e32 v1, s42, v19
	v_add_u32_e32 v2, s60, v19
	v_mul_lo_u32 v1, v1, s41
	v_mul_lo_u32 v2, v2, s43
	v_sub_u32_e32 v1, v1, v2
	v_cmp_lt_u32_e64 s[2:3], s61, v1
	s_and_b64 s[10:11], s[2:3], exec
; %bb.40:
	s_or_b64 exec, exec, s[8:9]
	v_cndmask_b32_e64 v34, 0, 1, vcc
	v_cndmask_b32_e64 v35, 0, 1, s[10:11]
.LBB1985_41:
	s_or_b64 exec, exec, s[4:5]
	v_add_u32_e32 v1, 2, v31
	;; [unrolled: 30-line block ×12, first 2 shown]
	v_cmp_gt_u32_e32 vcc, s18, v1
	s_mov_b64 s[46:47], 0
	s_mov_b64 s[58:59], 0
	s_and_saveexec_b64 s[2:3], vcc
	s_cbranch_execz .LBB1985_85
; %bb.82:
	v_add_u32_e32 v1, s37, v30
	v_add_u32_e32 v2, s39, v30
	v_mul_lo_u32 v1, v1, s36
	v_mul_lo_u32 v2, v2, s38
	v_sub_u32_e32 v1, v1, v2
	v_cmp_ge_u32_e32 vcc, s40, v1
	s_mov_b64 s[8:9], -1
	s_mov_b64 s[10:11], 0
	s_and_saveexec_b64 s[4:5], vcc
; %bb.83:
	v_add_u32_e32 v1, s42, v30
	v_add_u32_e32 v2, s60, v30
	v_mul_lo_u32 v1, v1, s41
	v_mul_lo_u32 v2, v2, s43
	v_sub_u32_e32 v1, v1, v2
	v_cmp_lt_u32_e32 vcc, s61, v1
	s_and_b64 s[10:11], vcc, exec
	s_xor_b64 s[8:9], exec, -1
; %bb.84:
	s_or_b64 exec, exec, s[4:5]
	s_and_b64 s[58:59], s[10:11], exec
	s_and_b64 s[46:47], s[8:9], exec
.LBB1985_85:
	s_or_b64 exec, exec, s[2:3]
.LBB1985_86:
	v_and_b32_e32 v63, 0xff, v33
	v_and_b32_e32 v74, 0xff, v35
	;; [unrolled: 1-line block ×5, first 2 shown]
	v_add3_u32 v2, v74, v65, v63
	v_and_b32_e32 v76, 0xff, v42
	v_and_b32_e32 v69, 0xff, v44
	v_add3_u32 v2, v2, v75, v67
	v_and_b32_e32 v62, 0xff, v32
	v_and_b32_e32 v56, 0xff, v34
	;; [unrolled: 1-line block ×5, first 2 shown]
	v_add3_u32 v2, v2, v76, v69
	v_and_b32_e32 v57, 0xff, v39
	v_and_b32_e32 v66, 0xff, v41
	v_and_b32_e32 v78, 0xff, v50
	v_and_b32_e32 v73, 0xff, v52
	v_add3_u32 v3, v56, v64, v62
	v_add3_u32 v2, v2, v77, v71
	v_and_b32_e32 v58, 0xff, v43
	v_and_b32_e32 v68, 0xff, v45
	;; [unrolled: 1-line block ×3, first 2 shown]
	v_cndmask_b32_e64 v1, 0, 1, s[58:59]
	v_add3_u32 v3, v3, v57, v66
	v_add3_u32 v2, v2, v78, v73
	v_and_b32_e32 v59, 0xff, v47
	v_and_b32_e32 v70, 0xff, v49
	v_add3_u32 v3, v3, v58, v68
	v_add3_u32 v86, v2, v79, v1
	v_mbcnt_lo_u32_b32 v1, -1, 0
	v_and_b32_e32 v60, 0xff, v51
	v_and_b32_e32 v72, 0xff, v53
	v_add3_u32 v3, v3, v59, v70
	v_mbcnt_hi_u32_b32 v80, -1, v1
	v_and_b32_e32 v61, 0xff, v55
	v_add3_u32 v3, v3, v60, v72
	v_cndmask_b32_e64 v4, 0, 1, s[46:47]
	v_and_b32_e32 v84, 15, v80
	s_cmp_lg_u32 s6, 0
	v_add3_u32 v85, v3, v61, v4
	v_cmp_eq_u32_e64 s[4:5], 0, v84
	v_cmp_lt_u32_e64 s[2:3], 1, v84
	v_cmp_lt_u32_e64 s[8:9], 3, v84
	;; [unrolled: 1-line block ×3, first 2 shown]
	v_and_b32_e32 v83, 16, v80
	v_cmp_lt_u32_e32 vcc, 31, v80
	v_lshrrev_b32_e32 v81, 6, v0
	v_or_b32_e32 v82, 63, v0
	s_cbranch_scc0 .LBB1985_115
; %bb.87:
	v_mov_b32_dpp v1, v85 row_shr:1 row_mask:0xf bank_mask:0xf
	v_mov_b32_dpp v2, v86 row_shr:1 row_mask:0xf bank_mask:0xf
	v_add_u32_e32 v1, v1, v85
	v_add_u32_e32 v2, v2, v86
	v_cndmask_b32_e64 v2, v2, v86, s[4:5]
	v_cndmask_b32_e64 v1, v1, v85, s[4:5]
	s_nop 0
	v_mov_b32_dpp v4, v2 row_shr:2 row_mask:0xf bank_mask:0xf
	v_mov_b32_dpp v3, v1 row_shr:2 row_mask:0xf bank_mask:0xf
	v_add_u32_e32 v3, v1, v3
	v_add_u32_e32 v4, v2, v4
	v_cndmask_b32_e64 v2, v2, v4, s[2:3]
	v_cndmask_b32_e64 v1, v1, v3, s[2:3]
	s_nop 0
	v_mov_b32_dpp v4, v2 row_shr:4 row_mask:0xf bank_mask:0xf
	v_mov_b32_dpp v3, v1 row_shr:4 row_mask:0xf bank_mask:0xf
	v_add_u32_e32 v3, v1, v3
	v_add_u32_e32 v4, v2, v4
	v_cndmask_b32_e64 v2, v2, v4, s[8:9]
	v_cndmask_b32_e64 v1, v1, v3, s[8:9]
	v_cmp_eq_u32_e64 s[8:9], 0, v83
	v_mov_b32_dpp v4, v2 row_shr:8 row_mask:0xf bank_mask:0xf
	v_mov_b32_dpp v3, v1 row_shr:8 row_mask:0xf bank_mask:0xf
	v_add_u32_e32 v3, v1, v3
	v_add_u32_e32 v4, v2, v4
	v_cndmask_b32_e64 v2, v2, v4, s[10:11]
	v_cndmask_b32_e64 v1, v1, v3, s[10:11]
	s_nop 0
	v_mov_b32_dpp v4, v2 row_bcast:15 row_mask:0xf bank_mask:0xf
	v_mov_b32_dpp v3, v1 row_bcast:15 row_mask:0xf bank_mask:0xf
	v_add_u32_e32 v3, v1, v3
	v_add_u32_e32 v4, v2, v4
	v_cndmask_b32_e64 v2, v4, v2, s[8:9]
	v_cndmask_b32_e64 v1, v3, v1, s[8:9]
	s_nop 0
	v_mov_b32_dpp v4, v2 row_bcast:31 row_mask:0xf bank_mask:0xf
	v_mov_b32_dpp v3, v1 row_bcast:31 row_mask:0xf bank_mask:0xf
	v_add_u32_e32 v4, v2, v4
	v_add_u32_e32 v5, v1, v3
	v_cndmask_b32_e32 v3, v2, v4, vcc
	v_cndmask_b32_e32 v2, v1, v5, vcc
	v_cmp_eq_u32_e32 vcc, v82, v0
	s_and_saveexec_b64 s[8:9], vcc
	s_cbranch_execz .LBB1985_89
; %bb.88:
	v_lshlrev_b32_e32 v1, 3, v81
	ds_write_b64 v1, v[2:3]
.LBB1985_89:
	s_or_b64 exec, exec, s[8:9]
	v_cmp_gt_u32_e32 vcc, 4, v0
	s_waitcnt lgkmcnt(0)
	s_barrier
	s_and_saveexec_b64 s[8:9], vcc
	s_cbranch_execz .LBB1985_91
; %bb.90:
	v_lshlrev_b32_e32 v1, 3, v0
	ds_read_b64 v[4:5], v1
	v_and_b32_e32 v6, 3, v80
	v_cmp_eq_u32_e32 vcc, 0, v6
	s_waitcnt lgkmcnt(0)
	v_mov_b32_dpp v7, v4 row_shr:1 row_mask:0xf bank_mask:0xf
	v_mov_b32_dpp v20, v5 row_shr:1 row_mask:0xf bank_mask:0xf
	v_add_u32_e32 v7, v7, v4
	v_add_u32_e32 v20, v20, v5
	v_cndmask_b32_e32 v5, v20, v5, vcc
	v_cndmask_b32_e32 v4, v7, v4, vcc
	v_cmp_lt_u32_e32 vcc, 1, v6
	v_mov_b32_dpp v20, v5 row_shr:2 row_mask:0xf bank_mask:0xf
	v_mov_b32_dpp v7, v4 row_shr:2 row_mask:0xf bank_mask:0xf
	v_cndmask_b32_e32 v6, 0, v7, vcc
	v_cndmask_b32_e32 v7, 0, v20, vcc
	v_add_u32_e32 v5, v7, v5
	v_add_u32_e32 v4, v6, v4
	ds_write_b64 v1, v[4:5]
.LBB1985_91:
	s_or_b64 exec, exec, s[8:9]
	v_cmp_gt_u32_e32 vcc, 64, v0
	v_cmp_lt_u32_e64 s[8:9], 63, v0
	s_waitcnt lgkmcnt(0)
	s_barrier
	s_waitcnt lgkmcnt(0)
                                        ; implicit-def: $vgpr21
	s_and_saveexec_b64 s[10:11], s[8:9]
	s_xor_b64 s[8:9], exec, s[10:11]
	s_cbranch_execz .LBB1985_93
; %bb.92:
	v_lshl_add_u32 v1, v81, 3, -8
	ds_read_b64 v[20:21], v1
	s_waitcnt lgkmcnt(0)
	v_add_u32_e32 v3, v21, v3
	v_add_u32_e32 v2, v20, v2
.LBB1985_93:
	s_andn2_saveexec_b64 s[8:9], s[8:9]
; %bb.94:
                                        ; implicit-def: $vgpr20
; %bb.95:
	s_or_b64 exec, exec, s[8:9]
	v_add_u32_e32 v1, -1, v80
	v_and_b32_e32 v4, 64, v80
	v_cmp_lt_i32_e64 s[8:9], v1, v4
	v_cndmask_b32_e64 v1, v1, v80, s[8:9]
	v_lshlrev_b32_e32 v4, 2, v1
	ds_bpermute_b32 v1, v4, v2
	ds_bpermute_b32 v87, v4, v3
	v_cmp_eq_u32_e64 s[8:9], 0, v80
	s_and_saveexec_b64 s[10:11], vcc
	s_cbranch_execz .LBB1985_114
; %bb.96:
	v_mov_b32_e32 v7, 0
	ds_read_b64 v[22:23], v7 offset:24
	s_and_saveexec_b64 s[14:15], s[8:9]
	s_cbranch_execz .LBB1985_98
; %bb.97:
	s_add_i32 s16, s6, 64
	s_mov_b32 s17, 0
	s_lshl_b64 s[16:17], s[16:17], 4
	s_waitcnt lgkmcnt(0)
	v_and_b32_e32 v2, 0xff000000, v23
	v_and_b32_e32 v3, 0xff0000, v23
	s_add_u32 s16, s12, s16
	v_or_b32_e32 v2, v3, v2
	v_and_b32_e32 v3, 0xff00, v23
	s_addc_u32 s17, s13, s17
	v_or_b32_e32 v2, v2, v3
	v_or_b32_sdwa v5, v2, v23 dst_sel:DWORD dst_unused:UNUSED_PAD src0_sel:DWORD src1_sel:BYTE_0
	v_mov_b32_e32 v6, 1
	v_mov_b32_e32 v4, v22
	v_pk_mov_b32 v[2:3], s[16:17], s[16:17] op_sel:[0,1]
	;;#ASMSTART
	global_store_dwordx4 v[2:3], v[4:7] off	
s_waitcnt vmcnt(0)
	;;#ASMEND
.LBB1985_98:
	s_or_b64 exec, exec, s[14:15]
	v_xad_u32 v24, v80, -1, s6
	v_add_u32_e32 v6, 64, v24
	v_lshlrev_b64 v[2:3], 4, v[6:7]
	v_mov_b32_e32 v4, s13
	v_add_co_u32_e32 v26, vcc, s12, v2
	v_addc_co_u32_e32 v27, vcc, v4, v3, vcc
	;;#ASMSTART
	global_load_dwordx4 v[2:5], v[26:27] off glc	
s_waitcnt vmcnt(0)
	;;#ASMEND
	v_and_b32_e32 v5, 0xff, v3
	v_and_b32_e32 v6, 0xff00, v3
	v_or3_b32 v5, 0, v5, v6
	v_or3_b32 v2, v2, 0, 0
	v_and_b32_e32 v6, 0xff000000, v3
	v_and_b32_e32 v3, 0xff0000, v3
	v_or3_b32 v3, v5, v3, v6
	v_or3_b32 v2, v2, 0, 0
	v_cmp_eq_u16_sdwa s[16:17], v4, v7 src0_sel:BYTE_0 src1_sel:DWORD
	s_and_saveexec_b64 s[14:15], s[16:17]
	s_cbranch_execz .LBB1985_102
; %bb.99:
	s_mov_b64 s[16:17], 0
	v_mov_b32_e32 v6, 0
.LBB1985_100:                           ; =>This Inner Loop Header: Depth=1
	;;#ASMSTART
	global_load_dwordx4 v[2:5], v[26:27] off glc	
s_waitcnt vmcnt(0)
	;;#ASMEND
	v_cmp_ne_u16_sdwa s[20:21], v4, v6 src0_sel:BYTE_0 src1_sel:DWORD
	s_or_b64 s[16:17], s[20:21], s[16:17]
	s_andn2_b64 exec, exec, s[16:17]
	s_cbranch_execnz .LBB1985_100
; %bb.101:
	s_or_b64 exec, exec, s[16:17]
.LBB1985_102:
	s_or_b64 exec, exec, s[14:15]
	v_and_b32_e32 v89, 63, v80
	v_cmp_ne_u32_e32 vcc, 63, v89
	v_mov_b32_e32 v88, 2
	v_addc_co_u32_e32 v26, vcc, 0, v80, vcc
	v_cmp_eq_u16_sdwa s[14:15], v4, v88 src0_sel:BYTE_0 src1_sel:DWORD
	v_lshlrev_b64 v[6:7], v80, -1
	v_lshlrev_b32_e32 v90, 2, v26
	v_and_b32_e32 v5, s15, v7
	ds_bpermute_b32 v26, v90, v2
	ds_bpermute_b32 v27, v90, v3
	v_or_b32_e32 v5, 0x80000000, v5
	v_and_b32_e32 v25, s14, v6
	v_ffbl_b32_e32 v5, v5
	v_add_u32_e32 v5, 32, v5
	v_ffbl_b32_e32 v25, v25
	v_min_u32_e32 v5, v25, v5
	s_waitcnt lgkmcnt(1)
	v_add_u32_e32 v25, v26, v2
	s_waitcnt lgkmcnt(0)
	v_add_u32_e32 v26, v27, v3
	v_cmp_lt_u32_e32 vcc, v89, v5
	v_cndmask_b32_e32 v3, v3, v26, vcc
	v_cndmask_b32_e32 v2, v2, v25, vcc
	v_cmp_gt_u32_e32 vcc, 62, v89
	v_cndmask_b32_e64 v25, 0, 1, vcc
	v_lshlrev_b32_e32 v25, 1, v25
	v_add_lshl_u32 v91, v25, v80, 2
	ds_bpermute_b32 v25, v91, v2
	ds_bpermute_b32 v26, v91, v3
	v_add_u32_e32 v92, 2, v89
	v_cmp_gt_u32_e32 vcc, v92, v5
	v_add_u32_e32 v94, 4, v89
	s_waitcnt lgkmcnt(1)
	v_add_u32_e32 v25, v2, v25
	s_waitcnt lgkmcnt(0)
	v_add_u32_e32 v26, v3, v26
	v_cndmask_b32_e32 v3, v26, v3, vcc
	v_cndmask_b32_e32 v2, v25, v2, vcc
	v_cmp_gt_u32_e32 vcc, 60, v89
	v_cndmask_b32_e64 v25, 0, 1, vcc
	v_lshlrev_b32_e32 v25, 2, v25
	v_add_lshl_u32 v93, v25, v80, 2
	ds_bpermute_b32 v25, v93, v2
	ds_bpermute_b32 v26, v93, v3
	v_cmp_gt_u32_e32 vcc, v94, v5
	v_add_u32_e32 v96, 8, v89
	v_add_u32_e32 v98, 16, v89
	s_waitcnt lgkmcnt(1)
	v_add_u32_e32 v25, v2, v25
	s_waitcnt lgkmcnt(0)
	v_add_u32_e32 v26, v3, v26
	v_cndmask_b32_e32 v3, v26, v3, vcc
	v_cndmask_b32_e32 v2, v25, v2, vcc
	v_cmp_gt_u32_e32 vcc, 56, v89
	v_cndmask_b32_e64 v25, 0, 1, vcc
	v_lshlrev_b32_e32 v25, 3, v25
	v_add_lshl_u32 v95, v25, v80, 2
	ds_bpermute_b32 v25, v95, v2
	ds_bpermute_b32 v26, v95, v3
	v_cmp_gt_u32_e32 vcc, v96, v5
	v_add_u32_e32 v100, 32, v89
	s_waitcnt lgkmcnt(1)
	v_add_u32_e32 v25, v2, v25
	s_waitcnt lgkmcnt(0)
	v_add_u32_e32 v26, v3, v26
	v_cndmask_b32_e32 v3, v26, v3, vcc
	v_cndmask_b32_e32 v2, v25, v2, vcc
	v_cmp_gt_u32_e32 vcc, 48, v89
	v_cndmask_b32_e64 v25, 0, 1, vcc
	v_lshlrev_b32_e32 v25, 4, v25
	v_add_lshl_u32 v97, v25, v80, 2
	ds_bpermute_b32 v25, v97, v2
	ds_bpermute_b32 v26, v97, v3
	v_cmp_gt_u32_e32 vcc, v98, v5
	s_waitcnt lgkmcnt(1)
	v_add_u32_e32 v25, v2, v25
	s_waitcnt lgkmcnt(0)
	v_add_u32_e32 v26, v3, v26
	v_cndmask_b32_e32 v3, v26, v3, vcc
	v_cndmask_b32_e32 v2, v25, v2, vcc
	v_cmp_gt_u32_e32 vcc, 32, v89
	v_cndmask_b32_e64 v25, 0, 1, vcc
	v_lshlrev_b32_e32 v25, 5, v25
	v_add_lshl_u32 v99, v25, v80, 2
	ds_bpermute_b32 v25, v99, v2
	ds_bpermute_b32 v26, v99, v3
	v_cmp_le_u32_e32 vcc, v100, v5
	s_waitcnt lgkmcnt(1)
	v_cndmask_b32_e32 v5, 0, v25, vcc
	s_waitcnt lgkmcnt(0)
	v_cndmask_b32_e32 v25, 0, v26, vcc
	v_add_u32_e32 v3, v3, v25
	v_add_u32_e32 v2, v2, v5
	v_mov_b32_e32 v25, 0
	s_branch .LBB1985_104
.LBB1985_103:                           ;   in Loop: Header=BB1985_104 Depth=1
	s_or_b64 exec, exec, s[14:15]
	v_cmp_eq_u16_sdwa s[14:15], v4, v88 src0_sel:BYTE_0 src1_sel:DWORD
	v_and_b32_e32 v5, s15, v7
	ds_bpermute_b32 v29, v90, v2
	ds_bpermute_b32 v101, v90, v3
	v_or_b32_e32 v5, 0x80000000, v5
	v_and_b32_e32 v28, s14, v6
	v_ffbl_b32_e32 v5, v5
	v_add_u32_e32 v5, 32, v5
	v_ffbl_b32_e32 v28, v28
	v_min_u32_e32 v5, v28, v5
	s_waitcnt lgkmcnt(1)
	v_add_u32_e32 v28, v29, v2
	s_waitcnt lgkmcnt(0)
	v_add_u32_e32 v29, v101, v3
	v_cmp_lt_u32_e32 vcc, v89, v5
	v_cndmask_b32_e32 v3, v3, v29, vcc
	v_cndmask_b32_e32 v2, v2, v28, vcc
	ds_bpermute_b32 v28, v91, v2
	ds_bpermute_b32 v29, v91, v3
	v_cmp_gt_u32_e32 vcc, v92, v5
	v_subrev_u32_e32 v24, 64, v24
	s_waitcnt lgkmcnt(1)
	v_add_u32_e32 v28, v2, v28
	s_waitcnt lgkmcnt(0)
	v_add_u32_e32 v29, v3, v29
	v_cndmask_b32_e32 v3, v29, v3, vcc
	v_cndmask_b32_e32 v2, v28, v2, vcc
	ds_bpermute_b32 v28, v93, v2
	ds_bpermute_b32 v29, v93, v3
	v_cmp_gt_u32_e32 vcc, v94, v5
	s_waitcnt lgkmcnt(1)
	v_add_u32_e32 v28, v2, v28
	s_waitcnt lgkmcnt(0)
	v_add_u32_e32 v29, v3, v29
	v_cndmask_b32_e32 v3, v29, v3, vcc
	v_cndmask_b32_e32 v2, v28, v2, vcc
	ds_bpermute_b32 v28, v95, v2
	ds_bpermute_b32 v29, v95, v3
	v_cmp_gt_u32_e32 vcc, v96, v5
	;; [unrolled: 9-line block ×3, first 2 shown]
	s_waitcnt lgkmcnt(1)
	v_add_u32_e32 v28, v2, v28
	s_waitcnt lgkmcnt(0)
	v_add_u32_e32 v29, v3, v29
	v_cndmask_b32_e32 v3, v29, v3, vcc
	v_cndmask_b32_e32 v2, v28, v2, vcc
	ds_bpermute_b32 v28, v99, v2
	ds_bpermute_b32 v29, v99, v3
	v_cmp_le_u32_e32 vcc, v100, v5
	s_waitcnt lgkmcnt(1)
	v_cndmask_b32_e32 v5, 0, v28, vcc
	s_waitcnt lgkmcnt(0)
	v_cndmask_b32_e32 v28, 0, v29, vcc
	v_add3_u32 v3, v28, v27, v3
	v_add3_u32 v2, v5, v26, v2
.LBB1985_104:                           ; =>This Loop Header: Depth=1
                                        ;     Child Loop BB1985_107 Depth 2
	v_cmp_ne_u16_sdwa s[14:15], v4, v88 src0_sel:BYTE_0 src1_sel:DWORD
	v_cndmask_b32_e64 v4, 0, 1, s[14:15]
	;;#ASMSTART
	;;#ASMEND
	v_cmp_ne_u32_e32 vcc, 0, v4
	s_cmp_lg_u64 vcc, exec
	v_pk_mov_b32 v[26:27], v[2:3], v[2:3] op_sel:[0,1]
	s_cbranch_scc1 .LBB1985_109
; %bb.105:                              ;   in Loop: Header=BB1985_104 Depth=1
	v_lshlrev_b64 v[2:3], 4, v[24:25]
	v_mov_b32_e32 v4, s13
	v_add_co_u32_e32 v28, vcc, s12, v2
	v_addc_co_u32_e32 v29, vcc, v4, v3, vcc
	;;#ASMSTART
	global_load_dwordx4 v[2:5], v[28:29] off glc	
s_waitcnt vmcnt(0)
	;;#ASMEND
	v_and_b32_e32 v5, 0xff, v3
	v_and_b32_e32 v101, 0xff00, v3
	v_or3_b32 v5, 0, v5, v101
	v_or3_b32 v2, v2, 0, 0
	v_and_b32_e32 v101, 0xff000000, v3
	v_and_b32_e32 v3, 0xff0000, v3
	v_or3_b32 v3, v5, v3, v101
	v_or3_b32 v2, v2, 0, 0
	v_cmp_eq_u16_sdwa s[16:17], v4, v25 src0_sel:BYTE_0 src1_sel:DWORD
	s_and_saveexec_b64 s[14:15], s[16:17]
	s_cbranch_execz .LBB1985_103
; %bb.106:                              ;   in Loop: Header=BB1985_104 Depth=1
	s_mov_b64 s[16:17], 0
.LBB1985_107:                           ;   Parent Loop BB1985_104 Depth=1
                                        ; =>  This Inner Loop Header: Depth=2
	;;#ASMSTART
	global_load_dwordx4 v[2:5], v[28:29] off glc	
s_waitcnt vmcnt(0)
	;;#ASMEND
	v_cmp_ne_u16_sdwa s[20:21], v4, v25 src0_sel:BYTE_0 src1_sel:DWORD
	s_or_b64 s[16:17], s[20:21], s[16:17]
	s_andn2_b64 exec, exec, s[16:17]
	s_cbranch_execnz .LBB1985_107
; %bb.108:                              ;   in Loop: Header=BB1985_104 Depth=1
	s_or_b64 exec, exec, s[16:17]
	s_branch .LBB1985_103
.LBB1985_109:                           ;   in Loop: Header=BB1985_104 Depth=1
                                        ; implicit-def: $vgpr4
                                        ; implicit-def: $vgpr2_vgpr3
	s_cbranch_execz .LBB1985_104
; %bb.110:
	s_and_saveexec_b64 s[14:15], s[8:9]
	s_cbranch_execz .LBB1985_112
; %bb.111:
	s_add_i32 s6, s6, 64
	s_mov_b32 s7, 0
	v_add_u32_e32 v3, v27, v23
	s_lshl_b64 s[6:7], s[6:7], 4
	s_add_u32 s6, s12, s6
	v_and_b32_e32 v4, 0xff000000, v3
	v_and_b32_e32 v6, 0xff0000, v3
	s_addc_u32 s7, s13, s7
	v_or_b32_e32 v4, v6, v4
	v_and_b32_e32 v6, 0xff00, v3
	v_and_b32_e32 v3, 0xff, v3
	v_add_u32_e32 v2, v26, v22
	v_mov_b32_e32 v5, 0
	v_or3_b32 v3, v4, v6, v3
	v_mov_b32_e32 v4, 2
	v_pk_mov_b32 v[6:7], s[6:7], s[6:7] op_sel:[0,1]
	;;#ASMSTART
	global_store_dwordx4 v[6:7], v[2:5] off	
s_waitcnt vmcnt(0)
	;;#ASMEND
	s_movk_i32 s6, 0x3400
	v_add_u32_e64 v2, s6, 0
	ds_write2_b32 v2, v22, v23 offset1:2
	ds_write2_b32 v2, v26, v27 offset0:4 offset1:6
.LBB1985_112:
	s_or_b64 exec, exec, s[14:15]
	v_cmp_eq_u32_e32 vcc, 0, v0
	s_and_b64 exec, exec, vcc
	s_cbranch_execz .LBB1985_114
; %bb.113:
	v_mov_b32_e32 v2, 0
	ds_write_b64 v2, v[26:27] offset:24
.LBB1985_114:
	s_or_b64 exec, exec, s[10:11]
	v_mov_b32_e32 v2, 0
	s_waitcnt lgkmcnt(0)
	s_barrier
	ds_read_b64 v[6:7], v2 offset:24
	s_movk_i32 s6, 0x3400
	v_cndmask_b32_e64 v2, v87, v21, s[8:9]
	v_cndmask_b32_e64 v1, v1, v20, s[8:9]
	v_add_u32_e64 v4, s6, 0
	s_waitcnt lgkmcnt(0)
	v_add_u32_e32 v20, v6, v1
	v_add_u32_e32 v1, v7, v2
	s_barrier
	ds_read2_b32 v[2:3], v4 offset1:2
	ds_read2_b32 v[4:5], v4 offset0:4 offset1:6
	v_cmp_eq_u32_e32 vcc, 0, v0
	v_cndmask_b32_e32 v1, v1, v7, vcc
	v_cndmask_b32_e32 v20, v20, v6, vcc
	s_branch .LBB1985_125
.LBB1985_115:
                                        ; implicit-def: $vgpr1
                                        ; implicit-def: $vgpr4
                                        ; implicit-def: $vgpr2
                                        ; implicit-def: $vgpr20_vgpr21
	s_cbranch_execz .LBB1985_125
; %bb.116:
	s_nop 0
	v_mov_b32_dpp v1, v85 row_shr:1 row_mask:0xf bank_mask:0xf
	s_waitcnt lgkmcnt(0)
	v_mov_b32_dpp v2, v86 row_shr:1 row_mask:0xf bank_mask:0xf
	v_add_u32_e32 v1, v1, v85
	v_add_u32_e32 v2, v2, v86
	v_cndmask_b32_e64 v2, v2, v86, s[4:5]
	v_cndmask_b32_e64 v1, v1, v85, s[4:5]
	v_cmp_lt_u32_e32 vcc, 3, v84
	v_mov_b32_dpp v4, v2 row_shr:2 row_mask:0xf bank_mask:0xf
	v_mov_b32_dpp v3, v1 row_shr:2 row_mask:0xf bank_mask:0xf
	v_add_u32_e32 v3, v1, v3
	v_add_u32_e32 v4, v2, v4
	v_cndmask_b32_e64 v2, v2, v4, s[2:3]
	v_cndmask_b32_e64 v1, v1, v3, s[2:3]
	s_nop 0
	v_mov_b32_dpp v4, v2 row_shr:4 row_mask:0xf bank_mask:0xf
	v_mov_b32_dpp v3, v1 row_shr:4 row_mask:0xf bank_mask:0xf
	v_add_u32_e32 v3, v1, v3
	v_add_u32_e32 v4, v2, v4
	v_cndmask_b32_e32 v2, v2, v4, vcc
	v_cndmask_b32_e32 v1, v1, v3, vcc
	v_cmp_lt_u32_e32 vcc, 7, v84
	v_mov_b32_dpp v4, v2 row_shr:8 row_mask:0xf bank_mask:0xf
	v_mov_b32_dpp v3, v1 row_shr:8 row_mask:0xf bank_mask:0xf
	v_add_u32_e32 v3, v1, v3
	v_add_u32_e32 v4, v2, v4
	v_cndmask_b32_e32 v2, v2, v4, vcc
	v_cndmask_b32_e32 v1, v1, v3, vcc
	v_cmp_eq_u32_e32 vcc, 0, v83
	v_mov_b32_dpp v4, v2 row_bcast:15 row_mask:0xf bank_mask:0xf
	v_mov_b32_dpp v3, v1 row_bcast:15 row_mask:0xf bank_mask:0xf
	v_add_u32_e32 v3, v1, v3
	v_add_u32_e32 v4, v2, v4
	v_cndmask_b32_e32 v2, v4, v2, vcc
	v_cndmask_b32_e32 v1, v3, v1, vcc
	v_cmp_lt_u32_e32 vcc, 31, v80
	v_mov_b32_dpp v4, v2 row_bcast:31 row_mask:0xf bank_mask:0xf
	v_mov_b32_dpp v3, v1 row_bcast:31 row_mask:0xf bank_mask:0xf
	v_add_u32_e32 v4, v2, v4
	v_add_u32_e32 v5, v1, v3
	v_cndmask_b32_e32 v3, v2, v4, vcc
	v_cndmask_b32_e32 v2, v1, v5, vcc
	v_cmp_eq_u32_e32 vcc, v82, v0
	s_and_saveexec_b64 s[2:3], vcc
	s_cbranch_execz .LBB1985_118
; %bb.117:
	v_lshlrev_b32_e32 v1, 3, v81
	ds_write_b64 v1, v[2:3]
.LBB1985_118:
	s_or_b64 exec, exec, s[2:3]
	v_cmp_gt_u32_e32 vcc, 4, v0
	s_waitcnt lgkmcnt(0)
	s_barrier
	s_and_saveexec_b64 s[2:3], vcc
	s_cbranch_execz .LBB1985_120
; %bb.119:
	v_lshlrev_b32_e32 v1, 3, v0
	ds_read_b64 v[4:5], v1
	v_and_b32_e32 v6, 3, v80
	v_cmp_eq_u32_e32 vcc, 0, v6
	s_waitcnt lgkmcnt(0)
	v_mov_b32_dpp v7, v4 row_shr:1 row_mask:0xf bank_mask:0xf
	v_mov_b32_dpp v20, v5 row_shr:1 row_mask:0xf bank_mask:0xf
	v_add_u32_e32 v7, v7, v4
	v_add_u32_e32 v20, v20, v5
	v_cndmask_b32_e32 v5, v20, v5, vcc
	v_cndmask_b32_e32 v4, v7, v4, vcc
	v_cmp_lt_u32_e32 vcc, 1, v6
	v_mov_b32_dpp v20, v5 row_shr:2 row_mask:0xf bank_mask:0xf
	v_mov_b32_dpp v7, v4 row_shr:2 row_mask:0xf bank_mask:0xf
	v_cndmask_b32_e32 v6, 0, v7, vcc
	v_cndmask_b32_e32 v7, 0, v20, vcc
	v_add_u32_e32 v5, v7, v5
	v_add_u32_e32 v4, v6, v4
	ds_write_b64 v1, v[4:5]
.LBB1985_120:
	s_or_b64 exec, exec, s[2:3]
	v_cmp_lt_u32_e32 vcc, 63, v0
	v_mov_b32_e32 v4, 0
	v_mov_b32_e32 v6, 0
	;; [unrolled: 1-line block ×3, first 2 shown]
	s_waitcnt lgkmcnt(0)
	s_barrier
	s_and_saveexec_b64 s[2:3], vcc
	s_cbranch_execz .LBB1985_122
; %bb.121:
	v_lshl_add_u32 v1, v81, 3, -8
	ds_read_b64 v[6:7], v1
.LBB1985_122:
	s_or_b64 exec, exec, s[2:3]
	s_waitcnt lgkmcnt(0)
	v_add_u32_e32 v5, v7, v3
	v_add_u32_e32 v1, v6, v2
	v_add_u32_e32 v2, -1, v80
	v_and_b32_e32 v3, 64, v80
	v_cmp_lt_i32_e32 vcc, v2, v3
	v_cndmask_b32_e32 v2, v2, v80, vcc
	v_lshlrev_b32_e32 v20, 2, v2
	ds_read_b64 v[2:3], v4 offset:24
	ds_bpermute_b32 v1, v20, v1
	ds_bpermute_b32 v20, v20, v5
	v_cmp_eq_u32_e32 vcc, 0, v0
	s_waitcnt lgkmcnt(2)
	v_readfirstlane_b32 s4, v3
	s_and_saveexec_b64 s[2:3], vcc
	s_cbranch_execz .LBB1985_124
; %bb.123:
	s_add_u32 s6, s12, 0x400
	s_mov_b32 s8, 0
	s_addc_u32 s7, s13, 0
	s_and_b32 s9, s4, 0xff000000
	s_and_b32 s11, s4, 0xff0000
	s_mov_b32 s10, s8
	s_or_b64 s[10:11], s[10:11], s[8:9]
	s_and_b32 s9, s4, 0xff00
	s_or_b64 s[10:11], s[10:11], s[8:9]
	s_and_b32 s9, s4, 0xff
	s_or_b64 s[8:9], s[10:11], s[8:9]
	v_mov_b32_e32 v3, s9
	v_mov_b32_e32 v4, 2
	;; [unrolled: 1-line block ×3, first 2 shown]
	v_pk_mov_b32 v[22:23], s[6:7], s[6:7] op_sel:[0,1]
	;;#ASMSTART
	global_store_dwordx4 v[22:23], v[2:5] off	
s_waitcnt vmcnt(0)
	;;#ASMEND
.LBB1985_124:
	s_or_b64 exec, exec, s[2:3]
	v_cmp_eq_u32_e64 s[2:3], 0, v80
	s_waitcnt lgkmcnt(1)
	v_cndmask_b32_e64 v3, v1, v6, s[2:3]
	s_waitcnt lgkmcnt(0)
	v_cndmask_b32_e64 v1, v20, v7, s[2:3]
	v_mov_b32_e32 v4, 0
	v_cndmask_b32_e64 v1, v1, 0, vcc
	v_cndmask_b32_e64 v20, v3, 0, vcc
	s_barrier
	v_mov_b32_e32 v3, s4
	v_mov_b32_e32 v5, 0
.LBB1985_125:
	v_add_u32_e32 v24, v1, v63
	v_add_u32_e32 v25, v24, v74
	;; [unrolled: 1-line block ×14, first 2 shown]
	v_mov_b32_e32 v7, s49
	s_waitcnt lgkmcnt(0)
	v_add_co_u32_e32 v6, vcc, s48, v4
	v_add_u32_e32 v64, v58, v68
	v_add_u32_e32 v68, v66, v71
	v_addc_co_u32_e32 v7, vcc, 0, v7, vcc
	v_add_u32_e32 v69, v68, v78
	v_mov_b32_e32 v22, s51
	v_sub_co_u32_e32 v23, vcc, s50, v2
	v_add_u32_e32 v71, v69, v73
	v_subbrev_co_u32_e32 v73, vcc, 0, v22, vcc
	v_add_co_u32_e32 v22, vcc, v23, v5
	v_addc_co_u32_e32 v23, vcc, 0, v73, vcc
	v_lshlrev_b32_e32 v73, 1, v2
	v_sub_u32_e32 v1, v1, v5
	v_add_u32_e32 v74, v73, v3
	v_sub_u32_e32 v20, v20, v4
	v_add_u32_e32 v1, v1, v2
	v_add_u32_e32 v31, v74, v31
	v_and_b32_e32 v33, 1, v33
	v_add_u32_e32 v74, v20, v1
	v_and_b32_e32 v32, 1, v32
	v_sub_u32_e32 v74, v31, v74
	v_cmp_eq_u32_e32 vcc, 1, v33
	v_cndmask_b32_e32 v1, v74, v1, vcc
	v_cmp_eq_u32_e32 vcc, 1, v32
	v_cndmask_b32_e32 v1, v1, v20, vcc
	v_lshlrev_b32_e32 v1, 2, v1
	v_sub_u32_e32 v20, v24, v5
	ds_write_b32 v1, v18
	v_sub_u32_e32 v1, v21, v4
	v_add_u32_e32 v20, v20, v2
	v_add_u32_e32 v24, v20, v1
	v_and_b32_e32 v21, 1, v35
	v_sub_u32_e32 v24, v31, v24
	v_and_b32_e32 v18, 1, v34
	v_add_u32_e32 v24, 1, v24
	v_cmp_eq_u32_e32 vcc, 1, v21
	v_cndmask_b32_e32 v20, v24, v20, vcc
	v_cmp_eq_u32_e32 vcc, 1, v18
	v_cndmask_b32_e32 v1, v20, v1, vcc
	v_lshlrev_b32_e32 v1, 2, v1
	ds_write_b32 v1, v19
	v_sub_u32_e32 v19, v25, v5
	v_sub_u32_e32 v1, v26, v4
	v_add_u32_e32 v19, v19, v2
	v_add_u32_e32 v21, v19, v1
	v_and_b32_e32 v20, 1, v37
	v_sub_u32_e32 v21, v31, v21
	v_and_b32_e32 v18, 1, v36
	v_add_u32_e32 v21, 2, v21
	v_cmp_eq_u32_e32 vcc, 1, v20
	v_cndmask_b32_e32 v19, v21, v19, vcc
	v_cmp_eq_u32_e32 vcc, 1, v18
	v_cndmask_b32_e32 v1, v19, v1, vcc
	v_lshlrev_b32_e32 v1, 2, v1
	v_sub_u32_e32 v18, v28, v5
	ds_write_b32 v1, v16
	v_sub_u32_e32 v1, v27, v4
	v_add_u32_e32 v18, v18, v2
	v_add_u32_e32 v20, v1, v18
	v_and_b32_e32 v19, 1, v38
	v_sub_u32_e32 v20, v31, v20
	v_and_b32_e32 v16, 1, v39
	v_add_u32_e32 v20, 3, v20
	v_cmp_eq_u32_e32 vcc, 1, v19
	v_cndmask_b32_e32 v18, v20, v18, vcc
	v_cmp_eq_u32_e32 vcc, 1, v16
	v_cndmask_b32_e32 v1, v18, v1, vcc
	v_lshlrev_b32_e32 v1, 2, v1
	ds_write_b32 v1, v17
	v_sub_u32_e32 v17, v29, v5
	v_sub_u32_e32 v1, v56, v4
	v_add_u32_e32 v17, v17, v2
	v_add_u32_e32 v19, v1, v17
	v_and_b32_e32 v18, 1, v40
	v_sub_u32_e32 v19, v31, v19
	v_and_b32_e32 v16, 1, v41
	v_add_u32_e32 v19, 4, v19
	;; [unrolled: 28-line block ×3, first 2 shown]
	v_cmp_eq_u32_e32 vcc, 1, v16
	v_cndmask_b32_e32 v15, v17, v15, vcc
	v_cmp_eq_u32_e32 vcc, 1, v14
	v_cndmask_b32_e32 v1, v15, v1, vcc
	v_lshlrev_b32_e32 v1, 2, v1
	v_sub_u32_e32 v14, v65, v5
	ds_write_b32 v1, v12
	v_sub_u32_e32 v1, v64, v4
	v_add_u32_e32 v14, v14, v2
	v_add_u32_e32 v16, v1, v14
	v_and_b32_e32 v15, 1, v46
	v_sub_u32_e32 v16, v31, v16
	v_and_b32_e32 v12, 1, v47
	v_add_u32_e32 v16, 7, v16
	v_cmp_eq_u32_e32 vcc, 1, v15
	v_cndmask_b32_e32 v14, v16, v14, vcc
	v_cmp_eq_u32_e32 vcc, 1, v12
	v_cndmask_b32_e32 v1, v14, v1, vcc
	v_lshlrev_b32_e32 v1, 2, v1
	v_add_u32_e32 v59, v64, v59
	ds_write_b32 v1, v13
	v_sub_u32_e32 v13, v66, v5
	v_sub_u32_e32 v1, v59, v4
	v_add_u32_e32 v13, v13, v2
	v_add_u32_e32 v15, v1, v13
	v_and_b32_e32 v14, 1, v48
	v_sub_u32_e32 v15, v31, v15
	v_and_b32_e32 v12, 1, v49
	v_add_u32_e32 v15, 8, v15
	v_cmp_eq_u32_e32 vcc, 1, v14
	v_cndmask_b32_e32 v13, v15, v13, vcc
	v_cmp_eq_u32_e32 vcc, 1, v12
	v_cndmask_b32_e32 v1, v13, v1, vcc
	v_add_u32_e32 v67, v59, v70
	v_lshlrev_b32_e32 v1, 2, v1
	v_sub_u32_e32 v12, v68, v5
	ds_write_b32 v1, v10
	v_sub_u32_e32 v1, v67, v4
	v_add_u32_e32 v12, v12, v2
	v_add_u32_e32 v14, v1, v12
	v_and_b32_e32 v13, 1, v50
	v_sub_u32_e32 v14, v31, v14
	v_and_b32_e32 v10, 1, v51
	v_add_u32_e32 v14, 9, v14
	v_cmp_eq_u32_e32 vcc, 1, v13
	v_cndmask_b32_e32 v12, v14, v12, vcc
	v_cmp_eq_u32_e32 vcc, 1, v10
	v_cndmask_b32_e32 v1, v12, v1, vcc
	v_lshlrev_b32_e32 v1, 2, v1
	v_add_u32_e32 v60, v67, v60
	ds_write_b32 v1, v11
	v_sub_u32_e32 v11, v69, v5
	v_sub_u32_e32 v1, v60, v4
	v_add_u32_e32 v11, v11, v2
	v_add_u32_e32 v13, v1, v11
	v_and_b32_e32 v12, 1, v52
	v_sub_u32_e32 v13, v31, v13
	v_and_b32_e32 v10, 1, v53
	v_add_u32_e32 v13, 10, v13
	v_cmp_eq_u32_e32 vcc, 1, v12
	v_cndmask_b32_e32 v11, v13, v11, vcc
	v_cmp_eq_u32_e32 vcc, 1, v10
	v_cndmask_b32_e32 v1, v11, v1, vcc
	v_add_u32_e32 v70, v60, v72
	v_lshlrev_b32_e32 v1, 2, v1
	v_sub_u32_e32 v10, v71, v5
	ds_write_b32 v1, v8
	v_sub_u32_e32 v1, v70, v4
	v_add_u32_e32 v10, v10, v2
	v_add_u32_e32 v12, v1, v10
	v_and_b32_e32 v11, 1, v54
	v_sub_u32_e32 v12, v31, v12
	v_and_b32_e32 v8, 1, v55
	v_add_u32_e32 v12, 11, v12
	v_cmp_eq_u32_e32 vcc, 1, v11
	v_cndmask_b32_e32 v10, v12, v10, vcc
	v_cmp_eq_u32_e32 vcc, 1, v8
	v_cndmask_b32_e32 v1, v10, v1, vcc
	v_add_u32_e32 v72, v71, v79
	v_add_u32_e32 v61, v70, v61
	v_lshlrev_b32_e32 v1, 2, v1
	ds_write_b32 v1, v9
	v_sub_u32_e32 v1, v61, v4
	v_sub_u32_e32 v4, v72, v5
	v_add_u32_e32 v4, v4, v2
	v_add_u32_e32 v8, v1, v4
	v_sub_u32_e32 v8, v31, v8
	v_add_u32_e32 v8, 12, v8
	v_cndmask_b32_e64 v4, v8, v4, s[58:59]
	v_cndmask_b32_e64 v1, v4, v1, s[46:47]
	v_lshlrev_b32_e32 v1, 2, v1
	ds_write_b32 v1, v30
	v_add_co_u32_e32 v1, vcc, v3, v73
	v_addc_co_u32_e64 v4, s[2:3], 0, 0, vcc
	v_add_co_u32_e32 v1, vcc, v1, v22
	v_addc_co_u32_e32 v4, vcc, v4, v23, vcc
	s_add_u32 s4, s56, s33
	v_add_co_u32_e32 v1, vcc, v1, v6
	s_addc_u32 s5, s57, 0
	v_addc_co_u32_e32 v4, vcc, v4, v7, vcc
	v_mov_b32_e32 v8, s5
	v_sub_co_u32_e32 v1, vcc, s4, v1
	v_subb_co_u32_e32 v4, vcc, v8, v4, vcc
	v_lshlrev_b64 v[8:9], 2, v[22:23]
	v_mov_b32_e32 v10, s55
	v_add_co_u32_e32 v8, vcc, s54, v8
	v_addc_co_u32_e32 v9, vcc, v10, v9, vcc
	v_lshlrev_b64 v[10:11], 2, v[6:7]
	v_mov_b32_e32 v13, s53
	v_add_co_u32_e32 v10, vcc, s52, v10
	s_add_u32 s6, s34, -4
	v_addc_co_u32_e32 v11, vcc, v13, v11, vcc
	s_addc_u32 s7, s35, -1
	v_add_u32_e32 v12, v2, v3
	s_and_b64 vcc, exec, s[0:1]
	s_mov_b64 s[0:1], -1
	s_waitcnt lgkmcnt(0)
	s_barrier
	s_cbranch_vccz .LBB1985_129
; %bb.126:
	s_and_b64 vcc, exec, s[0:1]
	s_cbranch_vccnz .LBB1985_234
.LBB1985_127:
	v_cmp_eq_u32_e32 vcc, 0, v0
	s_and_b64 s[0:1], vcc, s[30:31]
	s_and_saveexec_b64 s[2:3], s[0:1]
	s_cbranch_execnz .LBB1985_352
.LBB1985_128:
	s_endpgm
.LBB1985_129:
	v_cmp_le_u32_e32 vcc, v2, v0
	s_and_saveexec_b64 s[0:1], vcc
	s_xor_b64 s[0:1], exec, s[0:1]
	s_cbranch_execz .LBB1985_135
; %bb.130:
	v_cmp_le_u32_e32 vcc, v12, v0
	s_and_saveexec_b64 s[2:3], vcc
	s_xor_b64 s[2:3], exec, s[2:3]
	s_cbranch_execz .LBB1985_132
; %bb.131:
	v_lshlrev_b32_e32 v13, 2, v0
	v_add_co_u32_e32 v14, vcc, v1, v0
	ds_read_b32 v13, v13
	v_addc_co_u32_e32 v15, vcc, 0, v4, vcc
	v_lshlrev_b64 v[14:15], 2, v[14:15]
	v_mov_b32_e32 v16, s35
	v_sub_co_u32_e32 v14, vcc, s34, v14
	v_subb_co_u32_e32 v15, vcc, v16, v15, vcc
	s_waitcnt lgkmcnt(0)
	global_store_dword v[14:15], v13, off offset:-4
.LBB1985_132:
	s_andn2_saveexec_b64 s[2:3], s[2:3]
	s_cbranch_execz .LBB1985_134
; %bb.133:
	v_lshlrev_b32_e32 v13, 2, v0
	ds_read_b32 v14, v13
	v_readfirstlane_b32 s4, v8
	v_readfirstlane_b32 s5, v9
	s_waitcnt lgkmcnt(0)
	s_nop 3
	global_store_dword v13, v14, s[4:5]
.LBB1985_134:
	s_or_b64 exec, exec, s[2:3]
.LBB1985_135:
	s_andn2_saveexec_b64 s[0:1], s[0:1]
	s_cbranch_execz .LBB1985_137
; %bb.136:
	v_lshlrev_b32_e32 v13, 2, v0
	ds_read_b32 v14, v13
	v_readfirstlane_b32 s2, v10
	v_readfirstlane_b32 s3, v11
	s_waitcnt lgkmcnt(0)
	s_nop 3
	global_store_dword v13, v14, s[2:3]
.LBB1985_137:
	s_or_b64 exec, exec, s[0:1]
	v_or_b32_e32 v13, 0x100, v0
	v_cmp_le_u32_e32 vcc, v2, v13
	s_and_saveexec_b64 s[0:1], vcc
	s_xor_b64 s[0:1], exec, s[0:1]
	s_cbranch_execz .LBB1985_143
; %bb.138:
	v_cmp_le_u32_e32 vcc, v12, v13
	s_and_saveexec_b64 s[2:3], vcc
	s_xor_b64 s[2:3], exec, s[2:3]
	s_cbranch_execz .LBB1985_140
; %bb.139:
	v_lshlrev_b32_e32 v13, 2, v0
	ds_read_b32 v13, v13 offset:1024
	v_add_co_u32_e32 v14, vcc, v1, v0
	v_addc_co_u32_e32 v15, vcc, 0, v4, vcc
	v_lshlrev_b64 v[14:15], 2, v[14:15]
	v_mov_b32_e32 v16, s7
	v_sub_co_u32_e32 v14, vcc, s6, v14
	v_subb_co_u32_e32 v15, vcc, v16, v15, vcc
	s_waitcnt lgkmcnt(0)
	global_store_dword v[14:15], v13, off offset:-1024
.LBB1985_140:
	s_andn2_saveexec_b64 s[2:3], s[2:3]
	s_cbranch_execz .LBB1985_142
; %bb.141:
	v_lshlrev_b32_e32 v13, 2, v0
	ds_read_b32 v14, v13 offset:1024
	v_readfirstlane_b32 s4, v8
	v_readfirstlane_b32 s5, v9
	s_waitcnt lgkmcnt(0)
	s_nop 3
	global_store_dword v13, v14, s[4:5] offset:1024
.LBB1985_142:
	s_or_b64 exec, exec, s[2:3]
.LBB1985_143:
	s_andn2_saveexec_b64 s[0:1], s[0:1]
	s_cbranch_execz .LBB1985_145
; %bb.144:
	v_lshlrev_b32_e32 v13, 2, v0
	ds_read_b32 v14, v13 offset:1024
	v_readfirstlane_b32 s2, v10
	v_readfirstlane_b32 s3, v11
	s_waitcnt lgkmcnt(0)
	s_nop 3
	global_store_dword v13, v14, s[2:3] offset:1024
.LBB1985_145:
	s_or_b64 exec, exec, s[0:1]
	v_or_b32_e32 v13, 0x200, v0
	v_cmp_le_u32_e32 vcc, v2, v13
	s_and_saveexec_b64 s[0:1], vcc
	s_xor_b64 s[0:1], exec, s[0:1]
	s_cbranch_execz .LBB1985_151
; %bb.146:
	v_cmp_le_u32_e32 vcc, v12, v13
	s_and_saveexec_b64 s[2:3], vcc
	s_xor_b64 s[2:3], exec, s[2:3]
	s_cbranch_execz .LBB1985_148
; %bb.147:
	v_lshlrev_b32_e32 v13, 2, v0
	ds_read_b32 v13, v13 offset:2048
	v_add_co_u32_e32 v14, vcc, v1, v0
	v_addc_co_u32_e32 v15, vcc, 0, v4, vcc
	v_lshlrev_b64 v[14:15], 2, v[14:15]
	v_mov_b32_e32 v16, s7
	v_sub_co_u32_e32 v14, vcc, s6, v14
	v_subb_co_u32_e32 v15, vcc, v16, v15, vcc
	s_waitcnt lgkmcnt(0)
	global_store_dword v[14:15], v13, off offset:-2048
.LBB1985_148:
	s_andn2_saveexec_b64 s[2:3], s[2:3]
	s_cbranch_execz .LBB1985_150
; %bb.149:
	v_lshlrev_b32_e32 v13, 2, v0
	ds_read_b32 v14, v13 offset:2048
	v_readfirstlane_b32 s4, v8
	v_readfirstlane_b32 s5, v9
	s_waitcnt lgkmcnt(0)
	s_nop 3
	global_store_dword v13, v14, s[4:5] offset:2048
.LBB1985_150:
	s_or_b64 exec, exec, s[2:3]
.LBB1985_151:
	s_andn2_saveexec_b64 s[0:1], s[0:1]
	s_cbranch_execz .LBB1985_153
; %bb.152:
	v_lshlrev_b32_e32 v13, 2, v0
	ds_read_b32 v14, v13 offset:2048
	v_readfirstlane_b32 s2, v10
	v_readfirstlane_b32 s3, v11
	s_waitcnt lgkmcnt(0)
	s_nop 3
	global_store_dword v13, v14, s[2:3] offset:2048
.LBB1985_153:
	;; [unrolled: 47-line block ×3, first 2 shown]
	s_or_b64 exec, exec, s[0:1]
	v_or_b32_e32 v13, 0x400, v0
	v_cmp_le_u32_e32 vcc, v2, v13
	s_and_saveexec_b64 s[0:1], vcc
	s_xor_b64 s[0:1], exec, s[0:1]
	s_cbranch_execz .LBB1985_167
; %bb.162:
	v_cmp_le_u32_e32 vcc, v12, v13
	s_and_saveexec_b64 s[2:3], vcc
	s_xor_b64 s[2:3], exec, s[2:3]
	s_cbranch_execz .LBB1985_164
; %bb.163:
	v_lshlrev_b32_e32 v13, 2, v0
	ds_read_b32 v13, v13 offset:4096
	v_add_co_u32_e32 v14, vcc, v1, v0
	v_addc_co_u32_e32 v15, vcc, 0, v4, vcc
	v_lshlrev_b64 v[14:15], 2, v[14:15]
	v_mov_b32_e32 v16, s7
	v_sub_co_u32_e32 v14, vcc, s6, v14
	v_subb_co_u32_e32 v15, vcc, v16, v15, vcc
	s_waitcnt lgkmcnt(0)
	global_store_dword v[14:15], v13, off offset:-4096
                                        ; implicit-def: $vgpr13
.LBB1985_164:
	s_andn2_saveexec_b64 s[2:3], s[2:3]
	s_cbranch_execz .LBB1985_166
; %bb.165:
	v_lshlrev_b32_e32 v14, 2, v0
	ds_read_b32 v14, v14 offset:4096
	v_lshlrev_b32_e32 v13, 2, v13
	v_readfirstlane_b32 s4, v8
	v_readfirstlane_b32 s5, v9
	s_waitcnt lgkmcnt(0)
	s_nop 3
	global_store_dword v13, v14, s[4:5]
.LBB1985_166:
	s_or_b64 exec, exec, s[2:3]
                                        ; implicit-def: $vgpr13
.LBB1985_167:
	s_andn2_saveexec_b64 s[0:1], s[0:1]
	s_cbranch_execz .LBB1985_169
; %bb.168:
	v_lshlrev_b32_e32 v14, 2, v0
	ds_read_b32 v14, v14 offset:4096
	v_lshlrev_b32_e32 v13, 2, v13
	v_readfirstlane_b32 s2, v10
	v_readfirstlane_b32 s3, v11
	s_waitcnt lgkmcnt(0)
	s_nop 3
	global_store_dword v13, v14, s[2:3]
.LBB1985_169:
	s_or_b64 exec, exec, s[0:1]
	v_or_b32_e32 v13, 0x500, v0
	v_cmp_le_u32_e32 vcc, v2, v13
	s_and_saveexec_b64 s[0:1], vcc
	s_xor_b64 s[0:1], exec, s[0:1]
	s_cbranch_execz .LBB1985_175
; %bb.170:
	v_cmp_le_u32_e32 vcc, v12, v13
	s_and_saveexec_b64 s[2:3], vcc
	s_xor_b64 s[2:3], exec, s[2:3]
	s_cbranch_execz .LBB1985_172
; %bb.171:
	v_add_co_u32_e32 v14, vcc, v1, v13
	v_lshlrev_b32_e32 v13, 2, v0
	ds_read_b32 v13, v13 offset:5120
	v_addc_co_u32_e32 v15, vcc, 0, v4, vcc
	v_lshlrev_b64 v[14:15], 2, v[14:15]
	v_mov_b32_e32 v16, s7
	v_sub_co_u32_e32 v14, vcc, s6, v14
	v_subb_co_u32_e32 v15, vcc, v16, v15, vcc
	s_waitcnt lgkmcnt(0)
	global_store_dword v[14:15], v13, off
                                        ; implicit-def: $vgpr13
.LBB1985_172:
	s_andn2_saveexec_b64 s[2:3], s[2:3]
	s_cbranch_execz .LBB1985_174
; %bb.173:
	v_lshlrev_b32_e32 v14, 2, v0
	ds_read_b32 v14, v14 offset:5120
	v_lshlrev_b32_e32 v13, 2, v13
	v_readfirstlane_b32 s4, v8
	v_readfirstlane_b32 s5, v9
	s_waitcnt lgkmcnt(0)
	s_nop 3
	global_store_dword v13, v14, s[4:5]
.LBB1985_174:
	s_or_b64 exec, exec, s[2:3]
                                        ; implicit-def: $vgpr13
.LBB1985_175:
	s_andn2_saveexec_b64 s[0:1], s[0:1]
	s_cbranch_execz .LBB1985_177
; %bb.176:
	v_lshlrev_b32_e32 v14, 2, v0
	ds_read_b32 v14, v14 offset:5120
	v_lshlrev_b32_e32 v13, 2, v13
	v_readfirstlane_b32 s2, v10
	v_readfirstlane_b32 s3, v11
	s_waitcnt lgkmcnt(0)
	s_nop 3
	global_store_dword v13, v14, s[2:3]
.LBB1985_177:
	s_or_b64 exec, exec, s[0:1]
	v_or_b32_e32 v13, 0x600, v0
	v_cmp_le_u32_e32 vcc, v2, v13
	s_and_saveexec_b64 s[0:1], vcc
	s_xor_b64 s[0:1], exec, s[0:1]
	s_cbranch_execz .LBB1985_183
; %bb.178:
	v_cmp_le_u32_e32 vcc, v12, v13
	s_and_saveexec_b64 s[2:3], vcc
	s_xor_b64 s[2:3], exec, s[2:3]
	s_cbranch_execz .LBB1985_180
; %bb.179:
	v_add_co_u32_e32 v14, vcc, v1, v13
	v_lshlrev_b32_e32 v13, 2, v0
	ds_read_b32 v13, v13 offset:6144
	v_addc_co_u32_e32 v15, vcc, 0, v4, vcc
	v_lshlrev_b64 v[14:15], 2, v[14:15]
	v_mov_b32_e32 v16, s7
	v_sub_co_u32_e32 v14, vcc, s6, v14
	v_subb_co_u32_e32 v15, vcc, v16, v15, vcc
	s_waitcnt lgkmcnt(0)
	global_store_dword v[14:15], v13, off
                                        ; implicit-def: $vgpr13
.LBB1985_180:
	s_andn2_saveexec_b64 s[2:3], s[2:3]
	s_cbranch_execz .LBB1985_182
; %bb.181:
	v_lshlrev_b32_e32 v14, 2, v0
	ds_read_b32 v14, v14 offset:6144
	v_lshlrev_b32_e32 v13, 2, v13
	v_readfirstlane_b32 s4, v8
	v_readfirstlane_b32 s5, v9
	s_waitcnt lgkmcnt(0)
	s_nop 3
	global_store_dword v13, v14, s[4:5]
.LBB1985_182:
	s_or_b64 exec, exec, s[2:3]
                                        ; implicit-def: $vgpr13
.LBB1985_183:
	;; [unrolled: 51-line block ×8, first 2 shown]
	s_andn2_saveexec_b64 s[0:1], s[0:1]
	s_cbranch_execz .LBB1985_233
; %bb.232:
	v_lshlrev_b32_e32 v14, 2, v0
	ds_read_b32 v14, v14 offset:12288
	v_lshlrev_b32_e32 v13, 2, v13
	v_readfirstlane_b32 s2, v10
	v_readfirstlane_b32 s3, v11
	s_waitcnt lgkmcnt(0)
	s_nop 3
	global_store_dword v13, v14, s[2:3]
.LBB1985_233:
	s_or_b64 exec, exec, s[0:1]
	s_branch .LBB1985_127
.LBB1985_234:
	v_cmp_gt_u32_e32 vcc, s18, v0
	s_and_saveexec_b64 s[0:1], vcc
	s_cbranch_execz .LBB1985_243
; %bb.235:
	v_cmp_le_u32_e32 vcc, v2, v0
	s_and_saveexec_b64 s[2:3], vcc
	s_xor_b64 s[2:3], exec, s[2:3]
	s_cbranch_execz .LBB1985_241
; %bb.236:
	v_cmp_le_u32_e32 vcc, v12, v0
	s_and_saveexec_b64 s[4:5], vcc
	s_xor_b64 s[4:5], exec, s[4:5]
	s_cbranch_execz .LBB1985_238
; %bb.237:
	v_lshlrev_b32_e32 v13, 2, v0
	v_add_co_u32_e32 v14, vcc, v1, v0
	ds_read_b32 v13, v13
	v_addc_co_u32_e32 v15, vcc, 0, v4, vcc
	v_lshlrev_b64 v[14:15], 2, v[14:15]
	v_mov_b32_e32 v16, s35
	v_sub_co_u32_e32 v14, vcc, s34, v14
	v_subb_co_u32_e32 v15, vcc, v16, v15, vcc
	s_waitcnt lgkmcnt(0)
	global_store_dword v[14:15], v13, off offset:-4
.LBB1985_238:
	s_andn2_saveexec_b64 s[4:5], s[4:5]
	s_cbranch_execz .LBB1985_240
; %bb.239:
	v_lshlrev_b32_e32 v13, 2, v0
	ds_read_b32 v14, v13
	v_readfirstlane_b32 s8, v8
	v_readfirstlane_b32 s9, v9
	s_waitcnt lgkmcnt(0)
	s_nop 3
	global_store_dword v13, v14, s[8:9]
.LBB1985_240:
	s_or_b64 exec, exec, s[4:5]
.LBB1985_241:
	s_andn2_saveexec_b64 s[2:3], s[2:3]
	s_cbranch_execz .LBB1985_243
; %bb.242:
	v_lshlrev_b32_e32 v13, 2, v0
	ds_read_b32 v14, v13
	v_readfirstlane_b32 s2, v10
	v_readfirstlane_b32 s3, v11
	s_waitcnt lgkmcnt(0)
	s_nop 3
	global_store_dword v13, v14, s[2:3]
.LBB1985_243:
	s_or_b64 exec, exec, s[0:1]
	v_or_b32_e32 v13, 0x100, v0
	v_cmp_gt_u32_e32 vcc, s18, v13
	s_and_saveexec_b64 s[0:1], vcc
	s_cbranch_execz .LBB1985_252
; %bb.244:
	v_cmp_le_u32_e32 vcc, v2, v13
	s_and_saveexec_b64 s[2:3], vcc
	s_xor_b64 s[2:3], exec, s[2:3]
	s_cbranch_execz .LBB1985_250
; %bb.245:
	v_cmp_le_u32_e32 vcc, v12, v13
	s_and_saveexec_b64 s[4:5], vcc
	s_xor_b64 s[4:5], exec, s[4:5]
	s_cbranch_execz .LBB1985_247
; %bb.246:
	v_lshlrev_b32_e32 v13, 2, v0
	ds_read_b32 v13, v13 offset:1024
	v_add_co_u32_e32 v14, vcc, v1, v0
	v_addc_co_u32_e32 v15, vcc, 0, v4, vcc
	v_lshlrev_b64 v[14:15], 2, v[14:15]
	v_mov_b32_e32 v16, s7
	v_sub_co_u32_e32 v14, vcc, s6, v14
	v_subb_co_u32_e32 v15, vcc, v16, v15, vcc
	s_waitcnt lgkmcnt(0)
	global_store_dword v[14:15], v13, off offset:-1024
.LBB1985_247:
	s_andn2_saveexec_b64 s[4:5], s[4:5]
	s_cbranch_execz .LBB1985_249
; %bb.248:
	v_lshlrev_b32_e32 v13, 2, v0
	ds_read_b32 v14, v13 offset:1024
	v_readfirstlane_b32 s8, v8
	v_readfirstlane_b32 s9, v9
	s_waitcnt lgkmcnt(0)
	s_nop 3
	global_store_dword v13, v14, s[8:9] offset:1024
.LBB1985_249:
	s_or_b64 exec, exec, s[4:5]
.LBB1985_250:
	s_andn2_saveexec_b64 s[2:3], s[2:3]
	s_cbranch_execz .LBB1985_252
; %bb.251:
	v_lshlrev_b32_e32 v13, 2, v0
	ds_read_b32 v14, v13 offset:1024
	v_readfirstlane_b32 s2, v10
	v_readfirstlane_b32 s3, v11
	s_waitcnt lgkmcnt(0)
	s_nop 3
	global_store_dword v13, v14, s[2:3] offset:1024
.LBB1985_252:
	s_or_b64 exec, exec, s[0:1]
	v_or_b32_e32 v13, 0x200, v0
	v_cmp_gt_u32_e32 vcc, s18, v13
	s_and_saveexec_b64 s[0:1], vcc
	s_cbranch_execz .LBB1985_261
; %bb.253:
	v_cmp_le_u32_e32 vcc, v2, v13
	s_and_saveexec_b64 s[2:3], vcc
	s_xor_b64 s[2:3], exec, s[2:3]
	s_cbranch_execz .LBB1985_259
; %bb.254:
	v_cmp_le_u32_e32 vcc, v12, v13
	s_and_saveexec_b64 s[4:5], vcc
	s_xor_b64 s[4:5], exec, s[4:5]
	s_cbranch_execz .LBB1985_256
; %bb.255:
	v_lshlrev_b32_e32 v13, 2, v0
	ds_read_b32 v13, v13 offset:2048
	v_add_co_u32_e32 v14, vcc, v1, v0
	v_addc_co_u32_e32 v15, vcc, 0, v4, vcc
	v_lshlrev_b64 v[14:15], 2, v[14:15]
	v_mov_b32_e32 v16, s7
	v_sub_co_u32_e32 v14, vcc, s6, v14
	v_subb_co_u32_e32 v15, vcc, v16, v15, vcc
	s_waitcnt lgkmcnt(0)
	global_store_dword v[14:15], v13, off offset:-2048
.LBB1985_256:
	s_andn2_saveexec_b64 s[4:5], s[4:5]
	s_cbranch_execz .LBB1985_258
; %bb.257:
	v_lshlrev_b32_e32 v13, 2, v0
	ds_read_b32 v14, v13 offset:2048
	v_readfirstlane_b32 s8, v8
	v_readfirstlane_b32 s9, v9
	s_waitcnt lgkmcnt(0)
	s_nop 3
	global_store_dword v13, v14, s[8:9] offset:2048
.LBB1985_258:
	s_or_b64 exec, exec, s[4:5]
.LBB1985_259:
	s_andn2_saveexec_b64 s[2:3], s[2:3]
	s_cbranch_execz .LBB1985_261
; %bb.260:
	v_lshlrev_b32_e32 v13, 2, v0
	ds_read_b32 v14, v13 offset:2048
	v_readfirstlane_b32 s2, v10
	v_readfirstlane_b32 s3, v11
	s_waitcnt lgkmcnt(0)
	s_nop 3
	global_store_dword v13, v14, s[2:3] offset:2048
.LBB1985_261:
	;; [unrolled: 51-line block ×3, first 2 shown]
	s_or_b64 exec, exec, s[0:1]
	v_or_b32_e32 v13, 0x400, v0
	v_cmp_gt_u32_e32 vcc, s18, v13
	s_and_saveexec_b64 s[0:1], vcc
	s_cbranch_execz .LBB1985_279
; %bb.271:
	v_cmp_le_u32_e32 vcc, v2, v13
	s_and_saveexec_b64 s[2:3], vcc
	s_xor_b64 s[2:3], exec, s[2:3]
	s_cbranch_execz .LBB1985_277
; %bb.272:
	v_cmp_le_u32_e32 vcc, v12, v13
	s_and_saveexec_b64 s[4:5], vcc
	s_xor_b64 s[4:5], exec, s[4:5]
	s_cbranch_execz .LBB1985_274
; %bb.273:
	v_lshlrev_b32_e32 v13, 2, v0
	ds_read_b32 v13, v13 offset:4096
	v_add_co_u32_e32 v14, vcc, v1, v0
	v_addc_co_u32_e32 v15, vcc, 0, v4, vcc
	v_lshlrev_b64 v[14:15], 2, v[14:15]
	v_mov_b32_e32 v16, s7
	v_sub_co_u32_e32 v14, vcc, s6, v14
	v_subb_co_u32_e32 v15, vcc, v16, v15, vcc
	s_waitcnt lgkmcnt(0)
	global_store_dword v[14:15], v13, off offset:-4096
                                        ; implicit-def: $vgpr13
.LBB1985_274:
	s_andn2_saveexec_b64 s[4:5], s[4:5]
	s_cbranch_execz .LBB1985_276
; %bb.275:
	v_lshlrev_b32_e32 v14, 2, v0
	ds_read_b32 v14, v14 offset:4096
	v_lshlrev_b32_e32 v13, 2, v13
	v_readfirstlane_b32 s8, v8
	v_readfirstlane_b32 s9, v9
	s_waitcnt lgkmcnt(0)
	s_nop 3
	global_store_dword v13, v14, s[8:9]
.LBB1985_276:
	s_or_b64 exec, exec, s[4:5]
                                        ; implicit-def: $vgpr13
.LBB1985_277:
	s_andn2_saveexec_b64 s[2:3], s[2:3]
	s_cbranch_execz .LBB1985_279
; %bb.278:
	v_lshlrev_b32_e32 v14, 2, v0
	ds_read_b32 v14, v14 offset:4096
	v_lshlrev_b32_e32 v13, 2, v13
	v_readfirstlane_b32 s2, v10
	v_readfirstlane_b32 s3, v11
	s_waitcnt lgkmcnt(0)
	s_nop 3
	global_store_dword v13, v14, s[2:3]
.LBB1985_279:
	s_or_b64 exec, exec, s[0:1]
	v_or_b32_e32 v13, 0x500, v0
	v_cmp_gt_u32_e32 vcc, s18, v13
	s_and_saveexec_b64 s[0:1], vcc
	s_cbranch_execz .LBB1985_288
; %bb.280:
	v_cmp_le_u32_e32 vcc, v2, v13
	s_and_saveexec_b64 s[2:3], vcc
	s_xor_b64 s[2:3], exec, s[2:3]
	s_cbranch_execz .LBB1985_286
; %bb.281:
	v_cmp_le_u32_e32 vcc, v12, v13
	s_and_saveexec_b64 s[4:5], vcc
	s_xor_b64 s[4:5], exec, s[4:5]
	s_cbranch_execz .LBB1985_283
; %bb.282:
	v_add_co_u32_e32 v14, vcc, v1, v13
	v_lshlrev_b32_e32 v13, 2, v0
	ds_read_b32 v13, v13 offset:5120
	v_addc_co_u32_e32 v15, vcc, 0, v4, vcc
	v_lshlrev_b64 v[14:15], 2, v[14:15]
	v_mov_b32_e32 v16, s7
	v_sub_co_u32_e32 v14, vcc, s6, v14
	v_subb_co_u32_e32 v15, vcc, v16, v15, vcc
	s_waitcnt lgkmcnt(0)
	global_store_dword v[14:15], v13, off
                                        ; implicit-def: $vgpr13
.LBB1985_283:
	s_andn2_saveexec_b64 s[4:5], s[4:5]
	s_cbranch_execz .LBB1985_285
; %bb.284:
	v_lshlrev_b32_e32 v14, 2, v0
	ds_read_b32 v14, v14 offset:5120
	v_lshlrev_b32_e32 v13, 2, v13
	v_readfirstlane_b32 s8, v8
	v_readfirstlane_b32 s9, v9
	s_waitcnt lgkmcnt(0)
	s_nop 3
	global_store_dword v13, v14, s[8:9]
.LBB1985_285:
	s_or_b64 exec, exec, s[4:5]
                                        ; implicit-def: $vgpr13
.LBB1985_286:
	s_andn2_saveexec_b64 s[2:3], s[2:3]
	s_cbranch_execz .LBB1985_288
; %bb.287:
	v_lshlrev_b32_e32 v14, 2, v0
	ds_read_b32 v14, v14 offset:5120
	v_lshlrev_b32_e32 v13, 2, v13
	v_readfirstlane_b32 s2, v10
	v_readfirstlane_b32 s3, v11
	s_waitcnt lgkmcnt(0)
	s_nop 3
	global_store_dword v13, v14, s[2:3]
.LBB1985_288:
	s_or_b64 exec, exec, s[0:1]
	v_or_b32_e32 v13, 0x600, v0
	v_cmp_gt_u32_e32 vcc, s18, v13
	s_and_saveexec_b64 s[0:1], vcc
	s_cbranch_execz .LBB1985_297
; %bb.289:
	v_cmp_le_u32_e32 vcc, v2, v13
	s_and_saveexec_b64 s[2:3], vcc
	s_xor_b64 s[2:3], exec, s[2:3]
	s_cbranch_execz .LBB1985_295
; %bb.290:
	v_cmp_le_u32_e32 vcc, v12, v13
	s_and_saveexec_b64 s[4:5], vcc
	s_xor_b64 s[4:5], exec, s[4:5]
	s_cbranch_execz .LBB1985_292
; %bb.291:
	v_add_co_u32_e32 v14, vcc, v1, v13
	v_lshlrev_b32_e32 v13, 2, v0
	ds_read_b32 v13, v13 offset:6144
	v_addc_co_u32_e32 v15, vcc, 0, v4, vcc
	v_lshlrev_b64 v[14:15], 2, v[14:15]
	v_mov_b32_e32 v16, s7
	v_sub_co_u32_e32 v14, vcc, s6, v14
	v_subb_co_u32_e32 v15, vcc, v16, v15, vcc
	s_waitcnt lgkmcnt(0)
	global_store_dword v[14:15], v13, off
                                        ; implicit-def: $vgpr13
.LBB1985_292:
	s_andn2_saveexec_b64 s[4:5], s[4:5]
	s_cbranch_execz .LBB1985_294
; %bb.293:
	v_lshlrev_b32_e32 v14, 2, v0
	ds_read_b32 v14, v14 offset:6144
	v_lshlrev_b32_e32 v13, 2, v13
	v_readfirstlane_b32 s8, v8
	v_readfirstlane_b32 s9, v9
	s_waitcnt lgkmcnt(0)
	s_nop 3
	global_store_dword v13, v14, s[8:9]
.LBB1985_294:
	s_or_b64 exec, exec, s[4:5]
                                        ; implicit-def: $vgpr13
.LBB1985_295:
	s_andn2_saveexec_b64 s[2:3], s[2:3]
	s_cbranch_execz .LBB1985_297
; %bb.296:
	v_lshlrev_b32_e32 v14, 2, v0
	ds_read_b32 v14, v14 offset:6144
	v_lshlrev_b32_e32 v13, 2, v13
	v_readfirstlane_b32 s2, v10
	v_readfirstlane_b32 s3, v11
	s_waitcnt lgkmcnt(0)
	s_nop 3
	global_store_dword v13, v14, s[2:3]
.LBB1985_297:
	;; [unrolled: 55-line block ×7, first 2 shown]
	s_or_b64 exec, exec, s[0:1]
	v_or_b32_e32 v13, 0xc00, v0
	v_cmp_gt_u32_e32 vcc, s18, v13
	s_and_saveexec_b64 s[0:1], vcc
	s_cbranch_execz .LBB1985_351
; %bb.343:
	v_cmp_le_u32_e32 vcc, v2, v13
	s_and_saveexec_b64 s[2:3], vcc
	s_xor_b64 s[2:3], exec, s[2:3]
	s_cbranch_execz .LBB1985_349
; %bb.344:
	v_cmp_le_u32_e32 vcc, v12, v13
	s_and_saveexec_b64 s[4:5], vcc
	s_xor_b64 s[4:5], exec, s[4:5]
	s_cbranch_execz .LBB1985_346
; %bb.345:
	v_add_co_u32_e32 v8, vcc, v1, v13
	v_lshlrev_b32_e32 v1, 2, v0
	ds_read_b32 v1, v1 offset:12288
	v_addc_co_u32_e32 v9, vcc, 0, v4, vcc
	v_lshlrev_b64 v[8:9], 2, v[8:9]
	v_mov_b32_e32 v4, s7
	v_sub_co_u32_e32 v8, vcc, s6, v8
	v_subb_co_u32_e32 v9, vcc, v4, v9, vcc
	s_waitcnt lgkmcnt(0)
	global_store_dword v[8:9], v1, off
                                        ; implicit-def: $vgpr13
                                        ; implicit-def: $vgpr8_vgpr9
.LBB1985_346:
	s_andn2_saveexec_b64 s[4:5], s[4:5]
	s_cbranch_execz .LBB1985_348
; %bb.347:
	v_lshlrev_b32_e32 v1, 2, v0
	ds_read_b32 v1, v1 offset:12288
	v_lshlrev_b32_e32 v4, 2, v13
	v_readfirstlane_b32 s6, v8
	v_readfirstlane_b32 s7, v9
	s_waitcnt lgkmcnt(0)
	s_nop 3
	global_store_dword v4, v1, s[6:7]
.LBB1985_348:
	s_or_b64 exec, exec, s[4:5]
                                        ; implicit-def: $vgpr13
                                        ; implicit-def: $vgpr10_vgpr11
.LBB1985_349:
	s_andn2_saveexec_b64 s[2:3], s[2:3]
	s_cbranch_execz .LBB1985_351
; %bb.350:
	v_lshlrev_b32_e32 v1, 2, v0
	ds_read_b32 v1, v1 offset:12288
	v_lshlrev_b32_e32 v4, 2, v13
	v_readfirstlane_b32 s2, v10
	v_readfirstlane_b32 s3, v11
	s_waitcnt lgkmcnt(0)
	s_nop 3
	global_store_dword v4, v1, s[2:3]
.LBB1985_351:
	s_or_b64 exec, exec, s[0:1]
	v_cmp_eq_u32_e32 vcc, 0, v0
	s_and_b64 s[0:1], vcc, s[30:31]
	s_and_saveexec_b64 s[2:3], s[0:1]
	s_cbranch_execz .LBB1985_128
.LBB1985_352:
	v_add_co_u32_e32 v0, vcc, v6, v2
	v_addc_co_u32_e32 v1, vcc, 0, v7, vcc
	v_mov_b32_e32 v2, s51
	v_add_co_u32_e32 v3, vcc, s50, v3
	v_addc_co_u32_e32 v6, vcc, 0, v2, vcc
	v_add_co_u32_e32 v2, vcc, v3, v5
	v_mov_b32_e32 v4, 0
	v_addc_co_u32_e32 v3, vcc, 0, v6, vcc
	global_store_dwordx4 v4, v[0:3], s[44:45]
	s_endpgm
	.section	.rodata,"a",@progbits
	.p2align	6, 0x0
	.amdhsa_kernel _ZN7rocprim17ROCPRIM_400000_NS6detail17trampoline_kernelINS0_13select_configILj256ELj13ELNS0_17block_load_methodE3ELS4_3ELS4_3ELNS0_20block_scan_algorithmE0ELj4294967295EEENS1_25partition_config_selectorILNS1_17partition_subalgoE4EjNS0_10empty_typeEbEEZZNS1_14partition_implILS8_4ELb0ES6_15HIP_vector_typeIjLj2EENS0_17counting_iteratorIjlEEPS9_SG_NS0_5tupleIJPjSI_NS0_16reverse_iteratorISI_EEEEENSH_IJSG_SG_SG_EEES9_SI_JZNS1_25segmented_radix_sort_implINS0_14default_configELb0EPK12hip_bfloat16PSP_PKlPlN2at6native12_GLOBAL__N_18offset_tEEE10hipError_tPvRmT1_PNSt15iterator_traitsIS13_E10value_typeET2_T3_PNS14_IS19_E10value_typeET4_jRbjT5_S1F_jjP12ihipStream_tbEUljE_ZNSN_ISO_Lb0ESR_SS_SU_SV_SZ_EES10_S11_S12_S13_S17_S18_S19_S1C_S1D_jS1E_jS1F_S1F_jjS1H_bEUljE0_EEES10_S11_S12_S19_S1D_S1F_T6_T7_T9_mT8_S1H_bDpT10_ENKUlT_T0_E_clISt17integral_constantIbLb0EES1V_EEDaS1Q_S1R_EUlS1Q_E_NS1_11comp_targetILNS1_3genE4ELNS1_11target_archE910ELNS1_3gpuE8ELNS1_3repE0EEENS1_30default_config_static_selectorELNS0_4arch9wavefront6targetE1EEEvS13_
		.amdhsa_group_segment_fixed_size 13340
		.amdhsa_private_segment_fixed_size 0
		.amdhsa_kernarg_size 176
		.amdhsa_user_sgpr_count 6
		.amdhsa_user_sgpr_private_segment_buffer 1
		.amdhsa_user_sgpr_dispatch_ptr 0
		.amdhsa_user_sgpr_queue_ptr 0
		.amdhsa_user_sgpr_kernarg_segment_ptr 1
		.amdhsa_user_sgpr_dispatch_id 0
		.amdhsa_user_sgpr_flat_scratch_init 0
		.amdhsa_user_sgpr_kernarg_preload_length 0
		.amdhsa_user_sgpr_kernarg_preload_offset 0
		.amdhsa_user_sgpr_private_segment_size 0
		.amdhsa_uses_dynamic_stack 0
		.amdhsa_system_sgpr_private_segment_wavefront_offset 0
		.amdhsa_system_sgpr_workgroup_id_x 1
		.amdhsa_system_sgpr_workgroup_id_y 0
		.amdhsa_system_sgpr_workgroup_id_z 0
		.amdhsa_system_sgpr_workgroup_info 0
		.amdhsa_system_vgpr_workitem_id 0
		.amdhsa_next_free_vgpr 102
		.amdhsa_next_free_sgpr 90
		.amdhsa_accum_offset 104
		.amdhsa_reserve_vcc 1
		.amdhsa_reserve_flat_scratch 0
		.amdhsa_float_round_mode_32 0
		.amdhsa_float_round_mode_16_64 0
		.amdhsa_float_denorm_mode_32 3
		.amdhsa_float_denorm_mode_16_64 3
		.amdhsa_dx10_clamp 1
		.amdhsa_ieee_mode 1
		.amdhsa_fp16_overflow 0
		.amdhsa_tg_split 0
		.amdhsa_exception_fp_ieee_invalid_op 0
		.amdhsa_exception_fp_denorm_src 0
		.amdhsa_exception_fp_ieee_div_zero 0
		.amdhsa_exception_fp_ieee_overflow 0
		.amdhsa_exception_fp_ieee_underflow 0
		.amdhsa_exception_fp_ieee_inexact 0
		.amdhsa_exception_int_div_zero 0
	.end_amdhsa_kernel
	.section	.text._ZN7rocprim17ROCPRIM_400000_NS6detail17trampoline_kernelINS0_13select_configILj256ELj13ELNS0_17block_load_methodE3ELS4_3ELS4_3ELNS0_20block_scan_algorithmE0ELj4294967295EEENS1_25partition_config_selectorILNS1_17partition_subalgoE4EjNS0_10empty_typeEbEEZZNS1_14partition_implILS8_4ELb0ES6_15HIP_vector_typeIjLj2EENS0_17counting_iteratorIjlEEPS9_SG_NS0_5tupleIJPjSI_NS0_16reverse_iteratorISI_EEEEENSH_IJSG_SG_SG_EEES9_SI_JZNS1_25segmented_radix_sort_implINS0_14default_configELb0EPK12hip_bfloat16PSP_PKlPlN2at6native12_GLOBAL__N_18offset_tEEE10hipError_tPvRmT1_PNSt15iterator_traitsIS13_E10value_typeET2_T3_PNS14_IS19_E10value_typeET4_jRbjT5_S1F_jjP12ihipStream_tbEUljE_ZNSN_ISO_Lb0ESR_SS_SU_SV_SZ_EES10_S11_S12_S13_S17_S18_S19_S1C_S1D_jS1E_jS1F_S1F_jjS1H_bEUljE0_EEES10_S11_S12_S19_S1D_S1F_T6_T7_T9_mT8_S1H_bDpT10_ENKUlT_T0_E_clISt17integral_constantIbLb0EES1V_EEDaS1Q_S1R_EUlS1Q_E_NS1_11comp_targetILNS1_3genE4ELNS1_11target_archE910ELNS1_3gpuE8ELNS1_3repE0EEENS1_30default_config_static_selectorELNS0_4arch9wavefront6targetE1EEEvS13_,"axG",@progbits,_ZN7rocprim17ROCPRIM_400000_NS6detail17trampoline_kernelINS0_13select_configILj256ELj13ELNS0_17block_load_methodE3ELS4_3ELS4_3ELNS0_20block_scan_algorithmE0ELj4294967295EEENS1_25partition_config_selectorILNS1_17partition_subalgoE4EjNS0_10empty_typeEbEEZZNS1_14partition_implILS8_4ELb0ES6_15HIP_vector_typeIjLj2EENS0_17counting_iteratorIjlEEPS9_SG_NS0_5tupleIJPjSI_NS0_16reverse_iteratorISI_EEEEENSH_IJSG_SG_SG_EEES9_SI_JZNS1_25segmented_radix_sort_implINS0_14default_configELb0EPK12hip_bfloat16PSP_PKlPlN2at6native12_GLOBAL__N_18offset_tEEE10hipError_tPvRmT1_PNSt15iterator_traitsIS13_E10value_typeET2_T3_PNS14_IS19_E10value_typeET4_jRbjT5_S1F_jjP12ihipStream_tbEUljE_ZNSN_ISO_Lb0ESR_SS_SU_SV_SZ_EES10_S11_S12_S13_S17_S18_S19_S1C_S1D_jS1E_jS1F_S1F_jjS1H_bEUljE0_EEES10_S11_S12_S19_S1D_S1F_T6_T7_T9_mT8_S1H_bDpT10_ENKUlT_T0_E_clISt17integral_constantIbLb0EES1V_EEDaS1Q_S1R_EUlS1Q_E_NS1_11comp_targetILNS1_3genE4ELNS1_11target_archE910ELNS1_3gpuE8ELNS1_3repE0EEENS1_30default_config_static_selectorELNS0_4arch9wavefront6targetE1EEEvS13_,comdat
.Lfunc_end1985:
	.size	_ZN7rocprim17ROCPRIM_400000_NS6detail17trampoline_kernelINS0_13select_configILj256ELj13ELNS0_17block_load_methodE3ELS4_3ELS4_3ELNS0_20block_scan_algorithmE0ELj4294967295EEENS1_25partition_config_selectorILNS1_17partition_subalgoE4EjNS0_10empty_typeEbEEZZNS1_14partition_implILS8_4ELb0ES6_15HIP_vector_typeIjLj2EENS0_17counting_iteratorIjlEEPS9_SG_NS0_5tupleIJPjSI_NS0_16reverse_iteratorISI_EEEEENSH_IJSG_SG_SG_EEES9_SI_JZNS1_25segmented_radix_sort_implINS0_14default_configELb0EPK12hip_bfloat16PSP_PKlPlN2at6native12_GLOBAL__N_18offset_tEEE10hipError_tPvRmT1_PNSt15iterator_traitsIS13_E10value_typeET2_T3_PNS14_IS19_E10value_typeET4_jRbjT5_S1F_jjP12ihipStream_tbEUljE_ZNSN_ISO_Lb0ESR_SS_SU_SV_SZ_EES10_S11_S12_S13_S17_S18_S19_S1C_S1D_jS1E_jS1F_S1F_jjS1H_bEUljE0_EEES10_S11_S12_S19_S1D_S1F_T6_T7_T9_mT8_S1H_bDpT10_ENKUlT_T0_E_clISt17integral_constantIbLb0EES1V_EEDaS1Q_S1R_EUlS1Q_E_NS1_11comp_targetILNS1_3genE4ELNS1_11target_archE910ELNS1_3gpuE8ELNS1_3repE0EEENS1_30default_config_static_selectorELNS0_4arch9wavefront6targetE1EEEvS13_, .Lfunc_end1985-_ZN7rocprim17ROCPRIM_400000_NS6detail17trampoline_kernelINS0_13select_configILj256ELj13ELNS0_17block_load_methodE3ELS4_3ELS4_3ELNS0_20block_scan_algorithmE0ELj4294967295EEENS1_25partition_config_selectorILNS1_17partition_subalgoE4EjNS0_10empty_typeEbEEZZNS1_14partition_implILS8_4ELb0ES6_15HIP_vector_typeIjLj2EENS0_17counting_iteratorIjlEEPS9_SG_NS0_5tupleIJPjSI_NS0_16reverse_iteratorISI_EEEEENSH_IJSG_SG_SG_EEES9_SI_JZNS1_25segmented_radix_sort_implINS0_14default_configELb0EPK12hip_bfloat16PSP_PKlPlN2at6native12_GLOBAL__N_18offset_tEEE10hipError_tPvRmT1_PNSt15iterator_traitsIS13_E10value_typeET2_T3_PNS14_IS19_E10value_typeET4_jRbjT5_S1F_jjP12ihipStream_tbEUljE_ZNSN_ISO_Lb0ESR_SS_SU_SV_SZ_EES10_S11_S12_S13_S17_S18_S19_S1C_S1D_jS1E_jS1F_S1F_jjS1H_bEUljE0_EEES10_S11_S12_S19_S1D_S1F_T6_T7_T9_mT8_S1H_bDpT10_ENKUlT_T0_E_clISt17integral_constantIbLb0EES1V_EEDaS1Q_S1R_EUlS1Q_E_NS1_11comp_targetILNS1_3genE4ELNS1_11target_archE910ELNS1_3gpuE8ELNS1_3repE0EEENS1_30default_config_static_selectorELNS0_4arch9wavefront6targetE1EEEvS13_
                                        ; -- End function
	.section	.AMDGPU.csdata,"",@progbits
; Kernel info:
; codeLenInByte = 13332
; NumSgprs: 94
; NumVgprs: 102
; NumAgprs: 0
; TotalNumVgprs: 102
; ScratchSize: 0
; MemoryBound: 0
; FloatMode: 240
; IeeeMode: 1
; LDSByteSize: 13340 bytes/workgroup (compile time only)
; SGPRBlocks: 11
; VGPRBlocks: 12
; NumSGPRsForWavesPerEU: 94
; NumVGPRsForWavesPerEU: 102
; AccumOffset: 104
; Occupancy: 4
; WaveLimiterHint : 1
; COMPUTE_PGM_RSRC2:SCRATCH_EN: 0
; COMPUTE_PGM_RSRC2:USER_SGPR: 6
; COMPUTE_PGM_RSRC2:TRAP_HANDLER: 0
; COMPUTE_PGM_RSRC2:TGID_X_EN: 1
; COMPUTE_PGM_RSRC2:TGID_Y_EN: 0
; COMPUTE_PGM_RSRC2:TGID_Z_EN: 0
; COMPUTE_PGM_RSRC2:TIDIG_COMP_CNT: 0
; COMPUTE_PGM_RSRC3_GFX90A:ACCUM_OFFSET: 25
; COMPUTE_PGM_RSRC3_GFX90A:TG_SPLIT: 0
	.section	.text._ZN7rocprim17ROCPRIM_400000_NS6detail17trampoline_kernelINS0_13select_configILj256ELj13ELNS0_17block_load_methodE3ELS4_3ELS4_3ELNS0_20block_scan_algorithmE0ELj4294967295EEENS1_25partition_config_selectorILNS1_17partition_subalgoE4EjNS0_10empty_typeEbEEZZNS1_14partition_implILS8_4ELb0ES6_15HIP_vector_typeIjLj2EENS0_17counting_iteratorIjlEEPS9_SG_NS0_5tupleIJPjSI_NS0_16reverse_iteratorISI_EEEEENSH_IJSG_SG_SG_EEES9_SI_JZNS1_25segmented_radix_sort_implINS0_14default_configELb0EPK12hip_bfloat16PSP_PKlPlN2at6native12_GLOBAL__N_18offset_tEEE10hipError_tPvRmT1_PNSt15iterator_traitsIS13_E10value_typeET2_T3_PNS14_IS19_E10value_typeET4_jRbjT5_S1F_jjP12ihipStream_tbEUljE_ZNSN_ISO_Lb0ESR_SS_SU_SV_SZ_EES10_S11_S12_S13_S17_S18_S19_S1C_S1D_jS1E_jS1F_S1F_jjS1H_bEUljE0_EEES10_S11_S12_S19_S1D_S1F_T6_T7_T9_mT8_S1H_bDpT10_ENKUlT_T0_E_clISt17integral_constantIbLb0EES1V_EEDaS1Q_S1R_EUlS1Q_E_NS1_11comp_targetILNS1_3genE3ELNS1_11target_archE908ELNS1_3gpuE7ELNS1_3repE0EEENS1_30default_config_static_selectorELNS0_4arch9wavefront6targetE1EEEvS13_,"axG",@progbits,_ZN7rocprim17ROCPRIM_400000_NS6detail17trampoline_kernelINS0_13select_configILj256ELj13ELNS0_17block_load_methodE3ELS4_3ELS4_3ELNS0_20block_scan_algorithmE0ELj4294967295EEENS1_25partition_config_selectorILNS1_17partition_subalgoE4EjNS0_10empty_typeEbEEZZNS1_14partition_implILS8_4ELb0ES6_15HIP_vector_typeIjLj2EENS0_17counting_iteratorIjlEEPS9_SG_NS0_5tupleIJPjSI_NS0_16reverse_iteratorISI_EEEEENSH_IJSG_SG_SG_EEES9_SI_JZNS1_25segmented_radix_sort_implINS0_14default_configELb0EPK12hip_bfloat16PSP_PKlPlN2at6native12_GLOBAL__N_18offset_tEEE10hipError_tPvRmT1_PNSt15iterator_traitsIS13_E10value_typeET2_T3_PNS14_IS19_E10value_typeET4_jRbjT5_S1F_jjP12ihipStream_tbEUljE_ZNSN_ISO_Lb0ESR_SS_SU_SV_SZ_EES10_S11_S12_S13_S17_S18_S19_S1C_S1D_jS1E_jS1F_S1F_jjS1H_bEUljE0_EEES10_S11_S12_S19_S1D_S1F_T6_T7_T9_mT8_S1H_bDpT10_ENKUlT_T0_E_clISt17integral_constantIbLb0EES1V_EEDaS1Q_S1R_EUlS1Q_E_NS1_11comp_targetILNS1_3genE3ELNS1_11target_archE908ELNS1_3gpuE7ELNS1_3repE0EEENS1_30default_config_static_selectorELNS0_4arch9wavefront6targetE1EEEvS13_,comdat
	.globl	_ZN7rocprim17ROCPRIM_400000_NS6detail17trampoline_kernelINS0_13select_configILj256ELj13ELNS0_17block_load_methodE3ELS4_3ELS4_3ELNS0_20block_scan_algorithmE0ELj4294967295EEENS1_25partition_config_selectorILNS1_17partition_subalgoE4EjNS0_10empty_typeEbEEZZNS1_14partition_implILS8_4ELb0ES6_15HIP_vector_typeIjLj2EENS0_17counting_iteratorIjlEEPS9_SG_NS0_5tupleIJPjSI_NS0_16reverse_iteratorISI_EEEEENSH_IJSG_SG_SG_EEES9_SI_JZNS1_25segmented_radix_sort_implINS0_14default_configELb0EPK12hip_bfloat16PSP_PKlPlN2at6native12_GLOBAL__N_18offset_tEEE10hipError_tPvRmT1_PNSt15iterator_traitsIS13_E10value_typeET2_T3_PNS14_IS19_E10value_typeET4_jRbjT5_S1F_jjP12ihipStream_tbEUljE_ZNSN_ISO_Lb0ESR_SS_SU_SV_SZ_EES10_S11_S12_S13_S17_S18_S19_S1C_S1D_jS1E_jS1F_S1F_jjS1H_bEUljE0_EEES10_S11_S12_S19_S1D_S1F_T6_T7_T9_mT8_S1H_bDpT10_ENKUlT_T0_E_clISt17integral_constantIbLb0EES1V_EEDaS1Q_S1R_EUlS1Q_E_NS1_11comp_targetILNS1_3genE3ELNS1_11target_archE908ELNS1_3gpuE7ELNS1_3repE0EEENS1_30default_config_static_selectorELNS0_4arch9wavefront6targetE1EEEvS13_ ; -- Begin function _ZN7rocprim17ROCPRIM_400000_NS6detail17trampoline_kernelINS0_13select_configILj256ELj13ELNS0_17block_load_methodE3ELS4_3ELS4_3ELNS0_20block_scan_algorithmE0ELj4294967295EEENS1_25partition_config_selectorILNS1_17partition_subalgoE4EjNS0_10empty_typeEbEEZZNS1_14partition_implILS8_4ELb0ES6_15HIP_vector_typeIjLj2EENS0_17counting_iteratorIjlEEPS9_SG_NS0_5tupleIJPjSI_NS0_16reverse_iteratorISI_EEEEENSH_IJSG_SG_SG_EEES9_SI_JZNS1_25segmented_radix_sort_implINS0_14default_configELb0EPK12hip_bfloat16PSP_PKlPlN2at6native12_GLOBAL__N_18offset_tEEE10hipError_tPvRmT1_PNSt15iterator_traitsIS13_E10value_typeET2_T3_PNS14_IS19_E10value_typeET4_jRbjT5_S1F_jjP12ihipStream_tbEUljE_ZNSN_ISO_Lb0ESR_SS_SU_SV_SZ_EES10_S11_S12_S13_S17_S18_S19_S1C_S1D_jS1E_jS1F_S1F_jjS1H_bEUljE0_EEES10_S11_S12_S19_S1D_S1F_T6_T7_T9_mT8_S1H_bDpT10_ENKUlT_T0_E_clISt17integral_constantIbLb0EES1V_EEDaS1Q_S1R_EUlS1Q_E_NS1_11comp_targetILNS1_3genE3ELNS1_11target_archE908ELNS1_3gpuE7ELNS1_3repE0EEENS1_30default_config_static_selectorELNS0_4arch9wavefront6targetE1EEEvS13_
	.p2align	8
	.type	_ZN7rocprim17ROCPRIM_400000_NS6detail17trampoline_kernelINS0_13select_configILj256ELj13ELNS0_17block_load_methodE3ELS4_3ELS4_3ELNS0_20block_scan_algorithmE0ELj4294967295EEENS1_25partition_config_selectorILNS1_17partition_subalgoE4EjNS0_10empty_typeEbEEZZNS1_14partition_implILS8_4ELb0ES6_15HIP_vector_typeIjLj2EENS0_17counting_iteratorIjlEEPS9_SG_NS0_5tupleIJPjSI_NS0_16reverse_iteratorISI_EEEEENSH_IJSG_SG_SG_EEES9_SI_JZNS1_25segmented_radix_sort_implINS0_14default_configELb0EPK12hip_bfloat16PSP_PKlPlN2at6native12_GLOBAL__N_18offset_tEEE10hipError_tPvRmT1_PNSt15iterator_traitsIS13_E10value_typeET2_T3_PNS14_IS19_E10value_typeET4_jRbjT5_S1F_jjP12ihipStream_tbEUljE_ZNSN_ISO_Lb0ESR_SS_SU_SV_SZ_EES10_S11_S12_S13_S17_S18_S19_S1C_S1D_jS1E_jS1F_S1F_jjS1H_bEUljE0_EEES10_S11_S12_S19_S1D_S1F_T6_T7_T9_mT8_S1H_bDpT10_ENKUlT_T0_E_clISt17integral_constantIbLb0EES1V_EEDaS1Q_S1R_EUlS1Q_E_NS1_11comp_targetILNS1_3genE3ELNS1_11target_archE908ELNS1_3gpuE7ELNS1_3repE0EEENS1_30default_config_static_selectorELNS0_4arch9wavefront6targetE1EEEvS13_,@function
_ZN7rocprim17ROCPRIM_400000_NS6detail17trampoline_kernelINS0_13select_configILj256ELj13ELNS0_17block_load_methodE3ELS4_3ELS4_3ELNS0_20block_scan_algorithmE0ELj4294967295EEENS1_25partition_config_selectorILNS1_17partition_subalgoE4EjNS0_10empty_typeEbEEZZNS1_14partition_implILS8_4ELb0ES6_15HIP_vector_typeIjLj2EENS0_17counting_iteratorIjlEEPS9_SG_NS0_5tupleIJPjSI_NS0_16reverse_iteratorISI_EEEEENSH_IJSG_SG_SG_EEES9_SI_JZNS1_25segmented_radix_sort_implINS0_14default_configELb0EPK12hip_bfloat16PSP_PKlPlN2at6native12_GLOBAL__N_18offset_tEEE10hipError_tPvRmT1_PNSt15iterator_traitsIS13_E10value_typeET2_T3_PNS14_IS19_E10value_typeET4_jRbjT5_S1F_jjP12ihipStream_tbEUljE_ZNSN_ISO_Lb0ESR_SS_SU_SV_SZ_EES10_S11_S12_S13_S17_S18_S19_S1C_S1D_jS1E_jS1F_S1F_jjS1H_bEUljE0_EEES10_S11_S12_S19_S1D_S1F_T6_T7_T9_mT8_S1H_bDpT10_ENKUlT_T0_E_clISt17integral_constantIbLb0EES1V_EEDaS1Q_S1R_EUlS1Q_E_NS1_11comp_targetILNS1_3genE3ELNS1_11target_archE908ELNS1_3gpuE7ELNS1_3repE0EEENS1_30default_config_static_selectorELNS0_4arch9wavefront6targetE1EEEvS13_: ; @_ZN7rocprim17ROCPRIM_400000_NS6detail17trampoline_kernelINS0_13select_configILj256ELj13ELNS0_17block_load_methodE3ELS4_3ELS4_3ELNS0_20block_scan_algorithmE0ELj4294967295EEENS1_25partition_config_selectorILNS1_17partition_subalgoE4EjNS0_10empty_typeEbEEZZNS1_14partition_implILS8_4ELb0ES6_15HIP_vector_typeIjLj2EENS0_17counting_iteratorIjlEEPS9_SG_NS0_5tupleIJPjSI_NS0_16reverse_iteratorISI_EEEEENSH_IJSG_SG_SG_EEES9_SI_JZNS1_25segmented_radix_sort_implINS0_14default_configELb0EPK12hip_bfloat16PSP_PKlPlN2at6native12_GLOBAL__N_18offset_tEEE10hipError_tPvRmT1_PNSt15iterator_traitsIS13_E10value_typeET2_T3_PNS14_IS19_E10value_typeET4_jRbjT5_S1F_jjP12ihipStream_tbEUljE_ZNSN_ISO_Lb0ESR_SS_SU_SV_SZ_EES10_S11_S12_S13_S17_S18_S19_S1C_S1D_jS1E_jS1F_S1F_jjS1H_bEUljE0_EEES10_S11_S12_S19_S1D_S1F_T6_T7_T9_mT8_S1H_bDpT10_ENKUlT_T0_E_clISt17integral_constantIbLb0EES1V_EEDaS1Q_S1R_EUlS1Q_E_NS1_11comp_targetILNS1_3genE3ELNS1_11target_archE908ELNS1_3gpuE7ELNS1_3repE0EEENS1_30default_config_static_selectorELNS0_4arch9wavefront6targetE1EEEvS13_
; %bb.0:
	.section	.rodata,"a",@progbits
	.p2align	6, 0x0
	.amdhsa_kernel _ZN7rocprim17ROCPRIM_400000_NS6detail17trampoline_kernelINS0_13select_configILj256ELj13ELNS0_17block_load_methodE3ELS4_3ELS4_3ELNS0_20block_scan_algorithmE0ELj4294967295EEENS1_25partition_config_selectorILNS1_17partition_subalgoE4EjNS0_10empty_typeEbEEZZNS1_14partition_implILS8_4ELb0ES6_15HIP_vector_typeIjLj2EENS0_17counting_iteratorIjlEEPS9_SG_NS0_5tupleIJPjSI_NS0_16reverse_iteratorISI_EEEEENSH_IJSG_SG_SG_EEES9_SI_JZNS1_25segmented_radix_sort_implINS0_14default_configELb0EPK12hip_bfloat16PSP_PKlPlN2at6native12_GLOBAL__N_18offset_tEEE10hipError_tPvRmT1_PNSt15iterator_traitsIS13_E10value_typeET2_T3_PNS14_IS19_E10value_typeET4_jRbjT5_S1F_jjP12ihipStream_tbEUljE_ZNSN_ISO_Lb0ESR_SS_SU_SV_SZ_EES10_S11_S12_S13_S17_S18_S19_S1C_S1D_jS1E_jS1F_S1F_jjS1H_bEUljE0_EEES10_S11_S12_S19_S1D_S1F_T6_T7_T9_mT8_S1H_bDpT10_ENKUlT_T0_E_clISt17integral_constantIbLb0EES1V_EEDaS1Q_S1R_EUlS1Q_E_NS1_11comp_targetILNS1_3genE3ELNS1_11target_archE908ELNS1_3gpuE7ELNS1_3repE0EEENS1_30default_config_static_selectorELNS0_4arch9wavefront6targetE1EEEvS13_
		.amdhsa_group_segment_fixed_size 0
		.amdhsa_private_segment_fixed_size 0
		.amdhsa_kernarg_size 176
		.amdhsa_user_sgpr_count 6
		.amdhsa_user_sgpr_private_segment_buffer 1
		.amdhsa_user_sgpr_dispatch_ptr 0
		.amdhsa_user_sgpr_queue_ptr 0
		.amdhsa_user_sgpr_kernarg_segment_ptr 1
		.amdhsa_user_sgpr_dispatch_id 0
		.amdhsa_user_sgpr_flat_scratch_init 0
		.amdhsa_user_sgpr_kernarg_preload_length 0
		.amdhsa_user_sgpr_kernarg_preload_offset 0
		.amdhsa_user_sgpr_private_segment_size 0
		.amdhsa_uses_dynamic_stack 0
		.amdhsa_system_sgpr_private_segment_wavefront_offset 0
		.amdhsa_system_sgpr_workgroup_id_x 1
		.amdhsa_system_sgpr_workgroup_id_y 0
		.amdhsa_system_sgpr_workgroup_id_z 0
		.amdhsa_system_sgpr_workgroup_info 0
		.amdhsa_system_vgpr_workitem_id 0
		.amdhsa_next_free_vgpr 1
		.amdhsa_next_free_sgpr 0
		.amdhsa_accum_offset 4
		.amdhsa_reserve_vcc 0
		.amdhsa_reserve_flat_scratch 0
		.amdhsa_float_round_mode_32 0
		.amdhsa_float_round_mode_16_64 0
		.amdhsa_float_denorm_mode_32 3
		.amdhsa_float_denorm_mode_16_64 3
		.amdhsa_dx10_clamp 1
		.amdhsa_ieee_mode 1
		.amdhsa_fp16_overflow 0
		.amdhsa_tg_split 0
		.amdhsa_exception_fp_ieee_invalid_op 0
		.amdhsa_exception_fp_denorm_src 0
		.amdhsa_exception_fp_ieee_div_zero 0
		.amdhsa_exception_fp_ieee_overflow 0
		.amdhsa_exception_fp_ieee_underflow 0
		.amdhsa_exception_fp_ieee_inexact 0
		.amdhsa_exception_int_div_zero 0
	.end_amdhsa_kernel
	.section	.text._ZN7rocprim17ROCPRIM_400000_NS6detail17trampoline_kernelINS0_13select_configILj256ELj13ELNS0_17block_load_methodE3ELS4_3ELS4_3ELNS0_20block_scan_algorithmE0ELj4294967295EEENS1_25partition_config_selectorILNS1_17partition_subalgoE4EjNS0_10empty_typeEbEEZZNS1_14partition_implILS8_4ELb0ES6_15HIP_vector_typeIjLj2EENS0_17counting_iteratorIjlEEPS9_SG_NS0_5tupleIJPjSI_NS0_16reverse_iteratorISI_EEEEENSH_IJSG_SG_SG_EEES9_SI_JZNS1_25segmented_radix_sort_implINS0_14default_configELb0EPK12hip_bfloat16PSP_PKlPlN2at6native12_GLOBAL__N_18offset_tEEE10hipError_tPvRmT1_PNSt15iterator_traitsIS13_E10value_typeET2_T3_PNS14_IS19_E10value_typeET4_jRbjT5_S1F_jjP12ihipStream_tbEUljE_ZNSN_ISO_Lb0ESR_SS_SU_SV_SZ_EES10_S11_S12_S13_S17_S18_S19_S1C_S1D_jS1E_jS1F_S1F_jjS1H_bEUljE0_EEES10_S11_S12_S19_S1D_S1F_T6_T7_T9_mT8_S1H_bDpT10_ENKUlT_T0_E_clISt17integral_constantIbLb0EES1V_EEDaS1Q_S1R_EUlS1Q_E_NS1_11comp_targetILNS1_3genE3ELNS1_11target_archE908ELNS1_3gpuE7ELNS1_3repE0EEENS1_30default_config_static_selectorELNS0_4arch9wavefront6targetE1EEEvS13_,"axG",@progbits,_ZN7rocprim17ROCPRIM_400000_NS6detail17trampoline_kernelINS0_13select_configILj256ELj13ELNS0_17block_load_methodE3ELS4_3ELS4_3ELNS0_20block_scan_algorithmE0ELj4294967295EEENS1_25partition_config_selectorILNS1_17partition_subalgoE4EjNS0_10empty_typeEbEEZZNS1_14partition_implILS8_4ELb0ES6_15HIP_vector_typeIjLj2EENS0_17counting_iteratorIjlEEPS9_SG_NS0_5tupleIJPjSI_NS0_16reverse_iteratorISI_EEEEENSH_IJSG_SG_SG_EEES9_SI_JZNS1_25segmented_radix_sort_implINS0_14default_configELb0EPK12hip_bfloat16PSP_PKlPlN2at6native12_GLOBAL__N_18offset_tEEE10hipError_tPvRmT1_PNSt15iterator_traitsIS13_E10value_typeET2_T3_PNS14_IS19_E10value_typeET4_jRbjT5_S1F_jjP12ihipStream_tbEUljE_ZNSN_ISO_Lb0ESR_SS_SU_SV_SZ_EES10_S11_S12_S13_S17_S18_S19_S1C_S1D_jS1E_jS1F_S1F_jjS1H_bEUljE0_EEES10_S11_S12_S19_S1D_S1F_T6_T7_T9_mT8_S1H_bDpT10_ENKUlT_T0_E_clISt17integral_constantIbLb0EES1V_EEDaS1Q_S1R_EUlS1Q_E_NS1_11comp_targetILNS1_3genE3ELNS1_11target_archE908ELNS1_3gpuE7ELNS1_3repE0EEENS1_30default_config_static_selectorELNS0_4arch9wavefront6targetE1EEEvS13_,comdat
.Lfunc_end1986:
	.size	_ZN7rocprim17ROCPRIM_400000_NS6detail17trampoline_kernelINS0_13select_configILj256ELj13ELNS0_17block_load_methodE3ELS4_3ELS4_3ELNS0_20block_scan_algorithmE0ELj4294967295EEENS1_25partition_config_selectorILNS1_17partition_subalgoE4EjNS0_10empty_typeEbEEZZNS1_14partition_implILS8_4ELb0ES6_15HIP_vector_typeIjLj2EENS0_17counting_iteratorIjlEEPS9_SG_NS0_5tupleIJPjSI_NS0_16reverse_iteratorISI_EEEEENSH_IJSG_SG_SG_EEES9_SI_JZNS1_25segmented_radix_sort_implINS0_14default_configELb0EPK12hip_bfloat16PSP_PKlPlN2at6native12_GLOBAL__N_18offset_tEEE10hipError_tPvRmT1_PNSt15iterator_traitsIS13_E10value_typeET2_T3_PNS14_IS19_E10value_typeET4_jRbjT5_S1F_jjP12ihipStream_tbEUljE_ZNSN_ISO_Lb0ESR_SS_SU_SV_SZ_EES10_S11_S12_S13_S17_S18_S19_S1C_S1D_jS1E_jS1F_S1F_jjS1H_bEUljE0_EEES10_S11_S12_S19_S1D_S1F_T6_T7_T9_mT8_S1H_bDpT10_ENKUlT_T0_E_clISt17integral_constantIbLb0EES1V_EEDaS1Q_S1R_EUlS1Q_E_NS1_11comp_targetILNS1_3genE3ELNS1_11target_archE908ELNS1_3gpuE7ELNS1_3repE0EEENS1_30default_config_static_selectorELNS0_4arch9wavefront6targetE1EEEvS13_, .Lfunc_end1986-_ZN7rocprim17ROCPRIM_400000_NS6detail17trampoline_kernelINS0_13select_configILj256ELj13ELNS0_17block_load_methodE3ELS4_3ELS4_3ELNS0_20block_scan_algorithmE0ELj4294967295EEENS1_25partition_config_selectorILNS1_17partition_subalgoE4EjNS0_10empty_typeEbEEZZNS1_14partition_implILS8_4ELb0ES6_15HIP_vector_typeIjLj2EENS0_17counting_iteratorIjlEEPS9_SG_NS0_5tupleIJPjSI_NS0_16reverse_iteratorISI_EEEEENSH_IJSG_SG_SG_EEES9_SI_JZNS1_25segmented_radix_sort_implINS0_14default_configELb0EPK12hip_bfloat16PSP_PKlPlN2at6native12_GLOBAL__N_18offset_tEEE10hipError_tPvRmT1_PNSt15iterator_traitsIS13_E10value_typeET2_T3_PNS14_IS19_E10value_typeET4_jRbjT5_S1F_jjP12ihipStream_tbEUljE_ZNSN_ISO_Lb0ESR_SS_SU_SV_SZ_EES10_S11_S12_S13_S17_S18_S19_S1C_S1D_jS1E_jS1F_S1F_jjS1H_bEUljE0_EEES10_S11_S12_S19_S1D_S1F_T6_T7_T9_mT8_S1H_bDpT10_ENKUlT_T0_E_clISt17integral_constantIbLb0EES1V_EEDaS1Q_S1R_EUlS1Q_E_NS1_11comp_targetILNS1_3genE3ELNS1_11target_archE908ELNS1_3gpuE7ELNS1_3repE0EEENS1_30default_config_static_selectorELNS0_4arch9wavefront6targetE1EEEvS13_
                                        ; -- End function
	.section	.AMDGPU.csdata,"",@progbits
; Kernel info:
; codeLenInByte = 0
; NumSgprs: 4
; NumVgprs: 0
; NumAgprs: 0
; TotalNumVgprs: 0
; ScratchSize: 0
; MemoryBound: 0
; FloatMode: 240
; IeeeMode: 1
; LDSByteSize: 0 bytes/workgroup (compile time only)
; SGPRBlocks: 0
; VGPRBlocks: 0
; NumSGPRsForWavesPerEU: 4
; NumVGPRsForWavesPerEU: 1
; AccumOffset: 4
; Occupancy: 8
; WaveLimiterHint : 0
; COMPUTE_PGM_RSRC2:SCRATCH_EN: 0
; COMPUTE_PGM_RSRC2:USER_SGPR: 6
; COMPUTE_PGM_RSRC2:TRAP_HANDLER: 0
; COMPUTE_PGM_RSRC2:TGID_X_EN: 1
; COMPUTE_PGM_RSRC2:TGID_Y_EN: 0
; COMPUTE_PGM_RSRC2:TGID_Z_EN: 0
; COMPUTE_PGM_RSRC2:TIDIG_COMP_CNT: 0
; COMPUTE_PGM_RSRC3_GFX90A:ACCUM_OFFSET: 0
; COMPUTE_PGM_RSRC3_GFX90A:TG_SPLIT: 0
	.section	.text._ZN7rocprim17ROCPRIM_400000_NS6detail17trampoline_kernelINS0_13select_configILj256ELj13ELNS0_17block_load_methodE3ELS4_3ELS4_3ELNS0_20block_scan_algorithmE0ELj4294967295EEENS1_25partition_config_selectorILNS1_17partition_subalgoE4EjNS0_10empty_typeEbEEZZNS1_14partition_implILS8_4ELb0ES6_15HIP_vector_typeIjLj2EENS0_17counting_iteratorIjlEEPS9_SG_NS0_5tupleIJPjSI_NS0_16reverse_iteratorISI_EEEEENSH_IJSG_SG_SG_EEES9_SI_JZNS1_25segmented_radix_sort_implINS0_14default_configELb0EPK12hip_bfloat16PSP_PKlPlN2at6native12_GLOBAL__N_18offset_tEEE10hipError_tPvRmT1_PNSt15iterator_traitsIS13_E10value_typeET2_T3_PNS14_IS19_E10value_typeET4_jRbjT5_S1F_jjP12ihipStream_tbEUljE_ZNSN_ISO_Lb0ESR_SS_SU_SV_SZ_EES10_S11_S12_S13_S17_S18_S19_S1C_S1D_jS1E_jS1F_S1F_jjS1H_bEUljE0_EEES10_S11_S12_S19_S1D_S1F_T6_T7_T9_mT8_S1H_bDpT10_ENKUlT_T0_E_clISt17integral_constantIbLb0EES1V_EEDaS1Q_S1R_EUlS1Q_E_NS1_11comp_targetILNS1_3genE2ELNS1_11target_archE906ELNS1_3gpuE6ELNS1_3repE0EEENS1_30default_config_static_selectorELNS0_4arch9wavefront6targetE1EEEvS13_,"axG",@progbits,_ZN7rocprim17ROCPRIM_400000_NS6detail17trampoline_kernelINS0_13select_configILj256ELj13ELNS0_17block_load_methodE3ELS4_3ELS4_3ELNS0_20block_scan_algorithmE0ELj4294967295EEENS1_25partition_config_selectorILNS1_17partition_subalgoE4EjNS0_10empty_typeEbEEZZNS1_14partition_implILS8_4ELb0ES6_15HIP_vector_typeIjLj2EENS0_17counting_iteratorIjlEEPS9_SG_NS0_5tupleIJPjSI_NS0_16reverse_iteratorISI_EEEEENSH_IJSG_SG_SG_EEES9_SI_JZNS1_25segmented_radix_sort_implINS0_14default_configELb0EPK12hip_bfloat16PSP_PKlPlN2at6native12_GLOBAL__N_18offset_tEEE10hipError_tPvRmT1_PNSt15iterator_traitsIS13_E10value_typeET2_T3_PNS14_IS19_E10value_typeET4_jRbjT5_S1F_jjP12ihipStream_tbEUljE_ZNSN_ISO_Lb0ESR_SS_SU_SV_SZ_EES10_S11_S12_S13_S17_S18_S19_S1C_S1D_jS1E_jS1F_S1F_jjS1H_bEUljE0_EEES10_S11_S12_S19_S1D_S1F_T6_T7_T9_mT8_S1H_bDpT10_ENKUlT_T0_E_clISt17integral_constantIbLb0EES1V_EEDaS1Q_S1R_EUlS1Q_E_NS1_11comp_targetILNS1_3genE2ELNS1_11target_archE906ELNS1_3gpuE6ELNS1_3repE0EEENS1_30default_config_static_selectorELNS0_4arch9wavefront6targetE1EEEvS13_,comdat
	.globl	_ZN7rocprim17ROCPRIM_400000_NS6detail17trampoline_kernelINS0_13select_configILj256ELj13ELNS0_17block_load_methodE3ELS4_3ELS4_3ELNS0_20block_scan_algorithmE0ELj4294967295EEENS1_25partition_config_selectorILNS1_17partition_subalgoE4EjNS0_10empty_typeEbEEZZNS1_14partition_implILS8_4ELb0ES6_15HIP_vector_typeIjLj2EENS0_17counting_iteratorIjlEEPS9_SG_NS0_5tupleIJPjSI_NS0_16reverse_iteratorISI_EEEEENSH_IJSG_SG_SG_EEES9_SI_JZNS1_25segmented_radix_sort_implINS0_14default_configELb0EPK12hip_bfloat16PSP_PKlPlN2at6native12_GLOBAL__N_18offset_tEEE10hipError_tPvRmT1_PNSt15iterator_traitsIS13_E10value_typeET2_T3_PNS14_IS19_E10value_typeET4_jRbjT5_S1F_jjP12ihipStream_tbEUljE_ZNSN_ISO_Lb0ESR_SS_SU_SV_SZ_EES10_S11_S12_S13_S17_S18_S19_S1C_S1D_jS1E_jS1F_S1F_jjS1H_bEUljE0_EEES10_S11_S12_S19_S1D_S1F_T6_T7_T9_mT8_S1H_bDpT10_ENKUlT_T0_E_clISt17integral_constantIbLb0EES1V_EEDaS1Q_S1R_EUlS1Q_E_NS1_11comp_targetILNS1_3genE2ELNS1_11target_archE906ELNS1_3gpuE6ELNS1_3repE0EEENS1_30default_config_static_selectorELNS0_4arch9wavefront6targetE1EEEvS13_ ; -- Begin function _ZN7rocprim17ROCPRIM_400000_NS6detail17trampoline_kernelINS0_13select_configILj256ELj13ELNS0_17block_load_methodE3ELS4_3ELS4_3ELNS0_20block_scan_algorithmE0ELj4294967295EEENS1_25partition_config_selectorILNS1_17partition_subalgoE4EjNS0_10empty_typeEbEEZZNS1_14partition_implILS8_4ELb0ES6_15HIP_vector_typeIjLj2EENS0_17counting_iteratorIjlEEPS9_SG_NS0_5tupleIJPjSI_NS0_16reverse_iteratorISI_EEEEENSH_IJSG_SG_SG_EEES9_SI_JZNS1_25segmented_radix_sort_implINS0_14default_configELb0EPK12hip_bfloat16PSP_PKlPlN2at6native12_GLOBAL__N_18offset_tEEE10hipError_tPvRmT1_PNSt15iterator_traitsIS13_E10value_typeET2_T3_PNS14_IS19_E10value_typeET4_jRbjT5_S1F_jjP12ihipStream_tbEUljE_ZNSN_ISO_Lb0ESR_SS_SU_SV_SZ_EES10_S11_S12_S13_S17_S18_S19_S1C_S1D_jS1E_jS1F_S1F_jjS1H_bEUljE0_EEES10_S11_S12_S19_S1D_S1F_T6_T7_T9_mT8_S1H_bDpT10_ENKUlT_T0_E_clISt17integral_constantIbLb0EES1V_EEDaS1Q_S1R_EUlS1Q_E_NS1_11comp_targetILNS1_3genE2ELNS1_11target_archE906ELNS1_3gpuE6ELNS1_3repE0EEENS1_30default_config_static_selectorELNS0_4arch9wavefront6targetE1EEEvS13_
	.p2align	8
	.type	_ZN7rocprim17ROCPRIM_400000_NS6detail17trampoline_kernelINS0_13select_configILj256ELj13ELNS0_17block_load_methodE3ELS4_3ELS4_3ELNS0_20block_scan_algorithmE0ELj4294967295EEENS1_25partition_config_selectorILNS1_17partition_subalgoE4EjNS0_10empty_typeEbEEZZNS1_14partition_implILS8_4ELb0ES6_15HIP_vector_typeIjLj2EENS0_17counting_iteratorIjlEEPS9_SG_NS0_5tupleIJPjSI_NS0_16reverse_iteratorISI_EEEEENSH_IJSG_SG_SG_EEES9_SI_JZNS1_25segmented_radix_sort_implINS0_14default_configELb0EPK12hip_bfloat16PSP_PKlPlN2at6native12_GLOBAL__N_18offset_tEEE10hipError_tPvRmT1_PNSt15iterator_traitsIS13_E10value_typeET2_T3_PNS14_IS19_E10value_typeET4_jRbjT5_S1F_jjP12ihipStream_tbEUljE_ZNSN_ISO_Lb0ESR_SS_SU_SV_SZ_EES10_S11_S12_S13_S17_S18_S19_S1C_S1D_jS1E_jS1F_S1F_jjS1H_bEUljE0_EEES10_S11_S12_S19_S1D_S1F_T6_T7_T9_mT8_S1H_bDpT10_ENKUlT_T0_E_clISt17integral_constantIbLb0EES1V_EEDaS1Q_S1R_EUlS1Q_E_NS1_11comp_targetILNS1_3genE2ELNS1_11target_archE906ELNS1_3gpuE6ELNS1_3repE0EEENS1_30default_config_static_selectorELNS0_4arch9wavefront6targetE1EEEvS13_,@function
_ZN7rocprim17ROCPRIM_400000_NS6detail17trampoline_kernelINS0_13select_configILj256ELj13ELNS0_17block_load_methodE3ELS4_3ELS4_3ELNS0_20block_scan_algorithmE0ELj4294967295EEENS1_25partition_config_selectorILNS1_17partition_subalgoE4EjNS0_10empty_typeEbEEZZNS1_14partition_implILS8_4ELb0ES6_15HIP_vector_typeIjLj2EENS0_17counting_iteratorIjlEEPS9_SG_NS0_5tupleIJPjSI_NS0_16reverse_iteratorISI_EEEEENSH_IJSG_SG_SG_EEES9_SI_JZNS1_25segmented_radix_sort_implINS0_14default_configELb0EPK12hip_bfloat16PSP_PKlPlN2at6native12_GLOBAL__N_18offset_tEEE10hipError_tPvRmT1_PNSt15iterator_traitsIS13_E10value_typeET2_T3_PNS14_IS19_E10value_typeET4_jRbjT5_S1F_jjP12ihipStream_tbEUljE_ZNSN_ISO_Lb0ESR_SS_SU_SV_SZ_EES10_S11_S12_S13_S17_S18_S19_S1C_S1D_jS1E_jS1F_S1F_jjS1H_bEUljE0_EEES10_S11_S12_S19_S1D_S1F_T6_T7_T9_mT8_S1H_bDpT10_ENKUlT_T0_E_clISt17integral_constantIbLb0EES1V_EEDaS1Q_S1R_EUlS1Q_E_NS1_11comp_targetILNS1_3genE2ELNS1_11target_archE906ELNS1_3gpuE6ELNS1_3repE0EEENS1_30default_config_static_selectorELNS0_4arch9wavefront6targetE1EEEvS13_: ; @_ZN7rocprim17ROCPRIM_400000_NS6detail17trampoline_kernelINS0_13select_configILj256ELj13ELNS0_17block_load_methodE3ELS4_3ELS4_3ELNS0_20block_scan_algorithmE0ELj4294967295EEENS1_25partition_config_selectorILNS1_17partition_subalgoE4EjNS0_10empty_typeEbEEZZNS1_14partition_implILS8_4ELb0ES6_15HIP_vector_typeIjLj2EENS0_17counting_iteratorIjlEEPS9_SG_NS0_5tupleIJPjSI_NS0_16reverse_iteratorISI_EEEEENSH_IJSG_SG_SG_EEES9_SI_JZNS1_25segmented_radix_sort_implINS0_14default_configELb0EPK12hip_bfloat16PSP_PKlPlN2at6native12_GLOBAL__N_18offset_tEEE10hipError_tPvRmT1_PNSt15iterator_traitsIS13_E10value_typeET2_T3_PNS14_IS19_E10value_typeET4_jRbjT5_S1F_jjP12ihipStream_tbEUljE_ZNSN_ISO_Lb0ESR_SS_SU_SV_SZ_EES10_S11_S12_S13_S17_S18_S19_S1C_S1D_jS1E_jS1F_S1F_jjS1H_bEUljE0_EEES10_S11_S12_S19_S1D_S1F_T6_T7_T9_mT8_S1H_bDpT10_ENKUlT_T0_E_clISt17integral_constantIbLb0EES1V_EEDaS1Q_S1R_EUlS1Q_E_NS1_11comp_targetILNS1_3genE2ELNS1_11target_archE906ELNS1_3gpuE6ELNS1_3repE0EEENS1_30default_config_static_selectorELNS0_4arch9wavefront6targetE1EEEvS13_
; %bb.0:
	.section	.rodata,"a",@progbits
	.p2align	6, 0x0
	.amdhsa_kernel _ZN7rocprim17ROCPRIM_400000_NS6detail17trampoline_kernelINS0_13select_configILj256ELj13ELNS0_17block_load_methodE3ELS4_3ELS4_3ELNS0_20block_scan_algorithmE0ELj4294967295EEENS1_25partition_config_selectorILNS1_17partition_subalgoE4EjNS0_10empty_typeEbEEZZNS1_14partition_implILS8_4ELb0ES6_15HIP_vector_typeIjLj2EENS0_17counting_iteratorIjlEEPS9_SG_NS0_5tupleIJPjSI_NS0_16reverse_iteratorISI_EEEEENSH_IJSG_SG_SG_EEES9_SI_JZNS1_25segmented_radix_sort_implINS0_14default_configELb0EPK12hip_bfloat16PSP_PKlPlN2at6native12_GLOBAL__N_18offset_tEEE10hipError_tPvRmT1_PNSt15iterator_traitsIS13_E10value_typeET2_T3_PNS14_IS19_E10value_typeET4_jRbjT5_S1F_jjP12ihipStream_tbEUljE_ZNSN_ISO_Lb0ESR_SS_SU_SV_SZ_EES10_S11_S12_S13_S17_S18_S19_S1C_S1D_jS1E_jS1F_S1F_jjS1H_bEUljE0_EEES10_S11_S12_S19_S1D_S1F_T6_T7_T9_mT8_S1H_bDpT10_ENKUlT_T0_E_clISt17integral_constantIbLb0EES1V_EEDaS1Q_S1R_EUlS1Q_E_NS1_11comp_targetILNS1_3genE2ELNS1_11target_archE906ELNS1_3gpuE6ELNS1_3repE0EEENS1_30default_config_static_selectorELNS0_4arch9wavefront6targetE1EEEvS13_
		.amdhsa_group_segment_fixed_size 0
		.amdhsa_private_segment_fixed_size 0
		.amdhsa_kernarg_size 176
		.amdhsa_user_sgpr_count 6
		.amdhsa_user_sgpr_private_segment_buffer 1
		.amdhsa_user_sgpr_dispatch_ptr 0
		.amdhsa_user_sgpr_queue_ptr 0
		.amdhsa_user_sgpr_kernarg_segment_ptr 1
		.amdhsa_user_sgpr_dispatch_id 0
		.amdhsa_user_sgpr_flat_scratch_init 0
		.amdhsa_user_sgpr_kernarg_preload_length 0
		.amdhsa_user_sgpr_kernarg_preload_offset 0
		.amdhsa_user_sgpr_private_segment_size 0
		.amdhsa_uses_dynamic_stack 0
		.amdhsa_system_sgpr_private_segment_wavefront_offset 0
		.amdhsa_system_sgpr_workgroup_id_x 1
		.amdhsa_system_sgpr_workgroup_id_y 0
		.amdhsa_system_sgpr_workgroup_id_z 0
		.amdhsa_system_sgpr_workgroup_info 0
		.amdhsa_system_vgpr_workitem_id 0
		.amdhsa_next_free_vgpr 1
		.amdhsa_next_free_sgpr 0
		.amdhsa_accum_offset 4
		.amdhsa_reserve_vcc 0
		.amdhsa_reserve_flat_scratch 0
		.amdhsa_float_round_mode_32 0
		.amdhsa_float_round_mode_16_64 0
		.amdhsa_float_denorm_mode_32 3
		.amdhsa_float_denorm_mode_16_64 3
		.amdhsa_dx10_clamp 1
		.amdhsa_ieee_mode 1
		.amdhsa_fp16_overflow 0
		.amdhsa_tg_split 0
		.amdhsa_exception_fp_ieee_invalid_op 0
		.amdhsa_exception_fp_denorm_src 0
		.amdhsa_exception_fp_ieee_div_zero 0
		.amdhsa_exception_fp_ieee_overflow 0
		.amdhsa_exception_fp_ieee_underflow 0
		.amdhsa_exception_fp_ieee_inexact 0
		.amdhsa_exception_int_div_zero 0
	.end_amdhsa_kernel
	.section	.text._ZN7rocprim17ROCPRIM_400000_NS6detail17trampoline_kernelINS0_13select_configILj256ELj13ELNS0_17block_load_methodE3ELS4_3ELS4_3ELNS0_20block_scan_algorithmE0ELj4294967295EEENS1_25partition_config_selectorILNS1_17partition_subalgoE4EjNS0_10empty_typeEbEEZZNS1_14partition_implILS8_4ELb0ES6_15HIP_vector_typeIjLj2EENS0_17counting_iteratorIjlEEPS9_SG_NS0_5tupleIJPjSI_NS0_16reverse_iteratorISI_EEEEENSH_IJSG_SG_SG_EEES9_SI_JZNS1_25segmented_radix_sort_implINS0_14default_configELb0EPK12hip_bfloat16PSP_PKlPlN2at6native12_GLOBAL__N_18offset_tEEE10hipError_tPvRmT1_PNSt15iterator_traitsIS13_E10value_typeET2_T3_PNS14_IS19_E10value_typeET4_jRbjT5_S1F_jjP12ihipStream_tbEUljE_ZNSN_ISO_Lb0ESR_SS_SU_SV_SZ_EES10_S11_S12_S13_S17_S18_S19_S1C_S1D_jS1E_jS1F_S1F_jjS1H_bEUljE0_EEES10_S11_S12_S19_S1D_S1F_T6_T7_T9_mT8_S1H_bDpT10_ENKUlT_T0_E_clISt17integral_constantIbLb0EES1V_EEDaS1Q_S1R_EUlS1Q_E_NS1_11comp_targetILNS1_3genE2ELNS1_11target_archE906ELNS1_3gpuE6ELNS1_3repE0EEENS1_30default_config_static_selectorELNS0_4arch9wavefront6targetE1EEEvS13_,"axG",@progbits,_ZN7rocprim17ROCPRIM_400000_NS6detail17trampoline_kernelINS0_13select_configILj256ELj13ELNS0_17block_load_methodE3ELS4_3ELS4_3ELNS0_20block_scan_algorithmE0ELj4294967295EEENS1_25partition_config_selectorILNS1_17partition_subalgoE4EjNS0_10empty_typeEbEEZZNS1_14partition_implILS8_4ELb0ES6_15HIP_vector_typeIjLj2EENS0_17counting_iteratorIjlEEPS9_SG_NS0_5tupleIJPjSI_NS0_16reverse_iteratorISI_EEEEENSH_IJSG_SG_SG_EEES9_SI_JZNS1_25segmented_radix_sort_implINS0_14default_configELb0EPK12hip_bfloat16PSP_PKlPlN2at6native12_GLOBAL__N_18offset_tEEE10hipError_tPvRmT1_PNSt15iterator_traitsIS13_E10value_typeET2_T3_PNS14_IS19_E10value_typeET4_jRbjT5_S1F_jjP12ihipStream_tbEUljE_ZNSN_ISO_Lb0ESR_SS_SU_SV_SZ_EES10_S11_S12_S13_S17_S18_S19_S1C_S1D_jS1E_jS1F_S1F_jjS1H_bEUljE0_EEES10_S11_S12_S19_S1D_S1F_T6_T7_T9_mT8_S1H_bDpT10_ENKUlT_T0_E_clISt17integral_constantIbLb0EES1V_EEDaS1Q_S1R_EUlS1Q_E_NS1_11comp_targetILNS1_3genE2ELNS1_11target_archE906ELNS1_3gpuE6ELNS1_3repE0EEENS1_30default_config_static_selectorELNS0_4arch9wavefront6targetE1EEEvS13_,comdat
.Lfunc_end1987:
	.size	_ZN7rocprim17ROCPRIM_400000_NS6detail17trampoline_kernelINS0_13select_configILj256ELj13ELNS0_17block_load_methodE3ELS4_3ELS4_3ELNS0_20block_scan_algorithmE0ELj4294967295EEENS1_25partition_config_selectorILNS1_17partition_subalgoE4EjNS0_10empty_typeEbEEZZNS1_14partition_implILS8_4ELb0ES6_15HIP_vector_typeIjLj2EENS0_17counting_iteratorIjlEEPS9_SG_NS0_5tupleIJPjSI_NS0_16reverse_iteratorISI_EEEEENSH_IJSG_SG_SG_EEES9_SI_JZNS1_25segmented_radix_sort_implINS0_14default_configELb0EPK12hip_bfloat16PSP_PKlPlN2at6native12_GLOBAL__N_18offset_tEEE10hipError_tPvRmT1_PNSt15iterator_traitsIS13_E10value_typeET2_T3_PNS14_IS19_E10value_typeET4_jRbjT5_S1F_jjP12ihipStream_tbEUljE_ZNSN_ISO_Lb0ESR_SS_SU_SV_SZ_EES10_S11_S12_S13_S17_S18_S19_S1C_S1D_jS1E_jS1F_S1F_jjS1H_bEUljE0_EEES10_S11_S12_S19_S1D_S1F_T6_T7_T9_mT8_S1H_bDpT10_ENKUlT_T0_E_clISt17integral_constantIbLb0EES1V_EEDaS1Q_S1R_EUlS1Q_E_NS1_11comp_targetILNS1_3genE2ELNS1_11target_archE906ELNS1_3gpuE6ELNS1_3repE0EEENS1_30default_config_static_selectorELNS0_4arch9wavefront6targetE1EEEvS13_, .Lfunc_end1987-_ZN7rocprim17ROCPRIM_400000_NS6detail17trampoline_kernelINS0_13select_configILj256ELj13ELNS0_17block_load_methodE3ELS4_3ELS4_3ELNS0_20block_scan_algorithmE0ELj4294967295EEENS1_25partition_config_selectorILNS1_17partition_subalgoE4EjNS0_10empty_typeEbEEZZNS1_14partition_implILS8_4ELb0ES6_15HIP_vector_typeIjLj2EENS0_17counting_iteratorIjlEEPS9_SG_NS0_5tupleIJPjSI_NS0_16reverse_iteratorISI_EEEEENSH_IJSG_SG_SG_EEES9_SI_JZNS1_25segmented_radix_sort_implINS0_14default_configELb0EPK12hip_bfloat16PSP_PKlPlN2at6native12_GLOBAL__N_18offset_tEEE10hipError_tPvRmT1_PNSt15iterator_traitsIS13_E10value_typeET2_T3_PNS14_IS19_E10value_typeET4_jRbjT5_S1F_jjP12ihipStream_tbEUljE_ZNSN_ISO_Lb0ESR_SS_SU_SV_SZ_EES10_S11_S12_S13_S17_S18_S19_S1C_S1D_jS1E_jS1F_S1F_jjS1H_bEUljE0_EEES10_S11_S12_S19_S1D_S1F_T6_T7_T9_mT8_S1H_bDpT10_ENKUlT_T0_E_clISt17integral_constantIbLb0EES1V_EEDaS1Q_S1R_EUlS1Q_E_NS1_11comp_targetILNS1_3genE2ELNS1_11target_archE906ELNS1_3gpuE6ELNS1_3repE0EEENS1_30default_config_static_selectorELNS0_4arch9wavefront6targetE1EEEvS13_
                                        ; -- End function
	.section	.AMDGPU.csdata,"",@progbits
; Kernel info:
; codeLenInByte = 0
; NumSgprs: 4
; NumVgprs: 0
; NumAgprs: 0
; TotalNumVgprs: 0
; ScratchSize: 0
; MemoryBound: 0
; FloatMode: 240
; IeeeMode: 1
; LDSByteSize: 0 bytes/workgroup (compile time only)
; SGPRBlocks: 0
; VGPRBlocks: 0
; NumSGPRsForWavesPerEU: 4
; NumVGPRsForWavesPerEU: 1
; AccumOffset: 4
; Occupancy: 8
; WaveLimiterHint : 0
; COMPUTE_PGM_RSRC2:SCRATCH_EN: 0
; COMPUTE_PGM_RSRC2:USER_SGPR: 6
; COMPUTE_PGM_RSRC2:TRAP_HANDLER: 0
; COMPUTE_PGM_RSRC2:TGID_X_EN: 1
; COMPUTE_PGM_RSRC2:TGID_Y_EN: 0
; COMPUTE_PGM_RSRC2:TGID_Z_EN: 0
; COMPUTE_PGM_RSRC2:TIDIG_COMP_CNT: 0
; COMPUTE_PGM_RSRC3_GFX90A:ACCUM_OFFSET: 0
; COMPUTE_PGM_RSRC3_GFX90A:TG_SPLIT: 0
	.section	.text._ZN7rocprim17ROCPRIM_400000_NS6detail17trampoline_kernelINS0_13select_configILj256ELj13ELNS0_17block_load_methodE3ELS4_3ELS4_3ELNS0_20block_scan_algorithmE0ELj4294967295EEENS1_25partition_config_selectorILNS1_17partition_subalgoE4EjNS0_10empty_typeEbEEZZNS1_14partition_implILS8_4ELb0ES6_15HIP_vector_typeIjLj2EENS0_17counting_iteratorIjlEEPS9_SG_NS0_5tupleIJPjSI_NS0_16reverse_iteratorISI_EEEEENSH_IJSG_SG_SG_EEES9_SI_JZNS1_25segmented_radix_sort_implINS0_14default_configELb0EPK12hip_bfloat16PSP_PKlPlN2at6native12_GLOBAL__N_18offset_tEEE10hipError_tPvRmT1_PNSt15iterator_traitsIS13_E10value_typeET2_T3_PNS14_IS19_E10value_typeET4_jRbjT5_S1F_jjP12ihipStream_tbEUljE_ZNSN_ISO_Lb0ESR_SS_SU_SV_SZ_EES10_S11_S12_S13_S17_S18_S19_S1C_S1D_jS1E_jS1F_S1F_jjS1H_bEUljE0_EEES10_S11_S12_S19_S1D_S1F_T6_T7_T9_mT8_S1H_bDpT10_ENKUlT_T0_E_clISt17integral_constantIbLb0EES1V_EEDaS1Q_S1R_EUlS1Q_E_NS1_11comp_targetILNS1_3genE10ELNS1_11target_archE1200ELNS1_3gpuE4ELNS1_3repE0EEENS1_30default_config_static_selectorELNS0_4arch9wavefront6targetE1EEEvS13_,"axG",@progbits,_ZN7rocprim17ROCPRIM_400000_NS6detail17trampoline_kernelINS0_13select_configILj256ELj13ELNS0_17block_load_methodE3ELS4_3ELS4_3ELNS0_20block_scan_algorithmE0ELj4294967295EEENS1_25partition_config_selectorILNS1_17partition_subalgoE4EjNS0_10empty_typeEbEEZZNS1_14partition_implILS8_4ELb0ES6_15HIP_vector_typeIjLj2EENS0_17counting_iteratorIjlEEPS9_SG_NS0_5tupleIJPjSI_NS0_16reverse_iteratorISI_EEEEENSH_IJSG_SG_SG_EEES9_SI_JZNS1_25segmented_radix_sort_implINS0_14default_configELb0EPK12hip_bfloat16PSP_PKlPlN2at6native12_GLOBAL__N_18offset_tEEE10hipError_tPvRmT1_PNSt15iterator_traitsIS13_E10value_typeET2_T3_PNS14_IS19_E10value_typeET4_jRbjT5_S1F_jjP12ihipStream_tbEUljE_ZNSN_ISO_Lb0ESR_SS_SU_SV_SZ_EES10_S11_S12_S13_S17_S18_S19_S1C_S1D_jS1E_jS1F_S1F_jjS1H_bEUljE0_EEES10_S11_S12_S19_S1D_S1F_T6_T7_T9_mT8_S1H_bDpT10_ENKUlT_T0_E_clISt17integral_constantIbLb0EES1V_EEDaS1Q_S1R_EUlS1Q_E_NS1_11comp_targetILNS1_3genE10ELNS1_11target_archE1200ELNS1_3gpuE4ELNS1_3repE0EEENS1_30default_config_static_selectorELNS0_4arch9wavefront6targetE1EEEvS13_,comdat
	.globl	_ZN7rocprim17ROCPRIM_400000_NS6detail17trampoline_kernelINS0_13select_configILj256ELj13ELNS0_17block_load_methodE3ELS4_3ELS4_3ELNS0_20block_scan_algorithmE0ELj4294967295EEENS1_25partition_config_selectorILNS1_17partition_subalgoE4EjNS0_10empty_typeEbEEZZNS1_14partition_implILS8_4ELb0ES6_15HIP_vector_typeIjLj2EENS0_17counting_iteratorIjlEEPS9_SG_NS0_5tupleIJPjSI_NS0_16reverse_iteratorISI_EEEEENSH_IJSG_SG_SG_EEES9_SI_JZNS1_25segmented_radix_sort_implINS0_14default_configELb0EPK12hip_bfloat16PSP_PKlPlN2at6native12_GLOBAL__N_18offset_tEEE10hipError_tPvRmT1_PNSt15iterator_traitsIS13_E10value_typeET2_T3_PNS14_IS19_E10value_typeET4_jRbjT5_S1F_jjP12ihipStream_tbEUljE_ZNSN_ISO_Lb0ESR_SS_SU_SV_SZ_EES10_S11_S12_S13_S17_S18_S19_S1C_S1D_jS1E_jS1F_S1F_jjS1H_bEUljE0_EEES10_S11_S12_S19_S1D_S1F_T6_T7_T9_mT8_S1H_bDpT10_ENKUlT_T0_E_clISt17integral_constantIbLb0EES1V_EEDaS1Q_S1R_EUlS1Q_E_NS1_11comp_targetILNS1_3genE10ELNS1_11target_archE1200ELNS1_3gpuE4ELNS1_3repE0EEENS1_30default_config_static_selectorELNS0_4arch9wavefront6targetE1EEEvS13_ ; -- Begin function _ZN7rocprim17ROCPRIM_400000_NS6detail17trampoline_kernelINS0_13select_configILj256ELj13ELNS0_17block_load_methodE3ELS4_3ELS4_3ELNS0_20block_scan_algorithmE0ELj4294967295EEENS1_25partition_config_selectorILNS1_17partition_subalgoE4EjNS0_10empty_typeEbEEZZNS1_14partition_implILS8_4ELb0ES6_15HIP_vector_typeIjLj2EENS0_17counting_iteratorIjlEEPS9_SG_NS0_5tupleIJPjSI_NS0_16reverse_iteratorISI_EEEEENSH_IJSG_SG_SG_EEES9_SI_JZNS1_25segmented_radix_sort_implINS0_14default_configELb0EPK12hip_bfloat16PSP_PKlPlN2at6native12_GLOBAL__N_18offset_tEEE10hipError_tPvRmT1_PNSt15iterator_traitsIS13_E10value_typeET2_T3_PNS14_IS19_E10value_typeET4_jRbjT5_S1F_jjP12ihipStream_tbEUljE_ZNSN_ISO_Lb0ESR_SS_SU_SV_SZ_EES10_S11_S12_S13_S17_S18_S19_S1C_S1D_jS1E_jS1F_S1F_jjS1H_bEUljE0_EEES10_S11_S12_S19_S1D_S1F_T6_T7_T9_mT8_S1H_bDpT10_ENKUlT_T0_E_clISt17integral_constantIbLb0EES1V_EEDaS1Q_S1R_EUlS1Q_E_NS1_11comp_targetILNS1_3genE10ELNS1_11target_archE1200ELNS1_3gpuE4ELNS1_3repE0EEENS1_30default_config_static_selectorELNS0_4arch9wavefront6targetE1EEEvS13_
	.p2align	8
	.type	_ZN7rocprim17ROCPRIM_400000_NS6detail17trampoline_kernelINS0_13select_configILj256ELj13ELNS0_17block_load_methodE3ELS4_3ELS4_3ELNS0_20block_scan_algorithmE0ELj4294967295EEENS1_25partition_config_selectorILNS1_17partition_subalgoE4EjNS0_10empty_typeEbEEZZNS1_14partition_implILS8_4ELb0ES6_15HIP_vector_typeIjLj2EENS0_17counting_iteratorIjlEEPS9_SG_NS0_5tupleIJPjSI_NS0_16reverse_iteratorISI_EEEEENSH_IJSG_SG_SG_EEES9_SI_JZNS1_25segmented_radix_sort_implINS0_14default_configELb0EPK12hip_bfloat16PSP_PKlPlN2at6native12_GLOBAL__N_18offset_tEEE10hipError_tPvRmT1_PNSt15iterator_traitsIS13_E10value_typeET2_T3_PNS14_IS19_E10value_typeET4_jRbjT5_S1F_jjP12ihipStream_tbEUljE_ZNSN_ISO_Lb0ESR_SS_SU_SV_SZ_EES10_S11_S12_S13_S17_S18_S19_S1C_S1D_jS1E_jS1F_S1F_jjS1H_bEUljE0_EEES10_S11_S12_S19_S1D_S1F_T6_T7_T9_mT8_S1H_bDpT10_ENKUlT_T0_E_clISt17integral_constantIbLb0EES1V_EEDaS1Q_S1R_EUlS1Q_E_NS1_11comp_targetILNS1_3genE10ELNS1_11target_archE1200ELNS1_3gpuE4ELNS1_3repE0EEENS1_30default_config_static_selectorELNS0_4arch9wavefront6targetE1EEEvS13_,@function
_ZN7rocprim17ROCPRIM_400000_NS6detail17trampoline_kernelINS0_13select_configILj256ELj13ELNS0_17block_load_methodE3ELS4_3ELS4_3ELNS0_20block_scan_algorithmE0ELj4294967295EEENS1_25partition_config_selectorILNS1_17partition_subalgoE4EjNS0_10empty_typeEbEEZZNS1_14partition_implILS8_4ELb0ES6_15HIP_vector_typeIjLj2EENS0_17counting_iteratorIjlEEPS9_SG_NS0_5tupleIJPjSI_NS0_16reverse_iteratorISI_EEEEENSH_IJSG_SG_SG_EEES9_SI_JZNS1_25segmented_radix_sort_implINS0_14default_configELb0EPK12hip_bfloat16PSP_PKlPlN2at6native12_GLOBAL__N_18offset_tEEE10hipError_tPvRmT1_PNSt15iterator_traitsIS13_E10value_typeET2_T3_PNS14_IS19_E10value_typeET4_jRbjT5_S1F_jjP12ihipStream_tbEUljE_ZNSN_ISO_Lb0ESR_SS_SU_SV_SZ_EES10_S11_S12_S13_S17_S18_S19_S1C_S1D_jS1E_jS1F_S1F_jjS1H_bEUljE0_EEES10_S11_S12_S19_S1D_S1F_T6_T7_T9_mT8_S1H_bDpT10_ENKUlT_T0_E_clISt17integral_constantIbLb0EES1V_EEDaS1Q_S1R_EUlS1Q_E_NS1_11comp_targetILNS1_3genE10ELNS1_11target_archE1200ELNS1_3gpuE4ELNS1_3repE0EEENS1_30default_config_static_selectorELNS0_4arch9wavefront6targetE1EEEvS13_: ; @_ZN7rocprim17ROCPRIM_400000_NS6detail17trampoline_kernelINS0_13select_configILj256ELj13ELNS0_17block_load_methodE3ELS4_3ELS4_3ELNS0_20block_scan_algorithmE0ELj4294967295EEENS1_25partition_config_selectorILNS1_17partition_subalgoE4EjNS0_10empty_typeEbEEZZNS1_14partition_implILS8_4ELb0ES6_15HIP_vector_typeIjLj2EENS0_17counting_iteratorIjlEEPS9_SG_NS0_5tupleIJPjSI_NS0_16reverse_iteratorISI_EEEEENSH_IJSG_SG_SG_EEES9_SI_JZNS1_25segmented_radix_sort_implINS0_14default_configELb0EPK12hip_bfloat16PSP_PKlPlN2at6native12_GLOBAL__N_18offset_tEEE10hipError_tPvRmT1_PNSt15iterator_traitsIS13_E10value_typeET2_T3_PNS14_IS19_E10value_typeET4_jRbjT5_S1F_jjP12ihipStream_tbEUljE_ZNSN_ISO_Lb0ESR_SS_SU_SV_SZ_EES10_S11_S12_S13_S17_S18_S19_S1C_S1D_jS1E_jS1F_S1F_jjS1H_bEUljE0_EEES10_S11_S12_S19_S1D_S1F_T6_T7_T9_mT8_S1H_bDpT10_ENKUlT_T0_E_clISt17integral_constantIbLb0EES1V_EEDaS1Q_S1R_EUlS1Q_E_NS1_11comp_targetILNS1_3genE10ELNS1_11target_archE1200ELNS1_3gpuE4ELNS1_3repE0EEENS1_30default_config_static_selectorELNS0_4arch9wavefront6targetE1EEEvS13_
; %bb.0:
	.section	.rodata,"a",@progbits
	.p2align	6, 0x0
	.amdhsa_kernel _ZN7rocprim17ROCPRIM_400000_NS6detail17trampoline_kernelINS0_13select_configILj256ELj13ELNS0_17block_load_methodE3ELS4_3ELS4_3ELNS0_20block_scan_algorithmE0ELj4294967295EEENS1_25partition_config_selectorILNS1_17partition_subalgoE4EjNS0_10empty_typeEbEEZZNS1_14partition_implILS8_4ELb0ES6_15HIP_vector_typeIjLj2EENS0_17counting_iteratorIjlEEPS9_SG_NS0_5tupleIJPjSI_NS0_16reverse_iteratorISI_EEEEENSH_IJSG_SG_SG_EEES9_SI_JZNS1_25segmented_radix_sort_implINS0_14default_configELb0EPK12hip_bfloat16PSP_PKlPlN2at6native12_GLOBAL__N_18offset_tEEE10hipError_tPvRmT1_PNSt15iterator_traitsIS13_E10value_typeET2_T3_PNS14_IS19_E10value_typeET4_jRbjT5_S1F_jjP12ihipStream_tbEUljE_ZNSN_ISO_Lb0ESR_SS_SU_SV_SZ_EES10_S11_S12_S13_S17_S18_S19_S1C_S1D_jS1E_jS1F_S1F_jjS1H_bEUljE0_EEES10_S11_S12_S19_S1D_S1F_T6_T7_T9_mT8_S1H_bDpT10_ENKUlT_T0_E_clISt17integral_constantIbLb0EES1V_EEDaS1Q_S1R_EUlS1Q_E_NS1_11comp_targetILNS1_3genE10ELNS1_11target_archE1200ELNS1_3gpuE4ELNS1_3repE0EEENS1_30default_config_static_selectorELNS0_4arch9wavefront6targetE1EEEvS13_
		.amdhsa_group_segment_fixed_size 0
		.amdhsa_private_segment_fixed_size 0
		.amdhsa_kernarg_size 176
		.amdhsa_user_sgpr_count 6
		.amdhsa_user_sgpr_private_segment_buffer 1
		.amdhsa_user_sgpr_dispatch_ptr 0
		.amdhsa_user_sgpr_queue_ptr 0
		.amdhsa_user_sgpr_kernarg_segment_ptr 1
		.amdhsa_user_sgpr_dispatch_id 0
		.amdhsa_user_sgpr_flat_scratch_init 0
		.amdhsa_user_sgpr_kernarg_preload_length 0
		.amdhsa_user_sgpr_kernarg_preload_offset 0
		.amdhsa_user_sgpr_private_segment_size 0
		.amdhsa_uses_dynamic_stack 0
		.amdhsa_system_sgpr_private_segment_wavefront_offset 0
		.amdhsa_system_sgpr_workgroup_id_x 1
		.amdhsa_system_sgpr_workgroup_id_y 0
		.amdhsa_system_sgpr_workgroup_id_z 0
		.amdhsa_system_sgpr_workgroup_info 0
		.amdhsa_system_vgpr_workitem_id 0
		.amdhsa_next_free_vgpr 1
		.amdhsa_next_free_sgpr 0
		.amdhsa_accum_offset 4
		.amdhsa_reserve_vcc 0
		.amdhsa_reserve_flat_scratch 0
		.amdhsa_float_round_mode_32 0
		.amdhsa_float_round_mode_16_64 0
		.amdhsa_float_denorm_mode_32 3
		.amdhsa_float_denorm_mode_16_64 3
		.amdhsa_dx10_clamp 1
		.amdhsa_ieee_mode 1
		.amdhsa_fp16_overflow 0
		.amdhsa_tg_split 0
		.amdhsa_exception_fp_ieee_invalid_op 0
		.amdhsa_exception_fp_denorm_src 0
		.amdhsa_exception_fp_ieee_div_zero 0
		.amdhsa_exception_fp_ieee_overflow 0
		.amdhsa_exception_fp_ieee_underflow 0
		.amdhsa_exception_fp_ieee_inexact 0
		.amdhsa_exception_int_div_zero 0
	.end_amdhsa_kernel
	.section	.text._ZN7rocprim17ROCPRIM_400000_NS6detail17trampoline_kernelINS0_13select_configILj256ELj13ELNS0_17block_load_methodE3ELS4_3ELS4_3ELNS0_20block_scan_algorithmE0ELj4294967295EEENS1_25partition_config_selectorILNS1_17partition_subalgoE4EjNS0_10empty_typeEbEEZZNS1_14partition_implILS8_4ELb0ES6_15HIP_vector_typeIjLj2EENS0_17counting_iteratorIjlEEPS9_SG_NS0_5tupleIJPjSI_NS0_16reverse_iteratorISI_EEEEENSH_IJSG_SG_SG_EEES9_SI_JZNS1_25segmented_radix_sort_implINS0_14default_configELb0EPK12hip_bfloat16PSP_PKlPlN2at6native12_GLOBAL__N_18offset_tEEE10hipError_tPvRmT1_PNSt15iterator_traitsIS13_E10value_typeET2_T3_PNS14_IS19_E10value_typeET4_jRbjT5_S1F_jjP12ihipStream_tbEUljE_ZNSN_ISO_Lb0ESR_SS_SU_SV_SZ_EES10_S11_S12_S13_S17_S18_S19_S1C_S1D_jS1E_jS1F_S1F_jjS1H_bEUljE0_EEES10_S11_S12_S19_S1D_S1F_T6_T7_T9_mT8_S1H_bDpT10_ENKUlT_T0_E_clISt17integral_constantIbLb0EES1V_EEDaS1Q_S1R_EUlS1Q_E_NS1_11comp_targetILNS1_3genE10ELNS1_11target_archE1200ELNS1_3gpuE4ELNS1_3repE0EEENS1_30default_config_static_selectorELNS0_4arch9wavefront6targetE1EEEvS13_,"axG",@progbits,_ZN7rocprim17ROCPRIM_400000_NS6detail17trampoline_kernelINS0_13select_configILj256ELj13ELNS0_17block_load_methodE3ELS4_3ELS4_3ELNS0_20block_scan_algorithmE0ELj4294967295EEENS1_25partition_config_selectorILNS1_17partition_subalgoE4EjNS0_10empty_typeEbEEZZNS1_14partition_implILS8_4ELb0ES6_15HIP_vector_typeIjLj2EENS0_17counting_iteratorIjlEEPS9_SG_NS0_5tupleIJPjSI_NS0_16reverse_iteratorISI_EEEEENSH_IJSG_SG_SG_EEES9_SI_JZNS1_25segmented_radix_sort_implINS0_14default_configELb0EPK12hip_bfloat16PSP_PKlPlN2at6native12_GLOBAL__N_18offset_tEEE10hipError_tPvRmT1_PNSt15iterator_traitsIS13_E10value_typeET2_T3_PNS14_IS19_E10value_typeET4_jRbjT5_S1F_jjP12ihipStream_tbEUljE_ZNSN_ISO_Lb0ESR_SS_SU_SV_SZ_EES10_S11_S12_S13_S17_S18_S19_S1C_S1D_jS1E_jS1F_S1F_jjS1H_bEUljE0_EEES10_S11_S12_S19_S1D_S1F_T6_T7_T9_mT8_S1H_bDpT10_ENKUlT_T0_E_clISt17integral_constantIbLb0EES1V_EEDaS1Q_S1R_EUlS1Q_E_NS1_11comp_targetILNS1_3genE10ELNS1_11target_archE1200ELNS1_3gpuE4ELNS1_3repE0EEENS1_30default_config_static_selectorELNS0_4arch9wavefront6targetE1EEEvS13_,comdat
.Lfunc_end1988:
	.size	_ZN7rocprim17ROCPRIM_400000_NS6detail17trampoline_kernelINS0_13select_configILj256ELj13ELNS0_17block_load_methodE3ELS4_3ELS4_3ELNS0_20block_scan_algorithmE0ELj4294967295EEENS1_25partition_config_selectorILNS1_17partition_subalgoE4EjNS0_10empty_typeEbEEZZNS1_14partition_implILS8_4ELb0ES6_15HIP_vector_typeIjLj2EENS0_17counting_iteratorIjlEEPS9_SG_NS0_5tupleIJPjSI_NS0_16reverse_iteratorISI_EEEEENSH_IJSG_SG_SG_EEES9_SI_JZNS1_25segmented_radix_sort_implINS0_14default_configELb0EPK12hip_bfloat16PSP_PKlPlN2at6native12_GLOBAL__N_18offset_tEEE10hipError_tPvRmT1_PNSt15iterator_traitsIS13_E10value_typeET2_T3_PNS14_IS19_E10value_typeET4_jRbjT5_S1F_jjP12ihipStream_tbEUljE_ZNSN_ISO_Lb0ESR_SS_SU_SV_SZ_EES10_S11_S12_S13_S17_S18_S19_S1C_S1D_jS1E_jS1F_S1F_jjS1H_bEUljE0_EEES10_S11_S12_S19_S1D_S1F_T6_T7_T9_mT8_S1H_bDpT10_ENKUlT_T0_E_clISt17integral_constantIbLb0EES1V_EEDaS1Q_S1R_EUlS1Q_E_NS1_11comp_targetILNS1_3genE10ELNS1_11target_archE1200ELNS1_3gpuE4ELNS1_3repE0EEENS1_30default_config_static_selectorELNS0_4arch9wavefront6targetE1EEEvS13_, .Lfunc_end1988-_ZN7rocprim17ROCPRIM_400000_NS6detail17trampoline_kernelINS0_13select_configILj256ELj13ELNS0_17block_load_methodE3ELS4_3ELS4_3ELNS0_20block_scan_algorithmE0ELj4294967295EEENS1_25partition_config_selectorILNS1_17partition_subalgoE4EjNS0_10empty_typeEbEEZZNS1_14partition_implILS8_4ELb0ES6_15HIP_vector_typeIjLj2EENS0_17counting_iteratorIjlEEPS9_SG_NS0_5tupleIJPjSI_NS0_16reverse_iteratorISI_EEEEENSH_IJSG_SG_SG_EEES9_SI_JZNS1_25segmented_radix_sort_implINS0_14default_configELb0EPK12hip_bfloat16PSP_PKlPlN2at6native12_GLOBAL__N_18offset_tEEE10hipError_tPvRmT1_PNSt15iterator_traitsIS13_E10value_typeET2_T3_PNS14_IS19_E10value_typeET4_jRbjT5_S1F_jjP12ihipStream_tbEUljE_ZNSN_ISO_Lb0ESR_SS_SU_SV_SZ_EES10_S11_S12_S13_S17_S18_S19_S1C_S1D_jS1E_jS1F_S1F_jjS1H_bEUljE0_EEES10_S11_S12_S19_S1D_S1F_T6_T7_T9_mT8_S1H_bDpT10_ENKUlT_T0_E_clISt17integral_constantIbLb0EES1V_EEDaS1Q_S1R_EUlS1Q_E_NS1_11comp_targetILNS1_3genE10ELNS1_11target_archE1200ELNS1_3gpuE4ELNS1_3repE0EEENS1_30default_config_static_selectorELNS0_4arch9wavefront6targetE1EEEvS13_
                                        ; -- End function
	.section	.AMDGPU.csdata,"",@progbits
; Kernel info:
; codeLenInByte = 0
; NumSgprs: 4
; NumVgprs: 0
; NumAgprs: 0
; TotalNumVgprs: 0
; ScratchSize: 0
; MemoryBound: 0
; FloatMode: 240
; IeeeMode: 1
; LDSByteSize: 0 bytes/workgroup (compile time only)
; SGPRBlocks: 0
; VGPRBlocks: 0
; NumSGPRsForWavesPerEU: 4
; NumVGPRsForWavesPerEU: 1
; AccumOffset: 4
; Occupancy: 8
; WaveLimiterHint : 0
; COMPUTE_PGM_RSRC2:SCRATCH_EN: 0
; COMPUTE_PGM_RSRC2:USER_SGPR: 6
; COMPUTE_PGM_RSRC2:TRAP_HANDLER: 0
; COMPUTE_PGM_RSRC2:TGID_X_EN: 1
; COMPUTE_PGM_RSRC2:TGID_Y_EN: 0
; COMPUTE_PGM_RSRC2:TGID_Z_EN: 0
; COMPUTE_PGM_RSRC2:TIDIG_COMP_CNT: 0
; COMPUTE_PGM_RSRC3_GFX90A:ACCUM_OFFSET: 0
; COMPUTE_PGM_RSRC3_GFX90A:TG_SPLIT: 0
	.section	.text._ZN7rocprim17ROCPRIM_400000_NS6detail17trampoline_kernelINS0_13select_configILj256ELj13ELNS0_17block_load_methodE3ELS4_3ELS4_3ELNS0_20block_scan_algorithmE0ELj4294967295EEENS1_25partition_config_selectorILNS1_17partition_subalgoE4EjNS0_10empty_typeEbEEZZNS1_14partition_implILS8_4ELb0ES6_15HIP_vector_typeIjLj2EENS0_17counting_iteratorIjlEEPS9_SG_NS0_5tupleIJPjSI_NS0_16reverse_iteratorISI_EEEEENSH_IJSG_SG_SG_EEES9_SI_JZNS1_25segmented_radix_sort_implINS0_14default_configELb0EPK12hip_bfloat16PSP_PKlPlN2at6native12_GLOBAL__N_18offset_tEEE10hipError_tPvRmT1_PNSt15iterator_traitsIS13_E10value_typeET2_T3_PNS14_IS19_E10value_typeET4_jRbjT5_S1F_jjP12ihipStream_tbEUljE_ZNSN_ISO_Lb0ESR_SS_SU_SV_SZ_EES10_S11_S12_S13_S17_S18_S19_S1C_S1D_jS1E_jS1F_S1F_jjS1H_bEUljE0_EEES10_S11_S12_S19_S1D_S1F_T6_T7_T9_mT8_S1H_bDpT10_ENKUlT_T0_E_clISt17integral_constantIbLb0EES1V_EEDaS1Q_S1R_EUlS1Q_E_NS1_11comp_targetILNS1_3genE9ELNS1_11target_archE1100ELNS1_3gpuE3ELNS1_3repE0EEENS1_30default_config_static_selectorELNS0_4arch9wavefront6targetE1EEEvS13_,"axG",@progbits,_ZN7rocprim17ROCPRIM_400000_NS6detail17trampoline_kernelINS0_13select_configILj256ELj13ELNS0_17block_load_methodE3ELS4_3ELS4_3ELNS0_20block_scan_algorithmE0ELj4294967295EEENS1_25partition_config_selectorILNS1_17partition_subalgoE4EjNS0_10empty_typeEbEEZZNS1_14partition_implILS8_4ELb0ES6_15HIP_vector_typeIjLj2EENS0_17counting_iteratorIjlEEPS9_SG_NS0_5tupleIJPjSI_NS0_16reverse_iteratorISI_EEEEENSH_IJSG_SG_SG_EEES9_SI_JZNS1_25segmented_radix_sort_implINS0_14default_configELb0EPK12hip_bfloat16PSP_PKlPlN2at6native12_GLOBAL__N_18offset_tEEE10hipError_tPvRmT1_PNSt15iterator_traitsIS13_E10value_typeET2_T3_PNS14_IS19_E10value_typeET4_jRbjT5_S1F_jjP12ihipStream_tbEUljE_ZNSN_ISO_Lb0ESR_SS_SU_SV_SZ_EES10_S11_S12_S13_S17_S18_S19_S1C_S1D_jS1E_jS1F_S1F_jjS1H_bEUljE0_EEES10_S11_S12_S19_S1D_S1F_T6_T7_T9_mT8_S1H_bDpT10_ENKUlT_T0_E_clISt17integral_constantIbLb0EES1V_EEDaS1Q_S1R_EUlS1Q_E_NS1_11comp_targetILNS1_3genE9ELNS1_11target_archE1100ELNS1_3gpuE3ELNS1_3repE0EEENS1_30default_config_static_selectorELNS0_4arch9wavefront6targetE1EEEvS13_,comdat
	.globl	_ZN7rocprim17ROCPRIM_400000_NS6detail17trampoline_kernelINS0_13select_configILj256ELj13ELNS0_17block_load_methodE3ELS4_3ELS4_3ELNS0_20block_scan_algorithmE0ELj4294967295EEENS1_25partition_config_selectorILNS1_17partition_subalgoE4EjNS0_10empty_typeEbEEZZNS1_14partition_implILS8_4ELb0ES6_15HIP_vector_typeIjLj2EENS0_17counting_iteratorIjlEEPS9_SG_NS0_5tupleIJPjSI_NS0_16reverse_iteratorISI_EEEEENSH_IJSG_SG_SG_EEES9_SI_JZNS1_25segmented_radix_sort_implINS0_14default_configELb0EPK12hip_bfloat16PSP_PKlPlN2at6native12_GLOBAL__N_18offset_tEEE10hipError_tPvRmT1_PNSt15iterator_traitsIS13_E10value_typeET2_T3_PNS14_IS19_E10value_typeET4_jRbjT5_S1F_jjP12ihipStream_tbEUljE_ZNSN_ISO_Lb0ESR_SS_SU_SV_SZ_EES10_S11_S12_S13_S17_S18_S19_S1C_S1D_jS1E_jS1F_S1F_jjS1H_bEUljE0_EEES10_S11_S12_S19_S1D_S1F_T6_T7_T9_mT8_S1H_bDpT10_ENKUlT_T0_E_clISt17integral_constantIbLb0EES1V_EEDaS1Q_S1R_EUlS1Q_E_NS1_11comp_targetILNS1_3genE9ELNS1_11target_archE1100ELNS1_3gpuE3ELNS1_3repE0EEENS1_30default_config_static_selectorELNS0_4arch9wavefront6targetE1EEEvS13_ ; -- Begin function _ZN7rocprim17ROCPRIM_400000_NS6detail17trampoline_kernelINS0_13select_configILj256ELj13ELNS0_17block_load_methodE3ELS4_3ELS4_3ELNS0_20block_scan_algorithmE0ELj4294967295EEENS1_25partition_config_selectorILNS1_17partition_subalgoE4EjNS0_10empty_typeEbEEZZNS1_14partition_implILS8_4ELb0ES6_15HIP_vector_typeIjLj2EENS0_17counting_iteratorIjlEEPS9_SG_NS0_5tupleIJPjSI_NS0_16reverse_iteratorISI_EEEEENSH_IJSG_SG_SG_EEES9_SI_JZNS1_25segmented_radix_sort_implINS0_14default_configELb0EPK12hip_bfloat16PSP_PKlPlN2at6native12_GLOBAL__N_18offset_tEEE10hipError_tPvRmT1_PNSt15iterator_traitsIS13_E10value_typeET2_T3_PNS14_IS19_E10value_typeET4_jRbjT5_S1F_jjP12ihipStream_tbEUljE_ZNSN_ISO_Lb0ESR_SS_SU_SV_SZ_EES10_S11_S12_S13_S17_S18_S19_S1C_S1D_jS1E_jS1F_S1F_jjS1H_bEUljE0_EEES10_S11_S12_S19_S1D_S1F_T6_T7_T9_mT8_S1H_bDpT10_ENKUlT_T0_E_clISt17integral_constantIbLb0EES1V_EEDaS1Q_S1R_EUlS1Q_E_NS1_11comp_targetILNS1_3genE9ELNS1_11target_archE1100ELNS1_3gpuE3ELNS1_3repE0EEENS1_30default_config_static_selectorELNS0_4arch9wavefront6targetE1EEEvS13_
	.p2align	8
	.type	_ZN7rocprim17ROCPRIM_400000_NS6detail17trampoline_kernelINS0_13select_configILj256ELj13ELNS0_17block_load_methodE3ELS4_3ELS4_3ELNS0_20block_scan_algorithmE0ELj4294967295EEENS1_25partition_config_selectorILNS1_17partition_subalgoE4EjNS0_10empty_typeEbEEZZNS1_14partition_implILS8_4ELb0ES6_15HIP_vector_typeIjLj2EENS0_17counting_iteratorIjlEEPS9_SG_NS0_5tupleIJPjSI_NS0_16reverse_iteratorISI_EEEEENSH_IJSG_SG_SG_EEES9_SI_JZNS1_25segmented_radix_sort_implINS0_14default_configELb0EPK12hip_bfloat16PSP_PKlPlN2at6native12_GLOBAL__N_18offset_tEEE10hipError_tPvRmT1_PNSt15iterator_traitsIS13_E10value_typeET2_T3_PNS14_IS19_E10value_typeET4_jRbjT5_S1F_jjP12ihipStream_tbEUljE_ZNSN_ISO_Lb0ESR_SS_SU_SV_SZ_EES10_S11_S12_S13_S17_S18_S19_S1C_S1D_jS1E_jS1F_S1F_jjS1H_bEUljE0_EEES10_S11_S12_S19_S1D_S1F_T6_T7_T9_mT8_S1H_bDpT10_ENKUlT_T0_E_clISt17integral_constantIbLb0EES1V_EEDaS1Q_S1R_EUlS1Q_E_NS1_11comp_targetILNS1_3genE9ELNS1_11target_archE1100ELNS1_3gpuE3ELNS1_3repE0EEENS1_30default_config_static_selectorELNS0_4arch9wavefront6targetE1EEEvS13_,@function
_ZN7rocprim17ROCPRIM_400000_NS6detail17trampoline_kernelINS0_13select_configILj256ELj13ELNS0_17block_load_methodE3ELS4_3ELS4_3ELNS0_20block_scan_algorithmE0ELj4294967295EEENS1_25partition_config_selectorILNS1_17partition_subalgoE4EjNS0_10empty_typeEbEEZZNS1_14partition_implILS8_4ELb0ES6_15HIP_vector_typeIjLj2EENS0_17counting_iteratorIjlEEPS9_SG_NS0_5tupleIJPjSI_NS0_16reverse_iteratorISI_EEEEENSH_IJSG_SG_SG_EEES9_SI_JZNS1_25segmented_radix_sort_implINS0_14default_configELb0EPK12hip_bfloat16PSP_PKlPlN2at6native12_GLOBAL__N_18offset_tEEE10hipError_tPvRmT1_PNSt15iterator_traitsIS13_E10value_typeET2_T3_PNS14_IS19_E10value_typeET4_jRbjT5_S1F_jjP12ihipStream_tbEUljE_ZNSN_ISO_Lb0ESR_SS_SU_SV_SZ_EES10_S11_S12_S13_S17_S18_S19_S1C_S1D_jS1E_jS1F_S1F_jjS1H_bEUljE0_EEES10_S11_S12_S19_S1D_S1F_T6_T7_T9_mT8_S1H_bDpT10_ENKUlT_T0_E_clISt17integral_constantIbLb0EES1V_EEDaS1Q_S1R_EUlS1Q_E_NS1_11comp_targetILNS1_3genE9ELNS1_11target_archE1100ELNS1_3gpuE3ELNS1_3repE0EEENS1_30default_config_static_selectorELNS0_4arch9wavefront6targetE1EEEvS13_: ; @_ZN7rocprim17ROCPRIM_400000_NS6detail17trampoline_kernelINS0_13select_configILj256ELj13ELNS0_17block_load_methodE3ELS4_3ELS4_3ELNS0_20block_scan_algorithmE0ELj4294967295EEENS1_25partition_config_selectorILNS1_17partition_subalgoE4EjNS0_10empty_typeEbEEZZNS1_14partition_implILS8_4ELb0ES6_15HIP_vector_typeIjLj2EENS0_17counting_iteratorIjlEEPS9_SG_NS0_5tupleIJPjSI_NS0_16reverse_iteratorISI_EEEEENSH_IJSG_SG_SG_EEES9_SI_JZNS1_25segmented_radix_sort_implINS0_14default_configELb0EPK12hip_bfloat16PSP_PKlPlN2at6native12_GLOBAL__N_18offset_tEEE10hipError_tPvRmT1_PNSt15iterator_traitsIS13_E10value_typeET2_T3_PNS14_IS19_E10value_typeET4_jRbjT5_S1F_jjP12ihipStream_tbEUljE_ZNSN_ISO_Lb0ESR_SS_SU_SV_SZ_EES10_S11_S12_S13_S17_S18_S19_S1C_S1D_jS1E_jS1F_S1F_jjS1H_bEUljE0_EEES10_S11_S12_S19_S1D_S1F_T6_T7_T9_mT8_S1H_bDpT10_ENKUlT_T0_E_clISt17integral_constantIbLb0EES1V_EEDaS1Q_S1R_EUlS1Q_E_NS1_11comp_targetILNS1_3genE9ELNS1_11target_archE1100ELNS1_3gpuE3ELNS1_3repE0EEENS1_30default_config_static_selectorELNS0_4arch9wavefront6targetE1EEEvS13_
; %bb.0:
	.section	.rodata,"a",@progbits
	.p2align	6, 0x0
	.amdhsa_kernel _ZN7rocprim17ROCPRIM_400000_NS6detail17trampoline_kernelINS0_13select_configILj256ELj13ELNS0_17block_load_methodE3ELS4_3ELS4_3ELNS0_20block_scan_algorithmE0ELj4294967295EEENS1_25partition_config_selectorILNS1_17partition_subalgoE4EjNS0_10empty_typeEbEEZZNS1_14partition_implILS8_4ELb0ES6_15HIP_vector_typeIjLj2EENS0_17counting_iteratorIjlEEPS9_SG_NS0_5tupleIJPjSI_NS0_16reverse_iteratorISI_EEEEENSH_IJSG_SG_SG_EEES9_SI_JZNS1_25segmented_radix_sort_implINS0_14default_configELb0EPK12hip_bfloat16PSP_PKlPlN2at6native12_GLOBAL__N_18offset_tEEE10hipError_tPvRmT1_PNSt15iterator_traitsIS13_E10value_typeET2_T3_PNS14_IS19_E10value_typeET4_jRbjT5_S1F_jjP12ihipStream_tbEUljE_ZNSN_ISO_Lb0ESR_SS_SU_SV_SZ_EES10_S11_S12_S13_S17_S18_S19_S1C_S1D_jS1E_jS1F_S1F_jjS1H_bEUljE0_EEES10_S11_S12_S19_S1D_S1F_T6_T7_T9_mT8_S1H_bDpT10_ENKUlT_T0_E_clISt17integral_constantIbLb0EES1V_EEDaS1Q_S1R_EUlS1Q_E_NS1_11comp_targetILNS1_3genE9ELNS1_11target_archE1100ELNS1_3gpuE3ELNS1_3repE0EEENS1_30default_config_static_selectorELNS0_4arch9wavefront6targetE1EEEvS13_
		.amdhsa_group_segment_fixed_size 0
		.amdhsa_private_segment_fixed_size 0
		.amdhsa_kernarg_size 176
		.amdhsa_user_sgpr_count 6
		.amdhsa_user_sgpr_private_segment_buffer 1
		.amdhsa_user_sgpr_dispatch_ptr 0
		.amdhsa_user_sgpr_queue_ptr 0
		.amdhsa_user_sgpr_kernarg_segment_ptr 1
		.amdhsa_user_sgpr_dispatch_id 0
		.amdhsa_user_sgpr_flat_scratch_init 0
		.amdhsa_user_sgpr_kernarg_preload_length 0
		.amdhsa_user_sgpr_kernarg_preload_offset 0
		.amdhsa_user_sgpr_private_segment_size 0
		.amdhsa_uses_dynamic_stack 0
		.amdhsa_system_sgpr_private_segment_wavefront_offset 0
		.amdhsa_system_sgpr_workgroup_id_x 1
		.amdhsa_system_sgpr_workgroup_id_y 0
		.amdhsa_system_sgpr_workgroup_id_z 0
		.amdhsa_system_sgpr_workgroup_info 0
		.amdhsa_system_vgpr_workitem_id 0
		.amdhsa_next_free_vgpr 1
		.amdhsa_next_free_sgpr 0
		.amdhsa_accum_offset 4
		.amdhsa_reserve_vcc 0
		.amdhsa_reserve_flat_scratch 0
		.amdhsa_float_round_mode_32 0
		.amdhsa_float_round_mode_16_64 0
		.amdhsa_float_denorm_mode_32 3
		.amdhsa_float_denorm_mode_16_64 3
		.amdhsa_dx10_clamp 1
		.amdhsa_ieee_mode 1
		.amdhsa_fp16_overflow 0
		.amdhsa_tg_split 0
		.amdhsa_exception_fp_ieee_invalid_op 0
		.amdhsa_exception_fp_denorm_src 0
		.amdhsa_exception_fp_ieee_div_zero 0
		.amdhsa_exception_fp_ieee_overflow 0
		.amdhsa_exception_fp_ieee_underflow 0
		.amdhsa_exception_fp_ieee_inexact 0
		.amdhsa_exception_int_div_zero 0
	.end_amdhsa_kernel
	.section	.text._ZN7rocprim17ROCPRIM_400000_NS6detail17trampoline_kernelINS0_13select_configILj256ELj13ELNS0_17block_load_methodE3ELS4_3ELS4_3ELNS0_20block_scan_algorithmE0ELj4294967295EEENS1_25partition_config_selectorILNS1_17partition_subalgoE4EjNS0_10empty_typeEbEEZZNS1_14partition_implILS8_4ELb0ES6_15HIP_vector_typeIjLj2EENS0_17counting_iteratorIjlEEPS9_SG_NS0_5tupleIJPjSI_NS0_16reverse_iteratorISI_EEEEENSH_IJSG_SG_SG_EEES9_SI_JZNS1_25segmented_radix_sort_implINS0_14default_configELb0EPK12hip_bfloat16PSP_PKlPlN2at6native12_GLOBAL__N_18offset_tEEE10hipError_tPvRmT1_PNSt15iterator_traitsIS13_E10value_typeET2_T3_PNS14_IS19_E10value_typeET4_jRbjT5_S1F_jjP12ihipStream_tbEUljE_ZNSN_ISO_Lb0ESR_SS_SU_SV_SZ_EES10_S11_S12_S13_S17_S18_S19_S1C_S1D_jS1E_jS1F_S1F_jjS1H_bEUljE0_EEES10_S11_S12_S19_S1D_S1F_T6_T7_T9_mT8_S1H_bDpT10_ENKUlT_T0_E_clISt17integral_constantIbLb0EES1V_EEDaS1Q_S1R_EUlS1Q_E_NS1_11comp_targetILNS1_3genE9ELNS1_11target_archE1100ELNS1_3gpuE3ELNS1_3repE0EEENS1_30default_config_static_selectorELNS0_4arch9wavefront6targetE1EEEvS13_,"axG",@progbits,_ZN7rocprim17ROCPRIM_400000_NS6detail17trampoline_kernelINS0_13select_configILj256ELj13ELNS0_17block_load_methodE3ELS4_3ELS4_3ELNS0_20block_scan_algorithmE0ELj4294967295EEENS1_25partition_config_selectorILNS1_17partition_subalgoE4EjNS0_10empty_typeEbEEZZNS1_14partition_implILS8_4ELb0ES6_15HIP_vector_typeIjLj2EENS0_17counting_iteratorIjlEEPS9_SG_NS0_5tupleIJPjSI_NS0_16reverse_iteratorISI_EEEEENSH_IJSG_SG_SG_EEES9_SI_JZNS1_25segmented_radix_sort_implINS0_14default_configELb0EPK12hip_bfloat16PSP_PKlPlN2at6native12_GLOBAL__N_18offset_tEEE10hipError_tPvRmT1_PNSt15iterator_traitsIS13_E10value_typeET2_T3_PNS14_IS19_E10value_typeET4_jRbjT5_S1F_jjP12ihipStream_tbEUljE_ZNSN_ISO_Lb0ESR_SS_SU_SV_SZ_EES10_S11_S12_S13_S17_S18_S19_S1C_S1D_jS1E_jS1F_S1F_jjS1H_bEUljE0_EEES10_S11_S12_S19_S1D_S1F_T6_T7_T9_mT8_S1H_bDpT10_ENKUlT_T0_E_clISt17integral_constantIbLb0EES1V_EEDaS1Q_S1R_EUlS1Q_E_NS1_11comp_targetILNS1_3genE9ELNS1_11target_archE1100ELNS1_3gpuE3ELNS1_3repE0EEENS1_30default_config_static_selectorELNS0_4arch9wavefront6targetE1EEEvS13_,comdat
.Lfunc_end1989:
	.size	_ZN7rocprim17ROCPRIM_400000_NS6detail17trampoline_kernelINS0_13select_configILj256ELj13ELNS0_17block_load_methodE3ELS4_3ELS4_3ELNS0_20block_scan_algorithmE0ELj4294967295EEENS1_25partition_config_selectorILNS1_17partition_subalgoE4EjNS0_10empty_typeEbEEZZNS1_14partition_implILS8_4ELb0ES6_15HIP_vector_typeIjLj2EENS0_17counting_iteratorIjlEEPS9_SG_NS0_5tupleIJPjSI_NS0_16reverse_iteratorISI_EEEEENSH_IJSG_SG_SG_EEES9_SI_JZNS1_25segmented_radix_sort_implINS0_14default_configELb0EPK12hip_bfloat16PSP_PKlPlN2at6native12_GLOBAL__N_18offset_tEEE10hipError_tPvRmT1_PNSt15iterator_traitsIS13_E10value_typeET2_T3_PNS14_IS19_E10value_typeET4_jRbjT5_S1F_jjP12ihipStream_tbEUljE_ZNSN_ISO_Lb0ESR_SS_SU_SV_SZ_EES10_S11_S12_S13_S17_S18_S19_S1C_S1D_jS1E_jS1F_S1F_jjS1H_bEUljE0_EEES10_S11_S12_S19_S1D_S1F_T6_T7_T9_mT8_S1H_bDpT10_ENKUlT_T0_E_clISt17integral_constantIbLb0EES1V_EEDaS1Q_S1R_EUlS1Q_E_NS1_11comp_targetILNS1_3genE9ELNS1_11target_archE1100ELNS1_3gpuE3ELNS1_3repE0EEENS1_30default_config_static_selectorELNS0_4arch9wavefront6targetE1EEEvS13_, .Lfunc_end1989-_ZN7rocprim17ROCPRIM_400000_NS6detail17trampoline_kernelINS0_13select_configILj256ELj13ELNS0_17block_load_methodE3ELS4_3ELS4_3ELNS0_20block_scan_algorithmE0ELj4294967295EEENS1_25partition_config_selectorILNS1_17partition_subalgoE4EjNS0_10empty_typeEbEEZZNS1_14partition_implILS8_4ELb0ES6_15HIP_vector_typeIjLj2EENS0_17counting_iteratorIjlEEPS9_SG_NS0_5tupleIJPjSI_NS0_16reverse_iteratorISI_EEEEENSH_IJSG_SG_SG_EEES9_SI_JZNS1_25segmented_radix_sort_implINS0_14default_configELb0EPK12hip_bfloat16PSP_PKlPlN2at6native12_GLOBAL__N_18offset_tEEE10hipError_tPvRmT1_PNSt15iterator_traitsIS13_E10value_typeET2_T3_PNS14_IS19_E10value_typeET4_jRbjT5_S1F_jjP12ihipStream_tbEUljE_ZNSN_ISO_Lb0ESR_SS_SU_SV_SZ_EES10_S11_S12_S13_S17_S18_S19_S1C_S1D_jS1E_jS1F_S1F_jjS1H_bEUljE0_EEES10_S11_S12_S19_S1D_S1F_T6_T7_T9_mT8_S1H_bDpT10_ENKUlT_T0_E_clISt17integral_constantIbLb0EES1V_EEDaS1Q_S1R_EUlS1Q_E_NS1_11comp_targetILNS1_3genE9ELNS1_11target_archE1100ELNS1_3gpuE3ELNS1_3repE0EEENS1_30default_config_static_selectorELNS0_4arch9wavefront6targetE1EEEvS13_
                                        ; -- End function
	.section	.AMDGPU.csdata,"",@progbits
; Kernel info:
; codeLenInByte = 0
; NumSgprs: 4
; NumVgprs: 0
; NumAgprs: 0
; TotalNumVgprs: 0
; ScratchSize: 0
; MemoryBound: 0
; FloatMode: 240
; IeeeMode: 1
; LDSByteSize: 0 bytes/workgroup (compile time only)
; SGPRBlocks: 0
; VGPRBlocks: 0
; NumSGPRsForWavesPerEU: 4
; NumVGPRsForWavesPerEU: 1
; AccumOffset: 4
; Occupancy: 8
; WaveLimiterHint : 0
; COMPUTE_PGM_RSRC2:SCRATCH_EN: 0
; COMPUTE_PGM_RSRC2:USER_SGPR: 6
; COMPUTE_PGM_RSRC2:TRAP_HANDLER: 0
; COMPUTE_PGM_RSRC2:TGID_X_EN: 1
; COMPUTE_PGM_RSRC2:TGID_Y_EN: 0
; COMPUTE_PGM_RSRC2:TGID_Z_EN: 0
; COMPUTE_PGM_RSRC2:TIDIG_COMP_CNT: 0
; COMPUTE_PGM_RSRC3_GFX90A:ACCUM_OFFSET: 0
; COMPUTE_PGM_RSRC3_GFX90A:TG_SPLIT: 0
	.section	.text._ZN7rocprim17ROCPRIM_400000_NS6detail17trampoline_kernelINS0_13select_configILj256ELj13ELNS0_17block_load_methodE3ELS4_3ELS4_3ELNS0_20block_scan_algorithmE0ELj4294967295EEENS1_25partition_config_selectorILNS1_17partition_subalgoE4EjNS0_10empty_typeEbEEZZNS1_14partition_implILS8_4ELb0ES6_15HIP_vector_typeIjLj2EENS0_17counting_iteratorIjlEEPS9_SG_NS0_5tupleIJPjSI_NS0_16reverse_iteratorISI_EEEEENSH_IJSG_SG_SG_EEES9_SI_JZNS1_25segmented_radix_sort_implINS0_14default_configELb0EPK12hip_bfloat16PSP_PKlPlN2at6native12_GLOBAL__N_18offset_tEEE10hipError_tPvRmT1_PNSt15iterator_traitsIS13_E10value_typeET2_T3_PNS14_IS19_E10value_typeET4_jRbjT5_S1F_jjP12ihipStream_tbEUljE_ZNSN_ISO_Lb0ESR_SS_SU_SV_SZ_EES10_S11_S12_S13_S17_S18_S19_S1C_S1D_jS1E_jS1F_S1F_jjS1H_bEUljE0_EEES10_S11_S12_S19_S1D_S1F_T6_T7_T9_mT8_S1H_bDpT10_ENKUlT_T0_E_clISt17integral_constantIbLb0EES1V_EEDaS1Q_S1R_EUlS1Q_E_NS1_11comp_targetILNS1_3genE8ELNS1_11target_archE1030ELNS1_3gpuE2ELNS1_3repE0EEENS1_30default_config_static_selectorELNS0_4arch9wavefront6targetE1EEEvS13_,"axG",@progbits,_ZN7rocprim17ROCPRIM_400000_NS6detail17trampoline_kernelINS0_13select_configILj256ELj13ELNS0_17block_load_methodE3ELS4_3ELS4_3ELNS0_20block_scan_algorithmE0ELj4294967295EEENS1_25partition_config_selectorILNS1_17partition_subalgoE4EjNS0_10empty_typeEbEEZZNS1_14partition_implILS8_4ELb0ES6_15HIP_vector_typeIjLj2EENS0_17counting_iteratorIjlEEPS9_SG_NS0_5tupleIJPjSI_NS0_16reverse_iteratorISI_EEEEENSH_IJSG_SG_SG_EEES9_SI_JZNS1_25segmented_radix_sort_implINS0_14default_configELb0EPK12hip_bfloat16PSP_PKlPlN2at6native12_GLOBAL__N_18offset_tEEE10hipError_tPvRmT1_PNSt15iterator_traitsIS13_E10value_typeET2_T3_PNS14_IS19_E10value_typeET4_jRbjT5_S1F_jjP12ihipStream_tbEUljE_ZNSN_ISO_Lb0ESR_SS_SU_SV_SZ_EES10_S11_S12_S13_S17_S18_S19_S1C_S1D_jS1E_jS1F_S1F_jjS1H_bEUljE0_EEES10_S11_S12_S19_S1D_S1F_T6_T7_T9_mT8_S1H_bDpT10_ENKUlT_T0_E_clISt17integral_constantIbLb0EES1V_EEDaS1Q_S1R_EUlS1Q_E_NS1_11comp_targetILNS1_3genE8ELNS1_11target_archE1030ELNS1_3gpuE2ELNS1_3repE0EEENS1_30default_config_static_selectorELNS0_4arch9wavefront6targetE1EEEvS13_,comdat
	.globl	_ZN7rocprim17ROCPRIM_400000_NS6detail17trampoline_kernelINS0_13select_configILj256ELj13ELNS0_17block_load_methodE3ELS4_3ELS4_3ELNS0_20block_scan_algorithmE0ELj4294967295EEENS1_25partition_config_selectorILNS1_17partition_subalgoE4EjNS0_10empty_typeEbEEZZNS1_14partition_implILS8_4ELb0ES6_15HIP_vector_typeIjLj2EENS0_17counting_iteratorIjlEEPS9_SG_NS0_5tupleIJPjSI_NS0_16reverse_iteratorISI_EEEEENSH_IJSG_SG_SG_EEES9_SI_JZNS1_25segmented_radix_sort_implINS0_14default_configELb0EPK12hip_bfloat16PSP_PKlPlN2at6native12_GLOBAL__N_18offset_tEEE10hipError_tPvRmT1_PNSt15iterator_traitsIS13_E10value_typeET2_T3_PNS14_IS19_E10value_typeET4_jRbjT5_S1F_jjP12ihipStream_tbEUljE_ZNSN_ISO_Lb0ESR_SS_SU_SV_SZ_EES10_S11_S12_S13_S17_S18_S19_S1C_S1D_jS1E_jS1F_S1F_jjS1H_bEUljE0_EEES10_S11_S12_S19_S1D_S1F_T6_T7_T9_mT8_S1H_bDpT10_ENKUlT_T0_E_clISt17integral_constantIbLb0EES1V_EEDaS1Q_S1R_EUlS1Q_E_NS1_11comp_targetILNS1_3genE8ELNS1_11target_archE1030ELNS1_3gpuE2ELNS1_3repE0EEENS1_30default_config_static_selectorELNS0_4arch9wavefront6targetE1EEEvS13_ ; -- Begin function _ZN7rocprim17ROCPRIM_400000_NS6detail17trampoline_kernelINS0_13select_configILj256ELj13ELNS0_17block_load_methodE3ELS4_3ELS4_3ELNS0_20block_scan_algorithmE0ELj4294967295EEENS1_25partition_config_selectorILNS1_17partition_subalgoE4EjNS0_10empty_typeEbEEZZNS1_14partition_implILS8_4ELb0ES6_15HIP_vector_typeIjLj2EENS0_17counting_iteratorIjlEEPS9_SG_NS0_5tupleIJPjSI_NS0_16reverse_iteratorISI_EEEEENSH_IJSG_SG_SG_EEES9_SI_JZNS1_25segmented_radix_sort_implINS0_14default_configELb0EPK12hip_bfloat16PSP_PKlPlN2at6native12_GLOBAL__N_18offset_tEEE10hipError_tPvRmT1_PNSt15iterator_traitsIS13_E10value_typeET2_T3_PNS14_IS19_E10value_typeET4_jRbjT5_S1F_jjP12ihipStream_tbEUljE_ZNSN_ISO_Lb0ESR_SS_SU_SV_SZ_EES10_S11_S12_S13_S17_S18_S19_S1C_S1D_jS1E_jS1F_S1F_jjS1H_bEUljE0_EEES10_S11_S12_S19_S1D_S1F_T6_T7_T9_mT8_S1H_bDpT10_ENKUlT_T0_E_clISt17integral_constantIbLb0EES1V_EEDaS1Q_S1R_EUlS1Q_E_NS1_11comp_targetILNS1_3genE8ELNS1_11target_archE1030ELNS1_3gpuE2ELNS1_3repE0EEENS1_30default_config_static_selectorELNS0_4arch9wavefront6targetE1EEEvS13_
	.p2align	8
	.type	_ZN7rocprim17ROCPRIM_400000_NS6detail17trampoline_kernelINS0_13select_configILj256ELj13ELNS0_17block_load_methodE3ELS4_3ELS4_3ELNS0_20block_scan_algorithmE0ELj4294967295EEENS1_25partition_config_selectorILNS1_17partition_subalgoE4EjNS0_10empty_typeEbEEZZNS1_14partition_implILS8_4ELb0ES6_15HIP_vector_typeIjLj2EENS0_17counting_iteratorIjlEEPS9_SG_NS0_5tupleIJPjSI_NS0_16reverse_iteratorISI_EEEEENSH_IJSG_SG_SG_EEES9_SI_JZNS1_25segmented_radix_sort_implINS0_14default_configELb0EPK12hip_bfloat16PSP_PKlPlN2at6native12_GLOBAL__N_18offset_tEEE10hipError_tPvRmT1_PNSt15iterator_traitsIS13_E10value_typeET2_T3_PNS14_IS19_E10value_typeET4_jRbjT5_S1F_jjP12ihipStream_tbEUljE_ZNSN_ISO_Lb0ESR_SS_SU_SV_SZ_EES10_S11_S12_S13_S17_S18_S19_S1C_S1D_jS1E_jS1F_S1F_jjS1H_bEUljE0_EEES10_S11_S12_S19_S1D_S1F_T6_T7_T9_mT8_S1H_bDpT10_ENKUlT_T0_E_clISt17integral_constantIbLb0EES1V_EEDaS1Q_S1R_EUlS1Q_E_NS1_11comp_targetILNS1_3genE8ELNS1_11target_archE1030ELNS1_3gpuE2ELNS1_3repE0EEENS1_30default_config_static_selectorELNS0_4arch9wavefront6targetE1EEEvS13_,@function
_ZN7rocprim17ROCPRIM_400000_NS6detail17trampoline_kernelINS0_13select_configILj256ELj13ELNS0_17block_load_methodE3ELS4_3ELS4_3ELNS0_20block_scan_algorithmE0ELj4294967295EEENS1_25partition_config_selectorILNS1_17partition_subalgoE4EjNS0_10empty_typeEbEEZZNS1_14partition_implILS8_4ELb0ES6_15HIP_vector_typeIjLj2EENS0_17counting_iteratorIjlEEPS9_SG_NS0_5tupleIJPjSI_NS0_16reverse_iteratorISI_EEEEENSH_IJSG_SG_SG_EEES9_SI_JZNS1_25segmented_radix_sort_implINS0_14default_configELb0EPK12hip_bfloat16PSP_PKlPlN2at6native12_GLOBAL__N_18offset_tEEE10hipError_tPvRmT1_PNSt15iterator_traitsIS13_E10value_typeET2_T3_PNS14_IS19_E10value_typeET4_jRbjT5_S1F_jjP12ihipStream_tbEUljE_ZNSN_ISO_Lb0ESR_SS_SU_SV_SZ_EES10_S11_S12_S13_S17_S18_S19_S1C_S1D_jS1E_jS1F_S1F_jjS1H_bEUljE0_EEES10_S11_S12_S19_S1D_S1F_T6_T7_T9_mT8_S1H_bDpT10_ENKUlT_T0_E_clISt17integral_constantIbLb0EES1V_EEDaS1Q_S1R_EUlS1Q_E_NS1_11comp_targetILNS1_3genE8ELNS1_11target_archE1030ELNS1_3gpuE2ELNS1_3repE0EEENS1_30default_config_static_selectorELNS0_4arch9wavefront6targetE1EEEvS13_: ; @_ZN7rocprim17ROCPRIM_400000_NS6detail17trampoline_kernelINS0_13select_configILj256ELj13ELNS0_17block_load_methodE3ELS4_3ELS4_3ELNS0_20block_scan_algorithmE0ELj4294967295EEENS1_25partition_config_selectorILNS1_17partition_subalgoE4EjNS0_10empty_typeEbEEZZNS1_14partition_implILS8_4ELb0ES6_15HIP_vector_typeIjLj2EENS0_17counting_iteratorIjlEEPS9_SG_NS0_5tupleIJPjSI_NS0_16reverse_iteratorISI_EEEEENSH_IJSG_SG_SG_EEES9_SI_JZNS1_25segmented_radix_sort_implINS0_14default_configELb0EPK12hip_bfloat16PSP_PKlPlN2at6native12_GLOBAL__N_18offset_tEEE10hipError_tPvRmT1_PNSt15iterator_traitsIS13_E10value_typeET2_T3_PNS14_IS19_E10value_typeET4_jRbjT5_S1F_jjP12ihipStream_tbEUljE_ZNSN_ISO_Lb0ESR_SS_SU_SV_SZ_EES10_S11_S12_S13_S17_S18_S19_S1C_S1D_jS1E_jS1F_S1F_jjS1H_bEUljE0_EEES10_S11_S12_S19_S1D_S1F_T6_T7_T9_mT8_S1H_bDpT10_ENKUlT_T0_E_clISt17integral_constantIbLb0EES1V_EEDaS1Q_S1R_EUlS1Q_E_NS1_11comp_targetILNS1_3genE8ELNS1_11target_archE1030ELNS1_3gpuE2ELNS1_3repE0EEENS1_30default_config_static_selectorELNS0_4arch9wavefront6targetE1EEEvS13_
; %bb.0:
	.section	.rodata,"a",@progbits
	.p2align	6, 0x0
	.amdhsa_kernel _ZN7rocprim17ROCPRIM_400000_NS6detail17trampoline_kernelINS0_13select_configILj256ELj13ELNS0_17block_load_methodE3ELS4_3ELS4_3ELNS0_20block_scan_algorithmE0ELj4294967295EEENS1_25partition_config_selectorILNS1_17partition_subalgoE4EjNS0_10empty_typeEbEEZZNS1_14partition_implILS8_4ELb0ES6_15HIP_vector_typeIjLj2EENS0_17counting_iteratorIjlEEPS9_SG_NS0_5tupleIJPjSI_NS0_16reverse_iteratorISI_EEEEENSH_IJSG_SG_SG_EEES9_SI_JZNS1_25segmented_radix_sort_implINS0_14default_configELb0EPK12hip_bfloat16PSP_PKlPlN2at6native12_GLOBAL__N_18offset_tEEE10hipError_tPvRmT1_PNSt15iterator_traitsIS13_E10value_typeET2_T3_PNS14_IS19_E10value_typeET4_jRbjT5_S1F_jjP12ihipStream_tbEUljE_ZNSN_ISO_Lb0ESR_SS_SU_SV_SZ_EES10_S11_S12_S13_S17_S18_S19_S1C_S1D_jS1E_jS1F_S1F_jjS1H_bEUljE0_EEES10_S11_S12_S19_S1D_S1F_T6_T7_T9_mT8_S1H_bDpT10_ENKUlT_T0_E_clISt17integral_constantIbLb0EES1V_EEDaS1Q_S1R_EUlS1Q_E_NS1_11comp_targetILNS1_3genE8ELNS1_11target_archE1030ELNS1_3gpuE2ELNS1_3repE0EEENS1_30default_config_static_selectorELNS0_4arch9wavefront6targetE1EEEvS13_
		.amdhsa_group_segment_fixed_size 0
		.amdhsa_private_segment_fixed_size 0
		.amdhsa_kernarg_size 176
		.amdhsa_user_sgpr_count 6
		.amdhsa_user_sgpr_private_segment_buffer 1
		.amdhsa_user_sgpr_dispatch_ptr 0
		.amdhsa_user_sgpr_queue_ptr 0
		.amdhsa_user_sgpr_kernarg_segment_ptr 1
		.amdhsa_user_sgpr_dispatch_id 0
		.amdhsa_user_sgpr_flat_scratch_init 0
		.amdhsa_user_sgpr_kernarg_preload_length 0
		.amdhsa_user_sgpr_kernarg_preload_offset 0
		.amdhsa_user_sgpr_private_segment_size 0
		.amdhsa_uses_dynamic_stack 0
		.amdhsa_system_sgpr_private_segment_wavefront_offset 0
		.amdhsa_system_sgpr_workgroup_id_x 1
		.amdhsa_system_sgpr_workgroup_id_y 0
		.amdhsa_system_sgpr_workgroup_id_z 0
		.amdhsa_system_sgpr_workgroup_info 0
		.amdhsa_system_vgpr_workitem_id 0
		.amdhsa_next_free_vgpr 1
		.amdhsa_next_free_sgpr 0
		.amdhsa_accum_offset 4
		.amdhsa_reserve_vcc 0
		.amdhsa_reserve_flat_scratch 0
		.amdhsa_float_round_mode_32 0
		.amdhsa_float_round_mode_16_64 0
		.amdhsa_float_denorm_mode_32 3
		.amdhsa_float_denorm_mode_16_64 3
		.amdhsa_dx10_clamp 1
		.amdhsa_ieee_mode 1
		.amdhsa_fp16_overflow 0
		.amdhsa_tg_split 0
		.amdhsa_exception_fp_ieee_invalid_op 0
		.amdhsa_exception_fp_denorm_src 0
		.amdhsa_exception_fp_ieee_div_zero 0
		.amdhsa_exception_fp_ieee_overflow 0
		.amdhsa_exception_fp_ieee_underflow 0
		.amdhsa_exception_fp_ieee_inexact 0
		.amdhsa_exception_int_div_zero 0
	.end_amdhsa_kernel
	.section	.text._ZN7rocprim17ROCPRIM_400000_NS6detail17trampoline_kernelINS0_13select_configILj256ELj13ELNS0_17block_load_methodE3ELS4_3ELS4_3ELNS0_20block_scan_algorithmE0ELj4294967295EEENS1_25partition_config_selectorILNS1_17partition_subalgoE4EjNS0_10empty_typeEbEEZZNS1_14partition_implILS8_4ELb0ES6_15HIP_vector_typeIjLj2EENS0_17counting_iteratorIjlEEPS9_SG_NS0_5tupleIJPjSI_NS0_16reverse_iteratorISI_EEEEENSH_IJSG_SG_SG_EEES9_SI_JZNS1_25segmented_radix_sort_implINS0_14default_configELb0EPK12hip_bfloat16PSP_PKlPlN2at6native12_GLOBAL__N_18offset_tEEE10hipError_tPvRmT1_PNSt15iterator_traitsIS13_E10value_typeET2_T3_PNS14_IS19_E10value_typeET4_jRbjT5_S1F_jjP12ihipStream_tbEUljE_ZNSN_ISO_Lb0ESR_SS_SU_SV_SZ_EES10_S11_S12_S13_S17_S18_S19_S1C_S1D_jS1E_jS1F_S1F_jjS1H_bEUljE0_EEES10_S11_S12_S19_S1D_S1F_T6_T7_T9_mT8_S1H_bDpT10_ENKUlT_T0_E_clISt17integral_constantIbLb0EES1V_EEDaS1Q_S1R_EUlS1Q_E_NS1_11comp_targetILNS1_3genE8ELNS1_11target_archE1030ELNS1_3gpuE2ELNS1_3repE0EEENS1_30default_config_static_selectorELNS0_4arch9wavefront6targetE1EEEvS13_,"axG",@progbits,_ZN7rocprim17ROCPRIM_400000_NS6detail17trampoline_kernelINS0_13select_configILj256ELj13ELNS0_17block_load_methodE3ELS4_3ELS4_3ELNS0_20block_scan_algorithmE0ELj4294967295EEENS1_25partition_config_selectorILNS1_17partition_subalgoE4EjNS0_10empty_typeEbEEZZNS1_14partition_implILS8_4ELb0ES6_15HIP_vector_typeIjLj2EENS0_17counting_iteratorIjlEEPS9_SG_NS0_5tupleIJPjSI_NS0_16reverse_iteratorISI_EEEEENSH_IJSG_SG_SG_EEES9_SI_JZNS1_25segmented_radix_sort_implINS0_14default_configELb0EPK12hip_bfloat16PSP_PKlPlN2at6native12_GLOBAL__N_18offset_tEEE10hipError_tPvRmT1_PNSt15iterator_traitsIS13_E10value_typeET2_T3_PNS14_IS19_E10value_typeET4_jRbjT5_S1F_jjP12ihipStream_tbEUljE_ZNSN_ISO_Lb0ESR_SS_SU_SV_SZ_EES10_S11_S12_S13_S17_S18_S19_S1C_S1D_jS1E_jS1F_S1F_jjS1H_bEUljE0_EEES10_S11_S12_S19_S1D_S1F_T6_T7_T9_mT8_S1H_bDpT10_ENKUlT_T0_E_clISt17integral_constantIbLb0EES1V_EEDaS1Q_S1R_EUlS1Q_E_NS1_11comp_targetILNS1_3genE8ELNS1_11target_archE1030ELNS1_3gpuE2ELNS1_3repE0EEENS1_30default_config_static_selectorELNS0_4arch9wavefront6targetE1EEEvS13_,comdat
.Lfunc_end1990:
	.size	_ZN7rocprim17ROCPRIM_400000_NS6detail17trampoline_kernelINS0_13select_configILj256ELj13ELNS0_17block_load_methodE3ELS4_3ELS4_3ELNS0_20block_scan_algorithmE0ELj4294967295EEENS1_25partition_config_selectorILNS1_17partition_subalgoE4EjNS0_10empty_typeEbEEZZNS1_14partition_implILS8_4ELb0ES6_15HIP_vector_typeIjLj2EENS0_17counting_iteratorIjlEEPS9_SG_NS0_5tupleIJPjSI_NS0_16reverse_iteratorISI_EEEEENSH_IJSG_SG_SG_EEES9_SI_JZNS1_25segmented_radix_sort_implINS0_14default_configELb0EPK12hip_bfloat16PSP_PKlPlN2at6native12_GLOBAL__N_18offset_tEEE10hipError_tPvRmT1_PNSt15iterator_traitsIS13_E10value_typeET2_T3_PNS14_IS19_E10value_typeET4_jRbjT5_S1F_jjP12ihipStream_tbEUljE_ZNSN_ISO_Lb0ESR_SS_SU_SV_SZ_EES10_S11_S12_S13_S17_S18_S19_S1C_S1D_jS1E_jS1F_S1F_jjS1H_bEUljE0_EEES10_S11_S12_S19_S1D_S1F_T6_T7_T9_mT8_S1H_bDpT10_ENKUlT_T0_E_clISt17integral_constantIbLb0EES1V_EEDaS1Q_S1R_EUlS1Q_E_NS1_11comp_targetILNS1_3genE8ELNS1_11target_archE1030ELNS1_3gpuE2ELNS1_3repE0EEENS1_30default_config_static_selectorELNS0_4arch9wavefront6targetE1EEEvS13_, .Lfunc_end1990-_ZN7rocprim17ROCPRIM_400000_NS6detail17trampoline_kernelINS0_13select_configILj256ELj13ELNS0_17block_load_methodE3ELS4_3ELS4_3ELNS0_20block_scan_algorithmE0ELj4294967295EEENS1_25partition_config_selectorILNS1_17partition_subalgoE4EjNS0_10empty_typeEbEEZZNS1_14partition_implILS8_4ELb0ES6_15HIP_vector_typeIjLj2EENS0_17counting_iteratorIjlEEPS9_SG_NS0_5tupleIJPjSI_NS0_16reverse_iteratorISI_EEEEENSH_IJSG_SG_SG_EEES9_SI_JZNS1_25segmented_radix_sort_implINS0_14default_configELb0EPK12hip_bfloat16PSP_PKlPlN2at6native12_GLOBAL__N_18offset_tEEE10hipError_tPvRmT1_PNSt15iterator_traitsIS13_E10value_typeET2_T3_PNS14_IS19_E10value_typeET4_jRbjT5_S1F_jjP12ihipStream_tbEUljE_ZNSN_ISO_Lb0ESR_SS_SU_SV_SZ_EES10_S11_S12_S13_S17_S18_S19_S1C_S1D_jS1E_jS1F_S1F_jjS1H_bEUljE0_EEES10_S11_S12_S19_S1D_S1F_T6_T7_T9_mT8_S1H_bDpT10_ENKUlT_T0_E_clISt17integral_constantIbLb0EES1V_EEDaS1Q_S1R_EUlS1Q_E_NS1_11comp_targetILNS1_3genE8ELNS1_11target_archE1030ELNS1_3gpuE2ELNS1_3repE0EEENS1_30default_config_static_selectorELNS0_4arch9wavefront6targetE1EEEvS13_
                                        ; -- End function
	.section	.AMDGPU.csdata,"",@progbits
; Kernel info:
; codeLenInByte = 0
; NumSgprs: 4
; NumVgprs: 0
; NumAgprs: 0
; TotalNumVgprs: 0
; ScratchSize: 0
; MemoryBound: 0
; FloatMode: 240
; IeeeMode: 1
; LDSByteSize: 0 bytes/workgroup (compile time only)
; SGPRBlocks: 0
; VGPRBlocks: 0
; NumSGPRsForWavesPerEU: 4
; NumVGPRsForWavesPerEU: 1
; AccumOffset: 4
; Occupancy: 8
; WaveLimiterHint : 0
; COMPUTE_PGM_RSRC2:SCRATCH_EN: 0
; COMPUTE_PGM_RSRC2:USER_SGPR: 6
; COMPUTE_PGM_RSRC2:TRAP_HANDLER: 0
; COMPUTE_PGM_RSRC2:TGID_X_EN: 1
; COMPUTE_PGM_RSRC2:TGID_Y_EN: 0
; COMPUTE_PGM_RSRC2:TGID_Z_EN: 0
; COMPUTE_PGM_RSRC2:TIDIG_COMP_CNT: 0
; COMPUTE_PGM_RSRC3_GFX90A:ACCUM_OFFSET: 0
; COMPUTE_PGM_RSRC3_GFX90A:TG_SPLIT: 0
	.section	.text._ZN7rocprim17ROCPRIM_400000_NS6detail17trampoline_kernelINS0_13select_configILj256ELj13ELNS0_17block_load_methodE3ELS4_3ELS4_3ELNS0_20block_scan_algorithmE0ELj4294967295EEENS1_25partition_config_selectorILNS1_17partition_subalgoE4EjNS0_10empty_typeEbEEZZNS1_14partition_implILS8_4ELb0ES6_15HIP_vector_typeIjLj2EENS0_17counting_iteratorIjlEEPS9_SG_NS0_5tupleIJPjSI_NS0_16reverse_iteratorISI_EEEEENSH_IJSG_SG_SG_EEES9_SI_JZNS1_25segmented_radix_sort_implINS0_14default_configELb0EPK12hip_bfloat16PSP_PKlPlN2at6native12_GLOBAL__N_18offset_tEEE10hipError_tPvRmT1_PNSt15iterator_traitsIS13_E10value_typeET2_T3_PNS14_IS19_E10value_typeET4_jRbjT5_S1F_jjP12ihipStream_tbEUljE_ZNSN_ISO_Lb0ESR_SS_SU_SV_SZ_EES10_S11_S12_S13_S17_S18_S19_S1C_S1D_jS1E_jS1F_S1F_jjS1H_bEUljE0_EEES10_S11_S12_S19_S1D_S1F_T6_T7_T9_mT8_S1H_bDpT10_ENKUlT_T0_E_clISt17integral_constantIbLb1EES1V_EEDaS1Q_S1R_EUlS1Q_E_NS1_11comp_targetILNS1_3genE0ELNS1_11target_archE4294967295ELNS1_3gpuE0ELNS1_3repE0EEENS1_30default_config_static_selectorELNS0_4arch9wavefront6targetE1EEEvS13_,"axG",@progbits,_ZN7rocprim17ROCPRIM_400000_NS6detail17trampoline_kernelINS0_13select_configILj256ELj13ELNS0_17block_load_methodE3ELS4_3ELS4_3ELNS0_20block_scan_algorithmE0ELj4294967295EEENS1_25partition_config_selectorILNS1_17partition_subalgoE4EjNS0_10empty_typeEbEEZZNS1_14partition_implILS8_4ELb0ES6_15HIP_vector_typeIjLj2EENS0_17counting_iteratorIjlEEPS9_SG_NS0_5tupleIJPjSI_NS0_16reverse_iteratorISI_EEEEENSH_IJSG_SG_SG_EEES9_SI_JZNS1_25segmented_radix_sort_implINS0_14default_configELb0EPK12hip_bfloat16PSP_PKlPlN2at6native12_GLOBAL__N_18offset_tEEE10hipError_tPvRmT1_PNSt15iterator_traitsIS13_E10value_typeET2_T3_PNS14_IS19_E10value_typeET4_jRbjT5_S1F_jjP12ihipStream_tbEUljE_ZNSN_ISO_Lb0ESR_SS_SU_SV_SZ_EES10_S11_S12_S13_S17_S18_S19_S1C_S1D_jS1E_jS1F_S1F_jjS1H_bEUljE0_EEES10_S11_S12_S19_S1D_S1F_T6_T7_T9_mT8_S1H_bDpT10_ENKUlT_T0_E_clISt17integral_constantIbLb1EES1V_EEDaS1Q_S1R_EUlS1Q_E_NS1_11comp_targetILNS1_3genE0ELNS1_11target_archE4294967295ELNS1_3gpuE0ELNS1_3repE0EEENS1_30default_config_static_selectorELNS0_4arch9wavefront6targetE1EEEvS13_,comdat
	.globl	_ZN7rocprim17ROCPRIM_400000_NS6detail17trampoline_kernelINS0_13select_configILj256ELj13ELNS0_17block_load_methodE3ELS4_3ELS4_3ELNS0_20block_scan_algorithmE0ELj4294967295EEENS1_25partition_config_selectorILNS1_17partition_subalgoE4EjNS0_10empty_typeEbEEZZNS1_14partition_implILS8_4ELb0ES6_15HIP_vector_typeIjLj2EENS0_17counting_iteratorIjlEEPS9_SG_NS0_5tupleIJPjSI_NS0_16reverse_iteratorISI_EEEEENSH_IJSG_SG_SG_EEES9_SI_JZNS1_25segmented_radix_sort_implINS0_14default_configELb0EPK12hip_bfloat16PSP_PKlPlN2at6native12_GLOBAL__N_18offset_tEEE10hipError_tPvRmT1_PNSt15iterator_traitsIS13_E10value_typeET2_T3_PNS14_IS19_E10value_typeET4_jRbjT5_S1F_jjP12ihipStream_tbEUljE_ZNSN_ISO_Lb0ESR_SS_SU_SV_SZ_EES10_S11_S12_S13_S17_S18_S19_S1C_S1D_jS1E_jS1F_S1F_jjS1H_bEUljE0_EEES10_S11_S12_S19_S1D_S1F_T6_T7_T9_mT8_S1H_bDpT10_ENKUlT_T0_E_clISt17integral_constantIbLb1EES1V_EEDaS1Q_S1R_EUlS1Q_E_NS1_11comp_targetILNS1_3genE0ELNS1_11target_archE4294967295ELNS1_3gpuE0ELNS1_3repE0EEENS1_30default_config_static_selectorELNS0_4arch9wavefront6targetE1EEEvS13_ ; -- Begin function _ZN7rocprim17ROCPRIM_400000_NS6detail17trampoline_kernelINS0_13select_configILj256ELj13ELNS0_17block_load_methodE3ELS4_3ELS4_3ELNS0_20block_scan_algorithmE0ELj4294967295EEENS1_25partition_config_selectorILNS1_17partition_subalgoE4EjNS0_10empty_typeEbEEZZNS1_14partition_implILS8_4ELb0ES6_15HIP_vector_typeIjLj2EENS0_17counting_iteratorIjlEEPS9_SG_NS0_5tupleIJPjSI_NS0_16reverse_iteratorISI_EEEEENSH_IJSG_SG_SG_EEES9_SI_JZNS1_25segmented_radix_sort_implINS0_14default_configELb0EPK12hip_bfloat16PSP_PKlPlN2at6native12_GLOBAL__N_18offset_tEEE10hipError_tPvRmT1_PNSt15iterator_traitsIS13_E10value_typeET2_T3_PNS14_IS19_E10value_typeET4_jRbjT5_S1F_jjP12ihipStream_tbEUljE_ZNSN_ISO_Lb0ESR_SS_SU_SV_SZ_EES10_S11_S12_S13_S17_S18_S19_S1C_S1D_jS1E_jS1F_S1F_jjS1H_bEUljE0_EEES10_S11_S12_S19_S1D_S1F_T6_T7_T9_mT8_S1H_bDpT10_ENKUlT_T0_E_clISt17integral_constantIbLb1EES1V_EEDaS1Q_S1R_EUlS1Q_E_NS1_11comp_targetILNS1_3genE0ELNS1_11target_archE4294967295ELNS1_3gpuE0ELNS1_3repE0EEENS1_30default_config_static_selectorELNS0_4arch9wavefront6targetE1EEEvS13_
	.p2align	8
	.type	_ZN7rocprim17ROCPRIM_400000_NS6detail17trampoline_kernelINS0_13select_configILj256ELj13ELNS0_17block_load_methodE3ELS4_3ELS4_3ELNS0_20block_scan_algorithmE0ELj4294967295EEENS1_25partition_config_selectorILNS1_17partition_subalgoE4EjNS0_10empty_typeEbEEZZNS1_14partition_implILS8_4ELb0ES6_15HIP_vector_typeIjLj2EENS0_17counting_iteratorIjlEEPS9_SG_NS0_5tupleIJPjSI_NS0_16reverse_iteratorISI_EEEEENSH_IJSG_SG_SG_EEES9_SI_JZNS1_25segmented_radix_sort_implINS0_14default_configELb0EPK12hip_bfloat16PSP_PKlPlN2at6native12_GLOBAL__N_18offset_tEEE10hipError_tPvRmT1_PNSt15iterator_traitsIS13_E10value_typeET2_T3_PNS14_IS19_E10value_typeET4_jRbjT5_S1F_jjP12ihipStream_tbEUljE_ZNSN_ISO_Lb0ESR_SS_SU_SV_SZ_EES10_S11_S12_S13_S17_S18_S19_S1C_S1D_jS1E_jS1F_S1F_jjS1H_bEUljE0_EEES10_S11_S12_S19_S1D_S1F_T6_T7_T9_mT8_S1H_bDpT10_ENKUlT_T0_E_clISt17integral_constantIbLb1EES1V_EEDaS1Q_S1R_EUlS1Q_E_NS1_11comp_targetILNS1_3genE0ELNS1_11target_archE4294967295ELNS1_3gpuE0ELNS1_3repE0EEENS1_30default_config_static_selectorELNS0_4arch9wavefront6targetE1EEEvS13_,@function
_ZN7rocprim17ROCPRIM_400000_NS6detail17trampoline_kernelINS0_13select_configILj256ELj13ELNS0_17block_load_methodE3ELS4_3ELS4_3ELNS0_20block_scan_algorithmE0ELj4294967295EEENS1_25partition_config_selectorILNS1_17partition_subalgoE4EjNS0_10empty_typeEbEEZZNS1_14partition_implILS8_4ELb0ES6_15HIP_vector_typeIjLj2EENS0_17counting_iteratorIjlEEPS9_SG_NS0_5tupleIJPjSI_NS0_16reverse_iteratorISI_EEEEENSH_IJSG_SG_SG_EEES9_SI_JZNS1_25segmented_radix_sort_implINS0_14default_configELb0EPK12hip_bfloat16PSP_PKlPlN2at6native12_GLOBAL__N_18offset_tEEE10hipError_tPvRmT1_PNSt15iterator_traitsIS13_E10value_typeET2_T3_PNS14_IS19_E10value_typeET4_jRbjT5_S1F_jjP12ihipStream_tbEUljE_ZNSN_ISO_Lb0ESR_SS_SU_SV_SZ_EES10_S11_S12_S13_S17_S18_S19_S1C_S1D_jS1E_jS1F_S1F_jjS1H_bEUljE0_EEES10_S11_S12_S19_S1D_S1F_T6_T7_T9_mT8_S1H_bDpT10_ENKUlT_T0_E_clISt17integral_constantIbLb1EES1V_EEDaS1Q_S1R_EUlS1Q_E_NS1_11comp_targetILNS1_3genE0ELNS1_11target_archE4294967295ELNS1_3gpuE0ELNS1_3repE0EEENS1_30default_config_static_selectorELNS0_4arch9wavefront6targetE1EEEvS13_: ; @_ZN7rocprim17ROCPRIM_400000_NS6detail17trampoline_kernelINS0_13select_configILj256ELj13ELNS0_17block_load_methodE3ELS4_3ELS4_3ELNS0_20block_scan_algorithmE0ELj4294967295EEENS1_25partition_config_selectorILNS1_17partition_subalgoE4EjNS0_10empty_typeEbEEZZNS1_14partition_implILS8_4ELb0ES6_15HIP_vector_typeIjLj2EENS0_17counting_iteratorIjlEEPS9_SG_NS0_5tupleIJPjSI_NS0_16reverse_iteratorISI_EEEEENSH_IJSG_SG_SG_EEES9_SI_JZNS1_25segmented_radix_sort_implINS0_14default_configELb0EPK12hip_bfloat16PSP_PKlPlN2at6native12_GLOBAL__N_18offset_tEEE10hipError_tPvRmT1_PNSt15iterator_traitsIS13_E10value_typeET2_T3_PNS14_IS19_E10value_typeET4_jRbjT5_S1F_jjP12ihipStream_tbEUljE_ZNSN_ISO_Lb0ESR_SS_SU_SV_SZ_EES10_S11_S12_S13_S17_S18_S19_S1C_S1D_jS1E_jS1F_S1F_jjS1H_bEUljE0_EEES10_S11_S12_S19_S1D_S1F_T6_T7_T9_mT8_S1H_bDpT10_ENKUlT_T0_E_clISt17integral_constantIbLb1EES1V_EEDaS1Q_S1R_EUlS1Q_E_NS1_11comp_targetILNS1_3genE0ELNS1_11target_archE4294967295ELNS1_3gpuE0ELNS1_3repE0EEENS1_30default_config_static_selectorELNS0_4arch9wavefront6targetE1EEEvS13_
; %bb.0:
	.section	.rodata,"a",@progbits
	.p2align	6, 0x0
	.amdhsa_kernel _ZN7rocprim17ROCPRIM_400000_NS6detail17trampoline_kernelINS0_13select_configILj256ELj13ELNS0_17block_load_methodE3ELS4_3ELS4_3ELNS0_20block_scan_algorithmE0ELj4294967295EEENS1_25partition_config_selectorILNS1_17partition_subalgoE4EjNS0_10empty_typeEbEEZZNS1_14partition_implILS8_4ELb0ES6_15HIP_vector_typeIjLj2EENS0_17counting_iteratorIjlEEPS9_SG_NS0_5tupleIJPjSI_NS0_16reverse_iteratorISI_EEEEENSH_IJSG_SG_SG_EEES9_SI_JZNS1_25segmented_radix_sort_implINS0_14default_configELb0EPK12hip_bfloat16PSP_PKlPlN2at6native12_GLOBAL__N_18offset_tEEE10hipError_tPvRmT1_PNSt15iterator_traitsIS13_E10value_typeET2_T3_PNS14_IS19_E10value_typeET4_jRbjT5_S1F_jjP12ihipStream_tbEUljE_ZNSN_ISO_Lb0ESR_SS_SU_SV_SZ_EES10_S11_S12_S13_S17_S18_S19_S1C_S1D_jS1E_jS1F_S1F_jjS1H_bEUljE0_EEES10_S11_S12_S19_S1D_S1F_T6_T7_T9_mT8_S1H_bDpT10_ENKUlT_T0_E_clISt17integral_constantIbLb1EES1V_EEDaS1Q_S1R_EUlS1Q_E_NS1_11comp_targetILNS1_3genE0ELNS1_11target_archE4294967295ELNS1_3gpuE0ELNS1_3repE0EEENS1_30default_config_static_selectorELNS0_4arch9wavefront6targetE1EEEvS13_
		.amdhsa_group_segment_fixed_size 0
		.amdhsa_private_segment_fixed_size 0
		.amdhsa_kernarg_size 184
		.amdhsa_user_sgpr_count 6
		.amdhsa_user_sgpr_private_segment_buffer 1
		.amdhsa_user_sgpr_dispatch_ptr 0
		.amdhsa_user_sgpr_queue_ptr 0
		.amdhsa_user_sgpr_kernarg_segment_ptr 1
		.amdhsa_user_sgpr_dispatch_id 0
		.amdhsa_user_sgpr_flat_scratch_init 0
		.amdhsa_user_sgpr_kernarg_preload_length 0
		.amdhsa_user_sgpr_kernarg_preload_offset 0
		.amdhsa_user_sgpr_private_segment_size 0
		.amdhsa_uses_dynamic_stack 0
		.amdhsa_system_sgpr_private_segment_wavefront_offset 0
		.amdhsa_system_sgpr_workgroup_id_x 1
		.amdhsa_system_sgpr_workgroup_id_y 0
		.amdhsa_system_sgpr_workgroup_id_z 0
		.amdhsa_system_sgpr_workgroup_info 0
		.amdhsa_system_vgpr_workitem_id 0
		.amdhsa_next_free_vgpr 1
		.amdhsa_next_free_sgpr 0
		.amdhsa_accum_offset 4
		.amdhsa_reserve_vcc 0
		.amdhsa_reserve_flat_scratch 0
		.amdhsa_float_round_mode_32 0
		.amdhsa_float_round_mode_16_64 0
		.amdhsa_float_denorm_mode_32 3
		.amdhsa_float_denorm_mode_16_64 3
		.amdhsa_dx10_clamp 1
		.amdhsa_ieee_mode 1
		.amdhsa_fp16_overflow 0
		.amdhsa_tg_split 0
		.amdhsa_exception_fp_ieee_invalid_op 0
		.amdhsa_exception_fp_denorm_src 0
		.amdhsa_exception_fp_ieee_div_zero 0
		.amdhsa_exception_fp_ieee_overflow 0
		.amdhsa_exception_fp_ieee_underflow 0
		.amdhsa_exception_fp_ieee_inexact 0
		.amdhsa_exception_int_div_zero 0
	.end_amdhsa_kernel
	.section	.text._ZN7rocprim17ROCPRIM_400000_NS6detail17trampoline_kernelINS0_13select_configILj256ELj13ELNS0_17block_load_methodE3ELS4_3ELS4_3ELNS0_20block_scan_algorithmE0ELj4294967295EEENS1_25partition_config_selectorILNS1_17partition_subalgoE4EjNS0_10empty_typeEbEEZZNS1_14partition_implILS8_4ELb0ES6_15HIP_vector_typeIjLj2EENS0_17counting_iteratorIjlEEPS9_SG_NS0_5tupleIJPjSI_NS0_16reverse_iteratorISI_EEEEENSH_IJSG_SG_SG_EEES9_SI_JZNS1_25segmented_radix_sort_implINS0_14default_configELb0EPK12hip_bfloat16PSP_PKlPlN2at6native12_GLOBAL__N_18offset_tEEE10hipError_tPvRmT1_PNSt15iterator_traitsIS13_E10value_typeET2_T3_PNS14_IS19_E10value_typeET4_jRbjT5_S1F_jjP12ihipStream_tbEUljE_ZNSN_ISO_Lb0ESR_SS_SU_SV_SZ_EES10_S11_S12_S13_S17_S18_S19_S1C_S1D_jS1E_jS1F_S1F_jjS1H_bEUljE0_EEES10_S11_S12_S19_S1D_S1F_T6_T7_T9_mT8_S1H_bDpT10_ENKUlT_T0_E_clISt17integral_constantIbLb1EES1V_EEDaS1Q_S1R_EUlS1Q_E_NS1_11comp_targetILNS1_3genE0ELNS1_11target_archE4294967295ELNS1_3gpuE0ELNS1_3repE0EEENS1_30default_config_static_selectorELNS0_4arch9wavefront6targetE1EEEvS13_,"axG",@progbits,_ZN7rocprim17ROCPRIM_400000_NS6detail17trampoline_kernelINS0_13select_configILj256ELj13ELNS0_17block_load_methodE3ELS4_3ELS4_3ELNS0_20block_scan_algorithmE0ELj4294967295EEENS1_25partition_config_selectorILNS1_17partition_subalgoE4EjNS0_10empty_typeEbEEZZNS1_14partition_implILS8_4ELb0ES6_15HIP_vector_typeIjLj2EENS0_17counting_iteratorIjlEEPS9_SG_NS0_5tupleIJPjSI_NS0_16reverse_iteratorISI_EEEEENSH_IJSG_SG_SG_EEES9_SI_JZNS1_25segmented_radix_sort_implINS0_14default_configELb0EPK12hip_bfloat16PSP_PKlPlN2at6native12_GLOBAL__N_18offset_tEEE10hipError_tPvRmT1_PNSt15iterator_traitsIS13_E10value_typeET2_T3_PNS14_IS19_E10value_typeET4_jRbjT5_S1F_jjP12ihipStream_tbEUljE_ZNSN_ISO_Lb0ESR_SS_SU_SV_SZ_EES10_S11_S12_S13_S17_S18_S19_S1C_S1D_jS1E_jS1F_S1F_jjS1H_bEUljE0_EEES10_S11_S12_S19_S1D_S1F_T6_T7_T9_mT8_S1H_bDpT10_ENKUlT_T0_E_clISt17integral_constantIbLb1EES1V_EEDaS1Q_S1R_EUlS1Q_E_NS1_11comp_targetILNS1_3genE0ELNS1_11target_archE4294967295ELNS1_3gpuE0ELNS1_3repE0EEENS1_30default_config_static_selectorELNS0_4arch9wavefront6targetE1EEEvS13_,comdat
.Lfunc_end1991:
	.size	_ZN7rocprim17ROCPRIM_400000_NS6detail17trampoline_kernelINS0_13select_configILj256ELj13ELNS0_17block_load_methodE3ELS4_3ELS4_3ELNS0_20block_scan_algorithmE0ELj4294967295EEENS1_25partition_config_selectorILNS1_17partition_subalgoE4EjNS0_10empty_typeEbEEZZNS1_14partition_implILS8_4ELb0ES6_15HIP_vector_typeIjLj2EENS0_17counting_iteratorIjlEEPS9_SG_NS0_5tupleIJPjSI_NS0_16reverse_iteratorISI_EEEEENSH_IJSG_SG_SG_EEES9_SI_JZNS1_25segmented_radix_sort_implINS0_14default_configELb0EPK12hip_bfloat16PSP_PKlPlN2at6native12_GLOBAL__N_18offset_tEEE10hipError_tPvRmT1_PNSt15iterator_traitsIS13_E10value_typeET2_T3_PNS14_IS19_E10value_typeET4_jRbjT5_S1F_jjP12ihipStream_tbEUljE_ZNSN_ISO_Lb0ESR_SS_SU_SV_SZ_EES10_S11_S12_S13_S17_S18_S19_S1C_S1D_jS1E_jS1F_S1F_jjS1H_bEUljE0_EEES10_S11_S12_S19_S1D_S1F_T6_T7_T9_mT8_S1H_bDpT10_ENKUlT_T0_E_clISt17integral_constantIbLb1EES1V_EEDaS1Q_S1R_EUlS1Q_E_NS1_11comp_targetILNS1_3genE0ELNS1_11target_archE4294967295ELNS1_3gpuE0ELNS1_3repE0EEENS1_30default_config_static_selectorELNS0_4arch9wavefront6targetE1EEEvS13_, .Lfunc_end1991-_ZN7rocprim17ROCPRIM_400000_NS6detail17trampoline_kernelINS0_13select_configILj256ELj13ELNS0_17block_load_methodE3ELS4_3ELS4_3ELNS0_20block_scan_algorithmE0ELj4294967295EEENS1_25partition_config_selectorILNS1_17partition_subalgoE4EjNS0_10empty_typeEbEEZZNS1_14partition_implILS8_4ELb0ES6_15HIP_vector_typeIjLj2EENS0_17counting_iteratorIjlEEPS9_SG_NS0_5tupleIJPjSI_NS0_16reverse_iteratorISI_EEEEENSH_IJSG_SG_SG_EEES9_SI_JZNS1_25segmented_radix_sort_implINS0_14default_configELb0EPK12hip_bfloat16PSP_PKlPlN2at6native12_GLOBAL__N_18offset_tEEE10hipError_tPvRmT1_PNSt15iterator_traitsIS13_E10value_typeET2_T3_PNS14_IS19_E10value_typeET4_jRbjT5_S1F_jjP12ihipStream_tbEUljE_ZNSN_ISO_Lb0ESR_SS_SU_SV_SZ_EES10_S11_S12_S13_S17_S18_S19_S1C_S1D_jS1E_jS1F_S1F_jjS1H_bEUljE0_EEES10_S11_S12_S19_S1D_S1F_T6_T7_T9_mT8_S1H_bDpT10_ENKUlT_T0_E_clISt17integral_constantIbLb1EES1V_EEDaS1Q_S1R_EUlS1Q_E_NS1_11comp_targetILNS1_3genE0ELNS1_11target_archE4294967295ELNS1_3gpuE0ELNS1_3repE0EEENS1_30default_config_static_selectorELNS0_4arch9wavefront6targetE1EEEvS13_
                                        ; -- End function
	.section	.AMDGPU.csdata,"",@progbits
; Kernel info:
; codeLenInByte = 0
; NumSgprs: 4
; NumVgprs: 0
; NumAgprs: 0
; TotalNumVgprs: 0
; ScratchSize: 0
; MemoryBound: 0
; FloatMode: 240
; IeeeMode: 1
; LDSByteSize: 0 bytes/workgroup (compile time only)
; SGPRBlocks: 0
; VGPRBlocks: 0
; NumSGPRsForWavesPerEU: 4
; NumVGPRsForWavesPerEU: 1
; AccumOffset: 4
; Occupancy: 8
; WaveLimiterHint : 0
; COMPUTE_PGM_RSRC2:SCRATCH_EN: 0
; COMPUTE_PGM_RSRC2:USER_SGPR: 6
; COMPUTE_PGM_RSRC2:TRAP_HANDLER: 0
; COMPUTE_PGM_RSRC2:TGID_X_EN: 1
; COMPUTE_PGM_RSRC2:TGID_Y_EN: 0
; COMPUTE_PGM_RSRC2:TGID_Z_EN: 0
; COMPUTE_PGM_RSRC2:TIDIG_COMP_CNT: 0
; COMPUTE_PGM_RSRC3_GFX90A:ACCUM_OFFSET: 0
; COMPUTE_PGM_RSRC3_GFX90A:TG_SPLIT: 0
	.section	.text._ZN7rocprim17ROCPRIM_400000_NS6detail17trampoline_kernelINS0_13select_configILj256ELj13ELNS0_17block_load_methodE3ELS4_3ELS4_3ELNS0_20block_scan_algorithmE0ELj4294967295EEENS1_25partition_config_selectorILNS1_17partition_subalgoE4EjNS0_10empty_typeEbEEZZNS1_14partition_implILS8_4ELb0ES6_15HIP_vector_typeIjLj2EENS0_17counting_iteratorIjlEEPS9_SG_NS0_5tupleIJPjSI_NS0_16reverse_iteratorISI_EEEEENSH_IJSG_SG_SG_EEES9_SI_JZNS1_25segmented_radix_sort_implINS0_14default_configELb0EPK12hip_bfloat16PSP_PKlPlN2at6native12_GLOBAL__N_18offset_tEEE10hipError_tPvRmT1_PNSt15iterator_traitsIS13_E10value_typeET2_T3_PNS14_IS19_E10value_typeET4_jRbjT5_S1F_jjP12ihipStream_tbEUljE_ZNSN_ISO_Lb0ESR_SS_SU_SV_SZ_EES10_S11_S12_S13_S17_S18_S19_S1C_S1D_jS1E_jS1F_S1F_jjS1H_bEUljE0_EEES10_S11_S12_S19_S1D_S1F_T6_T7_T9_mT8_S1H_bDpT10_ENKUlT_T0_E_clISt17integral_constantIbLb1EES1V_EEDaS1Q_S1R_EUlS1Q_E_NS1_11comp_targetILNS1_3genE5ELNS1_11target_archE942ELNS1_3gpuE9ELNS1_3repE0EEENS1_30default_config_static_selectorELNS0_4arch9wavefront6targetE1EEEvS13_,"axG",@progbits,_ZN7rocprim17ROCPRIM_400000_NS6detail17trampoline_kernelINS0_13select_configILj256ELj13ELNS0_17block_load_methodE3ELS4_3ELS4_3ELNS0_20block_scan_algorithmE0ELj4294967295EEENS1_25partition_config_selectorILNS1_17partition_subalgoE4EjNS0_10empty_typeEbEEZZNS1_14partition_implILS8_4ELb0ES6_15HIP_vector_typeIjLj2EENS0_17counting_iteratorIjlEEPS9_SG_NS0_5tupleIJPjSI_NS0_16reverse_iteratorISI_EEEEENSH_IJSG_SG_SG_EEES9_SI_JZNS1_25segmented_radix_sort_implINS0_14default_configELb0EPK12hip_bfloat16PSP_PKlPlN2at6native12_GLOBAL__N_18offset_tEEE10hipError_tPvRmT1_PNSt15iterator_traitsIS13_E10value_typeET2_T3_PNS14_IS19_E10value_typeET4_jRbjT5_S1F_jjP12ihipStream_tbEUljE_ZNSN_ISO_Lb0ESR_SS_SU_SV_SZ_EES10_S11_S12_S13_S17_S18_S19_S1C_S1D_jS1E_jS1F_S1F_jjS1H_bEUljE0_EEES10_S11_S12_S19_S1D_S1F_T6_T7_T9_mT8_S1H_bDpT10_ENKUlT_T0_E_clISt17integral_constantIbLb1EES1V_EEDaS1Q_S1R_EUlS1Q_E_NS1_11comp_targetILNS1_3genE5ELNS1_11target_archE942ELNS1_3gpuE9ELNS1_3repE0EEENS1_30default_config_static_selectorELNS0_4arch9wavefront6targetE1EEEvS13_,comdat
	.globl	_ZN7rocprim17ROCPRIM_400000_NS6detail17trampoline_kernelINS0_13select_configILj256ELj13ELNS0_17block_load_methodE3ELS4_3ELS4_3ELNS0_20block_scan_algorithmE0ELj4294967295EEENS1_25partition_config_selectorILNS1_17partition_subalgoE4EjNS0_10empty_typeEbEEZZNS1_14partition_implILS8_4ELb0ES6_15HIP_vector_typeIjLj2EENS0_17counting_iteratorIjlEEPS9_SG_NS0_5tupleIJPjSI_NS0_16reverse_iteratorISI_EEEEENSH_IJSG_SG_SG_EEES9_SI_JZNS1_25segmented_radix_sort_implINS0_14default_configELb0EPK12hip_bfloat16PSP_PKlPlN2at6native12_GLOBAL__N_18offset_tEEE10hipError_tPvRmT1_PNSt15iterator_traitsIS13_E10value_typeET2_T3_PNS14_IS19_E10value_typeET4_jRbjT5_S1F_jjP12ihipStream_tbEUljE_ZNSN_ISO_Lb0ESR_SS_SU_SV_SZ_EES10_S11_S12_S13_S17_S18_S19_S1C_S1D_jS1E_jS1F_S1F_jjS1H_bEUljE0_EEES10_S11_S12_S19_S1D_S1F_T6_T7_T9_mT8_S1H_bDpT10_ENKUlT_T0_E_clISt17integral_constantIbLb1EES1V_EEDaS1Q_S1R_EUlS1Q_E_NS1_11comp_targetILNS1_3genE5ELNS1_11target_archE942ELNS1_3gpuE9ELNS1_3repE0EEENS1_30default_config_static_selectorELNS0_4arch9wavefront6targetE1EEEvS13_ ; -- Begin function _ZN7rocprim17ROCPRIM_400000_NS6detail17trampoline_kernelINS0_13select_configILj256ELj13ELNS0_17block_load_methodE3ELS4_3ELS4_3ELNS0_20block_scan_algorithmE0ELj4294967295EEENS1_25partition_config_selectorILNS1_17partition_subalgoE4EjNS0_10empty_typeEbEEZZNS1_14partition_implILS8_4ELb0ES6_15HIP_vector_typeIjLj2EENS0_17counting_iteratorIjlEEPS9_SG_NS0_5tupleIJPjSI_NS0_16reverse_iteratorISI_EEEEENSH_IJSG_SG_SG_EEES9_SI_JZNS1_25segmented_radix_sort_implINS0_14default_configELb0EPK12hip_bfloat16PSP_PKlPlN2at6native12_GLOBAL__N_18offset_tEEE10hipError_tPvRmT1_PNSt15iterator_traitsIS13_E10value_typeET2_T3_PNS14_IS19_E10value_typeET4_jRbjT5_S1F_jjP12ihipStream_tbEUljE_ZNSN_ISO_Lb0ESR_SS_SU_SV_SZ_EES10_S11_S12_S13_S17_S18_S19_S1C_S1D_jS1E_jS1F_S1F_jjS1H_bEUljE0_EEES10_S11_S12_S19_S1D_S1F_T6_T7_T9_mT8_S1H_bDpT10_ENKUlT_T0_E_clISt17integral_constantIbLb1EES1V_EEDaS1Q_S1R_EUlS1Q_E_NS1_11comp_targetILNS1_3genE5ELNS1_11target_archE942ELNS1_3gpuE9ELNS1_3repE0EEENS1_30default_config_static_selectorELNS0_4arch9wavefront6targetE1EEEvS13_
	.p2align	8
	.type	_ZN7rocprim17ROCPRIM_400000_NS6detail17trampoline_kernelINS0_13select_configILj256ELj13ELNS0_17block_load_methodE3ELS4_3ELS4_3ELNS0_20block_scan_algorithmE0ELj4294967295EEENS1_25partition_config_selectorILNS1_17partition_subalgoE4EjNS0_10empty_typeEbEEZZNS1_14partition_implILS8_4ELb0ES6_15HIP_vector_typeIjLj2EENS0_17counting_iteratorIjlEEPS9_SG_NS0_5tupleIJPjSI_NS0_16reverse_iteratorISI_EEEEENSH_IJSG_SG_SG_EEES9_SI_JZNS1_25segmented_radix_sort_implINS0_14default_configELb0EPK12hip_bfloat16PSP_PKlPlN2at6native12_GLOBAL__N_18offset_tEEE10hipError_tPvRmT1_PNSt15iterator_traitsIS13_E10value_typeET2_T3_PNS14_IS19_E10value_typeET4_jRbjT5_S1F_jjP12ihipStream_tbEUljE_ZNSN_ISO_Lb0ESR_SS_SU_SV_SZ_EES10_S11_S12_S13_S17_S18_S19_S1C_S1D_jS1E_jS1F_S1F_jjS1H_bEUljE0_EEES10_S11_S12_S19_S1D_S1F_T6_T7_T9_mT8_S1H_bDpT10_ENKUlT_T0_E_clISt17integral_constantIbLb1EES1V_EEDaS1Q_S1R_EUlS1Q_E_NS1_11comp_targetILNS1_3genE5ELNS1_11target_archE942ELNS1_3gpuE9ELNS1_3repE0EEENS1_30default_config_static_selectorELNS0_4arch9wavefront6targetE1EEEvS13_,@function
_ZN7rocprim17ROCPRIM_400000_NS6detail17trampoline_kernelINS0_13select_configILj256ELj13ELNS0_17block_load_methodE3ELS4_3ELS4_3ELNS0_20block_scan_algorithmE0ELj4294967295EEENS1_25partition_config_selectorILNS1_17partition_subalgoE4EjNS0_10empty_typeEbEEZZNS1_14partition_implILS8_4ELb0ES6_15HIP_vector_typeIjLj2EENS0_17counting_iteratorIjlEEPS9_SG_NS0_5tupleIJPjSI_NS0_16reverse_iteratorISI_EEEEENSH_IJSG_SG_SG_EEES9_SI_JZNS1_25segmented_radix_sort_implINS0_14default_configELb0EPK12hip_bfloat16PSP_PKlPlN2at6native12_GLOBAL__N_18offset_tEEE10hipError_tPvRmT1_PNSt15iterator_traitsIS13_E10value_typeET2_T3_PNS14_IS19_E10value_typeET4_jRbjT5_S1F_jjP12ihipStream_tbEUljE_ZNSN_ISO_Lb0ESR_SS_SU_SV_SZ_EES10_S11_S12_S13_S17_S18_S19_S1C_S1D_jS1E_jS1F_S1F_jjS1H_bEUljE0_EEES10_S11_S12_S19_S1D_S1F_T6_T7_T9_mT8_S1H_bDpT10_ENKUlT_T0_E_clISt17integral_constantIbLb1EES1V_EEDaS1Q_S1R_EUlS1Q_E_NS1_11comp_targetILNS1_3genE5ELNS1_11target_archE942ELNS1_3gpuE9ELNS1_3repE0EEENS1_30default_config_static_selectorELNS0_4arch9wavefront6targetE1EEEvS13_: ; @_ZN7rocprim17ROCPRIM_400000_NS6detail17trampoline_kernelINS0_13select_configILj256ELj13ELNS0_17block_load_methodE3ELS4_3ELS4_3ELNS0_20block_scan_algorithmE0ELj4294967295EEENS1_25partition_config_selectorILNS1_17partition_subalgoE4EjNS0_10empty_typeEbEEZZNS1_14partition_implILS8_4ELb0ES6_15HIP_vector_typeIjLj2EENS0_17counting_iteratorIjlEEPS9_SG_NS0_5tupleIJPjSI_NS0_16reverse_iteratorISI_EEEEENSH_IJSG_SG_SG_EEES9_SI_JZNS1_25segmented_radix_sort_implINS0_14default_configELb0EPK12hip_bfloat16PSP_PKlPlN2at6native12_GLOBAL__N_18offset_tEEE10hipError_tPvRmT1_PNSt15iterator_traitsIS13_E10value_typeET2_T3_PNS14_IS19_E10value_typeET4_jRbjT5_S1F_jjP12ihipStream_tbEUljE_ZNSN_ISO_Lb0ESR_SS_SU_SV_SZ_EES10_S11_S12_S13_S17_S18_S19_S1C_S1D_jS1E_jS1F_S1F_jjS1H_bEUljE0_EEES10_S11_S12_S19_S1D_S1F_T6_T7_T9_mT8_S1H_bDpT10_ENKUlT_T0_E_clISt17integral_constantIbLb1EES1V_EEDaS1Q_S1R_EUlS1Q_E_NS1_11comp_targetILNS1_3genE5ELNS1_11target_archE942ELNS1_3gpuE9ELNS1_3repE0EEENS1_30default_config_static_selectorELNS0_4arch9wavefront6targetE1EEEvS13_
; %bb.0:
	.section	.rodata,"a",@progbits
	.p2align	6, 0x0
	.amdhsa_kernel _ZN7rocprim17ROCPRIM_400000_NS6detail17trampoline_kernelINS0_13select_configILj256ELj13ELNS0_17block_load_methodE3ELS4_3ELS4_3ELNS0_20block_scan_algorithmE0ELj4294967295EEENS1_25partition_config_selectorILNS1_17partition_subalgoE4EjNS0_10empty_typeEbEEZZNS1_14partition_implILS8_4ELb0ES6_15HIP_vector_typeIjLj2EENS0_17counting_iteratorIjlEEPS9_SG_NS0_5tupleIJPjSI_NS0_16reverse_iteratorISI_EEEEENSH_IJSG_SG_SG_EEES9_SI_JZNS1_25segmented_radix_sort_implINS0_14default_configELb0EPK12hip_bfloat16PSP_PKlPlN2at6native12_GLOBAL__N_18offset_tEEE10hipError_tPvRmT1_PNSt15iterator_traitsIS13_E10value_typeET2_T3_PNS14_IS19_E10value_typeET4_jRbjT5_S1F_jjP12ihipStream_tbEUljE_ZNSN_ISO_Lb0ESR_SS_SU_SV_SZ_EES10_S11_S12_S13_S17_S18_S19_S1C_S1D_jS1E_jS1F_S1F_jjS1H_bEUljE0_EEES10_S11_S12_S19_S1D_S1F_T6_T7_T9_mT8_S1H_bDpT10_ENKUlT_T0_E_clISt17integral_constantIbLb1EES1V_EEDaS1Q_S1R_EUlS1Q_E_NS1_11comp_targetILNS1_3genE5ELNS1_11target_archE942ELNS1_3gpuE9ELNS1_3repE0EEENS1_30default_config_static_selectorELNS0_4arch9wavefront6targetE1EEEvS13_
		.amdhsa_group_segment_fixed_size 0
		.amdhsa_private_segment_fixed_size 0
		.amdhsa_kernarg_size 184
		.amdhsa_user_sgpr_count 6
		.amdhsa_user_sgpr_private_segment_buffer 1
		.amdhsa_user_sgpr_dispatch_ptr 0
		.amdhsa_user_sgpr_queue_ptr 0
		.amdhsa_user_sgpr_kernarg_segment_ptr 1
		.amdhsa_user_sgpr_dispatch_id 0
		.amdhsa_user_sgpr_flat_scratch_init 0
		.amdhsa_user_sgpr_kernarg_preload_length 0
		.amdhsa_user_sgpr_kernarg_preload_offset 0
		.amdhsa_user_sgpr_private_segment_size 0
		.amdhsa_uses_dynamic_stack 0
		.amdhsa_system_sgpr_private_segment_wavefront_offset 0
		.amdhsa_system_sgpr_workgroup_id_x 1
		.amdhsa_system_sgpr_workgroup_id_y 0
		.amdhsa_system_sgpr_workgroup_id_z 0
		.amdhsa_system_sgpr_workgroup_info 0
		.amdhsa_system_vgpr_workitem_id 0
		.amdhsa_next_free_vgpr 1
		.amdhsa_next_free_sgpr 0
		.amdhsa_accum_offset 4
		.amdhsa_reserve_vcc 0
		.amdhsa_reserve_flat_scratch 0
		.amdhsa_float_round_mode_32 0
		.amdhsa_float_round_mode_16_64 0
		.amdhsa_float_denorm_mode_32 3
		.amdhsa_float_denorm_mode_16_64 3
		.amdhsa_dx10_clamp 1
		.amdhsa_ieee_mode 1
		.amdhsa_fp16_overflow 0
		.amdhsa_tg_split 0
		.amdhsa_exception_fp_ieee_invalid_op 0
		.amdhsa_exception_fp_denorm_src 0
		.amdhsa_exception_fp_ieee_div_zero 0
		.amdhsa_exception_fp_ieee_overflow 0
		.amdhsa_exception_fp_ieee_underflow 0
		.amdhsa_exception_fp_ieee_inexact 0
		.amdhsa_exception_int_div_zero 0
	.end_amdhsa_kernel
	.section	.text._ZN7rocprim17ROCPRIM_400000_NS6detail17trampoline_kernelINS0_13select_configILj256ELj13ELNS0_17block_load_methodE3ELS4_3ELS4_3ELNS0_20block_scan_algorithmE0ELj4294967295EEENS1_25partition_config_selectorILNS1_17partition_subalgoE4EjNS0_10empty_typeEbEEZZNS1_14partition_implILS8_4ELb0ES6_15HIP_vector_typeIjLj2EENS0_17counting_iteratorIjlEEPS9_SG_NS0_5tupleIJPjSI_NS0_16reverse_iteratorISI_EEEEENSH_IJSG_SG_SG_EEES9_SI_JZNS1_25segmented_radix_sort_implINS0_14default_configELb0EPK12hip_bfloat16PSP_PKlPlN2at6native12_GLOBAL__N_18offset_tEEE10hipError_tPvRmT1_PNSt15iterator_traitsIS13_E10value_typeET2_T3_PNS14_IS19_E10value_typeET4_jRbjT5_S1F_jjP12ihipStream_tbEUljE_ZNSN_ISO_Lb0ESR_SS_SU_SV_SZ_EES10_S11_S12_S13_S17_S18_S19_S1C_S1D_jS1E_jS1F_S1F_jjS1H_bEUljE0_EEES10_S11_S12_S19_S1D_S1F_T6_T7_T9_mT8_S1H_bDpT10_ENKUlT_T0_E_clISt17integral_constantIbLb1EES1V_EEDaS1Q_S1R_EUlS1Q_E_NS1_11comp_targetILNS1_3genE5ELNS1_11target_archE942ELNS1_3gpuE9ELNS1_3repE0EEENS1_30default_config_static_selectorELNS0_4arch9wavefront6targetE1EEEvS13_,"axG",@progbits,_ZN7rocprim17ROCPRIM_400000_NS6detail17trampoline_kernelINS0_13select_configILj256ELj13ELNS0_17block_load_methodE3ELS4_3ELS4_3ELNS0_20block_scan_algorithmE0ELj4294967295EEENS1_25partition_config_selectorILNS1_17partition_subalgoE4EjNS0_10empty_typeEbEEZZNS1_14partition_implILS8_4ELb0ES6_15HIP_vector_typeIjLj2EENS0_17counting_iteratorIjlEEPS9_SG_NS0_5tupleIJPjSI_NS0_16reverse_iteratorISI_EEEEENSH_IJSG_SG_SG_EEES9_SI_JZNS1_25segmented_radix_sort_implINS0_14default_configELb0EPK12hip_bfloat16PSP_PKlPlN2at6native12_GLOBAL__N_18offset_tEEE10hipError_tPvRmT1_PNSt15iterator_traitsIS13_E10value_typeET2_T3_PNS14_IS19_E10value_typeET4_jRbjT5_S1F_jjP12ihipStream_tbEUljE_ZNSN_ISO_Lb0ESR_SS_SU_SV_SZ_EES10_S11_S12_S13_S17_S18_S19_S1C_S1D_jS1E_jS1F_S1F_jjS1H_bEUljE0_EEES10_S11_S12_S19_S1D_S1F_T6_T7_T9_mT8_S1H_bDpT10_ENKUlT_T0_E_clISt17integral_constantIbLb1EES1V_EEDaS1Q_S1R_EUlS1Q_E_NS1_11comp_targetILNS1_3genE5ELNS1_11target_archE942ELNS1_3gpuE9ELNS1_3repE0EEENS1_30default_config_static_selectorELNS0_4arch9wavefront6targetE1EEEvS13_,comdat
.Lfunc_end1992:
	.size	_ZN7rocprim17ROCPRIM_400000_NS6detail17trampoline_kernelINS0_13select_configILj256ELj13ELNS0_17block_load_methodE3ELS4_3ELS4_3ELNS0_20block_scan_algorithmE0ELj4294967295EEENS1_25partition_config_selectorILNS1_17partition_subalgoE4EjNS0_10empty_typeEbEEZZNS1_14partition_implILS8_4ELb0ES6_15HIP_vector_typeIjLj2EENS0_17counting_iteratorIjlEEPS9_SG_NS0_5tupleIJPjSI_NS0_16reverse_iteratorISI_EEEEENSH_IJSG_SG_SG_EEES9_SI_JZNS1_25segmented_radix_sort_implINS0_14default_configELb0EPK12hip_bfloat16PSP_PKlPlN2at6native12_GLOBAL__N_18offset_tEEE10hipError_tPvRmT1_PNSt15iterator_traitsIS13_E10value_typeET2_T3_PNS14_IS19_E10value_typeET4_jRbjT5_S1F_jjP12ihipStream_tbEUljE_ZNSN_ISO_Lb0ESR_SS_SU_SV_SZ_EES10_S11_S12_S13_S17_S18_S19_S1C_S1D_jS1E_jS1F_S1F_jjS1H_bEUljE0_EEES10_S11_S12_S19_S1D_S1F_T6_T7_T9_mT8_S1H_bDpT10_ENKUlT_T0_E_clISt17integral_constantIbLb1EES1V_EEDaS1Q_S1R_EUlS1Q_E_NS1_11comp_targetILNS1_3genE5ELNS1_11target_archE942ELNS1_3gpuE9ELNS1_3repE0EEENS1_30default_config_static_selectorELNS0_4arch9wavefront6targetE1EEEvS13_, .Lfunc_end1992-_ZN7rocprim17ROCPRIM_400000_NS6detail17trampoline_kernelINS0_13select_configILj256ELj13ELNS0_17block_load_methodE3ELS4_3ELS4_3ELNS0_20block_scan_algorithmE0ELj4294967295EEENS1_25partition_config_selectorILNS1_17partition_subalgoE4EjNS0_10empty_typeEbEEZZNS1_14partition_implILS8_4ELb0ES6_15HIP_vector_typeIjLj2EENS0_17counting_iteratorIjlEEPS9_SG_NS0_5tupleIJPjSI_NS0_16reverse_iteratorISI_EEEEENSH_IJSG_SG_SG_EEES9_SI_JZNS1_25segmented_radix_sort_implINS0_14default_configELb0EPK12hip_bfloat16PSP_PKlPlN2at6native12_GLOBAL__N_18offset_tEEE10hipError_tPvRmT1_PNSt15iterator_traitsIS13_E10value_typeET2_T3_PNS14_IS19_E10value_typeET4_jRbjT5_S1F_jjP12ihipStream_tbEUljE_ZNSN_ISO_Lb0ESR_SS_SU_SV_SZ_EES10_S11_S12_S13_S17_S18_S19_S1C_S1D_jS1E_jS1F_S1F_jjS1H_bEUljE0_EEES10_S11_S12_S19_S1D_S1F_T6_T7_T9_mT8_S1H_bDpT10_ENKUlT_T0_E_clISt17integral_constantIbLb1EES1V_EEDaS1Q_S1R_EUlS1Q_E_NS1_11comp_targetILNS1_3genE5ELNS1_11target_archE942ELNS1_3gpuE9ELNS1_3repE0EEENS1_30default_config_static_selectorELNS0_4arch9wavefront6targetE1EEEvS13_
                                        ; -- End function
	.section	.AMDGPU.csdata,"",@progbits
; Kernel info:
; codeLenInByte = 0
; NumSgprs: 4
; NumVgprs: 0
; NumAgprs: 0
; TotalNumVgprs: 0
; ScratchSize: 0
; MemoryBound: 0
; FloatMode: 240
; IeeeMode: 1
; LDSByteSize: 0 bytes/workgroup (compile time only)
; SGPRBlocks: 0
; VGPRBlocks: 0
; NumSGPRsForWavesPerEU: 4
; NumVGPRsForWavesPerEU: 1
; AccumOffset: 4
; Occupancy: 8
; WaveLimiterHint : 0
; COMPUTE_PGM_RSRC2:SCRATCH_EN: 0
; COMPUTE_PGM_RSRC2:USER_SGPR: 6
; COMPUTE_PGM_RSRC2:TRAP_HANDLER: 0
; COMPUTE_PGM_RSRC2:TGID_X_EN: 1
; COMPUTE_PGM_RSRC2:TGID_Y_EN: 0
; COMPUTE_PGM_RSRC2:TGID_Z_EN: 0
; COMPUTE_PGM_RSRC2:TIDIG_COMP_CNT: 0
; COMPUTE_PGM_RSRC3_GFX90A:ACCUM_OFFSET: 0
; COMPUTE_PGM_RSRC3_GFX90A:TG_SPLIT: 0
	.section	.text._ZN7rocprim17ROCPRIM_400000_NS6detail17trampoline_kernelINS0_13select_configILj256ELj13ELNS0_17block_load_methodE3ELS4_3ELS4_3ELNS0_20block_scan_algorithmE0ELj4294967295EEENS1_25partition_config_selectorILNS1_17partition_subalgoE4EjNS0_10empty_typeEbEEZZNS1_14partition_implILS8_4ELb0ES6_15HIP_vector_typeIjLj2EENS0_17counting_iteratorIjlEEPS9_SG_NS0_5tupleIJPjSI_NS0_16reverse_iteratorISI_EEEEENSH_IJSG_SG_SG_EEES9_SI_JZNS1_25segmented_radix_sort_implINS0_14default_configELb0EPK12hip_bfloat16PSP_PKlPlN2at6native12_GLOBAL__N_18offset_tEEE10hipError_tPvRmT1_PNSt15iterator_traitsIS13_E10value_typeET2_T3_PNS14_IS19_E10value_typeET4_jRbjT5_S1F_jjP12ihipStream_tbEUljE_ZNSN_ISO_Lb0ESR_SS_SU_SV_SZ_EES10_S11_S12_S13_S17_S18_S19_S1C_S1D_jS1E_jS1F_S1F_jjS1H_bEUljE0_EEES10_S11_S12_S19_S1D_S1F_T6_T7_T9_mT8_S1H_bDpT10_ENKUlT_T0_E_clISt17integral_constantIbLb1EES1V_EEDaS1Q_S1R_EUlS1Q_E_NS1_11comp_targetILNS1_3genE4ELNS1_11target_archE910ELNS1_3gpuE8ELNS1_3repE0EEENS1_30default_config_static_selectorELNS0_4arch9wavefront6targetE1EEEvS13_,"axG",@progbits,_ZN7rocprim17ROCPRIM_400000_NS6detail17trampoline_kernelINS0_13select_configILj256ELj13ELNS0_17block_load_methodE3ELS4_3ELS4_3ELNS0_20block_scan_algorithmE0ELj4294967295EEENS1_25partition_config_selectorILNS1_17partition_subalgoE4EjNS0_10empty_typeEbEEZZNS1_14partition_implILS8_4ELb0ES6_15HIP_vector_typeIjLj2EENS0_17counting_iteratorIjlEEPS9_SG_NS0_5tupleIJPjSI_NS0_16reverse_iteratorISI_EEEEENSH_IJSG_SG_SG_EEES9_SI_JZNS1_25segmented_radix_sort_implINS0_14default_configELb0EPK12hip_bfloat16PSP_PKlPlN2at6native12_GLOBAL__N_18offset_tEEE10hipError_tPvRmT1_PNSt15iterator_traitsIS13_E10value_typeET2_T3_PNS14_IS19_E10value_typeET4_jRbjT5_S1F_jjP12ihipStream_tbEUljE_ZNSN_ISO_Lb0ESR_SS_SU_SV_SZ_EES10_S11_S12_S13_S17_S18_S19_S1C_S1D_jS1E_jS1F_S1F_jjS1H_bEUljE0_EEES10_S11_S12_S19_S1D_S1F_T6_T7_T9_mT8_S1H_bDpT10_ENKUlT_T0_E_clISt17integral_constantIbLb1EES1V_EEDaS1Q_S1R_EUlS1Q_E_NS1_11comp_targetILNS1_3genE4ELNS1_11target_archE910ELNS1_3gpuE8ELNS1_3repE0EEENS1_30default_config_static_selectorELNS0_4arch9wavefront6targetE1EEEvS13_,comdat
	.globl	_ZN7rocprim17ROCPRIM_400000_NS6detail17trampoline_kernelINS0_13select_configILj256ELj13ELNS0_17block_load_methodE3ELS4_3ELS4_3ELNS0_20block_scan_algorithmE0ELj4294967295EEENS1_25partition_config_selectorILNS1_17partition_subalgoE4EjNS0_10empty_typeEbEEZZNS1_14partition_implILS8_4ELb0ES6_15HIP_vector_typeIjLj2EENS0_17counting_iteratorIjlEEPS9_SG_NS0_5tupleIJPjSI_NS0_16reverse_iteratorISI_EEEEENSH_IJSG_SG_SG_EEES9_SI_JZNS1_25segmented_radix_sort_implINS0_14default_configELb0EPK12hip_bfloat16PSP_PKlPlN2at6native12_GLOBAL__N_18offset_tEEE10hipError_tPvRmT1_PNSt15iterator_traitsIS13_E10value_typeET2_T3_PNS14_IS19_E10value_typeET4_jRbjT5_S1F_jjP12ihipStream_tbEUljE_ZNSN_ISO_Lb0ESR_SS_SU_SV_SZ_EES10_S11_S12_S13_S17_S18_S19_S1C_S1D_jS1E_jS1F_S1F_jjS1H_bEUljE0_EEES10_S11_S12_S19_S1D_S1F_T6_T7_T9_mT8_S1H_bDpT10_ENKUlT_T0_E_clISt17integral_constantIbLb1EES1V_EEDaS1Q_S1R_EUlS1Q_E_NS1_11comp_targetILNS1_3genE4ELNS1_11target_archE910ELNS1_3gpuE8ELNS1_3repE0EEENS1_30default_config_static_selectorELNS0_4arch9wavefront6targetE1EEEvS13_ ; -- Begin function _ZN7rocprim17ROCPRIM_400000_NS6detail17trampoline_kernelINS0_13select_configILj256ELj13ELNS0_17block_load_methodE3ELS4_3ELS4_3ELNS0_20block_scan_algorithmE0ELj4294967295EEENS1_25partition_config_selectorILNS1_17partition_subalgoE4EjNS0_10empty_typeEbEEZZNS1_14partition_implILS8_4ELb0ES6_15HIP_vector_typeIjLj2EENS0_17counting_iteratorIjlEEPS9_SG_NS0_5tupleIJPjSI_NS0_16reverse_iteratorISI_EEEEENSH_IJSG_SG_SG_EEES9_SI_JZNS1_25segmented_radix_sort_implINS0_14default_configELb0EPK12hip_bfloat16PSP_PKlPlN2at6native12_GLOBAL__N_18offset_tEEE10hipError_tPvRmT1_PNSt15iterator_traitsIS13_E10value_typeET2_T3_PNS14_IS19_E10value_typeET4_jRbjT5_S1F_jjP12ihipStream_tbEUljE_ZNSN_ISO_Lb0ESR_SS_SU_SV_SZ_EES10_S11_S12_S13_S17_S18_S19_S1C_S1D_jS1E_jS1F_S1F_jjS1H_bEUljE0_EEES10_S11_S12_S19_S1D_S1F_T6_T7_T9_mT8_S1H_bDpT10_ENKUlT_T0_E_clISt17integral_constantIbLb1EES1V_EEDaS1Q_S1R_EUlS1Q_E_NS1_11comp_targetILNS1_3genE4ELNS1_11target_archE910ELNS1_3gpuE8ELNS1_3repE0EEENS1_30default_config_static_selectorELNS0_4arch9wavefront6targetE1EEEvS13_
	.p2align	8
	.type	_ZN7rocprim17ROCPRIM_400000_NS6detail17trampoline_kernelINS0_13select_configILj256ELj13ELNS0_17block_load_methodE3ELS4_3ELS4_3ELNS0_20block_scan_algorithmE0ELj4294967295EEENS1_25partition_config_selectorILNS1_17partition_subalgoE4EjNS0_10empty_typeEbEEZZNS1_14partition_implILS8_4ELb0ES6_15HIP_vector_typeIjLj2EENS0_17counting_iteratorIjlEEPS9_SG_NS0_5tupleIJPjSI_NS0_16reverse_iteratorISI_EEEEENSH_IJSG_SG_SG_EEES9_SI_JZNS1_25segmented_radix_sort_implINS0_14default_configELb0EPK12hip_bfloat16PSP_PKlPlN2at6native12_GLOBAL__N_18offset_tEEE10hipError_tPvRmT1_PNSt15iterator_traitsIS13_E10value_typeET2_T3_PNS14_IS19_E10value_typeET4_jRbjT5_S1F_jjP12ihipStream_tbEUljE_ZNSN_ISO_Lb0ESR_SS_SU_SV_SZ_EES10_S11_S12_S13_S17_S18_S19_S1C_S1D_jS1E_jS1F_S1F_jjS1H_bEUljE0_EEES10_S11_S12_S19_S1D_S1F_T6_T7_T9_mT8_S1H_bDpT10_ENKUlT_T0_E_clISt17integral_constantIbLb1EES1V_EEDaS1Q_S1R_EUlS1Q_E_NS1_11comp_targetILNS1_3genE4ELNS1_11target_archE910ELNS1_3gpuE8ELNS1_3repE0EEENS1_30default_config_static_selectorELNS0_4arch9wavefront6targetE1EEEvS13_,@function
_ZN7rocprim17ROCPRIM_400000_NS6detail17trampoline_kernelINS0_13select_configILj256ELj13ELNS0_17block_load_methodE3ELS4_3ELS4_3ELNS0_20block_scan_algorithmE0ELj4294967295EEENS1_25partition_config_selectorILNS1_17partition_subalgoE4EjNS0_10empty_typeEbEEZZNS1_14partition_implILS8_4ELb0ES6_15HIP_vector_typeIjLj2EENS0_17counting_iteratorIjlEEPS9_SG_NS0_5tupleIJPjSI_NS0_16reverse_iteratorISI_EEEEENSH_IJSG_SG_SG_EEES9_SI_JZNS1_25segmented_radix_sort_implINS0_14default_configELb0EPK12hip_bfloat16PSP_PKlPlN2at6native12_GLOBAL__N_18offset_tEEE10hipError_tPvRmT1_PNSt15iterator_traitsIS13_E10value_typeET2_T3_PNS14_IS19_E10value_typeET4_jRbjT5_S1F_jjP12ihipStream_tbEUljE_ZNSN_ISO_Lb0ESR_SS_SU_SV_SZ_EES10_S11_S12_S13_S17_S18_S19_S1C_S1D_jS1E_jS1F_S1F_jjS1H_bEUljE0_EEES10_S11_S12_S19_S1D_S1F_T6_T7_T9_mT8_S1H_bDpT10_ENKUlT_T0_E_clISt17integral_constantIbLb1EES1V_EEDaS1Q_S1R_EUlS1Q_E_NS1_11comp_targetILNS1_3genE4ELNS1_11target_archE910ELNS1_3gpuE8ELNS1_3repE0EEENS1_30default_config_static_selectorELNS0_4arch9wavefront6targetE1EEEvS13_: ; @_ZN7rocprim17ROCPRIM_400000_NS6detail17trampoline_kernelINS0_13select_configILj256ELj13ELNS0_17block_load_methodE3ELS4_3ELS4_3ELNS0_20block_scan_algorithmE0ELj4294967295EEENS1_25partition_config_selectorILNS1_17partition_subalgoE4EjNS0_10empty_typeEbEEZZNS1_14partition_implILS8_4ELb0ES6_15HIP_vector_typeIjLj2EENS0_17counting_iteratorIjlEEPS9_SG_NS0_5tupleIJPjSI_NS0_16reverse_iteratorISI_EEEEENSH_IJSG_SG_SG_EEES9_SI_JZNS1_25segmented_radix_sort_implINS0_14default_configELb0EPK12hip_bfloat16PSP_PKlPlN2at6native12_GLOBAL__N_18offset_tEEE10hipError_tPvRmT1_PNSt15iterator_traitsIS13_E10value_typeET2_T3_PNS14_IS19_E10value_typeET4_jRbjT5_S1F_jjP12ihipStream_tbEUljE_ZNSN_ISO_Lb0ESR_SS_SU_SV_SZ_EES10_S11_S12_S13_S17_S18_S19_S1C_S1D_jS1E_jS1F_S1F_jjS1H_bEUljE0_EEES10_S11_S12_S19_S1D_S1F_T6_T7_T9_mT8_S1H_bDpT10_ENKUlT_T0_E_clISt17integral_constantIbLb1EES1V_EEDaS1Q_S1R_EUlS1Q_E_NS1_11comp_targetILNS1_3genE4ELNS1_11target_archE910ELNS1_3gpuE8ELNS1_3repE0EEENS1_30default_config_static_selectorELNS0_4arch9wavefront6targetE1EEEvS13_
; %bb.0:
	s_load_dwordx2 s[48:49], s[4:5], 0x10
	s_load_dwordx4 s[44:47], s[4:5], 0x28
	s_load_dwordx2 s[34:35], s[4:5], 0x38
	s_load_dwordx4 s[28:31], s[4:5], 0x58
	s_load_dwordx2 s[2:3], s[4:5], 0x68
	s_load_dwordx2 s[50:51], s[4:5], 0x78
	;; [unrolled: 1-line block ×3, first 2 shown]
	s_load_dwordx8 s[36:43], s[4:5], 0x90
	v_cmp_eq_u32_e64 s[0:1], 0, v0
	s_and_saveexec_b64 s[6:7], s[0:1]
	s_cbranch_execz .LBB1993_4
; %bb.1:
	s_mov_b64 s[10:11], exec
	v_mbcnt_lo_u32_b32 v1, s10, 0
	v_mbcnt_hi_u32_b32 v1, s11, v1
	v_cmp_eq_u32_e32 vcc, 0, v1
                                        ; implicit-def: $vgpr2
	s_and_saveexec_b64 s[8:9], vcc
	s_cbranch_execz .LBB1993_3
; %bb.2:
	s_load_dwordx2 s[12:13], s[4:5], 0x88
	s_bcnt1_i32_b64 s10, s[10:11]
	v_mov_b32_e32 v2, 0
	v_mov_b32_e32 v3, s10
	s_waitcnt lgkmcnt(0)
	global_atomic_add v2, v2, v3, s[12:13] glc
.LBB1993_3:
	s_or_b64 exec, exec, s[8:9]
	s_waitcnt vmcnt(0)
	v_readfirstlane_b32 s8, v2
	v_add_u32_e32 v1, s8, v1
	v_mov_b32_e32 v2, 0
	ds_write_b32 v2, v1
.LBB1993_4:
	s_or_b64 exec, exec, s[6:7]
	v_mov_b32_e32 v1, 0
	s_load_dword s7, s[4:5], 0x8
	s_load_dword s6, s[4:5], 0x80
	s_waitcnt lgkmcnt(0)
	s_barrier
	ds_read_b32 v8, v1
	s_waitcnt lgkmcnt(0)
	s_barrier
	global_load_dwordx4 v[2:5], v1, s[30:31]
	v_mov_b32_e32 v7, s3
	s_movk_i32 s3, 0xd00
	s_add_i32 s8, s7, s48
	v_mul_lo_u32 v34, v8, s3
	s_add_i32 s7, s6, -1
	s_mul_i32 s3, s6, 0xd00
	s_add_u32 s4, s48, s3
	v_readfirstlane_b32 s33, v8
	s_addc_u32 s5, s49, 0
	s_cmp_eq_u32 s33, s7
	v_mov_b32_e32 v6, s2
	s_cselect_b64 s[30:31], -1, 0
	s_cmp_lg_u32 s33, s7
	v_cmp_lt_u64_e32 vcc, s[4:5], v[6:7]
	s_cselect_b64 s[4:5], -1, 0
	s_or_b64 s[4:5], vcc, s[4:5]
	v_add_u32_e32 v1, s8, v34
	s_mov_b64 s[6:7], -1
	s_and_b64 vcc, exec, s[4:5]
	v_add_u32_e32 v1, v1, v0
	s_cbranch_vccz .LBB1993_6
; %bb.5:
	v_add_u32_e32 v6, 0x100, v1
	v_lshlrev_b32_e32 v18, 2, v0
	v_add_u32_e32 v7, 0x200, v1
	v_add_u32_e32 v8, 0x300, v1
	v_add_u32_e32 v9, 0x400, v1
	v_add_u32_e32 v10, 0x500, v1
	v_add_u32_e32 v11, 0x600, v1
	v_add_u32_e32 v12, 0x700, v1
	v_add_u32_e32 v13, 0x800, v1
	v_add_u32_e32 v14, 0x900, v1
	v_add_u32_e32 v15, 0xa00, v1
	v_add_u32_e32 v16, 0xb00, v1
	v_add_u32_e32 v17, 0xc00, v1
	ds_write2st64_b32 v18, v1, v6 offset1:4
	ds_write2st64_b32 v18, v7, v8 offset0:8 offset1:12
	ds_write2st64_b32 v18, v9, v10 offset0:16 offset1:20
	;; [unrolled: 1-line block ×5, first 2 shown]
	ds_write_b32 v18, v17 offset:12288
	s_waitcnt lgkmcnt(0)
	s_barrier
	s_mov_b64 s[6:7], 0
.LBB1993_6:
	s_andn2_b64 vcc, exec, s[6:7]
	s_add_i32 s3, s3, s48
	s_cbranch_vccnz .LBB1993_8
; %bb.7:
	v_add_u32_e32 v6, 0x100, v1
	v_lshlrev_b32_e32 v18, 2, v0
	v_add_u32_e32 v7, 0x200, v1
	v_add_u32_e32 v8, 0x300, v1
	;; [unrolled: 1-line block ×11, first 2 shown]
	ds_write2st64_b32 v18, v1, v6 offset1:4
	ds_write2st64_b32 v18, v7, v8 offset0:8 offset1:12
	ds_write2st64_b32 v18, v9, v10 offset0:16 offset1:20
	;; [unrolled: 1-line block ×5, first 2 shown]
	ds_write_b32 v18, v17 offset:12288
	s_waitcnt lgkmcnt(0)
	s_barrier
.LBB1993_8:
	v_mul_u32_u24_e32 v36, 13, v0
	v_lshlrev_b32_e32 v1, 2, v36
	ds_read2_b32 v[22:23], v1 offset1:1
	ds_read2_b32 v[20:21], v1 offset0:2 offset1:3
	ds_read2_b32 v[18:19], v1 offset0:4 offset1:5
	;; [unrolled: 1-line block ×5, first 2 shown]
	ds_read_b32 v35, v1 offset:48
	v_cndmask_b32_e64 v1, 0, 1, s[4:5]
	s_sub_i32 s86, s2, s3
	v_cmp_ne_u32_e64 s[2:3], 1, v1
	s_andn2_b64 vcc, exec, s[4:5]
	s_waitcnt lgkmcnt(0)
	s_barrier
	s_cbranch_vccnz .LBB1993_36
; %bb.9:
	v_add_u32_e32 v1, s37, v22
	v_add_u32_e32 v6, s39, v22
	v_mul_lo_u32 v1, v1, s36
	v_mul_lo_u32 v6, v6, s38
	v_sub_u32_e32 v1, v1, v6
	v_cmp_lt_u32_e32 vcc, s40, v1
	v_cmp_ge_u32_e64 s[4:5], s40, v1
	s_mov_b64 s[60:61], 0
	s_mov_b64 s[58:59], 0
	s_and_saveexec_b64 s[6:7], s[4:5]
; %bb.10:
	v_add_u32_e32 v1, s42, v22
	v_add_u32_e32 v6, s56, v22
	v_mul_lo_u32 v1, v1, s41
	v_mul_lo_u32 v6, v6, s43
	v_sub_u32_e32 v1, v1, v6
	v_cmp_lt_u32_e64 s[4:5], s57, v1
	s_and_b64 s[58:59], s[4:5], exec
; %bb.11:
	s_or_b64 exec, exec, s[6:7]
	v_add_u32_e32 v1, s37, v23
	v_add_u32_e32 v6, s39, v23
	v_mul_lo_u32 v1, v1, s36
	v_mul_lo_u32 v6, v6, s38
	v_sub_u32_e32 v1, v1, v6
	v_cmp_lt_u32_e64 s[4:5], s40, v1
	v_cmp_ge_u32_e64 s[6:7], s40, v1
	s_and_saveexec_b64 s[8:9], s[6:7]
; %bb.12:
	v_add_u32_e32 v1, s42, v23
	v_add_u32_e32 v6, s56, v23
	v_mul_lo_u32 v1, v1, s41
	v_mul_lo_u32 v6, v6, s43
	v_sub_u32_e32 v1, v1, v6
	v_cmp_lt_u32_e64 s[6:7], s57, v1
	s_and_b64 s[60:61], s[6:7], exec
; %bb.13:
	s_or_b64 exec, exec, s[8:9]
	v_add_u32_e32 v1, s37, v20
	v_add_u32_e32 v6, s39, v20
	v_mul_lo_u32 v1, v1, s36
	v_mul_lo_u32 v6, v6, s38
	v_sub_u32_e32 v1, v1, v6
	v_cmp_lt_u32_e64 s[6:7], s40, v1
	v_cmp_ge_u32_e64 s[8:9], s40, v1
	s_mov_b64 s[64:65], 0
	s_mov_b64 s[62:63], 0
	s_and_saveexec_b64 s[10:11], s[8:9]
; %bb.14:
	v_add_u32_e32 v1, s42, v20
	v_add_u32_e32 v6, s56, v20
	v_mul_lo_u32 v1, v1, s41
	v_mul_lo_u32 v6, v6, s43
	v_sub_u32_e32 v1, v1, v6
	v_cmp_lt_u32_e64 s[8:9], s57, v1
	s_and_b64 s[62:63], s[8:9], exec
; %bb.15:
	s_or_b64 exec, exec, s[10:11]
	v_add_u32_e32 v1, s37, v21
	v_add_u32_e32 v6, s39, v21
	v_mul_lo_u32 v1, v1, s36
	v_mul_lo_u32 v6, v6, s38
	v_sub_u32_e32 v1, v1, v6
	v_cmp_lt_u32_e64 s[8:9], s40, v1
	v_cmp_ge_u32_e64 s[10:11], s40, v1
	s_and_saveexec_b64 s[12:13], s[10:11]
; %bb.16:
	v_add_u32_e32 v1, s42, v21
	v_add_u32_e32 v6, s56, v21
	v_mul_lo_u32 v1, v1, s41
	v_mul_lo_u32 v6, v6, s43
	v_sub_u32_e32 v1, v1, v6
	v_cmp_lt_u32_e64 s[10:11], s57, v1
	s_and_b64 s[64:65], s[10:11], exec
; %bb.17:
	s_or_b64 exec, exec, s[12:13]
	v_add_u32_e32 v1, s37, v18
	v_add_u32_e32 v6, s39, v18
	v_mul_lo_u32 v1, v1, s36
	v_mul_lo_u32 v6, v6, s38
	v_sub_u32_e32 v1, v1, v6
	v_cmp_lt_u32_e64 s[10:11], s40, v1
	;; [unrolled: 38-line block ×5, first 2 shown]
	v_cmp_ge_u32_e64 s[24:25], s40, v1
	s_mov_b64 s[80:81], 0
	s_mov_b64 s[82:83], 0
	s_and_saveexec_b64 s[26:27], s[24:25]
; %bb.30:
	v_add_u32_e32 v1, s42, v12
	v_add_u32_e32 v6, s56, v12
	v_mul_lo_u32 v1, v1, s41
	v_mul_lo_u32 v6, v6, s43
	v_sub_u32_e32 v1, v1, v6
	v_cmp_lt_u32_e64 s[24:25], s57, v1
	s_and_b64 s[82:83], s[24:25], exec
; %bb.31:
	s_or_b64 exec, exec, s[26:27]
	v_add_u32_e32 v1, s37, v13
	v_add_u32_e32 v6, s39, v13
	v_mul_lo_u32 v1, v1, s36
	v_mul_lo_u32 v6, v6, s38
	v_sub_u32_e32 v1, v1, v6
	v_cmp_lt_u32_e64 s[24:25], s40, v1
	v_cmp_ge_u32_e64 s[26:27], s40, v1
	s_and_saveexec_b64 s[52:53], s[26:27]
; %bb.32:
	v_add_u32_e32 v1, s42, v13
	v_add_u32_e32 v6, s56, v13
	v_mul_lo_u32 v1, v1, s41
	v_mul_lo_u32 v6, v6, s43
	v_sub_u32_e32 v1, v1, v6
	v_cmp_lt_u32_e64 s[26:27], s57, v1
	s_and_b64 s[80:81], s[26:27], exec
; %bb.33:
	s_or_b64 exec, exec, s[52:53]
	v_add_u32_e32 v1, s37, v35
	v_add_u32_e32 v6, s39, v35
	v_mul_lo_u32 v1, v1, s36
	v_mul_lo_u32 v6, v6, s38
	v_sub_u32_e32 v1, v1, v6
	v_cmp_ge_u32_e64 s[26:27], s40, v1
	s_mov_b64 s[52:53], -1
	s_mov_b64 s[74:75], 0
	s_mov_b64 s[54:55], 0
	s_and_saveexec_b64 s[84:85], s[26:27]
; %bb.34:
	v_add_u32_e32 v1, s42, v35
	v_add_u32_e32 v6, s56, v35
	v_mul_lo_u32 v1, v1, s41
	v_mul_lo_u32 v6, v6, s43
	v_sub_u32_e32 v1, v1, v6
	v_cmp_lt_u32_e64 s[26:27], s57, v1
	s_and_b64 s[54:55], s[26:27], exec
	s_xor_b64 s[52:53], exec, -1
; %bb.35:
	s_or_b64 exec, exec, s[84:85]
	v_cndmask_b32_e64 v57, 0, 1, s[82:83]
	v_cndmask_b32_e64 v60, 0, 1, s[24:25]
	;; [unrolled: 1-line block ×22, first 2 shown]
	v_cndmask_b32_e64 v37, 0, 1, vcc
	v_cndmask_b32_e64 v59, 0, 1, s[80:81]
	s_add_i32 s16, s86, 0xd00
	s_and_b64 vcc, exec, s[74:75]
	s_cbranch_vccnz .LBB1993_37
	s_branch .LBB1993_90
.LBB1993_36:
                                        ; implicit-def: $sgpr52_sgpr53
                                        ; implicit-def: $sgpr54_sgpr55
                                        ; implicit-def: $vgpr59
                                        ; implicit-def: $vgpr57
                                        ; implicit-def: $vgpr55
                                        ; implicit-def: $vgpr53
                                        ; implicit-def: $vgpr51
                                        ; implicit-def: $vgpr49
                                        ; implicit-def: $vgpr47
                                        ; implicit-def: $vgpr45
                                        ; implicit-def: $vgpr43
                                        ; implicit-def: $vgpr37
                                        ; implicit-def: $vgpr39
                                        ; implicit-def: $vgpr41
                                        ; implicit-def: $vgpr44
                                        ; implicit-def: $vgpr46
                                        ; implicit-def: $vgpr48
                                        ; implicit-def: $vgpr50
                                        ; implicit-def: $vgpr52
                                        ; implicit-def: $vgpr54
                                        ; implicit-def: $vgpr56
                                        ; implicit-def: $vgpr58
                                        ; implicit-def: $vgpr60
                                        ; implicit-def: $vgpr38
                                        ; implicit-def: $vgpr40
                                        ; implicit-def: $vgpr42
	s_add_i32 s16, s86, 0xd00
	s_cbranch_execz .LBB1993_90
.LBB1993_37:
	v_cmp_gt_u32_e32 vcc, s16, v36
	v_mov_b32_e32 v38, 0
	v_mov_b32_e32 v37, 0
	s_and_saveexec_b64 s[6:7], vcc
	s_cbranch_execz .LBB1993_41
; %bb.38:
	v_add_u32_e32 v1, s37, v22
	v_add_u32_e32 v6, s39, v22
	v_mul_lo_u32 v1, v1, s36
	v_mul_lo_u32 v6, v6, s38
	v_sub_u32_e32 v1, v1, v6
	v_cmp_lt_u32_e32 vcc, s40, v1
	v_cmp_ge_u32_e64 s[4:5], s40, v1
	s_mov_b64 s[10:11], 0
	s_and_saveexec_b64 s[8:9], s[4:5]
; %bb.39:
	v_add_u32_e32 v1, s42, v22
	v_add_u32_e32 v6, s56, v22
	v_mul_lo_u32 v1, v1, s41
	v_mul_lo_u32 v6, v6, s43
	v_sub_u32_e32 v1, v1, v6
	v_cmp_lt_u32_e64 s[4:5], s57, v1
	s_and_b64 s[10:11], s[4:5], exec
; %bb.40:
	s_or_b64 exec, exec, s[8:9]
	v_cndmask_b32_e64 v37, 0, 1, vcc
	v_cndmask_b32_e64 v38, 0, 1, s[10:11]
.LBB1993_41:
	s_or_b64 exec, exec, s[6:7]
	v_add_u32_e32 v1, 1, v36
	v_cmp_gt_u32_e32 vcc, s16, v1
	v_mov_b32_e32 v39, 0
	v_mov_b32_e32 v40, 0
	s_and_saveexec_b64 s[6:7], vcc
	s_cbranch_execz .LBB1993_45
; %bb.42:
	v_add_u32_e32 v1, s37, v23
	v_add_u32_e32 v6, s39, v23
	v_mul_lo_u32 v1, v1, s36
	v_mul_lo_u32 v6, v6, s38
	v_sub_u32_e32 v1, v1, v6
	v_cmp_lt_u32_e32 vcc, s40, v1
	v_cmp_ge_u32_e64 s[4:5], s40, v1
	s_mov_b64 s[10:11], 0
	s_and_saveexec_b64 s[8:9], s[4:5]
; %bb.43:
	v_add_u32_e32 v1, s42, v23
	v_add_u32_e32 v6, s56, v23
	v_mul_lo_u32 v1, v1, s41
	v_mul_lo_u32 v6, v6, s43
	v_sub_u32_e32 v1, v1, v6
	v_cmp_lt_u32_e64 s[4:5], s57, v1
	s_and_b64 s[10:11], s[4:5], exec
; %bb.44:
	s_or_b64 exec, exec, s[8:9]
	v_cndmask_b32_e64 v39, 0, 1, vcc
	v_cndmask_b32_e64 v40, 0, 1, s[10:11]
.LBB1993_45:
	s_or_b64 exec, exec, s[6:7]
	v_add_u32_e32 v1, 2, v36
	;; [unrolled: 30-line block ×12, first 2 shown]
	v_cmp_gt_u32_e32 vcc, s16, v1
	s_mov_b64 s[52:53], 0
	s_mov_b64 s[54:55], 0
	s_and_saveexec_b64 s[4:5], vcc
	s_cbranch_execz .LBB1993_89
; %bb.86:
	v_add_u32_e32 v1, s37, v35
	v_add_u32_e32 v6, s39, v35
	v_mul_lo_u32 v1, v1, s36
	v_mul_lo_u32 v6, v6, s38
	v_sub_u32_e32 v1, v1, v6
	v_cmp_ge_u32_e32 vcc, s40, v1
	s_mov_b64 s[8:9], -1
	s_mov_b64 s[10:11], 0
	s_and_saveexec_b64 s[6:7], vcc
; %bb.87:
	v_add_u32_e32 v1, s42, v35
	v_add_u32_e32 v6, s56, v35
	v_mul_lo_u32 v1, v1, s41
	v_mul_lo_u32 v6, v6, s43
	v_sub_u32_e32 v1, v1, v6
	v_cmp_lt_u32_e32 vcc, s57, v1
	s_and_b64 s[10:11], vcc, exec
	s_xor_b64 s[8:9], exec, -1
; %bb.88:
	s_or_b64 exec, exec, s[6:7]
	s_and_b64 s[54:55], s[10:11], exec
	s_and_b64 s[52:53], s[8:9], exec
.LBB1993_89:
	s_or_b64 exec, exec, s[4:5]
.LBB1993_90:
	v_and_b32_e32 v68, 0xff, v38
	v_and_b32_e32 v79, 0xff, v40
	;; [unrolled: 1-line block ×5, first 2 shown]
	v_add3_u32 v6, v79, v70, v68
	v_and_b32_e32 v81, 0xff, v47
	v_and_b32_e32 v74, 0xff, v49
	v_add3_u32 v6, v6, v80, v72
	v_and_b32_e32 v67, 0xff, v37
	v_and_b32_e32 v61, 0xff, v39
	v_and_b32_e32 v69, 0xff, v41
	v_and_b32_e32 v82, 0xff, v51
	v_and_b32_e32 v76, 0xff, v53
	v_add3_u32 v6, v6, v81, v74
	v_and_b32_e32 v62, 0xff, v44
	v_and_b32_e32 v71, 0xff, v46
	;; [unrolled: 1-line block ×4, first 2 shown]
	v_add3_u32 v7, v61, v69, v67
	v_add3_u32 v6, v6, v82, v76
	v_and_b32_e32 v63, 0xff, v48
	v_and_b32_e32 v73, 0xff, v50
	;; [unrolled: 1-line block ×3, first 2 shown]
	v_cndmask_b32_e64 v1, 0, 1, s[54:55]
	v_add3_u32 v7, v7, v62, v71
	v_add3_u32 v6, v6, v83, v78
	v_and_b32_e32 v64, 0xff, v52
	v_and_b32_e32 v75, 0xff, v54
	v_add3_u32 v7, v7, v63, v73
	v_add3_u32 v91, v6, v84, v1
	v_mbcnt_lo_u32_b32 v1, -1, 0
	v_and_b32_e32 v65, 0xff, v56
	v_and_b32_e32 v77, 0xff, v58
	v_add3_u32 v7, v7, v64, v75
	v_mbcnt_hi_u32_b32 v85, -1, v1
	v_and_b32_e32 v66, 0xff, v60
	v_add3_u32 v7, v7, v65, v77
	v_cndmask_b32_e64 v8, 0, 1, s[52:53]
	v_and_b32_e32 v89, 15, v85
	s_cmp_lg_u32 s33, 0
	v_add3_u32 v90, v7, v66, v8
	v_cmp_eq_u32_e64 s[6:7], 0, v89
	v_cmp_lt_u32_e64 s[4:5], 1, v89
	v_cmp_lt_u32_e64 s[10:11], 3, v89
	;; [unrolled: 1-line block ×3, first 2 shown]
	v_and_b32_e32 v88, 16, v85
	v_cmp_lt_u32_e32 vcc, 31, v85
	v_lshrrev_b32_e32 v86, 6, v0
	v_or_b32_e32 v87, 63, v0
	s_cbranch_scc0 .LBB1993_123
; %bb.91:
	v_mov_b32_dpp v1, v90 row_shr:1 row_mask:0xf bank_mask:0xf
	v_mov_b32_dpp v6, v91 row_shr:1 row_mask:0xf bank_mask:0xf
	v_add_u32_e32 v1, v1, v90
	v_add_u32_e32 v6, v6, v91
	v_cndmask_b32_e64 v6, v6, v91, s[6:7]
	v_cndmask_b32_e64 v1, v1, v90, s[6:7]
	s_nop 0
	v_mov_b32_dpp v8, v6 row_shr:2 row_mask:0xf bank_mask:0xf
	v_mov_b32_dpp v7, v1 row_shr:2 row_mask:0xf bank_mask:0xf
	v_add_u32_e32 v7, v1, v7
	v_add_u32_e32 v8, v6, v8
	v_cndmask_b32_e64 v6, v6, v8, s[4:5]
	v_cndmask_b32_e64 v1, v1, v7, s[4:5]
	s_nop 0
	;; [unrolled: 7-line block ×3, first 2 shown]
	v_mov_b32_dpp v8, v6 row_shr:8 row_mask:0xf bank_mask:0xf
	v_mov_b32_dpp v7, v1 row_shr:8 row_mask:0xf bank_mask:0xf
	v_add_u32_e32 v7, v1, v7
	v_add_u32_e32 v8, v6, v8
	v_cndmask_b32_e64 v6, v6, v8, s[8:9]
	v_cndmask_b32_e64 v1, v1, v7, s[8:9]
	v_cmp_eq_u32_e64 s[8:9], 0, v88
	v_mov_b32_dpp v8, v6 row_bcast:15 row_mask:0xf bank_mask:0xf
	v_mov_b32_dpp v7, v1 row_bcast:15 row_mask:0xf bank_mask:0xf
	v_add_u32_e32 v7, v1, v7
	v_add_u32_e32 v8, v6, v8
	v_cndmask_b32_e64 v6, v8, v6, s[8:9]
	v_cndmask_b32_e64 v1, v7, v1, s[8:9]
	s_nop 0
	v_mov_b32_dpp v8, v6 row_bcast:31 row_mask:0xf bank_mask:0xf
	v_mov_b32_dpp v7, v1 row_bcast:31 row_mask:0xf bank_mask:0xf
	v_add_u32_e32 v8, v6, v8
	v_add_u32_e32 v9, v1, v7
	v_cndmask_b32_e32 v7, v6, v8, vcc
	v_cndmask_b32_e32 v6, v1, v9, vcc
	v_cmp_eq_u32_e32 vcc, v87, v0
	s_and_saveexec_b64 s[8:9], vcc
	s_cbranch_execz .LBB1993_93
; %bb.92:
	v_lshlrev_b32_e32 v1, 3, v86
	ds_write_b64 v1, v[6:7]
.LBB1993_93:
	s_or_b64 exec, exec, s[8:9]
	v_cmp_gt_u32_e32 vcc, 4, v0
	s_waitcnt lgkmcnt(0)
	s_barrier
	s_and_saveexec_b64 s[8:9], vcc
	s_cbranch_execz .LBB1993_95
; %bb.94:
	v_lshlrev_b32_e32 v1, 3, v0
	ds_read_b64 v[8:9], v1
	v_and_b32_e32 v10, 3, v85
	v_cmp_eq_u32_e32 vcc, 0, v10
	s_waitcnt lgkmcnt(0)
	v_mov_b32_dpp v11, v8 row_shr:1 row_mask:0xf bank_mask:0xf
	v_mov_b32_dpp v24, v9 row_shr:1 row_mask:0xf bank_mask:0xf
	v_add_u32_e32 v11, v11, v8
	v_add_u32_e32 v24, v24, v9
	v_cndmask_b32_e32 v9, v24, v9, vcc
	v_cndmask_b32_e32 v8, v11, v8, vcc
	v_cmp_lt_u32_e32 vcc, 1, v10
	v_mov_b32_dpp v24, v9 row_shr:2 row_mask:0xf bank_mask:0xf
	v_mov_b32_dpp v11, v8 row_shr:2 row_mask:0xf bank_mask:0xf
	v_cndmask_b32_e32 v10, 0, v11, vcc
	v_cndmask_b32_e32 v11, 0, v24, vcc
	v_add_u32_e32 v9, v11, v9
	v_add_u32_e32 v8, v10, v8
	ds_write_b64 v1, v[8:9]
.LBB1993_95:
	s_or_b64 exec, exec, s[8:9]
	v_cmp_gt_u32_e32 vcc, 64, v0
	v_cmp_lt_u32_e64 s[8:9], 63, v0
	s_waitcnt lgkmcnt(0)
	s_barrier
	s_waitcnt lgkmcnt(0)
                                        ; implicit-def: $vgpr25
	s_and_saveexec_b64 s[10:11], s[8:9]
	s_xor_b64 s[8:9], exec, s[10:11]
	s_cbranch_execz .LBB1993_97
; %bb.96:
	v_lshl_add_u32 v1, v86, 3, -8
	ds_read_b64 v[24:25], v1
	s_waitcnt lgkmcnt(0)
	v_add_u32_e32 v7, v25, v7
	v_add_u32_e32 v6, v24, v6
.LBB1993_97:
	s_andn2_saveexec_b64 s[8:9], s[8:9]
; %bb.98:
                                        ; implicit-def: $vgpr24
; %bb.99:
	s_or_b64 exec, exec, s[8:9]
	v_add_u32_e32 v1, -1, v85
	v_and_b32_e32 v8, 64, v85
	v_cmp_lt_i32_e64 s[8:9], v1, v8
	v_cndmask_b32_e64 v1, v1, v85, s[8:9]
	v_lshlrev_b32_e32 v8, 2, v1
	ds_bpermute_b32 v1, v8, v6
	ds_bpermute_b32 v92, v8, v7
	v_cmp_eq_u32_e64 s[8:9], 0, v85
	s_and_saveexec_b64 s[10:11], vcc
	s_cbranch_execz .LBB1993_122
; %bb.100:
	v_mov_b32_e32 v11, 0
	ds_read_b64 v[26:27], v11 offset:24
	s_and_saveexec_b64 s[12:13], s[8:9]
	s_cbranch_execz .LBB1993_102
; %bb.101:
	s_add_i32 s14, s33, 64
	s_mov_b32 s15, 0
	s_lshl_b64 s[14:15], s[14:15], 4
	s_waitcnt lgkmcnt(0)
	v_and_b32_e32 v6, 0xff000000, v27
	v_and_b32_e32 v7, 0xff0000, v27
	s_add_u32 s14, s50, s14
	v_or_b32_e32 v6, v7, v6
	v_and_b32_e32 v7, 0xff00, v27
	s_addc_u32 s15, s51, s15
	v_or_b32_e32 v6, v6, v7
	v_or_b32_sdwa v9, v6, v27 dst_sel:DWORD dst_unused:UNUSED_PAD src0_sel:DWORD src1_sel:BYTE_0
	v_mov_b32_e32 v10, 1
	v_mov_b32_e32 v8, v26
	v_pk_mov_b32 v[6:7], s[14:15], s[14:15] op_sel:[0,1]
	;;#ASMSTART
	global_store_dwordx4 v[6:7], v[8:11] off	
s_waitcnt vmcnt(0)
	;;#ASMEND
.LBB1993_102:
	s_or_b64 exec, exec, s[12:13]
	v_xad_u32 v28, v85, -1, s33
	v_add_u32_e32 v10, 64, v28
	v_lshlrev_b64 v[6:7], 4, v[10:11]
	v_mov_b32_e32 v8, s51
	v_add_co_u32_e32 v30, vcc, s50, v6
	v_addc_co_u32_e32 v31, vcc, v8, v7, vcc
	;;#ASMSTART
	global_load_dwordx4 v[6:9], v[30:31] off glc	
s_waitcnt vmcnt(0)
	;;#ASMEND
	v_and_b32_e32 v9, 0xff, v7
	v_and_b32_e32 v10, 0xff00, v7
	v_or3_b32 v9, 0, v9, v10
	v_or3_b32 v6, v6, 0, 0
	v_and_b32_e32 v10, 0xff000000, v7
	v_and_b32_e32 v7, 0xff0000, v7
	v_or3_b32 v7, v9, v7, v10
	v_or3_b32 v6, v6, 0, 0
	v_cmp_eq_u16_sdwa s[14:15], v8, v11 src0_sel:BYTE_0 src1_sel:DWORD
	s_and_saveexec_b64 s[12:13], s[14:15]
	s_cbranch_execz .LBB1993_108
; %bb.103:
	s_mov_b32 s17, 1
	s_mov_b64 s[14:15], 0
	v_mov_b32_e32 v10, 0
.LBB1993_104:                           ; =>This Loop Header: Depth=1
                                        ;     Child Loop BB1993_105 Depth 2
	s_max_u32 s18, s17, 1
.LBB1993_105:                           ;   Parent Loop BB1993_104 Depth=1
                                        ; =>  This Inner Loop Header: Depth=2
	s_add_i32 s18, s18, -1
	s_cmp_eq_u32 s18, 0
	s_sleep 1
	s_cbranch_scc0 .LBB1993_105
; %bb.106:                              ;   in Loop: Header=BB1993_104 Depth=1
	s_cmp_lt_u32 s17, 32
	s_cselect_b64 s[18:19], -1, 0
	s_cmp_lg_u64 s[18:19], 0
	s_addc_u32 s17, s17, 0
	;;#ASMSTART
	global_load_dwordx4 v[6:9], v[30:31] off glc	
s_waitcnt vmcnt(0)
	;;#ASMEND
	v_cmp_ne_u16_sdwa s[18:19], v8, v10 src0_sel:BYTE_0 src1_sel:DWORD
	s_or_b64 s[14:15], s[18:19], s[14:15]
	s_andn2_b64 exec, exec, s[14:15]
	s_cbranch_execnz .LBB1993_104
; %bb.107:
	s_or_b64 exec, exec, s[14:15]
.LBB1993_108:
	s_or_b64 exec, exec, s[12:13]
	v_and_b32_e32 v94, 63, v85
	v_cmp_ne_u32_e32 vcc, 63, v94
	v_mov_b32_e32 v93, 2
	v_addc_co_u32_e32 v30, vcc, 0, v85, vcc
	v_cmp_eq_u16_sdwa s[12:13], v8, v93 src0_sel:BYTE_0 src1_sel:DWORD
	v_lshlrev_b64 v[10:11], v85, -1
	v_lshlrev_b32_e32 v95, 2, v30
	v_and_b32_e32 v9, s13, v11
	ds_bpermute_b32 v30, v95, v6
	ds_bpermute_b32 v31, v95, v7
	v_or_b32_e32 v9, 0x80000000, v9
	v_and_b32_e32 v29, s12, v10
	v_ffbl_b32_e32 v9, v9
	v_add_u32_e32 v9, 32, v9
	v_ffbl_b32_e32 v29, v29
	v_min_u32_e32 v9, v29, v9
	s_waitcnt lgkmcnt(1)
	v_add_u32_e32 v29, v30, v6
	s_waitcnt lgkmcnt(0)
	v_add_u32_e32 v30, v31, v7
	v_cmp_lt_u32_e32 vcc, v94, v9
	v_cndmask_b32_e32 v7, v7, v30, vcc
	v_cndmask_b32_e32 v6, v6, v29, vcc
	v_cmp_gt_u32_e32 vcc, 62, v94
	v_cndmask_b32_e64 v29, 0, 1, vcc
	v_lshlrev_b32_e32 v29, 1, v29
	v_add_lshl_u32 v96, v29, v85, 2
	ds_bpermute_b32 v29, v96, v6
	ds_bpermute_b32 v30, v96, v7
	v_add_u32_e32 v97, 2, v94
	v_cmp_gt_u32_e32 vcc, v97, v9
	v_add_u32_e32 v99, 4, v94
	s_waitcnt lgkmcnt(1)
	v_add_u32_e32 v29, v6, v29
	s_waitcnt lgkmcnt(0)
	v_add_u32_e32 v30, v7, v30
	v_cndmask_b32_e32 v7, v30, v7, vcc
	v_cndmask_b32_e32 v6, v29, v6, vcc
	v_cmp_gt_u32_e32 vcc, 60, v94
	v_cndmask_b32_e64 v29, 0, 1, vcc
	v_lshlrev_b32_e32 v29, 2, v29
	v_add_lshl_u32 v98, v29, v85, 2
	ds_bpermute_b32 v29, v98, v6
	ds_bpermute_b32 v30, v98, v7
	v_cmp_gt_u32_e32 vcc, v99, v9
	v_add_u32_e32 v101, 8, v94
	v_add_u32_e32 v103, 16, v94
	s_waitcnt lgkmcnt(1)
	v_add_u32_e32 v29, v6, v29
	s_waitcnt lgkmcnt(0)
	v_add_u32_e32 v30, v7, v30
	v_cndmask_b32_e32 v7, v30, v7, vcc
	v_cndmask_b32_e32 v6, v29, v6, vcc
	v_cmp_gt_u32_e32 vcc, 56, v94
	v_cndmask_b32_e64 v29, 0, 1, vcc
	v_lshlrev_b32_e32 v29, 3, v29
	v_add_lshl_u32 v100, v29, v85, 2
	ds_bpermute_b32 v29, v100, v6
	ds_bpermute_b32 v30, v100, v7
	v_cmp_gt_u32_e32 vcc, v101, v9
	v_add_u32_e32 v105, 32, v94
	s_waitcnt lgkmcnt(1)
	v_add_u32_e32 v29, v6, v29
	s_waitcnt lgkmcnt(0)
	v_add_u32_e32 v30, v7, v30
	v_cndmask_b32_e32 v7, v30, v7, vcc
	v_cndmask_b32_e32 v6, v29, v6, vcc
	v_cmp_gt_u32_e32 vcc, 48, v94
	v_cndmask_b32_e64 v29, 0, 1, vcc
	v_lshlrev_b32_e32 v29, 4, v29
	v_add_lshl_u32 v102, v29, v85, 2
	ds_bpermute_b32 v29, v102, v6
	ds_bpermute_b32 v30, v102, v7
	v_cmp_gt_u32_e32 vcc, v103, v9
	s_waitcnt lgkmcnt(1)
	v_add_u32_e32 v29, v6, v29
	s_waitcnt lgkmcnt(0)
	v_add_u32_e32 v30, v7, v30
	v_cndmask_b32_e32 v7, v30, v7, vcc
	v_cndmask_b32_e32 v6, v29, v6, vcc
	v_cmp_gt_u32_e32 vcc, 32, v94
	v_cndmask_b32_e64 v29, 0, 1, vcc
	v_lshlrev_b32_e32 v29, 5, v29
	v_add_lshl_u32 v104, v29, v85, 2
	ds_bpermute_b32 v29, v104, v6
	ds_bpermute_b32 v30, v104, v7
	v_cmp_le_u32_e32 vcc, v105, v9
	s_waitcnt lgkmcnt(1)
	v_cndmask_b32_e32 v9, 0, v29, vcc
	s_waitcnt lgkmcnt(0)
	v_cndmask_b32_e32 v29, 0, v30, vcc
	v_add_u32_e32 v7, v7, v29
	v_add_u32_e32 v6, v6, v9
	v_mov_b32_e32 v29, 0
	s_branch .LBB1993_110
.LBB1993_109:                           ;   in Loop: Header=BB1993_110 Depth=1
	s_or_b64 exec, exec, s[12:13]
	v_cmp_eq_u16_sdwa s[12:13], v8, v93 src0_sel:BYTE_0 src1_sel:DWORD
	v_and_b32_e32 v9, s13, v11
	ds_bpermute_b32 v33, v95, v6
	ds_bpermute_b32 v106, v95, v7
	v_or_b32_e32 v9, 0x80000000, v9
	v_and_b32_e32 v32, s12, v10
	v_ffbl_b32_e32 v9, v9
	v_add_u32_e32 v9, 32, v9
	v_ffbl_b32_e32 v32, v32
	v_min_u32_e32 v9, v32, v9
	s_waitcnt lgkmcnt(1)
	v_add_u32_e32 v32, v33, v6
	s_waitcnt lgkmcnt(0)
	v_add_u32_e32 v33, v106, v7
	v_cmp_lt_u32_e32 vcc, v94, v9
	v_cndmask_b32_e32 v7, v7, v33, vcc
	v_cndmask_b32_e32 v6, v6, v32, vcc
	ds_bpermute_b32 v32, v96, v6
	ds_bpermute_b32 v33, v96, v7
	v_cmp_gt_u32_e32 vcc, v97, v9
	v_subrev_u32_e32 v28, 64, v28
	s_waitcnt lgkmcnt(1)
	v_add_u32_e32 v32, v6, v32
	s_waitcnt lgkmcnt(0)
	v_add_u32_e32 v33, v7, v33
	v_cndmask_b32_e32 v7, v33, v7, vcc
	v_cndmask_b32_e32 v6, v32, v6, vcc
	ds_bpermute_b32 v32, v98, v6
	ds_bpermute_b32 v33, v98, v7
	v_cmp_gt_u32_e32 vcc, v99, v9
	s_waitcnt lgkmcnt(1)
	v_add_u32_e32 v32, v6, v32
	s_waitcnt lgkmcnt(0)
	v_add_u32_e32 v33, v7, v33
	v_cndmask_b32_e32 v7, v33, v7, vcc
	v_cndmask_b32_e32 v6, v32, v6, vcc
	ds_bpermute_b32 v32, v100, v6
	ds_bpermute_b32 v33, v100, v7
	v_cmp_gt_u32_e32 vcc, v101, v9
	;; [unrolled: 9-line block ×3, first 2 shown]
	s_waitcnt lgkmcnt(1)
	v_add_u32_e32 v32, v6, v32
	s_waitcnt lgkmcnt(0)
	v_add_u32_e32 v33, v7, v33
	v_cndmask_b32_e32 v7, v33, v7, vcc
	v_cndmask_b32_e32 v6, v32, v6, vcc
	ds_bpermute_b32 v32, v104, v6
	ds_bpermute_b32 v33, v104, v7
	v_cmp_le_u32_e32 vcc, v105, v9
	s_waitcnt lgkmcnt(1)
	v_cndmask_b32_e32 v9, 0, v32, vcc
	s_waitcnt lgkmcnt(0)
	v_cndmask_b32_e32 v32, 0, v33, vcc
	v_add3_u32 v7, v32, v31, v7
	v_add3_u32 v6, v9, v30, v6
.LBB1993_110:                           ; =>This Loop Header: Depth=1
                                        ;     Child Loop BB1993_113 Depth 2
                                        ;       Child Loop BB1993_114 Depth 3
	v_cmp_ne_u16_sdwa s[12:13], v8, v93 src0_sel:BYTE_0 src1_sel:DWORD
	v_cndmask_b32_e64 v8, 0, 1, s[12:13]
	;;#ASMSTART
	;;#ASMEND
	v_cmp_ne_u32_e32 vcc, 0, v8
	s_cmp_lg_u64 vcc, exec
	v_pk_mov_b32 v[30:31], v[6:7], v[6:7] op_sel:[0,1]
	s_cbranch_scc1 .LBB1993_117
; %bb.111:                              ;   in Loop: Header=BB1993_110 Depth=1
	v_lshlrev_b64 v[6:7], 4, v[28:29]
	v_mov_b32_e32 v8, s51
	v_add_co_u32_e32 v32, vcc, s50, v6
	v_addc_co_u32_e32 v33, vcc, v8, v7, vcc
	;;#ASMSTART
	global_load_dwordx4 v[6:9], v[32:33] off glc	
s_waitcnt vmcnt(0)
	;;#ASMEND
	v_and_b32_e32 v9, 0xff, v7
	v_and_b32_e32 v106, 0xff00, v7
	v_or3_b32 v9, 0, v9, v106
	v_or3_b32 v6, v6, 0, 0
	v_and_b32_e32 v106, 0xff000000, v7
	v_and_b32_e32 v7, 0xff0000, v7
	v_or3_b32 v7, v9, v7, v106
	v_or3_b32 v6, v6, 0, 0
	v_cmp_eq_u16_sdwa s[14:15], v8, v29 src0_sel:BYTE_0 src1_sel:DWORD
	s_and_saveexec_b64 s[12:13], s[14:15]
	s_cbranch_execz .LBB1993_109
; %bb.112:                              ;   in Loop: Header=BB1993_110 Depth=1
	s_mov_b32 s17, 1
	s_mov_b64 s[14:15], 0
.LBB1993_113:                           ;   Parent Loop BB1993_110 Depth=1
                                        ; =>  This Loop Header: Depth=2
                                        ;       Child Loop BB1993_114 Depth 3
	s_max_u32 s18, s17, 1
.LBB1993_114:                           ;   Parent Loop BB1993_110 Depth=1
                                        ;     Parent Loop BB1993_113 Depth=2
                                        ; =>    This Inner Loop Header: Depth=3
	s_add_i32 s18, s18, -1
	s_cmp_eq_u32 s18, 0
	s_sleep 1
	s_cbranch_scc0 .LBB1993_114
; %bb.115:                              ;   in Loop: Header=BB1993_113 Depth=2
	s_cmp_lt_u32 s17, 32
	s_cselect_b64 s[18:19], -1, 0
	s_cmp_lg_u64 s[18:19], 0
	s_addc_u32 s17, s17, 0
	;;#ASMSTART
	global_load_dwordx4 v[6:9], v[32:33] off glc	
s_waitcnt vmcnt(0)
	;;#ASMEND
	v_cmp_ne_u16_sdwa s[18:19], v8, v29 src0_sel:BYTE_0 src1_sel:DWORD
	s_or_b64 s[14:15], s[18:19], s[14:15]
	s_andn2_b64 exec, exec, s[14:15]
	s_cbranch_execnz .LBB1993_113
; %bb.116:                              ;   in Loop: Header=BB1993_110 Depth=1
	s_or_b64 exec, exec, s[14:15]
	s_branch .LBB1993_109
.LBB1993_117:                           ;   in Loop: Header=BB1993_110 Depth=1
                                        ; implicit-def: $vgpr8
                                        ; implicit-def: $vgpr6_vgpr7
	s_cbranch_execz .LBB1993_110
; %bb.118:
	s_and_saveexec_b64 s[12:13], s[8:9]
	s_cbranch_execz .LBB1993_120
; %bb.119:
	s_add_i32 s14, s33, 64
	s_mov_b32 s15, 0
	v_add_u32_e32 v7, v31, v27
	s_lshl_b64 s[14:15], s[14:15], 4
	s_add_u32 s14, s50, s14
	v_and_b32_e32 v8, 0xff000000, v7
	v_and_b32_e32 v10, 0xff0000, v7
	s_addc_u32 s15, s51, s15
	v_or_b32_e32 v8, v10, v8
	v_and_b32_e32 v10, 0xff00, v7
	v_and_b32_e32 v7, 0xff, v7
	v_add_u32_e32 v6, v30, v26
	v_mov_b32_e32 v9, 0
	v_or3_b32 v7, v8, v10, v7
	v_mov_b32_e32 v8, 2
	v_pk_mov_b32 v[10:11], s[14:15], s[14:15] op_sel:[0,1]
	;;#ASMSTART
	global_store_dwordx4 v[10:11], v[6:9] off	
s_waitcnt vmcnt(0)
	;;#ASMEND
	s_movk_i32 s14, 0x3400
	v_add_u32_e64 v6, s14, 0
	ds_write2_b32 v6, v26, v27 offset1:2
	ds_write2_b32 v6, v30, v31 offset0:4 offset1:6
.LBB1993_120:
	s_or_b64 exec, exec, s[12:13]
	s_and_b64 exec, exec, s[0:1]
	s_cbranch_execz .LBB1993_122
; %bb.121:
	v_mov_b32_e32 v6, 0
	ds_write_b64 v6, v[30:31] offset:24
.LBB1993_122:
	s_or_b64 exec, exec, s[10:11]
	v_mov_b32_e32 v6, 0
	s_waitcnt lgkmcnt(0)
	s_barrier
	ds_read_b64 v[10:11], v6 offset:24
	v_cndmask_b32_e64 v25, v92, v25, s[8:9]
	v_cndmask_b32_e64 v1, v1, v24, s[8:9]
	s_movk_i32 s8, 0x3400
	s_waitcnt lgkmcnt(0)
	v_add_u32_e32 v24, v10, v1
	v_add_u32_e64 v1, s8, 0
	s_barrier
	ds_read2_b32 v[6:7], v1 offset1:2
	ds_read2_b32 v[8:9], v1 offset0:4 offset1:6
	v_add_u32_e32 v1, v11, v25
	v_cndmask_b32_e64 v1, v1, v11, s[0:1]
	v_cndmask_b32_e64 v10, v24, v10, s[0:1]
	s_branch .LBB1993_133
.LBB1993_123:
                                        ; implicit-def: $vgpr1
                                        ; implicit-def: $vgpr8
                                        ; implicit-def: $vgpr6
                                        ; implicit-def: $vgpr10_vgpr11
	s_cbranch_execz .LBB1993_133
; %bb.124:
	s_nop 0
	v_mov_b32_dpp v1, v90 row_shr:1 row_mask:0xf bank_mask:0xf
	s_waitcnt lgkmcnt(1)
	v_mov_b32_dpp v6, v91 row_shr:1 row_mask:0xf bank_mask:0xf
	v_add_u32_e32 v1, v1, v90
	v_add_u32_e32 v6, v6, v91
	v_cndmask_b32_e64 v6, v6, v91, s[6:7]
	v_cndmask_b32_e64 v1, v1, v90, s[6:7]
	v_cmp_lt_u32_e32 vcc, 3, v89
	s_waitcnt lgkmcnt(0)
	v_mov_b32_dpp v8, v6 row_shr:2 row_mask:0xf bank_mask:0xf
	v_mov_b32_dpp v7, v1 row_shr:2 row_mask:0xf bank_mask:0xf
	v_add_u32_e32 v7, v1, v7
	v_add_u32_e32 v8, v6, v8
	v_cndmask_b32_e64 v6, v6, v8, s[4:5]
	v_cndmask_b32_e64 v1, v1, v7, s[4:5]
	s_nop 0
	v_mov_b32_dpp v8, v6 row_shr:4 row_mask:0xf bank_mask:0xf
	v_mov_b32_dpp v7, v1 row_shr:4 row_mask:0xf bank_mask:0xf
	v_add_u32_e32 v7, v1, v7
	v_add_u32_e32 v8, v6, v8
	v_cndmask_b32_e32 v6, v6, v8, vcc
	v_cndmask_b32_e32 v1, v1, v7, vcc
	v_cmp_lt_u32_e32 vcc, 7, v89
	v_mov_b32_dpp v8, v6 row_shr:8 row_mask:0xf bank_mask:0xf
	v_mov_b32_dpp v7, v1 row_shr:8 row_mask:0xf bank_mask:0xf
	v_add_u32_e32 v7, v1, v7
	v_add_u32_e32 v8, v6, v8
	v_cndmask_b32_e32 v6, v6, v8, vcc
	v_cndmask_b32_e32 v1, v1, v7, vcc
	v_cmp_eq_u32_e32 vcc, 0, v88
	v_mov_b32_dpp v8, v6 row_bcast:15 row_mask:0xf bank_mask:0xf
	v_mov_b32_dpp v7, v1 row_bcast:15 row_mask:0xf bank_mask:0xf
	v_add_u32_e32 v7, v1, v7
	v_add_u32_e32 v8, v6, v8
	v_cndmask_b32_e32 v6, v8, v6, vcc
	v_cndmask_b32_e32 v1, v7, v1, vcc
	v_cmp_lt_u32_e32 vcc, 31, v85
	v_mov_b32_dpp v8, v6 row_bcast:31 row_mask:0xf bank_mask:0xf
	v_mov_b32_dpp v7, v1 row_bcast:31 row_mask:0xf bank_mask:0xf
	v_add_u32_e32 v8, v6, v8
	v_add_u32_e32 v9, v1, v7
	v_cndmask_b32_e32 v7, v6, v8, vcc
	v_cndmask_b32_e32 v6, v1, v9, vcc
	v_cmp_eq_u32_e32 vcc, v87, v0
	s_and_saveexec_b64 s[4:5], vcc
	s_cbranch_execz .LBB1993_126
; %bb.125:
	v_lshlrev_b32_e32 v1, 3, v86
	ds_write_b64 v1, v[6:7]
.LBB1993_126:
	s_or_b64 exec, exec, s[4:5]
	v_cmp_gt_u32_e32 vcc, 4, v0
	s_waitcnt lgkmcnt(0)
	s_barrier
	s_and_saveexec_b64 s[4:5], vcc
	s_cbranch_execz .LBB1993_128
; %bb.127:
	v_lshlrev_b32_e32 v1, 3, v0
	ds_read_b64 v[8:9], v1
	v_and_b32_e32 v10, 3, v85
	v_cmp_eq_u32_e32 vcc, 0, v10
	s_waitcnt lgkmcnt(0)
	v_mov_b32_dpp v11, v8 row_shr:1 row_mask:0xf bank_mask:0xf
	v_mov_b32_dpp v24, v9 row_shr:1 row_mask:0xf bank_mask:0xf
	v_add_u32_e32 v11, v11, v8
	v_add_u32_e32 v24, v24, v9
	v_cndmask_b32_e32 v9, v24, v9, vcc
	v_cndmask_b32_e32 v8, v11, v8, vcc
	v_cmp_lt_u32_e32 vcc, 1, v10
	v_mov_b32_dpp v24, v9 row_shr:2 row_mask:0xf bank_mask:0xf
	v_mov_b32_dpp v11, v8 row_shr:2 row_mask:0xf bank_mask:0xf
	v_cndmask_b32_e32 v10, 0, v11, vcc
	v_cndmask_b32_e32 v11, 0, v24, vcc
	v_add_u32_e32 v9, v11, v9
	v_add_u32_e32 v8, v10, v8
	ds_write_b64 v1, v[8:9]
.LBB1993_128:
	s_or_b64 exec, exec, s[4:5]
	v_cmp_lt_u32_e32 vcc, 63, v0
	v_mov_b32_e32 v8, 0
	v_mov_b32_e32 v10, 0
	;; [unrolled: 1-line block ×3, first 2 shown]
	s_waitcnt lgkmcnt(0)
	s_barrier
	s_and_saveexec_b64 s[4:5], vcc
	s_cbranch_execz .LBB1993_130
; %bb.129:
	v_lshl_add_u32 v1, v86, 3, -8
	ds_read_b64 v[10:11], v1
.LBB1993_130:
	s_or_b64 exec, exec, s[4:5]
	s_waitcnt lgkmcnt(0)
	v_add_u32_e32 v9, v11, v7
	v_add_u32_e32 v1, v10, v6
	v_add_u32_e32 v6, -1, v85
	v_and_b32_e32 v7, 64, v85
	v_cmp_lt_i32_e32 vcc, v6, v7
	v_cndmask_b32_e32 v6, v6, v85, vcc
	v_lshlrev_b32_e32 v24, 2, v6
	ds_read_b64 v[6:7], v8 offset:24
	ds_bpermute_b32 v1, v24, v1
	ds_bpermute_b32 v24, v24, v9
	s_waitcnt lgkmcnt(2)
	v_readfirstlane_b32 s6, v7
	s_and_saveexec_b64 s[4:5], s[0:1]
	s_cbranch_execz .LBB1993_132
; %bb.131:
	s_add_u32 s8, s50, 0x400
	s_mov_b32 s10, 0
	s_addc_u32 s9, s51, 0
	s_and_b32 s11, s6, 0xff000000
	s_and_b32 s13, s6, 0xff0000
	s_mov_b32 s12, s10
	s_or_b64 s[12:13], s[12:13], s[10:11]
	s_and_b32 s11, s6, 0xff00
	s_or_b64 s[12:13], s[12:13], s[10:11]
	s_and_b32 s11, s6, 0xff
	s_or_b64 s[10:11], s[12:13], s[10:11]
	v_mov_b32_e32 v7, s11
	v_mov_b32_e32 v8, 2
	;; [unrolled: 1-line block ×3, first 2 shown]
	v_pk_mov_b32 v[26:27], s[8:9], s[8:9] op_sel:[0,1]
	;;#ASMSTART
	global_store_dwordx4 v[26:27], v[6:9] off	
s_waitcnt vmcnt(0)
	;;#ASMEND
.LBB1993_132:
	s_or_b64 exec, exec, s[4:5]
	v_cmp_eq_u32_e32 vcc, 0, v85
	s_waitcnt lgkmcnt(1)
	v_cndmask_b32_e32 v7, v1, v10, vcc
	s_waitcnt lgkmcnt(0)
	v_cndmask_b32_e32 v1, v24, v11, vcc
	v_mov_b32_e32 v8, 0
	v_cndmask_b32_e64 v1, v1, 0, s[0:1]
	v_cndmask_b32_e64 v10, v7, 0, s[0:1]
	s_barrier
	v_mov_b32_e32 v7, s6
	v_mov_b32_e32 v9, 0
.LBB1993_133:
	v_add_u32_e32 v11, v10, v67
	v_add_u32_e32 v26, v1, v68
	;; [unrolled: 1-line block ×13, first 2 shown]
	s_waitcnt vmcnt(0) lgkmcnt(0)
	v_add_co_u32_e32 v2, vcc, v2, v8
	v_add_u32_e32 v68, v62, v74
	v_add_u32_e32 v64, v67, v64
	v_addc_co_u32_e32 v3, vcc, 0, v3, vcc
	v_add_u32_e32 v69, v68, v82
	v_add_u32_e32 v70, v64, v75
	v_sub_co_u32_e32 v24, vcc, v4, v6
	v_add_u32_e32 v71, v69, v76
	v_add_u32_e32 v65, v70, v65
	v_subbrev_co_u32_e32 v25, vcc, 0, v5, vcc
	v_lshlrev_b32_e32 v76, 1, v6
	v_sub_u32_e32 v1, v1, v9
	v_add_u32_e32 v73, v65, v77
	v_add_co_u32_e32 v24, vcc, v24, v9
	v_add_u32_e32 v77, v76, v7
	v_sub_u32_e32 v10, v10, v8
	v_add_u32_e32 v1, v1, v6
	v_addc_co_u32_e32 v25, vcc, 0, v25, vcc
	v_add_u32_e32 v36, v77, v36
	v_and_b32_e32 v38, 1, v38
	v_add_u32_e32 v77, v10, v1
	v_and_b32_e32 v37, 1, v37
	v_sub_u32_e32 v77, v36, v77
	v_cmp_eq_u32_e32 vcc, 1, v38
	v_cndmask_b32_e32 v1, v77, v1, vcc
	v_cmp_eq_u32_e32 vcc, 1, v37
	v_cndmask_b32_e32 v1, v1, v10, vcc
	v_lshlrev_b32_e32 v1, 2, v1
	ds_write_b32 v1, v22
	v_sub_u32_e32 v1, v11, v8
	v_sub_u32_e32 v11, v26, v9
	v_add_u32_e32 v11, v11, v6
	v_add_u32_e32 v26, v11, v1
	v_and_b32_e32 v22, 1, v40
	v_sub_u32_e32 v26, v36, v26
	v_and_b32_e32 v10, 1, v39
	v_add_u32_e32 v26, 1, v26
	v_cmp_eq_u32_e32 vcc, 1, v22
	v_cndmask_b32_e32 v11, v26, v11, vcc
	v_cmp_eq_u32_e32 vcc, 1, v10
	v_cndmask_b32_e32 v1, v11, v1, vcc
	v_lshlrev_b32_e32 v1, 2, v1
	v_sub_u32_e32 v11, v27, v9
	ds_write_b32 v1, v23
	v_sub_u32_e32 v1, v28, v8
	v_add_u32_e32 v11, v11, v6
	v_add_u32_e32 v23, v11, v1
	v_and_b32_e32 v22, 1, v42
	v_sub_u32_e32 v23, v36, v23
	v_and_b32_e32 v10, 1, v41
	v_add_u32_e32 v23, 2, v23
	v_cmp_eq_u32_e32 vcc, 1, v22
	v_cndmask_b32_e32 v11, v23, v11, vcc
	v_cmp_eq_u32_e32 vcc, 1, v10
	v_cndmask_b32_e32 v1, v11, v1, vcc
	v_lshlrev_b32_e32 v1, 2, v1
	v_sub_u32_e32 v11, v30, v9
	ds_write_b32 v1, v20
	;; [unrolled: 14-line block ×8, first 2 shown]
	v_sub_u32_e32 v1, v70, v8
	v_add_u32_e32 v11, v11, v6
	v_add_u32_e32 v16, v1, v11
	v_and_b32_e32 v14, 1, v55
	v_sub_u32_e32 v16, v36, v16
	v_and_b32_e32 v10, 1, v56
	v_add_u32_e32 v16, 9, v16
	v_cmp_eq_u32_e32 vcc, 1, v14
	v_cndmask_b32_e32 v11, v16, v11, vcc
	v_cmp_eq_u32_e32 vcc, 1, v10
	v_add_u32_e32 v72, v71, v83
	v_cndmask_b32_e32 v1, v11, v1, vcc
	v_lshlrev_b32_e32 v1, 2, v1
	v_sub_u32_e32 v11, v72, v9
	ds_write_b32 v1, v15
	v_sub_u32_e32 v1, v65, v8
	v_add_u32_e32 v11, v11, v6
	v_add_u32_e32 v15, v1, v11
	v_and_b32_e32 v14, 1, v57
	v_sub_u32_e32 v15, v36, v15
	v_and_b32_e32 v10, 1, v58
	v_add_u32_e32 v15, 10, v15
	v_cmp_eq_u32_e32 vcc, 1, v14
	v_cndmask_b32_e32 v11, v15, v11, vcc
	v_cmp_eq_u32_e32 vcc, 1, v10
	v_add_u32_e32 v74, v72, v78
	v_cndmask_b32_e32 v1, v11, v1, vcc
	v_lshlrev_b32_e32 v1, 2, v1
	v_sub_u32_e32 v11, v74, v9
	ds_write_b32 v1, v12
	v_sub_u32_e32 v1, v73, v8
	v_add_u32_e32 v11, v11, v6
	v_add_u32_e32 v14, v1, v11
	v_and_b32_e32 v12, 1, v59
	v_sub_u32_e32 v14, v36, v14
	v_and_b32_e32 v10, 1, v60
	v_add_u32_e32 v14, 11, v14
	v_cmp_eq_u32_e32 vcc, 1, v12
	v_cndmask_b32_e32 v11, v14, v11, vcc
	v_cmp_eq_u32_e32 vcc, 1, v10
	v_cndmask_b32_e32 v1, v11, v1, vcc
	v_add_u32_e32 v75, v74, v84
	v_add_u32_e32 v66, v73, v66
	v_lshlrev_b32_e32 v1, 2, v1
	ds_write_b32 v1, v13
	v_sub_u32_e32 v1, v66, v8
	v_sub_u32_e32 v8, v75, v9
	v_add_u32_e32 v8, v8, v6
	v_add_u32_e32 v10, v1, v8
	v_sub_u32_e32 v10, v36, v10
	v_add_u32_e32 v10, 12, v10
	v_cndmask_b32_e64 v8, v10, v8, s[54:55]
	v_cndmask_b32_e64 v1, v8, v1, s[52:53]
	v_lshlrev_b32_e32 v1, 2, v1
	ds_write_b32 v1, v35
	v_mov_b32_e32 v1, s49
	v_add_co_u32_e32 v8, vcc, s48, v34
	v_addc_co_u32_e32 v10, vcc, 0, v1, vcc
	v_add_co_u32_e32 v1, vcc, v7, v76
	v_addc_co_u32_e64 v11, s[4:5], 0, 0, vcc
	v_add_co_u32_e32 v1, vcc, v1, v24
	v_addc_co_u32_e32 v11, vcc, v11, v25, vcc
	v_add_co_u32_e32 v1, vcc, v1, v2
	v_addc_co_u32_e32 v11, vcc, v11, v3, vcc
	v_sub_co_u32_e32 v1, vcc, v8, v1
	v_subb_co_u32_e32 v8, vcc, v10, v11, vcc
	v_lshlrev_b64 v[10:11], 2, v[24:25]
	v_mov_b32_e32 v12, s47
	v_add_co_u32_e32 v10, vcc, s46, v10
	v_addc_co_u32_e32 v11, vcc, v12, v11, vcc
	v_lshlrev_b64 v[12:13], 2, v[2:3]
	v_mov_b32_e32 v15, s45
	v_add_co_u32_e32 v12, vcc, s44, v12
	s_add_u32 s8, s34, -4
	v_addc_co_u32_e32 v13, vcc, v15, v13, vcc
	s_addc_u32 s9, s35, -1
	v_add_u32_e32 v14, v6, v7
	s_and_b64 vcc, exec, s[2:3]
	s_mov_b64 s[2:3], -1
	s_waitcnt lgkmcnt(0)
	s_barrier
	s_cbranch_vccz .LBB1993_137
; %bb.134:
	s_and_b64 vcc, exec, s[2:3]
	s_cbranch_vccnz .LBB1993_242
.LBB1993_135:
	s_and_b64 s[0:1], s[0:1], s[30:31]
	s_and_saveexec_b64 s[2:3], s[0:1]
	s_cbranch_execnz .LBB1993_360
.LBB1993_136:
	s_endpgm
.LBB1993_137:
	v_cmp_le_u32_e32 vcc, v6, v0
	s_and_saveexec_b64 s[2:3], vcc
	s_xor_b64 s[2:3], exec, s[2:3]
	s_cbranch_execz .LBB1993_143
; %bb.138:
	v_cmp_le_u32_e32 vcc, v14, v0
	s_and_saveexec_b64 s[4:5], vcc
	s_xor_b64 s[4:5], exec, s[4:5]
	s_cbranch_execz .LBB1993_140
; %bb.139:
	v_lshlrev_b32_e32 v15, 2, v0
	v_add_co_u32_e32 v16, vcc, v1, v0
	ds_read_b32 v15, v15
	v_addc_co_u32_e32 v17, vcc, 0, v8, vcc
	v_lshlrev_b64 v[16:17], 2, v[16:17]
	v_mov_b32_e32 v18, s35
	v_sub_co_u32_e32 v16, vcc, s34, v16
	v_subb_co_u32_e32 v17, vcc, v18, v17, vcc
	s_waitcnt lgkmcnt(0)
	global_store_dword v[16:17], v15, off offset:-4
.LBB1993_140:
	s_andn2_saveexec_b64 s[4:5], s[4:5]
	s_cbranch_execz .LBB1993_142
; %bb.141:
	v_lshlrev_b32_e32 v15, 2, v0
	ds_read_b32 v16, v15
	v_readfirstlane_b32 s6, v10
	v_readfirstlane_b32 s7, v11
	s_waitcnt lgkmcnt(0)
	s_nop 3
	global_store_dword v15, v16, s[6:7]
.LBB1993_142:
	s_or_b64 exec, exec, s[4:5]
.LBB1993_143:
	s_andn2_saveexec_b64 s[2:3], s[2:3]
	s_cbranch_execz .LBB1993_145
; %bb.144:
	v_lshlrev_b32_e32 v15, 2, v0
	ds_read_b32 v16, v15
	v_readfirstlane_b32 s4, v12
	v_readfirstlane_b32 s5, v13
	s_waitcnt lgkmcnt(0)
	s_nop 3
	global_store_dword v15, v16, s[4:5]
.LBB1993_145:
	s_or_b64 exec, exec, s[2:3]
	v_or_b32_e32 v15, 0x100, v0
	v_cmp_le_u32_e32 vcc, v6, v15
	s_and_saveexec_b64 s[2:3], vcc
	s_xor_b64 s[2:3], exec, s[2:3]
	s_cbranch_execz .LBB1993_151
; %bb.146:
	v_cmp_le_u32_e32 vcc, v14, v15
	s_and_saveexec_b64 s[4:5], vcc
	s_xor_b64 s[4:5], exec, s[4:5]
	s_cbranch_execz .LBB1993_148
; %bb.147:
	v_lshlrev_b32_e32 v15, 2, v0
	ds_read_b32 v15, v15 offset:1024
	v_add_co_u32_e32 v16, vcc, v1, v0
	v_addc_co_u32_e32 v17, vcc, 0, v8, vcc
	v_lshlrev_b64 v[16:17], 2, v[16:17]
	v_mov_b32_e32 v18, s9
	v_sub_co_u32_e32 v16, vcc, s8, v16
	v_subb_co_u32_e32 v17, vcc, v18, v17, vcc
	s_waitcnt lgkmcnt(0)
	global_store_dword v[16:17], v15, off offset:-1024
.LBB1993_148:
	s_andn2_saveexec_b64 s[4:5], s[4:5]
	s_cbranch_execz .LBB1993_150
; %bb.149:
	v_lshlrev_b32_e32 v15, 2, v0
	ds_read_b32 v16, v15 offset:1024
	v_readfirstlane_b32 s6, v10
	v_readfirstlane_b32 s7, v11
	s_waitcnt lgkmcnt(0)
	s_nop 3
	global_store_dword v15, v16, s[6:7] offset:1024
.LBB1993_150:
	s_or_b64 exec, exec, s[4:5]
.LBB1993_151:
	s_andn2_saveexec_b64 s[2:3], s[2:3]
	s_cbranch_execz .LBB1993_153
; %bb.152:
	v_lshlrev_b32_e32 v15, 2, v0
	ds_read_b32 v16, v15 offset:1024
	v_readfirstlane_b32 s4, v12
	v_readfirstlane_b32 s5, v13
	s_waitcnt lgkmcnt(0)
	s_nop 3
	global_store_dword v15, v16, s[4:5] offset:1024
.LBB1993_153:
	s_or_b64 exec, exec, s[2:3]
	v_or_b32_e32 v15, 0x200, v0
	v_cmp_le_u32_e32 vcc, v6, v15
	s_and_saveexec_b64 s[2:3], vcc
	s_xor_b64 s[2:3], exec, s[2:3]
	s_cbranch_execz .LBB1993_159
; %bb.154:
	v_cmp_le_u32_e32 vcc, v14, v15
	s_and_saveexec_b64 s[4:5], vcc
	s_xor_b64 s[4:5], exec, s[4:5]
	s_cbranch_execz .LBB1993_156
; %bb.155:
	v_lshlrev_b32_e32 v15, 2, v0
	ds_read_b32 v15, v15 offset:2048
	v_add_co_u32_e32 v16, vcc, v1, v0
	v_addc_co_u32_e32 v17, vcc, 0, v8, vcc
	v_lshlrev_b64 v[16:17], 2, v[16:17]
	v_mov_b32_e32 v18, s9
	v_sub_co_u32_e32 v16, vcc, s8, v16
	v_subb_co_u32_e32 v17, vcc, v18, v17, vcc
	s_waitcnt lgkmcnt(0)
	global_store_dword v[16:17], v15, off offset:-2048
.LBB1993_156:
	s_andn2_saveexec_b64 s[4:5], s[4:5]
	s_cbranch_execz .LBB1993_158
; %bb.157:
	v_lshlrev_b32_e32 v15, 2, v0
	ds_read_b32 v16, v15 offset:2048
	v_readfirstlane_b32 s6, v10
	v_readfirstlane_b32 s7, v11
	s_waitcnt lgkmcnt(0)
	s_nop 3
	global_store_dword v15, v16, s[6:7] offset:2048
.LBB1993_158:
	s_or_b64 exec, exec, s[4:5]
.LBB1993_159:
	s_andn2_saveexec_b64 s[2:3], s[2:3]
	s_cbranch_execz .LBB1993_161
; %bb.160:
	v_lshlrev_b32_e32 v15, 2, v0
	ds_read_b32 v16, v15 offset:2048
	v_readfirstlane_b32 s4, v12
	v_readfirstlane_b32 s5, v13
	s_waitcnt lgkmcnt(0)
	s_nop 3
	global_store_dword v15, v16, s[4:5] offset:2048
.LBB1993_161:
	;; [unrolled: 47-line block ×3, first 2 shown]
	s_or_b64 exec, exec, s[2:3]
	v_or_b32_e32 v15, 0x400, v0
	v_cmp_le_u32_e32 vcc, v6, v15
	s_and_saveexec_b64 s[2:3], vcc
	s_xor_b64 s[2:3], exec, s[2:3]
	s_cbranch_execz .LBB1993_175
; %bb.170:
	v_cmp_le_u32_e32 vcc, v14, v15
	s_and_saveexec_b64 s[4:5], vcc
	s_xor_b64 s[4:5], exec, s[4:5]
	s_cbranch_execz .LBB1993_172
; %bb.171:
	v_lshlrev_b32_e32 v15, 2, v0
	ds_read_b32 v15, v15 offset:4096
	v_add_co_u32_e32 v16, vcc, v1, v0
	v_addc_co_u32_e32 v17, vcc, 0, v8, vcc
	v_lshlrev_b64 v[16:17], 2, v[16:17]
	v_mov_b32_e32 v18, s9
	v_sub_co_u32_e32 v16, vcc, s8, v16
	v_subb_co_u32_e32 v17, vcc, v18, v17, vcc
	s_waitcnt lgkmcnt(0)
	global_store_dword v[16:17], v15, off offset:-4096
                                        ; implicit-def: $vgpr15
.LBB1993_172:
	s_andn2_saveexec_b64 s[4:5], s[4:5]
	s_cbranch_execz .LBB1993_174
; %bb.173:
	v_lshlrev_b32_e32 v16, 2, v0
	ds_read_b32 v16, v16 offset:4096
	v_lshlrev_b32_e32 v15, 2, v15
	v_readfirstlane_b32 s6, v10
	v_readfirstlane_b32 s7, v11
	s_waitcnt lgkmcnt(0)
	s_nop 3
	global_store_dword v15, v16, s[6:7]
.LBB1993_174:
	s_or_b64 exec, exec, s[4:5]
                                        ; implicit-def: $vgpr15
.LBB1993_175:
	s_andn2_saveexec_b64 s[2:3], s[2:3]
	s_cbranch_execz .LBB1993_177
; %bb.176:
	v_lshlrev_b32_e32 v16, 2, v0
	ds_read_b32 v16, v16 offset:4096
	v_lshlrev_b32_e32 v15, 2, v15
	v_readfirstlane_b32 s4, v12
	v_readfirstlane_b32 s5, v13
	s_waitcnt lgkmcnt(0)
	s_nop 3
	global_store_dword v15, v16, s[4:5]
.LBB1993_177:
	s_or_b64 exec, exec, s[2:3]
	v_or_b32_e32 v15, 0x500, v0
	v_cmp_le_u32_e32 vcc, v6, v15
	s_and_saveexec_b64 s[2:3], vcc
	s_xor_b64 s[2:3], exec, s[2:3]
	s_cbranch_execz .LBB1993_183
; %bb.178:
	v_cmp_le_u32_e32 vcc, v14, v15
	s_and_saveexec_b64 s[4:5], vcc
	s_xor_b64 s[4:5], exec, s[4:5]
	s_cbranch_execz .LBB1993_180
; %bb.179:
	v_add_co_u32_e32 v16, vcc, v1, v15
	v_lshlrev_b32_e32 v15, 2, v0
	ds_read_b32 v15, v15 offset:5120
	v_addc_co_u32_e32 v17, vcc, 0, v8, vcc
	v_lshlrev_b64 v[16:17], 2, v[16:17]
	v_mov_b32_e32 v18, s9
	v_sub_co_u32_e32 v16, vcc, s8, v16
	v_subb_co_u32_e32 v17, vcc, v18, v17, vcc
	s_waitcnt lgkmcnt(0)
	global_store_dword v[16:17], v15, off
                                        ; implicit-def: $vgpr15
.LBB1993_180:
	s_andn2_saveexec_b64 s[4:5], s[4:5]
	s_cbranch_execz .LBB1993_182
; %bb.181:
	v_lshlrev_b32_e32 v16, 2, v0
	ds_read_b32 v16, v16 offset:5120
	v_lshlrev_b32_e32 v15, 2, v15
	v_readfirstlane_b32 s6, v10
	v_readfirstlane_b32 s7, v11
	s_waitcnt lgkmcnt(0)
	s_nop 3
	global_store_dword v15, v16, s[6:7]
.LBB1993_182:
	s_or_b64 exec, exec, s[4:5]
                                        ; implicit-def: $vgpr15
.LBB1993_183:
	s_andn2_saveexec_b64 s[2:3], s[2:3]
	s_cbranch_execz .LBB1993_185
; %bb.184:
	v_lshlrev_b32_e32 v16, 2, v0
	ds_read_b32 v16, v16 offset:5120
	v_lshlrev_b32_e32 v15, 2, v15
	v_readfirstlane_b32 s4, v12
	v_readfirstlane_b32 s5, v13
	s_waitcnt lgkmcnt(0)
	s_nop 3
	global_store_dword v15, v16, s[4:5]
.LBB1993_185:
	s_or_b64 exec, exec, s[2:3]
	v_or_b32_e32 v15, 0x600, v0
	v_cmp_le_u32_e32 vcc, v6, v15
	s_and_saveexec_b64 s[2:3], vcc
	s_xor_b64 s[2:3], exec, s[2:3]
	s_cbranch_execz .LBB1993_191
; %bb.186:
	v_cmp_le_u32_e32 vcc, v14, v15
	s_and_saveexec_b64 s[4:5], vcc
	s_xor_b64 s[4:5], exec, s[4:5]
	s_cbranch_execz .LBB1993_188
; %bb.187:
	v_add_co_u32_e32 v16, vcc, v1, v15
	v_lshlrev_b32_e32 v15, 2, v0
	ds_read_b32 v15, v15 offset:6144
	v_addc_co_u32_e32 v17, vcc, 0, v8, vcc
	v_lshlrev_b64 v[16:17], 2, v[16:17]
	v_mov_b32_e32 v18, s9
	v_sub_co_u32_e32 v16, vcc, s8, v16
	v_subb_co_u32_e32 v17, vcc, v18, v17, vcc
	s_waitcnt lgkmcnt(0)
	global_store_dword v[16:17], v15, off
                                        ; implicit-def: $vgpr15
.LBB1993_188:
	s_andn2_saveexec_b64 s[4:5], s[4:5]
	s_cbranch_execz .LBB1993_190
; %bb.189:
	v_lshlrev_b32_e32 v16, 2, v0
	ds_read_b32 v16, v16 offset:6144
	v_lshlrev_b32_e32 v15, 2, v15
	v_readfirstlane_b32 s6, v10
	v_readfirstlane_b32 s7, v11
	s_waitcnt lgkmcnt(0)
	s_nop 3
	global_store_dword v15, v16, s[6:7]
.LBB1993_190:
	s_or_b64 exec, exec, s[4:5]
                                        ; implicit-def: $vgpr15
.LBB1993_191:
	;; [unrolled: 51-line block ×8, first 2 shown]
	s_andn2_saveexec_b64 s[2:3], s[2:3]
	s_cbranch_execz .LBB1993_241
; %bb.240:
	v_lshlrev_b32_e32 v16, 2, v0
	ds_read_b32 v16, v16 offset:12288
	v_lshlrev_b32_e32 v15, 2, v15
	v_readfirstlane_b32 s4, v12
	v_readfirstlane_b32 s5, v13
	s_waitcnt lgkmcnt(0)
	s_nop 3
	global_store_dword v15, v16, s[4:5]
.LBB1993_241:
	s_or_b64 exec, exec, s[2:3]
	s_branch .LBB1993_135
.LBB1993_242:
	v_cmp_gt_u32_e32 vcc, s16, v0
	s_and_saveexec_b64 s[2:3], vcc
	s_cbranch_execz .LBB1993_251
; %bb.243:
	v_cmp_le_u32_e32 vcc, v6, v0
	s_and_saveexec_b64 s[4:5], vcc
	s_xor_b64 s[4:5], exec, s[4:5]
	s_cbranch_execz .LBB1993_249
; %bb.244:
	v_cmp_le_u32_e32 vcc, v14, v0
	s_and_saveexec_b64 s[6:7], vcc
	s_xor_b64 s[6:7], exec, s[6:7]
	s_cbranch_execz .LBB1993_246
; %bb.245:
	v_lshlrev_b32_e32 v15, 2, v0
	v_add_co_u32_e32 v16, vcc, v1, v0
	ds_read_b32 v15, v15
	v_addc_co_u32_e32 v17, vcc, 0, v8, vcc
	v_lshlrev_b64 v[16:17], 2, v[16:17]
	v_mov_b32_e32 v18, s35
	v_sub_co_u32_e32 v16, vcc, s34, v16
	v_subb_co_u32_e32 v17, vcc, v18, v17, vcc
	s_waitcnt lgkmcnt(0)
	global_store_dword v[16:17], v15, off offset:-4
.LBB1993_246:
	s_andn2_saveexec_b64 s[6:7], s[6:7]
	s_cbranch_execz .LBB1993_248
; %bb.247:
	v_lshlrev_b32_e32 v15, 2, v0
	ds_read_b32 v16, v15
	v_readfirstlane_b32 s10, v10
	v_readfirstlane_b32 s11, v11
	s_waitcnt lgkmcnt(0)
	s_nop 3
	global_store_dword v15, v16, s[10:11]
.LBB1993_248:
	s_or_b64 exec, exec, s[6:7]
.LBB1993_249:
	s_andn2_saveexec_b64 s[4:5], s[4:5]
	s_cbranch_execz .LBB1993_251
; %bb.250:
	v_lshlrev_b32_e32 v15, 2, v0
	ds_read_b32 v16, v15
	v_readfirstlane_b32 s4, v12
	v_readfirstlane_b32 s5, v13
	s_waitcnt lgkmcnt(0)
	s_nop 3
	global_store_dword v15, v16, s[4:5]
.LBB1993_251:
	s_or_b64 exec, exec, s[2:3]
	v_or_b32_e32 v15, 0x100, v0
	v_cmp_gt_u32_e32 vcc, s16, v15
	s_and_saveexec_b64 s[2:3], vcc
	s_cbranch_execz .LBB1993_260
; %bb.252:
	v_cmp_le_u32_e32 vcc, v6, v15
	s_and_saveexec_b64 s[4:5], vcc
	s_xor_b64 s[4:5], exec, s[4:5]
	s_cbranch_execz .LBB1993_258
; %bb.253:
	v_cmp_le_u32_e32 vcc, v14, v15
	s_and_saveexec_b64 s[6:7], vcc
	s_xor_b64 s[6:7], exec, s[6:7]
	s_cbranch_execz .LBB1993_255
; %bb.254:
	v_lshlrev_b32_e32 v15, 2, v0
	ds_read_b32 v15, v15 offset:1024
	v_add_co_u32_e32 v16, vcc, v1, v0
	v_addc_co_u32_e32 v17, vcc, 0, v8, vcc
	v_lshlrev_b64 v[16:17], 2, v[16:17]
	v_mov_b32_e32 v18, s9
	v_sub_co_u32_e32 v16, vcc, s8, v16
	v_subb_co_u32_e32 v17, vcc, v18, v17, vcc
	s_waitcnt lgkmcnt(0)
	global_store_dword v[16:17], v15, off offset:-1024
.LBB1993_255:
	s_andn2_saveexec_b64 s[6:7], s[6:7]
	s_cbranch_execz .LBB1993_257
; %bb.256:
	v_lshlrev_b32_e32 v15, 2, v0
	ds_read_b32 v16, v15 offset:1024
	v_readfirstlane_b32 s10, v10
	v_readfirstlane_b32 s11, v11
	s_waitcnt lgkmcnt(0)
	s_nop 3
	global_store_dword v15, v16, s[10:11] offset:1024
.LBB1993_257:
	s_or_b64 exec, exec, s[6:7]
.LBB1993_258:
	s_andn2_saveexec_b64 s[4:5], s[4:5]
	s_cbranch_execz .LBB1993_260
; %bb.259:
	v_lshlrev_b32_e32 v15, 2, v0
	ds_read_b32 v16, v15 offset:1024
	v_readfirstlane_b32 s4, v12
	v_readfirstlane_b32 s5, v13
	s_waitcnt lgkmcnt(0)
	s_nop 3
	global_store_dword v15, v16, s[4:5] offset:1024
.LBB1993_260:
	s_or_b64 exec, exec, s[2:3]
	v_or_b32_e32 v15, 0x200, v0
	v_cmp_gt_u32_e32 vcc, s16, v15
	s_and_saveexec_b64 s[2:3], vcc
	s_cbranch_execz .LBB1993_269
; %bb.261:
	v_cmp_le_u32_e32 vcc, v6, v15
	s_and_saveexec_b64 s[4:5], vcc
	s_xor_b64 s[4:5], exec, s[4:5]
	s_cbranch_execz .LBB1993_267
; %bb.262:
	v_cmp_le_u32_e32 vcc, v14, v15
	s_and_saveexec_b64 s[6:7], vcc
	s_xor_b64 s[6:7], exec, s[6:7]
	s_cbranch_execz .LBB1993_264
; %bb.263:
	v_lshlrev_b32_e32 v15, 2, v0
	ds_read_b32 v15, v15 offset:2048
	v_add_co_u32_e32 v16, vcc, v1, v0
	v_addc_co_u32_e32 v17, vcc, 0, v8, vcc
	v_lshlrev_b64 v[16:17], 2, v[16:17]
	v_mov_b32_e32 v18, s9
	v_sub_co_u32_e32 v16, vcc, s8, v16
	v_subb_co_u32_e32 v17, vcc, v18, v17, vcc
	s_waitcnt lgkmcnt(0)
	global_store_dword v[16:17], v15, off offset:-2048
.LBB1993_264:
	s_andn2_saveexec_b64 s[6:7], s[6:7]
	s_cbranch_execz .LBB1993_266
; %bb.265:
	v_lshlrev_b32_e32 v15, 2, v0
	ds_read_b32 v16, v15 offset:2048
	v_readfirstlane_b32 s10, v10
	v_readfirstlane_b32 s11, v11
	s_waitcnt lgkmcnt(0)
	s_nop 3
	global_store_dword v15, v16, s[10:11] offset:2048
.LBB1993_266:
	s_or_b64 exec, exec, s[6:7]
.LBB1993_267:
	s_andn2_saveexec_b64 s[4:5], s[4:5]
	s_cbranch_execz .LBB1993_269
; %bb.268:
	v_lshlrev_b32_e32 v15, 2, v0
	ds_read_b32 v16, v15 offset:2048
	v_readfirstlane_b32 s4, v12
	v_readfirstlane_b32 s5, v13
	s_waitcnt lgkmcnt(0)
	s_nop 3
	global_store_dword v15, v16, s[4:5] offset:2048
.LBB1993_269:
	;; [unrolled: 51-line block ×3, first 2 shown]
	s_or_b64 exec, exec, s[2:3]
	v_or_b32_e32 v15, 0x400, v0
	v_cmp_gt_u32_e32 vcc, s16, v15
	s_and_saveexec_b64 s[2:3], vcc
	s_cbranch_execz .LBB1993_287
; %bb.279:
	v_cmp_le_u32_e32 vcc, v6, v15
	s_and_saveexec_b64 s[4:5], vcc
	s_xor_b64 s[4:5], exec, s[4:5]
	s_cbranch_execz .LBB1993_285
; %bb.280:
	v_cmp_le_u32_e32 vcc, v14, v15
	s_and_saveexec_b64 s[6:7], vcc
	s_xor_b64 s[6:7], exec, s[6:7]
	s_cbranch_execz .LBB1993_282
; %bb.281:
	v_lshlrev_b32_e32 v15, 2, v0
	ds_read_b32 v15, v15 offset:4096
	v_add_co_u32_e32 v16, vcc, v1, v0
	v_addc_co_u32_e32 v17, vcc, 0, v8, vcc
	v_lshlrev_b64 v[16:17], 2, v[16:17]
	v_mov_b32_e32 v18, s9
	v_sub_co_u32_e32 v16, vcc, s8, v16
	v_subb_co_u32_e32 v17, vcc, v18, v17, vcc
	s_waitcnt lgkmcnt(0)
	global_store_dword v[16:17], v15, off offset:-4096
                                        ; implicit-def: $vgpr15
.LBB1993_282:
	s_andn2_saveexec_b64 s[6:7], s[6:7]
	s_cbranch_execz .LBB1993_284
; %bb.283:
	v_lshlrev_b32_e32 v16, 2, v0
	ds_read_b32 v16, v16 offset:4096
	v_lshlrev_b32_e32 v15, 2, v15
	v_readfirstlane_b32 s10, v10
	v_readfirstlane_b32 s11, v11
	s_waitcnt lgkmcnt(0)
	s_nop 3
	global_store_dword v15, v16, s[10:11]
.LBB1993_284:
	s_or_b64 exec, exec, s[6:7]
                                        ; implicit-def: $vgpr15
.LBB1993_285:
	s_andn2_saveexec_b64 s[4:5], s[4:5]
	s_cbranch_execz .LBB1993_287
; %bb.286:
	v_lshlrev_b32_e32 v16, 2, v0
	ds_read_b32 v16, v16 offset:4096
	v_lshlrev_b32_e32 v15, 2, v15
	v_readfirstlane_b32 s4, v12
	v_readfirstlane_b32 s5, v13
	s_waitcnt lgkmcnt(0)
	s_nop 3
	global_store_dword v15, v16, s[4:5]
.LBB1993_287:
	s_or_b64 exec, exec, s[2:3]
	v_or_b32_e32 v15, 0x500, v0
	v_cmp_gt_u32_e32 vcc, s16, v15
	s_and_saveexec_b64 s[2:3], vcc
	s_cbranch_execz .LBB1993_296
; %bb.288:
	v_cmp_le_u32_e32 vcc, v6, v15
	s_and_saveexec_b64 s[4:5], vcc
	s_xor_b64 s[4:5], exec, s[4:5]
	s_cbranch_execz .LBB1993_294
; %bb.289:
	v_cmp_le_u32_e32 vcc, v14, v15
	s_and_saveexec_b64 s[6:7], vcc
	s_xor_b64 s[6:7], exec, s[6:7]
	s_cbranch_execz .LBB1993_291
; %bb.290:
	v_add_co_u32_e32 v16, vcc, v1, v15
	v_lshlrev_b32_e32 v15, 2, v0
	ds_read_b32 v15, v15 offset:5120
	v_addc_co_u32_e32 v17, vcc, 0, v8, vcc
	v_lshlrev_b64 v[16:17], 2, v[16:17]
	v_mov_b32_e32 v18, s9
	v_sub_co_u32_e32 v16, vcc, s8, v16
	v_subb_co_u32_e32 v17, vcc, v18, v17, vcc
	s_waitcnt lgkmcnt(0)
	global_store_dword v[16:17], v15, off
                                        ; implicit-def: $vgpr15
.LBB1993_291:
	s_andn2_saveexec_b64 s[6:7], s[6:7]
	s_cbranch_execz .LBB1993_293
; %bb.292:
	v_lshlrev_b32_e32 v16, 2, v0
	ds_read_b32 v16, v16 offset:5120
	v_lshlrev_b32_e32 v15, 2, v15
	v_readfirstlane_b32 s10, v10
	v_readfirstlane_b32 s11, v11
	s_waitcnt lgkmcnt(0)
	s_nop 3
	global_store_dword v15, v16, s[10:11]
.LBB1993_293:
	s_or_b64 exec, exec, s[6:7]
                                        ; implicit-def: $vgpr15
.LBB1993_294:
	s_andn2_saveexec_b64 s[4:5], s[4:5]
	s_cbranch_execz .LBB1993_296
; %bb.295:
	v_lshlrev_b32_e32 v16, 2, v0
	ds_read_b32 v16, v16 offset:5120
	v_lshlrev_b32_e32 v15, 2, v15
	v_readfirstlane_b32 s4, v12
	v_readfirstlane_b32 s5, v13
	s_waitcnt lgkmcnt(0)
	s_nop 3
	global_store_dword v15, v16, s[4:5]
.LBB1993_296:
	s_or_b64 exec, exec, s[2:3]
	v_or_b32_e32 v15, 0x600, v0
	v_cmp_gt_u32_e32 vcc, s16, v15
	s_and_saveexec_b64 s[2:3], vcc
	s_cbranch_execz .LBB1993_305
; %bb.297:
	v_cmp_le_u32_e32 vcc, v6, v15
	s_and_saveexec_b64 s[4:5], vcc
	s_xor_b64 s[4:5], exec, s[4:5]
	s_cbranch_execz .LBB1993_303
; %bb.298:
	v_cmp_le_u32_e32 vcc, v14, v15
	s_and_saveexec_b64 s[6:7], vcc
	s_xor_b64 s[6:7], exec, s[6:7]
	s_cbranch_execz .LBB1993_300
; %bb.299:
	v_add_co_u32_e32 v16, vcc, v1, v15
	v_lshlrev_b32_e32 v15, 2, v0
	ds_read_b32 v15, v15 offset:6144
	v_addc_co_u32_e32 v17, vcc, 0, v8, vcc
	v_lshlrev_b64 v[16:17], 2, v[16:17]
	v_mov_b32_e32 v18, s9
	v_sub_co_u32_e32 v16, vcc, s8, v16
	v_subb_co_u32_e32 v17, vcc, v18, v17, vcc
	s_waitcnt lgkmcnt(0)
	global_store_dword v[16:17], v15, off
                                        ; implicit-def: $vgpr15
.LBB1993_300:
	s_andn2_saveexec_b64 s[6:7], s[6:7]
	s_cbranch_execz .LBB1993_302
; %bb.301:
	v_lshlrev_b32_e32 v16, 2, v0
	ds_read_b32 v16, v16 offset:6144
	v_lshlrev_b32_e32 v15, 2, v15
	v_readfirstlane_b32 s10, v10
	v_readfirstlane_b32 s11, v11
	s_waitcnt lgkmcnt(0)
	s_nop 3
	global_store_dword v15, v16, s[10:11]
.LBB1993_302:
	s_or_b64 exec, exec, s[6:7]
                                        ; implicit-def: $vgpr15
.LBB1993_303:
	s_andn2_saveexec_b64 s[4:5], s[4:5]
	s_cbranch_execz .LBB1993_305
; %bb.304:
	v_lshlrev_b32_e32 v16, 2, v0
	ds_read_b32 v16, v16 offset:6144
	v_lshlrev_b32_e32 v15, 2, v15
	v_readfirstlane_b32 s4, v12
	v_readfirstlane_b32 s5, v13
	s_waitcnt lgkmcnt(0)
	s_nop 3
	global_store_dword v15, v16, s[4:5]
.LBB1993_305:
	;; [unrolled: 55-line block ×7, first 2 shown]
	s_or_b64 exec, exec, s[2:3]
	v_or_b32_e32 v15, 0xc00, v0
	v_cmp_gt_u32_e32 vcc, s16, v15
	s_and_saveexec_b64 s[2:3], vcc
	s_cbranch_execz .LBB1993_359
; %bb.351:
	v_cmp_le_u32_e32 vcc, v6, v15
	s_and_saveexec_b64 s[4:5], vcc
	s_xor_b64 s[4:5], exec, s[4:5]
	s_cbranch_execz .LBB1993_357
; %bb.352:
	v_cmp_le_u32_e32 vcc, v14, v15
	s_and_saveexec_b64 s[6:7], vcc
	s_xor_b64 s[6:7], exec, s[6:7]
	s_cbranch_execz .LBB1993_354
; %bb.353:
	v_add_co_u32_e32 v10, vcc, v1, v15
	v_lshlrev_b32_e32 v0, 2, v0
	v_addc_co_u32_e32 v11, vcc, 0, v8, vcc
	ds_read_b32 v8, v0 offset:12288
	v_lshlrev_b64 v[0:1], 2, v[10:11]
	v_mov_b32_e32 v10, s9
	v_sub_co_u32_e32 v0, vcc, s8, v0
	v_subb_co_u32_e32 v1, vcc, v10, v1, vcc
	s_waitcnt lgkmcnt(0)
	global_store_dword v[0:1], v8, off
                                        ; implicit-def: $vgpr0
                                        ; implicit-def: $vgpr15
                                        ; implicit-def: $vgpr10_vgpr11
.LBB1993_354:
	s_andn2_saveexec_b64 s[6:7], s[6:7]
	s_cbranch_execz .LBB1993_356
; %bb.355:
	v_lshlrev_b32_e32 v0, 2, v0
	ds_read_b32 v0, v0 offset:12288
	v_lshlrev_b32_e32 v1, 2, v15
	v_readfirstlane_b32 s8, v10
	v_readfirstlane_b32 s9, v11
	s_waitcnt lgkmcnt(0)
	s_nop 3
	global_store_dword v1, v0, s[8:9]
.LBB1993_356:
	s_or_b64 exec, exec, s[6:7]
                                        ; implicit-def: $vgpr0
                                        ; implicit-def: $vgpr15
                                        ; implicit-def: $vgpr12_vgpr13
.LBB1993_357:
	s_andn2_saveexec_b64 s[4:5], s[4:5]
	s_cbranch_execz .LBB1993_359
; %bb.358:
	v_lshlrev_b32_e32 v0, 2, v0
	ds_read_b32 v0, v0 offset:12288
	v_lshlrev_b32_e32 v1, 2, v15
	v_readfirstlane_b32 s4, v12
	v_readfirstlane_b32 s5, v13
	s_waitcnt lgkmcnt(0)
	s_nop 3
	global_store_dword v1, v0, s[4:5]
.LBB1993_359:
	s_or_b64 exec, exec, s[2:3]
	s_and_b64 s[0:1], s[0:1], s[30:31]
	s_and_saveexec_b64 s[2:3], s[0:1]
	s_cbranch_execz .LBB1993_136
.LBB1993_360:
	v_add_co_u32_e32 v0, vcc, v2, v6
	v_addc_co_u32_e32 v1, vcc, 0, v3, vcc
	v_add_co_u32_e32 v2, vcc, v4, v7
	v_addc_co_u32_e32 v3, vcc, 0, v5, vcc
	v_add_co_u32_e32 v2, vcc, v2, v9
	v_mov_b32_e32 v8, 0
	v_addc_co_u32_e32 v3, vcc, 0, v3, vcc
	global_store_dwordx4 v8, v[0:3], s[28:29]
	s_endpgm
	.section	.rodata,"a",@progbits
	.p2align	6, 0x0
	.amdhsa_kernel _ZN7rocprim17ROCPRIM_400000_NS6detail17trampoline_kernelINS0_13select_configILj256ELj13ELNS0_17block_load_methodE3ELS4_3ELS4_3ELNS0_20block_scan_algorithmE0ELj4294967295EEENS1_25partition_config_selectorILNS1_17partition_subalgoE4EjNS0_10empty_typeEbEEZZNS1_14partition_implILS8_4ELb0ES6_15HIP_vector_typeIjLj2EENS0_17counting_iteratorIjlEEPS9_SG_NS0_5tupleIJPjSI_NS0_16reverse_iteratorISI_EEEEENSH_IJSG_SG_SG_EEES9_SI_JZNS1_25segmented_radix_sort_implINS0_14default_configELb0EPK12hip_bfloat16PSP_PKlPlN2at6native12_GLOBAL__N_18offset_tEEE10hipError_tPvRmT1_PNSt15iterator_traitsIS13_E10value_typeET2_T3_PNS14_IS19_E10value_typeET4_jRbjT5_S1F_jjP12ihipStream_tbEUljE_ZNSN_ISO_Lb0ESR_SS_SU_SV_SZ_EES10_S11_S12_S13_S17_S18_S19_S1C_S1D_jS1E_jS1F_S1F_jjS1H_bEUljE0_EEES10_S11_S12_S19_S1D_S1F_T6_T7_T9_mT8_S1H_bDpT10_ENKUlT_T0_E_clISt17integral_constantIbLb1EES1V_EEDaS1Q_S1R_EUlS1Q_E_NS1_11comp_targetILNS1_3genE4ELNS1_11target_archE910ELNS1_3gpuE8ELNS1_3repE0EEENS1_30default_config_static_selectorELNS0_4arch9wavefront6targetE1EEEvS13_
		.amdhsa_group_segment_fixed_size 13340
		.amdhsa_private_segment_fixed_size 0
		.amdhsa_kernarg_size 184
		.amdhsa_user_sgpr_count 6
		.amdhsa_user_sgpr_private_segment_buffer 1
		.amdhsa_user_sgpr_dispatch_ptr 0
		.amdhsa_user_sgpr_queue_ptr 0
		.amdhsa_user_sgpr_kernarg_segment_ptr 1
		.amdhsa_user_sgpr_dispatch_id 0
		.amdhsa_user_sgpr_flat_scratch_init 0
		.amdhsa_user_sgpr_kernarg_preload_length 0
		.amdhsa_user_sgpr_kernarg_preload_offset 0
		.amdhsa_user_sgpr_private_segment_size 0
		.amdhsa_uses_dynamic_stack 0
		.amdhsa_system_sgpr_private_segment_wavefront_offset 0
		.amdhsa_system_sgpr_workgroup_id_x 1
		.amdhsa_system_sgpr_workgroup_id_y 0
		.amdhsa_system_sgpr_workgroup_id_z 0
		.amdhsa_system_sgpr_workgroup_info 0
		.amdhsa_system_vgpr_workitem_id 0
		.amdhsa_next_free_vgpr 107
		.amdhsa_next_free_sgpr 87
		.amdhsa_accum_offset 108
		.amdhsa_reserve_vcc 1
		.amdhsa_reserve_flat_scratch 0
		.amdhsa_float_round_mode_32 0
		.amdhsa_float_round_mode_16_64 0
		.amdhsa_float_denorm_mode_32 3
		.amdhsa_float_denorm_mode_16_64 3
		.amdhsa_dx10_clamp 1
		.amdhsa_ieee_mode 1
		.amdhsa_fp16_overflow 0
		.amdhsa_tg_split 0
		.amdhsa_exception_fp_ieee_invalid_op 0
		.amdhsa_exception_fp_denorm_src 0
		.amdhsa_exception_fp_ieee_div_zero 0
		.amdhsa_exception_fp_ieee_overflow 0
		.amdhsa_exception_fp_ieee_underflow 0
		.amdhsa_exception_fp_ieee_inexact 0
		.amdhsa_exception_int_div_zero 0
	.end_amdhsa_kernel
	.section	.text._ZN7rocprim17ROCPRIM_400000_NS6detail17trampoline_kernelINS0_13select_configILj256ELj13ELNS0_17block_load_methodE3ELS4_3ELS4_3ELNS0_20block_scan_algorithmE0ELj4294967295EEENS1_25partition_config_selectorILNS1_17partition_subalgoE4EjNS0_10empty_typeEbEEZZNS1_14partition_implILS8_4ELb0ES6_15HIP_vector_typeIjLj2EENS0_17counting_iteratorIjlEEPS9_SG_NS0_5tupleIJPjSI_NS0_16reverse_iteratorISI_EEEEENSH_IJSG_SG_SG_EEES9_SI_JZNS1_25segmented_radix_sort_implINS0_14default_configELb0EPK12hip_bfloat16PSP_PKlPlN2at6native12_GLOBAL__N_18offset_tEEE10hipError_tPvRmT1_PNSt15iterator_traitsIS13_E10value_typeET2_T3_PNS14_IS19_E10value_typeET4_jRbjT5_S1F_jjP12ihipStream_tbEUljE_ZNSN_ISO_Lb0ESR_SS_SU_SV_SZ_EES10_S11_S12_S13_S17_S18_S19_S1C_S1D_jS1E_jS1F_S1F_jjS1H_bEUljE0_EEES10_S11_S12_S19_S1D_S1F_T6_T7_T9_mT8_S1H_bDpT10_ENKUlT_T0_E_clISt17integral_constantIbLb1EES1V_EEDaS1Q_S1R_EUlS1Q_E_NS1_11comp_targetILNS1_3genE4ELNS1_11target_archE910ELNS1_3gpuE8ELNS1_3repE0EEENS1_30default_config_static_selectorELNS0_4arch9wavefront6targetE1EEEvS13_,"axG",@progbits,_ZN7rocprim17ROCPRIM_400000_NS6detail17trampoline_kernelINS0_13select_configILj256ELj13ELNS0_17block_load_methodE3ELS4_3ELS4_3ELNS0_20block_scan_algorithmE0ELj4294967295EEENS1_25partition_config_selectorILNS1_17partition_subalgoE4EjNS0_10empty_typeEbEEZZNS1_14partition_implILS8_4ELb0ES6_15HIP_vector_typeIjLj2EENS0_17counting_iteratorIjlEEPS9_SG_NS0_5tupleIJPjSI_NS0_16reverse_iteratorISI_EEEEENSH_IJSG_SG_SG_EEES9_SI_JZNS1_25segmented_radix_sort_implINS0_14default_configELb0EPK12hip_bfloat16PSP_PKlPlN2at6native12_GLOBAL__N_18offset_tEEE10hipError_tPvRmT1_PNSt15iterator_traitsIS13_E10value_typeET2_T3_PNS14_IS19_E10value_typeET4_jRbjT5_S1F_jjP12ihipStream_tbEUljE_ZNSN_ISO_Lb0ESR_SS_SU_SV_SZ_EES10_S11_S12_S13_S17_S18_S19_S1C_S1D_jS1E_jS1F_S1F_jjS1H_bEUljE0_EEES10_S11_S12_S19_S1D_S1F_T6_T7_T9_mT8_S1H_bDpT10_ENKUlT_T0_E_clISt17integral_constantIbLb1EES1V_EEDaS1Q_S1R_EUlS1Q_E_NS1_11comp_targetILNS1_3genE4ELNS1_11target_archE910ELNS1_3gpuE8ELNS1_3repE0EEENS1_30default_config_static_selectorELNS0_4arch9wavefront6targetE1EEEvS13_,comdat
.Lfunc_end1993:
	.size	_ZN7rocprim17ROCPRIM_400000_NS6detail17trampoline_kernelINS0_13select_configILj256ELj13ELNS0_17block_load_methodE3ELS4_3ELS4_3ELNS0_20block_scan_algorithmE0ELj4294967295EEENS1_25partition_config_selectorILNS1_17partition_subalgoE4EjNS0_10empty_typeEbEEZZNS1_14partition_implILS8_4ELb0ES6_15HIP_vector_typeIjLj2EENS0_17counting_iteratorIjlEEPS9_SG_NS0_5tupleIJPjSI_NS0_16reverse_iteratorISI_EEEEENSH_IJSG_SG_SG_EEES9_SI_JZNS1_25segmented_radix_sort_implINS0_14default_configELb0EPK12hip_bfloat16PSP_PKlPlN2at6native12_GLOBAL__N_18offset_tEEE10hipError_tPvRmT1_PNSt15iterator_traitsIS13_E10value_typeET2_T3_PNS14_IS19_E10value_typeET4_jRbjT5_S1F_jjP12ihipStream_tbEUljE_ZNSN_ISO_Lb0ESR_SS_SU_SV_SZ_EES10_S11_S12_S13_S17_S18_S19_S1C_S1D_jS1E_jS1F_S1F_jjS1H_bEUljE0_EEES10_S11_S12_S19_S1D_S1F_T6_T7_T9_mT8_S1H_bDpT10_ENKUlT_T0_E_clISt17integral_constantIbLb1EES1V_EEDaS1Q_S1R_EUlS1Q_E_NS1_11comp_targetILNS1_3genE4ELNS1_11target_archE910ELNS1_3gpuE8ELNS1_3repE0EEENS1_30default_config_static_selectorELNS0_4arch9wavefront6targetE1EEEvS13_, .Lfunc_end1993-_ZN7rocprim17ROCPRIM_400000_NS6detail17trampoline_kernelINS0_13select_configILj256ELj13ELNS0_17block_load_methodE3ELS4_3ELS4_3ELNS0_20block_scan_algorithmE0ELj4294967295EEENS1_25partition_config_selectorILNS1_17partition_subalgoE4EjNS0_10empty_typeEbEEZZNS1_14partition_implILS8_4ELb0ES6_15HIP_vector_typeIjLj2EENS0_17counting_iteratorIjlEEPS9_SG_NS0_5tupleIJPjSI_NS0_16reverse_iteratorISI_EEEEENSH_IJSG_SG_SG_EEES9_SI_JZNS1_25segmented_radix_sort_implINS0_14default_configELb0EPK12hip_bfloat16PSP_PKlPlN2at6native12_GLOBAL__N_18offset_tEEE10hipError_tPvRmT1_PNSt15iterator_traitsIS13_E10value_typeET2_T3_PNS14_IS19_E10value_typeET4_jRbjT5_S1F_jjP12ihipStream_tbEUljE_ZNSN_ISO_Lb0ESR_SS_SU_SV_SZ_EES10_S11_S12_S13_S17_S18_S19_S1C_S1D_jS1E_jS1F_S1F_jjS1H_bEUljE0_EEES10_S11_S12_S19_S1D_S1F_T6_T7_T9_mT8_S1H_bDpT10_ENKUlT_T0_E_clISt17integral_constantIbLb1EES1V_EEDaS1Q_S1R_EUlS1Q_E_NS1_11comp_targetILNS1_3genE4ELNS1_11target_archE910ELNS1_3gpuE8ELNS1_3repE0EEENS1_30default_config_static_selectorELNS0_4arch9wavefront6targetE1EEEvS13_
                                        ; -- End function
	.section	.AMDGPU.csdata,"",@progbits
; Kernel info:
; codeLenInByte = 13512
; NumSgprs: 91
; NumVgprs: 107
; NumAgprs: 0
; TotalNumVgprs: 107
; ScratchSize: 0
; MemoryBound: 0
; FloatMode: 240
; IeeeMode: 1
; LDSByteSize: 13340 bytes/workgroup (compile time only)
; SGPRBlocks: 11
; VGPRBlocks: 13
; NumSGPRsForWavesPerEU: 91
; NumVGPRsForWavesPerEU: 107
; AccumOffset: 108
; Occupancy: 4
; WaveLimiterHint : 1
; COMPUTE_PGM_RSRC2:SCRATCH_EN: 0
; COMPUTE_PGM_RSRC2:USER_SGPR: 6
; COMPUTE_PGM_RSRC2:TRAP_HANDLER: 0
; COMPUTE_PGM_RSRC2:TGID_X_EN: 1
; COMPUTE_PGM_RSRC2:TGID_Y_EN: 0
; COMPUTE_PGM_RSRC2:TGID_Z_EN: 0
; COMPUTE_PGM_RSRC2:TIDIG_COMP_CNT: 0
; COMPUTE_PGM_RSRC3_GFX90A:ACCUM_OFFSET: 26
; COMPUTE_PGM_RSRC3_GFX90A:TG_SPLIT: 0
	.section	.text._ZN7rocprim17ROCPRIM_400000_NS6detail17trampoline_kernelINS0_13select_configILj256ELj13ELNS0_17block_load_methodE3ELS4_3ELS4_3ELNS0_20block_scan_algorithmE0ELj4294967295EEENS1_25partition_config_selectorILNS1_17partition_subalgoE4EjNS0_10empty_typeEbEEZZNS1_14partition_implILS8_4ELb0ES6_15HIP_vector_typeIjLj2EENS0_17counting_iteratorIjlEEPS9_SG_NS0_5tupleIJPjSI_NS0_16reverse_iteratorISI_EEEEENSH_IJSG_SG_SG_EEES9_SI_JZNS1_25segmented_radix_sort_implINS0_14default_configELb0EPK12hip_bfloat16PSP_PKlPlN2at6native12_GLOBAL__N_18offset_tEEE10hipError_tPvRmT1_PNSt15iterator_traitsIS13_E10value_typeET2_T3_PNS14_IS19_E10value_typeET4_jRbjT5_S1F_jjP12ihipStream_tbEUljE_ZNSN_ISO_Lb0ESR_SS_SU_SV_SZ_EES10_S11_S12_S13_S17_S18_S19_S1C_S1D_jS1E_jS1F_S1F_jjS1H_bEUljE0_EEES10_S11_S12_S19_S1D_S1F_T6_T7_T9_mT8_S1H_bDpT10_ENKUlT_T0_E_clISt17integral_constantIbLb1EES1V_EEDaS1Q_S1R_EUlS1Q_E_NS1_11comp_targetILNS1_3genE3ELNS1_11target_archE908ELNS1_3gpuE7ELNS1_3repE0EEENS1_30default_config_static_selectorELNS0_4arch9wavefront6targetE1EEEvS13_,"axG",@progbits,_ZN7rocprim17ROCPRIM_400000_NS6detail17trampoline_kernelINS0_13select_configILj256ELj13ELNS0_17block_load_methodE3ELS4_3ELS4_3ELNS0_20block_scan_algorithmE0ELj4294967295EEENS1_25partition_config_selectorILNS1_17partition_subalgoE4EjNS0_10empty_typeEbEEZZNS1_14partition_implILS8_4ELb0ES6_15HIP_vector_typeIjLj2EENS0_17counting_iteratorIjlEEPS9_SG_NS0_5tupleIJPjSI_NS0_16reverse_iteratorISI_EEEEENSH_IJSG_SG_SG_EEES9_SI_JZNS1_25segmented_radix_sort_implINS0_14default_configELb0EPK12hip_bfloat16PSP_PKlPlN2at6native12_GLOBAL__N_18offset_tEEE10hipError_tPvRmT1_PNSt15iterator_traitsIS13_E10value_typeET2_T3_PNS14_IS19_E10value_typeET4_jRbjT5_S1F_jjP12ihipStream_tbEUljE_ZNSN_ISO_Lb0ESR_SS_SU_SV_SZ_EES10_S11_S12_S13_S17_S18_S19_S1C_S1D_jS1E_jS1F_S1F_jjS1H_bEUljE0_EEES10_S11_S12_S19_S1D_S1F_T6_T7_T9_mT8_S1H_bDpT10_ENKUlT_T0_E_clISt17integral_constantIbLb1EES1V_EEDaS1Q_S1R_EUlS1Q_E_NS1_11comp_targetILNS1_3genE3ELNS1_11target_archE908ELNS1_3gpuE7ELNS1_3repE0EEENS1_30default_config_static_selectorELNS0_4arch9wavefront6targetE1EEEvS13_,comdat
	.globl	_ZN7rocprim17ROCPRIM_400000_NS6detail17trampoline_kernelINS0_13select_configILj256ELj13ELNS0_17block_load_methodE3ELS4_3ELS4_3ELNS0_20block_scan_algorithmE0ELj4294967295EEENS1_25partition_config_selectorILNS1_17partition_subalgoE4EjNS0_10empty_typeEbEEZZNS1_14partition_implILS8_4ELb0ES6_15HIP_vector_typeIjLj2EENS0_17counting_iteratorIjlEEPS9_SG_NS0_5tupleIJPjSI_NS0_16reverse_iteratorISI_EEEEENSH_IJSG_SG_SG_EEES9_SI_JZNS1_25segmented_radix_sort_implINS0_14default_configELb0EPK12hip_bfloat16PSP_PKlPlN2at6native12_GLOBAL__N_18offset_tEEE10hipError_tPvRmT1_PNSt15iterator_traitsIS13_E10value_typeET2_T3_PNS14_IS19_E10value_typeET4_jRbjT5_S1F_jjP12ihipStream_tbEUljE_ZNSN_ISO_Lb0ESR_SS_SU_SV_SZ_EES10_S11_S12_S13_S17_S18_S19_S1C_S1D_jS1E_jS1F_S1F_jjS1H_bEUljE0_EEES10_S11_S12_S19_S1D_S1F_T6_T7_T9_mT8_S1H_bDpT10_ENKUlT_T0_E_clISt17integral_constantIbLb1EES1V_EEDaS1Q_S1R_EUlS1Q_E_NS1_11comp_targetILNS1_3genE3ELNS1_11target_archE908ELNS1_3gpuE7ELNS1_3repE0EEENS1_30default_config_static_selectorELNS0_4arch9wavefront6targetE1EEEvS13_ ; -- Begin function _ZN7rocprim17ROCPRIM_400000_NS6detail17trampoline_kernelINS0_13select_configILj256ELj13ELNS0_17block_load_methodE3ELS4_3ELS4_3ELNS0_20block_scan_algorithmE0ELj4294967295EEENS1_25partition_config_selectorILNS1_17partition_subalgoE4EjNS0_10empty_typeEbEEZZNS1_14partition_implILS8_4ELb0ES6_15HIP_vector_typeIjLj2EENS0_17counting_iteratorIjlEEPS9_SG_NS0_5tupleIJPjSI_NS0_16reverse_iteratorISI_EEEEENSH_IJSG_SG_SG_EEES9_SI_JZNS1_25segmented_radix_sort_implINS0_14default_configELb0EPK12hip_bfloat16PSP_PKlPlN2at6native12_GLOBAL__N_18offset_tEEE10hipError_tPvRmT1_PNSt15iterator_traitsIS13_E10value_typeET2_T3_PNS14_IS19_E10value_typeET4_jRbjT5_S1F_jjP12ihipStream_tbEUljE_ZNSN_ISO_Lb0ESR_SS_SU_SV_SZ_EES10_S11_S12_S13_S17_S18_S19_S1C_S1D_jS1E_jS1F_S1F_jjS1H_bEUljE0_EEES10_S11_S12_S19_S1D_S1F_T6_T7_T9_mT8_S1H_bDpT10_ENKUlT_T0_E_clISt17integral_constantIbLb1EES1V_EEDaS1Q_S1R_EUlS1Q_E_NS1_11comp_targetILNS1_3genE3ELNS1_11target_archE908ELNS1_3gpuE7ELNS1_3repE0EEENS1_30default_config_static_selectorELNS0_4arch9wavefront6targetE1EEEvS13_
	.p2align	8
	.type	_ZN7rocprim17ROCPRIM_400000_NS6detail17trampoline_kernelINS0_13select_configILj256ELj13ELNS0_17block_load_methodE3ELS4_3ELS4_3ELNS0_20block_scan_algorithmE0ELj4294967295EEENS1_25partition_config_selectorILNS1_17partition_subalgoE4EjNS0_10empty_typeEbEEZZNS1_14partition_implILS8_4ELb0ES6_15HIP_vector_typeIjLj2EENS0_17counting_iteratorIjlEEPS9_SG_NS0_5tupleIJPjSI_NS0_16reverse_iteratorISI_EEEEENSH_IJSG_SG_SG_EEES9_SI_JZNS1_25segmented_radix_sort_implINS0_14default_configELb0EPK12hip_bfloat16PSP_PKlPlN2at6native12_GLOBAL__N_18offset_tEEE10hipError_tPvRmT1_PNSt15iterator_traitsIS13_E10value_typeET2_T3_PNS14_IS19_E10value_typeET4_jRbjT5_S1F_jjP12ihipStream_tbEUljE_ZNSN_ISO_Lb0ESR_SS_SU_SV_SZ_EES10_S11_S12_S13_S17_S18_S19_S1C_S1D_jS1E_jS1F_S1F_jjS1H_bEUljE0_EEES10_S11_S12_S19_S1D_S1F_T6_T7_T9_mT8_S1H_bDpT10_ENKUlT_T0_E_clISt17integral_constantIbLb1EES1V_EEDaS1Q_S1R_EUlS1Q_E_NS1_11comp_targetILNS1_3genE3ELNS1_11target_archE908ELNS1_3gpuE7ELNS1_3repE0EEENS1_30default_config_static_selectorELNS0_4arch9wavefront6targetE1EEEvS13_,@function
_ZN7rocprim17ROCPRIM_400000_NS6detail17trampoline_kernelINS0_13select_configILj256ELj13ELNS0_17block_load_methodE3ELS4_3ELS4_3ELNS0_20block_scan_algorithmE0ELj4294967295EEENS1_25partition_config_selectorILNS1_17partition_subalgoE4EjNS0_10empty_typeEbEEZZNS1_14partition_implILS8_4ELb0ES6_15HIP_vector_typeIjLj2EENS0_17counting_iteratorIjlEEPS9_SG_NS0_5tupleIJPjSI_NS0_16reverse_iteratorISI_EEEEENSH_IJSG_SG_SG_EEES9_SI_JZNS1_25segmented_radix_sort_implINS0_14default_configELb0EPK12hip_bfloat16PSP_PKlPlN2at6native12_GLOBAL__N_18offset_tEEE10hipError_tPvRmT1_PNSt15iterator_traitsIS13_E10value_typeET2_T3_PNS14_IS19_E10value_typeET4_jRbjT5_S1F_jjP12ihipStream_tbEUljE_ZNSN_ISO_Lb0ESR_SS_SU_SV_SZ_EES10_S11_S12_S13_S17_S18_S19_S1C_S1D_jS1E_jS1F_S1F_jjS1H_bEUljE0_EEES10_S11_S12_S19_S1D_S1F_T6_T7_T9_mT8_S1H_bDpT10_ENKUlT_T0_E_clISt17integral_constantIbLb1EES1V_EEDaS1Q_S1R_EUlS1Q_E_NS1_11comp_targetILNS1_3genE3ELNS1_11target_archE908ELNS1_3gpuE7ELNS1_3repE0EEENS1_30default_config_static_selectorELNS0_4arch9wavefront6targetE1EEEvS13_: ; @_ZN7rocprim17ROCPRIM_400000_NS6detail17trampoline_kernelINS0_13select_configILj256ELj13ELNS0_17block_load_methodE3ELS4_3ELS4_3ELNS0_20block_scan_algorithmE0ELj4294967295EEENS1_25partition_config_selectorILNS1_17partition_subalgoE4EjNS0_10empty_typeEbEEZZNS1_14partition_implILS8_4ELb0ES6_15HIP_vector_typeIjLj2EENS0_17counting_iteratorIjlEEPS9_SG_NS0_5tupleIJPjSI_NS0_16reverse_iteratorISI_EEEEENSH_IJSG_SG_SG_EEES9_SI_JZNS1_25segmented_radix_sort_implINS0_14default_configELb0EPK12hip_bfloat16PSP_PKlPlN2at6native12_GLOBAL__N_18offset_tEEE10hipError_tPvRmT1_PNSt15iterator_traitsIS13_E10value_typeET2_T3_PNS14_IS19_E10value_typeET4_jRbjT5_S1F_jjP12ihipStream_tbEUljE_ZNSN_ISO_Lb0ESR_SS_SU_SV_SZ_EES10_S11_S12_S13_S17_S18_S19_S1C_S1D_jS1E_jS1F_S1F_jjS1H_bEUljE0_EEES10_S11_S12_S19_S1D_S1F_T6_T7_T9_mT8_S1H_bDpT10_ENKUlT_T0_E_clISt17integral_constantIbLb1EES1V_EEDaS1Q_S1R_EUlS1Q_E_NS1_11comp_targetILNS1_3genE3ELNS1_11target_archE908ELNS1_3gpuE7ELNS1_3repE0EEENS1_30default_config_static_selectorELNS0_4arch9wavefront6targetE1EEEvS13_
; %bb.0:
	.section	.rodata,"a",@progbits
	.p2align	6, 0x0
	.amdhsa_kernel _ZN7rocprim17ROCPRIM_400000_NS6detail17trampoline_kernelINS0_13select_configILj256ELj13ELNS0_17block_load_methodE3ELS4_3ELS4_3ELNS0_20block_scan_algorithmE0ELj4294967295EEENS1_25partition_config_selectorILNS1_17partition_subalgoE4EjNS0_10empty_typeEbEEZZNS1_14partition_implILS8_4ELb0ES6_15HIP_vector_typeIjLj2EENS0_17counting_iteratorIjlEEPS9_SG_NS0_5tupleIJPjSI_NS0_16reverse_iteratorISI_EEEEENSH_IJSG_SG_SG_EEES9_SI_JZNS1_25segmented_radix_sort_implINS0_14default_configELb0EPK12hip_bfloat16PSP_PKlPlN2at6native12_GLOBAL__N_18offset_tEEE10hipError_tPvRmT1_PNSt15iterator_traitsIS13_E10value_typeET2_T3_PNS14_IS19_E10value_typeET4_jRbjT5_S1F_jjP12ihipStream_tbEUljE_ZNSN_ISO_Lb0ESR_SS_SU_SV_SZ_EES10_S11_S12_S13_S17_S18_S19_S1C_S1D_jS1E_jS1F_S1F_jjS1H_bEUljE0_EEES10_S11_S12_S19_S1D_S1F_T6_T7_T9_mT8_S1H_bDpT10_ENKUlT_T0_E_clISt17integral_constantIbLb1EES1V_EEDaS1Q_S1R_EUlS1Q_E_NS1_11comp_targetILNS1_3genE3ELNS1_11target_archE908ELNS1_3gpuE7ELNS1_3repE0EEENS1_30default_config_static_selectorELNS0_4arch9wavefront6targetE1EEEvS13_
		.amdhsa_group_segment_fixed_size 0
		.amdhsa_private_segment_fixed_size 0
		.amdhsa_kernarg_size 184
		.amdhsa_user_sgpr_count 6
		.amdhsa_user_sgpr_private_segment_buffer 1
		.amdhsa_user_sgpr_dispatch_ptr 0
		.amdhsa_user_sgpr_queue_ptr 0
		.amdhsa_user_sgpr_kernarg_segment_ptr 1
		.amdhsa_user_sgpr_dispatch_id 0
		.amdhsa_user_sgpr_flat_scratch_init 0
		.amdhsa_user_sgpr_kernarg_preload_length 0
		.amdhsa_user_sgpr_kernarg_preload_offset 0
		.amdhsa_user_sgpr_private_segment_size 0
		.amdhsa_uses_dynamic_stack 0
		.amdhsa_system_sgpr_private_segment_wavefront_offset 0
		.amdhsa_system_sgpr_workgroup_id_x 1
		.amdhsa_system_sgpr_workgroup_id_y 0
		.amdhsa_system_sgpr_workgroup_id_z 0
		.amdhsa_system_sgpr_workgroup_info 0
		.amdhsa_system_vgpr_workitem_id 0
		.amdhsa_next_free_vgpr 1
		.amdhsa_next_free_sgpr 0
		.amdhsa_accum_offset 4
		.amdhsa_reserve_vcc 0
		.amdhsa_reserve_flat_scratch 0
		.amdhsa_float_round_mode_32 0
		.amdhsa_float_round_mode_16_64 0
		.amdhsa_float_denorm_mode_32 3
		.amdhsa_float_denorm_mode_16_64 3
		.amdhsa_dx10_clamp 1
		.amdhsa_ieee_mode 1
		.amdhsa_fp16_overflow 0
		.amdhsa_tg_split 0
		.amdhsa_exception_fp_ieee_invalid_op 0
		.amdhsa_exception_fp_denorm_src 0
		.amdhsa_exception_fp_ieee_div_zero 0
		.amdhsa_exception_fp_ieee_overflow 0
		.amdhsa_exception_fp_ieee_underflow 0
		.amdhsa_exception_fp_ieee_inexact 0
		.amdhsa_exception_int_div_zero 0
	.end_amdhsa_kernel
	.section	.text._ZN7rocprim17ROCPRIM_400000_NS6detail17trampoline_kernelINS0_13select_configILj256ELj13ELNS0_17block_load_methodE3ELS4_3ELS4_3ELNS0_20block_scan_algorithmE0ELj4294967295EEENS1_25partition_config_selectorILNS1_17partition_subalgoE4EjNS0_10empty_typeEbEEZZNS1_14partition_implILS8_4ELb0ES6_15HIP_vector_typeIjLj2EENS0_17counting_iteratorIjlEEPS9_SG_NS0_5tupleIJPjSI_NS0_16reverse_iteratorISI_EEEEENSH_IJSG_SG_SG_EEES9_SI_JZNS1_25segmented_radix_sort_implINS0_14default_configELb0EPK12hip_bfloat16PSP_PKlPlN2at6native12_GLOBAL__N_18offset_tEEE10hipError_tPvRmT1_PNSt15iterator_traitsIS13_E10value_typeET2_T3_PNS14_IS19_E10value_typeET4_jRbjT5_S1F_jjP12ihipStream_tbEUljE_ZNSN_ISO_Lb0ESR_SS_SU_SV_SZ_EES10_S11_S12_S13_S17_S18_S19_S1C_S1D_jS1E_jS1F_S1F_jjS1H_bEUljE0_EEES10_S11_S12_S19_S1D_S1F_T6_T7_T9_mT8_S1H_bDpT10_ENKUlT_T0_E_clISt17integral_constantIbLb1EES1V_EEDaS1Q_S1R_EUlS1Q_E_NS1_11comp_targetILNS1_3genE3ELNS1_11target_archE908ELNS1_3gpuE7ELNS1_3repE0EEENS1_30default_config_static_selectorELNS0_4arch9wavefront6targetE1EEEvS13_,"axG",@progbits,_ZN7rocprim17ROCPRIM_400000_NS6detail17trampoline_kernelINS0_13select_configILj256ELj13ELNS0_17block_load_methodE3ELS4_3ELS4_3ELNS0_20block_scan_algorithmE0ELj4294967295EEENS1_25partition_config_selectorILNS1_17partition_subalgoE4EjNS0_10empty_typeEbEEZZNS1_14partition_implILS8_4ELb0ES6_15HIP_vector_typeIjLj2EENS0_17counting_iteratorIjlEEPS9_SG_NS0_5tupleIJPjSI_NS0_16reverse_iteratorISI_EEEEENSH_IJSG_SG_SG_EEES9_SI_JZNS1_25segmented_radix_sort_implINS0_14default_configELb0EPK12hip_bfloat16PSP_PKlPlN2at6native12_GLOBAL__N_18offset_tEEE10hipError_tPvRmT1_PNSt15iterator_traitsIS13_E10value_typeET2_T3_PNS14_IS19_E10value_typeET4_jRbjT5_S1F_jjP12ihipStream_tbEUljE_ZNSN_ISO_Lb0ESR_SS_SU_SV_SZ_EES10_S11_S12_S13_S17_S18_S19_S1C_S1D_jS1E_jS1F_S1F_jjS1H_bEUljE0_EEES10_S11_S12_S19_S1D_S1F_T6_T7_T9_mT8_S1H_bDpT10_ENKUlT_T0_E_clISt17integral_constantIbLb1EES1V_EEDaS1Q_S1R_EUlS1Q_E_NS1_11comp_targetILNS1_3genE3ELNS1_11target_archE908ELNS1_3gpuE7ELNS1_3repE0EEENS1_30default_config_static_selectorELNS0_4arch9wavefront6targetE1EEEvS13_,comdat
.Lfunc_end1994:
	.size	_ZN7rocprim17ROCPRIM_400000_NS6detail17trampoline_kernelINS0_13select_configILj256ELj13ELNS0_17block_load_methodE3ELS4_3ELS4_3ELNS0_20block_scan_algorithmE0ELj4294967295EEENS1_25partition_config_selectorILNS1_17partition_subalgoE4EjNS0_10empty_typeEbEEZZNS1_14partition_implILS8_4ELb0ES6_15HIP_vector_typeIjLj2EENS0_17counting_iteratorIjlEEPS9_SG_NS0_5tupleIJPjSI_NS0_16reverse_iteratorISI_EEEEENSH_IJSG_SG_SG_EEES9_SI_JZNS1_25segmented_radix_sort_implINS0_14default_configELb0EPK12hip_bfloat16PSP_PKlPlN2at6native12_GLOBAL__N_18offset_tEEE10hipError_tPvRmT1_PNSt15iterator_traitsIS13_E10value_typeET2_T3_PNS14_IS19_E10value_typeET4_jRbjT5_S1F_jjP12ihipStream_tbEUljE_ZNSN_ISO_Lb0ESR_SS_SU_SV_SZ_EES10_S11_S12_S13_S17_S18_S19_S1C_S1D_jS1E_jS1F_S1F_jjS1H_bEUljE0_EEES10_S11_S12_S19_S1D_S1F_T6_T7_T9_mT8_S1H_bDpT10_ENKUlT_T0_E_clISt17integral_constantIbLb1EES1V_EEDaS1Q_S1R_EUlS1Q_E_NS1_11comp_targetILNS1_3genE3ELNS1_11target_archE908ELNS1_3gpuE7ELNS1_3repE0EEENS1_30default_config_static_selectorELNS0_4arch9wavefront6targetE1EEEvS13_, .Lfunc_end1994-_ZN7rocprim17ROCPRIM_400000_NS6detail17trampoline_kernelINS0_13select_configILj256ELj13ELNS0_17block_load_methodE3ELS4_3ELS4_3ELNS0_20block_scan_algorithmE0ELj4294967295EEENS1_25partition_config_selectorILNS1_17partition_subalgoE4EjNS0_10empty_typeEbEEZZNS1_14partition_implILS8_4ELb0ES6_15HIP_vector_typeIjLj2EENS0_17counting_iteratorIjlEEPS9_SG_NS0_5tupleIJPjSI_NS0_16reverse_iteratorISI_EEEEENSH_IJSG_SG_SG_EEES9_SI_JZNS1_25segmented_radix_sort_implINS0_14default_configELb0EPK12hip_bfloat16PSP_PKlPlN2at6native12_GLOBAL__N_18offset_tEEE10hipError_tPvRmT1_PNSt15iterator_traitsIS13_E10value_typeET2_T3_PNS14_IS19_E10value_typeET4_jRbjT5_S1F_jjP12ihipStream_tbEUljE_ZNSN_ISO_Lb0ESR_SS_SU_SV_SZ_EES10_S11_S12_S13_S17_S18_S19_S1C_S1D_jS1E_jS1F_S1F_jjS1H_bEUljE0_EEES10_S11_S12_S19_S1D_S1F_T6_T7_T9_mT8_S1H_bDpT10_ENKUlT_T0_E_clISt17integral_constantIbLb1EES1V_EEDaS1Q_S1R_EUlS1Q_E_NS1_11comp_targetILNS1_3genE3ELNS1_11target_archE908ELNS1_3gpuE7ELNS1_3repE0EEENS1_30default_config_static_selectorELNS0_4arch9wavefront6targetE1EEEvS13_
                                        ; -- End function
	.section	.AMDGPU.csdata,"",@progbits
; Kernel info:
; codeLenInByte = 0
; NumSgprs: 4
; NumVgprs: 0
; NumAgprs: 0
; TotalNumVgprs: 0
; ScratchSize: 0
; MemoryBound: 0
; FloatMode: 240
; IeeeMode: 1
; LDSByteSize: 0 bytes/workgroup (compile time only)
; SGPRBlocks: 0
; VGPRBlocks: 0
; NumSGPRsForWavesPerEU: 4
; NumVGPRsForWavesPerEU: 1
; AccumOffset: 4
; Occupancy: 8
; WaveLimiterHint : 0
; COMPUTE_PGM_RSRC2:SCRATCH_EN: 0
; COMPUTE_PGM_RSRC2:USER_SGPR: 6
; COMPUTE_PGM_RSRC2:TRAP_HANDLER: 0
; COMPUTE_PGM_RSRC2:TGID_X_EN: 1
; COMPUTE_PGM_RSRC2:TGID_Y_EN: 0
; COMPUTE_PGM_RSRC2:TGID_Z_EN: 0
; COMPUTE_PGM_RSRC2:TIDIG_COMP_CNT: 0
; COMPUTE_PGM_RSRC3_GFX90A:ACCUM_OFFSET: 0
; COMPUTE_PGM_RSRC3_GFX90A:TG_SPLIT: 0
	.section	.text._ZN7rocprim17ROCPRIM_400000_NS6detail17trampoline_kernelINS0_13select_configILj256ELj13ELNS0_17block_load_methodE3ELS4_3ELS4_3ELNS0_20block_scan_algorithmE0ELj4294967295EEENS1_25partition_config_selectorILNS1_17partition_subalgoE4EjNS0_10empty_typeEbEEZZNS1_14partition_implILS8_4ELb0ES6_15HIP_vector_typeIjLj2EENS0_17counting_iteratorIjlEEPS9_SG_NS0_5tupleIJPjSI_NS0_16reverse_iteratorISI_EEEEENSH_IJSG_SG_SG_EEES9_SI_JZNS1_25segmented_radix_sort_implINS0_14default_configELb0EPK12hip_bfloat16PSP_PKlPlN2at6native12_GLOBAL__N_18offset_tEEE10hipError_tPvRmT1_PNSt15iterator_traitsIS13_E10value_typeET2_T3_PNS14_IS19_E10value_typeET4_jRbjT5_S1F_jjP12ihipStream_tbEUljE_ZNSN_ISO_Lb0ESR_SS_SU_SV_SZ_EES10_S11_S12_S13_S17_S18_S19_S1C_S1D_jS1E_jS1F_S1F_jjS1H_bEUljE0_EEES10_S11_S12_S19_S1D_S1F_T6_T7_T9_mT8_S1H_bDpT10_ENKUlT_T0_E_clISt17integral_constantIbLb1EES1V_EEDaS1Q_S1R_EUlS1Q_E_NS1_11comp_targetILNS1_3genE2ELNS1_11target_archE906ELNS1_3gpuE6ELNS1_3repE0EEENS1_30default_config_static_selectorELNS0_4arch9wavefront6targetE1EEEvS13_,"axG",@progbits,_ZN7rocprim17ROCPRIM_400000_NS6detail17trampoline_kernelINS0_13select_configILj256ELj13ELNS0_17block_load_methodE3ELS4_3ELS4_3ELNS0_20block_scan_algorithmE0ELj4294967295EEENS1_25partition_config_selectorILNS1_17partition_subalgoE4EjNS0_10empty_typeEbEEZZNS1_14partition_implILS8_4ELb0ES6_15HIP_vector_typeIjLj2EENS0_17counting_iteratorIjlEEPS9_SG_NS0_5tupleIJPjSI_NS0_16reverse_iteratorISI_EEEEENSH_IJSG_SG_SG_EEES9_SI_JZNS1_25segmented_radix_sort_implINS0_14default_configELb0EPK12hip_bfloat16PSP_PKlPlN2at6native12_GLOBAL__N_18offset_tEEE10hipError_tPvRmT1_PNSt15iterator_traitsIS13_E10value_typeET2_T3_PNS14_IS19_E10value_typeET4_jRbjT5_S1F_jjP12ihipStream_tbEUljE_ZNSN_ISO_Lb0ESR_SS_SU_SV_SZ_EES10_S11_S12_S13_S17_S18_S19_S1C_S1D_jS1E_jS1F_S1F_jjS1H_bEUljE0_EEES10_S11_S12_S19_S1D_S1F_T6_T7_T9_mT8_S1H_bDpT10_ENKUlT_T0_E_clISt17integral_constantIbLb1EES1V_EEDaS1Q_S1R_EUlS1Q_E_NS1_11comp_targetILNS1_3genE2ELNS1_11target_archE906ELNS1_3gpuE6ELNS1_3repE0EEENS1_30default_config_static_selectorELNS0_4arch9wavefront6targetE1EEEvS13_,comdat
	.globl	_ZN7rocprim17ROCPRIM_400000_NS6detail17trampoline_kernelINS0_13select_configILj256ELj13ELNS0_17block_load_methodE3ELS4_3ELS4_3ELNS0_20block_scan_algorithmE0ELj4294967295EEENS1_25partition_config_selectorILNS1_17partition_subalgoE4EjNS0_10empty_typeEbEEZZNS1_14partition_implILS8_4ELb0ES6_15HIP_vector_typeIjLj2EENS0_17counting_iteratorIjlEEPS9_SG_NS0_5tupleIJPjSI_NS0_16reverse_iteratorISI_EEEEENSH_IJSG_SG_SG_EEES9_SI_JZNS1_25segmented_radix_sort_implINS0_14default_configELb0EPK12hip_bfloat16PSP_PKlPlN2at6native12_GLOBAL__N_18offset_tEEE10hipError_tPvRmT1_PNSt15iterator_traitsIS13_E10value_typeET2_T3_PNS14_IS19_E10value_typeET4_jRbjT5_S1F_jjP12ihipStream_tbEUljE_ZNSN_ISO_Lb0ESR_SS_SU_SV_SZ_EES10_S11_S12_S13_S17_S18_S19_S1C_S1D_jS1E_jS1F_S1F_jjS1H_bEUljE0_EEES10_S11_S12_S19_S1D_S1F_T6_T7_T9_mT8_S1H_bDpT10_ENKUlT_T0_E_clISt17integral_constantIbLb1EES1V_EEDaS1Q_S1R_EUlS1Q_E_NS1_11comp_targetILNS1_3genE2ELNS1_11target_archE906ELNS1_3gpuE6ELNS1_3repE0EEENS1_30default_config_static_selectorELNS0_4arch9wavefront6targetE1EEEvS13_ ; -- Begin function _ZN7rocprim17ROCPRIM_400000_NS6detail17trampoline_kernelINS0_13select_configILj256ELj13ELNS0_17block_load_methodE3ELS4_3ELS4_3ELNS0_20block_scan_algorithmE0ELj4294967295EEENS1_25partition_config_selectorILNS1_17partition_subalgoE4EjNS0_10empty_typeEbEEZZNS1_14partition_implILS8_4ELb0ES6_15HIP_vector_typeIjLj2EENS0_17counting_iteratorIjlEEPS9_SG_NS0_5tupleIJPjSI_NS0_16reverse_iteratorISI_EEEEENSH_IJSG_SG_SG_EEES9_SI_JZNS1_25segmented_radix_sort_implINS0_14default_configELb0EPK12hip_bfloat16PSP_PKlPlN2at6native12_GLOBAL__N_18offset_tEEE10hipError_tPvRmT1_PNSt15iterator_traitsIS13_E10value_typeET2_T3_PNS14_IS19_E10value_typeET4_jRbjT5_S1F_jjP12ihipStream_tbEUljE_ZNSN_ISO_Lb0ESR_SS_SU_SV_SZ_EES10_S11_S12_S13_S17_S18_S19_S1C_S1D_jS1E_jS1F_S1F_jjS1H_bEUljE0_EEES10_S11_S12_S19_S1D_S1F_T6_T7_T9_mT8_S1H_bDpT10_ENKUlT_T0_E_clISt17integral_constantIbLb1EES1V_EEDaS1Q_S1R_EUlS1Q_E_NS1_11comp_targetILNS1_3genE2ELNS1_11target_archE906ELNS1_3gpuE6ELNS1_3repE0EEENS1_30default_config_static_selectorELNS0_4arch9wavefront6targetE1EEEvS13_
	.p2align	8
	.type	_ZN7rocprim17ROCPRIM_400000_NS6detail17trampoline_kernelINS0_13select_configILj256ELj13ELNS0_17block_load_methodE3ELS4_3ELS4_3ELNS0_20block_scan_algorithmE0ELj4294967295EEENS1_25partition_config_selectorILNS1_17partition_subalgoE4EjNS0_10empty_typeEbEEZZNS1_14partition_implILS8_4ELb0ES6_15HIP_vector_typeIjLj2EENS0_17counting_iteratorIjlEEPS9_SG_NS0_5tupleIJPjSI_NS0_16reverse_iteratorISI_EEEEENSH_IJSG_SG_SG_EEES9_SI_JZNS1_25segmented_radix_sort_implINS0_14default_configELb0EPK12hip_bfloat16PSP_PKlPlN2at6native12_GLOBAL__N_18offset_tEEE10hipError_tPvRmT1_PNSt15iterator_traitsIS13_E10value_typeET2_T3_PNS14_IS19_E10value_typeET4_jRbjT5_S1F_jjP12ihipStream_tbEUljE_ZNSN_ISO_Lb0ESR_SS_SU_SV_SZ_EES10_S11_S12_S13_S17_S18_S19_S1C_S1D_jS1E_jS1F_S1F_jjS1H_bEUljE0_EEES10_S11_S12_S19_S1D_S1F_T6_T7_T9_mT8_S1H_bDpT10_ENKUlT_T0_E_clISt17integral_constantIbLb1EES1V_EEDaS1Q_S1R_EUlS1Q_E_NS1_11comp_targetILNS1_3genE2ELNS1_11target_archE906ELNS1_3gpuE6ELNS1_3repE0EEENS1_30default_config_static_selectorELNS0_4arch9wavefront6targetE1EEEvS13_,@function
_ZN7rocprim17ROCPRIM_400000_NS6detail17trampoline_kernelINS0_13select_configILj256ELj13ELNS0_17block_load_methodE3ELS4_3ELS4_3ELNS0_20block_scan_algorithmE0ELj4294967295EEENS1_25partition_config_selectorILNS1_17partition_subalgoE4EjNS0_10empty_typeEbEEZZNS1_14partition_implILS8_4ELb0ES6_15HIP_vector_typeIjLj2EENS0_17counting_iteratorIjlEEPS9_SG_NS0_5tupleIJPjSI_NS0_16reverse_iteratorISI_EEEEENSH_IJSG_SG_SG_EEES9_SI_JZNS1_25segmented_radix_sort_implINS0_14default_configELb0EPK12hip_bfloat16PSP_PKlPlN2at6native12_GLOBAL__N_18offset_tEEE10hipError_tPvRmT1_PNSt15iterator_traitsIS13_E10value_typeET2_T3_PNS14_IS19_E10value_typeET4_jRbjT5_S1F_jjP12ihipStream_tbEUljE_ZNSN_ISO_Lb0ESR_SS_SU_SV_SZ_EES10_S11_S12_S13_S17_S18_S19_S1C_S1D_jS1E_jS1F_S1F_jjS1H_bEUljE0_EEES10_S11_S12_S19_S1D_S1F_T6_T7_T9_mT8_S1H_bDpT10_ENKUlT_T0_E_clISt17integral_constantIbLb1EES1V_EEDaS1Q_S1R_EUlS1Q_E_NS1_11comp_targetILNS1_3genE2ELNS1_11target_archE906ELNS1_3gpuE6ELNS1_3repE0EEENS1_30default_config_static_selectorELNS0_4arch9wavefront6targetE1EEEvS13_: ; @_ZN7rocprim17ROCPRIM_400000_NS6detail17trampoline_kernelINS0_13select_configILj256ELj13ELNS0_17block_load_methodE3ELS4_3ELS4_3ELNS0_20block_scan_algorithmE0ELj4294967295EEENS1_25partition_config_selectorILNS1_17partition_subalgoE4EjNS0_10empty_typeEbEEZZNS1_14partition_implILS8_4ELb0ES6_15HIP_vector_typeIjLj2EENS0_17counting_iteratorIjlEEPS9_SG_NS0_5tupleIJPjSI_NS0_16reverse_iteratorISI_EEEEENSH_IJSG_SG_SG_EEES9_SI_JZNS1_25segmented_radix_sort_implINS0_14default_configELb0EPK12hip_bfloat16PSP_PKlPlN2at6native12_GLOBAL__N_18offset_tEEE10hipError_tPvRmT1_PNSt15iterator_traitsIS13_E10value_typeET2_T3_PNS14_IS19_E10value_typeET4_jRbjT5_S1F_jjP12ihipStream_tbEUljE_ZNSN_ISO_Lb0ESR_SS_SU_SV_SZ_EES10_S11_S12_S13_S17_S18_S19_S1C_S1D_jS1E_jS1F_S1F_jjS1H_bEUljE0_EEES10_S11_S12_S19_S1D_S1F_T6_T7_T9_mT8_S1H_bDpT10_ENKUlT_T0_E_clISt17integral_constantIbLb1EES1V_EEDaS1Q_S1R_EUlS1Q_E_NS1_11comp_targetILNS1_3genE2ELNS1_11target_archE906ELNS1_3gpuE6ELNS1_3repE0EEENS1_30default_config_static_selectorELNS0_4arch9wavefront6targetE1EEEvS13_
; %bb.0:
	.section	.rodata,"a",@progbits
	.p2align	6, 0x0
	.amdhsa_kernel _ZN7rocprim17ROCPRIM_400000_NS6detail17trampoline_kernelINS0_13select_configILj256ELj13ELNS0_17block_load_methodE3ELS4_3ELS4_3ELNS0_20block_scan_algorithmE0ELj4294967295EEENS1_25partition_config_selectorILNS1_17partition_subalgoE4EjNS0_10empty_typeEbEEZZNS1_14partition_implILS8_4ELb0ES6_15HIP_vector_typeIjLj2EENS0_17counting_iteratorIjlEEPS9_SG_NS0_5tupleIJPjSI_NS0_16reverse_iteratorISI_EEEEENSH_IJSG_SG_SG_EEES9_SI_JZNS1_25segmented_radix_sort_implINS0_14default_configELb0EPK12hip_bfloat16PSP_PKlPlN2at6native12_GLOBAL__N_18offset_tEEE10hipError_tPvRmT1_PNSt15iterator_traitsIS13_E10value_typeET2_T3_PNS14_IS19_E10value_typeET4_jRbjT5_S1F_jjP12ihipStream_tbEUljE_ZNSN_ISO_Lb0ESR_SS_SU_SV_SZ_EES10_S11_S12_S13_S17_S18_S19_S1C_S1D_jS1E_jS1F_S1F_jjS1H_bEUljE0_EEES10_S11_S12_S19_S1D_S1F_T6_T7_T9_mT8_S1H_bDpT10_ENKUlT_T0_E_clISt17integral_constantIbLb1EES1V_EEDaS1Q_S1R_EUlS1Q_E_NS1_11comp_targetILNS1_3genE2ELNS1_11target_archE906ELNS1_3gpuE6ELNS1_3repE0EEENS1_30default_config_static_selectorELNS0_4arch9wavefront6targetE1EEEvS13_
		.amdhsa_group_segment_fixed_size 0
		.amdhsa_private_segment_fixed_size 0
		.amdhsa_kernarg_size 184
		.amdhsa_user_sgpr_count 6
		.amdhsa_user_sgpr_private_segment_buffer 1
		.amdhsa_user_sgpr_dispatch_ptr 0
		.amdhsa_user_sgpr_queue_ptr 0
		.amdhsa_user_sgpr_kernarg_segment_ptr 1
		.amdhsa_user_sgpr_dispatch_id 0
		.amdhsa_user_sgpr_flat_scratch_init 0
		.amdhsa_user_sgpr_kernarg_preload_length 0
		.amdhsa_user_sgpr_kernarg_preload_offset 0
		.amdhsa_user_sgpr_private_segment_size 0
		.amdhsa_uses_dynamic_stack 0
		.amdhsa_system_sgpr_private_segment_wavefront_offset 0
		.amdhsa_system_sgpr_workgroup_id_x 1
		.amdhsa_system_sgpr_workgroup_id_y 0
		.amdhsa_system_sgpr_workgroup_id_z 0
		.amdhsa_system_sgpr_workgroup_info 0
		.amdhsa_system_vgpr_workitem_id 0
		.amdhsa_next_free_vgpr 1
		.amdhsa_next_free_sgpr 0
		.amdhsa_accum_offset 4
		.amdhsa_reserve_vcc 0
		.amdhsa_reserve_flat_scratch 0
		.amdhsa_float_round_mode_32 0
		.amdhsa_float_round_mode_16_64 0
		.amdhsa_float_denorm_mode_32 3
		.amdhsa_float_denorm_mode_16_64 3
		.amdhsa_dx10_clamp 1
		.amdhsa_ieee_mode 1
		.amdhsa_fp16_overflow 0
		.amdhsa_tg_split 0
		.amdhsa_exception_fp_ieee_invalid_op 0
		.amdhsa_exception_fp_denorm_src 0
		.amdhsa_exception_fp_ieee_div_zero 0
		.amdhsa_exception_fp_ieee_overflow 0
		.amdhsa_exception_fp_ieee_underflow 0
		.amdhsa_exception_fp_ieee_inexact 0
		.amdhsa_exception_int_div_zero 0
	.end_amdhsa_kernel
	.section	.text._ZN7rocprim17ROCPRIM_400000_NS6detail17trampoline_kernelINS0_13select_configILj256ELj13ELNS0_17block_load_methodE3ELS4_3ELS4_3ELNS0_20block_scan_algorithmE0ELj4294967295EEENS1_25partition_config_selectorILNS1_17partition_subalgoE4EjNS0_10empty_typeEbEEZZNS1_14partition_implILS8_4ELb0ES6_15HIP_vector_typeIjLj2EENS0_17counting_iteratorIjlEEPS9_SG_NS0_5tupleIJPjSI_NS0_16reverse_iteratorISI_EEEEENSH_IJSG_SG_SG_EEES9_SI_JZNS1_25segmented_radix_sort_implINS0_14default_configELb0EPK12hip_bfloat16PSP_PKlPlN2at6native12_GLOBAL__N_18offset_tEEE10hipError_tPvRmT1_PNSt15iterator_traitsIS13_E10value_typeET2_T3_PNS14_IS19_E10value_typeET4_jRbjT5_S1F_jjP12ihipStream_tbEUljE_ZNSN_ISO_Lb0ESR_SS_SU_SV_SZ_EES10_S11_S12_S13_S17_S18_S19_S1C_S1D_jS1E_jS1F_S1F_jjS1H_bEUljE0_EEES10_S11_S12_S19_S1D_S1F_T6_T7_T9_mT8_S1H_bDpT10_ENKUlT_T0_E_clISt17integral_constantIbLb1EES1V_EEDaS1Q_S1R_EUlS1Q_E_NS1_11comp_targetILNS1_3genE2ELNS1_11target_archE906ELNS1_3gpuE6ELNS1_3repE0EEENS1_30default_config_static_selectorELNS0_4arch9wavefront6targetE1EEEvS13_,"axG",@progbits,_ZN7rocprim17ROCPRIM_400000_NS6detail17trampoline_kernelINS0_13select_configILj256ELj13ELNS0_17block_load_methodE3ELS4_3ELS4_3ELNS0_20block_scan_algorithmE0ELj4294967295EEENS1_25partition_config_selectorILNS1_17partition_subalgoE4EjNS0_10empty_typeEbEEZZNS1_14partition_implILS8_4ELb0ES6_15HIP_vector_typeIjLj2EENS0_17counting_iteratorIjlEEPS9_SG_NS0_5tupleIJPjSI_NS0_16reverse_iteratorISI_EEEEENSH_IJSG_SG_SG_EEES9_SI_JZNS1_25segmented_radix_sort_implINS0_14default_configELb0EPK12hip_bfloat16PSP_PKlPlN2at6native12_GLOBAL__N_18offset_tEEE10hipError_tPvRmT1_PNSt15iterator_traitsIS13_E10value_typeET2_T3_PNS14_IS19_E10value_typeET4_jRbjT5_S1F_jjP12ihipStream_tbEUljE_ZNSN_ISO_Lb0ESR_SS_SU_SV_SZ_EES10_S11_S12_S13_S17_S18_S19_S1C_S1D_jS1E_jS1F_S1F_jjS1H_bEUljE0_EEES10_S11_S12_S19_S1D_S1F_T6_T7_T9_mT8_S1H_bDpT10_ENKUlT_T0_E_clISt17integral_constantIbLb1EES1V_EEDaS1Q_S1R_EUlS1Q_E_NS1_11comp_targetILNS1_3genE2ELNS1_11target_archE906ELNS1_3gpuE6ELNS1_3repE0EEENS1_30default_config_static_selectorELNS0_4arch9wavefront6targetE1EEEvS13_,comdat
.Lfunc_end1995:
	.size	_ZN7rocprim17ROCPRIM_400000_NS6detail17trampoline_kernelINS0_13select_configILj256ELj13ELNS0_17block_load_methodE3ELS4_3ELS4_3ELNS0_20block_scan_algorithmE0ELj4294967295EEENS1_25partition_config_selectorILNS1_17partition_subalgoE4EjNS0_10empty_typeEbEEZZNS1_14partition_implILS8_4ELb0ES6_15HIP_vector_typeIjLj2EENS0_17counting_iteratorIjlEEPS9_SG_NS0_5tupleIJPjSI_NS0_16reverse_iteratorISI_EEEEENSH_IJSG_SG_SG_EEES9_SI_JZNS1_25segmented_radix_sort_implINS0_14default_configELb0EPK12hip_bfloat16PSP_PKlPlN2at6native12_GLOBAL__N_18offset_tEEE10hipError_tPvRmT1_PNSt15iterator_traitsIS13_E10value_typeET2_T3_PNS14_IS19_E10value_typeET4_jRbjT5_S1F_jjP12ihipStream_tbEUljE_ZNSN_ISO_Lb0ESR_SS_SU_SV_SZ_EES10_S11_S12_S13_S17_S18_S19_S1C_S1D_jS1E_jS1F_S1F_jjS1H_bEUljE0_EEES10_S11_S12_S19_S1D_S1F_T6_T7_T9_mT8_S1H_bDpT10_ENKUlT_T0_E_clISt17integral_constantIbLb1EES1V_EEDaS1Q_S1R_EUlS1Q_E_NS1_11comp_targetILNS1_3genE2ELNS1_11target_archE906ELNS1_3gpuE6ELNS1_3repE0EEENS1_30default_config_static_selectorELNS0_4arch9wavefront6targetE1EEEvS13_, .Lfunc_end1995-_ZN7rocprim17ROCPRIM_400000_NS6detail17trampoline_kernelINS0_13select_configILj256ELj13ELNS0_17block_load_methodE3ELS4_3ELS4_3ELNS0_20block_scan_algorithmE0ELj4294967295EEENS1_25partition_config_selectorILNS1_17partition_subalgoE4EjNS0_10empty_typeEbEEZZNS1_14partition_implILS8_4ELb0ES6_15HIP_vector_typeIjLj2EENS0_17counting_iteratorIjlEEPS9_SG_NS0_5tupleIJPjSI_NS0_16reverse_iteratorISI_EEEEENSH_IJSG_SG_SG_EEES9_SI_JZNS1_25segmented_radix_sort_implINS0_14default_configELb0EPK12hip_bfloat16PSP_PKlPlN2at6native12_GLOBAL__N_18offset_tEEE10hipError_tPvRmT1_PNSt15iterator_traitsIS13_E10value_typeET2_T3_PNS14_IS19_E10value_typeET4_jRbjT5_S1F_jjP12ihipStream_tbEUljE_ZNSN_ISO_Lb0ESR_SS_SU_SV_SZ_EES10_S11_S12_S13_S17_S18_S19_S1C_S1D_jS1E_jS1F_S1F_jjS1H_bEUljE0_EEES10_S11_S12_S19_S1D_S1F_T6_T7_T9_mT8_S1H_bDpT10_ENKUlT_T0_E_clISt17integral_constantIbLb1EES1V_EEDaS1Q_S1R_EUlS1Q_E_NS1_11comp_targetILNS1_3genE2ELNS1_11target_archE906ELNS1_3gpuE6ELNS1_3repE0EEENS1_30default_config_static_selectorELNS0_4arch9wavefront6targetE1EEEvS13_
                                        ; -- End function
	.section	.AMDGPU.csdata,"",@progbits
; Kernel info:
; codeLenInByte = 0
; NumSgprs: 4
; NumVgprs: 0
; NumAgprs: 0
; TotalNumVgprs: 0
; ScratchSize: 0
; MemoryBound: 0
; FloatMode: 240
; IeeeMode: 1
; LDSByteSize: 0 bytes/workgroup (compile time only)
; SGPRBlocks: 0
; VGPRBlocks: 0
; NumSGPRsForWavesPerEU: 4
; NumVGPRsForWavesPerEU: 1
; AccumOffset: 4
; Occupancy: 8
; WaveLimiterHint : 0
; COMPUTE_PGM_RSRC2:SCRATCH_EN: 0
; COMPUTE_PGM_RSRC2:USER_SGPR: 6
; COMPUTE_PGM_RSRC2:TRAP_HANDLER: 0
; COMPUTE_PGM_RSRC2:TGID_X_EN: 1
; COMPUTE_PGM_RSRC2:TGID_Y_EN: 0
; COMPUTE_PGM_RSRC2:TGID_Z_EN: 0
; COMPUTE_PGM_RSRC2:TIDIG_COMP_CNT: 0
; COMPUTE_PGM_RSRC3_GFX90A:ACCUM_OFFSET: 0
; COMPUTE_PGM_RSRC3_GFX90A:TG_SPLIT: 0
	.section	.text._ZN7rocprim17ROCPRIM_400000_NS6detail17trampoline_kernelINS0_13select_configILj256ELj13ELNS0_17block_load_methodE3ELS4_3ELS4_3ELNS0_20block_scan_algorithmE0ELj4294967295EEENS1_25partition_config_selectorILNS1_17partition_subalgoE4EjNS0_10empty_typeEbEEZZNS1_14partition_implILS8_4ELb0ES6_15HIP_vector_typeIjLj2EENS0_17counting_iteratorIjlEEPS9_SG_NS0_5tupleIJPjSI_NS0_16reverse_iteratorISI_EEEEENSH_IJSG_SG_SG_EEES9_SI_JZNS1_25segmented_radix_sort_implINS0_14default_configELb0EPK12hip_bfloat16PSP_PKlPlN2at6native12_GLOBAL__N_18offset_tEEE10hipError_tPvRmT1_PNSt15iterator_traitsIS13_E10value_typeET2_T3_PNS14_IS19_E10value_typeET4_jRbjT5_S1F_jjP12ihipStream_tbEUljE_ZNSN_ISO_Lb0ESR_SS_SU_SV_SZ_EES10_S11_S12_S13_S17_S18_S19_S1C_S1D_jS1E_jS1F_S1F_jjS1H_bEUljE0_EEES10_S11_S12_S19_S1D_S1F_T6_T7_T9_mT8_S1H_bDpT10_ENKUlT_T0_E_clISt17integral_constantIbLb1EES1V_EEDaS1Q_S1R_EUlS1Q_E_NS1_11comp_targetILNS1_3genE10ELNS1_11target_archE1200ELNS1_3gpuE4ELNS1_3repE0EEENS1_30default_config_static_selectorELNS0_4arch9wavefront6targetE1EEEvS13_,"axG",@progbits,_ZN7rocprim17ROCPRIM_400000_NS6detail17trampoline_kernelINS0_13select_configILj256ELj13ELNS0_17block_load_methodE3ELS4_3ELS4_3ELNS0_20block_scan_algorithmE0ELj4294967295EEENS1_25partition_config_selectorILNS1_17partition_subalgoE4EjNS0_10empty_typeEbEEZZNS1_14partition_implILS8_4ELb0ES6_15HIP_vector_typeIjLj2EENS0_17counting_iteratorIjlEEPS9_SG_NS0_5tupleIJPjSI_NS0_16reverse_iteratorISI_EEEEENSH_IJSG_SG_SG_EEES9_SI_JZNS1_25segmented_radix_sort_implINS0_14default_configELb0EPK12hip_bfloat16PSP_PKlPlN2at6native12_GLOBAL__N_18offset_tEEE10hipError_tPvRmT1_PNSt15iterator_traitsIS13_E10value_typeET2_T3_PNS14_IS19_E10value_typeET4_jRbjT5_S1F_jjP12ihipStream_tbEUljE_ZNSN_ISO_Lb0ESR_SS_SU_SV_SZ_EES10_S11_S12_S13_S17_S18_S19_S1C_S1D_jS1E_jS1F_S1F_jjS1H_bEUljE0_EEES10_S11_S12_S19_S1D_S1F_T6_T7_T9_mT8_S1H_bDpT10_ENKUlT_T0_E_clISt17integral_constantIbLb1EES1V_EEDaS1Q_S1R_EUlS1Q_E_NS1_11comp_targetILNS1_3genE10ELNS1_11target_archE1200ELNS1_3gpuE4ELNS1_3repE0EEENS1_30default_config_static_selectorELNS0_4arch9wavefront6targetE1EEEvS13_,comdat
	.globl	_ZN7rocprim17ROCPRIM_400000_NS6detail17trampoline_kernelINS0_13select_configILj256ELj13ELNS0_17block_load_methodE3ELS4_3ELS4_3ELNS0_20block_scan_algorithmE0ELj4294967295EEENS1_25partition_config_selectorILNS1_17partition_subalgoE4EjNS0_10empty_typeEbEEZZNS1_14partition_implILS8_4ELb0ES6_15HIP_vector_typeIjLj2EENS0_17counting_iteratorIjlEEPS9_SG_NS0_5tupleIJPjSI_NS0_16reverse_iteratorISI_EEEEENSH_IJSG_SG_SG_EEES9_SI_JZNS1_25segmented_radix_sort_implINS0_14default_configELb0EPK12hip_bfloat16PSP_PKlPlN2at6native12_GLOBAL__N_18offset_tEEE10hipError_tPvRmT1_PNSt15iterator_traitsIS13_E10value_typeET2_T3_PNS14_IS19_E10value_typeET4_jRbjT5_S1F_jjP12ihipStream_tbEUljE_ZNSN_ISO_Lb0ESR_SS_SU_SV_SZ_EES10_S11_S12_S13_S17_S18_S19_S1C_S1D_jS1E_jS1F_S1F_jjS1H_bEUljE0_EEES10_S11_S12_S19_S1D_S1F_T6_T7_T9_mT8_S1H_bDpT10_ENKUlT_T0_E_clISt17integral_constantIbLb1EES1V_EEDaS1Q_S1R_EUlS1Q_E_NS1_11comp_targetILNS1_3genE10ELNS1_11target_archE1200ELNS1_3gpuE4ELNS1_3repE0EEENS1_30default_config_static_selectorELNS0_4arch9wavefront6targetE1EEEvS13_ ; -- Begin function _ZN7rocprim17ROCPRIM_400000_NS6detail17trampoline_kernelINS0_13select_configILj256ELj13ELNS0_17block_load_methodE3ELS4_3ELS4_3ELNS0_20block_scan_algorithmE0ELj4294967295EEENS1_25partition_config_selectorILNS1_17partition_subalgoE4EjNS0_10empty_typeEbEEZZNS1_14partition_implILS8_4ELb0ES6_15HIP_vector_typeIjLj2EENS0_17counting_iteratorIjlEEPS9_SG_NS0_5tupleIJPjSI_NS0_16reverse_iteratorISI_EEEEENSH_IJSG_SG_SG_EEES9_SI_JZNS1_25segmented_radix_sort_implINS0_14default_configELb0EPK12hip_bfloat16PSP_PKlPlN2at6native12_GLOBAL__N_18offset_tEEE10hipError_tPvRmT1_PNSt15iterator_traitsIS13_E10value_typeET2_T3_PNS14_IS19_E10value_typeET4_jRbjT5_S1F_jjP12ihipStream_tbEUljE_ZNSN_ISO_Lb0ESR_SS_SU_SV_SZ_EES10_S11_S12_S13_S17_S18_S19_S1C_S1D_jS1E_jS1F_S1F_jjS1H_bEUljE0_EEES10_S11_S12_S19_S1D_S1F_T6_T7_T9_mT8_S1H_bDpT10_ENKUlT_T0_E_clISt17integral_constantIbLb1EES1V_EEDaS1Q_S1R_EUlS1Q_E_NS1_11comp_targetILNS1_3genE10ELNS1_11target_archE1200ELNS1_3gpuE4ELNS1_3repE0EEENS1_30default_config_static_selectorELNS0_4arch9wavefront6targetE1EEEvS13_
	.p2align	8
	.type	_ZN7rocprim17ROCPRIM_400000_NS6detail17trampoline_kernelINS0_13select_configILj256ELj13ELNS0_17block_load_methodE3ELS4_3ELS4_3ELNS0_20block_scan_algorithmE0ELj4294967295EEENS1_25partition_config_selectorILNS1_17partition_subalgoE4EjNS0_10empty_typeEbEEZZNS1_14partition_implILS8_4ELb0ES6_15HIP_vector_typeIjLj2EENS0_17counting_iteratorIjlEEPS9_SG_NS0_5tupleIJPjSI_NS0_16reverse_iteratorISI_EEEEENSH_IJSG_SG_SG_EEES9_SI_JZNS1_25segmented_radix_sort_implINS0_14default_configELb0EPK12hip_bfloat16PSP_PKlPlN2at6native12_GLOBAL__N_18offset_tEEE10hipError_tPvRmT1_PNSt15iterator_traitsIS13_E10value_typeET2_T3_PNS14_IS19_E10value_typeET4_jRbjT5_S1F_jjP12ihipStream_tbEUljE_ZNSN_ISO_Lb0ESR_SS_SU_SV_SZ_EES10_S11_S12_S13_S17_S18_S19_S1C_S1D_jS1E_jS1F_S1F_jjS1H_bEUljE0_EEES10_S11_S12_S19_S1D_S1F_T6_T7_T9_mT8_S1H_bDpT10_ENKUlT_T0_E_clISt17integral_constantIbLb1EES1V_EEDaS1Q_S1R_EUlS1Q_E_NS1_11comp_targetILNS1_3genE10ELNS1_11target_archE1200ELNS1_3gpuE4ELNS1_3repE0EEENS1_30default_config_static_selectorELNS0_4arch9wavefront6targetE1EEEvS13_,@function
_ZN7rocprim17ROCPRIM_400000_NS6detail17trampoline_kernelINS0_13select_configILj256ELj13ELNS0_17block_load_methodE3ELS4_3ELS4_3ELNS0_20block_scan_algorithmE0ELj4294967295EEENS1_25partition_config_selectorILNS1_17partition_subalgoE4EjNS0_10empty_typeEbEEZZNS1_14partition_implILS8_4ELb0ES6_15HIP_vector_typeIjLj2EENS0_17counting_iteratorIjlEEPS9_SG_NS0_5tupleIJPjSI_NS0_16reverse_iteratorISI_EEEEENSH_IJSG_SG_SG_EEES9_SI_JZNS1_25segmented_radix_sort_implINS0_14default_configELb0EPK12hip_bfloat16PSP_PKlPlN2at6native12_GLOBAL__N_18offset_tEEE10hipError_tPvRmT1_PNSt15iterator_traitsIS13_E10value_typeET2_T3_PNS14_IS19_E10value_typeET4_jRbjT5_S1F_jjP12ihipStream_tbEUljE_ZNSN_ISO_Lb0ESR_SS_SU_SV_SZ_EES10_S11_S12_S13_S17_S18_S19_S1C_S1D_jS1E_jS1F_S1F_jjS1H_bEUljE0_EEES10_S11_S12_S19_S1D_S1F_T6_T7_T9_mT8_S1H_bDpT10_ENKUlT_T0_E_clISt17integral_constantIbLb1EES1V_EEDaS1Q_S1R_EUlS1Q_E_NS1_11comp_targetILNS1_3genE10ELNS1_11target_archE1200ELNS1_3gpuE4ELNS1_3repE0EEENS1_30default_config_static_selectorELNS0_4arch9wavefront6targetE1EEEvS13_: ; @_ZN7rocprim17ROCPRIM_400000_NS6detail17trampoline_kernelINS0_13select_configILj256ELj13ELNS0_17block_load_methodE3ELS4_3ELS4_3ELNS0_20block_scan_algorithmE0ELj4294967295EEENS1_25partition_config_selectorILNS1_17partition_subalgoE4EjNS0_10empty_typeEbEEZZNS1_14partition_implILS8_4ELb0ES6_15HIP_vector_typeIjLj2EENS0_17counting_iteratorIjlEEPS9_SG_NS0_5tupleIJPjSI_NS0_16reverse_iteratorISI_EEEEENSH_IJSG_SG_SG_EEES9_SI_JZNS1_25segmented_radix_sort_implINS0_14default_configELb0EPK12hip_bfloat16PSP_PKlPlN2at6native12_GLOBAL__N_18offset_tEEE10hipError_tPvRmT1_PNSt15iterator_traitsIS13_E10value_typeET2_T3_PNS14_IS19_E10value_typeET4_jRbjT5_S1F_jjP12ihipStream_tbEUljE_ZNSN_ISO_Lb0ESR_SS_SU_SV_SZ_EES10_S11_S12_S13_S17_S18_S19_S1C_S1D_jS1E_jS1F_S1F_jjS1H_bEUljE0_EEES10_S11_S12_S19_S1D_S1F_T6_T7_T9_mT8_S1H_bDpT10_ENKUlT_T0_E_clISt17integral_constantIbLb1EES1V_EEDaS1Q_S1R_EUlS1Q_E_NS1_11comp_targetILNS1_3genE10ELNS1_11target_archE1200ELNS1_3gpuE4ELNS1_3repE0EEENS1_30default_config_static_selectorELNS0_4arch9wavefront6targetE1EEEvS13_
; %bb.0:
	.section	.rodata,"a",@progbits
	.p2align	6, 0x0
	.amdhsa_kernel _ZN7rocprim17ROCPRIM_400000_NS6detail17trampoline_kernelINS0_13select_configILj256ELj13ELNS0_17block_load_methodE3ELS4_3ELS4_3ELNS0_20block_scan_algorithmE0ELj4294967295EEENS1_25partition_config_selectorILNS1_17partition_subalgoE4EjNS0_10empty_typeEbEEZZNS1_14partition_implILS8_4ELb0ES6_15HIP_vector_typeIjLj2EENS0_17counting_iteratorIjlEEPS9_SG_NS0_5tupleIJPjSI_NS0_16reverse_iteratorISI_EEEEENSH_IJSG_SG_SG_EEES9_SI_JZNS1_25segmented_radix_sort_implINS0_14default_configELb0EPK12hip_bfloat16PSP_PKlPlN2at6native12_GLOBAL__N_18offset_tEEE10hipError_tPvRmT1_PNSt15iterator_traitsIS13_E10value_typeET2_T3_PNS14_IS19_E10value_typeET4_jRbjT5_S1F_jjP12ihipStream_tbEUljE_ZNSN_ISO_Lb0ESR_SS_SU_SV_SZ_EES10_S11_S12_S13_S17_S18_S19_S1C_S1D_jS1E_jS1F_S1F_jjS1H_bEUljE0_EEES10_S11_S12_S19_S1D_S1F_T6_T7_T9_mT8_S1H_bDpT10_ENKUlT_T0_E_clISt17integral_constantIbLb1EES1V_EEDaS1Q_S1R_EUlS1Q_E_NS1_11comp_targetILNS1_3genE10ELNS1_11target_archE1200ELNS1_3gpuE4ELNS1_3repE0EEENS1_30default_config_static_selectorELNS0_4arch9wavefront6targetE1EEEvS13_
		.amdhsa_group_segment_fixed_size 0
		.amdhsa_private_segment_fixed_size 0
		.amdhsa_kernarg_size 184
		.amdhsa_user_sgpr_count 6
		.amdhsa_user_sgpr_private_segment_buffer 1
		.amdhsa_user_sgpr_dispatch_ptr 0
		.amdhsa_user_sgpr_queue_ptr 0
		.amdhsa_user_sgpr_kernarg_segment_ptr 1
		.amdhsa_user_sgpr_dispatch_id 0
		.amdhsa_user_sgpr_flat_scratch_init 0
		.amdhsa_user_sgpr_kernarg_preload_length 0
		.amdhsa_user_sgpr_kernarg_preload_offset 0
		.amdhsa_user_sgpr_private_segment_size 0
		.amdhsa_uses_dynamic_stack 0
		.amdhsa_system_sgpr_private_segment_wavefront_offset 0
		.amdhsa_system_sgpr_workgroup_id_x 1
		.amdhsa_system_sgpr_workgroup_id_y 0
		.amdhsa_system_sgpr_workgroup_id_z 0
		.amdhsa_system_sgpr_workgroup_info 0
		.amdhsa_system_vgpr_workitem_id 0
		.amdhsa_next_free_vgpr 1
		.amdhsa_next_free_sgpr 0
		.amdhsa_accum_offset 4
		.amdhsa_reserve_vcc 0
		.amdhsa_reserve_flat_scratch 0
		.amdhsa_float_round_mode_32 0
		.amdhsa_float_round_mode_16_64 0
		.amdhsa_float_denorm_mode_32 3
		.amdhsa_float_denorm_mode_16_64 3
		.amdhsa_dx10_clamp 1
		.amdhsa_ieee_mode 1
		.amdhsa_fp16_overflow 0
		.amdhsa_tg_split 0
		.amdhsa_exception_fp_ieee_invalid_op 0
		.amdhsa_exception_fp_denorm_src 0
		.amdhsa_exception_fp_ieee_div_zero 0
		.amdhsa_exception_fp_ieee_overflow 0
		.amdhsa_exception_fp_ieee_underflow 0
		.amdhsa_exception_fp_ieee_inexact 0
		.amdhsa_exception_int_div_zero 0
	.end_amdhsa_kernel
	.section	.text._ZN7rocprim17ROCPRIM_400000_NS6detail17trampoline_kernelINS0_13select_configILj256ELj13ELNS0_17block_load_methodE3ELS4_3ELS4_3ELNS0_20block_scan_algorithmE0ELj4294967295EEENS1_25partition_config_selectorILNS1_17partition_subalgoE4EjNS0_10empty_typeEbEEZZNS1_14partition_implILS8_4ELb0ES6_15HIP_vector_typeIjLj2EENS0_17counting_iteratorIjlEEPS9_SG_NS0_5tupleIJPjSI_NS0_16reverse_iteratorISI_EEEEENSH_IJSG_SG_SG_EEES9_SI_JZNS1_25segmented_radix_sort_implINS0_14default_configELb0EPK12hip_bfloat16PSP_PKlPlN2at6native12_GLOBAL__N_18offset_tEEE10hipError_tPvRmT1_PNSt15iterator_traitsIS13_E10value_typeET2_T3_PNS14_IS19_E10value_typeET4_jRbjT5_S1F_jjP12ihipStream_tbEUljE_ZNSN_ISO_Lb0ESR_SS_SU_SV_SZ_EES10_S11_S12_S13_S17_S18_S19_S1C_S1D_jS1E_jS1F_S1F_jjS1H_bEUljE0_EEES10_S11_S12_S19_S1D_S1F_T6_T7_T9_mT8_S1H_bDpT10_ENKUlT_T0_E_clISt17integral_constantIbLb1EES1V_EEDaS1Q_S1R_EUlS1Q_E_NS1_11comp_targetILNS1_3genE10ELNS1_11target_archE1200ELNS1_3gpuE4ELNS1_3repE0EEENS1_30default_config_static_selectorELNS0_4arch9wavefront6targetE1EEEvS13_,"axG",@progbits,_ZN7rocprim17ROCPRIM_400000_NS6detail17trampoline_kernelINS0_13select_configILj256ELj13ELNS0_17block_load_methodE3ELS4_3ELS4_3ELNS0_20block_scan_algorithmE0ELj4294967295EEENS1_25partition_config_selectorILNS1_17partition_subalgoE4EjNS0_10empty_typeEbEEZZNS1_14partition_implILS8_4ELb0ES6_15HIP_vector_typeIjLj2EENS0_17counting_iteratorIjlEEPS9_SG_NS0_5tupleIJPjSI_NS0_16reverse_iteratorISI_EEEEENSH_IJSG_SG_SG_EEES9_SI_JZNS1_25segmented_radix_sort_implINS0_14default_configELb0EPK12hip_bfloat16PSP_PKlPlN2at6native12_GLOBAL__N_18offset_tEEE10hipError_tPvRmT1_PNSt15iterator_traitsIS13_E10value_typeET2_T3_PNS14_IS19_E10value_typeET4_jRbjT5_S1F_jjP12ihipStream_tbEUljE_ZNSN_ISO_Lb0ESR_SS_SU_SV_SZ_EES10_S11_S12_S13_S17_S18_S19_S1C_S1D_jS1E_jS1F_S1F_jjS1H_bEUljE0_EEES10_S11_S12_S19_S1D_S1F_T6_T7_T9_mT8_S1H_bDpT10_ENKUlT_T0_E_clISt17integral_constantIbLb1EES1V_EEDaS1Q_S1R_EUlS1Q_E_NS1_11comp_targetILNS1_3genE10ELNS1_11target_archE1200ELNS1_3gpuE4ELNS1_3repE0EEENS1_30default_config_static_selectorELNS0_4arch9wavefront6targetE1EEEvS13_,comdat
.Lfunc_end1996:
	.size	_ZN7rocprim17ROCPRIM_400000_NS6detail17trampoline_kernelINS0_13select_configILj256ELj13ELNS0_17block_load_methodE3ELS4_3ELS4_3ELNS0_20block_scan_algorithmE0ELj4294967295EEENS1_25partition_config_selectorILNS1_17partition_subalgoE4EjNS0_10empty_typeEbEEZZNS1_14partition_implILS8_4ELb0ES6_15HIP_vector_typeIjLj2EENS0_17counting_iteratorIjlEEPS9_SG_NS0_5tupleIJPjSI_NS0_16reverse_iteratorISI_EEEEENSH_IJSG_SG_SG_EEES9_SI_JZNS1_25segmented_radix_sort_implINS0_14default_configELb0EPK12hip_bfloat16PSP_PKlPlN2at6native12_GLOBAL__N_18offset_tEEE10hipError_tPvRmT1_PNSt15iterator_traitsIS13_E10value_typeET2_T3_PNS14_IS19_E10value_typeET4_jRbjT5_S1F_jjP12ihipStream_tbEUljE_ZNSN_ISO_Lb0ESR_SS_SU_SV_SZ_EES10_S11_S12_S13_S17_S18_S19_S1C_S1D_jS1E_jS1F_S1F_jjS1H_bEUljE0_EEES10_S11_S12_S19_S1D_S1F_T6_T7_T9_mT8_S1H_bDpT10_ENKUlT_T0_E_clISt17integral_constantIbLb1EES1V_EEDaS1Q_S1R_EUlS1Q_E_NS1_11comp_targetILNS1_3genE10ELNS1_11target_archE1200ELNS1_3gpuE4ELNS1_3repE0EEENS1_30default_config_static_selectorELNS0_4arch9wavefront6targetE1EEEvS13_, .Lfunc_end1996-_ZN7rocprim17ROCPRIM_400000_NS6detail17trampoline_kernelINS0_13select_configILj256ELj13ELNS0_17block_load_methodE3ELS4_3ELS4_3ELNS0_20block_scan_algorithmE0ELj4294967295EEENS1_25partition_config_selectorILNS1_17partition_subalgoE4EjNS0_10empty_typeEbEEZZNS1_14partition_implILS8_4ELb0ES6_15HIP_vector_typeIjLj2EENS0_17counting_iteratorIjlEEPS9_SG_NS0_5tupleIJPjSI_NS0_16reverse_iteratorISI_EEEEENSH_IJSG_SG_SG_EEES9_SI_JZNS1_25segmented_radix_sort_implINS0_14default_configELb0EPK12hip_bfloat16PSP_PKlPlN2at6native12_GLOBAL__N_18offset_tEEE10hipError_tPvRmT1_PNSt15iterator_traitsIS13_E10value_typeET2_T3_PNS14_IS19_E10value_typeET4_jRbjT5_S1F_jjP12ihipStream_tbEUljE_ZNSN_ISO_Lb0ESR_SS_SU_SV_SZ_EES10_S11_S12_S13_S17_S18_S19_S1C_S1D_jS1E_jS1F_S1F_jjS1H_bEUljE0_EEES10_S11_S12_S19_S1D_S1F_T6_T7_T9_mT8_S1H_bDpT10_ENKUlT_T0_E_clISt17integral_constantIbLb1EES1V_EEDaS1Q_S1R_EUlS1Q_E_NS1_11comp_targetILNS1_3genE10ELNS1_11target_archE1200ELNS1_3gpuE4ELNS1_3repE0EEENS1_30default_config_static_selectorELNS0_4arch9wavefront6targetE1EEEvS13_
                                        ; -- End function
	.section	.AMDGPU.csdata,"",@progbits
; Kernel info:
; codeLenInByte = 0
; NumSgprs: 4
; NumVgprs: 0
; NumAgprs: 0
; TotalNumVgprs: 0
; ScratchSize: 0
; MemoryBound: 0
; FloatMode: 240
; IeeeMode: 1
; LDSByteSize: 0 bytes/workgroup (compile time only)
; SGPRBlocks: 0
; VGPRBlocks: 0
; NumSGPRsForWavesPerEU: 4
; NumVGPRsForWavesPerEU: 1
; AccumOffset: 4
; Occupancy: 8
; WaveLimiterHint : 0
; COMPUTE_PGM_RSRC2:SCRATCH_EN: 0
; COMPUTE_PGM_RSRC2:USER_SGPR: 6
; COMPUTE_PGM_RSRC2:TRAP_HANDLER: 0
; COMPUTE_PGM_RSRC2:TGID_X_EN: 1
; COMPUTE_PGM_RSRC2:TGID_Y_EN: 0
; COMPUTE_PGM_RSRC2:TGID_Z_EN: 0
; COMPUTE_PGM_RSRC2:TIDIG_COMP_CNT: 0
; COMPUTE_PGM_RSRC3_GFX90A:ACCUM_OFFSET: 0
; COMPUTE_PGM_RSRC3_GFX90A:TG_SPLIT: 0
	.section	.text._ZN7rocprim17ROCPRIM_400000_NS6detail17trampoline_kernelINS0_13select_configILj256ELj13ELNS0_17block_load_methodE3ELS4_3ELS4_3ELNS0_20block_scan_algorithmE0ELj4294967295EEENS1_25partition_config_selectorILNS1_17partition_subalgoE4EjNS0_10empty_typeEbEEZZNS1_14partition_implILS8_4ELb0ES6_15HIP_vector_typeIjLj2EENS0_17counting_iteratorIjlEEPS9_SG_NS0_5tupleIJPjSI_NS0_16reverse_iteratorISI_EEEEENSH_IJSG_SG_SG_EEES9_SI_JZNS1_25segmented_radix_sort_implINS0_14default_configELb0EPK12hip_bfloat16PSP_PKlPlN2at6native12_GLOBAL__N_18offset_tEEE10hipError_tPvRmT1_PNSt15iterator_traitsIS13_E10value_typeET2_T3_PNS14_IS19_E10value_typeET4_jRbjT5_S1F_jjP12ihipStream_tbEUljE_ZNSN_ISO_Lb0ESR_SS_SU_SV_SZ_EES10_S11_S12_S13_S17_S18_S19_S1C_S1D_jS1E_jS1F_S1F_jjS1H_bEUljE0_EEES10_S11_S12_S19_S1D_S1F_T6_T7_T9_mT8_S1H_bDpT10_ENKUlT_T0_E_clISt17integral_constantIbLb1EES1V_EEDaS1Q_S1R_EUlS1Q_E_NS1_11comp_targetILNS1_3genE9ELNS1_11target_archE1100ELNS1_3gpuE3ELNS1_3repE0EEENS1_30default_config_static_selectorELNS0_4arch9wavefront6targetE1EEEvS13_,"axG",@progbits,_ZN7rocprim17ROCPRIM_400000_NS6detail17trampoline_kernelINS0_13select_configILj256ELj13ELNS0_17block_load_methodE3ELS4_3ELS4_3ELNS0_20block_scan_algorithmE0ELj4294967295EEENS1_25partition_config_selectorILNS1_17partition_subalgoE4EjNS0_10empty_typeEbEEZZNS1_14partition_implILS8_4ELb0ES6_15HIP_vector_typeIjLj2EENS0_17counting_iteratorIjlEEPS9_SG_NS0_5tupleIJPjSI_NS0_16reverse_iteratorISI_EEEEENSH_IJSG_SG_SG_EEES9_SI_JZNS1_25segmented_radix_sort_implINS0_14default_configELb0EPK12hip_bfloat16PSP_PKlPlN2at6native12_GLOBAL__N_18offset_tEEE10hipError_tPvRmT1_PNSt15iterator_traitsIS13_E10value_typeET2_T3_PNS14_IS19_E10value_typeET4_jRbjT5_S1F_jjP12ihipStream_tbEUljE_ZNSN_ISO_Lb0ESR_SS_SU_SV_SZ_EES10_S11_S12_S13_S17_S18_S19_S1C_S1D_jS1E_jS1F_S1F_jjS1H_bEUljE0_EEES10_S11_S12_S19_S1D_S1F_T6_T7_T9_mT8_S1H_bDpT10_ENKUlT_T0_E_clISt17integral_constantIbLb1EES1V_EEDaS1Q_S1R_EUlS1Q_E_NS1_11comp_targetILNS1_3genE9ELNS1_11target_archE1100ELNS1_3gpuE3ELNS1_3repE0EEENS1_30default_config_static_selectorELNS0_4arch9wavefront6targetE1EEEvS13_,comdat
	.globl	_ZN7rocprim17ROCPRIM_400000_NS6detail17trampoline_kernelINS0_13select_configILj256ELj13ELNS0_17block_load_methodE3ELS4_3ELS4_3ELNS0_20block_scan_algorithmE0ELj4294967295EEENS1_25partition_config_selectorILNS1_17partition_subalgoE4EjNS0_10empty_typeEbEEZZNS1_14partition_implILS8_4ELb0ES6_15HIP_vector_typeIjLj2EENS0_17counting_iteratorIjlEEPS9_SG_NS0_5tupleIJPjSI_NS0_16reverse_iteratorISI_EEEEENSH_IJSG_SG_SG_EEES9_SI_JZNS1_25segmented_radix_sort_implINS0_14default_configELb0EPK12hip_bfloat16PSP_PKlPlN2at6native12_GLOBAL__N_18offset_tEEE10hipError_tPvRmT1_PNSt15iterator_traitsIS13_E10value_typeET2_T3_PNS14_IS19_E10value_typeET4_jRbjT5_S1F_jjP12ihipStream_tbEUljE_ZNSN_ISO_Lb0ESR_SS_SU_SV_SZ_EES10_S11_S12_S13_S17_S18_S19_S1C_S1D_jS1E_jS1F_S1F_jjS1H_bEUljE0_EEES10_S11_S12_S19_S1D_S1F_T6_T7_T9_mT8_S1H_bDpT10_ENKUlT_T0_E_clISt17integral_constantIbLb1EES1V_EEDaS1Q_S1R_EUlS1Q_E_NS1_11comp_targetILNS1_3genE9ELNS1_11target_archE1100ELNS1_3gpuE3ELNS1_3repE0EEENS1_30default_config_static_selectorELNS0_4arch9wavefront6targetE1EEEvS13_ ; -- Begin function _ZN7rocprim17ROCPRIM_400000_NS6detail17trampoline_kernelINS0_13select_configILj256ELj13ELNS0_17block_load_methodE3ELS4_3ELS4_3ELNS0_20block_scan_algorithmE0ELj4294967295EEENS1_25partition_config_selectorILNS1_17partition_subalgoE4EjNS0_10empty_typeEbEEZZNS1_14partition_implILS8_4ELb0ES6_15HIP_vector_typeIjLj2EENS0_17counting_iteratorIjlEEPS9_SG_NS0_5tupleIJPjSI_NS0_16reverse_iteratorISI_EEEEENSH_IJSG_SG_SG_EEES9_SI_JZNS1_25segmented_radix_sort_implINS0_14default_configELb0EPK12hip_bfloat16PSP_PKlPlN2at6native12_GLOBAL__N_18offset_tEEE10hipError_tPvRmT1_PNSt15iterator_traitsIS13_E10value_typeET2_T3_PNS14_IS19_E10value_typeET4_jRbjT5_S1F_jjP12ihipStream_tbEUljE_ZNSN_ISO_Lb0ESR_SS_SU_SV_SZ_EES10_S11_S12_S13_S17_S18_S19_S1C_S1D_jS1E_jS1F_S1F_jjS1H_bEUljE0_EEES10_S11_S12_S19_S1D_S1F_T6_T7_T9_mT8_S1H_bDpT10_ENKUlT_T0_E_clISt17integral_constantIbLb1EES1V_EEDaS1Q_S1R_EUlS1Q_E_NS1_11comp_targetILNS1_3genE9ELNS1_11target_archE1100ELNS1_3gpuE3ELNS1_3repE0EEENS1_30default_config_static_selectorELNS0_4arch9wavefront6targetE1EEEvS13_
	.p2align	8
	.type	_ZN7rocprim17ROCPRIM_400000_NS6detail17trampoline_kernelINS0_13select_configILj256ELj13ELNS0_17block_load_methodE3ELS4_3ELS4_3ELNS0_20block_scan_algorithmE0ELj4294967295EEENS1_25partition_config_selectorILNS1_17partition_subalgoE4EjNS0_10empty_typeEbEEZZNS1_14partition_implILS8_4ELb0ES6_15HIP_vector_typeIjLj2EENS0_17counting_iteratorIjlEEPS9_SG_NS0_5tupleIJPjSI_NS0_16reverse_iteratorISI_EEEEENSH_IJSG_SG_SG_EEES9_SI_JZNS1_25segmented_radix_sort_implINS0_14default_configELb0EPK12hip_bfloat16PSP_PKlPlN2at6native12_GLOBAL__N_18offset_tEEE10hipError_tPvRmT1_PNSt15iterator_traitsIS13_E10value_typeET2_T3_PNS14_IS19_E10value_typeET4_jRbjT5_S1F_jjP12ihipStream_tbEUljE_ZNSN_ISO_Lb0ESR_SS_SU_SV_SZ_EES10_S11_S12_S13_S17_S18_S19_S1C_S1D_jS1E_jS1F_S1F_jjS1H_bEUljE0_EEES10_S11_S12_S19_S1D_S1F_T6_T7_T9_mT8_S1H_bDpT10_ENKUlT_T0_E_clISt17integral_constantIbLb1EES1V_EEDaS1Q_S1R_EUlS1Q_E_NS1_11comp_targetILNS1_3genE9ELNS1_11target_archE1100ELNS1_3gpuE3ELNS1_3repE0EEENS1_30default_config_static_selectorELNS0_4arch9wavefront6targetE1EEEvS13_,@function
_ZN7rocprim17ROCPRIM_400000_NS6detail17trampoline_kernelINS0_13select_configILj256ELj13ELNS0_17block_load_methodE3ELS4_3ELS4_3ELNS0_20block_scan_algorithmE0ELj4294967295EEENS1_25partition_config_selectorILNS1_17partition_subalgoE4EjNS0_10empty_typeEbEEZZNS1_14partition_implILS8_4ELb0ES6_15HIP_vector_typeIjLj2EENS0_17counting_iteratorIjlEEPS9_SG_NS0_5tupleIJPjSI_NS0_16reverse_iteratorISI_EEEEENSH_IJSG_SG_SG_EEES9_SI_JZNS1_25segmented_radix_sort_implINS0_14default_configELb0EPK12hip_bfloat16PSP_PKlPlN2at6native12_GLOBAL__N_18offset_tEEE10hipError_tPvRmT1_PNSt15iterator_traitsIS13_E10value_typeET2_T3_PNS14_IS19_E10value_typeET4_jRbjT5_S1F_jjP12ihipStream_tbEUljE_ZNSN_ISO_Lb0ESR_SS_SU_SV_SZ_EES10_S11_S12_S13_S17_S18_S19_S1C_S1D_jS1E_jS1F_S1F_jjS1H_bEUljE0_EEES10_S11_S12_S19_S1D_S1F_T6_T7_T9_mT8_S1H_bDpT10_ENKUlT_T0_E_clISt17integral_constantIbLb1EES1V_EEDaS1Q_S1R_EUlS1Q_E_NS1_11comp_targetILNS1_3genE9ELNS1_11target_archE1100ELNS1_3gpuE3ELNS1_3repE0EEENS1_30default_config_static_selectorELNS0_4arch9wavefront6targetE1EEEvS13_: ; @_ZN7rocprim17ROCPRIM_400000_NS6detail17trampoline_kernelINS0_13select_configILj256ELj13ELNS0_17block_load_methodE3ELS4_3ELS4_3ELNS0_20block_scan_algorithmE0ELj4294967295EEENS1_25partition_config_selectorILNS1_17partition_subalgoE4EjNS0_10empty_typeEbEEZZNS1_14partition_implILS8_4ELb0ES6_15HIP_vector_typeIjLj2EENS0_17counting_iteratorIjlEEPS9_SG_NS0_5tupleIJPjSI_NS0_16reverse_iteratorISI_EEEEENSH_IJSG_SG_SG_EEES9_SI_JZNS1_25segmented_radix_sort_implINS0_14default_configELb0EPK12hip_bfloat16PSP_PKlPlN2at6native12_GLOBAL__N_18offset_tEEE10hipError_tPvRmT1_PNSt15iterator_traitsIS13_E10value_typeET2_T3_PNS14_IS19_E10value_typeET4_jRbjT5_S1F_jjP12ihipStream_tbEUljE_ZNSN_ISO_Lb0ESR_SS_SU_SV_SZ_EES10_S11_S12_S13_S17_S18_S19_S1C_S1D_jS1E_jS1F_S1F_jjS1H_bEUljE0_EEES10_S11_S12_S19_S1D_S1F_T6_T7_T9_mT8_S1H_bDpT10_ENKUlT_T0_E_clISt17integral_constantIbLb1EES1V_EEDaS1Q_S1R_EUlS1Q_E_NS1_11comp_targetILNS1_3genE9ELNS1_11target_archE1100ELNS1_3gpuE3ELNS1_3repE0EEENS1_30default_config_static_selectorELNS0_4arch9wavefront6targetE1EEEvS13_
; %bb.0:
	.section	.rodata,"a",@progbits
	.p2align	6, 0x0
	.amdhsa_kernel _ZN7rocprim17ROCPRIM_400000_NS6detail17trampoline_kernelINS0_13select_configILj256ELj13ELNS0_17block_load_methodE3ELS4_3ELS4_3ELNS0_20block_scan_algorithmE0ELj4294967295EEENS1_25partition_config_selectorILNS1_17partition_subalgoE4EjNS0_10empty_typeEbEEZZNS1_14partition_implILS8_4ELb0ES6_15HIP_vector_typeIjLj2EENS0_17counting_iteratorIjlEEPS9_SG_NS0_5tupleIJPjSI_NS0_16reverse_iteratorISI_EEEEENSH_IJSG_SG_SG_EEES9_SI_JZNS1_25segmented_radix_sort_implINS0_14default_configELb0EPK12hip_bfloat16PSP_PKlPlN2at6native12_GLOBAL__N_18offset_tEEE10hipError_tPvRmT1_PNSt15iterator_traitsIS13_E10value_typeET2_T3_PNS14_IS19_E10value_typeET4_jRbjT5_S1F_jjP12ihipStream_tbEUljE_ZNSN_ISO_Lb0ESR_SS_SU_SV_SZ_EES10_S11_S12_S13_S17_S18_S19_S1C_S1D_jS1E_jS1F_S1F_jjS1H_bEUljE0_EEES10_S11_S12_S19_S1D_S1F_T6_T7_T9_mT8_S1H_bDpT10_ENKUlT_T0_E_clISt17integral_constantIbLb1EES1V_EEDaS1Q_S1R_EUlS1Q_E_NS1_11comp_targetILNS1_3genE9ELNS1_11target_archE1100ELNS1_3gpuE3ELNS1_3repE0EEENS1_30default_config_static_selectorELNS0_4arch9wavefront6targetE1EEEvS13_
		.amdhsa_group_segment_fixed_size 0
		.amdhsa_private_segment_fixed_size 0
		.amdhsa_kernarg_size 184
		.amdhsa_user_sgpr_count 6
		.amdhsa_user_sgpr_private_segment_buffer 1
		.amdhsa_user_sgpr_dispatch_ptr 0
		.amdhsa_user_sgpr_queue_ptr 0
		.amdhsa_user_sgpr_kernarg_segment_ptr 1
		.amdhsa_user_sgpr_dispatch_id 0
		.amdhsa_user_sgpr_flat_scratch_init 0
		.amdhsa_user_sgpr_kernarg_preload_length 0
		.amdhsa_user_sgpr_kernarg_preload_offset 0
		.amdhsa_user_sgpr_private_segment_size 0
		.amdhsa_uses_dynamic_stack 0
		.amdhsa_system_sgpr_private_segment_wavefront_offset 0
		.amdhsa_system_sgpr_workgroup_id_x 1
		.amdhsa_system_sgpr_workgroup_id_y 0
		.amdhsa_system_sgpr_workgroup_id_z 0
		.amdhsa_system_sgpr_workgroup_info 0
		.amdhsa_system_vgpr_workitem_id 0
		.amdhsa_next_free_vgpr 1
		.amdhsa_next_free_sgpr 0
		.amdhsa_accum_offset 4
		.amdhsa_reserve_vcc 0
		.amdhsa_reserve_flat_scratch 0
		.amdhsa_float_round_mode_32 0
		.amdhsa_float_round_mode_16_64 0
		.amdhsa_float_denorm_mode_32 3
		.amdhsa_float_denorm_mode_16_64 3
		.amdhsa_dx10_clamp 1
		.amdhsa_ieee_mode 1
		.amdhsa_fp16_overflow 0
		.amdhsa_tg_split 0
		.amdhsa_exception_fp_ieee_invalid_op 0
		.amdhsa_exception_fp_denorm_src 0
		.amdhsa_exception_fp_ieee_div_zero 0
		.amdhsa_exception_fp_ieee_overflow 0
		.amdhsa_exception_fp_ieee_underflow 0
		.amdhsa_exception_fp_ieee_inexact 0
		.amdhsa_exception_int_div_zero 0
	.end_amdhsa_kernel
	.section	.text._ZN7rocprim17ROCPRIM_400000_NS6detail17trampoline_kernelINS0_13select_configILj256ELj13ELNS0_17block_load_methodE3ELS4_3ELS4_3ELNS0_20block_scan_algorithmE0ELj4294967295EEENS1_25partition_config_selectorILNS1_17partition_subalgoE4EjNS0_10empty_typeEbEEZZNS1_14partition_implILS8_4ELb0ES6_15HIP_vector_typeIjLj2EENS0_17counting_iteratorIjlEEPS9_SG_NS0_5tupleIJPjSI_NS0_16reverse_iteratorISI_EEEEENSH_IJSG_SG_SG_EEES9_SI_JZNS1_25segmented_radix_sort_implINS0_14default_configELb0EPK12hip_bfloat16PSP_PKlPlN2at6native12_GLOBAL__N_18offset_tEEE10hipError_tPvRmT1_PNSt15iterator_traitsIS13_E10value_typeET2_T3_PNS14_IS19_E10value_typeET4_jRbjT5_S1F_jjP12ihipStream_tbEUljE_ZNSN_ISO_Lb0ESR_SS_SU_SV_SZ_EES10_S11_S12_S13_S17_S18_S19_S1C_S1D_jS1E_jS1F_S1F_jjS1H_bEUljE0_EEES10_S11_S12_S19_S1D_S1F_T6_T7_T9_mT8_S1H_bDpT10_ENKUlT_T0_E_clISt17integral_constantIbLb1EES1V_EEDaS1Q_S1R_EUlS1Q_E_NS1_11comp_targetILNS1_3genE9ELNS1_11target_archE1100ELNS1_3gpuE3ELNS1_3repE0EEENS1_30default_config_static_selectorELNS0_4arch9wavefront6targetE1EEEvS13_,"axG",@progbits,_ZN7rocprim17ROCPRIM_400000_NS6detail17trampoline_kernelINS0_13select_configILj256ELj13ELNS0_17block_load_methodE3ELS4_3ELS4_3ELNS0_20block_scan_algorithmE0ELj4294967295EEENS1_25partition_config_selectorILNS1_17partition_subalgoE4EjNS0_10empty_typeEbEEZZNS1_14partition_implILS8_4ELb0ES6_15HIP_vector_typeIjLj2EENS0_17counting_iteratorIjlEEPS9_SG_NS0_5tupleIJPjSI_NS0_16reverse_iteratorISI_EEEEENSH_IJSG_SG_SG_EEES9_SI_JZNS1_25segmented_radix_sort_implINS0_14default_configELb0EPK12hip_bfloat16PSP_PKlPlN2at6native12_GLOBAL__N_18offset_tEEE10hipError_tPvRmT1_PNSt15iterator_traitsIS13_E10value_typeET2_T3_PNS14_IS19_E10value_typeET4_jRbjT5_S1F_jjP12ihipStream_tbEUljE_ZNSN_ISO_Lb0ESR_SS_SU_SV_SZ_EES10_S11_S12_S13_S17_S18_S19_S1C_S1D_jS1E_jS1F_S1F_jjS1H_bEUljE0_EEES10_S11_S12_S19_S1D_S1F_T6_T7_T9_mT8_S1H_bDpT10_ENKUlT_T0_E_clISt17integral_constantIbLb1EES1V_EEDaS1Q_S1R_EUlS1Q_E_NS1_11comp_targetILNS1_3genE9ELNS1_11target_archE1100ELNS1_3gpuE3ELNS1_3repE0EEENS1_30default_config_static_selectorELNS0_4arch9wavefront6targetE1EEEvS13_,comdat
.Lfunc_end1997:
	.size	_ZN7rocprim17ROCPRIM_400000_NS6detail17trampoline_kernelINS0_13select_configILj256ELj13ELNS0_17block_load_methodE3ELS4_3ELS4_3ELNS0_20block_scan_algorithmE0ELj4294967295EEENS1_25partition_config_selectorILNS1_17partition_subalgoE4EjNS0_10empty_typeEbEEZZNS1_14partition_implILS8_4ELb0ES6_15HIP_vector_typeIjLj2EENS0_17counting_iteratorIjlEEPS9_SG_NS0_5tupleIJPjSI_NS0_16reverse_iteratorISI_EEEEENSH_IJSG_SG_SG_EEES9_SI_JZNS1_25segmented_radix_sort_implINS0_14default_configELb0EPK12hip_bfloat16PSP_PKlPlN2at6native12_GLOBAL__N_18offset_tEEE10hipError_tPvRmT1_PNSt15iterator_traitsIS13_E10value_typeET2_T3_PNS14_IS19_E10value_typeET4_jRbjT5_S1F_jjP12ihipStream_tbEUljE_ZNSN_ISO_Lb0ESR_SS_SU_SV_SZ_EES10_S11_S12_S13_S17_S18_S19_S1C_S1D_jS1E_jS1F_S1F_jjS1H_bEUljE0_EEES10_S11_S12_S19_S1D_S1F_T6_T7_T9_mT8_S1H_bDpT10_ENKUlT_T0_E_clISt17integral_constantIbLb1EES1V_EEDaS1Q_S1R_EUlS1Q_E_NS1_11comp_targetILNS1_3genE9ELNS1_11target_archE1100ELNS1_3gpuE3ELNS1_3repE0EEENS1_30default_config_static_selectorELNS0_4arch9wavefront6targetE1EEEvS13_, .Lfunc_end1997-_ZN7rocprim17ROCPRIM_400000_NS6detail17trampoline_kernelINS0_13select_configILj256ELj13ELNS0_17block_load_methodE3ELS4_3ELS4_3ELNS0_20block_scan_algorithmE0ELj4294967295EEENS1_25partition_config_selectorILNS1_17partition_subalgoE4EjNS0_10empty_typeEbEEZZNS1_14partition_implILS8_4ELb0ES6_15HIP_vector_typeIjLj2EENS0_17counting_iteratorIjlEEPS9_SG_NS0_5tupleIJPjSI_NS0_16reverse_iteratorISI_EEEEENSH_IJSG_SG_SG_EEES9_SI_JZNS1_25segmented_radix_sort_implINS0_14default_configELb0EPK12hip_bfloat16PSP_PKlPlN2at6native12_GLOBAL__N_18offset_tEEE10hipError_tPvRmT1_PNSt15iterator_traitsIS13_E10value_typeET2_T3_PNS14_IS19_E10value_typeET4_jRbjT5_S1F_jjP12ihipStream_tbEUljE_ZNSN_ISO_Lb0ESR_SS_SU_SV_SZ_EES10_S11_S12_S13_S17_S18_S19_S1C_S1D_jS1E_jS1F_S1F_jjS1H_bEUljE0_EEES10_S11_S12_S19_S1D_S1F_T6_T7_T9_mT8_S1H_bDpT10_ENKUlT_T0_E_clISt17integral_constantIbLb1EES1V_EEDaS1Q_S1R_EUlS1Q_E_NS1_11comp_targetILNS1_3genE9ELNS1_11target_archE1100ELNS1_3gpuE3ELNS1_3repE0EEENS1_30default_config_static_selectorELNS0_4arch9wavefront6targetE1EEEvS13_
                                        ; -- End function
	.section	.AMDGPU.csdata,"",@progbits
; Kernel info:
; codeLenInByte = 0
; NumSgprs: 4
; NumVgprs: 0
; NumAgprs: 0
; TotalNumVgprs: 0
; ScratchSize: 0
; MemoryBound: 0
; FloatMode: 240
; IeeeMode: 1
; LDSByteSize: 0 bytes/workgroup (compile time only)
; SGPRBlocks: 0
; VGPRBlocks: 0
; NumSGPRsForWavesPerEU: 4
; NumVGPRsForWavesPerEU: 1
; AccumOffset: 4
; Occupancy: 8
; WaveLimiterHint : 0
; COMPUTE_PGM_RSRC2:SCRATCH_EN: 0
; COMPUTE_PGM_RSRC2:USER_SGPR: 6
; COMPUTE_PGM_RSRC2:TRAP_HANDLER: 0
; COMPUTE_PGM_RSRC2:TGID_X_EN: 1
; COMPUTE_PGM_RSRC2:TGID_Y_EN: 0
; COMPUTE_PGM_RSRC2:TGID_Z_EN: 0
; COMPUTE_PGM_RSRC2:TIDIG_COMP_CNT: 0
; COMPUTE_PGM_RSRC3_GFX90A:ACCUM_OFFSET: 0
; COMPUTE_PGM_RSRC3_GFX90A:TG_SPLIT: 0
	.section	.text._ZN7rocprim17ROCPRIM_400000_NS6detail17trampoline_kernelINS0_13select_configILj256ELj13ELNS0_17block_load_methodE3ELS4_3ELS4_3ELNS0_20block_scan_algorithmE0ELj4294967295EEENS1_25partition_config_selectorILNS1_17partition_subalgoE4EjNS0_10empty_typeEbEEZZNS1_14partition_implILS8_4ELb0ES6_15HIP_vector_typeIjLj2EENS0_17counting_iteratorIjlEEPS9_SG_NS0_5tupleIJPjSI_NS0_16reverse_iteratorISI_EEEEENSH_IJSG_SG_SG_EEES9_SI_JZNS1_25segmented_radix_sort_implINS0_14default_configELb0EPK12hip_bfloat16PSP_PKlPlN2at6native12_GLOBAL__N_18offset_tEEE10hipError_tPvRmT1_PNSt15iterator_traitsIS13_E10value_typeET2_T3_PNS14_IS19_E10value_typeET4_jRbjT5_S1F_jjP12ihipStream_tbEUljE_ZNSN_ISO_Lb0ESR_SS_SU_SV_SZ_EES10_S11_S12_S13_S17_S18_S19_S1C_S1D_jS1E_jS1F_S1F_jjS1H_bEUljE0_EEES10_S11_S12_S19_S1D_S1F_T6_T7_T9_mT8_S1H_bDpT10_ENKUlT_T0_E_clISt17integral_constantIbLb1EES1V_EEDaS1Q_S1R_EUlS1Q_E_NS1_11comp_targetILNS1_3genE8ELNS1_11target_archE1030ELNS1_3gpuE2ELNS1_3repE0EEENS1_30default_config_static_selectorELNS0_4arch9wavefront6targetE1EEEvS13_,"axG",@progbits,_ZN7rocprim17ROCPRIM_400000_NS6detail17trampoline_kernelINS0_13select_configILj256ELj13ELNS0_17block_load_methodE3ELS4_3ELS4_3ELNS0_20block_scan_algorithmE0ELj4294967295EEENS1_25partition_config_selectorILNS1_17partition_subalgoE4EjNS0_10empty_typeEbEEZZNS1_14partition_implILS8_4ELb0ES6_15HIP_vector_typeIjLj2EENS0_17counting_iteratorIjlEEPS9_SG_NS0_5tupleIJPjSI_NS0_16reverse_iteratorISI_EEEEENSH_IJSG_SG_SG_EEES9_SI_JZNS1_25segmented_radix_sort_implINS0_14default_configELb0EPK12hip_bfloat16PSP_PKlPlN2at6native12_GLOBAL__N_18offset_tEEE10hipError_tPvRmT1_PNSt15iterator_traitsIS13_E10value_typeET2_T3_PNS14_IS19_E10value_typeET4_jRbjT5_S1F_jjP12ihipStream_tbEUljE_ZNSN_ISO_Lb0ESR_SS_SU_SV_SZ_EES10_S11_S12_S13_S17_S18_S19_S1C_S1D_jS1E_jS1F_S1F_jjS1H_bEUljE0_EEES10_S11_S12_S19_S1D_S1F_T6_T7_T9_mT8_S1H_bDpT10_ENKUlT_T0_E_clISt17integral_constantIbLb1EES1V_EEDaS1Q_S1R_EUlS1Q_E_NS1_11comp_targetILNS1_3genE8ELNS1_11target_archE1030ELNS1_3gpuE2ELNS1_3repE0EEENS1_30default_config_static_selectorELNS0_4arch9wavefront6targetE1EEEvS13_,comdat
	.globl	_ZN7rocprim17ROCPRIM_400000_NS6detail17trampoline_kernelINS0_13select_configILj256ELj13ELNS0_17block_load_methodE3ELS4_3ELS4_3ELNS0_20block_scan_algorithmE0ELj4294967295EEENS1_25partition_config_selectorILNS1_17partition_subalgoE4EjNS0_10empty_typeEbEEZZNS1_14partition_implILS8_4ELb0ES6_15HIP_vector_typeIjLj2EENS0_17counting_iteratorIjlEEPS9_SG_NS0_5tupleIJPjSI_NS0_16reverse_iteratorISI_EEEEENSH_IJSG_SG_SG_EEES9_SI_JZNS1_25segmented_radix_sort_implINS0_14default_configELb0EPK12hip_bfloat16PSP_PKlPlN2at6native12_GLOBAL__N_18offset_tEEE10hipError_tPvRmT1_PNSt15iterator_traitsIS13_E10value_typeET2_T3_PNS14_IS19_E10value_typeET4_jRbjT5_S1F_jjP12ihipStream_tbEUljE_ZNSN_ISO_Lb0ESR_SS_SU_SV_SZ_EES10_S11_S12_S13_S17_S18_S19_S1C_S1D_jS1E_jS1F_S1F_jjS1H_bEUljE0_EEES10_S11_S12_S19_S1D_S1F_T6_T7_T9_mT8_S1H_bDpT10_ENKUlT_T0_E_clISt17integral_constantIbLb1EES1V_EEDaS1Q_S1R_EUlS1Q_E_NS1_11comp_targetILNS1_3genE8ELNS1_11target_archE1030ELNS1_3gpuE2ELNS1_3repE0EEENS1_30default_config_static_selectorELNS0_4arch9wavefront6targetE1EEEvS13_ ; -- Begin function _ZN7rocprim17ROCPRIM_400000_NS6detail17trampoline_kernelINS0_13select_configILj256ELj13ELNS0_17block_load_methodE3ELS4_3ELS4_3ELNS0_20block_scan_algorithmE0ELj4294967295EEENS1_25partition_config_selectorILNS1_17partition_subalgoE4EjNS0_10empty_typeEbEEZZNS1_14partition_implILS8_4ELb0ES6_15HIP_vector_typeIjLj2EENS0_17counting_iteratorIjlEEPS9_SG_NS0_5tupleIJPjSI_NS0_16reverse_iteratorISI_EEEEENSH_IJSG_SG_SG_EEES9_SI_JZNS1_25segmented_radix_sort_implINS0_14default_configELb0EPK12hip_bfloat16PSP_PKlPlN2at6native12_GLOBAL__N_18offset_tEEE10hipError_tPvRmT1_PNSt15iterator_traitsIS13_E10value_typeET2_T3_PNS14_IS19_E10value_typeET4_jRbjT5_S1F_jjP12ihipStream_tbEUljE_ZNSN_ISO_Lb0ESR_SS_SU_SV_SZ_EES10_S11_S12_S13_S17_S18_S19_S1C_S1D_jS1E_jS1F_S1F_jjS1H_bEUljE0_EEES10_S11_S12_S19_S1D_S1F_T6_T7_T9_mT8_S1H_bDpT10_ENKUlT_T0_E_clISt17integral_constantIbLb1EES1V_EEDaS1Q_S1R_EUlS1Q_E_NS1_11comp_targetILNS1_3genE8ELNS1_11target_archE1030ELNS1_3gpuE2ELNS1_3repE0EEENS1_30default_config_static_selectorELNS0_4arch9wavefront6targetE1EEEvS13_
	.p2align	8
	.type	_ZN7rocprim17ROCPRIM_400000_NS6detail17trampoline_kernelINS0_13select_configILj256ELj13ELNS0_17block_load_methodE3ELS4_3ELS4_3ELNS0_20block_scan_algorithmE0ELj4294967295EEENS1_25partition_config_selectorILNS1_17partition_subalgoE4EjNS0_10empty_typeEbEEZZNS1_14partition_implILS8_4ELb0ES6_15HIP_vector_typeIjLj2EENS0_17counting_iteratorIjlEEPS9_SG_NS0_5tupleIJPjSI_NS0_16reverse_iteratorISI_EEEEENSH_IJSG_SG_SG_EEES9_SI_JZNS1_25segmented_radix_sort_implINS0_14default_configELb0EPK12hip_bfloat16PSP_PKlPlN2at6native12_GLOBAL__N_18offset_tEEE10hipError_tPvRmT1_PNSt15iterator_traitsIS13_E10value_typeET2_T3_PNS14_IS19_E10value_typeET4_jRbjT5_S1F_jjP12ihipStream_tbEUljE_ZNSN_ISO_Lb0ESR_SS_SU_SV_SZ_EES10_S11_S12_S13_S17_S18_S19_S1C_S1D_jS1E_jS1F_S1F_jjS1H_bEUljE0_EEES10_S11_S12_S19_S1D_S1F_T6_T7_T9_mT8_S1H_bDpT10_ENKUlT_T0_E_clISt17integral_constantIbLb1EES1V_EEDaS1Q_S1R_EUlS1Q_E_NS1_11comp_targetILNS1_3genE8ELNS1_11target_archE1030ELNS1_3gpuE2ELNS1_3repE0EEENS1_30default_config_static_selectorELNS0_4arch9wavefront6targetE1EEEvS13_,@function
_ZN7rocprim17ROCPRIM_400000_NS6detail17trampoline_kernelINS0_13select_configILj256ELj13ELNS0_17block_load_methodE3ELS4_3ELS4_3ELNS0_20block_scan_algorithmE0ELj4294967295EEENS1_25partition_config_selectorILNS1_17partition_subalgoE4EjNS0_10empty_typeEbEEZZNS1_14partition_implILS8_4ELb0ES6_15HIP_vector_typeIjLj2EENS0_17counting_iteratorIjlEEPS9_SG_NS0_5tupleIJPjSI_NS0_16reverse_iteratorISI_EEEEENSH_IJSG_SG_SG_EEES9_SI_JZNS1_25segmented_radix_sort_implINS0_14default_configELb0EPK12hip_bfloat16PSP_PKlPlN2at6native12_GLOBAL__N_18offset_tEEE10hipError_tPvRmT1_PNSt15iterator_traitsIS13_E10value_typeET2_T3_PNS14_IS19_E10value_typeET4_jRbjT5_S1F_jjP12ihipStream_tbEUljE_ZNSN_ISO_Lb0ESR_SS_SU_SV_SZ_EES10_S11_S12_S13_S17_S18_S19_S1C_S1D_jS1E_jS1F_S1F_jjS1H_bEUljE0_EEES10_S11_S12_S19_S1D_S1F_T6_T7_T9_mT8_S1H_bDpT10_ENKUlT_T0_E_clISt17integral_constantIbLb1EES1V_EEDaS1Q_S1R_EUlS1Q_E_NS1_11comp_targetILNS1_3genE8ELNS1_11target_archE1030ELNS1_3gpuE2ELNS1_3repE0EEENS1_30default_config_static_selectorELNS0_4arch9wavefront6targetE1EEEvS13_: ; @_ZN7rocprim17ROCPRIM_400000_NS6detail17trampoline_kernelINS0_13select_configILj256ELj13ELNS0_17block_load_methodE3ELS4_3ELS4_3ELNS0_20block_scan_algorithmE0ELj4294967295EEENS1_25partition_config_selectorILNS1_17partition_subalgoE4EjNS0_10empty_typeEbEEZZNS1_14partition_implILS8_4ELb0ES6_15HIP_vector_typeIjLj2EENS0_17counting_iteratorIjlEEPS9_SG_NS0_5tupleIJPjSI_NS0_16reverse_iteratorISI_EEEEENSH_IJSG_SG_SG_EEES9_SI_JZNS1_25segmented_radix_sort_implINS0_14default_configELb0EPK12hip_bfloat16PSP_PKlPlN2at6native12_GLOBAL__N_18offset_tEEE10hipError_tPvRmT1_PNSt15iterator_traitsIS13_E10value_typeET2_T3_PNS14_IS19_E10value_typeET4_jRbjT5_S1F_jjP12ihipStream_tbEUljE_ZNSN_ISO_Lb0ESR_SS_SU_SV_SZ_EES10_S11_S12_S13_S17_S18_S19_S1C_S1D_jS1E_jS1F_S1F_jjS1H_bEUljE0_EEES10_S11_S12_S19_S1D_S1F_T6_T7_T9_mT8_S1H_bDpT10_ENKUlT_T0_E_clISt17integral_constantIbLb1EES1V_EEDaS1Q_S1R_EUlS1Q_E_NS1_11comp_targetILNS1_3genE8ELNS1_11target_archE1030ELNS1_3gpuE2ELNS1_3repE0EEENS1_30default_config_static_selectorELNS0_4arch9wavefront6targetE1EEEvS13_
; %bb.0:
	.section	.rodata,"a",@progbits
	.p2align	6, 0x0
	.amdhsa_kernel _ZN7rocprim17ROCPRIM_400000_NS6detail17trampoline_kernelINS0_13select_configILj256ELj13ELNS0_17block_load_methodE3ELS4_3ELS4_3ELNS0_20block_scan_algorithmE0ELj4294967295EEENS1_25partition_config_selectorILNS1_17partition_subalgoE4EjNS0_10empty_typeEbEEZZNS1_14partition_implILS8_4ELb0ES6_15HIP_vector_typeIjLj2EENS0_17counting_iteratorIjlEEPS9_SG_NS0_5tupleIJPjSI_NS0_16reverse_iteratorISI_EEEEENSH_IJSG_SG_SG_EEES9_SI_JZNS1_25segmented_radix_sort_implINS0_14default_configELb0EPK12hip_bfloat16PSP_PKlPlN2at6native12_GLOBAL__N_18offset_tEEE10hipError_tPvRmT1_PNSt15iterator_traitsIS13_E10value_typeET2_T3_PNS14_IS19_E10value_typeET4_jRbjT5_S1F_jjP12ihipStream_tbEUljE_ZNSN_ISO_Lb0ESR_SS_SU_SV_SZ_EES10_S11_S12_S13_S17_S18_S19_S1C_S1D_jS1E_jS1F_S1F_jjS1H_bEUljE0_EEES10_S11_S12_S19_S1D_S1F_T6_T7_T9_mT8_S1H_bDpT10_ENKUlT_T0_E_clISt17integral_constantIbLb1EES1V_EEDaS1Q_S1R_EUlS1Q_E_NS1_11comp_targetILNS1_3genE8ELNS1_11target_archE1030ELNS1_3gpuE2ELNS1_3repE0EEENS1_30default_config_static_selectorELNS0_4arch9wavefront6targetE1EEEvS13_
		.amdhsa_group_segment_fixed_size 0
		.amdhsa_private_segment_fixed_size 0
		.amdhsa_kernarg_size 184
		.amdhsa_user_sgpr_count 6
		.amdhsa_user_sgpr_private_segment_buffer 1
		.amdhsa_user_sgpr_dispatch_ptr 0
		.amdhsa_user_sgpr_queue_ptr 0
		.amdhsa_user_sgpr_kernarg_segment_ptr 1
		.amdhsa_user_sgpr_dispatch_id 0
		.amdhsa_user_sgpr_flat_scratch_init 0
		.amdhsa_user_sgpr_kernarg_preload_length 0
		.amdhsa_user_sgpr_kernarg_preload_offset 0
		.amdhsa_user_sgpr_private_segment_size 0
		.amdhsa_uses_dynamic_stack 0
		.amdhsa_system_sgpr_private_segment_wavefront_offset 0
		.amdhsa_system_sgpr_workgroup_id_x 1
		.amdhsa_system_sgpr_workgroup_id_y 0
		.amdhsa_system_sgpr_workgroup_id_z 0
		.amdhsa_system_sgpr_workgroup_info 0
		.amdhsa_system_vgpr_workitem_id 0
		.amdhsa_next_free_vgpr 1
		.amdhsa_next_free_sgpr 0
		.amdhsa_accum_offset 4
		.amdhsa_reserve_vcc 0
		.amdhsa_reserve_flat_scratch 0
		.amdhsa_float_round_mode_32 0
		.amdhsa_float_round_mode_16_64 0
		.amdhsa_float_denorm_mode_32 3
		.amdhsa_float_denorm_mode_16_64 3
		.amdhsa_dx10_clamp 1
		.amdhsa_ieee_mode 1
		.amdhsa_fp16_overflow 0
		.amdhsa_tg_split 0
		.amdhsa_exception_fp_ieee_invalid_op 0
		.amdhsa_exception_fp_denorm_src 0
		.amdhsa_exception_fp_ieee_div_zero 0
		.amdhsa_exception_fp_ieee_overflow 0
		.amdhsa_exception_fp_ieee_underflow 0
		.amdhsa_exception_fp_ieee_inexact 0
		.amdhsa_exception_int_div_zero 0
	.end_amdhsa_kernel
	.section	.text._ZN7rocprim17ROCPRIM_400000_NS6detail17trampoline_kernelINS0_13select_configILj256ELj13ELNS0_17block_load_methodE3ELS4_3ELS4_3ELNS0_20block_scan_algorithmE0ELj4294967295EEENS1_25partition_config_selectorILNS1_17partition_subalgoE4EjNS0_10empty_typeEbEEZZNS1_14partition_implILS8_4ELb0ES6_15HIP_vector_typeIjLj2EENS0_17counting_iteratorIjlEEPS9_SG_NS0_5tupleIJPjSI_NS0_16reverse_iteratorISI_EEEEENSH_IJSG_SG_SG_EEES9_SI_JZNS1_25segmented_radix_sort_implINS0_14default_configELb0EPK12hip_bfloat16PSP_PKlPlN2at6native12_GLOBAL__N_18offset_tEEE10hipError_tPvRmT1_PNSt15iterator_traitsIS13_E10value_typeET2_T3_PNS14_IS19_E10value_typeET4_jRbjT5_S1F_jjP12ihipStream_tbEUljE_ZNSN_ISO_Lb0ESR_SS_SU_SV_SZ_EES10_S11_S12_S13_S17_S18_S19_S1C_S1D_jS1E_jS1F_S1F_jjS1H_bEUljE0_EEES10_S11_S12_S19_S1D_S1F_T6_T7_T9_mT8_S1H_bDpT10_ENKUlT_T0_E_clISt17integral_constantIbLb1EES1V_EEDaS1Q_S1R_EUlS1Q_E_NS1_11comp_targetILNS1_3genE8ELNS1_11target_archE1030ELNS1_3gpuE2ELNS1_3repE0EEENS1_30default_config_static_selectorELNS0_4arch9wavefront6targetE1EEEvS13_,"axG",@progbits,_ZN7rocprim17ROCPRIM_400000_NS6detail17trampoline_kernelINS0_13select_configILj256ELj13ELNS0_17block_load_methodE3ELS4_3ELS4_3ELNS0_20block_scan_algorithmE0ELj4294967295EEENS1_25partition_config_selectorILNS1_17partition_subalgoE4EjNS0_10empty_typeEbEEZZNS1_14partition_implILS8_4ELb0ES6_15HIP_vector_typeIjLj2EENS0_17counting_iteratorIjlEEPS9_SG_NS0_5tupleIJPjSI_NS0_16reverse_iteratorISI_EEEEENSH_IJSG_SG_SG_EEES9_SI_JZNS1_25segmented_radix_sort_implINS0_14default_configELb0EPK12hip_bfloat16PSP_PKlPlN2at6native12_GLOBAL__N_18offset_tEEE10hipError_tPvRmT1_PNSt15iterator_traitsIS13_E10value_typeET2_T3_PNS14_IS19_E10value_typeET4_jRbjT5_S1F_jjP12ihipStream_tbEUljE_ZNSN_ISO_Lb0ESR_SS_SU_SV_SZ_EES10_S11_S12_S13_S17_S18_S19_S1C_S1D_jS1E_jS1F_S1F_jjS1H_bEUljE0_EEES10_S11_S12_S19_S1D_S1F_T6_T7_T9_mT8_S1H_bDpT10_ENKUlT_T0_E_clISt17integral_constantIbLb1EES1V_EEDaS1Q_S1R_EUlS1Q_E_NS1_11comp_targetILNS1_3genE8ELNS1_11target_archE1030ELNS1_3gpuE2ELNS1_3repE0EEENS1_30default_config_static_selectorELNS0_4arch9wavefront6targetE1EEEvS13_,comdat
.Lfunc_end1998:
	.size	_ZN7rocprim17ROCPRIM_400000_NS6detail17trampoline_kernelINS0_13select_configILj256ELj13ELNS0_17block_load_methodE3ELS4_3ELS4_3ELNS0_20block_scan_algorithmE0ELj4294967295EEENS1_25partition_config_selectorILNS1_17partition_subalgoE4EjNS0_10empty_typeEbEEZZNS1_14partition_implILS8_4ELb0ES6_15HIP_vector_typeIjLj2EENS0_17counting_iteratorIjlEEPS9_SG_NS0_5tupleIJPjSI_NS0_16reverse_iteratorISI_EEEEENSH_IJSG_SG_SG_EEES9_SI_JZNS1_25segmented_radix_sort_implINS0_14default_configELb0EPK12hip_bfloat16PSP_PKlPlN2at6native12_GLOBAL__N_18offset_tEEE10hipError_tPvRmT1_PNSt15iterator_traitsIS13_E10value_typeET2_T3_PNS14_IS19_E10value_typeET4_jRbjT5_S1F_jjP12ihipStream_tbEUljE_ZNSN_ISO_Lb0ESR_SS_SU_SV_SZ_EES10_S11_S12_S13_S17_S18_S19_S1C_S1D_jS1E_jS1F_S1F_jjS1H_bEUljE0_EEES10_S11_S12_S19_S1D_S1F_T6_T7_T9_mT8_S1H_bDpT10_ENKUlT_T0_E_clISt17integral_constantIbLb1EES1V_EEDaS1Q_S1R_EUlS1Q_E_NS1_11comp_targetILNS1_3genE8ELNS1_11target_archE1030ELNS1_3gpuE2ELNS1_3repE0EEENS1_30default_config_static_selectorELNS0_4arch9wavefront6targetE1EEEvS13_, .Lfunc_end1998-_ZN7rocprim17ROCPRIM_400000_NS6detail17trampoline_kernelINS0_13select_configILj256ELj13ELNS0_17block_load_methodE3ELS4_3ELS4_3ELNS0_20block_scan_algorithmE0ELj4294967295EEENS1_25partition_config_selectorILNS1_17partition_subalgoE4EjNS0_10empty_typeEbEEZZNS1_14partition_implILS8_4ELb0ES6_15HIP_vector_typeIjLj2EENS0_17counting_iteratorIjlEEPS9_SG_NS0_5tupleIJPjSI_NS0_16reverse_iteratorISI_EEEEENSH_IJSG_SG_SG_EEES9_SI_JZNS1_25segmented_radix_sort_implINS0_14default_configELb0EPK12hip_bfloat16PSP_PKlPlN2at6native12_GLOBAL__N_18offset_tEEE10hipError_tPvRmT1_PNSt15iterator_traitsIS13_E10value_typeET2_T3_PNS14_IS19_E10value_typeET4_jRbjT5_S1F_jjP12ihipStream_tbEUljE_ZNSN_ISO_Lb0ESR_SS_SU_SV_SZ_EES10_S11_S12_S13_S17_S18_S19_S1C_S1D_jS1E_jS1F_S1F_jjS1H_bEUljE0_EEES10_S11_S12_S19_S1D_S1F_T6_T7_T9_mT8_S1H_bDpT10_ENKUlT_T0_E_clISt17integral_constantIbLb1EES1V_EEDaS1Q_S1R_EUlS1Q_E_NS1_11comp_targetILNS1_3genE8ELNS1_11target_archE1030ELNS1_3gpuE2ELNS1_3repE0EEENS1_30default_config_static_selectorELNS0_4arch9wavefront6targetE1EEEvS13_
                                        ; -- End function
	.section	.AMDGPU.csdata,"",@progbits
; Kernel info:
; codeLenInByte = 0
; NumSgprs: 4
; NumVgprs: 0
; NumAgprs: 0
; TotalNumVgprs: 0
; ScratchSize: 0
; MemoryBound: 0
; FloatMode: 240
; IeeeMode: 1
; LDSByteSize: 0 bytes/workgroup (compile time only)
; SGPRBlocks: 0
; VGPRBlocks: 0
; NumSGPRsForWavesPerEU: 4
; NumVGPRsForWavesPerEU: 1
; AccumOffset: 4
; Occupancy: 8
; WaveLimiterHint : 0
; COMPUTE_PGM_RSRC2:SCRATCH_EN: 0
; COMPUTE_PGM_RSRC2:USER_SGPR: 6
; COMPUTE_PGM_RSRC2:TRAP_HANDLER: 0
; COMPUTE_PGM_RSRC2:TGID_X_EN: 1
; COMPUTE_PGM_RSRC2:TGID_Y_EN: 0
; COMPUTE_PGM_RSRC2:TGID_Z_EN: 0
; COMPUTE_PGM_RSRC2:TIDIG_COMP_CNT: 0
; COMPUTE_PGM_RSRC3_GFX90A:ACCUM_OFFSET: 0
; COMPUTE_PGM_RSRC3_GFX90A:TG_SPLIT: 0
	.section	.text._ZN7rocprim17ROCPRIM_400000_NS6detail17trampoline_kernelINS0_13select_configILj256ELj13ELNS0_17block_load_methodE3ELS4_3ELS4_3ELNS0_20block_scan_algorithmE0ELj4294967295EEENS1_25partition_config_selectorILNS1_17partition_subalgoE4EjNS0_10empty_typeEbEEZZNS1_14partition_implILS8_4ELb0ES6_15HIP_vector_typeIjLj2EENS0_17counting_iteratorIjlEEPS9_SG_NS0_5tupleIJPjSI_NS0_16reverse_iteratorISI_EEEEENSH_IJSG_SG_SG_EEES9_SI_JZNS1_25segmented_radix_sort_implINS0_14default_configELb0EPK12hip_bfloat16PSP_PKlPlN2at6native12_GLOBAL__N_18offset_tEEE10hipError_tPvRmT1_PNSt15iterator_traitsIS13_E10value_typeET2_T3_PNS14_IS19_E10value_typeET4_jRbjT5_S1F_jjP12ihipStream_tbEUljE_ZNSN_ISO_Lb0ESR_SS_SU_SV_SZ_EES10_S11_S12_S13_S17_S18_S19_S1C_S1D_jS1E_jS1F_S1F_jjS1H_bEUljE0_EEES10_S11_S12_S19_S1D_S1F_T6_T7_T9_mT8_S1H_bDpT10_ENKUlT_T0_E_clISt17integral_constantIbLb1EES1U_IbLb0EEEEDaS1Q_S1R_EUlS1Q_E_NS1_11comp_targetILNS1_3genE0ELNS1_11target_archE4294967295ELNS1_3gpuE0ELNS1_3repE0EEENS1_30default_config_static_selectorELNS0_4arch9wavefront6targetE1EEEvS13_,"axG",@progbits,_ZN7rocprim17ROCPRIM_400000_NS6detail17trampoline_kernelINS0_13select_configILj256ELj13ELNS0_17block_load_methodE3ELS4_3ELS4_3ELNS0_20block_scan_algorithmE0ELj4294967295EEENS1_25partition_config_selectorILNS1_17partition_subalgoE4EjNS0_10empty_typeEbEEZZNS1_14partition_implILS8_4ELb0ES6_15HIP_vector_typeIjLj2EENS0_17counting_iteratorIjlEEPS9_SG_NS0_5tupleIJPjSI_NS0_16reverse_iteratorISI_EEEEENSH_IJSG_SG_SG_EEES9_SI_JZNS1_25segmented_radix_sort_implINS0_14default_configELb0EPK12hip_bfloat16PSP_PKlPlN2at6native12_GLOBAL__N_18offset_tEEE10hipError_tPvRmT1_PNSt15iterator_traitsIS13_E10value_typeET2_T3_PNS14_IS19_E10value_typeET4_jRbjT5_S1F_jjP12ihipStream_tbEUljE_ZNSN_ISO_Lb0ESR_SS_SU_SV_SZ_EES10_S11_S12_S13_S17_S18_S19_S1C_S1D_jS1E_jS1F_S1F_jjS1H_bEUljE0_EEES10_S11_S12_S19_S1D_S1F_T6_T7_T9_mT8_S1H_bDpT10_ENKUlT_T0_E_clISt17integral_constantIbLb1EES1U_IbLb0EEEEDaS1Q_S1R_EUlS1Q_E_NS1_11comp_targetILNS1_3genE0ELNS1_11target_archE4294967295ELNS1_3gpuE0ELNS1_3repE0EEENS1_30default_config_static_selectorELNS0_4arch9wavefront6targetE1EEEvS13_,comdat
	.globl	_ZN7rocprim17ROCPRIM_400000_NS6detail17trampoline_kernelINS0_13select_configILj256ELj13ELNS0_17block_load_methodE3ELS4_3ELS4_3ELNS0_20block_scan_algorithmE0ELj4294967295EEENS1_25partition_config_selectorILNS1_17partition_subalgoE4EjNS0_10empty_typeEbEEZZNS1_14partition_implILS8_4ELb0ES6_15HIP_vector_typeIjLj2EENS0_17counting_iteratorIjlEEPS9_SG_NS0_5tupleIJPjSI_NS0_16reverse_iteratorISI_EEEEENSH_IJSG_SG_SG_EEES9_SI_JZNS1_25segmented_radix_sort_implINS0_14default_configELb0EPK12hip_bfloat16PSP_PKlPlN2at6native12_GLOBAL__N_18offset_tEEE10hipError_tPvRmT1_PNSt15iterator_traitsIS13_E10value_typeET2_T3_PNS14_IS19_E10value_typeET4_jRbjT5_S1F_jjP12ihipStream_tbEUljE_ZNSN_ISO_Lb0ESR_SS_SU_SV_SZ_EES10_S11_S12_S13_S17_S18_S19_S1C_S1D_jS1E_jS1F_S1F_jjS1H_bEUljE0_EEES10_S11_S12_S19_S1D_S1F_T6_T7_T9_mT8_S1H_bDpT10_ENKUlT_T0_E_clISt17integral_constantIbLb1EES1U_IbLb0EEEEDaS1Q_S1R_EUlS1Q_E_NS1_11comp_targetILNS1_3genE0ELNS1_11target_archE4294967295ELNS1_3gpuE0ELNS1_3repE0EEENS1_30default_config_static_selectorELNS0_4arch9wavefront6targetE1EEEvS13_ ; -- Begin function _ZN7rocprim17ROCPRIM_400000_NS6detail17trampoline_kernelINS0_13select_configILj256ELj13ELNS0_17block_load_methodE3ELS4_3ELS4_3ELNS0_20block_scan_algorithmE0ELj4294967295EEENS1_25partition_config_selectorILNS1_17partition_subalgoE4EjNS0_10empty_typeEbEEZZNS1_14partition_implILS8_4ELb0ES6_15HIP_vector_typeIjLj2EENS0_17counting_iteratorIjlEEPS9_SG_NS0_5tupleIJPjSI_NS0_16reverse_iteratorISI_EEEEENSH_IJSG_SG_SG_EEES9_SI_JZNS1_25segmented_radix_sort_implINS0_14default_configELb0EPK12hip_bfloat16PSP_PKlPlN2at6native12_GLOBAL__N_18offset_tEEE10hipError_tPvRmT1_PNSt15iterator_traitsIS13_E10value_typeET2_T3_PNS14_IS19_E10value_typeET4_jRbjT5_S1F_jjP12ihipStream_tbEUljE_ZNSN_ISO_Lb0ESR_SS_SU_SV_SZ_EES10_S11_S12_S13_S17_S18_S19_S1C_S1D_jS1E_jS1F_S1F_jjS1H_bEUljE0_EEES10_S11_S12_S19_S1D_S1F_T6_T7_T9_mT8_S1H_bDpT10_ENKUlT_T0_E_clISt17integral_constantIbLb1EES1U_IbLb0EEEEDaS1Q_S1R_EUlS1Q_E_NS1_11comp_targetILNS1_3genE0ELNS1_11target_archE4294967295ELNS1_3gpuE0ELNS1_3repE0EEENS1_30default_config_static_selectorELNS0_4arch9wavefront6targetE1EEEvS13_
	.p2align	8
	.type	_ZN7rocprim17ROCPRIM_400000_NS6detail17trampoline_kernelINS0_13select_configILj256ELj13ELNS0_17block_load_methodE3ELS4_3ELS4_3ELNS0_20block_scan_algorithmE0ELj4294967295EEENS1_25partition_config_selectorILNS1_17partition_subalgoE4EjNS0_10empty_typeEbEEZZNS1_14partition_implILS8_4ELb0ES6_15HIP_vector_typeIjLj2EENS0_17counting_iteratorIjlEEPS9_SG_NS0_5tupleIJPjSI_NS0_16reverse_iteratorISI_EEEEENSH_IJSG_SG_SG_EEES9_SI_JZNS1_25segmented_radix_sort_implINS0_14default_configELb0EPK12hip_bfloat16PSP_PKlPlN2at6native12_GLOBAL__N_18offset_tEEE10hipError_tPvRmT1_PNSt15iterator_traitsIS13_E10value_typeET2_T3_PNS14_IS19_E10value_typeET4_jRbjT5_S1F_jjP12ihipStream_tbEUljE_ZNSN_ISO_Lb0ESR_SS_SU_SV_SZ_EES10_S11_S12_S13_S17_S18_S19_S1C_S1D_jS1E_jS1F_S1F_jjS1H_bEUljE0_EEES10_S11_S12_S19_S1D_S1F_T6_T7_T9_mT8_S1H_bDpT10_ENKUlT_T0_E_clISt17integral_constantIbLb1EES1U_IbLb0EEEEDaS1Q_S1R_EUlS1Q_E_NS1_11comp_targetILNS1_3genE0ELNS1_11target_archE4294967295ELNS1_3gpuE0ELNS1_3repE0EEENS1_30default_config_static_selectorELNS0_4arch9wavefront6targetE1EEEvS13_,@function
_ZN7rocprim17ROCPRIM_400000_NS6detail17trampoline_kernelINS0_13select_configILj256ELj13ELNS0_17block_load_methodE3ELS4_3ELS4_3ELNS0_20block_scan_algorithmE0ELj4294967295EEENS1_25partition_config_selectorILNS1_17partition_subalgoE4EjNS0_10empty_typeEbEEZZNS1_14partition_implILS8_4ELb0ES6_15HIP_vector_typeIjLj2EENS0_17counting_iteratorIjlEEPS9_SG_NS0_5tupleIJPjSI_NS0_16reverse_iteratorISI_EEEEENSH_IJSG_SG_SG_EEES9_SI_JZNS1_25segmented_radix_sort_implINS0_14default_configELb0EPK12hip_bfloat16PSP_PKlPlN2at6native12_GLOBAL__N_18offset_tEEE10hipError_tPvRmT1_PNSt15iterator_traitsIS13_E10value_typeET2_T3_PNS14_IS19_E10value_typeET4_jRbjT5_S1F_jjP12ihipStream_tbEUljE_ZNSN_ISO_Lb0ESR_SS_SU_SV_SZ_EES10_S11_S12_S13_S17_S18_S19_S1C_S1D_jS1E_jS1F_S1F_jjS1H_bEUljE0_EEES10_S11_S12_S19_S1D_S1F_T6_T7_T9_mT8_S1H_bDpT10_ENKUlT_T0_E_clISt17integral_constantIbLb1EES1U_IbLb0EEEEDaS1Q_S1R_EUlS1Q_E_NS1_11comp_targetILNS1_3genE0ELNS1_11target_archE4294967295ELNS1_3gpuE0ELNS1_3repE0EEENS1_30default_config_static_selectorELNS0_4arch9wavefront6targetE1EEEvS13_: ; @_ZN7rocprim17ROCPRIM_400000_NS6detail17trampoline_kernelINS0_13select_configILj256ELj13ELNS0_17block_load_methodE3ELS4_3ELS4_3ELNS0_20block_scan_algorithmE0ELj4294967295EEENS1_25partition_config_selectorILNS1_17partition_subalgoE4EjNS0_10empty_typeEbEEZZNS1_14partition_implILS8_4ELb0ES6_15HIP_vector_typeIjLj2EENS0_17counting_iteratorIjlEEPS9_SG_NS0_5tupleIJPjSI_NS0_16reverse_iteratorISI_EEEEENSH_IJSG_SG_SG_EEES9_SI_JZNS1_25segmented_radix_sort_implINS0_14default_configELb0EPK12hip_bfloat16PSP_PKlPlN2at6native12_GLOBAL__N_18offset_tEEE10hipError_tPvRmT1_PNSt15iterator_traitsIS13_E10value_typeET2_T3_PNS14_IS19_E10value_typeET4_jRbjT5_S1F_jjP12ihipStream_tbEUljE_ZNSN_ISO_Lb0ESR_SS_SU_SV_SZ_EES10_S11_S12_S13_S17_S18_S19_S1C_S1D_jS1E_jS1F_S1F_jjS1H_bEUljE0_EEES10_S11_S12_S19_S1D_S1F_T6_T7_T9_mT8_S1H_bDpT10_ENKUlT_T0_E_clISt17integral_constantIbLb1EES1U_IbLb0EEEEDaS1Q_S1R_EUlS1Q_E_NS1_11comp_targetILNS1_3genE0ELNS1_11target_archE4294967295ELNS1_3gpuE0ELNS1_3repE0EEENS1_30default_config_static_selectorELNS0_4arch9wavefront6targetE1EEEvS13_
; %bb.0:
	.section	.rodata,"a",@progbits
	.p2align	6, 0x0
	.amdhsa_kernel _ZN7rocprim17ROCPRIM_400000_NS6detail17trampoline_kernelINS0_13select_configILj256ELj13ELNS0_17block_load_methodE3ELS4_3ELS4_3ELNS0_20block_scan_algorithmE0ELj4294967295EEENS1_25partition_config_selectorILNS1_17partition_subalgoE4EjNS0_10empty_typeEbEEZZNS1_14partition_implILS8_4ELb0ES6_15HIP_vector_typeIjLj2EENS0_17counting_iteratorIjlEEPS9_SG_NS0_5tupleIJPjSI_NS0_16reverse_iteratorISI_EEEEENSH_IJSG_SG_SG_EEES9_SI_JZNS1_25segmented_radix_sort_implINS0_14default_configELb0EPK12hip_bfloat16PSP_PKlPlN2at6native12_GLOBAL__N_18offset_tEEE10hipError_tPvRmT1_PNSt15iterator_traitsIS13_E10value_typeET2_T3_PNS14_IS19_E10value_typeET4_jRbjT5_S1F_jjP12ihipStream_tbEUljE_ZNSN_ISO_Lb0ESR_SS_SU_SV_SZ_EES10_S11_S12_S13_S17_S18_S19_S1C_S1D_jS1E_jS1F_S1F_jjS1H_bEUljE0_EEES10_S11_S12_S19_S1D_S1F_T6_T7_T9_mT8_S1H_bDpT10_ENKUlT_T0_E_clISt17integral_constantIbLb1EES1U_IbLb0EEEEDaS1Q_S1R_EUlS1Q_E_NS1_11comp_targetILNS1_3genE0ELNS1_11target_archE4294967295ELNS1_3gpuE0ELNS1_3repE0EEENS1_30default_config_static_selectorELNS0_4arch9wavefront6targetE1EEEvS13_
		.amdhsa_group_segment_fixed_size 0
		.amdhsa_private_segment_fixed_size 0
		.amdhsa_kernarg_size 176
		.amdhsa_user_sgpr_count 6
		.amdhsa_user_sgpr_private_segment_buffer 1
		.amdhsa_user_sgpr_dispatch_ptr 0
		.amdhsa_user_sgpr_queue_ptr 0
		.amdhsa_user_sgpr_kernarg_segment_ptr 1
		.amdhsa_user_sgpr_dispatch_id 0
		.amdhsa_user_sgpr_flat_scratch_init 0
		.amdhsa_user_sgpr_kernarg_preload_length 0
		.amdhsa_user_sgpr_kernarg_preload_offset 0
		.amdhsa_user_sgpr_private_segment_size 0
		.amdhsa_uses_dynamic_stack 0
		.amdhsa_system_sgpr_private_segment_wavefront_offset 0
		.amdhsa_system_sgpr_workgroup_id_x 1
		.amdhsa_system_sgpr_workgroup_id_y 0
		.amdhsa_system_sgpr_workgroup_id_z 0
		.amdhsa_system_sgpr_workgroup_info 0
		.amdhsa_system_vgpr_workitem_id 0
		.amdhsa_next_free_vgpr 1
		.amdhsa_next_free_sgpr 0
		.amdhsa_accum_offset 4
		.amdhsa_reserve_vcc 0
		.amdhsa_reserve_flat_scratch 0
		.amdhsa_float_round_mode_32 0
		.amdhsa_float_round_mode_16_64 0
		.amdhsa_float_denorm_mode_32 3
		.amdhsa_float_denorm_mode_16_64 3
		.amdhsa_dx10_clamp 1
		.amdhsa_ieee_mode 1
		.amdhsa_fp16_overflow 0
		.amdhsa_tg_split 0
		.amdhsa_exception_fp_ieee_invalid_op 0
		.amdhsa_exception_fp_denorm_src 0
		.amdhsa_exception_fp_ieee_div_zero 0
		.amdhsa_exception_fp_ieee_overflow 0
		.amdhsa_exception_fp_ieee_underflow 0
		.amdhsa_exception_fp_ieee_inexact 0
		.amdhsa_exception_int_div_zero 0
	.end_amdhsa_kernel
	.section	.text._ZN7rocprim17ROCPRIM_400000_NS6detail17trampoline_kernelINS0_13select_configILj256ELj13ELNS0_17block_load_methodE3ELS4_3ELS4_3ELNS0_20block_scan_algorithmE0ELj4294967295EEENS1_25partition_config_selectorILNS1_17partition_subalgoE4EjNS0_10empty_typeEbEEZZNS1_14partition_implILS8_4ELb0ES6_15HIP_vector_typeIjLj2EENS0_17counting_iteratorIjlEEPS9_SG_NS0_5tupleIJPjSI_NS0_16reverse_iteratorISI_EEEEENSH_IJSG_SG_SG_EEES9_SI_JZNS1_25segmented_radix_sort_implINS0_14default_configELb0EPK12hip_bfloat16PSP_PKlPlN2at6native12_GLOBAL__N_18offset_tEEE10hipError_tPvRmT1_PNSt15iterator_traitsIS13_E10value_typeET2_T3_PNS14_IS19_E10value_typeET4_jRbjT5_S1F_jjP12ihipStream_tbEUljE_ZNSN_ISO_Lb0ESR_SS_SU_SV_SZ_EES10_S11_S12_S13_S17_S18_S19_S1C_S1D_jS1E_jS1F_S1F_jjS1H_bEUljE0_EEES10_S11_S12_S19_S1D_S1F_T6_T7_T9_mT8_S1H_bDpT10_ENKUlT_T0_E_clISt17integral_constantIbLb1EES1U_IbLb0EEEEDaS1Q_S1R_EUlS1Q_E_NS1_11comp_targetILNS1_3genE0ELNS1_11target_archE4294967295ELNS1_3gpuE0ELNS1_3repE0EEENS1_30default_config_static_selectorELNS0_4arch9wavefront6targetE1EEEvS13_,"axG",@progbits,_ZN7rocprim17ROCPRIM_400000_NS6detail17trampoline_kernelINS0_13select_configILj256ELj13ELNS0_17block_load_methodE3ELS4_3ELS4_3ELNS0_20block_scan_algorithmE0ELj4294967295EEENS1_25partition_config_selectorILNS1_17partition_subalgoE4EjNS0_10empty_typeEbEEZZNS1_14partition_implILS8_4ELb0ES6_15HIP_vector_typeIjLj2EENS0_17counting_iteratorIjlEEPS9_SG_NS0_5tupleIJPjSI_NS0_16reverse_iteratorISI_EEEEENSH_IJSG_SG_SG_EEES9_SI_JZNS1_25segmented_radix_sort_implINS0_14default_configELb0EPK12hip_bfloat16PSP_PKlPlN2at6native12_GLOBAL__N_18offset_tEEE10hipError_tPvRmT1_PNSt15iterator_traitsIS13_E10value_typeET2_T3_PNS14_IS19_E10value_typeET4_jRbjT5_S1F_jjP12ihipStream_tbEUljE_ZNSN_ISO_Lb0ESR_SS_SU_SV_SZ_EES10_S11_S12_S13_S17_S18_S19_S1C_S1D_jS1E_jS1F_S1F_jjS1H_bEUljE0_EEES10_S11_S12_S19_S1D_S1F_T6_T7_T9_mT8_S1H_bDpT10_ENKUlT_T0_E_clISt17integral_constantIbLb1EES1U_IbLb0EEEEDaS1Q_S1R_EUlS1Q_E_NS1_11comp_targetILNS1_3genE0ELNS1_11target_archE4294967295ELNS1_3gpuE0ELNS1_3repE0EEENS1_30default_config_static_selectorELNS0_4arch9wavefront6targetE1EEEvS13_,comdat
.Lfunc_end1999:
	.size	_ZN7rocprim17ROCPRIM_400000_NS6detail17trampoline_kernelINS0_13select_configILj256ELj13ELNS0_17block_load_methodE3ELS4_3ELS4_3ELNS0_20block_scan_algorithmE0ELj4294967295EEENS1_25partition_config_selectorILNS1_17partition_subalgoE4EjNS0_10empty_typeEbEEZZNS1_14partition_implILS8_4ELb0ES6_15HIP_vector_typeIjLj2EENS0_17counting_iteratorIjlEEPS9_SG_NS0_5tupleIJPjSI_NS0_16reverse_iteratorISI_EEEEENSH_IJSG_SG_SG_EEES9_SI_JZNS1_25segmented_radix_sort_implINS0_14default_configELb0EPK12hip_bfloat16PSP_PKlPlN2at6native12_GLOBAL__N_18offset_tEEE10hipError_tPvRmT1_PNSt15iterator_traitsIS13_E10value_typeET2_T3_PNS14_IS19_E10value_typeET4_jRbjT5_S1F_jjP12ihipStream_tbEUljE_ZNSN_ISO_Lb0ESR_SS_SU_SV_SZ_EES10_S11_S12_S13_S17_S18_S19_S1C_S1D_jS1E_jS1F_S1F_jjS1H_bEUljE0_EEES10_S11_S12_S19_S1D_S1F_T6_T7_T9_mT8_S1H_bDpT10_ENKUlT_T0_E_clISt17integral_constantIbLb1EES1U_IbLb0EEEEDaS1Q_S1R_EUlS1Q_E_NS1_11comp_targetILNS1_3genE0ELNS1_11target_archE4294967295ELNS1_3gpuE0ELNS1_3repE0EEENS1_30default_config_static_selectorELNS0_4arch9wavefront6targetE1EEEvS13_, .Lfunc_end1999-_ZN7rocprim17ROCPRIM_400000_NS6detail17trampoline_kernelINS0_13select_configILj256ELj13ELNS0_17block_load_methodE3ELS4_3ELS4_3ELNS0_20block_scan_algorithmE0ELj4294967295EEENS1_25partition_config_selectorILNS1_17partition_subalgoE4EjNS0_10empty_typeEbEEZZNS1_14partition_implILS8_4ELb0ES6_15HIP_vector_typeIjLj2EENS0_17counting_iteratorIjlEEPS9_SG_NS0_5tupleIJPjSI_NS0_16reverse_iteratorISI_EEEEENSH_IJSG_SG_SG_EEES9_SI_JZNS1_25segmented_radix_sort_implINS0_14default_configELb0EPK12hip_bfloat16PSP_PKlPlN2at6native12_GLOBAL__N_18offset_tEEE10hipError_tPvRmT1_PNSt15iterator_traitsIS13_E10value_typeET2_T3_PNS14_IS19_E10value_typeET4_jRbjT5_S1F_jjP12ihipStream_tbEUljE_ZNSN_ISO_Lb0ESR_SS_SU_SV_SZ_EES10_S11_S12_S13_S17_S18_S19_S1C_S1D_jS1E_jS1F_S1F_jjS1H_bEUljE0_EEES10_S11_S12_S19_S1D_S1F_T6_T7_T9_mT8_S1H_bDpT10_ENKUlT_T0_E_clISt17integral_constantIbLb1EES1U_IbLb0EEEEDaS1Q_S1R_EUlS1Q_E_NS1_11comp_targetILNS1_3genE0ELNS1_11target_archE4294967295ELNS1_3gpuE0ELNS1_3repE0EEENS1_30default_config_static_selectorELNS0_4arch9wavefront6targetE1EEEvS13_
                                        ; -- End function
	.section	.AMDGPU.csdata,"",@progbits
; Kernel info:
; codeLenInByte = 0
; NumSgprs: 4
; NumVgprs: 0
; NumAgprs: 0
; TotalNumVgprs: 0
; ScratchSize: 0
; MemoryBound: 0
; FloatMode: 240
; IeeeMode: 1
; LDSByteSize: 0 bytes/workgroup (compile time only)
; SGPRBlocks: 0
; VGPRBlocks: 0
; NumSGPRsForWavesPerEU: 4
; NumVGPRsForWavesPerEU: 1
; AccumOffset: 4
; Occupancy: 8
; WaveLimiterHint : 0
; COMPUTE_PGM_RSRC2:SCRATCH_EN: 0
; COMPUTE_PGM_RSRC2:USER_SGPR: 6
; COMPUTE_PGM_RSRC2:TRAP_HANDLER: 0
; COMPUTE_PGM_RSRC2:TGID_X_EN: 1
; COMPUTE_PGM_RSRC2:TGID_Y_EN: 0
; COMPUTE_PGM_RSRC2:TGID_Z_EN: 0
; COMPUTE_PGM_RSRC2:TIDIG_COMP_CNT: 0
; COMPUTE_PGM_RSRC3_GFX90A:ACCUM_OFFSET: 0
; COMPUTE_PGM_RSRC3_GFX90A:TG_SPLIT: 0
	.section	.text._ZN7rocprim17ROCPRIM_400000_NS6detail17trampoline_kernelINS0_13select_configILj256ELj13ELNS0_17block_load_methodE3ELS4_3ELS4_3ELNS0_20block_scan_algorithmE0ELj4294967295EEENS1_25partition_config_selectorILNS1_17partition_subalgoE4EjNS0_10empty_typeEbEEZZNS1_14partition_implILS8_4ELb0ES6_15HIP_vector_typeIjLj2EENS0_17counting_iteratorIjlEEPS9_SG_NS0_5tupleIJPjSI_NS0_16reverse_iteratorISI_EEEEENSH_IJSG_SG_SG_EEES9_SI_JZNS1_25segmented_radix_sort_implINS0_14default_configELb0EPK12hip_bfloat16PSP_PKlPlN2at6native12_GLOBAL__N_18offset_tEEE10hipError_tPvRmT1_PNSt15iterator_traitsIS13_E10value_typeET2_T3_PNS14_IS19_E10value_typeET4_jRbjT5_S1F_jjP12ihipStream_tbEUljE_ZNSN_ISO_Lb0ESR_SS_SU_SV_SZ_EES10_S11_S12_S13_S17_S18_S19_S1C_S1D_jS1E_jS1F_S1F_jjS1H_bEUljE0_EEES10_S11_S12_S19_S1D_S1F_T6_T7_T9_mT8_S1H_bDpT10_ENKUlT_T0_E_clISt17integral_constantIbLb1EES1U_IbLb0EEEEDaS1Q_S1R_EUlS1Q_E_NS1_11comp_targetILNS1_3genE5ELNS1_11target_archE942ELNS1_3gpuE9ELNS1_3repE0EEENS1_30default_config_static_selectorELNS0_4arch9wavefront6targetE1EEEvS13_,"axG",@progbits,_ZN7rocprim17ROCPRIM_400000_NS6detail17trampoline_kernelINS0_13select_configILj256ELj13ELNS0_17block_load_methodE3ELS4_3ELS4_3ELNS0_20block_scan_algorithmE0ELj4294967295EEENS1_25partition_config_selectorILNS1_17partition_subalgoE4EjNS0_10empty_typeEbEEZZNS1_14partition_implILS8_4ELb0ES6_15HIP_vector_typeIjLj2EENS0_17counting_iteratorIjlEEPS9_SG_NS0_5tupleIJPjSI_NS0_16reverse_iteratorISI_EEEEENSH_IJSG_SG_SG_EEES9_SI_JZNS1_25segmented_radix_sort_implINS0_14default_configELb0EPK12hip_bfloat16PSP_PKlPlN2at6native12_GLOBAL__N_18offset_tEEE10hipError_tPvRmT1_PNSt15iterator_traitsIS13_E10value_typeET2_T3_PNS14_IS19_E10value_typeET4_jRbjT5_S1F_jjP12ihipStream_tbEUljE_ZNSN_ISO_Lb0ESR_SS_SU_SV_SZ_EES10_S11_S12_S13_S17_S18_S19_S1C_S1D_jS1E_jS1F_S1F_jjS1H_bEUljE0_EEES10_S11_S12_S19_S1D_S1F_T6_T7_T9_mT8_S1H_bDpT10_ENKUlT_T0_E_clISt17integral_constantIbLb1EES1U_IbLb0EEEEDaS1Q_S1R_EUlS1Q_E_NS1_11comp_targetILNS1_3genE5ELNS1_11target_archE942ELNS1_3gpuE9ELNS1_3repE0EEENS1_30default_config_static_selectorELNS0_4arch9wavefront6targetE1EEEvS13_,comdat
	.globl	_ZN7rocprim17ROCPRIM_400000_NS6detail17trampoline_kernelINS0_13select_configILj256ELj13ELNS0_17block_load_methodE3ELS4_3ELS4_3ELNS0_20block_scan_algorithmE0ELj4294967295EEENS1_25partition_config_selectorILNS1_17partition_subalgoE4EjNS0_10empty_typeEbEEZZNS1_14partition_implILS8_4ELb0ES6_15HIP_vector_typeIjLj2EENS0_17counting_iteratorIjlEEPS9_SG_NS0_5tupleIJPjSI_NS0_16reverse_iteratorISI_EEEEENSH_IJSG_SG_SG_EEES9_SI_JZNS1_25segmented_radix_sort_implINS0_14default_configELb0EPK12hip_bfloat16PSP_PKlPlN2at6native12_GLOBAL__N_18offset_tEEE10hipError_tPvRmT1_PNSt15iterator_traitsIS13_E10value_typeET2_T3_PNS14_IS19_E10value_typeET4_jRbjT5_S1F_jjP12ihipStream_tbEUljE_ZNSN_ISO_Lb0ESR_SS_SU_SV_SZ_EES10_S11_S12_S13_S17_S18_S19_S1C_S1D_jS1E_jS1F_S1F_jjS1H_bEUljE0_EEES10_S11_S12_S19_S1D_S1F_T6_T7_T9_mT8_S1H_bDpT10_ENKUlT_T0_E_clISt17integral_constantIbLb1EES1U_IbLb0EEEEDaS1Q_S1R_EUlS1Q_E_NS1_11comp_targetILNS1_3genE5ELNS1_11target_archE942ELNS1_3gpuE9ELNS1_3repE0EEENS1_30default_config_static_selectorELNS0_4arch9wavefront6targetE1EEEvS13_ ; -- Begin function _ZN7rocprim17ROCPRIM_400000_NS6detail17trampoline_kernelINS0_13select_configILj256ELj13ELNS0_17block_load_methodE3ELS4_3ELS4_3ELNS0_20block_scan_algorithmE0ELj4294967295EEENS1_25partition_config_selectorILNS1_17partition_subalgoE4EjNS0_10empty_typeEbEEZZNS1_14partition_implILS8_4ELb0ES6_15HIP_vector_typeIjLj2EENS0_17counting_iteratorIjlEEPS9_SG_NS0_5tupleIJPjSI_NS0_16reverse_iteratorISI_EEEEENSH_IJSG_SG_SG_EEES9_SI_JZNS1_25segmented_radix_sort_implINS0_14default_configELb0EPK12hip_bfloat16PSP_PKlPlN2at6native12_GLOBAL__N_18offset_tEEE10hipError_tPvRmT1_PNSt15iterator_traitsIS13_E10value_typeET2_T3_PNS14_IS19_E10value_typeET4_jRbjT5_S1F_jjP12ihipStream_tbEUljE_ZNSN_ISO_Lb0ESR_SS_SU_SV_SZ_EES10_S11_S12_S13_S17_S18_S19_S1C_S1D_jS1E_jS1F_S1F_jjS1H_bEUljE0_EEES10_S11_S12_S19_S1D_S1F_T6_T7_T9_mT8_S1H_bDpT10_ENKUlT_T0_E_clISt17integral_constantIbLb1EES1U_IbLb0EEEEDaS1Q_S1R_EUlS1Q_E_NS1_11comp_targetILNS1_3genE5ELNS1_11target_archE942ELNS1_3gpuE9ELNS1_3repE0EEENS1_30default_config_static_selectorELNS0_4arch9wavefront6targetE1EEEvS13_
	.p2align	8
	.type	_ZN7rocprim17ROCPRIM_400000_NS6detail17trampoline_kernelINS0_13select_configILj256ELj13ELNS0_17block_load_methodE3ELS4_3ELS4_3ELNS0_20block_scan_algorithmE0ELj4294967295EEENS1_25partition_config_selectorILNS1_17partition_subalgoE4EjNS0_10empty_typeEbEEZZNS1_14partition_implILS8_4ELb0ES6_15HIP_vector_typeIjLj2EENS0_17counting_iteratorIjlEEPS9_SG_NS0_5tupleIJPjSI_NS0_16reverse_iteratorISI_EEEEENSH_IJSG_SG_SG_EEES9_SI_JZNS1_25segmented_radix_sort_implINS0_14default_configELb0EPK12hip_bfloat16PSP_PKlPlN2at6native12_GLOBAL__N_18offset_tEEE10hipError_tPvRmT1_PNSt15iterator_traitsIS13_E10value_typeET2_T3_PNS14_IS19_E10value_typeET4_jRbjT5_S1F_jjP12ihipStream_tbEUljE_ZNSN_ISO_Lb0ESR_SS_SU_SV_SZ_EES10_S11_S12_S13_S17_S18_S19_S1C_S1D_jS1E_jS1F_S1F_jjS1H_bEUljE0_EEES10_S11_S12_S19_S1D_S1F_T6_T7_T9_mT8_S1H_bDpT10_ENKUlT_T0_E_clISt17integral_constantIbLb1EES1U_IbLb0EEEEDaS1Q_S1R_EUlS1Q_E_NS1_11comp_targetILNS1_3genE5ELNS1_11target_archE942ELNS1_3gpuE9ELNS1_3repE0EEENS1_30default_config_static_selectorELNS0_4arch9wavefront6targetE1EEEvS13_,@function
_ZN7rocprim17ROCPRIM_400000_NS6detail17trampoline_kernelINS0_13select_configILj256ELj13ELNS0_17block_load_methodE3ELS4_3ELS4_3ELNS0_20block_scan_algorithmE0ELj4294967295EEENS1_25partition_config_selectorILNS1_17partition_subalgoE4EjNS0_10empty_typeEbEEZZNS1_14partition_implILS8_4ELb0ES6_15HIP_vector_typeIjLj2EENS0_17counting_iteratorIjlEEPS9_SG_NS0_5tupleIJPjSI_NS0_16reverse_iteratorISI_EEEEENSH_IJSG_SG_SG_EEES9_SI_JZNS1_25segmented_radix_sort_implINS0_14default_configELb0EPK12hip_bfloat16PSP_PKlPlN2at6native12_GLOBAL__N_18offset_tEEE10hipError_tPvRmT1_PNSt15iterator_traitsIS13_E10value_typeET2_T3_PNS14_IS19_E10value_typeET4_jRbjT5_S1F_jjP12ihipStream_tbEUljE_ZNSN_ISO_Lb0ESR_SS_SU_SV_SZ_EES10_S11_S12_S13_S17_S18_S19_S1C_S1D_jS1E_jS1F_S1F_jjS1H_bEUljE0_EEES10_S11_S12_S19_S1D_S1F_T6_T7_T9_mT8_S1H_bDpT10_ENKUlT_T0_E_clISt17integral_constantIbLb1EES1U_IbLb0EEEEDaS1Q_S1R_EUlS1Q_E_NS1_11comp_targetILNS1_3genE5ELNS1_11target_archE942ELNS1_3gpuE9ELNS1_3repE0EEENS1_30default_config_static_selectorELNS0_4arch9wavefront6targetE1EEEvS13_: ; @_ZN7rocprim17ROCPRIM_400000_NS6detail17trampoline_kernelINS0_13select_configILj256ELj13ELNS0_17block_load_methodE3ELS4_3ELS4_3ELNS0_20block_scan_algorithmE0ELj4294967295EEENS1_25partition_config_selectorILNS1_17partition_subalgoE4EjNS0_10empty_typeEbEEZZNS1_14partition_implILS8_4ELb0ES6_15HIP_vector_typeIjLj2EENS0_17counting_iteratorIjlEEPS9_SG_NS0_5tupleIJPjSI_NS0_16reverse_iteratorISI_EEEEENSH_IJSG_SG_SG_EEES9_SI_JZNS1_25segmented_radix_sort_implINS0_14default_configELb0EPK12hip_bfloat16PSP_PKlPlN2at6native12_GLOBAL__N_18offset_tEEE10hipError_tPvRmT1_PNSt15iterator_traitsIS13_E10value_typeET2_T3_PNS14_IS19_E10value_typeET4_jRbjT5_S1F_jjP12ihipStream_tbEUljE_ZNSN_ISO_Lb0ESR_SS_SU_SV_SZ_EES10_S11_S12_S13_S17_S18_S19_S1C_S1D_jS1E_jS1F_S1F_jjS1H_bEUljE0_EEES10_S11_S12_S19_S1D_S1F_T6_T7_T9_mT8_S1H_bDpT10_ENKUlT_T0_E_clISt17integral_constantIbLb1EES1U_IbLb0EEEEDaS1Q_S1R_EUlS1Q_E_NS1_11comp_targetILNS1_3genE5ELNS1_11target_archE942ELNS1_3gpuE9ELNS1_3repE0EEENS1_30default_config_static_selectorELNS0_4arch9wavefront6targetE1EEEvS13_
; %bb.0:
	.section	.rodata,"a",@progbits
	.p2align	6, 0x0
	.amdhsa_kernel _ZN7rocprim17ROCPRIM_400000_NS6detail17trampoline_kernelINS0_13select_configILj256ELj13ELNS0_17block_load_methodE3ELS4_3ELS4_3ELNS0_20block_scan_algorithmE0ELj4294967295EEENS1_25partition_config_selectorILNS1_17partition_subalgoE4EjNS0_10empty_typeEbEEZZNS1_14partition_implILS8_4ELb0ES6_15HIP_vector_typeIjLj2EENS0_17counting_iteratorIjlEEPS9_SG_NS0_5tupleIJPjSI_NS0_16reverse_iteratorISI_EEEEENSH_IJSG_SG_SG_EEES9_SI_JZNS1_25segmented_radix_sort_implINS0_14default_configELb0EPK12hip_bfloat16PSP_PKlPlN2at6native12_GLOBAL__N_18offset_tEEE10hipError_tPvRmT1_PNSt15iterator_traitsIS13_E10value_typeET2_T3_PNS14_IS19_E10value_typeET4_jRbjT5_S1F_jjP12ihipStream_tbEUljE_ZNSN_ISO_Lb0ESR_SS_SU_SV_SZ_EES10_S11_S12_S13_S17_S18_S19_S1C_S1D_jS1E_jS1F_S1F_jjS1H_bEUljE0_EEES10_S11_S12_S19_S1D_S1F_T6_T7_T9_mT8_S1H_bDpT10_ENKUlT_T0_E_clISt17integral_constantIbLb1EES1U_IbLb0EEEEDaS1Q_S1R_EUlS1Q_E_NS1_11comp_targetILNS1_3genE5ELNS1_11target_archE942ELNS1_3gpuE9ELNS1_3repE0EEENS1_30default_config_static_selectorELNS0_4arch9wavefront6targetE1EEEvS13_
		.amdhsa_group_segment_fixed_size 0
		.amdhsa_private_segment_fixed_size 0
		.amdhsa_kernarg_size 176
		.amdhsa_user_sgpr_count 6
		.amdhsa_user_sgpr_private_segment_buffer 1
		.amdhsa_user_sgpr_dispatch_ptr 0
		.amdhsa_user_sgpr_queue_ptr 0
		.amdhsa_user_sgpr_kernarg_segment_ptr 1
		.amdhsa_user_sgpr_dispatch_id 0
		.amdhsa_user_sgpr_flat_scratch_init 0
		.amdhsa_user_sgpr_kernarg_preload_length 0
		.amdhsa_user_sgpr_kernarg_preload_offset 0
		.amdhsa_user_sgpr_private_segment_size 0
		.amdhsa_uses_dynamic_stack 0
		.amdhsa_system_sgpr_private_segment_wavefront_offset 0
		.amdhsa_system_sgpr_workgroup_id_x 1
		.amdhsa_system_sgpr_workgroup_id_y 0
		.amdhsa_system_sgpr_workgroup_id_z 0
		.amdhsa_system_sgpr_workgroup_info 0
		.amdhsa_system_vgpr_workitem_id 0
		.amdhsa_next_free_vgpr 1
		.amdhsa_next_free_sgpr 0
		.amdhsa_accum_offset 4
		.amdhsa_reserve_vcc 0
		.amdhsa_reserve_flat_scratch 0
		.amdhsa_float_round_mode_32 0
		.amdhsa_float_round_mode_16_64 0
		.amdhsa_float_denorm_mode_32 3
		.amdhsa_float_denorm_mode_16_64 3
		.amdhsa_dx10_clamp 1
		.amdhsa_ieee_mode 1
		.amdhsa_fp16_overflow 0
		.amdhsa_tg_split 0
		.amdhsa_exception_fp_ieee_invalid_op 0
		.amdhsa_exception_fp_denorm_src 0
		.amdhsa_exception_fp_ieee_div_zero 0
		.amdhsa_exception_fp_ieee_overflow 0
		.amdhsa_exception_fp_ieee_underflow 0
		.amdhsa_exception_fp_ieee_inexact 0
		.amdhsa_exception_int_div_zero 0
	.end_amdhsa_kernel
	.section	.text._ZN7rocprim17ROCPRIM_400000_NS6detail17trampoline_kernelINS0_13select_configILj256ELj13ELNS0_17block_load_methodE3ELS4_3ELS4_3ELNS0_20block_scan_algorithmE0ELj4294967295EEENS1_25partition_config_selectorILNS1_17partition_subalgoE4EjNS0_10empty_typeEbEEZZNS1_14partition_implILS8_4ELb0ES6_15HIP_vector_typeIjLj2EENS0_17counting_iteratorIjlEEPS9_SG_NS0_5tupleIJPjSI_NS0_16reverse_iteratorISI_EEEEENSH_IJSG_SG_SG_EEES9_SI_JZNS1_25segmented_radix_sort_implINS0_14default_configELb0EPK12hip_bfloat16PSP_PKlPlN2at6native12_GLOBAL__N_18offset_tEEE10hipError_tPvRmT1_PNSt15iterator_traitsIS13_E10value_typeET2_T3_PNS14_IS19_E10value_typeET4_jRbjT5_S1F_jjP12ihipStream_tbEUljE_ZNSN_ISO_Lb0ESR_SS_SU_SV_SZ_EES10_S11_S12_S13_S17_S18_S19_S1C_S1D_jS1E_jS1F_S1F_jjS1H_bEUljE0_EEES10_S11_S12_S19_S1D_S1F_T6_T7_T9_mT8_S1H_bDpT10_ENKUlT_T0_E_clISt17integral_constantIbLb1EES1U_IbLb0EEEEDaS1Q_S1R_EUlS1Q_E_NS1_11comp_targetILNS1_3genE5ELNS1_11target_archE942ELNS1_3gpuE9ELNS1_3repE0EEENS1_30default_config_static_selectorELNS0_4arch9wavefront6targetE1EEEvS13_,"axG",@progbits,_ZN7rocprim17ROCPRIM_400000_NS6detail17trampoline_kernelINS0_13select_configILj256ELj13ELNS0_17block_load_methodE3ELS4_3ELS4_3ELNS0_20block_scan_algorithmE0ELj4294967295EEENS1_25partition_config_selectorILNS1_17partition_subalgoE4EjNS0_10empty_typeEbEEZZNS1_14partition_implILS8_4ELb0ES6_15HIP_vector_typeIjLj2EENS0_17counting_iteratorIjlEEPS9_SG_NS0_5tupleIJPjSI_NS0_16reverse_iteratorISI_EEEEENSH_IJSG_SG_SG_EEES9_SI_JZNS1_25segmented_radix_sort_implINS0_14default_configELb0EPK12hip_bfloat16PSP_PKlPlN2at6native12_GLOBAL__N_18offset_tEEE10hipError_tPvRmT1_PNSt15iterator_traitsIS13_E10value_typeET2_T3_PNS14_IS19_E10value_typeET4_jRbjT5_S1F_jjP12ihipStream_tbEUljE_ZNSN_ISO_Lb0ESR_SS_SU_SV_SZ_EES10_S11_S12_S13_S17_S18_S19_S1C_S1D_jS1E_jS1F_S1F_jjS1H_bEUljE0_EEES10_S11_S12_S19_S1D_S1F_T6_T7_T9_mT8_S1H_bDpT10_ENKUlT_T0_E_clISt17integral_constantIbLb1EES1U_IbLb0EEEEDaS1Q_S1R_EUlS1Q_E_NS1_11comp_targetILNS1_3genE5ELNS1_11target_archE942ELNS1_3gpuE9ELNS1_3repE0EEENS1_30default_config_static_selectorELNS0_4arch9wavefront6targetE1EEEvS13_,comdat
.Lfunc_end2000:
	.size	_ZN7rocprim17ROCPRIM_400000_NS6detail17trampoline_kernelINS0_13select_configILj256ELj13ELNS0_17block_load_methodE3ELS4_3ELS4_3ELNS0_20block_scan_algorithmE0ELj4294967295EEENS1_25partition_config_selectorILNS1_17partition_subalgoE4EjNS0_10empty_typeEbEEZZNS1_14partition_implILS8_4ELb0ES6_15HIP_vector_typeIjLj2EENS0_17counting_iteratorIjlEEPS9_SG_NS0_5tupleIJPjSI_NS0_16reverse_iteratorISI_EEEEENSH_IJSG_SG_SG_EEES9_SI_JZNS1_25segmented_radix_sort_implINS0_14default_configELb0EPK12hip_bfloat16PSP_PKlPlN2at6native12_GLOBAL__N_18offset_tEEE10hipError_tPvRmT1_PNSt15iterator_traitsIS13_E10value_typeET2_T3_PNS14_IS19_E10value_typeET4_jRbjT5_S1F_jjP12ihipStream_tbEUljE_ZNSN_ISO_Lb0ESR_SS_SU_SV_SZ_EES10_S11_S12_S13_S17_S18_S19_S1C_S1D_jS1E_jS1F_S1F_jjS1H_bEUljE0_EEES10_S11_S12_S19_S1D_S1F_T6_T7_T9_mT8_S1H_bDpT10_ENKUlT_T0_E_clISt17integral_constantIbLb1EES1U_IbLb0EEEEDaS1Q_S1R_EUlS1Q_E_NS1_11comp_targetILNS1_3genE5ELNS1_11target_archE942ELNS1_3gpuE9ELNS1_3repE0EEENS1_30default_config_static_selectorELNS0_4arch9wavefront6targetE1EEEvS13_, .Lfunc_end2000-_ZN7rocprim17ROCPRIM_400000_NS6detail17trampoline_kernelINS0_13select_configILj256ELj13ELNS0_17block_load_methodE3ELS4_3ELS4_3ELNS0_20block_scan_algorithmE0ELj4294967295EEENS1_25partition_config_selectorILNS1_17partition_subalgoE4EjNS0_10empty_typeEbEEZZNS1_14partition_implILS8_4ELb0ES6_15HIP_vector_typeIjLj2EENS0_17counting_iteratorIjlEEPS9_SG_NS0_5tupleIJPjSI_NS0_16reverse_iteratorISI_EEEEENSH_IJSG_SG_SG_EEES9_SI_JZNS1_25segmented_radix_sort_implINS0_14default_configELb0EPK12hip_bfloat16PSP_PKlPlN2at6native12_GLOBAL__N_18offset_tEEE10hipError_tPvRmT1_PNSt15iterator_traitsIS13_E10value_typeET2_T3_PNS14_IS19_E10value_typeET4_jRbjT5_S1F_jjP12ihipStream_tbEUljE_ZNSN_ISO_Lb0ESR_SS_SU_SV_SZ_EES10_S11_S12_S13_S17_S18_S19_S1C_S1D_jS1E_jS1F_S1F_jjS1H_bEUljE0_EEES10_S11_S12_S19_S1D_S1F_T6_T7_T9_mT8_S1H_bDpT10_ENKUlT_T0_E_clISt17integral_constantIbLb1EES1U_IbLb0EEEEDaS1Q_S1R_EUlS1Q_E_NS1_11comp_targetILNS1_3genE5ELNS1_11target_archE942ELNS1_3gpuE9ELNS1_3repE0EEENS1_30default_config_static_selectorELNS0_4arch9wavefront6targetE1EEEvS13_
                                        ; -- End function
	.section	.AMDGPU.csdata,"",@progbits
; Kernel info:
; codeLenInByte = 0
; NumSgprs: 4
; NumVgprs: 0
; NumAgprs: 0
; TotalNumVgprs: 0
; ScratchSize: 0
; MemoryBound: 0
; FloatMode: 240
; IeeeMode: 1
; LDSByteSize: 0 bytes/workgroup (compile time only)
; SGPRBlocks: 0
; VGPRBlocks: 0
; NumSGPRsForWavesPerEU: 4
; NumVGPRsForWavesPerEU: 1
; AccumOffset: 4
; Occupancy: 8
; WaveLimiterHint : 0
; COMPUTE_PGM_RSRC2:SCRATCH_EN: 0
; COMPUTE_PGM_RSRC2:USER_SGPR: 6
; COMPUTE_PGM_RSRC2:TRAP_HANDLER: 0
; COMPUTE_PGM_RSRC2:TGID_X_EN: 1
; COMPUTE_PGM_RSRC2:TGID_Y_EN: 0
; COMPUTE_PGM_RSRC2:TGID_Z_EN: 0
; COMPUTE_PGM_RSRC2:TIDIG_COMP_CNT: 0
; COMPUTE_PGM_RSRC3_GFX90A:ACCUM_OFFSET: 0
; COMPUTE_PGM_RSRC3_GFX90A:TG_SPLIT: 0
	.section	.text._ZN7rocprim17ROCPRIM_400000_NS6detail17trampoline_kernelINS0_13select_configILj256ELj13ELNS0_17block_load_methodE3ELS4_3ELS4_3ELNS0_20block_scan_algorithmE0ELj4294967295EEENS1_25partition_config_selectorILNS1_17partition_subalgoE4EjNS0_10empty_typeEbEEZZNS1_14partition_implILS8_4ELb0ES6_15HIP_vector_typeIjLj2EENS0_17counting_iteratorIjlEEPS9_SG_NS0_5tupleIJPjSI_NS0_16reverse_iteratorISI_EEEEENSH_IJSG_SG_SG_EEES9_SI_JZNS1_25segmented_radix_sort_implINS0_14default_configELb0EPK12hip_bfloat16PSP_PKlPlN2at6native12_GLOBAL__N_18offset_tEEE10hipError_tPvRmT1_PNSt15iterator_traitsIS13_E10value_typeET2_T3_PNS14_IS19_E10value_typeET4_jRbjT5_S1F_jjP12ihipStream_tbEUljE_ZNSN_ISO_Lb0ESR_SS_SU_SV_SZ_EES10_S11_S12_S13_S17_S18_S19_S1C_S1D_jS1E_jS1F_S1F_jjS1H_bEUljE0_EEES10_S11_S12_S19_S1D_S1F_T6_T7_T9_mT8_S1H_bDpT10_ENKUlT_T0_E_clISt17integral_constantIbLb1EES1U_IbLb0EEEEDaS1Q_S1R_EUlS1Q_E_NS1_11comp_targetILNS1_3genE4ELNS1_11target_archE910ELNS1_3gpuE8ELNS1_3repE0EEENS1_30default_config_static_selectorELNS0_4arch9wavefront6targetE1EEEvS13_,"axG",@progbits,_ZN7rocprim17ROCPRIM_400000_NS6detail17trampoline_kernelINS0_13select_configILj256ELj13ELNS0_17block_load_methodE3ELS4_3ELS4_3ELNS0_20block_scan_algorithmE0ELj4294967295EEENS1_25partition_config_selectorILNS1_17partition_subalgoE4EjNS0_10empty_typeEbEEZZNS1_14partition_implILS8_4ELb0ES6_15HIP_vector_typeIjLj2EENS0_17counting_iteratorIjlEEPS9_SG_NS0_5tupleIJPjSI_NS0_16reverse_iteratorISI_EEEEENSH_IJSG_SG_SG_EEES9_SI_JZNS1_25segmented_radix_sort_implINS0_14default_configELb0EPK12hip_bfloat16PSP_PKlPlN2at6native12_GLOBAL__N_18offset_tEEE10hipError_tPvRmT1_PNSt15iterator_traitsIS13_E10value_typeET2_T3_PNS14_IS19_E10value_typeET4_jRbjT5_S1F_jjP12ihipStream_tbEUljE_ZNSN_ISO_Lb0ESR_SS_SU_SV_SZ_EES10_S11_S12_S13_S17_S18_S19_S1C_S1D_jS1E_jS1F_S1F_jjS1H_bEUljE0_EEES10_S11_S12_S19_S1D_S1F_T6_T7_T9_mT8_S1H_bDpT10_ENKUlT_T0_E_clISt17integral_constantIbLb1EES1U_IbLb0EEEEDaS1Q_S1R_EUlS1Q_E_NS1_11comp_targetILNS1_3genE4ELNS1_11target_archE910ELNS1_3gpuE8ELNS1_3repE0EEENS1_30default_config_static_selectorELNS0_4arch9wavefront6targetE1EEEvS13_,comdat
	.globl	_ZN7rocprim17ROCPRIM_400000_NS6detail17trampoline_kernelINS0_13select_configILj256ELj13ELNS0_17block_load_methodE3ELS4_3ELS4_3ELNS0_20block_scan_algorithmE0ELj4294967295EEENS1_25partition_config_selectorILNS1_17partition_subalgoE4EjNS0_10empty_typeEbEEZZNS1_14partition_implILS8_4ELb0ES6_15HIP_vector_typeIjLj2EENS0_17counting_iteratorIjlEEPS9_SG_NS0_5tupleIJPjSI_NS0_16reverse_iteratorISI_EEEEENSH_IJSG_SG_SG_EEES9_SI_JZNS1_25segmented_radix_sort_implINS0_14default_configELb0EPK12hip_bfloat16PSP_PKlPlN2at6native12_GLOBAL__N_18offset_tEEE10hipError_tPvRmT1_PNSt15iterator_traitsIS13_E10value_typeET2_T3_PNS14_IS19_E10value_typeET4_jRbjT5_S1F_jjP12ihipStream_tbEUljE_ZNSN_ISO_Lb0ESR_SS_SU_SV_SZ_EES10_S11_S12_S13_S17_S18_S19_S1C_S1D_jS1E_jS1F_S1F_jjS1H_bEUljE0_EEES10_S11_S12_S19_S1D_S1F_T6_T7_T9_mT8_S1H_bDpT10_ENKUlT_T0_E_clISt17integral_constantIbLb1EES1U_IbLb0EEEEDaS1Q_S1R_EUlS1Q_E_NS1_11comp_targetILNS1_3genE4ELNS1_11target_archE910ELNS1_3gpuE8ELNS1_3repE0EEENS1_30default_config_static_selectorELNS0_4arch9wavefront6targetE1EEEvS13_ ; -- Begin function _ZN7rocprim17ROCPRIM_400000_NS6detail17trampoline_kernelINS0_13select_configILj256ELj13ELNS0_17block_load_methodE3ELS4_3ELS4_3ELNS0_20block_scan_algorithmE0ELj4294967295EEENS1_25partition_config_selectorILNS1_17partition_subalgoE4EjNS0_10empty_typeEbEEZZNS1_14partition_implILS8_4ELb0ES6_15HIP_vector_typeIjLj2EENS0_17counting_iteratorIjlEEPS9_SG_NS0_5tupleIJPjSI_NS0_16reverse_iteratorISI_EEEEENSH_IJSG_SG_SG_EEES9_SI_JZNS1_25segmented_radix_sort_implINS0_14default_configELb0EPK12hip_bfloat16PSP_PKlPlN2at6native12_GLOBAL__N_18offset_tEEE10hipError_tPvRmT1_PNSt15iterator_traitsIS13_E10value_typeET2_T3_PNS14_IS19_E10value_typeET4_jRbjT5_S1F_jjP12ihipStream_tbEUljE_ZNSN_ISO_Lb0ESR_SS_SU_SV_SZ_EES10_S11_S12_S13_S17_S18_S19_S1C_S1D_jS1E_jS1F_S1F_jjS1H_bEUljE0_EEES10_S11_S12_S19_S1D_S1F_T6_T7_T9_mT8_S1H_bDpT10_ENKUlT_T0_E_clISt17integral_constantIbLb1EES1U_IbLb0EEEEDaS1Q_S1R_EUlS1Q_E_NS1_11comp_targetILNS1_3genE4ELNS1_11target_archE910ELNS1_3gpuE8ELNS1_3repE0EEENS1_30default_config_static_selectorELNS0_4arch9wavefront6targetE1EEEvS13_
	.p2align	8
	.type	_ZN7rocprim17ROCPRIM_400000_NS6detail17trampoline_kernelINS0_13select_configILj256ELj13ELNS0_17block_load_methodE3ELS4_3ELS4_3ELNS0_20block_scan_algorithmE0ELj4294967295EEENS1_25partition_config_selectorILNS1_17partition_subalgoE4EjNS0_10empty_typeEbEEZZNS1_14partition_implILS8_4ELb0ES6_15HIP_vector_typeIjLj2EENS0_17counting_iteratorIjlEEPS9_SG_NS0_5tupleIJPjSI_NS0_16reverse_iteratorISI_EEEEENSH_IJSG_SG_SG_EEES9_SI_JZNS1_25segmented_radix_sort_implINS0_14default_configELb0EPK12hip_bfloat16PSP_PKlPlN2at6native12_GLOBAL__N_18offset_tEEE10hipError_tPvRmT1_PNSt15iterator_traitsIS13_E10value_typeET2_T3_PNS14_IS19_E10value_typeET4_jRbjT5_S1F_jjP12ihipStream_tbEUljE_ZNSN_ISO_Lb0ESR_SS_SU_SV_SZ_EES10_S11_S12_S13_S17_S18_S19_S1C_S1D_jS1E_jS1F_S1F_jjS1H_bEUljE0_EEES10_S11_S12_S19_S1D_S1F_T6_T7_T9_mT8_S1H_bDpT10_ENKUlT_T0_E_clISt17integral_constantIbLb1EES1U_IbLb0EEEEDaS1Q_S1R_EUlS1Q_E_NS1_11comp_targetILNS1_3genE4ELNS1_11target_archE910ELNS1_3gpuE8ELNS1_3repE0EEENS1_30default_config_static_selectorELNS0_4arch9wavefront6targetE1EEEvS13_,@function
_ZN7rocprim17ROCPRIM_400000_NS6detail17trampoline_kernelINS0_13select_configILj256ELj13ELNS0_17block_load_methodE3ELS4_3ELS4_3ELNS0_20block_scan_algorithmE0ELj4294967295EEENS1_25partition_config_selectorILNS1_17partition_subalgoE4EjNS0_10empty_typeEbEEZZNS1_14partition_implILS8_4ELb0ES6_15HIP_vector_typeIjLj2EENS0_17counting_iteratorIjlEEPS9_SG_NS0_5tupleIJPjSI_NS0_16reverse_iteratorISI_EEEEENSH_IJSG_SG_SG_EEES9_SI_JZNS1_25segmented_radix_sort_implINS0_14default_configELb0EPK12hip_bfloat16PSP_PKlPlN2at6native12_GLOBAL__N_18offset_tEEE10hipError_tPvRmT1_PNSt15iterator_traitsIS13_E10value_typeET2_T3_PNS14_IS19_E10value_typeET4_jRbjT5_S1F_jjP12ihipStream_tbEUljE_ZNSN_ISO_Lb0ESR_SS_SU_SV_SZ_EES10_S11_S12_S13_S17_S18_S19_S1C_S1D_jS1E_jS1F_S1F_jjS1H_bEUljE0_EEES10_S11_S12_S19_S1D_S1F_T6_T7_T9_mT8_S1H_bDpT10_ENKUlT_T0_E_clISt17integral_constantIbLb1EES1U_IbLb0EEEEDaS1Q_S1R_EUlS1Q_E_NS1_11comp_targetILNS1_3genE4ELNS1_11target_archE910ELNS1_3gpuE8ELNS1_3repE0EEENS1_30default_config_static_selectorELNS0_4arch9wavefront6targetE1EEEvS13_: ; @_ZN7rocprim17ROCPRIM_400000_NS6detail17trampoline_kernelINS0_13select_configILj256ELj13ELNS0_17block_load_methodE3ELS4_3ELS4_3ELNS0_20block_scan_algorithmE0ELj4294967295EEENS1_25partition_config_selectorILNS1_17partition_subalgoE4EjNS0_10empty_typeEbEEZZNS1_14partition_implILS8_4ELb0ES6_15HIP_vector_typeIjLj2EENS0_17counting_iteratorIjlEEPS9_SG_NS0_5tupleIJPjSI_NS0_16reverse_iteratorISI_EEEEENSH_IJSG_SG_SG_EEES9_SI_JZNS1_25segmented_radix_sort_implINS0_14default_configELb0EPK12hip_bfloat16PSP_PKlPlN2at6native12_GLOBAL__N_18offset_tEEE10hipError_tPvRmT1_PNSt15iterator_traitsIS13_E10value_typeET2_T3_PNS14_IS19_E10value_typeET4_jRbjT5_S1F_jjP12ihipStream_tbEUljE_ZNSN_ISO_Lb0ESR_SS_SU_SV_SZ_EES10_S11_S12_S13_S17_S18_S19_S1C_S1D_jS1E_jS1F_S1F_jjS1H_bEUljE0_EEES10_S11_S12_S19_S1D_S1F_T6_T7_T9_mT8_S1H_bDpT10_ENKUlT_T0_E_clISt17integral_constantIbLb1EES1U_IbLb0EEEEDaS1Q_S1R_EUlS1Q_E_NS1_11comp_targetILNS1_3genE4ELNS1_11target_archE910ELNS1_3gpuE8ELNS1_3repE0EEENS1_30default_config_static_selectorELNS0_4arch9wavefront6targetE1EEEvS13_
; %bb.0:
	s_load_dwordx2 s[0:1], s[4:5], 0x68
	s_load_dword s7, s[4:5], 0x8
	s_load_dwordx2 s[56:57], s[4:5], 0x10
	s_load_dwordx4 s[44:47], s[4:5], 0x58
	s_mul_i32 s33, s6, 0xd00
	s_waitcnt lgkmcnt(0)
	v_mov_b32_e32 v3, s1
	v_mov_b32_e32 v2, s0
	s_load_dword s1, s[4:5], 0x80
	s_load_dwordx2 s[60:61], s[4:5], 0xa8
	s_load_dwordx8 s[36:43], s[4:5], 0x88
	s_load_dwordx4 s[48:51], s[46:47], 0x0
	s_waitcnt lgkmcnt(0)
	s_add_i32 s8, s1, -1
	s_mulk_i32 s1, 0xd00
	s_add_u32 s2, s56, s1
	s_addc_u32 s3, s57, 0
	s_cmp_eq_u32 s6, s8
	s_cselect_b64 s[30:31], -1, 0
	s_cmp_lg_u32 s6, s8
	v_cmp_lt_u64_e32 vcc, s[2:3], v[2:3]
	s_cselect_b64 s[2:3], -1, 0
	s_add_i32 s7, s7, s33
	s_or_b64 s[2:3], s[2:3], vcc
	s_add_i32 s7, s7, s56
	v_add_u32_e32 v1, s7, v0
	s_mov_b64 s[8:9], -1
	s_and_b64 vcc, exec, s[2:3]
	s_cbranch_vccz .LBB2001_2
; %bb.1:
	v_add_u32_e32 v2, 0x100, v1
	v_lshlrev_b32_e32 v14, 2, v0
	v_add_u32_e32 v3, 0x200, v1
	v_add_u32_e32 v4, 0x300, v1
	;; [unrolled: 1-line block ×11, first 2 shown]
	ds_write2st64_b32 v14, v1, v2 offset1:4
	ds_write2st64_b32 v14, v3, v4 offset0:8 offset1:12
	ds_write2st64_b32 v14, v5, v6 offset0:16 offset1:20
	;; [unrolled: 1-line block ×5, first 2 shown]
	ds_write_b32 v14, v13 offset:12288
	s_waitcnt lgkmcnt(0)
	s_barrier
	s_mov_b64 s[8:9], 0
.LBB2001_2:
	s_andn2_b64 vcc, exec, s[8:9]
	s_add_i32 s1, s1, s56
	s_cbranch_vccnz .LBB2001_4
; %bb.3:
	v_add_u32_e32 v2, 0x100, v1
	v_lshlrev_b32_e32 v14, 2, v0
	v_add_u32_e32 v3, 0x200, v1
	v_add_u32_e32 v4, 0x300, v1
	;; [unrolled: 1-line block ×11, first 2 shown]
	ds_write2st64_b32 v14, v1, v2 offset1:4
	ds_write2st64_b32 v14, v3, v4 offset0:8 offset1:12
	ds_write2st64_b32 v14, v5, v6 offset0:16 offset1:20
	;; [unrolled: 1-line block ×5, first 2 shown]
	ds_write_b32 v14, v13 offset:12288
	s_waitcnt lgkmcnt(0)
	s_barrier
.LBB2001_4:
	v_mul_u32_u24_e32 v31, 13, v0
	v_lshlrev_b32_e32 v1, 2, v31
	s_load_dwordx4 s[52:55], s[4:5], 0x28
	s_load_dwordx2 s[34:35], s[4:5], 0x38
	s_waitcnt lgkmcnt(0)
	ds_read2_b32 v[18:19], v1 offset1:1
	ds_read2_b32 v[16:17], v1 offset0:2 offset1:3
	ds_read2_b32 v[14:15], v1 offset0:4 offset1:5
	ds_read2_b32 v[12:13], v1 offset0:6 offset1:7
	ds_read2_b32 v[10:11], v1 offset0:8 offset1:9
	ds_read2_b32 v[8:9], v1 offset0:10 offset1:11
	ds_read_b32 v30, v1 offset:48
	v_cndmask_b32_e64 v1, 0, 1, s[2:3]
	s_sub_i32 s7, s0, s1
	v_cmp_ne_u32_e64 s[0:1], 1, v1
	s_andn2_b64 vcc, exec, s[2:3]
	s_waitcnt lgkmcnt(0)
	s_barrier
	s_cbranch_vccnz .LBB2001_32
; %bb.5:
	v_add_u32_e32 v1, s37, v18
	v_add_u32_e32 v2, s39, v18
	v_mul_lo_u32 v1, v1, s36
	v_mul_lo_u32 v2, v2, s38
	v_sub_u32_e32 v1, v1, v2
	v_cmp_lt_u32_e32 vcc, s40, v1
	v_cmp_ge_u32_e64 s[2:3], s40, v1
	s_mov_b64 s[64:65], 0
	s_mov_b64 s[62:63], 0
	s_and_saveexec_b64 s[8:9], s[2:3]
; %bb.6:
	v_add_u32_e32 v1, s42, v18
	v_add_u32_e32 v2, s60, v18
	v_mul_lo_u32 v1, v1, s41
	v_mul_lo_u32 v2, v2, s43
	v_sub_u32_e32 v1, v1, v2
	v_cmp_lt_u32_e64 s[2:3], s61, v1
	s_and_b64 s[62:63], s[2:3], exec
; %bb.7:
	s_or_b64 exec, exec, s[8:9]
	v_add_u32_e32 v1, s37, v19
	v_add_u32_e32 v2, s39, v19
	v_mul_lo_u32 v1, v1, s36
	v_mul_lo_u32 v2, v2, s38
	v_sub_u32_e32 v1, v1, v2
	v_cmp_lt_u32_e64 s[2:3], s40, v1
	v_cmp_ge_u32_e64 s[8:9], s40, v1
	s_and_saveexec_b64 s[10:11], s[8:9]
; %bb.8:
	v_add_u32_e32 v1, s42, v19
	v_add_u32_e32 v2, s60, v19
	v_mul_lo_u32 v1, v1, s41
	v_mul_lo_u32 v2, v2, s43
	v_sub_u32_e32 v1, v1, v2
	v_cmp_lt_u32_e64 s[8:9], s61, v1
	s_and_b64 s[64:65], s[8:9], exec
; %bb.9:
	s_or_b64 exec, exec, s[10:11]
	v_add_u32_e32 v1, s37, v16
	v_add_u32_e32 v2, s39, v16
	v_mul_lo_u32 v1, v1, s36
	v_mul_lo_u32 v2, v2, s38
	v_sub_u32_e32 v1, v1, v2
	v_cmp_lt_u32_e64 s[26:27], s40, v1
	v_cmp_ge_u32_e64 s[8:9], s40, v1
	s_mov_b64 s[68:69], 0
	s_mov_b64 s[66:67], 0
	s_and_saveexec_b64 s[10:11], s[8:9]
; %bb.10:
	v_add_u32_e32 v1, s42, v16
	v_add_u32_e32 v2, s60, v16
	v_mul_lo_u32 v1, v1, s41
	v_mul_lo_u32 v2, v2, s43
	v_sub_u32_e32 v1, v1, v2
	v_cmp_lt_u32_e64 s[8:9], s61, v1
	s_and_b64 s[66:67], s[8:9], exec
; %bb.11:
	s_or_b64 exec, exec, s[10:11]
	v_add_u32_e32 v1, s37, v17
	v_add_u32_e32 v2, s39, v17
	v_mul_lo_u32 v1, v1, s36
	v_mul_lo_u32 v2, v2, s38
	v_sub_u32_e32 v1, v1, v2
	v_cmp_lt_u32_e64 s[8:9], s40, v1
	v_cmp_ge_u32_e64 s[10:11], s40, v1
	s_and_saveexec_b64 s[12:13], s[10:11]
; %bb.12:
	v_add_u32_e32 v1, s42, v17
	v_add_u32_e32 v2, s60, v17
	v_mul_lo_u32 v1, v1, s41
	v_mul_lo_u32 v2, v2, s43
	v_sub_u32_e32 v1, v1, v2
	v_cmp_lt_u32_e64 s[10:11], s61, v1
	s_and_b64 s[68:69], s[10:11], exec
; %bb.13:
	s_or_b64 exec, exec, s[12:13]
	v_add_u32_e32 v1, s37, v14
	v_add_u32_e32 v2, s39, v14
	v_mul_lo_u32 v1, v1, s36
	v_mul_lo_u32 v2, v2, s38
	v_sub_u32_e32 v1, v1, v2
	v_cmp_lt_u32_e64 s[10:11], s40, v1
	;; [unrolled: 38-line block ×5, first 2 shown]
	v_cmp_ge_u32_e64 s[24:25], s40, v1
	s_mov_b64 s[84:85], 0
	s_mov_b64 s[86:87], 0
	s_and_saveexec_b64 s[28:29], s[24:25]
; %bb.26:
	v_add_u32_e32 v1, s42, v8
	v_add_u32_e32 v2, s60, v8
	v_mul_lo_u32 v1, v1, s41
	v_mul_lo_u32 v2, v2, s43
	v_sub_u32_e32 v1, v1, v2
	v_cmp_lt_u32_e64 s[24:25], s61, v1
	s_and_b64 s[86:87], s[24:25], exec
; %bb.27:
	s_or_b64 exec, exec, s[28:29]
	v_add_u32_e32 v1, s37, v9
	v_add_u32_e32 v2, s39, v9
	v_mul_lo_u32 v1, v1, s36
	v_mul_lo_u32 v2, v2, s38
	v_sub_u32_e32 v1, v1, v2
	v_cmp_lt_u32_e64 s[24:25], s40, v1
	v_cmp_ge_u32_e64 s[28:29], s40, v1
	s_and_saveexec_b64 s[46:47], s[28:29]
; %bb.28:
	v_add_u32_e32 v1, s42, v9
	v_add_u32_e32 v2, s60, v9
	v_mul_lo_u32 v1, v1, s41
	v_mul_lo_u32 v2, v2, s43
	v_sub_u32_e32 v1, v1, v2
	v_cmp_lt_u32_e64 s[28:29], s61, v1
	s_and_b64 s[84:85], s[28:29], exec
; %bb.29:
	s_or_b64 exec, exec, s[46:47]
	v_add_u32_e32 v1, s37, v30
	v_add_u32_e32 v2, s39, v30
	v_mul_lo_u32 v1, v1, s36
	v_mul_lo_u32 v2, v2, s38
	v_sub_u32_e32 v1, v1, v2
	v_cmp_ge_u32_e64 s[28:29], s40, v1
	s_mov_b64 s[46:47], -1
	s_mov_b64 s[78:79], 0
	s_mov_b64 s[58:59], 0
	s_and_saveexec_b64 s[88:89], s[28:29]
; %bb.30:
	v_add_u32_e32 v1, s42, v30
	v_add_u32_e32 v2, s60, v30
	v_mul_lo_u32 v1, v1, s41
	v_mul_lo_u32 v2, v2, s43
	v_sub_u32_e32 v1, v1, v2
	v_cmp_lt_u32_e64 s[28:29], s61, v1
	s_and_b64 s[58:59], s[28:29], exec
	s_xor_b64 s[46:47], exec, -1
; %bb.31:
	s_or_b64 exec, exec, s[88:89]
	v_cndmask_b32_e64 v52, 0, 1, s[86:87]
	v_cndmask_b32_e64 v55, 0, 1, s[24:25]
	;; [unrolled: 1-line block ×22, first 2 shown]
	v_cndmask_b32_e64 v32, 0, 1, vcc
	v_cndmask_b32_e64 v54, 0, 1, s[84:85]
	s_load_dwordx2 s[12:13], s[4:5], 0x78
	s_add_i32 s18, s7, 0xd00
	s_and_b64 vcc, exec, s[78:79]
	s_cbranch_vccnz .LBB2001_33
	s_branch .LBB2001_86
.LBB2001_32:
                                        ; implicit-def: $sgpr46_sgpr47
                                        ; implicit-def: $sgpr58_sgpr59
                                        ; implicit-def: $vgpr54
                                        ; implicit-def: $vgpr52
                                        ; implicit-def: $vgpr50
                                        ; implicit-def: $vgpr48
                                        ; implicit-def: $vgpr46
                                        ; implicit-def: $vgpr44
                                        ; implicit-def: $vgpr42
                                        ; implicit-def: $vgpr40
                                        ; implicit-def: $vgpr38
                                        ; implicit-def: $vgpr32
                                        ; implicit-def: $vgpr34
                                        ; implicit-def: $vgpr36
                                        ; implicit-def: $vgpr39
                                        ; implicit-def: $vgpr41
                                        ; implicit-def: $vgpr43
                                        ; implicit-def: $vgpr45
                                        ; implicit-def: $vgpr47
                                        ; implicit-def: $vgpr49
                                        ; implicit-def: $vgpr51
                                        ; implicit-def: $vgpr53
                                        ; implicit-def: $vgpr55
                                        ; implicit-def: $vgpr33
                                        ; implicit-def: $vgpr35
                                        ; implicit-def: $vgpr37
	s_load_dwordx2 s[12:13], s[4:5], 0x78
	s_add_i32 s18, s7, 0xd00
	s_cbranch_execz .LBB2001_86
.LBB2001_33:
	v_cmp_gt_u32_e32 vcc, s18, v31
	v_mov_b32_e32 v33, 0
	v_mov_b32_e32 v32, 0
	s_and_saveexec_b64 s[4:5], vcc
	s_cbranch_execz .LBB2001_37
; %bb.34:
	v_add_u32_e32 v1, s37, v18
	v_add_u32_e32 v2, s39, v18
	v_mul_lo_u32 v1, v1, s36
	v_mul_lo_u32 v2, v2, s38
	v_sub_u32_e32 v1, v1, v2
	v_cmp_lt_u32_e32 vcc, s40, v1
	v_cmp_ge_u32_e64 s[2:3], s40, v1
	s_mov_b64 s[10:11], 0
	s_and_saveexec_b64 s[8:9], s[2:3]
; %bb.35:
	v_add_u32_e32 v1, s42, v18
	v_add_u32_e32 v2, s60, v18
	v_mul_lo_u32 v1, v1, s41
	v_mul_lo_u32 v2, v2, s43
	v_sub_u32_e32 v1, v1, v2
	v_cmp_lt_u32_e64 s[2:3], s61, v1
	s_and_b64 s[10:11], s[2:3], exec
; %bb.36:
	s_or_b64 exec, exec, s[8:9]
	v_cndmask_b32_e64 v32, 0, 1, vcc
	v_cndmask_b32_e64 v33, 0, 1, s[10:11]
.LBB2001_37:
	s_or_b64 exec, exec, s[4:5]
	v_add_u32_e32 v1, 1, v31
	v_cmp_gt_u32_e32 vcc, s18, v1
	v_mov_b32_e32 v34, 0
	v_mov_b32_e32 v35, 0
	s_and_saveexec_b64 s[4:5], vcc
	s_cbranch_execz .LBB2001_41
; %bb.38:
	v_add_u32_e32 v1, s37, v19
	v_add_u32_e32 v2, s39, v19
	v_mul_lo_u32 v1, v1, s36
	v_mul_lo_u32 v2, v2, s38
	v_sub_u32_e32 v1, v1, v2
	v_cmp_lt_u32_e32 vcc, s40, v1
	v_cmp_ge_u32_e64 s[2:3], s40, v1
	s_mov_b64 s[10:11], 0
	s_and_saveexec_b64 s[8:9], s[2:3]
; %bb.39:
	v_add_u32_e32 v1, s42, v19
	v_add_u32_e32 v2, s60, v19
	v_mul_lo_u32 v1, v1, s41
	v_mul_lo_u32 v2, v2, s43
	v_sub_u32_e32 v1, v1, v2
	v_cmp_lt_u32_e64 s[2:3], s61, v1
	s_and_b64 s[10:11], s[2:3], exec
; %bb.40:
	s_or_b64 exec, exec, s[8:9]
	v_cndmask_b32_e64 v34, 0, 1, vcc
	v_cndmask_b32_e64 v35, 0, 1, s[10:11]
.LBB2001_41:
	s_or_b64 exec, exec, s[4:5]
	v_add_u32_e32 v1, 2, v31
	;; [unrolled: 30-line block ×12, first 2 shown]
	v_cmp_gt_u32_e32 vcc, s18, v1
	s_mov_b64 s[46:47], 0
	s_mov_b64 s[58:59], 0
	s_and_saveexec_b64 s[2:3], vcc
	s_cbranch_execz .LBB2001_85
; %bb.82:
	v_add_u32_e32 v1, s37, v30
	v_add_u32_e32 v2, s39, v30
	v_mul_lo_u32 v1, v1, s36
	v_mul_lo_u32 v2, v2, s38
	v_sub_u32_e32 v1, v1, v2
	v_cmp_ge_u32_e32 vcc, s40, v1
	s_mov_b64 s[8:9], -1
	s_mov_b64 s[10:11], 0
	s_and_saveexec_b64 s[4:5], vcc
; %bb.83:
	v_add_u32_e32 v1, s42, v30
	v_add_u32_e32 v2, s60, v30
	v_mul_lo_u32 v1, v1, s41
	v_mul_lo_u32 v2, v2, s43
	v_sub_u32_e32 v1, v1, v2
	v_cmp_lt_u32_e32 vcc, s61, v1
	s_and_b64 s[10:11], vcc, exec
	s_xor_b64 s[8:9], exec, -1
; %bb.84:
	s_or_b64 exec, exec, s[4:5]
	s_and_b64 s[58:59], s[10:11], exec
	s_and_b64 s[46:47], s[8:9], exec
.LBB2001_85:
	s_or_b64 exec, exec, s[2:3]
.LBB2001_86:
	v_and_b32_e32 v63, 0xff, v33
	v_and_b32_e32 v74, 0xff, v35
	;; [unrolled: 1-line block ×5, first 2 shown]
	v_add3_u32 v2, v74, v65, v63
	v_and_b32_e32 v76, 0xff, v42
	v_and_b32_e32 v69, 0xff, v44
	v_add3_u32 v2, v2, v75, v67
	v_and_b32_e32 v62, 0xff, v32
	v_and_b32_e32 v56, 0xff, v34
	;; [unrolled: 1-line block ×5, first 2 shown]
	v_add3_u32 v2, v2, v76, v69
	v_and_b32_e32 v57, 0xff, v39
	v_and_b32_e32 v66, 0xff, v41
	;; [unrolled: 1-line block ×4, first 2 shown]
	v_add3_u32 v3, v56, v64, v62
	v_add3_u32 v2, v2, v77, v71
	v_and_b32_e32 v58, 0xff, v43
	v_and_b32_e32 v68, 0xff, v45
	;; [unrolled: 1-line block ×3, first 2 shown]
	v_cndmask_b32_e64 v1, 0, 1, s[58:59]
	v_add3_u32 v3, v3, v57, v66
	v_add3_u32 v2, v2, v78, v73
	v_and_b32_e32 v59, 0xff, v47
	v_and_b32_e32 v70, 0xff, v49
	v_add3_u32 v3, v3, v58, v68
	v_add3_u32 v86, v2, v79, v1
	v_mbcnt_lo_u32_b32 v1, -1, 0
	v_and_b32_e32 v60, 0xff, v51
	v_and_b32_e32 v72, 0xff, v53
	v_add3_u32 v3, v3, v59, v70
	v_mbcnt_hi_u32_b32 v80, -1, v1
	v_and_b32_e32 v61, 0xff, v55
	v_add3_u32 v3, v3, v60, v72
	v_cndmask_b32_e64 v4, 0, 1, s[46:47]
	v_and_b32_e32 v84, 15, v80
	s_cmp_lg_u32 s6, 0
	v_add3_u32 v85, v3, v61, v4
	v_cmp_eq_u32_e64 s[4:5], 0, v84
	v_cmp_lt_u32_e64 s[2:3], 1, v84
	v_cmp_lt_u32_e64 s[8:9], 3, v84
	v_cmp_lt_u32_e64 s[10:11], 7, v84
	v_and_b32_e32 v83, 16, v80
	v_cmp_lt_u32_e32 vcc, 31, v80
	v_lshrrev_b32_e32 v81, 6, v0
	v_or_b32_e32 v82, 63, v0
	s_cbranch_scc0 .LBB2001_119
; %bb.87:
	v_mov_b32_dpp v1, v85 row_shr:1 row_mask:0xf bank_mask:0xf
	v_mov_b32_dpp v2, v86 row_shr:1 row_mask:0xf bank_mask:0xf
	v_add_u32_e32 v1, v1, v85
	v_add_u32_e32 v2, v2, v86
	v_cndmask_b32_e64 v2, v2, v86, s[4:5]
	v_cndmask_b32_e64 v1, v1, v85, s[4:5]
	s_nop 0
	v_mov_b32_dpp v4, v2 row_shr:2 row_mask:0xf bank_mask:0xf
	v_mov_b32_dpp v3, v1 row_shr:2 row_mask:0xf bank_mask:0xf
	v_add_u32_e32 v3, v1, v3
	v_add_u32_e32 v4, v2, v4
	v_cndmask_b32_e64 v2, v2, v4, s[2:3]
	v_cndmask_b32_e64 v1, v1, v3, s[2:3]
	s_nop 0
	v_mov_b32_dpp v4, v2 row_shr:4 row_mask:0xf bank_mask:0xf
	v_mov_b32_dpp v3, v1 row_shr:4 row_mask:0xf bank_mask:0xf
	v_add_u32_e32 v3, v1, v3
	v_add_u32_e32 v4, v2, v4
	v_cndmask_b32_e64 v2, v2, v4, s[8:9]
	v_cndmask_b32_e64 v1, v1, v3, s[8:9]
	v_cmp_eq_u32_e64 s[8:9], 0, v83
	v_mov_b32_dpp v4, v2 row_shr:8 row_mask:0xf bank_mask:0xf
	v_mov_b32_dpp v3, v1 row_shr:8 row_mask:0xf bank_mask:0xf
	v_add_u32_e32 v3, v1, v3
	v_add_u32_e32 v4, v2, v4
	v_cndmask_b32_e64 v2, v2, v4, s[10:11]
	v_cndmask_b32_e64 v1, v1, v3, s[10:11]
	s_nop 0
	v_mov_b32_dpp v4, v2 row_bcast:15 row_mask:0xf bank_mask:0xf
	v_mov_b32_dpp v3, v1 row_bcast:15 row_mask:0xf bank_mask:0xf
	v_add_u32_e32 v3, v1, v3
	v_add_u32_e32 v4, v2, v4
	v_cndmask_b32_e64 v2, v4, v2, s[8:9]
	v_cndmask_b32_e64 v1, v3, v1, s[8:9]
	s_nop 0
	v_mov_b32_dpp v4, v2 row_bcast:31 row_mask:0xf bank_mask:0xf
	v_mov_b32_dpp v3, v1 row_bcast:31 row_mask:0xf bank_mask:0xf
	v_add_u32_e32 v4, v2, v4
	v_add_u32_e32 v5, v1, v3
	v_cndmask_b32_e32 v3, v2, v4, vcc
	v_cndmask_b32_e32 v2, v1, v5, vcc
	v_cmp_eq_u32_e32 vcc, v82, v0
	s_and_saveexec_b64 s[8:9], vcc
	s_cbranch_execz .LBB2001_89
; %bb.88:
	v_lshlrev_b32_e32 v1, 3, v81
	ds_write_b64 v1, v[2:3]
.LBB2001_89:
	s_or_b64 exec, exec, s[8:9]
	v_cmp_gt_u32_e32 vcc, 4, v0
	s_waitcnt lgkmcnt(0)
	s_barrier
	s_and_saveexec_b64 s[8:9], vcc
	s_cbranch_execz .LBB2001_91
; %bb.90:
	v_lshlrev_b32_e32 v1, 3, v0
	ds_read_b64 v[4:5], v1
	v_and_b32_e32 v6, 3, v80
	v_cmp_eq_u32_e32 vcc, 0, v6
	s_waitcnt lgkmcnt(0)
	v_mov_b32_dpp v7, v4 row_shr:1 row_mask:0xf bank_mask:0xf
	v_mov_b32_dpp v20, v5 row_shr:1 row_mask:0xf bank_mask:0xf
	v_add_u32_e32 v7, v7, v4
	v_add_u32_e32 v20, v20, v5
	v_cndmask_b32_e32 v5, v20, v5, vcc
	v_cndmask_b32_e32 v4, v7, v4, vcc
	v_cmp_lt_u32_e32 vcc, 1, v6
	v_mov_b32_dpp v20, v5 row_shr:2 row_mask:0xf bank_mask:0xf
	v_mov_b32_dpp v7, v4 row_shr:2 row_mask:0xf bank_mask:0xf
	v_cndmask_b32_e32 v6, 0, v7, vcc
	v_cndmask_b32_e32 v7, 0, v20, vcc
	v_add_u32_e32 v5, v7, v5
	v_add_u32_e32 v4, v6, v4
	ds_write_b64 v1, v[4:5]
.LBB2001_91:
	s_or_b64 exec, exec, s[8:9]
	v_cmp_gt_u32_e32 vcc, 64, v0
	v_cmp_lt_u32_e64 s[8:9], 63, v0
	s_waitcnt lgkmcnt(0)
	s_barrier
	s_waitcnt lgkmcnt(0)
                                        ; implicit-def: $vgpr21
	s_and_saveexec_b64 s[10:11], s[8:9]
	s_xor_b64 s[8:9], exec, s[10:11]
	s_cbranch_execz .LBB2001_93
; %bb.92:
	v_lshl_add_u32 v1, v81, 3, -8
	ds_read_b64 v[20:21], v1
	s_waitcnt lgkmcnt(0)
	v_add_u32_e32 v3, v21, v3
	v_add_u32_e32 v2, v20, v2
.LBB2001_93:
	s_andn2_saveexec_b64 s[8:9], s[8:9]
; %bb.94:
                                        ; implicit-def: $vgpr20
; %bb.95:
	s_or_b64 exec, exec, s[8:9]
	v_add_u32_e32 v1, -1, v80
	v_and_b32_e32 v4, 64, v80
	v_cmp_lt_i32_e64 s[8:9], v1, v4
	v_cndmask_b32_e64 v1, v1, v80, s[8:9]
	v_lshlrev_b32_e32 v4, 2, v1
	ds_bpermute_b32 v1, v4, v2
	ds_bpermute_b32 v87, v4, v3
	v_cmp_eq_u32_e64 s[8:9], 0, v80
	s_and_saveexec_b64 s[10:11], vcc
	s_cbranch_execz .LBB2001_118
; %bb.96:
	v_mov_b32_e32 v7, 0
	ds_read_b64 v[22:23], v7 offset:24
	s_and_saveexec_b64 s[14:15], s[8:9]
	s_cbranch_execz .LBB2001_98
; %bb.97:
	s_add_i32 s16, s6, 64
	s_mov_b32 s17, 0
	s_lshl_b64 s[16:17], s[16:17], 4
	s_waitcnt lgkmcnt(0)
	v_and_b32_e32 v2, 0xff000000, v23
	v_and_b32_e32 v3, 0xff0000, v23
	s_add_u32 s16, s12, s16
	v_or_b32_e32 v2, v3, v2
	v_and_b32_e32 v3, 0xff00, v23
	s_addc_u32 s17, s13, s17
	v_or_b32_e32 v2, v2, v3
	v_or_b32_sdwa v5, v2, v23 dst_sel:DWORD dst_unused:UNUSED_PAD src0_sel:DWORD src1_sel:BYTE_0
	v_mov_b32_e32 v6, 1
	v_mov_b32_e32 v4, v22
	v_pk_mov_b32 v[2:3], s[16:17], s[16:17] op_sel:[0,1]
	;;#ASMSTART
	global_store_dwordx4 v[2:3], v[4:7] off	
s_waitcnt vmcnt(0)
	;;#ASMEND
.LBB2001_98:
	s_or_b64 exec, exec, s[14:15]
	v_xad_u32 v24, v80, -1, s6
	v_add_u32_e32 v6, 64, v24
	v_lshlrev_b64 v[2:3], 4, v[6:7]
	v_mov_b32_e32 v4, s13
	v_add_co_u32_e32 v26, vcc, s12, v2
	v_addc_co_u32_e32 v27, vcc, v4, v3, vcc
	;;#ASMSTART
	global_load_dwordx4 v[2:5], v[26:27] off glc	
s_waitcnt vmcnt(0)
	;;#ASMEND
	v_and_b32_e32 v5, 0xff, v3
	v_and_b32_e32 v6, 0xff00, v3
	v_or3_b32 v5, 0, v5, v6
	v_or3_b32 v2, v2, 0, 0
	v_and_b32_e32 v6, 0xff000000, v3
	v_and_b32_e32 v3, 0xff0000, v3
	v_or3_b32 v3, v5, v3, v6
	v_or3_b32 v2, v2, 0, 0
	v_cmp_eq_u16_sdwa s[16:17], v4, v7 src0_sel:BYTE_0 src1_sel:DWORD
	s_and_saveexec_b64 s[14:15], s[16:17]
	s_cbranch_execz .LBB2001_104
; %bb.99:
	s_mov_b32 s7, 1
	s_mov_b64 s[16:17], 0
	v_mov_b32_e32 v6, 0
.LBB2001_100:                           ; =>This Loop Header: Depth=1
                                        ;     Child Loop BB2001_101 Depth 2
	s_max_u32 s19, s7, 1
.LBB2001_101:                           ;   Parent Loop BB2001_100 Depth=1
                                        ; =>  This Inner Loop Header: Depth=2
	s_add_i32 s19, s19, -1
	s_cmp_eq_u32 s19, 0
	s_sleep 1
	s_cbranch_scc0 .LBB2001_101
; %bb.102:                              ;   in Loop: Header=BB2001_100 Depth=1
	s_cmp_lt_u32 s7, 32
	s_cselect_b64 s[20:21], -1, 0
	s_cmp_lg_u64 s[20:21], 0
	s_addc_u32 s7, s7, 0
	;;#ASMSTART
	global_load_dwordx4 v[2:5], v[26:27] off glc	
s_waitcnt vmcnt(0)
	;;#ASMEND
	v_cmp_ne_u16_sdwa s[20:21], v4, v6 src0_sel:BYTE_0 src1_sel:DWORD
	s_or_b64 s[16:17], s[20:21], s[16:17]
	s_andn2_b64 exec, exec, s[16:17]
	s_cbranch_execnz .LBB2001_100
; %bb.103:
	s_or_b64 exec, exec, s[16:17]
.LBB2001_104:
	s_or_b64 exec, exec, s[14:15]
	v_and_b32_e32 v89, 63, v80
	v_cmp_ne_u32_e32 vcc, 63, v89
	v_mov_b32_e32 v88, 2
	v_addc_co_u32_e32 v26, vcc, 0, v80, vcc
	v_cmp_eq_u16_sdwa s[14:15], v4, v88 src0_sel:BYTE_0 src1_sel:DWORD
	v_lshlrev_b64 v[6:7], v80, -1
	v_lshlrev_b32_e32 v90, 2, v26
	v_and_b32_e32 v5, s15, v7
	ds_bpermute_b32 v26, v90, v2
	ds_bpermute_b32 v27, v90, v3
	v_or_b32_e32 v5, 0x80000000, v5
	v_and_b32_e32 v25, s14, v6
	v_ffbl_b32_e32 v5, v5
	v_add_u32_e32 v5, 32, v5
	v_ffbl_b32_e32 v25, v25
	v_min_u32_e32 v5, v25, v5
	s_waitcnt lgkmcnt(1)
	v_add_u32_e32 v25, v26, v2
	s_waitcnt lgkmcnt(0)
	v_add_u32_e32 v26, v27, v3
	v_cmp_lt_u32_e32 vcc, v89, v5
	v_cndmask_b32_e32 v3, v3, v26, vcc
	v_cndmask_b32_e32 v2, v2, v25, vcc
	v_cmp_gt_u32_e32 vcc, 62, v89
	v_cndmask_b32_e64 v25, 0, 1, vcc
	v_lshlrev_b32_e32 v25, 1, v25
	v_add_lshl_u32 v91, v25, v80, 2
	ds_bpermute_b32 v25, v91, v2
	ds_bpermute_b32 v26, v91, v3
	v_add_u32_e32 v92, 2, v89
	v_cmp_gt_u32_e32 vcc, v92, v5
	v_add_u32_e32 v94, 4, v89
	s_waitcnt lgkmcnt(1)
	v_add_u32_e32 v25, v2, v25
	s_waitcnt lgkmcnt(0)
	v_add_u32_e32 v26, v3, v26
	v_cndmask_b32_e32 v3, v26, v3, vcc
	v_cndmask_b32_e32 v2, v25, v2, vcc
	v_cmp_gt_u32_e32 vcc, 60, v89
	v_cndmask_b32_e64 v25, 0, 1, vcc
	v_lshlrev_b32_e32 v25, 2, v25
	v_add_lshl_u32 v93, v25, v80, 2
	ds_bpermute_b32 v25, v93, v2
	ds_bpermute_b32 v26, v93, v3
	v_cmp_gt_u32_e32 vcc, v94, v5
	v_add_u32_e32 v96, 8, v89
	v_add_u32_e32 v98, 16, v89
	s_waitcnt lgkmcnt(1)
	v_add_u32_e32 v25, v2, v25
	s_waitcnt lgkmcnt(0)
	v_add_u32_e32 v26, v3, v26
	v_cndmask_b32_e32 v3, v26, v3, vcc
	v_cndmask_b32_e32 v2, v25, v2, vcc
	v_cmp_gt_u32_e32 vcc, 56, v89
	v_cndmask_b32_e64 v25, 0, 1, vcc
	v_lshlrev_b32_e32 v25, 3, v25
	v_add_lshl_u32 v95, v25, v80, 2
	ds_bpermute_b32 v25, v95, v2
	ds_bpermute_b32 v26, v95, v3
	v_cmp_gt_u32_e32 vcc, v96, v5
	v_add_u32_e32 v100, 32, v89
	s_waitcnt lgkmcnt(1)
	v_add_u32_e32 v25, v2, v25
	s_waitcnt lgkmcnt(0)
	v_add_u32_e32 v26, v3, v26
	v_cndmask_b32_e32 v3, v26, v3, vcc
	v_cndmask_b32_e32 v2, v25, v2, vcc
	v_cmp_gt_u32_e32 vcc, 48, v89
	v_cndmask_b32_e64 v25, 0, 1, vcc
	v_lshlrev_b32_e32 v25, 4, v25
	v_add_lshl_u32 v97, v25, v80, 2
	ds_bpermute_b32 v25, v97, v2
	ds_bpermute_b32 v26, v97, v3
	v_cmp_gt_u32_e32 vcc, v98, v5
	s_waitcnt lgkmcnt(1)
	v_add_u32_e32 v25, v2, v25
	s_waitcnt lgkmcnt(0)
	v_add_u32_e32 v26, v3, v26
	v_cndmask_b32_e32 v3, v26, v3, vcc
	v_cndmask_b32_e32 v2, v25, v2, vcc
	v_cmp_gt_u32_e32 vcc, 32, v89
	v_cndmask_b32_e64 v25, 0, 1, vcc
	v_lshlrev_b32_e32 v25, 5, v25
	v_add_lshl_u32 v99, v25, v80, 2
	ds_bpermute_b32 v25, v99, v2
	ds_bpermute_b32 v26, v99, v3
	v_cmp_le_u32_e32 vcc, v100, v5
	s_waitcnt lgkmcnt(1)
	v_cndmask_b32_e32 v5, 0, v25, vcc
	s_waitcnt lgkmcnt(0)
	v_cndmask_b32_e32 v25, 0, v26, vcc
	v_add_u32_e32 v3, v3, v25
	v_add_u32_e32 v2, v2, v5
	v_mov_b32_e32 v25, 0
	s_branch .LBB2001_106
.LBB2001_105:                           ;   in Loop: Header=BB2001_106 Depth=1
	s_or_b64 exec, exec, s[14:15]
	v_cmp_eq_u16_sdwa s[14:15], v4, v88 src0_sel:BYTE_0 src1_sel:DWORD
	v_and_b32_e32 v5, s15, v7
	ds_bpermute_b32 v29, v90, v2
	ds_bpermute_b32 v101, v90, v3
	v_or_b32_e32 v5, 0x80000000, v5
	v_and_b32_e32 v28, s14, v6
	v_ffbl_b32_e32 v5, v5
	v_add_u32_e32 v5, 32, v5
	v_ffbl_b32_e32 v28, v28
	v_min_u32_e32 v5, v28, v5
	s_waitcnt lgkmcnt(1)
	v_add_u32_e32 v28, v29, v2
	s_waitcnt lgkmcnt(0)
	v_add_u32_e32 v29, v101, v3
	v_cmp_lt_u32_e32 vcc, v89, v5
	v_cndmask_b32_e32 v3, v3, v29, vcc
	v_cndmask_b32_e32 v2, v2, v28, vcc
	ds_bpermute_b32 v28, v91, v2
	ds_bpermute_b32 v29, v91, v3
	v_cmp_gt_u32_e32 vcc, v92, v5
	v_subrev_u32_e32 v24, 64, v24
	s_waitcnt lgkmcnt(1)
	v_add_u32_e32 v28, v2, v28
	s_waitcnt lgkmcnt(0)
	v_add_u32_e32 v29, v3, v29
	v_cndmask_b32_e32 v3, v29, v3, vcc
	v_cndmask_b32_e32 v2, v28, v2, vcc
	ds_bpermute_b32 v28, v93, v2
	ds_bpermute_b32 v29, v93, v3
	v_cmp_gt_u32_e32 vcc, v94, v5
	s_waitcnt lgkmcnt(1)
	v_add_u32_e32 v28, v2, v28
	s_waitcnt lgkmcnt(0)
	v_add_u32_e32 v29, v3, v29
	v_cndmask_b32_e32 v3, v29, v3, vcc
	v_cndmask_b32_e32 v2, v28, v2, vcc
	ds_bpermute_b32 v28, v95, v2
	ds_bpermute_b32 v29, v95, v3
	v_cmp_gt_u32_e32 vcc, v96, v5
	;; [unrolled: 9-line block ×3, first 2 shown]
	s_waitcnt lgkmcnt(1)
	v_add_u32_e32 v28, v2, v28
	s_waitcnt lgkmcnt(0)
	v_add_u32_e32 v29, v3, v29
	v_cndmask_b32_e32 v3, v29, v3, vcc
	v_cndmask_b32_e32 v2, v28, v2, vcc
	ds_bpermute_b32 v28, v99, v2
	ds_bpermute_b32 v29, v99, v3
	v_cmp_le_u32_e32 vcc, v100, v5
	s_waitcnt lgkmcnt(1)
	v_cndmask_b32_e32 v5, 0, v28, vcc
	s_waitcnt lgkmcnt(0)
	v_cndmask_b32_e32 v28, 0, v29, vcc
	v_add3_u32 v3, v28, v27, v3
	v_add3_u32 v2, v5, v26, v2
.LBB2001_106:                           ; =>This Loop Header: Depth=1
                                        ;     Child Loop BB2001_109 Depth 2
                                        ;       Child Loop BB2001_110 Depth 3
	v_cmp_ne_u16_sdwa s[14:15], v4, v88 src0_sel:BYTE_0 src1_sel:DWORD
	v_cndmask_b32_e64 v4, 0, 1, s[14:15]
	;;#ASMSTART
	;;#ASMEND
	v_cmp_ne_u32_e32 vcc, 0, v4
	s_cmp_lg_u64 vcc, exec
	v_pk_mov_b32 v[26:27], v[2:3], v[2:3] op_sel:[0,1]
	s_cbranch_scc1 .LBB2001_113
; %bb.107:                              ;   in Loop: Header=BB2001_106 Depth=1
	v_lshlrev_b64 v[2:3], 4, v[24:25]
	v_mov_b32_e32 v4, s13
	v_add_co_u32_e32 v28, vcc, s12, v2
	v_addc_co_u32_e32 v29, vcc, v4, v3, vcc
	;;#ASMSTART
	global_load_dwordx4 v[2:5], v[28:29] off glc	
s_waitcnt vmcnt(0)
	;;#ASMEND
	v_and_b32_e32 v5, 0xff, v3
	v_and_b32_e32 v101, 0xff00, v3
	v_or3_b32 v5, 0, v5, v101
	v_or3_b32 v2, v2, 0, 0
	v_and_b32_e32 v101, 0xff000000, v3
	v_and_b32_e32 v3, 0xff0000, v3
	v_or3_b32 v3, v5, v3, v101
	v_or3_b32 v2, v2, 0, 0
	v_cmp_eq_u16_sdwa s[16:17], v4, v25 src0_sel:BYTE_0 src1_sel:DWORD
	s_and_saveexec_b64 s[14:15], s[16:17]
	s_cbranch_execz .LBB2001_105
; %bb.108:                              ;   in Loop: Header=BB2001_106 Depth=1
	s_mov_b32 s7, 1
	s_mov_b64 s[16:17], 0
.LBB2001_109:                           ;   Parent Loop BB2001_106 Depth=1
                                        ; =>  This Loop Header: Depth=2
                                        ;       Child Loop BB2001_110 Depth 3
	s_max_u32 s19, s7, 1
.LBB2001_110:                           ;   Parent Loop BB2001_106 Depth=1
                                        ;     Parent Loop BB2001_109 Depth=2
                                        ; =>    This Inner Loop Header: Depth=3
	s_add_i32 s19, s19, -1
	s_cmp_eq_u32 s19, 0
	s_sleep 1
	s_cbranch_scc0 .LBB2001_110
; %bb.111:                              ;   in Loop: Header=BB2001_109 Depth=2
	s_cmp_lt_u32 s7, 32
	s_cselect_b64 s[20:21], -1, 0
	s_cmp_lg_u64 s[20:21], 0
	s_addc_u32 s7, s7, 0
	;;#ASMSTART
	global_load_dwordx4 v[2:5], v[28:29] off glc	
s_waitcnt vmcnt(0)
	;;#ASMEND
	v_cmp_ne_u16_sdwa s[20:21], v4, v25 src0_sel:BYTE_0 src1_sel:DWORD
	s_or_b64 s[16:17], s[20:21], s[16:17]
	s_andn2_b64 exec, exec, s[16:17]
	s_cbranch_execnz .LBB2001_109
; %bb.112:                              ;   in Loop: Header=BB2001_106 Depth=1
	s_or_b64 exec, exec, s[16:17]
	s_branch .LBB2001_105
.LBB2001_113:                           ;   in Loop: Header=BB2001_106 Depth=1
                                        ; implicit-def: $vgpr4
                                        ; implicit-def: $vgpr2_vgpr3
	s_cbranch_execz .LBB2001_106
; %bb.114:
	s_and_saveexec_b64 s[14:15], s[8:9]
	s_cbranch_execz .LBB2001_116
; %bb.115:
	s_add_i32 s6, s6, 64
	s_mov_b32 s7, 0
	v_add_u32_e32 v3, v27, v23
	s_lshl_b64 s[6:7], s[6:7], 4
	s_add_u32 s6, s12, s6
	v_and_b32_e32 v4, 0xff000000, v3
	v_and_b32_e32 v6, 0xff0000, v3
	s_addc_u32 s7, s13, s7
	v_or_b32_e32 v4, v6, v4
	v_and_b32_e32 v6, 0xff00, v3
	v_and_b32_e32 v3, 0xff, v3
	v_add_u32_e32 v2, v26, v22
	v_mov_b32_e32 v5, 0
	v_or3_b32 v3, v4, v6, v3
	v_mov_b32_e32 v4, 2
	v_pk_mov_b32 v[6:7], s[6:7], s[6:7] op_sel:[0,1]
	;;#ASMSTART
	global_store_dwordx4 v[6:7], v[2:5] off	
s_waitcnt vmcnt(0)
	;;#ASMEND
	s_movk_i32 s6, 0x3400
	v_add_u32_e64 v2, s6, 0
	ds_write2_b32 v2, v22, v23 offset1:2
	ds_write2_b32 v2, v26, v27 offset0:4 offset1:6
.LBB2001_116:
	s_or_b64 exec, exec, s[14:15]
	v_cmp_eq_u32_e32 vcc, 0, v0
	s_and_b64 exec, exec, vcc
	s_cbranch_execz .LBB2001_118
; %bb.117:
	v_mov_b32_e32 v2, 0
	ds_write_b64 v2, v[26:27] offset:24
.LBB2001_118:
	s_or_b64 exec, exec, s[10:11]
	v_mov_b32_e32 v2, 0
	s_waitcnt lgkmcnt(0)
	s_barrier
	ds_read_b64 v[6:7], v2 offset:24
	s_movk_i32 s6, 0x3400
	v_cndmask_b32_e64 v2, v87, v21, s[8:9]
	v_cndmask_b32_e64 v1, v1, v20, s[8:9]
	v_add_u32_e64 v4, s6, 0
	s_waitcnt lgkmcnt(0)
	v_add_u32_e32 v20, v6, v1
	v_add_u32_e32 v1, v7, v2
	s_barrier
	ds_read2_b32 v[2:3], v4 offset1:2
	ds_read2_b32 v[4:5], v4 offset0:4 offset1:6
	v_cmp_eq_u32_e32 vcc, 0, v0
	v_cndmask_b32_e32 v1, v1, v7, vcc
	v_cndmask_b32_e32 v20, v20, v6, vcc
	s_branch .LBB2001_129
.LBB2001_119:
                                        ; implicit-def: $vgpr1
                                        ; implicit-def: $vgpr4
                                        ; implicit-def: $vgpr2
                                        ; implicit-def: $vgpr20_vgpr21
	s_cbranch_execz .LBB2001_129
; %bb.120:
	s_nop 0
	v_mov_b32_dpp v1, v85 row_shr:1 row_mask:0xf bank_mask:0xf
	s_waitcnt lgkmcnt(0)
	v_mov_b32_dpp v2, v86 row_shr:1 row_mask:0xf bank_mask:0xf
	v_add_u32_e32 v1, v1, v85
	v_add_u32_e32 v2, v2, v86
	v_cndmask_b32_e64 v2, v2, v86, s[4:5]
	v_cndmask_b32_e64 v1, v1, v85, s[4:5]
	v_cmp_lt_u32_e32 vcc, 3, v84
	v_mov_b32_dpp v4, v2 row_shr:2 row_mask:0xf bank_mask:0xf
	v_mov_b32_dpp v3, v1 row_shr:2 row_mask:0xf bank_mask:0xf
	v_add_u32_e32 v3, v1, v3
	v_add_u32_e32 v4, v2, v4
	v_cndmask_b32_e64 v2, v2, v4, s[2:3]
	v_cndmask_b32_e64 v1, v1, v3, s[2:3]
	s_nop 0
	v_mov_b32_dpp v4, v2 row_shr:4 row_mask:0xf bank_mask:0xf
	v_mov_b32_dpp v3, v1 row_shr:4 row_mask:0xf bank_mask:0xf
	v_add_u32_e32 v3, v1, v3
	v_add_u32_e32 v4, v2, v4
	v_cndmask_b32_e32 v2, v2, v4, vcc
	v_cndmask_b32_e32 v1, v1, v3, vcc
	v_cmp_lt_u32_e32 vcc, 7, v84
	v_mov_b32_dpp v4, v2 row_shr:8 row_mask:0xf bank_mask:0xf
	v_mov_b32_dpp v3, v1 row_shr:8 row_mask:0xf bank_mask:0xf
	v_add_u32_e32 v3, v1, v3
	v_add_u32_e32 v4, v2, v4
	v_cndmask_b32_e32 v2, v2, v4, vcc
	v_cndmask_b32_e32 v1, v1, v3, vcc
	v_cmp_eq_u32_e32 vcc, 0, v83
	v_mov_b32_dpp v4, v2 row_bcast:15 row_mask:0xf bank_mask:0xf
	v_mov_b32_dpp v3, v1 row_bcast:15 row_mask:0xf bank_mask:0xf
	v_add_u32_e32 v3, v1, v3
	v_add_u32_e32 v4, v2, v4
	v_cndmask_b32_e32 v2, v4, v2, vcc
	v_cndmask_b32_e32 v1, v3, v1, vcc
	v_cmp_lt_u32_e32 vcc, 31, v80
	v_mov_b32_dpp v4, v2 row_bcast:31 row_mask:0xf bank_mask:0xf
	v_mov_b32_dpp v3, v1 row_bcast:31 row_mask:0xf bank_mask:0xf
	v_add_u32_e32 v4, v2, v4
	v_add_u32_e32 v5, v1, v3
	v_cndmask_b32_e32 v3, v2, v4, vcc
	v_cndmask_b32_e32 v2, v1, v5, vcc
	v_cmp_eq_u32_e32 vcc, v82, v0
	s_and_saveexec_b64 s[2:3], vcc
	s_cbranch_execz .LBB2001_122
; %bb.121:
	v_lshlrev_b32_e32 v1, 3, v81
	ds_write_b64 v1, v[2:3]
.LBB2001_122:
	s_or_b64 exec, exec, s[2:3]
	v_cmp_gt_u32_e32 vcc, 4, v0
	s_waitcnt lgkmcnt(0)
	s_barrier
	s_and_saveexec_b64 s[2:3], vcc
	s_cbranch_execz .LBB2001_124
; %bb.123:
	v_lshlrev_b32_e32 v1, 3, v0
	ds_read_b64 v[4:5], v1
	v_and_b32_e32 v6, 3, v80
	v_cmp_eq_u32_e32 vcc, 0, v6
	s_waitcnt lgkmcnt(0)
	v_mov_b32_dpp v7, v4 row_shr:1 row_mask:0xf bank_mask:0xf
	v_mov_b32_dpp v20, v5 row_shr:1 row_mask:0xf bank_mask:0xf
	v_add_u32_e32 v7, v7, v4
	v_add_u32_e32 v20, v20, v5
	v_cndmask_b32_e32 v5, v20, v5, vcc
	v_cndmask_b32_e32 v4, v7, v4, vcc
	v_cmp_lt_u32_e32 vcc, 1, v6
	v_mov_b32_dpp v20, v5 row_shr:2 row_mask:0xf bank_mask:0xf
	v_mov_b32_dpp v7, v4 row_shr:2 row_mask:0xf bank_mask:0xf
	v_cndmask_b32_e32 v6, 0, v7, vcc
	v_cndmask_b32_e32 v7, 0, v20, vcc
	v_add_u32_e32 v5, v7, v5
	v_add_u32_e32 v4, v6, v4
	ds_write_b64 v1, v[4:5]
.LBB2001_124:
	s_or_b64 exec, exec, s[2:3]
	v_cmp_lt_u32_e32 vcc, 63, v0
	v_mov_b32_e32 v4, 0
	v_mov_b32_e32 v6, 0
	;; [unrolled: 1-line block ×3, first 2 shown]
	s_waitcnt lgkmcnt(0)
	s_barrier
	s_and_saveexec_b64 s[2:3], vcc
	s_cbranch_execz .LBB2001_126
; %bb.125:
	v_lshl_add_u32 v1, v81, 3, -8
	ds_read_b64 v[6:7], v1
.LBB2001_126:
	s_or_b64 exec, exec, s[2:3]
	s_waitcnt lgkmcnt(0)
	v_add_u32_e32 v5, v7, v3
	v_add_u32_e32 v1, v6, v2
	v_add_u32_e32 v2, -1, v80
	v_and_b32_e32 v3, 64, v80
	v_cmp_lt_i32_e32 vcc, v2, v3
	v_cndmask_b32_e32 v2, v2, v80, vcc
	v_lshlrev_b32_e32 v20, 2, v2
	ds_read_b64 v[2:3], v4 offset:24
	ds_bpermute_b32 v1, v20, v1
	ds_bpermute_b32 v20, v20, v5
	v_cmp_eq_u32_e32 vcc, 0, v0
	s_waitcnt lgkmcnt(2)
	v_readfirstlane_b32 s4, v3
	s_and_saveexec_b64 s[2:3], vcc
	s_cbranch_execz .LBB2001_128
; %bb.127:
	s_add_u32 s6, s12, 0x400
	s_mov_b32 s8, 0
	s_addc_u32 s7, s13, 0
	s_and_b32 s9, s4, 0xff000000
	s_and_b32 s11, s4, 0xff0000
	s_mov_b32 s10, s8
	s_or_b64 s[10:11], s[10:11], s[8:9]
	s_and_b32 s9, s4, 0xff00
	s_or_b64 s[10:11], s[10:11], s[8:9]
	s_and_b32 s9, s4, 0xff
	s_or_b64 s[8:9], s[10:11], s[8:9]
	v_mov_b32_e32 v3, s9
	v_mov_b32_e32 v4, 2
	;; [unrolled: 1-line block ×3, first 2 shown]
	v_pk_mov_b32 v[22:23], s[6:7], s[6:7] op_sel:[0,1]
	;;#ASMSTART
	global_store_dwordx4 v[22:23], v[2:5] off	
s_waitcnt vmcnt(0)
	;;#ASMEND
.LBB2001_128:
	s_or_b64 exec, exec, s[2:3]
	v_cmp_eq_u32_e64 s[2:3], 0, v80
	s_waitcnt lgkmcnt(1)
	v_cndmask_b32_e64 v3, v1, v6, s[2:3]
	s_waitcnt lgkmcnt(0)
	v_cndmask_b32_e64 v1, v20, v7, s[2:3]
	v_mov_b32_e32 v4, 0
	v_cndmask_b32_e64 v1, v1, 0, vcc
	v_cndmask_b32_e64 v20, v3, 0, vcc
	s_barrier
	v_mov_b32_e32 v3, s4
	v_mov_b32_e32 v5, 0
.LBB2001_129:
	v_add_u32_e32 v24, v1, v63
	v_add_u32_e32 v25, v24, v74
	;; [unrolled: 1-line block ×14, first 2 shown]
	v_mov_b32_e32 v7, s49
	s_waitcnt lgkmcnt(0)
	v_add_co_u32_e32 v6, vcc, s48, v4
	v_add_u32_e32 v64, v58, v68
	v_add_u32_e32 v68, v66, v71
	v_addc_co_u32_e32 v7, vcc, 0, v7, vcc
	v_add_u32_e32 v69, v68, v78
	v_mov_b32_e32 v22, s51
	v_sub_co_u32_e32 v23, vcc, s50, v2
	v_add_u32_e32 v71, v69, v73
	v_subbrev_co_u32_e32 v73, vcc, 0, v22, vcc
	v_add_co_u32_e32 v22, vcc, v23, v5
	v_addc_co_u32_e32 v23, vcc, 0, v73, vcc
	v_lshlrev_b32_e32 v73, 1, v2
	v_sub_u32_e32 v1, v1, v5
	v_add_u32_e32 v74, v73, v3
	v_sub_u32_e32 v20, v20, v4
	v_add_u32_e32 v1, v1, v2
	v_add_u32_e32 v31, v74, v31
	v_and_b32_e32 v33, 1, v33
	v_add_u32_e32 v74, v20, v1
	v_and_b32_e32 v32, 1, v32
	v_sub_u32_e32 v74, v31, v74
	v_cmp_eq_u32_e32 vcc, 1, v33
	v_cndmask_b32_e32 v1, v74, v1, vcc
	v_cmp_eq_u32_e32 vcc, 1, v32
	v_cndmask_b32_e32 v1, v1, v20, vcc
	v_lshlrev_b32_e32 v1, 2, v1
	v_sub_u32_e32 v20, v24, v5
	ds_write_b32 v1, v18
	v_sub_u32_e32 v1, v21, v4
	v_add_u32_e32 v20, v20, v2
	v_add_u32_e32 v24, v20, v1
	v_and_b32_e32 v21, 1, v35
	v_sub_u32_e32 v24, v31, v24
	v_and_b32_e32 v18, 1, v34
	v_add_u32_e32 v24, 1, v24
	v_cmp_eq_u32_e32 vcc, 1, v21
	v_cndmask_b32_e32 v20, v24, v20, vcc
	v_cmp_eq_u32_e32 vcc, 1, v18
	v_cndmask_b32_e32 v1, v20, v1, vcc
	v_lshlrev_b32_e32 v1, 2, v1
	ds_write_b32 v1, v19
	v_sub_u32_e32 v19, v25, v5
	v_sub_u32_e32 v1, v26, v4
	v_add_u32_e32 v19, v19, v2
	v_add_u32_e32 v21, v19, v1
	v_and_b32_e32 v20, 1, v37
	v_sub_u32_e32 v21, v31, v21
	v_and_b32_e32 v18, 1, v36
	v_add_u32_e32 v21, 2, v21
	v_cmp_eq_u32_e32 vcc, 1, v20
	v_cndmask_b32_e32 v19, v21, v19, vcc
	v_cmp_eq_u32_e32 vcc, 1, v18
	v_cndmask_b32_e32 v1, v19, v1, vcc
	v_lshlrev_b32_e32 v1, 2, v1
	v_sub_u32_e32 v18, v28, v5
	ds_write_b32 v1, v16
	v_sub_u32_e32 v1, v27, v4
	v_add_u32_e32 v18, v18, v2
	v_add_u32_e32 v20, v1, v18
	v_and_b32_e32 v19, 1, v38
	v_sub_u32_e32 v20, v31, v20
	v_and_b32_e32 v16, 1, v39
	v_add_u32_e32 v20, 3, v20
	v_cmp_eq_u32_e32 vcc, 1, v19
	v_cndmask_b32_e32 v18, v20, v18, vcc
	v_cmp_eq_u32_e32 vcc, 1, v16
	v_cndmask_b32_e32 v1, v18, v1, vcc
	v_lshlrev_b32_e32 v1, 2, v1
	ds_write_b32 v1, v17
	v_sub_u32_e32 v17, v29, v5
	v_sub_u32_e32 v1, v56, v4
	v_add_u32_e32 v17, v17, v2
	v_add_u32_e32 v19, v1, v17
	v_and_b32_e32 v18, 1, v40
	v_sub_u32_e32 v19, v31, v19
	v_and_b32_e32 v16, 1, v41
	v_add_u32_e32 v19, 4, v19
	;; [unrolled: 28-line block ×3, first 2 shown]
	v_cmp_eq_u32_e32 vcc, 1, v16
	v_cndmask_b32_e32 v15, v17, v15, vcc
	v_cmp_eq_u32_e32 vcc, 1, v14
	v_cndmask_b32_e32 v1, v15, v1, vcc
	v_lshlrev_b32_e32 v1, 2, v1
	v_sub_u32_e32 v14, v65, v5
	ds_write_b32 v1, v12
	v_sub_u32_e32 v1, v64, v4
	v_add_u32_e32 v14, v14, v2
	v_add_u32_e32 v16, v1, v14
	v_and_b32_e32 v15, 1, v46
	v_sub_u32_e32 v16, v31, v16
	v_and_b32_e32 v12, 1, v47
	v_add_u32_e32 v16, 7, v16
	v_cmp_eq_u32_e32 vcc, 1, v15
	v_cndmask_b32_e32 v14, v16, v14, vcc
	v_cmp_eq_u32_e32 vcc, 1, v12
	v_cndmask_b32_e32 v1, v14, v1, vcc
	v_lshlrev_b32_e32 v1, 2, v1
	v_add_u32_e32 v59, v64, v59
	ds_write_b32 v1, v13
	v_sub_u32_e32 v13, v66, v5
	v_sub_u32_e32 v1, v59, v4
	v_add_u32_e32 v13, v13, v2
	v_add_u32_e32 v15, v1, v13
	v_and_b32_e32 v14, 1, v48
	v_sub_u32_e32 v15, v31, v15
	v_and_b32_e32 v12, 1, v49
	v_add_u32_e32 v15, 8, v15
	v_cmp_eq_u32_e32 vcc, 1, v14
	v_cndmask_b32_e32 v13, v15, v13, vcc
	v_cmp_eq_u32_e32 vcc, 1, v12
	v_cndmask_b32_e32 v1, v13, v1, vcc
	v_add_u32_e32 v67, v59, v70
	v_lshlrev_b32_e32 v1, 2, v1
	v_sub_u32_e32 v12, v68, v5
	ds_write_b32 v1, v10
	v_sub_u32_e32 v1, v67, v4
	v_add_u32_e32 v12, v12, v2
	v_add_u32_e32 v14, v1, v12
	v_and_b32_e32 v13, 1, v50
	v_sub_u32_e32 v14, v31, v14
	v_and_b32_e32 v10, 1, v51
	v_add_u32_e32 v14, 9, v14
	v_cmp_eq_u32_e32 vcc, 1, v13
	v_cndmask_b32_e32 v12, v14, v12, vcc
	v_cmp_eq_u32_e32 vcc, 1, v10
	v_cndmask_b32_e32 v1, v12, v1, vcc
	v_lshlrev_b32_e32 v1, 2, v1
	v_add_u32_e32 v60, v67, v60
	ds_write_b32 v1, v11
	v_sub_u32_e32 v11, v69, v5
	v_sub_u32_e32 v1, v60, v4
	v_add_u32_e32 v11, v11, v2
	v_add_u32_e32 v13, v1, v11
	v_and_b32_e32 v12, 1, v52
	v_sub_u32_e32 v13, v31, v13
	v_and_b32_e32 v10, 1, v53
	v_add_u32_e32 v13, 10, v13
	v_cmp_eq_u32_e32 vcc, 1, v12
	v_cndmask_b32_e32 v11, v13, v11, vcc
	v_cmp_eq_u32_e32 vcc, 1, v10
	v_cndmask_b32_e32 v1, v11, v1, vcc
	v_add_u32_e32 v70, v60, v72
	v_lshlrev_b32_e32 v1, 2, v1
	v_sub_u32_e32 v10, v71, v5
	ds_write_b32 v1, v8
	v_sub_u32_e32 v1, v70, v4
	v_add_u32_e32 v10, v10, v2
	v_add_u32_e32 v12, v1, v10
	v_and_b32_e32 v11, 1, v54
	v_sub_u32_e32 v12, v31, v12
	v_and_b32_e32 v8, 1, v55
	v_add_u32_e32 v12, 11, v12
	v_cmp_eq_u32_e32 vcc, 1, v11
	v_cndmask_b32_e32 v10, v12, v10, vcc
	v_cmp_eq_u32_e32 vcc, 1, v8
	v_cndmask_b32_e32 v1, v10, v1, vcc
	v_add_u32_e32 v72, v71, v79
	v_add_u32_e32 v61, v70, v61
	v_lshlrev_b32_e32 v1, 2, v1
	ds_write_b32 v1, v9
	v_sub_u32_e32 v1, v61, v4
	v_sub_u32_e32 v4, v72, v5
	v_add_u32_e32 v4, v4, v2
	v_add_u32_e32 v8, v1, v4
	v_sub_u32_e32 v8, v31, v8
	v_add_u32_e32 v8, 12, v8
	v_cndmask_b32_e64 v4, v8, v4, s[58:59]
	v_cndmask_b32_e64 v1, v4, v1, s[46:47]
	v_lshlrev_b32_e32 v1, 2, v1
	ds_write_b32 v1, v30
	v_add_co_u32_e32 v1, vcc, v3, v73
	v_addc_co_u32_e64 v4, s[2:3], 0, 0, vcc
	v_add_co_u32_e32 v1, vcc, v1, v22
	v_addc_co_u32_e32 v4, vcc, v4, v23, vcc
	s_add_u32 s4, s56, s33
	v_add_co_u32_e32 v1, vcc, v1, v6
	s_addc_u32 s5, s57, 0
	v_addc_co_u32_e32 v4, vcc, v4, v7, vcc
	v_mov_b32_e32 v8, s5
	v_sub_co_u32_e32 v1, vcc, s4, v1
	v_subb_co_u32_e32 v4, vcc, v8, v4, vcc
	v_lshlrev_b64 v[8:9], 2, v[22:23]
	v_mov_b32_e32 v10, s55
	v_add_co_u32_e32 v8, vcc, s54, v8
	v_addc_co_u32_e32 v9, vcc, v10, v9, vcc
	v_lshlrev_b64 v[10:11], 2, v[6:7]
	v_mov_b32_e32 v13, s53
	v_add_co_u32_e32 v10, vcc, s52, v10
	s_add_u32 s6, s34, -4
	v_addc_co_u32_e32 v11, vcc, v13, v11, vcc
	s_addc_u32 s7, s35, -1
	v_add_u32_e32 v12, v2, v3
	s_and_b64 vcc, exec, s[0:1]
	s_mov_b64 s[0:1], -1
	s_waitcnt lgkmcnt(0)
	s_barrier
	s_cbranch_vccz .LBB2001_133
; %bb.130:
	s_and_b64 vcc, exec, s[0:1]
	s_cbranch_vccnz .LBB2001_238
.LBB2001_131:
	v_cmp_eq_u32_e32 vcc, 0, v0
	s_and_b64 s[0:1], vcc, s[30:31]
	s_and_saveexec_b64 s[2:3], s[0:1]
	s_cbranch_execnz .LBB2001_356
.LBB2001_132:
	s_endpgm
.LBB2001_133:
	v_cmp_le_u32_e32 vcc, v2, v0
	s_and_saveexec_b64 s[0:1], vcc
	s_xor_b64 s[0:1], exec, s[0:1]
	s_cbranch_execz .LBB2001_139
; %bb.134:
	v_cmp_le_u32_e32 vcc, v12, v0
	s_and_saveexec_b64 s[2:3], vcc
	s_xor_b64 s[2:3], exec, s[2:3]
	s_cbranch_execz .LBB2001_136
; %bb.135:
	v_lshlrev_b32_e32 v13, 2, v0
	v_add_co_u32_e32 v14, vcc, v1, v0
	ds_read_b32 v13, v13
	v_addc_co_u32_e32 v15, vcc, 0, v4, vcc
	v_lshlrev_b64 v[14:15], 2, v[14:15]
	v_mov_b32_e32 v16, s35
	v_sub_co_u32_e32 v14, vcc, s34, v14
	v_subb_co_u32_e32 v15, vcc, v16, v15, vcc
	s_waitcnt lgkmcnt(0)
	global_store_dword v[14:15], v13, off offset:-4
.LBB2001_136:
	s_andn2_saveexec_b64 s[2:3], s[2:3]
	s_cbranch_execz .LBB2001_138
; %bb.137:
	v_lshlrev_b32_e32 v13, 2, v0
	ds_read_b32 v14, v13
	v_readfirstlane_b32 s4, v8
	v_readfirstlane_b32 s5, v9
	s_waitcnt lgkmcnt(0)
	s_nop 3
	global_store_dword v13, v14, s[4:5]
.LBB2001_138:
	s_or_b64 exec, exec, s[2:3]
.LBB2001_139:
	s_andn2_saveexec_b64 s[0:1], s[0:1]
	s_cbranch_execz .LBB2001_141
; %bb.140:
	v_lshlrev_b32_e32 v13, 2, v0
	ds_read_b32 v14, v13
	v_readfirstlane_b32 s2, v10
	v_readfirstlane_b32 s3, v11
	s_waitcnt lgkmcnt(0)
	s_nop 3
	global_store_dword v13, v14, s[2:3]
.LBB2001_141:
	s_or_b64 exec, exec, s[0:1]
	v_or_b32_e32 v13, 0x100, v0
	v_cmp_le_u32_e32 vcc, v2, v13
	s_and_saveexec_b64 s[0:1], vcc
	s_xor_b64 s[0:1], exec, s[0:1]
	s_cbranch_execz .LBB2001_147
; %bb.142:
	v_cmp_le_u32_e32 vcc, v12, v13
	s_and_saveexec_b64 s[2:3], vcc
	s_xor_b64 s[2:3], exec, s[2:3]
	s_cbranch_execz .LBB2001_144
; %bb.143:
	v_lshlrev_b32_e32 v13, 2, v0
	ds_read_b32 v13, v13 offset:1024
	v_add_co_u32_e32 v14, vcc, v1, v0
	v_addc_co_u32_e32 v15, vcc, 0, v4, vcc
	v_lshlrev_b64 v[14:15], 2, v[14:15]
	v_mov_b32_e32 v16, s7
	v_sub_co_u32_e32 v14, vcc, s6, v14
	v_subb_co_u32_e32 v15, vcc, v16, v15, vcc
	s_waitcnt lgkmcnt(0)
	global_store_dword v[14:15], v13, off offset:-1024
.LBB2001_144:
	s_andn2_saveexec_b64 s[2:3], s[2:3]
	s_cbranch_execz .LBB2001_146
; %bb.145:
	v_lshlrev_b32_e32 v13, 2, v0
	ds_read_b32 v14, v13 offset:1024
	v_readfirstlane_b32 s4, v8
	v_readfirstlane_b32 s5, v9
	s_waitcnt lgkmcnt(0)
	s_nop 3
	global_store_dword v13, v14, s[4:5] offset:1024
.LBB2001_146:
	s_or_b64 exec, exec, s[2:3]
.LBB2001_147:
	s_andn2_saveexec_b64 s[0:1], s[0:1]
	s_cbranch_execz .LBB2001_149
; %bb.148:
	v_lshlrev_b32_e32 v13, 2, v0
	ds_read_b32 v14, v13 offset:1024
	v_readfirstlane_b32 s2, v10
	v_readfirstlane_b32 s3, v11
	s_waitcnt lgkmcnt(0)
	s_nop 3
	global_store_dword v13, v14, s[2:3] offset:1024
.LBB2001_149:
	s_or_b64 exec, exec, s[0:1]
	v_or_b32_e32 v13, 0x200, v0
	v_cmp_le_u32_e32 vcc, v2, v13
	s_and_saveexec_b64 s[0:1], vcc
	s_xor_b64 s[0:1], exec, s[0:1]
	s_cbranch_execz .LBB2001_155
; %bb.150:
	v_cmp_le_u32_e32 vcc, v12, v13
	s_and_saveexec_b64 s[2:3], vcc
	s_xor_b64 s[2:3], exec, s[2:3]
	s_cbranch_execz .LBB2001_152
; %bb.151:
	v_lshlrev_b32_e32 v13, 2, v0
	ds_read_b32 v13, v13 offset:2048
	v_add_co_u32_e32 v14, vcc, v1, v0
	v_addc_co_u32_e32 v15, vcc, 0, v4, vcc
	v_lshlrev_b64 v[14:15], 2, v[14:15]
	v_mov_b32_e32 v16, s7
	v_sub_co_u32_e32 v14, vcc, s6, v14
	v_subb_co_u32_e32 v15, vcc, v16, v15, vcc
	s_waitcnt lgkmcnt(0)
	global_store_dword v[14:15], v13, off offset:-2048
.LBB2001_152:
	s_andn2_saveexec_b64 s[2:3], s[2:3]
	s_cbranch_execz .LBB2001_154
; %bb.153:
	v_lshlrev_b32_e32 v13, 2, v0
	ds_read_b32 v14, v13 offset:2048
	v_readfirstlane_b32 s4, v8
	v_readfirstlane_b32 s5, v9
	s_waitcnt lgkmcnt(0)
	s_nop 3
	global_store_dword v13, v14, s[4:5] offset:2048
.LBB2001_154:
	s_or_b64 exec, exec, s[2:3]
.LBB2001_155:
	s_andn2_saveexec_b64 s[0:1], s[0:1]
	s_cbranch_execz .LBB2001_157
; %bb.156:
	v_lshlrev_b32_e32 v13, 2, v0
	ds_read_b32 v14, v13 offset:2048
	v_readfirstlane_b32 s2, v10
	v_readfirstlane_b32 s3, v11
	s_waitcnt lgkmcnt(0)
	s_nop 3
	global_store_dword v13, v14, s[2:3] offset:2048
.LBB2001_157:
	s_or_b64 exec, exec, s[0:1]
	v_or_b32_e32 v13, 0x300, v0
	v_cmp_le_u32_e32 vcc, v2, v13
	s_and_saveexec_b64 s[0:1], vcc
	s_xor_b64 s[0:1], exec, s[0:1]
	s_cbranch_execz .LBB2001_163
; %bb.158:
	v_cmp_le_u32_e32 vcc, v12, v13
	s_and_saveexec_b64 s[2:3], vcc
	s_xor_b64 s[2:3], exec, s[2:3]
	s_cbranch_execz .LBB2001_160
; %bb.159:
	v_lshlrev_b32_e32 v13, 2, v0
	ds_read_b32 v13, v13 offset:3072
	v_add_co_u32_e32 v14, vcc, v1, v0
	v_addc_co_u32_e32 v15, vcc, 0, v4, vcc
	v_lshlrev_b64 v[14:15], 2, v[14:15]
	v_mov_b32_e32 v16, s7
	v_sub_co_u32_e32 v14, vcc, s6, v14
	v_subb_co_u32_e32 v15, vcc, v16, v15, vcc
	s_waitcnt lgkmcnt(0)
	global_store_dword v[14:15], v13, off offset:-3072
.LBB2001_160:
	s_andn2_saveexec_b64 s[2:3], s[2:3]
	s_cbranch_execz .LBB2001_162
; %bb.161:
	v_lshlrev_b32_e32 v13, 2, v0
	ds_read_b32 v14, v13 offset:3072
	v_readfirstlane_b32 s4, v8
	v_readfirstlane_b32 s5, v9
	s_waitcnt lgkmcnt(0)
	s_nop 3
	global_store_dword v13, v14, s[4:5] offset:3072
.LBB2001_162:
	s_or_b64 exec, exec, s[2:3]
.LBB2001_163:
	s_andn2_saveexec_b64 s[0:1], s[0:1]
	s_cbranch_execz .LBB2001_165
; %bb.164:
	v_lshlrev_b32_e32 v13, 2, v0
	ds_read_b32 v14, v13 offset:3072
	v_readfirstlane_b32 s2, v10
	v_readfirstlane_b32 s3, v11
	s_waitcnt lgkmcnt(0)
	s_nop 3
	global_store_dword v13, v14, s[2:3] offset:3072
.LBB2001_165:
	s_or_b64 exec, exec, s[0:1]
	v_or_b32_e32 v13, 0x400, v0
	v_cmp_le_u32_e32 vcc, v2, v13
	s_and_saveexec_b64 s[0:1], vcc
	s_xor_b64 s[0:1], exec, s[0:1]
	s_cbranch_execz .LBB2001_171
; %bb.166:
	v_cmp_le_u32_e32 vcc, v12, v13
	s_and_saveexec_b64 s[2:3], vcc
	s_xor_b64 s[2:3], exec, s[2:3]
	s_cbranch_execz .LBB2001_168
; %bb.167:
	v_lshlrev_b32_e32 v13, 2, v0
	ds_read_b32 v13, v13 offset:4096
	v_add_co_u32_e32 v14, vcc, v1, v0
	v_addc_co_u32_e32 v15, vcc, 0, v4, vcc
	v_lshlrev_b64 v[14:15], 2, v[14:15]
	v_mov_b32_e32 v16, s7
	v_sub_co_u32_e32 v14, vcc, s6, v14
	v_subb_co_u32_e32 v15, vcc, v16, v15, vcc
	s_waitcnt lgkmcnt(0)
	global_store_dword v[14:15], v13, off offset:-4096
                                        ; implicit-def: $vgpr13
.LBB2001_168:
	s_andn2_saveexec_b64 s[2:3], s[2:3]
	s_cbranch_execz .LBB2001_170
; %bb.169:
	v_lshlrev_b32_e32 v14, 2, v0
	ds_read_b32 v14, v14 offset:4096
	v_lshlrev_b32_e32 v13, 2, v13
	v_readfirstlane_b32 s4, v8
	v_readfirstlane_b32 s5, v9
	s_waitcnt lgkmcnt(0)
	s_nop 3
	global_store_dword v13, v14, s[4:5]
.LBB2001_170:
	s_or_b64 exec, exec, s[2:3]
                                        ; implicit-def: $vgpr13
.LBB2001_171:
	s_andn2_saveexec_b64 s[0:1], s[0:1]
	s_cbranch_execz .LBB2001_173
; %bb.172:
	v_lshlrev_b32_e32 v14, 2, v0
	ds_read_b32 v14, v14 offset:4096
	v_lshlrev_b32_e32 v13, 2, v13
	v_readfirstlane_b32 s2, v10
	v_readfirstlane_b32 s3, v11
	s_waitcnt lgkmcnt(0)
	s_nop 3
	global_store_dword v13, v14, s[2:3]
.LBB2001_173:
	s_or_b64 exec, exec, s[0:1]
	v_or_b32_e32 v13, 0x500, v0
	v_cmp_le_u32_e32 vcc, v2, v13
	s_and_saveexec_b64 s[0:1], vcc
	s_xor_b64 s[0:1], exec, s[0:1]
	s_cbranch_execz .LBB2001_179
; %bb.174:
	v_cmp_le_u32_e32 vcc, v12, v13
	s_and_saveexec_b64 s[2:3], vcc
	s_xor_b64 s[2:3], exec, s[2:3]
	s_cbranch_execz .LBB2001_176
; %bb.175:
	v_add_co_u32_e32 v14, vcc, v1, v13
	v_lshlrev_b32_e32 v13, 2, v0
	ds_read_b32 v13, v13 offset:5120
	v_addc_co_u32_e32 v15, vcc, 0, v4, vcc
	v_lshlrev_b64 v[14:15], 2, v[14:15]
	v_mov_b32_e32 v16, s7
	v_sub_co_u32_e32 v14, vcc, s6, v14
	v_subb_co_u32_e32 v15, vcc, v16, v15, vcc
	s_waitcnt lgkmcnt(0)
	global_store_dword v[14:15], v13, off
                                        ; implicit-def: $vgpr13
.LBB2001_176:
	s_andn2_saveexec_b64 s[2:3], s[2:3]
	s_cbranch_execz .LBB2001_178
; %bb.177:
	v_lshlrev_b32_e32 v14, 2, v0
	ds_read_b32 v14, v14 offset:5120
	v_lshlrev_b32_e32 v13, 2, v13
	v_readfirstlane_b32 s4, v8
	v_readfirstlane_b32 s5, v9
	s_waitcnt lgkmcnt(0)
	s_nop 3
	global_store_dword v13, v14, s[4:5]
.LBB2001_178:
	s_or_b64 exec, exec, s[2:3]
                                        ; implicit-def: $vgpr13
.LBB2001_179:
	s_andn2_saveexec_b64 s[0:1], s[0:1]
	s_cbranch_execz .LBB2001_181
; %bb.180:
	v_lshlrev_b32_e32 v14, 2, v0
	ds_read_b32 v14, v14 offset:5120
	v_lshlrev_b32_e32 v13, 2, v13
	v_readfirstlane_b32 s2, v10
	v_readfirstlane_b32 s3, v11
	s_waitcnt lgkmcnt(0)
	s_nop 3
	global_store_dword v13, v14, s[2:3]
.LBB2001_181:
	s_or_b64 exec, exec, s[0:1]
	v_or_b32_e32 v13, 0x600, v0
	v_cmp_le_u32_e32 vcc, v2, v13
	s_and_saveexec_b64 s[0:1], vcc
	s_xor_b64 s[0:1], exec, s[0:1]
	s_cbranch_execz .LBB2001_187
; %bb.182:
	v_cmp_le_u32_e32 vcc, v12, v13
	s_and_saveexec_b64 s[2:3], vcc
	s_xor_b64 s[2:3], exec, s[2:3]
	s_cbranch_execz .LBB2001_184
; %bb.183:
	v_add_co_u32_e32 v14, vcc, v1, v13
	v_lshlrev_b32_e32 v13, 2, v0
	ds_read_b32 v13, v13 offset:6144
	v_addc_co_u32_e32 v15, vcc, 0, v4, vcc
	v_lshlrev_b64 v[14:15], 2, v[14:15]
	v_mov_b32_e32 v16, s7
	v_sub_co_u32_e32 v14, vcc, s6, v14
	v_subb_co_u32_e32 v15, vcc, v16, v15, vcc
	s_waitcnt lgkmcnt(0)
	global_store_dword v[14:15], v13, off
                                        ; implicit-def: $vgpr13
.LBB2001_184:
	s_andn2_saveexec_b64 s[2:3], s[2:3]
	s_cbranch_execz .LBB2001_186
; %bb.185:
	v_lshlrev_b32_e32 v14, 2, v0
	ds_read_b32 v14, v14 offset:6144
	v_lshlrev_b32_e32 v13, 2, v13
	v_readfirstlane_b32 s4, v8
	v_readfirstlane_b32 s5, v9
	s_waitcnt lgkmcnt(0)
	s_nop 3
	global_store_dword v13, v14, s[4:5]
.LBB2001_186:
	s_or_b64 exec, exec, s[2:3]
                                        ; implicit-def: $vgpr13
.LBB2001_187:
	s_andn2_saveexec_b64 s[0:1], s[0:1]
	s_cbranch_execz .LBB2001_189
; %bb.188:
	v_lshlrev_b32_e32 v14, 2, v0
	ds_read_b32 v14, v14 offset:6144
	v_lshlrev_b32_e32 v13, 2, v13
	v_readfirstlane_b32 s2, v10
	v_readfirstlane_b32 s3, v11
	s_waitcnt lgkmcnt(0)
	s_nop 3
	global_store_dword v13, v14, s[2:3]
.LBB2001_189:
	s_or_b64 exec, exec, s[0:1]
	v_or_b32_e32 v13, 0x700, v0
	v_cmp_le_u32_e32 vcc, v2, v13
	s_and_saveexec_b64 s[0:1], vcc
	s_xor_b64 s[0:1], exec, s[0:1]
	s_cbranch_execz .LBB2001_195
; %bb.190:
	v_cmp_le_u32_e32 vcc, v12, v13
	s_and_saveexec_b64 s[2:3], vcc
	s_xor_b64 s[2:3], exec, s[2:3]
	s_cbranch_execz .LBB2001_192
; %bb.191:
	v_add_co_u32_e32 v14, vcc, v1, v13
	v_lshlrev_b32_e32 v13, 2, v0
	ds_read_b32 v13, v13 offset:7168
	v_addc_co_u32_e32 v15, vcc, 0, v4, vcc
	v_lshlrev_b64 v[14:15], 2, v[14:15]
	v_mov_b32_e32 v16, s7
	v_sub_co_u32_e32 v14, vcc, s6, v14
	v_subb_co_u32_e32 v15, vcc, v16, v15, vcc
	s_waitcnt lgkmcnt(0)
	global_store_dword v[14:15], v13, off
                                        ; implicit-def: $vgpr13
.LBB2001_192:
	s_andn2_saveexec_b64 s[2:3], s[2:3]
	s_cbranch_execz .LBB2001_194
; %bb.193:
	v_lshlrev_b32_e32 v14, 2, v0
	ds_read_b32 v14, v14 offset:7168
	v_lshlrev_b32_e32 v13, 2, v13
	v_readfirstlane_b32 s4, v8
	v_readfirstlane_b32 s5, v9
	s_waitcnt lgkmcnt(0)
	s_nop 3
	global_store_dword v13, v14, s[4:5]
.LBB2001_194:
	s_or_b64 exec, exec, s[2:3]
                                        ; implicit-def: $vgpr13
.LBB2001_195:
	s_andn2_saveexec_b64 s[0:1], s[0:1]
	s_cbranch_execz .LBB2001_197
; %bb.196:
	v_lshlrev_b32_e32 v14, 2, v0
	ds_read_b32 v14, v14 offset:7168
	v_lshlrev_b32_e32 v13, 2, v13
	v_readfirstlane_b32 s2, v10
	v_readfirstlane_b32 s3, v11
	s_waitcnt lgkmcnt(0)
	s_nop 3
	global_store_dword v13, v14, s[2:3]
.LBB2001_197:
	s_or_b64 exec, exec, s[0:1]
	v_or_b32_e32 v13, 0x800, v0
	v_cmp_le_u32_e32 vcc, v2, v13
	s_and_saveexec_b64 s[0:1], vcc
	s_xor_b64 s[0:1], exec, s[0:1]
	s_cbranch_execz .LBB2001_203
; %bb.198:
	v_cmp_le_u32_e32 vcc, v12, v13
	s_and_saveexec_b64 s[2:3], vcc
	s_xor_b64 s[2:3], exec, s[2:3]
	s_cbranch_execz .LBB2001_200
; %bb.199:
	v_add_co_u32_e32 v14, vcc, v1, v13
	v_lshlrev_b32_e32 v13, 2, v0
	ds_read_b32 v13, v13 offset:8192
	v_addc_co_u32_e32 v15, vcc, 0, v4, vcc
	v_lshlrev_b64 v[14:15], 2, v[14:15]
	v_mov_b32_e32 v16, s7
	v_sub_co_u32_e32 v14, vcc, s6, v14
	v_subb_co_u32_e32 v15, vcc, v16, v15, vcc
	s_waitcnt lgkmcnt(0)
	global_store_dword v[14:15], v13, off
                                        ; implicit-def: $vgpr13
.LBB2001_200:
	s_andn2_saveexec_b64 s[2:3], s[2:3]
	s_cbranch_execz .LBB2001_202
; %bb.201:
	v_lshlrev_b32_e32 v14, 2, v0
	ds_read_b32 v14, v14 offset:8192
	v_lshlrev_b32_e32 v13, 2, v13
	v_readfirstlane_b32 s4, v8
	v_readfirstlane_b32 s5, v9
	s_waitcnt lgkmcnt(0)
	s_nop 3
	global_store_dword v13, v14, s[4:5]
.LBB2001_202:
	s_or_b64 exec, exec, s[2:3]
                                        ; implicit-def: $vgpr13
.LBB2001_203:
	s_andn2_saveexec_b64 s[0:1], s[0:1]
	s_cbranch_execz .LBB2001_205
; %bb.204:
	v_lshlrev_b32_e32 v14, 2, v0
	ds_read_b32 v14, v14 offset:8192
	v_lshlrev_b32_e32 v13, 2, v13
	v_readfirstlane_b32 s2, v10
	v_readfirstlane_b32 s3, v11
	s_waitcnt lgkmcnt(0)
	s_nop 3
	global_store_dword v13, v14, s[2:3]
.LBB2001_205:
	s_or_b64 exec, exec, s[0:1]
	v_or_b32_e32 v13, 0x900, v0
	v_cmp_le_u32_e32 vcc, v2, v13
	s_and_saveexec_b64 s[0:1], vcc
	s_xor_b64 s[0:1], exec, s[0:1]
	s_cbranch_execz .LBB2001_211
; %bb.206:
	v_cmp_le_u32_e32 vcc, v12, v13
	s_and_saveexec_b64 s[2:3], vcc
	s_xor_b64 s[2:3], exec, s[2:3]
	s_cbranch_execz .LBB2001_208
; %bb.207:
	v_add_co_u32_e32 v14, vcc, v1, v13
	v_lshlrev_b32_e32 v13, 2, v0
	ds_read_b32 v13, v13 offset:9216
	v_addc_co_u32_e32 v15, vcc, 0, v4, vcc
	v_lshlrev_b64 v[14:15], 2, v[14:15]
	v_mov_b32_e32 v16, s7
	v_sub_co_u32_e32 v14, vcc, s6, v14
	v_subb_co_u32_e32 v15, vcc, v16, v15, vcc
	s_waitcnt lgkmcnt(0)
	global_store_dword v[14:15], v13, off
                                        ; implicit-def: $vgpr13
.LBB2001_208:
	s_andn2_saveexec_b64 s[2:3], s[2:3]
	s_cbranch_execz .LBB2001_210
; %bb.209:
	v_lshlrev_b32_e32 v14, 2, v0
	ds_read_b32 v14, v14 offset:9216
	v_lshlrev_b32_e32 v13, 2, v13
	v_readfirstlane_b32 s4, v8
	v_readfirstlane_b32 s5, v9
	s_waitcnt lgkmcnt(0)
	s_nop 3
	global_store_dword v13, v14, s[4:5]
.LBB2001_210:
	s_or_b64 exec, exec, s[2:3]
                                        ; implicit-def: $vgpr13
.LBB2001_211:
	s_andn2_saveexec_b64 s[0:1], s[0:1]
	s_cbranch_execz .LBB2001_213
; %bb.212:
	v_lshlrev_b32_e32 v14, 2, v0
	ds_read_b32 v14, v14 offset:9216
	v_lshlrev_b32_e32 v13, 2, v13
	v_readfirstlane_b32 s2, v10
	v_readfirstlane_b32 s3, v11
	s_waitcnt lgkmcnt(0)
	s_nop 3
	global_store_dword v13, v14, s[2:3]
.LBB2001_213:
	s_or_b64 exec, exec, s[0:1]
	v_or_b32_e32 v13, 0xa00, v0
	v_cmp_le_u32_e32 vcc, v2, v13
	s_and_saveexec_b64 s[0:1], vcc
	s_xor_b64 s[0:1], exec, s[0:1]
	s_cbranch_execz .LBB2001_219
; %bb.214:
	v_cmp_le_u32_e32 vcc, v12, v13
	s_and_saveexec_b64 s[2:3], vcc
	s_xor_b64 s[2:3], exec, s[2:3]
	s_cbranch_execz .LBB2001_216
; %bb.215:
	v_add_co_u32_e32 v14, vcc, v1, v13
	v_lshlrev_b32_e32 v13, 2, v0
	ds_read_b32 v13, v13 offset:10240
	v_addc_co_u32_e32 v15, vcc, 0, v4, vcc
	v_lshlrev_b64 v[14:15], 2, v[14:15]
	v_mov_b32_e32 v16, s7
	v_sub_co_u32_e32 v14, vcc, s6, v14
	v_subb_co_u32_e32 v15, vcc, v16, v15, vcc
	s_waitcnt lgkmcnt(0)
	global_store_dword v[14:15], v13, off
                                        ; implicit-def: $vgpr13
.LBB2001_216:
	s_andn2_saveexec_b64 s[2:3], s[2:3]
	s_cbranch_execz .LBB2001_218
; %bb.217:
	v_lshlrev_b32_e32 v14, 2, v0
	ds_read_b32 v14, v14 offset:10240
	v_lshlrev_b32_e32 v13, 2, v13
	v_readfirstlane_b32 s4, v8
	v_readfirstlane_b32 s5, v9
	s_waitcnt lgkmcnt(0)
	s_nop 3
	global_store_dword v13, v14, s[4:5]
.LBB2001_218:
	s_or_b64 exec, exec, s[2:3]
                                        ; implicit-def: $vgpr13
.LBB2001_219:
	s_andn2_saveexec_b64 s[0:1], s[0:1]
	s_cbranch_execz .LBB2001_221
; %bb.220:
	v_lshlrev_b32_e32 v14, 2, v0
	ds_read_b32 v14, v14 offset:10240
	v_lshlrev_b32_e32 v13, 2, v13
	v_readfirstlane_b32 s2, v10
	v_readfirstlane_b32 s3, v11
	s_waitcnt lgkmcnt(0)
	s_nop 3
	global_store_dword v13, v14, s[2:3]
.LBB2001_221:
	s_or_b64 exec, exec, s[0:1]
	v_or_b32_e32 v13, 0xb00, v0
	v_cmp_le_u32_e32 vcc, v2, v13
	s_and_saveexec_b64 s[0:1], vcc
	s_xor_b64 s[0:1], exec, s[0:1]
	s_cbranch_execz .LBB2001_227
; %bb.222:
	v_cmp_le_u32_e32 vcc, v12, v13
	s_and_saveexec_b64 s[2:3], vcc
	s_xor_b64 s[2:3], exec, s[2:3]
	s_cbranch_execz .LBB2001_224
; %bb.223:
	v_add_co_u32_e32 v14, vcc, v1, v13
	v_lshlrev_b32_e32 v13, 2, v0
	ds_read_b32 v13, v13 offset:11264
	v_addc_co_u32_e32 v15, vcc, 0, v4, vcc
	v_lshlrev_b64 v[14:15], 2, v[14:15]
	v_mov_b32_e32 v16, s7
	v_sub_co_u32_e32 v14, vcc, s6, v14
	v_subb_co_u32_e32 v15, vcc, v16, v15, vcc
	s_waitcnt lgkmcnt(0)
	global_store_dword v[14:15], v13, off
                                        ; implicit-def: $vgpr13
.LBB2001_224:
	s_andn2_saveexec_b64 s[2:3], s[2:3]
	s_cbranch_execz .LBB2001_226
; %bb.225:
	v_lshlrev_b32_e32 v14, 2, v0
	ds_read_b32 v14, v14 offset:11264
	v_lshlrev_b32_e32 v13, 2, v13
	v_readfirstlane_b32 s4, v8
	v_readfirstlane_b32 s5, v9
	s_waitcnt lgkmcnt(0)
	s_nop 3
	global_store_dword v13, v14, s[4:5]
.LBB2001_226:
	s_or_b64 exec, exec, s[2:3]
                                        ; implicit-def: $vgpr13
.LBB2001_227:
	s_andn2_saveexec_b64 s[0:1], s[0:1]
	s_cbranch_execz .LBB2001_229
; %bb.228:
	v_lshlrev_b32_e32 v14, 2, v0
	ds_read_b32 v14, v14 offset:11264
	v_lshlrev_b32_e32 v13, 2, v13
	v_readfirstlane_b32 s2, v10
	v_readfirstlane_b32 s3, v11
	s_waitcnt lgkmcnt(0)
	s_nop 3
	global_store_dword v13, v14, s[2:3]
.LBB2001_229:
	s_or_b64 exec, exec, s[0:1]
	v_or_b32_e32 v13, 0xc00, v0
	v_cmp_le_u32_e32 vcc, v2, v13
	s_and_saveexec_b64 s[0:1], vcc
	s_xor_b64 s[0:1], exec, s[0:1]
	s_cbranch_execz .LBB2001_235
; %bb.230:
	v_cmp_le_u32_e32 vcc, v12, v13
	s_and_saveexec_b64 s[2:3], vcc
	s_xor_b64 s[2:3], exec, s[2:3]
	s_cbranch_execz .LBB2001_232
; %bb.231:
	v_add_co_u32_e32 v14, vcc, v1, v13
	v_lshlrev_b32_e32 v13, 2, v0
	ds_read_b32 v13, v13 offset:12288
	v_addc_co_u32_e32 v15, vcc, 0, v4, vcc
	v_lshlrev_b64 v[14:15], 2, v[14:15]
	v_mov_b32_e32 v16, s7
	v_sub_co_u32_e32 v14, vcc, s6, v14
	v_subb_co_u32_e32 v15, vcc, v16, v15, vcc
	s_waitcnt lgkmcnt(0)
	global_store_dword v[14:15], v13, off
                                        ; implicit-def: $vgpr13
.LBB2001_232:
	s_andn2_saveexec_b64 s[2:3], s[2:3]
	s_cbranch_execz .LBB2001_234
; %bb.233:
	v_lshlrev_b32_e32 v14, 2, v0
	ds_read_b32 v14, v14 offset:12288
	v_lshlrev_b32_e32 v13, 2, v13
	v_readfirstlane_b32 s4, v8
	v_readfirstlane_b32 s5, v9
	s_waitcnt lgkmcnt(0)
	s_nop 3
	global_store_dword v13, v14, s[4:5]
.LBB2001_234:
	s_or_b64 exec, exec, s[2:3]
                                        ; implicit-def: $vgpr13
.LBB2001_235:
	s_andn2_saveexec_b64 s[0:1], s[0:1]
	s_cbranch_execz .LBB2001_237
; %bb.236:
	v_lshlrev_b32_e32 v14, 2, v0
	ds_read_b32 v14, v14 offset:12288
	v_lshlrev_b32_e32 v13, 2, v13
	v_readfirstlane_b32 s2, v10
	v_readfirstlane_b32 s3, v11
	s_waitcnt lgkmcnt(0)
	s_nop 3
	global_store_dword v13, v14, s[2:3]
.LBB2001_237:
	s_or_b64 exec, exec, s[0:1]
	s_branch .LBB2001_131
.LBB2001_238:
	v_cmp_gt_u32_e32 vcc, s18, v0
	s_and_saveexec_b64 s[0:1], vcc
	s_cbranch_execz .LBB2001_247
; %bb.239:
	v_cmp_le_u32_e32 vcc, v2, v0
	s_and_saveexec_b64 s[2:3], vcc
	s_xor_b64 s[2:3], exec, s[2:3]
	s_cbranch_execz .LBB2001_245
; %bb.240:
	v_cmp_le_u32_e32 vcc, v12, v0
	s_and_saveexec_b64 s[4:5], vcc
	s_xor_b64 s[4:5], exec, s[4:5]
	s_cbranch_execz .LBB2001_242
; %bb.241:
	v_lshlrev_b32_e32 v13, 2, v0
	v_add_co_u32_e32 v14, vcc, v1, v0
	ds_read_b32 v13, v13
	v_addc_co_u32_e32 v15, vcc, 0, v4, vcc
	v_lshlrev_b64 v[14:15], 2, v[14:15]
	v_mov_b32_e32 v16, s35
	v_sub_co_u32_e32 v14, vcc, s34, v14
	v_subb_co_u32_e32 v15, vcc, v16, v15, vcc
	s_waitcnt lgkmcnt(0)
	global_store_dword v[14:15], v13, off offset:-4
.LBB2001_242:
	s_andn2_saveexec_b64 s[4:5], s[4:5]
	s_cbranch_execz .LBB2001_244
; %bb.243:
	v_lshlrev_b32_e32 v13, 2, v0
	ds_read_b32 v14, v13
	v_readfirstlane_b32 s8, v8
	v_readfirstlane_b32 s9, v9
	s_waitcnt lgkmcnt(0)
	s_nop 3
	global_store_dword v13, v14, s[8:9]
.LBB2001_244:
	s_or_b64 exec, exec, s[4:5]
.LBB2001_245:
	s_andn2_saveexec_b64 s[2:3], s[2:3]
	s_cbranch_execz .LBB2001_247
; %bb.246:
	v_lshlrev_b32_e32 v13, 2, v0
	ds_read_b32 v14, v13
	v_readfirstlane_b32 s2, v10
	v_readfirstlane_b32 s3, v11
	s_waitcnt lgkmcnt(0)
	s_nop 3
	global_store_dword v13, v14, s[2:3]
.LBB2001_247:
	s_or_b64 exec, exec, s[0:1]
	v_or_b32_e32 v13, 0x100, v0
	v_cmp_gt_u32_e32 vcc, s18, v13
	s_and_saveexec_b64 s[0:1], vcc
	s_cbranch_execz .LBB2001_256
; %bb.248:
	v_cmp_le_u32_e32 vcc, v2, v13
	s_and_saveexec_b64 s[2:3], vcc
	s_xor_b64 s[2:3], exec, s[2:3]
	s_cbranch_execz .LBB2001_254
; %bb.249:
	v_cmp_le_u32_e32 vcc, v12, v13
	s_and_saveexec_b64 s[4:5], vcc
	s_xor_b64 s[4:5], exec, s[4:5]
	s_cbranch_execz .LBB2001_251
; %bb.250:
	v_lshlrev_b32_e32 v13, 2, v0
	ds_read_b32 v13, v13 offset:1024
	v_add_co_u32_e32 v14, vcc, v1, v0
	v_addc_co_u32_e32 v15, vcc, 0, v4, vcc
	v_lshlrev_b64 v[14:15], 2, v[14:15]
	v_mov_b32_e32 v16, s7
	v_sub_co_u32_e32 v14, vcc, s6, v14
	v_subb_co_u32_e32 v15, vcc, v16, v15, vcc
	s_waitcnt lgkmcnt(0)
	global_store_dword v[14:15], v13, off offset:-1024
.LBB2001_251:
	s_andn2_saveexec_b64 s[4:5], s[4:5]
	s_cbranch_execz .LBB2001_253
; %bb.252:
	v_lshlrev_b32_e32 v13, 2, v0
	ds_read_b32 v14, v13 offset:1024
	v_readfirstlane_b32 s8, v8
	v_readfirstlane_b32 s9, v9
	s_waitcnt lgkmcnt(0)
	s_nop 3
	global_store_dword v13, v14, s[8:9] offset:1024
.LBB2001_253:
	s_or_b64 exec, exec, s[4:5]
.LBB2001_254:
	s_andn2_saveexec_b64 s[2:3], s[2:3]
	s_cbranch_execz .LBB2001_256
; %bb.255:
	v_lshlrev_b32_e32 v13, 2, v0
	ds_read_b32 v14, v13 offset:1024
	v_readfirstlane_b32 s2, v10
	v_readfirstlane_b32 s3, v11
	s_waitcnt lgkmcnt(0)
	s_nop 3
	global_store_dword v13, v14, s[2:3] offset:1024
.LBB2001_256:
	s_or_b64 exec, exec, s[0:1]
	v_or_b32_e32 v13, 0x200, v0
	v_cmp_gt_u32_e32 vcc, s18, v13
	s_and_saveexec_b64 s[0:1], vcc
	s_cbranch_execz .LBB2001_265
; %bb.257:
	v_cmp_le_u32_e32 vcc, v2, v13
	s_and_saveexec_b64 s[2:3], vcc
	s_xor_b64 s[2:3], exec, s[2:3]
	s_cbranch_execz .LBB2001_263
; %bb.258:
	v_cmp_le_u32_e32 vcc, v12, v13
	s_and_saveexec_b64 s[4:5], vcc
	s_xor_b64 s[4:5], exec, s[4:5]
	s_cbranch_execz .LBB2001_260
; %bb.259:
	v_lshlrev_b32_e32 v13, 2, v0
	ds_read_b32 v13, v13 offset:2048
	v_add_co_u32_e32 v14, vcc, v1, v0
	v_addc_co_u32_e32 v15, vcc, 0, v4, vcc
	v_lshlrev_b64 v[14:15], 2, v[14:15]
	v_mov_b32_e32 v16, s7
	v_sub_co_u32_e32 v14, vcc, s6, v14
	v_subb_co_u32_e32 v15, vcc, v16, v15, vcc
	s_waitcnt lgkmcnt(0)
	global_store_dword v[14:15], v13, off offset:-2048
.LBB2001_260:
	s_andn2_saveexec_b64 s[4:5], s[4:5]
	s_cbranch_execz .LBB2001_262
; %bb.261:
	v_lshlrev_b32_e32 v13, 2, v0
	ds_read_b32 v14, v13 offset:2048
	v_readfirstlane_b32 s8, v8
	v_readfirstlane_b32 s9, v9
	s_waitcnt lgkmcnt(0)
	s_nop 3
	global_store_dword v13, v14, s[8:9] offset:2048
.LBB2001_262:
	s_or_b64 exec, exec, s[4:5]
.LBB2001_263:
	s_andn2_saveexec_b64 s[2:3], s[2:3]
	s_cbranch_execz .LBB2001_265
; %bb.264:
	v_lshlrev_b32_e32 v13, 2, v0
	ds_read_b32 v14, v13 offset:2048
	v_readfirstlane_b32 s2, v10
	v_readfirstlane_b32 s3, v11
	s_waitcnt lgkmcnt(0)
	s_nop 3
	global_store_dword v13, v14, s[2:3] offset:2048
.LBB2001_265:
	;; [unrolled: 51-line block ×3, first 2 shown]
	s_or_b64 exec, exec, s[0:1]
	v_or_b32_e32 v13, 0x400, v0
	v_cmp_gt_u32_e32 vcc, s18, v13
	s_and_saveexec_b64 s[0:1], vcc
	s_cbranch_execz .LBB2001_283
; %bb.275:
	v_cmp_le_u32_e32 vcc, v2, v13
	s_and_saveexec_b64 s[2:3], vcc
	s_xor_b64 s[2:3], exec, s[2:3]
	s_cbranch_execz .LBB2001_281
; %bb.276:
	v_cmp_le_u32_e32 vcc, v12, v13
	s_and_saveexec_b64 s[4:5], vcc
	s_xor_b64 s[4:5], exec, s[4:5]
	s_cbranch_execz .LBB2001_278
; %bb.277:
	v_lshlrev_b32_e32 v13, 2, v0
	ds_read_b32 v13, v13 offset:4096
	v_add_co_u32_e32 v14, vcc, v1, v0
	v_addc_co_u32_e32 v15, vcc, 0, v4, vcc
	v_lshlrev_b64 v[14:15], 2, v[14:15]
	v_mov_b32_e32 v16, s7
	v_sub_co_u32_e32 v14, vcc, s6, v14
	v_subb_co_u32_e32 v15, vcc, v16, v15, vcc
	s_waitcnt lgkmcnt(0)
	global_store_dword v[14:15], v13, off offset:-4096
                                        ; implicit-def: $vgpr13
.LBB2001_278:
	s_andn2_saveexec_b64 s[4:5], s[4:5]
	s_cbranch_execz .LBB2001_280
; %bb.279:
	v_lshlrev_b32_e32 v14, 2, v0
	ds_read_b32 v14, v14 offset:4096
	v_lshlrev_b32_e32 v13, 2, v13
	v_readfirstlane_b32 s8, v8
	v_readfirstlane_b32 s9, v9
	s_waitcnt lgkmcnt(0)
	s_nop 3
	global_store_dword v13, v14, s[8:9]
.LBB2001_280:
	s_or_b64 exec, exec, s[4:5]
                                        ; implicit-def: $vgpr13
.LBB2001_281:
	s_andn2_saveexec_b64 s[2:3], s[2:3]
	s_cbranch_execz .LBB2001_283
; %bb.282:
	v_lshlrev_b32_e32 v14, 2, v0
	ds_read_b32 v14, v14 offset:4096
	v_lshlrev_b32_e32 v13, 2, v13
	v_readfirstlane_b32 s2, v10
	v_readfirstlane_b32 s3, v11
	s_waitcnt lgkmcnt(0)
	s_nop 3
	global_store_dword v13, v14, s[2:3]
.LBB2001_283:
	s_or_b64 exec, exec, s[0:1]
	v_or_b32_e32 v13, 0x500, v0
	v_cmp_gt_u32_e32 vcc, s18, v13
	s_and_saveexec_b64 s[0:1], vcc
	s_cbranch_execz .LBB2001_292
; %bb.284:
	v_cmp_le_u32_e32 vcc, v2, v13
	s_and_saveexec_b64 s[2:3], vcc
	s_xor_b64 s[2:3], exec, s[2:3]
	s_cbranch_execz .LBB2001_290
; %bb.285:
	v_cmp_le_u32_e32 vcc, v12, v13
	s_and_saveexec_b64 s[4:5], vcc
	s_xor_b64 s[4:5], exec, s[4:5]
	s_cbranch_execz .LBB2001_287
; %bb.286:
	v_add_co_u32_e32 v14, vcc, v1, v13
	v_lshlrev_b32_e32 v13, 2, v0
	ds_read_b32 v13, v13 offset:5120
	v_addc_co_u32_e32 v15, vcc, 0, v4, vcc
	v_lshlrev_b64 v[14:15], 2, v[14:15]
	v_mov_b32_e32 v16, s7
	v_sub_co_u32_e32 v14, vcc, s6, v14
	v_subb_co_u32_e32 v15, vcc, v16, v15, vcc
	s_waitcnt lgkmcnt(0)
	global_store_dword v[14:15], v13, off
                                        ; implicit-def: $vgpr13
.LBB2001_287:
	s_andn2_saveexec_b64 s[4:5], s[4:5]
	s_cbranch_execz .LBB2001_289
; %bb.288:
	v_lshlrev_b32_e32 v14, 2, v0
	ds_read_b32 v14, v14 offset:5120
	v_lshlrev_b32_e32 v13, 2, v13
	v_readfirstlane_b32 s8, v8
	v_readfirstlane_b32 s9, v9
	s_waitcnt lgkmcnt(0)
	s_nop 3
	global_store_dword v13, v14, s[8:9]
.LBB2001_289:
	s_or_b64 exec, exec, s[4:5]
                                        ; implicit-def: $vgpr13
.LBB2001_290:
	s_andn2_saveexec_b64 s[2:3], s[2:3]
	s_cbranch_execz .LBB2001_292
; %bb.291:
	v_lshlrev_b32_e32 v14, 2, v0
	ds_read_b32 v14, v14 offset:5120
	v_lshlrev_b32_e32 v13, 2, v13
	v_readfirstlane_b32 s2, v10
	v_readfirstlane_b32 s3, v11
	s_waitcnt lgkmcnt(0)
	s_nop 3
	global_store_dword v13, v14, s[2:3]
.LBB2001_292:
	s_or_b64 exec, exec, s[0:1]
	v_or_b32_e32 v13, 0x600, v0
	v_cmp_gt_u32_e32 vcc, s18, v13
	s_and_saveexec_b64 s[0:1], vcc
	s_cbranch_execz .LBB2001_301
; %bb.293:
	v_cmp_le_u32_e32 vcc, v2, v13
	s_and_saveexec_b64 s[2:3], vcc
	s_xor_b64 s[2:3], exec, s[2:3]
	s_cbranch_execz .LBB2001_299
; %bb.294:
	v_cmp_le_u32_e32 vcc, v12, v13
	s_and_saveexec_b64 s[4:5], vcc
	s_xor_b64 s[4:5], exec, s[4:5]
	s_cbranch_execz .LBB2001_296
; %bb.295:
	v_add_co_u32_e32 v14, vcc, v1, v13
	v_lshlrev_b32_e32 v13, 2, v0
	ds_read_b32 v13, v13 offset:6144
	v_addc_co_u32_e32 v15, vcc, 0, v4, vcc
	v_lshlrev_b64 v[14:15], 2, v[14:15]
	v_mov_b32_e32 v16, s7
	v_sub_co_u32_e32 v14, vcc, s6, v14
	v_subb_co_u32_e32 v15, vcc, v16, v15, vcc
	s_waitcnt lgkmcnt(0)
	global_store_dword v[14:15], v13, off
                                        ; implicit-def: $vgpr13
.LBB2001_296:
	s_andn2_saveexec_b64 s[4:5], s[4:5]
	s_cbranch_execz .LBB2001_298
; %bb.297:
	v_lshlrev_b32_e32 v14, 2, v0
	ds_read_b32 v14, v14 offset:6144
	v_lshlrev_b32_e32 v13, 2, v13
	v_readfirstlane_b32 s8, v8
	v_readfirstlane_b32 s9, v9
	s_waitcnt lgkmcnt(0)
	s_nop 3
	global_store_dword v13, v14, s[8:9]
.LBB2001_298:
	s_or_b64 exec, exec, s[4:5]
                                        ; implicit-def: $vgpr13
.LBB2001_299:
	s_andn2_saveexec_b64 s[2:3], s[2:3]
	s_cbranch_execz .LBB2001_301
; %bb.300:
	v_lshlrev_b32_e32 v14, 2, v0
	ds_read_b32 v14, v14 offset:6144
	v_lshlrev_b32_e32 v13, 2, v13
	v_readfirstlane_b32 s2, v10
	v_readfirstlane_b32 s3, v11
	s_waitcnt lgkmcnt(0)
	s_nop 3
	global_store_dword v13, v14, s[2:3]
.LBB2001_301:
	;; [unrolled: 55-line block ×7, first 2 shown]
	s_or_b64 exec, exec, s[0:1]
	v_or_b32_e32 v13, 0xc00, v0
	v_cmp_gt_u32_e32 vcc, s18, v13
	s_and_saveexec_b64 s[0:1], vcc
	s_cbranch_execz .LBB2001_355
; %bb.347:
	v_cmp_le_u32_e32 vcc, v2, v13
	s_and_saveexec_b64 s[2:3], vcc
	s_xor_b64 s[2:3], exec, s[2:3]
	s_cbranch_execz .LBB2001_353
; %bb.348:
	v_cmp_le_u32_e32 vcc, v12, v13
	s_and_saveexec_b64 s[4:5], vcc
	s_xor_b64 s[4:5], exec, s[4:5]
	s_cbranch_execz .LBB2001_350
; %bb.349:
	v_add_co_u32_e32 v8, vcc, v1, v13
	v_lshlrev_b32_e32 v1, 2, v0
	ds_read_b32 v1, v1 offset:12288
	v_addc_co_u32_e32 v9, vcc, 0, v4, vcc
	v_lshlrev_b64 v[8:9], 2, v[8:9]
	v_mov_b32_e32 v4, s7
	v_sub_co_u32_e32 v8, vcc, s6, v8
	v_subb_co_u32_e32 v9, vcc, v4, v9, vcc
	s_waitcnt lgkmcnt(0)
	global_store_dword v[8:9], v1, off
                                        ; implicit-def: $vgpr13
                                        ; implicit-def: $vgpr8_vgpr9
.LBB2001_350:
	s_andn2_saveexec_b64 s[4:5], s[4:5]
	s_cbranch_execz .LBB2001_352
; %bb.351:
	v_lshlrev_b32_e32 v1, 2, v0
	ds_read_b32 v1, v1 offset:12288
	v_lshlrev_b32_e32 v4, 2, v13
	v_readfirstlane_b32 s6, v8
	v_readfirstlane_b32 s7, v9
	s_waitcnt lgkmcnt(0)
	s_nop 3
	global_store_dword v4, v1, s[6:7]
.LBB2001_352:
	s_or_b64 exec, exec, s[4:5]
                                        ; implicit-def: $vgpr13
                                        ; implicit-def: $vgpr10_vgpr11
.LBB2001_353:
	s_andn2_saveexec_b64 s[2:3], s[2:3]
	s_cbranch_execz .LBB2001_355
; %bb.354:
	v_lshlrev_b32_e32 v1, 2, v0
	ds_read_b32 v1, v1 offset:12288
	v_lshlrev_b32_e32 v4, 2, v13
	v_readfirstlane_b32 s2, v10
	v_readfirstlane_b32 s3, v11
	s_waitcnt lgkmcnt(0)
	s_nop 3
	global_store_dword v4, v1, s[2:3]
.LBB2001_355:
	s_or_b64 exec, exec, s[0:1]
	v_cmp_eq_u32_e32 vcc, 0, v0
	s_and_b64 s[0:1], vcc, s[30:31]
	s_and_saveexec_b64 s[2:3], s[0:1]
	s_cbranch_execz .LBB2001_132
.LBB2001_356:
	v_add_co_u32_e32 v0, vcc, v6, v2
	v_addc_co_u32_e32 v1, vcc, 0, v7, vcc
	v_mov_b32_e32 v2, s51
	v_add_co_u32_e32 v3, vcc, s50, v3
	v_addc_co_u32_e32 v6, vcc, 0, v2, vcc
	v_add_co_u32_e32 v2, vcc, v3, v5
	v_mov_b32_e32 v4, 0
	v_addc_co_u32_e32 v3, vcc, 0, v6, vcc
	global_store_dwordx4 v4, v[0:3], s[44:45]
	s_endpgm
	.section	.rodata,"a",@progbits
	.p2align	6, 0x0
	.amdhsa_kernel _ZN7rocprim17ROCPRIM_400000_NS6detail17trampoline_kernelINS0_13select_configILj256ELj13ELNS0_17block_load_methodE3ELS4_3ELS4_3ELNS0_20block_scan_algorithmE0ELj4294967295EEENS1_25partition_config_selectorILNS1_17partition_subalgoE4EjNS0_10empty_typeEbEEZZNS1_14partition_implILS8_4ELb0ES6_15HIP_vector_typeIjLj2EENS0_17counting_iteratorIjlEEPS9_SG_NS0_5tupleIJPjSI_NS0_16reverse_iteratorISI_EEEEENSH_IJSG_SG_SG_EEES9_SI_JZNS1_25segmented_radix_sort_implINS0_14default_configELb0EPK12hip_bfloat16PSP_PKlPlN2at6native12_GLOBAL__N_18offset_tEEE10hipError_tPvRmT1_PNSt15iterator_traitsIS13_E10value_typeET2_T3_PNS14_IS19_E10value_typeET4_jRbjT5_S1F_jjP12ihipStream_tbEUljE_ZNSN_ISO_Lb0ESR_SS_SU_SV_SZ_EES10_S11_S12_S13_S17_S18_S19_S1C_S1D_jS1E_jS1F_S1F_jjS1H_bEUljE0_EEES10_S11_S12_S19_S1D_S1F_T6_T7_T9_mT8_S1H_bDpT10_ENKUlT_T0_E_clISt17integral_constantIbLb1EES1U_IbLb0EEEEDaS1Q_S1R_EUlS1Q_E_NS1_11comp_targetILNS1_3genE4ELNS1_11target_archE910ELNS1_3gpuE8ELNS1_3repE0EEENS1_30default_config_static_selectorELNS0_4arch9wavefront6targetE1EEEvS13_
		.amdhsa_group_segment_fixed_size 13340
		.amdhsa_private_segment_fixed_size 0
		.amdhsa_kernarg_size 176
		.amdhsa_user_sgpr_count 6
		.amdhsa_user_sgpr_private_segment_buffer 1
		.amdhsa_user_sgpr_dispatch_ptr 0
		.amdhsa_user_sgpr_queue_ptr 0
		.amdhsa_user_sgpr_kernarg_segment_ptr 1
		.amdhsa_user_sgpr_dispatch_id 0
		.amdhsa_user_sgpr_flat_scratch_init 0
		.amdhsa_user_sgpr_kernarg_preload_length 0
		.amdhsa_user_sgpr_kernarg_preload_offset 0
		.amdhsa_user_sgpr_private_segment_size 0
		.amdhsa_uses_dynamic_stack 0
		.amdhsa_system_sgpr_private_segment_wavefront_offset 0
		.amdhsa_system_sgpr_workgroup_id_x 1
		.amdhsa_system_sgpr_workgroup_id_y 0
		.amdhsa_system_sgpr_workgroup_id_z 0
		.amdhsa_system_sgpr_workgroup_info 0
		.amdhsa_system_vgpr_workitem_id 0
		.amdhsa_next_free_vgpr 102
		.amdhsa_next_free_sgpr 90
		.amdhsa_accum_offset 104
		.amdhsa_reserve_vcc 1
		.amdhsa_reserve_flat_scratch 0
		.amdhsa_float_round_mode_32 0
		.amdhsa_float_round_mode_16_64 0
		.amdhsa_float_denorm_mode_32 3
		.amdhsa_float_denorm_mode_16_64 3
		.amdhsa_dx10_clamp 1
		.amdhsa_ieee_mode 1
		.amdhsa_fp16_overflow 0
		.amdhsa_tg_split 0
		.amdhsa_exception_fp_ieee_invalid_op 0
		.amdhsa_exception_fp_denorm_src 0
		.amdhsa_exception_fp_ieee_div_zero 0
		.amdhsa_exception_fp_ieee_overflow 0
		.amdhsa_exception_fp_ieee_underflow 0
		.amdhsa_exception_fp_ieee_inexact 0
		.amdhsa_exception_int_div_zero 0
	.end_amdhsa_kernel
	.section	.text._ZN7rocprim17ROCPRIM_400000_NS6detail17trampoline_kernelINS0_13select_configILj256ELj13ELNS0_17block_load_methodE3ELS4_3ELS4_3ELNS0_20block_scan_algorithmE0ELj4294967295EEENS1_25partition_config_selectorILNS1_17partition_subalgoE4EjNS0_10empty_typeEbEEZZNS1_14partition_implILS8_4ELb0ES6_15HIP_vector_typeIjLj2EENS0_17counting_iteratorIjlEEPS9_SG_NS0_5tupleIJPjSI_NS0_16reverse_iteratorISI_EEEEENSH_IJSG_SG_SG_EEES9_SI_JZNS1_25segmented_radix_sort_implINS0_14default_configELb0EPK12hip_bfloat16PSP_PKlPlN2at6native12_GLOBAL__N_18offset_tEEE10hipError_tPvRmT1_PNSt15iterator_traitsIS13_E10value_typeET2_T3_PNS14_IS19_E10value_typeET4_jRbjT5_S1F_jjP12ihipStream_tbEUljE_ZNSN_ISO_Lb0ESR_SS_SU_SV_SZ_EES10_S11_S12_S13_S17_S18_S19_S1C_S1D_jS1E_jS1F_S1F_jjS1H_bEUljE0_EEES10_S11_S12_S19_S1D_S1F_T6_T7_T9_mT8_S1H_bDpT10_ENKUlT_T0_E_clISt17integral_constantIbLb1EES1U_IbLb0EEEEDaS1Q_S1R_EUlS1Q_E_NS1_11comp_targetILNS1_3genE4ELNS1_11target_archE910ELNS1_3gpuE8ELNS1_3repE0EEENS1_30default_config_static_selectorELNS0_4arch9wavefront6targetE1EEEvS13_,"axG",@progbits,_ZN7rocprim17ROCPRIM_400000_NS6detail17trampoline_kernelINS0_13select_configILj256ELj13ELNS0_17block_load_methodE3ELS4_3ELS4_3ELNS0_20block_scan_algorithmE0ELj4294967295EEENS1_25partition_config_selectorILNS1_17partition_subalgoE4EjNS0_10empty_typeEbEEZZNS1_14partition_implILS8_4ELb0ES6_15HIP_vector_typeIjLj2EENS0_17counting_iteratorIjlEEPS9_SG_NS0_5tupleIJPjSI_NS0_16reverse_iteratorISI_EEEEENSH_IJSG_SG_SG_EEES9_SI_JZNS1_25segmented_radix_sort_implINS0_14default_configELb0EPK12hip_bfloat16PSP_PKlPlN2at6native12_GLOBAL__N_18offset_tEEE10hipError_tPvRmT1_PNSt15iterator_traitsIS13_E10value_typeET2_T3_PNS14_IS19_E10value_typeET4_jRbjT5_S1F_jjP12ihipStream_tbEUljE_ZNSN_ISO_Lb0ESR_SS_SU_SV_SZ_EES10_S11_S12_S13_S17_S18_S19_S1C_S1D_jS1E_jS1F_S1F_jjS1H_bEUljE0_EEES10_S11_S12_S19_S1D_S1F_T6_T7_T9_mT8_S1H_bDpT10_ENKUlT_T0_E_clISt17integral_constantIbLb1EES1U_IbLb0EEEEDaS1Q_S1R_EUlS1Q_E_NS1_11comp_targetILNS1_3genE4ELNS1_11target_archE910ELNS1_3gpuE8ELNS1_3repE0EEENS1_30default_config_static_selectorELNS0_4arch9wavefront6targetE1EEEvS13_,comdat
.Lfunc_end2001:
	.size	_ZN7rocprim17ROCPRIM_400000_NS6detail17trampoline_kernelINS0_13select_configILj256ELj13ELNS0_17block_load_methodE3ELS4_3ELS4_3ELNS0_20block_scan_algorithmE0ELj4294967295EEENS1_25partition_config_selectorILNS1_17partition_subalgoE4EjNS0_10empty_typeEbEEZZNS1_14partition_implILS8_4ELb0ES6_15HIP_vector_typeIjLj2EENS0_17counting_iteratorIjlEEPS9_SG_NS0_5tupleIJPjSI_NS0_16reverse_iteratorISI_EEEEENSH_IJSG_SG_SG_EEES9_SI_JZNS1_25segmented_radix_sort_implINS0_14default_configELb0EPK12hip_bfloat16PSP_PKlPlN2at6native12_GLOBAL__N_18offset_tEEE10hipError_tPvRmT1_PNSt15iterator_traitsIS13_E10value_typeET2_T3_PNS14_IS19_E10value_typeET4_jRbjT5_S1F_jjP12ihipStream_tbEUljE_ZNSN_ISO_Lb0ESR_SS_SU_SV_SZ_EES10_S11_S12_S13_S17_S18_S19_S1C_S1D_jS1E_jS1F_S1F_jjS1H_bEUljE0_EEES10_S11_S12_S19_S1D_S1F_T6_T7_T9_mT8_S1H_bDpT10_ENKUlT_T0_E_clISt17integral_constantIbLb1EES1U_IbLb0EEEEDaS1Q_S1R_EUlS1Q_E_NS1_11comp_targetILNS1_3genE4ELNS1_11target_archE910ELNS1_3gpuE8ELNS1_3repE0EEENS1_30default_config_static_selectorELNS0_4arch9wavefront6targetE1EEEvS13_, .Lfunc_end2001-_ZN7rocprim17ROCPRIM_400000_NS6detail17trampoline_kernelINS0_13select_configILj256ELj13ELNS0_17block_load_methodE3ELS4_3ELS4_3ELNS0_20block_scan_algorithmE0ELj4294967295EEENS1_25partition_config_selectorILNS1_17partition_subalgoE4EjNS0_10empty_typeEbEEZZNS1_14partition_implILS8_4ELb0ES6_15HIP_vector_typeIjLj2EENS0_17counting_iteratorIjlEEPS9_SG_NS0_5tupleIJPjSI_NS0_16reverse_iteratorISI_EEEEENSH_IJSG_SG_SG_EEES9_SI_JZNS1_25segmented_radix_sort_implINS0_14default_configELb0EPK12hip_bfloat16PSP_PKlPlN2at6native12_GLOBAL__N_18offset_tEEE10hipError_tPvRmT1_PNSt15iterator_traitsIS13_E10value_typeET2_T3_PNS14_IS19_E10value_typeET4_jRbjT5_S1F_jjP12ihipStream_tbEUljE_ZNSN_ISO_Lb0ESR_SS_SU_SV_SZ_EES10_S11_S12_S13_S17_S18_S19_S1C_S1D_jS1E_jS1F_S1F_jjS1H_bEUljE0_EEES10_S11_S12_S19_S1D_S1F_T6_T7_T9_mT8_S1H_bDpT10_ENKUlT_T0_E_clISt17integral_constantIbLb1EES1U_IbLb0EEEEDaS1Q_S1R_EUlS1Q_E_NS1_11comp_targetILNS1_3genE4ELNS1_11target_archE910ELNS1_3gpuE8ELNS1_3repE0EEENS1_30default_config_static_selectorELNS0_4arch9wavefront6targetE1EEEvS13_
                                        ; -- End function
	.section	.AMDGPU.csdata,"",@progbits
; Kernel info:
; codeLenInByte = 13412
; NumSgprs: 94
; NumVgprs: 102
; NumAgprs: 0
; TotalNumVgprs: 102
; ScratchSize: 0
; MemoryBound: 0
; FloatMode: 240
; IeeeMode: 1
; LDSByteSize: 13340 bytes/workgroup (compile time only)
; SGPRBlocks: 11
; VGPRBlocks: 12
; NumSGPRsForWavesPerEU: 94
; NumVGPRsForWavesPerEU: 102
; AccumOffset: 104
; Occupancy: 4
; WaveLimiterHint : 1
; COMPUTE_PGM_RSRC2:SCRATCH_EN: 0
; COMPUTE_PGM_RSRC2:USER_SGPR: 6
; COMPUTE_PGM_RSRC2:TRAP_HANDLER: 0
; COMPUTE_PGM_RSRC2:TGID_X_EN: 1
; COMPUTE_PGM_RSRC2:TGID_Y_EN: 0
; COMPUTE_PGM_RSRC2:TGID_Z_EN: 0
; COMPUTE_PGM_RSRC2:TIDIG_COMP_CNT: 0
; COMPUTE_PGM_RSRC3_GFX90A:ACCUM_OFFSET: 25
; COMPUTE_PGM_RSRC3_GFX90A:TG_SPLIT: 0
	.section	.text._ZN7rocprim17ROCPRIM_400000_NS6detail17trampoline_kernelINS0_13select_configILj256ELj13ELNS0_17block_load_methodE3ELS4_3ELS4_3ELNS0_20block_scan_algorithmE0ELj4294967295EEENS1_25partition_config_selectorILNS1_17partition_subalgoE4EjNS0_10empty_typeEbEEZZNS1_14partition_implILS8_4ELb0ES6_15HIP_vector_typeIjLj2EENS0_17counting_iteratorIjlEEPS9_SG_NS0_5tupleIJPjSI_NS0_16reverse_iteratorISI_EEEEENSH_IJSG_SG_SG_EEES9_SI_JZNS1_25segmented_radix_sort_implINS0_14default_configELb0EPK12hip_bfloat16PSP_PKlPlN2at6native12_GLOBAL__N_18offset_tEEE10hipError_tPvRmT1_PNSt15iterator_traitsIS13_E10value_typeET2_T3_PNS14_IS19_E10value_typeET4_jRbjT5_S1F_jjP12ihipStream_tbEUljE_ZNSN_ISO_Lb0ESR_SS_SU_SV_SZ_EES10_S11_S12_S13_S17_S18_S19_S1C_S1D_jS1E_jS1F_S1F_jjS1H_bEUljE0_EEES10_S11_S12_S19_S1D_S1F_T6_T7_T9_mT8_S1H_bDpT10_ENKUlT_T0_E_clISt17integral_constantIbLb1EES1U_IbLb0EEEEDaS1Q_S1R_EUlS1Q_E_NS1_11comp_targetILNS1_3genE3ELNS1_11target_archE908ELNS1_3gpuE7ELNS1_3repE0EEENS1_30default_config_static_selectorELNS0_4arch9wavefront6targetE1EEEvS13_,"axG",@progbits,_ZN7rocprim17ROCPRIM_400000_NS6detail17trampoline_kernelINS0_13select_configILj256ELj13ELNS0_17block_load_methodE3ELS4_3ELS4_3ELNS0_20block_scan_algorithmE0ELj4294967295EEENS1_25partition_config_selectorILNS1_17partition_subalgoE4EjNS0_10empty_typeEbEEZZNS1_14partition_implILS8_4ELb0ES6_15HIP_vector_typeIjLj2EENS0_17counting_iteratorIjlEEPS9_SG_NS0_5tupleIJPjSI_NS0_16reverse_iteratorISI_EEEEENSH_IJSG_SG_SG_EEES9_SI_JZNS1_25segmented_radix_sort_implINS0_14default_configELb0EPK12hip_bfloat16PSP_PKlPlN2at6native12_GLOBAL__N_18offset_tEEE10hipError_tPvRmT1_PNSt15iterator_traitsIS13_E10value_typeET2_T3_PNS14_IS19_E10value_typeET4_jRbjT5_S1F_jjP12ihipStream_tbEUljE_ZNSN_ISO_Lb0ESR_SS_SU_SV_SZ_EES10_S11_S12_S13_S17_S18_S19_S1C_S1D_jS1E_jS1F_S1F_jjS1H_bEUljE0_EEES10_S11_S12_S19_S1D_S1F_T6_T7_T9_mT8_S1H_bDpT10_ENKUlT_T0_E_clISt17integral_constantIbLb1EES1U_IbLb0EEEEDaS1Q_S1R_EUlS1Q_E_NS1_11comp_targetILNS1_3genE3ELNS1_11target_archE908ELNS1_3gpuE7ELNS1_3repE0EEENS1_30default_config_static_selectorELNS0_4arch9wavefront6targetE1EEEvS13_,comdat
	.globl	_ZN7rocprim17ROCPRIM_400000_NS6detail17trampoline_kernelINS0_13select_configILj256ELj13ELNS0_17block_load_methodE3ELS4_3ELS4_3ELNS0_20block_scan_algorithmE0ELj4294967295EEENS1_25partition_config_selectorILNS1_17partition_subalgoE4EjNS0_10empty_typeEbEEZZNS1_14partition_implILS8_4ELb0ES6_15HIP_vector_typeIjLj2EENS0_17counting_iteratorIjlEEPS9_SG_NS0_5tupleIJPjSI_NS0_16reverse_iteratorISI_EEEEENSH_IJSG_SG_SG_EEES9_SI_JZNS1_25segmented_radix_sort_implINS0_14default_configELb0EPK12hip_bfloat16PSP_PKlPlN2at6native12_GLOBAL__N_18offset_tEEE10hipError_tPvRmT1_PNSt15iterator_traitsIS13_E10value_typeET2_T3_PNS14_IS19_E10value_typeET4_jRbjT5_S1F_jjP12ihipStream_tbEUljE_ZNSN_ISO_Lb0ESR_SS_SU_SV_SZ_EES10_S11_S12_S13_S17_S18_S19_S1C_S1D_jS1E_jS1F_S1F_jjS1H_bEUljE0_EEES10_S11_S12_S19_S1D_S1F_T6_T7_T9_mT8_S1H_bDpT10_ENKUlT_T0_E_clISt17integral_constantIbLb1EES1U_IbLb0EEEEDaS1Q_S1R_EUlS1Q_E_NS1_11comp_targetILNS1_3genE3ELNS1_11target_archE908ELNS1_3gpuE7ELNS1_3repE0EEENS1_30default_config_static_selectorELNS0_4arch9wavefront6targetE1EEEvS13_ ; -- Begin function _ZN7rocprim17ROCPRIM_400000_NS6detail17trampoline_kernelINS0_13select_configILj256ELj13ELNS0_17block_load_methodE3ELS4_3ELS4_3ELNS0_20block_scan_algorithmE0ELj4294967295EEENS1_25partition_config_selectorILNS1_17partition_subalgoE4EjNS0_10empty_typeEbEEZZNS1_14partition_implILS8_4ELb0ES6_15HIP_vector_typeIjLj2EENS0_17counting_iteratorIjlEEPS9_SG_NS0_5tupleIJPjSI_NS0_16reverse_iteratorISI_EEEEENSH_IJSG_SG_SG_EEES9_SI_JZNS1_25segmented_radix_sort_implINS0_14default_configELb0EPK12hip_bfloat16PSP_PKlPlN2at6native12_GLOBAL__N_18offset_tEEE10hipError_tPvRmT1_PNSt15iterator_traitsIS13_E10value_typeET2_T3_PNS14_IS19_E10value_typeET4_jRbjT5_S1F_jjP12ihipStream_tbEUljE_ZNSN_ISO_Lb0ESR_SS_SU_SV_SZ_EES10_S11_S12_S13_S17_S18_S19_S1C_S1D_jS1E_jS1F_S1F_jjS1H_bEUljE0_EEES10_S11_S12_S19_S1D_S1F_T6_T7_T9_mT8_S1H_bDpT10_ENKUlT_T0_E_clISt17integral_constantIbLb1EES1U_IbLb0EEEEDaS1Q_S1R_EUlS1Q_E_NS1_11comp_targetILNS1_3genE3ELNS1_11target_archE908ELNS1_3gpuE7ELNS1_3repE0EEENS1_30default_config_static_selectorELNS0_4arch9wavefront6targetE1EEEvS13_
	.p2align	8
	.type	_ZN7rocprim17ROCPRIM_400000_NS6detail17trampoline_kernelINS0_13select_configILj256ELj13ELNS0_17block_load_methodE3ELS4_3ELS4_3ELNS0_20block_scan_algorithmE0ELj4294967295EEENS1_25partition_config_selectorILNS1_17partition_subalgoE4EjNS0_10empty_typeEbEEZZNS1_14partition_implILS8_4ELb0ES6_15HIP_vector_typeIjLj2EENS0_17counting_iteratorIjlEEPS9_SG_NS0_5tupleIJPjSI_NS0_16reverse_iteratorISI_EEEEENSH_IJSG_SG_SG_EEES9_SI_JZNS1_25segmented_radix_sort_implINS0_14default_configELb0EPK12hip_bfloat16PSP_PKlPlN2at6native12_GLOBAL__N_18offset_tEEE10hipError_tPvRmT1_PNSt15iterator_traitsIS13_E10value_typeET2_T3_PNS14_IS19_E10value_typeET4_jRbjT5_S1F_jjP12ihipStream_tbEUljE_ZNSN_ISO_Lb0ESR_SS_SU_SV_SZ_EES10_S11_S12_S13_S17_S18_S19_S1C_S1D_jS1E_jS1F_S1F_jjS1H_bEUljE0_EEES10_S11_S12_S19_S1D_S1F_T6_T7_T9_mT8_S1H_bDpT10_ENKUlT_T0_E_clISt17integral_constantIbLb1EES1U_IbLb0EEEEDaS1Q_S1R_EUlS1Q_E_NS1_11comp_targetILNS1_3genE3ELNS1_11target_archE908ELNS1_3gpuE7ELNS1_3repE0EEENS1_30default_config_static_selectorELNS0_4arch9wavefront6targetE1EEEvS13_,@function
_ZN7rocprim17ROCPRIM_400000_NS6detail17trampoline_kernelINS0_13select_configILj256ELj13ELNS0_17block_load_methodE3ELS4_3ELS4_3ELNS0_20block_scan_algorithmE0ELj4294967295EEENS1_25partition_config_selectorILNS1_17partition_subalgoE4EjNS0_10empty_typeEbEEZZNS1_14partition_implILS8_4ELb0ES6_15HIP_vector_typeIjLj2EENS0_17counting_iteratorIjlEEPS9_SG_NS0_5tupleIJPjSI_NS0_16reverse_iteratorISI_EEEEENSH_IJSG_SG_SG_EEES9_SI_JZNS1_25segmented_radix_sort_implINS0_14default_configELb0EPK12hip_bfloat16PSP_PKlPlN2at6native12_GLOBAL__N_18offset_tEEE10hipError_tPvRmT1_PNSt15iterator_traitsIS13_E10value_typeET2_T3_PNS14_IS19_E10value_typeET4_jRbjT5_S1F_jjP12ihipStream_tbEUljE_ZNSN_ISO_Lb0ESR_SS_SU_SV_SZ_EES10_S11_S12_S13_S17_S18_S19_S1C_S1D_jS1E_jS1F_S1F_jjS1H_bEUljE0_EEES10_S11_S12_S19_S1D_S1F_T6_T7_T9_mT8_S1H_bDpT10_ENKUlT_T0_E_clISt17integral_constantIbLb1EES1U_IbLb0EEEEDaS1Q_S1R_EUlS1Q_E_NS1_11comp_targetILNS1_3genE3ELNS1_11target_archE908ELNS1_3gpuE7ELNS1_3repE0EEENS1_30default_config_static_selectorELNS0_4arch9wavefront6targetE1EEEvS13_: ; @_ZN7rocprim17ROCPRIM_400000_NS6detail17trampoline_kernelINS0_13select_configILj256ELj13ELNS0_17block_load_methodE3ELS4_3ELS4_3ELNS0_20block_scan_algorithmE0ELj4294967295EEENS1_25partition_config_selectorILNS1_17partition_subalgoE4EjNS0_10empty_typeEbEEZZNS1_14partition_implILS8_4ELb0ES6_15HIP_vector_typeIjLj2EENS0_17counting_iteratorIjlEEPS9_SG_NS0_5tupleIJPjSI_NS0_16reverse_iteratorISI_EEEEENSH_IJSG_SG_SG_EEES9_SI_JZNS1_25segmented_radix_sort_implINS0_14default_configELb0EPK12hip_bfloat16PSP_PKlPlN2at6native12_GLOBAL__N_18offset_tEEE10hipError_tPvRmT1_PNSt15iterator_traitsIS13_E10value_typeET2_T3_PNS14_IS19_E10value_typeET4_jRbjT5_S1F_jjP12ihipStream_tbEUljE_ZNSN_ISO_Lb0ESR_SS_SU_SV_SZ_EES10_S11_S12_S13_S17_S18_S19_S1C_S1D_jS1E_jS1F_S1F_jjS1H_bEUljE0_EEES10_S11_S12_S19_S1D_S1F_T6_T7_T9_mT8_S1H_bDpT10_ENKUlT_T0_E_clISt17integral_constantIbLb1EES1U_IbLb0EEEEDaS1Q_S1R_EUlS1Q_E_NS1_11comp_targetILNS1_3genE3ELNS1_11target_archE908ELNS1_3gpuE7ELNS1_3repE0EEENS1_30default_config_static_selectorELNS0_4arch9wavefront6targetE1EEEvS13_
; %bb.0:
	.section	.rodata,"a",@progbits
	.p2align	6, 0x0
	.amdhsa_kernel _ZN7rocprim17ROCPRIM_400000_NS6detail17trampoline_kernelINS0_13select_configILj256ELj13ELNS0_17block_load_methodE3ELS4_3ELS4_3ELNS0_20block_scan_algorithmE0ELj4294967295EEENS1_25partition_config_selectorILNS1_17partition_subalgoE4EjNS0_10empty_typeEbEEZZNS1_14partition_implILS8_4ELb0ES6_15HIP_vector_typeIjLj2EENS0_17counting_iteratorIjlEEPS9_SG_NS0_5tupleIJPjSI_NS0_16reverse_iteratorISI_EEEEENSH_IJSG_SG_SG_EEES9_SI_JZNS1_25segmented_radix_sort_implINS0_14default_configELb0EPK12hip_bfloat16PSP_PKlPlN2at6native12_GLOBAL__N_18offset_tEEE10hipError_tPvRmT1_PNSt15iterator_traitsIS13_E10value_typeET2_T3_PNS14_IS19_E10value_typeET4_jRbjT5_S1F_jjP12ihipStream_tbEUljE_ZNSN_ISO_Lb0ESR_SS_SU_SV_SZ_EES10_S11_S12_S13_S17_S18_S19_S1C_S1D_jS1E_jS1F_S1F_jjS1H_bEUljE0_EEES10_S11_S12_S19_S1D_S1F_T6_T7_T9_mT8_S1H_bDpT10_ENKUlT_T0_E_clISt17integral_constantIbLb1EES1U_IbLb0EEEEDaS1Q_S1R_EUlS1Q_E_NS1_11comp_targetILNS1_3genE3ELNS1_11target_archE908ELNS1_3gpuE7ELNS1_3repE0EEENS1_30default_config_static_selectorELNS0_4arch9wavefront6targetE1EEEvS13_
		.amdhsa_group_segment_fixed_size 0
		.amdhsa_private_segment_fixed_size 0
		.amdhsa_kernarg_size 176
		.amdhsa_user_sgpr_count 6
		.amdhsa_user_sgpr_private_segment_buffer 1
		.amdhsa_user_sgpr_dispatch_ptr 0
		.amdhsa_user_sgpr_queue_ptr 0
		.amdhsa_user_sgpr_kernarg_segment_ptr 1
		.amdhsa_user_sgpr_dispatch_id 0
		.amdhsa_user_sgpr_flat_scratch_init 0
		.amdhsa_user_sgpr_kernarg_preload_length 0
		.amdhsa_user_sgpr_kernarg_preload_offset 0
		.amdhsa_user_sgpr_private_segment_size 0
		.amdhsa_uses_dynamic_stack 0
		.amdhsa_system_sgpr_private_segment_wavefront_offset 0
		.amdhsa_system_sgpr_workgroup_id_x 1
		.amdhsa_system_sgpr_workgroup_id_y 0
		.amdhsa_system_sgpr_workgroup_id_z 0
		.amdhsa_system_sgpr_workgroup_info 0
		.amdhsa_system_vgpr_workitem_id 0
		.amdhsa_next_free_vgpr 1
		.amdhsa_next_free_sgpr 0
		.amdhsa_accum_offset 4
		.amdhsa_reserve_vcc 0
		.amdhsa_reserve_flat_scratch 0
		.amdhsa_float_round_mode_32 0
		.amdhsa_float_round_mode_16_64 0
		.amdhsa_float_denorm_mode_32 3
		.amdhsa_float_denorm_mode_16_64 3
		.amdhsa_dx10_clamp 1
		.amdhsa_ieee_mode 1
		.amdhsa_fp16_overflow 0
		.amdhsa_tg_split 0
		.amdhsa_exception_fp_ieee_invalid_op 0
		.amdhsa_exception_fp_denorm_src 0
		.amdhsa_exception_fp_ieee_div_zero 0
		.amdhsa_exception_fp_ieee_overflow 0
		.amdhsa_exception_fp_ieee_underflow 0
		.amdhsa_exception_fp_ieee_inexact 0
		.amdhsa_exception_int_div_zero 0
	.end_amdhsa_kernel
	.section	.text._ZN7rocprim17ROCPRIM_400000_NS6detail17trampoline_kernelINS0_13select_configILj256ELj13ELNS0_17block_load_methodE3ELS4_3ELS4_3ELNS0_20block_scan_algorithmE0ELj4294967295EEENS1_25partition_config_selectorILNS1_17partition_subalgoE4EjNS0_10empty_typeEbEEZZNS1_14partition_implILS8_4ELb0ES6_15HIP_vector_typeIjLj2EENS0_17counting_iteratorIjlEEPS9_SG_NS0_5tupleIJPjSI_NS0_16reverse_iteratorISI_EEEEENSH_IJSG_SG_SG_EEES9_SI_JZNS1_25segmented_radix_sort_implINS0_14default_configELb0EPK12hip_bfloat16PSP_PKlPlN2at6native12_GLOBAL__N_18offset_tEEE10hipError_tPvRmT1_PNSt15iterator_traitsIS13_E10value_typeET2_T3_PNS14_IS19_E10value_typeET4_jRbjT5_S1F_jjP12ihipStream_tbEUljE_ZNSN_ISO_Lb0ESR_SS_SU_SV_SZ_EES10_S11_S12_S13_S17_S18_S19_S1C_S1D_jS1E_jS1F_S1F_jjS1H_bEUljE0_EEES10_S11_S12_S19_S1D_S1F_T6_T7_T9_mT8_S1H_bDpT10_ENKUlT_T0_E_clISt17integral_constantIbLb1EES1U_IbLb0EEEEDaS1Q_S1R_EUlS1Q_E_NS1_11comp_targetILNS1_3genE3ELNS1_11target_archE908ELNS1_3gpuE7ELNS1_3repE0EEENS1_30default_config_static_selectorELNS0_4arch9wavefront6targetE1EEEvS13_,"axG",@progbits,_ZN7rocprim17ROCPRIM_400000_NS6detail17trampoline_kernelINS0_13select_configILj256ELj13ELNS0_17block_load_methodE3ELS4_3ELS4_3ELNS0_20block_scan_algorithmE0ELj4294967295EEENS1_25partition_config_selectorILNS1_17partition_subalgoE4EjNS0_10empty_typeEbEEZZNS1_14partition_implILS8_4ELb0ES6_15HIP_vector_typeIjLj2EENS0_17counting_iteratorIjlEEPS9_SG_NS0_5tupleIJPjSI_NS0_16reverse_iteratorISI_EEEEENSH_IJSG_SG_SG_EEES9_SI_JZNS1_25segmented_radix_sort_implINS0_14default_configELb0EPK12hip_bfloat16PSP_PKlPlN2at6native12_GLOBAL__N_18offset_tEEE10hipError_tPvRmT1_PNSt15iterator_traitsIS13_E10value_typeET2_T3_PNS14_IS19_E10value_typeET4_jRbjT5_S1F_jjP12ihipStream_tbEUljE_ZNSN_ISO_Lb0ESR_SS_SU_SV_SZ_EES10_S11_S12_S13_S17_S18_S19_S1C_S1D_jS1E_jS1F_S1F_jjS1H_bEUljE0_EEES10_S11_S12_S19_S1D_S1F_T6_T7_T9_mT8_S1H_bDpT10_ENKUlT_T0_E_clISt17integral_constantIbLb1EES1U_IbLb0EEEEDaS1Q_S1R_EUlS1Q_E_NS1_11comp_targetILNS1_3genE3ELNS1_11target_archE908ELNS1_3gpuE7ELNS1_3repE0EEENS1_30default_config_static_selectorELNS0_4arch9wavefront6targetE1EEEvS13_,comdat
.Lfunc_end2002:
	.size	_ZN7rocprim17ROCPRIM_400000_NS6detail17trampoline_kernelINS0_13select_configILj256ELj13ELNS0_17block_load_methodE3ELS4_3ELS4_3ELNS0_20block_scan_algorithmE0ELj4294967295EEENS1_25partition_config_selectorILNS1_17partition_subalgoE4EjNS0_10empty_typeEbEEZZNS1_14partition_implILS8_4ELb0ES6_15HIP_vector_typeIjLj2EENS0_17counting_iteratorIjlEEPS9_SG_NS0_5tupleIJPjSI_NS0_16reverse_iteratorISI_EEEEENSH_IJSG_SG_SG_EEES9_SI_JZNS1_25segmented_radix_sort_implINS0_14default_configELb0EPK12hip_bfloat16PSP_PKlPlN2at6native12_GLOBAL__N_18offset_tEEE10hipError_tPvRmT1_PNSt15iterator_traitsIS13_E10value_typeET2_T3_PNS14_IS19_E10value_typeET4_jRbjT5_S1F_jjP12ihipStream_tbEUljE_ZNSN_ISO_Lb0ESR_SS_SU_SV_SZ_EES10_S11_S12_S13_S17_S18_S19_S1C_S1D_jS1E_jS1F_S1F_jjS1H_bEUljE0_EEES10_S11_S12_S19_S1D_S1F_T6_T7_T9_mT8_S1H_bDpT10_ENKUlT_T0_E_clISt17integral_constantIbLb1EES1U_IbLb0EEEEDaS1Q_S1R_EUlS1Q_E_NS1_11comp_targetILNS1_3genE3ELNS1_11target_archE908ELNS1_3gpuE7ELNS1_3repE0EEENS1_30default_config_static_selectorELNS0_4arch9wavefront6targetE1EEEvS13_, .Lfunc_end2002-_ZN7rocprim17ROCPRIM_400000_NS6detail17trampoline_kernelINS0_13select_configILj256ELj13ELNS0_17block_load_methodE3ELS4_3ELS4_3ELNS0_20block_scan_algorithmE0ELj4294967295EEENS1_25partition_config_selectorILNS1_17partition_subalgoE4EjNS0_10empty_typeEbEEZZNS1_14partition_implILS8_4ELb0ES6_15HIP_vector_typeIjLj2EENS0_17counting_iteratorIjlEEPS9_SG_NS0_5tupleIJPjSI_NS0_16reverse_iteratorISI_EEEEENSH_IJSG_SG_SG_EEES9_SI_JZNS1_25segmented_radix_sort_implINS0_14default_configELb0EPK12hip_bfloat16PSP_PKlPlN2at6native12_GLOBAL__N_18offset_tEEE10hipError_tPvRmT1_PNSt15iterator_traitsIS13_E10value_typeET2_T3_PNS14_IS19_E10value_typeET4_jRbjT5_S1F_jjP12ihipStream_tbEUljE_ZNSN_ISO_Lb0ESR_SS_SU_SV_SZ_EES10_S11_S12_S13_S17_S18_S19_S1C_S1D_jS1E_jS1F_S1F_jjS1H_bEUljE0_EEES10_S11_S12_S19_S1D_S1F_T6_T7_T9_mT8_S1H_bDpT10_ENKUlT_T0_E_clISt17integral_constantIbLb1EES1U_IbLb0EEEEDaS1Q_S1R_EUlS1Q_E_NS1_11comp_targetILNS1_3genE3ELNS1_11target_archE908ELNS1_3gpuE7ELNS1_3repE0EEENS1_30default_config_static_selectorELNS0_4arch9wavefront6targetE1EEEvS13_
                                        ; -- End function
	.section	.AMDGPU.csdata,"",@progbits
; Kernel info:
; codeLenInByte = 0
; NumSgprs: 4
; NumVgprs: 0
; NumAgprs: 0
; TotalNumVgprs: 0
; ScratchSize: 0
; MemoryBound: 0
; FloatMode: 240
; IeeeMode: 1
; LDSByteSize: 0 bytes/workgroup (compile time only)
; SGPRBlocks: 0
; VGPRBlocks: 0
; NumSGPRsForWavesPerEU: 4
; NumVGPRsForWavesPerEU: 1
; AccumOffset: 4
; Occupancy: 8
; WaveLimiterHint : 0
; COMPUTE_PGM_RSRC2:SCRATCH_EN: 0
; COMPUTE_PGM_RSRC2:USER_SGPR: 6
; COMPUTE_PGM_RSRC2:TRAP_HANDLER: 0
; COMPUTE_PGM_RSRC2:TGID_X_EN: 1
; COMPUTE_PGM_RSRC2:TGID_Y_EN: 0
; COMPUTE_PGM_RSRC2:TGID_Z_EN: 0
; COMPUTE_PGM_RSRC2:TIDIG_COMP_CNT: 0
; COMPUTE_PGM_RSRC3_GFX90A:ACCUM_OFFSET: 0
; COMPUTE_PGM_RSRC3_GFX90A:TG_SPLIT: 0
	.section	.text._ZN7rocprim17ROCPRIM_400000_NS6detail17trampoline_kernelINS0_13select_configILj256ELj13ELNS0_17block_load_methodE3ELS4_3ELS4_3ELNS0_20block_scan_algorithmE0ELj4294967295EEENS1_25partition_config_selectorILNS1_17partition_subalgoE4EjNS0_10empty_typeEbEEZZNS1_14partition_implILS8_4ELb0ES6_15HIP_vector_typeIjLj2EENS0_17counting_iteratorIjlEEPS9_SG_NS0_5tupleIJPjSI_NS0_16reverse_iteratorISI_EEEEENSH_IJSG_SG_SG_EEES9_SI_JZNS1_25segmented_radix_sort_implINS0_14default_configELb0EPK12hip_bfloat16PSP_PKlPlN2at6native12_GLOBAL__N_18offset_tEEE10hipError_tPvRmT1_PNSt15iterator_traitsIS13_E10value_typeET2_T3_PNS14_IS19_E10value_typeET4_jRbjT5_S1F_jjP12ihipStream_tbEUljE_ZNSN_ISO_Lb0ESR_SS_SU_SV_SZ_EES10_S11_S12_S13_S17_S18_S19_S1C_S1D_jS1E_jS1F_S1F_jjS1H_bEUljE0_EEES10_S11_S12_S19_S1D_S1F_T6_T7_T9_mT8_S1H_bDpT10_ENKUlT_T0_E_clISt17integral_constantIbLb1EES1U_IbLb0EEEEDaS1Q_S1R_EUlS1Q_E_NS1_11comp_targetILNS1_3genE2ELNS1_11target_archE906ELNS1_3gpuE6ELNS1_3repE0EEENS1_30default_config_static_selectorELNS0_4arch9wavefront6targetE1EEEvS13_,"axG",@progbits,_ZN7rocprim17ROCPRIM_400000_NS6detail17trampoline_kernelINS0_13select_configILj256ELj13ELNS0_17block_load_methodE3ELS4_3ELS4_3ELNS0_20block_scan_algorithmE0ELj4294967295EEENS1_25partition_config_selectorILNS1_17partition_subalgoE4EjNS0_10empty_typeEbEEZZNS1_14partition_implILS8_4ELb0ES6_15HIP_vector_typeIjLj2EENS0_17counting_iteratorIjlEEPS9_SG_NS0_5tupleIJPjSI_NS0_16reverse_iteratorISI_EEEEENSH_IJSG_SG_SG_EEES9_SI_JZNS1_25segmented_radix_sort_implINS0_14default_configELb0EPK12hip_bfloat16PSP_PKlPlN2at6native12_GLOBAL__N_18offset_tEEE10hipError_tPvRmT1_PNSt15iterator_traitsIS13_E10value_typeET2_T3_PNS14_IS19_E10value_typeET4_jRbjT5_S1F_jjP12ihipStream_tbEUljE_ZNSN_ISO_Lb0ESR_SS_SU_SV_SZ_EES10_S11_S12_S13_S17_S18_S19_S1C_S1D_jS1E_jS1F_S1F_jjS1H_bEUljE0_EEES10_S11_S12_S19_S1D_S1F_T6_T7_T9_mT8_S1H_bDpT10_ENKUlT_T0_E_clISt17integral_constantIbLb1EES1U_IbLb0EEEEDaS1Q_S1R_EUlS1Q_E_NS1_11comp_targetILNS1_3genE2ELNS1_11target_archE906ELNS1_3gpuE6ELNS1_3repE0EEENS1_30default_config_static_selectorELNS0_4arch9wavefront6targetE1EEEvS13_,comdat
	.globl	_ZN7rocprim17ROCPRIM_400000_NS6detail17trampoline_kernelINS0_13select_configILj256ELj13ELNS0_17block_load_methodE3ELS4_3ELS4_3ELNS0_20block_scan_algorithmE0ELj4294967295EEENS1_25partition_config_selectorILNS1_17partition_subalgoE4EjNS0_10empty_typeEbEEZZNS1_14partition_implILS8_4ELb0ES6_15HIP_vector_typeIjLj2EENS0_17counting_iteratorIjlEEPS9_SG_NS0_5tupleIJPjSI_NS0_16reverse_iteratorISI_EEEEENSH_IJSG_SG_SG_EEES9_SI_JZNS1_25segmented_radix_sort_implINS0_14default_configELb0EPK12hip_bfloat16PSP_PKlPlN2at6native12_GLOBAL__N_18offset_tEEE10hipError_tPvRmT1_PNSt15iterator_traitsIS13_E10value_typeET2_T3_PNS14_IS19_E10value_typeET4_jRbjT5_S1F_jjP12ihipStream_tbEUljE_ZNSN_ISO_Lb0ESR_SS_SU_SV_SZ_EES10_S11_S12_S13_S17_S18_S19_S1C_S1D_jS1E_jS1F_S1F_jjS1H_bEUljE0_EEES10_S11_S12_S19_S1D_S1F_T6_T7_T9_mT8_S1H_bDpT10_ENKUlT_T0_E_clISt17integral_constantIbLb1EES1U_IbLb0EEEEDaS1Q_S1R_EUlS1Q_E_NS1_11comp_targetILNS1_3genE2ELNS1_11target_archE906ELNS1_3gpuE6ELNS1_3repE0EEENS1_30default_config_static_selectorELNS0_4arch9wavefront6targetE1EEEvS13_ ; -- Begin function _ZN7rocprim17ROCPRIM_400000_NS6detail17trampoline_kernelINS0_13select_configILj256ELj13ELNS0_17block_load_methodE3ELS4_3ELS4_3ELNS0_20block_scan_algorithmE0ELj4294967295EEENS1_25partition_config_selectorILNS1_17partition_subalgoE4EjNS0_10empty_typeEbEEZZNS1_14partition_implILS8_4ELb0ES6_15HIP_vector_typeIjLj2EENS0_17counting_iteratorIjlEEPS9_SG_NS0_5tupleIJPjSI_NS0_16reverse_iteratorISI_EEEEENSH_IJSG_SG_SG_EEES9_SI_JZNS1_25segmented_radix_sort_implINS0_14default_configELb0EPK12hip_bfloat16PSP_PKlPlN2at6native12_GLOBAL__N_18offset_tEEE10hipError_tPvRmT1_PNSt15iterator_traitsIS13_E10value_typeET2_T3_PNS14_IS19_E10value_typeET4_jRbjT5_S1F_jjP12ihipStream_tbEUljE_ZNSN_ISO_Lb0ESR_SS_SU_SV_SZ_EES10_S11_S12_S13_S17_S18_S19_S1C_S1D_jS1E_jS1F_S1F_jjS1H_bEUljE0_EEES10_S11_S12_S19_S1D_S1F_T6_T7_T9_mT8_S1H_bDpT10_ENKUlT_T0_E_clISt17integral_constantIbLb1EES1U_IbLb0EEEEDaS1Q_S1R_EUlS1Q_E_NS1_11comp_targetILNS1_3genE2ELNS1_11target_archE906ELNS1_3gpuE6ELNS1_3repE0EEENS1_30default_config_static_selectorELNS0_4arch9wavefront6targetE1EEEvS13_
	.p2align	8
	.type	_ZN7rocprim17ROCPRIM_400000_NS6detail17trampoline_kernelINS0_13select_configILj256ELj13ELNS0_17block_load_methodE3ELS4_3ELS4_3ELNS0_20block_scan_algorithmE0ELj4294967295EEENS1_25partition_config_selectorILNS1_17partition_subalgoE4EjNS0_10empty_typeEbEEZZNS1_14partition_implILS8_4ELb0ES6_15HIP_vector_typeIjLj2EENS0_17counting_iteratorIjlEEPS9_SG_NS0_5tupleIJPjSI_NS0_16reverse_iteratorISI_EEEEENSH_IJSG_SG_SG_EEES9_SI_JZNS1_25segmented_radix_sort_implINS0_14default_configELb0EPK12hip_bfloat16PSP_PKlPlN2at6native12_GLOBAL__N_18offset_tEEE10hipError_tPvRmT1_PNSt15iterator_traitsIS13_E10value_typeET2_T3_PNS14_IS19_E10value_typeET4_jRbjT5_S1F_jjP12ihipStream_tbEUljE_ZNSN_ISO_Lb0ESR_SS_SU_SV_SZ_EES10_S11_S12_S13_S17_S18_S19_S1C_S1D_jS1E_jS1F_S1F_jjS1H_bEUljE0_EEES10_S11_S12_S19_S1D_S1F_T6_T7_T9_mT8_S1H_bDpT10_ENKUlT_T0_E_clISt17integral_constantIbLb1EES1U_IbLb0EEEEDaS1Q_S1R_EUlS1Q_E_NS1_11comp_targetILNS1_3genE2ELNS1_11target_archE906ELNS1_3gpuE6ELNS1_3repE0EEENS1_30default_config_static_selectorELNS0_4arch9wavefront6targetE1EEEvS13_,@function
_ZN7rocprim17ROCPRIM_400000_NS6detail17trampoline_kernelINS0_13select_configILj256ELj13ELNS0_17block_load_methodE3ELS4_3ELS4_3ELNS0_20block_scan_algorithmE0ELj4294967295EEENS1_25partition_config_selectorILNS1_17partition_subalgoE4EjNS0_10empty_typeEbEEZZNS1_14partition_implILS8_4ELb0ES6_15HIP_vector_typeIjLj2EENS0_17counting_iteratorIjlEEPS9_SG_NS0_5tupleIJPjSI_NS0_16reverse_iteratorISI_EEEEENSH_IJSG_SG_SG_EEES9_SI_JZNS1_25segmented_radix_sort_implINS0_14default_configELb0EPK12hip_bfloat16PSP_PKlPlN2at6native12_GLOBAL__N_18offset_tEEE10hipError_tPvRmT1_PNSt15iterator_traitsIS13_E10value_typeET2_T3_PNS14_IS19_E10value_typeET4_jRbjT5_S1F_jjP12ihipStream_tbEUljE_ZNSN_ISO_Lb0ESR_SS_SU_SV_SZ_EES10_S11_S12_S13_S17_S18_S19_S1C_S1D_jS1E_jS1F_S1F_jjS1H_bEUljE0_EEES10_S11_S12_S19_S1D_S1F_T6_T7_T9_mT8_S1H_bDpT10_ENKUlT_T0_E_clISt17integral_constantIbLb1EES1U_IbLb0EEEEDaS1Q_S1R_EUlS1Q_E_NS1_11comp_targetILNS1_3genE2ELNS1_11target_archE906ELNS1_3gpuE6ELNS1_3repE0EEENS1_30default_config_static_selectorELNS0_4arch9wavefront6targetE1EEEvS13_: ; @_ZN7rocprim17ROCPRIM_400000_NS6detail17trampoline_kernelINS0_13select_configILj256ELj13ELNS0_17block_load_methodE3ELS4_3ELS4_3ELNS0_20block_scan_algorithmE0ELj4294967295EEENS1_25partition_config_selectorILNS1_17partition_subalgoE4EjNS0_10empty_typeEbEEZZNS1_14partition_implILS8_4ELb0ES6_15HIP_vector_typeIjLj2EENS0_17counting_iteratorIjlEEPS9_SG_NS0_5tupleIJPjSI_NS0_16reverse_iteratorISI_EEEEENSH_IJSG_SG_SG_EEES9_SI_JZNS1_25segmented_radix_sort_implINS0_14default_configELb0EPK12hip_bfloat16PSP_PKlPlN2at6native12_GLOBAL__N_18offset_tEEE10hipError_tPvRmT1_PNSt15iterator_traitsIS13_E10value_typeET2_T3_PNS14_IS19_E10value_typeET4_jRbjT5_S1F_jjP12ihipStream_tbEUljE_ZNSN_ISO_Lb0ESR_SS_SU_SV_SZ_EES10_S11_S12_S13_S17_S18_S19_S1C_S1D_jS1E_jS1F_S1F_jjS1H_bEUljE0_EEES10_S11_S12_S19_S1D_S1F_T6_T7_T9_mT8_S1H_bDpT10_ENKUlT_T0_E_clISt17integral_constantIbLb1EES1U_IbLb0EEEEDaS1Q_S1R_EUlS1Q_E_NS1_11comp_targetILNS1_3genE2ELNS1_11target_archE906ELNS1_3gpuE6ELNS1_3repE0EEENS1_30default_config_static_selectorELNS0_4arch9wavefront6targetE1EEEvS13_
; %bb.0:
	.section	.rodata,"a",@progbits
	.p2align	6, 0x0
	.amdhsa_kernel _ZN7rocprim17ROCPRIM_400000_NS6detail17trampoline_kernelINS0_13select_configILj256ELj13ELNS0_17block_load_methodE3ELS4_3ELS4_3ELNS0_20block_scan_algorithmE0ELj4294967295EEENS1_25partition_config_selectorILNS1_17partition_subalgoE4EjNS0_10empty_typeEbEEZZNS1_14partition_implILS8_4ELb0ES6_15HIP_vector_typeIjLj2EENS0_17counting_iteratorIjlEEPS9_SG_NS0_5tupleIJPjSI_NS0_16reverse_iteratorISI_EEEEENSH_IJSG_SG_SG_EEES9_SI_JZNS1_25segmented_radix_sort_implINS0_14default_configELb0EPK12hip_bfloat16PSP_PKlPlN2at6native12_GLOBAL__N_18offset_tEEE10hipError_tPvRmT1_PNSt15iterator_traitsIS13_E10value_typeET2_T3_PNS14_IS19_E10value_typeET4_jRbjT5_S1F_jjP12ihipStream_tbEUljE_ZNSN_ISO_Lb0ESR_SS_SU_SV_SZ_EES10_S11_S12_S13_S17_S18_S19_S1C_S1D_jS1E_jS1F_S1F_jjS1H_bEUljE0_EEES10_S11_S12_S19_S1D_S1F_T6_T7_T9_mT8_S1H_bDpT10_ENKUlT_T0_E_clISt17integral_constantIbLb1EES1U_IbLb0EEEEDaS1Q_S1R_EUlS1Q_E_NS1_11comp_targetILNS1_3genE2ELNS1_11target_archE906ELNS1_3gpuE6ELNS1_3repE0EEENS1_30default_config_static_selectorELNS0_4arch9wavefront6targetE1EEEvS13_
		.amdhsa_group_segment_fixed_size 0
		.amdhsa_private_segment_fixed_size 0
		.amdhsa_kernarg_size 176
		.amdhsa_user_sgpr_count 6
		.amdhsa_user_sgpr_private_segment_buffer 1
		.amdhsa_user_sgpr_dispatch_ptr 0
		.amdhsa_user_sgpr_queue_ptr 0
		.amdhsa_user_sgpr_kernarg_segment_ptr 1
		.amdhsa_user_sgpr_dispatch_id 0
		.amdhsa_user_sgpr_flat_scratch_init 0
		.amdhsa_user_sgpr_kernarg_preload_length 0
		.amdhsa_user_sgpr_kernarg_preload_offset 0
		.amdhsa_user_sgpr_private_segment_size 0
		.amdhsa_uses_dynamic_stack 0
		.amdhsa_system_sgpr_private_segment_wavefront_offset 0
		.amdhsa_system_sgpr_workgroup_id_x 1
		.amdhsa_system_sgpr_workgroup_id_y 0
		.amdhsa_system_sgpr_workgroup_id_z 0
		.amdhsa_system_sgpr_workgroup_info 0
		.amdhsa_system_vgpr_workitem_id 0
		.amdhsa_next_free_vgpr 1
		.amdhsa_next_free_sgpr 0
		.amdhsa_accum_offset 4
		.amdhsa_reserve_vcc 0
		.amdhsa_reserve_flat_scratch 0
		.amdhsa_float_round_mode_32 0
		.amdhsa_float_round_mode_16_64 0
		.amdhsa_float_denorm_mode_32 3
		.amdhsa_float_denorm_mode_16_64 3
		.amdhsa_dx10_clamp 1
		.amdhsa_ieee_mode 1
		.amdhsa_fp16_overflow 0
		.amdhsa_tg_split 0
		.amdhsa_exception_fp_ieee_invalid_op 0
		.amdhsa_exception_fp_denorm_src 0
		.amdhsa_exception_fp_ieee_div_zero 0
		.amdhsa_exception_fp_ieee_overflow 0
		.amdhsa_exception_fp_ieee_underflow 0
		.amdhsa_exception_fp_ieee_inexact 0
		.amdhsa_exception_int_div_zero 0
	.end_amdhsa_kernel
	.section	.text._ZN7rocprim17ROCPRIM_400000_NS6detail17trampoline_kernelINS0_13select_configILj256ELj13ELNS0_17block_load_methodE3ELS4_3ELS4_3ELNS0_20block_scan_algorithmE0ELj4294967295EEENS1_25partition_config_selectorILNS1_17partition_subalgoE4EjNS0_10empty_typeEbEEZZNS1_14partition_implILS8_4ELb0ES6_15HIP_vector_typeIjLj2EENS0_17counting_iteratorIjlEEPS9_SG_NS0_5tupleIJPjSI_NS0_16reverse_iteratorISI_EEEEENSH_IJSG_SG_SG_EEES9_SI_JZNS1_25segmented_radix_sort_implINS0_14default_configELb0EPK12hip_bfloat16PSP_PKlPlN2at6native12_GLOBAL__N_18offset_tEEE10hipError_tPvRmT1_PNSt15iterator_traitsIS13_E10value_typeET2_T3_PNS14_IS19_E10value_typeET4_jRbjT5_S1F_jjP12ihipStream_tbEUljE_ZNSN_ISO_Lb0ESR_SS_SU_SV_SZ_EES10_S11_S12_S13_S17_S18_S19_S1C_S1D_jS1E_jS1F_S1F_jjS1H_bEUljE0_EEES10_S11_S12_S19_S1D_S1F_T6_T7_T9_mT8_S1H_bDpT10_ENKUlT_T0_E_clISt17integral_constantIbLb1EES1U_IbLb0EEEEDaS1Q_S1R_EUlS1Q_E_NS1_11comp_targetILNS1_3genE2ELNS1_11target_archE906ELNS1_3gpuE6ELNS1_3repE0EEENS1_30default_config_static_selectorELNS0_4arch9wavefront6targetE1EEEvS13_,"axG",@progbits,_ZN7rocprim17ROCPRIM_400000_NS6detail17trampoline_kernelINS0_13select_configILj256ELj13ELNS0_17block_load_methodE3ELS4_3ELS4_3ELNS0_20block_scan_algorithmE0ELj4294967295EEENS1_25partition_config_selectorILNS1_17partition_subalgoE4EjNS0_10empty_typeEbEEZZNS1_14partition_implILS8_4ELb0ES6_15HIP_vector_typeIjLj2EENS0_17counting_iteratorIjlEEPS9_SG_NS0_5tupleIJPjSI_NS0_16reverse_iteratorISI_EEEEENSH_IJSG_SG_SG_EEES9_SI_JZNS1_25segmented_radix_sort_implINS0_14default_configELb0EPK12hip_bfloat16PSP_PKlPlN2at6native12_GLOBAL__N_18offset_tEEE10hipError_tPvRmT1_PNSt15iterator_traitsIS13_E10value_typeET2_T3_PNS14_IS19_E10value_typeET4_jRbjT5_S1F_jjP12ihipStream_tbEUljE_ZNSN_ISO_Lb0ESR_SS_SU_SV_SZ_EES10_S11_S12_S13_S17_S18_S19_S1C_S1D_jS1E_jS1F_S1F_jjS1H_bEUljE0_EEES10_S11_S12_S19_S1D_S1F_T6_T7_T9_mT8_S1H_bDpT10_ENKUlT_T0_E_clISt17integral_constantIbLb1EES1U_IbLb0EEEEDaS1Q_S1R_EUlS1Q_E_NS1_11comp_targetILNS1_3genE2ELNS1_11target_archE906ELNS1_3gpuE6ELNS1_3repE0EEENS1_30default_config_static_selectorELNS0_4arch9wavefront6targetE1EEEvS13_,comdat
.Lfunc_end2003:
	.size	_ZN7rocprim17ROCPRIM_400000_NS6detail17trampoline_kernelINS0_13select_configILj256ELj13ELNS0_17block_load_methodE3ELS4_3ELS4_3ELNS0_20block_scan_algorithmE0ELj4294967295EEENS1_25partition_config_selectorILNS1_17partition_subalgoE4EjNS0_10empty_typeEbEEZZNS1_14partition_implILS8_4ELb0ES6_15HIP_vector_typeIjLj2EENS0_17counting_iteratorIjlEEPS9_SG_NS0_5tupleIJPjSI_NS0_16reverse_iteratorISI_EEEEENSH_IJSG_SG_SG_EEES9_SI_JZNS1_25segmented_radix_sort_implINS0_14default_configELb0EPK12hip_bfloat16PSP_PKlPlN2at6native12_GLOBAL__N_18offset_tEEE10hipError_tPvRmT1_PNSt15iterator_traitsIS13_E10value_typeET2_T3_PNS14_IS19_E10value_typeET4_jRbjT5_S1F_jjP12ihipStream_tbEUljE_ZNSN_ISO_Lb0ESR_SS_SU_SV_SZ_EES10_S11_S12_S13_S17_S18_S19_S1C_S1D_jS1E_jS1F_S1F_jjS1H_bEUljE0_EEES10_S11_S12_S19_S1D_S1F_T6_T7_T9_mT8_S1H_bDpT10_ENKUlT_T0_E_clISt17integral_constantIbLb1EES1U_IbLb0EEEEDaS1Q_S1R_EUlS1Q_E_NS1_11comp_targetILNS1_3genE2ELNS1_11target_archE906ELNS1_3gpuE6ELNS1_3repE0EEENS1_30default_config_static_selectorELNS0_4arch9wavefront6targetE1EEEvS13_, .Lfunc_end2003-_ZN7rocprim17ROCPRIM_400000_NS6detail17trampoline_kernelINS0_13select_configILj256ELj13ELNS0_17block_load_methodE3ELS4_3ELS4_3ELNS0_20block_scan_algorithmE0ELj4294967295EEENS1_25partition_config_selectorILNS1_17partition_subalgoE4EjNS0_10empty_typeEbEEZZNS1_14partition_implILS8_4ELb0ES6_15HIP_vector_typeIjLj2EENS0_17counting_iteratorIjlEEPS9_SG_NS0_5tupleIJPjSI_NS0_16reverse_iteratorISI_EEEEENSH_IJSG_SG_SG_EEES9_SI_JZNS1_25segmented_radix_sort_implINS0_14default_configELb0EPK12hip_bfloat16PSP_PKlPlN2at6native12_GLOBAL__N_18offset_tEEE10hipError_tPvRmT1_PNSt15iterator_traitsIS13_E10value_typeET2_T3_PNS14_IS19_E10value_typeET4_jRbjT5_S1F_jjP12ihipStream_tbEUljE_ZNSN_ISO_Lb0ESR_SS_SU_SV_SZ_EES10_S11_S12_S13_S17_S18_S19_S1C_S1D_jS1E_jS1F_S1F_jjS1H_bEUljE0_EEES10_S11_S12_S19_S1D_S1F_T6_T7_T9_mT8_S1H_bDpT10_ENKUlT_T0_E_clISt17integral_constantIbLb1EES1U_IbLb0EEEEDaS1Q_S1R_EUlS1Q_E_NS1_11comp_targetILNS1_3genE2ELNS1_11target_archE906ELNS1_3gpuE6ELNS1_3repE0EEENS1_30default_config_static_selectorELNS0_4arch9wavefront6targetE1EEEvS13_
                                        ; -- End function
	.section	.AMDGPU.csdata,"",@progbits
; Kernel info:
; codeLenInByte = 0
; NumSgprs: 4
; NumVgprs: 0
; NumAgprs: 0
; TotalNumVgprs: 0
; ScratchSize: 0
; MemoryBound: 0
; FloatMode: 240
; IeeeMode: 1
; LDSByteSize: 0 bytes/workgroup (compile time only)
; SGPRBlocks: 0
; VGPRBlocks: 0
; NumSGPRsForWavesPerEU: 4
; NumVGPRsForWavesPerEU: 1
; AccumOffset: 4
; Occupancy: 8
; WaveLimiterHint : 0
; COMPUTE_PGM_RSRC2:SCRATCH_EN: 0
; COMPUTE_PGM_RSRC2:USER_SGPR: 6
; COMPUTE_PGM_RSRC2:TRAP_HANDLER: 0
; COMPUTE_PGM_RSRC2:TGID_X_EN: 1
; COMPUTE_PGM_RSRC2:TGID_Y_EN: 0
; COMPUTE_PGM_RSRC2:TGID_Z_EN: 0
; COMPUTE_PGM_RSRC2:TIDIG_COMP_CNT: 0
; COMPUTE_PGM_RSRC3_GFX90A:ACCUM_OFFSET: 0
; COMPUTE_PGM_RSRC3_GFX90A:TG_SPLIT: 0
	.section	.text._ZN7rocprim17ROCPRIM_400000_NS6detail17trampoline_kernelINS0_13select_configILj256ELj13ELNS0_17block_load_methodE3ELS4_3ELS4_3ELNS0_20block_scan_algorithmE0ELj4294967295EEENS1_25partition_config_selectorILNS1_17partition_subalgoE4EjNS0_10empty_typeEbEEZZNS1_14partition_implILS8_4ELb0ES6_15HIP_vector_typeIjLj2EENS0_17counting_iteratorIjlEEPS9_SG_NS0_5tupleIJPjSI_NS0_16reverse_iteratorISI_EEEEENSH_IJSG_SG_SG_EEES9_SI_JZNS1_25segmented_radix_sort_implINS0_14default_configELb0EPK12hip_bfloat16PSP_PKlPlN2at6native12_GLOBAL__N_18offset_tEEE10hipError_tPvRmT1_PNSt15iterator_traitsIS13_E10value_typeET2_T3_PNS14_IS19_E10value_typeET4_jRbjT5_S1F_jjP12ihipStream_tbEUljE_ZNSN_ISO_Lb0ESR_SS_SU_SV_SZ_EES10_S11_S12_S13_S17_S18_S19_S1C_S1D_jS1E_jS1F_S1F_jjS1H_bEUljE0_EEES10_S11_S12_S19_S1D_S1F_T6_T7_T9_mT8_S1H_bDpT10_ENKUlT_T0_E_clISt17integral_constantIbLb1EES1U_IbLb0EEEEDaS1Q_S1R_EUlS1Q_E_NS1_11comp_targetILNS1_3genE10ELNS1_11target_archE1200ELNS1_3gpuE4ELNS1_3repE0EEENS1_30default_config_static_selectorELNS0_4arch9wavefront6targetE1EEEvS13_,"axG",@progbits,_ZN7rocprim17ROCPRIM_400000_NS6detail17trampoline_kernelINS0_13select_configILj256ELj13ELNS0_17block_load_methodE3ELS4_3ELS4_3ELNS0_20block_scan_algorithmE0ELj4294967295EEENS1_25partition_config_selectorILNS1_17partition_subalgoE4EjNS0_10empty_typeEbEEZZNS1_14partition_implILS8_4ELb0ES6_15HIP_vector_typeIjLj2EENS0_17counting_iteratorIjlEEPS9_SG_NS0_5tupleIJPjSI_NS0_16reverse_iteratorISI_EEEEENSH_IJSG_SG_SG_EEES9_SI_JZNS1_25segmented_radix_sort_implINS0_14default_configELb0EPK12hip_bfloat16PSP_PKlPlN2at6native12_GLOBAL__N_18offset_tEEE10hipError_tPvRmT1_PNSt15iterator_traitsIS13_E10value_typeET2_T3_PNS14_IS19_E10value_typeET4_jRbjT5_S1F_jjP12ihipStream_tbEUljE_ZNSN_ISO_Lb0ESR_SS_SU_SV_SZ_EES10_S11_S12_S13_S17_S18_S19_S1C_S1D_jS1E_jS1F_S1F_jjS1H_bEUljE0_EEES10_S11_S12_S19_S1D_S1F_T6_T7_T9_mT8_S1H_bDpT10_ENKUlT_T0_E_clISt17integral_constantIbLb1EES1U_IbLb0EEEEDaS1Q_S1R_EUlS1Q_E_NS1_11comp_targetILNS1_3genE10ELNS1_11target_archE1200ELNS1_3gpuE4ELNS1_3repE0EEENS1_30default_config_static_selectorELNS0_4arch9wavefront6targetE1EEEvS13_,comdat
	.globl	_ZN7rocprim17ROCPRIM_400000_NS6detail17trampoline_kernelINS0_13select_configILj256ELj13ELNS0_17block_load_methodE3ELS4_3ELS4_3ELNS0_20block_scan_algorithmE0ELj4294967295EEENS1_25partition_config_selectorILNS1_17partition_subalgoE4EjNS0_10empty_typeEbEEZZNS1_14partition_implILS8_4ELb0ES6_15HIP_vector_typeIjLj2EENS0_17counting_iteratorIjlEEPS9_SG_NS0_5tupleIJPjSI_NS0_16reverse_iteratorISI_EEEEENSH_IJSG_SG_SG_EEES9_SI_JZNS1_25segmented_radix_sort_implINS0_14default_configELb0EPK12hip_bfloat16PSP_PKlPlN2at6native12_GLOBAL__N_18offset_tEEE10hipError_tPvRmT1_PNSt15iterator_traitsIS13_E10value_typeET2_T3_PNS14_IS19_E10value_typeET4_jRbjT5_S1F_jjP12ihipStream_tbEUljE_ZNSN_ISO_Lb0ESR_SS_SU_SV_SZ_EES10_S11_S12_S13_S17_S18_S19_S1C_S1D_jS1E_jS1F_S1F_jjS1H_bEUljE0_EEES10_S11_S12_S19_S1D_S1F_T6_T7_T9_mT8_S1H_bDpT10_ENKUlT_T0_E_clISt17integral_constantIbLb1EES1U_IbLb0EEEEDaS1Q_S1R_EUlS1Q_E_NS1_11comp_targetILNS1_3genE10ELNS1_11target_archE1200ELNS1_3gpuE4ELNS1_3repE0EEENS1_30default_config_static_selectorELNS0_4arch9wavefront6targetE1EEEvS13_ ; -- Begin function _ZN7rocprim17ROCPRIM_400000_NS6detail17trampoline_kernelINS0_13select_configILj256ELj13ELNS0_17block_load_methodE3ELS4_3ELS4_3ELNS0_20block_scan_algorithmE0ELj4294967295EEENS1_25partition_config_selectorILNS1_17partition_subalgoE4EjNS0_10empty_typeEbEEZZNS1_14partition_implILS8_4ELb0ES6_15HIP_vector_typeIjLj2EENS0_17counting_iteratorIjlEEPS9_SG_NS0_5tupleIJPjSI_NS0_16reverse_iteratorISI_EEEEENSH_IJSG_SG_SG_EEES9_SI_JZNS1_25segmented_radix_sort_implINS0_14default_configELb0EPK12hip_bfloat16PSP_PKlPlN2at6native12_GLOBAL__N_18offset_tEEE10hipError_tPvRmT1_PNSt15iterator_traitsIS13_E10value_typeET2_T3_PNS14_IS19_E10value_typeET4_jRbjT5_S1F_jjP12ihipStream_tbEUljE_ZNSN_ISO_Lb0ESR_SS_SU_SV_SZ_EES10_S11_S12_S13_S17_S18_S19_S1C_S1D_jS1E_jS1F_S1F_jjS1H_bEUljE0_EEES10_S11_S12_S19_S1D_S1F_T6_T7_T9_mT8_S1H_bDpT10_ENKUlT_T0_E_clISt17integral_constantIbLb1EES1U_IbLb0EEEEDaS1Q_S1R_EUlS1Q_E_NS1_11comp_targetILNS1_3genE10ELNS1_11target_archE1200ELNS1_3gpuE4ELNS1_3repE0EEENS1_30default_config_static_selectorELNS0_4arch9wavefront6targetE1EEEvS13_
	.p2align	8
	.type	_ZN7rocprim17ROCPRIM_400000_NS6detail17trampoline_kernelINS0_13select_configILj256ELj13ELNS0_17block_load_methodE3ELS4_3ELS4_3ELNS0_20block_scan_algorithmE0ELj4294967295EEENS1_25partition_config_selectorILNS1_17partition_subalgoE4EjNS0_10empty_typeEbEEZZNS1_14partition_implILS8_4ELb0ES6_15HIP_vector_typeIjLj2EENS0_17counting_iteratorIjlEEPS9_SG_NS0_5tupleIJPjSI_NS0_16reverse_iteratorISI_EEEEENSH_IJSG_SG_SG_EEES9_SI_JZNS1_25segmented_radix_sort_implINS0_14default_configELb0EPK12hip_bfloat16PSP_PKlPlN2at6native12_GLOBAL__N_18offset_tEEE10hipError_tPvRmT1_PNSt15iterator_traitsIS13_E10value_typeET2_T3_PNS14_IS19_E10value_typeET4_jRbjT5_S1F_jjP12ihipStream_tbEUljE_ZNSN_ISO_Lb0ESR_SS_SU_SV_SZ_EES10_S11_S12_S13_S17_S18_S19_S1C_S1D_jS1E_jS1F_S1F_jjS1H_bEUljE0_EEES10_S11_S12_S19_S1D_S1F_T6_T7_T9_mT8_S1H_bDpT10_ENKUlT_T0_E_clISt17integral_constantIbLb1EES1U_IbLb0EEEEDaS1Q_S1R_EUlS1Q_E_NS1_11comp_targetILNS1_3genE10ELNS1_11target_archE1200ELNS1_3gpuE4ELNS1_3repE0EEENS1_30default_config_static_selectorELNS0_4arch9wavefront6targetE1EEEvS13_,@function
_ZN7rocprim17ROCPRIM_400000_NS6detail17trampoline_kernelINS0_13select_configILj256ELj13ELNS0_17block_load_methodE3ELS4_3ELS4_3ELNS0_20block_scan_algorithmE0ELj4294967295EEENS1_25partition_config_selectorILNS1_17partition_subalgoE4EjNS0_10empty_typeEbEEZZNS1_14partition_implILS8_4ELb0ES6_15HIP_vector_typeIjLj2EENS0_17counting_iteratorIjlEEPS9_SG_NS0_5tupleIJPjSI_NS0_16reverse_iteratorISI_EEEEENSH_IJSG_SG_SG_EEES9_SI_JZNS1_25segmented_radix_sort_implINS0_14default_configELb0EPK12hip_bfloat16PSP_PKlPlN2at6native12_GLOBAL__N_18offset_tEEE10hipError_tPvRmT1_PNSt15iterator_traitsIS13_E10value_typeET2_T3_PNS14_IS19_E10value_typeET4_jRbjT5_S1F_jjP12ihipStream_tbEUljE_ZNSN_ISO_Lb0ESR_SS_SU_SV_SZ_EES10_S11_S12_S13_S17_S18_S19_S1C_S1D_jS1E_jS1F_S1F_jjS1H_bEUljE0_EEES10_S11_S12_S19_S1D_S1F_T6_T7_T9_mT8_S1H_bDpT10_ENKUlT_T0_E_clISt17integral_constantIbLb1EES1U_IbLb0EEEEDaS1Q_S1R_EUlS1Q_E_NS1_11comp_targetILNS1_3genE10ELNS1_11target_archE1200ELNS1_3gpuE4ELNS1_3repE0EEENS1_30default_config_static_selectorELNS0_4arch9wavefront6targetE1EEEvS13_: ; @_ZN7rocprim17ROCPRIM_400000_NS6detail17trampoline_kernelINS0_13select_configILj256ELj13ELNS0_17block_load_methodE3ELS4_3ELS4_3ELNS0_20block_scan_algorithmE0ELj4294967295EEENS1_25partition_config_selectorILNS1_17partition_subalgoE4EjNS0_10empty_typeEbEEZZNS1_14partition_implILS8_4ELb0ES6_15HIP_vector_typeIjLj2EENS0_17counting_iteratorIjlEEPS9_SG_NS0_5tupleIJPjSI_NS0_16reverse_iteratorISI_EEEEENSH_IJSG_SG_SG_EEES9_SI_JZNS1_25segmented_radix_sort_implINS0_14default_configELb0EPK12hip_bfloat16PSP_PKlPlN2at6native12_GLOBAL__N_18offset_tEEE10hipError_tPvRmT1_PNSt15iterator_traitsIS13_E10value_typeET2_T3_PNS14_IS19_E10value_typeET4_jRbjT5_S1F_jjP12ihipStream_tbEUljE_ZNSN_ISO_Lb0ESR_SS_SU_SV_SZ_EES10_S11_S12_S13_S17_S18_S19_S1C_S1D_jS1E_jS1F_S1F_jjS1H_bEUljE0_EEES10_S11_S12_S19_S1D_S1F_T6_T7_T9_mT8_S1H_bDpT10_ENKUlT_T0_E_clISt17integral_constantIbLb1EES1U_IbLb0EEEEDaS1Q_S1R_EUlS1Q_E_NS1_11comp_targetILNS1_3genE10ELNS1_11target_archE1200ELNS1_3gpuE4ELNS1_3repE0EEENS1_30default_config_static_selectorELNS0_4arch9wavefront6targetE1EEEvS13_
; %bb.0:
	.section	.rodata,"a",@progbits
	.p2align	6, 0x0
	.amdhsa_kernel _ZN7rocprim17ROCPRIM_400000_NS6detail17trampoline_kernelINS0_13select_configILj256ELj13ELNS0_17block_load_methodE3ELS4_3ELS4_3ELNS0_20block_scan_algorithmE0ELj4294967295EEENS1_25partition_config_selectorILNS1_17partition_subalgoE4EjNS0_10empty_typeEbEEZZNS1_14partition_implILS8_4ELb0ES6_15HIP_vector_typeIjLj2EENS0_17counting_iteratorIjlEEPS9_SG_NS0_5tupleIJPjSI_NS0_16reverse_iteratorISI_EEEEENSH_IJSG_SG_SG_EEES9_SI_JZNS1_25segmented_radix_sort_implINS0_14default_configELb0EPK12hip_bfloat16PSP_PKlPlN2at6native12_GLOBAL__N_18offset_tEEE10hipError_tPvRmT1_PNSt15iterator_traitsIS13_E10value_typeET2_T3_PNS14_IS19_E10value_typeET4_jRbjT5_S1F_jjP12ihipStream_tbEUljE_ZNSN_ISO_Lb0ESR_SS_SU_SV_SZ_EES10_S11_S12_S13_S17_S18_S19_S1C_S1D_jS1E_jS1F_S1F_jjS1H_bEUljE0_EEES10_S11_S12_S19_S1D_S1F_T6_T7_T9_mT8_S1H_bDpT10_ENKUlT_T0_E_clISt17integral_constantIbLb1EES1U_IbLb0EEEEDaS1Q_S1R_EUlS1Q_E_NS1_11comp_targetILNS1_3genE10ELNS1_11target_archE1200ELNS1_3gpuE4ELNS1_3repE0EEENS1_30default_config_static_selectorELNS0_4arch9wavefront6targetE1EEEvS13_
		.amdhsa_group_segment_fixed_size 0
		.amdhsa_private_segment_fixed_size 0
		.amdhsa_kernarg_size 176
		.amdhsa_user_sgpr_count 6
		.amdhsa_user_sgpr_private_segment_buffer 1
		.amdhsa_user_sgpr_dispatch_ptr 0
		.amdhsa_user_sgpr_queue_ptr 0
		.amdhsa_user_sgpr_kernarg_segment_ptr 1
		.amdhsa_user_sgpr_dispatch_id 0
		.amdhsa_user_sgpr_flat_scratch_init 0
		.amdhsa_user_sgpr_kernarg_preload_length 0
		.amdhsa_user_sgpr_kernarg_preload_offset 0
		.amdhsa_user_sgpr_private_segment_size 0
		.amdhsa_uses_dynamic_stack 0
		.amdhsa_system_sgpr_private_segment_wavefront_offset 0
		.amdhsa_system_sgpr_workgroup_id_x 1
		.amdhsa_system_sgpr_workgroup_id_y 0
		.amdhsa_system_sgpr_workgroup_id_z 0
		.amdhsa_system_sgpr_workgroup_info 0
		.amdhsa_system_vgpr_workitem_id 0
		.amdhsa_next_free_vgpr 1
		.amdhsa_next_free_sgpr 0
		.amdhsa_accum_offset 4
		.amdhsa_reserve_vcc 0
		.amdhsa_reserve_flat_scratch 0
		.amdhsa_float_round_mode_32 0
		.amdhsa_float_round_mode_16_64 0
		.amdhsa_float_denorm_mode_32 3
		.amdhsa_float_denorm_mode_16_64 3
		.amdhsa_dx10_clamp 1
		.amdhsa_ieee_mode 1
		.amdhsa_fp16_overflow 0
		.amdhsa_tg_split 0
		.amdhsa_exception_fp_ieee_invalid_op 0
		.amdhsa_exception_fp_denorm_src 0
		.amdhsa_exception_fp_ieee_div_zero 0
		.amdhsa_exception_fp_ieee_overflow 0
		.amdhsa_exception_fp_ieee_underflow 0
		.amdhsa_exception_fp_ieee_inexact 0
		.amdhsa_exception_int_div_zero 0
	.end_amdhsa_kernel
	.section	.text._ZN7rocprim17ROCPRIM_400000_NS6detail17trampoline_kernelINS0_13select_configILj256ELj13ELNS0_17block_load_methodE3ELS4_3ELS4_3ELNS0_20block_scan_algorithmE0ELj4294967295EEENS1_25partition_config_selectorILNS1_17partition_subalgoE4EjNS0_10empty_typeEbEEZZNS1_14partition_implILS8_4ELb0ES6_15HIP_vector_typeIjLj2EENS0_17counting_iteratorIjlEEPS9_SG_NS0_5tupleIJPjSI_NS0_16reverse_iteratorISI_EEEEENSH_IJSG_SG_SG_EEES9_SI_JZNS1_25segmented_radix_sort_implINS0_14default_configELb0EPK12hip_bfloat16PSP_PKlPlN2at6native12_GLOBAL__N_18offset_tEEE10hipError_tPvRmT1_PNSt15iterator_traitsIS13_E10value_typeET2_T3_PNS14_IS19_E10value_typeET4_jRbjT5_S1F_jjP12ihipStream_tbEUljE_ZNSN_ISO_Lb0ESR_SS_SU_SV_SZ_EES10_S11_S12_S13_S17_S18_S19_S1C_S1D_jS1E_jS1F_S1F_jjS1H_bEUljE0_EEES10_S11_S12_S19_S1D_S1F_T6_T7_T9_mT8_S1H_bDpT10_ENKUlT_T0_E_clISt17integral_constantIbLb1EES1U_IbLb0EEEEDaS1Q_S1R_EUlS1Q_E_NS1_11comp_targetILNS1_3genE10ELNS1_11target_archE1200ELNS1_3gpuE4ELNS1_3repE0EEENS1_30default_config_static_selectorELNS0_4arch9wavefront6targetE1EEEvS13_,"axG",@progbits,_ZN7rocprim17ROCPRIM_400000_NS6detail17trampoline_kernelINS0_13select_configILj256ELj13ELNS0_17block_load_methodE3ELS4_3ELS4_3ELNS0_20block_scan_algorithmE0ELj4294967295EEENS1_25partition_config_selectorILNS1_17partition_subalgoE4EjNS0_10empty_typeEbEEZZNS1_14partition_implILS8_4ELb0ES6_15HIP_vector_typeIjLj2EENS0_17counting_iteratorIjlEEPS9_SG_NS0_5tupleIJPjSI_NS0_16reverse_iteratorISI_EEEEENSH_IJSG_SG_SG_EEES9_SI_JZNS1_25segmented_radix_sort_implINS0_14default_configELb0EPK12hip_bfloat16PSP_PKlPlN2at6native12_GLOBAL__N_18offset_tEEE10hipError_tPvRmT1_PNSt15iterator_traitsIS13_E10value_typeET2_T3_PNS14_IS19_E10value_typeET4_jRbjT5_S1F_jjP12ihipStream_tbEUljE_ZNSN_ISO_Lb0ESR_SS_SU_SV_SZ_EES10_S11_S12_S13_S17_S18_S19_S1C_S1D_jS1E_jS1F_S1F_jjS1H_bEUljE0_EEES10_S11_S12_S19_S1D_S1F_T6_T7_T9_mT8_S1H_bDpT10_ENKUlT_T0_E_clISt17integral_constantIbLb1EES1U_IbLb0EEEEDaS1Q_S1R_EUlS1Q_E_NS1_11comp_targetILNS1_3genE10ELNS1_11target_archE1200ELNS1_3gpuE4ELNS1_3repE0EEENS1_30default_config_static_selectorELNS0_4arch9wavefront6targetE1EEEvS13_,comdat
.Lfunc_end2004:
	.size	_ZN7rocprim17ROCPRIM_400000_NS6detail17trampoline_kernelINS0_13select_configILj256ELj13ELNS0_17block_load_methodE3ELS4_3ELS4_3ELNS0_20block_scan_algorithmE0ELj4294967295EEENS1_25partition_config_selectorILNS1_17partition_subalgoE4EjNS0_10empty_typeEbEEZZNS1_14partition_implILS8_4ELb0ES6_15HIP_vector_typeIjLj2EENS0_17counting_iteratorIjlEEPS9_SG_NS0_5tupleIJPjSI_NS0_16reverse_iteratorISI_EEEEENSH_IJSG_SG_SG_EEES9_SI_JZNS1_25segmented_radix_sort_implINS0_14default_configELb0EPK12hip_bfloat16PSP_PKlPlN2at6native12_GLOBAL__N_18offset_tEEE10hipError_tPvRmT1_PNSt15iterator_traitsIS13_E10value_typeET2_T3_PNS14_IS19_E10value_typeET4_jRbjT5_S1F_jjP12ihipStream_tbEUljE_ZNSN_ISO_Lb0ESR_SS_SU_SV_SZ_EES10_S11_S12_S13_S17_S18_S19_S1C_S1D_jS1E_jS1F_S1F_jjS1H_bEUljE0_EEES10_S11_S12_S19_S1D_S1F_T6_T7_T9_mT8_S1H_bDpT10_ENKUlT_T0_E_clISt17integral_constantIbLb1EES1U_IbLb0EEEEDaS1Q_S1R_EUlS1Q_E_NS1_11comp_targetILNS1_3genE10ELNS1_11target_archE1200ELNS1_3gpuE4ELNS1_3repE0EEENS1_30default_config_static_selectorELNS0_4arch9wavefront6targetE1EEEvS13_, .Lfunc_end2004-_ZN7rocprim17ROCPRIM_400000_NS6detail17trampoline_kernelINS0_13select_configILj256ELj13ELNS0_17block_load_methodE3ELS4_3ELS4_3ELNS0_20block_scan_algorithmE0ELj4294967295EEENS1_25partition_config_selectorILNS1_17partition_subalgoE4EjNS0_10empty_typeEbEEZZNS1_14partition_implILS8_4ELb0ES6_15HIP_vector_typeIjLj2EENS0_17counting_iteratorIjlEEPS9_SG_NS0_5tupleIJPjSI_NS0_16reverse_iteratorISI_EEEEENSH_IJSG_SG_SG_EEES9_SI_JZNS1_25segmented_radix_sort_implINS0_14default_configELb0EPK12hip_bfloat16PSP_PKlPlN2at6native12_GLOBAL__N_18offset_tEEE10hipError_tPvRmT1_PNSt15iterator_traitsIS13_E10value_typeET2_T3_PNS14_IS19_E10value_typeET4_jRbjT5_S1F_jjP12ihipStream_tbEUljE_ZNSN_ISO_Lb0ESR_SS_SU_SV_SZ_EES10_S11_S12_S13_S17_S18_S19_S1C_S1D_jS1E_jS1F_S1F_jjS1H_bEUljE0_EEES10_S11_S12_S19_S1D_S1F_T6_T7_T9_mT8_S1H_bDpT10_ENKUlT_T0_E_clISt17integral_constantIbLb1EES1U_IbLb0EEEEDaS1Q_S1R_EUlS1Q_E_NS1_11comp_targetILNS1_3genE10ELNS1_11target_archE1200ELNS1_3gpuE4ELNS1_3repE0EEENS1_30default_config_static_selectorELNS0_4arch9wavefront6targetE1EEEvS13_
                                        ; -- End function
	.section	.AMDGPU.csdata,"",@progbits
; Kernel info:
; codeLenInByte = 0
; NumSgprs: 4
; NumVgprs: 0
; NumAgprs: 0
; TotalNumVgprs: 0
; ScratchSize: 0
; MemoryBound: 0
; FloatMode: 240
; IeeeMode: 1
; LDSByteSize: 0 bytes/workgroup (compile time only)
; SGPRBlocks: 0
; VGPRBlocks: 0
; NumSGPRsForWavesPerEU: 4
; NumVGPRsForWavesPerEU: 1
; AccumOffset: 4
; Occupancy: 8
; WaveLimiterHint : 0
; COMPUTE_PGM_RSRC2:SCRATCH_EN: 0
; COMPUTE_PGM_RSRC2:USER_SGPR: 6
; COMPUTE_PGM_RSRC2:TRAP_HANDLER: 0
; COMPUTE_PGM_RSRC2:TGID_X_EN: 1
; COMPUTE_PGM_RSRC2:TGID_Y_EN: 0
; COMPUTE_PGM_RSRC2:TGID_Z_EN: 0
; COMPUTE_PGM_RSRC2:TIDIG_COMP_CNT: 0
; COMPUTE_PGM_RSRC3_GFX90A:ACCUM_OFFSET: 0
; COMPUTE_PGM_RSRC3_GFX90A:TG_SPLIT: 0
	.section	.text._ZN7rocprim17ROCPRIM_400000_NS6detail17trampoline_kernelINS0_13select_configILj256ELj13ELNS0_17block_load_methodE3ELS4_3ELS4_3ELNS0_20block_scan_algorithmE0ELj4294967295EEENS1_25partition_config_selectorILNS1_17partition_subalgoE4EjNS0_10empty_typeEbEEZZNS1_14partition_implILS8_4ELb0ES6_15HIP_vector_typeIjLj2EENS0_17counting_iteratorIjlEEPS9_SG_NS0_5tupleIJPjSI_NS0_16reverse_iteratorISI_EEEEENSH_IJSG_SG_SG_EEES9_SI_JZNS1_25segmented_radix_sort_implINS0_14default_configELb0EPK12hip_bfloat16PSP_PKlPlN2at6native12_GLOBAL__N_18offset_tEEE10hipError_tPvRmT1_PNSt15iterator_traitsIS13_E10value_typeET2_T3_PNS14_IS19_E10value_typeET4_jRbjT5_S1F_jjP12ihipStream_tbEUljE_ZNSN_ISO_Lb0ESR_SS_SU_SV_SZ_EES10_S11_S12_S13_S17_S18_S19_S1C_S1D_jS1E_jS1F_S1F_jjS1H_bEUljE0_EEES10_S11_S12_S19_S1D_S1F_T6_T7_T9_mT8_S1H_bDpT10_ENKUlT_T0_E_clISt17integral_constantIbLb1EES1U_IbLb0EEEEDaS1Q_S1R_EUlS1Q_E_NS1_11comp_targetILNS1_3genE9ELNS1_11target_archE1100ELNS1_3gpuE3ELNS1_3repE0EEENS1_30default_config_static_selectorELNS0_4arch9wavefront6targetE1EEEvS13_,"axG",@progbits,_ZN7rocprim17ROCPRIM_400000_NS6detail17trampoline_kernelINS0_13select_configILj256ELj13ELNS0_17block_load_methodE3ELS4_3ELS4_3ELNS0_20block_scan_algorithmE0ELj4294967295EEENS1_25partition_config_selectorILNS1_17partition_subalgoE4EjNS0_10empty_typeEbEEZZNS1_14partition_implILS8_4ELb0ES6_15HIP_vector_typeIjLj2EENS0_17counting_iteratorIjlEEPS9_SG_NS0_5tupleIJPjSI_NS0_16reverse_iteratorISI_EEEEENSH_IJSG_SG_SG_EEES9_SI_JZNS1_25segmented_radix_sort_implINS0_14default_configELb0EPK12hip_bfloat16PSP_PKlPlN2at6native12_GLOBAL__N_18offset_tEEE10hipError_tPvRmT1_PNSt15iterator_traitsIS13_E10value_typeET2_T3_PNS14_IS19_E10value_typeET4_jRbjT5_S1F_jjP12ihipStream_tbEUljE_ZNSN_ISO_Lb0ESR_SS_SU_SV_SZ_EES10_S11_S12_S13_S17_S18_S19_S1C_S1D_jS1E_jS1F_S1F_jjS1H_bEUljE0_EEES10_S11_S12_S19_S1D_S1F_T6_T7_T9_mT8_S1H_bDpT10_ENKUlT_T0_E_clISt17integral_constantIbLb1EES1U_IbLb0EEEEDaS1Q_S1R_EUlS1Q_E_NS1_11comp_targetILNS1_3genE9ELNS1_11target_archE1100ELNS1_3gpuE3ELNS1_3repE0EEENS1_30default_config_static_selectorELNS0_4arch9wavefront6targetE1EEEvS13_,comdat
	.globl	_ZN7rocprim17ROCPRIM_400000_NS6detail17trampoline_kernelINS0_13select_configILj256ELj13ELNS0_17block_load_methodE3ELS4_3ELS4_3ELNS0_20block_scan_algorithmE0ELj4294967295EEENS1_25partition_config_selectorILNS1_17partition_subalgoE4EjNS0_10empty_typeEbEEZZNS1_14partition_implILS8_4ELb0ES6_15HIP_vector_typeIjLj2EENS0_17counting_iteratorIjlEEPS9_SG_NS0_5tupleIJPjSI_NS0_16reverse_iteratorISI_EEEEENSH_IJSG_SG_SG_EEES9_SI_JZNS1_25segmented_radix_sort_implINS0_14default_configELb0EPK12hip_bfloat16PSP_PKlPlN2at6native12_GLOBAL__N_18offset_tEEE10hipError_tPvRmT1_PNSt15iterator_traitsIS13_E10value_typeET2_T3_PNS14_IS19_E10value_typeET4_jRbjT5_S1F_jjP12ihipStream_tbEUljE_ZNSN_ISO_Lb0ESR_SS_SU_SV_SZ_EES10_S11_S12_S13_S17_S18_S19_S1C_S1D_jS1E_jS1F_S1F_jjS1H_bEUljE0_EEES10_S11_S12_S19_S1D_S1F_T6_T7_T9_mT8_S1H_bDpT10_ENKUlT_T0_E_clISt17integral_constantIbLb1EES1U_IbLb0EEEEDaS1Q_S1R_EUlS1Q_E_NS1_11comp_targetILNS1_3genE9ELNS1_11target_archE1100ELNS1_3gpuE3ELNS1_3repE0EEENS1_30default_config_static_selectorELNS0_4arch9wavefront6targetE1EEEvS13_ ; -- Begin function _ZN7rocprim17ROCPRIM_400000_NS6detail17trampoline_kernelINS0_13select_configILj256ELj13ELNS0_17block_load_methodE3ELS4_3ELS4_3ELNS0_20block_scan_algorithmE0ELj4294967295EEENS1_25partition_config_selectorILNS1_17partition_subalgoE4EjNS0_10empty_typeEbEEZZNS1_14partition_implILS8_4ELb0ES6_15HIP_vector_typeIjLj2EENS0_17counting_iteratorIjlEEPS9_SG_NS0_5tupleIJPjSI_NS0_16reverse_iteratorISI_EEEEENSH_IJSG_SG_SG_EEES9_SI_JZNS1_25segmented_radix_sort_implINS0_14default_configELb0EPK12hip_bfloat16PSP_PKlPlN2at6native12_GLOBAL__N_18offset_tEEE10hipError_tPvRmT1_PNSt15iterator_traitsIS13_E10value_typeET2_T3_PNS14_IS19_E10value_typeET4_jRbjT5_S1F_jjP12ihipStream_tbEUljE_ZNSN_ISO_Lb0ESR_SS_SU_SV_SZ_EES10_S11_S12_S13_S17_S18_S19_S1C_S1D_jS1E_jS1F_S1F_jjS1H_bEUljE0_EEES10_S11_S12_S19_S1D_S1F_T6_T7_T9_mT8_S1H_bDpT10_ENKUlT_T0_E_clISt17integral_constantIbLb1EES1U_IbLb0EEEEDaS1Q_S1R_EUlS1Q_E_NS1_11comp_targetILNS1_3genE9ELNS1_11target_archE1100ELNS1_3gpuE3ELNS1_3repE0EEENS1_30default_config_static_selectorELNS0_4arch9wavefront6targetE1EEEvS13_
	.p2align	8
	.type	_ZN7rocprim17ROCPRIM_400000_NS6detail17trampoline_kernelINS0_13select_configILj256ELj13ELNS0_17block_load_methodE3ELS4_3ELS4_3ELNS0_20block_scan_algorithmE0ELj4294967295EEENS1_25partition_config_selectorILNS1_17partition_subalgoE4EjNS0_10empty_typeEbEEZZNS1_14partition_implILS8_4ELb0ES6_15HIP_vector_typeIjLj2EENS0_17counting_iteratorIjlEEPS9_SG_NS0_5tupleIJPjSI_NS0_16reverse_iteratorISI_EEEEENSH_IJSG_SG_SG_EEES9_SI_JZNS1_25segmented_radix_sort_implINS0_14default_configELb0EPK12hip_bfloat16PSP_PKlPlN2at6native12_GLOBAL__N_18offset_tEEE10hipError_tPvRmT1_PNSt15iterator_traitsIS13_E10value_typeET2_T3_PNS14_IS19_E10value_typeET4_jRbjT5_S1F_jjP12ihipStream_tbEUljE_ZNSN_ISO_Lb0ESR_SS_SU_SV_SZ_EES10_S11_S12_S13_S17_S18_S19_S1C_S1D_jS1E_jS1F_S1F_jjS1H_bEUljE0_EEES10_S11_S12_S19_S1D_S1F_T6_T7_T9_mT8_S1H_bDpT10_ENKUlT_T0_E_clISt17integral_constantIbLb1EES1U_IbLb0EEEEDaS1Q_S1R_EUlS1Q_E_NS1_11comp_targetILNS1_3genE9ELNS1_11target_archE1100ELNS1_3gpuE3ELNS1_3repE0EEENS1_30default_config_static_selectorELNS0_4arch9wavefront6targetE1EEEvS13_,@function
_ZN7rocprim17ROCPRIM_400000_NS6detail17trampoline_kernelINS0_13select_configILj256ELj13ELNS0_17block_load_methodE3ELS4_3ELS4_3ELNS0_20block_scan_algorithmE0ELj4294967295EEENS1_25partition_config_selectorILNS1_17partition_subalgoE4EjNS0_10empty_typeEbEEZZNS1_14partition_implILS8_4ELb0ES6_15HIP_vector_typeIjLj2EENS0_17counting_iteratorIjlEEPS9_SG_NS0_5tupleIJPjSI_NS0_16reverse_iteratorISI_EEEEENSH_IJSG_SG_SG_EEES9_SI_JZNS1_25segmented_radix_sort_implINS0_14default_configELb0EPK12hip_bfloat16PSP_PKlPlN2at6native12_GLOBAL__N_18offset_tEEE10hipError_tPvRmT1_PNSt15iterator_traitsIS13_E10value_typeET2_T3_PNS14_IS19_E10value_typeET4_jRbjT5_S1F_jjP12ihipStream_tbEUljE_ZNSN_ISO_Lb0ESR_SS_SU_SV_SZ_EES10_S11_S12_S13_S17_S18_S19_S1C_S1D_jS1E_jS1F_S1F_jjS1H_bEUljE0_EEES10_S11_S12_S19_S1D_S1F_T6_T7_T9_mT8_S1H_bDpT10_ENKUlT_T0_E_clISt17integral_constantIbLb1EES1U_IbLb0EEEEDaS1Q_S1R_EUlS1Q_E_NS1_11comp_targetILNS1_3genE9ELNS1_11target_archE1100ELNS1_3gpuE3ELNS1_3repE0EEENS1_30default_config_static_selectorELNS0_4arch9wavefront6targetE1EEEvS13_: ; @_ZN7rocprim17ROCPRIM_400000_NS6detail17trampoline_kernelINS0_13select_configILj256ELj13ELNS0_17block_load_methodE3ELS4_3ELS4_3ELNS0_20block_scan_algorithmE0ELj4294967295EEENS1_25partition_config_selectorILNS1_17partition_subalgoE4EjNS0_10empty_typeEbEEZZNS1_14partition_implILS8_4ELb0ES6_15HIP_vector_typeIjLj2EENS0_17counting_iteratorIjlEEPS9_SG_NS0_5tupleIJPjSI_NS0_16reverse_iteratorISI_EEEEENSH_IJSG_SG_SG_EEES9_SI_JZNS1_25segmented_radix_sort_implINS0_14default_configELb0EPK12hip_bfloat16PSP_PKlPlN2at6native12_GLOBAL__N_18offset_tEEE10hipError_tPvRmT1_PNSt15iterator_traitsIS13_E10value_typeET2_T3_PNS14_IS19_E10value_typeET4_jRbjT5_S1F_jjP12ihipStream_tbEUljE_ZNSN_ISO_Lb0ESR_SS_SU_SV_SZ_EES10_S11_S12_S13_S17_S18_S19_S1C_S1D_jS1E_jS1F_S1F_jjS1H_bEUljE0_EEES10_S11_S12_S19_S1D_S1F_T6_T7_T9_mT8_S1H_bDpT10_ENKUlT_T0_E_clISt17integral_constantIbLb1EES1U_IbLb0EEEEDaS1Q_S1R_EUlS1Q_E_NS1_11comp_targetILNS1_3genE9ELNS1_11target_archE1100ELNS1_3gpuE3ELNS1_3repE0EEENS1_30default_config_static_selectorELNS0_4arch9wavefront6targetE1EEEvS13_
; %bb.0:
	.section	.rodata,"a",@progbits
	.p2align	6, 0x0
	.amdhsa_kernel _ZN7rocprim17ROCPRIM_400000_NS6detail17trampoline_kernelINS0_13select_configILj256ELj13ELNS0_17block_load_methodE3ELS4_3ELS4_3ELNS0_20block_scan_algorithmE0ELj4294967295EEENS1_25partition_config_selectorILNS1_17partition_subalgoE4EjNS0_10empty_typeEbEEZZNS1_14partition_implILS8_4ELb0ES6_15HIP_vector_typeIjLj2EENS0_17counting_iteratorIjlEEPS9_SG_NS0_5tupleIJPjSI_NS0_16reverse_iteratorISI_EEEEENSH_IJSG_SG_SG_EEES9_SI_JZNS1_25segmented_radix_sort_implINS0_14default_configELb0EPK12hip_bfloat16PSP_PKlPlN2at6native12_GLOBAL__N_18offset_tEEE10hipError_tPvRmT1_PNSt15iterator_traitsIS13_E10value_typeET2_T3_PNS14_IS19_E10value_typeET4_jRbjT5_S1F_jjP12ihipStream_tbEUljE_ZNSN_ISO_Lb0ESR_SS_SU_SV_SZ_EES10_S11_S12_S13_S17_S18_S19_S1C_S1D_jS1E_jS1F_S1F_jjS1H_bEUljE0_EEES10_S11_S12_S19_S1D_S1F_T6_T7_T9_mT8_S1H_bDpT10_ENKUlT_T0_E_clISt17integral_constantIbLb1EES1U_IbLb0EEEEDaS1Q_S1R_EUlS1Q_E_NS1_11comp_targetILNS1_3genE9ELNS1_11target_archE1100ELNS1_3gpuE3ELNS1_3repE0EEENS1_30default_config_static_selectorELNS0_4arch9wavefront6targetE1EEEvS13_
		.amdhsa_group_segment_fixed_size 0
		.amdhsa_private_segment_fixed_size 0
		.amdhsa_kernarg_size 176
		.amdhsa_user_sgpr_count 6
		.amdhsa_user_sgpr_private_segment_buffer 1
		.amdhsa_user_sgpr_dispatch_ptr 0
		.amdhsa_user_sgpr_queue_ptr 0
		.amdhsa_user_sgpr_kernarg_segment_ptr 1
		.amdhsa_user_sgpr_dispatch_id 0
		.amdhsa_user_sgpr_flat_scratch_init 0
		.amdhsa_user_sgpr_kernarg_preload_length 0
		.amdhsa_user_sgpr_kernarg_preload_offset 0
		.amdhsa_user_sgpr_private_segment_size 0
		.amdhsa_uses_dynamic_stack 0
		.amdhsa_system_sgpr_private_segment_wavefront_offset 0
		.amdhsa_system_sgpr_workgroup_id_x 1
		.amdhsa_system_sgpr_workgroup_id_y 0
		.amdhsa_system_sgpr_workgroup_id_z 0
		.amdhsa_system_sgpr_workgroup_info 0
		.amdhsa_system_vgpr_workitem_id 0
		.amdhsa_next_free_vgpr 1
		.amdhsa_next_free_sgpr 0
		.amdhsa_accum_offset 4
		.amdhsa_reserve_vcc 0
		.amdhsa_reserve_flat_scratch 0
		.amdhsa_float_round_mode_32 0
		.amdhsa_float_round_mode_16_64 0
		.amdhsa_float_denorm_mode_32 3
		.amdhsa_float_denorm_mode_16_64 3
		.amdhsa_dx10_clamp 1
		.amdhsa_ieee_mode 1
		.amdhsa_fp16_overflow 0
		.amdhsa_tg_split 0
		.amdhsa_exception_fp_ieee_invalid_op 0
		.amdhsa_exception_fp_denorm_src 0
		.amdhsa_exception_fp_ieee_div_zero 0
		.amdhsa_exception_fp_ieee_overflow 0
		.amdhsa_exception_fp_ieee_underflow 0
		.amdhsa_exception_fp_ieee_inexact 0
		.amdhsa_exception_int_div_zero 0
	.end_amdhsa_kernel
	.section	.text._ZN7rocprim17ROCPRIM_400000_NS6detail17trampoline_kernelINS0_13select_configILj256ELj13ELNS0_17block_load_methodE3ELS4_3ELS4_3ELNS0_20block_scan_algorithmE0ELj4294967295EEENS1_25partition_config_selectorILNS1_17partition_subalgoE4EjNS0_10empty_typeEbEEZZNS1_14partition_implILS8_4ELb0ES6_15HIP_vector_typeIjLj2EENS0_17counting_iteratorIjlEEPS9_SG_NS0_5tupleIJPjSI_NS0_16reverse_iteratorISI_EEEEENSH_IJSG_SG_SG_EEES9_SI_JZNS1_25segmented_radix_sort_implINS0_14default_configELb0EPK12hip_bfloat16PSP_PKlPlN2at6native12_GLOBAL__N_18offset_tEEE10hipError_tPvRmT1_PNSt15iterator_traitsIS13_E10value_typeET2_T3_PNS14_IS19_E10value_typeET4_jRbjT5_S1F_jjP12ihipStream_tbEUljE_ZNSN_ISO_Lb0ESR_SS_SU_SV_SZ_EES10_S11_S12_S13_S17_S18_S19_S1C_S1D_jS1E_jS1F_S1F_jjS1H_bEUljE0_EEES10_S11_S12_S19_S1D_S1F_T6_T7_T9_mT8_S1H_bDpT10_ENKUlT_T0_E_clISt17integral_constantIbLb1EES1U_IbLb0EEEEDaS1Q_S1R_EUlS1Q_E_NS1_11comp_targetILNS1_3genE9ELNS1_11target_archE1100ELNS1_3gpuE3ELNS1_3repE0EEENS1_30default_config_static_selectorELNS0_4arch9wavefront6targetE1EEEvS13_,"axG",@progbits,_ZN7rocprim17ROCPRIM_400000_NS6detail17trampoline_kernelINS0_13select_configILj256ELj13ELNS0_17block_load_methodE3ELS4_3ELS4_3ELNS0_20block_scan_algorithmE0ELj4294967295EEENS1_25partition_config_selectorILNS1_17partition_subalgoE4EjNS0_10empty_typeEbEEZZNS1_14partition_implILS8_4ELb0ES6_15HIP_vector_typeIjLj2EENS0_17counting_iteratorIjlEEPS9_SG_NS0_5tupleIJPjSI_NS0_16reverse_iteratorISI_EEEEENSH_IJSG_SG_SG_EEES9_SI_JZNS1_25segmented_radix_sort_implINS0_14default_configELb0EPK12hip_bfloat16PSP_PKlPlN2at6native12_GLOBAL__N_18offset_tEEE10hipError_tPvRmT1_PNSt15iterator_traitsIS13_E10value_typeET2_T3_PNS14_IS19_E10value_typeET4_jRbjT5_S1F_jjP12ihipStream_tbEUljE_ZNSN_ISO_Lb0ESR_SS_SU_SV_SZ_EES10_S11_S12_S13_S17_S18_S19_S1C_S1D_jS1E_jS1F_S1F_jjS1H_bEUljE0_EEES10_S11_S12_S19_S1D_S1F_T6_T7_T9_mT8_S1H_bDpT10_ENKUlT_T0_E_clISt17integral_constantIbLb1EES1U_IbLb0EEEEDaS1Q_S1R_EUlS1Q_E_NS1_11comp_targetILNS1_3genE9ELNS1_11target_archE1100ELNS1_3gpuE3ELNS1_3repE0EEENS1_30default_config_static_selectorELNS0_4arch9wavefront6targetE1EEEvS13_,comdat
.Lfunc_end2005:
	.size	_ZN7rocprim17ROCPRIM_400000_NS6detail17trampoline_kernelINS0_13select_configILj256ELj13ELNS0_17block_load_methodE3ELS4_3ELS4_3ELNS0_20block_scan_algorithmE0ELj4294967295EEENS1_25partition_config_selectorILNS1_17partition_subalgoE4EjNS0_10empty_typeEbEEZZNS1_14partition_implILS8_4ELb0ES6_15HIP_vector_typeIjLj2EENS0_17counting_iteratorIjlEEPS9_SG_NS0_5tupleIJPjSI_NS0_16reverse_iteratorISI_EEEEENSH_IJSG_SG_SG_EEES9_SI_JZNS1_25segmented_radix_sort_implINS0_14default_configELb0EPK12hip_bfloat16PSP_PKlPlN2at6native12_GLOBAL__N_18offset_tEEE10hipError_tPvRmT1_PNSt15iterator_traitsIS13_E10value_typeET2_T3_PNS14_IS19_E10value_typeET4_jRbjT5_S1F_jjP12ihipStream_tbEUljE_ZNSN_ISO_Lb0ESR_SS_SU_SV_SZ_EES10_S11_S12_S13_S17_S18_S19_S1C_S1D_jS1E_jS1F_S1F_jjS1H_bEUljE0_EEES10_S11_S12_S19_S1D_S1F_T6_T7_T9_mT8_S1H_bDpT10_ENKUlT_T0_E_clISt17integral_constantIbLb1EES1U_IbLb0EEEEDaS1Q_S1R_EUlS1Q_E_NS1_11comp_targetILNS1_3genE9ELNS1_11target_archE1100ELNS1_3gpuE3ELNS1_3repE0EEENS1_30default_config_static_selectorELNS0_4arch9wavefront6targetE1EEEvS13_, .Lfunc_end2005-_ZN7rocprim17ROCPRIM_400000_NS6detail17trampoline_kernelINS0_13select_configILj256ELj13ELNS0_17block_load_methodE3ELS4_3ELS4_3ELNS0_20block_scan_algorithmE0ELj4294967295EEENS1_25partition_config_selectorILNS1_17partition_subalgoE4EjNS0_10empty_typeEbEEZZNS1_14partition_implILS8_4ELb0ES6_15HIP_vector_typeIjLj2EENS0_17counting_iteratorIjlEEPS9_SG_NS0_5tupleIJPjSI_NS0_16reverse_iteratorISI_EEEEENSH_IJSG_SG_SG_EEES9_SI_JZNS1_25segmented_radix_sort_implINS0_14default_configELb0EPK12hip_bfloat16PSP_PKlPlN2at6native12_GLOBAL__N_18offset_tEEE10hipError_tPvRmT1_PNSt15iterator_traitsIS13_E10value_typeET2_T3_PNS14_IS19_E10value_typeET4_jRbjT5_S1F_jjP12ihipStream_tbEUljE_ZNSN_ISO_Lb0ESR_SS_SU_SV_SZ_EES10_S11_S12_S13_S17_S18_S19_S1C_S1D_jS1E_jS1F_S1F_jjS1H_bEUljE0_EEES10_S11_S12_S19_S1D_S1F_T6_T7_T9_mT8_S1H_bDpT10_ENKUlT_T0_E_clISt17integral_constantIbLb1EES1U_IbLb0EEEEDaS1Q_S1R_EUlS1Q_E_NS1_11comp_targetILNS1_3genE9ELNS1_11target_archE1100ELNS1_3gpuE3ELNS1_3repE0EEENS1_30default_config_static_selectorELNS0_4arch9wavefront6targetE1EEEvS13_
                                        ; -- End function
	.section	.AMDGPU.csdata,"",@progbits
; Kernel info:
; codeLenInByte = 0
; NumSgprs: 4
; NumVgprs: 0
; NumAgprs: 0
; TotalNumVgprs: 0
; ScratchSize: 0
; MemoryBound: 0
; FloatMode: 240
; IeeeMode: 1
; LDSByteSize: 0 bytes/workgroup (compile time only)
; SGPRBlocks: 0
; VGPRBlocks: 0
; NumSGPRsForWavesPerEU: 4
; NumVGPRsForWavesPerEU: 1
; AccumOffset: 4
; Occupancy: 8
; WaveLimiterHint : 0
; COMPUTE_PGM_RSRC2:SCRATCH_EN: 0
; COMPUTE_PGM_RSRC2:USER_SGPR: 6
; COMPUTE_PGM_RSRC2:TRAP_HANDLER: 0
; COMPUTE_PGM_RSRC2:TGID_X_EN: 1
; COMPUTE_PGM_RSRC2:TGID_Y_EN: 0
; COMPUTE_PGM_RSRC2:TGID_Z_EN: 0
; COMPUTE_PGM_RSRC2:TIDIG_COMP_CNT: 0
; COMPUTE_PGM_RSRC3_GFX90A:ACCUM_OFFSET: 0
; COMPUTE_PGM_RSRC3_GFX90A:TG_SPLIT: 0
	.section	.text._ZN7rocprim17ROCPRIM_400000_NS6detail17trampoline_kernelINS0_13select_configILj256ELj13ELNS0_17block_load_methodE3ELS4_3ELS4_3ELNS0_20block_scan_algorithmE0ELj4294967295EEENS1_25partition_config_selectorILNS1_17partition_subalgoE4EjNS0_10empty_typeEbEEZZNS1_14partition_implILS8_4ELb0ES6_15HIP_vector_typeIjLj2EENS0_17counting_iteratorIjlEEPS9_SG_NS0_5tupleIJPjSI_NS0_16reverse_iteratorISI_EEEEENSH_IJSG_SG_SG_EEES9_SI_JZNS1_25segmented_radix_sort_implINS0_14default_configELb0EPK12hip_bfloat16PSP_PKlPlN2at6native12_GLOBAL__N_18offset_tEEE10hipError_tPvRmT1_PNSt15iterator_traitsIS13_E10value_typeET2_T3_PNS14_IS19_E10value_typeET4_jRbjT5_S1F_jjP12ihipStream_tbEUljE_ZNSN_ISO_Lb0ESR_SS_SU_SV_SZ_EES10_S11_S12_S13_S17_S18_S19_S1C_S1D_jS1E_jS1F_S1F_jjS1H_bEUljE0_EEES10_S11_S12_S19_S1D_S1F_T6_T7_T9_mT8_S1H_bDpT10_ENKUlT_T0_E_clISt17integral_constantIbLb1EES1U_IbLb0EEEEDaS1Q_S1R_EUlS1Q_E_NS1_11comp_targetILNS1_3genE8ELNS1_11target_archE1030ELNS1_3gpuE2ELNS1_3repE0EEENS1_30default_config_static_selectorELNS0_4arch9wavefront6targetE1EEEvS13_,"axG",@progbits,_ZN7rocprim17ROCPRIM_400000_NS6detail17trampoline_kernelINS0_13select_configILj256ELj13ELNS0_17block_load_methodE3ELS4_3ELS4_3ELNS0_20block_scan_algorithmE0ELj4294967295EEENS1_25partition_config_selectorILNS1_17partition_subalgoE4EjNS0_10empty_typeEbEEZZNS1_14partition_implILS8_4ELb0ES6_15HIP_vector_typeIjLj2EENS0_17counting_iteratorIjlEEPS9_SG_NS0_5tupleIJPjSI_NS0_16reverse_iteratorISI_EEEEENSH_IJSG_SG_SG_EEES9_SI_JZNS1_25segmented_radix_sort_implINS0_14default_configELb0EPK12hip_bfloat16PSP_PKlPlN2at6native12_GLOBAL__N_18offset_tEEE10hipError_tPvRmT1_PNSt15iterator_traitsIS13_E10value_typeET2_T3_PNS14_IS19_E10value_typeET4_jRbjT5_S1F_jjP12ihipStream_tbEUljE_ZNSN_ISO_Lb0ESR_SS_SU_SV_SZ_EES10_S11_S12_S13_S17_S18_S19_S1C_S1D_jS1E_jS1F_S1F_jjS1H_bEUljE0_EEES10_S11_S12_S19_S1D_S1F_T6_T7_T9_mT8_S1H_bDpT10_ENKUlT_T0_E_clISt17integral_constantIbLb1EES1U_IbLb0EEEEDaS1Q_S1R_EUlS1Q_E_NS1_11comp_targetILNS1_3genE8ELNS1_11target_archE1030ELNS1_3gpuE2ELNS1_3repE0EEENS1_30default_config_static_selectorELNS0_4arch9wavefront6targetE1EEEvS13_,comdat
	.globl	_ZN7rocprim17ROCPRIM_400000_NS6detail17trampoline_kernelINS0_13select_configILj256ELj13ELNS0_17block_load_methodE3ELS4_3ELS4_3ELNS0_20block_scan_algorithmE0ELj4294967295EEENS1_25partition_config_selectorILNS1_17partition_subalgoE4EjNS0_10empty_typeEbEEZZNS1_14partition_implILS8_4ELb0ES6_15HIP_vector_typeIjLj2EENS0_17counting_iteratorIjlEEPS9_SG_NS0_5tupleIJPjSI_NS0_16reverse_iteratorISI_EEEEENSH_IJSG_SG_SG_EEES9_SI_JZNS1_25segmented_radix_sort_implINS0_14default_configELb0EPK12hip_bfloat16PSP_PKlPlN2at6native12_GLOBAL__N_18offset_tEEE10hipError_tPvRmT1_PNSt15iterator_traitsIS13_E10value_typeET2_T3_PNS14_IS19_E10value_typeET4_jRbjT5_S1F_jjP12ihipStream_tbEUljE_ZNSN_ISO_Lb0ESR_SS_SU_SV_SZ_EES10_S11_S12_S13_S17_S18_S19_S1C_S1D_jS1E_jS1F_S1F_jjS1H_bEUljE0_EEES10_S11_S12_S19_S1D_S1F_T6_T7_T9_mT8_S1H_bDpT10_ENKUlT_T0_E_clISt17integral_constantIbLb1EES1U_IbLb0EEEEDaS1Q_S1R_EUlS1Q_E_NS1_11comp_targetILNS1_3genE8ELNS1_11target_archE1030ELNS1_3gpuE2ELNS1_3repE0EEENS1_30default_config_static_selectorELNS0_4arch9wavefront6targetE1EEEvS13_ ; -- Begin function _ZN7rocprim17ROCPRIM_400000_NS6detail17trampoline_kernelINS0_13select_configILj256ELj13ELNS0_17block_load_methodE3ELS4_3ELS4_3ELNS0_20block_scan_algorithmE0ELj4294967295EEENS1_25partition_config_selectorILNS1_17partition_subalgoE4EjNS0_10empty_typeEbEEZZNS1_14partition_implILS8_4ELb0ES6_15HIP_vector_typeIjLj2EENS0_17counting_iteratorIjlEEPS9_SG_NS0_5tupleIJPjSI_NS0_16reverse_iteratorISI_EEEEENSH_IJSG_SG_SG_EEES9_SI_JZNS1_25segmented_radix_sort_implINS0_14default_configELb0EPK12hip_bfloat16PSP_PKlPlN2at6native12_GLOBAL__N_18offset_tEEE10hipError_tPvRmT1_PNSt15iterator_traitsIS13_E10value_typeET2_T3_PNS14_IS19_E10value_typeET4_jRbjT5_S1F_jjP12ihipStream_tbEUljE_ZNSN_ISO_Lb0ESR_SS_SU_SV_SZ_EES10_S11_S12_S13_S17_S18_S19_S1C_S1D_jS1E_jS1F_S1F_jjS1H_bEUljE0_EEES10_S11_S12_S19_S1D_S1F_T6_T7_T9_mT8_S1H_bDpT10_ENKUlT_T0_E_clISt17integral_constantIbLb1EES1U_IbLb0EEEEDaS1Q_S1R_EUlS1Q_E_NS1_11comp_targetILNS1_3genE8ELNS1_11target_archE1030ELNS1_3gpuE2ELNS1_3repE0EEENS1_30default_config_static_selectorELNS0_4arch9wavefront6targetE1EEEvS13_
	.p2align	8
	.type	_ZN7rocprim17ROCPRIM_400000_NS6detail17trampoline_kernelINS0_13select_configILj256ELj13ELNS0_17block_load_methodE3ELS4_3ELS4_3ELNS0_20block_scan_algorithmE0ELj4294967295EEENS1_25partition_config_selectorILNS1_17partition_subalgoE4EjNS0_10empty_typeEbEEZZNS1_14partition_implILS8_4ELb0ES6_15HIP_vector_typeIjLj2EENS0_17counting_iteratorIjlEEPS9_SG_NS0_5tupleIJPjSI_NS0_16reverse_iteratorISI_EEEEENSH_IJSG_SG_SG_EEES9_SI_JZNS1_25segmented_radix_sort_implINS0_14default_configELb0EPK12hip_bfloat16PSP_PKlPlN2at6native12_GLOBAL__N_18offset_tEEE10hipError_tPvRmT1_PNSt15iterator_traitsIS13_E10value_typeET2_T3_PNS14_IS19_E10value_typeET4_jRbjT5_S1F_jjP12ihipStream_tbEUljE_ZNSN_ISO_Lb0ESR_SS_SU_SV_SZ_EES10_S11_S12_S13_S17_S18_S19_S1C_S1D_jS1E_jS1F_S1F_jjS1H_bEUljE0_EEES10_S11_S12_S19_S1D_S1F_T6_T7_T9_mT8_S1H_bDpT10_ENKUlT_T0_E_clISt17integral_constantIbLb1EES1U_IbLb0EEEEDaS1Q_S1R_EUlS1Q_E_NS1_11comp_targetILNS1_3genE8ELNS1_11target_archE1030ELNS1_3gpuE2ELNS1_3repE0EEENS1_30default_config_static_selectorELNS0_4arch9wavefront6targetE1EEEvS13_,@function
_ZN7rocprim17ROCPRIM_400000_NS6detail17trampoline_kernelINS0_13select_configILj256ELj13ELNS0_17block_load_methodE3ELS4_3ELS4_3ELNS0_20block_scan_algorithmE0ELj4294967295EEENS1_25partition_config_selectorILNS1_17partition_subalgoE4EjNS0_10empty_typeEbEEZZNS1_14partition_implILS8_4ELb0ES6_15HIP_vector_typeIjLj2EENS0_17counting_iteratorIjlEEPS9_SG_NS0_5tupleIJPjSI_NS0_16reverse_iteratorISI_EEEEENSH_IJSG_SG_SG_EEES9_SI_JZNS1_25segmented_radix_sort_implINS0_14default_configELb0EPK12hip_bfloat16PSP_PKlPlN2at6native12_GLOBAL__N_18offset_tEEE10hipError_tPvRmT1_PNSt15iterator_traitsIS13_E10value_typeET2_T3_PNS14_IS19_E10value_typeET4_jRbjT5_S1F_jjP12ihipStream_tbEUljE_ZNSN_ISO_Lb0ESR_SS_SU_SV_SZ_EES10_S11_S12_S13_S17_S18_S19_S1C_S1D_jS1E_jS1F_S1F_jjS1H_bEUljE0_EEES10_S11_S12_S19_S1D_S1F_T6_T7_T9_mT8_S1H_bDpT10_ENKUlT_T0_E_clISt17integral_constantIbLb1EES1U_IbLb0EEEEDaS1Q_S1R_EUlS1Q_E_NS1_11comp_targetILNS1_3genE8ELNS1_11target_archE1030ELNS1_3gpuE2ELNS1_3repE0EEENS1_30default_config_static_selectorELNS0_4arch9wavefront6targetE1EEEvS13_: ; @_ZN7rocprim17ROCPRIM_400000_NS6detail17trampoline_kernelINS0_13select_configILj256ELj13ELNS0_17block_load_methodE3ELS4_3ELS4_3ELNS0_20block_scan_algorithmE0ELj4294967295EEENS1_25partition_config_selectorILNS1_17partition_subalgoE4EjNS0_10empty_typeEbEEZZNS1_14partition_implILS8_4ELb0ES6_15HIP_vector_typeIjLj2EENS0_17counting_iteratorIjlEEPS9_SG_NS0_5tupleIJPjSI_NS0_16reverse_iteratorISI_EEEEENSH_IJSG_SG_SG_EEES9_SI_JZNS1_25segmented_radix_sort_implINS0_14default_configELb0EPK12hip_bfloat16PSP_PKlPlN2at6native12_GLOBAL__N_18offset_tEEE10hipError_tPvRmT1_PNSt15iterator_traitsIS13_E10value_typeET2_T3_PNS14_IS19_E10value_typeET4_jRbjT5_S1F_jjP12ihipStream_tbEUljE_ZNSN_ISO_Lb0ESR_SS_SU_SV_SZ_EES10_S11_S12_S13_S17_S18_S19_S1C_S1D_jS1E_jS1F_S1F_jjS1H_bEUljE0_EEES10_S11_S12_S19_S1D_S1F_T6_T7_T9_mT8_S1H_bDpT10_ENKUlT_T0_E_clISt17integral_constantIbLb1EES1U_IbLb0EEEEDaS1Q_S1R_EUlS1Q_E_NS1_11comp_targetILNS1_3genE8ELNS1_11target_archE1030ELNS1_3gpuE2ELNS1_3repE0EEENS1_30default_config_static_selectorELNS0_4arch9wavefront6targetE1EEEvS13_
; %bb.0:
	.section	.rodata,"a",@progbits
	.p2align	6, 0x0
	.amdhsa_kernel _ZN7rocprim17ROCPRIM_400000_NS6detail17trampoline_kernelINS0_13select_configILj256ELj13ELNS0_17block_load_methodE3ELS4_3ELS4_3ELNS0_20block_scan_algorithmE0ELj4294967295EEENS1_25partition_config_selectorILNS1_17partition_subalgoE4EjNS0_10empty_typeEbEEZZNS1_14partition_implILS8_4ELb0ES6_15HIP_vector_typeIjLj2EENS0_17counting_iteratorIjlEEPS9_SG_NS0_5tupleIJPjSI_NS0_16reverse_iteratorISI_EEEEENSH_IJSG_SG_SG_EEES9_SI_JZNS1_25segmented_radix_sort_implINS0_14default_configELb0EPK12hip_bfloat16PSP_PKlPlN2at6native12_GLOBAL__N_18offset_tEEE10hipError_tPvRmT1_PNSt15iterator_traitsIS13_E10value_typeET2_T3_PNS14_IS19_E10value_typeET4_jRbjT5_S1F_jjP12ihipStream_tbEUljE_ZNSN_ISO_Lb0ESR_SS_SU_SV_SZ_EES10_S11_S12_S13_S17_S18_S19_S1C_S1D_jS1E_jS1F_S1F_jjS1H_bEUljE0_EEES10_S11_S12_S19_S1D_S1F_T6_T7_T9_mT8_S1H_bDpT10_ENKUlT_T0_E_clISt17integral_constantIbLb1EES1U_IbLb0EEEEDaS1Q_S1R_EUlS1Q_E_NS1_11comp_targetILNS1_3genE8ELNS1_11target_archE1030ELNS1_3gpuE2ELNS1_3repE0EEENS1_30default_config_static_selectorELNS0_4arch9wavefront6targetE1EEEvS13_
		.amdhsa_group_segment_fixed_size 0
		.amdhsa_private_segment_fixed_size 0
		.amdhsa_kernarg_size 176
		.amdhsa_user_sgpr_count 6
		.amdhsa_user_sgpr_private_segment_buffer 1
		.amdhsa_user_sgpr_dispatch_ptr 0
		.amdhsa_user_sgpr_queue_ptr 0
		.amdhsa_user_sgpr_kernarg_segment_ptr 1
		.amdhsa_user_sgpr_dispatch_id 0
		.amdhsa_user_sgpr_flat_scratch_init 0
		.amdhsa_user_sgpr_kernarg_preload_length 0
		.amdhsa_user_sgpr_kernarg_preload_offset 0
		.amdhsa_user_sgpr_private_segment_size 0
		.amdhsa_uses_dynamic_stack 0
		.amdhsa_system_sgpr_private_segment_wavefront_offset 0
		.amdhsa_system_sgpr_workgroup_id_x 1
		.amdhsa_system_sgpr_workgroup_id_y 0
		.amdhsa_system_sgpr_workgroup_id_z 0
		.amdhsa_system_sgpr_workgroup_info 0
		.amdhsa_system_vgpr_workitem_id 0
		.amdhsa_next_free_vgpr 1
		.amdhsa_next_free_sgpr 0
		.amdhsa_accum_offset 4
		.amdhsa_reserve_vcc 0
		.amdhsa_reserve_flat_scratch 0
		.amdhsa_float_round_mode_32 0
		.amdhsa_float_round_mode_16_64 0
		.amdhsa_float_denorm_mode_32 3
		.amdhsa_float_denorm_mode_16_64 3
		.amdhsa_dx10_clamp 1
		.amdhsa_ieee_mode 1
		.amdhsa_fp16_overflow 0
		.amdhsa_tg_split 0
		.amdhsa_exception_fp_ieee_invalid_op 0
		.amdhsa_exception_fp_denorm_src 0
		.amdhsa_exception_fp_ieee_div_zero 0
		.amdhsa_exception_fp_ieee_overflow 0
		.amdhsa_exception_fp_ieee_underflow 0
		.amdhsa_exception_fp_ieee_inexact 0
		.amdhsa_exception_int_div_zero 0
	.end_amdhsa_kernel
	.section	.text._ZN7rocprim17ROCPRIM_400000_NS6detail17trampoline_kernelINS0_13select_configILj256ELj13ELNS0_17block_load_methodE3ELS4_3ELS4_3ELNS0_20block_scan_algorithmE0ELj4294967295EEENS1_25partition_config_selectorILNS1_17partition_subalgoE4EjNS0_10empty_typeEbEEZZNS1_14partition_implILS8_4ELb0ES6_15HIP_vector_typeIjLj2EENS0_17counting_iteratorIjlEEPS9_SG_NS0_5tupleIJPjSI_NS0_16reverse_iteratorISI_EEEEENSH_IJSG_SG_SG_EEES9_SI_JZNS1_25segmented_radix_sort_implINS0_14default_configELb0EPK12hip_bfloat16PSP_PKlPlN2at6native12_GLOBAL__N_18offset_tEEE10hipError_tPvRmT1_PNSt15iterator_traitsIS13_E10value_typeET2_T3_PNS14_IS19_E10value_typeET4_jRbjT5_S1F_jjP12ihipStream_tbEUljE_ZNSN_ISO_Lb0ESR_SS_SU_SV_SZ_EES10_S11_S12_S13_S17_S18_S19_S1C_S1D_jS1E_jS1F_S1F_jjS1H_bEUljE0_EEES10_S11_S12_S19_S1D_S1F_T6_T7_T9_mT8_S1H_bDpT10_ENKUlT_T0_E_clISt17integral_constantIbLb1EES1U_IbLb0EEEEDaS1Q_S1R_EUlS1Q_E_NS1_11comp_targetILNS1_3genE8ELNS1_11target_archE1030ELNS1_3gpuE2ELNS1_3repE0EEENS1_30default_config_static_selectorELNS0_4arch9wavefront6targetE1EEEvS13_,"axG",@progbits,_ZN7rocprim17ROCPRIM_400000_NS6detail17trampoline_kernelINS0_13select_configILj256ELj13ELNS0_17block_load_methodE3ELS4_3ELS4_3ELNS0_20block_scan_algorithmE0ELj4294967295EEENS1_25partition_config_selectorILNS1_17partition_subalgoE4EjNS0_10empty_typeEbEEZZNS1_14partition_implILS8_4ELb0ES6_15HIP_vector_typeIjLj2EENS0_17counting_iteratorIjlEEPS9_SG_NS0_5tupleIJPjSI_NS0_16reverse_iteratorISI_EEEEENSH_IJSG_SG_SG_EEES9_SI_JZNS1_25segmented_radix_sort_implINS0_14default_configELb0EPK12hip_bfloat16PSP_PKlPlN2at6native12_GLOBAL__N_18offset_tEEE10hipError_tPvRmT1_PNSt15iterator_traitsIS13_E10value_typeET2_T3_PNS14_IS19_E10value_typeET4_jRbjT5_S1F_jjP12ihipStream_tbEUljE_ZNSN_ISO_Lb0ESR_SS_SU_SV_SZ_EES10_S11_S12_S13_S17_S18_S19_S1C_S1D_jS1E_jS1F_S1F_jjS1H_bEUljE0_EEES10_S11_S12_S19_S1D_S1F_T6_T7_T9_mT8_S1H_bDpT10_ENKUlT_T0_E_clISt17integral_constantIbLb1EES1U_IbLb0EEEEDaS1Q_S1R_EUlS1Q_E_NS1_11comp_targetILNS1_3genE8ELNS1_11target_archE1030ELNS1_3gpuE2ELNS1_3repE0EEENS1_30default_config_static_selectorELNS0_4arch9wavefront6targetE1EEEvS13_,comdat
.Lfunc_end2006:
	.size	_ZN7rocprim17ROCPRIM_400000_NS6detail17trampoline_kernelINS0_13select_configILj256ELj13ELNS0_17block_load_methodE3ELS4_3ELS4_3ELNS0_20block_scan_algorithmE0ELj4294967295EEENS1_25partition_config_selectorILNS1_17partition_subalgoE4EjNS0_10empty_typeEbEEZZNS1_14partition_implILS8_4ELb0ES6_15HIP_vector_typeIjLj2EENS0_17counting_iteratorIjlEEPS9_SG_NS0_5tupleIJPjSI_NS0_16reverse_iteratorISI_EEEEENSH_IJSG_SG_SG_EEES9_SI_JZNS1_25segmented_radix_sort_implINS0_14default_configELb0EPK12hip_bfloat16PSP_PKlPlN2at6native12_GLOBAL__N_18offset_tEEE10hipError_tPvRmT1_PNSt15iterator_traitsIS13_E10value_typeET2_T3_PNS14_IS19_E10value_typeET4_jRbjT5_S1F_jjP12ihipStream_tbEUljE_ZNSN_ISO_Lb0ESR_SS_SU_SV_SZ_EES10_S11_S12_S13_S17_S18_S19_S1C_S1D_jS1E_jS1F_S1F_jjS1H_bEUljE0_EEES10_S11_S12_S19_S1D_S1F_T6_T7_T9_mT8_S1H_bDpT10_ENKUlT_T0_E_clISt17integral_constantIbLb1EES1U_IbLb0EEEEDaS1Q_S1R_EUlS1Q_E_NS1_11comp_targetILNS1_3genE8ELNS1_11target_archE1030ELNS1_3gpuE2ELNS1_3repE0EEENS1_30default_config_static_selectorELNS0_4arch9wavefront6targetE1EEEvS13_, .Lfunc_end2006-_ZN7rocprim17ROCPRIM_400000_NS6detail17trampoline_kernelINS0_13select_configILj256ELj13ELNS0_17block_load_methodE3ELS4_3ELS4_3ELNS0_20block_scan_algorithmE0ELj4294967295EEENS1_25partition_config_selectorILNS1_17partition_subalgoE4EjNS0_10empty_typeEbEEZZNS1_14partition_implILS8_4ELb0ES6_15HIP_vector_typeIjLj2EENS0_17counting_iteratorIjlEEPS9_SG_NS0_5tupleIJPjSI_NS0_16reverse_iteratorISI_EEEEENSH_IJSG_SG_SG_EEES9_SI_JZNS1_25segmented_radix_sort_implINS0_14default_configELb0EPK12hip_bfloat16PSP_PKlPlN2at6native12_GLOBAL__N_18offset_tEEE10hipError_tPvRmT1_PNSt15iterator_traitsIS13_E10value_typeET2_T3_PNS14_IS19_E10value_typeET4_jRbjT5_S1F_jjP12ihipStream_tbEUljE_ZNSN_ISO_Lb0ESR_SS_SU_SV_SZ_EES10_S11_S12_S13_S17_S18_S19_S1C_S1D_jS1E_jS1F_S1F_jjS1H_bEUljE0_EEES10_S11_S12_S19_S1D_S1F_T6_T7_T9_mT8_S1H_bDpT10_ENKUlT_T0_E_clISt17integral_constantIbLb1EES1U_IbLb0EEEEDaS1Q_S1R_EUlS1Q_E_NS1_11comp_targetILNS1_3genE8ELNS1_11target_archE1030ELNS1_3gpuE2ELNS1_3repE0EEENS1_30default_config_static_selectorELNS0_4arch9wavefront6targetE1EEEvS13_
                                        ; -- End function
	.section	.AMDGPU.csdata,"",@progbits
; Kernel info:
; codeLenInByte = 0
; NumSgprs: 4
; NumVgprs: 0
; NumAgprs: 0
; TotalNumVgprs: 0
; ScratchSize: 0
; MemoryBound: 0
; FloatMode: 240
; IeeeMode: 1
; LDSByteSize: 0 bytes/workgroup (compile time only)
; SGPRBlocks: 0
; VGPRBlocks: 0
; NumSGPRsForWavesPerEU: 4
; NumVGPRsForWavesPerEU: 1
; AccumOffset: 4
; Occupancy: 8
; WaveLimiterHint : 0
; COMPUTE_PGM_RSRC2:SCRATCH_EN: 0
; COMPUTE_PGM_RSRC2:USER_SGPR: 6
; COMPUTE_PGM_RSRC2:TRAP_HANDLER: 0
; COMPUTE_PGM_RSRC2:TGID_X_EN: 1
; COMPUTE_PGM_RSRC2:TGID_Y_EN: 0
; COMPUTE_PGM_RSRC2:TGID_Z_EN: 0
; COMPUTE_PGM_RSRC2:TIDIG_COMP_CNT: 0
; COMPUTE_PGM_RSRC3_GFX90A:ACCUM_OFFSET: 0
; COMPUTE_PGM_RSRC3_GFX90A:TG_SPLIT: 0
	.section	.text._ZN7rocprim17ROCPRIM_400000_NS6detail17trampoline_kernelINS0_13select_configILj256ELj13ELNS0_17block_load_methodE3ELS4_3ELS4_3ELNS0_20block_scan_algorithmE0ELj4294967295EEENS1_25partition_config_selectorILNS1_17partition_subalgoE4EjNS0_10empty_typeEbEEZZNS1_14partition_implILS8_4ELb0ES6_15HIP_vector_typeIjLj2EENS0_17counting_iteratorIjlEEPS9_SG_NS0_5tupleIJPjSI_NS0_16reverse_iteratorISI_EEEEENSH_IJSG_SG_SG_EEES9_SI_JZNS1_25segmented_radix_sort_implINS0_14default_configELb0EPK12hip_bfloat16PSP_PKlPlN2at6native12_GLOBAL__N_18offset_tEEE10hipError_tPvRmT1_PNSt15iterator_traitsIS13_E10value_typeET2_T3_PNS14_IS19_E10value_typeET4_jRbjT5_S1F_jjP12ihipStream_tbEUljE_ZNSN_ISO_Lb0ESR_SS_SU_SV_SZ_EES10_S11_S12_S13_S17_S18_S19_S1C_S1D_jS1E_jS1F_S1F_jjS1H_bEUljE0_EEES10_S11_S12_S19_S1D_S1F_T6_T7_T9_mT8_S1H_bDpT10_ENKUlT_T0_E_clISt17integral_constantIbLb0EES1U_IbLb1EEEEDaS1Q_S1R_EUlS1Q_E_NS1_11comp_targetILNS1_3genE0ELNS1_11target_archE4294967295ELNS1_3gpuE0ELNS1_3repE0EEENS1_30default_config_static_selectorELNS0_4arch9wavefront6targetE1EEEvS13_,"axG",@progbits,_ZN7rocprim17ROCPRIM_400000_NS6detail17trampoline_kernelINS0_13select_configILj256ELj13ELNS0_17block_load_methodE3ELS4_3ELS4_3ELNS0_20block_scan_algorithmE0ELj4294967295EEENS1_25partition_config_selectorILNS1_17partition_subalgoE4EjNS0_10empty_typeEbEEZZNS1_14partition_implILS8_4ELb0ES6_15HIP_vector_typeIjLj2EENS0_17counting_iteratorIjlEEPS9_SG_NS0_5tupleIJPjSI_NS0_16reverse_iteratorISI_EEEEENSH_IJSG_SG_SG_EEES9_SI_JZNS1_25segmented_radix_sort_implINS0_14default_configELb0EPK12hip_bfloat16PSP_PKlPlN2at6native12_GLOBAL__N_18offset_tEEE10hipError_tPvRmT1_PNSt15iterator_traitsIS13_E10value_typeET2_T3_PNS14_IS19_E10value_typeET4_jRbjT5_S1F_jjP12ihipStream_tbEUljE_ZNSN_ISO_Lb0ESR_SS_SU_SV_SZ_EES10_S11_S12_S13_S17_S18_S19_S1C_S1D_jS1E_jS1F_S1F_jjS1H_bEUljE0_EEES10_S11_S12_S19_S1D_S1F_T6_T7_T9_mT8_S1H_bDpT10_ENKUlT_T0_E_clISt17integral_constantIbLb0EES1U_IbLb1EEEEDaS1Q_S1R_EUlS1Q_E_NS1_11comp_targetILNS1_3genE0ELNS1_11target_archE4294967295ELNS1_3gpuE0ELNS1_3repE0EEENS1_30default_config_static_selectorELNS0_4arch9wavefront6targetE1EEEvS13_,comdat
	.globl	_ZN7rocprim17ROCPRIM_400000_NS6detail17trampoline_kernelINS0_13select_configILj256ELj13ELNS0_17block_load_methodE3ELS4_3ELS4_3ELNS0_20block_scan_algorithmE0ELj4294967295EEENS1_25partition_config_selectorILNS1_17partition_subalgoE4EjNS0_10empty_typeEbEEZZNS1_14partition_implILS8_4ELb0ES6_15HIP_vector_typeIjLj2EENS0_17counting_iteratorIjlEEPS9_SG_NS0_5tupleIJPjSI_NS0_16reverse_iteratorISI_EEEEENSH_IJSG_SG_SG_EEES9_SI_JZNS1_25segmented_radix_sort_implINS0_14default_configELb0EPK12hip_bfloat16PSP_PKlPlN2at6native12_GLOBAL__N_18offset_tEEE10hipError_tPvRmT1_PNSt15iterator_traitsIS13_E10value_typeET2_T3_PNS14_IS19_E10value_typeET4_jRbjT5_S1F_jjP12ihipStream_tbEUljE_ZNSN_ISO_Lb0ESR_SS_SU_SV_SZ_EES10_S11_S12_S13_S17_S18_S19_S1C_S1D_jS1E_jS1F_S1F_jjS1H_bEUljE0_EEES10_S11_S12_S19_S1D_S1F_T6_T7_T9_mT8_S1H_bDpT10_ENKUlT_T0_E_clISt17integral_constantIbLb0EES1U_IbLb1EEEEDaS1Q_S1R_EUlS1Q_E_NS1_11comp_targetILNS1_3genE0ELNS1_11target_archE4294967295ELNS1_3gpuE0ELNS1_3repE0EEENS1_30default_config_static_selectorELNS0_4arch9wavefront6targetE1EEEvS13_ ; -- Begin function _ZN7rocprim17ROCPRIM_400000_NS6detail17trampoline_kernelINS0_13select_configILj256ELj13ELNS0_17block_load_methodE3ELS4_3ELS4_3ELNS0_20block_scan_algorithmE0ELj4294967295EEENS1_25partition_config_selectorILNS1_17partition_subalgoE4EjNS0_10empty_typeEbEEZZNS1_14partition_implILS8_4ELb0ES6_15HIP_vector_typeIjLj2EENS0_17counting_iteratorIjlEEPS9_SG_NS0_5tupleIJPjSI_NS0_16reverse_iteratorISI_EEEEENSH_IJSG_SG_SG_EEES9_SI_JZNS1_25segmented_radix_sort_implINS0_14default_configELb0EPK12hip_bfloat16PSP_PKlPlN2at6native12_GLOBAL__N_18offset_tEEE10hipError_tPvRmT1_PNSt15iterator_traitsIS13_E10value_typeET2_T3_PNS14_IS19_E10value_typeET4_jRbjT5_S1F_jjP12ihipStream_tbEUljE_ZNSN_ISO_Lb0ESR_SS_SU_SV_SZ_EES10_S11_S12_S13_S17_S18_S19_S1C_S1D_jS1E_jS1F_S1F_jjS1H_bEUljE0_EEES10_S11_S12_S19_S1D_S1F_T6_T7_T9_mT8_S1H_bDpT10_ENKUlT_T0_E_clISt17integral_constantIbLb0EES1U_IbLb1EEEEDaS1Q_S1R_EUlS1Q_E_NS1_11comp_targetILNS1_3genE0ELNS1_11target_archE4294967295ELNS1_3gpuE0ELNS1_3repE0EEENS1_30default_config_static_selectorELNS0_4arch9wavefront6targetE1EEEvS13_
	.p2align	8
	.type	_ZN7rocprim17ROCPRIM_400000_NS6detail17trampoline_kernelINS0_13select_configILj256ELj13ELNS0_17block_load_methodE3ELS4_3ELS4_3ELNS0_20block_scan_algorithmE0ELj4294967295EEENS1_25partition_config_selectorILNS1_17partition_subalgoE4EjNS0_10empty_typeEbEEZZNS1_14partition_implILS8_4ELb0ES6_15HIP_vector_typeIjLj2EENS0_17counting_iteratorIjlEEPS9_SG_NS0_5tupleIJPjSI_NS0_16reverse_iteratorISI_EEEEENSH_IJSG_SG_SG_EEES9_SI_JZNS1_25segmented_radix_sort_implINS0_14default_configELb0EPK12hip_bfloat16PSP_PKlPlN2at6native12_GLOBAL__N_18offset_tEEE10hipError_tPvRmT1_PNSt15iterator_traitsIS13_E10value_typeET2_T3_PNS14_IS19_E10value_typeET4_jRbjT5_S1F_jjP12ihipStream_tbEUljE_ZNSN_ISO_Lb0ESR_SS_SU_SV_SZ_EES10_S11_S12_S13_S17_S18_S19_S1C_S1D_jS1E_jS1F_S1F_jjS1H_bEUljE0_EEES10_S11_S12_S19_S1D_S1F_T6_T7_T9_mT8_S1H_bDpT10_ENKUlT_T0_E_clISt17integral_constantIbLb0EES1U_IbLb1EEEEDaS1Q_S1R_EUlS1Q_E_NS1_11comp_targetILNS1_3genE0ELNS1_11target_archE4294967295ELNS1_3gpuE0ELNS1_3repE0EEENS1_30default_config_static_selectorELNS0_4arch9wavefront6targetE1EEEvS13_,@function
_ZN7rocprim17ROCPRIM_400000_NS6detail17trampoline_kernelINS0_13select_configILj256ELj13ELNS0_17block_load_methodE3ELS4_3ELS4_3ELNS0_20block_scan_algorithmE0ELj4294967295EEENS1_25partition_config_selectorILNS1_17partition_subalgoE4EjNS0_10empty_typeEbEEZZNS1_14partition_implILS8_4ELb0ES6_15HIP_vector_typeIjLj2EENS0_17counting_iteratorIjlEEPS9_SG_NS0_5tupleIJPjSI_NS0_16reverse_iteratorISI_EEEEENSH_IJSG_SG_SG_EEES9_SI_JZNS1_25segmented_radix_sort_implINS0_14default_configELb0EPK12hip_bfloat16PSP_PKlPlN2at6native12_GLOBAL__N_18offset_tEEE10hipError_tPvRmT1_PNSt15iterator_traitsIS13_E10value_typeET2_T3_PNS14_IS19_E10value_typeET4_jRbjT5_S1F_jjP12ihipStream_tbEUljE_ZNSN_ISO_Lb0ESR_SS_SU_SV_SZ_EES10_S11_S12_S13_S17_S18_S19_S1C_S1D_jS1E_jS1F_S1F_jjS1H_bEUljE0_EEES10_S11_S12_S19_S1D_S1F_T6_T7_T9_mT8_S1H_bDpT10_ENKUlT_T0_E_clISt17integral_constantIbLb0EES1U_IbLb1EEEEDaS1Q_S1R_EUlS1Q_E_NS1_11comp_targetILNS1_3genE0ELNS1_11target_archE4294967295ELNS1_3gpuE0ELNS1_3repE0EEENS1_30default_config_static_selectorELNS0_4arch9wavefront6targetE1EEEvS13_: ; @_ZN7rocprim17ROCPRIM_400000_NS6detail17trampoline_kernelINS0_13select_configILj256ELj13ELNS0_17block_load_methodE3ELS4_3ELS4_3ELNS0_20block_scan_algorithmE0ELj4294967295EEENS1_25partition_config_selectorILNS1_17partition_subalgoE4EjNS0_10empty_typeEbEEZZNS1_14partition_implILS8_4ELb0ES6_15HIP_vector_typeIjLj2EENS0_17counting_iteratorIjlEEPS9_SG_NS0_5tupleIJPjSI_NS0_16reverse_iteratorISI_EEEEENSH_IJSG_SG_SG_EEES9_SI_JZNS1_25segmented_radix_sort_implINS0_14default_configELb0EPK12hip_bfloat16PSP_PKlPlN2at6native12_GLOBAL__N_18offset_tEEE10hipError_tPvRmT1_PNSt15iterator_traitsIS13_E10value_typeET2_T3_PNS14_IS19_E10value_typeET4_jRbjT5_S1F_jjP12ihipStream_tbEUljE_ZNSN_ISO_Lb0ESR_SS_SU_SV_SZ_EES10_S11_S12_S13_S17_S18_S19_S1C_S1D_jS1E_jS1F_S1F_jjS1H_bEUljE0_EEES10_S11_S12_S19_S1D_S1F_T6_T7_T9_mT8_S1H_bDpT10_ENKUlT_T0_E_clISt17integral_constantIbLb0EES1U_IbLb1EEEEDaS1Q_S1R_EUlS1Q_E_NS1_11comp_targetILNS1_3genE0ELNS1_11target_archE4294967295ELNS1_3gpuE0ELNS1_3repE0EEENS1_30default_config_static_selectorELNS0_4arch9wavefront6targetE1EEEvS13_
; %bb.0:
	.section	.rodata,"a",@progbits
	.p2align	6, 0x0
	.amdhsa_kernel _ZN7rocprim17ROCPRIM_400000_NS6detail17trampoline_kernelINS0_13select_configILj256ELj13ELNS0_17block_load_methodE3ELS4_3ELS4_3ELNS0_20block_scan_algorithmE0ELj4294967295EEENS1_25partition_config_selectorILNS1_17partition_subalgoE4EjNS0_10empty_typeEbEEZZNS1_14partition_implILS8_4ELb0ES6_15HIP_vector_typeIjLj2EENS0_17counting_iteratorIjlEEPS9_SG_NS0_5tupleIJPjSI_NS0_16reverse_iteratorISI_EEEEENSH_IJSG_SG_SG_EEES9_SI_JZNS1_25segmented_radix_sort_implINS0_14default_configELb0EPK12hip_bfloat16PSP_PKlPlN2at6native12_GLOBAL__N_18offset_tEEE10hipError_tPvRmT1_PNSt15iterator_traitsIS13_E10value_typeET2_T3_PNS14_IS19_E10value_typeET4_jRbjT5_S1F_jjP12ihipStream_tbEUljE_ZNSN_ISO_Lb0ESR_SS_SU_SV_SZ_EES10_S11_S12_S13_S17_S18_S19_S1C_S1D_jS1E_jS1F_S1F_jjS1H_bEUljE0_EEES10_S11_S12_S19_S1D_S1F_T6_T7_T9_mT8_S1H_bDpT10_ENKUlT_T0_E_clISt17integral_constantIbLb0EES1U_IbLb1EEEEDaS1Q_S1R_EUlS1Q_E_NS1_11comp_targetILNS1_3genE0ELNS1_11target_archE4294967295ELNS1_3gpuE0ELNS1_3repE0EEENS1_30default_config_static_selectorELNS0_4arch9wavefront6targetE1EEEvS13_
		.amdhsa_group_segment_fixed_size 0
		.amdhsa_private_segment_fixed_size 0
		.amdhsa_kernarg_size 184
		.amdhsa_user_sgpr_count 6
		.amdhsa_user_sgpr_private_segment_buffer 1
		.amdhsa_user_sgpr_dispatch_ptr 0
		.amdhsa_user_sgpr_queue_ptr 0
		.amdhsa_user_sgpr_kernarg_segment_ptr 1
		.amdhsa_user_sgpr_dispatch_id 0
		.amdhsa_user_sgpr_flat_scratch_init 0
		.amdhsa_user_sgpr_kernarg_preload_length 0
		.amdhsa_user_sgpr_kernarg_preload_offset 0
		.amdhsa_user_sgpr_private_segment_size 0
		.amdhsa_uses_dynamic_stack 0
		.amdhsa_system_sgpr_private_segment_wavefront_offset 0
		.amdhsa_system_sgpr_workgroup_id_x 1
		.amdhsa_system_sgpr_workgroup_id_y 0
		.amdhsa_system_sgpr_workgroup_id_z 0
		.amdhsa_system_sgpr_workgroup_info 0
		.amdhsa_system_vgpr_workitem_id 0
		.amdhsa_next_free_vgpr 1
		.amdhsa_next_free_sgpr 0
		.amdhsa_accum_offset 4
		.amdhsa_reserve_vcc 0
		.amdhsa_reserve_flat_scratch 0
		.amdhsa_float_round_mode_32 0
		.amdhsa_float_round_mode_16_64 0
		.amdhsa_float_denorm_mode_32 3
		.amdhsa_float_denorm_mode_16_64 3
		.amdhsa_dx10_clamp 1
		.amdhsa_ieee_mode 1
		.amdhsa_fp16_overflow 0
		.amdhsa_tg_split 0
		.amdhsa_exception_fp_ieee_invalid_op 0
		.amdhsa_exception_fp_denorm_src 0
		.amdhsa_exception_fp_ieee_div_zero 0
		.amdhsa_exception_fp_ieee_overflow 0
		.amdhsa_exception_fp_ieee_underflow 0
		.amdhsa_exception_fp_ieee_inexact 0
		.amdhsa_exception_int_div_zero 0
	.end_amdhsa_kernel
	.section	.text._ZN7rocprim17ROCPRIM_400000_NS6detail17trampoline_kernelINS0_13select_configILj256ELj13ELNS0_17block_load_methodE3ELS4_3ELS4_3ELNS0_20block_scan_algorithmE0ELj4294967295EEENS1_25partition_config_selectorILNS1_17partition_subalgoE4EjNS0_10empty_typeEbEEZZNS1_14partition_implILS8_4ELb0ES6_15HIP_vector_typeIjLj2EENS0_17counting_iteratorIjlEEPS9_SG_NS0_5tupleIJPjSI_NS0_16reverse_iteratorISI_EEEEENSH_IJSG_SG_SG_EEES9_SI_JZNS1_25segmented_radix_sort_implINS0_14default_configELb0EPK12hip_bfloat16PSP_PKlPlN2at6native12_GLOBAL__N_18offset_tEEE10hipError_tPvRmT1_PNSt15iterator_traitsIS13_E10value_typeET2_T3_PNS14_IS19_E10value_typeET4_jRbjT5_S1F_jjP12ihipStream_tbEUljE_ZNSN_ISO_Lb0ESR_SS_SU_SV_SZ_EES10_S11_S12_S13_S17_S18_S19_S1C_S1D_jS1E_jS1F_S1F_jjS1H_bEUljE0_EEES10_S11_S12_S19_S1D_S1F_T6_T7_T9_mT8_S1H_bDpT10_ENKUlT_T0_E_clISt17integral_constantIbLb0EES1U_IbLb1EEEEDaS1Q_S1R_EUlS1Q_E_NS1_11comp_targetILNS1_3genE0ELNS1_11target_archE4294967295ELNS1_3gpuE0ELNS1_3repE0EEENS1_30default_config_static_selectorELNS0_4arch9wavefront6targetE1EEEvS13_,"axG",@progbits,_ZN7rocprim17ROCPRIM_400000_NS6detail17trampoline_kernelINS0_13select_configILj256ELj13ELNS0_17block_load_methodE3ELS4_3ELS4_3ELNS0_20block_scan_algorithmE0ELj4294967295EEENS1_25partition_config_selectorILNS1_17partition_subalgoE4EjNS0_10empty_typeEbEEZZNS1_14partition_implILS8_4ELb0ES6_15HIP_vector_typeIjLj2EENS0_17counting_iteratorIjlEEPS9_SG_NS0_5tupleIJPjSI_NS0_16reverse_iteratorISI_EEEEENSH_IJSG_SG_SG_EEES9_SI_JZNS1_25segmented_radix_sort_implINS0_14default_configELb0EPK12hip_bfloat16PSP_PKlPlN2at6native12_GLOBAL__N_18offset_tEEE10hipError_tPvRmT1_PNSt15iterator_traitsIS13_E10value_typeET2_T3_PNS14_IS19_E10value_typeET4_jRbjT5_S1F_jjP12ihipStream_tbEUljE_ZNSN_ISO_Lb0ESR_SS_SU_SV_SZ_EES10_S11_S12_S13_S17_S18_S19_S1C_S1D_jS1E_jS1F_S1F_jjS1H_bEUljE0_EEES10_S11_S12_S19_S1D_S1F_T6_T7_T9_mT8_S1H_bDpT10_ENKUlT_T0_E_clISt17integral_constantIbLb0EES1U_IbLb1EEEEDaS1Q_S1R_EUlS1Q_E_NS1_11comp_targetILNS1_3genE0ELNS1_11target_archE4294967295ELNS1_3gpuE0ELNS1_3repE0EEENS1_30default_config_static_selectorELNS0_4arch9wavefront6targetE1EEEvS13_,comdat
.Lfunc_end2007:
	.size	_ZN7rocprim17ROCPRIM_400000_NS6detail17trampoline_kernelINS0_13select_configILj256ELj13ELNS0_17block_load_methodE3ELS4_3ELS4_3ELNS0_20block_scan_algorithmE0ELj4294967295EEENS1_25partition_config_selectorILNS1_17partition_subalgoE4EjNS0_10empty_typeEbEEZZNS1_14partition_implILS8_4ELb0ES6_15HIP_vector_typeIjLj2EENS0_17counting_iteratorIjlEEPS9_SG_NS0_5tupleIJPjSI_NS0_16reverse_iteratorISI_EEEEENSH_IJSG_SG_SG_EEES9_SI_JZNS1_25segmented_radix_sort_implINS0_14default_configELb0EPK12hip_bfloat16PSP_PKlPlN2at6native12_GLOBAL__N_18offset_tEEE10hipError_tPvRmT1_PNSt15iterator_traitsIS13_E10value_typeET2_T3_PNS14_IS19_E10value_typeET4_jRbjT5_S1F_jjP12ihipStream_tbEUljE_ZNSN_ISO_Lb0ESR_SS_SU_SV_SZ_EES10_S11_S12_S13_S17_S18_S19_S1C_S1D_jS1E_jS1F_S1F_jjS1H_bEUljE0_EEES10_S11_S12_S19_S1D_S1F_T6_T7_T9_mT8_S1H_bDpT10_ENKUlT_T0_E_clISt17integral_constantIbLb0EES1U_IbLb1EEEEDaS1Q_S1R_EUlS1Q_E_NS1_11comp_targetILNS1_3genE0ELNS1_11target_archE4294967295ELNS1_3gpuE0ELNS1_3repE0EEENS1_30default_config_static_selectorELNS0_4arch9wavefront6targetE1EEEvS13_, .Lfunc_end2007-_ZN7rocprim17ROCPRIM_400000_NS6detail17trampoline_kernelINS0_13select_configILj256ELj13ELNS0_17block_load_methodE3ELS4_3ELS4_3ELNS0_20block_scan_algorithmE0ELj4294967295EEENS1_25partition_config_selectorILNS1_17partition_subalgoE4EjNS0_10empty_typeEbEEZZNS1_14partition_implILS8_4ELb0ES6_15HIP_vector_typeIjLj2EENS0_17counting_iteratorIjlEEPS9_SG_NS0_5tupleIJPjSI_NS0_16reverse_iteratorISI_EEEEENSH_IJSG_SG_SG_EEES9_SI_JZNS1_25segmented_radix_sort_implINS0_14default_configELb0EPK12hip_bfloat16PSP_PKlPlN2at6native12_GLOBAL__N_18offset_tEEE10hipError_tPvRmT1_PNSt15iterator_traitsIS13_E10value_typeET2_T3_PNS14_IS19_E10value_typeET4_jRbjT5_S1F_jjP12ihipStream_tbEUljE_ZNSN_ISO_Lb0ESR_SS_SU_SV_SZ_EES10_S11_S12_S13_S17_S18_S19_S1C_S1D_jS1E_jS1F_S1F_jjS1H_bEUljE0_EEES10_S11_S12_S19_S1D_S1F_T6_T7_T9_mT8_S1H_bDpT10_ENKUlT_T0_E_clISt17integral_constantIbLb0EES1U_IbLb1EEEEDaS1Q_S1R_EUlS1Q_E_NS1_11comp_targetILNS1_3genE0ELNS1_11target_archE4294967295ELNS1_3gpuE0ELNS1_3repE0EEENS1_30default_config_static_selectorELNS0_4arch9wavefront6targetE1EEEvS13_
                                        ; -- End function
	.section	.AMDGPU.csdata,"",@progbits
; Kernel info:
; codeLenInByte = 0
; NumSgprs: 4
; NumVgprs: 0
; NumAgprs: 0
; TotalNumVgprs: 0
; ScratchSize: 0
; MemoryBound: 0
; FloatMode: 240
; IeeeMode: 1
; LDSByteSize: 0 bytes/workgroup (compile time only)
; SGPRBlocks: 0
; VGPRBlocks: 0
; NumSGPRsForWavesPerEU: 4
; NumVGPRsForWavesPerEU: 1
; AccumOffset: 4
; Occupancy: 8
; WaveLimiterHint : 0
; COMPUTE_PGM_RSRC2:SCRATCH_EN: 0
; COMPUTE_PGM_RSRC2:USER_SGPR: 6
; COMPUTE_PGM_RSRC2:TRAP_HANDLER: 0
; COMPUTE_PGM_RSRC2:TGID_X_EN: 1
; COMPUTE_PGM_RSRC2:TGID_Y_EN: 0
; COMPUTE_PGM_RSRC2:TGID_Z_EN: 0
; COMPUTE_PGM_RSRC2:TIDIG_COMP_CNT: 0
; COMPUTE_PGM_RSRC3_GFX90A:ACCUM_OFFSET: 0
; COMPUTE_PGM_RSRC3_GFX90A:TG_SPLIT: 0
	.section	.text._ZN7rocprim17ROCPRIM_400000_NS6detail17trampoline_kernelINS0_13select_configILj256ELj13ELNS0_17block_load_methodE3ELS4_3ELS4_3ELNS0_20block_scan_algorithmE0ELj4294967295EEENS1_25partition_config_selectorILNS1_17partition_subalgoE4EjNS0_10empty_typeEbEEZZNS1_14partition_implILS8_4ELb0ES6_15HIP_vector_typeIjLj2EENS0_17counting_iteratorIjlEEPS9_SG_NS0_5tupleIJPjSI_NS0_16reverse_iteratorISI_EEEEENSH_IJSG_SG_SG_EEES9_SI_JZNS1_25segmented_radix_sort_implINS0_14default_configELb0EPK12hip_bfloat16PSP_PKlPlN2at6native12_GLOBAL__N_18offset_tEEE10hipError_tPvRmT1_PNSt15iterator_traitsIS13_E10value_typeET2_T3_PNS14_IS19_E10value_typeET4_jRbjT5_S1F_jjP12ihipStream_tbEUljE_ZNSN_ISO_Lb0ESR_SS_SU_SV_SZ_EES10_S11_S12_S13_S17_S18_S19_S1C_S1D_jS1E_jS1F_S1F_jjS1H_bEUljE0_EEES10_S11_S12_S19_S1D_S1F_T6_T7_T9_mT8_S1H_bDpT10_ENKUlT_T0_E_clISt17integral_constantIbLb0EES1U_IbLb1EEEEDaS1Q_S1R_EUlS1Q_E_NS1_11comp_targetILNS1_3genE5ELNS1_11target_archE942ELNS1_3gpuE9ELNS1_3repE0EEENS1_30default_config_static_selectorELNS0_4arch9wavefront6targetE1EEEvS13_,"axG",@progbits,_ZN7rocprim17ROCPRIM_400000_NS6detail17trampoline_kernelINS0_13select_configILj256ELj13ELNS0_17block_load_methodE3ELS4_3ELS4_3ELNS0_20block_scan_algorithmE0ELj4294967295EEENS1_25partition_config_selectorILNS1_17partition_subalgoE4EjNS0_10empty_typeEbEEZZNS1_14partition_implILS8_4ELb0ES6_15HIP_vector_typeIjLj2EENS0_17counting_iteratorIjlEEPS9_SG_NS0_5tupleIJPjSI_NS0_16reverse_iteratorISI_EEEEENSH_IJSG_SG_SG_EEES9_SI_JZNS1_25segmented_radix_sort_implINS0_14default_configELb0EPK12hip_bfloat16PSP_PKlPlN2at6native12_GLOBAL__N_18offset_tEEE10hipError_tPvRmT1_PNSt15iterator_traitsIS13_E10value_typeET2_T3_PNS14_IS19_E10value_typeET4_jRbjT5_S1F_jjP12ihipStream_tbEUljE_ZNSN_ISO_Lb0ESR_SS_SU_SV_SZ_EES10_S11_S12_S13_S17_S18_S19_S1C_S1D_jS1E_jS1F_S1F_jjS1H_bEUljE0_EEES10_S11_S12_S19_S1D_S1F_T6_T7_T9_mT8_S1H_bDpT10_ENKUlT_T0_E_clISt17integral_constantIbLb0EES1U_IbLb1EEEEDaS1Q_S1R_EUlS1Q_E_NS1_11comp_targetILNS1_3genE5ELNS1_11target_archE942ELNS1_3gpuE9ELNS1_3repE0EEENS1_30default_config_static_selectorELNS0_4arch9wavefront6targetE1EEEvS13_,comdat
	.globl	_ZN7rocprim17ROCPRIM_400000_NS6detail17trampoline_kernelINS0_13select_configILj256ELj13ELNS0_17block_load_methodE3ELS4_3ELS4_3ELNS0_20block_scan_algorithmE0ELj4294967295EEENS1_25partition_config_selectorILNS1_17partition_subalgoE4EjNS0_10empty_typeEbEEZZNS1_14partition_implILS8_4ELb0ES6_15HIP_vector_typeIjLj2EENS0_17counting_iteratorIjlEEPS9_SG_NS0_5tupleIJPjSI_NS0_16reverse_iteratorISI_EEEEENSH_IJSG_SG_SG_EEES9_SI_JZNS1_25segmented_radix_sort_implINS0_14default_configELb0EPK12hip_bfloat16PSP_PKlPlN2at6native12_GLOBAL__N_18offset_tEEE10hipError_tPvRmT1_PNSt15iterator_traitsIS13_E10value_typeET2_T3_PNS14_IS19_E10value_typeET4_jRbjT5_S1F_jjP12ihipStream_tbEUljE_ZNSN_ISO_Lb0ESR_SS_SU_SV_SZ_EES10_S11_S12_S13_S17_S18_S19_S1C_S1D_jS1E_jS1F_S1F_jjS1H_bEUljE0_EEES10_S11_S12_S19_S1D_S1F_T6_T7_T9_mT8_S1H_bDpT10_ENKUlT_T0_E_clISt17integral_constantIbLb0EES1U_IbLb1EEEEDaS1Q_S1R_EUlS1Q_E_NS1_11comp_targetILNS1_3genE5ELNS1_11target_archE942ELNS1_3gpuE9ELNS1_3repE0EEENS1_30default_config_static_selectorELNS0_4arch9wavefront6targetE1EEEvS13_ ; -- Begin function _ZN7rocprim17ROCPRIM_400000_NS6detail17trampoline_kernelINS0_13select_configILj256ELj13ELNS0_17block_load_methodE3ELS4_3ELS4_3ELNS0_20block_scan_algorithmE0ELj4294967295EEENS1_25partition_config_selectorILNS1_17partition_subalgoE4EjNS0_10empty_typeEbEEZZNS1_14partition_implILS8_4ELb0ES6_15HIP_vector_typeIjLj2EENS0_17counting_iteratorIjlEEPS9_SG_NS0_5tupleIJPjSI_NS0_16reverse_iteratorISI_EEEEENSH_IJSG_SG_SG_EEES9_SI_JZNS1_25segmented_radix_sort_implINS0_14default_configELb0EPK12hip_bfloat16PSP_PKlPlN2at6native12_GLOBAL__N_18offset_tEEE10hipError_tPvRmT1_PNSt15iterator_traitsIS13_E10value_typeET2_T3_PNS14_IS19_E10value_typeET4_jRbjT5_S1F_jjP12ihipStream_tbEUljE_ZNSN_ISO_Lb0ESR_SS_SU_SV_SZ_EES10_S11_S12_S13_S17_S18_S19_S1C_S1D_jS1E_jS1F_S1F_jjS1H_bEUljE0_EEES10_S11_S12_S19_S1D_S1F_T6_T7_T9_mT8_S1H_bDpT10_ENKUlT_T0_E_clISt17integral_constantIbLb0EES1U_IbLb1EEEEDaS1Q_S1R_EUlS1Q_E_NS1_11comp_targetILNS1_3genE5ELNS1_11target_archE942ELNS1_3gpuE9ELNS1_3repE0EEENS1_30default_config_static_selectorELNS0_4arch9wavefront6targetE1EEEvS13_
	.p2align	8
	.type	_ZN7rocprim17ROCPRIM_400000_NS6detail17trampoline_kernelINS0_13select_configILj256ELj13ELNS0_17block_load_methodE3ELS4_3ELS4_3ELNS0_20block_scan_algorithmE0ELj4294967295EEENS1_25partition_config_selectorILNS1_17partition_subalgoE4EjNS0_10empty_typeEbEEZZNS1_14partition_implILS8_4ELb0ES6_15HIP_vector_typeIjLj2EENS0_17counting_iteratorIjlEEPS9_SG_NS0_5tupleIJPjSI_NS0_16reverse_iteratorISI_EEEEENSH_IJSG_SG_SG_EEES9_SI_JZNS1_25segmented_radix_sort_implINS0_14default_configELb0EPK12hip_bfloat16PSP_PKlPlN2at6native12_GLOBAL__N_18offset_tEEE10hipError_tPvRmT1_PNSt15iterator_traitsIS13_E10value_typeET2_T3_PNS14_IS19_E10value_typeET4_jRbjT5_S1F_jjP12ihipStream_tbEUljE_ZNSN_ISO_Lb0ESR_SS_SU_SV_SZ_EES10_S11_S12_S13_S17_S18_S19_S1C_S1D_jS1E_jS1F_S1F_jjS1H_bEUljE0_EEES10_S11_S12_S19_S1D_S1F_T6_T7_T9_mT8_S1H_bDpT10_ENKUlT_T0_E_clISt17integral_constantIbLb0EES1U_IbLb1EEEEDaS1Q_S1R_EUlS1Q_E_NS1_11comp_targetILNS1_3genE5ELNS1_11target_archE942ELNS1_3gpuE9ELNS1_3repE0EEENS1_30default_config_static_selectorELNS0_4arch9wavefront6targetE1EEEvS13_,@function
_ZN7rocprim17ROCPRIM_400000_NS6detail17trampoline_kernelINS0_13select_configILj256ELj13ELNS0_17block_load_methodE3ELS4_3ELS4_3ELNS0_20block_scan_algorithmE0ELj4294967295EEENS1_25partition_config_selectorILNS1_17partition_subalgoE4EjNS0_10empty_typeEbEEZZNS1_14partition_implILS8_4ELb0ES6_15HIP_vector_typeIjLj2EENS0_17counting_iteratorIjlEEPS9_SG_NS0_5tupleIJPjSI_NS0_16reverse_iteratorISI_EEEEENSH_IJSG_SG_SG_EEES9_SI_JZNS1_25segmented_radix_sort_implINS0_14default_configELb0EPK12hip_bfloat16PSP_PKlPlN2at6native12_GLOBAL__N_18offset_tEEE10hipError_tPvRmT1_PNSt15iterator_traitsIS13_E10value_typeET2_T3_PNS14_IS19_E10value_typeET4_jRbjT5_S1F_jjP12ihipStream_tbEUljE_ZNSN_ISO_Lb0ESR_SS_SU_SV_SZ_EES10_S11_S12_S13_S17_S18_S19_S1C_S1D_jS1E_jS1F_S1F_jjS1H_bEUljE0_EEES10_S11_S12_S19_S1D_S1F_T6_T7_T9_mT8_S1H_bDpT10_ENKUlT_T0_E_clISt17integral_constantIbLb0EES1U_IbLb1EEEEDaS1Q_S1R_EUlS1Q_E_NS1_11comp_targetILNS1_3genE5ELNS1_11target_archE942ELNS1_3gpuE9ELNS1_3repE0EEENS1_30default_config_static_selectorELNS0_4arch9wavefront6targetE1EEEvS13_: ; @_ZN7rocprim17ROCPRIM_400000_NS6detail17trampoline_kernelINS0_13select_configILj256ELj13ELNS0_17block_load_methodE3ELS4_3ELS4_3ELNS0_20block_scan_algorithmE0ELj4294967295EEENS1_25partition_config_selectorILNS1_17partition_subalgoE4EjNS0_10empty_typeEbEEZZNS1_14partition_implILS8_4ELb0ES6_15HIP_vector_typeIjLj2EENS0_17counting_iteratorIjlEEPS9_SG_NS0_5tupleIJPjSI_NS0_16reverse_iteratorISI_EEEEENSH_IJSG_SG_SG_EEES9_SI_JZNS1_25segmented_radix_sort_implINS0_14default_configELb0EPK12hip_bfloat16PSP_PKlPlN2at6native12_GLOBAL__N_18offset_tEEE10hipError_tPvRmT1_PNSt15iterator_traitsIS13_E10value_typeET2_T3_PNS14_IS19_E10value_typeET4_jRbjT5_S1F_jjP12ihipStream_tbEUljE_ZNSN_ISO_Lb0ESR_SS_SU_SV_SZ_EES10_S11_S12_S13_S17_S18_S19_S1C_S1D_jS1E_jS1F_S1F_jjS1H_bEUljE0_EEES10_S11_S12_S19_S1D_S1F_T6_T7_T9_mT8_S1H_bDpT10_ENKUlT_T0_E_clISt17integral_constantIbLb0EES1U_IbLb1EEEEDaS1Q_S1R_EUlS1Q_E_NS1_11comp_targetILNS1_3genE5ELNS1_11target_archE942ELNS1_3gpuE9ELNS1_3repE0EEENS1_30default_config_static_selectorELNS0_4arch9wavefront6targetE1EEEvS13_
; %bb.0:
	.section	.rodata,"a",@progbits
	.p2align	6, 0x0
	.amdhsa_kernel _ZN7rocprim17ROCPRIM_400000_NS6detail17trampoline_kernelINS0_13select_configILj256ELj13ELNS0_17block_load_methodE3ELS4_3ELS4_3ELNS0_20block_scan_algorithmE0ELj4294967295EEENS1_25partition_config_selectorILNS1_17partition_subalgoE4EjNS0_10empty_typeEbEEZZNS1_14partition_implILS8_4ELb0ES6_15HIP_vector_typeIjLj2EENS0_17counting_iteratorIjlEEPS9_SG_NS0_5tupleIJPjSI_NS0_16reverse_iteratorISI_EEEEENSH_IJSG_SG_SG_EEES9_SI_JZNS1_25segmented_radix_sort_implINS0_14default_configELb0EPK12hip_bfloat16PSP_PKlPlN2at6native12_GLOBAL__N_18offset_tEEE10hipError_tPvRmT1_PNSt15iterator_traitsIS13_E10value_typeET2_T3_PNS14_IS19_E10value_typeET4_jRbjT5_S1F_jjP12ihipStream_tbEUljE_ZNSN_ISO_Lb0ESR_SS_SU_SV_SZ_EES10_S11_S12_S13_S17_S18_S19_S1C_S1D_jS1E_jS1F_S1F_jjS1H_bEUljE0_EEES10_S11_S12_S19_S1D_S1F_T6_T7_T9_mT8_S1H_bDpT10_ENKUlT_T0_E_clISt17integral_constantIbLb0EES1U_IbLb1EEEEDaS1Q_S1R_EUlS1Q_E_NS1_11comp_targetILNS1_3genE5ELNS1_11target_archE942ELNS1_3gpuE9ELNS1_3repE0EEENS1_30default_config_static_selectorELNS0_4arch9wavefront6targetE1EEEvS13_
		.amdhsa_group_segment_fixed_size 0
		.amdhsa_private_segment_fixed_size 0
		.amdhsa_kernarg_size 184
		.amdhsa_user_sgpr_count 6
		.amdhsa_user_sgpr_private_segment_buffer 1
		.amdhsa_user_sgpr_dispatch_ptr 0
		.amdhsa_user_sgpr_queue_ptr 0
		.amdhsa_user_sgpr_kernarg_segment_ptr 1
		.amdhsa_user_sgpr_dispatch_id 0
		.amdhsa_user_sgpr_flat_scratch_init 0
		.amdhsa_user_sgpr_kernarg_preload_length 0
		.amdhsa_user_sgpr_kernarg_preload_offset 0
		.amdhsa_user_sgpr_private_segment_size 0
		.amdhsa_uses_dynamic_stack 0
		.amdhsa_system_sgpr_private_segment_wavefront_offset 0
		.amdhsa_system_sgpr_workgroup_id_x 1
		.amdhsa_system_sgpr_workgroup_id_y 0
		.amdhsa_system_sgpr_workgroup_id_z 0
		.amdhsa_system_sgpr_workgroup_info 0
		.amdhsa_system_vgpr_workitem_id 0
		.amdhsa_next_free_vgpr 1
		.amdhsa_next_free_sgpr 0
		.amdhsa_accum_offset 4
		.amdhsa_reserve_vcc 0
		.amdhsa_reserve_flat_scratch 0
		.amdhsa_float_round_mode_32 0
		.amdhsa_float_round_mode_16_64 0
		.amdhsa_float_denorm_mode_32 3
		.amdhsa_float_denorm_mode_16_64 3
		.amdhsa_dx10_clamp 1
		.amdhsa_ieee_mode 1
		.amdhsa_fp16_overflow 0
		.amdhsa_tg_split 0
		.amdhsa_exception_fp_ieee_invalid_op 0
		.amdhsa_exception_fp_denorm_src 0
		.amdhsa_exception_fp_ieee_div_zero 0
		.amdhsa_exception_fp_ieee_overflow 0
		.amdhsa_exception_fp_ieee_underflow 0
		.amdhsa_exception_fp_ieee_inexact 0
		.amdhsa_exception_int_div_zero 0
	.end_amdhsa_kernel
	.section	.text._ZN7rocprim17ROCPRIM_400000_NS6detail17trampoline_kernelINS0_13select_configILj256ELj13ELNS0_17block_load_methodE3ELS4_3ELS4_3ELNS0_20block_scan_algorithmE0ELj4294967295EEENS1_25partition_config_selectorILNS1_17partition_subalgoE4EjNS0_10empty_typeEbEEZZNS1_14partition_implILS8_4ELb0ES6_15HIP_vector_typeIjLj2EENS0_17counting_iteratorIjlEEPS9_SG_NS0_5tupleIJPjSI_NS0_16reverse_iteratorISI_EEEEENSH_IJSG_SG_SG_EEES9_SI_JZNS1_25segmented_radix_sort_implINS0_14default_configELb0EPK12hip_bfloat16PSP_PKlPlN2at6native12_GLOBAL__N_18offset_tEEE10hipError_tPvRmT1_PNSt15iterator_traitsIS13_E10value_typeET2_T3_PNS14_IS19_E10value_typeET4_jRbjT5_S1F_jjP12ihipStream_tbEUljE_ZNSN_ISO_Lb0ESR_SS_SU_SV_SZ_EES10_S11_S12_S13_S17_S18_S19_S1C_S1D_jS1E_jS1F_S1F_jjS1H_bEUljE0_EEES10_S11_S12_S19_S1D_S1F_T6_T7_T9_mT8_S1H_bDpT10_ENKUlT_T0_E_clISt17integral_constantIbLb0EES1U_IbLb1EEEEDaS1Q_S1R_EUlS1Q_E_NS1_11comp_targetILNS1_3genE5ELNS1_11target_archE942ELNS1_3gpuE9ELNS1_3repE0EEENS1_30default_config_static_selectorELNS0_4arch9wavefront6targetE1EEEvS13_,"axG",@progbits,_ZN7rocprim17ROCPRIM_400000_NS6detail17trampoline_kernelINS0_13select_configILj256ELj13ELNS0_17block_load_methodE3ELS4_3ELS4_3ELNS0_20block_scan_algorithmE0ELj4294967295EEENS1_25partition_config_selectorILNS1_17partition_subalgoE4EjNS0_10empty_typeEbEEZZNS1_14partition_implILS8_4ELb0ES6_15HIP_vector_typeIjLj2EENS0_17counting_iteratorIjlEEPS9_SG_NS0_5tupleIJPjSI_NS0_16reverse_iteratorISI_EEEEENSH_IJSG_SG_SG_EEES9_SI_JZNS1_25segmented_radix_sort_implINS0_14default_configELb0EPK12hip_bfloat16PSP_PKlPlN2at6native12_GLOBAL__N_18offset_tEEE10hipError_tPvRmT1_PNSt15iterator_traitsIS13_E10value_typeET2_T3_PNS14_IS19_E10value_typeET4_jRbjT5_S1F_jjP12ihipStream_tbEUljE_ZNSN_ISO_Lb0ESR_SS_SU_SV_SZ_EES10_S11_S12_S13_S17_S18_S19_S1C_S1D_jS1E_jS1F_S1F_jjS1H_bEUljE0_EEES10_S11_S12_S19_S1D_S1F_T6_T7_T9_mT8_S1H_bDpT10_ENKUlT_T0_E_clISt17integral_constantIbLb0EES1U_IbLb1EEEEDaS1Q_S1R_EUlS1Q_E_NS1_11comp_targetILNS1_3genE5ELNS1_11target_archE942ELNS1_3gpuE9ELNS1_3repE0EEENS1_30default_config_static_selectorELNS0_4arch9wavefront6targetE1EEEvS13_,comdat
.Lfunc_end2008:
	.size	_ZN7rocprim17ROCPRIM_400000_NS6detail17trampoline_kernelINS0_13select_configILj256ELj13ELNS0_17block_load_methodE3ELS4_3ELS4_3ELNS0_20block_scan_algorithmE0ELj4294967295EEENS1_25partition_config_selectorILNS1_17partition_subalgoE4EjNS0_10empty_typeEbEEZZNS1_14partition_implILS8_4ELb0ES6_15HIP_vector_typeIjLj2EENS0_17counting_iteratorIjlEEPS9_SG_NS0_5tupleIJPjSI_NS0_16reverse_iteratorISI_EEEEENSH_IJSG_SG_SG_EEES9_SI_JZNS1_25segmented_radix_sort_implINS0_14default_configELb0EPK12hip_bfloat16PSP_PKlPlN2at6native12_GLOBAL__N_18offset_tEEE10hipError_tPvRmT1_PNSt15iterator_traitsIS13_E10value_typeET2_T3_PNS14_IS19_E10value_typeET4_jRbjT5_S1F_jjP12ihipStream_tbEUljE_ZNSN_ISO_Lb0ESR_SS_SU_SV_SZ_EES10_S11_S12_S13_S17_S18_S19_S1C_S1D_jS1E_jS1F_S1F_jjS1H_bEUljE0_EEES10_S11_S12_S19_S1D_S1F_T6_T7_T9_mT8_S1H_bDpT10_ENKUlT_T0_E_clISt17integral_constantIbLb0EES1U_IbLb1EEEEDaS1Q_S1R_EUlS1Q_E_NS1_11comp_targetILNS1_3genE5ELNS1_11target_archE942ELNS1_3gpuE9ELNS1_3repE0EEENS1_30default_config_static_selectorELNS0_4arch9wavefront6targetE1EEEvS13_, .Lfunc_end2008-_ZN7rocprim17ROCPRIM_400000_NS6detail17trampoline_kernelINS0_13select_configILj256ELj13ELNS0_17block_load_methodE3ELS4_3ELS4_3ELNS0_20block_scan_algorithmE0ELj4294967295EEENS1_25partition_config_selectorILNS1_17partition_subalgoE4EjNS0_10empty_typeEbEEZZNS1_14partition_implILS8_4ELb0ES6_15HIP_vector_typeIjLj2EENS0_17counting_iteratorIjlEEPS9_SG_NS0_5tupleIJPjSI_NS0_16reverse_iteratorISI_EEEEENSH_IJSG_SG_SG_EEES9_SI_JZNS1_25segmented_radix_sort_implINS0_14default_configELb0EPK12hip_bfloat16PSP_PKlPlN2at6native12_GLOBAL__N_18offset_tEEE10hipError_tPvRmT1_PNSt15iterator_traitsIS13_E10value_typeET2_T3_PNS14_IS19_E10value_typeET4_jRbjT5_S1F_jjP12ihipStream_tbEUljE_ZNSN_ISO_Lb0ESR_SS_SU_SV_SZ_EES10_S11_S12_S13_S17_S18_S19_S1C_S1D_jS1E_jS1F_S1F_jjS1H_bEUljE0_EEES10_S11_S12_S19_S1D_S1F_T6_T7_T9_mT8_S1H_bDpT10_ENKUlT_T0_E_clISt17integral_constantIbLb0EES1U_IbLb1EEEEDaS1Q_S1R_EUlS1Q_E_NS1_11comp_targetILNS1_3genE5ELNS1_11target_archE942ELNS1_3gpuE9ELNS1_3repE0EEENS1_30default_config_static_selectorELNS0_4arch9wavefront6targetE1EEEvS13_
                                        ; -- End function
	.section	.AMDGPU.csdata,"",@progbits
; Kernel info:
; codeLenInByte = 0
; NumSgprs: 4
; NumVgprs: 0
; NumAgprs: 0
; TotalNumVgprs: 0
; ScratchSize: 0
; MemoryBound: 0
; FloatMode: 240
; IeeeMode: 1
; LDSByteSize: 0 bytes/workgroup (compile time only)
; SGPRBlocks: 0
; VGPRBlocks: 0
; NumSGPRsForWavesPerEU: 4
; NumVGPRsForWavesPerEU: 1
; AccumOffset: 4
; Occupancy: 8
; WaveLimiterHint : 0
; COMPUTE_PGM_RSRC2:SCRATCH_EN: 0
; COMPUTE_PGM_RSRC2:USER_SGPR: 6
; COMPUTE_PGM_RSRC2:TRAP_HANDLER: 0
; COMPUTE_PGM_RSRC2:TGID_X_EN: 1
; COMPUTE_PGM_RSRC2:TGID_Y_EN: 0
; COMPUTE_PGM_RSRC2:TGID_Z_EN: 0
; COMPUTE_PGM_RSRC2:TIDIG_COMP_CNT: 0
; COMPUTE_PGM_RSRC3_GFX90A:ACCUM_OFFSET: 0
; COMPUTE_PGM_RSRC3_GFX90A:TG_SPLIT: 0
	.section	.text._ZN7rocprim17ROCPRIM_400000_NS6detail17trampoline_kernelINS0_13select_configILj256ELj13ELNS0_17block_load_methodE3ELS4_3ELS4_3ELNS0_20block_scan_algorithmE0ELj4294967295EEENS1_25partition_config_selectorILNS1_17partition_subalgoE4EjNS0_10empty_typeEbEEZZNS1_14partition_implILS8_4ELb0ES6_15HIP_vector_typeIjLj2EENS0_17counting_iteratorIjlEEPS9_SG_NS0_5tupleIJPjSI_NS0_16reverse_iteratorISI_EEEEENSH_IJSG_SG_SG_EEES9_SI_JZNS1_25segmented_radix_sort_implINS0_14default_configELb0EPK12hip_bfloat16PSP_PKlPlN2at6native12_GLOBAL__N_18offset_tEEE10hipError_tPvRmT1_PNSt15iterator_traitsIS13_E10value_typeET2_T3_PNS14_IS19_E10value_typeET4_jRbjT5_S1F_jjP12ihipStream_tbEUljE_ZNSN_ISO_Lb0ESR_SS_SU_SV_SZ_EES10_S11_S12_S13_S17_S18_S19_S1C_S1D_jS1E_jS1F_S1F_jjS1H_bEUljE0_EEES10_S11_S12_S19_S1D_S1F_T6_T7_T9_mT8_S1H_bDpT10_ENKUlT_T0_E_clISt17integral_constantIbLb0EES1U_IbLb1EEEEDaS1Q_S1R_EUlS1Q_E_NS1_11comp_targetILNS1_3genE4ELNS1_11target_archE910ELNS1_3gpuE8ELNS1_3repE0EEENS1_30default_config_static_selectorELNS0_4arch9wavefront6targetE1EEEvS13_,"axG",@progbits,_ZN7rocprim17ROCPRIM_400000_NS6detail17trampoline_kernelINS0_13select_configILj256ELj13ELNS0_17block_load_methodE3ELS4_3ELS4_3ELNS0_20block_scan_algorithmE0ELj4294967295EEENS1_25partition_config_selectorILNS1_17partition_subalgoE4EjNS0_10empty_typeEbEEZZNS1_14partition_implILS8_4ELb0ES6_15HIP_vector_typeIjLj2EENS0_17counting_iteratorIjlEEPS9_SG_NS0_5tupleIJPjSI_NS0_16reverse_iteratorISI_EEEEENSH_IJSG_SG_SG_EEES9_SI_JZNS1_25segmented_radix_sort_implINS0_14default_configELb0EPK12hip_bfloat16PSP_PKlPlN2at6native12_GLOBAL__N_18offset_tEEE10hipError_tPvRmT1_PNSt15iterator_traitsIS13_E10value_typeET2_T3_PNS14_IS19_E10value_typeET4_jRbjT5_S1F_jjP12ihipStream_tbEUljE_ZNSN_ISO_Lb0ESR_SS_SU_SV_SZ_EES10_S11_S12_S13_S17_S18_S19_S1C_S1D_jS1E_jS1F_S1F_jjS1H_bEUljE0_EEES10_S11_S12_S19_S1D_S1F_T6_T7_T9_mT8_S1H_bDpT10_ENKUlT_T0_E_clISt17integral_constantIbLb0EES1U_IbLb1EEEEDaS1Q_S1R_EUlS1Q_E_NS1_11comp_targetILNS1_3genE4ELNS1_11target_archE910ELNS1_3gpuE8ELNS1_3repE0EEENS1_30default_config_static_selectorELNS0_4arch9wavefront6targetE1EEEvS13_,comdat
	.globl	_ZN7rocprim17ROCPRIM_400000_NS6detail17trampoline_kernelINS0_13select_configILj256ELj13ELNS0_17block_load_methodE3ELS4_3ELS4_3ELNS0_20block_scan_algorithmE0ELj4294967295EEENS1_25partition_config_selectorILNS1_17partition_subalgoE4EjNS0_10empty_typeEbEEZZNS1_14partition_implILS8_4ELb0ES6_15HIP_vector_typeIjLj2EENS0_17counting_iteratorIjlEEPS9_SG_NS0_5tupleIJPjSI_NS0_16reverse_iteratorISI_EEEEENSH_IJSG_SG_SG_EEES9_SI_JZNS1_25segmented_radix_sort_implINS0_14default_configELb0EPK12hip_bfloat16PSP_PKlPlN2at6native12_GLOBAL__N_18offset_tEEE10hipError_tPvRmT1_PNSt15iterator_traitsIS13_E10value_typeET2_T3_PNS14_IS19_E10value_typeET4_jRbjT5_S1F_jjP12ihipStream_tbEUljE_ZNSN_ISO_Lb0ESR_SS_SU_SV_SZ_EES10_S11_S12_S13_S17_S18_S19_S1C_S1D_jS1E_jS1F_S1F_jjS1H_bEUljE0_EEES10_S11_S12_S19_S1D_S1F_T6_T7_T9_mT8_S1H_bDpT10_ENKUlT_T0_E_clISt17integral_constantIbLb0EES1U_IbLb1EEEEDaS1Q_S1R_EUlS1Q_E_NS1_11comp_targetILNS1_3genE4ELNS1_11target_archE910ELNS1_3gpuE8ELNS1_3repE0EEENS1_30default_config_static_selectorELNS0_4arch9wavefront6targetE1EEEvS13_ ; -- Begin function _ZN7rocprim17ROCPRIM_400000_NS6detail17trampoline_kernelINS0_13select_configILj256ELj13ELNS0_17block_load_methodE3ELS4_3ELS4_3ELNS0_20block_scan_algorithmE0ELj4294967295EEENS1_25partition_config_selectorILNS1_17partition_subalgoE4EjNS0_10empty_typeEbEEZZNS1_14partition_implILS8_4ELb0ES6_15HIP_vector_typeIjLj2EENS0_17counting_iteratorIjlEEPS9_SG_NS0_5tupleIJPjSI_NS0_16reverse_iteratorISI_EEEEENSH_IJSG_SG_SG_EEES9_SI_JZNS1_25segmented_radix_sort_implINS0_14default_configELb0EPK12hip_bfloat16PSP_PKlPlN2at6native12_GLOBAL__N_18offset_tEEE10hipError_tPvRmT1_PNSt15iterator_traitsIS13_E10value_typeET2_T3_PNS14_IS19_E10value_typeET4_jRbjT5_S1F_jjP12ihipStream_tbEUljE_ZNSN_ISO_Lb0ESR_SS_SU_SV_SZ_EES10_S11_S12_S13_S17_S18_S19_S1C_S1D_jS1E_jS1F_S1F_jjS1H_bEUljE0_EEES10_S11_S12_S19_S1D_S1F_T6_T7_T9_mT8_S1H_bDpT10_ENKUlT_T0_E_clISt17integral_constantIbLb0EES1U_IbLb1EEEEDaS1Q_S1R_EUlS1Q_E_NS1_11comp_targetILNS1_3genE4ELNS1_11target_archE910ELNS1_3gpuE8ELNS1_3repE0EEENS1_30default_config_static_selectorELNS0_4arch9wavefront6targetE1EEEvS13_
	.p2align	8
	.type	_ZN7rocprim17ROCPRIM_400000_NS6detail17trampoline_kernelINS0_13select_configILj256ELj13ELNS0_17block_load_methodE3ELS4_3ELS4_3ELNS0_20block_scan_algorithmE0ELj4294967295EEENS1_25partition_config_selectorILNS1_17partition_subalgoE4EjNS0_10empty_typeEbEEZZNS1_14partition_implILS8_4ELb0ES6_15HIP_vector_typeIjLj2EENS0_17counting_iteratorIjlEEPS9_SG_NS0_5tupleIJPjSI_NS0_16reverse_iteratorISI_EEEEENSH_IJSG_SG_SG_EEES9_SI_JZNS1_25segmented_radix_sort_implINS0_14default_configELb0EPK12hip_bfloat16PSP_PKlPlN2at6native12_GLOBAL__N_18offset_tEEE10hipError_tPvRmT1_PNSt15iterator_traitsIS13_E10value_typeET2_T3_PNS14_IS19_E10value_typeET4_jRbjT5_S1F_jjP12ihipStream_tbEUljE_ZNSN_ISO_Lb0ESR_SS_SU_SV_SZ_EES10_S11_S12_S13_S17_S18_S19_S1C_S1D_jS1E_jS1F_S1F_jjS1H_bEUljE0_EEES10_S11_S12_S19_S1D_S1F_T6_T7_T9_mT8_S1H_bDpT10_ENKUlT_T0_E_clISt17integral_constantIbLb0EES1U_IbLb1EEEEDaS1Q_S1R_EUlS1Q_E_NS1_11comp_targetILNS1_3genE4ELNS1_11target_archE910ELNS1_3gpuE8ELNS1_3repE0EEENS1_30default_config_static_selectorELNS0_4arch9wavefront6targetE1EEEvS13_,@function
_ZN7rocprim17ROCPRIM_400000_NS6detail17trampoline_kernelINS0_13select_configILj256ELj13ELNS0_17block_load_methodE3ELS4_3ELS4_3ELNS0_20block_scan_algorithmE0ELj4294967295EEENS1_25partition_config_selectorILNS1_17partition_subalgoE4EjNS0_10empty_typeEbEEZZNS1_14partition_implILS8_4ELb0ES6_15HIP_vector_typeIjLj2EENS0_17counting_iteratorIjlEEPS9_SG_NS0_5tupleIJPjSI_NS0_16reverse_iteratorISI_EEEEENSH_IJSG_SG_SG_EEES9_SI_JZNS1_25segmented_radix_sort_implINS0_14default_configELb0EPK12hip_bfloat16PSP_PKlPlN2at6native12_GLOBAL__N_18offset_tEEE10hipError_tPvRmT1_PNSt15iterator_traitsIS13_E10value_typeET2_T3_PNS14_IS19_E10value_typeET4_jRbjT5_S1F_jjP12ihipStream_tbEUljE_ZNSN_ISO_Lb0ESR_SS_SU_SV_SZ_EES10_S11_S12_S13_S17_S18_S19_S1C_S1D_jS1E_jS1F_S1F_jjS1H_bEUljE0_EEES10_S11_S12_S19_S1D_S1F_T6_T7_T9_mT8_S1H_bDpT10_ENKUlT_T0_E_clISt17integral_constantIbLb0EES1U_IbLb1EEEEDaS1Q_S1R_EUlS1Q_E_NS1_11comp_targetILNS1_3genE4ELNS1_11target_archE910ELNS1_3gpuE8ELNS1_3repE0EEENS1_30default_config_static_selectorELNS0_4arch9wavefront6targetE1EEEvS13_: ; @_ZN7rocprim17ROCPRIM_400000_NS6detail17trampoline_kernelINS0_13select_configILj256ELj13ELNS0_17block_load_methodE3ELS4_3ELS4_3ELNS0_20block_scan_algorithmE0ELj4294967295EEENS1_25partition_config_selectorILNS1_17partition_subalgoE4EjNS0_10empty_typeEbEEZZNS1_14partition_implILS8_4ELb0ES6_15HIP_vector_typeIjLj2EENS0_17counting_iteratorIjlEEPS9_SG_NS0_5tupleIJPjSI_NS0_16reverse_iteratorISI_EEEEENSH_IJSG_SG_SG_EEES9_SI_JZNS1_25segmented_radix_sort_implINS0_14default_configELb0EPK12hip_bfloat16PSP_PKlPlN2at6native12_GLOBAL__N_18offset_tEEE10hipError_tPvRmT1_PNSt15iterator_traitsIS13_E10value_typeET2_T3_PNS14_IS19_E10value_typeET4_jRbjT5_S1F_jjP12ihipStream_tbEUljE_ZNSN_ISO_Lb0ESR_SS_SU_SV_SZ_EES10_S11_S12_S13_S17_S18_S19_S1C_S1D_jS1E_jS1F_S1F_jjS1H_bEUljE0_EEES10_S11_S12_S19_S1D_S1F_T6_T7_T9_mT8_S1H_bDpT10_ENKUlT_T0_E_clISt17integral_constantIbLb0EES1U_IbLb1EEEEDaS1Q_S1R_EUlS1Q_E_NS1_11comp_targetILNS1_3genE4ELNS1_11target_archE910ELNS1_3gpuE8ELNS1_3repE0EEENS1_30default_config_static_selectorELNS0_4arch9wavefront6targetE1EEEvS13_
; %bb.0:
	s_load_dwordx2 s[48:49], s[4:5], 0x10
	s_load_dwordx4 s[44:47], s[4:5], 0x28
	s_load_dwordx2 s[34:35], s[4:5], 0x38
	s_load_dwordx4 s[28:31], s[4:5], 0x58
	s_load_dwordx2 s[2:3], s[4:5], 0x68
	s_load_dwordx2 s[50:51], s[4:5], 0x78
	;; [unrolled: 1-line block ×3, first 2 shown]
	s_load_dwordx8 s[36:43], s[4:5], 0x90
	v_cmp_eq_u32_e64 s[0:1], 0, v0
	s_and_saveexec_b64 s[6:7], s[0:1]
	s_cbranch_execz .LBB2009_4
; %bb.1:
	s_mov_b64 s[10:11], exec
	v_mbcnt_lo_u32_b32 v1, s10, 0
	v_mbcnt_hi_u32_b32 v1, s11, v1
	v_cmp_eq_u32_e32 vcc, 0, v1
                                        ; implicit-def: $vgpr2
	s_and_saveexec_b64 s[8:9], vcc
	s_cbranch_execz .LBB2009_3
; %bb.2:
	s_load_dwordx2 s[12:13], s[4:5], 0x88
	s_bcnt1_i32_b64 s10, s[10:11]
	v_mov_b32_e32 v2, 0
	v_mov_b32_e32 v3, s10
	s_waitcnt lgkmcnt(0)
	global_atomic_add v2, v2, v3, s[12:13] glc
.LBB2009_3:
	s_or_b64 exec, exec, s[8:9]
	s_waitcnt vmcnt(0)
	v_readfirstlane_b32 s8, v2
	v_add_u32_e32 v1, s8, v1
	v_mov_b32_e32 v2, 0
	ds_write_b32 v2, v1
.LBB2009_4:
	s_or_b64 exec, exec, s[6:7]
	v_mov_b32_e32 v1, 0
	s_load_dword s7, s[4:5], 0x8
	s_load_dword s6, s[4:5], 0x80
	s_waitcnt lgkmcnt(0)
	s_barrier
	ds_read_b32 v8, v1
	s_waitcnt lgkmcnt(0)
	s_barrier
	global_load_dwordx4 v[2:5], v1, s[30:31]
	v_mov_b32_e32 v7, s3
	s_movk_i32 s3, 0xd00
	s_add_i32 s8, s7, s48
	v_mul_lo_u32 v34, v8, s3
	s_add_i32 s7, s6, -1
	s_mul_i32 s3, s6, 0xd00
	s_add_u32 s4, s48, s3
	v_readfirstlane_b32 s33, v8
	s_addc_u32 s5, s49, 0
	s_cmp_eq_u32 s33, s7
	v_mov_b32_e32 v6, s2
	s_cselect_b64 s[30:31], -1, 0
	s_cmp_lg_u32 s33, s7
	v_cmp_lt_u64_e32 vcc, s[4:5], v[6:7]
	s_cselect_b64 s[4:5], -1, 0
	s_or_b64 s[4:5], vcc, s[4:5]
	v_add_u32_e32 v1, s8, v34
	s_mov_b64 s[6:7], -1
	s_and_b64 vcc, exec, s[4:5]
	v_add_u32_e32 v1, v1, v0
	s_cbranch_vccz .LBB2009_6
; %bb.5:
	v_add_u32_e32 v6, 0x100, v1
	v_lshlrev_b32_e32 v18, 2, v0
	v_add_u32_e32 v7, 0x200, v1
	v_add_u32_e32 v8, 0x300, v1
	;; [unrolled: 1-line block ×11, first 2 shown]
	ds_write2st64_b32 v18, v1, v6 offset1:4
	ds_write2st64_b32 v18, v7, v8 offset0:8 offset1:12
	ds_write2st64_b32 v18, v9, v10 offset0:16 offset1:20
	;; [unrolled: 1-line block ×5, first 2 shown]
	ds_write_b32 v18, v17 offset:12288
	s_waitcnt lgkmcnt(0)
	s_barrier
	s_mov_b64 s[6:7], 0
.LBB2009_6:
	s_andn2_b64 vcc, exec, s[6:7]
	s_add_i32 s3, s3, s48
	s_cbranch_vccnz .LBB2009_8
; %bb.7:
	v_add_u32_e32 v6, 0x100, v1
	v_lshlrev_b32_e32 v18, 2, v0
	v_add_u32_e32 v7, 0x200, v1
	v_add_u32_e32 v8, 0x300, v1
	;; [unrolled: 1-line block ×11, first 2 shown]
	ds_write2st64_b32 v18, v1, v6 offset1:4
	ds_write2st64_b32 v18, v7, v8 offset0:8 offset1:12
	ds_write2st64_b32 v18, v9, v10 offset0:16 offset1:20
	;; [unrolled: 1-line block ×5, first 2 shown]
	ds_write_b32 v18, v17 offset:12288
	s_waitcnt lgkmcnt(0)
	s_barrier
.LBB2009_8:
	v_mul_u32_u24_e32 v36, 13, v0
	v_lshlrev_b32_e32 v1, 2, v36
	ds_read2_b32 v[22:23], v1 offset1:1
	ds_read2_b32 v[20:21], v1 offset0:2 offset1:3
	ds_read2_b32 v[18:19], v1 offset0:4 offset1:5
	ds_read2_b32 v[16:17], v1 offset0:6 offset1:7
	ds_read2_b32 v[14:15], v1 offset0:8 offset1:9
	ds_read2_b32 v[12:13], v1 offset0:10 offset1:11
	ds_read_b32 v35, v1 offset:48
	v_cndmask_b32_e64 v1, 0, 1, s[4:5]
	s_sub_i32 s86, s2, s3
	v_cmp_ne_u32_e64 s[2:3], 1, v1
	s_andn2_b64 vcc, exec, s[4:5]
	s_waitcnt lgkmcnt(0)
	s_barrier
	s_cbranch_vccnz .LBB2009_36
; %bb.9:
	v_add_u32_e32 v1, s37, v22
	v_add_u32_e32 v6, s39, v22
	v_mul_lo_u32 v1, v1, s36
	v_mul_lo_u32 v6, v6, s38
	v_sub_u32_e32 v1, v1, v6
	v_cmp_lt_u32_e32 vcc, s40, v1
	v_cmp_ge_u32_e64 s[4:5], s40, v1
	s_mov_b64 s[60:61], 0
	s_mov_b64 s[58:59], 0
	s_and_saveexec_b64 s[6:7], s[4:5]
; %bb.10:
	v_add_u32_e32 v1, s42, v22
	v_add_u32_e32 v6, s56, v22
	v_mul_lo_u32 v1, v1, s41
	v_mul_lo_u32 v6, v6, s43
	v_sub_u32_e32 v1, v1, v6
	v_cmp_lt_u32_e64 s[4:5], s57, v1
	s_and_b64 s[58:59], s[4:5], exec
; %bb.11:
	s_or_b64 exec, exec, s[6:7]
	v_add_u32_e32 v1, s37, v23
	v_add_u32_e32 v6, s39, v23
	v_mul_lo_u32 v1, v1, s36
	v_mul_lo_u32 v6, v6, s38
	v_sub_u32_e32 v1, v1, v6
	v_cmp_lt_u32_e64 s[4:5], s40, v1
	v_cmp_ge_u32_e64 s[6:7], s40, v1
	s_and_saveexec_b64 s[8:9], s[6:7]
; %bb.12:
	v_add_u32_e32 v1, s42, v23
	v_add_u32_e32 v6, s56, v23
	v_mul_lo_u32 v1, v1, s41
	v_mul_lo_u32 v6, v6, s43
	v_sub_u32_e32 v1, v1, v6
	v_cmp_lt_u32_e64 s[6:7], s57, v1
	s_and_b64 s[60:61], s[6:7], exec
; %bb.13:
	s_or_b64 exec, exec, s[8:9]
	v_add_u32_e32 v1, s37, v20
	v_add_u32_e32 v6, s39, v20
	v_mul_lo_u32 v1, v1, s36
	v_mul_lo_u32 v6, v6, s38
	v_sub_u32_e32 v1, v1, v6
	v_cmp_lt_u32_e64 s[6:7], s40, v1
	v_cmp_ge_u32_e64 s[8:9], s40, v1
	s_mov_b64 s[64:65], 0
	s_mov_b64 s[62:63], 0
	s_and_saveexec_b64 s[10:11], s[8:9]
; %bb.14:
	v_add_u32_e32 v1, s42, v20
	v_add_u32_e32 v6, s56, v20
	v_mul_lo_u32 v1, v1, s41
	v_mul_lo_u32 v6, v6, s43
	v_sub_u32_e32 v1, v1, v6
	v_cmp_lt_u32_e64 s[8:9], s57, v1
	s_and_b64 s[62:63], s[8:9], exec
; %bb.15:
	s_or_b64 exec, exec, s[10:11]
	v_add_u32_e32 v1, s37, v21
	v_add_u32_e32 v6, s39, v21
	v_mul_lo_u32 v1, v1, s36
	v_mul_lo_u32 v6, v6, s38
	v_sub_u32_e32 v1, v1, v6
	v_cmp_lt_u32_e64 s[8:9], s40, v1
	v_cmp_ge_u32_e64 s[10:11], s40, v1
	s_and_saveexec_b64 s[12:13], s[10:11]
; %bb.16:
	v_add_u32_e32 v1, s42, v21
	v_add_u32_e32 v6, s56, v21
	v_mul_lo_u32 v1, v1, s41
	v_mul_lo_u32 v6, v6, s43
	v_sub_u32_e32 v1, v1, v6
	v_cmp_lt_u32_e64 s[10:11], s57, v1
	s_and_b64 s[64:65], s[10:11], exec
; %bb.17:
	s_or_b64 exec, exec, s[12:13]
	v_add_u32_e32 v1, s37, v18
	v_add_u32_e32 v6, s39, v18
	v_mul_lo_u32 v1, v1, s36
	v_mul_lo_u32 v6, v6, s38
	v_sub_u32_e32 v1, v1, v6
	v_cmp_lt_u32_e64 s[10:11], s40, v1
	;; [unrolled: 38-line block ×5, first 2 shown]
	v_cmp_ge_u32_e64 s[24:25], s40, v1
	s_mov_b64 s[80:81], 0
	s_mov_b64 s[82:83], 0
	s_and_saveexec_b64 s[26:27], s[24:25]
; %bb.30:
	v_add_u32_e32 v1, s42, v12
	v_add_u32_e32 v6, s56, v12
	v_mul_lo_u32 v1, v1, s41
	v_mul_lo_u32 v6, v6, s43
	v_sub_u32_e32 v1, v1, v6
	v_cmp_lt_u32_e64 s[24:25], s57, v1
	s_and_b64 s[82:83], s[24:25], exec
; %bb.31:
	s_or_b64 exec, exec, s[26:27]
	v_add_u32_e32 v1, s37, v13
	v_add_u32_e32 v6, s39, v13
	v_mul_lo_u32 v1, v1, s36
	v_mul_lo_u32 v6, v6, s38
	v_sub_u32_e32 v1, v1, v6
	v_cmp_lt_u32_e64 s[24:25], s40, v1
	v_cmp_ge_u32_e64 s[26:27], s40, v1
	s_and_saveexec_b64 s[52:53], s[26:27]
; %bb.32:
	v_add_u32_e32 v1, s42, v13
	v_add_u32_e32 v6, s56, v13
	v_mul_lo_u32 v1, v1, s41
	v_mul_lo_u32 v6, v6, s43
	v_sub_u32_e32 v1, v1, v6
	v_cmp_lt_u32_e64 s[26:27], s57, v1
	s_and_b64 s[80:81], s[26:27], exec
; %bb.33:
	s_or_b64 exec, exec, s[52:53]
	v_add_u32_e32 v1, s37, v35
	v_add_u32_e32 v6, s39, v35
	v_mul_lo_u32 v1, v1, s36
	v_mul_lo_u32 v6, v6, s38
	v_sub_u32_e32 v1, v1, v6
	v_cmp_ge_u32_e64 s[26:27], s40, v1
	s_mov_b64 s[52:53], -1
	s_mov_b64 s[74:75], 0
	s_mov_b64 s[54:55], 0
	s_and_saveexec_b64 s[84:85], s[26:27]
; %bb.34:
	v_add_u32_e32 v1, s42, v35
	v_add_u32_e32 v6, s56, v35
	v_mul_lo_u32 v1, v1, s41
	v_mul_lo_u32 v6, v6, s43
	v_sub_u32_e32 v1, v1, v6
	v_cmp_lt_u32_e64 s[26:27], s57, v1
	s_and_b64 s[54:55], s[26:27], exec
	s_xor_b64 s[52:53], exec, -1
; %bb.35:
	s_or_b64 exec, exec, s[84:85]
	v_cndmask_b32_e64 v57, 0, 1, s[82:83]
	v_cndmask_b32_e64 v60, 0, 1, s[24:25]
	v_cndmask_b32_e64 v55, 0, 1, s[78:79]
	v_cndmask_b32_e64 v58, 0, 1, s[22:23]
	v_cndmask_b32_e64 v53, 0, 1, s[76:77]
	v_cndmask_b32_e64 v56, 0, 1, s[20:21]
	v_cndmask_b32_e64 v51, 0, 1, s[72:73]
	v_cndmask_b32_e64 v54, 0, 1, s[18:19]
	v_cndmask_b32_e64 v49, 0, 1, s[70:71]
	v_cndmask_b32_e64 v52, 0, 1, s[16:17]
	v_cndmask_b32_e64 v47, 0, 1, s[68:69]
	v_cndmask_b32_e64 v50, 0, 1, s[14:15]
	v_cndmask_b32_e64 v45, 0, 1, s[66:67]
	v_cndmask_b32_e64 v48, 0, 1, s[12:13]
	v_cndmask_b32_e64 v43, 0, 1, s[64:65]
	v_cndmask_b32_e64 v46, 0, 1, s[10:11]
	v_cndmask_b32_e64 v42, 0, 1, s[62:63]
	v_cndmask_b32_e64 v44, 0, 1, s[8:9]
	v_cndmask_b32_e64 v40, 0, 1, s[60:61]
	v_cndmask_b32_e64 v41, 0, 1, s[6:7]
	v_cndmask_b32_e64 v38, 0, 1, s[58:59]
	v_cndmask_b32_e64 v39, 0, 1, s[4:5]
	v_cndmask_b32_e64 v37, 0, 1, vcc
	v_cndmask_b32_e64 v59, 0, 1, s[80:81]
	s_add_i32 s16, s86, 0xd00
	s_and_b64 vcc, exec, s[74:75]
	s_cbranch_vccnz .LBB2009_37
	s_branch .LBB2009_90
.LBB2009_36:
                                        ; implicit-def: $sgpr52_sgpr53
                                        ; implicit-def: $sgpr54_sgpr55
                                        ; implicit-def: $vgpr59
                                        ; implicit-def: $vgpr57
                                        ; implicit-def: $vgpr55
                                        ; implicit-def: $vgpr53
                                        ; implicit-def: $vgpr51
                                        ; implicit-def: $vgpr49
                                        ; implicit-def: $vgpr47
                                        ; implicit-def: $vgpr45
                                        ; implicit-def: $vgpr43
                                        ; implicit-def: $vgpr37
                                        ; implicit-def: $vgpr39
                                        ; implicit-def: $vgpr41
                                        ; implicit-def: $vgpr44
                                        ; implicit-def: $vgpr46
                                        ; implicit-def: $vgpr48
                                        ; implicit-def: $vgpr50
                                        ; implicit-def: $vgpr52
                                        ; implicit-def: $vgpr54
                                        ; implicit-def: $vgpr56
                                        ; implicit-def: $vgpr58
                                        ; implicit-def: $vgpr60
                                        ; implicit-def: $vgpr38
                                        ; implicit-def: $vgpr40
                                        ; implicit-def: $vgpr42
	s_add_i32 s16, s86, 0xd00
	s_cbranch_execz .LBB2009_90
.LBB2009_37:
	v_cmp_gt_u32_e32 vcc, s16, v36
	v_mov_b32_e32 v38, 0
	v_mov_b32_e32 v37, 0
	s_and_saveexec_b64 s[6:7], vcc
	s_cbranch_execz .LBB2009_41
; %bb.38:
	v_add_u32_e32 v1, s37, v22
	v_add_u32_e32 v6, s39, v22
	v_mul_lo_u32 v1, v1, s36
	v_mul_lo_u32 v6, v6, s38
	v_sub_u32_e32 v1, v1, v6
	v_cmp_lt_u32_e32 vcc, s40, v1
	v_cmp_ge_u32_e64 s[4:5], s40, v1
	s_mov_b64 s[10:11], 0
	s_and_saveexec_b64 s[8:9], s[4:5]
; %bb.39:
	v_add_u32_e32 v1, s42, v22
	v_add_u32_e32 v6, s56, v22
	v_mul_lo_u32 v1, v1, s41
	v_mul_lo_u32 v6, v6, s43
	v_sub_u32_e32 v1, v1, v6
	v_cmp_lt_u32_e64 s[4:5], s57, v1
	s_and_b64 s[10:11], s[4:5], exec
; %bb.40:
	s_or_b64 exec, exec, s[8:9]
	v_cndmask_b32_e64 v37, 0, 1, vcc
	v_cndmask_b32_e64 v38, 0, 1, s[10:11]
.LBB2009_41:
	s_or_b64 exec, exec, s[6:7]
	v_add_u32_e32 v1, 1, v36
	v_cmp_gt_u32_e32 vcc, s16, v1
	v_mov_b32_e32 v39, 0
	v_mov_b32_e32 v40, 0
	s_and_saveexec_b64 s[6:7], vcc
	s_cbranch_execz .LBB2009_45
; %bb.42:
	v_add_u32_e32 v1, s37, v23
	v_add_u32_e32 v6, s39, v23
	v_mul_lo_u32 v1, v1, s36
	v_mul_lo_u32 v6, v6, s38
	v_sub_u32_e32 v1, v1, v6
	v_cmp_lt_u32_e32 vcc, s40, v1
	v_cmp_ge_u32_e64 s[4:5], s40, v1
	s_mov_b64 s[10:11], 0
	s_and_saveexec_b64 s[8:9], s[4:5]
; %bb.43:
	v_add_u32_e32 v1, s42, v23
	v_add_u32_e32 v6, s56, v23
	v_mul_lo_u32 v1, v1, s41
	v_mul_lo_u32 v6, v6, s43
	v_sub_u32_e32 v1, v1, v6
	v_cmp_lt_u32_e64 s[4:5], s57, v1
	s_and_b64 s[10:11], s[4:5], exec
; %bb.44:
	s_or_b64 exec, exec, s[8:9]
	v_cndmask_b32_e64 v39, 0, 1, vcc
	v_cndmask_b32_e64 v40, 0, 1, s[10:11]
.LBB2009_45:
	s_or_b64 exec, exec, s[6:7]
	v_add_u32_e32 v1, 2, v36
	;; [unrolled: 30-line block ×12, first 2 shown]
	v_cmp_gt_u32_e32 vcc, s16, v1
	s_mov_b64 s[52:53], 0
	s_mov_b64 s[54:55], 0
	s_and_saveexec_b64 s[4:5], vcc
	s_cbranch_execz .LBB2009_89
; %bb.86:
	v_add_u32_e32 v1, s37, v35
	v_add_u32_e32 v6, s39, v35
	v_mul_lo_u32 v1, v1, s36
	v_mul_lo_u32 v6, v6, s38
	v_sub_u32_e32 v1, v1, v6
	v_cmp_ge_u32_e32 vcc, s40, v1
	s_mov_b64 s[8:9], -1
	s_mov_b64 s[10:11], 0
	s_and_saveexec_b64 s[6:7], vcc
; %bb.87:
	v_add_u32_e32 v1, s42, v35
	v_add_u32_e32 v6, s56, v35
	v_mul_lo_u32 v1, v1, s41
	v_mul_lo_u32 v6, v6, s43
	v_sub_u32_e32 v1, v1, v6
	v_cmp_lt_u32_e32 vcc, s57, v1
	s_and_b64 s[10:11], vcc, exec
	s_xor_b64 s[8:9], exec, -1
; %bb.88:
	s_or_b64 exec, exec, s[6:7]
	s_and_b64 s[54:55], s[10:11], exec
	s_and_b64 s[52:53], s[8:9], exec
.LBB2009_89:
	s_or_b64 exec, exec, s[4:5]
.LBB2009_90:
	v_and_b32_e32 v68, 0xff, v38
	v_and_b32_e32 v79, 0xff, v40
	;; [unrolled: 1-line block ×5, first 2 shown]
	v_add3_u32 v6, v79, v70, v68
	v_and_b32_e32 v81, 0xff, v47
	v_and_b32_e32 v74, 0xff, v49
	v_add3_u32 v6, v6, v80, v72
	v_and_b32_e32 v67, 0xff, v37
	v_and_b32_e32 v61, 0xff, v39
	;; [unrolled: 1-line block ×5, first 2 shown]
	v_add3_u32 v6, v6, v81, v74
	v_and_b32_e32 v62, 0xff, v44
	v_and_b32_e32 v71, 0xff, v46
	;; [unrolled: 1-line block ×4, first 2 shown]
	v_add3_u32 v7, v61, v69, v67
	v_add3_u32 v6, v6, v82, v76
	v_and_b32_e32 v63, 0xff, v48
	v_and_b32_e32 v73, 0xff, v50
	;; [unrolled: 1-line block ×3, first 2 shown]
	v_cndmask_b32_e64 v1, 0, 1, s[54:55]
	v_add3_u32 v7, v7, v62, v71
	v_add3_u32 v6, v6, v83, v78
	v_and_b32_e32 v64, 0xff, v52
	v_and_b32_e32 v75, 0xff, v54
	v_add3_u32 v7, v7, v63, v73
	v_add3_u32 v91, v6, v84, v1
	v_mbcnt_lo_u32_b32 v1, -1, 0
	v_and_b32_e32 v65, 0xff, v56
	v_and_b32_e32 v77, 0xff, v58
	v_add3_u32 v7, v7, v64, v75
	v_mbcnt_hi_u32_b32 v85, -1, v1
	v_and_b32_e32 v66, 0xff, v60
	v_add3_u32 v7, v7, v65, v77
	v_cndmask_b32_e64 v8, 0, 1, s[52:53]
	v_and_b32_e32 v89, 15, v85
	s_cmp_lg_u32 s33, 0
	v_add3_u32 v90, v7, v66, v8
	v_cmp_eq_u32_e64 s[6:7], 0, v89
	v_cmp_lt_u32_e64 s[4:5], 1, v89
	v_cmp_lt_u32_e64 s[10:11], 3, v89
	;; [unrolled: 1-line block ×3, first 2 shown]
	v_and_b32_e32 v88, 16, v85
	v_cmp_lt_u32_e32 vcc, 31, v85
	v_lshrrev_b32_e32 v86, 6, v0
	v_or_b32_e32 v87, 63, v0
	s_cbranch_scc0 .LBB2009_119
; %bb.91:
	v_mov_b32_dpp v1, v90 row_shr:1 row_mask:0xf bank_mask:0xf
	v_mov_b32_dpp v6, v91 row_shr:1 row_mask:0xf bank_mask:0xf
	v_add_u32_e32 v1, v1, v90
	v_add_u32_e32 v6, v6, v91
	v_cndmask_b32_e64 v6, v6, v91, s[6:7]
	v_cndmask_b32_e64 v1, v1, v90, s[6:7]
	s_nop 0
	v_mov_b32_dpp v8, v6 row_shr:2 row_mask:0xf bank_mask:0xf
	v_mov_b32_dpp v7, v1 row_shr:2 row_mask:0xf bank_mask:0xf
	v_add_u32_e32 v7, v1, v7
	v_add_u32_e32 v8, v6, v8
	v_cndmask_b32_e64 v6, v6, v8, s[4:5]
	v_cndmask_b32_e64 v1, v1, v7, s[4:5]
	s_nop 0
	;; [unrolled: 7-line block ×3, first 2 shown]
	v_mov_b32_dpp v8, v6 row_shr:8 row_mask:0xf bank_mask:0xf
	v_mov_b32_dpp v7, v1 row_shr:8 row_mask:0xf bank_mask:0xf
	v_add_u32_e32 v7, v1, v7
	v_add_u32_e32 v8, v6, v8
	v_cndmask_b32_e64 v6, v6, v8, s[8:9]
	v_cndmask_b32_e64 v1, v1, v7, s[8:9]
	v_cmp_eq_u32_e64 s[8:9], 0, v88
	v_mov_b32_dpp v8, v6 row_bcast:15 row_mask:0xf bank_mask:0xf
	v_mov_b32_dpp v7, v1 row_bcast:15 row_mask:0xf bank_mask:0xf
	v_add_u32_e32 v7, v1, v7
	v_add_u32_e32 v8, v6, v8
	v_cndmask_b32_e64 v6, v8, v6, s[8:9]
	v_cndmask_b32_e64 v1, v7, v1, s[8:9]
	s_nop 0
	v_mov_b32_dpp v8, v6 row_bcast:31 row_mask:0xf bank_mask:0xf
	v_mov_b32_dpp v7, v1 row_bcast:31 row_mask:0xf bank_mask:0xf
	v_add_u32_e32 v8, v6, v8
	v_add_u32_e32 v9, v1, v7
	v_cndmask_b32_e32 v7, v6, v8, vcc
	v_cndmask_b32_e32 v6, v1, v9, vcc
	v_cmp_eq_u32_e32 vcc, v87, v0
	s_and_saveexec_b64 s[8:9], vcc
	s_cbranch_execz .LBB2009_93
; %bb.92:
	v_lshlrev_b32_e32 v1, 3, v86
	ds_write_b64 v1, v[6:7]
.LBB2009_93:
	s_or_b64 exec, exec, s[8:9]
	v_cmp_gt_u32_e32 vcc, 4, v0
	s_waitcnt lgkmcnt(0)
	s_barrier
	s_and_saveexec_b64 s[8:9], vcc
	s_cbranch_execz .LBB2009_95
; %bb.94:
	v_lshlrev_b32_e32 v1, 3, v0
	ds_read_b64 v[8:9], v1
	v_and_b32_e32 v10, 3, v85
	v_cmp_eq_u32_e32 vcc, 0, v10
	s_waitcnt lgkmcnt(0)
	v_mov_b32_dpp v11, v8 row_shr:1 row_mask:0xf bank_mask:0xf
	v_mov_b32_dpp v24, v9 row_shr:1 row_mask:0xf bank_mask:0xf
	v_add_u32_e32 v11, v11, v8
	v_add_u32_e32 v24, v24, v9
	v_cndmask_b32_e32 v9, v24, v9, vcc
	v_cndmask_b32_e32 v8, v11, v8, vcc
	v_cmp_lt_u32_e32 vcc, 1, v10
	v_mov_b32_dpp v24, v9 row_shr:2 row_mask:0xf bank_mask:0xf
	v_mov_b32_dpp v11, v8 row_shr:2 row_mask:0xf bank_mask:0xf
	v_cndmask_b32_e32 v10, 0, v11, vcc
	v_cndmask_b32_e32 v11, 0, v24, vcc
	v_add_u32_e32 v9, v11, v9
	v_add_u32_e32 v8, v10, v8
	ds_write_b64 v1, v[8:9]
.LBB2009_95:
	s_or_b64 exec, exec, s[8:9]
	v_cmp_gt_u32_e32 vcc, 64, v0
	v_cmp_lt_u32_e64 s[8:9], 63, v0
	s_waitcnt lgkmcnt(0)
	s_barrier
	s_waitcnt lgkmcnt(0)
                                        ; implicit-def: $vgpr25
	s_and_saveexec_b64 s[10:11], s[8:9]
	s_xor_b64 s[8:9], exec, s[10:11]
	s_cbranch_execz .LBB2009_97
; %bb.96:
	v_lshl_add_u32 v1, v86, 3, -8
	ds_read_b64 v[24:25], v1
	s_waitcnt lgkmcnt(0)
	v_add_u32_e32 v7, v25, v7
	v_add_u32_e32 v6, v24, v6
.LBB2009_97:
	s_andn2_saveexec_b64 s[8:9], s[8:9]
; %bb.98:
                                        ; implicit-def: $vgpr24
; %bb.99:
	s_or_b64 exec, exec, s[8:9]
	v_add_u32_e32 v1, -1, v85
	v_and_b32_e32 v8, 64, v85
	v_cmp_lt_i32_e64 s[8:9], v1, v8
	v_cndmask_b32_e64 v1, v1, v85, s[8:9]
	v_lshlrev_b32_e32 v8, 2, v1
	ds_bpermute_b32 v1, v8, v6
	ds_bpermute_b32 v92, v8, v7
	v_cmp_eq_u32_e64 s[8:9], 0, v85
	s_and_saveexec_b64 s[10:11], vcc
	s_cbranch_execz .LBB2009_118
; %bb.100:
	v_mov_b32_e32 v11, 0
	ds_read_b64 v[26:27], v11 offset:24
	s_and_saveexec_b64 s[12:13], s[8:9]
	s_cbranch_execz .LBB2009_102
; %bb.101:
	s_add_i32 s14, s33, 64
	s_mov_b32 s15, 0
	s_lshl_b64 s[14:15], s[14:15], 4
	s_waitcnt lgkmcnt(0)
	v_and_b32_e32 v6, 0xff000000, v27
	v_and_b32_e32 v7, 0xff0000, v27
	s_add_u32 s14, s50, s14
	v_or_b32_e32 v6, v7, v6
	v_and_b32_e32 v7, 0xff00, v27
	s_addc_u32 s15, s51, s15
	v_or_b32_e32 v6, v6, v7
	v_or_b32_sdwa v9, v6, v27 dst_sel:DWORD dst_unused:UNUSED_PAD src0_sel:DWORD src1_sel:BYTE_0
	v_mov_b32_e32 v10, 1
	v_mov_b32_e32 v8, v26
	v_pk_mov_b32 v[6:7], s[14:15], s[14:15] op_sel:[0,1]
	;;#ASMSTART
	global_store_dwordx4 v[6:7], v[8:11] off	
s_waitcnt vmcnt(0)
	;;#ASMEND
.LBB2009_102:
	s_or_b64 exec, exec, s[12:13]
	v_xad_u32 v28, v85, -1, s33
	v_add_u32_e32 v10, 64, v28
	v_lshlrev_b64 v[6:7], 4, v[10:11]
	v_mov_b32_e32 v8, s51
	v_add_co_u32_e32 v30, vcc, s50, v6
	v_addc_co_u32_e32 v31, vcc, v8, v7, vcc
	;;#ASMSTART
	global_load_dwordx4 v[6:9], v[30:31] off glc	
s_waitcnt vmcnt(0)
	;;#ASMEND
	v_and_b32_e32 v9, 0xff, v7
	v_and_b32_e32 v10, 0xff00, v7
	v_or3_b32 v9, 0, v9, v10
	v_or3_b32 v6, v6, 0, 0
	v_and_b32_e32 v10, 0xff000000, v7
	v_and_b32_e32 v7, 0xff0000, v7
	v_or3_b32 v7, v9, v7, v10
	v_or3_b32 v6, v6, 0, 0
	v_cmp_eq_u16_sdwa s[14:15], v8, v11 src0_sel:BYTE_0 src1_sel:DWORD
	s_and_saveexec_b64 s[12:13], s[14:15]
	s_cbranch_execz .LBB2009_106
; %bb.103:
	s_mov_b64 s[14:15], 0
	v_mov_b32_e32 v10, 0
.LBB2009_104:                           ; =>This Inner Loop Header: Depth=1
	;;#ASMSTART
	global_load_dwordx4 v[6:9], v[30:31] off glc	
s_waitcnt vmcnt(0)
	;;#ASMEND
	v_cmp_ne_u16_sdwa s[18:19], v8, v10 src0_sel:BYTE_0 src1_sel:DWORD
	s_or_b64 s[14:15], s[18:19], s[14:15]
	s_andn2_b64 exec, exec, s[14:15]
	s_cbranch_execnz .LBB2009_104
; %bb.105:
	s_or_b64 exec, exec, s[14:15]
.LBB2009_106:
	s_or_b64 exec, exec, s[12:13]
	v_and_b32_e32 v94, 63, v85
	v_cmp_ne_u32_e32 vcc, 63, v94
	v_mov_b32_e32 v93, 2
	v_addc_co_u32_e32 v30, vcc, 0, v85, vcc
	v_cmp_eq_u16_sdwa s[12:13], v8, v93 src0_sel:BYTE_0 src1_sel:DWORD
	v_lshlrev_b64 v[10:11], v85, -1
	v_lshlrev_b32_e32 v95, 2, v30
	v_and_b32_e32 v9, s13, v11
	ds_bpermute_b32 v30, v95, v6
	ds_bpermute_b32 v31, v95, v7
	v_or_b32_e32 v9, 0x80000000, v9
	v_and_b32_e32 v29, s12, v10
	v_ffbl_b32_e32 v9, v9
	v_add_u32_e32 v9, 32, v9
	v_ffbl_b32_e32 v29, v29
	v_min_u32_e32 v9, v29, v9
	s_waitcnt lgkmcnt(1)
	v_add_u32_e32 v29, v30, v6
	s_waitcnt lgkmcnt(0)
	v_add_u32_e32 v30, v31, v7
	v_cmp_lt_u32_e32 vcc, v94, v9
	v_cndmask_b32_e32 v7, v7, v30, vcc
	v_cndmask_b32_e32 v6, v6, v29, vcc
	v_cmp_gt_u32_e32 vcc, 62, v94
	v_cndmask_b32_e64 v29, 0, 1, vcc
	v_lshlrev_b32_e32 v29, 1, v29
	v_add_lshl_u32 v96, v29, v85, 2
	ds_bpermute_b32 v29, v96, v6
	ds_bpermute_b32 v30, v96, v7
	v_add_u32_e32 v97, 2, v94
	v_cmp_gt_u32_e32 vcc, v97, v9
	v_add_u32_e32 v99, 4, v94
	s_waitcnt lgkmcnt(1)
	v_add_u32_e32 v29, v6, v29
	s_waitcnt lgkmcnt(0)
	v_add_u32_e32 v30, v7, v30
	v_cndmask_b32_e32 v7, v30, v7, vcc
	v_cndmask_b32_e32 v6, v29, v6, vcc
	v_cmp_gt_u32_e32 vcc, 60, v94
	v_cndmask_b32_e64 v29, 0, 1, vcc
	v_lshlrev_b32_e32 v29, 2, v29
	v_add_lshl_u32 v98, v29, v85, 2
	ds_bpermute_b32 v29, v98, v6
	ds_bpermute_b32 v30, v98, v7
	v_cmp_gt_u32_e32 vcc, v99, v9
	v_add_u32_e32 v101, 8, v94
	v_add_u32_e32 v103, 16, v94
	s_waitcnt lgkmcnt(1)
	v_add_u32_e32 v29, v6, v29
	s_waitcnt lgkmcnt(0)
	v_add_u32_e32 v30, v7, v30
	v_cndmask_b32_e32 v7, v30, v7, vcc
	v_cndmask_b32_e32 v6, v29, v6, vcc
	v_cmp_gt_u32_e32 vcc, 56, v94
	v_cndmask_b32_e64 v29, 0, 1, vcc
	v_lshlrev_b32_e32 v29, 3, v29
	v_add_lshl_u32 v100, v29, v85, 2
	ds_bpermute_b32 v29, v100, v6
	ds_bpermute_b32 v30, v100, v7
	v_cmp_gt_u32_e32 vcc, v101, v9
	v_add_u32_e32 v105, 32, v94
	s_waitcnt lgkmcnt(1)
	v_add_u32_e32 v29, v6, v29
	s_waitcnt lgkmcnt(0)
	v_add_u32_e32 v30, v7, v30
	v_cndmask_b32_e32 v7, v30, v7, vcc
	v_cndmask_b32_e32 v6, v29, v6, vcc
	v_cmp_gt_u32_e32 vcc, 48, v94
	v_cndmask_b32_e64 v29, 0, 1, vcc
	v_lshlrev_b32_e32 v29, 4, v29
	v_add_lshl_u32 v102, v29, v85, 2
	ds_bpermute_b32 v29, v102, v6
	ds_bpermute_b32 v30, v102, v7
	v_cmp_gt_u32_e32 vcc, v103, v9
	s_waitcnt lgkmcnt(1)
	v_add_u32_e32 v29, v6, v29
	s_waitcnt lgkmcnt(0)
	v_add_u32_e32 v30, v7, v30
	v_cndmask_b32_e32 v7, v30, v7, vcc
	v_cndmask_b32_e32 v6, v29, v6, vcc
	v_cmp_gt_u32_e32 vcc, 32, v94
	v_cndmask_b32_e64 v29, 0, 1, vcc
	v_lshlrev_b32_e32 v29, 5, v29
	v_add_lshl_u32 v104, v29, v85, 2
	ds_bpermute_b32 v29, v104, v6
	ds_bpermute_b32 v30, v104, v7
	v_cmp_le_u32_e32 vcc, v105, v9
	s_waitcnt lgkmcnt(1)
	v_cndmask_b32_e32 v9, 0, v29, vcc
	s_waitcnt lgkmcnt(0)
	v_cndmask_b32_e32 v29, 0, v30, vcc
	v_add_u32_e32 v7, v7, v29
	v_add_u32_e32 v6, v6, v9
	v_mov_b32_e32 v29, 0
	s_branch .LBB2009_108
.LBB2009_107:                           ;   in Loop: Header=BB2009_108 Depth=1
	s_or_b64 exec, exec, s[12:13]
	v_cmp_eq_u16_sdwa s[12:13], v8, v93 src0_sel:BYTE_0 src1_sel:DWORD
	v_and_b32_e32 v9, s13, v11
	ds_bpermute_b32 v33, v95, v6
	ds_bpermute_b32 v106, v95, v7
	v_or_b32_e32 v9, 0x80000000, v9
	v_and_b32_e32 v32, s12, v10
	v_ffbl_b32_e32 v9, v9
	v_add_u32_e32 v9, 32, v9
	v_ffbl_b32_e32 v32, v32
	v_min_u32_e32 v9, v32, v9
	s_waitcnt lgkmcnt(1)
	v_add_u32_e32 v32, v33, v6
	s_waitcnt lgkmcnt(0)
	v_add_u32_e32 v33, v106, v7
	v_cmp_lt_u32_e32 vcc, v94, v9
	v_cndmask_b32_e32 v7, v7, v33, vcc
	v_cndmask_b32_e32 v6, v6, v32, vcc
	ds_bpermute_b32 v32, v96, v6
	ds_bpermute_b32 v33, v96, v7
	v_cmp_gt_u32_e32 vcc, v97, v9
	v_subrev_u32_e32 v28, 64, v28
	s_waitcnt lgkmcnt(1)
	v_add_u32_e32 v32, v6, v32
	s_waitcnt lgkmcnt(0)
	v_add_u32_e32 v33, v7, v33
	v_cndmask_b32_e32 v7, v33, v7, vcc
	v_cndmask_b32_e32 v6, v32, v6, vcc
	ds_bpermute_b32 v32, v98, v6
	ds_bpermute_b32 v33, v98, v7
	v_cmp_gt_u32_e32 vcc, v99, v9
	s_waitcnt lgkmcnt(1)
	v_add_u32_e32 v32, v6, v32
	s_waitcnt lgkmcnt(0)
	v_add_u32_e32 v33, v7, v33
	v_cndmask_b32_e32 v7, v33, v7, vcc
	v_cndmask_b32_e32 v6, v32, v6, vcc
	ds_bpermute_b32 v32, v100, v6
	ds_bpermute_b32 v33, v100, v7
	v_cmp_gt_u32_e32 vcc, v101, v9
	;; [unrolled: 9-line block ×3, first 2 shown]
	s_waitcnt lgkmcnt(1)
	v_add_u32_e32 v32, v6, v32
	s_waitcnt lgkmcnt(0)
	v_add_u32_e32 v33, v7, v33
	v_cndmask_b32_e32 v7, v33, v7, vcc
	v_cndmask_b32_e32 v6, v32, v6, vcc
	ds_bpermute_b32 v32, v104, v6
	ds_bpermute_b32 v33, v104, v7
	v_cmp_le_u32_e32 vcc, v105, v9
	s_waitcnt lgkmcnt(1)
	v_cndmask_b32_e32 v9, 0, v32, vcc
	s_waitcnt lgkmcnt(0)
	v_cndmask_b32_e32 v32, 0, v33, vcc
	v_add3_u32 v7, v32, v31, v7
	v_add3_u32 v6, v9, v30, v6
.LBB2009_108:                           ; =>This Loop Header: Depth=1
                                        ;     Child Loop BB2009_111 Depth 2
	v_cmp_ne_u16_sdwa s[12:13], v8, v93 src0_sel:BYTE_0 src1_sel:DWORD
	v_cndmask_b32_e64 v8, 0, 1, s[12:13]
	;;#ASMSTART
	;;#ASMEND
	v_cmp_ne_u32_e32 vcc, 0, v8
	s_cmp_lg_u64 vcc, exec
	v_pk_mov_b32 v[30:31], v[6:7], v[6:7] op_sel:[0,1]
	s_cbranch_scc1 .LBB2009_113
; %bb.109:                              ;   in Loop: Header=BB2009_108 Depth=1
	v_lshlrev_b64 v[6:7], 4, v[28:29]
	v_mov_b32_e32 v8, s51
	v_add_co_u32_e32 v32, vcc, s50, v6
	v_addc_co_u32_e32 v33, vcc, v8, v7, vcc
	;;#ASMSTART
	global_load_dwordx4 v[6:9], v[32:33] off glc	
s_waitcnt vmcnt(0)
	;;#ASMEND
	v_and_b32_e32 v9, 0xff, v7
	v_and_b32_e32 v106, 0xff00, v7
	v_or3_b32 v9, 0, v9, v106
	v_or3_b32 v6, v6, 0, 0
	v_and_b32_e32 v106, 0xff000000, v7
	v_and_b32_e32 v7, 0xff0000, v7
	v_or3_b32 v7, v9, v7, v106
	v_or3_b32 v6, v6, 0, 0
	v_cmp_eq_u16_sdwa s[14:15], v8, v29 src0_sel:BYTE_0 src1_sel:DWORD
	s_and_saveexec_b64 s[12:13], s[14:15]
	s_cbranch_execz .LBB2009_107
; %bb.110:                              ;   in Loop: Header=BB2009_108 Depth=1
	s_mov_b64 s[14:15], 0
.LBB2009_111:                           ;   Parent Loop BB2009_108 Depth=1
                                        ; =>  This Inner Loop Header: Depth=2
	;;#ASMSTART
	global_load_dwordx4 v[6:9], v[32:33] off glc	
s_waitcnt vmcnt(0)
	;;#ASMEND
	v_cmp_ne_u16_sdwa s[18:19], v8, v29 src0_sel:BYTE_0 src1_sel:DWORD
	s_or_b64 s[14:15], s[18:19], s[14:15]
	s_andn2_b64 exec, exec, s[14:15]
	s_cbranch_execnz .LBB2009_111
; %bb.112:                              ;   in Loop: Header=BB2009_108 Depth=1
	s_or_b64 exec, exec, s[14:15]
	s_branch .LBB2009_107
.LBB2009_113:                           ;   in Loop: Header=BB2009_108 Depth=1
                                        ; implicit-def: $vgpr8
                                        ; implicit-def: $vgpr6_vgpr7
	s_cbranch_execz .LBB2009_108
; %bb.114:
	s_and_saveexec_b64 s[12:13], s[8:9]
	s_cbranch_execz .LBB2009_116
; %bb.115:
	s_add_i32 s14, s33, 64
	s_mov_b32 s15, 0
	v_add_u32_e32 v7, v31, v27
	s_lshl_b64 s[14:15], s[14:15], 4
	s_add_u32 s14, s50, s14
	v_and_b32_e32 v8, 0xff000000, v7
	v_and_b32_e32 v10, 0xff0000, v7
	s_addc_u32 s15, s51, s15
	v_or_b32_e32 v8, v10, v8
	v_and_b32_e32 v10, 0xff00, v7
	v_and_b32_e32 v7, 0xff, v7
	v_add_u32_e32 v6, v30, v26
	v_mov_b32_e32 v9, 0
	v_or3_b32 v7, v8, v10, v7
	v_mov_b32_e32 v8, 2
	v_pk_mov_b32 v[10:11], s[14:15], s[14:15] op_sel:[0,1]
	;;#ASMSTART
	global_store_dwordx4 v[10:11], v[6:9] off	
s_waitcnt vmcnt(0)
	;;#ASMEND
	s_movk_i32 s14, 0x3400
	v_add_u32_e64 v6, s14, 0
	ds_write2_b32 v6, v26, v27 offset1:2
	ds_write2_b32 v6, v30, v31 offset0:4 offset1:6
.LBB2009_116:
	s_or_b64 exec, exec, s[12:13]
	s_and_b64 exec, exec, s[0:1]
	s_cbranch_execz .LBB2009_118
; %bb.117:
	v_mov_b32_e32 v6, 0
	ds_write_b64 v6, v[30:31] offset:24
.LBB2009_118:
	s_or_b64 exec, exec, s[10:11]
	v_mov_b32_e32 v6, 0
	s_waitcnt lgkmcnt(0)
	s_barrier
	ds_read_b64 v[10:11], v6 offset:24
	v_cndmask_b32_e64 v25, v92, v25, s[8:9]
	v_cndmask_b32_e64 v1, v1, v24, s[8:9]
	s_movk_i32 s8, 0x3400
	s_waitcnt lgkmcnt(0)
	v_add_u32_e32 v24, v10, v1
	v_add_u32_e64 v1, s8, 0
	s_barrier
	ds_read2_b32 v[6:7], v1 offset1:2
	ds_read2_b32 v[8:9], v1 offset0:4 offset1:6
	v_add_u32_e32 v1, v11, v25
	v_cndmask_b32_e64 v1, v1, v11, s[0:1]
	v_cndmask_b32_e64 v10, v24, v10, s[0:1]
	s_branch .LBB2009_129
.LBB2009_119:
                                        ; implicit-def: $vgpr1
                                        ; implicit-def: $vgpr8
                                        ; implicit-def: $vgpr6
                                        ; implicit-def: $vgpr10_vgpr11
	s_cbranch_execz .LBB2009_129
; %bb.120:
	s_nop 0
	v_mov_b32_dpp v1, v90 row_shr:1 row_mask:0xf bank_mask:0xf
	s_waitcnt lgkmcnt(1)
	v_mov_b32_dpp v6, v91 row_shr:1 row_mask:0xf bank_mask:0xf
	v_add_u32_e32 v1, v1, v90
	v_add_u32_e32 v6, v6, v91
	v_cndmask_b32_e64 v6, v6, v91, s[6:7]
	v_cndmask_b32_e64 v1, v1, v90, s[6:7]
	v_cmp_lt_u32_e32 vcc, 3, v89
	s_waitcnt lgkmcnt(0)
	v_mov_b32_dpp v8, v6 row_shr:2 row_mask:0xf bank_mask:0xf
	v_mov_b32_dpp v7, v1 row_shr:2 row_mask:0xf bank_mask:0xf
	v_add_u32_e32 v7, v1, v7
	v_add_u32_e32 v8, v6, v8
	v_cndmask_b32_e64 v6, v6, v8, s[4:5]
	v_cndmask_b32_e64 v1, v1, v7, s[4:5]
	s_nop 0
	v_mov_b32_dpp v8, v6 row_shr:4 row_mask:0xf bank_mask:0xf
	v_mov_b32_dpp v7, v1 row_shr:4 row_mask:0xf bank_mask:0xf
	v_add_u32_e32 v7, v1, v7
	v_add_u32_e32 v8, v6, v8
	v_cndmask_b32_e32 v6, v6, v8, vcc
	v_cndmask_b32_e32 v1, v1, v7, vcc
	v_cmp_lt_u32_e32 vcc, 7, v89
	v_mov_b32_dpp v8, v6 row_shr:8 row_mask:0xf bank_mask:0xf
	v_mov_b32_dpp v7, v1 row_shr:8 row_mask:0xf bank_mask:0xf
	v_add_u32_e32 v7, v1, v7
	v_add_u32_e32 v8, v6, v8
	v_cndmask_b32_e32 v6, v6, v8, vcc
	v_cndmask_b32_e32 v1, v1, v7, vcc
	v_cmp_eq_u32_e32 vcc, 0, v88
	v_mov_b32_dpp v8, v6 row_bcast:15 row_mask:0xf bank_mask:0xf
	v_mov_b32_dpp v7, v1 row_bcast:15 row_mask:0xf bank_mask:0xf
	v_add_u32_e32 v7, v1, v7
	v_add_u32_e32 v8, v6, v8
	v_cndmask_b32_e32 v6, v8, v6, vcc
	v_cndmask_b32_e32 v1, v7, v1, vcc
	v_cmp_lt_u32_e32 vcc, 31, v85
	v_mov_b32_dpp v8, v6 row_bcast:31 row_mask:0xf bank_mask:0xf
	v_mov_b32_dpp v7, v1 row_bcast:31 row_mask:0xf bank_mask:0xf
	v_add_u32_e32 v8, v6, v8
	v_add_u32_e32 v9, v1, v7
	v_cndmask_b32_e32 v7, v6, v8, vcc
	v_cndmask_b32_e32 v6, v1, v9, vcc
	v_cmp_eq_u32_e32 vcc, v87, v0
	s_and_saveexec_b64 s[4:5], vcc
	s_cbranch_execz .LBB2009_122
; %bb.121:
	v_lshlrev_b32_e32 v1, 3, v86
	ds_write_b64 v1, v[6:7]
.LBB2009_122:
	s_or_b64 exec, exec, s[4:5]
	v_cmp_gt_u32_e32 vcc, 4, v0
	s_waitcnt lgkmcnt(0)
	s_barrier
	s_and_saveexec_b64 s[4:5], vcc
	s_cbranch_execz .LBB2009_124
; %bb.123:
	v_lshlrev_b32_e32 v1, 3, v0
	ds_read_b64 v[8:9], v1
	v_and_b32_e32 v10, 3, v85
	v_cmp_eq_u32_e32 vcc, 0, v10
	s_waitcnt lgkmcnt(0)
	v_mov_b32_dpp v11, v8 row_shr:1 row_mask:0xf bank_mask:0xf
	v_mov_b32_dpp v24, v9 row_shr:1 row_mask:0xf bank_mask:0xf
	v_add_u32_e32 v11, v11, v8
	v_add_u32_e32 v24, v24, v9
	v_cndmask_b32_e32 v9, v24, v9, vcc
	v_cndmask_b32_e32 v8, v11, v8, vcc
	v_cmp_lt_u32_e32 vcc, 1, v10
	v_mov_b32_dpp v24, v9 row_shr:2 row_mask:0xf bank_mask:0xf
	v_mov_b32_dpp v11, v8 row_shr:2 row_mask:0xf bank_mask:0xf
	v_cndmask_b32_e32 v10, 0, v11, vcc
	v_cndmask_b32_e32 v11, 0, v24, vcc
	v_add_u32_e32 v9, v11, v9
	v_add_u32_e32 v8, v10, v8
	ds_write_b64 v1, v[8:9]
.LBB2009_124:
	s_or_b64 exec, exec, s[4:5]
	v_cmp_lt_u32_e32 vcc, 63, v0
	v_mov_b32_e32 v8, 0
	v_mov_b32_e32 v10, 0
	;; [unrolled: 1-line block ×3, first 2 shown]
	s_waitcnt lgkmcnt(0)
	s_barrier
	s_and_saveexec_b64 s[4:5], vcc
	s_cbranch_execz .LBB2009_126
; %bb.125:
	v_lshl_add_u32 v1, v86, 3, -8
	ds_read_b64 v[10:11], v1
.LBB2009_126:
	s_or_b64 exec, exec, s[4:5]
	s_waitcnt lgkmcnt(0)
	v_add_u32_e32 v9, v11, v7
	v_add_u32_e32 v1, v10, v6
	v_add_u32_e32 v6, -1, v85
	v_and_b32_e32 v7, 64, v85
	v_cmp_lt_i32_e32 vcc, v6, v7
	v_cndmask_b32_e32 v6, v6, v85, vcc
	v_lshlrev_b32_e32 v24, 2, v6
	ds_read_b64 v[6:7], v8 offset:24
	ds_bpermute_b32 v1, v24, v1
	ds_bpermute_b32 v24, v24, v9
	s_waitcnt lgkmcnt(2)
	v_readfirstlane_b32 s6, v7
	s_and_saveexec_b64 s[4:5], s[0:1]
	s_cbranch_execz .LBB2009_128
; %bb.127:
	s_add_u32 s8, s50, 0x400
	s_mov_b32 s10, 0
	s_addc_u32 s9, s51, 0
	s_and_b32 s11, s6, 0xff000000
	s_and_b32 s13, s6, 0xff0000
	s_mov_b32 s12, s10
	s_or_b64 s[12:13], s[12:13], s[10:11]
	s_and_b32 s11, s6, 0xff00
	s_or_b64 s[12:13], s[12:13], s[10:11]
	s_and_b32 s11, s6, 0xff
	s_or_b64 s[10:11], s[12:13], s[10:11]
	v_mov_b32_e32 v7, s11
	v_mov_b32_e32 v8, 2
	;; [unrolled: 1-line block ×3, first 2 shown]
	v_pk_mov_b32 v[26:27], s[8:9], s[8:9] op_sel:[0,1]
	;;#ASMSTART
	global_store_dwordx4 v[26:27], v[6:9] off	
s_waitcnt vmcnt(0)
	;;#ASMEND
.LBB2009_128:
	s_or_b64 exec, exec, s[4:5]
	v_cmp_eq_u32_e32 vcc, 0, v85
	s_waitcnt lgkmcnt(1)
	v_cndmask_b32_e32 v7, v1, v10, vcc
	s_waitcnt lgkmcnt(0)
	v_cndmask_b32_e32 v1, v24, v11, vcc
	v_mov_b32_e32 v8, 0
	v_cndmask_b32_e64 v1, v1, 0, s[0:1]
	v_cndmask_b32_e64 v10, v7, 0, s[0:1]
	s_barrier
	v_mov_b32_e32 v7, s6
	v_mov_b32_e32 v9, 0
.LBB2009_129:
	v_add_u32_e32 v11, v10, v67
	v_add_u32_e32 v26, v1, v68
	;; [unrolled: 1-line block ×13, first 2 shown]
	s_waitcnt vmcnt(0) lgkmcnt(0)
	v_add_co_u32_e32 v2, vcc, v2, v8
	v_add_u32_e32 v68, v62, v74
	v_add_u32_e32 v64, v67, v64
	v_addc_co_u32_e32 v3, vcc, 0, v3, vcc
	v_add_u32_e32 v69, v68, v82
	v_add_u32_e32 v70, v64, v75
	v_sub_co_u32_e32 v24, vcc, v4, v6
	v_add_u32_e32 v71, v69, v76
	v_add_u32_e32 v65, v70, v65
	v_subbrev_co_u32_e32 v25, vcc, 0, v5, vcc
	v_lshlrev_b32_e32 v76, 1, v6
	v_sub_u32_e32 v1, v1, v9
	v_add_u32_e32 v73, v65, v77
	v_add_co_u32_e32 v24, vcc, v24, v9
	v_add_u32_e32 v77, v76, v7
	v_sub_u32_e32 v10, v10, v8
	v_add_u32_e32 v1, v1, v6
	v_addc_co_u32_e32 v25, vcc, 0, v25, vcc
	v_add_u32_e32 v36, v77, v36
	v_and_b32_e32 v38, 1, v38
	v_add_u32_e32 v77, v10, v1
	v_and_b32_e32 v37, 1, v37
	v_sub_u32_e32 v77, v36, v77
	v_cmp_eq_u32_e32 vcc, 1, v38
	v_cndmask_b32_e32 v1, v77, v1, vcc
	v_cmp_eq_u32_e32 vcc, 1, v37
	v_cndmask_b32_e32 v1, v1, v10, vcc
	v_lshlrev_b32_e32 v1, 2, v1
	ds_write_b32 v1, v22
	v_sub_u32_e32 v1, v11, v8
	v_sub_u32_e32 v11, v26, v9
	v_add_u32_e32 v11, v11, v6
	v_add_u32_e32 v26, v11, v1
	v_and_b32_e32 v22, 1, v40
	v_sub_u32_e32 v26, v36, v26
	v_and_b32_e32 v10, 1, v39
	v_add_u32_e32 v26, 1, v26
	v_cmp_eq_u32_e32 vcc, 1, v22
	v_cndmask_b32_e32 v11, v26, v11, vcc
	v_cmp_eq_u32_e32 vcc, 1, v10
	v_cndmask_b32_e32 v1, v11, v1, vcc
	v_lshlrev_b32_e32 v1, 2, v1
	v_sub_u32_e32 v11, v27, v9
	ds_write_b32 v1, v23
	v_sub_u32_e32 v1, v28, v8
	v_add_u32_e32 v11, v11, v6
	v_add_u32_e32 v23, v11, v1
	v_and_b32_e32 v22, 1, v42
	v_sub_u32_e32 v23, v36, v23
	v_and_b32_e32 v10, 1, v41
	v_add_u32_e32 v23, 2, v23
	v_cmp_eq_u32_e32 vcc, 1, v22
	v_cndmask_b32_e32 v11, v23, v11, vcc
	v_cmp_eq_u32_e32 vcc, 1, v10
	v_cndmask_b32_e32 v1, v11, v1, vcc
	v_lshlrev_b32_e32 v1, 2, v1
	v_sub_u32_e32 v11, v30, v9
	ds_write_b32 v1, v20
	;; [unrolled: 14-line block ×8, first 2 shown]
	v_sub_u32_e32 v1, v70, v8
	v_add_u32_e32 v11, v11, v6
	v_add_u32_e32 v16, v1, v11
	v_and_b32_e32 v14, 1, v55
	v_sub_u32_e32 v16, v36, v16
	v_and_b32_e32 v10, 1, v56
	v_add_u32_e32 v16, 9, v16
	v_cmp_eq_u32_e32 vcc, 1, v14
	v_cndmask_b32_e32 v11, v16, v11, vcc
	v_cmp_eq_u32_e32 vcc, 1, v10
	v_add_u32_e32 v72, v71, v83
	v_cndmask_b32_e32 v1, v11, v1, vcc
	v_lshlrev_b32_e32 v1, 2, v1
	v_sub_u32_e32 v11, v72, v9
	ds_write_b32 v1, v15
	v_sub_u32_e32 v1, v65, v8
	v_add_u32_e32 v11, v11, v6
	v_add_u32_e32 v15, v1, v11
	v_and_b32_e32 v14, 1, v57
	v_sub_u32_e32 v15, v36, v15
	v_and_b32_e32 v10, 1, v58
	v_add_u32_e32 v15, 10, v15
	v_cmp_eq_u32_e32 vcc, 1, v14
	v_cndmask_b32_e32 v11, v15, v11, vcc
	v_cmp_eq_u32_e32 vcc, 1, v10
	v_add_u32_e32 v74, v72, v78
	v_cndmask_b32_e32 v1, v11, v1, vcc
	v_lshlrev_b32_e32 v1, 2, v1
	v_sub_u32_e32 v11, v74, v9
	ds_write_b32 v1, v12
	v_sub_u32_e32 v1, v73, v8
	v_add_u32_e32 v11, v11, v6
	v_add_u32_e32 v14, v1, v11
	v_and_b32_e32 v12, 1, v59
	v_sub_u32_e32 v14, v36, v14
	v_and_b32_e32 v10, 1, v60
	v_add_u32_e32 v14, 11, v14
	v_cmp_eq_u32_e32 vcc, 1, v12
	v_cndmask_b32_e32 v11, v14, v11, vcc
	v_cmp_eq_u32_e32 vcc, 1, v10
	v_cndmask_b32_e32 v1, v11, v1, vcc
	v_add_u32_e32 v75, v74, v84
	v_add_u32_e32 v66, v73, v66
	v_lshlrev_b32_e32 v1, 2, v1
	ds_write_b32 v1, v13
	v_sub_u32_e32 v1, v66, v8
	v_sub_u32_e32 v8, v75, v9
	v_add_u32_e32 v8, v8, v6
	v_add_u32_e32 v10, v1, v8
	v_sub_u32_e32 v10, v36, v10
	v_add_u32_e32 v10, 12, v10
	v_cndmask_b32_e64 v8, v10, v8, s[54:55]
	v_cndmask_b32_e64 v1, v8, v1, s[52:53]
	v_lshlrev_b32_e32 v1, 2, v1
	ds_write_b32 v1, v35
	v_mov_b32_e32 v1, s49
	v_add_co_u32_e32 v8, vcc, s48, v34
	v_addc_co_u32_e32 v10, vcc, 0, v1, vcc
	v_add_co_u32_e32 v1, vcc, v7, v76
	v_addc_co_u32_e64 v11, s[4:5], 0, 0, vcc
	v_add_co_u32_e32 v1, vcc, v1, v24
	v_addc_co_u32_e32 v11, vcc, v11, v25, vcc
	v_add_co_u32_e32 v1, vcc, v1, v2
	v_addc_co_u32_e32 v11, vcc, v11, v3, vcc
	v_sub_co_u32_e32 v1, vcc, v8, v1
	v_subb_co_u32_e32 v8, vcc, v10, v11, vcc
	v_lshlrev_b64 v[10:11], 2, v[24:25]
	v_mov_b32_e32 v12, s47
	v_add_co_u32_e32 v10, vcc, s46, v10
	v_addc_co_u32_e32 v11, vcc, v12, v11, vcc
	v_lshlrev_b64 v[12:13], 2, v[2:3]
	v_mov_b32_e32 v15, s45
	v_add_co_u32_e32 v12, vcc, s44, v12
	s_add_u32 s8, s34, -4
	v_addc_co_u32_e32 v13, vcc, v15, v13, vcc
	s_addc_u32 s9, s35, -1
	v_add_u32_e32 v14, v6, v7
	s_and_b64 vcc, exec, s[2:3]
	s_mov_b64 s[2:3], -1
	s_waitcnt lgkmcnt(0)
	s_barrier
	s_cbranch_vccz .LBB2009_133
; %bb.130:
	s_and_b64 vcc, exec, s[2:3]
	s_cbranch_vccnz .LBB2009_238
.LBB2009_131:
	s_and_b64 s[0:1], s[0:1], s[30:31]
	s_and_saveexec_b64 s[2:3], s[0:1]
	s_cbranch_execnz .LBB2009_356
.LBB2009_132:
	s_endpgm
.LBB2009_133:
	v_cmp_le_u32_e32 vcc, v6, v0
	s_and_saveexec_b64 s[2:3], vcc
	s_xor_b64 s[2:3], exec, s[2:3]
	s_cbranch_execz .LBB2009_139
; %bb.134:
	v_cmp_le_u32_e32 vcc, v14, v0
	s_and_saveexec_b64 s[4:5], vcc
	s_xor_b64 s[4:5], exec, s[4:5]
	s_cbranch_execz .LBB2009_136
; %bb.135:
	v_lshlrev_b32_e32 v15, 2, v0
	v_add_co_u32_e32 v16, vcc, v1, v0
	ds_read_b32 v15, v15
	v_addc_co_u32_e32 v17, vcc, 0, v8, vcc
	v_lshlrev_b64 v[16:17], 2, v[16:17]
	v_mov_b32_e32 v18, s35
	v_sub_co_u32_e32 v16, vcc, s34, v16
	v_subb_co_u32_e32 v17, vcc, v18, v17, vcc
	s_waitcnt lgkmcnt(0)
	global_store_dword v[16:17], v15, off offset:-4
.LBB2009_136:
	s_andn2_saveexec_b64 s[4:5], s[4:5]
	s_cbranch_execz .LBB2009_138
; %bb.137:
	v_lshlrev_b32_e32 v15, 2, v0
	ds_read_b32 v16, v15
	v_readfirstlane_b32 s6, v10
	v_readfirstlane_b32 s7, v11
	s_waitcnt lgkmcnt(0)
	s_nop 3
	global_store_dword v15, v16, s[6:7]
.LBB2009_138:
	s_or_b64 exec, exec, s[4:5]
.LBB2009_139:
	s_andn2_saveexec_b64 s[2:3], s[2:3]
	s_cbranch_execz .LBB2009_141
; %bb.140:
	v_lshlrev_b32_e32 v15, 2, v0
	ds_read_b32 v16, v15
	v_readfirstlane_b32 s4, v12
	v_readfirstlane_b32 s5, v13
	s_waitcnt lgkmcnt(0)
	s_nop 3
	global_store_dword v15, v16, s[4:5]
.LBB2009_141:
	s_or_b64 exec, exec, s[2:3]
	v_or_b32_e32 v15, 0x100, v0
	v_cmp_le_u32_e32 vcc, v6, v15
	s_and_saveexec_b64 s[2:3], vcc
	s_xor_b64 s[2:3], exec, s[2:3]
	s_cbranch_execz .LBB2009_147
; %bb.142:
	v_cmp_le_u32_e32 vcc, v14, v15
	s_and_saveexec_b64 s[4:5], vcc
	s_xor_b64 s[4:5], exec, s[4:5]
	s_cbranch_execz .LBB2009_144
; %bb.143:
	v_lshlrev_b32_e32 v15, 2, v0
	ds_read_b32 v15, v15 offset:1024
	v_add_co_u32_e32 v16, vcc, v1, v0
	v_addc_co_u32_e32 v17, vcc, 0, v8, vcc
	v_lshlrev_b64 v[16:17], 2, v[16:17]
	v_mov_b32_e32 v18, s9
	v_sub_co_u32_e32 v16, vcc, s8, v16
	v_subb_co_u32_e32 v17, vcc, v18, v17, vcc
	s_waitcnt lgkmcnt(0)
	global_store_dword v[16:17], v15, off offset:-1024
.LBB2009_144:
	s_andn2_saveexec_b64 s[4:5], s[4:5]
	s_cbranch_execz .LBB2009_146
; %bb.145:
	v_lshlrev_b32_e32 v15, 2, v0
	ds_read_b32 v16, v15 offset:1024
	v_readfirstlane_b32 s6, v10
	v_readfirstlane_b32 s7, v11
	s_waitcnt lgkmcnt(0)
	s_nop 3
	global_store_dword v15, v16, s[6:7] offset:1024
.LBB2009_146:
	s_or_b64 exec, exec, s[4:5]
.LBB2009_147:
	s_andn2_saveexec_b64 s[2:3], s[2:3]
	s_cbranch_execz .LBB2009_149
; %bb.148:
	v_lshlrev_b32_e32 v15, 2, v0
	ds_read_b32 v16, v15 offset:1024
	v_readfirstlane_b32 s4, v12
	v_readfirstlane_b32 s5, v13
	s_waitcnt lgkmcnt(0)
	s_nop 3
	global_store_dword v15, v16, s[4:5] offset:1024
.LBB2009_149:
	s_or_b64 exec, exec, s[2:3]
	v_or_b32_e32 v15, 0x200, v0
	v_cmp_le_u32_e32 vcc, v6, v15
	s_and_saveexec_b64 s[2:3], vcc
	s_xor_b64 s[2:3], exec, s[2:3]
	s_cbranch_execz .LBB2009_155
; %bb.150:
	v_cmp_le_u32_e32 vcc, v14, v15
	s_and_saveexec_b64 s[4:5], vcc
	s_xor_b64 s[4:5], exec, s[4:5]
	s_cbranch_execz .LBB2009_152
; %bb.151:
	v_lshlrev_b32_e32 v15, 2, v0
	ds_read_b32 v15, v15 offset:2048
	v_add_co_u32_e32 v16, vcc, v1, v0
	v_addc_co_u32_e32 v17, vcc, 0, v8, vcc
	v_lshlrev_b64 v[16:17], 2, v[16:17]
	v_mov_b32_e32 v18, s9
	v_sub_co_u32_e32 v16, vcc, s8, v16
	v_subb_co_u32_e32 v17, vcc, v18, v17, vcc
	s_waitcnt lgkmcnt(0)
	global_store_dword v[16:17], v15, off offset:-2048
.LBB2009_152:
	s_andn2_saveexec_b64 s[4:5], s[4:5]
	s_cbranch_execz .LBB2009_154
; %bb.153:
	v_lshlrev_b32_e32 v15, 2, v0
	ds_read_b32 v16, v15 offset:2048
	v_readfirstlane_b32 s6, v10
	v_readfirstlane_b32 s7, v11
	s_waitcnt lgkmcnt(0)
	s_nop 3
	global_store_dword v15, v16, s[6:7] offset:2048
.LBB2009_154:
	s_or_b64 exec, exec, s[4:5]
.LBB2009_155:
	s_andn2_saveexec_b64 s[2:3], s[2:3]
	s_cbranch_execz .LBB2009_157
; %bb.156:
	v_lshlrev_b32_e32 v15, 2, v0
	ds_read_b32 v16, v15 offset:2048
	v_readfirstlane_b32 s4, v12
	v_readfirstlane_b32 s5, v13
	s_waitcnt lgkmcnt(0)
	s_nop 3
	global_store_dword v15, v16, s[4:5] offset:2048
.LBB2009_157:
	;; [unrolled: 47-line block ×3, first 2 shown]
	s_or_b64 exec, exec, s[2:3]
	v_or_b32_e32 v15, 0x400, v0
	v_cmp_le_u32_e32 vcc, v6, v15
	s_and_saveexec_b64 s[2:3], vcc
	s_xor_b64 s[2:3], exec, s[2:3]
	s_cbranch_execz .LBB2009_171
; %bb.166:
	v_cmp_le_u32_e32 vcc, v14, v15
	s_and_saveexec_b64 s[4:5], vcc
	s_xor_b64 s[4:5], exec, s[4:5]
	s_cbranch_execz .LBB2009_168
; %bb.167:
	v_lshlrev_b32_e32 v15, 2, v0
	ds_read_b32 v15, v15 offset:4096
	v_add_co_u32_e32 v16, vcc, v1, v0
	v_addc_co_u32_e32 v17, vcc, 0, v8, vcc
	v_lshlrev_b64 v[16:17], 2, v[16:17]
	v_mov_b32_e32 v18, s9
	v_sub_co_u32_e32 v16, vcc, s8, v16
	v_subb_co_u32_e32 v17, vcc, v18, v17, vcc
	s_waitcnt lgkmcnt(0)
	global_store_dword v[16:17], v15, off offset:-4096
                                        ; implicit-def: $vgpr15
.LBB2009_168:
	s_andn2_saveexec_b64 s[4:5], s[4:5]
	s_cbranch_execz .LBB2009_170
; %bb.169:
	v_lshlrev_b32_e32 v16, 2, v0
	ds_read_b32 v16, v16 offset:4096
	v_lshlrev_b32_e32 v15, 2, v15
	v_readfirstlane_b32 s6, v10
	v_readfirstlane_b32 s7, v11
	s_waitcnt lgkmcnt(0)
	s_nop 3
	global_store_dword v15, v16, s[6:7]
.LBB2009_170:
	s_or_b64 exec, exec, s[4:5]
                                        ; implicit-def: $vgpr15
.LBB2009_171:
	s_andn2_saveexec_b64 s[2:3], s[2:3]
	s_cbranch_execz .LBB2009_173
; %bb.172:
	v_lshlrev_b32_e32 v16, 2, v0
	ds_read_b32 v16, v16 offset:4096
	v_lshlrev_b32_e32 v15, 2, v15
	v_readfirstlane_b32 s4, v12
	v_readfirstlane_b32 s5, v13
	s_waitcnt lgkmcnt(0)
	s_nop 3
	global_store_dword v15, v16, s[4:5]
.LBB2009_173:
	s_or_b64 exec, exec, s[2:3]
	v_or_b32_e32 v15, 0x500, v0
	v_cmp_le_u32_e32 vcc, v6, v15
	s_and_saveexec_b64 s[2:3], vcc
	s_xor_b64 s[2:3], exec, s[2:3]
	s_cbranch_execz .LBB2009_179
; %bb.174:
	v_cmp_le_u32_e32 vcc, v14, v15
	s_and_saveexec_b64 s[4:5], vcc
	s_xor_b64 s[4:5], exec, s[4:5]
	s_cbranch_execz .LBB2009_176
; %bb.175:
	v_add_co_u32_e32 v16, vcc, v1, v15
	v_lshlrev_b32_e32 v15, 2, v0
	ds_read_b32 v15, v15 offset:5120
	v_addc_co_u32_e32 v17, vcc, 0, v8, vcc
	v_lshlrev_b64 v[16:17], 2, v[16:17]
	v_mov_b32_e32 v18, s9
	v_sub_co_u32_e32 v16, vcc, s8, v16
	v_subb_co_u32_e32 v17, vcc, v18, v17, vcc
	s_waitcnt lgkmcnt(0)
	global_store_dword v[16:17], v15, off
                                        ; implicit-def: $vgpr15
.LBB2009_176:
	s_andn2_saveexec_b64 s[4:5], s[4:5]
	s_cbranch_execz .LBB2009_178
; %bb.177:
	v_lshlrev_b32_e32 v16, 2, v0
	ds_read_b32 v16, v16 offset:5120
	v_lshlrev_b32_e32 v15, 2, v15
	v_readfirstlane_b32 s6, v10
	v_readfirstlane_b32 s7, v11
	s_waitcnt lgkmcnt(0)
	s_nop 3
	global_store_dword v15, v16, s[6:7]
.LBB2009_178:
	s_or_b64 exec, exec, s[4:5]
                                        ; implicit-def: $vgpr15
.LBB2009_179:
	s_andn2_saveexec_b64 s[2:3], s[2:3]
	s_cbranch_execz .LBB2009_181
; %bb.180:
	v_lshlrev_b32_e32 v16, 2, v0
	ds_read_b32 v16, v16 offset:5120
	v_lshlrev_b32_e32 v15, 2, v15
	v_readfirstlane_b32 s4, v12
	v_readfirstlane_b32 s5, v13
	s_waitcnt lgkmcnt(0)
	s_nop 3
	global_store_dword v15, v16, s[4:5]
.LBB2009_181:
	s_or_b64 exec, exec, s[2:3]
	v_or_b32_e32 v15, 0x600, v0
	v_cmp_le_u32_e32 vcc, v6, v15
	s_and_saveexec_b64 s[2:3], vcc
	s_xor_b64 s[2:3], exec, s[2:3]
	s_cbranch_execz .LBB2009_187
; %bb.182:
	v_cmp_le_u32_e32 vcc, v14, v15
	s_and_saveexec_b64 s[4:5], vcc
	s_xor_b64 s[4:5], exec, s[4:5]
	s_cbranch_execz .LBB2009_184
; %bb.183:
	v_add_co_u32_e32 v16, vcc, v1, v15
	v_lshlrev_b32_e32 v15, 2, v0
	ds_read_b32 v15, v15 offset:6144
	v_addc_co_u32_e32 v17, vcc, 0, v8, vcc
	v_lshlrev_b64 v[16:17], 2, v[16:17]
	v_mov_b32_e32 v18, s9
	v_sub_co_u32_e32 v16, vcc, s8, v16
	v_subb_co_u32_e32 v17, vcc, v18, v17, vcc
	s_waitcnt lgkmcnt(0)
	global_store_dword v[16:17], v15, off
                                        ; implicit-def: $vgpr15
.LBB2009_184:
	s_andn2_saveexec_b64 s[4:5], s[4:5]
	s_cbranch_execz .LBB2009_186
; %bb.185:
	v_lshlrev_b32_e32 v16, 2, v0
	ds_read_b32 v16, v16 offset:6144
	v_lshlrev_b32_e32 v15, 2, v15
	v_readfirstlane_b32 s6, v10
	v_readfirstlane_b32 s7, v11
	s_waitcnt lgkmcnt(0)
	s_nop 3
	global_store_dword v15, v16, s[6:7]
.LBB2009_186:
	s_or_b64 exec, exec, s[4:5]
                                        ; implicit-def: $vgpr15
.LBB2009_187:
	;; [unrolled: 51-line block ×8, first 2 shown]
	s_andn2_saveexec_b64 s[2:3], s[2:3]
	s_cbranch_execz .LBB2009_237
; %bb.236:
	v_lshlrev_b32_e32 v16, 2, v0
	ds_read_b32 v16, v16 offset:12288
	v_lshlrev_b32_e32 v15, 2, v15
	v_readfirstlane_b32 s4, v12
	v_readfirstlane_b32 s5, v13
	s_waitcnt lgkmcnt(0)
	s_nop 3
	global_store_dword v15, v16, s[4:5]
.LBB2009_237:
	s_or_b64 exec, exec, s[2:3]
	s_branch .LBB2009_131
.LBB2009_238:
	v_cmp_gt_u32_e32 vcc, s16, v0
	s_and_saveexec_b64 s[2:3], vcc
	s_cbranch_execz .LBB2009_247
; %bb.239:
	v_cmp_le_u32_e32 vcc, v6, v0
	s_and_saveexec_b64 s[4:5], vcc
	s_xor_b64 s[4:5], exec, s[4:5]
	s_cbranch_execz .LBB2009_245
; %bb.240:
	v_cmp_le_u32_e32 vcc, v14, v0
	s_and_saveexec_b64 s[6:7], vcc
	s_xor_b64 s[6:7], exec, s[6:7]
	s_cbranch_execz .LBB2009_242
; %bb.241:
	v_lshlrev_b32_e32 v15, 2, v0
	v_add_co_u32_e32 v16, vcc, v1, v0
	ds_read_b32 v15, v15
	v_addc_co_u32_e32 v17, vcc, 0, v8, vcc
	v_lshlrev_b64 v[16:17], 2, v[16:17]
	v_mov_b32_e32 v18, s35
	v_sub_co_u32_e32 v16, vcc, s34, v16
	v_subb_co_u32_e32 v17, vcc, v18, v17, vcc
	s_waitcnt lgkmcnt(0)
	global_store_dword v[16:17], v15, off offset:-4
.LBB2009_242:
	s_andn2_saveexec_b64 s[6:7], s[6:7]
	s_cbranch_execz .LBB2009_244
; %bb.243:
	v_lshlrev_b32_e32 v15, 2, v0
	ds_read_b32 v16, v15
	v_readfirstlane_b32 s10, v10
	v_readfirstlane_b32 s11, v11
	s_waitcnt lgkmcnt(0)
	s_nop 3
	global_store_dword v15, v16, s[10:11]
.LBB2009_244:
	s_or_b64 exec, exec, s[6:7]
.LBB2009_245:
	s_andn2_saveexec_b64 s[4:5], s[4:5]
	s_cbranch_execz .LBB2009_247
; %bb.246:
	v_lshlrev_b32_e32 v15, 2, v0
	ds_read_b32 v16, v15
	v_readfirstlane_b32 s4, v12
	v_readfirstlane_b32 s5, v13
	s_waitcnt lgkmcnt(0)
	s_nop 3
	global_store_dword v15, v16, s[4:5]
.LBB2009_247:
	s_or_b64 exec, exec, s[2:3]
	v_or_b32_e32 v15, 0x100, v0
	v_cmp_gt_u32_e32 vcc, s16, v15
	s_and_saveexec_b64 s[2:3], vcc
	s_cbranch_execz .LBB2009_256
; %bb.248:
	v_cmp_le_u32_e32 vcc, v6, v15
	s_and_saveexec_b64 s[4:5], vcc
	s_xor_b64 s[4:5], exec, s[4:5]
	s_cbranch_execz .LBB2009_254
; %bb.249:
	v_cmp_le_u32_e32 vcc, v14, v15
	s_and_saveexec_b64 s[6:7], vcc
	s_xor_b64 s[6:7], exec, s[6:7]
	s_cbranch_execz .LBB2009_251
; %bb.250:
	v_lshlrev_b32_e32 v15, 2, v0
	ds_read_b32 v15, v15 offset:1024
	v_add_co_u32_e32 v16, vcc, v1, v0
	v_addc_co_u32_e32 v17, vcc, 0, v8, vcc
	v_lshlrev_b64 v[16:17], 2, v[16:17]
	v_mov_b32_e32 v18, s9
	v_sub_co_u32_e32 v16, vcc, s8, v16
	v_subb_co_u32_e32 v17, vcc, v18, v17, vcc
	s_waitcnt lgkmcnt(0)
	global_store_dword v[16:17], v15, off offset:-1024
.LBB2009_251:
	s_andn2_saveexec_b64 s[6:7], s[6:7]
	s_cbranch_execz .LBB2009_253
; %bb.252:
	v_lshlrev_b32_e32 v15, 2, v0
	ds_read_b32 v16, v15 offset:1024
	v_readfirstlane_b32 s10, v10
	v_readfirstlane_b32 s11, v11
	s_waitcnt lgkmcnt(0)
	s_nop 3
	global_store_dword v15, v16, s[10:11] offset:1024
.LBB2009_253:
	s_or_b64 exec, exec, s[6:7]
.LBB2009_254:
	s_andn2_saveexec_b64 s[4:5], s[4:5]
	s_cbranch_execz .LBB2009_256
; %bb.255:
	v_lshlrev_b32_e32 v15, 2, v0
	ds_read_b32 v16, v15 offset:1024
	v_readfirstlane_b32 s4, v12
	v_readfirstlane_b32 s5, v13
	s_waitcnt lgkmcnt(0)
	s_nop 3
	global_store_dword v15, v16, s[4:5] offset:1024
.LBB2009_256:
	s_or_b64 exec, exec, s[2:3]
	v_or_b32_e32 v15, 0x200, v0
	v_cmp_gt_u32_e32 vcc, s16, v15
	s_and_saveexec_b64 s[2:3], vcc
	s_cbranch_execz .LBB2009_265
; %bb.257:
	v_cmp_le_u32_e32 vcc, v6, v15
	s_and_saveexec_b64 s[4:5], vcc
	s_xor_b64 s[4:5], exec, s[4:5]
	s_cbranch_execz .LBB2009_263
; %bb.258:
	v_cmp_le_u32_e32 vcc, v14, v15
	s_and_saveexec_b64 s[6:7], vcc
	s_xor_b64 s[6:7], exec, s[6:7]
	s_cbranch_execz .LBB2009_260
; %bb.259:
	v_lshlrev_b32_e32 v15, 2, v0
	ds_read_b32 v15, v15 offset:2048
	v_add_co_u32_e32 v16, vcc, v1, v0
	v_addc_co_u32_e32 v17, vcc, 0, v8, vcc
	v_lshlrev_b64 v[16:17], 2, v[16:17]
	v_mov_b32_e32 v18, s9
	v_sub_co_u32_e32 v16, vcc, s8, v16
	v_subb_co_u32_e32 v17, vcc, v18, v17, vcc
	s_waitcnt lgkmcnt(0)
	global_store_dword v[16:17], v15, off offset:-2048
.LBB2009_260:
	s_andn2_saveexec_b64 s[6:7], s[6:7]
	s_cbranch_execz .LBB2009_262
; %bb.261:
	v_lshlrev_b32_e32 v15, 2, v0
	ds_read_b32 v16, v15 offset:2048
	v_readfirstlane_b32 s10, v10
	v_readfirstlane_b32 s11, v11
	s_waitcnt lgkmcnt(0)
	s_nop 3
	global_store_dword v15, v16, s[10:11] offset:2048
.LBB2009_262:
	s_or_b64 exec, exec, s[6:7]
.LBB2009_263:
	s_andn2_saveexec_b64 s[4:5], s[4:5]
	s_cbranch_execz .LBB2009_265
; %bb.264:
	v_lshlrev_b32_e32 v15, 2, v0
	ds_read_b32 v16, v15 offset:2048
	v_readfirstlane_b32 s4, v12
	v_readfirstlane_b32 s5, v13
	s_waitcnt lgkmcnt(0)
	s_nop 3
	global_store_dword v15, v16, s[4:5] offset:2048
.LBB2009_265:
	;; [unrolled: 51-line block ×3, first 2 shown]
	s_or_b64 exec, exec, s[2:3]
	v_or_b32_e32 v15, 0x400, v0
	v_cmp_gt_u32_e32 vcc, s16, v15
	s_and_saveexec_b64 s[2:3], vcc
	s_cbranch_execz .LBB2009_283
; %bb.275:
	v_cmp_le_u32_e32 vcc, v6, v15
	s_and_saveexec_b64 s[4:5], vcc
	s_xor_b64 s[4:5], exec, s[4:5]
	s_cbranch_execz .LBB2009_281
; %bb.276:
	v_cmp_le_u32_e32 vcc, v14, v15
	s_and_saveexec_b64 s[6:7], vcc
	s_xor_b64 s[6:7], exec, s[6:7]
	s_cbranch_execz .LBB2009_278
; %bb.277:
	v_lshlrev_b32_e32 v15, 2, v0
	ds_read_b32 v15, v15 offset:4096
	v_add_co_u32_e32 v16, vcc, v1, v0
	v_addc_co_u32_e32 v17, vcc, 0, v8, vcc
	v_lshlrev_b64 v[16:17], 2, v[16:17]
	v_mov_b32_e32 v18, s9
	v_sub_co_u32_e32 v16, vcc, s8, v16
	v_subb_co_u32_e32 v17, vcc, v18, v17, vcc
	s_waitcnt lgkmcnt(0)
	global_store_dword v[16:17], v15, off offset:-4096
                                        ; implicit-def: $vgpr15
.LBB2009_278:
	s_andn2_saveexec_b64 s[6:7], s[6:7]
	s_cbranch_execz .LBB2009_280
; %bb.279:
	v_lshlrev_b32_e32 v16, 2, v0
	ds_read_b32 v16, v16 offset:4096
	v_lshlrev_b32_e32 v15, 2, v15
	v_readfirstlane_b32 s10, v10
	v_readfirstlane_b32 s11, v11
	s_waitcnt lgkmcnt(0)
	s_nop 3
	global_store_dword v15, v16, s[10:11]
.LBB2009_280:
	s_or_b64 exec, exec, s[6:7]
                                        ; implicit-def: $vgpr15
.LBB2009_281:
	s_andn2_saveexec_b64 s[4:5], s[4:5]
	s_cbranch_execz .LBB2009_283
; %bb.282:
	v_lshlrev_b32_e32 v16, 2, v0
	ds_read_b32 v16, v16 offset:4096
	v_lshlrev_b32_e32 v15, 2, v15
	v_readfirstlane_b32 s4, v12
	v_readfirstlane_b32 s5, v13
	s_waitcnt lgkmcnt(0)
	s_nop 3
	global_store_dword v15, v16, s[4:5]
.LBB2009_283:
	s_or_b64 exec, exec, s[2:3]
	v_or_b32_e32 v15, 0x500, v0
	v_cmp_gt_u32_e32 vcc, s16, v15
	s_and_saveexec_b64 s[2:3], vcc
	s_cbranch_execz .LBB2009_292
; %bb.284:
	v_cmp_le_u32_e32 vcc, v6, v15
	s_and_saveexec_b64 s[4:5], vcc
	s_xor_b64 s[4:5], exec, s[4:5]
	s_cbranch_execz .LBB2009_290
; %bb.285:
	v_cmp_le_u32_e32 vcc, v14, v15
	s_and_saveexec_b64 s[6:7], vcc
	s_xor_b64 s[6:7], exec, s[6:7]
	s_cbranch_execz .LBB2009_287
; %bb.286:
	v_add_co_u32_e32 v16, vcc, v1, v15
	v_lshlrev_b32_e32 v15, 2, v0
	ds_read_b32 v15, v15 offset:5120
	v_addc_co_u32_e32 v17, vcc, 0, v8, vcc
	v_lshlrev_b64 v[16:17], 2, v[16:17]
	v_mov_b32_e32 v18, s9
	v_sub_co_u32_e32 v16, vcc, s8, v16
	v_subb_co_u32_e32 v17, vcc, v18, v17, vcc
	s_waitcnt lgkmcnt(0)
	global_store_dword v[16:17], v15, off
                                        ; implicit-def: $vgpr15
.LBB2009_287:
	s_andn2_saveexec_b64 s[6:7], s[6:7]
	s_cbranch_execz .LBB2009_289
; %bb.288:
	v_lshlrev_b32_e32 v16, 2, v0
	ds_read_b32 v16, v16 offset:5120
	v_lshlrev_b32_e32 v15, 2, v15
	v_readfirstlane_b32 s10, v10
	v_readfirstlane_b32 s11, v11
	s_waitcnt lgkmcnt(0)
	s_nop 3
	global_store_dword v15, v16, s[10:11]
.LBB2009_289:
	s_or_b64 exec, exec, s[6:7]
                                        ; implicit-def: $vgpr15
.LBB2009_290:
	s_andn2_saveexec_b64 s[4:5], s[4:5]
	s_cbranch_execz .LBB2009_292
; %bb.291:
	v_lshlrev_b32_e32 v16, 2, v0
	ds_read_b32 v16, v16 offset:5120
	v_lshlrev_b32_e32 v15, 2, v15
	v_readfirstlane_b32 s4, v12
	v_readfirstlane_b32 s5, v13
	s_waitcnt lgkmcnt(0)
	s_nop 3
	global_store_dword v15, v16, s[4:5]
.LBB2009_292:
	s_or_b64 exec, exec, s[2:3]
	v_or_b32_e32 v15, 0x600, v0
	v_cmp_gt_u32_e32 vcc, s16, v15
	s_and_saveexec_b64 s[2:3], vcc
	s_cbranch_execz .LBB2009_301
; %bb.293:
	v_cmp_le_u32_e32 vcc, v6, v15
	s_and_saveexec_b64 s[4:5], vcc
	s_xor_b64 s[4:5], exec, s[4:5]
	s_cbranch_execz .LBB2009_299
; %bb.294:
	v_cmp_le_u32_e32 vcc, v14, v15
	s_and_saveexec_b64 s[6:7], vcc
	s_xor_b64 s[6:7], exec, s[6:7]
	s_cbranch_execz .LBB2009_296
; %bb.295:
	v_add_co_u32_e32 v16, vcc, v1, v15
	v_lshlrev_b32_e32 v15, 2, v0
	ds_read_b32 v15, v15 offset:6144
	v_addc_co_u32_e32 v17, vcc, 0, v8, vcc
	v_lshlrev_b64 v[16:17], 2, v[16:17]
	v_mov_b32_e32 v18, s9
	v_sub_co_u32_e32 v16, vcc, s8, v16
	v_subb_co_u32_e32 v17, vcc, v18, v17, vcc
	s_waitcnt lgkmcnt(0)
	global_store_dword v[16:17], v15, off
                                        ; implicit-def: $vgpr15
.LBB2009_296:
	s_andn2_saveexec_b64 s[6:7], s[6:7]
	s_cbranch_execz .LBB2009_298
; %bb.297:
	v_lshlrev_b32_e32 v16, 2, v0
	ds_read_b32 v16, v16 offset:6144
	v_lshlrev_b32_e32 v15, 2, v15
	v_readfirstlane_b32 s10, v10
	v_readfirstlane_b32 s11, v11
	s_waitcnt lgkmcnt(0)
	s_nop 3
	global_store_dword v15, v16, s[10:11]
.LBB2009_298:
	s_or_b64 exec, exec, s[6:7]
                                        ; implicit-def: $vgpr15
.LBB2009_299:
	s_andn2_saveexec_b64 s[4:5], s[4:5]
	s_cbranch_execz .LBB2009_301
; %bb.300:
	v_lshlrev_b32_e32 v16, 2, v0
	ds_read_b32 v16, v16 offset:6144
	v_lshlrev_b32_e32 v15, 2, v15
	v_readfirstlane_b32 s4, v12
	v_readfirstlane_b32 s5, v13
	s_waitcnt lgkmcnt(0)
	s_nop 3
	global_store_dword v15, v16, s[4:5]
.LBB2009_301:
	;; [unrolled: 55-line block ×7, first 2 shown]
	s_or_b64 exec, exec, s[2:3]
	v_or_b32_e32 v15, 0xc00, v0
	v_cmp_gt_u32_e32 vcc, s16, v15
	s_and_saveexec_b64 s[2:3], vcc
	s_cbranch_execz .LBB2009_355
; %bb.347:
	v_cmp_le_u32_e32 vcc, v6, v15
	s_and_saveexec_b64 s[4:5], vcc
	s_xor_b64 s[4:5], exec, s[4:5]
	s_cbranch_execz .LBB2009_353
; %bb.348:
	v_cmp_le_u32_e32 vcc, v14, v15
	s_and_saveexec_b64 s[6:7], vcc
	s_xor_b64 s[6:7], exec, s[6:7]
	s_cbranch_execz .LBB2009_350
; %bb.349:
	v_add_co_u32_e32 v10, vcc, v1, v15
	v_lshlrev_b32_e32 v0, 2, v0
	v_addc_co_u32_e32 v11, vcc, 0, v8, vcc
	ds_read_b32 v8, v0 offset:12288
	v_lshlrev_b64 v[0:1], 2, v[10:11]
	v_mov_b32_e32 v10, s9
	v_sub_co_u32_e32 v0, vcc, s8, v0
	v_subb_co_u32_e32 v1, vcc, v10, v1, vcc
	s_waitcnt lgkmcnt(0)
	global_store_dword v[0:1], v8, off
                                        ; implicit-def: $vgpr0
                                        ; implicit-def: $vgpr15
                                        ; implicit-def: $vgpr10_vgpr11
.LBB2009_350:
	s_andn2_saveexec_b64 s[6:7], s[6:7]
	s_cbranch_execz .LBB2009_352
; %bb.351:
	v_lshlrev_b32_e32 v0, 2, v0
	ds_read_b32 v0, v0 offset:12288
	v_lshlrev_b32_e32 v1, 2, v15
	v_readfirstlane_b32 s8, v10
	v_readfirstlane_b32 s9, v11
	s_waitcnt lgkmcnt(0)
	s_nop 3
	global_store_dword v1, v0, s[8:9]
.LBB2009_352:
	s_or_b64 exec, exec, s[6:7]
                                        ; implicit-def: $vgpr0
                                        ; implicit-def: $vgpr15
                                        ; implicit-def: $vgpr12_vgpr13
.LBB2009_353:
	s_andn2_saveexec_b64 s[4:5], s[4:5]
	s_cbranch_execz .LBB2009_355
; %bb.354:
	v_lshlrev_b32_e32 v0, 2, v0
	ds_read_b32 v0, v0 offset:12288
	v_lshlrev_b32_e32 v1, 2, v15
	v_readfirstlane_b32 s4, v12
	v_readfirstlane_b32 s5, v13
	s_waitcnt lgkmcnt(0)
	s_nop 3
	global_store_dword v1, v0, s[4:5]
.LBB2009_355:
	s_or_b64 exec, exec, s[2:3]
	s_and_b64 s[0:1], s[0:1], s[30:31]
	s_and_saveexec_b64 s[2:3], s[0:1]
	s_cbranch_execz .LBB2009_132
.LBB2009_356:
	v_add_co_u32_e32 v0, vcc, v2, v6
	v_addc_co_u32_e32 v1, vcc, 0, v3, vcc
	v_add_co_u32_e32 v2, vcc, v4, v7
	v_addc_co_u32_e32 v3, vcc, 0, v5, vcc
	v_add_co_u32_e32 v2, vcc, v2, v9
	v_mov_b32_e32 v8, 0
	v_addc_co_u32_e32 v3, vcc, 0, v3, vcc
	global_store_dwordx4 v8, v[0:3], s[28:29]
	s_endpgm
	.section	.rodata,"a",@progbits
	.p2align	6, 0x0
	.amdhsa_kernel _ZN7rocprim17ROCPRIM_400000_NS6detail17trampoline_kernelINS0_13select_configILj256ELj13ELNS0_17block_load_methodE3ELS4_3ELS4_3ELNS0_20block_scan_algorithmE0ELj4294967295EEENS1_25partition_config_selectorILNS1_17partition_subalgoE4EjNS0_10empty_typeEbEEZZNS1_14partition_implILS8_4ELb0ES6_15HIP_vector_typeIjLj2EENS0_17counting_iteratorIjlEEPS9_SG_NS0_5tupleIJPjSI_NS0_16reverse_iteratorISI_EEEEENSH_IJSG_SG_SG_EEES9_SI_JZNS1_25segmented_radix_sort_implINS0_14default_configELb0EPK12hip_bfloat16PSP_PKlPlN2at6native12_GLOBAL__N_18offset_tEEE10hipError_tPvRmT1_PNSt15iterator_traitsIS13_E10value_typeET2_T3_PNS14_IS19_E10value_typeET4_jRbjT5_S1F_jjP12ihipStream_tbEUljE_ZNSN_ISO_Lb0ESR_SS_SU_SV_SZ_EES10_S11_S12_S13_S17_S18_S19_S1C_S1D_jS1E_jS1F_S1F_jjS1H_bEUljE0_EEES10_S11_S12_S19_S1D_S1F_T6_T7_T9_mT8_S1H_bDpT10_ENKUlT_T0_E_clISt17integral_constantIbLb0EES1U_IbLb1EEEEDaS1Q_S1R_EUlS1Q_E_NS1_11comp_targetILNS1_3genE4ELNS1_11target_archE910ELNS1_3gpuE8ELNS1_3repE0EEENS1_30default_config_static_selectorELNS0_4arch9wavefront6targetE1EEEvS13_
		.amdhsa_group_segment_fixed_size 13340
		.amdhsa_private_segment_fixed_size 0
		.amdhsa_kernarg_size 184
		.amdhsa_user_sgpr_count 6
		.amdhsa_user_sgpr_private_segment_buffer 1
		.amdhsa_user_sgpr_dispatch_ptr 0
		.amdhsa_user_sgpr_queue_ptr 0
		.amdhsa_user_sgpr_kernarg_segment_ptr 1
		.amdhsa_user_sgpr_dispatch_id 0
		.amdhsa_user_sgpr_flat_scratch_init 0
		.amdhsa_user_sgpr_kernarg_preload_length 0
		.amdhsa_user_sgpr_kernarg_preload_offset 0
		.amdhsa_user_sgpr_private_segment_size 0
		.amdhsa_uses_dynamic_stack 0
		.amdhsa_system_sgpr_private_segment_wavefront_offset 0
		.amdhsa_system_sgpr_workgroup_id_x 1
		.amdhsa_system_sgpr_workgroup_id_y 0
		.amdhsa_system_sgpr_workgroup_id_z 0
		.amdhsa_system_sgpr_workgroup_info 0
		.amdhsa_system_vgpr_workitem_id 0
		.amdhsa_next_free_vgpr 107
		.amdhsa_next_free_sgpr 87
		.amdhsa_accum_offset 108
		.amdhsa_reserve_vcc 1
		.amdhsa_reserve_flat_scratch 0
		.amdhsa_float_round_mode_32 0
		.amdhsa_float_round_mode_16_64 0
		.amdhsa_float_denorm_mode_32 3
		.amdhsa_float_denorm_mode_16_64 3
		.amdhsa_dx10_clamp 1
		.amdhsa_ieee_mode 1
		.amdhsa_fp16_overflow 0
		.amdhsa_tg_split 0
		.amdhsa_exception_fp_ieee_invalid_op 0
		.amdhsa_exception_fp_denorm_src 0
		.amdhsa_exception_fp_ieee_div_zero 0
		.amdhsa_exception_fp_ieee_overflow 0
		.amdhsa_exception_fp_ieee_underflow 0
		.amdhsa_exception_fp_ieee_inexact 0
		.amdhsa_exception_int_div_zero 0
	.end_amdhsa_kernel
	.section	.text._ZN7rocprim17ROCPRIM_400000_NS6detail17trampoline_kernelINS0_13select_configILj256ELj13ELNS0_17block_load_methodE3ELS4_3ELS4_3ELNS0_20block_scan_algorithmE0ELj4294967295EEENS1_25partition_config_selectorILNS1_17partition_subalgoE4EjNS0_10empty_typeEbEEZZNS1_14partition_implILS8_4ELb0ES6_15HIP_vector_typeIjLj2EENS0_17counting_iteratorIjlEEPS9_SG_NS0_5tupleIJPjSI_NS0_16reverse_iteratorISI_EEEEENSH_IJSG_SG_SG_EEES9_SI_JZNS1_25segmented_radix_sort_implINS0_14default_configELb0EPK12hip_bfloat16PSP_PKlPlN2at6native12_GLOBAL__N_18offset_tEEE10hipError_tPvRmT1_PNSt15iterator_traitsIS13_E10value_typeET2_T3_PNS14_IS19_E10value_typeET4_jRbjT5_S1F_jjP12ihipStream_tbEUljE_ZNSN_ISO_Lb0ESR_SS_SU_SV_SZ_EES10_S11_S12_S13_S17_S18_S19_S1C_S1D_jS1E_jS1F_S1F_jjS1H_bEUljE0_EEES10_S11_S12_S19_S1D_S1F_T6_T7_T9_mT8_S1H_bDpT10_ENKUlT_T0_E_clISt17integral_constantIbLb0EES1U_IbLb1EEEEDaS1Q_S1R_EUlS1Q_E_NS1_11comp_targetILNS1_3genE4ELNS1_11target_archE910ELNS1_3gpuE8ELNS1_3repE0EEENS1_30default_config_static_selectorELNS0_4arch9wavefront6targetE1EEEvS13_,"axG",@progbits,_ZN7rocprim17ROCPRIM_400000_NS6detail17trampoline_kernelINS0_13select_configILj256ELj13ELNS0_17block_load_methodE3ELS4_3ELS4_3ELNS0_20block_scan_algorithmE0ELj4294967295EEENS1_25partition_config_selectorILNS1_17partition_subalgoE4EjNS0_10empty_typeEbEEZZNS1_14partition_implILS8_4ELb0ES6_15HIP_vector_typeIjLj2EENS0_17counting_iteratorIjlEEPS9_SG_NS0_5tupleIJPjSI_NS0_16reverse_iteratorISI_EEEEENSH_IJSG_SG_SG_EEES9_SI_JZNS1_25segmented_radix_sort_implINS0_14default_configELb0EPK12hip_bfloat16PSP_PKlPlN2at6native12_GLOBAL__N_18offset_tEEE10hipError_tPvRmT1_PNSt15iterator_traitsIS13_E10value_typeET2_T3_PNS14_IS19_E10value_typeET4_jRbjT5_S1F_jjP12ihipStream_tbEUljE_ZNSN_ISO_Lb0ESR_SS_SU_SV_SZ_EES10_S11_S12_S13_S17_S18_S19_S1C_S1D_jS1E_jS1F_S1F_jjS1H_bEUljE0_EEES10_S11_S12_S19_S1D_S1F_T6_T7_T9_mT8_S1H_bDpT10_ENKUlT_T0_E_clISt17integral_constantIbLb0EES1U_IbLb1EEEEDaS1Q_S1R_EUlS1Q_E_NS1_11comp_targetILNS1_3genE4ELNS1_11target_archE910ELNS1_3gpuE8ELNS1_3repE0EEENS1_30default_config_static_selectorELNS0_4arch9wavefront6targetE1EEEvS13_,comdat
.Lfunc_end2009:
	.size	_ZN7rocprim17ROCPRIM_400000_NS6detail17trampoline_kernelINS0_13select_configILj256ELj13ELNS0_17block_load_methodE3ELS4_3ELS4_3ELNS0_20block_scan_algorithmE0ELj4294967295EEENS1_25partition_config_selectorILNS1_17partition_subalgoE4EjNS0_10empty_typeEbEEZZNS1_14partition_implILS8_4ELb0ES6_15HIP_vector_typeIjLj2EENS0_17counting_iteratorIjlEEPS9_SG_NS0_5tupleIJPjSI_NS0_16reverse_iteratorISI_EEEEENSH_IJSG_SG_SG_EEES9_SI_JZNS1_25segmented_radix_sort_implINS0_14default_configELb0EPK12hip_bfloat16PSP_PKlPlN2at6native12_GLOBAL__N_18offset_tEEE10hipError_tPvRmT1_PNSt15iterator_traitsIS13_E10value_typeET2_T3_PNS14_IS19_E10value_typeET4_jRbjT5_S1F_jjP12ihipStream_tbEUljE_ZNSN_ISO_Lb0ESR_SS_SU_SV_SZ_EES10_S11_S12_S13_S17_S18_S19_S1C_S1D_jS1E_jS1F_S1F_jjS1H_bEUljE0_EEES10_S11_S12_S19_S1D_S1F_T6_T7_T9_mT8_S1H_bDpT10_ENKUlT_T0_E_clISt17integral_constantIbLb0EES1U_IbLb1EEEEDaS1Q_S1R_EUlS1Q_E_NS1_11comp_targetILNS1_3genE4ELNS1_11target_archE910ELNS1_3gpuE8ELNS1_3repE0EEENS1_30default_config_static_selectorELNS0_4arch9wavefront6targetE1EEEvS13_, .Lfunc_end2009-_ZN7rocprim17ROCPRIM_400000_NS6detail17trampoline_kernelINS0_13select_configILj256ELj13ELNS0_17block_load_methodE3ELS4_3ELS4_3ELNS0_20block_scan_algorithmE0ELj4294967295EEENS1_25partition_config_selectorILNS1_17partition_subalgoE4EjNS0_10empty_typeEbEEZZNS1_14partition_implILS8_4ELb0ES6_15HIP_vector_typeIjLj2EENS0_17counting_iteratorIjlEEPS9_SG_NS0_5tupleIJPjSI_NS0_16reverse_iteratorISI_EEEEENSH_IJSG_SG_SG_EEES9_SI_JZNS1_25segmented_radix_sort_implINS0_14default_configELb0EPK12hip_bfloat16PSP_PKlPlN2at6native12_GLOBAL__N_18offset_tEEE10hipError_tPvRmT1_PNSt15iterator_traitsIS13_E10value_typeET2_T3_PNS14_IS19_E10value_typeET4_jRbjT5_S1F_jjP12ihipStream_tbEUljE_ZNSN_ISO_Lb0ESR_SS_SU_SV_SZ_EES10_S11_S12_S13_S17_S18_S19_S1C_S1D_jS1E_jS1F_S1F_jjS1H_bEUljE0_EEES10_S11_S12_S19_S1D_S1F_T6_T7_T9_mT8_S1H_bDpT10_ENKUlT_T0_E_clISt17integral_constantIbLb0EES1U_IbLb1EEEEDaS1Q_S1R_EUlS1Q_E_NS1_11comp_targetILNS1_3genE4ELNS1_11target_archE910ELNS1_3gpuE8ELNS1_3repE0EEENS1_30default_config_static_selectorELNS0_4arch9wavefront6targetE1EEEvS13_
                                        ; -- End function
	.section	.AMDGPU.csdata,"",@progbits
; Kernel info:
; codeLenInByte = 13432
; NumSgprs: 91
; NumVgprs: 107
; NumAgprs: 0
; TotalNumVgprs: 107
; ScratchSize: 0
; MemoryBound: 0
; FloatMode: 240
; IeeeMode: 1
; LDSByteSize: 13340 bytes/workgroup (compile time only)
; SGPRBlocks: 11
; VGPRBlocks: 13
; NumSGPRsForWavesPerEU: 91
; NumVGPRsForWavesPerEU: 107
; AccumOffset: 108
; Occupancy: 4
; WaveLimiterHint : 1
; COMPUTE_PGM_RSRC2:SCRATCH_EN: 0
; COMPUTE_PGM_RSRC2:USER_SGPR: 6
; COMPUTE_PGM_RSRC2:TRAP_HANDLER: 0
; COMPUTE_PGM_RSRC2:TGID_X_EN: 1
; COMPUTE_PGM_RSRC2:TGID_Y_EN: 0
; COMPUTE_PGM_RSRC2:TGID_Z_EN: 0
; COMPUTE_PGM_RSRC2:TIDIG_COMP_CNT: 0
; COMPUTE_PGM_RSRC3_GFX90A:ACCUM_OFFSET: 26
; COMPUTE_PGM_RSRC3_GFX90A:TG_SPLIT: 0
	.section	.text._ZN7rocprim17ROCPRIM_400000_NS6detail17trampoline_kernelINS0_13select_configILj256ELj13ELNS0_17block_load_methodE3ELS4_3ELS4_3ELNS0_20block_scan_algorithmE0ELj4294967295EEENS1_25partition_config_selectorILNS1_17partition_subalgoE4EjNS0_10empty_typeEbEEZZNS1_14partition_implILS8_4ELb0ES6_15HIP_vector_typeIjLj2EENS0_17counting_iteratorIjlEEPS9_SG_NS0_5tupleIJPjSI_NS0_16reverse_iteratorISI_EEEEENSH_IJSG_SG_SG_EEES9_SI_JZNS1_25segmented_radix_sort_implINS0_14default_configELb0EPK12hip_bfloat16PSP_PKlPlN2at6native12_GLOBAL__N_18offset_tEEE10hipError_tPvRmT1_PNSt15iterator_traitsIS13_E10value_typeET2_T3_PNS14_IS19_E10value_typeET4_jRbjT5_S1F_jjP12ihipStream_tbEUljE_ZNSN_ISO_Lb0ESR_SS_SU_SV_SZ_EES10_S11_S12_S13_S17_S18_S19_S1C_S1D_jS1E_jS1F_S1F_jjS1H_bEUljE0_EEES10_S11_S12_S19_S1D_S1F_T6_T7_T9_mT8_S1H_bDpT10_ENKUlT_T0_E_clISt17integral_constantIbLb0EES1U_IbLb1EEEEDaS1Q_S1R_EUlS1Q_E_NS1_11comp_targetILNS1_3genE3ELNS1_11target_archE908ELNS1_3gpuE7ELNS1_3repE0EEENS1_30default_config_static_selectorELNS0_4arch9wavefront6targetE1EEEvS13_,"axG",@progbits,_ZN7rocprim17ROCPRIM_400000_NS6detail17trampoline_kernelINS0_13select_configILj256ELj13ELNS0_17block_load_methodE3ELS4_3ELS4_3ELNS0_20block_scan_algorithmE0ELj4294967295EEENS1_25partition_config_selectorILNS1_17partition_subalgoE4EjNS0_10empty_typeEbEEZZNS1_14partition_implILS8_4ELb0ES6_15HIP_vector_typeIjLj2EENS0_17counting_iteratorIjlEEPS9_SG_NS0_5tupleIJPjSI_NS0_16reverse_iteratorISI_EEEEENSH_IJSG_SG_SG_EEES9_SI_JZNS1_25segmented_radix_sort_implINS0_14default_configELb0EPK12hip_bfloat16PSP_PKlPlN2at6native12_GLOBAL__N_18offset_tEEE10hipError_tPvRmT1_PNSt15iterator_traitsIS13_E10value_typeET2_T3_PNS14_IS19_E10value_typeET4_jRbjT5_S1F_jjP12ihipStream_tbEUljE_ZNSN_ISO_Lb0ESR_SS_SU_SV_SZ_EES10_S11_S12_S13_S17_S18_S19_S1C_S1D_jS1E_jS1F_S1F_jjS1H_bEUljE0_EEES10_S11_S12_S19_S1D_S1F_T6_T7_T9_mT8_S1H_bDpT10_ENKUlT_T0_E_clISt17integral_constantIbLb0EES1U_IbLb1EEEEDaS1Q_S1R_EUlS1Q_E_NS1_11comp_targetILNS1_3genE3ELNS1_11target_archE908ELNS1_3gpuE7ELNS1_3repE0EEENS1_30default_config_static_selectorELNS0_4arch9wavefront6targetE1EEEvS13_,comdat
	.globl	_ZN7rocprim17ROCPRIM_400000_NS6detail17trampoline_kernelINS0_13select_configILj256ELj13ELNS0_17block_load_methodE3ELS4_3ELS4_3ELNS0_20block_scan_algorithmE0ELj4294967295EEENS1_25partition_config_selectorILNS1_17partition_subalgoE4EjNS0_10empty_typeEbEEZZNS1_14partition_implILS8_4ELb0ES6_15HIP_vector_typeIjLj2EENS0_17counting_iteratorIjlEEPS9_SG_NS0_5tupleIJPjSI_NS0_16reverse_iteratorISI_EEEEENSH_IJSG_SG_SG_EEES9_SI_JZNS1_25segmented_radix_sort_implINS0_14default_configELb0EPK12hip_bfloat16PSP_PKlPlN2at6native12_GLOBAL__N_18offset_tEEE10hipError_tPvRmT1_PNSt15iterator_traitsIS13_E10value_typeET2_T3_PNS14_IS19_E10value_typeET4_jRbjT5_S1F_jjP12ihipStream_tbEUljE_ZNSN_ISO_Lb0ESR_SS_SU_SV_SZ_EES10_S11_S12_S13_S17_S18_S19_S1C_S1D_jS1E_jS1F_S1F_jjS1H_bEUljE0_EEES10_S11_S12_S19_S1D_S1F_T6_T7_T9_mT8_S1H_bDpT10_ENKUlT_T0_E_clISt17integral_constantIbLb0EES1U_IbLb1EEEEDaS1Q_S1R_EUlS1Q_E_NS1_11comp_targetILNS1_3genE3ELNS1_11target_archE908ELNS1_3gpuE7ELNS1_3repE0EEENS1_30default_config_static_selectorELNS0_4arch9wavefront6targetE1EEEvS13_ ; -- Begin function _ZN7rocprim17ROCPRIM_400000_NS6detail17trampoline_kernelINS0_13select_configILj256ELj13ELNS0_17block_load_methodE3ELS4_3ELS4_3ELNS0_20block_scan_algorithmE0ELj4294967295EEENS1_25partition_config_selectorILNS1_17partition_subalgoE4EjNS0_10empty_typeEbEEZZNS1_14partition_implILS8_4ELb0ES6_15HIP_vector_typeIjLj2EENS0_17counting_iteratorIjlEEPS9_SG_NS0_5tupleIJPjSI_NS0_16reverse_iteratorISI_EEEEENSH_IJSG_SG_SG_EEES9_SI_JZNS1_25segmented_radix_sort_implINS0_14default_configELb0EPK12hip_bfloat16PSP_PKlPlN2at6native12_GLOBAL__N_18offset_tEEE10hipError_tPvRmT1_PNSt15iterator_traitsIS13_E10value_typeET2_T3_PNS14_IS19_E10value_typeET4_jRbjT5_S1F_jjP12ihipStream_tbEUljE_ZNSN_ISO_Lb0ESR_SS_SU_SV_SZ_EES10_S11_S12_S13_S17_S18_S19_S1C_S1D_jS1E_jS1F_S1F_jjS1H_bEUljE0_EEES10_S11_S12_S19_S1D_S1F_T6_T7_T9_mT8_S1H_bDpT10_ENKUlT_T0_E_clISt17integral_constantIbLb0EES1U_IbLb1EEEEDaS1Q_S1R_EUlS1Q_E_NS1_11comp_targetILNS1_3genE3ELNS1_11target_archE908ELNS1_3gpuE7ELNS1_3repE0EEENS1_30default_config_static_selectorELNS0_4arch9wavefront6targetE1EEEvS13_
	.p2align	8
	.type	_ZN7rocprim17ROCPRIM_400000_NS6detail17trampoline_kernelINS0_13select_configILj256ELj13ELNS0_17block_load_methodE3ELS4_3ELS4_3ELNS0_20block_scan_algorithmE0ELj4294967295EEENS1_25partition_config_selectorILNS1_17partition_subalgoE4EjNS0_10empty_typeEbEEZZNS1_14partition_implILS8_4ELb0ES6_15HIP_vector_typeIjLj2EENS0_17counting_iteratorIjlEEPS9_SG_NS0_5tupleIJPjSI_NS0_16reverse_iteratorISI_EEEEENSH_IJSG_SG_SG_EEES9_SI_JZNS1_25segmented_radix_sort_implINS0_14default_configELb0EPK12hip_bfloat16PSP_PKlPlN2at6native12_GLOBAL__N_18offset_tEEE10hipError_tPvRmT1_PNSt15iterator_traitsIS13_E10value_typeET2_T3_PNS14_IS19_E10value_typeET4_jRbjT5_S1F_jjP12ihipStream_tbEUljE_ZNSN_ISO_Lb0ESR_SS_SU_SV_SZ_EES10_S11_S12_S13_S17_S18_S19_S1C_S1D_jS1E_jS1F_S1F_jjS1H_bEUljE0_EEES10_S11_S12_S19_S1D_S1F_T6_T7_T9_mT8_S1H_bDpT10_ENKUlT_T0_E_clISt17integral_constantIbLb0EES1U_IbLb1EEEEDaS1Q_S1R_EUlS1Q_E_NS1_11comp_targetILNS1_3genE3ELNS1_11target_archE908ELNS1_3gpuE7ELNS1_3repE0EEENS1_30default_config_static_selectorELNS0_4arch9wavefront6targetE1EEEvS13_,@function
_ZN7rocprim17ROCPRIM_400000_NS6detail17trampoline_kernelINS0_13select_configILj256ELj13ELNS0_17block_load_methodE3ELS4_3ELS4_3ELNS0_20block_scan_algorithmE0ELj4294967295EEENS1_25partition_config_selectorILNS1_17partition_subalgoE4EjNS0_10empty_typeEbEEZZNS1_14partition_implILS8_4ELb0ES6_15HIP_vector_typeIjLj2EENS0_17counting_iteratorIjlEEPS9_SG_NS0_5tupleIJPjSI_NS0_16reverse_iteratorISI_EEEEENSH_IJSG_SG_SG_EEES9_SI_JZNS1_25segmented_radix_sort_implINS0_14default_configELb0EPK12hip_bfloat16PSP_PKlPlN2at6native12_GLOBAL__N_18offset_tEEE10hipError_tPvRmT1_PNSt15iterator_traitsIS13_E10value_typeET2_T3_PNS14_IS19_E10value_typeET4_jRbjT5_S1F_jjP12ihipStream_tbEUljE_ZNSN_ISO_Lb0ESR_SS_SU_SV_SZ_EES10_S11_S12_S13_S17_S18_S19_S1C_S1D_jS1E_jS1F_S1F_jjS1H_bEUljE0_EEES10_S11_S12_S19_S1D_S1F_T6_T7_T9_mT8_S1H_bDpT10_ENKUlT_T0_E_clISt17integral_constantIbLb0EES1U_IbLb1EEEEDaS1Q_S1R_EUlS1Q_E_NS1_11comp_targetILNS1_3genE3ELNS1_11target_archE908ELNS1_3gpuE7ELNS1_3repE0EEENS1_30default_config_static_selectorELNS0_4arch9wavefront6targetE1EEEvS13_: ; @_ZN7rocprim17ROCPRIM_400000_NS6detail17trampoline_kernelINS0_13select_configILj256ELj13ELNS0_17block_load_methodE3ELS4_3ELS4_3ELNS0_20block_scan_algorithmE0ELj4294967295EEENS1_25partition_config_selectorILNS1_17partition_subalgoE4EjNS0_10empty_typeEbEEZZNS1_14partition_implILS8_4ELb0ES6_15HIP_vector_typeIjLj2EENS0_17counting_iteratorIjlEEPS9_SG_NS0_5tupleIJPjSI_NS0_16reverse_iteratorISI_EEEEENSH_IJSG_SG_SG_EEES9_SI_JZNS1_25segmented_radix_sort_implINS0_14default_configELb0EPK12hip_bfloat16PSP_PKlPlN2at6native12_GLOBAL__N_18offset_tEEE10hipError_tPvRmT1_PNSt15iterator_traitsIS13_E10value_typeET2_T3_PNS14_IS19_E10value_typeET4_jRbjT5_S1F_jjP12ihipStream_tbEUljE_ZNSN_ISO_Lb0ESR_SS_SU_SV_SZ_EES10_S11_S12_S13_S17_S18_S19_S1C_S1D_jS1E_jS1F_S1F_jjS1H_bEUljE0_EEES10_S11_S12_S19_S1D_S1F_T6_T7_T9_mT8_S1H_bDpT10_ENKUlT_T0_E_clISt17integral_constantIbLb0EES1U_IbLb1EEEEDaS1Q_S1R_EUlS1Q_E_NS1_11comp_targetILNS1_3genE3ELNS1_11target_archE908ELNS1_3gpuE7ELNS1_3repE0EEENS1_30default_config_static_selectorELNS0_4arch9wavefront6targetE1EEEvS13_
; %bb.0:
	.section	.rodata,"a",@progbits
	.p2align	6, 0x0
	.amdhsa_kernel _ZN7rocprim17ROCPRIM_400000_NS6detail17trampoline_kernelINS0_13select_configILj256ELj13ELNS0_17block_load_methodE3ELS4_3ELS4_3ELNS0_20block_scan_algorithmE0ELj4294967295EEENS1_25partition_config_selectorILNS1_17partition_subalgoE4EjNS0_10empty_typeEbEEZZNS1_14partition_implILS8_4ELb0ES6_15HIP_vector_typeIjLj2EENS0_17counting_iteratorIjlEEPS9_SG_NS0_5tupleIJPjSI_NS0_16reverse_iteratorISI_EEEEENSH_IJSG_SG_SG_EEES9_SI_JZNS1_25segmented_radix_sort_implINS0_14default_configELb0EPK12hip_bfloat16PSP_PKlPlN2at6native12_GLOBAL__N_18offset_tEEE10hipError_tPvRmT1_PNSt15iterator_traitsIS13_E10value_typeET2_T3_PNS14_IS19_E10value_typeET4_jRbjT5_S1F_jjP12ihipStream_tbEUljE_ZNSN_ISO_Lb0ESR_SS_SU_SV_SZ_EES10_S11_S12_S13_S17_S18_S19_S1C_S1D_jS1E_jS1F_S1F_jjS1H_bEUljE0_EEES10_S11_S12_S19_S1D_S1F_T6_T7_T9_mT8_S1H_bDpT10_ENKUlT_T0_E_clISt17integral_constantIbLb0EES1U_IbLb1EEEEDaS1Q_S1R_EUlS1Q_E_NS1_11comp_targetILNS1_3genE3ELNS1_11target_archE908ELNS1_3gpuE7ELNS1_3repE0EEENS1_30default_config_static_selectorELNS0_4arch9wavefront6targetE1EEEvS13_
		.amdhsa_group_segment_fixed_size 0
		.amdhsa_private_segment_fixed_size 0
		.amdhsa_kernarg_size 184
		.amdhsa_user_sgpr_count 6
		.amdhsa_user_sgpr_private_segment_buffer 1
		.amdhsa_user_sgpr_dispatch_ptr 0
		.amdhsa_user_sgpr_queue_ptr 0
		.amdhsa_user_sgpr_kernarg_segment_ptr 1
		.amdhsa_user_sgpr_dispatch_id 0
		.amdhsa_user_sgpr_flat_scratch_init 0
		.amdhsa_user_sgpr_kernarg_preload_length 0
		.amdhsa_user_sgpr_kernarg_preload_offset 0
		.amdhsa_user_sgpr_private_segment_size 0
		.amdhsa_uses_dynamic_stack 0
		.amdhsa_system_sgpr_private_segment_wavefront_offset 0
		.amdhsa_system_sgpr_workgroup_id_x 1
		.amdhsa_system_sgpr_workgroup_id_y 0
		.amdhsa_system_sgpr_workgroup_id_z 0
		.amdhsa_system_sgpr_workgroup_info 0
		.amdhsa_system_vgpr_workitem_id 0
		.amdhsa_next_free_vgpr 1
		.amdhsa_next_free_sgpr 0
		.amdhsa_accum_offset 4
		.amdhsa_reserve_vcc 0
		.amdhsa_reserve_flat_scratch 0
		.amdhsa_float_round_mode_32 0
		.amdhsa_float_round_mode_16_64 0
		.amdhsa_float_denorm_mode_32 3
		.amdhsa_float_denorm_mode_16_64 3
		.amdhsa_dx10_clamp 1
		.amdhsa_ieee_mode 1
		.amdhsa_fp16_overflow 0
		.amdhsa_tg_split 0
		.amdhsa_exception_fp_ieee_invalid_op 0
		.amdhsa_exception_fp_denorm_src 0
		.amdhsa_exception_fp_ieee_div_zero 0
		.amdhsa_exception_fp_ieee_overflow 0
		.amdhsa_exception_fp_ieee_underflow 0
		.amdhsa_exception_fp_ieee_inexact 0
		.amdhsa_exception_int_div_zero 0
	.end_amdhsa_kernel
	.section	.text._ZN7rocprim17ROCPRIM_400000_NS6detail17trampoline_kernelINS0_13select_configILj256ELj13ELNS0_17block_load_methodE3ELS4_3ELS4_3ELNS0_20block_scan_algorithmE0ELj4294967295EEENS1_25partition_config_selectorILNS1_17partition_subalgoE4EjNS0_10empty_typeEbEEZZNS1_14partition_implILS8_4ELb0ES6_15HIP_vector_typeIjLj2EENS0_17counting_iteratorIjlEEPS9_SG_NS0_5tupleIJPjSI_NS0_16reverse_iteratorISI_EEEEENSH_IJSG_SG_SG_EEES9_SI_JZNS1_25segmented_radix_sort_implINS0_14default_configELb0EPK12hip_bfloat16PSP_PKlPlN2at6native12_GLOBAL__N_18offset_tEEE10hipError_tPvRmT1_PNSt15iterator_traitsIS13_E10value_typeET2_T3_PNS14_IS19_E10value_typeET4_jRbjT5_S1F_jjP12ihipStream_tbEUljE_ZNSN_ISO_Lb0ESR_SS_SU_SV_SZ_EES10_S11_S12_S13_S17_S18_S19_S1C_S1D_jS1E_jS1F_S1F_jjS1H_bEUljE0_EEES10_S11_S12_S19_S1D_S1F_T6_T7_T9_mT8_S1H_bDpT10_ENKUlT_T0_E_clISt17integral_constantIbLb0EES1U_IbLb1EEEEDaS1Q_S1R_EUlS1Q_E_NS1_11comp_targetILNS1_3genE3ELNS1_11target_archE908ELNS1_3gpuE7ELNS1_3repE0EEENS1_30default_config_static_selectorELNS0_4arch9wavefront6targetE1EEEvS13_,"axG",@progbits,_ZN7rocprim17ROCPRIM_400000_NS6detail17trampoline_kernelINS0_13select_configILj256ELj13ELNS0_17block_load_methodE3ELS4_3ELS4_3ELNS0_20block_scan_algorithmE0ELj4294967295EEENS1_25partition_config_selectorILNS1_17partition_subalgoE4EjNS0_10empty_typeEbEEZZNS1_14partition_implILS8_4ELb0ES6_15HIP_vector_typeIjLj2EENS0_17counting_iteratorIjlEEPS9_SG_NS0_5tupleIJPjSI_NS0_16reverse_iteratorISI_EEEEENSH_IJSG_SG_SG_EEES9_SI_JZNS1_25segmented_radix_sort_implINS0_14default_configELb0EPK12hip_bfloat16PSP_PKlPlN2at6native12_GLOBAL__N_18offset_tEEE10hipError_tPvRmT1_PNSt15iterator_traitsIS13_E10value_typeET2_T3_PNS14_IS19_E10value_typeET4_jRbjT5_S1F_jjP12ihipStream_tbEUljE_ZNSN_ISO_Lb0ESR_SS_SU_SV_SZ_EES10_S11_S12_S13_S17_S18_S19_S1C_S1D_jS1E_jS1F_S1F_jjS1H_bEUljE0_EEES10_S11_S12_S19_S1D_S1F_T6_T7_T9_mT8_S1H_bDpT10_ENKUlT_T0_E_clISt17integral_constantIbLb0EES1U_IbLb1EEEEDaS1Q_S1R_EUlS1Q_E_NS1_11comp_targetILNS1_3genE3ELNS1_11target_archE908ELNS1_3gpuE7ELNS1_3repE0EEENS1_30default_config_static_selectorELNS0_4arch9wavefront6targetE1EEEvS13_,comdat
.Lfunc_end2010:
	.size	_ZN7rocprim17ROCPRIM_400000_NS6detail17trampoline_kernelINS0_13select_configILj256ELj13ELNS0_17block_load_methodE3ELS4_3ELS4_3ELNS0_20block_scan_algorithmE0ELj4294967295EEENS1_25partition_config_selectorILNS1_17partition_subalgoE4EjNS0_10empty_typeEbEEZZNS1_14partition_implILS8_4ELb0ES6_15HIP_vector_typeIjLj2EENS0_17counting_iteratorIjlEEPS9_SG_NS0_5tupleIJPjSI_NS0_16reverse_iteratorISI_EEEEENSH_IJSG_SG_SG_EEES9_SI_JZNS1_25segmented_radix_sort_implINS0_14default_configELb0EPK12hip_bfloat16PSP_PKlPlN2at6native12_GLOBAL__N_18offset_tEEE10hipError_tPvRmT1_PNSt15iterator_traitsIS13_E10value_typeET2_T3_PNS14_IS19_E10value_typeET4_jRbjT5_S1F_jjP12ihipStream_tbEUljE_ZNSN_ISO_Lb0ESR_SS_SU_SV_SZ_EES10_S11_S12_S13_S17_S18_S19_S1C_S1D_jS1E_jS1F_S1F_jjS1H_bEUljE0_EEES10_S11_S12_S19_S1D_S1F_T6_T7_T9_mT8_S1H_bDpT10_ENKUlT_T0_E_clISt17integral_constantIbLb0EES1U_IbLb1EEEEDaS1Q_S1R_EUlS1Q_E_NS1_11comp_targetILNS1_3genE3ELNS1_11target_archE908ELNS1_3gpuE7ELNS1_3repE0EEENS1_30default_config_static_selectorELNS0_4arch9wavefront6targetE1EEEvS13_, .Lfunc_end2010-_ZN7rocprim17ROCPRIM_400000_NS6detail17trampoline_kernelINS0_13select_configILj256ELj13ELNS0_17block_load_methodE3ELS4_3ELS4_3ELNS0_20block_scan_algorithmE0ELj4294967295EEENS1_25partition_config_selectorILNS1_17partition_subalgoE4EjNS0_10empty_typeEbEEZZNS1_14partition_implILS8_4ELb0ES6_15HIP_vector_typeIjLj2EENS0_17counting_iteratorIjlEEPS9_SG_NS0_5tupleIJPjSI_NS0_16reverse_iteratorISI_EEEEENSH_IJSG_SG_SG_EEES9_SI_JZNS1_25segmented_radix_sort_implINS0_14default_configELb0EPK12hip_bfloat16PSP_PKlPlN2at6native12_GLOBAL__N_18offset_tEEE10hipError_tPvRmT1_PNSt15iterator_traitsIS13_E10value_typeET2_T3_PNS14_IS19_E10value_typeET4_jRbjT5_S1F_jjP12ihipStream_tbEUljE_ZNSN_ISO_Lb0ESR_SS_SU_SV_SZ_EES10_S11_S12_S13_S17_S18_S19_S1C_S1D_jS1E_jS1F_S1F_jjS1H_bEUljE0_EEES10_S11_S12_S19_S1D_S1F_T6_T7_T9_mT8_S1H_bDpT10_ENKUlT_T0_E_clISt17integral_constantIbLb0EES1U_IbLb1EEEEDaS1Q_S1R_EUlS1Q_E_NS1_11comp_targetILNS1_3genE3ELNS1_11target_archE908ELNS1_3gpuE7ELNS1_3repE0EEENS1_30default_config_static_selectorELNS0_4arch9wavefront6targetE1EEEvS13_
                                        ; -- End function
	.section	.AMDGPU.csdata,"",@progbits
; Kernel info:
; codeLenInByte = 0
; NumSgprs: 4
; NumVgprs: 0
; NumAgprs: 0
; TotalNumVgprs: 0
; ScratchSize: 0
; MemoryBound: 0
; FloatMode: 240
; IeeeMode: 1
; LDSByteSize: 0 bytes/workgroup (compile time only)
; SGPRBlocks: 0
; VGPRBlocks: 0
; NumSGPRsForWavesPerEU: 4
; NumVGPRsForWavesPerEU: 1
; AccumOffset: 4
; Occupancy: 8
; WaveLimiterHint : 0
; COMPUTE_PGM_RSRC2:SCRATCH_EN: 0
; COMPUTE_PGM_RSRC2:USER_SGPR: 6
; COMPUTE_PGM_RSRC2:TRAP_HANDLER: 0
; COMPUTE_PGM_RSRC2:TGID_X_EN: 1
; COMPUTE_PGM_RSRC2:TGID_Y_EN: 0
; COMPUTE_PGM_RSRC2:TGID_Z_EN: 0
; COMPUTE_PGM_RSRC2:TIDIG_COMP_CNT: 0
; COMPUTE_PGM_RSRC3_GFX90A:ACCUM_OFFSET: 0
; COMPUTE_PGM_RSRC3_GFX90A:TG_SPLIT: 0
	.section	.text._ZN7rocprim17ROCPRIM_400000_NS6detail17trampoline_kernelINS0_13select_configILj256ELj13ELNS0_17block_load_methodE3ELS4_3ELS4_3ELNS0_20block_scan_algorithmE0ELj4294967295EEENS1_25partition_config_selectorILNS1_17partition_subalgoE4EjNS0_10empty_typeEbEEZZNS1_14partition_implILS8_4ELb0ES6_15HIP_vector_typeIjLj2EENS0_17counting_iteratorIjlEEPS9_SG_NS0_5tupleIJPjSI_NS0_16reverse_iteratorISI_EEEEENSH_IJSG_SG_SG_EEES9_SI_JZNS1_25segmented_radix_sort_implINS0_14default_configELb0EPK12hip_bfloat16PSP_PKlPlN2at6native12_GLOBAL__N_18offset_tEEE10hipError_tPvRmT1_PNSt15iterator_traitsIS13_E10value_typeET2_T3_PNS14_IS19_E10value_typeET4_jRbjT5_S1F_jjP12ihipStream_tbEUljE_ZNSN_ISO_Lb0ESR_SS_SU_SV_SZ_EES10_S11_S12_S13_S17_S18_S19_S1C_S1D_jS1E_jS1F_S1F_jjS1H_bEUljE0_EEES10_S11_S12_S19_S1D_S1F_T6_T7_T9_mT8_S1H_bDpT10_ENKUlT_T0_E_clISt17integral_constantIbLb0EES1U_IbLb1EEEEDaS1Q_S1R_EUlS1Q_E_NS1_11comp_targetILNS1_3genE2ELNS1_11target_archE906ELNS1_3gpuE6ELNS1_3repE0EEENS1_30default_config_static_selectorELNS0_4arch9wavefront6targetE1EEEvS13_,"axG",@progbits,_ZN7rocprim17ROCPRIM_400000_NS6detail17trampoline_kernelINS0_13select_configILj256ELj13ELNS0_17block_load_methodE3ELS4_3ELS4_3ELNS0_20block_scan_algorithmE0ELj4294967295EEENS1_25partition_config_selectorILNS1_17partition_subalgoE4EjNS0_10empty_typeEbEEZZNS1_14partition_implILS8_4ELb0ES6_15HIP_vector_typeIjLj2EENS0_17counting_iteratorIjlEEPS9_SG_NS0_5tupleIJPjSI_NS0_16reverse_iteratorISI_EEEEENSH_IJSG_SG_SG_EEES9_SI_JZNS1_25segmented_radix_sort_implINS0_14default_configELb0EPK12hip_bfloat16PSP_PKlPlN2at6native12_GLOBAL__N_18offset_tEEE10hipError_tPvRmT1_PNSt15iterator_traitsIS13_E10value_typeET2_T3_PNS14_IS19_E10value_typeET4_jRbjT5_S1F_jjP12ihipStream_tbEUljE_ZNSN_ISO_Lb0ESR_SS_SU_SV_SZ_EES10_S11_S12_S13_S17_S18_S19_S1C_S1D_jS1E_jS1F_S1F_jjS1H_bEUljE0_EEES10_S11_S12_S19_S1D_S1F_T6_T7_T9_mT8_S1H_bDpT10_ENKUlT_T0_E_clISt17integral_constantIbLb0EES1U_IbLb1EEEEDaS1Q_S1R_EUlS1Q_E_NS1_11comp_targetILNS1_3genE2ELNS1_11target_archE906ELNS1_3gpuE6ELNS1_3repE0EEENS1_30default_config_static_selectorELNS0_4arch9wavefront6targetE1EEEvS13_,comdat
	.globl	_ZN7rocprim17ROCPRIM_400000_NS6detail17trampoline_kernelINS0_13select_configILj256ELj13ELNS0_17block_load_methodE3ELS4_3ELS4_3ELNS0_20block_scan_algorithmE0ELj4294967295EEENS1_25partition_config_selectorILNS1_17partition_subalgoE4EjNS0_10empty_typeEbEEZZNS1_14partition_implILS8_4ELb0ES6_15HIP_vector_typeIjLj2EENS0_17counting_iteratorIjlEEPS9_SG_NS0_5tupleIJPjSI_NS0_16reverse_iteratorISI_EEEEENSH_IJSG_SG_SG_EEES9_SI_JZNS1_25segmented_radix_sort_implINS0_14default_configELb0EPK12hip_bfloat16PSP_PKlPlN2at6native12_GLOBAL__N_18offset_tEEE10hipError_tPvRmT1_PNSt15iterator_traitsIS13_E10value_typeET2_T3_PNS14_IS19_E10value_typeET4_jRbjT5_S1F_jjP12ihipStream_tbEUljE_ZNSN_ISO_Lb0ESR_SS_SU_SV_SZ_EES10_S11_S12_S13_S17_S18_S19_S1C_S1D_jS1E_jS1F_S1F_jjS1H_bEUljE0_EEES10_S11_S12_S19_S1D_S1F_T6_T7_T9_mT8_S1H_bDpT10_ENKUlT_T0_E_clISt17integral_constantIbLb0EES1U_IbLb1EEEEDaS1Q_S1R_EUlS1Q_E_NS1_11comp_targetILNS1_3genE2ELNS1_11target_archE906ELNS1_3gpuE6ELNS1_3repE0EEENS1_30default_config_static_selectorELNS0_4arch9wavefront6targetE1EEEvS13_ ; -- Begin function _ZN7rocprim17ROCPRIM_400000_NS6detail17trampoline_kernelINS0_13select_configILj256ELj13ELNS0_17block_load_methodE3ELS4_3ELS4_3ELNS0_20block_scan_algorithmE0ELj4294967295EEENS1_25partition_config_selectorILNS1_17partition_subalgoE4EjNS0_10empty_typeEbEEZZNS1_14partition_implILS8_4ELb0ES6_15HIP_vector_typeIjLj2EENS0_17counting_iteratorIjlEEPS9_SG_NS0_5tupleIJPjSI_NS0_16reverse_iteratorISI_EEEEENSH_IJSG_SG_SG_EEES9_SI_JZNS1_25segmented_radix_sort_implINS0_14default_configELb0EPK12hip_bfloat16PSP_PKlPlN2at6native12_GLOBAL__N_18offset_tEEE10hipError_tPvRmT1_PNSt15iterator_traitsIS13_E10value_typeET2_T3_PNS14_IS19_E10value_typeET4_jRbjT5_S1F_jjP12ihipStream_tbEUljE_ZNSN_ISO_Lb0ESR_SS_SU_SV_SZ_EES10_S11_S12_S13_S17_S18_S19_S1C_S1D_jS1E_jS1F_S1F_jjS1H_bEUljE0_EEES10_S11_S12_S19_S1D_S1F_T6_T7_T9_mT8_S1H_bDpT10_ENKUlT_T0_E_clISt17integral_constantIbLb0EES1U_IbLb1EEEEDaS1Q_S1R_EUlS1Q_E_NS1_11comp_targetILNS1_3genE2ELNS1_11target_archE906ELNS1_3gpuE6ELNS1_3repE0EEENS1_30default_config_static_selectorELNS0_4arch9wavefront6targetE1EEEvS13_
	.p2align	8
	.type	_ZN7rocprim17ROCPRIM_400000_NS6detail17trampoline_kernelINS0_13select_configILj256ELj13ELNS0_17block_load_methodE3ELS4_3ELS4_3ELNS0_20block_scan_algorithmE0ELj4294967295EEENS1_25partition_config_selectorILNS1_17partition_subalgoE4EjNS0_10empty_typeEbEEZZNS1_14partition_implILS8_4ELb0ES6_15HIP_vector_typeIjLj2EENS0_17counting_iteratorIjlEEPS9_SG_NS0_5tupleIJPjSI_NS0_16reverse_iteratorISI_EEEEENSH_IJSG_SG_SG_EEES9_SI_JZNS1_25segmented_radix_sort_implINS0_14default_configELb0EPK12hip_bfloat16PSP_PKlPlN2at6native12_GLOBAL__N_18offset_tEEE10hipError_tPvRmT1_PNSt15iterator_traitsIS13_E10value_typeET2_T3_PNS14_IS19_E10value_typeET4_jRbjT5_S1F_jjP12ihipStream_tbEUljE_ZNSN_ISO_Lb0ESR_SS_SU_SV_SZ_EES10_S11_S12_S13_S17_S18_S19_S1C_S1D_jS1E_jS1F_S1F_jjS1H_bEUljE0_EEES10_S11_S12_S19_S1D_S1F_T6_T7_T9_mT8_S1H_bDpT10_ENKUlT_T0_E_clISt17integral_constantIbLb0EES1U_IbLb1EEEEDaS1Q_S1R_EUlS1Q_E_NS1_11comp_targetILNS1_3genE2ELNS1_11target_archE906ELNS1_3gpuE6ELNS1_3repE0EEENS1_30default_config_static_selectorELNS0_4arch9wavefront6targetE1EEEvS13_,@function
_ZN7rocprim17ROCPRIM_400000_NS6detail17trampoline_kernelINS0_13select_configILj256ELj13ELNS0_17block_load_methodE3ELS4_3ELS4_3ELNS0_20block_scan_algorithmE0ELj4294967295EEENS1_25partition_config_selectorILNS1_17partition_subalgoE4EjNS0_10empty_typeEbEEZZNS1_14partition_implILS8_4ELb0ES6_15HIP_vector_typeIjLj2EENS0_17counting_iteratorIjlEEPS9_SG_NS0_5tupleIJPjSI_NS0_16reverse_iteratorISI_EEEEENSH_IJSG_SG_SG_EEES9_SI_JZNS1_25segmented_radix_sort_implINS0_14default_configELb0EPK12hip_bfloat16PSP_PKlPlN2at6native12_GLOBAL__N_18offset_tEEE10hipError_tPvRmT1_PNSt15iterator_traitsIS13_E10value_typeET2_T3_PNS14_IS19_E10value_typeET4_jRbjT5_S1F_jjP12ihipStream_tbEUljE_ZNSN_ISO_Lb0ESR_SS_SU_SV_SZ_EES10_S11_S12_S13_S17_S18_S19_S1C_S1D_jS1E_jS1F_S1F_jjS1H_bEUljE0_EEES10_S11_S12_S19_S1D_S1F_T6_T7_T9_mT8_S1H_bDpT10_ENKUlT_T0_E_clISt17integral_constantIbLb0EES1U_IbLb1EEEEDaS1Q_S1R_EUlS1Q_E_NS1_11comp_targetILNS1_3genE2ELNS1_11target_archE906ELNS1_3gpuE6ELNS1_3repE0EEENS1_30default_config_static_selectorELNS0_4arch9wavefront6targetE1EEEvS13_: ; @_ZN7rocprim17ROCPRIM_400000_NS6detail17trampoline_kernelINS0_13select_configILj256ELj13ELNS0_17block_load_methodE3ELS4_3ELS4_3ELNS0_20block_scan_algorithmE0ELj4294967295EEENS1_25partition_config_selectorILNS1_17partition_subalgoE4EjNS0_10empty_typeEbEEZZNS1_14partition_implILS8_4ELb0ES6_15HIP_vector_typeIjLj2EENS0_17counting_iteratorIjlEEPS9_SG_NS0_5tupleIJPjSI_NS0_16reverse_iteratorISI_EEEEENSH_IJSG_SG_SG_EEES9_SI_JZNS1_25segmented_radix_sort_implINS0_14default_configELb0EPK12hip_bfloat16PSP_PKlPlN2at6native12_GLOBAL__N_18offset_tEEE10hipError_tPvRmT1_PNSt15iterator_traitsIS13_E10value_typeET2_T3_PNS14_IS19_E10value_typeET4_jRbjT5_S1F_jjP12ihipStream_tbEUljE_ZNSN_ISO_Lb0ESR_SS_SU_SV_SZ_EES10_S11_S12_S13_S17_S18_S19_S1C_S1D_jS1E_jS1F_S1F_jjS1H_bEUljE0_EEES10_S11_S12_S19_S1D_S1F_T6_T7_T9_mT8_S1H_bDpT10_ENKUlT_T0_E_clISt17integral_constantIbLb0EES1U_IbLb1EEEEDaS1Q_S1R_EUlS1Q_E_NS1_11comp_targetILNS1_3genE2ELNS1_11target_archE906ELNS1_3gpuE6ELNS1_3repE0EEENS1_30default_config_static_selectorELNS0_4arch9wavefront6targetE1EEEvS13_
; %bb.0:
	.section	.rodata,"a",@progbits
	.p2align	6, 0x0
	.amdhsa_kernel _ZN7rocprim17ROCPRIM_400000_NS6detail17trampoline_kernelINS0_13select_configILj256ELj13ELNS0_17block_load_methodE3ELS4_3ELS4_3ELNS0_20block_scan_algorithmE0ELj4294967295EEENS1_25partition_config_selectorILNS1_17partition_subalgoE4EjNS0_10empty_typeEbEEZZNS1_14partition_implILS8_4ELb0ES6_15HIP_vector_typeIjLj2EENS0_17counting_iteratorIjlEEPS9_SG_NS0_5tupleIJPjSI_NS0_16reverse_iteratorISI_EEEEENSH_IJSG_SG_SG_EEES9_SI_JZNS1_25segmented_radix_sort_implINS0_14default_configELb0EPK12hip_bfloat16PSP_PKlPlN2at6native12_GLOBAL__N_18offset_tEEE10hipError_tPvRmT1_PNSt15iterator_traitsIS13_E10value_typeET2_T3_PNS14_IS19_E10value_typeET4_jRbjT5_S1F_jjP12ihipStream_tbEUljE_ZNSN_ISO_Lb0ESR_SS_SU_SV_SZ_EES10_S11_S12_S13_S17_S18_S19_S1C_S1D_jS1E_jS1F_S1F_jjS1H_bEUljE0_EEES10_S11_S12_S19_S1D_S1F_T6_T7_T9_mT8_S1H_bDpT10_ENKUlT_T0_E_clISt17integral_constantIbLb0EES1U_IbLb1EEEEDaS1Q_S1R_EUlS1Q_E_NS1_11comp_targetILNS1_3genE2ELNS1_11target_archE906ELNS1_3gpuE6ELNS1_3repE0EEENS1_30default_config_static_selectorELNS0_4arch9wavefront6targetE1EEEvS13_
		.amdhsa_group_segment_fixed_size 0
		.amdhsa_private_segment_fixed_size 0
		.amdhsa_kernarg_size 184
		.amdhsa_user_sgpr_count 6
		.amdhsa_user_sgpr_private_segment_buffer 1
		.amdhsa_user_sgpr_dispatch_ptr 0
		.amdhsa_user_sgpr_queue_ptr 0
		.amdhsa_user_sgpr_kernarg_segment_ptr 1
		.amdhsa_user_sgpr_dispatch_id 0
		.amdhsa_user_sgpr_flat_scratch_init 0
		.amdhsa_user_sgpr_kernarg_preload_length 0
		.amdhsa_user_sgpr_kernarg_preload_offset 0
		.amdhsa_user_sgpr_private_segment_size 0
		.amdhsa_uses_dynamic_stack 0
		.amdhsa_system_sgpr_private_segment_wavefront_offset 0
		.amdhsa_system_sgpr_workgroup_id_x 1
		.amdhsa_system_sgpr_workgroup_id_y 0
		.amdhsa_system_sgpr_workgroup_id_z 0
		.amdhsa_system_sgpr_workgroup_info 0
		.amdhsa_system_vgpr_workitem_id 0
		.amdhsa_next_free_vgpr 1
		.amdhsa_next_free_sgpr 0
		.amdhsa_accum_offset 4
		.amdhsa_reserve_vcc 0
		.amdhsa_reserve_flat_scratch 0
		.amdhsa_float_round_mode_32 0
		.amdhsa_float_round_mode_16_64 0
		.amdhsa_float_denorm_mode_32 3
		.amdhsa_float_denorm_mode_16_64 3
		.amdhsa_dx10_clamp 1
		.amdhsa_ieee_mode 1
		.amdhsa_fp16_overflow 0
		.amdhsa_tg_split 0
		.amdhsa_exception_fp_ieee_invalid_op 0
		.amdhsa_exception_fp_denorm_src 0
		.amdhsa_exception_fp_ieee_div_zero 0
		.amdhsa_exception_fp_ieee_overflow 0
		.amdhsa_exception_fp_ieee_underflow 0
		.amdhsa_exception_fp_ieee_inexact 0
		.amdhsa_exception_int_div_zero 0
	.end_amdhsa_kernel
	.section	.text._ZN7rocprim17ROCPRIM_400000_NS6detail17trampoline_kernelINS0_13select_configILj256ELj13ELNS0_17block_load_methodE3ELS4_3ELS4_3ELNS0_20block_scan_algorithmE0ELj4294967295EEENS1_25partition_config_selectorILNS1_17partition_subalgoE4EjNS0_10empty_typeEbEEZZNS1_14partition_implILS8_4ELb0ES6_15HIP_vector_typeIjLj2EENS0_17counting_iteratorIjlEEPS9_SG_NS0_5tupleIJPjSI_NS0_16reverse_iteratorISI_EEEEENSH_IJSG_SG_SG_EEES9_SI_JZNS1_25segmented_radix_sort_implINS0_14default_configELb0EPK12hip_bfloat16PSP_PKlPlN2at6native12_GLOBAL__N_18offset_tEEE10hipError_tPvRmT1_PNSt15iterator_traitsIS13_E10value_typeET2_T3_PNS14_IS19_E10value_typeET4_jRbjT5_S1F_jjP12ihipStream_tbEUljE_ZNSN_ISO_Lb0ESR_SS_SU_SV_SZ_EES10_S11_S12_S13_S17_S18_S19_S1C_S1D_jS1E_jS1F_S1F_jjS1H_bEUljE0_EEES10_S11_S12_S19_S1D_S1F_T6_T7_T9_mT8_S1H_bDpT10_ENKUlT_T0_E_clISt17integral_constantIbLb0EES1U_IbLb1EEEEDaS1Q_S1R_EUlS1Q_E_NS1_11comp_targetILNS1_3genE2ELNS1_11target_archE906ELNS1_3gpuE6ELNS1_3repE0EEENS1_30default_config_static_selectorELNS0_4arch9wavefront6targetE1EEEvS13_,"axG",@progbits,_ZN7rocprim17ROCPRIM_400000_NS6detail17trampoline_kernelINS0_13select_configILj256ELj13ELNS0_17block_load_methodE3ELS4_3ELS4_3ELNS0_20block_scan_algorithmE0ELj4294967295EEENS1_25partition_config_selectorILNS1_17partition_subalgoE4EjNS0_10empty_typeEbEEZZNS1_14partition_implILS8_4ELb0ES6_15HIP_vector_typeIjLj2EENS0_17counting_iteratorIjlEEPS9_SG_NS0_5tupleIJPjSI_NS0_16reverse_iteratorISI_EEEEENSH_IJSG_SG_SG_EEES9_SI_JZNS1_25segmented_radix_sort_implINS0_14default_configELb0EPK12hip_bfloat16PSP_PKlPlN2at6native12_GLOBAL__N_18offset_tEEE10hipError_tPvRmT1_PNSt15iterator_traitsIS13_E10value_typeET2_T3_PNS14_IS19_E10value_typeET4_jRbjT5_S1F_jjP12ihipStream_tbEUljE_ZNSN_ISO_Lb0ESR_SS_SU_SV_SZ_EES10_S11_S12_S13_S17_S18_S19_S1C_S1D_jS1E_jS1F_S1F_jjS1H_bEUljE0_EEES10_S11_S12_S19_S1D_S1F_T6_T7_T9_mT8_S1H_bDpT10_ENKUlT_T0_E_clISt17integral_constantIbLb0EES1U_IbLb1EEEEDaS1Q_S1R_EUlS1Q_E_NS1_11comp_targetILNS1_3genE2ELNS1_11target_archE906ELNS1_3gpuE6ELNS1_3repE0EEENS1_30default_config_static_selectorELNS0_4arch9wavefront6targetE1EEEvS13_,comdat
.Lfunc_end2011:
	.size	_ZN7rocprim17ROCPRIM_400000_NS6detail17trampoline_kernelINS0_13select_configILj256ELj13ELNS0_17block_load_methodE3ELS4_3ELS4_3ELNS0_20block_scan_algorithmE0ELj4294967295EEENS1_25partition_config_selectorILNS1_17partition_subalgoE4EjNS0_10empty_typeEbEEZZNS1_14partition_implILS8_4ELb0ES6_15HIP_vector_typeIjLj2EENS0_17counting_iteratorIjlEEPS9_SG_NS0_5tupleIJPjSI_NS0_16reverse_iteratorISI_EEEEENSH_IJSG_SG_SG_EEES9_SI_JZNS1_25segmented_radix_sort_implINS0_14default_configELb0EPK12hip_bfloat16PSP_PKlPlN2at6native12_GLOBAL__N_18offset_tEEE10hipError_tPvRmT1_PNSt15iterator_traitsIS13_E10value_typeET2_T3_PNS14_IS19_E10value_typeET4_jRbjT5_S1F_jjP12ihipStream_tbEUljE_ZNSN_ISO_Lb0ESR_SS_SU_SV_SZ_EES10_S11_S12_S13_S17_S18_S19_S1C_S1D_jS1E_jS1F_S1F_jjS1H_bEUljE0_EEES10_S11_S12_S19_S1D_S1F_T6_T7_T9_mT8_S1H_bDpT10_ENKUlT_T0_E_clISt17integral_constantIbLb0EES1U_IbLb1EEEEDaS1Q_S1R_EUlS1Q_E_NS1_11comp_targetILNS1_3genE2ELNS1_11target_archE906ELNS1_3gpuE6ELNS1_3repE0EEENS1_30default_config_static_selectorELNS0_4arch9wavefront6targetE1EEEvS13_, .Lfunc_end2011-_ZN7rocprim17ROCPRIM_400000_NS6detail17trampoline_kernelINS0_13select_configILj256ELj13ELNS0_17block_load_methodE3ELS4_3ELS4_3ELNS0_20block_scan_algorithmE0ELj4294967295EEENS1_25partition_config_selectorILNS1_17partition_subalgoE4EjNS0_10empty_typeEbEEZZNS1_14partition_implILS8_4ELb0ES6_15HIP_vector_typeIjLj2EENS0_17counting_iteratorIjlEEPS9_SG_NS0_5tupleIJPjSI_NS0_16reverse_iteratorISI_EEEEENSH_IJSG_SG_SG_EEES9_SI_JZNS1_25segmented_radix_sort_implINS0_14default_configELb0EPK12hip_bfloat16PSP_PKlPlN2at6native12_GLOBAL__N_18offset_tEEE10hipError_tPvRmT1_PNSt15iterator_traitsIS13_E10value_typeET2_T3_PNS14_IS19_E10value_typeET4_jRbjT5_S1F_jjP12ihipStream_tbEUljE_ZNSN_ISO_Lb0ESR_SS_SU_SV_SZ_EES10_S11_S12_S13_S17_S18_S19_S1C_S1D_jS1E_jS1F_S1F_jjS1H_bEUljE0_EEES10_S11_S12_S19_S1D_S1F_T6_T7_T9_mT8_S1H_bDpT10_ENKUlT_T0_E_clISt17integral_constantIbLb0EES1U_IbLb1EEEEDaS1Q_S1R_EUlS1Q_E_NS1_11comp_targetILNS1_3genE2ELNS1_11target_archE906ELNS1_3gpuE6ELNS1_3repE0EEENS1_30default_config_static_selectorELNS0_4arch9wavefront6targetE1EEEvS13_
                                        ; -- End function
	.section	.AMDGPU.csdata,"",@progbits
; Kernel info:
; codeLenInByte = 0
; NumSgprs: 4
; NumVgprs: 0
; NumAgprs: 0
; TotalNumVgprs: 0
; ScratchSize: 0
; MemoryBound: 0
; FloatMode: 240
; IeeeMode: 1
; LDSByteSize: 0 bytes/workgroup (compile time only)
; SGPRBlocks: 0
; VGPRBlocks: 0
; NumSGPRsForWavesPerEU: 4
; NumVGPRsForWavesPerEU: 1
; AccumOffset: 4
; Occupancy: 8
; WaveLimiterHint : 0
; COMPUTE_PGM_RSRC2:SCRATCH_EN: 0
; COMPUTE_PGM_RSRC2:USER_SGPR: 6
; COMPUTE_PGM_RSRC2:TRAP_HANDLER: 0
; COMPUTE_PGM_RSRC2:TGID_X_EN: 1
; COMPUTE_PGM_RSRC2:TGID_Y_EN: 0
; COMPUTE_PGM_RSRC2:TGID_Z_EN: 0
; COMPUTE_PGM_RSRC2:TIDIG_COMP_CNT: 0
; COMPUTE_PGM_RSRC3_GFX90A:ACCUM_OFFSET: 0
; COMPUTE_PGM_RSRC3_GFX90A:TG_SPLIT: 0
	.section	.text._ZN7rocprim17ROCPRIM_400000_NS6detail17trampoline_kernelINS0_13select_configILj256ELj13ELNS0_17block_load_methodE3ELS4_3ELS4_3ELNS0_20block_scan_algorithmE0ELj4294967295EEENS1_25partition_config_selectorILNS1_17partition_subalgoE4EjNS0_10empty_typeEbEEZZNS1_14partition_implILS8_4ELb0ES6_15HIP_vector_typeIjLj2EENS0_17counting_iteratorIjlEEPS9_SG_NS0_5tupleIJPjSI_NS0_16reverse_iteratorISI_EEEEENSH_IJSG_SG_SG_EEES9_SI_JZNS1_25segmented_radix_sort_implINS0_14default_configELb0EPK12hip_bfloat16PSP_PKlPlN2at6native12_GLOBAL__N_18offset_tEEE10hipError_tPvRmT1_PNSt15iterator_traitsIS13_E10value_typeET2_T3_PNS14_IS19_E10value_typeET4_jRbjT5_S1F_jjP12ihipStream_tbEUljE_ZNSN_ISO_Lb0ESR_SS_SU_SV_SZ_EES10_S11_S12_S13_S17_S18_S19_S1C_S1D_jS1E_jS1F_S1F_jjS1H_bEUljE0_EEES10_S11_S12_S19_S1D_S1F_T6_T7_T9_mT8_S1H_bDpT10_ENKUlT_T0_E_clISt17integral_constantIbLb0EES1U_IbLb1EEEEDaS1Q_S1R_EUlS1Q_E_NS1_11comp_targetILNS1_3genE10ELNS1_11target_archE1200ELNS1_3gpuE4ELNS1_3repE0EEENS1_30default_config_static_selectorELNS0_4arch9wavefront6targetE1EEEvS13_,"axG",@progbits,_ZN7rocprim17ROCPRIM_400000_NS6detail17trampoline_kernelINS0_13select_configILj256ELj13ELNS0_17block_load_methodE3ELS4_3ELS4_3ELNS0_20block_scan_algorithmE0ELj4294967295EEENS1_25partition_config_selectorILNS1_17partition_subalgoE4EjNS0_10empty_typeEbEEZZNS1_14partition_implILS8_4ELb0ES6_15HIP_vector_typeIjLj2EENS0_17counting_iteratorIjlEEPS9_SG_NS0_5tupleIJPjSI_NS0_16reverse_iteratorISI_EEEEENSH_IJSG_SG_SG_EEES9_SI_JZNS1_25segmented_radix_sort_implINS0_14default_configELb0EPK12hip_bfloat16PSP_PKlPlN2at6native12_GLOBAL__N_18offset_tEEE10hipError_tPvRmT1_PNSt15iterator_traitsIS13_E10value_typeET2_T3_PNS14_IS19_E10value_typeET4_jRbjT5_S1F_jjP12ihipStream_tbEUljE_ZNSN_ISO_Lb0ESR_SS_SU_SV_SZ_EES10_S11_S12_S13_S17_S18_S19_S1C_S1D_jS1E_jS1F_S1F_jjS1H_bEUljE0_EEES10_S11_S12_S19_S1D_S1F_T6_T7_T9_mT8_S1H_bDpT10_ENKUlT_T0_E_clISt17integral_constantIbLb0EES1U_IbLb1EEEEDaS1Q_S1R_EUlS1Q_E_NS1_11comp_targetILNS1_3genE10ELNS1_11target_archE1200ELNS1_3gpuE4ELNS1_3repE0EEENS1_30default_config_static_selectorELNS0_4arch9wavefront6targetE1EEEvS13_,comdat
	.globl	_ZN7rocprim17ROCPRIM_400000_NS6detail17trampoline_kernelINS0_13select_configILj256ELj13ELNS0_17block_load_methodE3ELS4_3ELS4_3ELNS0_20block_scan_algorithmE0ELj4294967295EEENS1_25partition_config_selectorILNS1_17partition_subalgoE4EjNS0_10empty_typeEbEEZZNS1_14partition_implILS8_4ELb0ES6_15HIP_vector_typeIjLj2EENS0_17counting_iteratorIjlEEPS9_SG_NS0_5tupleIJPjSI_NS0_16reverse_iteratorISI_EEEEENSH_IJSG_SG_SG_EEES9_SI_JZNS1_25segmented_radix_sort_implINS0_14default_configELb0EPK12hip_bfloat16PSP_PKlPlN2at6native12_GLOBAL__N_18offset_tEEE10hipError_tPvRmT1_PNSt15iterator_traitsIS13_E10value_typeET2_T3_PNS14_IS19_E10value_typeET4_jRbjT5_S1F_jjP12ihipStream_tbEUljE_ZNSN_ISO_Lb0ESR_SS_SU_SV_SZ_EES10_S11_S12_S13_S17_S18_S19_S1C_S1D_jS1E_jS1F_S1F_jjS1H_bEUljE0_EEES10_S11_S12_S19_S1D_S1F_T6_T7_T9_mT8_S1H_bDpT10_ENKUlT_T0_E_clISt17integral_constantIbLb0EES1U_IbLb1EEEEDaS1Q_S1R_EUlS1Q_E_NS1_11comp_targetILNS1_3genE10ELNS1_11target_archE1200ELNS1_3gpuE4ELNS1_3repE0EEENS1_30default_config_static_selectorELNS0_4arch9wavefront6targetE1EEEvS13_ ; -- Begin function _ZN7rocprim17ROCPRIM_400000_NS6detail17trampoline_kernelINS0_13select_configILj256ELj13ELNS0_17block_load_methodE3ELS4_3ELS4_3ELNS0_20block_scan_algorithmE0ELj4294967295EEENS1_25partition_config_selectorILNS1_17partition_subalgoE4EjNS0_10empty_typeEbEEZZNS1_14partition_implILS8_4ELb0ES6_15HIP_vector_typeIjLj2EENS0_17counting_iteratorIjlEEPS9_SG_NS0_5tupleIJPjSI_NS0_16reverse_iteratorISI_EEEEENSH_IJSG_SG_SG_EEES9_SI_JZNS1_25segmented_radix_sort_implINS0_14default_configELb0EPK12hip_bfloat16PSP_PKlPlN2at6native12_GLOBAL__N_18offset_tEEE10hipError_tPvRmT1_PNSt15iterator_traitsIS13_E10value_typeET2_T3_PNS14_IS19_E10value_typeET4_jRbjT5_S1F_jjP12ihipStream_tbEUljE_ZNSN_ISO_Lb0ESR_SS_SU_SV_SZ_EES10_S11_S12_S13_S17_S18_S19_S1C_S1D_jS1E_jS1F_S1F_jjS1H_bEUljE0_EEES10_S11_S12_S19_S1D_S1F_T6_T7_T9_mT8_S1H_bDpT10_ENKUlT_T0_E_clISt17integral_constantIbLb0EES1U_IbLb1EEEEDaS1Q_S1R_EUlS1Q_E_NS1_11comp_targetILNS1_3genE10ELNS1_11target_archE1200ELNS1_3gpuE4ELNS1_3repE0EEENS1_30default_config_static_selectorELNS0_4arch9wavefront6targetE1EEEvS13_
	.p2align	8
	.type	_ZN7rocprim17ROCPRIM_400000_NS6detail17trampoline_kernelINS0_13select_configILj256ELj13ELNS0_17block_load_methodE3ELS4_3ELS4_3ELNS0_20block_scan_algorithmE0ELj4294967295EEENS1_25partition_config_selectorILNS1_17partition_subalgoE4EjNS0_10empty_typeEbEEZZNS1_14partition_implILS8_4ELb0ES6_15HIP_vector_typeIjLj2EENS0_17counting_iteratorIjlEEPS9_SG_NS0_5tupleIJPjSI_NS0_16reverse_iteratorISI_EEEEENSH_IJSG_SG_SG_EEES9_SI_JZNS1_25segmented_radix_sort_implINS0_14default_configELb0EPK12hip_bfloat16PSP_PKlPlN2at6native12_GLOBAL__N_18offset_tEEE10hipError_tPvRmT1_PNSt15iterator_traitsIS13_E10value_typeET2_T3_PNS14_IS19_E10value_typeET4_jRbjT5_S1F_jjP12ihipStream_tbEUljE_ZNSN_ISO_Lb0ESR_SS_SU_SV_SZ_EES10_S11_S12_S13_S17_S18_S19_S1C_S1D_jS1E_jS1F_S1F_jjS1H_bEUljE0_EEES10_S11_S12_S19_S1D_S1F_T6_T7_T9_mT8_S1H_bDpT10_ENKUlT_T0_E_clISt17integral_constantIbLb0EES1U_IbLb1EEEEDaS1Q_S1R_EUlS1Q_E_NS1_11comp_targetILNS1_3genE10ELNS1_11target_archE1200ELNS1_3gpuE4ELNS1_3repE0EEENS1_30default_config_static_selectorELNS0_4arch9wavefront6targetE1EEEvS13_,@function
_ZN7rocprim17ROCPRIM_400000_NS6detail17trampoline_kernelINS0_13select_configILj256ELj13ELNS0_17block_load_methodE3ELS4_3ELS4_3ELNS0_20block_scan_algorithmE0ELj4294967295EEENS1_25partition_config_selectorILNS1_17partition_subalgoE4EjNS0_10empty_typeEbEEZZNS1_14partition_implILS8_4ELb0ES6_15HIP_vector_typeIjLj2EENS0_17counting_iteratorIjlEEPS9_SG_NS0_5tupleIJPjSI_NS0_16reverse_iteratorISI_EEEEENSH_IJSG_SG_SG_EEES9_SI_JZNS1_25segmented_radix_sort_implINS0_14default_configELb0EPK12hip_bfloat16PSP_PKlPlN2at6native12_GLOBAL__N_18offset_tEEE10hipError_tPvRmT1_PNSt15iterator_traitsIS13_E10value_typeET2_T3_PNS14_IS19_E10value_typeET4_jRbjT5_S1F_jjP12ihipStream_tbEUljE_ZNSN_ISO_Lb0ESR_SS_SU_SV_SZ_EES10_S11_S12_S13_S17_S18_S19_S1C_S1D_jS1E_jS1F_S1F_jjS1H_bEUljE0_EEES10_S11_S12_S19_S1D_S1F_T6_T7_T9_mT8_S1H_bDpT10_ENKUlT_T0_E_clISt17integral_constantIbLb0EES1U_IbLb1EEEEDaS1Q_S1R_EUlS1Q_E_NS1_11comp_targetILNS1_3genE10ELNS1_11target_archE1200ELNS1_3gpuE4ELNS1_3repE0EEENS1_30default_config_static_selectorELNS0_4arch9wavefront6targetE1EEEvS13_: ; @_ZN7rocprim17ROCPRIM_400000_NS6detail17trampoline_kernelINS0_13select_configILj256ELj13ELNS0_17block_load_methodE3ELS4_3ELS4_3ELNS0_20block_scan_algorithmE0ELj4294967295EEENS1_25partition_config_selectorILNS1_17partition_subalgoE4EjNS0_10empty_typeEbEEZZNS1_14partition_implILS8_4ELb0ES6_15HIP_vector_typeIjLj2EENS0_17counting_iteratorIjlEEPS9_SG_NS0_5tupleIJPjSI_NS0_16reverse_iteratorISI_EEEEENSH_IJSG_SG_SG_EEES9_SI_JZNS1_25segmented_radix_sort_implINS0_14default_configELb0EPK12hip_bfloat16PSP_PKlPlN2at6native12_GLOBAL__N_18offset_tEEE10hipError_tPvRmT1_PNSt15iterator_traitsIS13_E10value_typeET2_T3_PNS14_IS19_E10value_typeET4_jRbjT5_S1F_jjP12ihipStream_tbEUljE_ZNSN_ISO_Lb0ESR_SS_SU_SV_SZ_EES10_S11_S12_S13_S17_S18_S19_S1C_S1D_jS1E_jS1F_S1F_jjS1H_bEUljE0_EEES10_S11_S12_S19_S1D_S1F_T6_T7_T9_mT8_S1H_bDpT10_ENKUlT_T0_E_clISt17integral_constantIbLb0EES1U_IbLb1EEEEDaS1Q_S1R_EUlS1Q_E_NS1_11comp_targetILNS1_3genE10ELNS1_11target_archE1200ELNS1_3gpuE4ELNS1_3repE0EEENS1_30default_config_static_selectorELNS0_4arch9wavefront6targetE1EEEvS13_
; %bb.0:
	.section	.rodata,"a",@progbits
	.p2align	6, 0x0
	.amdhsa_kernel _ZN7rocprim17ROCPRIM_400000_NS6detail17trampoline_kernelINS0_13select_configILj256ELj13ELNS0_17block_load_methodE3ELS4_3ELS4_3ELNS0_20block_scan_algorithmE0ELj4294967295EEENS1_25partition_config_selectorILNS1_17partition_subalgoE4EjNS0_10empty_typeEbEEZZNS1_14partition_implILS8_4ELb0ES6_15HIP_vector_typeIjLj2EENS0_17counting_iteratorIjlEEPS9_SG_NS0_5tupleIJPjSI_NS0_16reverse_iteratorISI_EEEEENSH_IJSG_SG_SG_EEES9_SI_JZNS1_25segmented_radix_sort_implINS0_14default_configELb0EPK12hip_bfloat16PSP_PKlPlN2at6native12_GLOBAL__N_18offset_tEEE10hipError_tPvRmT1_PNSt15iterator_traitsIS13_E10value_typeET2_T3_PNS14_IS19_E10value_typeET4_jRbjT5_S1F_jjP12ihipStream_tbEUljE_ZNSN_ISO_Lb0ESR_SS_SU_SV_SZ_EES10_S11_S12_S13_S17_S18_S19_S1C_S1D_jS1E_jS1F_S1F_jjS1H_bEUljE0_EEES10_S11_S12_S19_S1D_S1F_T6_T7_T9_mT8_S1H_bDpT10_ENKUlT_T0_E_clISt17integral_constantIbLb0EES1U_IbLb1EEEEDaS1Q_S1R_EUlS1Q_E_NS1_11comp_targetILNS1_3genE10ELNS1_11target_archE1200ELNS1_3gpuE4ELNS1_3repE0EEENS1_30default_config_static_selectorELNS0_4arch9wavefront6targetE1EEEvS13_
		.amdhsa_group_segment_fixed_size 0
		.amdhsa_private_segment_fixed_size 0
		.amdhsa_kernarg_size 184
		.amdhsa_user_sgpr_count 6
		.amdhsa_user_sgpr_private_segment_buffer 1
		.amdhsa_user_sgpr_dispatch_ptr 0
		.amdhsa_user_sgpr_queue_ptr 0
		.amdhsa_user_sgpr_kernarg_segment_ptr 1
		.amdhsa_user_sgpr_dispatch_id 0
		.amdhsa_user_sgpr_flat_scratch_init 0
		.amdhsa_user_sgpr_kernarg_preload_length 0
		.amdhsa_user_sgpr_kernarg_preload_offset 0
		.amdhsa_user_sgpr_private_segment_size 0
		.amdhsa_uses_dynamic_stack 0
		.amdhsa_system_sgpr_private_segment_wavefront_offset 0
		.amdhsa_system_sgpr_workgroup_id_x 1
		.amdhsa_system_sgpr_workgroup_id_y 0
		.amdhsa_system_sgpr_workgroup_id_z 0
		.amdhsa_system_sgpr_workgroup_info 0
		.amdhsa_system_vgpr_workitem_id 0
		.amdhsa_next_free_vgpr 1
		.amdhsa_next_free_sgpr 0
		.amdhsa_accum_offset 4
		.amdhsa_reserve_vcc 0
		.amdhsa_reserve_flat_scratch 0
		.amdhsa_float_round_mode_32 0
		.amdhsa_float_round_mode_16_64 0
		.amdhsa_float_denorm_mode_32 3
		.amdhsa_float_denorm_mode_16_64 3
		.amdhsa_dx10_clamp 1
		.amdhsa_ieee_mode 1
		.amdhsa_fp16_overflow 0
		.amdhsa_tg_split 0
		.amdhsa_exception_fp_ieee_invalid_op 0
		.amdhsa_exception_fp_denorm_src 0
		.amdhsa_exception_fp_ieee_div_zero 0
		.amdhsa_exception_fp_ieee_overflow 0
		.amdhsa_exception_fp_ieee_underflow 0
		.amdhsa_exception_fp_ieee_inexact 0
		.amdhsa_exception_int_div_zero 0
	.end_amdhsa_kernel
	.section	.text._ZN7rocprim17ROCPRIM_400000_NS6detail17trampoline_kernelINS0_13select_configILj256ELj13ELNS0_17block_load_methodE3ELS4_3ELS4_3ELNS0_20block_scan_algorithmE0ELj4294967295EEENS1_25partition_config_selectorILNS1_17partition_subalgoE4EjNS0_10empty_typeEbEEZZNS1_14partition_implILS8_4ELb0ES6_15HIP_vector_typeIjLj2EENS0_17counting_iteratorIjlEEPS9_SG_NS0_5tupleIJPjSI_NS0_16reverse_iteratorISI_EEEEENSH_IJSG_SG_SG_EEES9_SI_JZNS1_25segmented_radix_sort_implINS0_14default_configELb0EPK12hip_bfloat16PSP_PKlPlN2at6native12_GLOBAL__N_18offset_tEEE10hipError_tPvRmT1_PNSt15iterator_traitsIS13_E10value_typeET2_T3_PNS14_IS19_E10value_typeET4_jRbjT5_S1F_jjP12ihipStream_tbEUljE_ZNSN_ISO_Lb0ESR_SS_SU_SV_SZ_EES10_S11_S12_S13_S17_S18_S19_S1C_S1D_jS1E_jS1F_S1F_jjS1H_bEUljE0_EEES10_S11_S12_S19_S1D_S1F_T6_T7_T9_mT8_S1H_bDpT10_ENKUlT_T0_E_clISt17integral_constantIbLb0EES1U_IbLb1EEEEDaS1Q_S1R_EUlS1Q_E_NS1_11comp_targetILNS1_3genE10ELNS1_11target_archE1200ELNS1_3gpuE4ELNS1_3repE0EEENS1_30default_config_static_selectorELNS0_4arch9wavefront6targetE1EEEvS13_,"axG",@progbits,_ZN7rocprim17ROCPRIM_400000_NS6detail17trampoline_kernelINS0_13select_configILj256ELj13ELNS0_17block_load_methodE3ELS4_3ELS4_3ELNS0_20block_scan_algorithmE0ELj4294967295EEENS1_25partition_config_selectorILNS1_17partition_subalgoE4EjNS0_10empty_typeEbEEZZNS1_14partition_implILS8_4ELb0ES6_15HIP_vector_typeIjLj2EENS0_17counting_iteratorIjlEEPS9_SG_NS0_5tupleIJPjSI_NS0_16reverse_iteratorISI_EEEEENSH_IJSG_SG_SG_EEES9_SI_JZNS1_25segmented_radix_sort_implINS0_14default_configELb0EPK12hip_bfloat16PSP_PKlPlN2at6native12_GLOBAL__N_18offset_tEEE10hipError_tPvRmT1_PNSt15iterator_traitsIS13_E10value_typeET2_T3_PNS14_IS19_E10value_typeET4_jRbjT5_S1F_jjP12ihipStream_tbEUljE_ZNSN_ISO_Lb0ESR_SS_SU_SV_SZ_EES10_S11_S12_S13_S17_S18_S19_S1C_S1D_jS1E_jS1F_S1F_jjS1H_bEUljE0_EEES10_S11_S12_S19_S1D_S1F_T6_T7_T9_mT8_S1H_bDpT10_ENKUlT_T0_E_clISt17integral_constantIbLb0EES1U_IbLb1EEEEDaS1Q_S1R_EUlS1Q_E_NS1_11comp_targetILNS1_3genE10ELNS1_11target_archE1200ELNS1_3gpuE4ELNS1_3repE0EEENS1_30default_config_static_selectorELNS0_4arch9wavefront6targetE1EEEvS13_,comdat
.Lfunc_end2012:
	.size	_ZN7rocprim17ROCPRIM_400000_NS6detail17trampoline_kernelINS0_13select_configILj256ELj13ELNS0_17block_load_methodE3ELS4_3ELS4_3ELNS0_20block_scan_algorithmE0ELj4294967295EEENS1_25partition_config_selectorILNS1_17partition_subalgoE4EjNS0_10empty_typeEbEEZZNS1_14partition_implILS8_4ELb0ES6_15HIP_vector_typeIjLj2EENS0_17counting_iteratorIjlEEPS9_SG_NS0_5tupleIJPjSI_NS0_16reverse_iteratorISI_EEEEENSH_IJSG_SG_SG_EEES9_SI_JZNS1_25segmented_radix_sort_implINS0_14default_configELb0EPK12hip_bfloat16PSP_PKlPlN2at6native12_GLOBAL__N_18offset_tEEE10hipError_tPvRmT1_PNSt15iterator_traitsIS13_E10value_typeET2_T3_PNS14_IS19_E10value_typeET4_jRbjT5_S1F_jjP12ihipStream_tbEUljE_ZNSN_ISO_Lb0ESR_SS_SU_SV_SZ_EES10_S11_S12_S13_S17_S18_S19_S1C_S1D_jS1E_jS1F_S1F_jjS1H_bEUljE0_EEES10_S11_S12_S19_S1D_S1F_T6_T7_T9_mT8_S1H_bDpT10_ENKUlT_T0_E_clISt17integral_constantIbLb0EES1U_IbLb1EEEEDaS1Q_S1R_EUlS1Q_E_NS1_11comp_targetILNS1_3genE10ELNS1_11target_archE1200ELNS1_3gpuE4ELNS1_3repE0EEENS1_30default_config_static_selectorELNS0_4arch9wavefront6targetE1EEEvS13_, .Lfunc_end2012-_ZN7rocprim17ROCPRIM_400000_NS6detail17trampoline_kernelINS0_13select_configILj256ELj13ELNS0_17block_load_methodE3ELS4_3ELS4_3ELNS0_20block_scan_algorithmE0ELj4294967295EEENS1_25partition_config_selectorILNS1_17partition_subalgoE4EjNS0_10empty_typeEbEEZZNS1_14partition_implILS8_4ELb0ES6_15HIP_vector_typeIjLj2EENS0_17counting_iteratorIjlEEPS9_SG_NS0_5tupleIJPjSI_NS0_16reverse_iteratorISI_EEEEENSH_IJSG_SG_SG_EEES9_SI_JZNS1_25segmented_radix_sort_implINS0_14default_configELb0EPK12hip_bfloat16PSP_PKlPlN2at6native12_GLOBAL__N_18offset_tEEE10hipError_tPvRmT1_PNSt15iterator_traitsIS13_E10value_typeET2_T3_PNS14_IS19_E10value_typeET4_jRbjT5_S1F_jjP12ihipStream_tbEUljE_ZNSN_ISO_Lb0ESR_SS_SU_SV_SZ_EES10_S11_S12_S13_S17_S18_S19_S1C_S1D_jS1E_jS1F_S1F_jjS1H_bEUljE0_EEES10_S11_S12_S19_S1D_S1F_T6_T7_T9_mT8_S1H_bDpT10_ENKUlT_T0_E_clISt17integral_constantIbLb0EES1U_IbLb1EEEEDaS1Q_S1R_EUlS1Q_E_NS1_11comp_targetILNS1_3genE10ELNS1_11target_archE1200ELNS1_3gpuE4ELNS1_3repE0EEENS1_30default_config_static_selectorELNS0_4arch9wavefront6targetE1EEEvS13_
                                        ; -- End function
	.section	.AMDGPU.csdata,"",@progbits
; Kernel info:
; codeLenInByte = 0
; NumSgprs: 4
; NumVgprs: 0
; NumAgprs: 0
; TotalNumVgprs: 0
; ScratchSize: 0
; MemoryBound: 0
; FloatMode: 240
; IeeeMode: 1
; LDSByteSize: 0 bytes/workgroup (compile time only)
; SGPRBlocks: 0
; VGPRBlocks: 0
; NumSGPRsForWavesPerEU: 4
; NumVGPRsForWavesPerEU: 1
; AccumOffset: 4
; Occupancy: 8
; WaveLimiterHint : 0
; COMPUTE_PGM_RSRC2:SCRATCH_EN: 0
; COMPUTE_PGM_RSRC2:USER_SGPR: 6
; COMPUTE_PGM_RSRC2:TRAP_HANDLER: 0
; COMPUTE_PGM_RSRC2:TGID_X_EN: 1
; COMPUTE_PGM_RSRC2:TGID_Y_EN: 0
; COMPUTE_PGM_RSRC2:TGID_Z_EN: 0
; COMPUTE_PGM_RSRC2:TIDIG_COMP_CNT: 0
; COMPUTE_PGM_RSRC3_GFX90A:ACCUM_OFFSET: 0
; COMPUTE_PGM_RSRC3_GFX90A:TG_SPLIT: 0
	.section	.text._ZN7rocprim17ROCPRIM_400000_NS6detail17trampoline_kernelINS0_13select_configILj256ELj13ELNS0_17block_load_methodE3ELS4_3ELS4_3ELNS0_20block_scan_algorithmE0ELj4294967295EEENS1_25partition_config_selectorILNS1_17partition_subalgoE4EjNS0_10empty_typeEbEEZZNS1_14partition_implILS8_4ELb0ES6_15HIP_vector_typeIjLj2EENS0_17counting_iteratorIjlEEPS9_SG_NS0_5tupleIJPjSI_NS0_16reverse_iteratorISI_EEEEENSH_IJSG_SG_SG_EEES9_SI_JZNS1_25segmented_radix_sort_implINS0_14default_configELb0EPK12hip_bfloat16PSP_PKlPlN2at6native12_GLOBAL__N_18offset_tEEE10hipError_tPvRmT1_PNSt15iterator_traitsIS13_E10value_typeET2_T3_PNS14_IS19_E10value_typeET4_jRbjT5_S1F_jjP12ihipStream_tbEUljE_ZNSN_ISO_Lb0ESR_SS_SU_SV_SZ_EES10_S11_S12_S13_S17_S18_S19_S1C_S1D_jS1E_jS1F_S1F_jjS1H_bEUljE0_EEES10_S11_S12_S19_S1D_S1F_T6_T7_T9_mT8_S1H_bDpT10_ENKUlT_T0_E_clISt17integral_constantIbLb0EES1U_IbLb1EEEEDaS1Q_S1R_EUlS1Q_E_NS1_11comp_targetILNS1_3genE9ELNS1_11target_archE1100ELNS1_3gpuE3ELNS1_3repE0EEENS1_30default_config_static_selectorELNS0_4arch9wavefront6targetE1EEEvS13_,"axG",@progbits,_ZN7rocprim17ROCPRIM_400000_NS6detail17trampoline_kernelINS0_13select_configILj256ELj13ELNS0_17block_load_methodE3ELS4_3ELS4_3ELNS0_20block_scan_algorithmE0ELj4294967295EEENS1_25partition_config_selectorILNS1_17partition_subalgoE4EjNS0_10empty_typeEbEEZZNS1_14partition_implILS8_4ELb0ES6_15HIP_vector_typeIjLj2EENS0_17counting_iteratorIjlEEPS9_SG_NS0_5tupleIJPjSI_NS0_16reverse_iteratorISI_EEEEENSH_IJSG_SG_SG_EEES9_SI_JZNS1_25segmented_radix_sort_implINS0_14default_configELb0EPK12hip_bfloat16PSP_PKlPlN2at6native12_GLOBAL__N_18offset_tEEE10hipError_tPvRmT1_PNSt15iterator_traitsIS13_E10value_typeET2_T3_PNS14_IS19_E10value_typeET4_jRbjT5_S1F_jjP12ihipStream_tbEUljE_ZNSN_ISO_Lb0ESR_SS_SU_SV_SZ_EES10_S11_S12_S13_S17_S18_S19_S1C_S1D_jS1E_jS1F_S1F_jjS1H_bEUljE0_EEES10_S11_S12_S19_S1D_S1F_T6_T7_T9_mT8_S1H_bDpT10_ENKUlT_T0_E_clISt17integral_constantIbLb0EES1U_IbLb1EEEEDaS1Q_S1R_EUlS1Q_E_NS1_11comp_targetILNS1_3genE9ELNS1_11target_archE1100ELNS1_3gpuE3ELNS1_3repE0EEENS1_30default_config_static_selectorELNS0_4arch9wavefront6targetE1EEEvS13_,comdat
	.globl	_ZN7rocprim17ROCPRIM_400000_NS6detail17trampoline_kernelINS0_13select_configILj256ELj13ELNS0_17block_load_methodE3ELS4_3ELS4_3ELNS0_20block_scan_algorithmE0ELj4294967295EEENS1_25partition_config_selectorILNS1_17partition_subalgoE4EjNS0_10empty_typeEbEEZZNS1_14partition_implILS8_4ELb0ES6_15HIP_vector_typeIjLj2EENS0_17counting_iteratorIjlEEPS9_SG_NS0_5tupleIJPjSI_NS0_16reverse_iteratorISI_EEEEENSH_IJSG_SG_SG_EEES9_SI_JZNS1_25segmented_radix_sort_implINS0_14default_configELb0EPK12hip_bfloat16PSP_PKlPlN2at6native12_GLOBAL__N_18offset_tEEE10hipError_tPvRmT1_PNSt15iterator_traitsIS13_E10value_typeET2_T3_PNS14_IS19_E10value_typeET4_jRbjT5_S1F_jjP12ihipStream_tbEUljE_ZNSN_ISO_Lb0ESR_SS_SU_SV_SZ_EES10_S11_S12_S13_S17_S18_S19_S1C_S1D_jS1E_jS1F_S1F_jjS1H_bEUljE0_EEES10_S11_S12_S19_S1D_S1F_T6_T7_T9_mT8_S1H_bDpT10_ENKUlT_T0_E_clISt17integral_constantIbLb0EES1U_IbLb1EEEEDaS1Q_S1R_EUlS1Q_E_NS1_11comp_targetILNS1_3genE9ELNS1_11target_archE1100ELNS1_3gpuE3ELNS1_3repE0EEENS1_30default_config_static_selectorELNS0_4arch9wavefront6targetE1EEEvS13_ ; -- Begin function _ZN7rocprim17ROCPRIM_400000_NS6detail17trampoline_kernelINS0_13select_configILj256ELj13ELNS0_17block_load_methodE3ELS4_3ELS4_3ELNS0_20block_scan_algorithmE0ELj4294967295EEENS1_25partition_config_selectorILNS1_17partition_subalgoE4EjNS0_10empty_typeEbEEZZNS1_14partition_implILS8_4ELb0ES6_15HIP_vector_typeIjLj2EENS0_17counting_iteratorIjlEEPS9_SG_NS0_5tupleIJPjSI_NS0_16reverse_iteratorISI_EEEEENSH_IJSG_SG_SG_EEES9_SI_JZNS1_25segmented_radix_sort_implINS0_14default_configELb0EPK12hip_bfloat16PSP_PKlPlN2at6native12_GLOBAL__N_18offset_tEEE10hipError_tPvRmT1_PNSt15iterator_traitsIS13_E10value_typeET2_T3_PNS14_IS19_E10value_typeET4_jRbjT5_S1F_jjP12ihipStream_tbEUljE_ZNSN_ISO_Lb0ESR_SS_SU_SV_SZ_EES10_S11_S12_S13_S17_S18_S19_S1C_S1D_jS1E_jS1F_S1F_jjS1H_bEUljE0_EEES10_S11_S12_S19_S1D_S1F_T6_T7_T9_mT8_S1H_bDpT10_ENKUlT_T0_E_clISt17integral_constantIbLb0EES1U_IbLb1EEEEDaS1Q_S1R_EUlS1Q_E_NS1_11comp_targetILNS1_3genE9ELNS1_11target_archE1100ELNS1_3gpuE3ELNS1_3repE0EEENS1_30default_config_static_selectorELNS0_4arch9wavefront6targetE1EEEvS13_
	.p2align	8
	.type	_ZN7rocprim17ROCPRIM_400000_NS6detail17trampoline_kernelINS0_13select_configILj256ELj13ELNS0_17block_load_methodE3ELS4_3ELS4_3ELNS0_20block_scan_algorithmE0ELj4294967295EEENS1_25partition_config_selectorILNS1_17partition_subalgoE4EjNS0_10empty_typeEbEEZZNS1_14partition_implILS8_4ELb0ES6_15HIP_vector_typeIjLj2EENS0_17counting_iteratorIjlEEPS9_SG_NS0_5tupleIJPjSI_NS0_16reverse_iteratorISI_EEEEENSH_IJSG_SG_SG_EEES9_SI_JZNS1_25segmented_radix_sort_implINS0_14default_configELb0EPK12hip_bfloat16PSP_PKlPlN2at6native12_GLOBAL__N_18offset_tEEE10hipError_tPvRmT1_PNSt15iterator_traitsIS13_E10value_typeET2_T3_PNS14_IS19_E10value_typeET4_jRbjT5_S1F_jjP12ihipStream_tbEUljE_ZNSN_ISO_Lb0ESR_SS_SU_SV_SZ_EES10_S11_S12_S13_S17_S18_S19_S1C_S1D_jS1E_jS1F_S1F_jjS1H_bEUljE0_EEES10_S11_S12_S19_S1D_S1F_T6_T7_T9_mT8_S1H_bDpT10_ENKUlT_T0_E_clISt17integral_constantIbLb0EES1U_IbLb1EEEEDaS1Q_S1R_EUlS1Q_E_NS1_11comp_targetILNS1_3genE9ELNS1_11target_archE1100ELNS1_3gpuE3ELNS1_3repE0EEENS1_30default_config_static_selectorELNS0_4arch9wavefront6targetE1EEEvS13_,@function
_ZN7rocprim17ROCPRIM_400000_NS6detail17trampoline_kernelINS0_13select_configILj256ELj13ELNS0_17block_load_methodE3ELS4_3ELS4_3ELNS0_20block_scan_algorithmE0ELj4294967295EEENS1_25partition_config_selectorILNS1_17partition_subalgoE4EjNS0_10empty_typeEbEEZZNS1_14partition_implILS8_4ELb0ES6_15HIP_vector_typeIjLj2EENS0_17counting_iteratorIjlEEPS9_SG_NS0_5tupleIJPjSI_NS0_16reverse_iteratorISI_EEEEENSH_IJSG_SG_SG_EEES9_SI_JZNS1_25segmented_radix_sort_implINS0_14default_configELb0EPK12hip_bfloat16PSP_PKlPlN2at6native12_GLOBAL__N_18offset_tEEE10hipError_tPvRmT1_PNSt15iterator_traitsIS13_E10value_typeET2_T3_PNS14_IS19_E10value_typeET4_jRbjT5_S1F_jjP12ihipStream_tbEUljE_ZNSN_ISO_Lb0ESR_SS_SU_SV_SZ_EES10_S11_S12_S13_S17_S18_S19_S1C_S1D_jS1E_jS1F_S1F_jjS1H_bEUljE0_EEES10_S11_S12_S19_S1D_S1F_T6_T7_T9_mT8_S1H_bDpT10_ENKUlT_T0_E_clISt17integral_constantIbLb0EES1U_IbLb1EEEEDaS1Q_S1R_EUlS1Q_E_NS1_11comp_targetILNS1_3genE9ELNS1_11target_archE1100ELNS1_3gpuE3ELNS1_3repE0EEENS1_30default_config_static_selectorELNS0_4arch9wavefront6targetE1EEEvS13_: ; @_ZN7rocprim17ROCPRIM_400000_NS6detail17trampoline_kernelINS0_13select_configILj256ELj13ELNS0_17block_load_methodE3ELS4_3ELS4_3ELNS0_20block_scan_algorithmE0ELj4294967295EEENS1_25partition_config_selectorILNS1_17partition_subalgoE4EjNS0_10empty_typeEbEEZZNS1_14partition_implILS8_4ELb0ES6_15HIP_vector_typeIjLj2EENS0_17counting_iteratorIjlEEPS9_SG_NS0_5tupleIJPjSI_NS0_16reverse_iteratorISI_EEEEENSH_IJSG_SG_SG_EEES9_SI_JZNS1_25segmented_radix_sort_implINS0_14default_configELb0EPK12hip_bfloat16PSP_PKlPlN2at6native12_GLOBAL__N_18offset_tEEE10hipError_tPvRmT1_PNSt15iterator_traitsIS13_E10value_typeET2_T3_PNS14_IS19_E10value_typeET4_jRbjT5_S1F_jjP12ihipStream_tbEUljE_ZNSN_ISO_Lb0ESR_SS_SU_SV_SZ_EES10_S11_S12_S13_S17_S18_S19_S1C_S1D_jS1E_jS1F_S1F_jjS1H_bEUljE0_EEES10_S11_S12_S19_S1D_S1F_T6_T7_T9_mT8_S1H_bDpT10_ENKUlT_T0_E_clISt17integral_constantIbLb0EES1U_IbLb1EEEEDaS1Q_S1R_EUlS1Q_E_NS1_11comp_targetILNS1_3genE9ELNS1_11target_archE1100ELNS1_3gpuE3ELNS1_3repE0EEENS1_30default_config_static_selectorELNS0_4arch9wavefront6targetE1EEEvS13_
; %bb.0:
	.section	.rodata,"a",@progbits
	.p2align	6, 0x0
	.amdhsa_kernel _ZN7rocprim17ROCPRIM_400000_NS6detail17trampoline_kernelINS0_13select_configILj256ELj13ELNS0_17block_load_methodE3ELS4_3ELS4_3ELNS0_20block_scan_algorithmE0ELj4294967295EEENS1_25partition_config_selectorILNS1_17partition_subalgoE4EjNS0_10empty_typeEbEEZZNS1_14partition_implILS8_4ELb0ES6_15HIP_vector_typeIjLj2EENS0_17counting_iteratorIjlEEPS9_SG_NS0_5tupleIJPjSI_NS0_16reverse_iteratorISI_EEEEENSH_IJSG_SG_SG_EEES9_SI_JZNS1_25segmented_radix_sort_implINS0_14default_configELb0EPK12hip_bfloat16PSP_PKlPlN2at6native12_GLOBAL__N_18offset_tEEE10hipError_tPvRmT1_PNSt15iterator_traitsIS13_E10value_typeET2_T3_PNS14_IS19_E10value_typeET4_jRbjT5_S1F_jjP12ihipStream_tbEUljE_ZNSN_ISO_Lb0ESR_SS_SU_SV_SZ_EES10_S11_S12_S13_S17_S18_S19_S1C_S1D_jS1E_jS1F_S1F_jjS1H_bEUljE0_EEES10_S11_S12_S19_S1D_S1F_T6_T7_T9_mT8_S1H_bDpT10_ENKUlT_T0_E_clISt17integral_constantIbLb0EES1U_IbLb1EEEEDaS1Q_S1R_EUlS1Q_E_NS1_11comp_targetILNS1_3genE9ELNS1_11target_archE1100ELNS1_3gpuE3ELNS1_3repE0EEENS1_30default_config_static_selectorELNS0_4arch9wavefront6targetE1EEEvS13_
		.amdhsa_group_segment_fixed_size 0
		.amdhsa_private_segment_fixed_size 0
		.amdhsa_kernarg_size 184
		.amdhsa_user_sgpr_count 6
		.amdhsa_user_sgpr_private_segment_buffer 1
		.amdhsa_user_sgpr_dispatch_ptr 0
		.amdhsa_user_sgpr_queue_ptr 0
		.amdhsa_user_sgpr_kernarg_segment_ptr 1
		.amdhsa_user_sgpr_dispatch_id 0
		.amdhsa_user_sgpr_flat_scratch_init 0
		.amdhsa_user_sgpr_kernarg_preload_length 0
		.amdhsa_user_sgpr_kernarg_preload_offset 0
		.amdhsa_user_sgpr_private_segment_size 0
		.amdhsa_uses_dynamic_stack 0
		.amdhsa_system_sgpr_private_segment_wavefront_offset 0
		.amdhsa_system_sgpr_workgroup_id_x 1
		.amdhsa_system_sgpr_workgroup_id_y 0
		.amdhsa_system_sgpr_workgroup_id_z 0
		.amdhsa_system_sgpr_workgroup_info 0
		.amdhsa_system_vgpr_workitem_id 0
		.amdhsa_next_free_vgpr 1
		.amdhsa_next_free_sgpr 0
		.amdhsa_accum_offset 4
		.amdhsa_reserve_vcc 0
		.amdhsa_reserve_flat_scratch 0
		.amdhsa_float_round_mode_32 0
		.amdhsa_float_round_mode_16_64 0
		.amdhsa_float_denorm_mode_32 3
		.amdhsa_float_denorm_mode_16_64 3
		.amdhsa_dx10_clamp 1
		.amdhsa_ieee_mode 1
		.amdhsa_fp16_overflow 0
		.amdhsa_tg_split 0
		.amdhsa_exception_fp_ieee_invalid_op 0
		.amdhsa_exception_fp_denorm_src 0
		.amdhsa_exception_fp_ieee_div_zero 0
		.amdhsa_exception_fp_ieee_overflow 0
		.amdhsa_exception_fp_ieee_underflow 0
		.amdhsa_exception_fp_ieee_inexact 0
		.amdhsa_exception_int_div_zero 0
	.end_amdhsa_kernel
	.section	.text._ZN7rocprim17ROCPRIM_400000_NS6detail17trampoline_kernelINS0_13select_configILj256ELj13ELNS0_17block_load_methodE3ELS4_3ELS4_3ELNS0_20block_scan_algorithmE0ELj4294967295EEENS1_25partition_config_selectorILNS1_17partition_subalgoE4EjNS0_10empty_typeEbEEZZNS1_14partition_implILS8_4ELb0ES6_15HIP_vector_typeIjLj2EENS0_17counting_iteratorIjlEEPS9_SG_NS0_5tupleIJPjSI_NS0_16reverse_iteratorISI_EEEEENSH_IJSG_SG_SG_EEES9_SI_JZNS1_25segmented_radix_sort_implINS0_14default_configELb0EPK12hip_bfloat16PSP_PKlPlN2at6native12_GLOBAL__N_18offset_tEEE10hipError_tPvRmT1_PNSt15iterator_traitsIS13_E10value_typeET2_T3_PNS14_IS19_E10value_typeET4_jRbjT5_S1F_jjP12ihipStream_tbEUljE_ZNSN_ISO_Lb0ESR_SS_SU_SV_SZ_EES10_S11_S12_S13_S17_S18_S19_S1C_S1D_jS1E_jS1F_S1F_jjS1H_bEUljE0_EEES10_S11_S12_S19_S1D_S1F_T6_T7_T9_mT8_S1H_bDpT10_ENKUlT_T0_E_clISt17integral_constantIbLb0EES1U_IbLb1EEEEDaS1Q_S1R_EUlS1Q_E_NS1_11comp_targetILNS1_3genE9ELNS1_11target_archE1100ELNS1_3gpuE3ELNS1_3repE0EEENS1_30default_config_static_selectorELNS0_4arch9wavefront6targetE1EEEvS13_,"axG",@progbits,_ZN7rocprim17ROCPRIM_400000_NS6detail17trampoline_kernelINS0_13select_configILj256ELj13ELNS0_17block_load_methodE3ELS4_3ELS4_3ELNS0_20block_scan_algorithmE0ELj4294967295EEENS1_25partition_config_selectorILNS1_17partition_subalgoE4EjNS0_10empty_typeEbEEZZNS1_14partition_implILS8_4ELb0ES6_15HIP_vector_typeIjLj2EENS0_17counting_iteratorIjlEEPS9_SG_NS0_5tupleIJPjSI_NS0_16reverse_iteratorISI_EEEEENSH_IJSG_SG_SG_EEES9_SI_JZNS1_25segmented_radix_sort_implINS0_14default_configELb0EPK12hip_bfloat16PSP_PKlPlN2at6native12_GLOBAL__N_18offset_tEEE10hipError_tPvRmT1_PNSt15iterator_traitsIS13_E10value_typeET2_T3_PNS14_IS19_E10value_typeET4_jRbjT5_S1F_jjP12ihipStream_tbEUljE_ZNSN_ISO_Lb0ESR_SS_SU_SV_SZ_EES10_S11_S12_S13_S17_S18_S19_S1C_S1D_jS1E_jS1F_S1F_jjS1H_bEUljE0_EEES10_S11_S12_S19_S1D_S1F_T6_T7_T9_mT8_S1H_bDpT10_ENKUlT_T0_E_clISt17integral_constantIbLb0EES1U_IbLb1EEEEDaS1Q_S1R_EUlS1Q_E_NS1_11comp_targetILNS1_3genE9ELNS1_11target_archE1100ELNS1_3gpuE3ELNS1_3repE0EEENS1_30default_config_static_selectorELNS0_4arch9wavefront6targetE1EEEvS13_,comdat
.Lfunc_end2013:
	.size	_ZN7rocprim17ROCPRIM_400000_NS6detail17trampoline_kernelINS0_13select_configILj256ELj13ELNS0_17block_load_methodE3ELS4_3ELS4_3ELNS0_20block_scan_algorithmE0ELj4294967295EEENS1_25partition_config_selectorILNS1_17partition_subalgoE4EjNS0_10empty_typeEbEEZZNS1_14partition_implILS8_4ELb0ES6_15HIP_vector_typeIjLj2EENS0_17counting_iteratorIjlEEPS9_SG_NS0_5tupleIJPjSI_NS0_16reverse_iteratorISI_EEEEENSH_IJSG_SG_SG_EEES9_SI_JZNS1_25segmented_radix_sort_implINS0_14default_configELb0EPK12hip_bfloat16PSP_PKlPlN2at6native12_GLOBAL__N_18offset_tEEE10hipError_tPvRmT1_PNSt15iterator_traitsIS13_E10value_typeET2_T3_PNS14_IS19_E10value_typeET4_jRbjT5_S1F_jjP12ihipStream_tbEUljE_ZNSN_ISO_Lb0ESR_SS_SU_SV_SZ_EES10_S11_S12_S13_S17_S18_S19_S1C_S1D_jS1E_jS1F_S1F_jjS1H_bEUljE0_EEES10_S11_S12_S19_S1D_S1F_T6_T7_T9_mT8_S1H_bDpT10_ENKUlT_T0_E_clISt17integral_constantIbLb0EES1U_IbLb1EEEEDaS1Q_S1R_EUlS1Q_E_NS1_11comp_targetILNS1_3genE9ELNS1_11target_archE1100ELNS1_3gpuE3ELNS1_3repE0EEENS1_30default_config_static_selectorELNS0_4arch9wavefront6targetE1EEEvS13_, .Lfunc_end2013-_ZN7rocprim17ROCPRIM_400000_NS6detail17trampoline_kernelINS0_13select_configILj256ELj13ELNS0_17block_load_methodE3ELS4_3ELS4_3ELNS0_20block_scan_algorithmE0ELj4294967295EEENS1_25partition_config_selectorILNS1_17partition_subalgoE4EjNS0_10empty_typeEbEEZZNS1_14partition_implILS8_4ELb0ES6_15HIP_vector_typeIjLj2EENS0_17counting_iteratorIjlEEPS9_SG_NS0_5tupleIJPjSI_NS0_16reverse_iteratorISI_EEEEENSH_IJSG_SG_SG_EEES9_SI_JZNS1_25segmented_radix_sort_implINS0_14default_configELb0EPK12hip_bfloat16PSP_PKlPlN2at6native12_GLOBAL__N_18offset_tEEE10hipError_tPvRmT1_PNSt15iterator_traitsIS13_E10value_typeET2_T3_PNS14_IS19_E10value_typeET4_jRbjT5_S1F_jjP12ihipStream_tbEUljE_ZNSN_ISO_Lb0ESR_SS_SU_SV_SZ_EES10_S11_S12_S13_S17_S18_S19_S1C_S1D_jS1E_jS1F_S1F_jjS1H_bEUljE0_EEES10_S11_S12_S19_S1D_S1F_T6_T7_T9_mT8_S1H_bDpT10_ENKUlT_T0_E_clISt17integral_constantIbLb0EES1U_IbLb1EEEEDaS1Q_S1R_EUlS1Q_E_NS1_11comp_targetILNS1_3genE9ELNS1_11target_archE1100ELNS1_3gpuE3ELNS1_3repE0EEENS1_30default_config_static_selectorELNS0_4arch9wavefront6targetE1EEEvS13_
                                        ; -- End function
	.section	.AMDGPU.csdata,"",@progbits
; Kernel info:
; codeLenInByte = 0
; NumSgprs: 4
; NumVgprs: 0
; NumAgprs: 0
; TotalNumVgprs: 0
; ScratchSize: 0
; MemoryBound: 0
; FloatMode: 240
; IeeeMode: 1
; LDSByteSize: 0 bytes/workgroup (compile time only)
; SGPRBlocks: 0
; VGPRBlocks: 0
; NumSGPRsForWavesPerEU: 4
; NumVGPRsForWavesPerEU: 1
; AccumOffset: 4
; Occupancy: 8
; WaveLimiterHint : 0
; COMPUTE_PGM_RSRC2:SCRATCH_EN: 0
; COMPUTE_PGM_RSRC2:USER_SGPR: 6
; COMPUTE_PGM_RSRC2:TRAP_HANDLER: 0
; COMPUTE_PGM_RSRC2:TGID_X_EN: 1
; COMPUTE_PGM_RSRC2:TGID_Y_EN: 0
; COMPUTE_PGM_RSRC2:TGID_Z_EN: 0
; COMPUTE_PGM_RSRC2:TIDIG_COMP_CNT: 0
; COMPUTE_PGM_RSRC3_GFX90A:ACCUM_OFFSET: 0
; COMPUTE_PGM_RSRC3_GFX90A:TG_SPLIT: 0
	.section	.text._ZN7rocprim17ROCPRIM_400000_NS6detail17trampoline_kernelINS0_13select_configILj256ELj13ELNS0_17block_load_methodE3ELS4_3ELS4_3ELNS0_20block_scan_algorithmE0ELj4294967295EEENS1_25partition_config_selectorILNS1_17partition_subalgoE4EjNS0_10empty_typeEbEEZZNS1_14partition_implILS8_4ELb0ES6_15HIP_vector_typeIjLj2EENS0_17counting_iteratorIjlEEPS9_SG_NS0_5tupleIJPjSI_NS0_16reverse_iteratorISI_EEEEENSH_IJSG_SG_SG_EEES9_SI_JZNS1_25segmented_radix_sort_implINS0_14default_configELb0EPK12hip_bfloat16PSP_PKlPlN2at6native12_GLOBAL__N_18offset_tEEE10hipError_tPvRmT1_PNSt15iterator_traitsIS13_E10value_typeET2_T3_PNS14_IS19_E10value_typeET4_jRbjT5_S1F_jjP12ihipStream_tbEUljE_ZNSN_ISO_Lb0ESR_SS_SU_SV_SZ_EES10_S11_S12_S13_S17_S18_S19_S1C_S1D_jS1E_jS1F_S1F_jjS1H_bEUljE0_EEES10_S11_S12_S19_S1D_S1F_T6_T7_T9_mT8_S1H_bDpT10_ENKUlT_T0_E_clISt17integral_constantIbLb0EES1U_IbLb1EEEEDaS1Q_S1R_EUlS1Q_E_NS1_11comp_targetILNS1_3genE8ELNS1_11target_archE1030ELNS1_3gpuE2ELNS1_3repE0EEENS1_30default_config_static_selectorELNS0_4arch9wavefront6targetE1EEEvS13_,"axG",@progbits,_ZN7rocprim17ROCPRIM_400000_NS6detail17trampoline_kernelINS0_13select_configILj256ELj13ELNS0_17block_load_methodE3ELS4_3ELS4_3ELNS0_20block_scan_algorithmE0ELj4294967295EEENS1_25partition_config_selectorILNS1_17partition_subalgoE4EjNS0_10empty_typeEbEEZZNS1_14partition_implILS8_4ELb0ES6_15HIP_vector_typeIjLj2EENS0_17counting_iteratorIjlEEPS9_SG_NS0_5tupleIJPjSI_NS0_16reverse_iteratorISI_EEEEENSH_IJSG_SG_SG_EEES9_SI_JZNS1_25segmented_radix_sort_implINS0_14default_configELb0EPK12hip_bfloat16PSP_PKlPlN2at6native12_GLOBAL__N_18offset_tEEE10hipError_tPvRmT1_PNSt15iterator_traitsIS13_E10value_typeET2_T3_PNS14_IS19_E10value_typeET4_jRbjT5_S1F_jjP12ihipStream_tbEUljE_ZNSN_ISO_Lb0ESR_SS_SU_SV_SZ_EES10_S11_S12_S13_S17_S18_S19_S1C_S1D_jS1E_jS1F_S1F_jjS1H_bEUljE0_EEES10_S11_S12_S19_S1D_S1F_T6_T7_T9_mT8_S1H_bDpT10_ENKUlT_T0_E_clISt17integral_constantIbLb0EES1U_IbLb1EEEEDaS1Q_S1R_EUlS1Q_E_NS1_11comp_targetILNS1_3genE8ELNS1_11target_archE1030ELNS1_3gpuE2ELNS1_3repE0EEENS1_30default_config_static_selectorELNS0_4arch9wavefront6targetE1EEEvS13_,comdat
	.globl	_ZN7rocprim17ROCPRIM_400000_NS6detail17trampoline_kernelINS0_13select_configILj256ELj13ELNS0_17block_load_methodE3ELS4_3ELS4_3ELNS0_20block_scan_algorithmE0ELj4294967295EEENS1_25partition_config_selectorILNS1_17partition_subalgoE4EjNS0_10empty_typeEbEEZZNS1_14partition_implILS8_4ELb0ES6_15HIP_vector_typeIjLj2EENS0_17counting_iteratorIjlEEPS9_SG_NS0_5tupleIJPjSI_NS0_16reverse_iteratorISI_EEEEENSH_IJSG_SG_SG_EEES9_SI_JZNS1_25segmented_radix_sort_implINS0_14default_configELb0EPK12hip_bfloat16PSP_PKlPlN2at6native12_GLOBAL__N_18offset_tEEE10hipError_tPvRmT1_PNSt15iterator_traitsIS13_E10value_typeET2_T3_PNS14_IS19_E10value_typeET4_jRbjT5_S1F_jjP12ihipStream_tbEUljE_ZNSN_ISO_Lb0ESR_SS_SU_SV_SZ_EES10_S11_S12_S13_S17_S18_S19_S1C_S1D_jS1E_jS1F_S1F_jjS1H_bEUljE0_EEES10_S11_S12_S19_S1D_S1F_T6_T7_T9_mT8_S1H_bDpT10_ENKUlT_T0_E_clISt17integral_constantIbLb0EES1U_IbLb1EEEEDaS1Q_S1R_EUlS1Q_E_NS1_11comp_targetILNS1_3genE8ELNS1_11target_archE1030ELNS1_3gpuE2ELNS1_3repE0EEENS1_30default_config_static_selectorELNS0_4arch9wavefront6targetE1EEEvS13_ ; -- Begin function _ZN7rocprim17ROCPRIM_400000_NS6detail17trampoline_kernelINS0_13select_configILj256ELj13ELNS0_17block_load_methodE3ELS4_3ELS4_3ELNS0_20block_scan_algorithmE0ELj4294967295EEENS1_25partition_config_selectorILNS1_17partition_subalgoE4EjNS0_10empty_typeEbEEZZNS1_14partition_implILS8_4ELb0ES6_15HIP_vector_typeIjLj2EENS0_17counting_iteratorIjlEEPS9_SG_NS0_5tupleIJPjSI_NS0_16reverse_iteratorISI_EEEEENSH_IJSG_SG_SG_EEES9_SI_JZNS1_25segmented_radix_sort_implINS0_14default_configELb0EPK12hip_bfloat16PSP_PKlPlN2at6native12_GLOBAL__N_18offset_tEEE10hipError_tPvRmT1_PNSt15iterator_traitsIS13_E10value_typeET2_T3_PNS14_IS19_E10value_typeET4_jRbjT5_S1F_jjP12ihipStream_tbEUljE_ZNSN_ISO_Lb0ESR_SS_SU_SV_SZ_EES10_S11_S12_S13_S17_S18_S19_S1C_S1D_jS1E_jS1F_S1F_jjS1H_bEUljE0_EEES10_S11_S12_S19_S1D_S1F_T6_T7_T9_mT8_S1H_bDpT10_ENKUlT_T0_E_clISt17integral_constantIbLb0EES1U_IbLb1EEEEDaS1Q_S1R_EUlS1Q_E_NS1_11comp_targetILNS1_3genE8ELNS1_11target_archE1030ELNS1_3gpuE2ELNS1_3repE0EEENS1_30default_config_static_selectorELNS0_4arch9wavefront6targetE1EEEvS13_
	.p2align	8
	.type	_ZN7rocprim17ROCPRIM_400000_NS6detail17trampoline_kernelINS0_13select_configILj256ELj13ELNS0_17block_load_methodE3ELS4_3ELS4_3ELNS0_20block_scan_algorithmE0ELj4294967295EEENS1_25partition_config_selectorILNS1_17partition_subalgoE4EjNS0_10empty_typeEbEEZZNS1_14partition_implILS8_4ELb0ES6_15HIP_vector_typeIjLj2EENS0_17counting_iteratorIjlEEPS9_SG_NS0_5tupleIJPjSI_NS0_16reverse_iteratorISI_EEEEENSH_IJSG_SG_SG_EEES9_SI_JZNS1_25segmented_radix_sort_implINS0_14default_configELb0EPK12hip_bfloat16PSP_PKlPlN2at6native12_GLOBAL__N_18offset_tEEE10hipError_tPvRmT1_PNSt15iterator_traitsIS13_E10value_typeET2_T3_PNS14_IS19_E10value_typeET4_jRbjT5_S1F_jjP12ihipStream_tbEUljE_ZNSN_ISO_Lb0ESR_SS_SU_SV_SZ_EES10_S11_S12_S13_S17_S18_S19_S1C_S1D_jS1E_jS1F_S1F_jjS1H_bEUljE0_EEES10_S11_S12_S19_S1D_S1F_T6_T7_T9_mT8_S1H_bDpT10_ENKUlT_T0_E_clISt17integral_constantIbLb0EES1U_IbLb1EEEEDaS1Q_S1R_EUlS1Q_E_NS1_11comp_targetILNS1_3genE8ELNS1_11target_archE1030ELNS1_3gpuE2ELNS1_3repE0EEENS1_30default_config_static_selectorELNS0_4arch9wavefront6targetE1EEEvS13_,@function
_ZN7rocprim17ROCPRIM_400000_NS6detail17trampoline_kernelINS0_13select_configILj256ELj13ELNS0_17block_load_methodE3ELS4_3ELS4_3ELNS0_20block_scan_algorithmE0ELj4294967295EEENS1_25partition_config_selectorILNS1_17partition_subalgoE4EjNS0_10empty_typeEbEEZZNS1_14partition_implILS8_4ELb0ES6_15HIP_vector_typeIjLj2EENS0_17counting_iteratorIjlEEPS9_SG_NS0_5tupleIJPjSI_NS0_16reverse_iteratorISI_EEEEENSH_IJSG_SG_SG_EEES9_SI_JZNS1_25segmented_radix_sort_implINS0_14default_configELb0EPK12hip_bfloat16PSP_PKlPlN2at6native12_GLOBAL__N_18offset_tEEE10hipError_tPvRmT1_PNSt15iterator_traitsIS13_E10value_typeET2_T3_PNS14_IS19_E10value_typeET4_jRbjT5_S1F_jjP12ihipStream_tbEUljE_ZNSN_ISO_Lb0ESR_SS_SU_SV_SZ_EES10_S11_S12_S13_S17_S18_S19_S1C_S1D_jS1E_jS1F_S1F_jjS1H_bEUljE0_EEES10_S11_S12_S19_S1D_S1F_T6_T7_T9_mT8_S1H_bDpT10_ENKUlT_T0_E_clISt17integral_constantIbLb0EES1U_IbLb1EEEEDaS1Q_S1R_EUlS1Q_E_NS1_11comp_targetILNS1_3genE8ELNS1_11target_archE1030ELNS1_3gpuE2ELNS1_3repE0EEENS1_30default_config_static_selectorELNS0_4arch9wavefront6targetE1EEEvS13_: ; @_ZN7rocprim17ROCPRIM_400000_NS6detail17trampoline_kernelINS0_13select_configILj256ELj13ELNS0_17block_load_methodE3ELS4_3ELS4_3ELNS0_20block_scan_algorithmE0ELj4294967295EEENS1_25partition_config_selectorILNS1_17partition_subalgoE4EjNS0_10empty_typeEbEEZZNS1_14partition_implILS8_4ELb0ES6_15HIP_vector_typeIjLj2EENS0_17counting_iteratorIjlEEPS9_SG_NS0_5tupleIJPjSI_NS0_16reverse_iteratorISI_EEEEENSH_IJSG_SG_SG_EEES9_SI_JZNS1_25segmented_radix_sort_implINS0_14default_configELb0EPK12hip_bfloat16PSP_PKlPlN2at6native12_GLOBAL__N_18offset_tEEE10hipError_tPvRmT1_PNSt15iterator_traitsIS13_E10value_typeET2_T3_PNS14_IS19_E10value_typeET4_jRbjT5_S1F_jjP12ihipStream_tbEUljE_ZNSN_ISO_Lb0ESR_SS_SU_SV_SZ_EES10_S11_S12_S13_S17_S18_S19_S1C_S1D_jS1E_jS1F_S1F_jjS1H_bEUljE0_EEES10_S11_S12_S19_S1D_S1F_T6_T7_T9_mT8_S1H_bDpT10_ENKUlT_T0_E_clISt17integral_constantIbLb0EES1U_IbLb1EEEEDaS1Q_S1R_EUlS1Q_E_NS1_11comp_targetILNS1_3genE8ELNS1_11target_archE1030ELNS1_3gpuE2ELNS1_3repE0EEENS1_30default_config_static_selectorELNS0_4arch9wavefront6targetE1EEEvS13_
; %bb.0:
	.section	.rodata,"a",@progbits
	.p2align	6, 0x0
	.amdhsa_kernel _ZN7rocprim17ROCPRIM_400000_NS6detail17trampoline_kernelINS0_13select_configILj256ELj13ELNS0_17block_load_methodE3ELS4_3ELS4_3ELNS0_20block_scan_algorithmE0ELj4294967295EEENS1_25partition_config_selectorILNS1_17partition_subalgoE4EjNS0_10empty_typeEbEEZZNS1_14partition_implILS8_4ELb0ES6_15HIP_vector_typeIjLj2EENS0_17counting_iteratorIjlEEPS9_SG_NS0_5tupleIJPjSI_NS0_16reverse_iteratorISI_EEEEENSH_IJSG_SG_SG_EEES9_SI_JZNS1_25segmented_radix_sort_implINS0_14default_configELb0EPK12hip_bfloat16PSP_PKlPlN2at6native12_GLOBAL__N_18offset_tEEE10hipError_tPvRmT1_PNSt15iterator_traitsIS13_E10value_typeET2_T3_PNS14_IS19_E10value_typeET4_jRbjT5_S1F_jjP12ihipStream_tbEUljE_ZNSN_ISO_Lb0ESR_SS_SU_SV_SZ_EES10_S11_S12_S13_S17_S18_S19_S1C_S1D_jS1E_jS1F_S1F_jjS1H_bEUljE0_EEES10_S11_S12_S19_S1D_S1F_T6_T7_T9_mT8_S1H_bDpT10_ENKUlT_T0_E_clISt17integral_constantIbLb0EES1U_IbLb1EEEEDaS1Q_S1R_EUlS1Q_E_NS1_11comp_targetILNS1_3genE8ELNS1_11target_archE1030ELNS1_3gpuE2ELNS1_3repE0EEENS1_30default_config_static_selectorELNS0_4arch9wavefront6targetE1EEEvS13_
		.amdhsa_group_segment_fixed_size 0
		.amdhsa_private_segment_fixed_size 0
		.amdhsa_kernarg_size 184
		.amdhsa_user_sgpr_count 6
		.amdhsa_user_sgpr_private_segment_buffer 1
		.amdhsa_user_sgpr_dispatch_ptr 0
		.amdhsa_user_sgpr_queue_ptr 0
		.amdhsa_user_sgpr_kernarg_segment_ptr 1
		.amdhsa_user_sgpr_dispatch_id 0
		.amdhsa_user_sgpr_flat_scratch_init 0
		.amdhsa_user_sgpr_kernarg_preload_length 0
		.amdhsa_user_sgpr_kernarg_preload_offset 0
		.amdhsa_user_sgpr_private_segment_size 0
		.amdhsa_uses_dynamic_stack 0
		.amdhsa_system_sgpr_private_segment_wavefront_offset 0
		.amdhsa_system_sgpr_workgroup_id_x 1
		.amdhsa_system_sgpr_workgroup_id_y 0
		.amdhsa_system_sgpr_workgroup_id_z 0
		.amdhsa_system_sgpr_workgroup_info 0
		.amdhsa_system_vgpr_workitem_id 0
		.amdhsa_next_free_vgpr 1
		.amdhsa_next_free_sgpr 0
		.amdhsa_accum_offset 4
		.amdhsa_reserve_vcc 0
		.amdhsa_reserve_flat_scratch 0
		.amdhsa_float_round_mode_32 0
		.amdhsa_float_round_mode_16_64 0
		.amdhsa_float_denorm_mode_32 3
		.amdhsa_float_denorm_mode_16_64 3
		.amdhsa_dx10_clamp 1
		.amdhsa_ieee_mode 1
		.amdhsa_fp16_overflow 0
		.amdhsa_tg_split 0
		.amdhsa_exception_fp_ieee_invalid_op 0
		.amdhsa_exception_fp_denorm_src 0
		.amdhsa_exception_fp_ieee_div_zero 0
		.amdhsa_exception_fp_ieee_overflow 0
		.amdhsa_exception_fp_ieee_underflow 0
		.amdhsa_exception_fp_ieee_inexact 0
		.amdhsa_exception_int_div_zero 0
	.end_amdhsa_kernel
	.section	.text._ZN7rocprim17ROCPRIM_400000_NS6detail17trampoline_kernelINS0_13select_configILj256ELj13ELNS0_17block_load_methodE3ELS4_3ELS4_3ELNS0_20block_scan_algorithmE0ELj4294967295EEENS1_25partition_config_selectorILNS1_17partition_subalgoE4EjNS0_10empty_typeEbEEZZNS1_14partition_implILS8_4ELb0ES6_15HIP_vector_typeIjLj2EENS0_17counting_iteratorIjlEEPS9_SG_NS0_5tupleIJPjSI_NS0_16reverse_iteratorISI_EEEEENSH_IJSG_SG_SG_EEES9_SI_JZNS1_25segmented_radix_sort_implINS0_14default_configELb0EPK12hip_bfloat16PSP_PKlPlN2at6native12_GLOBAL__N_18offset_tEEE10hipError_tPvRmT1_PNSt15iterator_traitsIS13_E10value_typeET2_T3_PNS14_IS19_E10value_typeET4_jRbjT5_S1F_jjP12ihipStream_tbEUljE_ZNSN_ISO_Lb0ESR_SS_SU_SV_SZ_EES10_S11_S12_S13_S17_S18_S19_S1C_S1D_jS1E_jS1F_S1F_jjS1H_bEUljE0_EEES10_S11_S12_S19_S1D_S1F_T6_T7_T9_mT8_S1H_bDpT10_ENKUlT_T0_E_clISt17integral_constantIbLb0EES1U_IbLb1EEEEDaS1Q_S1R_EUlS1Q_E_NS1_11comp_targetILNS1_3genE8ELNS1_11target_archE1030ELNS1_3gpuE2ELNS1_3repE0EEENS1_30default_config_static_selectorELNS0_4arch9wavefront6targetE1EEEvS13_,"axG",@progbits,_ZN7rocprim17ROCPRIM_400000_NS6detail17trampoline_kernelINS0_13select_configILj256ELj13ELNS0_17block_load_methodE3ELS4_3ELS4_3ELNS0_20block_scan_algorithmE0ELj4294967295EEENS1_25partition_config_selectorILNS1_17partition_subalgoE4EjNS0_10empty_typeEbEEZZNS1_14partition_implILS8_4ELb0ES6_15HIP_vector_typeIjLj2EENS0_17counting_iteratorIjlEEPS9_SG_NS0_5tupleIJPjSI_NS0_16reverse_iteratorISI_EEEEENSH_IJSG_SG_SG_EEES9_SI_JZNS1_25segmented_radix_sort_implINS0_14default_configELb0EPK12hip_bfloat16PSP_PKlPlN2at6native12_GLOBAL__N_18offset_tEEE10hipError_tPvRmT1_PNSt15iterator_traitsIS13_E10value_typeET2_T3_PNS14_IS19_E10value_typeET4_jRbjT5_S1F_jjP12ihipStream_tbEUljE_ZNSN_ISO_Lb0ESR_SS_SU_SV_SZ_EES10_S11_S12_S13_S17_S18_S19_S1C_S1D_jS1E_jS1F_S1F_jjS1H_bEUljE0_EEES10_S11_S12_S19_S1D_S1F_T6_T7_T9_mT8_S1H_bDpT10_ENKUlT_T0_E_clISt17integral_constantIbLb0EES1U_IbLb1EEEEDaS1Q_S1R_EUlS1Q_E_NS1_11comp_targetILNS1_3genE8ELNS1_11target_archE1030ELNS1_3gpuE2ELNS1_3repE0EEENS1_30default_config_static_selectorELNS0_4arch9wavefront6targetE1EEEvS13_,comdat
.Lfunc_end2014:
	.size	_ZN7rocprim17ROCPRIM_400000_NS6detail17trampoline_kernelINS0_13select_configILj256ELj13ELNS0_17block_load_methodE3ELS4_3ELS4_3ELNS0_20block_scan_algorithmE0ELj4294967295EEENS1_25partition_config_selectorILNS1_17partition_subalgoE4EjNS0_10empty_typeEbEEZZNS1_14partition_implILS8_4ELb0ES6_15HIP_vector_typeIjLj2EENS0_17counting_iteratorIjlEEPS9_SG_NS0_5tupleIJPjSI_NS0_16reverse_iteratorISI_EEEEENSH_IJSG_SG_SG_EEES9_SI_JZNS1_25segmented_radix_sort_implINS0_14default_configELb0EPK12hip_bfloat16PSP_PKlPlN2at6native12_GLOBAL__N_18offset_tEEE10hipError_tPvRmT1_PNSt15iterator_traitsIS13_E10value_typeET2_T3_PNS14_IS19_E10value_typeET4_jRbjT5_S1F_jjP12ihipStream_tbEUljE_ZNSN_ISO_Lb0ESR_SS_SU_SV_SZ_EES10_S11_S12_S13_S17_S18_S19_S1C_S1D_jS1E_jS1F_S1F_jjS1H_bEUljE0_EEES10_S11_S12_S19_S1D_S1F_T6_T7_T9_mT8_S1H_bDpT10_ENKUlT_T0_E_clISt17integral_constantIbLb0EES1U_IbLb1EEEEDaS1Q_S1R_EUlS1Q_E_NS1_11comp_targetILNS1_3genE8ELNS1_11target_archE1030ELNS1_3gpuE2ELNS1_3repE0EEENS1_30default_config_static_selectorELNS0_4arch9wavefront6targetE1EEEvS13_, .Lfunc_end2014-_ZN7rocprim17ROCPRIM_400000_NS6detail17trampoline_kernelINS0_13select_configILj256ELj13ELNS0_17block_load_methodE3ELS4_3ELS4_3ELNS0_20block_scan_algorithmE0ELj4294967295EEENS1_25partition_config_selectorILNS1_17partition_subalgoE4EjNS0_10empty_typeEbEEZZNS1_14partition_implILS8_4ELb0ES6_15HIP_vector_typeIjLj2EENS0_17counting_iteratorIjlEEPS9_SG_NS0_5tupleIJPjSI_NS0_16reverse_iteratorISI_EEEEENSH_IJSG_SG_SG_EEES9_SI_JZNS1_25segmented_radix_sort_implINS0_14default_configELb0EPK12hip_bfloat16PSP_PKlPlN2at6native12_GLOBAL__N_18offset_tEEE10hipError_tPvRmT1_PNSt15iterator_traitsIS13_E10value_typeET2_T3_PNS14_IS19_E10value_typeET4_jRbjT5_S1F_jjP12ihipStream_tbEUljE_ZNSN_ISO_Lb0ESR_SS_SU_SV_SZ_EES10_S11_S12_S13_S17_S18_S19_S1C_S1D_jS1E_jS1F_S1F_jjS1H_bEUljE0_EEES10_S11_S12_S19_S1D_S1F_T6_T7_T9_mT8_S1H_bDpT10_ENKUlT_T0_E_clISt17integral_constantIbLb0EES1U_IbLb1EEEEDaS1Q_S1R_EUlS1Q_E_NS1_11comp_targetILNS1_3genE8ELNS1_11target_archE1030ELNS1_3gpuE2ELNS1_3repE0EEENS1_30default_config_static_selectorELNS0_4arch9wavefront6targetE1EEEvS13_
                                        ; -- End function
	.section	.AMDGPU.csdata,"",@progbits
; Kernel info:
; codeLenInByte = 0
; NumSgprs: 4
; NumVgprs: 0
; NumAgprs: 0
; TotalNumVgprs: 0
; ScratchSize: 0
; MemoryBound: 0
; FloatMode: 240
; IeeeMode: 1
; LDSByteSize: 0 bytes/workgroup (compile time only)
; SGPRBlocks: 0
; VGPRBlocks: 0
; NumSGPRsForWavesPerEU: 4
; NumVGPRsForWavesPerEU: 1
; AccumOffset: 4
; Occupancy: 8
; WaveLimiterHint : 0
; COMPUTE_PGM_RSRC2:SCRATCH_EN: 0
; COMPUTE_PGM_RSRC2:USER_SGPR: 6
; COMPUTE_PGM_RSRC2:TRAP_HANDLER: 0
; COMPUTE_PGM_RSRC2:TGID_X_EN: 1
; COMPUTE_PGM_RSRC2:TGID_Y_EN: 0
; COMPUTE_PGM_RSRC2:TGID_Z_EN: 0
; COMPUTE_PGM_RSRC2:TIDIG_COMP_CNT: 0
; COMPUTE_PGM_RSRC3_GFX90A:ACCUM_OFFSET: 0
; COMPUTE_PGM_RSRC3_GFX90A:TG_SPLIT: 0
	.section	.text._ZN7rocprim17ROCPRIM_400000_NS6detail17trampoline_kernelINS0_13select_configILj256ELj13ELNS0_17block_load_methodE3ELS4_3ELS4_3ELNS0_20block_scan_algorithmE0ELj4294967295EEENS1_25partition_config_selectorILNS1_17partition_subalgoE3EjNS0_10empty_typeEbEEZZNS1_14partition_implILS8_3ELb0ES6_jNS0_17counting_iteratorIjlEEPS9_SE_NS0_5tupleIJPjSE_EEENSF_IJSE_SE_EEES9_SG_JZNS1_25segmented_radix_sort_implINS0_14default_configELb0EPK12hip_bfloat16PSL_PKlPlN2at6native12_GLOBAL__N_18offset_tEEE10hipError_tPvRmT1_PNSt15iterator_traitsISZ_E10value_typeET2_T3_PNS10_IS15_E10value_typeET4_jRbjT5_S1B_jjP12ihipStream_tbEUljE_EEESW_SX_SY_S15_S19_S1B_T6_T7_T9_mT8_S1D_bDpT10_ENKUlT_T0_E_clISt17integral_constantIbLb0EES1Q_EEDaS1L_S1M_EUlS1L_E_NS1_11comp_targetILNS1_3genE0ELNS1_11target_archE4294967295ELNS1_3gpuE0ELNS1_3repE0EEENS1_30default_config_static_selectorELNS0_4arch9wavefront6targetE1EEEvSZ_,"axG",@progbits,_ZN7rocprim17ROCPRIM_400000_NS6detail17trampoline_kernelINS0_13select_configILj256ELj13ELNS0_17block_load_methodE3ELS4_3ELS4_3ELNS0_20block_scan_algorithmE0ELj4294967295EEENS1_25partition_config_selectorILNS1_17partition_subalgoE3EjNS0_10empty_typeEbEEZZNS1_14partition_implILS8_3ELb0ES6_jNS0_17counting_iteratorIjlEEPS9_SE_NS0_5tupleIJPjSE_EEENSF_IJSE_SE_EEES9_SG_JZNS1_25segmented_radix_sort_implINS0_14default_configELb0EPK12hip_bfloat16PSL_PKlPlN2at6native12_GLOBAL__N_18offset_tEEE10hipError_tPvRmT1_PNSt15iterator_traitsISZ_E10value_typeET2_T3_PNS10_IS15_E10value_typeET4_jRbjT5_S1B_jjP12ihipStream_tbEUljE_EEESW_SX_SY_S15_S19_S1B_T6_T7_T9_mT8_S1D_bDpT10_ENKUlT_T0_E_clISt17integral_constantIbLb0EES1Q_EEDaS1L_S1M_EUlS1L_E_NS1_11comp_targetILNS1_3genE0ELNS1_11target_archE4294967295ELNS1_3gpuE0ELNS1_3repE0EEENS1_30default_config_static_selectorELNS0_4arch9wavefront6targetE1EEEvSZ_,comdat
	.globl	_ZN7rocprim17ROCPRIM_400000_NS6detail17trampoline_kernelINS0_13select_configILj256ELj13ELNS0_17block_load_methodE3ELS4_3ELS4_3ELNS0_20block_scan_algorithmE0ELj4294967295EEENS1_25partition_config_selectorILNS1_17partition_subalgoE3EjNS0_10empty_typeEbEEZZNS1_14partition_implILS8_3ELb0ES6_jNS0_17counting_iteratorIjlEEPS9_SE_NS0_5tupleIJPjSE_EEENSF_IJSE_SE_EEES9_SG_JZNS1_25segmented_radix_sort_implINS0_14default_configELb0EPK12hip_bfloat16PSL_PKlPlN2at6native12_GLOBAL__N_18offset_tEEE10hipError_tPvRmT1_PNSt15iterator_traitsISZ_E10value_typeET2_T3_PNS10_IS15_E10value_typeET4_jRbjT5_S1B_jjP12ihipStream_tbEUljE_EEESW_SX_SY_S15_S19_S1B_T6_T7_T9_mT8_S1D_bDpT10_ENKUlT_T0_E_clISt17integral_constantIbLb0EES1Q_EEDaS1L_S1M_EUlS1L_E_NS1_11comp_targetILNS1_3genE0ELNS1_11target_archE4294967295ELNS1_3gpuE0ELNS1_3repE0EEENS1_30default_config_static_selectorELNS0_4arch9wavefront6targetE1EEEvSZ_ ; -- Begin function _ZN7rocprim17ROCPRIM_400000_NS6detail17trampoline_kernelINS0_13select_configILj256ELj13ELNS0_17block_load_methodE3ELS4_3ELS4_3ELNS0_20block_scan_algorithmE0ELj4294967295EEENS1_25partition_config_selectorILNS1_17partition_subalgoE3EjNS0_10empty_typeEbEEZZNS1_14partition_implILS8_3ELb0ES6_jNS0_17counting_iteratorIjlEEPS9_SE_NS0_5tupleIJPjSE_EEENSF_IJSE_SE_EEES9_SG_JZNS1_25segmented_radix_sort_implINS0_14default_configELb0EPK12hip_bfloat16PSL_PKlPlN2at6native12_GLOBAL__N_18offset_tEEE10hipError_tPvRmT1_PNSt15iterator_traitsISZ_E10value_typeET2_T3_PNS10_IS15_E10value_typeET4_jRbjT5_S1B_jjP12ihipStream_tbEUljE_EEESW_SX_SY_S15_S19_S1B_T6_T7_T9_mT8_S1D_bDpT10_ENKUlT_T0_E_clISt17integral_constantIbLb0EES1Q_EEDaS1L_S1M_EUlS1L_E_NS1_11comp_targetILNS1_3genE0ELNS1_11target_archE4294967295ELNS1_3gpuE0ELNS1_3repE0EEENS1_30default_config_static_selectorELNS0_4arch9wavefront6targetE1EEEvSZ_
	.p2align	8
	.type	_ZN7rocprim17ROCPRIM_400000_NS6detail17trampoline_kernelINS0_13select_configILj256ELj13ELNS0_17block_load_methodE3ELS4_3ELS4_3ELNS0_20block_scan_algorithmE0ELj4294967295EEENS1_25partition_config_selectorILNS1_17partition_subalgoE3EjNS0_10empty_typeEbEEZZNS1_14partition_implILS8_3ELb0ES6_jNS0_17counting_iteratorIjlEEPS9_SE_NS0_5tupleIJPjSE_EEENSF_IJSE_SE_EEES9_SG_JZNS1_25segmented_radix_sort_implINS0_14default_configELb0EPK12hip_bfloat16PSL_PKlPlN2at6native12_GLOBAL__N_18offset_tEEE10hipError_tPvRmT1_PNSt15iterator_traitsISZ_E10value_typeET2_T3_PNS10_IS15_E10value_typeET4_jRbjT5_S1B_jjP12ihipStream_tbEUljE_EEESW_SX_SY_S15_S19_S1B_T6_T7_T9_mT8_S1D_bDpT10_ENKUlT_T0_E_clISt17integral_constantIbLb0EES1Q_EEDaS1L_S1M_EUlS1L_E_NS1_11comp_targetILNS1_3genE0ELNS1_11target_archE4294967295ELNS1_3gpuE0ELNS1_3repE0EEENS1_30default_config_static_selectorELNS0_4arch9wavefront6targetE1EEEvSZ_,@function
_ZN7rocprim17ROCPRIM_400000_NS6detail17trampoline_kernelINS0_13select_configILj256ELj13ELNS0_17block_load_methodE3ELS4_3ELS4_3ELNS0_20block_scan_algorithmE0ELj4294967295EEENS1_25partition_config_selectorILNS1_17partition_subalgoE3EjNS0_10empty_typeEbEEZZNS1_14partition_implILS8_3ELb0ES6_jNS0_17counting_iteratorIjlEEPS9_SE_NS0_5tupleIJPjSE_EEENSF_IJSE_SE_EEES9_SG_JZNS1_25segmented_radix_sort_implINS0_14default_configELb0EPK12hip_bfloat16PSL_PKlPlN2at6native12_GLOBAL__N_18offset_tEEE10hipError_tPvRmT1_PNSt15iterator_traitsISZ_E10value_typeET2_T3_PNS10_IS15_E10value_typeET4_jRbjT5_S1B_jjP12ihipStream_tbEUljE_EEESW_SX_SY_S15_S19_S1B_T6_T7_T9_mT8_S1D_bDpT10_ENKUlT_T0_E_clISt17integral_constantIbLb0EES1Q_EEDaS1L_S1M_EUlS1L_E_NS1_11comp_targetILNS1_3genE0ELNS1_11target_archE4294967295ELNS1_3gpuE0ELNS1_3repE0EEENS1_30default_config_static_selectorELNS0_4arch9wavefront6targetE1EEEvSZ_: ; @_ZN7rocprim17ROCPRIM_400000_NS6detail17trampoline_kernelINS0_13select_configILj256ELj13ELNS0_17block_load_methodE3ELS4_3ELS4_3ELNS0_20block_scan_algorithmE0ELj4294967295EEENS1_25partition_config_selectorILNS1_17partition_subalgoE3EjNS0_10empty_typeEbEEZZNS1_14partition_implILS8_3ELb0ES6_jNS0_17counting_iteratorIjlEEPS9_SE_NS0_5tupleIJPjSE_EEENSF_IJSE_SE_EEES9_SG_JZNS1_25segmented_radix_sort_implINS0_14default_configELb0EPK12hip_bfloat16PSL_PKlPlN2at6native12_GLOBAL__N_18offset_tEEE10hipError_tPvRmT1_PNSt15iterator_traitsISZ_E10value_typeET2_T3_PNS10_IS15_E10value_typeET4_jRbjT5_S1B_jjP12ihipStream_tbEUljE_EEESW_SX_SY_S15_S19_S1B_T6_T7_T9_mT8_S1D_bDpT10_ENKUlT_T0_E_clISt17integral_constantIbLb0EES1Q_EEDaS1L_S1M_EUlS1L_E_NS1_11comp_targetILNS1_3genE0ELNS1_11target_archE4294967295ELNS1_3gpuE0ELNS1_3repE0EEENS1_30default_config_static_selectorELNS0_4arch9wavefront6targetE1EEEvSZ_
; %bb.0:
	.section	.rodata,"a",@progbits
	.p2align	6, 0x0
	.amdhsa_kernel _ZN7rocprim17ROCPRIM_400000_NS6detail17trampoline_kernelINS0_13select_configILj256ELj13ELNS0_17block_load_methodE3ELS4_3ELS4_3ELNS0_20block_scan_algorithmE0ELj4294967295EEENS1_25partition_config_selectorILNS1_17partition_subalgoE3EjNS0_10empty_typeEbEEZZNS1_14partition_implILS8_3ELb0ES6_jNS0_17counting_iteratorIjlEEPS9_SE_NS0_5tupleIJPjSE_EEENSF_IJSE_SE_EEES9_SG_JZNS1_25segmented_radix_sort_implINS0_14default_configELb0EPK12hip_bfloat16PSL_PKlPlN2at6native12_GLOBAL__N_18offset_tEEE10hipError_tPvRmT1_PNSt15iterator_traitsISZ_E10value_typeET2_T3_PNS10_IS15_E10value_typeET4_jRbjT5_S1B_jjP12ihipStream_tbEUljE_EEESW_SX_SY_S15_S19_S1B_T6_T7_T9_mT8_S1D_bDpT10_ENKUlT_T0_E_clISt17integral_constantIbLb0EES1Q_EEDaS1L_S1M_EUlS1L_E_NS1_11comp_targetILNS1_3genE0ELNS1_11target_archE4294967295ELNS1_3gpuE0ELNS1_3repE0EEENS1_30default_config_static_selectorELNS0_4arch9wavefront6targetE1EEEvSZ_
		.amdhsa_group_segment_fixed_size 0
		.amdhsa_private_segment_fixed_size 0
		.amdhsa_kernarg_size 144
		.amdhsa_user_sgpr_count 6
		.amdhsa_user_sgpr_private_segment_buffer 1
		.amdhsa_user_sgpr_dispatch_ptr 0
		.amdhsa_user_sgpr_queue_ptr 0
		.amdhsa_user_sgpr_kernarg_segment_ptr 1
		.amdhsa_user_sgpr_dispatch_id 0
		.amdhsa_user_sgpr_flat_scratch_init 0
		.amdhsa_user_sgpr_kernarg_preload_length 0
		.amdhsa_user_sgpr_kernarg_preload_offset 0
		.amdhsa_user_sgpr_private_segment_size 0
		.amdhsa_uses_dynamic_stack 0
		.amdhsa_system_sgpr_private_segment_wavefront_offset 0
		.amdhsa_system_sgpr_workgroup_id_x 1
		.amdhsa_system_sgpr_workgroup_id_y 0
		.amdhsa_system_sgpr_workgroup_id_z 0
		.amdhsa_system_sgpr_workgroup_info 0
		.amdhsa_system_vgpr_workitem_id 0
		.amdhsa_next_free_vgpr 1
		.amdhsa_next_free_sgpr 0
		.amdhsa_accum_offset 4
		.amdhsa_reserve_vcc 0
		.amdhsa_reserve_flat_scratch 0
		.amdhsa_float_round_mode_32 0
		.amdhsa_float_round_mode_16_64 0
		.amdhsa_float_denorm_mode_32 3
		.amdhsa_float_denorm_mode_16_64 3
		.amdhsa_dx10_clamp 1
		.amdhsa_ieee_mode 1
		.amdhsa_fp16_overflow 0
		.amdhsa_tg_split 0
		.amdhsa_exception_fp_ieee_invalid_op 0
		.amdhsa_exception_fp_denorm_src 0
		.amdhsa_exception_fp_ieee_div_zero 0
		.amdhsa_exception_fp_ieee_overflow 0
		.amdhsa_exception_fp_ieee_underflow 0
		.amdhsa_exception_fp_ieee_inexact 0
		.amdhsa_exception_int_div_zero 0
	.end_amdhsa_kernel
	.section	.text._ZN7rocprim17ROCPRIM_400000_NS6detail17trampoline_kernelINS0_13select_configILj256ELj13ELNS0_17block_load_methodE3ELS4_3ELS4_3ELNS0_20block_scan_algorithmE0ELj4294967295EEENS1_25partition_config_selectorILNS1_17partition_subalgoE3EjNS0_10empty_typeEbEEZZNS1_14partition_implILS8_3ELb0ES6_jNS0_17counting_iteratorIjlEEPS9_SE_NS0_5tupleIJPjSE_EEENSF_IJSE_SE_EEES9_SG_JZNS1_25segmented_radix_sort_implINS0_14default_configELb0EPK12hip_bfloat16PSL_PKlPlN2at6native12_GLOBAL__N_18offset_tEEE10hipError_tPvRmT1_PNSt15iterator_traitsISZ_E10value_typeET2_T3_PNS10_IS15_E10value_typeET4_jRbjT5_S1B_jjP12ihipStream_tbEUljE_EEESW_SX_SY_S15_S19_S1B_T6_T7_T9_mT8_S1D_bDpT10_ENKUlT_T0_E_clISt17integral_constantIbLb0EES1Q_EEDaS1L_S1M_EUlS1L_E_NS1_11comp_targetILNS1_3genE0ELNS1_11target_archE4294967295ELNS1_3gpuE0ELNS1_3repE0EEENS1_30default_config_static_selectorELNS0_4arch9wavefront6targetE1EEEvSZ_,"axG",@progbits,_ZN7rocprim17ROCPRIM_400000_NS6detail17trampoline_kernelINS0_13select_configILj256ELj13ELNS0_17block_load_methodE3ELS4_3ELS4_3ELNS0_20block_scan_algorithmE0ELj4294967295EEENS1_25partition_config_selectorILNS1_17partition_subalgoE3EjNS0_10empty_typeEbEEZZNS1_14partition_implILS8_3ELb0ES6_jNS0_17counting_iteratorIjlEEPS9_SE_NS0_5tupleIJPjSE_EEENSF_IJSE_SE_EEES9_SG_JZNS1_25segmented_radix_sort_implINS0_14default_configELb0EPK12hip_bfloat16PSL_PKlPlN2at6native12_GLOBAL__N_18offset_tEEE10hipError_tPvRmT1_PNSt15iterator_traitsISZ_E10value_typeET2_T3_PNS10_IS15_E10value_typeET4_jRbjT5_S1B_jjP12ihipStream_tbEUljE_EEESW_SX_SY_S15_S19_S1B_T6_T7_T9_mT8_S1D_bDpT10_ENKUlT_T0_E_clISt17integral_constantIbLb0EES1Q_EEDaS1L_S1M_EUlS1L_E_NS1_11comp_targetILNS1_3genE0ELNS1_11target_archE4294967295ELNS1_3gpuE0ELNS1_3repE0EEENS1_30default_config_static_selectorELNS0_4arch9wavefront6targetE1EEEvSZ_,comdat
.Lfunc_end2015:
	.size	_ZN7rocprim17ROCPRIM_400000_NS6detail17trampoline_kernelINS0_13select_configILj256ELj13ELNS0_17block_load_methodE3ELS4_3ELS4_3ELNS0_20block_scan_algorithmE0ELj4294967295EEENS1_25partition_config_selectorILNS1_17partition_subalgoE3EjNS0_10empty_typeEbEEZZNS1_14partition_implILS8_3ELb0ES6_jNS0_17counting_iteratorIjlEEPS9_SE_NS0_5tupleIJPjSE_EEENSF_IJSE_SE_EEES9_SG_JZNS1_25segmented_radix_sort_implINS0_14default_configELb0EPK12hip_bfloat16PSL_PKlPlN2at6native12_GLOBAL__N_18offset_tEEE10hipError_tPvRmT1_PNSt15iterator_traitsISZ_E10value_typeET2_T3_PNS10_IS15_E10value_typeET4_jRbjT5_S1B_jjP12ihipStream_tbEUljE_EEESW_SX_SY_S15_S19_S1B_T6_T7_T9_mT8_S1D_bDpT10_ENKUlT_T0_E_clISt17integral_constantIbLb0EES1Q_EEDaS1L_S1M_EUlS1L_E_NS1_11comp_targetILNS1_3genE0ELNS1_11target_archE4294967295ELNS1_3gpuE0ELNS1_3repE0EEENS1_30default_config_static_selectorELNS0_4arch9wavefront6targetE1EEEvSZ_, .Lfunc_end2015-_ZN7rocprim17ROCPRIM_400000_NS6detail17trampoline_kernelINS0_13select_configILj256ELj13ELNS0_17block_load_methodE3ELS4_3ELS4_3ELNS0_20block_scan_algorithmE0ELj4294967295EEENS1_25partition_config_selectorILNS1_17partition_subalgoE3EjNS0_10empty_typeEbEEZZNS1_14partition_implILS8_3ELb0ES6_jNS0_17counting_iteratorIjlEEPS9_SE_NS0_5tupleIJPjSE_EEENSF_IJSE_SE_EEES9_SG_JZNS1_25segmented_radix_sort_implINS0_14default_configELb0EPK12hip_bfloat16PSL_PKlPlN2at6native12_GLOBAL__N_18offset_tEEE10hipError_tPvRmT1_PNSt15iterator_traitsISZ_E10value_typeET2_T3_PNS10_IS15_E10value_typeET4_jRbjT5_S1B_jjP12ihipStream_tbEUljE_EEESW_SX_SY_S15_S19_S1B_T6_T7_T9_mT8_S1D_bDpT10_ENKUlT_T0_E_clISt17integral_constantIbLb0EES1Q_EEDaS1L_S1M_EUlS1L_E_NS1_11comp_targetILNS1_3genE0ELNS1_11target_archE4294967295ELNS1_3gpuE0ELNS1_3repE0EEENS1_30default_config_static_selectorELNS0_4arch9wavefront6targetE1EEEvSZ_
                                        ; -- End function
	.section	.AMDGPU.csdata,"",@progbits
; Kernel info:
; codeLenInByte = 0
; NumSgprs: 4
; NumVgprs: 0
; NumAgprs: 0
; TotalNumVgprs: 0
; ScratchSize: 0
; MemoryBound: 0
; FloatMode: 240
; IeeeMode: 1
; LDSByteSize: 0 bytes/workgroup (compile time only)
; SGPRBlocks: 0
; VGPRBlocks: 0
; NumSGPRsForWavesPerEU: 4
; NumVGPRsForWavesPerEU: 1
; AccumOffset: 4
; Occupancy: 8
; WaveLimiterHint : 0
; COMPUTE_PGM_RSRC2:SCRATCH_EN: 0
; COMPUTE_PGM_RSRC2:USER_SGPR: 6
; COMPUTE_PGM_RSRC2:TRAP_HANDLER: 0
; COMPUTE_PGM_RSRC2:TGID_X_EN: 1
; COMPUTE_PGM_RSRC2:TGID_Y_EN: 0
; COMPUTE_PGM_RSRC2:TGID_Z_EN: 0
; COMPUTE_PGM_RSRC2:TIDIG_COMP_CNT: 0
; COMPUTE_PGM_RSRC3_GFX90A:ACCUM_OFFSET: 0
; COMPUTE_PGM_RSRC3_GFX90A:TG_SPLIT: 0
	.section	.text._ZN7rocprim17ROCPRIM_400000_NS6detail17trampoline_kernelINS0_13select_configILj256ELj13ELNS0_17block_load_methodE3ELS4_3ELS4_3ELNS0_20block_scan_algorithmE0ELj4294967295EEENS1_25partition_config_selectorILNS1_17partition_subalgoE3EjNS0_10empty_typeEbEEZZNS1_14partition_implILS8_3ELb0ES6_jNS0_17counting_iteratorIjlEEPS9_SE_NS0_5tupleIJPjSE_EEENSF_IJSE_SE_EEES9_SG_JZNS1_25segmented_radix_sort_implINS0_14default_configELb0EPK12hip_bfloat16PSL_PKlPlN2at6native12_GLOBAL__N_18offset_tEEE10hipError_tPvRmT1_PNSt15iterator_traitsISZ_E10value_typeET2_T3_PNS10_IS15_E10value_typeET4_jRbjT5_S1B_jjP12ihipStream_tbEUljE_EEESW_SX_SY_S15_S19_S1B_T6_T7_T9_mT8_S1D_bDpT10_ENKUlT_T0_E_clISt17integral_constantIbLb0EES1Q_EEDaS1L_S1M_EUlS1L_E_NS1_11comp_targetILNS1_3genE5ELNS1_11target_archE942ELNS1_3gpuE9ELNS1_3repE0EEENS1_30default_config_static_selectorELNS0_4arch9wavefront6targetE1EEEvSZ_,"axG",@progbits,_ZN7rocprim17ROCPRIM_400000_NS6detail17trampoline_kernelINS0_13select_configILj256ELj13ELNS0_17block_load_methodE3ELS4_3ELS4_3ELNS0_20block_scan_algorithmE0ELj4294967295EEENS1_25partition_config_selectorILNS1_17partition_subalgoE3EjNS0_10empty_typeEbEEZZNS1_14partition_implILS8_3ELb0ES6_jNS0_17counting_iteratorIjlEEPS9_SE_NS0_5tupleIJPjSE_EEENSF_IJSE_SE_EEES9_SG_JZNS1_25segmented_radix_sort_implINS0_14default_configELb0EPK12hip_bfloat16PSL_PKlPlN2at6native12_GLOBAL__N_18offset_tEEE10hipError_tPvRmT1_PNSt15iterator_traitsISZ_E10value_typeET2_T3_PNS10_IS15_E10value_typeET4_jRbjT5_S1B_jjP12ihipStream_tbEUljE_EEESW_SX_SY_S15_S19_S1B_T6_T7_T9_mT8_S1D_bDpT10_ENKUlT_T0_E_clISt17integral_constantIbLb0EES1Q_EEDaS1L_S1M_EUlS1L_E_NS1_11comp_targetILNS1_3genE5ELNS1_11target_archE942ELNS1_3gpuE9ELNS1_3repE0EEENS1_30default_config_static_selectorELNS0_4arch9wavefront6targetE1EEEvSZ_,comdat
	.globl	_ZN7rocprim17ROCPRIM_400000_NS6detail17trampoline_kernelINS0_13select_configILj256ELj13ELNS0_17block_load_methodE3ELS4_3ELS4_3ELNS0_20block_scan_algorithmE0ELj4294967295EEENS1_25partition_config_selectorILNS1_17partition_subalgoE3EjNS0_10empty_typeEbEEZZNS1_14partition_implILS8_3ELb0ES6_jNS0_17counting_iteratorIjlEEPS9_SE_NS0_5tupleIJPjSE_EEENSF_IJSE_SE_EEES9_SG_JZNS1_25segmented_radix_sort_implINS0_14default_configELb0EPK12hip_bfloat16PSL_PKlPlN2at6native12_GLOBAL__N_18offset_tEEE10hipError_tPvRmT1_PNSt15iterator_traitsISZ_E10value_typeET2_T3_PNS10_IS15_E10value_typeET4_jRbjT5_S1B_jjP12ihipStream_tbEUljE_EEESW_SX_SY_S15_S19_S1B_T6_T7_T9_mT8_S1D_bDpT10_ENKUlT_T0_E_clISt17integral_constantIbLb0EES1Q_EEDaS1L_S1M_EUlS1L_E_NS1_11comp_targetILNS1_3genE5ELNS1_11target_archE942ELNS1_3gpuE9ELNS1_3repE0EEENS1_30default_config_static_selectorELNS0_4arch9wavefront6targetE1EEEvSZ_ ; -- Begin function _ZN7rocprim17ROCPRIM_400000_NS6detail17trampoline_kernelINS0_13select_configILj256ELj13ELNS0_17block_load_methodE3ELS4_3ELS4_3ELNS0_20block_scan_algorithmE0ELj4294967295EEENS1_25partition_config_selectorILNS1_17partition_subalgoE3EjNS0_10empty_typeEbEEZZNS1_14partition_implILS8_3ELb0ES6_jNS0_17counting_iteratorIjlEEPS9_SE_NS0_5tupleIJPjSE_EEENSF_IJSE_SE_EEES9_SG_JZNS1_25segmented_radix_sort_implINS0_14default_configELb0EPK12hip_bfloat16PSL_PKlPlN2at6native12_GLOBAL__N_18offset_tEEE10hipError_tPvRmT1_PNSt15iterator_traitsISZ_E10value_typeET2_T3_PNS10_IS15_E10value_typeET4_jRbjT5_S1B_jjP12ihipStream_tbEUljE_EEESW_SX_SY_S15_S19_S1B_T6_T7_T9_mT8_S1D_bDpT10_ENKUlT_T0_E_clISt17integral_constantIbLb0EES1Q_EEDaS1L_S1M_EUlS1L_E_NS1_11comp_targetILNS1_3genE5ELNS1_11target_archE942ELNS1_3gpuE9ELNS1_3repE0EEENS1_30default_config_static_selectorELNS0_4arch9wavefront6targetE1EEEvSZ_
	.p2align	8
	.type	_ZN7rocprim17ROCPRIM_400000_NS6detail17trampoline_kernelINS0_13select_configILj256ELj13ELNS0_17block_load_methodE3ELS4_3ELS4_3ELNS0_20block_scan_algorithmE0ELj4294967295EEENS1_25partition_config_selectorILNS1_17partition_subalgoE3EjNS0_10empty_typeEbEEZZNS1_14partition_implILS8_3ELb0ES6_jNS0_17counting_iteratorIjlEEPS9_SE_NS0_5tupleIJPjSE_EEENSF_IJSE_SE_EEES9_SG_JZNS1_25segmented_radix_sort_implINS0_14default_configELb0EPK12hip_bfloat16PSL_PKlPlN2at6native12_GLOBAL__N_18offset_tEEE10hipError_tPvRmT1_PNSt15iterator_traitsISZ_E10value_typeET2_T3_PNS10_IS15_E10value_typeET4_jRbjT5_S1B_jjP12ihipStream_tbEUljE_EEESW_SX_SY_S15_S19_S1B_T6_T7_T9_mT8_S1D_bDpT10_ENKUlT_T0_E_clISt17integral_constantIbLb0EES1Q_EEDaS1L_S1M_EUlS1L_E_NS1_11comp_targetILNS1_3genE5ELNS1_11target_archE942ELNS1_3gpuE9ELNS1_3repE0EEENS1_30default_config_static_selectorELNS0_4arch9wavefront6targetE1EEEvSZ_,@function
_ZN7rocprim17ROCPRIM_400000_NS6detail17trampoline_kernelINS0_13select_configILj256ELj13ELNS0_17block_load_methodE3ELS4_3ELS4_3ELNS0_20block_scan_algorithmE0ELj4294967295EEENS1_25partition_config_selectorILNS1_17partition_subalgoE3EjNS0_10empty_typeEbEEZZNS1_14partition_implILS8_3ELb0ES6_jNS0_17counting_iteratorIjlEEPS9_SE_NS0_5tupleIJPjSE_EEENSF_IJSE_SE_EEES9_SG_JZNS1_25segmented_radix_sort_implINS0_14default_configELb0EPK12hip_bfloat16PSL_PKlPlN2at6native12_GLOBAL__N_18offset_tEEE10hipError_tPvRmT1_PNSt15iterator_traitsISZ_E10value_typeET2_T3_PNS10_IS15_E10value_typeET4_jRbjT5_S1B_jjP12ihipStream_tbEUljE_EEESW_SX_SY_S15_S19_S1B_T6_T7_T9_mT8_S1D_bDpT10_ENKUlT_T0_E_clISt17integral_constantIbLb0EES1Q_EEDaS1L_S1M_EUlS1L_E_NS1_11comp_targetILNS1_3genE5ELNS1_11target_archE942ELNS1_3gpuE9ELNS1_3repE0EEENS1_30default_config_static_selectorELNS0_4arch9wavefront6targetE1EEEvSZ_: ; @_ZN7rocprim17ROCPRIM_400000_NS6detail17trampoline_kernelINS0_13select_configILj256ELj13ELNS0_17block_load_methodE3ELS4_3ELS4_3ELNS0_20block_scan_algorithmE0ELj4294967295EEENS1_25partition_config_selectorILNS1_17partition_subalgoE3EjNS0_10empty_typeEbEEZZNS1_14partition_implILS8_3ELb0ES6_jNS0_17counting_iteratorIjlEEPS9_SE_NS0_5tupleIJPjSE_EEENSF_IJSE_SE_EEES9_SG_JZNS1_25segmented_radix_sort_implINS0_14default_configELb0EPK12hip_bfloat16PSL_PKlPlN2at6native12_GLOBAL__N_18offset_tEEE10hipError_tPvRmT1_PNSt15iterator_traitsISZ_E10value_typeET2_T3_PNS10_IS15_E10value_typeET4_jRbjT5_S1B_jjP12ihipStream_tbEUljE_EEESW_SX_SY_S15_S19_S1B_T6_T7_T9_mT8_S1D_bDpT10_ENKUlT_T0_E_clISt17integral_constantIbLb0EES1Q_EEDaS1L_S1M_EUlS1L_E_NS1_11comp_targetILNS1_3genE5ELNS1_11target_archE942ELNS1_3gpuE9ELNS1_3repE0EEENS1_30default_config_static_selectorELNS0_4arch9wavefront6targetE1EEEvSZ_
; %bb.0:
	.section	.rodata,"a",@progbits
	.p2align	6, 0x0
	.amdhsa_kernel _ZN7rocprim17ROCPRIM_400000_NS6detail17trampoline_kernelINS0_13select_configILj256ELj13ELNS0_17block_load_methodE3ELS4_3ELS4_3ELNS0_20block_scan_algorithmE0ELj4294967295EEENS1_25partition_config_selectorILNS1_17partition_subalgoE3EjNS0_10empty_typeEbEEZZNS1_14partition_implILS8_3ELb0ES6_jNS0_17counting_iteratorIjlEEPS9_SE_NS0_5tupleIJPjSE_EEENSF_IJSE_SE_EEES9_SG_JZNS1_25segmented_radix_sort_implINS0_14default_configELb0EPK12hip_bfloat16PSL_PKlPlN2at6native12_GLOBAL__N_18offset_tEEE10hipError_tPvRmT1_PNSt15iterator_traitsISZ_E10value_typeET2_T3_PNS10_IS15_E10value_typeET4_jRbjT5_S1B_jjP12ihipStream_tbEUljE_EEESW_SX_SY_S15_S19_S1B_T6_T7_T9_mT8_S1D_bDpT10_ENKUlT_T0_E_clISt17integral_constantIbLb0EES1Q_EEDaS1L_S1M_EUlS1L_E_NS1_11comp_targetILNS1_3genE5ELNS1_11target_archE942ELNS1_3gpuE9ELNS1_3repE0EEENS1_30default_config_static_selectorELNS0_4arch9wavefront6targetE1EEEvSZ_
		.amdhsa_group_segment_fixed_size 0
		.amdhsa_private_segment_fixed_size 0
		.amdhsa_kernarg_size 144
		.amdhsa_user_sgpr_count 6
		.amdhsa_user_sgpr_private_segment_buffer 1
		.amdhsa_user_sgpr_dispatch_ptr 0
		.amdhsa_user_sgpr_queue_ptr 0
		.amdhsa_user_sgpr_kernarg_segment_ptr 1
		.amdhsa_user_sgpr_dispatch_id 0
		.amdhsa_user_sgpr_flat_scratch_init 0
		.amdhsa_user_sgpr_kernarg_preload_length 0
		.amdhsa_user_sgpr_kernarg_preload_offset 0
		.amdhsa_user_sgpr_private_segment_size 0
		.amdhsa_uses_dynamic_stack 0
		.amdhsa_system_sgpr_private_segment_wavefront_offset 0
		.amdhsa_system_sgpr_workgroup_id_x 1
		.amdhsa_system_sgpr_workgroup_id_y 0
		.amdhsa_system_sgpr_workgroup_id_z 0
		.amdhsa_system_sgpr_workgroup_info 0
		.amdhsa_system_vgpr_workitem_id 0
		.amdhsa_next_free_vgpr 1
		.amdhsa_next_free_sgpr 0
		.amdhsa_accum_offset 4
		.amdhsa_reserve_vcc 0
		.amdhsa_reserve_flat_scratch 0
		.amdhsa_float_round_mode_32 0
		.amdhsa_float_round_mode_16_64 0
		.amdhsa_float_denorm_mode_32 3
		.amdhsa_float_denorm_mode_16_64 3
		.amdhsa_dx10_clamp 1
		.amdhsa_ieee_mode 1
		.amdhsa_fp16_overflow 0
		.amdhsa_tg_split 0
		.amdhsa_exception_fp_ieee_invalid_op 0
		.amdhsa_exception_fp_denorm_src 0
		.amdhsa_exception_fp_ieee_div_zero 0
		.amdhsa_exception_fp_ieee_overflow 0
		.amdhsa_exception_fp_ieee_underflow 0
		.amdhsa_exception_fp_ieee_inexact 0
		.amdhsa_exception_int_div_zero 0
	.end_amdhsa_kernel
	.section	.text._ZN7rocprim17ROCPRIM_400000_NS6detail17trampoline_kernelINS0_13select_configILj256ELj13ELNS0_17block_load_methodE3ELS4_3ELS4_3ELNS0_20block_scan_algorithmE0ELj4294967295EEENS1_25partition_config_selectorILNS1_17partition_subalgoE3EjNS0_10empty_typeEbEEZZNS1_14partition_implILS8_3ELb0ES6_jNS0_17counting_iteratorIjlEEPS9_SE_NS0_5tupleIJPjSE_EEENSF_IJSE_SE_EEES9_SG_JZNS1_25segmented_radix_sort_implINS0_14default_configELb0EPK12hip_bfloat16PSL_PKlPlN2at6native12_GLOBAL__N_18offset_tEEE10hipError_tPvRmT1_PNSt15iterator_traitsISZ_E10value_typeET2_T3_PNS10_IS15_E10value_typeET4_jRbjT5_S1B_jjP12ihipStream_tbEUljE_EEESW_SX_SY_S15_S19_S1B_T6_T7_T9_mT8_S1D_bDpT10_ENKUlT_T0_E_clISt17integral_constantIbLb0EES1Q_EEDaS1L_S1M_EUlS1L_E_NS1_11comp_targetILNS1_3genE5ELNS1_11target_archE942ELNS1_3gpuE9ELNS1_3repE0EEENS1_30default_config_static_selectorELNS0_4arch9wavefront6targetE1EEEvSZ_,"axG",@progbits,_ZN7rocprim17ROCPRIM_400000_NS6detail17trampoline_kernelINS0_13select_configILj256ELj13ELNS0_17block_load_methodE3ELS4_3ELS4_3ELNS0_20block_scan_algorithmE0ELj4294967295EEENS1_25partition_config_selectorILNS1_17partition_subalgoE3EjNS0_10empty_typeEbEEZZNS1_14partition_implILS8_3ELb0ES6_jNS0_17counting_iteratorIjlEEPS9_SE_NS0_5tupleIJPjSE_EEENSF_IJSE_SE_EEES9_SG_JZNS1_25segmented_radix_sort_implINS0_14default_configELb0EPK12hip_bfloat16PSL_PKlPlN2at6native12_GLOBAL__N_18offset_tEEE10hipError_tPvRmT1_PNSt15iterator_traitsISZ_E10value_typeET2_T3_PNS10_IS15_E10value_typeET4_jRbjT5_S1B_jjP12ihipStream_tbEUljE_EEESW_SX_SY_S15_S19_S1B_T6_T7_T9_mT8_S1D_bDpT10_ENKUlT_T0_E_clISt17integral_constantIbLb0EES1Q_EEDaS1L_S1M_EUlS1L_E_NS1_11comp_targetILNS1_3genE5ELNS1_11target_archE942ELNS1_3gpuE9ELNS1_3repE0EEENS1_30default_config_static_selectorELNS0_4arch9wavefront6targetE1EEEvSZ_,comdat
.Lfunc_end2016:
	.size	_ZN7rocprim17ROCPRIM_400000_NS6detail17trampoline_kernelINS0_13select_configILj256ELj13ELNS0_17block_load_methodE3ELS4_3ELS4_3ELNS0_20block_scan_algorithmE0ELj4294967295EEENS1_25partition_config_selectorILNS1_17partition_subalgoE3EjNS0_10empty_typeEbEEZZNS1_14partition_implILS8_3ELb0ES6_jNS0_17counting_iteratorIjlEEPS9_SE_NS0_5tupleIJPjSE_EEENSF_IJSE_SE_EEES9_SG_JZNS1_25segmented_radix_sort_implINS0_14default_configELb0EPK12hip_bfloat16PSL_PKlPlN2at6native12_GLOBAL__N_18offset_tEEE10hipError_tPvRmT1_PNSt15iterator_traitsISZ_E10value_typeET2_T3_PNS10_IS15_E10value_typeET4_jRbjT5_S1B_jjP12ihipStream_tbEUljE_EEESW_SX_SY_S15_S19_S1B_T6_T7_T9_mT8_S1D_bDpT10_ENKUlT_T0_E_clISt17integral_constantIbLb0EES1Q_EEDaS1L_S1M_EUlS1L_E_NS1_11comp_targetILNS1_3genE5ELNS1_11target_archE942ELNS1_3gpuE9ELNS1_3repE0EEENS1_30default_config_static_selectorELNS0_4arch9wavefront6targetE1EEEvSZ_, .Lfunc_end2016-_ZN7rocprim17ROCPRIM_400000_NS6detail17trampoline_kernelINS0_13select_configILj256ELj13ELNS0_17block_load_methodE3ELS4_3ELS4_3ELNS0_20block_scan_algorithmE0ELj4294967295EEENS1_25partition_config_selectorILNS1_17partition_subalgoE3EjNS0_10empty_typeEbEEZZNS1_14partition_implILS8_3ELb0ES6_jNS0_17counting_iteratorIjlEEPS9_SE_NS0_5tupleIJPjSE_EEENSF_IJSE_SE_EEES9_SG_JZNS1_25segmented_radix_sort_implINS0_14default_configELb0EPK12hip_bfloat16PSL_PKlPlN2at6native12_GLOBAL__N_18offset_tEEE10hipError_tPvRmT1_PNSt15iterator_traitsISZ_E10value_typeET2_T3_PNS10_IS15_E10value_typeET4_jRbjT5_S1B_jjP12ihipStream_tbEUljE_EEESW_SX_SY_S15_S19_S1B_T6_T7_T9_mT8_S1D_bDpT10_ENKUlT_T0_E_clISt17integral_constantIbLb0EES1Q_EEDaS1L_S1M_EUlS1L_E_NS1_11comp_targetILNS1_3genE5ELNS1_11target_archE942ELNS1_3gpuE9ELNS1_3repE0EEENS1_30default_config_static_selectorELNS0_4arch9wavefront6targetE1EEEvSZ_
                                        ; -- End function
	.section	.AMDGPU.csdata,"",@progbits
; Kernel info:
; codeLenInByte = 0
; NumSgprs: 4
; NumVgprs: 0
; NumAgprs: 0
; TotalNumVgprs: 0
; ScratchSize: 0
; MemoryBound: 0
; FloatMode: 240
; IeeeMode: 1
; LDSByteSize: 0 bytes/workgroup (compile time only)
; SGPRBlocks: 0
; VGPRBlocks: 0
; NumSGPRsForWavesPerEU: 4
; NumVGPRsForWavesPerEU: 1
; AccumOffset: 4
; Occupancy: 8
; WaveLimiterHint : 0
; COMPUTE_PGM_RSRC2:SCRATCH_EN: 0
; COMPUTE_PGM_RSRC2:USER_SGPR: 6
; COMPUTE_PGM_RSRC2:TRAP_HANDLER: 0
; COMPUTE_PGM_RSRC2:TGID_X_EN: 1
; COMPUTE_PGM_RSRC2:TGID_Y_EN: 0
; COMPUTE_PGM_RSRC2:TGID_Z_EN: 0
; COMPUTE_PGM_RSRC2:TIDIG_COMP_CNT: 0
; COMPUTE_PGM_RSRC3_GFX90A:ACCUM_OFFSET: 0
; COMPUTE_PGM_RSRC3_GFX90A:TG_SPLIT: 0
	.section	.text._ZN7rocprim17ROCPRIM_400000_NS6detail17trampoline_kernelINS0_13select_configILj256ELj13ELNS0_17block_load_methodE3ELS4_3ELS4_3ELNS0_20block_scan_algorithmE0ELj4294967295EEENS1_25partition_config_selectorILNS1_17partition_subalgoE3EjNS0_10empty_typeEbEEZZNS1_14partition_implILS8_3ELb0ES6_jNS0_17counting_iteratorIjlEEPS9_SE_NS0_5tupleIJPjSE_EEENSF_IJSE_SE_EEES9_SG_JZNS1_25segmented_radix_sort_implINS0_14default_configELb0EPK12hip_bfloat16PSL_PKlPlN2at6native12_GLOBAL__N_18offset_tEEE10hipError_tPvRmT1_PNSt15iterator_traitsISZ_E10value_typeET2_T3_PNS10_IS15_E10value_typeET4_jRbjT5_S1B_jjP12ihipStream_tbEUljE_EEESW_SX_SY_S15_S19_S1B_T6_T7_T9_mT8_S1D_bDpT10_ENKUlT_T0_E_clISt17integral_constantIbLb0EES1Q_EEDaS1L_S1M_EUlS1L_E_NS1_11comp_targetILNS1_3genE4ELNS1_11target_archE910ELNS1_3gpuE8ELNS1_3repE0EEENS1_30default_config_static_selectorELNS0_4arch9wavefront6targetE1EEEvSZ_,"axG",@progbits,_ZN7rocprim17ROCPRIM_400000_NS6detail17trampoline_kernelINS0_13select_configILj256ELj13ELNS0_17block_load_methodE3ELS4_3ELS4_3ELNS0_20block_scan_algorithmE0ELj4294967295EEENS1_25partition_config_selectorILNS1_17partition_subalgoE3EjNS0_10empty_typeEbEEZZNS1_14partition_implILS8_3ELb0ES6_jNS0_17counting_iteratorIjlEEPS9_SE_NS0_5tupleIJPjSE_EEENSF_IJSE_SE_EEES9_SG_JZNS1_25segmented_radix_sort_implINS0_14default_configELb0EPK12hip_bfloat16PSL_PKlPlN2at6native12_GLOBAL__N_18offset_tEEE10hipError_tPvRmT1_PNSt15iterator_traitsISZ_E10value_typeET2_T3_PNS10_IS15_E10value_typeET4_jRbjT5_S1B_jjP12ihipStream_tbEUljE_EEESW_SX_SY_S15_S19_S1B_T6_T7_T9_mT8_S1D_bDpT10_ENKUlT_T0_E_clISt17integral_constantIbLb0EES1Q_EEDaS1L_S1M_EUlS1L_E_NS1_11comp_targetILNS1_3genE4ELNS1_11target_archE910ELNS1_3gpuE8ELNS1_3repE0EEENS1_30default_config_static_selectorELNS0_4arch9wavefront6targetE1EEEvSZ_,comdat
	.globl	_ZN7rocprim17ROCPRIM_400000_NS6detail17trampoline_kernelINS0_13select_configILj256ELj13ELNS0_17block_load_methodE3ELS4_3ELS4_3ELNS0_20block_scan_algorithmE0ELj4294967295EEENS1_25partition_config_selectorILNS1_17partition_subalgoE3EjNS0_10empty_typeEbEEZZNS1_14partition_implILS8_3ELb0ES6_jNS0_17counting_iteratorIjlEEPS9_SE_NS0_5tupleIJPjSE_EEENSF_IJSE_SE_EEES9_SG_JZNS1_25segmented_radix_sort_implINS0_14default_configELb0EPK12hip_bfloat16PSL_PKlPlN2at6native12_GLOBAL__N_18offset_tEEE10hipError_tPvRmT1_PNSt15iterator_traitsISZ_E10value_typeET2_T3_PNS10_IS15_E10value_typeET4_jRbjT5_S1B_jjP12ihipStream_tbEUljE_EEESW_SX_SY_S15_S19_S1B_T6_T7_T9_mT8_S1D_bDpT10_ENKUlT_T0_E_clISt17integral_constantIbLb0EES1Q_EEDaS1L_S1M_EUlS1L_E_NS1_11comp_targetILNS1_3genE4ELNS1_11target_archE910ELNS1_3gpuE8ELNS1_3repE0EEENS1_30default_config_static_selectorELNS0_4arch9wavefront6targetE1EEEvSZ_ ; -- Begin function _ZN7rocprim17ROCPRIM_400000_NS6detail17trampoline_kernelINS0_13select_configILj256ELj13ELNS0_17block_load_methodE3ELS4_3ELS4_3ELNS0_20block_scan_algorithmE0ELj4294967295EEENS1_25partition_config_selectorILNS1_17partition_subalgoE3EjNS0_10empty_typeEbEEZZNS1_14partition_implILS8_3ELb0ES6_jNS0_17counting_iteratorIjlEEPS9_SE_NS0_5tupleIJPjSE_EEENSF_IJSE_SE_EEES9_SG_JZNS1_25segmented_radix_sort_implINS0_14default_configELb0EPK12hip_bfloat16PSL_PKlPlN2at6native12_GLOBAL__N_18offset_tEEE10hipError_tPvRmT1_PNSt15iterator_traitsISZ_E10value_typeET2_T3_PNS10_IS15_E10value_typeET4_jRbjT5_S1B_jjP12ihipStream_tbEUljE_EEESW_SX_SY_S15_S19_S1B_T6_T7_T9_mT8_S1D_bDpT10_ENKUlT_T0_E_clISt17integral_constantIbLb0EES1Q_EEDaS1L_S1M_EUlS1L_E_NS1_11comp_targetILNS1_3genE4ELNS1_11target_archE910ELNS1_3gpuE8ELNS1_3repE0EEENS1_30default_config_static_selectorELNS0_4arch9wavefront6targetE1EEEvSZ_
	.p2align	8
	.type	_ZN7rocprim17ROCPRIM_400000_NS6detail17trampoline_kernelINS0_13select_configILj256ELj13ELNS0_17block_load_methodE3ELS4_3ELS4_3ELNS0_20block_scan_algorithmE0ELj4294967295EEENS1_25partition_config_selectorILNS1_17partition_subalgoE3EjNS0_10empty_typeEbEEZZNS1_14partition_implILS8_3ELb0ES6_jNS0_17counting_iteratorIjlEEPS9_SE_NS0_5tupleIJPjSE_EEENSF_IJSE_SE_EEES9_SG_JZNS1_25segmented_radix_sort_implINS0_14default_configELb0EPK12hip_bfloat16PSL_PKlPlN2at6native12_GLOBAL__N_18offset_tEEE10hipError_tPvRmT1_PNSt15iterator_traitsISZ_E10value_typeET2_T3_PNS10_IS15_E10value_typeET4_jRbjT5_S1B_jjP12ihipStream_tbEUljE_EEESW_SX_SY_S15_S19_S1B_T6_T7_T9_mT8_S1D_bDpT10_ENKUlT_T0_E_clISt17integral_constantIbLb0EES1Q_EEDaS1L_S1M_EUlS1L_E_NS1_11comp_targetILNS1_3genE4ELNS1_11target_archE910ELNS1_3gpuE8ELNS1_3repE0EEENS1_30default_config_static_selectorELNS0_4arch9wavefront6targetE1EEEvSZ_,@function
_ZN7rocprim17ROCPRIM_400000_NS6detail17trampoline_kernelINS0_13select_configILj256ELj13ELNS0_17block_load_methodE3ELS4_3ELS4_3ELNS0_20block_scan_algorithmE0ELj4294967295EEENS1_25partition_config_selectorILNS1_17partition_subalgoE3EjNS0_10empty_typeEbEEZZNS1_14partition_implILS8_3ELb0ES6_jNS0_17counting_iteratorIjlEEPS9_SE_NS0_5tupleIJPjSE_EEENSF_IJSE_SE_EEES9_SG_JZNS1_25segmented_radix_sort_implINS0_14default_configELb0EPK12hip_bfloat16PSL_PKlPlN2at6native12_GLOBAL__N_18offset_tEEE10hipError_tPvRmT1_PNSt15iterator_traitsISZ_E10value_typeET2_T3_PNS10_IS15_E10value_typeET4_jRbjT5_S1B_jjP12ihipStream_tbEUljE_EEESW_SX_SY_S15_S19_S1B_T6_T7_T9_mT8_S1D_bDpT10_ENKUlT_T0_E_clISt17integral_constantIbLb0EES1Q_EEDaS1L_S1M_EUlS1L_E_NS1_11comp_targetILNS1_3genE4ELNS1_11target_archE910ELNS1_3gpuE8ELNS1_3repE0EEENS1_30default_config_static_selectorELNS0_4arch9wavefront6targetE1EEEvSZ_: ; @_ZN7rocprim17ROCPRIM_400000_NS6detail17trampoline_kernelINS0_13select_configILj256ELj13ELNS0_17block_load_methodE3ELS4_3ELS4_3ELNS0_20block_scan_algorithmE0ELj4294967295EEENS1_25partition_config_selectorILNS1_17partition_subalgoE3EjNS0_10empty_typeEbEEZZNS1_14partition_implILS8_3ELb0ES6_jNS0_17counting_iteratorIjlEEPS9_SE_NS0_5tupleIJPjSE_EEENSF_IJSE_SE_EEES9_SG_JZNS1_25segmented_radix_sort_implINS0_14default_configELb0EPK12hip_bfloat16PSL_PKlPlN2at6native12_GLOBAL__N_18offset_tEEE10hipError_tPvRmT1_PNSt15iterator_traitsISZ_E10value_typeET2_T3_PNS10_IS15_E10value_typeET4_jRbjT5_S1B_jjP12ihipStream_tbEUljE_EEESW_SX_SY_S15_S19_S1B_T6_T7_T9_mT8_S1D_bDpT10_ENKUlT_T0_E_clISt17integral_constantIbLb0EES1Q_EEDaS1L_S1M_EUlS1L_E_NS1_11comp_targetILNS1_3genE4ELNS1_11target_archE910ELNS1_3gpuE8ELNS1_3repE0EEENS1_30default_config_static_selectorELNS0_4arch9wavefront6targetE1EEEvSZ_
; %bb.0:
	s_load_dwordx2 s[26:27], s[4:5], 0x58
	s_load_dwordx4 s[20:23], s[4:5], 0x48
	s_load_dword s13, s[4:5], 0x8
	s_load_dwordx2 s[28:29], s[4:5], 0x10
	s_load_dword s12, s[4:5], 0x70
	s_load_dword s7, s[4:5], 0x88
	s_load_dwordx4 s[8:11], s[4:5], 0x78
	s_waitcnt lgkmcnt(0)
	s_load_dwordx2 s[30:31], s[22:23], 0x0
	v_pk_mov_b32 v[2:3], s[26:27], s[26:27] op_sel:[0,1]
	s_add_i32 s2, s12, -1
	s_mulk_i32 s12, 0xd00
	s_add_u32 s0, s28, s12
	s_addc_u32 s1, s29, 0
	s_cmp_eq_u32 s6, s2
	s_cselect_b64 s[22:23], -1, 0
	s_cmp_lg_u32 s6, s2
	s_mul_i32 s42, s6, 0xd00
	v_cmp_lt_u64_e32 vcc, s[0:1], v[2:3]
	s_cselect_b64 s[0:1], -1, 0
	s_or_b64 s[2:3], s[0:1], vcc
	s_add_i32 s0, s13, s42
	s_add_i32 s0, s0, s28
	v_add_u32_e32 v2, s0, v0
	s_mov_b64 s[0:1], -1
	s_and_b64 vcc, exec, s[2:3]
	v_lshlrev_b32_e32 v1, 2, v0
	s_cbranch_vccz .LBB2017_2
; %bb.1:
	v_add_u32_e32 v3, 0x100, v2
	v_add_u32_e32 v4, 0x200, v2
	;; [unrolled: 1-line block ×12, first 2 shown]
	ds_write2st64_b32 v1, v2, v3 offset1:4
	ds_write2st64_b32 v1, v4, v5 offset0:8 offset1:12
	ds_write2st64_b32 v1, v6, v7 offset0:16 offset1:20
	;; [unrolled: 1-line block ×5, first 2 shown]
	ds_write_b32 v1, v14 offset:12288
	s_waitcnt lgkmcnt(0)
	s_barrier
	s_mov_b64 s[0:1], 0
.LBB2017_2:
	s_andn2_b64 vcc, exec, s[0:1]
	s_add_i32 s12, s12, s28
	s_cbranch_vccnz .LBB2017_4
; %bb.3:
	v_add_u32_e32 v3, 0x100, v2
	v_add_u32_e32 v4, 0x200, v2
	;; [unrolled: 1-line block ×12, first 2 shown]
	ds_write2st64_b32 v1, v2, v3 offset1:4
	ds_write2st64_b32 v1, v4, v5 offset0:8 offset1:12
	ds_write2st64_b32 v1, v6, v7 offset0:16 offset1:20
	;; [unrolled: 1-line block ×5, first 2 shown]
	ds_write_b32 v1, v14 offset:12288
	s_waitcnt lgkmcnt(0)
	s_barrier
.LBB2017_4:
	v_mul_u32_u24_e32 v33, 13, v0
	v_lshlrev_b32_e32 v2, 2, v33
	s_waitcnt lgkmcnt(0)
	ds_read2_b32 v[30:31], v2 offset1:1
	ds_read2_b32 v[28:29], v2 offset0:2 offset1:3
	ds_read2_b32 v[26:27], v2 offset0:4 offset1:5
	;; [unrolled: 1-line block ×5, first 2 shown]
	ds_read_b32 v32, v2 offset:48
	v_cndmask_b32_e64 v2, 0, 1, s[2:3]
	s_sub_i32 s33, s26, s12
	v_cmp_ne_u32_e64 s[0:1], 1, v2
	s_andn2_b64 vcc, exec, s[2:3]
	s_waitcnt lgkmcnt(0)
	s_barrier
	s_cbranch_vccnz .LBB2017_6
; %bb.5:
	v_add_u32_e32 v2, s9, v30
	v_add_u32_e32 v3, s11, v30
	v_mul_lo_u32 v2, v2, s8
	v_mul_lo_u32 v3, v3, s10
	v_sub_u32_e32 v2, v2, v3
	v_add_u32_e32 v3, s9, v31
	v_add_u32_e32 v4, s11, v31
	v_mul_lo_u32 v3, v3, s8
	v_mul_lo_u32 v4, v4, s10
	v_sub_u32_e32 v3, v3, v4
	;; [unrolled: 5-line block ×6, first 2 shown]
	v_add_u32_e32 v8, s9, v24
	v_add_u32_e32 v9, s11, v24
	v_mul_lo_u32 v8, v8, s8
	v_mul_lo_u32 v9, v9, s10
	v_cmp_lt_u32_e32 vcc, s7, v2
	v_sub_u32_e32 v8, v8, v9
	v_add_u32_e32 v9, s9, v25
	v_add_u32_e32 v10, s11, v25
	v_cndmask_b32_e64 v2, 0, 1, vcc
	v_cmp_lt_u32_e32 vcc, s7, v3
	v_mul_lo_u32 v9, v9, s8
	v_mul_lo_u32 v10, v10, s10
	v_cndmask_b32_e64 v3, 0, 1, vcc
	v_cmp_lt_u32_e32 vcc, s7, v4
	v_sub_u32_e32 v9, v9, v10
	v_add_u32_e32 v10, s9, v22
	v_add_u32_e32 v11, s11, v22
	v_cndmask_b32_e64 v4, 0, 1, vcc
	v_cmp_lt_u32_e32 vcc, s7, v5
	v_mul_lo_u32 v10, v10, s8
	v_mul_lo_u32 v11, v11, s10
	v_cndmask_b32_e64 v5, 0, 1, vcc
	;; [unrolled: 9-line block ×4, first 2 shown]
	v_cmp_lt_u32_e32 vcc, s7, v10
	v_sub_u32_e32 v12, v12, v13
	v_add_u32_e32 v13, s9, v21
	v_add_u32_e32 v14, s11, v21
	v_lshlrev_b16_e32 v3, 8, v3
	v_cndmask_b32_e64 v10, 0, 1, vcc
	v_cmp_lt_u32_e32 vcc, s7, v11
	v_mul_lo_u32 v13, v13, s8
	v_mul_lo_u32 v14, v14, s10
	v_or_b32_e32 v2, v2, v3
	v_lshlrev_b16_e32 v3, 8, v5
	v_cndmask_b32_e64 v11, 0, 1, vcc
	v_cmp_lt_u32_e32 vcc, s7, v12
	v_sub_u32_e32 v13, v13, v14
	v_or_b32_sdwa v3, v4, v3 dst_sel:WORD_1 dst_unused:UNUSED_PAD src0_sel:DWORD src1_sel:DWORD
	v_cndmask_b32_e64 v12, 0, 1, vcc
	v_cmp_lt_u32_e32 vcc, s7, v13
	v_add_u32_e32 v14, s9, v32
	v_add_u32_e32 v15, s11, v32
	v_or_b32_sdwa v37, v2, v3 dst_sel:DWORD dst_unused:UNUSED_PAD src0_sel:WORD_0 src1_sel:DWORD
	v_lshlrev_b16_e32 v2, 8, v7
	v_lshlrev_b16_e32 v3, 8, v9
	v_cndmask_b32_e64 v13, 0, 1, vcc
	v_mul_lo_u32 v14, v14, s8
	v_mul_lo_u32 v15, v15, s10
	v_or_b32_e32 v2, v6, v2
	v_or_b32_sdwa v3, v8, v3 dst_sel:WORD_1 dst_unused:UNUSED_PAD src0_sel:DWORD src1_sel:DWORD
	v_sub_u32_e32 v14, v14, v15
	v_or_b32_sdwa v36, v2, v3 dst_sel:DWORD dst_unused:UNUSED_PAD src0_sel:WORD_0 src1_sel:DWORD
	v_lshlrev_b16_e32 v2, 8, v11
	v_lshlrev_b16_e32 v3, 8, v13
	v_cmp_lt_u32_e32 vcc, s7, v14
	v_or_b32_e32 v2, v10, v2
	v_or_b32_sdwa v3, v12, v3 dst_sel:WORD_1 dst_unused:UNUSED_PAD src0_sel:DWORD src1_sel:DWORD
	v_cndmask_b32_e64 v34, 0, 1, vcc
	v_or_b32_sdwa v35, v2, v3 dst_sel:DWORD dst_unused:UNUSED_PAD src0_sel:WORD_0 src1_sel:DWORD
	s_mov_b64 s[2:3], 0
	s_branch .LBB2017_7
.LBB2017_6:
	s_mov_b64 s[2:3], -1
                                        ; implicit-def: $vgpr34
                                        ; implicit-def: $vgpr35
                                        ; implicit-def: $vgpr36
                                        ; implicit-def: $vgpr37
.LBB2017_7:
	s_load_dwordx2 s[24:25], s[4:5], 0x28
	s_load_dwordx2 s[34:35], s[4:5], 0x68
	s_andn2_b64 vcc, exec, s[2:3]
	s_addk_i32 s33, 0xd00
	s_cbranch_vccnz .LBB2017_35
; %bb.8:
	v_cmp_gt_u32_e32 vcc, s33, v33
	v_mov_b32_e32 v3, 0
	v_mov_b32_e32 v2, 0
	s_and_saveexec_b64 s[2:3], vcc
; %bb.9:
	v_add_u32_e32 v2, s9, v30
	v_add_u32_e32 v4, s11, v30
	v_mul_lo_u32 v2, v2, s8
	v_mul_lo_u32 v4, v4, s10
	v_sub_u32_e32 v2, v2, v4
	v_cmp_lt_u32_e32 vcc, s7, v2
	v_cndmask_b32_e64 v2, 0, 1, vcc
; %bb.10:
	s_or_b64 exec, exec, s[2:3]
	v_add_u32_e32 v4, 1, v33
	v_cmp_gt_u32_e32 vcc, s33, v4
	s_and_saveexec_b64 s[2:3], vcc
; %bb.11:
	v_add_u32_e32 v3, s9, v31
	v_add_u32_e32 v4, s11, v31
	v_mul_lo_u32 v3, v3, s8
	v_mul_lo_u32 v4, v4, s10
	v_sub_u32_e32 v3, v3, v4
	v_cmp_lt_u32_e32 vcc, s7, v3
	v_cndmask_b32_e64 v3, 0, 1, vcc
; %bb.12:
	s_or_b64 exec, exec, s[2:3]
	v_add_u32_e32 v4, 2, v33
	v_cmp_gt_u32_e32 vcc, s33, v4
	v_mov_b32_e32 v5, 0
	v_mov_b32_e32 v4, 0
	s_and_saveexec_b64 s[2:3], vcc
; %bb.13:
	v_add_u32_e32 v4, s9, v28
	v_add_u32_e32 v6, s11, v28
	v_mul_lo_u32 v4, v4, s8
	v_mul_lo_u32 v6, v6, s10
	v_sub_u32_e32 v4, v4, v6
	v_cmp_lt_u32_e32 vcc, s7, v4
	v_cndmask_b32_e64 v4, 0, 1, vcc
; %bb.14:
	s_or_b64 exec, exec, s[2:3]
	v_add_u32_e32 v6, 3, v33
	v_cmp_gt_u32_e32 vcc, s33, v6
	s_and_saveexec_b64 s[2:3], vcc
; %bb.15:
	v_add_u32_e32 v5, s9, v29
	v_add_u32_e32 v6, s11, v29
	v_mul_lo_u32 v5, v5, s8
	v_mul_lo_u32 v6, v6, s10
	v_sub_u32_e32 v5, v5, v6
	v_cmp_lt_u32_e32 vcc, s7, v5
	v_cndmask_b32_e64 v5, 0, 1, vcc
; %bb.16:
	s_or_b64 exec, exec, s[2:3]
	v_add_u32_e32 v6, 4, v33
	;; [unrolled: 28-line block ×6, first 2 shown]
	v_cmp_gt_u32_e32 vcc, s33, v14
	v_mov_b32_e32 v34, 0
	s_and_saveexec_b64 s[2:3], vcc
; %bb.33:
	v_add_u32_e32 v14, s9, v32
	v_add_u32_e32 v15, s11, v32
	v_mul_lo_u32 v14, v14, s8
	v_mul_lo_u32 v15, v15, s10
	v_sub_u32_e32 v14, v14, v15
	v_cmp_lt_u32_e32 vcc, s7, v14
	v_cndmask_b32_e64 v34, 0, 1, vcc
; %bb.34:
	s_or_b64 exec, exec, s[2:3]
	v_lshlrev_b16_e32 v3, 8, v3
	v_or_b32_e32 v2, v2, v3
	v_lshlrev_b16_e32 v3, 8, v5
	v_or_b32_sdwa v3, v4, v3 dst_sel:WORD_1 dst_unused:UNUSED_PAD src0_sel:DWORD src1_sel:DWORD
	v_or_b32_sdwa v37, v2, v3 dst_sel:DWORD dst_unused:UNUSED_PAD src0_sel:WORD_0 src1_sel:DWORD
	v_lshlrev_b16_e32 v2, 8, v7
	v_lshlrev_b16_e32 v3, 8, v9
	v_or_b32_e32 v2, v6, v2
	v_or_b32_sdwa v3, v8, v3 dst_sel:WORD_1 dst_unused:UNUSED_PAD src0_sel:DWORD src1_sel:DWORD
	v_or_b32_sdwa v36, v2, v3 dst_sel:DWORD dst_unused:UNUSED_PAD src0_sel:WORD_0 src1_sel:DWORD
	v_lshlrev_b16_e32 v2, 8, v11
	v_lshlrev_b16_e32 v3, 8, v13
	v_or_b32_e32 v2, v10, v2
	v_or_b32_sdwa v3, v12, v3 dst_sel:WORD_1 dst_unused:UNUSED_PAD src0_sel:DWORD src1_sel:DWORD
	v_or_b32_sdwa v35, v2, v3 dst_sel:DWORD dst_unused:UNUSED_PAD src0_sel:WORD_0 src1_sel:DWORD
.LBB2017_35:
	v_and_b32_e32 v41, 0xff, v37
	v_bfe_u32 v42, v37, 8, 8
	v_bfe_u32 v43, v37, 16, 8
	v_lshrrev_b32_e32 v40, 24, v37
	v_and_b32_e32 v44, 0xff, v36
	v_add3_u32 v3, v42, v41, v43
	v_bfe_u32 v45, v36, 8, 8
	v_bfe_u32 v46, v36, 16, 8
	v_add3_u32 v3, v3, v40, v44
	v_lshrrev_b32_e32 v39, 24, v36
	v_and_b32_e32 v47, 0xff, v35
	v_add3_u32 v3, v3, v45, v46
	v_bfe_u32 v48, v35, 8, 8
	v_bfe_u32 v49, v35, 16, 8
	v_add3_u32 v3, v3, v39, v47
	v_lshrrev_b32_e32 v38, 24, v35
	v_and_b32_e32 v2, 0xff, v34
	v_add3_u32 v3, v3, v48, v49
	v_add3_u32 v52, v3, v38, v2
	v_mbcnt_lo_u32_b32 v2, -1, 0
	v_mbcnt_hi_u32_b32 v50, -1, v2
	v_and_b32_e32 v2, 15, v50
	v_cmp_eq_u32_e64 s[14:15], 0, v2
	v_cmp_lt_u32_e64 s[12:13], 1, v2
	v_cmp_lt_u32_e64 s[10:11], 3, v2
	;; [unrolled: 1-line block ×3, first 2 shown]
	v_and_b32_e32 v2, 16, v50
	v_cmp_eq_u32_e64 s[18:19], 0, v2
	v_or_b32_e32 v2, 63, v0
	s_cmp_lg_u32 s6, 0
	v_cmp_lt_u32_e64 s[2:3], 31, v50
	v_lshrrev_b32_e32 v51, 6, v0
	v_cmp_eq_u32_e64 s[4:5], v2, v0
	s_cbranch_scc0 .LBB2017_62
; %bb.36:
	v_mov_b32_dpp v2, v52 row_shr:1 row_mask:0xf bank_mask:0xf
	v_cndmask_b32_e64 v2, v2, 0, s[14:15]
	v_add_u32_e32 v2, v2, v52
	s_nop 1
	v_mov_b32_dpp v3, v2 row_shr:2 row_mask:0xf bank_mask:0xf
	v_cndmask_b32_e64 v3, 0, v3, s[12:13]
	v_add_u32_e32 v2, v2, v3
	s_nop 1
	;; [unrolled: 4-line block ×4, first 2 shown]
	v_mov_b32_dpp v3, v2 row_bcast:15 row_mask:0xf bank_mask:0xf
	v_cndmask_b32_e64 v3, v3, 0, s[18:19]
	v_add_u32_e32 v2, v2, v3
	s_nop 1
	v_mov_b32_dpp v3, v2 row_bcast:31 row_mask:0xf bank_mask:0xf
	v_cndmask_b32_e64 v3, 0, v3, s[2:3]
	v_add_u32_e32 v2, v2, v3
	s_and_saveexec_b64 s[16:17], s[4:5]
	s_cbranch_execz .LBB2017_38
; %bb.37:
	v_lshlrev_b32_e32 v3, 2, v51
	ds_write_b32 v3, v2
.LBB2017_38:
	s_or_b64 exec, exec, s[16:17]
	v_cmp_gt_u32_e32 vcc, 4, v0
	s_waitcnt lgkmcnt(0)
	s_barrier
	s_and_saveexec_b64 s[16:17], vcc
	s_cbranch_execz .LBB2017_40
; %bb.39:
	ds_read_b32 v3, v1
	v_and_b32_e32 v4, 3, v50
	v_cmp_ne_u32_e32 vcc, 0, v4
	s_waitcnt lgkmcnt(0)
	v_mov_b32_dpp v5, v3 row_shr:1 row_mask:0xf bank_mask:0xf
	v_cndmask_b32_e32 v5, 0, v5, vcc
	v_add_u32_e32 v3, v5, v3
	v_cmp_lt_u32_e32 vcc, 1, v4
	s_nop 0
	v_mov_b32_dpp v5, v3 row_shr:2 row_mask:0xf bank_mask:0xf
	v_cndmask_b32_e32 v4, 0, v5, vcc
	v_add_u32_e32 v3, v3, v4
	ds_write_b32 v1, v3
.LBB2017_40:
	s_or_b64 exec, exec, s[16:17]
	v_cmp_gt_u32_e32 vcc, 64, v0
	v_cmp_lt_u32_e64 s[16:17], 63, v0
	s_waitcnt lgkmcnt(0)
	s_barrier
	s_waitcnt lgkmcnt(0)
                                        ; implicit-def: $vgpr12
	s_and_saveexec_b64 s[36:37], s[16:17]
	s_cbranch_execz .LBB2017_42
; %bb.41:
	v_lshl_add_u32 v3, v51, 2, -4
	ds_read_b32 v12, v3
	s_waitcnt lgkmcnt(0)
	v_add_u32_e32 v2, v12, v2
.LBB2017_42:
	s_or_b64 exec, exec, s[36:37]
	v_add_u32_e32 v3, -1, v50
	v_and_b32_e32 v4, 64, v50
	v_cmp_lt_i32_e64 s[16:17], v3, v4
	v_cndmask_b32_e64 v3, v3, v50, s[16:17]
	v_lshlrev_b32_e32 v3, 2, v3
	ds_bpermute_b32 v13, v3, v2
	v_cmp_eq_u32_e64 s[16:17], 0, v50
	s_and_saveexec_b64 s[36:37], vcc
	s_cbranch_execz .LBB2017_61
; %bb.43:
	v_mov_b32_e32 v9, 0
	ds_read_b32 v2, v9 offset:12
	s_and_saveexec_b64 s[38:39], s[16:17]
	s_cbranch_execz .LBB2017_45
; %bb.44:
	s_add_i32 s40, s6, 64
	s_mov_b32 s41, 0
	s_lshl_b64 s[40:41], s[40:41], 3
	s_add_u32 s40, s34, s40
	v_mov_b32_e32 v3, 1
	s_addc_u32 s41, s35, s41
	s_waitcnt lgkmcnt(0)
	global_store_dwordx2 v9, v[2:3], s[40:41]
.LBB2017_45:
	s_or_b64 exec, exec, s[38:39]
	v_xad_u32 v4, v50, -1, s6
	v_add_u32_e32 v8, 64, v4
	v_lshlrev_b64 v[6:7], 3, v[8:9]
	v_mov_b32_e32 v3, s35
	v_add_co_u32_e32 v10, vcc, s34, v6
	v_addc_co_u32_e32 v11, vcc, v3, v7, vcc
	global_load_dwordx2 v[6:7], v[10:11], off glc
	s_waitcnt vmcnt(0)
	v_cmp_eq_u16_sdwa s[40:41], v7, v9 src0_sel:BYTE_0 src1_sel:DWORD
	s_and_saveexec_b64 s[38:39], s[40:41]
	s_cbranch_execz .LBB2017_49
; %bb.46:
	s_mov_b64 s[40:41], 0
	v_mov_b32_e32 v3, 0
.LBB2017_47:                            ; =>This Inner Loop Header: Depth=1
	global_load_dwordx2 v[6:7], v[10:11], off glc
	s_waitcnt vmcnt(0)
	v_cmp_ne_u16_sdwa s[44:45], v7, v3 src0_sel:BYTE_0 src1_sel:DWORD
	s_or_b64 s[40:41], s[44:45], s[40:41]
	s_andn2_b64 exec, exec, s[40:41]
	s_cbranch_execnz .LBB2017_47
; %bb.48:
	s_or_b64 exec, exec, s[40:41]
.LBB2017_49:
	s_or_b64 exec, exec, s[38:39]
	v_and_b32_e32 v14, 63, v50
	v_mov_b32_e32 v3, 2
	v_cmp_ne_u32_e32 vcc, 63, v14
	v_cmp_eq_u16_sdwa s[38:39], v7, v3 src0_sel:BYTE_0 src1_sel:DWORD
	v_lshlrev_b64 v[8:9], v50, -1
	v_addc_co_u32_e32 v11, vcc, 0, v50, vcc
	v_and_b32_e32 v5, s39, v9
	v_lshlrev_b32_e32 v15, 2, v11
	v_or_b32_e32 v5, 0x80000000, v5
	ds_bpermute_b32 v11, v15, v6
	v_and_b32_e32 v10, s38, v8
	v_ffbl_b32_e32 v5, v5
	v_add_u32_e32 v5, 32, v5
	v_ffbl_b32_e32 v10, v10
	v_min_u32_e32 v5, v10, v5
	v_cmp_lt_u32_e32 vcc, v14, v5
	s_waitcnt lgkmcnt(0)
	v_cndmask_b32_e32 v10, 0, v11, vcc
	v_cmp_gt_u32_e32 vcc, 62, v14
	v_add_u32_e32 v6, v10, v6
	v_cndmask_b32_e64 v10, 0, 1, vcc
	v_lshlrev_b32_e32 v10, 1, v10
	v_add_lshl_u32 v16, v10, v50, 2
	ds_bpermute_b32 v10, v16, v6
	v_add_u32_e32 v17, 2, v14
	v_cmp_le_u32_e32 vcc, v17, v5
	v_add_u32_e32 v19, 4, v14
	v_add_u32_e32 v54, 8, v14
	s_waitcnt lgkmcnt(0)
	v_cndmask_b32_e32 v10, 0, v10, vcc
	v_cmp_gt_u32_e32 vcc, 60, v14
	v_add_u32_e32 v6, v6, v10
	v_cndmask_b32_e64 v10, 0, 1, vcc
	v_lshlrev_b32_e32 v10, 2, v10
	v_add_lshl_u32 v18, v10, v50, 2
	ds_bpermute_b32 v10, v18, v6
	v_cmp_le_u32_e32 vcc, v19, v5
	v_add_u32_e32 v57, 16, v14
	v_add_u32_e32 v59, 32, v14
	s_waitcnt lgkmcnt(0)
	v_cndmask_b32_e32 v10, 0, v10, vcc
	v_cmp_gt_u32_e32 vcc, 56, v14
	v_add_u32_e32 v6, v6, v10
	v_cndmask_b32_e64 v10, 0, 1, vcc
	v_lshlrev_b32_e32 v10, 3, v10
	v_add_lshl_u32 v53, v10, v50, 2
	ds_bpermute_b32 v10, v53, v6
	v_cmp_le_u32_e32 vcc, v54, v5
	s_waitcnt lgkmcnt(0)
	v_cndmask_b32_e32 v10, 0, v10, vcc
	v_cmp_gt_u32_e32 vcc, 48, v14
	v_add_u32_e32 v6, v6, v10
	v_cndmask_b32_e64 v10, 0, 1, vcc
	v_lshlrev_b32_e32 v10, 4, v10
	v_add_lshl_u32 v56, v10, v50, 2
	ds_bpermute_b32 v10, v56, v6
	v_cmp_le_u32_e32 vcc, v57, v5
	;; [unrolled: 9-line block ×3, first 2 shown]
	s_waitcnt lgkmcnt(0)
	v_cndmask_b32_e32 v5, 0, v10, vcc
	v_add_u32_e32 v6, v6, v5
	v_mov_b32_e32 v5, 0
	s_branch .LBB2017_51
.LBB2017_50:                            ;   in Loop: Header=BB2017_51 Depth=1
	s_or_b64 exec, exec, s[38:39]
	v_cmp_eq_u16_sdwa s[38:39], v7, v3 src0_sel:BYTE_0 src1_sel:DWORD
	v_and_b32_e32 v10, s39, v9
	v_or_b32_e32 v10, 0x80000000, v10
	ds_bpermute_b32 v60, v15, v6
	v_and_b32_e32 v11, s38, v8
	v_ffbl_b32_e32 v10, v10
	v_add_u32_e32 v10, 32, v10
	v_ffbl_b32_e32 v11, v11
	v_min_u32_e32 v10, v11, v10
	v_cmp_lt_u32_e32 vcc, v14, v10
	s_waitcnt lgkmcnt(0)
	v_cndmask_b32_e32 v11, 0, v60, vcc
	v_add_u32_e32 v6, v11, v6
	ds_bpermute_b32 v11, v16, v6
	v_cmp_le_u32_e32 vcc, v17, v10
	v_subrev_u32_e32 v4, 64, v4
	s_waitcnt lgkmcnt(0)
	v_cndmask_b32_e32 v11, 0, v11, vcc
	v_add_u32_e32 v6, v6, v11
	ds_bpermute_b32 v11, v18, v6
	v_cmp_le_u32_e32 vcc, v19, v10
	s_waitcnt lgkmcnt(0)
	v_cndmask_b32_e32 v11, 0, v11, vcc
	v_add_u32_e32 v6, v6, v11
	ds_bpermute_b32 v11, v53, v6
	v_cmp_le_u32_e32 vcc, v54, v10
	;; [unrolled: 5-line block ×4, first 2 shown]
	s_waitcnt lgkmcnt(0)
	v_cndmask_b32_e32 v10, 0, v11, vcc
	v_add3_u32 v6, v10, v55, v6
.LBB2017_51:                            ; =>This Loop Header: Depth=1
                                        ;     Child Loop BB2017_54 Depth 2
	v_cmp_ne_u16_sdwa s[38:39], v7, v3 src0_sel:BYTE_0 src1_sel:DWORD
	v_cndmask_b32_e64 v7, 0, 1, s[38:39]
	;;#ASMSTART
	;;#ASMEND
	v_cmp_ne_u32_e32 vcc, 0, v7
	s_cmp_lg_u64 vcc, exec
	v_mov_b32_e32 v55, v6
	s_cbranch_scc1 .LBB2017_56
; %bb.52:                               ;   in Loop: Header=BB2017_51 Depth=1
	v_lshlrev_b64 v[6:7], 3, v[4:5]
	v_mov_b32_e32 v11, s35
	v_add_co_u32_e32 v10, vcc, s34, v6
	v_addc_co_u32_e32 v11, vcc, v11, v7, vcc
	global_load_dwordx2 v[6:7], v[10:11], off glc
	s_waitcnt vmcnt(0)
	v_cmp_eq_u16_sdwa s[40:41], v7, v5 src0_sel:BYTE_0 src1_sel:DWORD
	s_and_saveexec_b64 s[38:39], s[40:41]
	s_cbranch_execz .LBB2017_50
; %bb.53:                               ;   in Loop: Header=BB2017_51 Depth=1
	s_mov_b64 s[40:41], 0
.LBB2017_54:                            ;   Parent Loop BB2017_51 Depth=1
                                        ; =>  This Inner Loop Header: Depth=2
	global_load_dwordx2 v[6:7], v[10:11], off glc
	s_waitcnt vmcnt(0)
	v_cmp_ne_u16_sdwa s[44:45], v7, v5 src0_sel:BYTE_0 src1_sel:DWORD
	s_or_b64 s[40:41], s[44:45], s[40:41]
	s_andn2_b64 exec, exec, s[40:41]
	s_cbranch_execnz .LBB2017_54
; %bb.55:                               ;   in Loop: Header=BB2017_51 Depth=1
	s_or_b64 exec, exec, s[40:41]
	s_branch .LBB2017_50
.LBB2017_56:                            ;   in Loop: Header=BB2017_51 Depth=1
                                        ; implicit-def: $vgpr6
                                        ; implicit-def: $vgpr7
	s_cbranch_execz .LBB2017_51
; %bb.57:
	s_and_saveexec_b64 s[38:39], s[16:17]
	s_cbranch_execz .LBB2017_59
; %bb.58:
	s_add_i32 s6, s6, 64
	s_mov_b32 s7, 0
	s_lshl_b64 s[6:7], s[6:7], 3
	s_add_u32 s6, s34, s6
	v_add_u32_e32 v4, v55, v2
	v_mov_b32_e32 v5, 2
	s_addc_u32 s7, s35, s7
	v_mov_b32_e32 v3, 0
	global_store_dwordx2 v3, v[4:5], s[6:7]
	s_movk_i32 s6, 0x3400
	v_add_u32_e64 v3, s6, 0
	ds_write2_b32 v3, v2, v55 offset1:2
.LBB2017_59:
	s_or_b64 exec, exec, s[38:39]
	v_cmp_eq_u32_e32 vcc, 0, v0
	s_and_b64 exec, exec, vcc
	s_cbranch_execz .LBB2017_61
; %bb.60:
	v_mov_b32_e32 v2, 0
	ds_write_b32 v2, v55 offset:12
.LBB2017_61:
	s_or_b64 exec, exec, s[36:37]
	v_mov_b32_e32 v2, 0
	s_waitcnt lgkmcnt(0)
	s_barrier
	ds_read_b32 v2, v2 offset:12
	v_cndmask_b32_e64 v3, v13, v12, s[16:17]
	v_cmp_ne_u32_e32 vcc, 0, v0
	v_cndmask_b32_e32 v3, 0, v3, vcc
	s_movk_i32 s6, 0x3400
	s_waitcnt lgkmcnt(0)
	v_add_u32_e32 v2, v2, v3
	v_add_u32_e32 v3, v2, v41
	;; [unrolled: 1-line block ×8, first 2 shown]
	v_add_u32_e64 v12, s6, 0
	v_add_u32_e32 v10, v9, v39
	s_barrier
	ds_read2_b32 v[18:19], v12 offset1:2
	v_add_u32_e32 v11, v10, v47
	v_add_u32_e32 v12, v11, v48
	v_add_u32_e32 v13, v12, v49
	v_add_u32_e32 v14, v13, v38
	s_branch .LBB2017_72
.LBB2017_62:
                                        ; implicit-def: $vgpr19
                                        ; implicit-def: $vgpr2_vgpr3_vgpr4_vgpr5_vgpr6_vgpr7_vgpr8_vgpr9_vgpr10_vgpr11_vgpr12_vgpr13_vgpr14_vgpr15_vgpr16_vgpr17
	s_cbranch_execz .LBB2017_72
; %bb.63:
	s_nop 0
	v_mov_b32_dpp v2, v52 row_shr:1 row_mask:0xf bank_mask:0xf
	v_cndmask_b32_e64 v2, v2, 0, s[14:15]
	v_add_u32_e32 v2, v2, v52
	s_nop 1
	v_mov_b32_dpp v3, v2 row_shr:2 row_mask:0xf bank_mask:0xf
	v_cndmask_b32_e64 v3, 0, v3, s[12:13]
	v_add_u32_e32 v2, v2, v3
	s_nop 1
	v_mov_b32_dpp v3, v2 row_shr:4 row_mask:0xf bank_mask:0xf
	v_cndmask_b32_e64 v3, 0, v3, s[10:11]
	v_add_u32_e32 v2, v2, v3
	s_nop 1
	v_mov_b32_dpp v3, v2 row_shr:8 row_mask:0xf bank_mask:0xf
	v_cndmask_b32_e64 v3, 0, v3, s[8:9]
	v_add_u32_e32 v2, v2, v3
	s_nop 1
	v_mov_b32_dpp v3, v2 row_bcast:15 row_mask:0xf bank_mask:0xf
	v_cndmask_b32_e64 v3, v3, 0, s[18:19]
	v_add_u32_e32 v2, v2, v3
	s_nop 1
	v_mov_b32_dpp v3, v2 row_bcast:31 row_mask:0xf bank_mask:0xf
	v_cndmask_b32_e64 v3, 0, v3, s[2:3]
	v_add_u32_e32 v2, v2, v3
	s_and_saveexec_b64 s[2:3], s[4:5]
	s_cbranch_execz .LBB2017_65
; %bb.64:
	v_lshlrev_b32_e32 v3, 2, v51
	ds_write_b32 v3, v2
.LBB2017_65:
	s_or_b64 exec, exec, s[2:3]
	v_cmp_gt_u32_e32 vcc, 4, v0
	s_waitcnt lgkmcnt(0)
	s_barrier
	s_and_saveexec_b64 s[2:3], vcc
	s_cbranch_execz .LBB2017_67
; %bb.66:
	ds_read_b32 v3, v1
	v_and_b32_e32 v4, 3, v50
	v_cmp_ne_u32_e32 vcc, 0, v4
	s_waitcnt lgkmcnt(0)
	v_mov_b32_dpp v5, v3 row_shr:1 row_mask:0xf bank_mask:0xf
	v_cndmask_b32_e32 v5, 0, v5, vcc
	v_add_u32_e32 v3, v5, v3
	v_cmp_lt_u32_e32 vcc, 1, v4
	s_nop 0
	v_mov_b32_dpp v5, v3 row_shr:2 row_mask:0xf bank_mask:0xf
	v_cndmask_b32_e32 v4, 0, v5, vcc
	v_add_u32_e32 v3, v3, v4
	ds_write_b32 v1, v3
.LBB2017_67:
	s_or_b64 exec, exec, s[2:3]
	v_cmp_lt_u32_e32 vcc, 63, v0
	v_mov_b32_e32 v4, 0
	v_mov_b32_e32 v3, 0
	s_waitcnt lgkmcnt(0)
	s_barrier
	s_and_saveexec_b64 s[2:3], vcc
	s_cbranch_execz .LBB2017_69
; %bb.68:
	v_lshl_add_u32 v3, v51, 2, -4
	ds_read_b32 v3, v3
.LBB2017_69:
	s_or_b64 exec, exec, s[2:3]
	v_add_u32_e32 v5, -1, v50
	v_and_b32_e32 v6, 64, v50
	v_cmp_lt_i32_e32 vcc, v5, v6
	v_cndmask_b32_e32 v5, v5, v50, vcc
	s_waitcnt lgkmcnt(0)
	v_add_u32_e32 v2, v3, v2
	v_lshlrev_b32_e32 v5, 2, v5
	ds_bpermute_b32 v2, v5, v2
	ds_read_b32 v18, v4 offset:12
	v_cmp_eq_u32_e32 vcc, 0, v0
	s_and_saveexec_b64 s[2:3], vcc
	s_cbranch_execz .LBB2017_71
; %bb.70:
	v_mov_b32_e32 v4, 0
	v_mov_b32_e32 v19, 2
	s_waitcnt lgkmcnt(0)
	global_store_dwordx2 v4, v[18:19], s[34:35] offset:512
.LBB2017_71:
	s_or_b64 exec, exec, s[2:3]
	v_cmp_eq_u32_e64 s[2:3], 0, v50
	s_waitcnt lgkmcnt(1)
	v_cndmask_b32_e64 v2, v2, v3, s[2:3]
	v_cndmask_b32_e64 v2, v2, 0, vcc
	v_add_u32_e32 v3, v2, v41
	v_add_u32_e32 v4, v3, v42
	;; [unrolled: 1-line block ×11, first 2 shown]
	v_mov_b32_e32 v19, 0
	v_add_u32_e32 v14, v13, v38
	s_waitcnt lgkmcnt(0)
	s_barrier
.LBB2017_72:
	s_waitcnt lgkmcnt(0)
	v_add_u32_e32 v33, v18, v33
	v_sub_u32_e32 v2, v2, v19
	v_and_b32_e32 v42, 1, v37
	v_sub_u32_e32 v41, v33, v2
	v_cmp_eq_u32_e32 vcc, 1, v42
	v_cndmask_b32_e32 v2, v41, v2, vcc
	v_lshlrev_b32_e32 v2, 2, v2
	v_lshrrev_b32_e32 v17, 8, v37
	ds_write_b32 v2, v30
	v_sub_u32_e32 v2, v3, v19
	v_sub_u32_e32 v3, v33, v2
	v_and_b32_e32 v17, 1, v17
	v_add_u32_e32 v3, 1, v3
	v_cmp_eq_u32_e32 vcc, 1, v17
	v_cndmask_b32_e32 v2, v3, v2, vcc
	v_lshlrev_b32_e32 v2, 2, v2
	ds_write_b32 v2, v31
	v_sub_u32_e32 v2, v4, v19
	v_mov_b32_e32 v4, 1
	v_sub_u32_e32 v3, v33, v2
	v_and_b32_sdwa v17, v4, v37 dst_sel:DWORD dst_unused:UNUSED_PAD src0_sel:DWORD src1_sel:WORD_1
	v_add_u32_e32 v3, 2, v3
	v_cmp_eq_u32_e32 vcc, 1, v17
	v_cndmask_b32_e32 v2, v3, v2, vcc
	v_lshlrev_b32_e32 v2, 2, v2
	ds_write_b32 v2, v28
	v_sub_u32_e32 v2, v5, v19
	v_sub_u32_e32 v3, v33, v2
	v_and_b32_e32 v5, 1, v40
	v_add_u32_e32 v3, 3, v3
	v_cmp_eq_u32_e32 vcc, 1, v5
	v_cndmask_b32_e32 v2, v3, v2, vcc
	v_lshlrev_b32_e32 v2, 2, v2
	ds_write_b32 v2, v29
	v_sub_u32_e32 v2, v6, v19
	v_sub_u32_e32 v3, v33, v2
	v_and_b32_e32 v5, 1, v36
	v_add_u32_e32 v3, 4, v3
	v_cmp_eq_u32_e32 vcc, 1, v5
	v_cndmask_b32_e32 v2, v3, v2, vcc
	v_lshlrev_b32_e32 v2, 2, v2
	v_lshrrev_b32_e32 v16, 8, v36
	ds_write_b32 v2, v26
	v_sub_u32_e32 v2, v7, v19
	v_sub_u32_e32 v3, v33, v2
	v_and_b32_e32 v5, 1, v16
	v_add_u32_e32 v3, 5, v3
	v_cmp_eq_u32_e32 vcc, 1, v5
	v_cndmask_b32_e32 v2, v3, v2, vcc
	v_lshlrev_b32_e32 v2, 2, v2
	ds_write_b32 v2, v27
	v_sub_u32_e32 v2, v8, v19
	v_sub_u32_e32 v3, v33, v2
	v_and_b32_sdwa v5, v4, v36 dst_sel:DWORD dst_unused:UNUSED_PAD src0_sel:DWORD src1_sel:WORD_1
	v_add_u32_e32 v3, 6, v3
	v_cmp_eq_u32_e32 vcc, 1, v5
	v_cndmask_b32_e32 v2, v3, v2, vcc
	v_lshlrev_b32_e32 v2, 2, v2
	ds_write_b32 v2, v24
	v_sub_u32_e32 v2, v9, v19
	v_sub_u32_e32 v3, v33, v2
	v_and_b32_e32 v5, 1, v39
	v_add_u32_e32 v3, 7, v3
	v_cmp_eq_u32_e32 vcc, 1, v5
	v_cndmask_b32_e32 v2, v3, v2, vcc
	v_lshlrev_b32_e32 v2, 2, v2
	ds_write_b32 v2, v25
	v_sub_u32_e32 v2, v10, v19
	v_sub_u32_e32 v3, v33, v2
	v_and_b32_e32 v5, 1, v35
	v_add_u32_e32 v3, 8, v3
	v_cmp_eq_u32_e32 vcc, 1, v5
	v_cndmask_b32_e32 v2, v3, v2, vcc
	v_lshlrev_b32_e32 v2, 2, v2
	v_lshrrev_b32_e32 v15, 8, v35
	ds_write_b32 v2, v22
	v_sub_u32_e32 v2, v11, v19
	v_sub_u32_e32 v3, v33, v2
	v_and_b32_e32 v5, 1, v15
	v_add_u32_e32 v3, 9, v3
	v_cmp_eq_u32_e32 vcc, 1, v5
	v_cndmask_b32_e32 v2, v3, v2, vcc
	v_lshlrev_b32_e32 v2, 2, v2
	ds_write_b32 v2, v23
	v_sub_u32_e32 v2, v12, v19
	v_sub_u32_e32 v3, v33, v2
	v_and_b32_sdwa v4, v4, v35 dst_sel:DWORD dst_unused:UNUSED_PAD src0_sel:DWORD src1_sel:WORD_1
	v_add_u32_e32 v3, 10, v3
	v_cmp_eq_u32_e32 vcc, 1, v4
	v_cndmask_b32_e32 v2, v3, v2, vcc
	v_lshlrev_b32_e32 v2, 2, v2
	ds_write_b32 v2, v20
	v_sub_u32_e32 v2, v13, v19
	v_sub_u32_e32 v3, v33, v2
	v_and_b32_e32 v4, 1, v38
	v_add_u32_e32 v3, 11, v3
	v_cmp_eq_u32_e32 vcc, 1, v4
	v_cndmask_b32_e32 v2, v3, v2, vcc
	v_lshlrev_b32_e32 v2, 2, v2
	ds_write_b32 v2, v21
	v_sub_u32_e32 v2, v14, v19
	v_sub_u32_e32 v3, v33, v2
	v_and_b32_e32 v4, 1, v34
	v_add_u32_e32 v3, 12, v3
	v_cmp_eq_u32_e32 vcc, 1, v4
	v_cndmask_b32_e32 v2, v3, v2, vcc
	s_add_u32 s2, s28, s42
	v_lshlrev_b32_e32 v2, 2, v2
	s_addc_u32 s3, s29, 0
	ds_write_b32 v2, v32
	s_waitcnt lgkmcnt(0)
	s_barrier
	ds_read2st64_b32 v[12:13], v1 offset1:4
	ds_read2st64_b32 v[10:11], v1 offset0:8 offset1:12
	ds_read2st64_b32 v[8:9], v1 offset0:16 offset1:20
	;; [unrolled: 1-line block ×5, first 2 shown]
	ds_read_b32 v17, v1 offset:12288
	v_mov_b32_e32 v14, s31
	v_add_co_u32_e32 v1, vcc, s30, v19
	s_sub_u32 s2, s26, s2
	v_addc_co_u32_e32 v16, vcc, 0, v14, vcc
	s_subb_u32 s3, s27, s3
	v_mov_b32_e32 v14, s3
	v_add_co_u32_e32 v15, vcc, s2, v18
	v_addc_co_u32_e32 v14, vcc, 0, v14, vcc
	s_and_b64 vcc, exec, s[0:1]
	v_add_co_u32_e64 v19, s[0:1], v15, v1
	v_or_b32_e32 v32, 0x100, v0
	v_or_b32_e32 v31, 0x200, v0
	;; [unrolled: 1-line block ×12, first 2 shown]
	v_addc_co_u32_e64 v21, s[0:1], v14, v16, s[0:1]
	s_cbranch_vccnz .LBB2017_126
; %bb.73:
	v_cmp_ge_u32_e32 vcc, v0, v18
                                        ; implicit-def: $vgpr14_vgpr15
	s_and_saveexec_b64 s[0:1], vcc
	s_xor_b64 s[0:1], exec, s[0:1]
; %bb.74:
	v_not_b32_e32 v14, v0
	v_ashrrev_i32_e32 v15, 31, v14
	v_add_co_u32_e32 v14, vcc, v19, v14
	v_addc_co_u32_e32 v15, vcc, v21, v15, vcc
; %bb.75:
	s_andn2_saveexec_b64 s[0:1], s[0:1]
; %bb.76:
	v_add_co_u32_e32 v14, vcc, v1, v0
	v_addc_co_u32_e32 v15, vcc, 0, v16, vcc
; %bb.77:
	s_or_b64 exec, exec, s[0:1]
	v_lshlrev_b64 v[14:15], 2, v[14:15]
	v_mov_b32_e32 v33, s25
	v_add_co_u32_e32 v14, vcc, s24, v14
	v_addc_co_u32_e32 v15, vcc, v33, v15, vcc
	v_cmp_ge_u32_e32 vcc, v32, v18
	s_waitcnt lgkmcnt(6)
	global_store_dword v[14:15], v12, off
                                        ; implicit-def: $vgpr14_vgpr15
	s_and_saveexec_b64 s[0:1], vcc
	s_xor_b64 s[0:1], exec, s[0:1]
; %bb.78:
	v_xor_b32_e32 v14, 0xfffffeff, v0
	v_ashrrev_i32_e32 v15, 31, v14
	v_add_co_u32_e32 v14, vcc, v19, v14
	v_addc_co_u32_e32 v15, vcc, v21, v15, vcc
; %bb.79:
	s_andn2_saveexec_b64 s[0:1], s[0:1]
; %bb.80:
	v_add_co_u32_e32 v14, vcc, v1, v32
	v_addc_co_u32_e32 v15, vcc, 0, v16, vcc
; %bb.81:
	s_or_b64 exec, exec, s[0:1]
	v_lshlrev_b64 v[14:15], 2, v[14:15]
	v_mov_b32_e32 v33, s25
	v_add_co_u32_e32 v14, vcc, s24, v14
	v_addc_co_u32_e32 v15, vcc, v33, v15, vcc
	v_cmp_ge_u32_e32 vcc, v31, v18
	global_store_dword v[14:15], v13, off
                                        ; implicit-def: $vgpr14_vgpr15
	s_and_saveexec_b64 s[0:1], vcc
	s_xor_b64 s[0:1], exec, s[0:1]
; %bb.82:
	v_xor_b32_e32 v14, 0xfffffdff, v0
	v_ashrrev_i32_e32 v15, 31, v14
	v_add_co_u32_e32 v14, vcc, v19, v14
	v_addc_co_u32_e32 v15, vcc, v21, v15, vcc
; %bb.83:
	s_andn2_saveexec_b64 s[0:1], s[0:1]
; %bb.84:
	v_add_co_u32_e32 v14, vcc, v1, v31
	v_addc_co_u32_e32 v15, vcc, 0, v16, vcc
; %bb.85:
	s_or_b64 exec, exec, s[0:1]
	v_lshlrev_b64 v[14:15], 2, v[14:15]
	v_mov_b32_e32 v33, s25
	v_add_co_u32_e32 v14, vcc, s24, v14
	v_addc_co_u32_e32 v15, vcc, v33, v15, vcc
	v_cmp_ge_u32_e32 vcc, v30, v18
	s_waitcnt lgkmcnt(5)
	global_store_dword v[14:15], v10, off
                                        ; implicit-def: $vgpr14_vgpr15
	s_and_saveexec_b64 s[0:1], vcc
	s_xor_b64 s[0:1], exec, s[0:1]
; %bb.86:
	v_xor_b32_e32 v14, 0xfffffcff, v0
	v_ashrrev_i32_e32 v15, 31, v14
	v_add_co_u32_e32 v14, vcc, v19, v14
	v_addc_co_u32_e32 v15, vcc, v21, v15, vcc
; %bb.87:
	s_andn2_saveexec_b64 s[0:1], s[0:1]
; %bb.88:
	v_add_co_u32_e32 v14, vcc, v1, v30
	v_addc_co_u32_e32 v15, vcc, 0, v16, vcc
; %bb.89:
	s_or_b64 exec, exec, s[0:1]
	v_lshlrev_b64 v[14:15], 2, v[14:15]
	v_mov_b32_e32 v33, s25
	v_add_co_u32_e32 v14, vcc, s24, v14
	v_addc_co_u32_e32 v15, vcc, v33, v15, vcc
	v_cmp_ge_u32_e32 vcc, v29, v18
	global_store_dword v[14:15], v11, off
                                        ; implicit-def: $vgpr14_vgpr15
	s_and_saveexec_b64 s[0:1], vcc
	s_xor_b64 s[0:1], exec, s[0:1]
; %bb.90:
	v_xor_b32_e32 v14, 0xfffffbff, v0
	;; [unrolled: 43-line block ×6, first 2 shown]
	v_ashrrev_i32_e32 v15, 31, v14
	v_add_co_u32_e32 v14, vcc, v19, v14
	v_addc_co_u32_e32 v15, vcc, v21, v15, vcc
; %bb.123:
	s_andn2_saveexec_b64 s[0:1], s[0:1]
; %bb.124:
	v_add_co_u32_e32 v14, vcc, v1, v20
	v_addc_co_u32_e32 v15, vcc, 0, v16, vcc
; %bb.125:
	s_or_b64 exec, exec, s[0:1]
	s_mov_b64 s[0:1], -1
	s_branch .LBB2017_206
.LBB2017_126:
	s_mov_b64 s[0:1], 0
                                        ; implicit-def: $vgpr14_vgpr15
	s_cbranch_execz .LBB2017_206
; %bb.127:
	v_cmp_gt_u32_e32 vcc, s33, v0
	s_and_saveexec_b64 s[2:3], vcc
	s_cbranch_execz .LBB2017_163
; %bb.128:
	v_cmp_ge_u32_e32 vcc, v0, v18
                                        ; implicit-def: $vgpr14_vgpr15
	s_and_saveexec_b64 s[4:5], vcc
	s_xor_b64 s[4:5], exec, s[4:5]
; %bb.129:
	v_not_b32_e32 v14, v0
	v_ashrrev_i32_e32 v15, 31, v14
	v_add_co_u32_e32 v14, vcc, v19, v14
	v_addc_co_u32_e32 v15, vcc, v21, v15, vcc
; %bb.130:
	s_andn2_saveexec_b64 s[4:5], s[4:5]
; %bb.131:
	v_add_co_u32_e32 v14, vcc, v1, v0
	v_addc_co_u32_e32 v15, vcc, 0, v16, vcc
; %bb.132:
	s_or_b64 exec, exec, s[4:5]
	v_lshlrev_b64 v[14:15], 2, v[14:15]
	v_mov_b32_e32 v33, s25
	v_add_co_u32_e32 v14, vcc, s24, v14
	v_addc_co_u32_e32 v15, vcc, v33, v15, vcc
	s_waitcnt lgkmcnt(6)
	global_store_dword v[14:15], v12, off
	s_or_b64 exec, exec, s[2:3]
	v_cmp_gt_u32_e32 vcc, s33, v32
	s_and_saveexec_b64 s[2:3], vcc
	s_cbranch_execnz .LBB2017_164
.LBB2017_133:
	s_or_b64 exec, exec, s[2:3]
	v_cmp_gt_u32_e32 vcc, s33, v31
	s_and_saveexec_b64 s[2:3], vcc
	s_cbranch_execz .LBB2017_169
.LBB2017_134:
	v_cmp_ge_u32_e32 vcc, v31, v18
                                        ; implicit-def: $vgpr12_vgpr13
	s_and_saveexec_b64 s[4:5], vcc
	s_xor_b64 s[4:5], exec, s[4:5]
	s_cbranch_execz .LBB2017_136
; %bb.135:
	s_waitcnt lgkmcnt(6)
	v_xor_b32_e32 v12, 0xfffffdff, v0
	v_ashrrev_i32_e32 v13, 31, v12
	v_add_co_u32_e32 v12, vcc, v19, v12
	v_addc_co_u32_e32 v13, vcc, v21, v13, vcc
                                        ; implicit-def: $vgpr31
.LBB2017_136:
	s_andn2_saveexec_b64 s[4:5], s[4:5]
	s_cbranch_execz .LBB2017_138
; %bb.137:
	s_waitcnt lgkmcnt(6)
	v_add_co_u32_e32 v12, vcc, v1, v31
	v_addc_co_u32_e32 v13, vcc, 0, v16, vcc
.LBB2017_138:
	s_or_b64 exec, exec, s[4:5]
	s_waitcnt lgkmcnt(6)
	v_lshlrev_b64 v[12:13], 2, v[12:13]
	v_mov_b32_e32 v14, s25
	v_add_co_u32_e32 v12, vcc, s24, v12
	v_addc_co_u32_e32 v13, vcc, v14, v13, vcc
	s_waitcnt lgkmcnt(5)
	global_store_dword v[12:13], v10, off
	s_or_b64 exec, exec, s[2:3]
	v_cmp_gt_u32_e32 vcc, s33, v30
	s_and_saveexec_b64 s[2:3], vcc
	s_cbranch_execnz .LBB2017_170
.LBB2017_139:
	s_or_b64 exec, exec, s[2:3]
	v_cmp_gt_u32_e32 vcc, s33, v29
	s_and_saveexec_b64 s[2:3], vcc
	s_cbranch_execz .LBB2017_175
.LBB2017_140:
	v_cmp_ge_u32_e32 vcc, v29, v18
                                        ; implicit-def: $vgpr10_vgpr11
	s_and_saveexec_b64 s[4:5], vcc
	s_xor_b64 s[4:5], exec, s[4:5]
	s_cbranch_execz .LBB2017_142
; %bb.141:
	s_waitcnt lgkmcnt(5)
	v_xor_b32_e32 v10, 0xfffffbff, v0
	v_ashrrev_i32_e32 v11, 31, v10
	v_add_co_u32_e32 v10, vcc, v19, v10
	v_addc_co_u32_e32 v11, vcc, v21, v11, vcc
                                        ; implicit-def: $vgpr29
.LBB2017_142:
	s_andn2_saveexec_b64 s[4:5], s[4:5]
	s_cbranch_execz .LBB2017_144
; %bb.143:
	s_waitcnt lgkmcnt(5)
	v_add_co_u32_e32 v10, vcc, v1, v29
	v_addc_co_u32_e32 v11, vcc, 0, v16, vcc
.LBB2017_144:
	s_or_b64 exec, exec, s[4:5]
	s_waitcnt lgkmcnt(5)
	v_lshlrev_b64 v[10:11], 2, v[10:11]
	v_mov_b32_e32 v12, s25
	v_add_co_u32_e32 v10, vcc, s24, v10
	v_addc_co_u32_e32 v11, vcc, v12, v11, vcc
	s_waitcnt lgkmcnt(4)
	global_store_dword v[10:11], v8, off
	s_or_b64 exec, exec, s[2:3]
	v_cmp_gt_u32_e32 vcc, s33, v28
	s_and_saveexec_b64 s[2:3], vcc
	s_cbranch_execnz .LBB2017_176
.LBB2017_145:
	s_or_b64 exec, exec, s[2:3]
	v_cmp_gt_u32_e32 vcc, s33, v27
	s_and_saveexec_b64 s[2:3], vcc
	s_cbranch_execz .LBB2017_181
.LBB2017_146:
	v_cmp_ge_u32_e32 vcc, v27, v18
                                        ; implicit-def: $vgpr8_vgpr9
	s_and_saveexec_b64 s[4:5], vcc
	s_xor_b64 s[4:5], exec, s[4:5]
	s_cbranch_execz .LBB2017_148
; %bb.147:
	s_waitcnt lgkmcnt(4)
	v_xor_b32_e32 v8, 0xfffff9ff, v0
	v_ashrrev_i32_e32 v9, 31, v8
	v_add_co_u32_e32 v8, vcc, v19, v8
	v_addc_co_u32_e32 v9, vcc, v21, v9, vcc
                                        ; implicit-def: $vgpr27
.LBB2017_148:
	s_andn2_saveexec_b64 s[4:5], s[4:5]
	s_cbranch_execz .LBB2017_150
; %bb.149:
	s_waitcnt lgkmcnt(4)
	v_add_co_u32_e32 v8, vcc, v1, v27
	v_addc_co_u32_e32 v9, vcc, 0, v16, vcc
.LBB2017_150:
	s_or_b64 exec, exec, s[4:5]
	s_waitcnt lgkmcnt(4)
	v_lshlrev_b64 v[8:9], 2, v[8:9]
	v_mov_b32_e32 v10, s25
	v_add_co_u32_e32 v8, vcc, s24, v8
	v_addc_co_u32_e32 v9, vcc, v10, v9, vcc
	s_waitcnt lgkmcnt(3)
	global_store_dword v[8:9], v6, off
	s_or_b64 exec, exec, s[2:3]
	v_cmp_gt_u32_e32 vcc, s33, v26
	s_and_saveexec_b64 s[2:3], vcc
	s_cbranch_execnz .LBB2017_182
.LBB2017_151:
	s_or_b64 exec, exec, s[2:3]
	v_cmp_gt_u32_e32 vcc, s33, v25
	s_and_saveexec_b64 s[2:3], vcc
	s_cbranch_execz .LBB2017_187
.LBB2017_152:
	v_cmp_ge_u32_e32 vcc, v25, v18
                                        ; implicit-def: $vgpr6_vgpr7
	s_and_saveexec_b64 s[4:5], vcc
	s_xor_b64 s[4:5], exec, s[4:5]
	s_cbranch_execz .LBB2017_154
; %bb.153:
	s_waitcnt lgkmcnt(3)
	v_xor_b32_e32 v6, 0xfffff7ff, v0
	v_ashrrev_i32_e32 v7, 31, v6
	v_add_co_u32_e32 v6, vcc, v19, v6
	v_addc_co_u32_e32 v7, vcc, v21, v7, vcc
                                        ; implicit-def: $vgpr25
.LBB2017_154:
	s_andn2_saveexec_b64 s[4:5], s[4:5]
	s_cbranch_execz .LBB2017_156
; %bb.155:
	s_waitcnt lgkmcnt(3)
	v_add_co_u32_e32 v6, vcc, v1, v25
	v_addc_co_u32_e32 v7, vcc, 0, v16, vcc
.LBB2017_156:
	s_or_b64 exec, exec, s[4:5]
	s_waitcnt lgkmcnt(3)
	v_lshlrev_b64 v[6:7], 2, v[6:7]
	v_mov_b32_e32 v8, s25
	v_add_co_u32_e32 v6, vcc, s24, v6
	v_addc_co_u32_e32 v7, vcc, v8, v7, vcc
	s_waitcnt lgkmcnt(2)
	global_store_dword v[6:7], v4, off
	s_or_b64 exec, exec, s[2:3]
	v_cmp_gt_u32_e32 vcc, s33, v24
	s_and_saveexec_b64 s[2:3], vcc
	s_cbranch_execnz .LBB2017_188
.LBB2017_157:
	s_or_b64 exec, exec, s[2:3]
	v_cmp_gt_u32_e32 vcc, s33, v23
	s_and_saveexec_b64 s[2:3], vcc
	s_cbranch_execz .LBB2017_193
.LBB2017_158:
	v_cmp_ge_u32_e32 vcc, v23, v18
                                        ; implicit-def: $vgpr4_vgpr5
	s_and_saveexec_b64 s[4:5], vcc
	s_xor_b64 s[4:5], exec, s[4:5]
	s_cbranch_execz .LBB2017_160
; %bb.159:
	s_waitcnt lgkmcnt(2)
	v_xor_b32_e32 v4, 0xfffff5ff, v0
	v_ashrrev_i32_e32 v5, 31, v4
	v_add_co_u32_e32 v4, vcc, v19, v4
	v_addc_co_u32_e32 v5, vcc, v21, v5, vcc
                                        ; implicit-def: $vgpr23
.LBB2017_160:
	s_andn2_saveexec_b64 s[4:5], s[4:5]
	s_cbranch_execz .LBB2017_162
; %bb.161:
	s_waitcnt lgkmcnt(2)
	v_add_co_u32_e32 v4, vcc, v1, v23
	v_addc_co_u32_e32 v5, vcc, 0, v16, vcc
.LBB2017_162:
	s_or_b64 exec, exec, s[4:5]
	s_waitcnt lgkmcnt(2)
	v_lshlrev_b64 v[4:5], 2, v[4:5]
	v_mov_b32_e32 v6, s25
	v_add_co_u32_e32 v4, vcc, s24, v4
	v_addc_co_u32_e32 v5, vcc, v6, v5, vcc
	s_waitcnt lgkmcnt(1)
	global_store_dword v[4:5], v2, off
	s_or_b64 exec, exec, s[2:3]
	v_cmp_gt_u32_e32 vcc, s33, v22
	s_and_saveexec_b64 s[2:3], vcc
	s_cbranch_execz .LBB2017_199
	s_branch .LBB2017_194
.LBB2017_163:
	s_or_b64 exec, exec, s[2:3]
	v_cmp_gt_u32_e32 vcc, s33, v32
	s_and_saveexec_b64 s[2:3], vcc
	s_cbranch_execz .LBB2017_133
.LBB2017_164:
	v_cmp_ge_u32_e32 vcc, v32, v18
                                        ; implicit-def: $vgpr14_vgpr15
	s_and_saveexec_b64 s[4:5], vcc
	s_xor_b64 s[4:5], exec, s[4:5]
	s_cbranch_execz .LBB2017_166
; %bb.165:
	s_waitcnt lgkmcnt(6)
	v_xor_b32_e32 v12, 0xfffffeff, v0
	v_ashrrev_i32_e32 v15, 31, v12
	v_add_co_u32_e32 v14, vcc, v19, v12
	v_addc_co_u32_e32 v15, vcc, v21, v15, vcc
                                        ; implicit-def: $vgpr32
.LBB2017_166:
	s_andn2_saveexec_b64 s[4:5], s[4:5]
; %bb.167:
	v_add_co_u32_e32 v14, vcc, v1, v32
	v_addc_co_u32_e32 v15, vcc, 0, v16, vcc
; %bb.168:
	s_or_b64 exec, exec, s[4:5]
	v_lshlrev_b64 v[14:15], 2, v[14:15]
	s_waitcnt lgkmcnt(6)
	v_mov_b32_e32 v12, s25
	v_add_co_u32_e32 v14, vcc, s24, v14
	v_addc_co_u32_e32 v15, vcc, v12, v15, vcc
	global_store_dword v[14:15], v13, off
	s_or_b64 exec, exec, s[2:3]
	v_cmp_gt_u32_e32 vcc, s33, v31
	s_and_saveexec_b64 s[2:3], vcc
	s_cbranch_execnz .LBB2017_134
.LBB2017_169:
	s_or_b64 exec, exec, s[2:3]
	v_cmp_gt_u32_e32 vcc, s33, v30
	s_and_saveexec_b64 s[2:3], vcc
	s_cbranch_execz .LBB2017_139
.LBB2017_170:
	v_cmp_ge_u32_e32 vcc, v30, v18
                                        ; implicit-def: $vgpr12_vgpr13
	s_and_saveexec_b64 s[4:5], vcc
	s_xor_b64 s[4:5], exec, s[4:5]
	s_cbranch_execz .LBB2017_172
; %bb.171:
	s_waitcnt lgkmcnt(5)
	v_xor_b32_e32 v10, 0xfffffcff, v0
	v_ashrrev_i32_e32 v13, 31, v10
	v_add_co_u32_e32 v12, vcc, v19, v10
	v_addc_co_u32_e32 v13, vcc, v21, v13, vcc
                                        ; implicit-def: $vgpr30
.LBB2017_172:
	s_andn2_saveexec_b64 s[4:5], s[4:5]
	s_cbranch_execz .LBB2017_174
; %bb.173:
	s_waitcnt lgkmcnt(6)
	v_add_co_u32_e32 v12, vcc, v1, v30
	v_addc_co_u32_e32 v13, vcc, 0, v16, vcc
.LBB2017_174:
	s_or_b64 exec, exec, s[4:5]
	s_waitcnt lgkmcnt(6)
	v_lshlrev_b64 v[12:13], 2, v[12:13]
	s_waitcnt lgkmcnt(5)
	v_mov_b32_e32 v10, s25
	v_add_co_u32_e32 v12, vcc, s24, v12
	v_addc_co_u32_e32 v13, vcc, v10, v13, vcc
	global_store_dword v[12:13], v11, off
	s_or_b64 exec, exec, s[2:3]
	v_cmp_gt_u32_e32 vcc, s33, v29
	s_and_saveexec_b64 s[2:3], vcc
	s_cbranch_execnz .LBB2017_140
.LBB2017_175:
	s_or_b64 exec, exec, s[2:3]
	v_cmp_gt_u32_e32 vcc, s33, v28
	s_and_saveexec_b64 s[2:3], vcc
	s_cbranch_execz .LBB2017_145
.LBB2017_176:
	v_cmp_ge_u32_e32 vcc, v28, v18
                                        ; implicit-def: $vgpr10_vgpr11
	s_and_saveexec_b64 s[4:5], vcc
	s_xor_b64 s[4:5], exec, s[4:5]
	s_cbranch_execz .LBB2017_178
; %bb.177:
	s_waitcnt lgkmcnt(4)
	v_xor_b32_e32 v8, 0xfffffaff, v0
	v_ashrrev_i32_e32 v11, 31, v8
	v_add_co_u32_e32 v10, vcc, v19, v8
	v_addc_co_u32_e32 v11, vcc, v21, v11, vcc
                                        ; implicit-def: $vgpr28
.LBB2017_178:
	s_andn2_saveexec_b64 s[4:5], s[4:5]
	s_cbranch_execz .LBB2017_180
; %bb.179:
	s_waitcnt lgkmcnt(5)
	v_add_co_u32_e32 v10, vcc, v1, v28
	v_addc_co_u32_e32 v11, vcc, 0, v16, vcc
.LBB2017_180:
	s_or_b64 exec, exec, s[4:5]
	s_waitcnt lgkmcnt(5)
	v_lshlrev_b64 v[10:11], 2, v[10:11]
	s_waitcnt lgkmcnt(4)
	v_mov_b32_e32 v8, s25
	v_add_co_u32_e32 v10, vcc, s24, v10
	v_addc_co_u32_e32 v11, vcc, v8, v11, vcc
	global_store_dword v[10:11], v9, off
	s_or_b64 exec, exec, s[2:3]
	v_cmp_gt_u32_e32 vcc, s33, v27
	s_and_saveexec_b64 s[2:3], vcc
	s_cbranch_execnz .LBB2017_146
.LBB2017_181:
	s_or_b64 exec, exec, s[2:3]
	v_cmp_gt_u32_e32 vcc, s33, v26
	s_and_saveexec_b64 s[2:3], vcc
	s_cbranch_execz .LBB2017_151
.LBB2017_182:
	v_cmp_ge_u32_e32 vcc, v26, v18
                                        ; implicit-def: $vgpr8_vgpr9
	s_and_saveexec_b64 s[4:5], vcc
	s_xor_b64 s[4:5], exec, s[4:5]
	s_cbranch_execz .LBB2017_184
; %bb.183:
	s_waitcnt lgkmcnt(3)
	v_xor_b32_e32 v6, 0xfffff8ff, v0
	v_ashrrev_i32_e32 v9, 31, v6
	v_add_co_u32_e32 v8, vcc, v19, v6
	v_addc_co_u32_e32 v9, vcc, v21, v9, vcc
                                        ; implicit-def: $vgpr26
.LBB2017_184:
	s_andn2_saveexec_b64 s[4:5], s[4:5]
	s_cbranch_execz .LBB2017_186
; %bb.185:
	s_waitcnt lgkmcnt(4)
	v_add_co_u32_e32 v8, vcc, v1, v26
	v_addc_co_u32_e32 v9, vcc, 0, v16, vcc
.LBB2017_186:
	s_or_b64 exec, exec, s[4:5]
	s_waitcnt lgkmcnt(4)
	v_lshlrev_b64 v[8:9], 2, v[8:9]
	s_waitcnt lgkmcnt(3)
	v_mov_b32_e32 v6, s25
	v_add_co_u32_e32 v8, vcc, s24, v8
	v_addc_co_u32_e32 v9, vcc, v6, v9, vcc
	global_store_dword v[8:9], v7, off
	s_or_b64 exec, exec, s[2:3]
	v_cmp_gt_u32_e32 vcc, s33, v25
	s_and_saveexec_b64 s[2:3], vcc
	s_cbranch_execnz .LBB2017_152
.LBB2017_187:
	s_or_b64 exec, exec, s[2:3]
	v_cmp_gt_u32_e32 vcc, s33, v24
	s_and_saveexec_b64 s[2:3], vcc
	s_cbranch_execz .LBB2017_157
.LBB2017_188:
	v_cmp_ge_u32_e32 vcc, v24, v18
                                        ; implicit-def: $vgpr6_vgpr7
	s_and_saveexec_b64 s[4:5], vcc
	s_xor_b64 s[4:5], exec, s[4:5]
	s_cbranch_execz .LBB2017_190
; %bb.189:
	s_waitcnt lgkmcnt(2)
	v_xor_b32_e32 v4, 0xfffff6ff, v0
	v_ashrrev_i32_e32 v7, 31, v4
	v_add_co_u32_e32 v6, vcc, v19, v4
	v_addc_co_u32_e32 v7, vcc, v21, v7, vcc
                                        ; implicit-def: $vgpr24
.LBB2017_190:
	s_andn2_saveexec_b64 s[4:5], s[4:5]
	s_cbranch_execz .LBB2017_192
; %bb.191:
	s_waitcnt lgkmcnt(3)
	v_add_co_u32_e32 v6, vcc, v1, v24
	v_addc_co_u32_e32 v7, vcc, 0, v16, vcc
.LBB2017_192:
	s_or_b64 exec, exec, s[4:5]
	s_waitcnt lgkmcnt(3)
	v_lshlrev_b64 v[6:7], 2, v[6:7]
	s_waitcnt lgkmcnt(2)
	v_mov_b32_e32 v4, s25
	v_add_co_u32_e32 v6, vcc, s24, v6
	v_addc_co_u32_e32 v7, vcc, v4, v7, vcc
	global_store_dword v[6:7], v5, off
	s_or_b64 exec, exec, s[2:3]
	v_cmp_gt_u32_e32 vcc, s33, v23
	s_and_saveexec_b64 s[2:3], vcc
	s_cbranch_execnz .LBB2017_158
.LBB2017_193:
	s_or_b64 exec, exec, s[2:3]
	v_cmp_gt_u32_e32 vcc, s33, v22
	s_and_saveexec_b64 s[2:3], vcc
	s_cbranch_execz .LBB2017_199
.LBB2017_194:
	v_cmp_ge_u32_e32 vcc, v22, v18
                                        ; implicit-def: $vgpr4_vgpr5
	s_and_saveexec_b64 s[4:5], vcc
	s_xor_b64 s[4:5], exec, s[4:5]
	s_cbranch_execz .LBB2017_196
; %bb.195:
	s_waitcnt lgkmcnt(1)
	v_xor_b32_e32 v2, 0xfffff4ff, v0
	v_ashrrev_i32_e32 v5, 31, v2
	v_add_co_u32_e32 v4, vcc, v19, v2
	v_addc_co_u32_e32 v5, vcc, v21, v5, vcc
                                        ; implicit-def: $vgpr22
.LBB2017_196:
	s_andn2_saveexec_b64 s[4:5], s[4:5]
	s_cbranch_execz .LBB2017_198
; %bb.197:
	s_waitcnt lgkmcnt(2)
	v_add_co_u32_e32 v4, vcc, v1, v22
	v_addc_co_u32_e32 v5, vcc, 0, v16, vcc
.LBB2017_198:
	s_or_b64 exec, exec, s[4:5]
	s_waitcnt lgkmcnt(2)
	v_lshlrev_b64 v[4:5], 2, v[4:5]
	s_waitcnt lgkmcnt(1)
	v_mov_b32_e32 v2, s25
	v_add_co_u32_e32 v4, vcc, s24, v4
	v_addc_co_u32_e32 v5, vcc, v2, v5, vcc
	global_store_dword v[4:5], v3, off
.LBB2017_199:
	s_or_b64 exec, exec, s[2:3]
	v_cmp_gt_u32_e32 vcc, s33, v20
                                        ; implicit-def: $vgpr14_vgpr15
	s_and_saveexec_b64 s[2:3], vcc
	s_cbranch_execz .LBB2017_205
; %bb.200:
	v_cmp_ge_u32_e32 vcc, v20, v18
                                        ; implicit-def: $vgpr14_vgpr15
	s_and_saveexec_b64 s[4:5], vcc
	s_xor_b64 s[4:5], exec, s[4:5]
	s_cbranch_execz .LBB2017_202
; %bb.201:
	s_waitcnt lgkmcnt(1)
	v_xor_b32_e32 v2, 0xfffff3ff, v0
	v_ashrrev_i32_e32 v3, 31, v2
	v_add_co_u32_e32 v14, vcc, v19, v2
	v_addc_co_u32_e32 v15, vcc, v21, v3, vcc
                                        ; implicit-def: $vgpr20
.LBB2017_202:
	s_andn2_saveexec_b64 s[4:5], s[4:5]
; %bb.203:
	v_add_co_u32_e32 v14, vcc, v1, v20
	v_addc_co_u32_e32 v15, vcc, 0, v16, vcc
; %bb.204:
	s_or_b64 exec, exec, s[4:5]
	s_or_b64 s[0:1], s[0:1], exec
.LBB2017_205:
	s_or_b64 exec, exec, s[2:3]
.LBB2017_206:
	s_and_saveexec_b64 s[2:3], s[0:1]
	s_cbranch_execz .LBB2017_208
; %bb.207:
	s_waitcnt lgkmcnt(1)
	v_lshlrev_b64 v[2:3], 2, v[14:15]
	v_mov_b32_e32 v4, s25
	v_add_co_u32_e32 v2, vcc, s24, v2
	v_addc_co_u32_e32 v3, vcc, v4, v3, vcc
	s_waitcnt lgkmcnt(0)
	global_store_dword v[2:3], v17, off
.LBB2017_208:
	s_or_b64 exec, exec, s[2:3]
	v_cmp_eq_u32_e32 vcc, 0, v0
	s_and_b64 s[0:1], vcc, s[22:23]
	s_and_saveexec_b64 s[2:3], s[0:1]
	s_cbranch_execz .LBB2017_210
; %bb.209:
	v_add_co_u32_e32 v0, vcc, v1, v18
	s_waitcnt lgkmcnt(1)
	v_mov_b32_e32 v2, 0
	v_addc_co_u32_e32 v1, vcc, 0, v16, vcc
	global_store_dwordx2 v2, v[0:1], s[20:21]
.LBB2017_210:
	s_endpgm
	.section	.rodata,"a",@progbits
	.p2align	6, 0x0
	.amdhsa_kernel _ZN7rocprim17ROCPRIM_400000_NS6detail17trampoline_kernelINS0_13select_configILj256ELj13ELNS0_17block_load_methodE3ELS4_3ELS4_3ELNS0_20block_scan_algorithmE0ELj4294967295EEENS1_25partition_config_selectorILNS1_17partition_subalgoE3EjNS0_10empty_typeEbEEZZNS1_14partition_implILS8_3ELb0ES6_jNS0_17counting_iteratorIjlEEPS9_SE_NS0_5tupleIJPjSE_EEENSF_IJSE_SE_EEES9_SG_JZNS1_25segmented_radix_sort_implINS0_14default_configELb0EPK12hip_bfloat16PSL_PKlPlN2at6native12_GLOBAL__N_18offset_tEEE10hipError_tPvRmT1_PNSt15iterator_traitsISZ_E10value_typeET2_T3_PNS10_IS15_E10value_typeET4_jRbjT5_S1B_jjP12ihipStream_tbEUljE_EEESW_SX_SY_S15_S19_S1B_T6_T7_T9_mT8_S1D_bDpT10_ENKUlT_T0_E_clISt17integral_constantIbLb0EES1Q_EEDaS1L_S1M_EUlS1L_E_NS1_11comp_targetILNS1_3genE4ELNS1_11target_archE910ELNS1_3gpuE8ELNS1_3repE0EEENS1_30default_config_static_selectorELNS0_4arch9wavefront6targetE1EEEvSZ_
		.amdhsa_group_segment_fixed_size 13324
		.amdhsa_private_segment_fixed_size 0
		.amdhsa_kernarg_size 144
		.amdhsa_user_sgpr_count 6
		.amdhsa_user_sgpr_private_segment_buffer 1
		.amdhsa_user_sgpr_dispatch_ptr 0
		.amdhsa_user_sgpr_queue_ptr 0
		.amdhsa_user_sgpr_kernarg_segment_ptr 1
		.amdhsa_user_sgpr_dispatch_id 0
		.amdhsa_user_sgpr_flat_scratch_init 0
		.amdhsa_user_sgpr_kernarg_preload_length 0
		.amdhsa_user_sgpr_kernarg_preload_offset 0
		.amdhsa_user_sgpr_private_segment_size 0
		.amdhsa_uses_dynamic_stack 0
		.amdhsa_system_sgpr_private_segment_wavefront_offset 0
		.amdhsa_system_sgpr_workgroup_id_x 1
		.amdhsa_system_sgpr_workgroup_id_y 0
		.amdhsa_system_sgpr_workgroup_id_z 0
		.amdhsa_system_sgpr_workgroup_info 0
		.amdhsa_system_vgpr_workitem_id 0
		.amdhsa_next_free_vgpr 61
		.amdhsa_next_free_sgpr 46
		.amdhsa_accum_offset 64
		.amdhsa_reserve_vcc 1
		.amdhsa_reserve_flat_scratch 0
		.amdhsa_float_round_mode_32 0
		.amdhsa_float_round_mode_16_64 0
		.amdhsa_float_denorm_mode_32 3
		.amdhsa_float_denorm_mode_16_64 3
		.amdhsa_dx10_clamp 1
		.amdhsa_ieee_mode 1
		.amdhsa_fp16_overflow 0
		.amdhsa_tg_split 0
		.amdhsa_exception_fp_ieee_invalid_op 0
		.amdhsa_exception_fp_denorm_src 0
		.amdhsa_exception_fp_ieee_div_zero 0
		.amdhsa_exception_fp_ieee_overflow 0
		.amdhsa_exception_fp_ieee_underflow 0
		.amdhsa_exception_fp_ieee_inexact 0
		.amdhsa_exception_int_div_zero 0
	.end_amdhsa_kernel
	.section	.text._ZN7rocprim17ROCPRIM_400000_NS6detail17trampoline_kernelINS0_13select_configILj256ELj13ELNS0_17block_load_methodE3ELS4_3ELS4_3ELNS0_20block_scan_algorithmE0ELj4294967295EEENS1_25partition_config_selectorILNS1_17partition_subalgoE3EjNS0_10empty_typeEbEEZZNS1_14partition_implILS8_3ELb0ES6_jNS0_17counting_iteratorIjlEEPS9_SE_NS0_5tupleIJPjSE_EEENSF_IJSE_SE_EEES9_SG_JZNS1_25segmented_radix_sort_implINS0_14default_configELb0EPK12hip_bfloat16PSL_PKlPlN2at6native12_GLOBAL__N_18offset_tEEE10hipError_tPvRmT1_PNSt15iterator_traitsISZ_E10value_typeET2_T3_PNS10_IS15_E10value_typeET4_jRbjT5_S1B_jjP12ihipStream_tbEUljE_EEESW_SX_SY_S15_S19_S1B_T6_T7_T9_mT8_S1D_bDpT10_ENKUlT_T0_E_clISt17integral_constantIbLb0EES1Q_EEDaS1L_S1M_EUlS1L_E_NS1_11comp_targetILNS1_3genE4ELNS1_11target_archE910ELNS1_3gpuE8ELNS1_3repE0EEENS1_30default_config_static_selectorELNS0_4arch9wavefront6targetE1EEEvSZ_,"axG",@progbits,_ZN7rocprim17ROCPRIM_400000_NS6detail17trampoline_kernelINS0_13select_configILj256ELj13ELNS0_17block_load_methodE3ELS4_3ELS4_3ELNS0_20block_scan_algorithmE0ELj4294967295EEENS1_25partition_config_selectorILNS1_17partition_subalgoE3EjNS0_10empty_typeEbEEZZNS1_14partition_implILS8_3ELb0ES6_jNS0_17counting_iteratorIjlEEPS9_SE_NS0_5tupleIJPjSE_EEENSF_IJSE_SE_EEES9_SG_JZNS1_25segmented_radix_sort_implINS0_14default_configELb0EPK12hip_bfloat16PSL_PKlPlN2at6native12_GLOBAL__N_18offset_tEEE10hipError_tPvRmT1_PNSt15iterator_traitsISZ_E10value_typeET2_T3_PNS10_IS15_E10value_typeET4_jRbjT5_S1B_jjP12ihipStream_tbEUljE_EEESW_SX_SY_S15_S19_S1B_T6_T7_T9_mT8_S1D_bDpT10_ENKUlT_T0_E_clISt17integral_constantIbLb0EES1Q_EEDaS1L_S1M_EUlS1L_E_NS1_11comp_targetILNS1_3genE4ELNS1_11target_archE910ELNS1_3gpuE8ELNS1_3repE0EEENS1_30default_config_static_selectorELNS0_4arch9wavefront6targetE1EEEvSZ_,comdat
.Lfunc_end2017:
	.size	_ZN7rocprim17ROCPRIM_400000_NS6detail17trampoline_kernelINS0_13select_configILj256ELj13ELNS0_17block_load_methodE3ELS4_3ELS4_3ELNS0_20block_scan_algorithmE0ELj4294967295EEENS1_25partition_config_selectorILNS1_17partition_subalgoE3EjNS0_10empty_typeEbEEZZNS1_14partition_implILS8_3ELb0ES6_jNS0_17counting_iteratorIjlEEPS9_SE_NS0_5tupleIJPjSE_EEENSF_IJSE_SE_EEES9_SG_JZNS1_25segmented_radix_sort_implINS0_14default_configELb0EPK12hip_bfloat16PSL_PKlPlN2at6native12_GLOBAL__N_18offset_tEEE10hipError_tPvRmT1_PNSt15iterator_traitsISZ_E10value_typeET2_T3_PNS10_IS15_E10value_typeET4_jRbjT5_S1B_jjP12ihipStream_tbEUljE_EEESW_SX_SY_S15_S19_S1B_T6_T7_T9_mT8_S1D_bDpT10_ENKUlT_T0_E_clISt17integral_constantIbLb0EES1Q_EEDaS1L_S1M_EUlS1L_E_NS1_11comp_targetILNS1_3genE4ELNS1_11target_archE910ELNS1_3gpuE8ELNS1_3repE0EEENS1_30default_config_static_selectorELNS0_4arch9wavefront6targetE1EEEvSZ_, .Lfunc_end2017-_ZN7rocprim17ROCPRIM_400000_NS6detail17trampoline_kernelINS0_13select_configILj256ELj13ELNS0_17block_load_methodE3ELS4_3ELS4_3ELNS0_20block_scan_algorithmE0ELj4294967295EEENS1_25partition_config_selectorILNS1_17partition_subalgoE3EjNS0_10empty_typeEbEEZZNS1_14partition_implILS8_3ELb0ES6_jNS0_17counting_iteratorIjlEEPS9_SE_NS0_5tupleIJPjSE_EEENSF_IJSE_SE_EEES9_SG_JZNS1_25segmented_radix_sort_implINS0_14default_configELb0EPK12hip_bfloat16PSL_PKlPlN2at6native12_GLOBAL__N_18offset_tEEE10hipError_tPvRmT1_PNSt15iterator_traitsISZ_E10value_typeET2_T3_PNS10_IS15_E10value_typeET4_jRbjT5_S1B_jjP12ihipStream_tbEUljE_EEESW_SX_SY_S15_S19_S1B_T6_T7_T9_mT8_S1D_bDpT10_ENKUlT_T0_E_clISt17integral_constantIbLb0EES1Q_EEDaS1L_S1M_EUlS1L_E_NS1_11comp_targetILNS1_3genE4ELNS1_11target_archE910ELNS1_3gpuE8ELNS1_3repE0EEENS1_30default_config_static_selectorELNS0_4arch9wavefront6targetE1EEEvSZ_
                                        ; -- End function
	.section	.AMDGPU.csdata,"",@progbits
; Kernel info:
; codeLenInByte = 7676
; NumSgprs: 50
; NumVgprs: 61
; NumAgprs: 0
; TotalNumVgprs: 61
; ScratchSize: 0
; MemoryBound: 0
; FloatMode: 240
; IeeeMode: 1
; LDSByteSize: 13324 bytes/workgroup (compile time only)
; SGPRBlocks: 6
; VGPRBlocks: 7
; NumSGPRsForWavesPerEU: 50
; NumVGPRsForWavesPerEU: 61
; AccumOffset: 64
; Occupancy: 4
; WaveLimiterHint : 0
; COMPUTE_PGM_RSRC2:SCRATCH_EN: 0
; COMPUTE_PGM_RSRC2:USER_SGPR: 6
; COMPUTE_PGM_RSRC2:TRAP_HANDLER: 0
; COMPUTE_PGM_RSRC2:TGID_X_EN: 1
; COMPUTE_PGM_RSRC2:TGID_Y_EN: 0
; COMPUTE_PGM_RSRC2:TGID_Z_EN: 0
; COMPUTE_PGM_RSRC2:TIDIG_COMP_CNT: 0
; COMPUTE_PGM_RSRC3_GFX90A:ACCUM_OFFSET: 15
; COMPUTE_PGM_RSRC3_GFX90A:TG_SPLIT: 0
	.section	.text._ZN7rocprim17ROCPRIM_400000_NS6detail17trampoline_kernelINS0_13select_configILj256ELj13ELNS0_17block_load_methodE3ELS4_3ELS4_3ELNS0_20block_scan_algorithmE0ELj4294967295EEENS1_25partition_config_selectorILNS1_17partition_subalgoE3EjNS0_10empty_typeEbEEZZNS1_14partition_implILS8_3ELb0ES6_jNS0_17counting_iteratorIjlEEPS9_SE_NS0_5tupleIJPjSE_EEENSF_IJSE_SE_EEES9_SG_JZNS1_25segmented_radix_sort_implINS0_14default_configELb0EPK12hip_bfloat16PSL_PKlPlN2at6native12_GLOBAL__N_18offset_tEEE10hipError_tPvRmT1_PNSt15iterator_traitsISZ_E10value_typeET2_T3_PNS10_IS15_E10value_typeET4_jRbjT5_S1B_jjP12ihipStream_tbEUljE_EEESW_SX_SY_S15_S19_S1B_T6_T7_T9_mT8_S1D_bDpT10_ENKUlT_T0_E_clISt17integral_constantIbLb0EES1Q_EEDaS1L_S1M_EUlS1L_E_NS1_11comp_targetILNS1_3genE3ELNS1_11target_archE908ELNS1_3gpuE7ELNS1_3repE0EEENS1_30default_config_static_selectorELNS0_4arch9wavefront6targetE1EEEvSZ_,"axG",@progbits,_ZN7rocprim17ROCPRIM_400000_NS6detail17trampoline_kernelINS0_13select_configILj256ELj13ELNS0_17block_load_methodE3ELS4_3ELS4_3ELNS0_20block_scan_algorithmE0ELj4294967295EEENS1_25partition_config_selectorILNS1_17partition_subalgoE3EjNS0_10empty_typeEbEEZZNS1_14partition_implILS8_3ELb0ES6_jNS0_17counting_iteratorIjlEEPS9_SE_NS0_5tupleIJPjSE_EEENSF_IJSE_SE_EEES9_SG_JZNS1_25segmented_radix_sort_implINS0_14default_configELb0EPK12hip_bfloat16PSL_PKlPlN2at6native12_GLOBAL__N_18offset_tEEE10hipError_tPvRmT1_PNSt15iterator_traitsISZ_E10value_typeET2_T3_PNS10_IS15_E10value_typeET4_jRbjT5_S1B_jjP12ihipStream_tbEUljE_EEESW_SX_SY_S15_S19_S1B_T6_T7_T9_mT8_S1D_bDpT10_ENKUlT_T0_E_clISt17integral_constantIbLb0EES1Q_EEDaS1L_S1M_EUlS1L_E_NS1_11comp_targetILNS1_3genE3ELNS1_11target_archE908ELNS1_3gpuE7ELNS1_3repE0EEENS1_30default_config_static_selectorELNS0_4arch9wavefront6targetE1EEEvSZ_,comdat
	.globl	_ZN7rocprim17ROCPRIM_400000_NS6detail17trampoline_kernelINS0_13select_configILj256ELj13ELNS0_17block_load_methodE3ELS4_3ELS4_3ELNS0_20block_scan_algorithmE0ELj4294967295EEENS1_25partition_config_selectorILNS1_17partition_subalgoE3EjNS0_10empty_typeEbEEZZNS1_14partition_implILS8_3ELb0ES6_jNS0_17counting_iteratorIjlEEPS9_SE_NS0_5tupleIJPjSE_EEENSF_IJSE_SE_EEES9_SG_JZNS1_25segmented_radix_sort_implINS0_14default_configELb0EPK12hip_bfloat16PSL_PKlPlN2at6native12_GLOBAL__N_18offset_tEEE10hipError_tPvRmT1_PNSt15iterator_traitsISZ_E10value_typeET2_T3_PNS10_IS15_E10value_typeET4_jRbjT5_S1B_jjP12ihipStream_tbEUljE_EEESW_SX_SY_S15_S19_S1B_T6_T7_T9_mT8_S1D_bDpT10_ENKUlT_T0_E_clISt17integral_constantIbLb0EES1Q_EEDaS1L_S1M_EUlS1L_E_NS1_11comp_targetILNS1_3genE3ELNS1_11target_archE908ELNS1_3gpuE7ELNS1_3repE0EEENS1_30default_config_static_selectorELNS0_4arch9wavefront6targetE1EEEvSZ_ ; -- Begin function _ZN7rocprim17ROCPRIM_400000_NS6detail17trampoline_kernelINS0_13select_configILj256ELj13ELNS0_17block_load_methodE3ELS4_3ELS4_3ELNS0_20block_scan_algorithmE0ELj4294967295EEENS1_25partition_config_selectorILNS1_17partition_subalgoE3EjNS0_10empty_typeEbEEZZNS1_14partition_implILS8_3ELb0ES6_jNS0_17counting_iteratorIjlEEPS9_SE_NS0_5tupleIJPjSE_EEENSF_IJSE_SE_EEES9_SG_JZNS1_25segmented_radix_sort_implINS0_14default_configELb0EPK12hip_bfloat16PSL_PKlPlN2at6native12_GLOBAL__N_18offset_tEEE10hipError_tPvRmT1_PNSt15iterator_traitsISZ_E10value_typeET2_T3_PNS10_IS15_E10value_typeET4_jRbjT5_S1B_jjP12ihipStream_tbEUljE_EEESW_SX_SY_S15_S19_S1B_T6_T7_T9_mT8_S1D_bDpT10_ENKUlT_T0_E_clISt17integral_constantIbLb0EES1Q_EEDaS1L_S1M_EUlS1L_E_NS1_11comp_targetILNS1_3genE3ELNS1_11target_archE908ELNS1_3gpuE7ELNS1_3repE0EEENS1_30default_config_static_selectorELNS0_4arch9wavefront6targetE1EEEvSZ_
	.p2align	8
	.type	_ZN7rocprim17ROCPRIM_400000_NS6detail17trampoline_kernelINS0_13select_configILj256ELj13ELNS0_17block_load_methodE3ELS4_3ELS4_3ELNS0_20block_scan_algorithmE0ELj4294967295EEENS1_25partition_config_selectorILNS1_17partition_subalgoE3EjNS0_10empty_typeEbEEZZNS1_14partition_implILS8_3ELb0ES6_jNS0_17counting_iteratorIjlEEPS9_SE_NS0_5tupleIJPjSE_EEENSF_IJSE_SE_EEES9_SG_JZNS1_25segmented_radix_sort_implINS0_14default_configELb0EPK12hip_bfloat16PSL_PKlPlN2at6native12_GLOBAL__N_18offset_tEEE10hipError_tPvRmT1_PNSt15iterator_traitsISZ_E10value_typeET2_T3_PNS10_IS15_E10value_typeET4_jRbjT5_S1B_jjP12ihipStream_tbEUljE_EEESW_SX_SY_S15_S19_S1B_T6_T7_T9_mT8_S1D_bDpT10_ENKUlT_T0_E_clISt17integral_constantIbLb0EES1Q_EEDaS1L_S1M_EUlS1L_E_NS1_11comp_targetILNS1_3genE3ELNS1_11target_archE908ELNS1_3gpuE7ELNS1_3repE0EEENS1_30default_config_static_selectorELNS0_4arch9wavefront6targetE1EEEvSZ_,@function
_ZN7rocprim17ROCPRIM_400000_NS6detail17trampoline_kernelINS0_13select_configILj256ELj13ELNS0_17block_load_methodE3ELS4_3ELS4_3ELNS0_20block_scan_algorithmE0ELj4294967295EEENS1_25partition_config_selectorILNS1_17partition_subalgoE3EjNS0_10empty_typeEbEEZZNS1_14partition_implILS8_3ELb0ES6_jNS0_17counting_iteratorIjlEEPS9_SE_NS0_5tupleIJPjSE_EEENSF_IJSE_SE_EEES9_SG_JZNS1_25segmented_radix_sort_implINS0_14default_configELb0EPK12hip_bfloat16PSL_PKlPlN2at6native12_GLOBAL__N_18offset_tEEE10hipError_tPvRmT1_PNSt15iterator_traitsISZ_E10value_typeET2_T3_PNS10_IS15_E10value_typeET4_jRbjT5_S1B_jjP12ihipStream_tbEUljE_EEESW_SX_SY_S15_S19_S1B_T6_T7_T9_mT8_S1D_bDpT10_ENKUlT_T0_E_clISt17integral_constantIbLb0EES1Q_EEDaS1L_S1M_EUlS1L_E_NS1_11comp_targetILNS1_3genE3ELNS1_11target_archE908ELNS1_3gpuE7ELNS1_3repE0EEENS1_30default_config_static_selectorELNS0_4arch9wavefront6targetE1EEEvSZ_: ; @_ZN7rocprim17ROCPRIM_400000_NS6detail17trampoline_kernelINS0_13select_configILj256ELj13ELNS0_17block_load_methodE3ELS4_3ELS4_3ELNS0_20block_scan_algorithmE0ELj4294967295EEENS1_25partition_config_selectorILNS1_17partition_subalgoE3EjNS0_10empty_typeEbEEZZNS1_14partition_implILS8_3ELb0ES6_jNS0_17counting_iteratorIjlEEPS9_SE_NS0_5tupleIJPjSE_EEENSF_IJSE_SE_EEES9_SG_JZNS1_25segmented_radix_sort_implINS0_14default_configELb0EPK12hip_bfloat16PSL_PKlPlN2at6native12_GLOBAL__N_18offset_tEEE10hipError_tPvRmT1_PNSt15iterator_traitsISZ_E10value_typeET2_T3_PNS10_IS15_E10value_typeET4_jRbjT5_S1B_jjP12ihipStream_tbEUljE_EEESW_SX_SY_S15_S19_S1B_T6_T7_T9_mT8_S1D_bDpT10_ENKUlT_T0_E_clISt17integral_constantIbLb0EES1Q_EEDaS1L_S1M_EUlS1L_E_NS1_11comp_targetILNS1_3genE3ELNS1_11target_archE908ELNS1_3gpuE7ELNS1_3repE0EEENS1_30default_config_static_selectorELNS0_4arch9wavefront6targetE1EEEvSZ_
; %bb.0:
	.section	.rodata,"a",@progbits
	.p2align	6, 0x0
	.amdhsa_kernel _ZN7rocprim17ROCPRIM_400000_NS6detail17trampoline_kernelINS0_13select_configILj256ELj13ELNS0_17block_load_methodE3ELS4_3ELS4_3ELNS0_20block_scan_algorithmE0ELj4294967295EEENS1_25partition_config_selectorILNS1_17partition_subalgoE3EjNS0_10empty_typeEbEEZZNS1_14partition_implILS8_3ELb0ES6_jNS0_17counting_iteratorIjlEEPS9_SE_NS0_5tupleIJPjSE_EEENSF_IJSE_SE_EEES9_SG_JZNS1_25segmented_radix_sort_implINS0_14default_configELb0EPK12hip_bfloat16PSL_PKlPlN2at6native12_GLOBAL__N_18offset_tEEE10hipError_tPvRmT1_PNSt15iterator_traitsISZ_E10value_typeET2_T3_PNS10_IS15_E10value_typeET4_jRbjT5_S1B_jjP12ihipStream_tbEUljE_EEESW_SX_SY_S15_S19_S1B_T6_T7_T9_mT8_S1D_bDpT10_ENKUlT_T0_E_clISt17integral_constantIbLb0EES1Q_EEDaS1L_S1M_EUlS1L_E_NS1_11comp_targetILNS1_3genE3ELNS1_11target_archE908ELNS1_3gpuE7ELNS1_3repE0EEENS1_30default_config_static_selectorELNS0_4arch9wavefront6targetE1EEEvSZ_
		.amdhsa_group_segment_fixed_size 0
		.amdhsa_private_segment_fixed_size 0
		.amdhsa_kernarg_size 144
		.amdhsa_user_sgpr_count 6
		.amdhsa_user_sgpr_private_segment_buffer 1
		.amdhsa_user_sgpr_dispatch_ptr 0
		.amdhsa_user_sgpr_queue_ptr 0
		.amdhsa_user_sgpr_kernarg_segment_ptr 1
		.amdhsa_user_sgpr_dispatch_id 0
		.amdhsa_user_sgpr_flat_scratch_init 0
		.amdhsa_user_sgpr_kernarg_preload_length 0
		.amdhsa_user_sgpr_kernarg_preload_offset 0
		.amdhsa_user_sgpr_private_segment_size 0
		.amdhsa_uses_dynamic_stack 0
		.amdhsa_system_sgpr_private_segment_wavefront_offset 0
		.amdhsa_system_sgpr_workgroup_id_x 1
		.amdhsa_system_sgpr_workgroup_id_y 0
		.amdhsa_system_sgpr_workgroup_id_z 0
		.amdhsa_system_sgpr_workgroup_info 0
		.amdhsa_system_vgpr_workitem_id 0
		.amdhsa_next_free_vgpr 1
		.amdhsa_next_free_sgpr 0
		.amdhsa_accum_offset 4
		.amdhsa_reserve_vcc 0
		.amdhsa_reserve_flat_scratch 0
		.amdhsa_float_round_mode_32 0
		.amdhsa_float_round_mode_16_64 0
		.amdhsa_float_denorm_mode_32 3
		.amdhsa_float_denorm_mode_16_64 3
		.amdhsa_dx10_clamp 1
		.amdhsa_ieee_mode 1
		.amdhsa_fp16_overflow 0
		.amdhsa_tg_split 0
		.amdhsa_exception_fp_ieee_invalid_op 0
		.amdhsa_exception_fp_denorm_src 0
		.amdhsa_exception_fp_ieee_div_zero 0
		.amdhsa_exception_fp_ieee_overflow 0
		.amdhsa_exception_fp_ieee_underflow 0
		.amdhsa_exception_fp_ieee_inexact 0
		.amdhsa_exception_int_div_zero 0
	.end_amdhsa_kernel
	.section	.text._ZN7rocprim17ROCPRIM_400000_NS6detail17trampoline_kernelINS0_13select_configILj256ELj13ELNS0_17block_load_methodE3ELS4_3ELS4_3ELNS0_20block_scan_algorithmE0ELj4294967295EEENS1_25partition_config_selectorILNS1_17partition_subalgoE3EjNS0_10empty_typeEbEEZZNS1_14partition_implILS8_3ELb0ES6_jNS0_17counting_iteratorIjlEEPS9_SE_NS0_5tupleIJPjSE_EEENSF_IJSE_SE_EEES9_SG_JZNS1_25segmented_radix_sort_implINS0_14default_configELb0EPK12hip_bfloat16PSL_PKlPlN2at6native12_GLOBAL__N_18offset_tEEE10hipError_tPvRmT1_PNSt15iterator_traitsISZ_E10value_typeET2_T3_PNS10_IS15_E10value_typeET4_jRbjT5_S1B_jjP12ihipStream_tbEUljE_EEESW_SX_SY_S15_S19_S1B_T6_T7_T9_mT8_S1D_bDpT10_ENKUlT_T0_E_clISt17integral_constantIbLb0EES1Q_EEDaS1L_S1M_EUlS1L_E_NS1_11comp_targetILNS1_3genE3ELNS1_11target_archE908ELNS1_3gpuE7ELNS1_3repE0EEENS1_30default_config_static_selectorELNS0_4arch9wavefront6targetE1EEEvSZ_,"axG",@progbits,_ZN7rocprim17ROCPRIM_400000_NS6detail17trampoline_kernelINS0_13select_configILj256ELj13ELNS0_17block_load_methodE3ELS4_3ELS4_3ELNS0_20block_scan_algorithmE0ELj4294967295EEENS1_25partition_config_selectorILNS1_17partition_subalgoE3EjNS0_10empty_typeEbEEZZNS1_14partition_implILS8_3ELb0ES6_jNS0_17counting_iteratorIjlEEPS9_SE_NS0_5tupleIJPjSE_EEENSF_IJSE_SE_EEES9_SG_JZNS1_25segmented_radix_sort_implINS0_14default_configELb0EPK12hip_bfloat16PSL_PKlPlN2at6native12_GLOBAL__N_18offset_tEEE10hipError_tPvRmT1_PNSt15iterator_traitsISZ_E10value_typeET2_T3_PNS10_IS15_E10value_typeET4_jRbjT5_S1B_jjP12ihipStream_tbEUljE_EEESW_SX_SY_S15_S19_S1B_T6_T7_T9_mT8_S1D_bDpT10_ENKUlT_T0_E_clISt17integral_constantIbLb0EES1Q_EEDaS1L_S1M_EUlS1L_E_NS1_11comp_targetILNS1_3genE3ELNS1_11target_archE908ELNS1_3gpuE7ELNS1_3repE0EEENS1_30default_config_static_selectorELNS0_4arch9wavefront6targetE1EEEvSZ_,comdat
.Lfunc_end2018:
	.size	_ZN7rocprim17ROCPRIM_400000_NS6detail17trampoline_kernelINS0_13select_configILj256ELj13ELNS0_17block_load_methodE3ELS4_3ELS4_3ELNS0_20block_scan_algorithmE0ELj4294967295EEENS1_25partition_config_selectorILNS1_17partition_subalgoE3EjNS0_10empty_typeEbEEZZNS1_14partition_implILS8_3ELb0ES6_jNS0_17counting_iteratorIjlEEPS9_SE_NS0_5tupleIJPjSE_EEENSF_IJSE_SE_EEES9_SG_JZNS1_25segmented_radix_sort_implINS0_14default_configELb0EPK12hip_bfloat16PSL_PKlPlN2at6native12_GLOBAL__N_18offset_tEEE10hipError_tPvRmT1_PNSt15iterator_traitsISZ_E10value_typeET2_T3_PNS10_IS15_E10value_typeET4_jRbjT5_S1B_jjP12ihipStream_tbEUljE_EEESW_SX_SY_S15_S19_S1B_T6_T7_T9_mT8_S1D_bDpT10_ENKUlT_T0_E_clISt17integral_constantIbLb0EES1Q_EEDaS1L_S1M_EUlS1L_E_NS1_11comp_targetILNS1_3genE3ELNS1_11target_archE908ELNS1_3gpuE7ELNS1_3repE0EEENS1_30default_config_static_selectorELNS0_4arch9wavefront6targetE1EEEvSZ_, .Lfunc_end2018-_ZN7rocprim17ROCPRIM_400000_NS6detail17trampoline_kernelINS0_13select_configILj256ELj13ELNS0_17block_load_methodE3ELS4_3ELS4_3ELNS0_20block_scan_algorithmE0ELj4294967295EEENS1_25partition_config_selectorILNS1_17partition_subalgoE3EjNS0_10empty_typeEbEEZZNS1_14partition_implILS8_3ELb0ES6_jNS0_17counting_iteratorIjlEEPS9_SE_NS0_5tupleIJPjSE_EEENSF_IJSE_SE_EEES9_SG_JZNS1_25segmented_radix_sort_implINS0_14default_configELb0EPK12hip_bfloat16PSL_PKlPlN2at6native12_GLOBAL__N_18offset_tEEE10hipError_tPvRmT1_PNSt15iterator_traitsISZ_E10value_typeET2_T3_PNS10_IS15_E10value_typeET4_jRbjT5_S1B_jjP12ihipStream_tbEUljE_EEESW_SX_SY_S15_S19_S1B_T6_T7_T9_mT8_S1D_bDpT10_ENKUlT_T0_E_clISt17integral_constantIbLb0EES1Q_EEDaS1L_S1M_EUlS1L_E_NS1_11comp_targetILNS1_3genE3ELNS1_11target_archE908ELNS1_3gpuE7ELNS1_3repE0EEENS1_30default_config_static_selectorELNS0_4arch9wavefront6targetE1EEEvSZ_
                                        ; -- End function
	.section	.AMDGPU.csdata,"",@progbits
; Kernel info:
; codeLenInByte = 0
; NumSgprs: 4
; NumVgprs: 0
; NumAgprs: 0
; TotalNumVgprs: 0
; ScratchSize: 0
; MemoryBound: 0
; FloatMode: 240
; IeeeMode: 1
; LDSByteSize: 0 bytes/workgroup (compile time only)
; SGPRBlocks: 0
; VGPRBlocks: 0
; NumSGPRsForWavesPerEU: 4
; NumVGPRsForWavesPerEU: 1
; AccumOffset: 4
; Occupancy: 8
; WaveLimiterHint : 0
; COMPUTE_PGM_RSRC2:SCRATCH_EN: 0
; COMPUTE_PGM_RSRC2:USER_SGPR: 6
; COMPUTE_PGM_RSRC2:TRAP_HANDLER: 0
; COMPUTE_PGM_RSRC2:TGID_X_EN: 1
; COMPUTE_PGM_RSRC2:TGID_Y_EN: 0
; COMPUTE_PGM_RSRC2:TGID_Z_EN: 0
; COMPUTE_PGM_RSRC2:TIDIG_COMP_CNT: 0
; COMPUTE_PGM_RSRC3_GFX90A:ACCUM_OFFSET: 0
; COMPUTE_PGM_RSRC3_GFX90A:TG_SPLIT: 0
	.section	.text._ZN7rocprim17ROCPRIM_400000_NS6detail17trampoline_kernelINS0_13select_configILj256ELj13ELNS0_17block_load_methodE3ELS4_3ELS4_3ELNS0_20block_scan_algorithmE0ELj4294967295EEENS1_25partition_config_selectorILNS1_17partition_subalgoE3EjNS0_10empty_typeEbEEZZNS1_14partition_implILS8_3ELb0ES6_jNS0_17counting_iteratorIjlEEPS9_SE_NS0_5tupleIJPjSE_EEENSF_IJSE_SE_EEES9_SG_JZNS1_25segmented_radix_sort_implINS0_14default_configELb0EPK12hip_bfloat16PSL_PKlPlN2at6native12_GLOBAL__N_18offset_tEEE10hipError_tPvRmT1_PNSt15iterator_traitsISZ_E10value_typeET2_T3_PNS10_IS15_E10value_typeET4_jRbjT5_S1B_jjP12ihipStream_tbEUljE_EEESW_SX_SY_S15_S19_S1B_T6_T7_T9_mT8_S1D_bDpT10_ENKUlT_T0_E_clISt17integral_constantIbLb0EES1Q_EEDaS1L_S1M_EUlS1L_E_NS1_11comp_targetILNS1_3genE2ELNS1_11target_archE906ELNS1_3gpuE6ELNS1_3repE0EEENS1_30default_config_static_selectorELNS0_4arch9wavefront6targetE1EEEvSZ_,"axG",@progbits,_ZN7rocprim17ROCPRIM_400000_NS6detail17trampoline_kernelINS0_13select_configILj256ELj13ELNS0_17block_load_methodE3ELS4_3ELS4_3ELNS0_20block_scan_algorithmE0ELj4294967295EEENS1_25partition_config_selectorILNS1_17partition_subalgoE3EjNS0_10empty_typeEbEEZZNS1_14partition_implILS8_3ELb0ES6_jNS0_17counting_iteratorIjlEEPS9_SE_NS0_5tupleIJPjSE_EEENSF_IJSE_SE_EEES9_SG_JZNS1_25segmented_radix_sort_implINS0_14default_configELb0EPK12hip_bfloat16PSL_PKlPlN2at6native12_GLOBAL__N_18offset_tEEE10hipError_tPvRmT1_PNSt15iterator_traitsISZ_E10value_typeET2_T3_PNS10_IS15_E10value_typeET4_jRbjT5_S1B_jjP12ihipStream_tbEUljE_EEESW_SX_SY_S15_S19_S1B_T6_T7_T9_mT8_S1D_bDpT10_ENKUlT_T0_E_clISt17integral_constantIbLb0EES1Q_EEDaS1L_S1M_EUlS1L_E_NS1_11comp_targetILNS1_3genE2ELNS1_11target_archE906ELNS1_3gpuE6ELNS1_3repE0EEENS1_30default_config_static_selectorELNS0_4arch9wavefront6targetE1EEEvSZ_,comdat
	.globl	_ZN7rocprim17ROCPRIM_400000_NS6detail17trampoline_kernelINS0_13select_configILj256ELj13ELNS0_17block_load_methodE3ELS4_3ELS4_3ELNS0_20block_scan_algorithmE0ELj4294967295EEENS1_25partition_config_selectorILNS1_17partition_subalgoE3EjNS0_10empty_typeEbEEZZNS1_14partition_implILS8_3ELb0ES6_jNS0_17counting_iteratorIjlEEPS9_SE_NS0_5tupleIJPjSE_EEENSF_IJSE_SE_EEES9_SG_JZNS1_25segmented_radix_sort_implINS0_14default_configELb0EPK12hip_bfloat16PSL_PKlPlN2at6native12_GLOBAL__N_18offset_tEEE10hipError_tPvRmT1_PNSt15iterator_traitsISZ_E10value_typeET2_T3_PNS10_IS15_E10value_typeET4_jRbjT5_S1B_jjP12ihipStream_tbEUljE_EEESW_SX_SY_S15_S19_S1B_T6_T7_T9_mT8_S1D_bDpT10_ENKUlT_T0_E_clISt17integral_constantIbLb0EES1Q_EEDaS1L_S1M_EUlS1L_E_NS1_11comp_targetILNS1_3genE2ELNS1_11target_archE906ELNS1_3gpuE6ELNS1_3repE0EEENS1_30default_config_static_selectorELNS0_4arch9wavefront6targetE1EEEvSZ_ ; -- Begin function _ZN7rocprim17ROCPRIM_400000_NS6detail17trampoline_kernelINS0_13select_configILj256ELj13ELNS0_17block_load_methodE3ELS4_3ELS4_3ELNS0_20block_scan_algorithmE0ELj4294967295EEENS1_25partition_config_selectorILNS1_17partition_subalgoE3EjNS0_10empty_typeEbEEZZNS1_14partition_implILS8_3ELb0ES6_jNS0_17counting_iteratorIjlEEPS9_SE_NS0_5tupleIJPjSE_EEENSF_IJSE_SE_EEES9_SG_JZNS1_25segmented_radix_sort_implINS0_14default_configELb0EPK12hip_bfloat16PSL_PKlPlN2at6native12_GLOBAL__N_18offset_tEEE10hipError_tPvRmT1_PNSt15iterator_traitsISZ_E10value_typeET2_T3_PNS10_IS15_E10value_typeET4_jRbjT5_S1B_jjP12ihipStream_tbEUljE_EEESW_SX_SY_S15_S19_S1B_T6_T7_T9_mT8_S1D_bDpT10_ENKUlT_T0_E_clISt17integral_constantIbLb0EES1Q_EEDaS1L_S1M_EUlS1L_E_NS1_11comp_targetILNS1_3genE2ELNS1_11target_archE906ELNS1_3gpuE6ELNS1_3repE0EEENS1_30default_config_static_selectorELNS0_4arch9wavefront6targetE1EEEvSZ_
	.p2align	8
	.type	_ZN7rocprim17ROCPRIM_400000_NS6detail17trampoline_kernelINS0_13select_configILj256ELj13ELNS0_17block_load_methodE3ELS4_3ELS4_3ELNS0_20block_scan_algorithmE0ELj4294967295EEENS1_25partition_config_selectorILNS1_17partition_subalgoE3EjNS0_10empty_typeEbEEZZNS1_14partition_implILS8_3ELb0ES6_jNS0_17counting_iteratorIjlEEPS9_SE_NS0_5tupleIJPjSE_EEENSF_IJSE_SE_EEES9_SG_JZNS1_25segmented_radix_sort_implINS0_14default_configELb0EPK12hip_bfloat16PSL_PKlPlN2at6native12_GLOBAL__N_18offset_tEEE10hipError_tPvRmT1_PNSt15iterator_traitsISZ_E10value_typeET2_T3_PNS10_IS15_E10value_typeET4_jRbjT5_S1B_jjP12ihipStream_tbEUljE_EEESW_SX_SY_S15_S19_S1B_T6_T7_T9_mT8_S1D_bDpT10_ENKUlT_T0_E_clISt17integral_constantIbLb0EES1Q_EEDaS1L_S1M_EUlS1L_E_NS1_11comp_targetILNS1_3genE2ELNS1_11target_archE906ELNS1_3gpuE6ELNS1_3repE0EEENS1_30default_config_static_selectorELNS0_4arch9wavefront6targetE1EEEvSZ_,@function
_ZN7rocprim17ROCPRIM_400000_NS6detail17trampoline_kernelINS0_13select_configILj256ELj13ELNS0_17block_load_methodE3ELS4_3ELS4_3ELNS0_20block_scan_algorithmE0ELj4294967295EEENS1_25partition_config_selectorILNS1_17partition_subalgoE3EjNS0_10empty_typeEbEEZZNS1_14partition_implILS8_3ELb0ES6_jNS0_17counting_iteratorIjlEEPS9_SE_NS0_5tupleIJPjSE_EEENSF_IJSE_SE_EEES9_SG_JZNS1_25segmented_radix_sort_implINS0_14default_configELb0EPK12hip_bfloat16PSL_PKlPlN2at6native12_GLOBAL__N_18offset_tEEE10hipError_tPvRmT1_PNSt15iterator_traitsISZ_E10value_typeET2_T3_PNS10_IS15_E10value_typeET4_jRbjT5_S1B_jjP12ihipStream_tbEUljE_EEESW_SX_SY_S15_S19_S1B_T6_T7_T9_mT8_S1D_bDpT10_ENKUlT_T0_E_clISt17integral_constantIbLb0EES1Q_EEDaS1L_S1M_EUlS1L_E_NS1_11comp_targetILNS1_3genE2ELNS1_11target_archE906ELNS1_3gpuE6ELNS1_3repE0EEENS1_30default_config_static_selectorELNS0_4arch9wavefront6targetE1EEEvSZ_: ; @_ZN7rocprim17ROCPRIM_400000_NS6detail17trampoline_kernelINS0_13select_configILj256ELj13ELNS0_17block_load_methodE3ELS4_3ELS4_3ELNS0_20block_scan_algorithmE0ELj4294967295EEENS1_25partition_config_selectorILNS1_17partition_subalgoE3EjNS0_10empty_typeEbEEZZNS1_14partition_implILS8_3ELb0ES6_jNS0_17counting_iteratorIjlEEPS9_SE_NS0_5tupleIJPjSE_EEENSF_IJSE_SE_EEES9_SG_JZNS1_25segmented_radix_sort_implINS0_14default_configELb0EPK12hip_bfloat16PSL_PKlPlN2at6native12_GLOBAL__N_18offset_tEEE10hipError_tPvRmT1_PNSt15iterator_traitsISZ_E10value_typeET2_T3_PNS10_IS15_E10value_typeET4_jRbjT5_S1B_jjP12ihipStream_tbEUljE_EEESW_SX_SY_S15_S19_S1B_T6_T7_T9_mT8_S1D_bDpT10_ENKUlT_T0_E_clISt17integral_constantIbLb0EES1Q_EEDaS1L_S1M_EUlS1L_E_NS1_11comp_targetILNS1_3genE2ELNS1_11target_archE906ELNS1_3gpuE6ELNS1_3repE0EEENS1_30default_config_static_selectorELNS0_4arch9wavefront6targetE1EEEvSZ_
; %bb.0:
	.section	.rodata,"a",@progbits
	.p2align	6, 0x0
	.amdhsa_kernel _ZN7rocprim17ROCPRIM_400000_NS6detail17trampoline_kernelINS0_13select_configILj256ELj13ELNS0_17block_load_methodE3ELS4_3ELS4_3ELNS0_20block_scan_algorithmE0ELj4294967295EEENS1_25partition_config_selectorILNS1_17partition_subalgoE3EjNS0_10empty_typeEbEEZZNS1_14partition_implILS8_3ELb0ES6_jNS0_17counting_iteratorIjlEEPS9_SE_NS0_5tupleIJPjSE_EEENSF_IJSE_SE_EEES9_SG_JZNS1_25segmented_radix_sort_implINS0_14default_configELb0EPK12hip_bfloat16PSL_PKlPlN2at6native12_GLOBAL__N_18offset_tEEE10hipError_tPvRmT1_PNSt15iterator_traitsISZ_E10value_typeET2_T3_PNS10_IS15_E10value_typeET4_jRbjT5_S1B_jjP12ihipStream_tbEUljE_EEESW_SX_SY_S15_S19_S1B_T6_T7_T9_mT8_S1D_bDpT10_ENKUlT_T0_E_clISt17integral_constantIbLb0EES1Q_EEDaS1L_S1M_EUlS1L_E_NS1_11comp_targetILNS1_3genE2ELNS1_11target_archE906ELNS1_3gpuE6ELNS1_3repE0EEENS1_30default_config_static_selectorELNS0_4arch9wavefront6targetE1EEEvSZ_
		.amdhsa_group_segment_fixed_size 0
		.amdhsa_private_segment_fixed_size 0
		.amdhsa_kernarg_size 144
		.amdhsa_user_sgpr_count 6
		.amdhsa_user_sgpr_private_segment_buffer 1
		.amdhsa_user_sgpr_dispatch_ptr 0
		.amdhsa_user_sgpr_queue_ptr 0
		.amdhsa_user_sgpr_kernarg_segment_ptr 1
		.amdhsa_user_sgpr_dispatch_id 0
		.amdhsa_user_sgpr_flat_scratch_init 0
		.amdhsa_user_sgpr_kernarg_preload_length 0
		.amdhsa_user_sgpr_kernarg_preload_offset 0
		.amdhsa_user_sgpr_private_segment_size 0
		.amdhsa_uses_dynamic_stack 0
		.amdhsa_system_sgpr_private_segment_wavefront_offset 0
		.amdhsa_system_sgpr_workgroup_id_x 1
		.amdhsa_system_sgpr_workgroup_id_y 0
		.amdhsa_system_sgpr_workgroup_id_z 0
		.amdhsa_system_sgpr_workgroup_info 0
		.amdhsa_system_vgpr_workitem_id 0
		.amdhsa_next_free_vgpr 1
		.amdhsa_next_free_sgpr 0
		.amdhsa_accum_offset 4
		.amdhsa_reserve_vcc 0
		.amdhsa_reserve_flat_scratch 0
		.amdhsa_float_round_mode_32 0
		.amdhsa_float_round_mode_16_64 0
		.amdhsa_float_denorm_mode_32 3
		.amdhsa_float_denorm_mode_16_64 3
		.amdhsa_dx10_clamp 1
		.amdhsa_ieee_mode 1
		.amdhsa_fp16_overflow 0
		.amdhsa_tg_split 0
		.amdhsa_exception_fp_ieee_invalid_op 0
		.amdhsa_exception_fp_denorm_src 0
		.amdhsa_exception_fp_ieee_div_zero 0
		.amdhsa_exception_fp_ieee_overflow 0
		.amdhsa_exception_fp_ieee_underflow 0
		.amdhsa_exception_fp_ieee_inexact 0
		.amdhsa_exception_int_div_zero 0
	.end_amdhsa_kernel
	.section	.text._ZN7rocprim17ROCPRIM_400000_NS6detail17trampoline_kernelINS0_13select_configILj256ELj13ELNS0_17block_load_methodE3ELS4_3ELS4_3ELNS0_20block_scan_algorithmE0ELj4294967295EEENS1_25partition_config_selectorILNS1_17partition_subalgoE3EjNS0_10empty_typeEbEEZZNS1_14partition_implILS8_3ELb0ES6_jNS0_17counting_iteratorIjlEEPS9_SE_NS0_5tupleIJPjSE_EEENSF_IJSE_SE_EEES9_SG_JZNS1_25segmented_radix_sort_implINS0_14default_configELb0EPK12hip_bfloat16PSL_PKlPlN2at6native12_GLOBAL__N_18offset_tEEE10hipError_tPvRmT1_PNSt15iterator_traitsISZ_E10value_typeET2_T3_PNS10_IS15_E10value_typeET4_jRbjT5_S1B_jjP12ihipStream_tbEUljE_EEESW_SX_SY_S15_S19_S1B_T6_T7_T9_mT8_S1D_bDpT10_ENKUlT_T0_E_clISt17integral_constantIbLb0EES1Q_EEDaS1L_S1M_EUlS1L_E_NS1_11comp_targetILNS1_3genE2ELNS1_11target_archE906ELNS1_3gpuE6ELNS1_3repE0EEENS1_30default_config_static_selectorELNS0_4arch9wavefront6targetE1EEEvSZ_,"axG",@progbits,_ZN7rocprim17ROCPRIM_400000_NS6detail17trampoline_kernelINS0_13select_configILj256ELj13ELNS0_17block_load_methodE3ELS4_3ELS4_3ELNS0_20block_scan_algorithmE0ELj4294967295EEENS1_25partition_config_selectorILNS1_17partition_subalgoE3EjNS0_10empty_typeEbEEZZNS1_14partition_implILS8_3ELb0ES6_jNS0_17counting_iteratorIjlEEPS9_SE_NS0_5tupleIJPjSE_EEENSF_IJSE_SE_EEES9_SG_JZNS1_25segmented_radix_sort_implINS0_14default_configELb0EPK12hip_bfloat16PSL_PKlPlN2at6native12_GLOBAL__N_18offset_tEEE10hipError_tPvRmT1_PNSt15iterator_traitsISZ_E10value_typeET2_T3_PNS10_IS15_E10value_typeET4_jRbjT5_S1B_jjP12ihipStream_tbEUljE_EEESW_SX_SY_S15_S19_S1B_T6_T7_T9_mT8_S1D_bDpT10_ENKUlT_T0_E_clISt17integral_constantIbLb0EES1Q_EEDaS1L_S1M_EUlS1L_E_NS1_11comp_targetILNS1_3genE2ELNS1_11target_archE906ELNS1_3gpuE6ELNS1_3repE0EEENS1_30default_config_static_selectorELNS0_4arch9wavefront6targetE1EEEvSZ_,comdat
.Lfunc_end2019:
	.size	_ZN7rocprim17ROCPRIM_400000_NS6detail17trampoline_kernelINS0_13select_configILj256ELj13ELNS0_17block_load_methodE3ELS4_3ELS4_3ELNS0_20block_scan_algorithmE0ELj4294967295EEENS1_25partition_config_selectorILNS1_17partition_subalgoE3EjNS0_10empty_typeEbEEZZNS1_14partition_implILS8_3ELb0ES6_jNS0_17counting_iteratorIjlEEPS9_SE_NS0_5tupleIJPjSE_EEENSF_IJSE_SE_EEES9_SG_JZNS1_25segmented_radix_sort_implINS0_14default_configELb0EPK12hip_bfloat16PSL_PKlPlN2at6native12_GLOBAL__N_18offset_tEEE10hipError_tPvRmT1_PNSt15iterator_traitsISZ_E10value_typeET2_T3_PNS10_IS15_E10value_typeET4_jRbjT5_S1B_jjP12ihipStream_tbEUljE_EEESW_SX_SY_S15_S19_S1B_T6_T7_T9_mT8_S1D_bDpT10_ENKUlT_T0_E_clISt17integral_constantIbLb0EES1Q_EEDaS1L_S1M_EUlS1L_E_NS1_11comp_targetILNS1_3genE2ELNS1_11target_archE906ELNS1_3gpuE6ELNS1_3repE0EEENS1_30default_config_static_selectorELNS0_4arch9wavefront6targetE1EEEvSZ_, .Lfunc_end2019-_ZN7rocprim17ROCPRIM_400000_NS6detail17trampoline_kernelINS0_13select_configILj256ELj13ELNS0_17block_load_methodE3ELS4_3ELS4_3ELNS0_20block_scan_algorithmE0ELj4294967295EEENS1_25partition_config_selectorILNS1_17partition_subalgoE3EjNS0_10empty_typeEbEEZZNS1_14partition_implILS8_3ELb0ES6_jNS0_17counting_iteratorIjlEEPS9_SE_NS0_5tupleIJPjSE_EEENSF_IJSE_SE_EEES9_SG_JZNS1_25segmented_radix_sort_implINS0_14default_configELb0EPK12hip_bfloat16PSL_PKlPlN2at6native12_GLOBAL__N_18offset_tEEE10hipError_tPvRmT1_PNSt15iterator_traitsISZ_E10value_typeET2_T3_PNS10_IS15_E10value_typeET4_jRbjT5_S1B_jjP12ihipStream_tbEUljE_EEESW_SX_SY_S15_S19_S1B_T6_T7_T9_mT8_S1D_bDpT10_ENKUlT_T0_E_clISt17integral_constantIbLb0EES1Q_EEDaS1L_S1M_EUlS1L_E_NS1_11comp_targetILNS1_3genE2ELNS1_11target_archE906ELNS1_3gpuE6ELNS1_3repE0EEENS1_30default_config_static_selectorELNS0_4arch9wavefront6targetE1EEEvSZ_
                                        ; -- End function
	.section	.AMDGPU.csdata,"",@progbits
; Kernel info:
; codeLenInByte = 0
; NumSgprs: 4
; NumVgprs: 0
; NumAgprs: 0
; TotalNumVgprs: 0
; ScratchSize: 0
; MemoryBound: 0
; FloatMode: 240
; IeeeMode: 1
; LDSByteSize: 0 bytes/workgroup (compile time only)
; SGPRBlocks: 0
; VGPRBlocks: 0
; NumSGPRsForWavesPerEU: 4
; NumVGPRsForWavesPerEU: 1
; AccumOffset: 4
; Occupancy: 8
; WaveLimiterHint : 0
; COMPUTE_PGM_RSRC2:SCRATCH_EN: 0
; COMPUTE_PGM_RSRC2:USER_SGPR: 6
; COMPUTE_PGM_RSRC2:TRAP_HANDLER: 0
; COMPUTE_PGM_RSRC2:TGID_X_EN: 1
; COMPUTE_PGM_RSRC2:TGID_Y_EN: 0
; COMPUTE_PGM_RSRC2:TGID_Z_EN: 0
; COMPUTE_PGM_RSRC2:TIDIG_COMP_CNT: 0
; COMPUTE_PGM_RSRC3_GFX90A:ACCUM_OFFSET: 0
; COMPUTE_PGM_RSRC3_GFX90A:TG_SPLIT: 0
	.section	.text._ZN7rocprim17ROCPRIM_400000_NS6detail17trampoline_kernelINS0_13select_configILj256ELj13ELNS0_17block_load_methodE3ELS4_3ELS4_3ELNS0_20block_scan_algorithmE0ELj4294967295EEENS1_25partition_config_selectorILNS1_17partition_subalgoE3EjNS0_10empty_typeEbEEZZNS1_14partition_implILS8_3ELb0ES6_jNS0_17counting_iteratorIjlEEPS9_SE_NS0_5tupleIJPjSE_EEENSF_IJSE_SE_EEES9_SG_JZNS1_25segmented_radix_sort_implINS0_14default_configELb0EPK12hip_bfloat16PSL_PKlPlN2at6native12_GLOBAL__N_18offset_tEEE10hipError_tPvRmT1_PNSt15iterator_traitsISZ_E10value_typeET2_T3_PNS10_IS15_E10value_typeET4_jRbjT5_S1B_jjP12ihipStream_tbEUljE_EEESW_SX_SY_S15_S19_S1B_T6_T7_T9_mT8_S1D_bDpT10_ENKUlT_T0_E_clISt17integral_constantIbLb0EES1Q_EEDaS1L_S1M_EUlS1L_E_NS1_11comp_targetILNS1_3genE10ELNS1_11target_archE1200ELNS1_3gpuE4ELNS1_3repE0EEENS1_30default_config_static_selectorELNS0_4arch9wavefront6targetE1EEEvSZ_,"axG",@progbits,_ZN7rocprim17ROCPRIM_400000_NS6detail17trampoline_kernelINS0_13select_configILj256ELj13ELNS0_17block_load_methodE3ELS4_3ELS4_3ELNS0_20block_scan_algorithmE0ELj4294967295EEENS1_25partition_config_selectorILNS1_17partition_subalgoE3EjNS0_10empty_typeEbEEZZNS1_14partition_implILS8_3ELb0ES6_jNS0_17counting_iteratorIjlEEPS9_SE_NS0_5tupleIJPjSE_EEENSF_IJSE_SE_EEES9_SG_JZNS1_25segmented_radix_sort_implINS0_14default_configELb0EPK12hip_bfloat16PSL_PKlPlN2at6native12_GLOBAL__N_18offset_tEEE10hipError_tPvRmT1_PNSt15iterator_traitsISZ_E10value_typeET2_T3_PNS10_IS15_E10value_typeET4_jRbjT5_S1B_jjP12ihipStream_tbEUljE_EEESW_SX_SY_S15_S19_S1B_T6_T7_T9_mT8_S1D_bDpT10_ENKUlT_T0_E_clISt17integral_constantIbLb0EES1Q_EEDaS1L_S1M_EUlS1L_E_NS1_11comp_targetILNS1_3genE10ELNS1_11target_archE1200ELNS1_3gpuE4ELNS1_3repE0EEENS1_30default_config_static_selectorELNS0_4arch9wavefront6targetE1EEEvSZ_,comdat
	.globl	_ZN7rocprim17ROCPRIM_400000_NS6detail17trampoline_kernelINS0_13select_configILj256ELj13ELNS0_17block_load_methodE3ELS4_3ELS4_3ELNS0_20block_scan_algorithmE0ELj4294967295EEENS1_25partition_config_selectorILNS1_17partition_subalgoE3EjNS0_10empty_typeEbEEZZNS1_14partition_implILS8_3ELb0ES6_jNS0_17counting_iteratorIjlEEPS9_SE_NS0_5tupleIJPjSE_EEENSF_IJSE_SE_EEES9_SG_JZNS1_25segmented_radix_sort_implINS0_14default_configELb0EPK12hip_bfloat16PSL_PKlPlN2at6native12_GLOBAL__N_18offset_tEEE10hipError_tPvRmT1_PNSt15iterator_traitsISZ_E10value_typeET2_T3_PNS10_IS15_E10value_typeET4_jRbjT5_S1B_jjP12ihipStream_tbEUljE_EEESW_SX_SY_S15_S19_S1B_T6_T7_T9_mT8_S1D_bDpT10_ENKUlT_T0_E_clISt17integral_constantIbLb0EES1Q_EEDaS1L_S1M_EUlS1L_E_NS1_11comp_targetILNS1_3genE10ELNS1_11target_archE1200ELNS1_3gpuE4ELNS1_3repE0EEENS1_30default_config_static_selectorELNS0_4arch9wavefront6targetE1EEEvSZ_ ; -- Begin function _ZN7rocprim17ROCPRIM_400000_NS6detail17trampoline_kernelINS0_13select_configILj256ELj13ELNS0_17block_load_methodE3ELS4_3ELS4_3ELNS0_20block_scan_algorithmE0ELj4294967295EEENS1_25partition_config_selectorILNS1_17partition_subalgoE3EjNS0_10empty_typeEbEEZZNS1_14partition_implILS8_3ELb0ES6_jNS0_17counting_iteratorIjlEEPS9_SE_NS0_5tupleIJPjSE_EEENSF_IJSE_SE_EEES9_SG_JZNS1_25segmented_radix_sort_implINS0_14default_configELb0EPK12hip_bfloat16PSL_PKlPlN2at6native12_GLOBAL__N_18offset_tEEE10hipError_tPvRmT1_PNSt15iterator_traitsISZ_E10value_typeET2_T3_PNS10_IS15_E10value_typeET4_jRbjT5_S1B_jjP12ihipStream_tbEUljE_EEESW_SX_SY_S15_S19_S1B_T6_T7_T9_mT8_S1D_bDpT10_ENKUlT_T0_E_clISt17integral_constantIbLb0EES1Q_EEDaS1L_S1M_EUlS1L_E_NS1_11comp_targetILNS1_3genE10ELNS1_11target_archE1200ELNS1_3gpuE4ELNS1_3repE0EEENS1_30default_config_static_selectorELNS0_4arch9wavefront6targetE1EEEvSZ_
	.p2align	8
	.type	_ZN7rocprim17ROCPRIM_400000_NS6detail17trampoline_kernelINS0_13select_configILj256ELj13ELNS0_17block_load_methodE3ELS4_3ELS4_3ELNS0_20block_scan_algorithmE0ELj4294967295EEENS1_25partition_config_selectorILNS1_17partition_subalgoE3EjNS0_10empty_typeEbEEZZNS1_14partition_implILS8_3ELb0ES6_jNS0_17counting_iteratorIjlEEPS9_SE_NS0_5tupleIJPjSE_EEENSF_IJSE_SE_EEES9_SG_JZNS1_25segmented_radix_sort_implINS0_14default_configELb0EPK12hip_bfloat16PSL_PKlPlN2at6native12_GLOBAL__N_18offset_tEEE10hipError_tPvRmT1_PNSt15iterator_traitsISZ_E10value_typeET2_T3_PNS10_IS15_E10value_typeET4_jRbjT5_S1B_jjP12ihipStream_tbEUljE_EEESW_SX_SY_S15_S19_S1B_T6_T7_T9_mT8_S1D_bDpT10_ENKUlT_T0_E_clISt17integral_constantIbLb0EES1Q_EEDaS1L_S1M_EUlS1L_E_NS1_11comp_targetILNS1_3genE10ELNS1_11target_archE1200ELNS1_3gpuE4ELNS1_3repE0EEENS1_30default_config_static_selectorELNS0_4arch9wavefront6targetE1EEEvSZ_,@function
_ZN7rocprim17ROCPRIM_400000_NS6detail17trampoline_kernelINS0_13select_configILj256ELj13ELNS0_17block_load_methodE3ELS4_3ELS4_3ELNS0_20block_scan_algorithmE0ELj4294967295EEENS1_25partition_config_selectorILNS1_17partition_subalgoE3EjNS0_10empty_typeEbEEZZNS1_14partition_implILS8_3ELb0ES6_jNS0_17counting_iteratorIjlEEPS9_SE_NS0_5tupleIJPjSE_EEENSF_IJSE_SE_EEES9_SG_JZNS1_25segmented_radix_sort_implINS0_14default_configELb0EPK12hip_bfloat16PSL_PKlPlN2at6native12_GLOBAL__N_18offset_tEEE10hipError_tPvRmT1_PNSt15iterator_traitsISZ_E10value_typeET2_T3_PNS10_IS15_E10value_typeET4_jRbjT5_S1B_jjP12ihipStream_tbEUljE_EEESW_SX_SY_S15_S19_S1B_T6_T7_T9_mT8_S1D_bDpT10_ENKUlT_T0_E_clISt17integral_constantIbLb0EES1Q_EEDaS1L_S1M_EUlS1L_E_NS1_11comp_targetILNS1_3genE10ELNS1_11target_archE1200ELNS1_3gpuE4ELNS1_3repE0EEENS1_30default_config_static_selectorELNS0_4arch9wavefront6targetE1EEEvSZ_: ; @_ZN7rocprim17ROCPRIM_400000_NS6detail17trampoline_kernelINS0_13select_configILj256ELj13ELNS0_17block_load_methodE3ELS4_3ELS4_3ELNS0_20block_scan_algorithmE0ELj4294967295EEENS1_25partition_config_selectorILNS1_17partition_subalgoE3EjNS0_10empty_typeEbEEZZNS1_14partition_implILS8_3ELb0ES6_jNS0_17counting_iteratorIjlEEPS9_SE_NS0_5tupleIJPjSE_EEENSF_IJSE_SE_EEES9_SG_JZNS1_25segmented_radix_sort_implINS0_14default_configELb0EPK12hip_bfloat16PSL_PKlPlN2at6native12_GLOBAL__N_18offset_tEEE10hipError_tPvRmT1_PNSt15iterator_traitsISZ_E10value_typeET2_T3_PNS10_IS15_E10value_typeET4_jRbjT5_S1B_jjP12ihipStream_tbEUljE_EEESW_SX_SY_S15_S19_S1B_T6_T7_T9_mT8_S1D_bDpT10_ENKUlT_T0_E_clISt17integral_constantIbLb0EES1Q_EEDaS1L_S1M_EUlS1L_E_NS1_11comp_targetILNS1_3genE10ELNS1_11target_archE1200ELNS1_3gpuE4ELNS1_3repE0EEENS1_30default_config_static_selectorELNS0_4arch9wavefront6targetE1EEEvSZ_
; %bb.0:
	.section	.rodata,"a",@progbits
	.p2align	6, 0x0
	.amdhsa_kernel _ZN7rocprim17ROCPRIM_400000_NS6detail17trampoline_kernelINS0_13select_configILj256ELj13ELNS0_17block_load_methodE3ELS4_3ELS4_3ELNS0_20block_scan_algorithmE0ELj4294967295EEENS1_25partition_config_selectorILNS1_17partition_subalgoE3EjNS0_10empty_typeEbEEZZNS1_14partition_implILS8_3ELb0ES6_jNS0_17counting_iteratorIjlEEPS9_SE_NS0_5tupleIJPjSE_EEENSF_IJSE_SE_EEES9_SG_JZNS1_25segmented_radix_sort_implINS0_14default_configELb0EPK12hip_bfloat16PSL_PKlPlN2at6native12_GLOBAL__N_18offset_tEEE10hipError_tPvRmT1_PNSt15iterator_traitsISZ_E10value_typeET2_T3_PNS10_IS15_E10value_typeET4_jRbjT5_S1B_jjP12ihipStream_tbEUljE_EEESW_SX_SY_S15_S19_S1B_T6_T7_T9_mT8_S1D_bDpT10_ENKUlT_T0_E_clISt17integral_constantIbLb0EES1Q_EEDaS1L_S1M_EUlS1L_E_NS1_11comp_targetILNS1_3genE10ELNS1_11target_archE1200ELNS1_3gpuE4ELNS1_3repE0EEENS1_30default_config_static_selectorELNS0_4arch9wavefront6targetE1EEEvSZ_
		.amdhsa_group_segment_fixed_size 0
		.amdhsa_private_segment_fixed_size 0
		.amdhsa_kernarg_size 144
		.amdhsa_user_sgpr_count 6
		.amdhsa_user_sgpr_private_segment_buffer 1
		.amdhsa_user_sgpr_dispatch_ptr 0
		.amdhsa_user_sgpr_queue_ptr 0
		.amdhsa_user_sgpr_kernarg_segment_ptr 1
		.amdhsa_user_sgpr_dispatch_id 0
		.amdhsa_user_sgpr_flat_scratch_init 0
		.amdhsa_user_sgpr_kernarg_preload_length 0
		.amdhsa_user_sgpr_kernarg_preload_offset 0
		.amdhsa_user_sgpr_private_segment_size 0
		.amdhsa_uses_dynamic_stack 0
		.amdhsa_system_sgpr_private_segment_wavefront_offset 0
		.amdhsa_system_sgpr_workgroup_id_x 1
		.amdhsa_system_sgpr_workgroup_id_y 0
		.amdhsa_system_sgpr_workgroup_id_z 0
		.amdhsa_system_sgpr_workgroup_info 0
		.amdhsa_system_vgpr_workitem_id 0
		.amdhsa_next_free_vgpr 1
		.amdhsa_next_free_sgpr 0
		.amdhsa_accum_offset 4
		.amdhsa_reserve_vcc 0
		.amdhsa_reserve_flat_scratch 0
		.amdhsa_float_round_mode_32 0
		.amdhsa_float_round_mode_16_64 0
		.amdhsa_float_denorm_mode_32 3
		.amdhsa_float_denorm_mode_16_64 3
		.amdhsa_dx10_clamp 1
		.amdhsa_ieee_mode 1
		.amdhsa_fp16_overflow 0
		.amdhsa_tg_split 0
		.amdhsa_exception_fp_ieee_invalid_op 0
		.amdhsa_exception_fp_denorm_src 0
		.amdhsa_exception_fp_ieee_div_zero 0
		.amdhsa_exception_fp_ieee_overflow 0
		.amdhsa_exception_fp_ieee_underflow 0
		.amdhsa_exception_fp_ieee_inexact 0
		.amdhsa_exception_int_div_zero 0
	.end_amdhsa_kernel
	.section	.text._ZN7rocprim17ROCPRIM_400000_NS6detail17trampoline_kernelINS0_13select_configILj256ELj13ELNS0_17block_load_methodE3ELS4_3ELS4_3ELNS0_20block_scan_algorithmE0ELj4294967295EEENS1_25partition_config_selectorILNS1_17partition_subalgoE3EjNS0_10empty_typeEbEEZZNS1_14partition_implILS8_3ELb0ES6_jNS0_17counting_iteratorIjlEEPS9_SE_NS0_5tupleIJPjSE_EEENSF_IJSE_SE_EEES9_SG_JZNS1_25segmented_radix_sort_implINS0_14default_configELb0EPK12hip_bfloat16PSL_PKlPlN2at6native12_GLOBAL__N_18offset_tEEE10hipError_tPvRmT1_PNSt15iterator_traitsISZ_E10value_typeET2_T3_PNS10_IS15_E10value_typeET4_jRbjT5_S1B_jjP12ihipStream_tbEUljE_EEESW_SX_SY_S15_S19_S1B_T6_T7_T9_mT8_S1D_bDpT10_ENKUlT_T0_E_clISt17integral_constantIbLb0EES1Q_EEDaS1L_S1M_EUlS1L_E_NS1_11comp_targetILNS1_3genE10ELNS1_11target_archE1200ELNS1_3gpuE4ELNS1_3repE0EEENS1_30default_config_static_selectorELNS0_4arch9wavefront6targetE1EEEvSZ_,"axG",@progbits,_ZN7rocprim17ROCPRIM_400000_NS6detail17trampoline_kernelINS0_13select_configILj256ELj13ELNS0_17block_load_methodE3ELS4_3ELS4_3ELNS0_20block_scan_algorithmE0ELj4294967295EEENS1_25partition_config_selectorILNS1_17partition_subalgoE3EjNS0_10empty_typeEbEEZZNS1_14partition_implILS8_3ELb0ES6_jNS0_17counting_iteratorIjlEEPS9_SE_NS0_5tupleIJPjSE_EEENSF_IJSE_SE_EEES9_SG_JZNS1_25segmented_radix_sort_implINS0_14default_configELb0EPK12hip_bfloat16PSL_PKlPlN2at6native12_GLOBAL__N_18offset_tEEE10hipError_tPvRmT1_PNSt15iterator_traitsISZ_E10value_typeET2_T3_PNS10_IS15_E10value_typeET4_jRbjT5_S1B_jjP12ihipStream_tbEUljE_EEESW_SX_SY_S15_S19_S1B_T6_T7_T9_mT8_S1D_bDpT10_ENKUlT_T0_E_clISt17integral_constantIbLb0EES1Q_EEDaS1L_S1M_EUlS1L_E_NS1_11comp_targetILNS1_3genE10ELNS1_11target_archE1200ELNS1_3gpuE4ELNS1_3repE0EEENS1_30default_config_static_selectorELNS0_4arch9wavefront6targetE1EEEvSZ_,comdat
.Lfunc_end2020:
	.size	_ZN7rocprim17ROCPRIM_400000_NS6detail17trampoline_kernelINS0_13select_configILj256ELj13ELNS0_17block_load_methodE3ELS4_3ELS4_3ELNS0_20block_scan_algorithmE0ELj4294967295EEENS1_25partition_config_selectorILNS1_17partition_subalgoE3EjNS0_10empty_typeEbEEZZNS1_14partition_implILS8_3ELb0ES6_jNS0_17counting_iteratorIjlEEPS9_SE_NS0_5tupleIJPjSE_EEENSF_IJSE_SE_EEES9_SG_JZNS1_25segmented_radix_sort_implINS0_14default_configELb0EPK12hip_bfloat16PSL_PKlPlN2at6native12_GLOBAL__N_18offset_tEEE10hipError_tPvRmT1_PNSt15iterator_traitsISZ_E10value_typeET2_T3_PNS10_IS15_E10value_typeET4_jRbjT5_S1B_jjP12ihipStream_tbEUljE_EEESW_SX_SY_S15_S19_S1B_T6_T7_T9_mT8_S1D_bDpT10_ENKUlT_T0_E_clISt17integral_constantIbLb0EES1Q_EEDaS1L_S1M_EUlS1L_E_NS1_11comp_targetILNS1_3genE10ELNS1_11target_archE1200ELNS1_3gpuE4ELNS1_3repE0EEENS1_30default_config_static_selectorELNS0_4arch9wavefront6targetE1EEEvSZ_, .Lfunc_end2020-_ZN7rocprim17ROCPRIM_400000_NS6detail17trampoline_kernelINS0_13select_configILj256ELj13ELNS0_17block_load_methodE3ELS4_3ELS4_3ELNS0_20block_scan_algorithmE0ELj4294967295EEENS1_25partition_config_selectorILNS1_17partition_subalgoE3EjNS0_10empty_typeEbEEZZNS1_14partition_implILS8_3ELb0ES6_jNS0_17counting_iteratorIjlEEPS9_SE_NS0_5tupleIJPjSE_EEENSF_IJSE_SE_EEES9_SG_JZNS1_25segmented_radix_sort_implINS0_14default_configELb0EPK12hip_bfloat16PSL_PKlPlN2at6native12_GLOBAL__N_18offset_tEEE10hipError_tPvRmT1_PNSt15iterator_traitsISZ_E10value_typeET2_T3_PNS10_IS15_E10value_typeET4_jRbjT5_S1B_jjP12ihipStream_tbEUljE_EEESW_SX_SY_S15_S19_S1B_T6_T7_T9_mT8_S1D_bDpT10_ENKUlT_T0_E_clISt17integral_constantIbLb0EES1Q_EEDaS1L_S1M_EUlS1L_E_NS1_11comp_targetILNS1_3genE10ELNS1_11target_archE1200ELNS1_3gpuE4ELNS1_3repE0EEENS1_30default_config_static_selectorELNS0_4arch9wavefront6targetE1EEEvSZ_
                                        ; -- End function
	.section	.AMDGPU.csdata,"",@progbits
; Kernel info:
; codeLenInByte = 0
; NumSgprs: 4
; NumVgprs: 0
; NumAgprs: 0
; TotalNumVgprs: 0
; ScratchSize: 0
; MemoryBound: 0
; FloatMode: 240
; IeeeMode: 1
; LDSByteSize: 0 bytes/workgroup (compile time only)
; SGPRBlocks: 0
; VGPRBlocks: 0
; NumSGPRsForWavesPerEU: 4
; NumVGPRsForWavesPerEU: 1
; AccumOffset: 4
; Occupancy: 8
; WaveLimiterHint : 0
; COMPUTE_PGM_RSRC2:SCRATCH_EN: 0
; COMPUTE_PGM_RSRC2:USER_SGPR: 6
; COMPUTE_PGM_RSRC2:TRAP_HANDLER: 0
; COMPUTE_PGM_RSRC2:TGID_X_EN: 1
; COMPUTE_PGM_RSRC2:TGID_Y_EN: 0
; COMPUTE_PGM_RSRC2:TGID_Z_EN: 0
; COMPUTE_PGM_RSRC2:TIDIG_COMP_CNT: 0
; COMPUTE_PGM_RSRC3_GFX90A:ACCUM_OFFSET: 0
; COMPUTE_PGM_RSRC3_GFX90A:TG_SPLIT: 0
	.section	.text._ZN7rocprim17ROCPRIM_400000_NS6detail17trampoline_kernelINS0_13select_configILj256ELj13ELNS0_17block_load_methodE3ELS4_3ELS4_3ELNS0_20block_scan_algorithmE0ELj4294967295EEENS1_25partition_config_selectorILNS1_17partition_subalgoE3EjNS0_10empty_typeEbEEZZNS1_14partition_implILS8_3ELb0ES6_jNS0_17counting_iteratorIjlEEPS9_SE_NS0_5tupleIJPjSE_EEENSF_IJSE_SE_EEES9_SG_JZNS1_25segmented_radix_sort_implINS0_14default_configELb0EPK12hip_bfloat16PSL_PKlPlN2at6native12_GLOBAL__N_18offset_tEEE10hipError_tPvRmT1_PNSt15iterator_traitsISZ_E10value_typeET2_T3_PNS10_IS15_E10value_typeET4_jRbjT5_S1B_jjP12ihipStream_tbEUljE_EEESW_SX_SY_S15_S19_S1B_T6_T7_T9_mT8_S1D_bDpT10_ENKUlT_T0_E_clISt17integral_constantIbLb0EES1Q_EEDaS1L_S1M_EUlS1L_E_NS1_11comp_targetILNS1_3genE9ELNS1_11target_archE1100ELNS1_3gpuE3ELNS1_3repE0EEENS1_30default_config_static_selectorELNS0_4arch9wavefront6targetE1EEEvSZ_,"axG",@progbits,_ZN7rocprim17ROCPRIM_400000_NS6detail17trampoline_kernelINS0_13select_configILj256ELj13ELNS0_17block_load_methodE3ELS4_3ELS4_3ELNS0_20block_scan_algorithmE0ELj4294967295EEENS1_25partition_config_selectorILNS1_17partition_subalgoE3EjNS0_10empty_typeEbEEZZNS1_14partition_implILS8_3ELb0ES6_jNS0_17counting_iteratorIjlEEPS9_SE_NS0_5tupleIJPjSE_EEENSF_IJSE_SE_EEES9_SG_JZNS1_25segmented_radix_sort_implINS0_14default_configELb0EPK12hip_bfloat16PSL_PKlPlN2at6native12_GLOBAL__N_18offset_tEEE10hipError_tPvRmT1_PNSt15iterator_traitsISZ_E10value_typeET2_T3_PNS10_IS15_E10value_typeET4_jRbjT5_S1B_jjP12ihipStream_tbEUljE_EEESW_SX_SY_S15_S19_S1B_T6_T7_T9_mT8_S1D_bDpT10_ENKUlT_T0_E_clISt17integral_constantIbLb0EES1Q_EEDaS1L_S1M_EUlS1L_E_NS1_11comp_targetILNS1_3genE9ELNS1_11target_archE1100ELNS1_3gpuE3ELNS1_3repE0EEENS1_30default_config_static_selectorELNS0_4arch9wavefront6targetE1EEEvSZ_,comdat
	.globl	_ZN7rocprim17ROCPRIM_400000_NS6detail17trampoline_kernelINS0_13select_configILj256ELj13ELNS0_17block_load_methodE3ELS4_3ELS4_3ELNS0_20block_scan_algorithmE0ELj4294967295EEENS1_25partition_config_selectorILNS1_17partition_subalgoE3EjNS0_10empty_typeEbEEZZNS1_14partition_implILS8_3ELb0ES6_jNS0_17counting_iteratorIjlEEPS9_SE_NS0_5tupleIJPjSE_EEENSF_IJSE_SE_EEES9_SG_JZNS1_25segmented_radix_sort_implINS0_14default_configELb0EPK12hip_bfloat16PSL_PKlPlN2at6native12_GLOBAL__N_18offset_tEEE10hipError_tPvRmT1_PNSt15iterator_traitsISZ_E10value_typeET2_T3_PNS10_IS15_E10value_typeET4_jRbjT5_S1B_jjP12ihipStream_tbEUljE_EEESW_SX_SY_S15_S19_S1B_T6_T7_T9_mT8_S1D_bDpT10_ENKUlT_T0_E_clISt17integral_constantIbLb0EES1Q_EEDaS1L_S1M_EUlS1L_E_NS1_11comp_targetILNS1_3genE9ELNS1_11target_archE1100ELNS1_3gpuE3ELNS1_3repE0EEENS1_30default_config_static_selectorELNS0_4arch9wavefront6targetE1EEEvSZ_ ; -- Begin function _ZN7rocprim17ROCPRIM_400000_NS6detail17trampoline_kernelINS0_13select_configILj256ELj13ELNS0_17block_load_methodE3ELS4_3ELS4_3ELNS0_20block_scan_algorithmE0ELj4294967295EEENS1_25partition_config_selectorILNS1_17partition_subalgoE3EjNS0_10empty_typeEbEEZZNS1_14partition_implILS8_3ELb0ES6_jNS0_17counting_iteratorIjlEEPS9_SE_NS0_5tupleIJPjSE_EEENSF_IJSE_SE_EEES9_SG_JZNS1_25segmented_radix_sort_implINS0_14default_configELb0EPK12hip_bfloat16PSL_PKlPlN2at6native12_GLOBAL__N_18offset_tEEE10hipError_tPvRmT1_PNSt15iterator_traitsISZ_E10value_typeET2_T3_PNS10_IS15_E10value_typeET4_jRbjT5_S1B_jjP12ihipStream_tbEUljE_EEESW_SX_SY_S15_S19_S1B_T6_T7_T9_mT8_S1D_bDpT10_ENKUlT_T0_E_clISt17integral_constantIbLb0EES1Q_EEDaS1L_S1M_EUlS1L_E_NS1_11comp_targetILNS1_3genE9ELNS1_11target_archE1100ELNS1_3gpuE3ELNS1_3repE0EEENS1_30default_config_static_selectorELNS0_4arch9wavefront6targetE1EEEvSZ_
	.p2align	8
	.type	_ZN7rocprim17ROCPRIM_400000_NS6detail17trampoline_kernelINS0_13select_configILj256ELj13ELNS0_17block_load_methodE3ELS4_3ELS4_3ELNS0_20block_scan_algorithmE0ELj4294967295EEENS1_25partition_config_selectorILNS1_17partition_subalgoE3EjNS0_10empty_typeEbEEZZNS1_14partition_implILS8_3ELb0ES6_jNS0_17counting_iteratorIjlEEPS9_SE_NS0_5tupleIJPjSE_EEENSF_IJSE_SE_EEES9_SG_JZNS1_25segmented_radix_sort_implINS0_14default_configELb0EPK12hip_bfloat16PSL_PKlPlN2at6native12_GLOBAL__N_18offset_tEEE10hipError_tPvRmT1_PNSt15iterator_traitsISZ_E10value_typeET2_T3_PNS10_IS15_E10value_typeET4_jRbjT5_S1B_jjP12ihipStream_tbEUljE_EEESW_SX_SY_S15_S19_S1B_T6_T7_T9_mT8_S1D_bDpT10_ENKUlT_T0_E_clISt17integral_constantIbLb0EES1Q_EEDaS1L_S1M_EUlS1L_E_NS1_11comp_targetILNS1_3genE9ELNS1_11target_archE1100ELNS1_3gpuE3ELNS1_3repE0EEENS1_30default_config_static_selectorELNS0_4arch9wavefront6targetE1EEEvSZ_,@function
_ZN7rocprim17ROCPRIM_400000_NS6detail17trampoline_kernelINS0_13select_configILj256ELj13ELNS0_17block_load_methodE3ELS4_3ELS4_3ELNS0_20block_scan_algorithmE0ELj4294967295EEENS1_25partition_config_selectorILNS1_17partition_subalgoE3EjNS0_10empty_typeEbEEZZNS1_14partition_implILS8_3ELb0ES6_jNS0_17counting_iteratorIjlEEPS9_SE_NS0_5tupleIJPjSE_EEENSF_IJSE_SE_EEES9_SG_JZNS1_25segmented_radix_sort_implINS0_14default_configELb0EPK12hip_bfloat16PSL_PKlPlN2at6native12_GLOBAL__N_18offset_tEEE10hipError_tPvRmT1_PNSt15iterator_traitsISZ_E10value_typeET2_T3_PNS10_IS15_E10value_typeET4_jRbjT5_S1B_jjP12ihipStream_tbEUljE_EEESW_SX_SY_S15_S19_S1B_T6_T7_T9_mT8_S1D_bDpT10_ENKUlT_T0_E_clISt17integral_constantIbLb0EES1Q_EEDaS1L_S1M_EUlS1L_E_NS1_11comp_targetILNS1_3genE9ELNS1_11target_archE1100ELNS1_3gpuE3ELNS1_3repE0EEENS1_30default_config_static_selectorELNS0_4arch9wavefront6targetE1EEEvSZ_: ; @_ZN7rocprim17ROCPRIM_400000_NS6detail17trampoline_kernelINS0_13select_configILj256ELj13ELNS0_17block_load_methodE3ELS4_3ELS4_3ELNS0_20block_scan_algorithmE0ELj4294967295EEENS1_25partition_config_selectorILNS1_17partition_subalgoE3EjNS0_10empty_typeEbEEZZNS1_14partition_implILS8_3ELb0ES6_jNS0_17counting_iteratorIjlEEPS9_SE_NS0_5tupleIJPjSE_EEENSF_IJSE_SE_EEES9_SG_JZNS1_25segmented_radix_sort_implINS0_14default_configELb0EPK12hip_bfloat16PSL_PKlPlN2at6native12_GLOBAL__N_18offset_tEEE10hipError_tPvRmT1_PNSt15iterator_traitsISZ_E10value_typeET2_T3_PNS10_IS15_E10value_typeET4_jRbjT5_S1B_jjP12ihipStream_tbEUljE_EEESW_SX_SY_S15_S19_S1B_T6_T7_T9_mT8_S1D_bDpT10_ENKUlT_T0_E_clISt17integral_constantIbLb0EES1Q_EEDaS1L_S1M_EUlS1L_E_NS1_11comp_targetILNS1_3genE9ELNS1_11target_archE1100ELNS1_3gpuE3ELNS1_3repE0EEENS1_30default_config_static_selectorELNS0_4arch9wavefront6targetE1EEEvSZ_
; %bb.0:
	.section	.rodata,"a",@progbits
	.p2align	6, 0x0
	.amdhsa_kernel _ZN7rocprim17ROCPRIM_400000_NS6detail17trampoline_kernelINS0_13select_configILj256ELj13ELNS0_17block_load_methodE3ELS4_3ELS4_3ELNS0_20block_scan_algorithmE0ELj4294967295EEENS1_25partition_config_selectorILNS1_17partition_subalgoE3EjNS0_10empty_typeEbEEZZNS1_14partition_implILS8_3ELb0ES6_jNS0_17counting_iteratorIjlEEPS9_SE_NS0_5tupleIJPjSE_EEENSF_IJSE_SE_EEES9_SG_JZNS1_25segmented_radix_sort_implINS0_14default_configELb0EPK12hip_bfloat16PSL_PKlPlN2at6native12_GLOBAL__N_18offset_tEEE10hipError_tPvRmT1_PNSt15iterator_traitsISZ_E10value_typeET2_T3_PNS10_IS15_E10value_typeET4_jRbjT5_S1B_jjP12ihipStream_tbEUljE_EEESW_SX_SY_S15_S19_S1B_T6_T7_T9_mT8_S1D_bDpT10_ENKUlT_T0_E_clISt17integral_constantIbLb0EES1Q_EEDaS1L_S1M_EUlS1L_E_NS1_11comp_targetILNS1_3genE9ELNS1_11target_archE1100ELNS1_3gpuE3ELNS1_3repE0EEENS1_30default_config_static_selectorELNS0_4arch9wavefront6targetE1EEEvSZ_
		.amdhsa_group_segment_fixed_size 0
		.amdhsa_private_segment_fixed_size 0
		.amdhsa_kernarg_size 144
		.amdhsa_user_sgpr_count 6
		.amdhsa_user_sgpr_private_segment_buffer 1
		.amdhsa_user_sgpr_dispatch_ptr 0
		.amdhsa_user_sgpr_queue_ptr 0
		.amdhsa_user_sgpr_kernarg_segment_ptr 1
		.amdhsa_user_sgpr_dispatch_id 0
		.amdhsa_user_sgpr_flat_scratch_init 0
		.amdhsa_user_sgpr_kernarg_preload_length 0
		.amdhsa_user_sgpr_kernarg_preload_offset 0
		.amdhsa_user_sgpr_private_segment_size 0
		.amdhsa_uses_dynamic_stack 0
		.amdhsa_system_sgpr_private_segment_wavefront_offset 0
		.amdhsa_system_sgpr_workgroup_id_x 1
		.amdhsa_system_sgpr_workgroup_id_y 0
		.amdhsa_system_sgpr_workgroup_id_z 0
		.amdhsa_system_sgpr_workgroup_info 0
		.amdhsa_system_vgpr_workitem_id 0
		.amdhsa_next_free_vgpr 1
		.amdhsa_next_free_sgpr 0
		.amdhsa_accum_offset 4
		.amdhsa_reserve_vcc 0
		.amdhsa_reserve_flat_scratch 0
		.amdhsa_float_round_mode_32 0
		.amdhsa_float_round_mode_16_64 0
		.amdhsa_float_denorm_mode_32 3
		.amdhsa_float_denorm_mode_16_64 3
		.amdhsa_dx10_clamp 1
		.amdhsa_ieee_mode 1
		.amdhsa_fp16_overflow 0
		.amdhsa_tg_split 0
		.amdhsa_exception_fp_ieee_invalid_op 0
		.amdhsa_exception_fp_denorm_src 0
		.amdhsa_exception_fp_ieee_div_zero 0
		.amdhsa_exception_fp_ieee_overflow 0
		.amdhsa_exception_fp_ieee_underflow 0
		.amdhsa_exception_fp_ieee_inexact 0
		.amdhsa_exception_int_div_zero 0
	.end_amdhsa_kernel
	.section	.text._ZN7rocprim17ROCPRIM_400000_NS6detail17trampoline_kernelINS0_13select_configILj256ELj13ELNS0_17block_load_methodE3ELS4_3ELS4_3ELNS0_20block_scan_algorithmE0ELj4294967295EEENS1_25partition_config_selectorILNS1_17partition_subalgoE3EjNS0_10empty_typeEbEEZZNS1_14partition_implILS8_3ELb0ES6_jNS0_17counting_iteratorIjlEEPS9_SE_NS0_5tupleIJPjSE_EEENSF_IJSE_SE_EEES9_SG_JZNS1_25segmented_radix_sort_implINS0_14default_configELb0EPK12hip_bfloat16PSL_PKlPlN2at6native12_GLOBAL__N_18offset_tEEE10hipError_tPvRmT1_PNSt15iterator_traitsISZ_E10value_typeET2_T3_PNS10_IS15_E10value_typeET4_jRbjT5_S1B_jjP12ihipStream_tbEUljE_EEESW_SX_SY_S15_S19_S1B_T6_T7_T9_mT8_S1D_bDpT10_ENKUlT_T0_E_clISt17integral_constantIbLb0EES1Q_EEDaS1L_S1M_EUlS1L_E_NS1_11comp_targetILNS1_3genE9ELNS1_11target_archE1100ELNS1_3gpuE3ELNS1_3repE0EEENS1_30default_config_static_selectorELNS0_4arch9wavefront6targetE1EEEvSZ_,"axG",@progbits,_ZN7rocprim17ROCPRIM_400000_NS6detail17trampoline_kernelINS0_13select_configILj256ELj13ELNS0_17block_load_methodE3ELS4_3ELS4_3ELNS0_20block_scan_algorithmE0ELj4294967295EEENS1_25partition_config_selectorILNS1_17partition_subalgoE3EjNS0_10empty_typeEbEEZZNS1_14partition_implILS8_3ELb0ES6_jNS0_17counting_iteratorIjlEEPS9_SE_NS0_5tupleIJPjSE_EEENSF_IJSE_SE_EEES9_SG_JZNS1_25segmented_radix_sort_implINS0_14default_configELb0EPK12hip_bfloat16PSL_PKlPlN2at6native12_GLOBAL__N_18offset_tEEE10hipError_tPvRmT1_PNSt15iterator_traitsISZ_E10value_typeET2_T3_PNS10_IS15_E10value_typeET4_jRbjT5_S1B_jjP12ihipStream_tbEUljE_EEESW_SX_SY_S15_S19_S1B_T6_T7_T9_mT8_S1D_bDpT10_ENKUlT_T0_E_clISt17integral_constantIbLb0EES1Q_EEDaS1L_S1M_EUlS1L_E_NS1_11comp_targetILNS1_3genE9ELNS1_11target_archE1100ELNS1_3gpuE3ELNS1_3repE0EEENS1_30default_config_static_selectorELNS0_4arch9wavefront6targetE1EEEvSZ_,comdat
.Lfunc_end2021:
	.size	_ZN7rocprim17ROCPRIM_400000_NS6detail17trampoline_kernelINS0_13select_configILj256ELj13ELNS0_17block_load_methodE3ELS4_3ELS4_3ELNS0_20block_scan_algorithmE0ELj4294967295EEENS1_25partition_config_selectorILNS1_17partition_subalgoE3EjNS0_10empty_typeEbEEZZNS1_14partition_implILS8_3ELb0ES6_jNS0_17counting_iteratorIjlEEPS9_SE_NS0_5tupleIJPjSE_EEENSF_IJSE_SE_EEES9_SG_JZNS1_25segmented_radix_sort_implINS0_14default_configELb0EPK12hip_bfloat16PSL_PKlPlN2at6native12_GLOBAL__N_18offset_tEEE10hipError_tPvRmT1_PNSt15iterator_traitsISZ_E10value_typeET2_T3_PNS10_IS15_E10value_typeET4_jRbjT5_S1B_jjP12ihipStream_tbEUljE_EEESW_SX_SY_S15_S19_S1B_T6_T7_T9_mT8_S1D_bDpT10_ENKUlT_T0_E_clISt17integral_constantIbLb0EES1Q_EEDaS1L_S1M_EUlS1L_E_NS1_11comp_targetILNS1_3genE9ELNS1_11target_archE1100ELNS1_3gpuE3ELNS1_3repE0EEENS1_30default_config_static_selectorELNS0_4arch9wavefront6targetE1EEEvSZ_, .Lfunc_end2021-_ZN7rocprim17ROCPRIM_400000_NS6detail17trampoline_kernelINS0_13select_configILj256ELj13ELNS0_17block_load_methodE3ELS4_3ELS4_3ELNS0_20block_scan_algorithmE0ELj4294967295EEENS1_25partition_config_selectorILNS1_17partition_subalgoE3EjNS0_10empty_typeEbEEZZNS1_14partition_implILS8_3ELb0ES6_jNS0_17counting_iteratorIjlEEPS9_SE_NS0_5tupleIJPjSE_EEENSF_IJSE_SE_EEES9_SG_JZNS1_25segmented_radix_sort_implINS0_14default_configELb0EPK12hip_bfloat16PSL_PKlPlN2at6native12_GLOBAL__N_18offset_tEEE10hipError_tPvRmT1_PNSt15iterator_traitsISZ_E10value_typeET2_T3_PNS10_IS15_E10value_typeET4_jRbjT5_S1B_jjP12ihipStream_tbEUljE_EEESW_SX_SY_S15_S19_S1B_T6_T7_T9_mT8_S1D_bDpT10_ENKUlT_T0_E_clISt17integral_constantIbLb0EES1Q_EEDaS1L_S1M_EUlS1L_E_NS1_11comp_targetILNS1_3genE9ELNS1_11target_archE1100ELNS1_3gpuE3ELNS1_3repE0EEENS1_30default_config_static_selectorELNS0_4arch9wavefront6targetE1EEEvSZ_
                                        ; -- End function
	.section	.AMDGPU.csdata,"",@progbits
; Kernel info:
; codeLenInByte = 0
; NumSgprs: 4
; NumVgprs: 0
; NumAgprs: 0
; TotalNumVgprs: 0
; ScratchSize: 0
; MemoryBound: 0
; FloatMode: 240
; IeeeMode: 1
; LDSByteSize: 0 bytes/workgroup (compile time only)
; SGPRBlocks: 0
; VGPRBlocks: 0
; NumSGPRsForWavesPerEU: 4
; NumVGPRsForWavesPerEU: 1
; AccumOffset: 4
; Occupancy: 8
; WaveLimiterHint : 0
; COMPUTE_PGM_RSRC2:SCRATCH_EN: 0
; COMPUTE_PGM_RSRC2:USER_SGPR: 6
; COMPUTE_PGM_RSRC2:TRAP_HANDLER: 0
; COMPUTE_PGM_RSRC2:TGID_X_EN: 1
; COMPUTE_PGM_RSRC2:TGID_Y_EN: 0
; COMPUTE_PGM_RSRC2:TGID_Z_EN: 0
; COMPUTE_PGM_RSRC2:TIDIG_COMP_CNT: 0
; COMPUTE_PGM_RSRC3_GFX90A:ACCUM_OFFSET: 0
; COMPUTE_PGM_RSRC3_GFX90A:TG_SPLIT: 0
	.section	.text._ZN7rocprim17ROCPRIM_400000_NS6detail17trampoline_kernelINS0_13select_configILj256ELj13ELNS0_17block_load_methodE3ELS4_3ELS4_3ELNS0_20block_scan_algorithmE0ELj4294967295EEENS1_25partition_config_selectorILNS1_17partition_subalgoE3EjNS0_10empty_typeEbEEZZNS1_14partition_implILS8_3ELb0ES6_jNS0_17counting_iteratorIjlEEPS9_SE_NS0_5tupleIJPjSE_EEENSF_IJSE_SE_EEES9_SG_JZNS1_25segmented_radix_sort_implINS0_14default_configELb0EPK12hip_bfloat16PSL_PKlPlN2at6native12_GLOBAL__N_18offset_tEEE10hipError_tPvRmT1_PNSt15iterator_traitsISZ_E10value_typeET2_T3_PNS10_IS15_E10value_typeET4_jRbjT5_S1B_jjP12ihipStream_tbEUljE_EEESW_SX_SY_S15_S19_S1B_T6_T7_T9_mT8_S1D_bDpT10_ENKUlT_T0_E_clISt17integral_constantIbLb0EES1Q_EEDaS1L_S1M_EUlS1L_E_NS1_11comp_targetILNS1_3genE8ELNS1_11target_archE1030ELNS1_3gpuE2ELNS1_3repE0EEENS1_30default_config_static_selectorELNS0_4arch9wavefront6targetE1EEEvSZ_,"axG",@progbits,_ZN7rocprim17ROCPRIM_400000_NS6detail17trampoline_kernelINS0_13select_configILj256ELj13ELNS0_17block_load_methodE3ELS4_3ELS4_3ELNS0_20block_scan_algorithmE0ELj4294967295EEENS1_25partition_config_selectorILNS1_17partition_subalgoE3EjNS0_10empty_typeEbEEZZNS1_14partition_implILS8_3ELb0ES6_jNS0_17counting_iteratorIjlEEPS9_SE_NS0_5tupleIJPjSE_EEENSF_IJSE_SE_EEES9_SG_JZNS1_25segmented_radix_sort_implINS0_14default_configELb0EPK12hip_bfloat16PSL_PKlPlN2at6native12_GLOBAL__N_18offset_tEEE10hipError_tPvRmT1_PNSt15iterator_traitsISZ_E10value_typeET2_T3_PNS10_IS15_E10value_typeET4_jRbjT5_S1B_jjP12ihipStream_tbEUljE_EEESW_SX_SY_S15_S19_S1B_T6_T7_T9_mT8_S1D_bDpT10_ENKUlT_T0_E_clISt17integral_constantIbLb0EES1Q_EEDaS1L_S1M_EUlS1L_E_NS1_11comp_targetILNS1_3genE8ELNS1_11target_archE1030ELNS1_3gpuE2ELNS1_3repE0EEENS1_30default_config_static_selectorELNS0_4arch9wavefront6targetE1EEEvSZ_,comdat
	.globl	_ZN7rocprim17ROCPRIM_400000_NS6detail17trampoline_kernelINS0_13select_configILj256ELj13ELNS0_17block_load_methodE3ELS4_3ELS4_3ELNS0_20block_scan_algorithmE0ELj4294967295EEENS1_25partition_config_selectorILNS1_17partition_subalgoE3EjNS0_10empty_typeEbEEZZNS1_14partition_implILS8_3ELb0ES6_jNS0_17counting_iteratorIjlEEPS9_SE_NS0_5tupleIJPjSE_EEENSF_IJSE_SE_EEES9_SG_JZNS1_25segmented_radix_sort_implINS0_14default_configELb0EPK12hip_bfloat16PSL_PKlPlN2at6native12_GLOBAL__N_18offset_tEEE10hipError_tPvRmT1_PNSt15iterator_traitsISZ_E10value_typeET2_T3_PNS10_IS15_E10value_typeET4_jRbjT5_S1B_jjP12ihipStream_tbEUljE_EEESW_SX_SY_S15_S19_S1B_T6_T7_T9_mT8_S1D_bDpT10_ENKUlT_T0_E_clISt17integral_constantIbLb0EES1Q_EEDaS1L_S1M_EUlS1L_E_NS1_11comp_targetILNS1_3genE8ELNS1_11target_archE1030ELNS1_3gpuE2ELNS1_3repE0EEENS1_30default_config_static_selectorELNS0_4arch9wavefront6targetE1EEEvSZ_ ; -- Begin function _ZN7rocprim17ROCPRIM_400000_NS6detail17trampoline_kernelINS0_13select_configILj256ELj13ELNS0_17block_load_methodE3ELS4_3ELS4_3ELNS0_20block_scan_algorithmE0ELj4294967295EEENS1_25partition_config_selectorILNS1_17partition_subalgoE3EjNS0_10empty_typeEbEEZZNS1_14partition_implILS8_3ELb0ES6_jNS0_17counting_iteratorIjlEEPS9_SE_NS0_5tupleIJPjSE_EEENSF_IJSE_SE_EEES9_SG_JZNS1_25segmented_radix_sort_implINS0_14default_configELb0EPK12hip_bfloat16PSL_PKlPlN2at6native12_GLOBAL__N_18offset_tEEE10hipError_tPvRmT1_PNSt15iterator_traitsISZ_E10value_typeET2_T3_PNS10_IS15_E10value_typeET4_jRbjT5_S1B_jjP12ihipStream_tbEUljE_EEESW_SX_SY_S15_S19_S1B_T6_T7_T9_mT8_S1D_bDpT10_ENKUlT_T0_E_clISt17integral_constantIbLb0EES1Q_EEDaS1L_S1M_EUlS1L_E_NS1_11comp_targetILNS1_3genE8ELNS1_11target_archE1030ELNS1_3gpuE2ELNS1_3repE0EEENS1_30default_config_static_selectorELNS0_4arch9wavefront6targetE1EEEvSZ_
	.p2align	8
	.type	_ZN7rocprim17ROCPRIM_400000_NS6detail17trampoline_kernelINS0_13select_configILj256ELj13ELNS0_17block_load_methodE3ELS4_3ELS4_3ELNS0_20block_scan_algorithmE0ELj4294967295EEENS1_25partition_config_selectorILNS1_17partition_subalgoE3EjNS0_10empty_typeEbEEZZNS1_14partition_implILS8_3ELb0ES6_jNS0_17counting_iteratorIjlEEPS9_SE_NS0_5tupleIJPjSE_EEENSF_IJSE_SE_EEES9_SG_JZNS1_25segmented_radix_sort_implINS0_14default_configELb0EPK12hip_bfloat16PSL_PKlPlN2at6native12_GLOBAL__N_18offset_tEEE10hipError_tPvRmT1_PNSt15iterator_traitsISZ_E10value_typeET2_T3_PNS10_IS15_E10value_typeET4_jRbjT5_S1B_jjP12ihipStream_tbEUljE_EEESW_SX_SY_S15_S19_S1B_T6_T7_T9_mT8_S1D_bDpT10_ENKUlT_T0_E_clISt17integral_constantIbLb0EES1Q_EEDaS1L_S1M_EUlS1L_E_NS1_11comp_targetILNS1_3genE8ELNS1_11target_archE1030ELNS1_3gpuE2ELNS1_3repE0EEENS1_30default_config_static_selectorELNS0_4arch9wavefront6targetE1EEEvSZ_,@function
_ZN7rocprim17ROCPRIM_400000_NS6detail17trampoline_kernelINS0_13select_configILj256ELj13ELNS0_17block_load_methodE3ELS4_3ELS4_3ELNS0_20block_scan_algorithmE0ELj4294967295EEENS1_25partition_config_selectorILNS1_17partition_subalgoE3EjNS0_10empty_typeEbEEZZNS1_14partition_implILS8_3ELb0ES6_jNS0_17counting_iteratorIjlEEPS9_SE_NS0_5tupleIJPjSE_EEENSF_IJSE_SE_EEES9_SG_JZNS1_25segmented_radix_sort_implINS0_14default_configELb0EPK12hip_bfloat16PSL_PKlPlN2at6native12_GLOBAL__N_18offset_tEEE10hipError_tPvRmT1_PNSt15iterator_traitsISZ_E10value_typeET2_T3_PNS10_IS15_E10value_typeET4_jRbjT5_S1B_jjP12ihipStream_tbEUljE_EEESW_SX_SY_S15_S19_S1B_T6_T7_T9_mT8_S1D_bDpT10_ENKUlT_T0_E_clISt17integral_constantIbLb0EES1Q_EEDaS1L_S1M_EUlS1L_E_NS1_11comp_targetILNS1_3genE8ELNS1_11target_archE1030ELNS1_3gpuE2ELNS1_3repE0EEENS1_30default_config_static_selectorELNS0_4arch9wavefront6targetE1EEEvSZ_: ; @_ZN7rocprim17ROCPRIM_400000_NS6detail17trampoline_kernelINS0_13select_configILj256ELj13ELNS0_17block_load_methodE3ELS4_3ELS4_3ELNS0_20block_scan_algorithmE0ELj4294967295EEENS1_25partition_config_selectorILNS1_17partition_subalgoE3EjNS0_10empty_typeEbEEZZNS1_14partition_implILS8_3ELb0ES6_jNS0_17counting_iteratorIjlEEPS9_SE_NS0_5tupleIJPjSE_EEENSF_IJSE_SE_EEES9_SG_JZNS1_25segmented_radix_sort_implINS0_14default_configELb0EPK12hip_bfloat16PSL_PKlPlN2at6native12_GLOBAL__N_18offset_tEEE10hipError_tPvRmT1_PNSt15iterator_traitsISZ_E10value_typeET2_T3_PNS10_IS15_E10value_typeET4_jRbjT5_S1B_jjP12ihipStream_tbEUljE_EEESW_SX_SY_S15_S19_S1B_T6_T7_T9_mT8_S1D_bDpT10_ENKUlT_T0_E_clISt17integral_constantIbLb0EES1Q_EEDaS1L_S1M_EUlS1L_E_NS1_11comp_targetILNS1_3genE8ELNS1_11target_archE1030ELNS1_3gpuE2ELNS1_3repE0EEENS1_30default_config_static_selectorELNS0_4arch9wavefront6targetE1EEEvSZ_
; %bb.0:
	.section	.rodata,"a",@progbits
	.p2align	6, 0x0
	.amdhsa_kernel _ZN7rocprim17ROCPRIM_400000_NS6detail17trampoline_kernelINS0_13select_configILj256ELj13ELNS0_17block_load_methodE3ELS4_3ELS4_3ELNS0_20block_scan_algorithmE0ELj4294967295EEENS1_25partition_config_selectorILNS1_17partition_subalgoE3EjNS0_10empty_typeEbEEZZNS1_14partition_implILS8_3ELb0ES6_jNS0_17counting_iteratorIjlEEPS9_SE_NS0_5tupleIJPjSE_EEENSF_IJSE_SE_EEES9_SG_JZNS1_25segmented_radix_sort_implINS0_14default_configELb0EPK12hip_bfloat16PSL_PKlPlN2at6native12_GLOBAL__N_18offset_tEEE10hipError_tPvRmT1_PNSt15iterator_traitsISZ_E10value_typeET2_T3_PNS10_IS15_E10value_typeET4_jRbjT5_S1B_jjP12ihipStream_tbEUljE_EEESW_SX_SY_S15_S19_S1B_T6_T7_T9_mT8_S1D_bDpT10_ENKUlT_T0_E_clISt17integral_constantIbLb0EES1Q_EEDaS1L_S1M_EUlS1L_E_NS1_11comp_targetILNS1_3genE8ELNS1_11target_archE1030ELNS1_3gpuE2ELNS1_3repE0EEENS1_30default_config_static_selectorELNS0_4arch9wavefront6targetE1EEEvSZ_
		.amdhsa_group_segment_fixed_size 0
		.amdhsa_private_segment_fixed_size 0
		.amdhsa_kernarg_size 144
		.amdhsa_user_sgpr_count 6
		.amdhsa_user_sgpr_private_segment_buffer 1
		.amdhsa_user_sgpr_dispatch_ptr 0
		.amdhsa_user_sgpr_queue_ptr 0
		.amdhsa_user_sgpr_kernarg_segment_ptr 1
		.amdhsa_user_sgpr_dispatch_id 0
		.amdhsa_user_sgpr_flat_scratch_init 0
		.amdhsa_user_sgpr_kernarg_preload_length 0
		.amdhsa_user_sgpr_kernarg_preload_offset 0
		.amdhsa_user_sgpr_private_segment_size 0
		.amdhsa_uses_dynamic_stack 0
		.amdhsa_system_sgpr_private_segment_wavefront_offset 0
		.amdhsa_system_sgpr_workgroup_id_x 1
		.amdhsa_system_sgpr_workgroup_id_y 0
		.amdhsa_system_sgpr_workgroup_id_z 0
		.amdhsa_system_sgpr_workgroup_info 0
		.amdhsa_system_vgpr_workitem_id 0
		.amdhsa_next_free_vgpr 1
		.amdhsa_next_free_sgpr 0
		.amdhsa_accum_offset 4
		.amdhsa_reserve_vcc 0
		.amdhsa_reserve_flat_scratch 0
		.amdhsa_float_round_mode_32 0
		.amdhsa_float_round_mode_16_64 0
		.amdhsa_float_denorm_mode_32 3
		.amdhsa_float_denorm_mode_16_64 3
		.amdhsa_dx10_clamp 1
		.amdhsa_ieee_mode 1
		.amdhsa_fp16_overflow 0
		.amdhsa_tg_split 0
		.amdhsa_exception_fp_ieee_invalid_op 0
		.amdhsa_exception_fp_denorm_src 0
		.amdhsa_exception_fp_ieee_div_zero 0
		.amdhsa_exception_fp_ieee_overflow 0
		.amdhsa_exception_fp_ieee_underflow 0
		.amdhsa_exception_fp_ieee_inexact 0
		.amdhsa_exception_int_div_zero 0
	.end_amdhsa_kernel
	.section	.text._ZN7rocprim17ROCPRIM_400000_NS6detail17trampoline_kernelINS0_13select_configILj256ELj13ELNS0_17block_load_methodE3ELS4_3ELS4_3ELNS0_20block_scan_algorithmE0ELj4294967295EEENS1_25partition_config_selectorILNS1_17partition_subalgoE3EjNS0_10empty_typeEbEEZZNS1_14partition_implILS8_3ELb0ES6_jNS0_17counting_iteratorIjlEEPS9_SE_NS0_5tupleIJPjSE_EEENSF_IJSE_SE_EEES9_SG_JZNS1_25segmented_radix_sort_implINS0_14default_configELb0EPK12hip_bfloat16PSL_PKlPlN2at6native12_GLOBAL__N_18offset_tEEE10hipError_tPvRmT1_PNSt15iterator_traitsISZ_E10value_typeET2_T3_PNS10_IS15_E10value_typeET4_jRbjT5_S1B_jjP12ihipStream_tbEUljE_EEESW_SX_SY_S15_S19_S1B_T6_T7_T9_mT8_S1D_bDpT10_ENKUlT_T0_E_clISt17integral_constantIbLb0EES1Q_EEDaS1L_S1M_EUlS1L_E_NS1_11comp_targetILNS1_3genE8ELNS1_11target_archE1030ELNS1_3gpuE2ELNS1_3repE0EEENS1_30default_config_static_selectorELNS0_4arch9wavefront6targetE1EEEvSZ_,"axG",@progbits,_ZN7rocprim17ROCPRIM_400000_NS6detail17trampoline_kernelINS0_13select_configILj256ELj13ELNS0_17block_load_methodE3ELS4_3ELS4_3ELNS0_20block_scan_algorithmE0ELj4294967295EEENS1_25partition_config_selectorILNS1_17partition_subalgoE3EjNS0_10empty_typeEbEEZZNS1_14partition_implILS8_3ELb0ES6_jNS0_17counting_iteratorIjlEEPS9_SE_NS0_5tupleIJPjSE_EEENSF_IJSE_SE_EEES9_SG_JZNS1_25segmented_radix_sort_implINS0_14default_configELb0EPK12hip_bfloat16PSL_PKlPlN2at6native12_GLOBAL__N_18offset_tEEE10hipError_tPvRmT1_PNSt15iterator_traitsISZ_E10value_typeET2_T3_PNS10_IS15_E10value_typeET4_jRbjT5_S1B_jjP12ihipStream_tbEUljE_EEESW_SX_SY_S15_S19_S1B_T6_T7_T9_mT8_S1D_bDpT10_ENKUlT_T0_E_clISt17integral_constantIbLb0EES1Q_EEDaS1L_S1M_EUlS1L_E_NS1_11comp_targetILNS1_3genE8ELNS1_11target_archE1030ELNS1_3gpuE2ELNS1_3repE0EEENS1_30default_config_static_selectorELNS0_4arch9wavefront6targetE1EEEvSZ_,comdat
.Lfunc_end2022:
	.size	_ZN7rocprim17ROCPRIM_400000_NS6detail17trampoline_kernelINS0_13select_configILj256ELj13ELNS0_17block_load_methodE3ELS4_3ELS4_3ELNS0_20block_scan_algorithmE0ELj4294967295EEENS1_25partition_config_selectorILNS1_17partition_subalgoE3EjNS0_10empty_typeEbEEZZNS1_14partition_implILS8_3ELb0ES6_jNS0_17counting_iteratorIjlEEPS9_SE_NS0_5tupleIJPjSE_EEENSF_IJSE_SE_EEES9_SG_JZNS1_25segmented_radix_sort_implINS0_14default_configELb0EPK12hip_bfloat16PSL_PKlPlN2at6native12_GLOBAL__N_18offset_tEEE10hipError_tPvRmT1_PNSt15iterator_traitsISZ_E10value_typeET2_T3_PNS10_IS15_E10value_typeET4_jRbjT5_S1B_jjP12ihipStream_tbEUljE_EEESW_SX_SY_S15_S19_S1B_T6_T7_T9_mT8_S1D_bDpT10_ENKUlT_T0_E_clISt17integral_constantIbLb0EES1Q_EEDaS1L_S1M_EUlS1L_E_NS1_11comp_targetILNS1_3genE8ELNS1_11target_archE1030ELNS1_3gpuE2ELNS1_3repE0EEENS1_30default_config_static_selectorELNS0_4arch9wavefront6targetE1EEEvSZ_, .Lfunc_end2022-_ZN7rocprim17ROCPRIM_400000_NS6detail17trampoline_kernelINS0_13select_configILj256ELj13ELNS0_17block_load_methodE3ELS4_3ELS4_3ELNS0_20block_scan_algorithmE0ELj4294967295EEENS1_25partition_config_selectorILNS1_17partition_subalgoE3EjNS0_10empty_typeEbEEZZNS1_14partition_implILS8_3ELb0ES6_jNS0_17counting_iteratorIjlEEPS9_SE_NS0_5tupleIJPjSE_EEENSF_IJSE_SE_EEES9_SG_JZNS1_25segmented_radix_sort_implINS0_14default_configELb0EPK12hip_bfloat16PSL_PKlPlN2at6native12_GLOBAL__N_18offset_tEEE10hipError_tPvRmT1_PNSt15iterator_traitsISZ_E10value_typeET2_T3_PNS10_IS15_E10value_typeET4_jRbjT5_S1B_jjP12ihipStream_tbEUljE_EEESW_SX_SY_S15_S19_S1B_T6_T7_T9_mT8_S1D_bDpT10_ENKUlT_T0_E_clISt17integral_constantIbLb0EES1Q_EEDaS1L_S1M_EUlS1L_E_NS1_11comp_targetILNS1_3genE8ELNS1_11target_archE1030ELNS1_3gpuE2ELNS1_3repE0EEENS1_30default_config_static_selectorELNS0_4arch9wavefront6targetE1EEEvSZ_
                                        ; -- End function
	.section	.AMDGPU.csdata,"",@progbits
; Kernel info:
; codeLenInByte = 0
; NumSgprs: 4
; NumVgprs: 0
; NumAgprs: 0
; TotalNumVgprs: 0
; ScratchSize: 0
; MemoryBound: 0
; FloatMode: 240
; IeeeMode: 1
; LDSByteSize: 0 bytes/workgroup (compile time only)
; SGPRBlocks: 0
; VGPRBlocks: 0
; NumSGPRsForWavesPerEU: 4
; NumVGPRsForWavesPerEU: 1
; AccumOffset: 4
; Occupancy: 8
; WaveLimiterHint : 0
; COMPUTE_PGM_RSRC2:SCRATCH_EN: 0
; COMPUTE_PGM_RSRC2:USER_SGPR: 6
; COMPUTE_PGM_RSRC2:TRAP_HANDLER: 0
; COMPUTE_PGM_RSRC2:TGID_X_EN: 1
; COMPUTE_PGM_RSRC2:TGID_Y_EN: 0
; COMPUTE_PGM_RSRC2:TGID_Z_EN: 0
; COMPUTE_PGM_RSRC2:TIDIG_COMP_CNT: 0
; COMPUTE_PGM_RSRC3_GFX90A:ACCUM_OFFSET: 0
; COMPUTE_PGM_RSRC3_GFX90A:TG_SPLIT: 0
	.section	.text._ZN7rocprim17ROCPRIM_400000_NS6detail17trampoline_kernelINS0_13select_configILj256ELj13ELNS0_17block_load_methodE3ELS4_3ELS4_3ELNS0_20block_scan_algorithmE0ELj4294967295EEENS1_25partition_config_selectorILNS1_17partition_subalgoE3EjNS0_10empty_typeEbEEZZNS1_14partition_implILS8_3ELb0ES6_jNS0_17counting_iteratorIjlEEPS9_SE_NS0_5tupleIJPjSE_EEENSF_IJSE_SE_EEES9_SG_JZNS1_25segmented_radix_sort_implINS0_14default_configELb0EPK12hip_bfloat16PSL_PKlPlN2at6native12_GLOBAL__N_18offset_tEEE10hipError_tPvRmT1_PNSt15iterator_traitsISZ_E10value_typeET2_T3_PNS10_IS15_E10value_typeET4_jRbjT5_S1B_jjP12ihipStream_tbEUljE_EEESW_SX_SY_S15_S19_S1B_T6_T7_T9_mT8_S1D_bDpT10_ENKUlT_T0_E_clISt17integral_constantIbLb1EES1Q_EEDaS1L_S1M_EUlS1L_E_NS1_11comp_targetILNS1_3genE0ELNS1_11target_archE4294967295ELNS1_3gpuE0ELNS1_3repE0EEENS1_30default_config_static_selectorELNS0_4arch9wavefront6targetE1EEEvSZ_,"axG",@progbits,_ZN7rocprim17ROCPRIM_400000_NS6detail17trampoline_kernelINS0_13select_configILj256ELj13ELNS0_17block_load_methodE3ELS4_3ELS4_3ELNS0_20block_scan_algorithmE0ELj4294967295EEENS1_25partition_config_selectorILNS1_17partition_subalgoE3EjNS0_10empty_typeEbEEZZNS1_14partition_implILS8_3ELb0ES6_jNS0_17counting_iteratorIjlEEPS9_SE_NS0_5tupleIJPjSE_EEENSF_IJSE_SE_EEES9_SG_JZNS1_25segmented_radix_sort_implINS0_14default_configELb0EPK12hip_bfloat16PSL_PKlPlN2at6native12_GLOBAL__N_18offset_tEEE10hipError_tPvRmT1_PNSt15iterator_traitsISZ_E10value_typeET2_T3_PNS10_IS15_E10value_typeET4_jRbjT5_S1B_jjP12ihipStream_tbEUljE_EEESW_SX_SY_S15_S19_S1B_T6_T7_T9_mT8_S1D_bDpT10_ENKUlT_T0_E_clISt17integral_constantIbLb1EES1Q_EEDaS1L_S1M_EUlS1L_E_NS1_11comp_targetILNS1_3genE0ELNS1_11target_archE4294967295ELNS1_3gpuE0ELNS1_3repE0EEENS1_30default_config_static_selectorELNS0_4arch9wavefront6targetE1EEEvSZ_,comdat
	.globl	_ZN7rocprim17ROCPRIM_400000_NS6detail17trampoline_kernelINS0_13select_configILj256ELj13ELNS0_17block_load_methodE3ELS4_3ELS4_3ELNS0_20block_scan_algorithmE0ELj4294967295EEENS1_25partition_config_selectorILNS1_17partition_subalgoE3EjNS0_10empty_typeEbEEZZNS1_14partition_implILS8_3ELb0ES6_jNS0_17counting_iteratorIjlEEPS9_SE_NS0_5tupleIJPjSE_EEENSF_IJSE_SE_EEES9_SG_JZNS1_25segmented_radix_sort_implINS0_14default_configELb0EPK12hip_bfloat16PSL_PKlPlN2at6native12_GLOBAL__N_18offset_tEEE10hipError_tPvRmT1_PNSt15iterator_traitsISZ_E10value_typeET2_T3_PNS10_IS15_E10value_typeET4_jRbjT5_S1B_jjP12ihipStream_tbEUljE_EEESW_SX_SY_S15_S19_S1B_T6_T7_T9_mT8_S1D_bDpT10_ENKUlT_T0_E_clISt17integral_constantIbLb1EES1Q_EEDaS1L_S1M_EUlS1L_E_NS1_11comp_targetILNS1_3genE0ELNS1_11target_archE4294967295ELNS1_3gpuE0ELNS1_3repE0EEENS1_30default_config_static_selectorELNS0_4arch9wavefront6targetE1EEEvSZ_ ; -- Begin function _ZN7rocprim17ROCPRIM_400000_NS6detail17trampoline_kernelINS0_13select_configILj256ELj13ELNS0_17block_load_methodE3ELS4_3ELS4_3ELNS0_20block_scan_algorithmE0ELj4294967295EEENS1_25partition_config_selectorILNS1_17partition_subalgoE3EjNS0_10empty_typeEbEEZZNS1_14partition_implILS8_3ELb0ES6_jNS0_17counting_iteratorIjlEEPS9_SE_NS0_5tupleIJPjSE_EEENSF_IJSE_SE_EEES9_SG_JZNS1_25segmented_radix_sort_implINS0_14default_configELb0EPK12hip_bfloat16PSL_PKlPlN2at6native12_GLOBAL__N_18offset_tEEE10hipError_tPvRmT1_PNSt15iterator_traitsISZ_E10value_typeET2_T3_PNS10_IS15_E10value_typeET4_jRbjT5_S1B_jjP12ihipStream_tbEUljE_EEESW_SX_SY_S15_S19_S1B_T6_T7_T9_mT8_S1D_bDpT10_ENKUlT_T0_E_clISt17integral_constantIbLb1EES1Q_EEDaS1L_S1M_EUlS1L_E_NS1_11comp_targetILNS1_3genE0ELNS1_11target_archE4294967295ELNS1_3gpuE0ELNS1_3repE0EEENS1_30default_config_static_selectorELNS0_4arch9wavefront6targetE1EEEvSZ_
	.p2align	8
	.type	_ZN7rocprim17ROCPRIM_400000_NS6detail17trampoline_kernelINS0_13select_configILj256ELj13ELNS0_17block_load_methodE3ELS4_3ELS4_3ELNS0_20block_scan_algorithmE0ELj4294967295EEENS1_25partition_config_selectorILNS1_17partition_subalgoE3EjNS0_10empty_typeEbEEZZNS1_14partition_implILS8_3ELb0ES6_jNS0_17counting_iteratorIjlEEPS9_SE_NS0_5tupleIJPjSE_EEENSF_IJSE_SE_EEES9_SG_JZNS1_25segmented_radix_sort_implINS0_14default_configELb0EPK12hip_bfloat16PSL_PKlPlN2at6native12_GLOBAL__N_18offset_tEEE10hipError_tPvRmT1_PNSt15iterator_traitsISZ_E10value_typeET2_T3_PNS10_IS15_E10value_typeET4_jRbjT5_S1B_jjP12ihipStream_tbEUljE_EEESW_SX_SY_S15_S19_S1B_T6_T7_T9_mT8_S1D_bDpT10_ENKUlT_T0_E_clISt17integral_constantIbLb1EES1Q_EEDaS1L_S1M_EUlS1L_E_NS1_11comp_targetILNS1_3genE0ELNS1_11target_archE4294967295ELNS1_3gpuE0ELNS1_3repE0EEENS1_30default_config_static_selectorELNS0_4arch9wavefront6targetE1EEEvSZ_,@function
_ZN7rocprim17ROCPRIM_400000_NS6detail17trampoline_kernelINS0_13select_configILj256ELj13ELNS0_17block_load_methodE3ELS4_3ELS4_3ELNS0_20block_scan_algorithmE0ELj4294967295EEENS1_25partition_config_selectorILNS1_17partition_subalgoE3EjNS0_10empty_typeEbEEZZNS1_14partition_implILS8_3ELb0ES6_jNS0_17counting_iteratorIjlEEPS9_SE_NS0_5tupleIJPjSE_EEENSF_IJSE_SE_EEES9_SG_JZNS1_25segmented_radix_sort_implINS0_14default_configELb0EPK12hip_bfloat16PSL_PKlPlN2at6native12_GLOBAL__N_18offset_tEEE10hipError_tPvRmT1_PNSt15iterator_traitsISZ_E10value_typeET2_T3_PNS10_IS15_E10value_typeET4_jRbjT5_S1B_jjP12ihipStream_tbEUljE_EEESW_SX_SY_S15_S19_S1B_T6_T7_T9_mT8_S1D_bDpT10_ENKUlT_T0_E_clISt17integral_constantIbLb1EES1Q_EEDaS1L_S1M_EUlS1L_E_NS1_11comp_targetILNS1_3genE0ELNS1_11target_archE4294967295ELNS1_3gpuE0ELNS1_3repE0EEENS1_30default_config_static_selectorELNS0_4arch9wavefront6targetE1EEEvSZ_: ; @_ZN7rocprim17ROCPRIM_400000_NS6detail17trampoline_kernelINS0_13select_configILj256ELj13ELNS0_17block_load_methodE3ELS4_3ELS4_3ELNS0_20block_scan_algorithmE0ELj4294967295EEENS1_25partition_config_selectorILNS1_17partition_subalgoE3EjNS0_10empty_typeEbEEZZNS1_14partition_implILS8_3ELb0ES6_jNS0_17counting_iteratorIjlEEPS9_SE_NS0_5tupleIJPjSE_EEENSF_IJSE_SE_EEES9_SG_JZNS1_25segmented_radix_sort_implINS0_14default_configELb0EPK12hip_bfloat16PSL_PKlPlN2at6native12_GLOBAL__N_18offset_tEEE10hipError_tPvRmT1_PNSt15iterator_traitsISZ_E10value_typeET2_T3_PNS10_IS15_E10value_typeET4_jRbjT5_S1B_jjP12ihipStream_tbEUljE_EEESW_SX_SY_S15_S19_S1B_T6_T7_T9_mT8_S1D_bDpT10_ENKUlT_T0_E_clISt17integral_constantIbLb1EES1Q_EEDaS1L_S1M_EUlS1L_E_NS1_11comp_targetILNS1_3genE0ELNS1_11target_archE4294967295ELNS1_3gpuE0ELNS1_3repE0EEENS1_30default_config_static_selectorELNS0_4arch9wavefront6targetE1EEEvSZ_
; %bb.0:
	.section	.rodata,"a",@progbits
	.p2align	6, 0x0
	.amdhsa_kernel _ZN7rocprim17ROCPRIM_400000_NS6detail17trampoline_kernelINS0_13select_configILj256ELj13ELNS0_17block_load_methodE3ELS4_3ELS4_3ELNS0_20block_scan_algorithmE0ELj4294967295EEENS1_25partition_config_selectorILNS1_17partition_subalgoE3EjNS0_10empty_typeEbEEZZNS1_14partition_implILS8_3ELb0ES6_jNS0_17counting_iteratorIjlEEPS9_SE_NS0_5tupleIJPjSE_EEENSF_IJSE_SE_EEES9_SG_JZNS1_25segmented_radix_sort_implINS0_14default_configELb0EPK12hip_bfloat16PSL_PKlPlN2at6native12_GLOBAL__N_18offset_tEEE10hipError_tPvRmT1_PNSt15iterator_traitsISZ_E10value_typeET2_T3_PNS10_IS15_E10value_typeET4_jRbjT5_S1B_jjP12ihipStream_tbEUljE_EEESW_SX_SY_S15_S19_S1B_T6_T7_T9_mT8_S1D_bDpT10_ENKUlT_T0_E_clISt17integral_constantIbLb1EES1Q_EEDaS1L_S1M_EUlS1L_E_NS1_11comp_targetILNS1_3genE0ELNS1_11target_archE4294967295ELNS1_3gpuE0ELNS1_3repE0EEENS1_30default_config_static_selectorELNS0_4arch9wavefront6targetE1EEEvSZ_
		.amdhsa_group_segment_fixed_size 0
		.amdhsa_private_segment_fixed_size 0
		.amdhsa_kernarg_size 152
		.amdhsa_user_sgpr_count 6
		.amdhsa_user_sgpr_private_segment_buffer 1
		.amdhsa_user_sgpr_dispatch_ptr 0
		.amdhsa_user_sgpr_queue_ptr 0
		.amdhsa_user_sgpr_kernarg_segment_ptr 1
		.amdhsa_user_sgpr_dispatch_id 0
		.amdhsa_user_sgpr_flat_scratch_init 0
		.amdhsa_user_sgpr_kernarg_preload_length 0
		.amdhsa_user_sgpr_kernarg_preload_offset 0
		.amdhsa_user_sgpr_private_segment_size 0
		.amdhsa_uses_dynamic_stack 0
		.amdhsa_system_sgpr_private_segment_wavefront_offset 0
		.amdhsa_system_sgpr_workgroup_id_x 1
		.amdhsa_system_sgpr_workgroup_id_y 0
		.amdhsa_system_sgpr_workgroup_id_z 0
		.amdhsa_system_sgpr_workgroup_info 0
		.amdhsa_system_vgpr_workitem_id 0
		.amdhsa_next_free_vgpr 1
		.amdhsa_next_free_sgpr 0
		.amdhsa_accum_offset 4
		.amdhsa_reserve_vcc 0
		.amdhsa_reserve_flat_scratch 0
		.amdhsa_float_round_mode_32 0
		.amdhsa_float_round_mode_16_64 0
		.amdhsa_float_denorm_mode_32 3
		.amdhsa_float_denorm_mode_16_64 3
		.amdhsa_dx10_clamp 1
		.amdhsa_ieee_mode 1
		.amdhsa_fp16_overflow 0
		.amdhsa_tg_split 0
		.amdhsa_exception_fp_ieee_invalid_op 0
		.amdhsa_exception_fp_denorm_src 0
		.amdhsa_exception_fp_ieee_div_zero 0
		.amdhsa_exception_fp_ieee_overflow 0
		.amdhsa_exception_fp_ieee_underflow 0
		.amdhsa_exception_fp_ieee_inexact 0
		.amdhsa_exception_int_div_zero 0
	.end_amdhsa_kernel
	.section	.text._ZN7rocprim17ROCPRIM_400000_NS6detail17trampoline_kernelINS0_13select_configILj256ELj13ELNS0_17block_load_methodE3ELS4_3ELS4_3ELNS0_20block_scan_algorithmE0ELj4294967295EEENS1_25partition_config_selectorILNS1_17partition_subalgoE3EjNS0_10empty_typeEbEEZZNS1_14partition_implILS8_3ELb0ES6_jNS0_17counting_iteratorIjlEEPS9_SE_NS0_5tupleIJPjSE_EEENSF_IJSE_SE_EEES9_SG_JZNS1_25segmented_radix_sort_implINS0_14default_configELb0EPK12hip_bfloat16PSL_PKlPlN2at6native12_GLOBAL__N_18offset_tEEE10hipError_tPvRmT1_PNSt15iterator_traitsISZ_E10value_typeET2_T3_PNS10_IS15_E10value_typeET4_jRbjT5_S1B_jjP12ihipStream_tbEUljE_EEESW_SX_SY_S15_S19_S1B_T6_T7_T9_mT8_S1D_bDpT10_ENKUlT_T0_E_clISt17integral_constantIbLb1EES1Q_EEDaS1L_S1M_EUlS1L_E_NS1_11comp_targetILNS1_3genE0ELNS1_11target_archE4294967295ELNS1_3gpuE0ELNS1_3repE0EEENS1_30default_config_static_selectorELNS0_4arch9wavefront6targetE1EEEvSZ_,"axG",@progbits,_ZN7rocprim17ROCPRIM_400000_NS6detail17trampoline_kernelINS0_13select_configILj256ELj13ELNS0_17block_load_methodE3ELS4_3ELS4_3ELNS0_20block_scan_algorithmE0ELj4294967295EEENS1_25partition_config_selectorILNS1_17partition_subalgoE3EjNS0_10empty_typeEbEEZZNS1_14partition_implILS8_3ELb0ES6_jNS0_17counting_iteratorIjlEEPS9_SE_NS0_5tupleIJPjSE_EEENSF_IJSE_SE_EEES9_SG_JZNS1_25segmented_radix_sort_implINS0_14default_configELb0EPK12hip_bfloat16PSL_PKlPlN2at6native12_GLOBAL__N_18offset_tEEE10hipError_tPvRmT1_PNSt15iterator_traitsISZ_E10value_typeET2_T3_PNS10_IS15_E10value_typeET4_jRbjT5_S1B_jjP12ihipStream_tbEUljE_EEESW_SX_SY_S15_S19_S1B_T6_T7_T9_mT8_S1D_bDpT10_ENKUlT_T0_E_clISt17integral_constantIbLb1EES1Q_EEDaS1L_S1M_EUlS1L_E_NS1_11comp_targetILNS1_3genE0ELNS1_11target_archE4294967295ELNS1_3gpuE0ELNS1_3repE0EEENS1_30default_config_static_selectorELNS0_4arch9wavefront6targetE1EEEvSZ_,comdat
.Lfunc_end2023:
	.size	_ZN7rocprim17ROCPRIM_400000_NS6detail17trampoline_kernelINS0_13select_configILj256ELj13ELNS0_17block_load_methodE3ELS4_3ELS4_3ELNS0_20block_scan_algorithmE0ELj4294967295EEENS1_25partition_config_selectorILNS1_17partition_subalgoE3EjNS0_10empty_typeEbEEZZNS1_14partition_implILS8_3ELb0ES6_jNS0_17counting_iteratorIjlEEPS9_SE_NS0_5tupleIJPjSE_EEENSF_IJSE_SE_EEES9_SG_JZNS1_25segmented_radix_sort_implINS0_14default_configELb0EPK12hip_bfloat16PSL_PKlPlN2at6native12_GLOBAL__N_18offset_tEEE10hipError_tPvRmT1_PNSt15iterator_traitsISZ_E10value_typeET2_T3_PNS10_IS15_E10value_typeET4_jRbjT5_S1B_jjP12ihipStream_tbEUljE_EEESW_SX_SY_S15_S19_S1B_T6_T7_T9_mT8_S1D_bDpT10_ENKUlT_T0_E_clISt17integral_constantIbLb1EES1Q_EEDaS1L_S1M_EUlS1L_E_NS1_11comp_targetILNS1_3genE0ELNS1_11target_archE4294967295ELNS1_3gpuE0ELNS1_3repE0EEENS1_30default_config_static_selectorELNS0_4arch9wavefront6targetE1EEEvSZ_, .Lfunc_end2023-_ZN7rocprim17ROCPRIM_400000_NS6detail17trampoline_kernelINS0_13select_configILj256ELj13ELNS0_17block_load_methodE3ELS4_3ELS4_3ELNS0_20block_scan_algorithmE0ELj4294967295EEENS1_25partition_config_selectorILNS1_17partition_subalgoE3EjNS0_10empty_typeEbEEZZNS1_14partition_implILS8_3ELb0ES6_jNS0_17counting_iteratorIjlEEPS9_SE_NS0_5tupleIJPjSE_EEENSF_IJSE_SE_EEES9_SG_JZNS1_25segmented_radix_sort_implINS0_14default_configELb0EPK12hip_bfloat16PSL_PKlPlN2at6native12_GLOBAL__N_18offset_tEEE10hipError_tPvRmT1_PNSt15iterator_traitsISZ_E10value_typeET2_T3_PNS10_IS15_E10value_typeET4_jRbjT5_S1B_jjP12ihipStream_tbEUljE_EEESW_SX_SY_S15_S19_S1B_T6_T7_T9_mT8_S1D_bDpT10_ENKUlT_T0_E_clISt17integral_constantIbLb1EES1Q_EEDaS1L_S1M_EUlS1L_E_NS1_11comp_targetILNS1_3genE0ELNS1_11target_archE4294967295ELNS1_3gpuE0ELNS1_3repE0EEENS1_30default_config_static_selectorELNS0_4arch9wavefront6targetE1EEEvSZ_
                                        ; -- End function
	.section	.AMDGPU.csdata,"",@progbits
; Kernel info:
; codeLenInByte = 0
; NumSgprs: 4
; NumVgprs: 0
; NumAgprs: 0
; TotalNumVgprs: 0
; ScratchSize: 0
; MemoryBound: 0
; FloatMode: 240
; IeeeMode: 1
; LDSByteSize: 0 bytes/workgroup (compile time only)
; SGPRBlocks: 0
; VGPRBlocks: 0
; NumSGPRsForWavesPerEU: 4
; NumVGPRsForWavesPerEU: 1
; AccumOffset: 4
; Occupancy: 8
; WaveLimiterHint : 0
; COMPUTE_PGM_RSRC2:SCRATCH_EN: 0
; COMPUTE_PGM_RSRC2:USER_SGPR: 6
; COMPUTE_PGM_RSRC2:TRAP_HANDLER: 0
; COMPUTE_PGM_RSRC2:TGID_X_EN: 1
; COMPUTE_PGM_RSRC2:TGID_Y_EN: 0
; COMPUTE_PGM_RSRC2:TGID_Z_EN: 0
; COMPUTE_PGM_RSRC2:TIDIG_COMP_CNT: 0
; COMPUTE_PGM_RSRC3_GFX90A:ACCUM_OFFSET: 0
; COMPUTE_PGM_RSRC3_GFX90A:TG_SPLIT: 0
	.section	.text._ZN7rocprim17ROCPRIM_400000_NS6detail17trampoline_kernelINS0_13select_configILj256ELj13ELNS0_17block_load_methodE3ELS4_3ELS4_3ELNS0_20block_scan_algorithmE0ELj4294967295EEENS1_25partition_config_selectorILNS1_17partition_subalgoE3EjNS0_10empty_typeEbEEZZNS1_14partition_implILS8_3ELb0ES6_jNS0_17counting_iteratorIjlEEPS9_SE_NS0_5tupleIJPjSE_EEENSF_IJSE_SE_EEES9_SG_JZNS1_25segmented_radix_sort_implINS0_14default_configELb0EPK12hip_bfloat16PSL_PKlPlN2at6native12_GLOBAL__N_18offset_tEEE10hipError_tPvRmT1_PNSt15iterator_traitsISZ_E10value_typeET2_T3_PNS10_IS15_E10value_typeET4_jRbjT5_S1B_jjP12ihipStream_tbEUljE_EEESW_SX_SY_S15_S19_S1B_T6_T7_T9_mT8_S1D_bDpT10_ENKUlT_T0_E_clISt17integral_constantIbLb1EES1Q_EEDaS1L_S1M_EUlS1L_E_NS1_11comp_targetILNS1_3genE5ELNS1_11target_archE942ELNS1_3gpuE9ELNS1_3repE0EEENS1_30default_config_static_selectorELNS0_4arch9wavefront6targetE1EEEvSZ_,"axG",@progbits,_ZN7rocprim17ROCPRIM_400000_NS6detail17trampoline_kernelINS0_13select_configILj256ELj13ELNS0_17block_load_methodE3ELS4_3ELS4_3ELNS0_20block_scan_algorithmE0ELj4294967295EEENS1_25partition_config_selectorILNS1_17partition_subalgoE3EjNS0_10empty_typeEbEEZZNS1_14partition_implILS8_3ELb0ES6_jNS0_17counting_iteratorIjlEEPS9_SE_NS0_5tupleIJPjSE_EEENSF_IJSE_SE_EEES9_SG_JZNS1_25segmented_radix_sort_implINS0_14default_configELb0EPK12hip_bfloat16PSL_PKlPlN2at6native12_GLOBAL__N_18offset_tEEE10hipError_tPvRmT1_PNSt15iterator_traitsISZ_E10value_typeET2_T3_PNS10_IS15_E10value_typeET4_jRbjT5_S1B_jjP12ihipStream_tbEUljE_EEESW_SX_SY_S15_S19_S1B_T6_T7_T9_mT8_S1D_bDpT10_ENKUlT_T0_E_clISt17integral_constantIbLb1EES1Q_EEDaS1L_S1M_EUlS1L_E_NS1_11comp_targetILNS1_3genE5ELNS1_11target_archE942ELNS1_3gpuE9ELNS1_3repE0EEENS1_30default_config_static_selectorELNS0_4arch9wavefront6targetE1EEEvSZ_,comdat
	.globl	_ZN7rocprim17ROCPRIM_400000_NS6detail17trampoline_kernelINS0_13select_configILj256ELj13ELNS0_17block_load_methodE3ELS4_3ELS4_3ELNS0_20block_scan_algorithmE0ELj4294967295EEENS1_25partition_config_selectorILNS1_17partition_subalgoE3EjNS0_10empty_typeEbEEZZNS1_14partition_implILS8_3ELb0ES6_jNS0_17counting_iteratorIjlEEPS9_SE_NS0_5tupleIJPjSE_EEENSF_IJSE_SE_EEES9_SG_JZNS1_25segmented_radix_sort_implINS0_14default_configELb0EPK12hip_bfloat16PSL_PKlPlN2at6native12_GLOBAL__N_18offset_tEEE10hipError_tPvRmT1_PNSt15iterator_traitsISZ_E10value_typeET2_T3_PNS10_IS15_E10value_typeET4_jRbjT5_S1B_jjP12ihipStream_tbEUljE_EEESW_SX_SY_S15_S19_S1B_T6_T7_T9_mT8_S1D_bDpT10_ENKUlT_T0_E_clISt17integral_constantIbLb1EES1Q_EEDaS1L_S1M_EUlS1L_E_NS1_11comp_targetILNS1_3genE5ELNS1_11target_archE942ELNS1_3gpuE9ELNS1_3repE0EEENS1_30default_config_static_selectorELNS0_4arch9wavefront6targetE1EEEvSZ_ ; -- Begin function _ZN7rocprim17ROCPRIM_400000_NS6detail17trampoline_kernelINS0_13select_configILj256ELj13ELNS0_17block_load_methodE3ELS4_3ELS4_3ELNS0_20block_scan_algorithmE0ELj4294967295EEENS1_25partition_config_selectorILNS1_17partition_subalgoE3EjNS0_10empty_typeEbEEZZNS1_14partition_implILS8_3ELb0ES6_jNS0_17counting_iteratorIjlEEPS9_SE_NS0_5tupleIJPjSE_EEENSF_IJSE_SE_EEES9_SG_JZNS1_25segmented_radix_sort_implINS0_14default_configELb0EPK12hip_bfloat16PSL_PKlPlN2at6native12_GLOBAL__N_18offset_tEEE10hipError_tPvRmT1_PNSt15iterator_traitsISZ_E10value_typeET2_T3_PNS10_IS15_E10value_typeET4_jRbjT5_S1B_jjP12ihipStream_tbEUljE_EEESW_SX_SY_S15_S19_S1B_T6_T7_T9_mT8_S1D_bDpT10_ENKUlT_T0_E_clISt17integral_constantIbLb1EES1Q_EEDaS1L_S1M_EUlS1L_E_NS1_11comp_targetILNS1_3genE5ELNS1_11target_archE942ELNS1_3gpuE9ELNS1_3repE0EEENS1_30default_config_static_selectorELNS0_4arch9wavefront6targetE1EEEvSZ_
	.p2align	8
	.type	_ZN7rocprim17ROCPRIM_400000_NS6detail17trampoline_kernelINS0_13select_configILj256ELj13ELNS0_17block_load_methodE3ELS4_3ELS4_3ELNS0_20block_scan_algorithmE0ELj4294967295EEENS1_25partition_config_selectorILNS1_17partition_subalgoE3EjNS0_10empty_typeEbEEZZNS1_14partition_implILS8_3ELb0ES6_jNS0_17counting_iteratorIjlEEPS9_SE_NS0_5tupleIJPjSE_EEENSF_IJSE_SE_EEES9_SG_JZNS1_25segmented_radix_sort_implINS0_14default_configELb0EPK12hip_bfloat16PSL_PKlPlN2at6native12_GLOBAL__N_18offset_tEEE10hipError_tPvRmT1_PNSt15iterator_traitsISZ_E10value_typeET2_T3_PNS10_IS15_E10value_typeET4_jRbjT5_S1B_jjP12ihipStream_tbEUljE_EEESW_SX_SY_S15_S19_S1B_T6_T7_T9_mT8_S1D_bDpT10_ENKUlT_T0_E_clISt17integral_constantIbLb1EES1Q_EEDaS1L_S1M_EUlS1L_E_NS1_11comp_targetILNS1_3genE5ELNS1_11target_archE942ELNS1_3gpuE9ELNS1_3repE0EEENS1_30default_config_static_selectorELNS0_4arch9wavefront6targetE1EEEvSZ_,@function
_ZN7rocprim17ROCPRIM_400000_NS6detail17trampoline_kernelINS0_13select_configILj256ELj13ELNS0_17block_load_methodE3ELS4_3ELS4_3ELNS0_20block_scan_algorithmE0ELj4294967295EEENS1_25partition_config_selectorILNS1_17partition_subalgoE3EjNS0_10empty_typeEbEEZZNS1_14partition_implILS8_3ELb0ES6_jNS0_17counting_iteratorIjlEEPS9_SE_NS0_5tupleIJPjSE_EEENSF_IJSE_SE_EEES9_SG_JZNS1_25segmented_radix_sort_implINS0_14default_configELb0EPK12hip_bfloat16PSL_PKlPlN2at6native12_GLOBAL__N_18offset_tEEE10hipError_tPvRmT1_PNSt15iterator_traitsISZ_E10value_typeET2_T3_PNS10_IS15_E10value_typeET4_jRbjT5_S1B_jjP12ihipStream_tbEUljE_EEESW_SX_SY_S15_S19_S1B_T6_T7_T9_mT8_S1D_bDpT10_ENKUlT_T0_E_clISt17integral_constantIbLb1EES1Q_EEDaS1L_S1M_EUlS1L_E_NS1_11comp_targetILNS1_3genE5ELNS1_11target_archE942ELNS1_3gpuE9ELNS1_3repE0EEENS1_30default_config_static_selectorELNS0_4arch9wavefront6targetE1EEEvSZ_: ; @_ZN7rocprim17ROCPRIM_400000_NS6detail17trampoline_kernelINS0_13select_configILj256ELj13ELNS0_17block_load_methodE3ELS4_3ELS4_3ELNS0_20block_scan_algorithmE0ELj4294967295EEENS1_25partition_config_selectorILNS1_17partition_subalgoE3EjNS0_10empty_typeEbEEZZNS1_14partition_implILS8_3ELb0ES6_jNS0_17counting_iteratorIjlEEPS9_SE_NS0_5tupleIJPjSE_EEENSF_IJSE_SE_EEES9_SG_JZNS1_25segmented_radix_sort_implINS0_14default_configELb0EPK12hip_bfloat16PSL_PKlPlN2at6native12_GLOBAL__N_18offset_tEEE10hipError_tPvRmT1_PNSt15iterator_traitsISZ_E10value_typeET2_T3_PNS10_IS15_E10value_typeET4_jRbjT5_S1B_jjP12ihipStream_tbEUljE_EEESW_SX_SY_S15_S19_S1B_T6_T7_T9_mT8_S1D_bDpT10_ENKUlT_T0_E_clISt17integral_constantIbLb1EES1Q_EEDaS1L_S1M_EUlS1L_E_NS1_11comp_targetILNS1_3genE5ELNS1_11target_archE942ELNS1_3gpuE9ELNS1_3repE0EEENS1_30default_config_static_selectorELNS0_4arch9wavefront6targetE1EEEvSZ_
; %bb.0:
	.section	.rodata,"a",@progbits
	.p2align	6, 0x0
	.amdhsa_kernel _ZN7rocprim17ROCPRIM_400000_NS6detail17trampoline_kernelINS0_13select_configILj256ELj13ELNS0_17block_load_methodE3ELS4_3ELS4_3ELNS0_20block_scan_algorithmE0ELj4294967295EEENS1_25partition_config_selectorILNS1_17partition_subalgoE3EjNS0_10empty_typeEbEEZZNS1_14partition_implILS8_3ELb0ES6_jNS0_17counting_iteratorIjlEEPS9_SE_NS0_5tupleIJPjSE_EEENSF_IJSE_SE_EEES9_SG_JZNS1_25segmented_radix_sort_implINS0_14default_configELb0EPK12hip_bfloat16PSL_PKlPlN2at6native12_GLOBAL__N_18offset_tEEE10hipError_tPvRmT1_PNSt15iterator_traitsISZ_E10value_typeET2_T3_PNS10_IS15_E10value_typeET4_jRbjT5_S1B_jjP12ihipStream_tbEUljE_EEESW_SX_SY_S15_S19_S1B_T6_T7_T9_mT8_S1D_bDpT10_ENKUlT_T0_E_clISt17integral_constantIbLb1EES1Q_EEDaS1L_S1M_EUlS1L_E_NS1_11comp_targetILNS1_3genE5ELNS1_11target_archE942ELNS1_3gpuE9ELNS1_3repE0EEENS1_30default_config_static_selectorELNS0_4arch9wavefront6targetE1EEEvSZ_
		.amdhsa_group_segment_fixed_size 0
		.amdhsa_private_segment_fixed_size 0
		.amdhsa_kernarg_size 152
		.amdhsa_user_sgpr_count 6
		.amdhsa_user_sgpr_private_segment_buffer 1
		.amdhsa_user_sgpr_dispatch_ptr 0
		.amdhsa_user_sgpr_queue_ptr 0
		.amdhsa_user_sgpr_kernarg_segment_ptr 1
		.amdhsa_user_sgpr_dispatch_id 0
		.amdhsa_user_sgpr_flat_scratch_init 0
		.amdhsa_user_sgpr_kernarg_preload_length 0
		.amdhsa_user_sgpr_kernarg_preload_offset 0
		.amdhsa_user_sgpr_private_segment_size 0
		.amdhsa_uses_dynamic_stack 0
		.amdhsa_system_sgpr_private_segment_wavefront_offset 0
		.amdhsa_system_sgpr_workgroup_id_x 1
		.amdhsa_system_sgpr_workgroup_id_y 0
		.amdhsa_system_sgpr_workgroup_id_z 0
		.amdhsa_system_sgpr_workgroup_info 0
		.amdhsa_system_vgpr_workitem_id 0
		.amdhsa_next_free_vgpr 1
		.amdhsa_next_free_sgpr 0
		.amdhsa_accum_offset 4
		.amdhsa_reserve_vcc 0
		.amdhsa_reserve_flat_scratch 0
		.amdhsa_float_round_mode_32 0
		.amdhsa_float_round_mode_16_64 0
		.amdhsa_float_denorm_mode_32 3
		.amdhsa_float_denorm_mode_16_64 3
		.amdhsa_dx10_clamp 1
		.amdhsa_ieee_mode 1
		.amdhsa_fp16_overflow 0
		.amdhsa_tg_split 0
		.amdhsa_exception_fp_ieee_invalid_op 0
		.amdhsa_exception_fp_denorm_src 0
		.amdhsa_exception_fp_ieee_div_zero 0
		.amdhsa_exception_fp_ieee_overflow 0
		.amdhsa_exception_fp_ieee_underflow 0
		.amdhsa_exception_fp_ieee_inexact 0
		.amdhsa_exception_int_div_zero 0
	.end_amdhsa_kernel
	.section	.text._ZN7rocprim17ROCPRIM_400000_NS6detail17trampoline_kernelINS0_13select_configILj256ELj13ELNS0_17block_load_methodE3ELS4_3ELS4_3ELNS0_20block_scan_algorithmE0ELj4294967295EEENS1_25partition_config_selectorILNS1_17partition_subalgoE3EjNS0_10empty_typeEbEEZZNS1_14partition_implILS8_3ELb0ES6_jNS0_17counting_iteratorIjlEEPS9_SE_NS0_5tupleIJPjSE_EEENSF_IJSE_SE_EEES9_SG_JZNS1_25segmented_radix_sort_implINS0_14default_configELb0EPK12hip_bfloat16PSL_PKlPlN2at6native12_GLOBAL__N_18offset_tEEE10hipError_tPvRmT1_PNSt15iterator_traitsISZ_E10value_typeET2_T3_PNS10_IS15_E10value_typeET4_jRbjT5_S1B_jjP12ihipStream_tbEUljE_EEESW_SX_SY_S15_S19_S1B_T6_T7_T9_mT8_S1D_bDpT10_ENKUlT_T0_E_clISt17integral_constantIbLb1EES1Q_EEDaS1L_S1M_EUlS1L_E_NS1_11comp_targetILNS1_3genE5ELNS1_11target_archE942ELNS1_3gpuE9ELNS1_3repE0EEENS1_30default_config_static_selectorELNS0_4arch9wavefront6targetE1EEEvSZ_,"axG",@progbits,_ZN7rocprim17ROCPRIM_400000_NS6detail17trampoline_kernelINS0_13select_configILj256ELj13ELNS0_17block_load_methodE3ELS4_3ELS4_3ELNS0_20block_scan_algorithmE0ELj4294967295EEENS1_25partition_config_selectorILNS1_17partition_subalgoE3EjNS0_10empty_typeEbEEZZNS1_14partition_implILS8_3ELb0ES6_jNS0_17counting_iteratorIjlEEPS9_SE_NS0_5tupleIJPjSE_EEENSF_IJSE_SE_EEES9_SG_JZNS1_25segmented_radix_sort_implINS0_14default_configELb0EPK12hip_bfloat16PSL_PKlPlN2at6native12_GLOBAL__N_18offset_tEEE10hipError_tPvRmT1_PNSt15iterator_traitsISZ_E10value_typeET2_T3_PNS10_IS15_E10value_typeET4_jRbjT5_S1B_jjP12ihipStream_tbEUljE_EEESW_SX_SY_S15_S19_S1B_T6_T7_T9_mT8_S1D_bDpT10_ENKUlT_T0_E_clISt17integral_constantIbLb1EES1Q_EEDaS1L_S1M_EUlS1L_E_NS1_11comp_targetILNS1_3genE5ELNS1_11target_archE942ELNS1_3gpuE9ELNS1_3repE0EEENS1_30default_config_static_selectorELNS0_4arch9wavefront6targetE1EEEvSZ_,comdat
.Lfunc_end2024:
	.size	_ZN7rocprim17ROCPRIM_400000_NS6detail17trampoline_kernelINS0_13select_configILj256ELj13ELNS0_17block_load_methodE3ELS4_3ELS4_3ELNS0_20block_scan_algorithmE0ELj4294967295EEENS1_25partition_config_selectorILNS1_17partition_subalgoE3EjNS0_10empty_typeEbEEZZNS1_14partition_implILS8_3ELb0ES6_jNS0_17counting_iteratorIjlEEPS9_SE_NS0_5tupleIJPjSE_EEENSF_IJSE_SE_EEES9_SG_JZNS1_25segmented_radix_sort_implINS0_14default_configELb0EPK12hip_bfloat16PSL_PKlPlN2at6native12_GLOBAL__N_18offset_tEEE10hipError_tPvRmT1_PNSt15iterator_traitsISZ_E10value_typeET2_T3_PNS10_IS15_E10value_typeET4_jRbjT5_S1B_jjP12ihipStream_tbEUljE_EEESW_SX_SY_S15_S19_S1B_T6_T7_T9_mT8_S1D_bDpT10_ENKUlT_T0_E_clISt17integral_constantIbLb1EES1Q_EEDaS1L_S1M_EUlS1L_E_NS1_11comp_targetILNS1_3genE5ELNS1_11target_archE942ELNS1_3gpuE9ELNS1_3repE0EEENS1_30default_config_static_selectorELNS0_4arch9wavefront6targetE1EEEvSZ_, .Lfunc_end2024-_ZN7rocprim17ROCPRIM_400000_NS6detail17trampoline_kernelINS0_13select_configILj256ELj13ELNS0_17block_load_methodE3ELS4_3ELS4_3ELNS0_20block_scan_algorithmE0ELj4294967295EEENS1_25partition_config_selectorILNS1_17partition_subalgoE3EjNS0_10empty_typeEbEEZZNS1_14partition_implILS8_3ELb0ES6_jNS0_17counting_iteratorIjlEEPS9_SE_NS0_5tupleIJPjSE_EEENSF_IJSE_SE_EEES9_SG_JZNS1_25segmented_radix_sort_implINS0_14default_configELb0EPK12hip_bfloat16PSL_PKlPlN2at6native12_GLOBAL__N_18offset_tEEE10hipError_tPvRmT1_PNSt15iterator_traitsISZ_E10value_typeET2_T3_PNS10_IS15_E10value_typeET4_jRbjT5_S1B_jjP12ihipStream_tbEUljE_EEESW_SX_SY_S15_S19_S1B_T6_T7_T9_mT8_S1D_bDpT10_ENKUlT_T0_E_clISt17integral_constantIbLb1EES1Q_EEDaS1L_S1M_EUlS1L_E_NS1_11comp_targetILNS1_3genE5ELNS1_11target_archE942ELNS1_3gpuE9ELNS1_3repE0EEENS1_30default_config_static_selectorELNS0_4arch9wavefront6targetE1EEEvSZ_
                                        ; -- End function
	.section	.AMDGPU.csdata,"",@progbits
; Kernel info:
; codeLenInByte = 0
; NumSgprs: 4
; NumVgprs: 0
; NumAgprs: 0
; TotalNumVgprs: 0
; ScratchSize: 0
; MemoryBound: 0
; FloatMode: 240
; IeeeMode: 1
; LDSByteSize: 0 bytes/workgroup (compile time only)
; SGPRBlocks: 0
; VGPRBlocks: 0
; NumSGPRsForWavesPerEU: 4
; NumVGPRsForWavesPerEU: 1
; AccumOffset: 4
; Occupancy: 8
; WaveLimiterHint : 0
; COMPUTE_PGM_RSRC2:SCRATCH_EN: 0
; COMPUTE_PGM_RSRC2:USER_SGPR: 6
; COMPUTE_PGM_RSRC2:TRAP_HANDLER: 0
; COMPUTE_PGM_RSRC2:TGID_X_EN: 1
; COMPUTE_PGM_RSRC2:TGID_Y_EN: 0
; COMPUTE_PGM_RSRC2:TGID_Z_EN: 0
; COMPUTE_PGM_RSRC2:TIDIG_COMP_CNT: 0
; COMPUTE_PGM_RSRC3_GFX90A:ACCUM_OFFSET: 0
; COMPUTE_PGM_RSRC3_GFX90A:TG_SPLIT: 0
	.section	.text._ZN7rocprim17ROCPRIM_400000_NS6detail17trampoline_kernelINS0_13select_configILj256ELj13ELNS0_17block_load_methodE3ELS4_3ELS4_3ELNS0_20block_scan_algorithmE0ELj4294967295EEENS1_25partition_config_selectorILNS1_17partition_subalgoE3EjNS0_10empty_typeEbEEZZNS1_14partition_implILS8_3ELb0ES6_jNS0_17counting_iteratorIjlEEPS9_SE_NS0_5tupleIJPjSE_EEENSF_IJSE_SE_EEES9_SG_JZNS1_25segmented_radix_sort_implINS0_14default_configELb0EPK12hip_bfloat16PSL_PKlPlN2at6native12_GLOBAL__N_18offset_tEEE10hipError_tPvRmT1_PNSt15iterator_traitsISZ_E10value_typeET2_T3_PNS10_IS15_E10value_typeET4_jRbjT5_S1B_jjP12ihipStream_tbEUljE_EEESW_SX_SY_S15_S19_S1B_T6_T7_T9_mT8_S1D_bDpT10_ENKUlT_T0_E_clISt17integral_constantIbLb1EES1Q_EEDaS1L_S1M_EUlS1L_E_NS1_11comp_targetILNS1_3genE4ELNS1_11target_archE910ELNS1_3gpuE8ELNS1_3repE0EEENS1_30default_config_static_selectorELNS0_4arch9wavefront6targetE1EEEvSZ_,"axG",@progbits,_ZN7rocprim17ROCPRIM_400000_NS6detail17trampoline_kernelINS0_13select_configILj256ELj13ELNS0_17block_load_methodE3ELS4_3ELS4_3ELNS0_20block_scan_algorithmE0ELj4294967295EEENS1_25partition_config_selectorILNS1_17partition_subalgoE3EjNS0_10empty_typeEbEEZZNS1_14partition_implILS8_3ELb0ES6_jNS0_17counting_iteratorIjlEEPS9_SE_NS0_5tupleIJPjSE_EEENSF_IJSE_SE_EEES9_SG_JZNS1_25segmented_radix_sort_implINS0_14default_configELb0EPK12hip_bfloat16PSL_PKlPlN2at6native12_GLOBAL__N_18offset_tEEE10hipError_tPvRmT1_PNSt15iterator_traitsISZ_E10value_typeET2_T3_PNS10_IS15_E10value_typeET4_jRbjT5_S1B_jjP12ihipStream_tbEUljE_EEESW_SX_SY_S15_S19_S1B_T6_T7_T9_mT8_S1D_bDpT10_ENKUlT_T0_E_clISt17integral_constantIbLb1EES1Q_EEDaS1L_S1M_EUlS1L_E_NS1_11comp_targetILNS1_3genE4ELNS1_11target_archE910ELNS1_3gpuE8ELNS1_3repE0EEENS1_30default_config_static_selectorELNS0_4arch9wavefront6targetE1EEEvSZ_,comdat
	.globl	_ZN7rocprim17ROCPRIM_400000_NS6detail17trampoline_kernelINS0_13select_configILj256ELj13ELNS0_17block_load_methodE3ELS4_3ELS4_3ELNS0_20block_scan_algorithmE0ELj4294967295EEENS1_25partition_config_selectorILNS1_17partition_subalgoE3EjNS0_10empty_typeEbEEZZNS1_14partition_implILS8_3ELb0ES6_jNS0_17counting_iteratorIjlEEPS9_SE_NS0_5tupleIJPjSE_EEENSF_IJSE_SE_EEES9_SG_JZNS1_25segmented_radix_sort_implINS0_14default_configELb0EPK12hip_bfloat16PSL_PKlPlN2at6native12_GLOBAL__N_18offset_tEEE10hipError_tPvRmT1_PNSt15iterator_traitsISZ_E10value_typeET2_T3_PNS10_IS15_E10value_typeET4_jRbjT5_S1B_jjP12ihipStream_tbEUljE_EEESW_SX_SY_S15_S19_S1B_T6_T7_T9_mT8_S1D_bDpT10_ENKUlT_T0_E_clISt17integral_constantIbLb1EES1Q_EEDaS1L_S1M_EUlS1L_E_NS1_11comp_targetILNS1_3genE4ELNS1_11target_archE910ELNS1_3gpuE8ELNS1_3repE0EEENS1_30default_config_static_selectorELNS0_4arch9wavefront6targetE1EEEvSZ_ ; -- Begin function _ZN7rocprim17ROCPRIM_400000_NS6detail17trampoline_kernelINS0_13select_configILj256ELj13ELNS0_17block_load_methodE3ELS4_3ELS4_3ELNS0_20block_scan_algorithmE0ELj4294967295EEENS1_25partition_config_selectorILNS1_17partition_subalgoE3EjNS0_10empty_typeEbEEZZNS1_14partition_implILS8_3ELb0ES6_jNS0_17counting_iteratorIjlEEPS9_SE_NS0_5tupleIJPjSE_EEENSF_IJSE_SE_EEES9_SG_JZNS1_25segmented_radix_sort_implINS0_14default_configELb0EPK12hip_bfloat16PSL_PKlPlN2at6native12_GLOBAL__N_18offset_tEEE10hipError_tPvRmT1_PNSt15iterator_traitsISZ_E10value_typeET2_T3_PNS10_IS15_E10value_typeET4_jRbjT5_S1B_jjP12ihipStream_tbEUljE_EEESW_SX_SY_S15_S19_S1B_T6_T7_T9_mT8_S1D_bDpT10_ENKUlT_T0_E_clISt17integral_constantIbLb1EES1Q_EEDaS1L_S1M_EUlS1L_E_NS1_11comp_targetILNS1_3genE4ELNS1_11target_archE910ELNS1_3gpuE8ELNS1_3repE0EEENS1_30default_config_static_selectorELNS0_4arch9wavefront6targetE1EEEvSZ_
	.p2align	8
	.type	_ZN7rocprim17ROCPRIM_400000_NS6detail17trampoline_kernelINS0_13select_configILj256ELj13ELNS0_17block_load_methodE3ELS4_3ELS4_3ELNS0_20block_scan_algorithmE0ELj4294967295EEENS1_25partition_config_selectorILNS1_17partition_subalgoE3EjNS0_10empty_typeEbEEZZNS1_14partition_implILS8_3ELb0ES6_jNS0_17counting_iteratorIjlEEPS9_SE_NS0_5tupleIJPjSE_EEENSF_IJSE_SE_EEES9_SG_JZNS1_25segmented_radix_sort_implINS0_14default_configELb0EPK12hip_bfloat16PSL_PKlPlN2at6native12_GLOBAL__N_18offset_tEEE10hipError_tPvRmT1_PNSt15iterator_traitsISZ_E10value_typeET2_T3_PNS10_IS15_E10value_typeET4_jRbjT5_S1B_jjP12ihipStream_tbEUljE_EEESW_SX_SY_S15_S19_S1B_T6_T7_T9_mT8_S1D_bDpT10_ENKUlT_T0_E_clISt17integral_constantIbLb1EES1Q_EEDaS1L_S1M_EUlS1L_E_NS1_11comp_targetILNS1_3genE4ELNS1_11target_archE910ELNS1_3gpuE8ELNS1_3repE0EEENS1_30default_config_static_selectorELNS0_4arch9wavefront6targetE1EEEvSZ_,@function
_ZN7rocprim17ROCPRIM_400000_NS6detail17trampoline_kernelINS0_13select_configILj256ELj13ELNS0_17block_load_methodE3ELS4_3ELS4_3ELNS0_20block_scan_algorithmE0ELj4294967295EEENS1_25partition_config_selectorILNS1_17partition_subalgoE3EjNS0_10empty_typeEbEEZZNS1_14partition_implILS8_3ELb0ES6_jNS0_17counting_iteratorIjlEEPS9_SE_NS0_5tupleIJPjSE_EEENSF_IJSE_SE_EEES9_SG_JZNS1_25segmented_radix_sort_implINS0_14default_configELb0EPK12hip_bfloat16PSL_PKlPlN2at6native12_GLOBAL__N_18offset_tEEE10hipError_tPvRmT1_PNSt15iterator_traitsISZ_E10value_typeET2_T3_PNS10_IS15_E10value_typeET4_jRbjT5_S1B_jjP12ihipStream_tbEUljE_EEESW_SX_SY_S15_S19_S1B_T6_T7_T9_mT8_S1D_bDpT10_ENKUlT_T0_E_clISt17integral_constantIbLb1EES1Q_EEDaS1L_S1M_EUlS1L_E_NS1_11comp_targetILNS1_3genE4ELNS1_11target_archE910ELNS1_3gpuE8ELNS1_3repE0EEENS1_30default_config_static_selectorELNS0_4arch9wavefront6targetE1EEEvSZ_: ; @_ZN7rocprim17ROCPRIM_400000_NS6detail17trampoline_kernelINS0_13select_configILj256ELj13ELNS0_17block_load_methodE3ELS4_3ELS4_3ELNS0_20block_scan_algorithmE0ELj4294967295EEENS1_25partition_config_selectorILNS1_17partition_subalgoE3EjNS0_10empty_typeEbEEZZNS1_14partition_implILS8_3ELb0ES6_jNS0_17counting_iteratorIjlEEPS9_SE_NS0_5tupleIJPjSE_EEENSF_IJSE_SE_EEES9_SG_JZNS1_25segmented_radix_sort_implINS0_14default_configELb0EPK12hip_bfloat16PSL_PKlPlN2at6native12_GLOBAL__N_18offset_tEEE10hipError_tPvRmT1_PNSt15iterator_traitsISZ_E10value_typeET2_T3_PNS10_IS15_E10value_typeET4_jRbjT5_S1B_jjP12ihipStream_tbEUljE_EEESW_SX_SY_S15_S19_S1B_T6_T7_T9_mT8_S1D_bDpT10_ENKUlT_T0_E_clISt17integral_constantIbLb1EES1Q_EEDaS1L_S1M_EUlS1L_E_NS1_11comp_targetILNS1_3genE4ELNS1_11target_archE910ELNS1_3gpuE8ELNS1_3repE0EEENS1_30default_config_static_selectorELNS0_4arch9wavefront6targetE1EEEvSZ_
; %bb.0:
	s_load_dwordx2 s[28:29], s[4:5], 0x10
	s_load_dwordx2 s[24:25], s[4:5], 0x28
	;; [unrolled: 1-line block ×3, first 2 shown]
	s_load_dwordx4 s[20:23], s[4:5], 0x48
	s_load_dword s14, s[4:5], 0x90
	s_load_dwordx2 s[30:31], s[4:5], 0x68
	s_load_dwordx4 s[8:11], s[4:5], 0x80
	v_cmp_eq_u32_e64 s[0:1], 0, v0
	s_and_saveexec_b64 s[2:3], s[0:1]
	s_cbranch_execz .LBB2025_4
; %bb.1:
	s_mov_b64 s[12:13], exec
	v_mbcnt_lo_u32_b32 v1, s12, 0
	v_mbcnt_hi_u32_b32 v1, s13, v1
	v_cmp_eq_u32_e32 vcc, 0, v1
                                        ; implicit-def: $vgpr2
	s_and_saveexec_b64 s[6:7], vcc
	s_cbranch_execz .LBB2025_3
; %bb.2:
	s_load_dwordx2 s[16:17], s[4:5], 0x78
	s_bcnt1_i32_b64 s12, s[12:13]
	v_mov_b32_e32 v2, 0
	v_mov_b32_e32 v3, s12
	s_waitcnt lgkmcnt(0)
	global_atomic_add v2, v2, v3, s[16:17] glc
.LBB2025_3:
	s_or_b64 exec, exec, s[6:7]
	s_waitcnt vmcnt(0)
	v_readfirstlane_b32 s6, v2
	v_add_u32_e32 v1, s6, v1
	v_mov_b32_e32 v2, 0
	ds_write_b32 v2, v1
.LBB2025_4:
	s_or_b64 exec, exec, s[2:3]
	v_mov_b32_e32 v1, 0
	s_load_dword s2, s[4:5], 0x8
	s_load_dword s6, s[4:5], 0x70
	s_waitcnt lgkmcnt(0)
	s_barrier
	ds_read_b32 v2, v1
	s_waitcnt lgkmcnt(0)
	s_barrier
	global_load_dwordx2 v[20:21], v1, s[22:23]
	s_add_i32 s7, s2, s28
	s_movk_i32 s2, 0xd00
	s_add_i32 s4, s6, -1
	s_mulk_i32 s6, 0xd00
	v_mul_lo_u32 v1, v2, s2
	s_add_u32 s2, s28, s6
	v_readfirstlane_b32 s40, v2
	s_addc_u32 s3, s29, 0
	s_cmp_eq_u32 s40, s4
	v_pk_mov_b32 v[2:3], s[26:27], s[26:27] op_sel:[0,1]
	s_cselect_b64 s[22:23], -1, 0
	s_cmp_lg_u32 s40, s4
	v_cmp_lt_u64_e32 vcc, s[2:3], v[2:3]
	s_cselect_b64 s[2:3], -1, 0
	s_or_b64 s[4:5], vcc, s[2:3]
	v_add_u32_e32 v2, s7, v1
	s_mov_b64 s[2:3], -1
	s_and_b64 vcc, exec, s[4:5]
	v_add_u32_e32 v2, v2, v0
	v_lshlrev_b32_e32 v34, 2, v0
	s_cbranch_vccz .LBB2025_6
; %bb.5:
	v_add_u32_e32 v3, 0x100, v2
	v_add_u32_e32 v4, 0x200, v2
	;; [unrolled: 1-line block ×12, first 2 shown]
	ds_write2st64_b32 v34, v2, v3 offset1:4
	ds_write2st64_b32 v34, v4, v5 offset0:8 offset1:12
	ds_write2st64_b32 v34, v6, v7 offset0:16 offset1:20
	ds_write2st64_b32 v34, v8, v9 offset0:24 offset1:28
	ds_write2st64_b32 v34, v10, v11 offset0:32 offset1:36
	ds_write2st64_b32 v34, v12, v13 offset0:40 offset1:44
	ds_write_b32 v34, v14 offset:12288
	s_waitcnt lgkmcnt(0)
	s_barrier
	s_mov_b64 s[2:3], 0
.LBB2025_6:
	s_andn2_b64 vcc, exec, s[2:3]
	s_add_i32 s6, s6, s28
	s_cbranch_vccnz .LBB2025_8
; %bb.7:
	v_add_u32_e32 v3, 0x100, v2
	v_add_u32_e32 v4, 0x200, v2
	;; [unrolled: 1-line block ×12, first 2 shown]
	ds_write2st64_b32 v34, v2, v3 offset1:4
	ds_write2st64_b32 v34, v4, v5 offset0:8 offset1:12
	ds_write2st64_b32 v34, v6, v7 offset0:16 offset1:20
	;; [unrolled: 1-line block ×5, first 2 shown]
	ds_write_b32 v34, v14 offset:12288
	s_waitcnt lgkmcnt(0)
	s_barrier
.LBB2025_8:
	v_mul_u32_u24_e32 v36, 13, v0
	v_lshlrev_b32_e32 v2, 2, v36
	ds_read2_b32 v[32:33], v2 offset1:1
	ds_read2_b32 v[30:31], v2 offset0:2 offset1:3
	ds_read2_b32 v[28:29], v2 offset0:4 offset1:5
	;; [unrolled: 1-line block ×5, first 2 shown]
	ds_read_b32 v35, v2 offset:48
	v_cndmask_b32_e64 v2, 0, 1, s[4:5]
	s_sub_i32 s33, s26, s6
	v_cmp_ne_u32_e64 s[2:3], 1, v2
	s_andn2_b64 vcc, exec, s[4:5]
	s_waitcnt lgkmcnt(0)
	s_barrier
	s_cbranch_vccnz .LBB2025_10
; %bb.9:
	v_add_u32_e32 v2, s9, v32
	v_add_u32_e32 v3, s11, v32
	v_mul_lo_u32 v2, v2, s8
	v_mul_lo_u32 v3, v3, s10
	v_sub_u32_e32 v2, v2, v3
	v_add_u32_e32 v3, s9, v33
	v_add_u32_e32 v4, s11, v33
	v_mul_lo_u32 v3, v3, s8
	v_mul_lo_u32 v4, v4, s10
	v_sub_u32_e32 v3, v3, v4
	;; [unrolled: 5-line block ×6, first 2 shown]
	v_add_u32_e32 v8, s9, v26
	v_add_u32_e32 v9, s11, v26
	v_mul_lo_u32 v8, v8, s8
	v_mul_lo_u32 v9, v9, s10
	v_cmp_lt_u32_e32 vcc, s14, v2
	v_sub_u32_e32 v8, v8, v9
	v_add_u32_e32 v9, s9, v27
	v_add_u32_e32 v10, s11, v27
	v_cndmask_b32_e64 v2, 0, 1, vcc
	v_cmp_lt_u32_e32 vcc, s14, v3
	v_mul_lo_u32 v9, v9, s8
	v_mul_lo_u32 v10, v10, s10
	v_cndmask_b32_e64 v3, 0, 1, vcc
	v_cmp_lt_u32_e32 vcc, s14, v4
	v_sub_u32_e32 v9, v9, v10
	v_add_u32_e32 v10, s9, v24
	v_add_u32_e32 v11, s11, v24
	v_cndmask_b32_e64 v4, 0, 1, vcc
	v_cmp_lt_u32_e32 vcc, s14, v5
	v_mul_lo_u32 v10, v10, s8
	v_mul_lo_u32 v11, v11, s10
	v_cndmask_b32_e64 v5, 0, 1, vcc
	;; [unrolled: 9-line block ×4, first 2 shown]
	v_cmp_lt_u32_e32 vcc, s14, v10
	v_sub_u32_e32 v12, v12, v13
	v_add_u32_e32 v13, s9, v23
	v_add_u32_e32 v14, s11, v23
	v_lshlrev_b16_e32 v3, 8, v3
	v_cndmask_b32_e64 v10, 0, 1, vcc
	v_cmp_lt_u32_e32 vcc, s14, v11
	v_mul_lo_u32 v13, v13, s8
	v_mul_lo_u32 v14, v14, s10
	v_or_b32_e32 v2, v2, v3
	v_lshlrev_b16_e32 v3, 8, v5
	v_cndmask_b32_e64 v11, 0, 1, vcc
	v_cmp_lt_u32_e32 vcc, s14, v12
	v_sub_u32_e32 v13, v13, v14
	v_or_b32_sdwa v3, v4, v3 dst_sel:WORD_1 dst_unused:UNUSED_PAD src0_sel:DWORD src1_sel:DWORD
	v_cndmask_b32_e64 v12, 0, 1, vcc
	v_cmp_lt_u32_e32 vcc, s14, v13
	v_add_u32_e32 v14, s9, v35
	v_add_u32_e32 v15, s11, v35
	v_or_b32_sdwa v40, v2, v3 dst_sel:DWORD dst_unused:UNUSED_PAD src0_sel:WORD_0 src1_sel:DWORD
	v_lshlrev_b16_e32 v2, 8, v7
	v_lshlrev_b16_e32 v3, 8, v9
	v_cndmask_b32_e64 v13, 0, 1, vcc
	v_mul_lo_u32 v14, v14, s8
	v_mul_lo_u32 v15, v15, s10
	v_or_b32_e32 v2, v6, v2
	v_or_b32_sdwa v3, v8, v3 dst_sel:WORD_1 dst_unused:UNUSED_PAD src0_sel:DWORD src1_sel:DWORD
	v_sub_u32_e32 v14, v14, v15
	v_or_b32_sdwa v39, v2, v3 dst_sel:DWORD dst_unused:UNUSED_PAD src0_sel:WORD_0 src1_sel:DWORD
	v_lshlrev_b16_e32 v2, 8, v11
	v_lshlrev_b16_e32 v3, 8, v13
	v_cmp_lt_u32_e32 vcc, s14, v14
	v_or_b32_e32 v2, v10, v2
	v_or_b32_sdwa v3, v12, v3 dst_sel:WORD_1 dst_unused:UNUSED_PAD src0_sel:DWORD src1_sel:DWORD
	v_cndmask_b32_e64 v37, 0, 1, vcc
	v_or_b32_sdwa v38, v2, v3 dst_sel:DWORD dst_unused:UNUSED_PAD src0_sel:WORD_0 src1_sel:DWORD
	s_addk_i32 s33, 0xd00
	s_cbranch_execz .LBB2025_11
	s_branch .LBB2025_38
.LBB2025_10:
                                        ; implicit-def: $vgpr37
                                        ; implicit-def: $vgpr38
                                        ; implicit-def: $vgpr39
                                        ; implicit-def: $vgpr40
	s_addk_i32 s33, 0xd00
.LBB2025_11:
	v_cmp_gt_u32_e32 vcc, s33, v36
	v_mov_b32_e32 v3, 0
	v_mov_b32_e32 v2, 0
	s_and_saveexec_b64 s[4:5], vcc
; %bb.12:
	v_add_u32_e32 v2, s9, v32
	v_add_u32_e32 v4, s11, v32
	v_mul_lo_u32 v2, v2, s8
	v_mul_lo_u32 v4, v4, s10
	v_sub_u32_e32 v2, v2, v4
	v_cmp_lt_u32_e32 vcc, s14, v2
	v_cndmask_b32_e64 v2, 0, 1, vcc
; %bb.13:
	s_or_b64 exec, exec, s[4:5]
	v_add_u32_e32 v4, 1, v36
	v_cmp_gt_u32_e32 vcc, s33, v4
	s_and_saveexec_b64 s[4:5], vcc
; %bb.14:
	v_add_u32_e32 v3, s9, v33
	v_add_u32_e32 v4, s11, v33
	v_mul_lo_u32 v3, v3, s8
	v_mul_lo_u32 v4, v4, s10
	v_sub_u32_e32 v3, v3, v4
	v_cmp_lt_u32_e32 vcc, s14, v3
	v_cndmask_b32_e64 v3, 0, 1, vcc
; %bb.15:
	s_or_b64 exec, exec, s[4:5]
	v_add_u32_e32 v4, 2, v36
	v_cmp_gt_u32_e32 vcc, s33, v4
	v_mov_b32_e32 v5, 0
	v_mov_b32_e32 v4, 0
	s_and_saveexec_b64 s[4:5], vcc
; %bb.16:
	v_add_u32_e32 v4, s9, v30
	v_add_u32_e32 v6, s11, v30
	v_mul_lo_u32 v4, v4, s8
	v_mul_lo_u32 v6, v6, s10
	v_sub_u32_e32 v4, v4, v6
	v_cmp_lt_u32_e32 vcc, s14, v4
	v_cndmask_b32_e64 v4, 0, 1, vcc
; %bb.17:
	s_or_b64 exec, exec, s[4:5]
	v_add_u32_e32 v6, 3, v36
	v_cmp_gt_u32_e32 vcc, s33, v6
	s_and_saveexec_b64 s[4:5], vcc
; %bb.18:
	v_add_u32_e32 v5, s9, v31
	v_add_u32_e32 v6, s11, v31
	v_mul_lo_u32 v5, v5, s8
	v_mul_lo_u32 v6, v6, s10
	v_sub_u32_e32 v5, v5, v6
	v_cmp_lt_u32_e32 vcc, s14, v5
	v_cndmask_b32_e64 v5, 0, 1, vcc
; %bb.19:
	s_or_b64 exec, exec, s[4:5]
	v_add_u32_e32 v6, 4, v36
	;; [unrolled: 28-line block ×6, first 2 shown]
	v_cmp_gt_u32_e32 vcc, s33, v14
	v_mov_b32_e32 v37, 0
	s_and_saveexec_b64 s[4:5], vcc
; %bb.36:
	v_add_u32_e32 v14, s9, v35
	v_add_u32_e32 v15, s11, v35
	v_mul_lo_u32 v14, v14, s8
	v_mul_lo_u32 v15, v15, s10
	v_sub_u32_e32 v14, v14, v15
	v_cmp_lt_u32_e32 vcc, s14, v14
	v_cndmask_b32_e64 v37, 0, 1, vcc
; %bb.37:
	s_or_b64 exec, exec, s[4:5]
	v_lshlrev_b16_e32 v3, 8, v3
	v_or_b32_e32 v2, v2, v3
	v_lshlrev_b16_e32 v3, 8, v5
	v_or_b32_sdwa v3, v4, v3 dst_sel:WORD_1 dst_unused:UNUSED_PAD src0_sel:DWORD src1_sel:DWORD
	v_or_b32_sdwa v40, v2, v3 dst_sel:DWORD dst_unused:UNUSED_PAD src0_sel:WORD_0 src1_sel:DWORD
	v_lshlrev_b16_e32 v2, 8, v7
	v_lshlrev_b16_e32 v3, 8, v9
	v_or_b32_e32 v2, v6, v2
	v_or_b32_sdwa v3, v8, v3 dst_sel:WORD_1 dst_unused:UNUSED_PAD src0_sel:DWORD src1_sel:DWORD
	v_or_b32_sdwa v39, v2, v3 dst_sel:DWORD dst_unused:UNUSED_PAD src0_sel:WORD_0 src1_sel:DWORD
	v_lshlrev_b16_e32 v2, 8, v11
	v_lshlrev_b16_e32 v3, 8, v13
	v_or_b32_e32 v2, v10, v2
	v_or_b32_sdwa v3, v12, v3 dst_sel:WORD_1 dst_unused:UNUSED_PAD src0_sel:DWORD src1_sel:DWORD
	v_or_b32_sdwa v38, v2, v3 dst_sel:DWORD dst_unused:UNUSED_PAD src0_sel:WORD_0 src1_sel:DWORD
.LBB2025_38:
	v_and_b32_e32 v44, 0xff, v40
	v_bfe_u32 v45, v40, 8, 8
	v_bfe_u32 v46, v40, 16, 8
	v_lshrrev_b32_e32 v43, 24, v40
	v_and_b32_e32 v47, 0xff, v39
	v_add3_u32 v3, v45, v44, v46
	v_bfe_u32 v48, v39, 8, 8
	v_bfe_u32 v49, v39, 16, 8
	v_add3_u32 v3, v3, v43, v47
	v_lshrrev_b32_e32 v42, 24, v39
	v_and_b32_e32 v50, 0xff, v38
	v_add3_u32 v3, v3, v48, v49
	v_bfe_u32 v51, v38, 8, 8
	v_bfe_u32 v52, v38, 16, 8
	v_add3_u32 v3, v3, v42, v50
	v_lshrrev_b32_e32 v41, 24, v38
	v_and_b32_e32 v2, 0xff, v37
	v_add3_u32 v3, v3, v51, v52
	v_add3_u32 v55, v3, v41, v2
	v_mbcnt_lo_u32_b32 v2, -1, 0
	v_mbcnt_hi_u32_b32 v53, -1, v2
	v_and_b32_e32 v2, 15, v53
	v_cmp_eq_u32_e64 s[16:17], 0, v2
	v_cmp_lt_u32_e64 s[14:15], 1, v2
	v_cmp_lt_u32_e64 s[12:13], 3, v2
	;; [unrolled: 1-line block ×3, first 2 shown]
	v_and_b32_e32 v2, 16, v53
	v_cmp_eq_u32_e64 s[8:9], 0, v2
	v_or_b32_e32 v2, 63, v0
	s_cmp_lg_u32 s40, 0
	v_cmp_lt_u32_e64 s[4:5], 31, v53
	v_lshrrev_b32_e32 v54, 6, v0
	v_cmp_eq_u32_e64 s[6:7], v2, v0
	s_cbranch_scc0 .LBB2025_69
; %bb.39:
	v_mov_b32_dpp v2, v55 row_shr:1 row_mask:0xf bank_mask:0xf
	v_cndmask_b32_e64 v2, v2, 0, s[16:17]
	v_add_u32_e32 v2, v2, v55
	s_nop 1
	v_mov_b32_dpp v3, v2 row_shr:2 row_mask:0xf bank_mask:0xf
	v_cndmask_b32_e64 v3, 0, v3, s[14:15]
	v_add_u32_e32 v2, v2, v3
	s_nop 1
	v_mov_b32_dpp v3, v2 row_shr:4 row_mask:0xf bank_mask:0xf
	v_cndmask_b32_e64 v3, 0, v3, s[12:13]
	v_add_u32_e32 v2, v2, v3
	s_nop 1
	v_mov_b32_dpp v3, v2 row_shr:8 row_mask:0xf bank_mask:0xf
	v_cndmask_b32_e64 v3, 0, v3, s[10:11]
	v_add_u32_e32 v2, v2, v3
	s_nop 1
	v_mov_b32_dpp v3, v2 row_bcast:15 row_mask:0xf bank_mask:0xf
	v_cndmask_b32_e64 v3, v3, 0, s[8:9]
	v_add_u32_e32 v2, v2, v3
	s_nop 1
	v_mov_b32_dpp v3, v2 row_bcast:31 row_mask:0xf bank_mask:0xf
	v_cndmask_b32_e64 v3, 0, v3, s[4:5]
	v_add_u32_e32 v2, v2, v3
	s_and_saveexec_b64 s[18:19], s[6:7]
	s_cbranch_execz .LBB2025_41
; %bb.40:
	v_lshlrev_b32_e32 v3, 2, v54
	ds_write_b32 v3, v2
.LBB2025_41:
	s_or_b64 exec, exec, s[18:19]
	v_cmp_gt_u32_e32 vcc, 4, v0
	s_waitcnt lgkmcnt(0)
	s_barrier
	s_and_saveexec_b64 s[18:19], vcc
	s_cbranch_execz .LBB2025_43
; %bb.42:
	ds_read_b32 v3, v34
	v_and_b32_e32 v4, 3, v53
	v_cmp_ne_u32_e32 vcc, 0, v4
	s_waitcnt lgkmcnt(0)
	v_mov_b32_dpp v5, v3 row_shr:1 row_mask:0xf bank_mask:0xf
	v_cndmask_b32_e32 v5, 0, v5, vcc
	v_add_u32_e32 v3, v5, v3
	v_cmp_lt_u32_e32 vcc, 1, v4
	s_nop 0
	v_mov_b32_dpp v5, v3 row_shr:2 row_mask:0xf bank_mask:0xf
	v_cndmask_b32_e32 v4, 0, v5, vcc
	v_add_u32_e32 v3, v3, v4
	ds_write_b32 v34, v3
.LBB2025_43:
	s_or_b64 exec, exec, s[18:19]
	v_cmp_gt_u32_e32 vcc, 64, v0
	v_cmp_lt_u32_e64 s[18:19], 63, v0
	s_waitcnt lgkmcnt(0)
	s_barrier
	s_waitcnt lgkmcnt(0)
                                        ; implicit-def: $vgpr12
	s_and_saveexec_b64 s[34:35], s[18:19]
	s_cbranch_execz .LBB2025_45
; %bb.44:
	v_lshl_add_u32 v3, v54, 2, -4
	ds_read_b32 v12, v3
	s_waitcnt lgkmcnt(0)
	v_add_u32_e32 v2, v12, v2
.LBB2025_45:
	s_or_b64 exec, exec, s[34:35]
	v_add_u32_e32 v3, -1, v53
	v_and_b32_e32 v4, 64, v53
	v_cmp_lt_i32_e64 s[18:19], v3, v4
	v_cndmask_b32_e64 v3, v3, v53, s[18:19]
	v_lshlrev_b32_e32 v3, 2, v3
	ds_bpermute_b32 v13, v3, v2
	v_cmp_eq_u32_e64 s[18:19], 0, v53
	s_and_saveexec_b64 s[34:35], vcc
	s_cbranch_execz .LBB2025_68
; %bb.46:
	v_mov_b32_e32 v11, 0
	ds_read_b32 v2, v11 offset:12
	s_and_saveexec_b64 s[36:37], s[18:19]
	s_cbranch_execz .LBB2025_48
; %bb.47:
	s_add_i32 s38, s40, 64
	s_mov_b32 s39, 0
	s_lshl_b64 s[38:39], s[38:39], 3
	s_add_u32 s38, s30, s38
	v_mov_b32_e32 v3, 1
	s_addc_u32 s39, s31, s39
	s_waitcnt lgkmcnt(0)
	global_store_dwordx2 v11, v[2:3], s[38:39]
.LBB2025_48:
	s_or_b64 exec, exec, s[36:37]
	v_xad_u32 v4, v53, -1, s40
	v_add_u32_e32 v10, 64, v4
	v_lshlrev_b64 v[6:7], 3, v[10:11]
	v_mov_b32_e32 v3, s31
	v_add_co_u32_e32 v6, vcc, s30, v6
	v_addc_co_u32_e32 v7, vcc, v3, v7, vcc
	global_load_dwordx2 v[8:9], v[6:7], off glc
	s_waitcnt vmcnt(0)
	v_cmp_eq_u16_sdwa s[38:39], v9, v11 src0_sel:BYTE_0 src1_sel:DWORD
	s_and_saveexec_b64 s[36:37], s[38:39]
	s_cbranch_execz .LBB2025_54
; %bb.49:
	s_mov_b32 s41, 1
	s_mov_b64 s[38:39], 0
	v_mov_b32_e32 v3, 0
.LBB2025_50:                            ; =>This Loop Header: Depth=1
                                        ;     Child Loop BB2025_51 Depth 2
	s_max_u32 s42, s41, 1
.LBB2025_51:                            ;   Parent Loop BB2025_50 Depth=1
                                        ; =>  This Inner Loop Header: Depth=2
	s_add_i32 s42, s42, -1
	s_cmp_eq_u32 s42, 0
	s_sleep 1
	s_cbranch_scc0 .LBB2025_51
; %bb.52:                               ;   in Loop: Header=BB2025_50 Depth=1
	global_load_dwordx2 v[8:9], v[6:7], off glc
	s_cmp_lt_u32 s41, 32
	s_cselect_b64 s[42:43], -1, 0
	s_cmp_lg_u64 s[42:43], 0
	s_addc_u32 s41, s41, 0
	s_waitcnt vmcnt(0)
	v_cmp_ne_u16_sdwa s[42:43], v9, v3 src0_sel:BYTE_0 src1_sel:DWORD
	s_or_b64 s[38:39], s[42:43], s[38:39]
	s_andn2_b64 exec, exec, s[38:39]
	s_cbranch_execnz .LBB2025_50
; %bb.53:
	s_or_b64 exec, exec, s[38:39]
.LBB2025_54:
	s_or_b64 exec, exec, s[36:37]
	v_and_b32_e32 v14, 63, v53
	v_mov_b32_e32 v3, 2
	v_cmp_ne_u32_e32 vcc, 63, v14
	v_cmp_eq_u16_sdwa s[36:37], v9, v3 src0_sel:BYTE_0 src1_sel:DWORD
	v_lshlrev_b64 v[6:7], v53, -1
	v_addc_co_u32_e32 v11, vcc, 0, v53, vcc
	v_and_b32_e32 v5, s37, v7
	v_lshlrev_b32_e32 v15, 2, v11
	v_or_b32_e32 v5, 0x80000000, v5
	ds_bpermute_b32 v11, v15, v8
	v_and_b32_e32 v10, s36, v6
	v_ffbl_b32_e32 v5, v5
	v_add_u32_e32 v5, 32, v5
	v_ffbl_b32_e32 v10, v10
	v_min_u32_e32 v5, v10, v5
	v_cmp_lt_u32_e32 vcc, v14, v5
	s_waitcnt lgkmcnt(0)
	v_cndmask_b32_e32 v10, 0, v11, vcc
	v_cmp_gt_u32_e32 vcc, 62, v14
	v_add_u32_e32 v8, v10, v8
	v_cndmask_b32_e64 v10, 0, 1, vcc
	v_lshlrev_b32_e32 v10, 1, v10
	v_add_lshl_u32 v16, v10, v53, 2
	ds_bpermute_b32 v10, v16, v8
	v_add_u32_e32 v17, 2, v14
	v_cmp_le_u32_e32 vcc, v17, v5
	v_add_u32_e32 v19, 4, v14
	v_add_u32_e32 v57, 8, v14
	s_waitcnt lgkmcnt(0)
	v_cndmask_b32_e32 v10, 0, v10, vcc
	v_cmp_gt_u32_e32 vcc, 60, v14
	v_add_u32_e32 v8, v8, v10
	v_cndmask_b32_e64 v10, 0, 1, vcc
	v_lshlrev_b32_e32 v10, 2, v10
	v_add_lshl_u32 v18, v10, v53, 2
	ds_bpermute_b32 v10, v18, v8
	v_cmp_le_u32_e32 vcc, v19, v5
	v_add_u32_e32 v60, 16, v14
	v_add_u32_e32 v62, 32, v14
	s_waitcnt lgkmcnt(0)
	v_cndmask_b32_e32 v10, 0, v10, vcc
	v_cmp_gt_u32_e32 vcc, 56, v14
	v_add_u32_e32 v8, v8, v10
	v_cndmask_b32_e64 v10, 0, 1, vcc
	v_lshlrev_b32_e32 v10, 3, v10
	v_add_lshl_u32 v56, v10, v53, 2
	ds_bpermute_b32 v10, v56, v8
	v_cmp_le_u32_e32 vcc, v57, v5
	s_waitcnt lgkmcnt(0)
	v_cndmask_b32_e32 v10, 0, v10, vcc
	v_cmp_gt_u32_e32 vcc, 48, v14
	v_add_u32_e32 v8, v8, v10
	v_cndmask_b32_e64 v10, 0, 1, vcc
	v_lshlrev_b32_e32 v10, 4, v10
	v_add_lshl_u32 v59, v10, v53, 2
	ds_bpermute_b32 v10, v59, v8
	v_cmp_le_u32_e32 vcc, v60, v5
	;; [unrolled: 9-line block ×3, first 2 shown]
	s_waitcnt lgkmcnt(0)
	v_cndmask_b32_e32 v5, 0, v10, vcc
	v_add_u32_e32 v8, v8, v5
	v_mov_b32_e32 v5, 0
	s_branch .LBB2025_56
.LBB2025_55:                            ;   in Loop: Header=BB2025_56 Depth=1
	s_or_b64 exec, exec, s[36:37]
	v_cmp_eq_u16_sdwa s[36:37], v9, v3 src0_sel:BYTE_0 src1_sel:DWORD
	v_and_b32_e32 v10, s37, v7
	v_or_b32_e32 v10, 0x80000000, v10
	ds_bpermute_b32 v63, v15, v8
	v_and_b32_e32 v11, s36, v6
	v_ffbl_b32_e32 v10, v10
	v_add_u32_e32 v10, 32, v10
	v_ffbl_b32_e32 v11, v11
	v_min_u32_e32 v10, v11, v10
	v_cmp_lt_u32_e32 vcc, v14, v10
	s_waitcnt lgkmcnt(0)
	v_cndmask_b32_e32 v11, 0, v63, vcc
	v_add_u32_e32 v8, v11, v8
	ds_bpermute_b32 v11, v16, v8
	v_cmp_le_u32_e32 vcc, v17, v10
	v_subrev_u32_e32 v4, 64, v4
	s_waitcnt lgkmcnt(0)
	v_cndmask_b32_e32 v11, 0, v11, vcc
	v_add_u32_e32 v8, v8, v11
	ds_bpermute_b32 v11, v18, v8
	v_cmp_le_u32_e32 vcc, v19, v10
	s_waitcnt lgkmcnt(0)
	v_cndmask_b32_e32 v11, 0, v11, vcc
	v_add_u32_e32 v8, v8, v11
	ds_bpermute_b32 v11, v56, v8
	v_cmp_le_u32_e32 vcc, v57, v10
	s_waitcnt lgkmcnt(0)
	v_cndmask_b32_e32 v11, 0, v11, vcc
	v_add_u32_e32 v8, v8, v11
	ds_bpermute_b32 v11, v59, v8
	v_cmp_le_u32_e32 vcc, v60, v10
	s_waitcnt lgkmcnt(0)
	v_cndmask_b32_e32 v11, 0, v11, vcc
	v_add_u32_e32 v8, v8, v11
	ds_bpermute_b32 v11, v61, v8
	v_cmp_le_u32_e32 vcc, v62, v10
	s_waitcnt lgkmcnt(0)
	v_cndmask_b32_e32 v10, 0, v11, vcc
	v_add3_u32 v8, v10, v58, v8
.LBB2025_56:                            ; =>This Loop Header: Depth=1
                                        ;     Child Loop BB2025_59 Depth 2
                                        ;       Child Loop BB2025_60 Depth 3
	v_cmp_ne_u16_sdwa s[36:37], v9, v3 src0_sel:BYTE_0 src1_sel:DWORD
	v_cndmask_b32_e64 v9, 0, 1, s[36:37]
	;;#ASMSTART
	;;#ASMEND
	v_cmp_ne_u32_e32 vcc, 0, v9
	s_cmp_lg_u64 vcc, exec
	v_mov_b32_e32 v58, v8
	s_cbranch_scc1 .LBB2025_63
; %bb.57:                               ;   in Loop: Header=BB2025_56 Depth=1
	v_lshlrev_b64 v[8:9], 3, v[4:5]
	v_mov_b32_e32 v11, s31
	v_add_co_u32_e32 v10, vcc, s30, v8
	v_addc_co_u32_e32 v11, vcc, v11, v9, vcc
	global_load_dwordx2 v[8:9], v[10:11], off glc
	s_waitcnt vmcnt(0)
	v_cmp_eq_u16_sdwa s[38:39], v9, v5 src0_sel:BYTE_0 src1_sel:DWORD
	s_and_saveexec_b64 s[36:37], s[38:39]
	s_cbranch_execz .LBB2025_55
; %bb.58:                               ;   in Loop: Header=BB2025_56 Depth=1
	s_mov_b32 s41, 1
	s_mov_b64 s[38:39], 0
.LBB2025_59:                            ;   Parent Loop BB2025_56 Depth=1
                                        ; =>  This Loop Header: Depth=2
                                        ;       Child Loop BB2025_60 Depth 3
	s_max_u32 s42, s41, 1
.LBB2025_60:                            ;   Parent Loop BB2025_56 Depth=1
                                        ;     Parent Loop BB2025_59 Depth=2
                                        ; =>    This Inner Loop Header: Depth=3
	s_add_i32 s42, s42, -1
	s_cmp_eq_u32 s42, 0
	s_sleep 1
	s_cbranch_scc0 .LBB2025_60
; %bb.61:                               ;   in Loop: Header=BB2025_59 Depth=2
	global_load_dwordx2 v[8:9], v[10:11], off glc
	s_cmp_lt_u32 s41, 32
	s_cselect_b64 s[42:43], -1, 0
	s_cmp_lg_u64 s[42:43], 0
	s_addc_u32 s41, s41, 0
	s_waitcnt vmcnt(0)
	v_cmp_ne_u16_sdwa s[42:43], v9, v5 src0_sel:BYTE_0 src1_sel:DWORD
	s_or_b64 s[38:39], s[42:43], s[38:39]
	s_andn2_b64 exec, exec, s[38:39]
	s_cbranch_execnz .LBB2025_59
; %bb.62:                               ;   in Loop: Header=BB2025_56 Depth=1
	s_or_b64 exec, exec, s[38:39]
	s_branch .LBB2025_55
.LBB2025_63:                            ;   in Loop: Header=BB2025_56 Depth=1
                                        ; implicit-def: $vgpr8
                                        ; implicit-def: $vgpr9
	s_cbranch_execz .LBB2025_56
; %bb.64:
	s_and_saveexec_b64 s[36:37], s[18:19]
	s_cbranch_execz .LBB2025_66
; %bb.65:
	s_add_i32 s38, s40, 64
	s_mov_b32 s39, 0
	s_lshl_b64 s[38:39], s[38:39], 3
	s_add_u32 s38, s30, s38
	v_add_u32_e32 v4, v58, v2
	v_mov_b32_e32 v5, 2
	s_addc_u32 s39, s31, s39
	v_mov_b32_e32 v3, 0
	global_store_dwordx2 v3, v[4:5], s[38:39]
	s_movk_i32 s38, 0x3400
	v_add_u32_e64 v3, s38, 0
	ds_write2_b32 v3, v2, v58 offset1:2
.LBB2025_66:
	s_or_b64 exec, exec, s[36:37]
	s_and_b64 exec, exec, s[0:1]
	s_cbranch_execz .LBB2025_68
; %bb.67:
	v_mov_b32_e32 v2, 0
	ds_write_b32 v2, v58 offset:12
.LBB2025_68:
	s_or_b64 exec, exec, s[34:35]
	v_mov_b32_e32 v2, 0
	s_waitcnt lgkmcnt(0)
	s_barrier
	ds_read_b32 v2, v2 offset:12
	v_cndmask_b32_e64 v3, v13, v12, s[18:19]
	v_cndmask_b32_e64 v3, v3, 0, s[0:1]
	s_movk_i32 s18, 0x3400
	v_add_u32_e64 v12, s18, 0
	s_waitcnt lgkmcnt(0)
	v_add_u32_e32 v2, v2, v3
	v_add_u32_e32 v3, v2, v44
	;; [unrolled: 1-line block ×9, first 2 shown]
	s_barrier
	ds_read2_b32 v[18:19], v12 offset1:2
	v_add_u32_e32 v11, v10, v50
	v_add_u32_e32 v12, v11, v51
	;; [unrolled: 1-line block ×4, first 2 shown]
	s_branch .LBB2025_79
.LBB2025_69:
                                        ; implicit-def: $vgpr19
                                        ; implicit-def: $vgpr2_vgpr3_vgpr4_vgpr5_vgpr6_vgpr7_vgpr8_vgpr9_vgpr10_vgpr11_vgpr12_vgpr13_vgpr14_vgpr15_vgpr16_vgpr17
	s_cbranch_execz .LBB2025_79
; %bb.70:
	s_nop 0
	v_mov_b32_dpp v2, v55 row_shr:1 row_mask:0xf bank_mask:0xf
	v_cndmask_b32_e64 v2, v2, 0, s[16:17]
	v_add_u32_e32 v2, v2, v55
	s_nop 1
	v_mov_b32_dpp v3, v2 row_shr:2 row_mask:0xf bank_mask:0xf
	v_cndmask_b32_e64 v3, 0, v3, s[14:15]
	v_add_u32_e32 v2, v2, v3
	;; [unrolled: 4-line block ×4, first 2 shown]
	s_nop 1
	v_mov_b32_dpp v3, v2 row_bcast:15 row_mask:0xf bank_mask:0xf
	v_cndmask_b32_e64 v3, v3, 0, s[8:9]
	v_add_u32_e32 v2, v2, v3
	s_nop 1
	v_mov_b32_dpp v3, v2 row_bcast:31 row_mask:0xf bank_mask:0xf
	v_cndmask_b32_e64 v3, 0, v3, s[4:5]
	v_add_u32_e32 v2, v2, v3
	s_and_saveexec_b64 s[4:5], s[6:7]
	s_cbranch_execz .LBB2025_72
; %bb.71:
	v_lshlrev_b32_e32 v3, 2, v54
	ds_write_b32 v3, v2
.LBB2025_72:
	s_or_b64 exec, exec, s[4:5]
	v_cmp_gt_u32_e32 vcc, 4, v0
	s_waitcnt lgkmcnt(0)
	s_barrier
	s_and_saveexec_b64 s[4:5], vcc
	s_cbranch_execz .LBB2025_74
; %bb.73:
	ds_read_b32 v3, v34
	v_and_b32_e32 v4, 3, v53
	v_cmp_ne_u32_e32 vcc, 0, v4
	s_waitcnt lgkmcnt(0)
	v_mov_b32_dpp v5, v3 row_shr:1 row_mask:0xf bank_mask:0xf
	v_cndmask_b32_e32 v5, 0, v5, vcc
	v_add_u32_e32 v3, v5, v3
	v_cmp_lt_u32_e32 vcc, 1, v4
	s_nop 0
	v_mov_b32_dpp v5, v3 row_shr:2 row_mask:0xf bank_mask:0xf
	v_cndmask_b32_e32 v4, 0, v5, vcc
	v_add_u32_e32 v3, v3, v4
	ds_write_b32 v34, v3
.LBB2025_74:
	s_or_b64 exec, exec, s[4:5]
	v_cmp_lt_u32_e32 vcc, 63, v0
	v_mov_b32_e32 v4, 0
	v_mov_b32_e32 v3, 0
	s_waitcnt lgkmcnt(0)
	s_barrier
	s_and_saveexec_b64 s[4:5], vcc
	s_cbranch_execz .LBB2025_76
; %bb.75:
	v_lshl_add_u32 v3, v54, 2, -4
	ds_read_b32 v3, v3
.LBB2025_76:
	s_or_b64 exec, exec, s[4:5]
	v_add_u32_e32 v5, -1, v53
	v_and_b32_e32 v6, 64, v53
	v_cmp_lt_i32_e32 vcc, v5, v6
	v_cndmask_b32_e32 v5, v5, v53, vcc
	s_waitcnt lgkmcnt(0)
	v_add_u32_e32 v2, v3, v2
	v_lshlrev_b32_e32 v5, 2, v5
	ds_bpermute_b32 v2, v5, v2
	ds_read_b32 v18, v4 offset:12
	s_and_saveexec_b64 s[4:5], s[0:1]
	s_cbranch_execz .LBB2025_78
; %bb.77:
	v_mov_b32_e32 v4, 0
	v_mov_b32_e32 v19, 2
	s_waitcnt lgkmcnt(0)
	global_store_dwordx2 v4, v[18:19], s[30:31] offset:512
.LBB2025_78:
	s_or_b64 exec, exec, s[4:5]
	v_cmp_eq_u32_e32 vcc, 0, v53
	s_waitcnt lgkmcnt(1)
	v_cndmask_b32_e32 v2, v2, v3, vcc
	v_cndmask_b32_e64 v2, v2, 0, s[0:1]
	v_add_u32_e32 v3, v2, v44
	v_add_u32_e32 v4, v3, v45
	;; [unrolled: 1-line block ×11, first 2 shown]
	v_mov_b32_e32 v19, 0
	v_add_u32_e32 v14, v13, v41
	s_waitcnt lgkmcnt(0)
	s_barrier
.LBB2025_79:
	s_waitcnt lgkmcnt(0)
	v_add_u32_e32 v36, v18, v36
	v_sub_u32_e32 v2, v2, v19
	v_and_b32_e32 v45, 1, v40
	v_sub_u32_e32 v44, v36, v2
	v_cmp_eq_u32_e32 vcc, 1, v45
	v_cndmask_b32_e32 v2, v44, v2, vcc
	v_lshlrev_b32_e32 v2, 2, v2
	v_lshrrev_b32_e32 v17, 8, v40
	ds_write_b32 v2, v32
	v_sub_u32_e32 v2, v3, v19
	v_sub_u32_e32 v3, v36, v2
	v_and_b32_e32 v17, 1, v17
	v_add_u32_e32 v3, 1, v3
	v_cmp_eq_u32_e32 vcc, 1, v17
	v_cndmask_b32_e32 v2, v3, v2, vcc
	v_lshlrev_b32_e32 v2, 2, v2
	ds_write_b32 v2, v33
	v_sub_u32_e32 v2, v4, v19
	v_mov_b32_e32 v4, 1
	v_sub_u32_e32 v3, v36, v2
	v_and_b32_sdwa v17, v4, v40 dst_sel:DWORD dst_unused:UNUSED_PAD src0_sel:DWORD src1_sel:WORD_1
	v_add_u32_e32 v3, 2, v3
	v_cmp_eq_u32_e32 vcc, 1, v17
	v_cndmask_b32_e32 v2, v3, v2, vcc
	v_lshlrev_b32_e32 v2, 2, v2
	ds_write_b32 v2, v30
	v_sub_u32_e32 v2, v5, v19
	v_sub_u32_e32 v3, v36, v2
	v_and_b32_e32 v5, 1, v43
	v_add_u32_e32 v3, 3, v3
	v_cmp_eq_u32_e32 vcc, 1, v5
	v_cndmask_b32_e32 v2, v3, v2, vcc
	v_lshlrev_b32_e32 v2, 2, v2
	ds_write_b32 v2, v31
	v_sub_u32_e32 v2, v6, v19
	v_sub_u32_e32 v3, v36, v2
	v_and_b32_e32 v5, 1, v39
	v_add_u32_e32 v3, 4, v3
	v_cmp_eq_u32_e32 vcc, 1, v5
	v_cndmask_b32_e32 v2, v3, v2, vcc
	v_lshlrev_b32_e32 v2, 2, v2
	v_lshrrev_b32_e32 v16, 8, v39
	ds_write_b32 v2, v28
	v_sub_u32_e32 v2, v7, v19
	v_sub_u32_e32 v3, v36, v2
	v_and_b32_e32 v5, 1, v16
	v_add_u32_e32 v3, 5, v3
	v_cmp_eq_u32_e32 vcc, 1, v5
	v_cndmask_b32_e32 v2, v3, v2, vcc
	v_lshlrev_b32_e32 v2, 2, v2
	ds_write_b32 v2, v29
	v_sub_u32_e32 v2, v8, v19
	v_sub_u32_e32 v3, v36, v2
	v_and_b32_sdwa v5, v4, v39 dst_sel:DWORD dst_unused:UNUSED_PAD src0_sel:DWORD src1_sel:WORD_1
	v_add_u32_e32 v3, 6, v3
	v_cmp_eq_u32_e32 vcc, 1, v5
	v_cndmask_b32_e32 v2, v3, v2, vcc
	v_lshlrev_b32_e32 v2, 2, v2
	ds_write_b32 v2, v26
	v_sub_u32_e32 v2, v9, v19
	v_sub_u32_e32 v3, v36, v2
	v_and_b32_e32 v5, 1, v42
	v_add_u32_e32 v3, 7, v3
	v_cmp_eq_u32_e32 vcc, 1, v5
	v_cndmask_b32_e32 v2, v3, v2, vcc
	v_lshlrev_b32_e32 v2, 2, v2
	ds_write_b32 v2, v27
	v_sub_u32_e32 v2, v10, v19
	v_sub_u32_e32 v3, v36, v2
	v_and_b32_e32 v5, 1, v38
	v_add_u32_e32 v3, 8, v3
	v_cmp_eq_u32_e32 vcc, 1, v5
	v_cndmask_b32_e32 v2, v3, v2, vcc
	v_lshlrev_b32_e32 v2, 2, v2
	v_lshrrev_b32_e32 v15, 8, v38
	ds_write_b32 v2, v24
	v_sub_u32_e32 v2, v11, v19
	v_sub_u32_e32 v3, v36, v2
	v_and_b32_e32 v5, 1, v15
	v_add_u32_e32 v3, 9, v3
	v_cmp_eq_u32_e32 vcc, 1, v5
	v_cndmask_b32_e32 v2, v3, v2, vcc
	v_lshlrev_b32_e32 v2, 2, v2
	ds_write_b32 v2, v25
	v_sub_u32_e32 v2, v12, v19
	v_sub_u32_e32 v3, v36, v2
	v_and_b32_sdwa v4, v4, v38 dst_sel:DWORD dst_unused:UNUSED_PAD src0_sel:DWORD src1_sel:WORD_1
	v_add_u32_e32 v3, 10, v3
	v_cmp_eq_u32_e32 vcc, 1, v4
	v_cndmask_b32_e32 v2, v3, v2, vcc
	v_lshlrev_b32_e32 v2, 2, v2
	ds_write_b32 v2, v22
	v_sub_u32_e32 v2, v13, v19
	v_sub_u32_e32 v3, v36, v2
	v_and_b32_e32 v4, 1, v41
	v_add_u32_e32 v3, 11, v3
	v_cmp_eq_u32_e32 vcc, 1, v4
	v_cndmask_b32_e32 v2, v3, v2, vcc
	v_lshlrev_b32_e32 v2, 2, v2
	ds_write_b32 v2, v23
	v_sub_u32_e32 v2, v14, v19
	v_sub_u32_e32 v3, v36, v2
	v_and_b32_e32 v4, 1, v37
	v_add_u32_e32 v3, 12, v3
	v_cmp_eq_u32_e32 vcc, 1, v4
	v_cndmask_b32_e32 v2, v3, v2, vcc
	s_waitcnt vmcnt(0)
	v_add_co_u32_e32 v16, vcc, v20, v19
	v_addc_co_u32_e32 v17, vcc, 0, v21, vcc
	v_mov_b32_e32 v14, s29
	v_add_co_u32_e32 v1, vcc, s28, v1
	v_addc_co_u32_e32 v14, vcc, 0, v14, vcc
	v_lshlrev_b32_e32 v2, 2, v2
	v_mov_b32_e32 v15, s27
	v_sub_co_u32_e32 v1, vcc, s26, v1
	ds_write_b32 v2, v35
	s_waitcnt lgkmcnt(0)
	s_barrier
	ds_read2st64_b32 v[12:13], v34 offset1:4
	ds_read2st64_b32 v[10:11], v34 offset0:8 offset1:12
	ds_read2st64_b32 v[8:9], v34 offset0:16 offset1:20
	;; [unrolled: 1-line block ×5, first 2 shown]
	ds_read_b32 v22, v34 offset:12288
	v_subb_co_u32_e32 v14, vcc, v15, v14, vcc
	v_add_co_u32_e32 v1, vcc, v1, v18
	v_addc_co_u32_e32 v14, vcc, 0, v14, vcc
	s_and_b64 vcc, exec, s[2:3]
	v_add_co_u32_e64 v1, s[2:3], v1, v16
	v_or_b32_e32 v35, 0x100, v0
	v_or_b32_e32 v33, 0x200, v0
	;; [unrolled: 1-line block ×12, first 2 shown]
	v_addc_co_u32_e64 v19, s[2:3], v14, v17, s[2:3]
	s_cbranch_vccnz .LBB2025_136
; %bb.80:
	v_cmp_ge_u32_e32 vcc, v0, v18
                                        ; implicit-def: $vgpr14_vgpr15
	s_and_saveexec_b64 s[2:3], vcc
	s_xor_b64 s[2:3], exec, s[2:3]
; %bb.81:
	v_not_b32_e32 v14, v0
	v_ashrrev_i32_e32 v15, 31, v14
	v_add_co_u32_e32 v14, vcc, v1, v14
	v_addc_co_u32_e32 v15, vcc, v19, v15, vcc
; %bb.82:
	s_andn2_saveexec_b64 s[2:3], s[2:3]
; %bb.83:
	v_add_co_u32_e32 v14, vcc, v16, v0
	v_addc_co_u32_e32 v15, vcc, 0, v17, vcc
; %bb.84:
	s_or_b64 exec, exec, s[2:3]
	v_lshlrev_b64 v[14:15], 2, v[14:15]
	v_mov_b32_e32 v20, s25
	v_add_co_u32_e32 v14, vcc, s24, v14
	v_addc_co_u32_e32 v15, vcc, v20, v15, vcc
	v_cmp_ge_u32_e32 vcc, v35, v18
	s_waitcnt lgkmcnt(6)
	global_store_dword v[14:15], v12, off
                                        ; implicit-def: $vgpr14_vgpr15
	s_and_saveexec_b64 s[2:3], vcc
	s_xor_b64 s[2:3], exec, s[2:3]
; %bb.85:
	v_xor_b32_e32 v14, 0xfffffeff, v0
	v_ashrrev_i32_e32 v15, 31, v14
	v_add_co_u32_e32 v14, vcc, v1, v14
	v_addc_co_u32_e32 v15, vcc, v19, v15, vcc
; %bb.86:
	s_andn2_saveexec_b64 s[2:3], s[2:3]
; %bb.87:
	v_add_co_u32_e32 v14, vcc, v16, v35
	v_addc_co_u32_e32 v15, vcc, 0, v17, vcc
; %bb.88:
	s_or_b64 exec, exec, s[2:3]
	v_lshlrev_b64 v[14:15], 2, v[14:15]
	v_mov_b32_e32 v20, s25
	v_add_co_u32_e32 v14, vcc, s24, v14
	v_addc_co_u32_e32 v15, vcc, v20, v15, vcc
	v_cmp_ge_u32_e32 vcc, v33, v18
	global_store_dword v[14:15], v13, off
                                        ; implicit-def: $vgpr14_vgpr15
	s_and_saveexec_b64 s[2:3], vcc
	s_xor_b64 s[2:3], exec, s[2:3]
; %bb.89:
	v_xor_b32_e32 v14, 0xfffffdff, v0
	v_ashrrev_i32_e32 v15, 31, v14
	v_add_co_u32_e32 v14, vcc, v1, v14
	v_addc_co_u32_e32 v15, vcc, v19, v15, vcc
; %bb.90:
	s_andn2_saveexec_b64 s[2:3], s[2:3]
; %bb.91:
	v_add_co_u32_e32 v14, vcc, v16, v33
	v_addc_co_u32_e32 v15, vcc, 0, v17, vcc
; %bb.92:
	s_or_b64 exec, exec, s[2:3]
	v_lshlrev_b64 v[14:15], 2, v[14:15]
	v_mov_b32_e32 v20, s25
	v_add_co_u32_e32 v14, vcc, s24, v14
	v_addc_co_u32_e32 v15, vcc, v20, v15, vcc
	v_cmp_ge_u32_e32 vcc, v32, v18
	s_waitcnt lgkmcnt(5)
	global_store_dword v[14:15], v10, off
                                        ; implicit-def: $vgpr14_vgpr15
	s_and_saveexec_b64 s[2:3], vcc
	s_xor_b64 s[2:3], exec, s[2:3]
; %bb.93:
	v_xor_b32_e32 v14, 0xfffffcff, v0
	v_ashrrev_i32_e32 v15, 31, v14
	v_add_co_u32_e32 v14, vcc, v1, v14
	v_addc_co_u32_e32 v15, vcc, v19, v15, vcc
; %bb.94:
	s_andn2_saveexec_b64 s[2:3], s[2:3]
; %bb.95:
	v_add_co_u32_e32 v14, vcc, v16, v32
	v_addc_co_u32_e32 v15, vcc, 0, v17, vcc
; %bb.96:
	s_or_b64 exec, exec, s[2:3]
	v_lshlrev_b64 v[14:15], 2, v[14:15]
	v_mov_b32_e32 v20, s25
	v_add_co_u32_e32 v14, vcc, s24, v14
	v_addc_co_u32_e32 v15, vcc, v20, v15, vcc
	v_cmp_ge_u32_e32 vcc, v31, v18
	global_store_dword v[14:15], v11, off
                                        ; implicit-def: $vgpr14_vgpr15
	s_and_saveexec_b64 s[2:3], vcc
	s_xor_b64 s[2:3], exec, s[2:3]
; %bb.97:
	v_xor_b32_e32 v14, 0xfffffbff, v0
	v_ashrrev_i32_e32 v15, 31, v14
	v_add_co_u32_e32 v14, vcc, v1, v14
	v_addc_co_u32_e32 v15, vcc, v19, v15, vcc
; %bb.98:
	s_andn2_saveexec_b64 s[2:3], s[2:3]
; %bb.99:
	v_add_co_u32_e32 v14, vcc, v16, v31
	v_addc_co_u32_e32 v15, vcc, 0, v17, vcc
; %bb.100:
	s_or_b64 exec, exec, s[2:3]
	v_lshlrev_b64 v[14:15], 2, v[14:15]
	v_mov_b32_e32 v20, s25
	v_add_co_u32_e32 v14, vcc, s24, v14
	v_addc_co_u32_e32 v15, vcc, v20, v15, vcc
	v_cmp_ge_u32_e32 vcc, v30, v18
	s_waitcnt lgkmcnt(4)
	global_store_dword v[14:15], v8, off
                                        ; implicit-def: $vgpr14_vgpr15
	s_and_saveexec_b64 s[2:3], vcc
	s_xor_b64 s[2:3], exec, s[2:3]
; %bb.101:
	v_xor_b32_e32 v14, 0xfffffaff, v0
	v_ashrrev_i32_e32 v15, 31, v14
	v_add_co_u32_e32 v14, vcc, v1, v14
	v_addc_co_u32_e32 v15, vcc, v19, v15, vcc
; %bb.102:
	s_andn2_saveexec_b64 s[2:3], s[2:3]
; %bb.103:
	v_add_co_u32_e32 v14, vcc, v16, v30
	v_addc_co_u32_e32 v15, vcc, 0, v17, vcc
; %bb.104:
	s_or_b64 exec, exec, s[2:3]
	v_lshlrev_b64 v[14:15], 2, v[14:15]
	v_mov_b32_e32 v20, s25
	v_add_co_u32_e32 v14, vcc, s24, v14
	v_addc_co_u32_e32 v15, vcc, v20, v15, vcc
	v_cmp_ge_u32_e32 vcc, v29, v18
	global_store_dword v[14:15], v9, off
                                        ; implicit-def: $vgpr14_vgpr15
	s_and_saveexec_b64 s[2:3], vcc
	s_xor_b64 s[2:3], exec, s[2:3]
; %bb.105:
	v_xor_b32_e32 v14, 0xfffff9ff, v0
	v_ashrrev_i32_e32 v15, 31, v14
	v_add_co_u32_e32 v14, vcc, v1, v14
	v_addc_co_u32_e32 v15, vcc, v19, v15, vcc
; %bb.106:
	s_andn2_saveexec_b64 s[2:3], s[2:3]
; %bb.107:
	v_add_co_u32_e32 v14, vcc, v16, v29
	v_addc_co_u32_e32 v15, vcc, 0, v17, vcc
; %bb.108:
	s_or_b64 exec, exec, s[2:3]
	v_lshlrev_b64 v[14:15], 2, v[14:15]
	v_mov_b32_e32 v20, s25
	v_add_co_u32_e32 v14, vcc, s24, v14
	v_addc_co_u32_e32 v15, vcc, v20, v15, vcc
	v_cmp_ge_u32_e32 vcc, v28, v18
	s_waitcnt lgkmcnt(3)
	global_store_dword v[14:15], v6, off
                                        ; implicit-def: $vgpr14_vgpr15
	s_and_saveexec_b64 s[2:3], vcc
	s_xor_b64 s[2:3], exec, s[2:3]
; %bb.109:
	v_xor_b32_e32 v14, 0xfffff8ff, v0
	v_ashrrev_i32_e32 v15, 31, v14
	v_add_co_u32_e32 v14, vcc, v1, v14
	v_addc_co_u32_e32 v15, vcc, v19, v15, vcc
; %bb.110:
	s_andn2_saveexec_b64 s[2:3], s[2:3]
; %bb.111:
	v_add_co_u32_e32 v14, vcc, v16, v28
	v_addc_co_u32_e32 v15, vcc, 0, v17, vcc
; %bb.112:
	s_or_b64 exec, exec, s[2:3]
	v_lshlrev_b64 v[14:15], 2, v[14:15]
	v_mov_b32_e32 v20, s25
	v_add_co_u32_e32 v14, vcc, s24, v14
	v_addc_co_u32_e32 v15, vcc, v20, v15, vcc
	v_cmp_ge_u32_e32 vcc, v27, v18
	global_store_dword v[14:15], v7, off
                                        ; implicit-def: $vgpr14_vgpr15
	s_and_saveexec_b64 s[2:3], vcc
	s_xor_b64 s[2:3], exec, s[2:3]
; %bb.113:
	v_xor_b32_e32 v14, 0xfffff7ff, v0
	v_ashrrev_i32_e32 v15, 31, v14
	v_add_co_u32_e32 v14, vcc, v1, v14
	v_addc_co_u32_e32 v15, vcc, v19, v15, vcc
; %bb.114:
	s_andn2_saveexec_b64 s[2:3], s[2:3]
; %bb.115:
	v_add_co_u32_e32 v14, vcc, v16, v27
	v_addc_co_u32_e32 v15, vcc, 0, v17, vcc
; %bb.116:
	s_or_b64 exec, exec, s[2:3]
	v_lshlrev_b64 v[14:15], 2, v[14:15]
	v_mov_b32_e32 v20, s25
	v_add_co_u32_e32 v14, vcc, s24, v14
	v_addc_co_u32_e32 v15, vcc, v20, v15, vcc
	v_cmp_ge_u32_e32 vcc, v26, v18
	s_waitcnt lgkmcnt(2)
	global_store_dword v[14:15], v4, off
                                        ; implicit-def: $vgpr14_vgpr15
	s_and_saveexec_b64 s[2:3], vcc
	s_xor_b64 s[2:3], exec, s[2:3]
; %bb.117:
	v_xor_b32_e32 v14, 0xfffff6ff, v0
	v_ashrrev_i32_e32 v15, 31, v14
	v_add_co_u32_e32 v14, vcc, v1, v14
	v_addc_co_u32_e32 v15, vcc, v19, v15, vcc
; %bb.118:
	s_andn2_saveexec_b64 s[2:3], s[2:3]
; %bb.119:
	v_add_co_u32_e32 v14, vcc, v16, v26
	v_addc_co_u32_e32 v15, vcc, 0, v17, vcc
; %bb.120:
	s_or_b64 exec, exec, s[2:3]
	v_lshlrev_b64 v[14:15], 2, v[14:15]
	v_mov_b32_e32 v20, s25
	v_add_co_u32_e32 v14, vcc, s24, v14
	v_addc_co_u32_e32 v15, vcc, v20, v15, vcc
	v_cmp_ge_u32_e32 vcc, v25, v18
	global_store_dword v[14:15], v5, off
                                        ; implicit-def: $vgpr14_vgpr15
	s_and_saveexec_b64 s[2:3], vcc
	s_xor_b64 s[2:3], exec, s[2:3]
; %bb.121:
	v_xor_b32_e32 v14, 0xfffff5ff, v0
	v_ashrrev_i32_e32 v15, 31, v14
	v_add_co_u32_e32 v14, vcc, v1, v14
	v_addc_co_u32_e32 v15, vcc, v19, v15, vcc
; %bb.122:
	s_andn2_saveexec_b64 s[2:3], s[2:3]
; %bb.123:
	v_add_co_u32_e32 v14, vcc, v16, v25
	v_addc_co_u32_e32 v15, vcc, 0, v17, vcc
; %bb.124:
	s_or_b64 exec, exec, s[2:3]
	v_lshlrev_b64 v[14:15], 2, v[14:15]
	v_mov_b32_e32 v20, s25
	v_add_co_u32_e32 v14, vcc, s24, v14
	v_addc_co_u32_e32 v15, vcc, v20, v15, vcc
	v_cmp_ge_u32_e32 vcc, v24, v18
	s_waitcnt lgkmcnt(1)
	global_store_dword v[14:15], v2, off
                                        ; implicit-def: $vgpr14_vgpr15
	s_and_saveexec_b64 s[2:3], vcc
	s_xor_b64 s[2:3], exec, s[2:3]
; %bb.125:
	v_xor_b32_e32 v14, 0xfffff4ff, v0
	v_ashrrev_i32_e32 v15, 31, v14
	v_add_co_u32_e32 v14, vcc, v1, v14
	v_addc_co_u32_e32 v15, vcc, v19, v15, vcc
; %bb.126:
	s_andn2_saveexec_b64 s[2:3], s[2:3]
; %bb.127:
	v_add_co_u32_e32 v14, vcc, v16, v24
	v_addc_co_u32_e32 v15, vcc, 0, v17, vcc
; %bb.128:
	s_or_b64 exec, exec, s[2:3]
	v_lshlrev_b64 v[14:15], 2, v[14:15]
	v_mov_b32_e32 v20, s25
	v_add_co_u32_e32 v14, vcc, s24, v14
	v_addc_co_u32_e32 v15, vcc, v20, v15, vcc
	v_cmp_ge_u32_e32 vcc, v23, v18
	global_store_dword v[14:15], v3, off
                                        ; implicit-def: $vgpr14_vgpr15
	s_and_saveexec_b64 s[2:3], vcc
	s_xor_b64 s[2:3], exec, s[2:3]
; %bb.129:
	v_xor_b32_e32 v14, 0xfffff3ff, v0
	v_ashrrev_i32_e32 v15, 31, v14
	v_add_co_u32_e32 v14, vcc, v1, v14
	v_addc_co_u32_e32 v15, vcc, v19, v15, vcc
; %bb.130:
	s_andn2_saveexec_b64 s[2:3], s[2:3]
; %bb.131:
	v_add_co_u32_e32 v14, vcc, v16, v23
	v_addc_co_u32_e32 v15, vcc, 0, v17, vcc
; %bb.132:
	s_or_b64 exec, exec, s[2:3]
	s_mov_b64 s[2:3], -1
.LBB2025_133:
	s_and_saveexec_b64 s[4:5], s[2:3]
	s_cbranch_execz .LBB2025_216
.LBB2025_134:
	v_lshlrev_b64 v[0:1], 2, v[14:15]
	s_waitcnt lgkmcnt(1)
	v_mov_b32_e32 v2, s25
	v_add_co_u32_e32 v0, vcc, s24, v0
	v_addc_co_u32_e32 v1, vcc, v2, v1, vcc
	s_waitcnt lgkmcnt(0)
	global_store_dword v[0:1], v22, off
	s_or_b64 exec, exec, s[4:5]
	s_and_b64 s[0:1], s[0:1], s[22:23]
	s_and_saveexec_b64 s[2:3], s[0:1]
	s_cbranch_execnz .LBB2025_217
.LBB2025_135:
	s_endpgm
.LBB2025_136:
	s_mov_b64 s[2:3], 0
                                        ; implicit-def: $vgpr14_vgpr15
	s_cbranch_execz .LBB2025_133
; %bb.137:
	v_cmp_gt_u32_e32 vcc, s33, v0
	s_and_saveexec_b64 s[4:5], vcc
	s_cbranch_execz .LBB2025_173
; %bb.138:
	v_cmp_ge_u32_e32 vcc, v0, v18
                                        ; implicit-def: $vgpr14_vgpr15
	s_and_saveexec_b64 s[6:7], vcc
	s_xor_b64 s[6:7], exec, s[6:7]
; %bb.139:
	v_not_b32_e32 v14, v0
	v_ashrrev_i32_e32 v15, 31, v14
	v_add_co_u32_e32 v14, vcc, v1, v14
	v_addc_co_u32_e32 v15, vcc, v19, v15, vcc
; %bb.140:
	s_andn2_saveexec_b64 s[6:7], s[6:7]
; %bb.141:
	v_add_co_u32_e32 v14, vcc, v16, v0
	v_addc_co_u32_e32 v15, vcc, 0, v17, vcc
; %bb.142:
	s_or_b64 exec, exec, s[6:7]
	v_lshlrev_b64 v[14:15], 2, v[14:15]
	v_mov_b32_e32 v20, s25
	v_add_co_u32_e32 v14, vcc, s24, v14
	v_addc_co_u32_e32 v15, vcc, v20, v15, vcc
	s_waitcnt lgkmcnt(6)
	global_store_dword v[14:15], v12, off
	s_or_b64 exec, exec, s[4:5]
	v_cmp_gt_u32_e32 vcc, s33, v35
	s_and_saveexec_b64 s[4:5], vcc
	s_cbranch_execnz .LBB2025_174
.LBB2025_143:
	s_or_b64 exec, exec, s[4:5]
	v_cmp_gt_u32_e32 vcc, s33, v33
	s_and_saveexec_b64 s[4:5], vcc
	s_cbranch_execz .LBB2025_179
.LBB2025_144:
	v_cmp_ge_u32_e32 vcc, v33, v18
                                        ; implicit-def: $vgpr12_vgpr13
	s_and_saveexec_b64 s[6:7], vcc
	s_xor_b64 s[6:7], exec, s[6:7]
	s_cbranch_execz .LBB2025_146
; %bb.145:
	s_waitcnt lgkmcnt(6)
	v_xor_b32_e32 v12, 0xfffffdff, v0
	v_ashrrev_i32_e32 v13, 31, v12
	v_add_co_u32_e32 v12, vcc, v1, v12
	v_addc_co_u32_e32 v13, vcc, v19, v13, vcc
                                        ; implicit-def: $vgpr33
.LBB2025_146:
	s_andn2_saveexec_b64 s[6:7], s[6:7]
	s_cbranch_execz .LBB2025_148
; %bb.147:
	s_waitcnt lgkmcnt(6)
	v_add_co_u32_e32 v12, vcc, v16, v33
	v_addc_co_u32_e32 v13, vcc, 0, v17, vcc
.LBB2025_148:
	s_or_b64 exec, exec, s[6:7]
	s_waitcnt lgkmcnt(6)
	v_lshlrev_b64 v[12:13], 2, v[12:13]
	v_mov_b32_e32 v14, s25
	v_add_co_u32_e32 v12, vcc, s24, v12
	v_addc_co_u32_e32 v13, vcc, v14, v13, vcc
	s_waitcnt lgkmcnt(5)
	global_store_dword v[12:13], v10, off
	s_or_b64 exec, exec, s[4:5]
	v_cmp_gt_u32_e32 vcc, s33, v32
	s_and_saveexec_b64 s[4:5], vcc
	s_cbranch_execnz .LBB2025_180
.LBB2025_149:
	s_or_b64 exec, exec, s[4:5]
	v_cmp_gt_u32_e32 vcc, s33, v31
	s_and_saveexec_b64 s[4:5], vcc
	s_cbranch_execz .LBB2025_185
.LBB2025_150:
	v_cmp_ge_u32_e32 vcc, v31, v18
                                        ; implicit-def: $vgpr10_vgpr11
	s_and_saveexec_b64 s[6:7], vcc
	s_xor_b64 s[6:7], exec, s[6:7]
	s_cbranch_execz .LBB2025_152
; %bb.151:
	s_waitcnt lgkmcnt(5)
	v_xor_b32_e32 v10, 0xfffffbff, v0
	v_ashrrev_i32_e32 v11, 31, v10
	v_add_co_u32_e32 v10, vcc, v1, v10
	v_addc_co_u32_e32 v11, vcc, v19, v11, vcc
                                        ; implicit-def: $vgpr31
.LBB2025_152:
	s_andn2_saveexec_b64 s[6:7], s[6:7]
	s_cbranch_execz .LBB2025_154
; %bb.153:
	s_waitcnt lgkmcnt(5)
	v_add_co_u32_e32 v10, vcc, v16, v31
	v_addc_co_u32_e32 v11, vcc, 0, v17, vcc
.LBB2025_154:
	s_or_b64 exec, exec, s[6:7]
	s_waitcnt lgkmcnt(5)
	v_lshlrev_b64 v[10:11], 2, v[10:11]
	v_mov_b32_e32 v12, s25
	v_add_co_u32_e32 v10, vcc, s24, v10
	v_addc_co_u32_e32 v11, vcc, v12, v11, vcc
	s_waitcnt lgkmcnt(4)
	global_store_dword v[10:11], v8, off
	s_or_b64 exec, exec, s[4:5]
	v_cmp_gt_u32_e32 vcc, s33, v30
	s_and_saveexec_b64 s[4:5], vcc
	s_cbranch_execnz .LBB2025_186
.LBB2025_155:
	s_or_b64 exec, exec, s[4:5]
	v_cmp_gt_u32_e32 vcc, s33, v29
	s_and_saveexec_b64 s[4:5], vcc
	s_cbranch_execz .LBB2025_191
.LBB2025_156:
	v_cmp_ge_u32_e32 vcc, v29, v18
                                        ; implicit-def: $vgpr8_vgpr9
	s_and_saveexec_b64 s[6:7], vcc
	s_xor_b64 s[6:7], exec, s[6:7]
	s_cbranch_execz .LBB2025_158
; %bb.157:
	s_waitcnt lgkmcnt(4)
	v_xor_b32_e32 v8, 0xfffff9ff, v0
	v_ashrrev_i32_e32 v9, 31, v8
	v_add_co_u32_e32 v8, vcc, v1, v8
	v_addc_co_u32_e32 v9, vcc, v19, v9, vcc
                                        ; implicit-def: $vgpr29
.LBB2025_158:
	s_andn2_saveexec_b64 s[6:7], s[6:7]
	s_cbranch_execz .LBB2025_160
; %bb.159:
	s_waitcnt lgkmcnt(4)
	v_add_co_u32_e32 v8, vcc, v16, v29
	v_addc_co_u32_e32 v9, vcc, 0, v17, vcc
.LBB2025_160:
	s_or_b64 exec, exec, s[6:7]
	s_waitcnt lgkmcnt(4)
	v_lshlrev_b64 v[8:9], 2, v[8:9]
	v_mov_b32_e32 v10, s25
	v_add_co_u32_e32 v8, vcc, s24, v8
	v_addc_co_u32_e32 v9, vcc, v10, v9, vcc
	s_waitcnt lgkmcnt(3)
	global_store_dword v[8:9], v6, off
	s_or_b64 exec, exec, s[4:5]
	v_cmp_gt_u32_e32 vcc, s33, v28
	s_and_saveexec_b64 s[4:5], vcc
	s_cbranch_execnz .LBB2025_192
.LBB2025_161:
	s_or_b64 exec, exec, s[4:5]
	v_cmp_gt_u32_e32 vcc, s33, v27
	s_and_saveexec_b64 s[4:5], vcc
	s_cbranch_execz .LBB2025_197
.LBB2025_162:
	v_cmp_ge_u32_e32 vcc, v27, v18
                                        ; implicit-def: $vgpr6_vgpr7
	s_and_saveexec_b64 s[6:7], vcc
	s_xor_b64 s[6:7], exec, s[6:7]
	s_cbranch_execz .LBB2025_164
; %bb.163:
	s_waitcnt lgkmcnt(3)
	v_xor_b32_e32 v6, 0xfffff7ff, v0
	v_ashrrev_i32_e32 v7, 31, v6
	v_add_co_u32_e32 v6, vcc, v1, v6
	v_addc_co_u32_e32 v7, vcc, v19, v7, vcc
                                        ; implicit-def: $vgpr27
.LBB2025_164:
	s_andn2_saveexec_b64 s[6:7], s[6:7]
	s_cbranch_execz .LBB2025_166
; %bb.165:
	s_waitcnt lgkmcnt(3)
	v_add_co_u32_e32 v6, vcc, v16, v27
	v_addc_co_u32_e32 v7, vcc, 0, v17, vcc
.LBB2025_166:
	s_or_b64 exec, exec, s[6:7]
	s_waitcnt lgkmcnt(3)
	v_lshlrev_b64 v[6:7], 2, v[6:7]
	v_mov_b32_e32 v8, s25
	v_add_co_u32_e32 v6, vcc, s24, v6
	v_addc_co_u32_e32 v7, vcc, v8, v7, vcc
	s_waitcnt lgkmcnt(2)
	global_store_dword v[6:7], v4, off
	s_or_b64 exec, exec, s[4:5]
	v_cmp_gt_u32_e32 vcc, s33, v26
	s_and_saveexec_b64 s[4:5], vcc
	s_cbranch_execnz .LBB2025_198
.LBB2025_167:
	s_or_b64 exec, exec, s[4:5]
	v_cmp_gt_u32_e32 vcc, s33, v25
	s_and_saveexec_b64 s[4:5], vcc
	s_cbranch_execz .LBB2025_203
.LBB2025_168:
	v_cmp_ge_u32_e32 vcc, v25, v18
                                        ; implicit-def: $vgpr4_vgpr5
	s_and_saveexec_b64 s[6:7], vcc
	s_xor_b64 s[6:7], exec, s[6:7]
	s_cbranch_execz .LBB2025_170
; %bb.169:
	s_waitcnt lgkmcnt(2)
	v_xor_b32_e32 v4, 0xfffff5ff, v0
	v_ashrrev_i32_e32 v5, 31, v4
	v_add_co_u32_e32 v4, vcc, v1, v4
	v_addc_co_u32_e32 v5, vcc, v19, v5, vcc
                                        ; implicit-def: $vgpr25
.LBB2025_170:
	s_andn2_saveexec_b64 s[6:7], s[6:7]
	s_cbranch_execz .LBB2025_172
; %bb.171:
	s_waitcnt lgkmcnt(2)
	v_add_co_u32_e32 v4, vcc, v16, v25
	v_addc_co_u32_e32 v5, vcc, 0, v17, vcc
.LBB2025_172:
	s_or_b64 exec, exec, s[6:7]
	s_waitcnt lgkmcnt(2)
	v_lshlrev_b64 v[4:5], 2, v[4:5]
	v_mov_b32_e32 v6, s25
	v_add_co_u32_e32 v4, vcc, s24, v4
	v_addc_co_u32_e32 v5, vcc, v6, v5, vcc
	s_waitcnt lgkmcnt(1)
	global_store_dword v[4:5], v2, off
	s_or_b64 exec, exec, s[4:5]
	v_cmp_gt_u32_e32 vcc, s33, v24
	s_and_saveexec_b64 s[4:5], vcc
	s_cbranch_execz .LBB2025_209
	s_branch .LBB2025_204
.LBB2025_173:
	s_or_b64 exec, exec, s[4:5]
	v_cmp_gt_u32_e32 vcc, s33, v35
	s_and_saveexec_b64 s[4:5], vcc
	s_cbranch_execz .LBB2025_143
.LBB2025_174:
	v_cmp_ge_u32_e32 vcc, v35, v18
                                        ; implicit-def: $vgpr14_vgpr15
	s_and_saveexec_b64 s[6:7], vcc
	s_xor_b64 s[6:7], exec, s[6:7]
	s_cbranch_execz .LBB2025_176
; %bb.175:
	s_waitcnt lgkmcnt(6)
	v_xor_b32_e32 v12, 0xfffffeff, v0
	v_ashrrev_i32_e32 v15, 31, v12
	v_add_co_u32_e32 v14, vcc, v1, v12
	v_addc_co_u32_e32 v15, vcc, v19, v15, vcc
                                        ; implicit-def: $vgpr35
.LBB2025_176:
	s_andn2_saveexec_b64 s[6:7], s[6:7]
; %bb.177:
	v_add_co_u32_e32 v14, vcc, v16, v35
	v_addc_co_u32_e32 v15, vcc, 0, v17, vcc
; %bb.178:
	s_or_b64 exec, exec, s[6:7]
	v_lshlrev_b64 v[14:15], 2, v[14:15]
	s_waitcnt lgkmcnt(6)
	v_mov_b32_e32 v12, s25
	v_add_co_u32_e32 v14, vcc, s24, v14
	v_addc_co_u32_e32 v15, vcc, v12, v15, vcc
	global_store_dword v[14:15], v13, off
	s_or_b64 exec, exec, s[4:5]
	v_cmp_gt_u32_e32 vcc, s33, v33
	s_and_saveexec_b64 s[4:5], vcc
	s_cbranch_execnz .LBB2025_144
.LBB2025_179:
	s_or_b64 exec, exec, s[4:5]
	v_cmp_gt_u32_e32 vcc, s33, v32
	s_and_saveexec_b64 s[4:5], vcc
	s_cbranch_execz .LBB2025_149
.LBB2025_180:
	v_cmp_ge_u32_e32 vcc, v32, v18
                                        ; implicit-def: $vgpr12_vgpr13
	s_and_saveexec_b64 s[6:7], vcc
	s_xor_b64 s[6:7], exec, s[6:7]
	s_cbranch_execz .LBB2025_182
; %bb.181:
	s_waitcnt lgkmcnt(5)
	v_xor_b32_e32 v10, 0xfffffcff, v0
	v_ashrrev_i32_e32 v13, 31, v10
	v_add_co_u32_e32 v12, vcc, v1, v10
	v_addc_co_u32_e32 v13, vcc, v19, v13, vcc
                                        ; implicit-def: $vgpr32
.LBB2025_182:
	s_andn2_saveexec_b64 s[6:7], s[6:7]
	s_cbranch_execz .LBB2025_184
; %bb.183:
	s_waitcnt lgkmcnt(6)
	v_add_co_u32_e32 v12, vcc, v16, v32
	v_addc_co_u32_e32 v13, vcc, 0, v17, vcc
.LBB2025_184:
	s_or_b64 exec, exec, s[6:7]
	s_waitcnt lgkmcnt(6)
	v_lshlrev_b64 v[12:13], 2, v[12:13]
	s_waitcnt lgkmcnt(5)
	v_mov_b32_e32 v10, s25
	v_add_co_u32_e32 v12, vcc, s24, v12
	v_addc_co_u32_e32 v13, vcc, v10, v13, vcc
	global_store_dword v[12:13], v11, off
	s_or_b64 exec, exec, s[4:5]
	v_cmp_gt_u32_e32 vcc, s33, v31
	s_and_saveexec_b64 s[4:5], vcc
	s_cbranch_execnz .LBB2025_150
.LBB2025_185:
	s_or_b64 exec, exec, s[4:5]
	v_cmp_gt_u32_e32 vcc, s33, v30
	s_and_saveexec_b64 s[4:5], vcc
	s_cbranch_execz .LBB2025_155
.LBB2025_186:
	v_cmp_ge_u32_e32 vcc, v30, v18
                                        ; implicit-def: $vgpr10_vgpr11
	s_and_saveexec_b64 s[6:7], vcc
	s_xor_b64 s[6:7], exec, s[6:7]
	s_cbranch_execz .LBB2025_188
; %bb.187:
	s_waitcnt lgkmcnt(4)
	v_xor_b32_e32 v8, 0xfffffaff, v0
	v_ashrrev_i32_e32 v11, 31, v8
	v_add_co_u32_e32 v10, vcc, v1, v8
	v_addc_co_u32_e32 v11, vcc, v19, v11, vcc
                                        ; implicit-def: $vgpr30
.LBB2025_188:
	s_andn2_saveexec_b64 s[6:7], s[6:7]
	s_cbranch_execz .LBB2025_190
; %bb.189:
	s_waitcnt lgkmcnt(5)
	v_add_co_u32_e32 v10, vcc, v16, v30
	v_addc_co_u32_e32 v11, vcc, 0, v17, vcc
.LBB2025_190:
	s_or_b64 exec, exec, s[6:7]
	s_waitcnt lgkmcnt(5)
	v_lshlrev_b64 v[10:11], 2, v[10:11]
	s_waitcnt lgkmcnt(4)
	v_mov_b32_e32 v8, s25
	v_add_co_u32_e32 v10, vcc, s24, v10
	v_addc_co_u32_e32 v11, vcc, v8, v11, vcc
	global_store_dword v[10:11], v9, off
	s_or_b64 exec, exec, s[4:5]
	v_cmp_gt_u32_e32 vcc, s33, v29
	s_and_saveexec_b64 s[4:5], vcc
	s_cbranch_execnz .LBB2025_156
.LBB2025_191:
	s_or_b64 exec, exec, s[4:5]
	v_cmp_gt_u32_e32 vcc, s33, v28
	s_and_saveexec_b64 s[4:5], vcc
	s_cbranch_execz .LBB2025_161
.LBB2025_192:
	v_cmp_ge_u32_e32 vcc, v28, v18
                                        ; implicit-def: $vgpr8_vgpr9
	s_and_saveexec_b64 s[6:7], vcc
	s_xor_b64 s[6:7], exec, s[6:7]
	s_cbranch_execz .LBB2025_194
; %bb.193:
	s_waitcnt lgkmcnt(3)
	v_xor_b32_e32 v6, 0xfffff8ff, v0
	v_ashrrev_i32_e32 v9, 31, v6
	v_add_co_u32_e32 v8, vcc, v1, v6
	v_addc_co_u32_e32 v9, vcc, v19, v9, vcc
                                        ; implicit-def: $vgpr28
.LBB2025_194:
	s_andn2_saveexec_b64 s[6:7], s[6:7]
	s_cbranch_execz .LBB2025_196
; %bb.195:
	s_waitcnt lgkmcnt(4)
	v_add_co_u32_e32 v8, vcc, v16, v28
	v_addc_co_u32_e32 v9, vcc, 0, v17, vcc
.LBB2025_196:
	s_or_b64 exec, exec, s[6:7]
	s_waitcnt lgkmcnt(4)
	v_lshlrev_b64 v[8:9], 2, v[8:9]
	s_waitcnt lgkmcnt(3)
	v_mov_b32_e32 v6, s25
	v_add_co_u32_e32 v8, vcc, s24, v8
	v_addc_co_u32_e32 v9, vcc, v6, v9, vcc
	global_store_dword v[8:9], v7, off
	s_or_b64 exec, exec, s[4:5]
	v_cmp_gt_u32_e32 vcc, s33, v27
	s_and_saveexec_b64 s[4:5], vcc
	s_cbranch_execnz .LBB2025_162
.LBB2025_197:
	s_or_b64 exec, exec, s[4:5]
	v_cmp_gt_u32_e32 vcc, s33, v26
	s_and_saveexec_b64 s[4:5], vcc
	s_cbranch_execz .LBB2025_167
.LBB2025_198:
	v_cmp_ge_u32_e32 vcc, v26, v18
                                        ; implicit-def: $vgpr6_vgpr7
	s_and_saveexec_b64 s[6:7], vcc
	s_xor_b64 s[6:7], exec, s[6:7]
	s_cbranch_execz .LBB2025_200
; %bb.199:
	s_waitcnt lgkmcnt(2)
	v_xor_b32_e32 v4, 0xfffff6ff, v0
	v_ashrrev_i32_e32 v7, 31, v4
	v_add_co_u32_e32 v6, vcc, v1, v4
	v_addc_co_u32_e32 v7, vcc, v19, v7, vcc
                                        ; implicit-def: $vgpr26
.LBB2025_200:
	s_andn2_saveexec_b64 s[6:7], s[6:7]
	s_cbranch_execz .LBB2025_202
; %bb.201:
	s_waitcnt lgkmcnt(3)
	v_add_co_u32_e32 v6, vcc, v16, v26
	v_addc_co_u32_e32 v7, vcc, 0, v17, vcc
.LBB2025_202:
	s_or_b64 exec, exec, s[6:7]
	s_waitcnt lgkmcnt(3)
	v_lshlrev_b64 v[6:7], 2, v[6:7]
	s_waitcnt lgkmcnt(2)
	v_mov_b32_e32 v4, s25
	v_add_co_u32_e32 v6, vcc, s24, v6
	v_addc_co_u32_e32 v7, vcc, v4, v7, vcc
	global_store_dword v[6:7], v5, off
	s_or_b64 exec, exec, s[4:5]
	v_cmp_gt_u32_e32 vcc, s33, v25
	s_and_saveexec_b64 s[4:5], vcc
	s_cbranch_execnz .LBB2025_168
.LBB2025_203:
	s_or_b64 exec, exec, s[4:5]
	v_cmp_gt_u32_e32 vcc, s33, v24
	s_and_saveexec_b64 s[4:5], vcc
	s_cbranch_execz .LBB2025_209
.LBB2025_204:
	v_cmp_ge_u32_e32 vcc, v24, v18
                                        ; implicit-def: $vgpr4_vgpr5
	s_and_saveexec_b64 s[6:7], vcc
	s_xor_b64 s[6:7], exec, s[6:7]
	s_cbranch_execz .LBB2025_206
; %bb.205:
	s_waitcnt lgkmcnt(1)
	v_xor_b32_e32 v2, 0xfffff4ff, v0
	v_ashrrev_i32_e32 v5, 31, v2
	v_add_co_u32_e32 v4, vcc, v1, v2
	v_addc_co_u32_e32 v5, vcc, v19, v5, vcc
                                        ; implicit-def: $vgpr24
.LBB2025_206:
	s_andn2_saveexec_b64 s[6:7], s[6:7]
	s_cbranch_execz .LBB2025_208
; %bb.207:
	s_waitcnt lgkmcnt(2)
	v_add_co_u32_e32 v4, vcc, v16, v24
	v_addc_co_u32_e32 v5, vcc, 0, v17, vcc
.LBB2025_208:
	s_or_b64 exec, exec, s[6:7]
	s_waitcnt lgkmcnt(2)
	v_lshlrev_b64 v[4:5], 2, v[4:5]
	s_waitcnt lgkmcnt(1)
	v_mov_b32_e32 v2, s25
	v_add_co_u32_e32 v4, vcc, s24, v4
	v_addc_co_u32_e32 v5, vcc, v2, v5, vcc
	global_store_dword v[4:5], v3, off
.LBB2025_209:
	s_or_b64 exec, exec, s[4:5]
	v_cmp_gt_u32_e32 vcc, s33, v23
                                        ; implicit-def: $vgpr14_vgpr15
	s_and_saveexec_b64 s[4:5], vcc
	s_cbranch_execz .LBB2025_215
; %bb.210:
	v_cmp_ge_u32_e32 vcc, v23, v18
                                        ; implicit-def: $vgpr14_vgpr15
	s_and_saveexec_b64 s[6:7], vcc
	s_xor_b64 s[6:7], exec, s[6:7]
	s_cbranch_execz .LBB2025_212
; %bb.211:
	v_xor_b32_e32 v0, 0xfffff3ff, v0
	s_waitcnt lgkmcnt(1)
	v_ashrrev_i32_e32 v2, 31, v0
	v_add_co_u32_e32 v14, vcc, v1, v0
	v_addc_co_u32_e32 v15, vcc, v19, v2, vcc
                                        ; implicit-def: $vgpr23
.LBB2025_212:
	s_andn2_saveexec_b64 s[6:7], s[6:7]
; %bb.213:
	v_add_co_u32_e32 v14, vcc, v16, v23
	v_addc_co_u32_e32 v15, vcc, 0, v17, vcc
; %bb.214:
	s_or_b64 exec, exec, s[6:7]
	s_or_b64 s[2:3], s[2:3], exec
.LBB2025_215:
	s_or_b64 exec, exec, s[4:5]
	s_and_saveexec_b64 s[4:5], s[2:3]
	s_cbranch_execnz .LBB2025_134
.LBB2025_216:
	s_or_b64 exec, exec, s[4:5]
	s_and_b64 s[0:1], s[0:1], s[22:23]
	s_and_saveexec_b64 s[2:3], s[0:1]
	s_cbranch_execz .LBB2025_135
.LBB2025_217:
	v_add_co_u32_e32 v0, vcc, v16, v18
	s_waitcnt lgkmcnt(1)
	v_mov_b32_e32 v2, 0
	v_addc_co_u32_e32 v1, vcc, 0, v17, vcc
	global_store_dwordx2 v2, v[0:1], s[20:21]
	s_endpgm
	.section	.rodata,"a",@progbits
	.p2align	6, 0x0
	.amdhsa_kernel _ZN7rocprim17ROCPRIM_400000_NS6detail17trampoline_kernelINS0_13select_configILj256ELj13ELNS0_17block_load_methodE3ELS4_3ELS4_3ELNS0_20block_scan_algorithmE0ELj4294967295EEENS1_25partition_config_selectorILNS1_17partition_subalgoE3EjNS0_10empty_typeEbEEZZNS1_14partition_implILS8_3ELb0ES6_jNS0_17counting_iteratorIjlEEPS9_SE_NS0_5tupleIJPjSE_EEENSF_IJSE_SE_EEES9_SG_JZNS1_25segmented_radix_sort_implINS0_14default_configELb0EPK12hip_bfloat16PSL_PKlPlN2at6native12_GLOBAL__N_18offset_tEEE10hipError_tPvRmT1_PNSt15iterator_traitsISZ_E10value_typeET2_T3_PNS10_IS15_E10value_typeET4_jRbjT5_S1B_jjP12ihipStream_tbEUljE_EEESW_SX_SY_S15_S19_S1B_T6_T7_T9_mT8_S1D_bDpT10_ENKUlT_T0_E_clISt17integral_constantIbLb1EES1Q_EEDaS1L_S1M_EUlS1L_E_NS1_11comp_targetILNS1_3genE4ELNS1_11target_archE910ELNS1_3gpuE8ELNS1_3repE0EEENS1_30default_config_static_selectorELNS0_4arch9wavefront6targetE1EEEvSZ_
		.amdhsa_group_segment_fixed_size 13324
		.amdhsa_private_segment_fixed_size 0
		.amdhsa_kernarg_size 152
		.amdhsa_user_sgpr_count 6
		.amdhsa_user_sgpr_private_segment_buffer 1
		.amdhsa_user_sgpr_dispatch_ptr 0
		.amdhsa_user_sgpr_queue_ptr 0
		.amdhsa_user_sgpr_kernarg_segment_ptr 1
		.amdhsa_user_sgpr_dispatch_id 0
		.amdhsa_user_sgpr_flat_scratch_init 0
		.amdhsa_user_sgpr_kernarg_preload_length 0
		.amdhsa_user_sgpr_kernarg_preload_offset 0
		.amdhsa_user_sgpr_private_segment_size 0
		.amdhsa_uses_dynamic_stack 0
		.amdhsa_system_sgpr_private_segment_wavefront_offset 0
		.amdhsa_system_sgpr_workgroup_id_x 1
		.amdhsa_system_sgpr_workgroup_id_y 0
		.amdhsa_system_sgpr_workgroup_id_z 0
		.amdhsa_system_sgpr_workgroup_info 0
		.amdhsa_system_vgpr_workitem_id 0
		.amdhsa_next_free_vgpr 64
		.amdhsa_next_free_sgpr 44
		.amdhsa_accum_offset 64
		.amdhsa_reserve_vcc 1
		.amdhsa_reserve_flat_scratch 0
		.amdhsa_float_round_mode_32 0
		.amdhsa_float_round_mode_16_64 0
		.amdhsa_float_denorm_mode_32 3
		.amdhsa_float_denorm_mode_16_64 3
		.amdhsa_dx10_clamp 1
		.amdhsa_ieee_mode 1
		.amdhsa_fp16_overflow 0
		.amdhsa_tg_split 0
		.amdhsa_exception_fp_ieee_invalid_op 0
		.amdhsa_exception_fp_denorm_src 0
		.amdhsa_exception_fp_ieee_div_zero 0
		.amdhsa_exception_fp_ieee_overflow 0
		.amdhsa_exception_fp_ieee_underflow 0
		.amdhsa_exception_fp_ieee_inexact 0
		.amdhsa_exception_int_div_zero 0
	.end_amdhsa_kernel
	.section	.text._ZN7rocprim17ROCPRIM_400000_NS6detail17trampoline_kernelINS0_13select_configILj256ELj13ELNS0_17block_load_methodE3ELS4_3ELS4_3ELNS0_20block_scan_algorithmE0ELj4294967295EEENS1_25partition_config_selectorILNS1_17partition_subalgoE3EjNS0_10empty_typeEbEEZZNS1_14partition_implILS8_3ELb0ES6_jNS0_17counting_iteratorIjlEEPS9_SE_NS0_5tupleIJPjSE_EEENSF_IJSE_SE_EEES9_SG_JZNS1_25segmented_radix_sort_implINS0_14default_configELb0EPK12hip_bfloat16PSL_PKlPlN2at6native12_GLOBAL__N_18offset_tEEE10hipError_tPvRmT1_PNSt15iterator_traitsISZ_E10value_typeET2_T3_PNS10_IS15_E10value_typeET4_jRbjT5_S1B_jjP12ihipStream_tbEUljE_EEESW_SX_SY_S15_S19_S1B_T6_T7_T9_mT8_S1D_bDpT10_ENKUlT_T0_E_clISt17integral_constantIbLb1EES1Q_EEDaS1L_S1M_EUlS1L_E_NS1_11comp_targetILNS1_3genE4ELNS1_11target_archE910ELNS1_3gpuE8ELNS1_3repE0EEENS1_30default_config_static_selectorELNS0_4arch9wavefront6targetE1EEEvSZ_,"axG",@progbits,_ZN7rocprim17ROCPRIM_400000_NS6detail17trampoline_kernelINS0_13select_configILj256ELj13ELNS0_17block_load_methodE3ELS4_3ELS4_3ELNS0_20block_scan_algorithmE0ELj4294967295EEENS1_25partition_config_selectorILNS1_17partition_subalgoE3EjNS0_10empty_typeEbEEZZNS1_14partition_implILS8_3ELb0ES6_jNS0_17counting_iteratorIjlEEPS9_SE_NS0_5tupleIJPjSE_EEENSF_IJSE_SE_EEES9_SG_JZNS1_25segmented_radix_sort_implINS0_14default_configELb0EPK12hip_bfloat16PSL_PKlPlN2at6native12_GLOBAL__N_18offset_tEEE10hipError_tPvRmT1_PNSt15iterator_traitsISZ_E10value_typeET2_T3_PNS10_IS15_E10value_typeET4_jRbjT5_S1B_jjP12ihipStream_tbEUljE_EEESW_SX_SY_S15_S19_S1B_T6_T7_T9_mT8_S1D_bDpT10_ENKUlT_T0_E_clISt17integral_constantIbLb1EES1Q_EEDaS1L_S1M_EUlS1L_E_NS1_11comp_targetILNS1_3genE4ELNS1_11target_archE910ELNS1_3gpuE8ELNS1_3repE0EEENS1_30default_config_static_selectorELNS0_4arch9wavefront6targetE1EEEvSZ_,comdat
.Lfunc_end2025:
	.size	_ZN7rocprim17ROCPRIM_400000_NS6detail17trampoline_kernelINS0_13select_configILj256ELj13ELNS0_17block_load_methodE3ELS4_3ELS4_3ELNS0_20block_scan_algorithmE0ELj4294967295EEENS1_25partition_config_selectorILNS1_17partition_subalgoE3EjNS0_10empty_typeEbEEZZNS1_14partition_implILS8_3ELb0ES6_jNS0_17counting_iteratorIjlEEPS9_SE_NS0_5tupleIJPjSE_EEENSF_IJSE_SE_EEES9_SG_JZNS1_25segmented_radix_sort_implINS0_14default_configELb0EPK12hip_bfloat16PSL_PKlPlN2at6native12_GLOBAL__N_18offset_tEEE10hipError_tPvRmT1_PNSt15iterator_traitsISZ_E10value_typeET2_T3_PNS10_IS15_E10value_typeET4_jRbjT5_S1B_jjP12ihipStream_tbEUljE_EEESW_SX_SY_S15_S19_S1B_T6_T7_T9_mT8_S1D_bDpT10_ENKUlT_T0_E_clISt17integral_constantIbLb1EES1Q_EEDaS1L_S1M_EUlS1L_E_NS1_11comp_targetILNS1_3genE4ELNS1_11target_archE910ELNS1_3gpuE8ELNS1_3repE0EEENS1_30default_config_static_selectorELNS0_4arch9wavefront6targetE1EEEvSZ_, .Lfunc_end2025-_ZN7rocprim17ROCPRIM_400000_NS6detail17trampoline_kernelINS0_13select_configILj256ELj13ELNS0_17block_load_methodE3ELS4_3ELS4_3ELNS0_20block_scan_algorithmE0ELj4294967295EEENS1_25partition_config_selectorILNS1_17partition_subalgoE3EjNS0_10empty_typeEbEEZZNS1_14partition_implILS8_3ELb0ES6_jNS0_17counting_iteratorIjlEEPS9_SE_NS0_5tupleIJPjSE_EEENSF_IJSE_SE_EEES9_SG_JZNS1_25segmented_radix_sort_implINS0_14default_configELb0EPK12hip_bfloat16PSL_PKlPlN2at6native12_GLOBAL__N_18offset_tEEE10hipError_tPvRmT1_PNSt15iterator_traitsISZ_E10value_typeET2_T3_PNS10_IS15_E10value_typeET4_jRbjT5_S1B_jjP12ihipStream_tbEUljE_EEESW_SX_SY_S15_S19_S1B_T6_T7_T9_mT8_S1D_bDpT10_ENKUlT_T0_E_clISt17integral_constantIbLb1EES1Q_EEDaS1L_S1M_EUlS1L_E_NS1_11comp_targetILNS1_3genE4ELNS1_11target_archE910ELNS1_3gpuE8ELNS1_3repE0EEENS1_30default_config_static_selectorELNS0_4arch9wavefront6targetE1EEEvSZ_
                                        ; -- End function
	.section	.AMDGPU.csdata,"",@progbits
; Kernel info:
; codeLenInByte = 7896
; NumSgprs: 48
; NumVgprs: 64
; NumAgprs: 0
; TotalNumVgprs: 64
; ScratchSize: 0
; MemoryBound: 0
; FloatMode: 240
; IeeeMode: 1
; LDSByteSize: 13324 bytes/workgroup (compile time only)
; SGPRBlocks: 5
; VGPRBlocks: 7
; NumSGPRsForWavesPerEU: 48
; NumVGPRsForWavesPerEU: 64
; AccumOffset: 64
; Occupancy: 4
; WaveLimiterHint : 0
; COMPUTE_PGM_RSRC2:SCRATCH_EN: 0
; COMPUTE_PGM_RSRC2:USER_SGPR: 6
; COMPUTE_PGM_RSRC2:TRAP_HANDLER: 0
; COMPUTE_PGM_RSRC2:TGID_X_EN: 1
; COMPUTE_PGM_RSRC2:TGID_Y_EN: 0
; COMPUTE_PGM_RSRC2:TGID_Z_EN: 0
; COMPUTE_PGM_RSRC2:TIDIG_COMP_CNT: 0
; COMPUTE_PGM_RSRC3_GFX90A:ACCUM_OFFSET: 15
; COMPUTE_PGM_RSRC3_GFX90A:TG_SPLIT: 0
	.section	.text._ZN7rocprim17ROCPRIM_400000_NS6detail17trampoline_kernelINS0_13select_configILj256ELj13ELNS0_17block_load_methodE3ELS4_3ELS4_3ELNS0_20block_scan_algorithmE0ELj4294967295EEENS1_25partition_config_selectorILNS1_17partition_subalgoE3EjNS0_10empty_typeEbEEZZNS1_14partition_implILS8_3ELb0ES6_jNS0_17counting_iteratorIjlEEPS9_SE_NS0_5tupleIJPjSE_EEENSF_IJSE_SE_EEES9_SG_JZNS1_25segmented_radix_sort_implINS0_14default_configELb0EPK12hip_bfloat16PSL_PKlPlN2at6native12_GLOBAL__N_18offset_tEEE10hipError_tPvRmT1_PNSt15iterator_traitsISZ_E10value_typeET2_T3_PNS10_IS15_E10value_typeET4_jRbjT5_S1B_jjP12ihipStream_tbEUljE_EEESW_SX_SY_S15_S19_S1B_T6_T7_T9_mT8_S1D_bDpT10_ENKUlT_T0_E_clISt17integral_constantIbLb1EES1Q_EEDaS1L_S1M_EUlS1L_E_NS1_11comp_targetILNS1_3genE3ELNS1_11target_archE908ELNS1_3gpuE7ELNS1_3repE0EEENS1_30default_config_static_selectorELNS0_4arch9wavefront6targetE1EEEvSZ_,"axG",@progbits,_ZN7rocprim17ROCPRIM_400000_NS6detail17trampoline_kernelINS0_13select_configILj256ELj13ELNS0_17block_load_methodE3ELS4_3ELS4_3ELNS0_20block_scan_algorithmE0ELj4294967295EEENS1_25partition_config_selectorILNS1_17partition_subalgoE3EjNS0_10empty_typeEbEEZZNS1_14partition_implILS8_3ELb0ES6_jNS0_17counting_iteratorIjlEEPS9_SE_NS0_5tupleIJPjSE_EEENSF_IJSE_SE_EEES9_SG_JZNS1_25segmented_radix_sort_implINS0_14default_configELb0EPK12hip_bfloat16PSL_PKlPlN2at6native12_GLOBAL__N_18offset_tEEE10hipError_tPvRmT1_PNSt15iterator_traitsISZ_E10value_typeET2_T3_PNS10_IS15_E10value_typeET4_jRbjT5_S1B_jjP12ihipStream_tbEUljE_EEESW_SX_SY_S15_S19_S1B_T6_T7_T9_mT8_S1D_bDpT10_ENKUlT_T0_E_clISt17integral_constantIbLb1EES1Q_EEDaS1L_S1M_EUlS1L_E_NS1_11comp_targetILNS1_3genE3ELNS1_11target_archE908ELNS1_3gpuE7ELNS1_3repE0EEENS1_30default_config_static_selectorELNS0_4arch9wavefront6targetE1EEEvSZ_,comdat
	.globl	_ZN7rocprim17ROCPRIM_400000_NS6detail17trampoline_kernelINS0_13select_configILj256ELj13ELNS0_17block_load_methodE3ELS4_3ELS4_3ELNS0_20block_scan_algorithmE0ELj4294967295EEENS1_25partition_config_selectorILNS1_17partition_subalgoE3EjNS0_10empty_typeEbEEZZNS1_14partition_implILS8_3ELb0ES6_jNS0_17counting_iteratorIjlEEPS9_SE_NS0_5tupleIJPjSE_EEENSF_IJSE_SE_EEES9_SG_JZNS1_25segmented_radix_sort_implINS0_14default_configELb0EPK12hip_bfloat16PSL_PKlPlN2at6native12_GLOBAL__N_18offset_tEEE10hipError_tPvRmT1_PNSt15iterator_traitsISZ_E10value_typeET2_T3_PNS10_IS15_E10value_typeET4_jRbjT5_S1B_jjP12ihipStream_tbEUljE_EEESW_SX_SY_S15_S19_S1B_T6_T7_T9_mT8_S1D_bDpT10_ENKUlT_T0_E_clISt17integral_constantIbLb1EES1Q_EEDaS1L_S1M_EUlS1L_E_NS1_11comp_targetILNS1_3genE3ELNS1_11target_archE908ELNS1_3gpuE7ELNS1_3repE0EEENS1_30default_config_static_selectorELNS0_4arch9wavefront6targetE1EEEvSZ_ ; -- Begin function _ZN7rocprim17ROCPRIM_400000_NS6detail17trampoline_kernelINS0_13select_configILj256ELj13ELNS0_17block_load_methodE3ELS4_3ELS4_3ELNS0_20block_scan_algorithmE0ELj4294967295EEENS1_25partition_config_selectorILNS1_17partition_subalgoE3EjNS0_10empty_typeEbEEZZNS1_14partition_implILS8_3ELb0ES6_jNS0_17counting_iteratorIjlEEPS9_SE_NS0_5tupleIJPjSE_EEENSF_IJSE_SE_EEES9_SG_JZNS1_25segmented_radix_sort_implINS0_14default_configELb0EPK12hip_bfloat16PSL_PKlPlN2at6native12_GLOBAL__N_18offset_tEEE10hipError_tPvRmT1_PNSt15iterator_traitsISZ_E10value_typeET2_T3_PNS10_IS15_E10value_typeET4_jRbjT5_S1B_jjP12ihipStream_tbEUljE_EEESW_SX_SY_S15_S19_S1B_T6_T7_T9_mT8_S1D_bDpT10_ENKUlT_T0_E_clISt17integral_constantIbLb1EES1Q_EEDaS1L_S1M_EUlS1L_E_NS1_11comp_targetILNS1_3genE3ELNS1_11target_archE908ELNS1_3gpuE7ELNS1_3repE0EEENS1_30default_config_static_selectorELNS0_4arch9wavefront6targetE1EEEvSZ_
	.p2align	8
	.type	_ZN7rocprim17ROCPRIM_400000_NS6detail17trampoline_kernelINS0_13select_configILj256ELj13ELNS0_17block_load_methodE3ELS4_3ELS4_3ELNS0_20block_scan_algorithmE0ELj4294967295EEENS1_25partition_config_selectorILNS1_17partition_subalgoE3EjNS0_10empty_typeEbEEZZNS1_14partition_implILS8_3ELb0ES6_jNS0_17counting_iteratorIjlEEPS9_SE_NS0_5tupleIJPjSE_EEENSF_IJSE_SE_EEES9_SG_JZNS1_25segmented_radix_sort_implINS0_14default_configELb0EPK12hip_bfloat16PSL_PKlPlN2at6native12_GLOBAL__N_18offset_tEEE10hipError_tPvRmT1_PNSt15iterator_traitsISZ_E10value_typeET2_T3_PNS10_IS15_E10value_typeET4_jRbjT5_S1B_jjP12ihipStream_tbEUljE_EEESW_SX_SY_S15_S19_S1B_T6_T7_T9_mT8_S1D_bDpT10_ENKUlT_T0_E_clISt17integral_constantIbLb1EES1Q_EEDaS1L_S1M_EUlS1L_E_NS1_11comp_targetILNS1_3genE3ELNS1_11target_archE908ELNS1_3gpuE7ELNS1_3repE0EEENS1_30default_config_static_selectorELNS0_4arch9wavefront6targetE1EEEvSZ_,@function
_ZN7rocprim17ROCPRIM_400000_NS6detail17trampoline_kernelINS0_13select_configILj256ELj13ELNS0_17block_load_methodE3ELS4_3ELS4_3ELNS0_20block_scan_algorithmE0ELj4294967295EEENS1_25partition_config_selectorILNS1_17partition_subalgoE3EjNS0_10empty_typeEbEEZZNS1_14partition_implILS8_3ELb0ES6_jNS0_17counting_iteratorIjlEEPS9_SE_NS0_5tupleIJPjSE_EEENSF_IJSE_SE_EEES9_SG_JZNS1_25segmented_radix_sort_implINS0_14default_configELb0EPK12hip_bfloat16PSL_PKlPlN2at6native12_GLOBAL__N_18offset_tEEE10hipError_tPvRmT1_PNSt15iterator_traitsISZ_E10value_typeET2_T3_PNS10_IS15_E10value_typeET4_jRbjT5_S1B_jjP12ihipStream_tbEUljE_EEESW_SX_SY_S15_S19_S1B_T6_T7_T9_mT8_S1D_bDpT10_ENKUlT_T0_E_clISt17integral_constantIbLb1EES1Q_EEDaS1L_S1M_EUlS1L_E_NS1_11comp_targetILNS1_3genE3ELNS1_11target_archE908ELNS1_3gpuE7ELNS1_3repE0EEENS1_30default_config_static_selectorELNS0_4arch9wavefront6targetE1EEEvSZ_: ; @_ZN7rocprim17ROCPRIM_400000_NS6detail17trampoline_kernelINS0_13select_configILj256ELj13ELNS0_17block_load_methodE3ELS4_3ELS4_3ELNS0_20block_scan_algorithmE0ELj4294967295EEENS1_25partition_config_selectorILNS1_17partition_subalgoE3EjNS0_10empty_typeEbEEZZNS1_14partition_implILS8_3ELb0ES6_jNS0_17counting_iteratorIjlEEPS9_SE_NS0_5tupleIJPjSE_EEENSF_IJSE_SE_EEES9_SG_JZNS1_25segmented_radix_sort_implINS0_14default_configELb0EPK12hip_bfloat16PSL_PKlPlN2at6native12_GLOBAL__N_18offset_tEEE10hipError_tPvRmT1_PNSt15iterator_traitsISZ_E10value_typeET2_T3_PNS10_IS15_E10value_typeET4_jRbjT5_S1B_jjP12ihipStream_tbEUljE_EEESW_SX_SY_S15_S19_S1B_T6_T7_T9_mT8_S1D_bDpT10_ENKUlT_T0_E_clISt17integral_constantIbLb1EES1Q_EEDaS1L_S1M_EUlS1L_E_NS1_11comp_targetILNS1_3genE3ELNS1_11target_archE908ELNS1_3gpuE7ELNS1_3repE0EEENS1_30default_config_static_selectorELNS0_4arch9wavefront6targetE1EEEvSZ_
; %bb.0:
	.section	.rodata,"a",@progbits
	.p2align	6, 0x0
	.amdhsa_kernel _ZN7rocprim17ROCPRIM_400000_NS6detail17trampoline_kernelINS0_13select_configILj256ELj13ELNS0_17block_load_methodE3ELS4_3ELS4_3ELNS0_20block_scan_algorithmE0ELj4294967295EEENS1_25partition_config_selectorILNS1_17partition_subalgoE3EjNS0_10empty_typeEbEEZZNS1_14partition_implILS8_3ELb0ES6_jNS0_17counting_iteratorIjlEEPS9_SE_NS0_5tupleIJPjSE_EEENSF_IJSE_SE_EEES9_SG_JZNS1_25segmented_radix_sort_implINS0_14default_configELb0EPK12hip_bfloat16PSL_PKlPlN2at6native12_GLOBAL__N_18offset_tEEE10hipError_tPvRmT1_PNSt15iterator_traitsISZ_E10value_typeET2_T3_PNS10_IS15_E10value_typeET4_jRbjT5_S1B_jjP12ihipStream_tbEUljE_EEESW_SX_SY_S15_S19_S1B_T6_T7_T9_mT8_S1D_bDpT10_ENKUlT_T0_E_clISt17integral_constantIbLb1EES1Q_EEDaS1L_S1M_EUlS1L_E_NS1_11comp_targetILNS1_3genE3ELNS1_11target_archE908ELNS1_3gpuE7ELNS1_3repE0EEENS1_30default_config_static_selectorELNS0_4arch9wavefront6targetE1EEEvSZ_
		.amdhsa_group_segment_fixed_size 0
		.amdhsa_private_segment_fixed_size 0
		.amdhsa_kernarg_size 152
		.amdhsa_user_sgpr_count 6
		.amdhsa_user_sgpr_private_segment_buffer 1
		.amdhsa_user_sgpr_dispatch_ptr 0
		.amdhsa_user_sgpr_queue_ptr 0
		.amdhsa_user_sgpr_kernarg_segment_ptr 1
		.amdhsa_user_sgpr_dispatch_id 0
		.amdhsa_user_sgpr_flat_scratch_init 0
		.amdhsa_user_sgpr_kernarg_preload_length 0
		.amdhsa_user_sgpr_kernarg_preload_offset 0
		.amdhsa_user_sgpr_private_segment_size 0
		.amdhsa_uses_dynamic_stack 0
		.amdhsa_system_sgpr_private_segment_wavefront_offset 0
		.amdhsa_system_sgpr_workgroup_id_x 1
		.amdhsa_system_sgpr_workgroup_id_y 0
		.amdhsa_system_sgpr_workgroup_id_z 0
		.amdhsa_system_sgpr_workgroup_info 0
		.amdhsa_system_vgpr_workitem_id 0
		.amdhsa_next_free_vgpr 1
		.amdhsa_next_free_sgpr 0
		.amdhsa_accum_offset 4
		.amdhsa_reserve_vcc 0
		.amdhsa_reserve_flat_scratch 0
		.amdhsa_float_round_mode_32 0
		.amdhsa_float_round_mode_16_64 0
		.amdhsa_float_denorm_mode_32 3
		.amdhsa_float_denorm_mode_16_64 3
		.amdhsa_dx10_clamp 1
		.amdhsa_ieee_mode 1
		.amdhsa_fp16_overflow 0
		.amdhsa_tg_split 0
		.amdhsa_exception_fp_ieee_invalid_op 0
		.amdhsa_exception_fp_denorm_src 0
		.amdhsa_exception_fp_ieee_div_zero 0
		.amdhsa_exception_fp_ieee_overflow 0
		.amdhsa_exception_fp_ieee_underflow 0
		.amdhsa_exception_fp_ieee_inexact 0
		.amdhsa_exception_int_div_zero 0
	.end_amdhsa_kernel
	.section	.text._ZN7rocprim17ROCPRIM_400000_NS6detail17trampoline_kernelINS0_13select_configILj256ELj13ELNS0_17block_load_methodE3ELS4_3ELS4_3ELNS0_20block_scan_algorithmE0ELj4294967295EEENS1_25partition_config_selectorILNS1_17partition_subalgoE3EjNS0_10empty_typeEbEEZZNS1_14partition_implILS8_3ELb0ES6_jNS0_17counting_iteratorIjlEEPS9_SE_NS0_5tupleIJPjSE_EEENSF_IJSE_SE_EEES9_SG_JZNS1_25segmented_radix_sort_implINS0_14default_configELb0EPK12hip_bfloat16PSL_PKlPlN2at6native12_GLOBAL__N_18offset_tEEE10hipError_tPvRmT1_PNSt15iterator_traitsISZ_E10value_typeET2_T3_PNS10_IS15_E10value_typeET4_jRbjT5_S1B_jjP12ihipStream_tbEUljE_EEESW_SX_SY_S15_S19_S1B_T6_T7_T9_mT8_S1D_bDpT10_ENKUlT_T0_E_clISt17integral_constantIbLb1EES1Q_EEDaS1L_S1M_EUlS1L_E_NS1_11comp_targetILNS1_3genE3ELNS1_11target_archE908ELNS1_3gpuE7ELNS1_3repE0EEENS1_30default_config_static_selectorELNS0_4arch9wavefront6targetE1EEEvSZ_,"axG",@progbits,_ZN7rocprim17ROCPRIM_400000_NS6detail17trampoline_kernelINS0_13select_configILj256ELj13ELNS0_17block_load_methodE3ELS4_3ELS4_3ELNS0_20block_scan_algorithmE0ELj4294967295EEENS1_25partition_config_selectorILNS1_17partition_subalgoE3EjNS0_10empty_typeEbEEZZNS1_14partition_implILS8_3ELb0ES6_jNS0_17counting_iteratorIjlEEPS9_SE_NS0_5tupleIJPjSE_EEENSF_IJSE_SE_EEES9_SG_JZNS1_25segmented_radix_sort_implINS0_14default_configELb0EPK12hip_bfloat16PSL_PKlPlN2at6native12_GLOBAL__N_18offset_tEEE10hipError_tPvRmT1_PNSt15iterator_traitsISZ_E10value_typeET2_T3_PNS10_IS15_E10value_typeET4_jRbjT5_S1B_jjP12ihipStream_tbEUljE_EEESW_SX_SY_S15_S19_S1B_T6_T7_T9_mT8_S1D_bDpT10_ENKUlT_T0_E_clISt17integral_constantIbLb1EES1Q_EEDaS1L_S1M_EUlS1L_E_NS1_11comp_targetILNS1_3genE3ELNS1_11target_archE908ELNS1_3gpuE7ELNS1_3repE0EEENS1_30default_config_static_selectorELNS0_4arch9wavefront6targetE1EEEvSZ_,comdat
.Lfunc_end2026:
	.size	_ZN7rocprim17ROCPRIM_400000_NS6detail17trampoline_kernelINS0_13select_configILj256ELj13ELNS0_17block_load_methodE3ELS4_3ELS4_3ELNS0_20block_scan_algorithmE0ELj4294967295EEENS1_25partition_config_selectorILNS1_17partition_subalgoE3EjNS0_10empty_typeEbEEZZNS1_14partition_implILS8_3ELb0ES6_jNS0_17counting_iteratorIjlEEPS9_SE_NS0_5tupleIJPjSE_EEENSF_IJSE_SE_EEES9_SG_JZNS1_25segmented_radix_sort_implINS0_14default_configELb0EPK12hip_bfloat16PSL_PKlPlN2at6native12_GLOBAL__N_18offset_tEEE10hipError_tPvRmT1_PNSt15iterator_traitsISZ_E10value_typeET2_T3_PNS10_IS15_E10value_typeET4_jRbjT5_S1B_jjP12ihipStream_tbEUljE_EEESW_SX_SY_S15_S19_S1B_T6_T7_T9_mT8_S1D_bDpT10_ENKUlT_T0_E_clISt17integral_constantIbLb1EES1Q_EEDaS1L_S1M_EUlS1L_E_NS1_11comp_targetILNS1_3genE3ELNS1_11target_archE908ELNS1_3gpuE7ELNS1_3repE0EEENS1_30default_config_static_selectorELNS0_4arch9wavefront6targetE1EEEvSZ_, .Lfunc_end2026-_ZN7rocprim17ROCPRIM_400000_NS6detail17trampoline_kernelINS0_13select_configILj256ELj13ELNS0_17block_load_methodE3ELS4_3ELS4_3ELNS0_20block_scan_algorithmE0ELj4294967295EEENS1_25partition_config_selectorILNS1_17partition_subalgoE3EjNS0_10empty_typeEbEEZZNS1_14partition_implILS8_3ELb0ES6_jNS0_17counting_iteratorIjlEEPS9_SE_NS0_5tupleIJPjSE_EEENSF_IJSE_SE_EEES9_SG_JZNS1_25segmented_radix_sort_implINS0_14default_configELb0EPK12hip_bfloat16PSL_PKlPlN2at6native12_GLOBAL__N_18offset_tEEE10hipError_tPvRmT1_PNSt15iterator_traitsISZ_E10value_typeET2_T3_PNS10_IS15_E10value_typeET4_jRbjT5_S1B_jjP12ihipStream_tbEUljE_EEESW_SX_SY_S15_S19_S1B_T6_T7_T9_mT8_S1D_bDpT10_ENKUlT_T0_E_clISt17integral_constantIbLb1EES1Q_EEDaS1L_S1M_EUlS1L_E_NS1_11comp_targetILNS1_3genE3ELNS1_11target_archE908ELNS1_3gpuE7ELNS1_3repE0EEENS1_30default_config_static_selectorELNS0_4arch9wavefront6targetE1EEEvSZ_
                                        ; -- End function
	.section	.AMDGPU.csdata,"",@progbits
; Kernel info:
; codeLenInByte = 0
; NumSgprs: 4
; NumVgprs: 0
; NumAgprs: 0
; TotalNumVgprs: 0
; ScratchSize: 0
; MemoryBound: 0
; FloatMode: 240
; IeeeMode: 1
; LDSByteSize: 0 bytes/workgroup (compile time only)
; SGPRBlocks: 0
; VGPRBlocks: 0
; NumSGPRsForWavesPerEU: 4
; NumVGPRsForWavesPerEU: 1
; AccumOffset: 4
; Occupancy: 8
; WaveLimiterHint : 0
; COMPUTE_PGM_RSRC2:SCRATCH_EN: 0
; COMPUTE_PGM_RSRC2:USER_SGPR: 6
; COMPUTE_PGM_RSRC2:TRAP_HANDLER: 0
; COMPUTE_PGM_RSRC2:TGID_X_EN: 1
; COMPUTE_PGM_RSRC2:TGID_Y_EN: 0
; COMPUTE_PGM_RSRC2:TGID_Z_EN: 0
; COMPUTE_PGM_RSRC2:TIDIG_COMP_CNT: 0
; COMPUTE_PGM_RSRC3_GFX90A:ACCUM_OFFSET: 0
; COMPUTE_PGM_RSRC3_GFX90A:TG_SPLIT: 0
	.section	.text._ZN7rocprim17ROCPRIM_400000_NS6detail17trampoline_kernelINS0_13select_configILj256ELj13ELNS0_17block_load_methodE3ELS4_3ELS4_3ELNS0_20block_scan_algorithmE0ELj4294967295EEENS1_25partition_config_selectorILNS1_17partition_subalgoE3EjNS0_10empty_typeEbEEZZNS1_14partition_implILS8_3ELb0ES6_jNS0_17counting_iteratorIjlEEPS9_SE_NS0_5tupleIJPjSE_EEENSF_IJSE_SE_EEES9_SG_JZNS1_25segmented_radix_sort_implINS0_14default_configELb0EPK12hip_bfloat16PSL_PKlPlN2at6native12_GLOBAL__N_18offset_tEEE10hipError_tPvRmT1_PNSt15iterator_traitsISZ_E10value_typeET2_T3_PNS10_IS15_E10value_typeET4_jRbjT5_S1B_jjP12ihipStream_tbEUljE_EEESW_SX_SY_S15_S19_S1B_T6_T7_T9_mT8_S1D_bDpT10_ENKUlT_T0_E_clISt17integral_constantIbLb1EES1Q_EEDaS1L_S1M_EUlS1L_E_NS1_11comp_targetILNS1_3genE2ELNS1_11target_archE906ELNS1_3gpuE6ELNS1_3repE0EEENS1_30default_config_static_selectorELNS0_4arch9wavefront6targetE1EEEvSZ_,"axG",@progbits,_ZN7rocprim17ROCPRIM_400000_NS6detail17trampoline_kernelINS0_13select_configILj256ELj13ELNS0_17block_load_methodE3ELS4_3ELS4_3ELNS0_20block_scan_algorithmE0ELj4294967295EEENS1_25partition_config_selectorILNS1_17partition_subalgoE3EjNS0_10empty_typeEbEEZZNS1_14partition_implILS8_3ELb0ES6_jNS0_17counting_iteratorIjlEEPS9_SE_NS0_5tupleIJPjSE_EEENSF_IJSE_SE_EEES9_SG_JZNS1_25segmented_radix_sort_implINS0_14default_configELb0EPK12hip_bfloat16PSL_PKlPlN2at6native12_GLOBAL__N_18offset_tEEE10hipError_tPvRmT1_PNSt15iterator_traitsISZ_E10value_typeET2_T3_PNS10_IS15_E10value_typeET4_jRbjT5_S1B_jjP12ihipStream_tbEUljE_EEESW_SX_SY_S15_S19_S1B_T6_T7_T9_mT8_S1D_bDpT10_ENKUlT_T0_E_clISt17integral_constantIbLb1EES1Q_EEDaS1L_S1M_EUlS1L_E_NS1_11comp_targetILNS1_3genE2ELNS1_11target_archE906ELNS1_3gpuE6ELNS1_3repE0EEENS1_30default_config_static_selectorELNS0_4arch9wavefront6targetE1EEEvSZ_,comdat
	.globl	_ZN7rocprim17ROCPRIM_400000_NS6detail17trampoline_kernelINS0_13select_configILj256ELj13ELNS0_17block_load_methodE3ELS4_3ELS4_3ELNS0_20block_scan_algorithmE0ELj4294967295EEENS1_25partition_config_selectorILNS1_17partition_subalgoE3EjNS0_10empty_typeEbEEZZNS1_14partition_implILS8_3ELb0ES6_jNS0_17counting_iteratorIjlEEPS9_SE_NS0_5tupleIJPjSE_EEENSF_IJSE_SE_EEES9_SG_JZNS1_25segmented_radix_sort_implINS0_14default_configELb0EPK12hip_bfloat16PSL_PKlPlN2at6native12_GLOBAL__N_18offset_tEEE10hipError_tPvRmT1_PNSt15iterator_traitsISZ_E10value_typeET2_T3_PNS10_IS15_E10value_typeET4_jRbjT5_S1B_jjP12ihipStream_tbEUljE_EEESW_SX_SY_S15_S19_S1B_T6_T7_T9_mT8_S1D_bDpT10_ENKUlT_T0_E_clISt17integral_constantIbLb1EES1Q_EEDaS1L_S1M_EUlS1L_E_NS1_11comp_targetILNS1_3genE2ELNS1_11target_archE906ELNS1_3gpuE6ELNS1_3repE0EEENS1_30default_config_static_selectorELNS0_4arch9wavefront6targetE1EEEvSZ_ ; -- Begin function _ZN7rocprim17ROCPRIM_400000_NS6detail17trampoline_kernelINS0_13select_configILj256ELj13ELNS0_17block_load_methodE3ELS4_3ELS4_3ELNS0_20block_scan_algorithmE0ELj4294967295EEENS1_25partition_config_selectorILNS1_17partition_subalgoE3EjNS0_10empty_typeEbEEZZNS1_14partition_implILS8_3ELb0ES6_jNS0_17counting_iteratorIjlEEPS9_SE_NS0_5tupleIJPjSE_EEENSF_IJSE_SE_EEES9_SG_JZNS1_25segmented_radix_sort_implINS0_14default_configELb0EPK12hip_bfloat16PSL_PKlPlN2at6native12_GLOBAL__N_18offset_tEEE10hipError_tPvRmT1_PNSt15iterator_traitsISZ_E10value_typeET2_T3_PNS10_IS15_E10value_typeET4_jRbjT5_S1B_jjP12ihipStream_tbEUljE_EEESW_SX_SY_S15_S19_S1B_T6_T7_T9_mT8_S1D_bDpT10_ENKUlT_T0_E_clISt17integral_constantIbLb1EES1Q_EEDaS1L_S1M_EUlS1L_E_NS1_11comp_targetILNS1_3genE2ELNS1_11target_archE906ELNS1_3gpuE6ELNS1_3repE0EEENS1_30default_config_static_selectorELNS0_4arch9wavefront6targetE1EEEvSZ_
	.p2align	8
	.type	_ZN7rocprim17ROCPRIM_400000_NS6detail17trampoline_kernelINS0_13select_configILj256ELj13ELNS0_17block_load_methodE3ELS4_3ELS4_3ELNS0_20block_scan_algorithmE0ELj4294967295EEENS1_25partition_config_selectorILNS1_17partition_subalgoE3EjNS0_10empty_typeEbEEZZNS1_14partition_implILS8_3ELb0ES6_jNS0_17counting_iteratorIjlEEPS9_SE_NS0_5tupleIJPjSE_EEENSF_IJSE_SE_EEES9_SG_JZNS1_25segmented_radix_sort_implINS0_14default_configELb0EPK12hip_bfloat16PSL_PKlPlN2at6native12_GLOBAL__N_18offset_tEEE10hipError_tPvRmT1_PNSt15iterator_traitsISZ_E10value_typeET2_T3_PNS10_IS15_E10value_typeET4_jRbjT5_S1B_jjP12ihipStream_tbEUljE_EEESW_SX_SY_S15_S19_S1B_T6_T7_T9_mT8_S1D_bDpT10_ENKUlT_T0_E_clISt17integral_constantIbLb1EES1Q_EEDaS1L_S1M_EUlS1L_E_NS1_11comp_targetILNS1_3genE2ELNS1_11target_archE906ELNS1_3gpuE6ELNS1_3repE0EEENS1_30default_config_static_selectorELNS0_4arch9wavefront6targetE1EEEvSZ_,@function
_ZN7rocprim17ROCPRIM_400000_NS6detail17trampoline_kernelINS0_13select_configILj256ELj13ELNS0_17block_load_methodE3ELS4_3ELS4_3ELNS0_20block_scan_algorithmE0ELj4294967295EEENS1_25partition_config_selectorILNS1_17partition_subalgoE3EjNS0_10empty_typeEbEEZZNS1_14partition_implILS8_3ELb0ES6_jNS0_17counting_iteratorIjlEEPS9_SE_NS0_5tupleIJPjSE_EEENSF_IJSE_SE_EEES9_SG_JZNS1_25segmented_radix_sort_implINS0_14default_configELb0EPK12hip_bfloat16PSL_PKlPlN2at6native12_GLOBAL__N_18offset_tEEE10hipError_tPvRmT1_PNSt15iterator_traitsISZ_E10value_typeET2_T3_PNS10_IS15_E10value_typeET4_jRbjT5_S1B_jjP12ihipStream_tbEUljE_EEESW_SX_SY_S15_S19_S1B_T6_T7_T9_mT8_S1D_bDpT10_ENKUlT_T0_E_clISt17integral_constantIbLb1EES1Q_EEDaS1L_S1M_EUlS1L_E_NS1_11comp_targetILNS1_3genE2ELNS1_11target_archE906ELNS1_3gpuE6ELNS1_3repE0EEENS1_30default_config_static_selectorELNS0_4arch9wavefront6targetE1EEEvSZ_: ; @_ZN7rocprim17ROCPRIM_400000_NS6detail17trampoline_kernelINS0_13select_configILj256ELj13ELNS0_17block_load_methodE3ELS4_3ELS4_3ELNS0_20block_scan_algorithmE0ELj4294967295EEENS1_25partition_config_selectorILNS1_17partition_subalgoE3EjNS0_10empty_typeEbEEZZNS1_14partition_implILS8_3ELb0ES6_jNS0_17counting_iteratorIjlEEPS9_SE_NS0_5tupleIJPjSE_EEENSF_IJSE_SE_EEES9_SG_JZNS1_25segmented_radix_sort_implINS0_14default_configELb0EPK12hip_bfloat16PSL_PKlPlN2at6native12_GLOBAL__N_18offset_tEEE10hipError_tPvRmT1_PNSt15iterator_traitsISZ_E10value_typeET2_T3_PNS10_IS15_E10value_typeET4_jRbjT5_S1B_jjP12ihipStream_tbEUljE_EEESW_SX_SY_S15_S19_S1B_T6_T7_T9_mT8_S1D_bDpT10_ENKUlT_T0_E_clISt17integral_constantIbLb1EES1Q_EEDaS1L_S1M_EUlS1L_E_NS1_11comp_targetILNS1_3genE2ELNS1_11target_archE906ELNS1_3gpuE6ELNS1_3repE0EEENS1_30default_config_static_selectorELNS0_4arch9wavefront6targetE1EEEvSZ_
; %bb.0:
	.section	.rodata,"a",@progbits
	.p2align	6, 0x0
	.amdhsa_kernel _ZN7rocprim17ROCPRIM_400000_NS6detail17trampoline_kernelINS0_13select_configILj256ELj13ELNS0_17block_load_methodE3ELS4_3ELS4_3ELNS0_20block_scan_algorithmE0ELj4294967295EEENS1_25partition_config_selectorILNS1_17partition_subalgoE3EjNS0_10empty_typeEbEEZZNS1_14partition_implILS8_3ELb0ES6_jNS0_17counting_iteratorIjlEEPS9_SE_NS0_5tupleIJPjSE_EEENSF_IJSE_SE_EEES9_SG_JZNS1_25segmented_radix_sort_implINS0_14default_configELb0EPK12hip_bfloat16PSL_PKlPlN2at6native12_GLOBAL__N_18offset_tEEE10hipError_tPvRmT1_PNSt15iterator_traitsISZ_E10value_typeET2_T3_PNS10_IS15_E10value_typeET4_jRbjT5_S1B_jjP12ihipStream_tbEUljE_EEESW_SX_SY_S15_S19_S1B_T6_T7_T9_mT8_S1D_bDpT10_ENKUlT_T0_E_clISt17integral_constantIbLb1EES1Q_EEDaS1L_S1M_EUlS1L_E_NS1_11comp_targetILNS1_3genE2ELNS1_11target_archE906ELNS1_3gpuE6ELNS1_3repE0EEENS1_30default_config_static_selectorELNS0_4arch9wavefront6targetE1EEEvSZ_
		.amdhsa_group_segment_fixed_size 0
		.amdhsa_private_segment_fixed_size 0
		.amdhsa_kernarg_size 152
		.amdhsa_user_sgpr_count 6
		.amdhsa_user_sgpr_private_segment_buffer 1
		.amdhsa_user_sgpr_dispatch_ptr 0
		.amdhsa_user_sgpr_queue_ptr 0
		.amdhsa_user_sgpr_kernarg_segment_ptr 1
		.amdhsa_user_sgpr_dispatch_id 0
		.amdhsa_user_sgpr_flat_scratch_init 0
		.amdhsa_user_sgpr_kernarg_preload_length 0
		.amdhsa_user_sgpr_kernarg_preload_offset 0
		.amdhsa_user_sgpr_private_segment_size 0
		.amdhsa_uses_dynamic_stack 0
		.amdhsa_system_sgpr_private_segment_wavefront_offset 0
		.amdhsa_system_sgpr_workgroup_id_x 1
		.amdhsa_system_sgpr_workgroup_id_y 0
		.amdhsa_system_sgpr_workgroup_id_z 0
		.amdhsa_system_sgpr_workgroup_info 0
		.amdhsa_system_vgpr_workitem_id 0
		.amdhsa_next_free_vgpr 1
		.amdhsa_next_free_sgpr 0
		.amdhsa_accum_offset 4
		.amdhsa_reserve_vcc 0
		.amdhsa_reserve_flat_scratch 0
		.amdhsa_float_round_mode_32 0
		.amdhsa_float_round_mode_16_64 0
		.amdhsa_float_denorm_mode_32 3
		.amdhsa_float_denorm_mode_16_64 3
		.amdhsa_dx10_clamp 1
		.amdhsa_ieee_mode 1
		.amdhsa_fp16_overflow 0
		.amdhsa_tg_split 0
		.amdhsa_exception_fp_ieee_invalid_op 0
		.amdhsa_exception_fp_denorm_src 0
		.amdhsa_exception_fp_ieee_div_zero 0
		.amdhsa_exception_fp_ieee_overflow 0
		.amdhsa_exception_fp_ieee_underflow 0
		.amdhsa_exception_fp_ieee_inexact 0
		.amdhsa_exception_int_div_zero 0
	.end_amdhsa_kernel
	.section	.text._ZN7rocprim17ROCPRIM_400000_NS6detail17trampoline_kernelINS0_13select_configILj256ELj13ELNS0_17block_load_methodE3ELS4_3ELS4_3ELNS0_20block_scan_algorithmE0ELj4294967295EEENS1_25partition_config_selectorILNS1_17partition_subalgoE3EjNS0_10empty_typeEbEEZZNS1_14partition_implILS8_3ELb0ES6_jNS0_17counting_iteratorIjlEEPS9_SE_NS0_5tupleIJPjSE_EEENSF_IJSE_SE_EEES9_SG_JZNS1_25segmented_radix_sort_implINS0_14default_configELb0EPK12hip_bfloat16PSL_PKlPlN2at6native12_GLOBAL__N_18offset_tEEE10hipError_tPvRmT1_PNSt15iterator_traitsISZ_E10value_typeET2_T3_PNS10_IS15_E10value_typeET4_jRbjT5_S1B_jjP12ihipStream_tbEUljE_EEESW_SX_SY_S15_S19_S1B_T6_T7_T9_mT8_S1D_bDpT10_ENKUlT_T0_E_clISt17integral_constantIbLb1EES1Q_EEDaS1L_S1M_EUlS1L_E_NS1_11comp_targetILNS1_3genE2ELNS1_11target_archE906ELNS1_3gpuE6ELNS1_3repE0EEENS1_30default_config_static_selectorELNS0_4arch9wavefront6targetE1EEEvSZ_,"axG",@progbits,_ZN7rocprim17ROCPRIM_400000_NS6detail17trampoline_kernelINS0_13select_configILj256ELj13ELNS0_17block_load_methodE3ELS4_3ELS4_3ELNS0_20block_scan_algorithmE0ELj4294967295EEENS1_25partition_config_selectorILNS1_17partition_subalgoE3EjNS0_10empty_typeEbEEZZNS1_14partition_implILS8_3ELb0ES6_jNS0_17counting_iteratorIjlEEPS9_SE_NS0_5tupleIJPjSE_EEENSF_IJSE_SE_EEES9_SG_JZNS1_25segmented_radix_sort_implINS0_14default_configELb0EPK12hip_bfloat16PSL_PKlPlN2at6native12_GLOBAL__N_18offset_tEEE10hipError_tPvRmT1_PNSt15iterator_traitsISZ_E10value_typeET2_T3_PNS10_IS15_E10value_typeET4_jRbjT5_S1B_jjP12ihipStream_tbEUljE_EEESW_SX_SY_S15_S19_S1B_T6_T7_T9_mT8_S1D_bDpT10_ENKUlT_T0_E_clISt17integral_constantIbLb1EES1Q_EEDaS1L_S1M_EUlS1L_E_NS1_11comp_targetILNS1_3genE2ELNS1_11target_archE906ELNS1_3gpuE6ELNS1_3repE0EEENS1_30default_config_static_selectorELNS0_4arch9wavefront6targetE1EEEvSZ_,comdat
.Lfunc_end2027:
	.size	_ZN7rocprim17ROCPRIM_400000_NS6detail17trampoline_kernelINS0_13select_configILj256ELj13ELNS0_17block_load_methodE3ELS4_3ELS4_3ELNS0_20block_scan_algorithmE0ELj4294967295EEENS1_25partition_config_selectorILNS1_17partition_subalgoE3EjNS0_10empty_typeEbEEZZNS1_14partition_implILS8_3ELb0ES6_jNS0_17counting_iteratorIjlEEPS9_SE_NS0_5tupleIJPjSE_EEENSF_IJSE_SE_EEES9_SG_JZNS1_25segmented_radix_sort_implINS0_14default_configELb0EPK12hip_bfloat16PSL_PKlPlN2at6native12_GLOBAL__N_18offset_tEEE10hipError_tPvRmT1_PNSt15iterator_traitsISZ_E10value_typeET2_T3_PNS10_IS15_E10value_typeET4_jRbjT5_S1B_jjP12ihipStream_tbEUljE_EEESW_SX_SY_S15_S19_S1B_T6_T7_T9_mT8_S1D_bDpT10_ENKUlT_T0_E_clISt17integral_constantIbLb1EES1Q_EEDaS1L_S1M_EUlS1L_E_NS1_11comp_targetILNS1_3genE2ELNS1_11target_archE906ELNS1_3gpuE6ELNS1_3repE0EEENS1_30default_config_static_selectorELNS0_4arch9wavefront6targetE1EEEvSZ_, .Lfunc_end2027-_ZN7rocprim17ROCPRIM_400000_NS6detail17trampoline_kernelINS0_13select_configILj256ELj13ELNS0_17block_load_methodE3ELS4_3ELS4_3ELNS0_20block_scan_algorithmE0ELj4294967295EEENS1_25partition_config_selectorILNS1_17partition_subalgoE3EjNS0_10empty_typeEbEEZZNS1_14partition_implILS8_3ELb0ES6_jNS0_17counting_iteratorIjlEEPS9_SE_NS0_5tupleIJPjSE_EEENSF_IJSE_SE_EEES9_SG_JZNS1_25segmented_radix_sort_implINS0_14default_configELb0EPK12hip_bfloat16PSL_PKlPlN2at6native12_GLOBAL__N_18offset_tEEE10hipError_tPvRmT1_PNSt15iterator_traitsISZ_E10value_typeET2_T3_PNS10_IS15_E10value_typeET4_jRbjT5_S1B_jjP12ihipStream_tbEUljE_EEESW_SX_SY_S15_S19_S1B_T6_T7_T9_mT8_S1D_bDpT10_ENKUlT_T0_E_clISt17integral_constantIbLb1EES1Q_EEDaS1L_S1M_EUlS1L_E_NS1_11comp_targetILNS1_3genE2ELNS1_11target_archE906ELNS1_3gpuE6ELNS1_3repE0EEENS1_30default_config_static_selectorELNS0_4arch9wavefront6targetE1EEEvSZ_
                                        ; -- End function
	.section	.AMDGPU.csdata,"",@progbits
; Kernel info:
; codeLenInByte = 0
; NumSgprs: 4
; NumVgprs: 0
; NumAgprs: 0
; TotalNumVgprs: 0
; ScratchSize: 0
; MemoryBound: 0
; FloatMode: 240
; IeeeMode: 1
; LDSByteSize: 0 bytes/workgroup (compile time only)
; SGPRBlocks: 0
; VGPRBlocks: 0
; NumSGPRsForWavesPerEU: 4
; NumVGPRsForWavesPerEU: 1
; AccumOffset: 4
; Occupancy: 8
; WaveLimiterHint : 0
; COMPUTE_PGM_RSRC2:SCRATCH_EN: 0
; COMPUTE_PGM_RSRC2:USER_SGPR: 6
; COMPUTE_PGM_RSRC2:TRAP_HANDLER: 0
; COMPUTE_PGM_RSRC2:TGID_X_EN: 1
; COMPUTE_PGM_RSRC2:TGID_Y_EN: 0
; COMPUTE_PGM_RSRC2:TGID_Z_EN: 0
; COMPUTE_PGM_RSRC2:TIDIG_COMP_CNT: 0
; COMPUTE_PGM_RSRC3_GFX90A:ACCUM_OFFSET: 0
; COMPUTE_PGM_RSRC3_GFX90A:TG_SPLIT: 0
	.section	.text._ZN7rocprim17ROCPRIM_400000_NS6detail17trampoline_kernelINS0_13select_configILj256ELj13ELNS0_17block_load_methodE3ELS4_3ELS4_3ELNS0_20block_scan_algorithmE0ELj4294967295EEENS1_25partition_config_selectorILNS1_17partition_subalgoE3EjNS0_10empty_typeEbEEZZNS1_14partition_implILS8_3ELb0ES6_jNS0_17counting_iteratorIjlEEPS9_SE_NS0_5tupleIJPjSE_EEENSF_IJSE_SE_EEES9_SG_JZNS1_25segmented_radix_sort_implINS0_14default_configELb0EPK12hip_bfloat16PSL_PKlPlN2at6native12_GLOBAL__N_18offset_tEEE10hipError_tPvRmT1_PNSt15iterator_traitsISZ_E10value_typeET2_T3_PNS10_IS15_E10value_typeET4_jRbjT5_S1B_jjP12ihipStream_tbEUljE_EEESW_SX_SY_S15_S19_S1B_T6_T7_T9_mT8_S1D_bDpT10_ENKUlT_T0_E_clISt17integral_constantIbLb1EES1Q_EEDaS1L_S1M_EUlS1L_E_NS1_11comp_targetILNS1_3genE10ELNS1_11target_archE1200ELNS1_3gpuE4ELNS1_3repE0EEENS1_30default_config_static_selectorELNS0_4arch9wavefront6targetE1EEEvSZ_,"axG",@progbits,_ZN7rocprim17ROCPRIM_400000_NS6detail17trampoline_kernelINS0_13select_configILj256ELj13ELNS0_17block_load_methodE3ELS4_3ELS4_3ELNS0_20block_scan_algorithmE0ELj4294967295EEENS1_25partition_config_selectorILNS1_17partition_subalgoE3EjNS0_10empty_typeEbEEZZNS1_14partition_implILS8_3ELb0ES6_jNS0_17counting_iteratorIjlEEPS9_SE_NS0_5tupleIJPjSE_EEENSF_IJSE_SE_EEES9_SG_JZNS1_25segmented_radix_sort_implINS0_14default_configELb0EPK12hip_bfloat16PSL_PKlPlN2at6native12_GLOBAL__N_18offset_tEEE10hipError_tPvRmT1_PNSt15iterator_traitsISZ_E10value_typeET2_T3_PNS10_IS15_E10value_typeET4_jRbjT5_S1B_jjP12ihipStream_tbEUljE_EEESW_SX_SY_S15_S19_S1B_T6_T7_T9_mT8_S1D_bDpT10_ENKUlT_T0_E_clISt17integral_constantIbLb1EES1Q_EEDaS1L_S1M_EUlS1L_E_NS1_11comp_targetILNS1_3genE10ELNS1_11target_archE1200ELNS1_3gpuE4ELNS1_3repE0EEENS1_30default_config_static_selectorELNS0_4arch9wavefront6targetE1EEEvSZ_,comdat
	.globl	_ZN7rocprim17ROCPRIM_400000_NS6detail17trampoline_kernelINS0_13select_configILj256ELj13ELNS0_17block_load_methodE3ELS4_3ELS4_3ELNS0_20block_scan_algorithmE0ELj4294967295EEENS1_25partition_config_selectorILNS1_17partition_subalgoE3EjNS0_10empty_typeEbEEZZNS1_14partition_implILS8_3ELb0ES6_jNS0_17counting_iteratorIjlEEPS9_SE_NS0_5tupleIJPjSE_EEENSF_IJSE_SE_EEES9_SG_JZNS1_25segmented_radix_sort_implINS0_14default_configELb0EPK12hip_bfloat16PSL_PKlPlN2at6native12_GLOBAL__N_18offset_tEEE10hipError_tPvRmT1_PNSt15iterator_traitsISZ_E10value_typeET2_T3_PNS10_IS15_E10value_typeET4_jRbjT5_S1B_jjP12ihipStream_tbEUljE_EEESW_SX_SY_S15_S19_S1B_T6_T7_T9_mT8_S1D_bDpT10_ENKUlT_T0_E_clISt17integral_constantIbLb1EES1Q_EEDaS1L_S1M_EUlS1L_E_NS1_11comp_targetILNS1_3genE10ELNS1_11target_archE1200ELNS1_3gpuE4ELNS1_3repE0EEENS1_30default_config_static_selectorELNS0_4arch9wavefront6targetE1EEEvSZ_ ; -- Begin function _ZN7rocprim17ROCPRIM_400000_NS6detail17trampoline_kernelINS0_13select_configILj256ELj13ELNS0_17block_load_methodE3ELS4_3ELS4_3ELNS0_20block_scan_algorithmE0ELj4294967295EEENS1_25partition_config_selectorILNS1_17partition_subalgoE3EjNS0_10empty_typeEbEEZZNS1_14partition_implILS8_3ELb0ES6_jNS0_17counting_iteratorIjlEEPS9_SE_NS0_5tupleIJPjSE_EEENSF_IJSE_SE_EEES9_SG_JZNS1_25segmented_radix_sort_implINS0_14default_configELb0EPK12hip_bfloat16PSL_PKlPlN2at6native12_GLOBAL__N_18offset_tEEE10hipError_tPvRmT1_PNSt15iterator_traitsISZ_E10value_typeET2_T3_PNS10_IS15_E10value_typeET4_jRbjT5_S1B_jjP12ihipStream_tbEUljE_EEESW_SX_SY_S15_S19_S1B_T6_T7_T9_mT8_S1D_bDpT10_ENKUlT_T0_E_clISt17integral_constantIbLb1EES1Q_EEDaS1L_S1M_EUlS1L_E_NS1_11comp_targetILNS1_3genE10ELNS1_11target_archE1200ELNS1_3gpuE4ELNS1_3repE0EEENS1_30default_config_static_selectorELNS0_4arch9wavefront6targetE1EEEvSZ_
	.p2align	8
	.type	_ZN7rocprim17ROCPRIM_400000_NS6detail17trampoline_kernelINS0_13select_configILj256ELj13ELNS0_17block_load_methodE3ELS4_3ELS4_3ELNS0_20block_scan_algorithmE0ELj4294967295EEENS1_25partition_config_selectorILNS1_17partition_subalgoE3EjNS0_10empty_typeEbEEZZNS1_14partition_implILS8_3ELb0ES6_jNS0_17counting_iteratorIjlEEPS9_SE_NS0_5tupleIJPjSE_EEENSF_IJSE_SE_EEES9_SG_JZNS1_25segmented_radix_sort_implINS0_14default_configELb0EPK12hip_bfloat16PSL_PKlPlN2at6native12_GLOBAL__N_18offset_tEEE10hipError_tPvRmT1_PNSt15iterator_traitsISZ_E10value_typeET2_T3_PNS10_IS15_E10value_typeET4_jRbjT5_S1B_jjP12ihipStream_tbEUljE_EEESW_SX_SY_S15_S19_S1B_T6_T7_T9_mT8_S1D_bDpT10_ENKUlT_T0_E_clISt17integral_constantIbLb1EES1Q_EEDaS1L_S1M_EUlS1L_E_NS1_11comp_targetILNS1_3genE10ELNS1_11target_archE1200ELNS1_3gpuE4ELNS1_3repE0EEENS1_30default_config_static_selectorELNS0_4arch9wavefront6targetE1EEEvSZ_,@function
_ZN7rocprim17ROCPRIM_400000_NS6detail17trampoline_kernelINS0_13select_configILj256ELj13ELNS0_17block_load_methodE3ELS4_3ELS4_3ELNS0_20block_scan_algorithmE0ELj4294967295EEENS1_25partition_config_selectorILNS1_17partition_subalgoE3EjNS0_10empty_typeEbEEZZNS1_14partition_implILS8_3ELb0ES6_jNS0_17counting_iteratorIjlEEPS9_SE_NS0_5tupleIJPjSE_EEENSF_IJSE_SE_EEES9_SG_JZNS1_25segmented_radix_sort_implINS0_14default_configELb0EPK12hip_bfloat16PSL_PKlPlN2at6native12_GLOBAL__N_18offset_tEEE10hipError_tPvRmT1_PNSt15iterator_traitsISZ_E10value_typeET2_T3_PNS10_IS15_E10value_typeET4_jRbjT5_S1B_jjP12ihipStream_tbEUljE_EEESW_SX_SY_S15_S19_S1B_T6_T7_T9_mT8_S1D_bDpT10_ENKUlT_T0_E_clISt17integral_constantIbLb1EES1Q_EEDaS1L_S1M_EUlS1L_E_NS1_11comp_targetILNS1_3genE10ELNS1_11target_archE1200ELNS1_3gpuE4ELNS1_3repE0EEENS1_30default_config_static_selectorELNS0_4arch9wavefront6targetE1EEEvSZ_: ; @_ZN7rocprim17ROCPRIM_400000_NS6detail17trampoline_kernelINS0_13select_configILj256ELj13ELNS0_17block_load_methodE3ELS4_3ELS4_3ELNS0_20block_scan_algorithmE0ELj4294967295EEENS1_25partition_config_selectorILNS1_17partition_subalgoE3EjNS0_10empty_typeEbEEZZNS1_14partition_implILS8_3ELb0ES6_jNS0_17counting_iteratorIjlEEPS9_SE_NS0_5tupleIJPjSE_EEENSF_IJSE_SE_EEES9_SG_JZNS1_25segmented_radix_sort_implINS0_14default_configELb0EPK12hip_bfloat16PSL_PKlPlN2at6native12_GLOBAL__N_18offset_tEEE10hipError_tPvRmT1_PNSt15iterator_traitsISZ_E10value_typeET2_T3_PNS10_IS15_E10value_typeET4_jRbjT5_S1B_jjP12ihipStream_tbEUljE_EEESW_SX_SY_S15_S19_S1B_T6_T7_T9_mT8_S1D_bDpT10_ENKUlT_T0_E_clISt17integral_constantIbLb1EES1Q_EEDaS1L_S1M_EUlS1L_E_NS1_11comp_targetILNS1_3genE10ELNS1_11target_archE1200ELNS1_3gpuE4ELNS1_3repE0EEENS1_30default_config_static_selectorELNS0_4arch9wavefront6targetE1EEEvSZ_
; %bb.0:
	.section	.rodata,"a",@progbits
	.p2align	6, 0x0
	.amdhsa_kernel _ZN7rocprim17ROCPRIM_400000_NS6detail17trampoline_kernelINS0_13select_configILj256ELj13ELNS0_17block_load_methodE3ELS4_3ELS4_3ELNS0_20block_scan_algorithmE0ELj4294967295EEENS1_25partition_config_selectorILNS1_17partition_subalgoE3EjNS0_10empty_typeEbEEZZNS1_14partition_implILS8_3ELb0ES6_jNS0_17counting_iteratorIjlEEPS9_SE_NS0_5tupleIJPjSE_EEENSF_IJSE_SE_EEES9_SG_JZNS1_25segmented_radix_sort_implINS0_14default_configELb0EPK12hip_bfloat16PSL_PKlPlN2at6native12_GLOBAL__N_18offset_tEEE10hipError_tPvRmT1_PNSt15iterator_traitsISZ_E10value_typeET2_T3_PNS10_IS15_E10value_typeET4_jRbjT5_S1B_jjP12ihipStream_tbEUljE_EEESW_SX_SY_S15_S19_S1B_T6_T7_T9_mT8_S1D_bDpT10_ENKUlT_T0_E_clISt17integral_constantIbLb1EES1Q_EEDaS1L_S1M_EUlS1L_E_NS1_11comp_targetILNS1_3genE10ELNS1_11target_archE1200ELNS1_3gpuE4ELNS1_3repE0EEENS1_30default_config_static_selectorELNS0_4arch9wavefront6targetE1EEEvSZ_
		.amdhsa_group_segment_fixed_size 0
		.amdhsa_private_segment_fixed_size 0
		.amdhsa_kernarg_size 152
		.amdhsa_user_sgpr_count 6
		.amdhsa_user_sgpr_private_segment_buffer 1
		.amdhsa_user_sgpr_dispatch_ptr 0
		.amdhsa_user_sgpr_queue_ptr 0
		.amdhsa_user_sgpr_kernarg_segment_ptr 1
		.amdhsa_user_sgpr_dispatch_id 0
		.amdhsa_user_sgpr_flat_scratch_init 0
		.amdhsa_user_sgpr_kernarg_preload_length 0
		.amdhsa_user_sgpr_kernarg_preload_offset 0
		.amdhsa_user_sgpr_private_segment_size 0
		.amdhsa_uses_dynamic_stack 0
		.amdhsa_system_sgpr_private_segment_wavefront_offset 0
		.amdhsa_system_sgpr_workgroup_id_x 1
		.amdhsa_system_sgpr_workgroup_id_y 0
		.amdhsa_system_sgpr_workgroup_id_z 0
		.amdhsa_system_sgpr_workgroup_info 0
		.amdhsa_system_vgpr_workitem_id 0
		.amdhsa_next_free_vgpr 1
		.amdhsa_next_free_sgpr 0
		.amdhsa_accum_offset 4
		.amdhsa_reserve_vcc 0
		.amdhsa_reserve_flat_scratch 0
		.amdhsa_float_round_mode_32 0
		.amdhsa_float_round_mode_16_64 0
		.amdhsa_float_denorm_mode_32 3
		.amdhsa_float_denorm_mode_16_64 3
		.amdhsa_dx10_clamp 1
		.amdhsa_ieee_mode 1
		.amdhsa_fp16_overflow 0
		.amdhsa_tg_split 0
		.amdhsa_exception_fp_ieee_invalid_op 0
		.amdhsa_exception_fp_denorm_src 0
		.amdhsa_exception_fp_ieee_div_zero 0
		.amdhsa_exception_fp_ieee_overflow 0
		.amdhsa_exception_fp_ieee_underflow 0
		.amdhsa_exception_fp_ieee_inexact 0
		.amdhsa_exception_int_div_zero 0
	.end_amdhsa_kernel
	.section	.text._ZN7rocprim17ROCPRIM_400000_NS6detail17trampoline_kernelINS0_13select_configILj256ELj13ELNS0_17block_load_methodE3ELS4_3ELS4_3ELNS0_20block_scan_algorithmE0ELj4294967295EEENS1_25partition_config_selectorILNS1_17partition_subalgoE3EjNS0_10empty_typeEbEEZZNS1_14partition_implILS8_3ELb0ES6_jNS0_17counting_iteratorIjlEEPS9_SE_NS0_5tupleIJPjSE_EEENSF_IJSE_SE_EEES9_SG_JZNS1_25segmented_radix_sort_implINS0_14default_configELb0EPK12hip_bfloat16PSL_PKlPlN2at6native12_GLOBAL__N_18offset_tEEE10hipError_tPvRmT1_PNSt15iterator_traitsISZ_E10value_typeET2_T3_PNS10_IS15_E10value_typeET4_jRbjT5_S1B_jjP12ihipStream_tbEUljE_EEESW_SX_SY_S15_S19_S1B_T6_T7_T9_mT8_S1D_bDpT10_ENKUlT_T0_E_clISt17integral_constantIbLb1EES1Q_EEDaS1L_S1M_EUlS1L_E_NS1_11comp_targetILNS1_3genE10ELNS1_11target_archE1200ELNS1_3gpuE4ELNS1_3repE0EEENS1_30default_config_static_selectorELNS0_4arch9wavefront6targetE1EEEvSZ_,"axG",@progbits,_ZN7rocprim17ROCPRIM_400000_NS6detail17trampoline_kernelINS0_13select_configILj256ELj13ELNS0_17block_load_methodE3ELS4_3ELS4_3ELNS0_20block_scan_algorithmE0ELj4294967295EEENS1_25partition_config_selectorILNS1_17partition_subalgoE3EjNS0_10empty_typeEbEEZZNS1_14partition_implILS8_3ELb0ES6_jNS0_17counting_iteratorIjlEEPS9_SE_NS0_5tupleIJPjSE_EEENSF_IJSE_SE_EEES9_SG_JZNS1_25segmented_radix_sort_implINS0_14default_configELb0EPK12hip_bfloat16PSL_PKlPlN2at6native12_GLOBAL__N_18offset_tEEE10hipError_tPvRmT1_PNSt15iterator_traitsISZ_E10value_typeET2_T3_PNS10_IS15_E10value_typeET4_jRbjT5_S1B_jjP12ihipStream_tbEUljE_EEESW_SX_SY_S15_S19_S1B_T6_T7_T9_mT8_S1D_bDpT10_ENKUlT_T0_E_clISt17integral_constantIbLb1EES1Q_EEDaS1L_S1M_EUlS1L_E_NS1_11comp_targetILNS1_3genE10ELNS1_11target_archE1200ELNS1_3gpuE4ELNS1_3repE0EEENS1_30default_config_static_selectorELNS0_4arch9wavefront6targetE1EEEvSZ_,comdat
.Lfunc_end2028:
	.size	_ZN7rocprim17ROCPRIM_400000_NS6detail17trampoline_kernelINS0_13select_configILj256ELj13ELNS0_17block_load_methodE3ELS4_3ELS4_3ELNS0_20block_scan_algorithmE0ELj4294967295EEENS1_25partition_config_selectorILNS1_17partition_subalgoE3EjNS0_10empty_typeEbEEZZNS1_14partition_implILS8_3ELb0ES6_jNS0_17counting_iteratorIjlEEPS9_SE_NS0_5tupleIJPjSE_EEENSF_IJSE_SE_EEES9_SG_JZNS1_25segmented_radix_sort_implINS0_14default_configELb0EPK12hip_bfloat16PSL_PKlPlN2at6native12_GLOBAL__N_18offset_tEEE10hipError_tPvRmT1_PNSt15iterator_traitsISZ_E10value_typeET2_T3_PNS10_IS15_E10value_typeET4_jRbjT5_S1B_jjP12ihipStream_tbEUljE_EEESW_SX_SY_S15_S19_S1B_T6_T7_T9_mT8_S1D_bDpT10_ENKUlT_T0_E_clISt17integral_constantIbLb1EES1Q_EEDaS1L_S1M_EUlS1L_E_NS1_11comp_targetILNS1_3genE10ELNS1_11target_archE1200ELNS1_3gpuE4ELNS1_3repE0EEENS1_30default_config_static_selectorELNS0_4arch9wavefront6targetE1EEEvSZ_, .Lfunc_end2028-_ZN7rocprim17ROCPRIM_400000_NS6detail17trampoline_kernelINS0_13select_configILj256ELj13ELNS0_17block_load_methodE3ELS4_3ELS4_3ELNS0_20block_scan_algorithmE0ELj4294967295EEENS1_25partition_config_selectorILNS1_17partition_subalgoE3EjNS0_10empty_typeEbEEZZNS1_14partition_implILS8_3ELb0ES6_jNS0_17counting_iteratorIjlEEPS9_SE_NS0_5tupleIJPjSE_EEENSF_IJSE_SE_EEES9_SG_JZNS1_25segmented_radix_sort_implINS0_14default_configELb0EPK12hip_bfloat16PSL_PKlPlN2at6native12_GLOBAL__N_18offset_tEEE10hipError_tPvRmT1_PNSt15iterator_traitsISZ_E10value_typeET2_T3_PNS10_IS15_E10value_typeET4_jRbjT5_S1B_jjP12ihipStream_tbEUljE_EEESW_SX_SY_S15_S19_S1B_T6_T7_T9_mT8_S1D_bDpT10_ENKUlT_T0_E_clISt17integral_constantIbLb1EES1Q_EEDaS1L_S1M_EUlS1L_E_NS1_11comp_targetILNS1_3genE10ELNS1_11target_archE1200ELNS1_3gpuE4ELNS1_3repE0EEENS1_30default_config_static_selectorELNS0_4arch9wavefront6targetE1EEEvSZ_
                                        ; -- End function
	.section	.AMDGPU.csdata,"",@progbits
; Kernel info:
; codeLenInByte = 0
; NumSgprs: 4
; NumVgprs: 0
; NumAgprs: 0
; TotalNumVgprs: 0
; ScratchSize: 0
; MemoryBound: 0
; FloatMode: 240
; IeeeMode: 1
; LDSByteSize: 0 bytes/workgroup (compile time only)
; SGPRBlocks: 0
; VGPRBlocks: 0
; NumSGPRsForWavesPerEU: 4
; NumVGPRsForWavesPerEU: 1
; AccumOffset: 4
; Occupancy: 8
; WaveLimiterHint : 0
; COMPUTE_PGM_RSRC2:SCRATCH_EN: 0
; COMPUTE_PGM_RSRC2:USER_SGPR: 6
; COMPUTE_PGM_RSRC2:TRAP_HANDLER: 0
; COMPUTE_PGM_RSRC2:TGID_X_EN: 1
; COMPUTE_PGM_RSRC2:TGID_Y_EN: 0
; COMPUTE_PGM_RSRC2:TGID_Z_EN: 0
; COMPUTE_PGM_RSRC2:TIDIG_COMP_CNT: 0
; COMPUTE_PGM_RSRC3_GFX90A:ACCUM_OFFSET: 0
; COMPUTE_PGM_RSRC3_GFX90A:TG_SPLIT: 0
	.section	.text._ZN7rocprim17ROCPRIM_400000_NS6detail17trampoline_kernelINS0_13select_configILj256ELj13ELNS0_17block_load_methodE3ELS4_3ELS4_3ELNS0_20block_scan_algorithmE0ELj4294967295EEENS1_25partition_config_selectorILNS1_17partition_subalgoE3EjNS0_10empty_typeEbEEZZNS1_14partition_implILS8_3ELb0ES6_jNS0_17counting_iteratorIjlEEPS9_SE_NS0_5tupleIJPjSE_EEENSF_IJSE_SE_EEES9_SG_JZNS1_25segmented_radix_sort_implINS0_14default_configELb0EPK12hip_bfloat16PSL_PKlPlN2at6native12_GLOBAL__N_18offset_tEEE10hipError_tPvRmT1_PNSt15iterator_traitsISZ_E10value_typeET2_T3_PNS10_IS15_E10value_typeET4_jRbjT5_S1B_jjP12ihipStream_tbEUljE_EEESW_SX_SY_S15_S19_S1B_T6_T7_T9_mT8_S1D_bDpT10_ENKUlT_T0_E_clISt17integral_constantIbLb1EES1Q_EEDaS1L_S1M_EUlS1L_E_NS1_11comp_targetILNS1_3genE9ELNS1_11target_archE1100ELNS1_3gpuE3ELNS1_3repE0EEENS1_30default_config_static_selectorELNS0_4arch9wavefront6targetE1EEEvSZ_,"axG",@progbits,_ZN7rocprim17ROCPRIM_400000_NS6detail17trampoline_kernelINS0_13select_configILj256ELj13ELNS0_17block_load_methodE3ELS4_3ELS4_3ELNS0_20block_scan_algorithmE0ELj4294967295EEENS1_25partition_config_selectorILNS1_17partition_subalgoE3EjNS0_10empty_typeEbEEZZNS1_14partition_implILS8_3ELb0ES6_jNS0_17counting_iteratorIjlEEPS9_SE_NS0_5tupleIJPjSE_EEENSF_IJSE_SE_EEES9_SG_JZNS1_25segmented_radix_sort_implINS0_14default_configELb0EPK12hip_bfloat16PSL_PKlPlN2at6native12_GLOBAL__N_18offset_tEEE10hipError_tPvRmT1_PNSt15iterator_traitsISZ_E10value_typeET2_T3_PNS10_IS15_E10value_typeET4_jRbjT5_S1B_jjP12ihipStream_tbEUljE_EEESW_SX_SY_S15_S19_S1B_T6_T7_T9_mT8_S1D_bDpT10_ENKUlT_T0_E_clISt17integral_constantIbLb1EES1Q_EEDaS1L_S1M_EUlS1L_E_NS1_11comp_targetILNS1_3genE9ELNS1_11target_archE1100ELNS1_3gpuE3ELNS1_3repE0EEENS1_30default_config_static_selectorELNS0_4arch9wavefront6targetE1EEEvSZ_,comdat
	.globl	_ZN7rocprim17ROCPRIM_400000_NS6detail17trampoline_kernelINS0_13select_configILj256ELj13ELNS0_17block_load_methodE3ELS4_3ELS4_3ELNS0_20block_scan_algorithmE0ELj4294967295EEENS1_25partition_config_selectorILNS1_17partition_subalgoE3EjNS0_10empty_typeEbEEZZNS1_14partition_implILS8_3ELb0ES6_jNS0_17counting_iteratorIjlEEPS9_SE_NS0_5tupleIJPjSE_EEENSF_IJSE_SE_EEES9_SG_JZNS1_25segmented_radix_sort_implINS0_14default_configELb0EPK12hip_bfloat16PSL_PKlPlN2at6native12_GLOBAL__N_18offset_tEEE10hipError_tPvRmT1_PNSt15iterator_traitsISZ_E10value_typeET2_T3_PNS10_IS15_E10value_typeET4_jRbjT5_S1B_jjP12ihipStream_tbEUljE_EEESW_SX_SY_S15_S19_S1B_T6_T7_T9_mT8_S1D_bDpT10_ENKUlT_T0_E_clISt17integral_constantIbLb1EES1Q_EEDaS1L_S1M_EUlS1L_E_NS1_11comp_targetILNS1_3genE9ELNS1_11target_archE1100ELNS1_3gpuE3ELNS1_3repE0EEENS1_30default_config_static_selectorELNS0_4arch9wavefront6targetE1EEEvSZ_ ; -- Begin function _ZN7rocprim17ROCPRIM_400000_NS6detail17trampoline_kernelINS0_13select_configILj256ELj13ELNS0_17block_load_methodE3ELS4_3ELS4_3ELNS0_20block_scan_algorithmE0ELj4294967295EEENS1_25partition_config_selectorILNS1_17partition_subalgoE3EjNS0_10empty_typeEbEEZZNS1_14partition_implILS8_3ELb0ES6_jNS0_17counting_iteratorIjlEEPS9_SE_NS0_5tupleIJPjSE_EEENSF_IJSE_SE_EEES9_SG_JZNS1_25segmented_radix_sort_implINS0_14default_configELb0EPK12hip_bfloat16PSL_PKlPlN2at6native12_GLOBAL__N_18offset_tEEE10hipError_tPvRmT1_PNSt15iterator_traitsISZ_E10value_typeET2_T3_PNS10_IS15_E10value_typeET4_jRbjT5_S1B_jjP12ihipStream_tbEUljE_EEESW_SX_SY_S15_S19_S1B_T6_T7_T9_mT8_S1D_bDpT10_ENKUlT_T0_E_clISt17integral_constantIbLb1EES1Q_EEDaS1L_S1M_EUlS1L_E_NS1_11comp_targetILNS1_3genE9ELNS1_11target_archE1100ELNS1_3gpuE3ELNS1_3repE0EEENS1_30default_config_static_selectorELNS0_4arch9wavefront6targetE1EEEvSZ_
	.p2align	8
	.type	_ZN7rocprim17ROCPRIM_400000_NS6detail17trampoline_kernelINS0_13select_configILj256ELj13ELNS0_17block_load_methodE3ELS4_3ELS4_3ELNS0_20block_scan_algorithmE0ELj4294967295EEENS1_25partition_config_selectorILNS1_17partition_subalgoE3EjNS0_10empty_typeEbEEZZNS1_14partition_implILS8_3ELb0ES6_jNS0_17counting_iteratorIjlEEPS9_SE_NS0_5tupleIJPjSE_EEENSF_IJSE_SE_EEES9_SG_JZNS1_25segmented_radix_sort_implINS0_14default_configELb0EPK12hip_bfloat16PSL_PKlPlN2at6native12_GLOBAL__N_18offset_tEEE10hipError_tPvRmT1_PNSt15iterator_traitsISZ_E10value_typeET2_T3_PNS10_IS15_E10value_typeET4_jRbjT5_S1B_jjP12ihipStream_tbEUljE_EEESW_SX_SY_S15_S19_S1B_T6_T7_T9_mT8_S1D_bDpT10_ENKUlT_T0_E_clISt17integral_constantIbLb1EES1Q_EEDaS1L_S1M_EUlS1L_E_NS1_11comp_targetILNS1_3genE9ELNS1_11target_archE1100ELNS1_3gpuE3ELNS1_3repE0EEENS1_30default_config_static_selectorELNS0_4arch9wavefront6targetE1EEEvSZ_,@function
_ZN7rocprim17ROCPRIM_400000_NS6detail17trampoline_kernelINS0_13select_configILj256ELj13ELNS0_17block_load_methodE3ELS4_3ELS4_3ELNS0_20block_scan_algorithmE0ELj4294967295EEENS1_25partition_config_selectorILNS1_17partition_subalgoE3EjNS0_10empty_typeEbEEZZNS1_14partition_implILS8_3ELb0ES6_jNS0_17counting_iteratorIjlEEPS9_SE_NS0_5tupleIJPjSE_EEENSF_IJSE_SE_EEES9_SG_JZNS1_25segmented_radix_sort_implINS0_14default_configELb0EPK12hip_bfloat16PSL_PKlPlN2at6native12_GLOBAL__N_18offset_tEEE10hipError_tPvRmT1_PNSt15iterator_traitsISZ_E10value_typeET2_T3_PNS10_IS15_E10value_typeET4_jRbjT5_S1B_jjP12ihipStream_tbEUljE_EEESW_SX_SY_S15_S19_S1B_T6_T7_T9_mT8_S1D_bDpT10_ENKUlT_T0_E_clISt17integral_constantIbLb1EES1Q_EEDaS1L_S1M_EUlS1L_E_NS1_11comp_targetILNS1_3genE9ELNS1_11target_archE1100ELNS1_3gpuE3ELNS1_3repE0EEENS1_30default_config_static_selectorELNS0_4arch9wavefront6targetE1EEEvSZ_: ; @_ZN7rocprim17ROCPRIM_400000_NS6detail17trampoline_kernelINS0_13select_configILj256ELj13ELNS0_17block_load_methodE3ELS4_3ELS4_3ELNS0_20block_scan_algorithmE0ELj4294967295EEENS1_25partition_config_selectorILNS1_17partition_subalgoE3EjNS0_10empty_typeEbEEZZNS1_14partition_implILS8_3ELb0ES6_jNS0_17counting_iteratorIjlEEPS9_SE_NS0_5tupleIJPjSE_EEENSF_IJSE_SE_EEES9_SG_JZNS1_25segmented_radix_sort_implINS0_14default_configELb0EPK12hip_bfloat16PSL_PKlPlN2at6native12_GLOBAL__N_18offset_tEEE10hipError_tPvRmT1_PNSt15iterator_traitsISZ_E10value_typeET2_T3_PNS10_IS15_E10value_typeET4_jRbjT5_S1B_jjP12ihipStream_tbEUljE_EEESW_SX_SY_S15_S19_S1B_T6_T7_T9_mT8_S1D_bDpT10_ENKUlT_T0_E_clISt17integral_constantIbLb1EES1Q_EEDaS1L_S1M_EUlS1L_E_NS1_11comp_targetILNS1_3genE9ELNS1_11target_archE1100ELNS1_3gpuE3ELNS1_3repE0EEENS1_30default_config_static_selectorELNS0_4arch9wavefront6targetE1EEEvSZ_
; %bb.0:
	.section	.rodata,"a",@progbits
	.p2align	6, 0x0
	.amdhsa_kernel _ZN7rocprim17ROCPRIM_400000_NS6detail17trampoline_kernelINS0_13select_configILj256ELj13ELNS0_17block_load_methodE3ELS4_3ELS4_3ELNS0_20block_scan_algorithmE0ELj4294967295EEENS1_25partition_config_selectorILNS1_17partition_subalgoE3EjNS0_10empty_typeEbEEZZNS1_14partition_implILS8_3ELb0ES6_jNS0_17counting_iteratorIjlEEPS9_SE_NS0_5tupleIJPjSE_EEENSF_IJSE_SE_EEES9_SG_JZNS1_25segmented_radix_sort_implINS0_14default_configELb0EPK12hip_bfloat16PSL_PKlPlN2at6native12_GLOBAL__N_18offset_tEEE10hipError_tPvRmT1_PNSt15iterator_traitsISZ_E10value_typeET2_T3_PNS10_IS15_E10value_typeET4_jRbjT5_S1B_jjP12ihipStream_tbEUljE_EEESW_SX_SY_S15_S19_S1B_T6_T7_T9_mT8_S1D_bDpT10_ENKUlT_T0_E_clISt17integral_constantIbLb1EES1Q_EEDaS1L_S1M_EUlS1L_E_NS1_11comp_targetILNS1_3genE9ELNS1_11target_archE1100ELNS1_3gpuE3ELNS1_3repE0EEENS1_30default_config_static_selectorELNS0_4arch9wavefront6targetE1EEEvSZ_
		.amdhsa_group_segment_fixed_size 0
		.amdhsa_private_segment_fixed_size 0
		.amdhsa_kernarg_size 152
		.amdhsa_user_sgpr_count 6
		.amdhsa_user_sgpr_private_segment_buffer 1
		.amdhsa_user_sgpr_dispatch_ptr 0
		.amdhsa_user_sgpr_queue_ptr 0
		.amdhsa_user_sgpr_kernarg_segment_ptr 1
		.amdhsa_user_sgpr_dispatch_id 0
		.amdhsa_user_sgpr_flat_scratch_init 0
		.amdhsa_user_sgpr_kernarg_preload_length 0
		.amdhsa_user_sgpr_kernarg_preload_offset 0
		.amdhsa_user_sgpr_private_segment_size 0
		.amdhsa_uses_dynamic_stack 0
		.amdhsa_system_sgpr_private_segment_wavefront_offset 0
		.amdhsa_system_sgpr_workgroup_id_x 1
		.amdhsa_system_sgpr_workgroup_id_y 0
		.amdhsa_system_sgpr_workgroup_id_z 0
		.amdhsa_system_sgpr_workgroup_info 0
		.amdhsa_system_vgpr_workitem_id 0
		.amdhsa_next_free_vgpr 1
		.amdhsa_next_free_sgpr 0
		.amdhsa_accum_offset 4
		.amdhsa_reserve_vcc 0
		.amdhsa_reserve_flat_scratch 0
		.amdhsa_float_round_mode_32 0
		.amdhsa_float_round_mode_16_64 0
		.amdhsa_float_denorm_mode_32 3
		.amdhsa_float_denorm_mode_16_64 3
		.amdhsa_dx10_clamp 1
		.amdhsa_ieee_mode 1
		.amdhsa_fp16_overflow 0
		.amdhsa_tg_split 0
		.amdhsa_exception_fp_ieee_invalid_op 0
		.amdhsa_exception_fp_denorm_src 0
		.amdhsa_exception_fp_ieee_div_zero 0
		.amdhsa_exception_fp_ieee_overflow 0
		.amdhsa_exception_fp_ieee_underflow 0
		.amdhsa_exception_fp_ieee_inexact 0
		.amdhsa_exception_int_div_zero 0
	.end_amdhsa_kernel
	.section	.text._ZN7rocprim17ROCPRIM_400000_NS6detail17trampoline_kernelINS0_13select_configILj256ELj13ELNS0_17block_load_methodE3ELS4_3ELS4_3ELNS0_20block_scan_algorithmE0ELj4294967295EEENS1_25partition_config_selectorILNS1_17partition_subalgoE3EjNS0_10empty_typeEbEEZZNS1_14partition_implILS8_3ELb0ES6_jNS0_17counting_iteratorIjlEEPS9_SE_NS0_5tupleIJPjSE_EEENSF_IJSE_SE_EEES9_SG_JZNS1_25segmented_radix_sort_implINS0_14default_configELb0EPK12hip_bfloat16PSL_PKlPlN2at6native12_GLOBAL__N_18offset_tEEE10hipError_tPvRmT1_PNSt15iterator_traitsISZ_E10value_typeET2_T3_PNS10_IS15_E10value_typeET4_jRbjT5_S1B_jjP12ihipStream_tbEUljE_EEESW_SX_SY_S15_S19_S1B_T6_T7_T9_mT8_S1D_bDpT10_ENKUlT_T0_E_clISt17integral_constantIbLb1EES1Q_EEDaS1L_S1M_EUlS1L_E_NS1_11comp_targetILNS1_3genE9ELNS1_11target_archE1100ELNS1_3gpuE3ELNS1_3repE0EEENS1_30default_config_static_selectorELNS0_4arch9wavefront6targetE1EEEvSZ_,"axG",@progbits,_ZN7rocprim17ROCPRIM_400000_NS6detail17trampoline_kernelINS0_13select_configILj256ELj13ELNS0_17block_load_methodE3ELS4_3ELS4_3ELNS0_20block_scan_algorithmE0ELj4294967295EEENS1_25partition_config_selectorILNS1_17partition_subalgoE3EjNS0_10empty_typeEbEEZZNS1_14partition_implILS8_3ELb0ES6_jNS0_17counting_iteratorIjlEEPS9_SE_NS0_5tupleIJPjSE_EEENSF_IJSE_SE_EEES9_SG_JZNS1_25segmented_radix_sort_implINS0_14default_configELb0EPK12hip_bfloat16PSL_PKlPlN2at6native12_GLOBAL__N_18offset_tEEE10hipError_tPvRmT1_PNSt15iterator_traitsISZ_E10value_typeET2_T3_PNS10_IS15_E10value_typeET4_jRbjT5_S1B_jjP12ihipStream_tbEUljE_EEESW_SX_SY_S15_S19_S1B_T6_T7_T9_mT8_S1D_bDpT10_ENKUlT_T0_E_clISt17integral_constantIbLb1EES1Q_EEDaS1L_S1M_EUlS1L_E_NS1_11comp_targetILNS1_3genE9ELNS1_11target_archE1100ELNS1_3gpuE3ELNS1_3repE0EEENS1_30default_config_static_selectorELNS0_4arch9wavefront6targetE1EEEvSZ_,comdat
.Lfunc_end2029:
	.size	_ZN7rocprim17ROCPRIM_400000_NS6detail17trampoline_kernelINS0_13select_configILj256ELj13ELNS0_17block_load_methodE3ELS4_3ELS4_3ELNS0_20block_scan_algorithmE0ELj4294967295EEENS1_25partition_config_selectorILNS1_17partition_subalgoE3EjNS0_10empty_typeEbEEZZNS1_14partition_implILS8_3ELb0ES6_jNS0_17counting_iteratorIjlEEPS9_SE_NS0_5tupleIJPjSE_EEENSF_IJSE_SE_EEES9_SG_JZNS1_25segmented_radix_sort_implINS0_14default_configELb0EPK12hip_bfloat16PSL_PKlPlN2at6native12_GLOBAL__N_18offset_tEEE10hipError_tPvRmT1_PNSt15iterator_traitsISZ_E10value_typeET2_T3_PNS10_IS15_E10value_typeET4_jRbjT5_S1B_jjP12ihipStream_tbEUljE_EEESW_SX_SY_S15_S19_S1B_T6_T7_T9_mT8_S1D_bDpT10_ENKUlT_T0_E_clISt17integral_constantIbLb1EES1Q_EEDaS1L_S1M_EUlS1L_E_NS1_11comp_targetILNS1_3genE9ELNS1_11target_archE1100ELNS1_3gpuE3ELNS1_3repE0EEENS1_30default_config_static_selectorELNS0_4arch9wavefront6targetE1EEEvSZ_, .Lfunc_end2029-_ZN7rocprim17ROCPRIM_400000_NS6detail17trampoline_kernelINS0_13select_configILj256ELj13ELNS0_17block_load_methodE3ELS4_3ELS4_3ELNS0_20block_scan_algorithmE0ELj4294967295EEENS1_25partition_config_selectorILNS1_17partition_subalgoE3EjNS0_10empty_typeEbEEZZNS1_14partition_implILS8_3ELb0ES6_jNS0_17counting_iteratorIjlEEPS9_SE_NS0_5tupleIJPjSE_EEENSF_IJSE_SE_EEES9_SG_JZNS1_25segmented_radix_sort_implINS0_14default_configELb0EPK12hip_bfloat16PSL_PKlPlN2at6native12_GLOBAL__N_18offset_tEEE10hipError_tPvRmT1_PNSt15iterator_traitsISZ_E10value_typeET2_T3_PNS10_IS15_E10value_typeET4_jRbjT5_S1B_jjP12ihipStream_tbEUljE_EEESW_SX_SY_S15_S19_S1B_T6_T7_T9_mT8_S1D_bDpT10_ENKUlT_T0_E_clISt17integral_constantIbLb1EES1Q_EEDaS1L_S1M_EUlS1L_E_NS1_11comp_targetILNS1_3genE9ELNS1_11target_archE1100ELNS1_3gpuE3ELNS1_3repE0EEENS1_30default_config_static_selectorELNS0_4arch9wavefront6targetE1EEEvSZ_
                                        ; -- End function
	.section	.AMDGPU.csdata,"",@progbits
; Kernel info:
; codeLenInByte = 0
; NumSgprs: 4
; NumVgprs: 0
; NumAgprs: 0
; TotalNumVgprs: 0
; ScratchSize: 0
; MemoryBound: 0
; FloatMode: 240
; IeeeMode: 1
; LDSByteSize: 0 bytes/workgroup (compile time only)
; SGPRBlocks: 0
; VGPRBlocks: 0
; NumSGPRsForWavesPerEU: 4
; NumVGPRsForWavesPerEU: 1
; AccumOffset: 4
; Occupancy: 8
; WaveLimiterHint : 0
; COMPUTE_PGM_RSRC2:SCRATCH_EN: 0
; COMPUTE_PGM_RSRC2:USER_SGPR: 6
; COMPUTE_PGM_RSRC2:TRAP_HANDLER: 0
; COMPUTE_PGM_RSRC2:TGID_X_EN: 1
; COMPUTE_PGM_RSRC2:TGID_Y_EN: 0
; COMPUTE_PGM_RSRC2:TGID_Z_EN: 0
; COMPUTE_PGM_RSRC2:TIDIG_COMP_CNT: 0
; COMPUTE_PGM_RSRC3_GFX90A:ACCUM_OFFSET: 0
; COMPUTE_PGM_RSRC3_GFX90A:TG_SPLIT: 0
	.section	.text._ZN7rocprim17ROCPRIM_400000_NS6detail17trampoline_kernelINS0_13select_configILj256ELj13ELNS0_17block_load_methodE3ELS4_3ELS4_3ELNS0_20block_scan_algorithmE0ELj4294967295EEENS1_25partition_config_selectorILNS1_17partition_subalgoE3EjNS0_10empty_typeEbEEZZNS1_14partition_implILS8_3ELb0ES6_jNS0_17counting_iteratorIjlEEPS9_SE_NS0_5tupleIJPjSE_EEENSF_IJSE_SE_EEES9_SG_JZNS1_25segmented_radix_sort_implINS0_14default_configELb0EPK12hip_bfloat16PSL_PKlPlN2at6native12_GLOBAL__N_18offset_tEEE10hipError_tPvRmT1_PNSt15iterator_traitsISZ_E10value_typeET2_T3_PNS10_IS15_E10value_typeET4_jRbjT5_S1B_jjP12ihipStream_tbEUljE_EEESW_SX_SY_S15_S19_S1B_T6_T7_T9_mT8_S1D_bDpT10_ENKUlT_T0_E_clISt17integral_constantIbLb1EES1Q_EEDaS1L_S1M_EUlS1L_E_NS1_11comp_targetILNS1_3genE8ELNS1_11target_archE1030ELNS1_3gpuE2ELNS1_3repE0EEENS1_30default_config_static_selectorELNS0_4arch9wavefront6targetE1EEEvSZ_,"axG",@progbits,_ZN7rocprim17ROCPRIM_400000_NS6detail17trampoline_kernelINS0_13select_configILj256ELj13ELNS0_17block_load_methodE3ELS4_3ELS4_3ELNS0_20block_scan_algorithmE0ELj4294967295EEENS1_25partition_config_selectorILNS1_17partition_subalgoE3EjNS0_10empty_typeEbEEZZNS1_14partition_implILS8_3ELb0ES6_jNS0_17counting_iteratorIjlEEPS9_SE_NS0_5tupleIJPjSE_EEENSF_IJSE_SE_EEES9_SG_JZNS1_25segmented_radix_sort_implINS0_14default_configELb0EPK12hip_bfloat16PSL_PKlPlN2at6native12_GLOBAL__N_18offset_tEEE10hipError_tPvRmT1_PNSt15iterator_traitsISZ_E10value_typeET2_T3_PNS10_IS15_E10value_typeET4_jRbjT5_S1B_jjP12ihipStream_tbEUljE_EEESW_SX_SY_S15_S19_S1B_T6_T7_T9_mT8_S1D_bDpT10_ENKUlT_T0_E_clISt17integral_constantIbLb1EES1Q_EEDaS1L_S1M_EUlS1L_E_NS1_11comp_targetILNS1_3genE8ELNS1_11target_archE1030ELNS1_3gpuE2ELNS1_3repE0EEENS1_30default_config_static_selectorELNS0_4arch9wavefront6targetE1EEEvSZ_,comdat
	.globl	_ZN7rocprim17ROCPRIM_400000_NS6detail17trampoline_kernelINS0_13select_configILj256ELj13ELNS0_17block_load_methodE3ELS4_3ELS4_3ELNS0_20block_scan_algorithmE0ELj4294967295EEENS1_25partition_config_selectorILNS1_17partition_subalgoE3EjNS0_10empty_typeEbEEZZNS1_14partition_implILS8_3ELb0ES6_jNS0_17counting_iteratorIjlEEPS9_SE_NS0_5tupleIJPjSE_EEENSF_IJSE_SE_EEES9_SG_JZNS1_25segmented_radix_sort_implINS0_14default_configELb0EPK12hip_bfloat16PSL_PKlPlN2at6native12_GLOBAL__N_18offset_tEEE10hipError_tPvRmT1_PNSt15iterator_traitsISZ_E10value_typeET2_T3_PNS10_IS15_E10value_typeET4_jRbjT5_S1B_jjP12ihipStream_tbEUljE_EEESW_SX_SY_S15_S19_S1B_T6_T7_T9_mT8_S1D_bDpT10_ENKUlT_T0_E_clISt17integral_constantIbLb1EES1Q_EEDaS1L_S1M_EUlS1L_E_NS1_11comp_targetILNS1_3genE8ELNS1_11target_archE1030ELNS1_3gpuE2ELNS1_3repE0EEENS1_30default_config_static_selectorELNS0_4arch9wavefront6targetE1EEEvSZ_ ; -- Begin function _ZN7rocprim17ROCPRIM_400000_NS6detail17trampoline_kernelINS0_13select_configILj256ELj13ELNS0_17block_load_methodE3ELS4_3ELS4_3ELNS0_20block_scan_algorithmE0ELj4294967295EEENS1_25partition_config_selectorILNS1_17partition_subalgoE3EjNS0_10empty_typeEbEEZZNS1_14partition_implILS8_3ELb0ES6_jNS0_17counting_iteratorIjlEEPS9_SE_NS0_5tupleIJPjSE_EEENSF_IJSE_SE_EEES9_SG_JZNS1_25segmented_radix_sort_implINS0_14default_configELb0EPK12hip_bfloat16PSL_PKlPlN2at6native12_GLOBAL__N_18offset_tEEE10hipError_tPvRmT1_PNSt15iterator_traitsISZ_E10value_typeET2_T3_PNS10_IS15_E10value_typeET4_jRbjT5_S1B_jjP12ihipStream_tbEUljE_EEESW_SX_SY_S15_S19_S1B_T6_T7_T9_mT8_S1D_bDpT10_ENKUlT_T0_E_clISt17integral_constantIbLb1EES1Q_EEDaS1L_S1M_EUlS1L_E_NS1_11comp_targetILNS1_3genE8ELNS1_11target_archE1030ELNS1_3gpuE2ELNS1_3repE0EEENS1_30default_config_static_selectorELNS0_4arch9wavefront6targetE1EEEvSZ_
	.p2align	8
	.type	_ZN7rocprim17ROCPRIM_400000_NS6detail17trampoline_kernelINS0_13select_configILj256ELj13ELNS0_17block_load_methodE3ELS4_3ELS4_3ELNS0_20block_scan_algorithmE0ELj4294967295EEENS1_25partition_config_selectorILNS1_17partition_subalgoE3EjNS0_10empty_typeEbEEZZNS1_14partition_implILS8_3ELb0ES6_jNS0_17counting_iteratorIjlEEPS9_SE_NS0_5tupleIJPjSE_EEENSF_IJSE_SE_EEES9_SG_JZNS1_25segmented_radix_sort_implINS0_14default_configELb0EPK12hip_bfloat16PSL_PKlPlN2at6native12_GLOBAL__N_18offset_tEEE10hipError_tPvRmT1_PNSt15iterator_traitsISZ_E10value_typeET2_T3_PNS10_IS15_E10value_typeET4_jRbjT5_S1B_jjP12ihipStream_tbEUljE_EEESW_SX_SY_S15_S19_S1B_T6_T7_T9_mT8_S1D_bDpT10_ENKUlT_T0_E_clISt17integral_constantIbLb1EES1Q_EEDaS1L_S1M_EUlS1L_E_NS1_11comp_targetILNS1_3genE8ELNS1_11target_archE1030ELNS1_3gpuE2ELNS1_3repE0EEENS1_30default_config_static_selectorELNS0_4arch9wavefront6targetE1EEEvSZ_,@function
_ZN7rocprim17ROCPRIM_400000_NS6detail17trampoline_kernelINS0_13select_configILj256ELj13ELNS0_17block_load_methodE3ELS4_3ELS4_3ELNS0_20block_scan_algorithmE0ELj4294967295EEENS1_25partition_config_selectorILNS1_17partition_subalgoE3EjNS0_10empty_typeEbEEZZNS1_14partition_implILS8_3ELb0ES6_jNS0_17counting_iteratorIjlEEPS9_SE_NS0_5tupleIJPjSE_EEENSF_IJSE_SE_EEES9_SG_JZNS1_25segmented_radix_sort_implINS0_14default_configELb0EPK12hip_bfloat16PSL_PKlPlN2at6native12_GLOBAL__N_18offset_tEEE10hipError_tPvRmT1_PNSt15iterator_traitsISZ_E10value_typeET2_T3_PNS10_IS15_E10value_typeET4_jRbjT5_S1B_jjP12ihipStream_tbEUljE_EEESW_SX_SY_S15_S19_S1B_T6_T7_T9_mT8_S1D_bDpT10_ENKUlT_T0_E_clISt17integral_constantIbLb1EES1Q_EEDaS1L_S1M_EUlS1L_E_NS1_11comp_targetILNS1_3genE8ELNS1_11target_archE1030ELNS1_3gpuE2ELNS1_3repE0EEENS1_30default_config_static_selectorELNS0_4arch9wavefront6targetE1EEEvSZ_: ; @_ZN7rocprim17ROCPRIM_400000_NS6detail17trampoline_kernelINS0_13select_configILj256ELj13ELNS0_17block_load_methodE3ELS4_3ELS4_3ELNS0_20block_scan_algorithmE0ELj4294967295EEENS1_25partition_config_selectorILNS1_17partition_subalgoE3EjNS0_10empty_typeEbEEZZNS1_14partition_implILS8_3ELb0ES6_jNS0_17counting_iteratorIjlEEPS9_SE_NS0_5tupleIJPjSE_EEENSF_IJSE_SE_EEES9_SG_JZNS1_25segmented_radix_sort_implINS0_14default_configELb0EPK12hip_bfloat16PSL_PKlPlN2at6native12_GLOBAL__N_18offset_tEEE10hipError_tPvRmT1_PNSt15iterator_traitsISZ_E10value_typeET2_T3_PNS10_IS15_E10value_typeET4_jRbjT5_S1B_jjP12ihipStream_tbEUljE_EEESW_SX_SY_S15_S19_S1B_T6_T7_T9_mT8_S1D_bDpT10_ENKUlT_T0_E_clISt17integral_constantIbLb1EES1Q_EEDaS1L_S1M_EUlS1L_E_NS1_11comp_targetILNS1_3genE8ELNS1_11target_archE1030ELNS1_3gpuE2ELNS1_3repE0EEENS1_30default_config_static_selectorELNS0_4arch9wavefront6targetE1EEEvSZ_
; %bb.0:
	.section	.rodata,"a",@progbits
	.p2align	6, 0x0
	.amdhsa_kernel _ZN7rocprim17ROCPRIM_400000_NS6detail17trampoline_kernelINS0_13select_configILj256ELj13ELNS0_17block_load_methodE3ELS4_3ELS4_3ELNS0_20block_scan_algorithmE0ELj4294967295EEENS1_25partition_config_selectorILNS1_17partition_subalgoE3EjNS0_10empty_typeEbEEZZNS1_14partition_implILS8_3ELb0ES6_jNS0_17counting_iteratorIjlEEPS9_SE_NS0_5tupleIJPjSE_EEENSF_IJSE_SE_EEES9_SG_JZNS1_25segmented_radix_sort_implINS0_14default_configELb0EPK12hip_bfloat16PSL_PKlPlN2at6native12_GLOBAL__N_18offset_tEEE10hipError_tPvRmT1_PNSt15iterator_traitsISZ_E10value_typeET2_T3_PNS10_IS15_E10value_typeET4_jRbjT5_S1B_jjP12ihipStream_tbEUljE_EEESW_SX_SY_S15_S19_S1B_T6_T7_T9_mT8_S1D_bDpT10_ENKUlT_T0_E_clISt17integral_constantIbLb1EES1Q_EEDaS1L_S1M_EUlS1L_E_NS1_11comp_targetILNS1_3genE8ELNS1_11target_archE1030ELNS1_3gpuE2ELNS1_3repE0EEENS1_30default_config_static_selectorELNS0_4arch9wavefront6targetE1EEEvSZ_
		.amdhsa_group_segment_fixed_size 0
		.amdhsa_private_segment_fixed_size 0
		.amdhsa_kernarg_size 152
		.amdhsa_user_sgpr_count 6
		.amdhsa_user_sgpr_private_segment_buffer 1
		.amdhsa_user_sgpr_dispatch_ptr 0
		.amdhsa_user_sgpr_queue_ptr 0
		.amdhsa_user_sgpr_kernarg_segment_ptr 1
		.amdhsa_user_sgpr_dispatch_id 0
		.amdhsa_user_sgpr_flat_scratch_init 0
		.amdhsa_user_sgpr_kernarg_preload_length 0
		.amdhsa_user_sgpr_kernarg_preload_offset 0
		.amdhsa_user_sgpr_private_segment_size 0
		.amdhsa_uses_dynamic_stack 0
		.amdhsa_system_sgpr_private_segment_wavefront_offset 0
		.amdhsa_system_sgpr_workgroup_id_x 1
		.amdhsa_system_sgpr_workgroup_id_y 0
		.amdhsa_system_sgpr_workgroup_id_z 0
		.amdhsa_system_sgpr_workgroup_info 0
		.amdhsa_system_vgpr_workitem_id 0
		.amdhsa_next_free_vgpr 1
		.amdhsa_next_free_sgpr 0
		.amdhsa_accum_offset 4
		.amdhsa_reserve_vcc 0
		.amdhsa_reserve_flat_scratch 0
		.amdhsa_float_round_mode_32 0
		.amdhsa_float_round_mode_16_64 0
		.amdhsa_float_denorm_mode_32 3
		.amdhsa_float_denorm_mode_16_64 3
		.amdhsa_dx10_clamp 1
		.amdhsa_ieee_mode 1
		.amdhsa_fp16_overflow 0
		.amdhsa_tg_split 0
		.amdhsa_exception_fp_ieee_invalid_op 0
		.amdhsa_exception_fp_denorm_src 0
		.amdhsa_exception_fp_ieee_div_zero 0
		.amdhsa_exception_fp_ieee_overflow 0
		.amdhsa_exception_fp_ieee_underflow 0
		.amdhsa_exception_fp_ieee_inexact 0
		.amdhsa_exception_int_div_zero 0
	.end_amdhsa_kernel
	.section	.text._ZN7rocprim17ROCPRIM_400000_NS6detail17trampoline_kernelINS0_13select_configILj256ELj13ELNS0_17block_load_methodE3ELS4_3ELS4_3ELNS0_20block_scan_algorithmE0ELj4294967295EEENS1_25partition_config_selectorILNS1_17partition_subalgoE3EjNS0_10empty_typeEbEEZZNS1_14partition_implILS8_3ELb0ES6_jNS0_17counting_iteratorIjlEEPS9_SE_NS0_5tupleIJPjSE_EEENSF_IJSE_SE_EEES9_SG_JZNS1_25segmented_radix_sort_implINS0_14default_configELb0EPK12hip_bfloat16PSL_PKlPlN2at6native12_GLOBAL__N_18offset_tEEE10hipError_tPvRmT1_PNSt15iterator_traitsISZ_E10value_typeET2_T3_PNS10_IS15_E10value_typeET4_jRbjT5_S1B_jjP12ihipStream_tbEUljE_EEESW_SX_SY_S15_S19_S1B_T6_T7_T9_mT8_S1D_bDpT10_ENKUlT_T0_E_clISt17integral_constantIbLb1EES1Q_EEDaS1L_S1M_EUlS1L_E_NS1_11comp_targetILNS1_3genE8ELNS1_11target_archE1030ELNS1_3gpuE2ELNS1_3repE0EEENS1_30default_config_static_selectorELNS0_4arch9wavefront6targetE1EEEvSZ_,"axG",@progbits,_ZN7rocprim17ROCPRIM_400000_NS6detail17trampoline_kernelINS0_13select_configILj256ELj13ELNS0_17block_load_methodE3ELS4_3ELS4_3ELNS0_20block_scan_algorithmE0ELj4294967295EEENS1_25partition_config_selectorILNS1_17partition_subalgoE3EjNS0_10empty_typeEbEEZZNS1_14partition_implILS8_3ELb0ES6_jNS0_17counting_iteratorIjlEEPS9_SE_NS0_5tupleIJPjSE_EEENSF_IJSE_SE_EEES9_SG_JZNS1_25segmented_radix_sort_implINS0_14default_configELb0EPK12hip_bfloat16PSL_PKlPlN2at6native12_GLOBAL__N_18offset_tEEE10hipError_tPvRmT1_PNSt15iterator_traitsISZ_E10value_typeET2_T3_PNS10_IS15_E10value_typeET4_jRbjT5_S1B_jjP12ihipStream_tbEUljE_EEESW_SX_SY_S15_S19_S1B_T6_T7_T9_mT8_S1D_bDpT10_ENKUlT_T0_E_clISt17integral_constantIbLb1EES1Q_EEDaS1L_S1M_EUlS1L_E_NS1_11comp_targetILNS1_3genE8ELNS1_11target_archE1030ELNS1_3gpuE2ELNS1_3repE0EEENS1_30default_config_static_selectorELNS0_4arch9wavefront6targetE1EEEvSZ_,comdat
.Lfunc_end2030:
	.size	_ZN7rocprim17ROCPRIM_400000_NS6detail17trampoline_kernelINS0_13select_configILj256ELj13ELNS0_17block_load_methodE3ELS4_3ELS4_3ELNS0_20block_scan_algorithmE0ELj4294967295EEENS1_25partition_config_selectorILNS1_17partition_subalgoE3EjNS0_10empty_typeEbEEZZNS1_14partition_implILS8_3ELb0ES6_jNS0_17counting_iteratorIjlEEPS9_SE_NS0_5tupleIJPjSE_EEENSF_IJSE_SE_EEES9_SG_JZNS1_25segmented_radix_sort_implINS0_14default_configELb0EPK12hip_bfloat16PSL_PKlPlN2at6native12_GLOBAL__N_18offset_tEEE10hipError_tPvRmT1_PNSt15iterator_traitsISZ_E10value_typeET2_T3_PNS10_IS15_E10value_typeET4_jRbjT5_S1B_jjP12ihipStream_tbEUljE_EEESW_SX_SY_S15_S19_S1B_T6_T7_T9_mT8_S1D_bDpT10_ENKUlT_T0_E_clISt17integral_constantIbLb1EES1Q_EEDaS1L_S1M_EUlS1L_E_NS1_11comp_targetILNS1_3genE8ELNS1_11target_archE1030ELNS1_3gpuE2ELNS1_3repE0EEENS1_30default_config_static_selectorELNS0_4arch9wavefront6targetE1EEEvSZ_, .Lfunc_end2030-_ZN7rocprim17ROCPRIM_400000_NS6detail17trampoline_kernelINS0_13select_configILj256ELj13ELNS0_17block_load_methodE3ELS4_3ELS4_3ELNS0_20block_scan_algorithmE0ELj4294967295EEENS1_25partition_config_selectorILNS1_17partition_subalgoE3EjNS0_10empty_typeEbEEZZNS1_14partition_implILS8_3ELb0ES6_jNS0_17counting_iteratorIjlEEPS9_SE_NS0_5tupleIJPjSE_EEENSF_IJSE_SE_EEES9_SG_JZNS1_25segmented_radix_sort_implINS0_14default_configELb0EPK12hip_bfloat16PSL_PKlPlN2at6native12_GLOBAL__N_18offset_tEEE10hipError_tPvRmT1_PNSt15iterator_traitsISZ_E10value_typeET2_T3_PNS10_IS15_E10value_typeET4_jRbjT5_S1B_jjP12ihipStream_tbEUljE_EEESW_SX_SY_S15_S19_S1B_T6_T7_T9_mT8_S1D_bDpT10_ENKUlT_T0_E_clISt17integral_constantIbLb1EES1Q_EEDaS1L_S1M_EUlS1L_E_NS1_11comp_targetILNS1_3genE8ELNS1_11target_archE1030ELNS1_3gpuE2ELNS1_3repE0EEENS1_30default_config_static_selectorELNS0_4arch9wavefront6targetE1EEEvSZ_
                                        ; -- End function
	.section	.AMDGPU.csdata,"",@progbits
; Kernel info:
; codeLenInByte = 0
; NumSgprs: 4
; NumVgprs: 0
; NumAgprs: 0
; TotalNumVgprs: 0
; ScratchSize: 0
; MemoryBound: 0
; FloatMode: 240
; IeeeMode: 1
; LDSByteSize: 0 bytes/workgroup (compile time only)
; SGPRBlocks: 0
; VGPRBlocks: 0
; NumSGPRsForWavesPerEU: 4
; NumVGPRsForWavesPerEU: 1
; AccumOffset: 4
; Occupancy: 8
; WaveLimiterHint : 0
; COMPUTE_PGM_RSRC2:SCRATCH_EN: 0
; COMPUTE_PGM_RSRC2:USER_SGPR: 6
; COMPUTE_PGM_RSRC2:TRAP_HANDLER: 0
; COMPUTE_PGM_RSRC2:TGID_X_EN: 1
; COMPUTE_PGM_RSRC2:TGID_Y_EN: 0
; COMPUTE_PGM_RSRC2:TGID_Z_EN: 0
; COMPUTE_PGM_RSRC2:TIDIG_COMP_CNT: 0
; COMPUTE_PGM_RSRC3_GFX90A:ACCUM_OFFSET: 0
; COMPUTE_PGM_RSRC3_GFX90A:TG_SPLIT: 0
	.section	.text._ZN7rocprim17ROCPRIM_400000_NS6detail17trampoline_kernelINS0_13select_configILj256ELj13ELNS0_17block_load_methodE3ELS4_3ELS4_3ELNS0_20block_scan_algorithmE0ELj4294967295EEENS1_25partition_config_selectorILNS1_17partition_subalgoE3EjNS0_10empty_typeEbEEZZNS1_14partition_implILS8_3ELb0ES6_jNS0_17counting_iteratorIjlEEPS9_SE_NS0_5tupleIJPjSE_EEENSF_IJSE_SE_EEES9_SG_JZNS1_25segmented_radix_sort_implINS0_14default_configELb0EPK12hip_bfloat16PSL_PKlPlN2at6native12_GLOBAL__N_18offset_tEEE10hipError_tPvRmT1_PNSt15iterator_traitsISZ_E10value_typeET2_T3_PNS10_IS15_E10value_typeET4_jRbjT5_S1B_jjP12ihipStream_tbEUljE_EEESW_SX_SY_S15_S19_S1B_T6_T7_T9_mT8_S1D_bDpT10_ENKUlT_T0_E_clISt17integral_constantIbLb1EES1P_IbLb0EEEEDaS1L_S1M_EUlS1L_E_NS1_11comp_targetILNS1_3genE0ELNS1_11target_archE4294967295ELNS1_3gpuE0ELNS1_3repE0EEENS1_30default_config_static_selectorELNS0_4arch9wavefront6targetE1EEEvSZ_,"axG",@progbits,_ZN7rocprim17ROCPRIM_400000_NS6detail17trampoline_kernelINS0_13select_configILj256ELj13ELNS0_17block_load_methodE3ELS4_3ELS4_3ELNS0_20block_scan_algorithmE0ELj4294967295EEENS1_25partition_config_selectorILNS1_17partition_subalgoE3EjNS0_10empty_typeEbEEZZNS1_14partition_implILS8_3ELb0ES6_jNS0_17counting_iteratorIjlEEPS9_SE_NS0_5tupleIJPjSE_EEENSF_IJSE_SE_EEES9_SG_JZNS1_25segmented_radix_sort_implINS0_14default_configELb0EPK12hip_bfloat16PSL_PKlPlN2at6native12_GLOBAL__N_18offset_tEEE10hipError_tPvRmT1_PNSt15iterator_traitsISZ_E10value_typeET2_T3_PNS10_IS15_E10value_typeET4_jRbjT5_S1B_jjP12ihipStream_tbEUljE_EEESW_SX_SY_S15_S19_S1B_T6_T7_T9_mT8_S1D_bDpT10_ENKUlT_T0_E_clISt17integral_constantIbLb1EES1P_IbLb0EEEEDaS1L_S1M_EUlS1L_E_NS1_11comp_targetILNS1_3genE0ELNS1_11target_archE4294967295ELNS1_3gpuE0ELNS1_3repE0EEENS1_30default_config_static_selectorELNS0_4arch9wavefront6targetE1EEEvSZ_,comdat
	.globl	_ZN7rocprim17ROCPRIM_400000_NS6detail17trampoline_kernelINS0_13select_configILj256ELj13ELNS0_17block_load_methodE3ELS4_3ELS4_3ELNS0_20block_scan_algorithmE0ELj4294967295EEENS1_25partition_config_selectorILNS1_17partition_subalgoE3EjNS0_10empty_typeEbEEZZNS1_14partition_implILS8_3ELb0ES6_jNS0_17counting_iteratorIjlEEPS9_SE_NS0_5tupleIJPjSE_EEENSF_IJSE_SE_EEES9_SG_JZNS1_25segmented_radix_sort_implINS0_14default_configELb0EPK12hip_bfloat16PSL_PKlPlN2at6native12_GLOBAL__N_18offset_tEEE10hipError_tPvRmT1_PNSt15iterator_traitsISZ_E10value_typeET2_T3_PNS10_IS15_E10value_typeET4_jRbjT5_S1B_jjP12ihipStream_tbEUljE_EEESW_SX_SY_S15_S19_S1B_T6_T7_T9_mT8_S1D_bDpT10_ENKUlT_T0_E_clISt17integral_constantIbLb1EES1P_IbLb0EEEEDaS1L_S1M_EUlS1L_E_NS1_11comp_targetILNS1_3genE0ELNS1_11target_archE4294967295ELNS1_3gpuE0ELNS1_3repE0EEENS1_30default_config_static_selectorELNS0_4arch9wavefront6targetE1EEEvSZ_ ; -- Begin function _ZN7rocprim17ROCPRIM_400000_NS6detail17trampoline_kernelINS0_13select_configILj256ELj13ELNS0_17block_load_methodE3ELS4_3ELS4_3ELNS0_20block_scan_algorithmE0ELj4294967295EEENS1_25partition_config_selectorILNS1_17partition_subalgoE3EjNS0_10empty_typeEbEEZZNS1_14partition_implILS8_3ELb0ES6_jNS0_17counting_iteratorIjlEEPS9_SE_NS0_5tupleIJPjSE_EEENSF_IJSE_SE_EEES9_SG_JZNS1_25segmented_radix_sort_implINS0_14default_configELb0EPK12hip_bfloat16PSL_PKlPlN2at6native12_GLOBAL__N_18offset_tEEE10hipError_tPvRmT1_PNSt15iterator_traitsISZ_E10value_typeET2_T3_PNS10_IS15_E10value_typeET4_jRbjT5_S1B_jjP12ihipStream_tbEUljE_EEESW_SX_SY_S15_S19_S1B_T6_T7_T9_mT8_S1D_bDpT10_ENKUlT_T0_E_clISt17integral_constantIbLb1EES1P_IbLb0EEEEDaS1L_S1M_EUlS1L_E_NS1_11comp_targetILNS1_3genE0ELNS1_11target_archE4294967295ELNS1_3gpuE0ELNS1_3repE0EEENS1_30default_config_static_selectorELNS0_4arch9wavefront6targetE1EEEvSZ_
	.p2align	8
	.type	_ZN7rocprim17ROCPRIM_400000_NS6detail17trampoline_kernelINS0_13select_configILj256ELj13ELNS0_17block_load_methodE3ELS4_3ELS4_3ELNS0_20block_scan_algorithmE0ELj4294967295EEENS1_25partition_config_selectorILNS1_17partition_subalgoE3EjNS0_10empty_typeEbEEZZNS1_14partition_implILS8_3ELb0ES6_jNS0_17counting_iteratorIjlEEPS9_SE_NS0_5tupleIJPjSE_EEENSF_IJSE_SE_EEES9_SG_JZNS1_25segmented_radix_sort_implINS0_14default_configELb0EPK12hip_bfloat16PSL_PKlPlN2at6native12_GLOBAL__N_18offset_tEEE10hipError_tPvRmT1_PNSt15iterator_traitsISZ_E10value_typeET2_T3_PNS10_IS15_E10value_typeET4_jRbjT5_S1B_jjP12ihipStream_tbEUljE_EEESW_SX_SY_S15_S19_S1B_T6_T7_T9_mT8_S1D_bDpT10_ENKUlT_T0_E_clISt17integral_constantIbLb1EES1P_IbLb0EEEEDaS1L_S1M_EUlS1L_E_NS1_11comp_targetILNS1_3genE0ELNS1_11target_archE4294967295ELNS1_3gpuE0ELNS1_3repE0EEENS1_30default_config_static_selectorELNS0_4arch9wavefront6targetE1EEEvSZ_,@function
_ZN7rocprim17ROCPRIM_400000_NS6detail17trampoline_kernelINS0_13select_configILj256ELj13ELNS0_17block_load_methodE3ELS4_3ELS4_3ELNS0_20block_scan_algorithmE0ELj4294967295EEENS1_25partition_config_selectorILNS1_17partition_subalgoE3EjNS0_10empty_typeEbEEZZNS1_14partition_implILS8_3ELb0ES6_jNS0_17counting_iteratorIjlEEPS9_SE_NS0_5tupleIJPjSE_EEENSF_IJSE_SE_EEES9_SG_JZNS1_25segmented_radix_sort_implINS0_14default_configELb0EPK12hip_bfloat16PSL_PKlPlN2at6native12_GLOBAL__N_18offset_tEEE10hipError_tPvRmT1_PNSt15iterator_traitsISZ_E10value_typeET2_T3_PNS10_IS15_E10value_typeET4_jRbjT5_S1B_jjP12ihipStream_tbEUljE_EEESW_SX_SY_S15_S19_S1B_T6_T7_T9_mT8_S1D_bDpT10_ENKUlT_T0_E_clISt17integral_constantIbLb1EES1P_IbLb0EEEEDaS1L_S1M_EUlS1L_E_NS1_11comp_targetILNS1_3genE0ELNS1_11target_archE4294967295ELNS1_3gpuE0ELNS1_3repE0EEENS1_30default_config_static_selectorELNS0_4arch9wavefront6targetE1EEEvSZ_: ; @_ZN7rocprim17ROCPRIM_400000_NS6detail17trampoline_kernelINS0_13select_configILj256ELj13ELNS0_17block_load_methodE3ELS4_3ELS4_3ELNS0_20block_scan_algorithmE0ELj4294967295EEENS1_25partition_config_selectorILNS1_17partition_subalgoE3EjNS0_10empty_typeEbEEZZNS1_14partition_implILS8_3ELb0ES6_jNS0_17counting_iteratorIjlEEPS9_SE_NS0_5tupleIJPjSE_EEENSF_IJSE_SE_EEES9_SG_JZNS1_25segmented_radix_sort_implINS0_14default_configELb0EPK12hip_bfloat16PSL_PKlPlN2at6native12_GLOBAL__N_18offset_tEEE10hipError_tPvRmT1_PNSt15iterator_traitsISZ_E10value_typeET2_T3_PNS10_IS15_E10value_typeET4_jRbjT5_S1B_jjP12ihipStream_tbEUljE_EEESW_SX_SY_S15_S19_S1B_T6_T7_T9_mT8_S1D_bDpT10_ENKUlT_T0_E_clISt17integral_constantIbLb1EES1P_IbLb0EEEEDaS1L_S1M_EUlS1L_E_NS1_11comp_targetILNS1_3genE0ELNS1_11target_archE4294967295ELNS1_3gpuE0ELNS1_3repE0EEENS1_30default_config_static_selectorELNS0_4arch9wavefront6targetE1EEEvSZ_
; %bb.0:
	.section	.rodata,"a",@progbits
	.p2align	6, 0x0
	.amdhsa_kernel _ZN7rocprim17ROCPRIM_400000_NS6detail17trampoline_kernelINS0_13select_configILj256ELj13ELNS0_17block_load_methodE3ELS4_3ELS4_3ELNS0_20block_scan_algorithmE0ELj4294967295EEENS1_25partition_config_selectorILNS1_17partition_subalgoE3EjNS0_10empty_typeEbEEZZNS1_14partition_implILS8_3ELb0ES6_jNS0_17counting_iteratorIjlEEPS9_SE_NS0_5tupleIJPjSE_EEENSF_IJSE_SE_EEES9_SG_JZNS1_25segmented_radix_sort_implINS0_14default_configELb0EPK12hip_bfloat16PSL_PKlPlN2at6native12_GLOBAL__N_18offset_tEEE10hipError_tPvRmT1_PNSt15iterator_traitsISZ_E10value_typeET2_T3_PNS10_IS15_E10value_typeET4_jRbjT5_S1B_jjP12ihipStream_tbEUljE_EEESW_SX_SY_S15_S19_S1B_T6_T7_T9_mT8_S1D_bDpT10_ENKUlT_T0_E_clISt17integral_constantIbLb1EES1P_IbLb0EEEEDaS1L_S1M_EUlS1L_E_NS1_11comp_targetILNS1_3genE0ELNS1_11target_archE4294967295ELNS1_3gpuE0ELNS1_3repE0EEENS1_30default_config_static_selectorELNS0_4arch9wavefront6targetE1EEEvSZ_
		.amdhsa_group_segment_fixed_size 0
		.amdhsa_private_segment_fixed_size 0
		.amdhsa_kernarg_size 144
		.amdhsa_user_sgpr_count 6
		.amdhsa_user_sgpr_private_segment_buffer 1
		.amdhsa_user_sgpr_dispatch_ptr 0
		.amdhsa_user_sgpr_queue_ptr 0
		.amdhsa_user_sgpr_kernarg_segment_ptr 1
		.amdhsa_user_sgpr_dispatch_id 0
		.amdhsa_user_sgpr_flat_scratch_init 0
		.amdhsa_user_sgpr_kernarg_preload_length 0
		.amdhsa_user_sgpr_kernarg_preload_offset 0
		.amdhsa_user_sgpr_private_segment_size 0
		.amdhsa_uses_dynamic_stack 0
		.amdhsa_system_sgpr_private_segment_wavefront_offset 0
		.amdhsa_system_sgpr_workgroup_id_x 1
		.amdhsa_system_sgpr_workgroup_id_y 0
		.amdhsa_system_sgpr_workgroup_id_z 0
		.amdhsa_system_sgpr_workgroup_info 0
		.amdhsa_system_vgpr_workitem_id 0
		.amdhsa_next_free_vgpr 1
		.amdhsa_next_free_sgpr 0
		.amdhsa_accum_offset 4
		.amdhsa_reserve_vcc 0
		.amdhsa_reserve_flat_scratch 0
		.amdhsa_float_round_mode_32 0
		.amdhsa_float_round_mode_16_64 0
		.amdhsa_float_denorm_mode_32 3
		.amdhsa_float_denorm_mode_16_64 3
		.amdhsa_dx10_clamp 1
		.amdhsa_ieee_mode 1
		.amdhsa_fp16_overflow 0
		.amdhsa_tg_split 0
		.amdhsa_exception_fp_ieee_invalid_op 0
		.amdhsa_exception_fp_denorm_src 0
		.amdhsa_exception_fp_ieee_div_zero 0
		.amdhsa_exception_fp_ieee_overflow 0
		.amdhsa_exception_fp_ieee_underflow 0
		.amdhsa_exception_fp_ieee_inexact 0
		.amdhsa_exception_int_div_zero 0
	.end_amdhsa_kernel
	.section	.text._ZN7rocprim17ROCPRIM_400000_NS6detail17trampoline_kernelINS0_13select_configILj256ELj13ELNS0_17block_load_methodE3ELS4_3ELS4_3ELNS0_20block_scan_algorithmE0ELj4294967295EEENS1_25partition_config_selectorILNS1_17partition_subalgoE3EjNS0_10empty_typeEbEEZZNS1_14partition_implILS8_3ELb0ES6_jNS0_17counting_iteratorIjlEEPS9_SE_NS0_5tupleIJPjSE_EEENSF_IJSE_SE_EEES9_SG_JZNS1_25segmented_radix_sort_implINS0_14default_configELb0EPK12hip_bfloat16PSL_PKlPlN2at6native12_GLOBAL__N_18offset_tEEE10hipError_tPvRmT1_PNSt15iterator_traitsISZ_E10value_typeET2_T3_PNS10_IS15_E10value_typeET4_jRbjT5_S1B_jjP12ihipStream_tbEUljE_EEESW_SX_SY_S15_S19_S1B_T6_T7_T9_mT8_S1D_bDpT10_ENKUlT_T0_E_clISt17integral_constantIbLb1EES1P_IbLb0EEEEDaS1L_S1M_EUlS1L_E_NS1_11comp_targetILNS1_3genE0ELNS1_11target_archE4294967295ELNS1_3gpuE0ELNS1_3repE0EEENS1_30default_config_static_selectorELNS0_4arch9wavefront6targetE1EEEvSZ_,"axG",@progbits,_ZN7rocprim17ROCPRIM_400000_NS6detail17trampoline_kernelINS0_13select_configILj256ELj13ELNS0_17block_load_methodE3ELS4_3ELS4_3ELNS0_20block_scan_algorithmE0ELj4294967295EEENS1_25partition_config_selectorILNS1_17partition_subalgoE3EjNS0_10empty_typeEbEEZZNS1_14partition_implILS8_3ELb0ES6_jNS0_17counting_iteratorIjlEEPS9_SE_NS0_5tupleIJPjSE_EEENSF_IJSE_SE_EEES9_SG_JZNS1_25segmented_radix_sort_implINS0_14default_configELb0EPK12hip_bfloat16PSL_PKlPlN2at6native12_GLOBAL__N_18offset_tEEE10hipError_tPvRmT1_PNSt15iterator_traitsISZ_E10value_typeET2_T3_PNS10_IS15_E10value_typeET4_jRbjT5_S1B_jjP12ihipStream_tbEUljE_EEESW_SX_SY_S15_S19_S1B_T6_T7_T9_mT8_S1D_bDpT10_ENKUlT_T0_E_clISt17integral_constantIbLb1EES1P_IbLb0EEEEDaS1L_S1M_EUlS1L_E_NS1_11comp_targetILNS1_3genE0ELNS1_11target_archE4294967295ELNS1_3gpuE0ELNS1_3repE0EEENS1_30default_config_static_selectorELNS0_4arch9wavefront6targetE1EEEvSZ_,comdat
.Lfunc_end2031:
	.size	_ZN7rocprim17ROCPRIM_400000_NS6detail17trampoline_kernelINS0_13select_configILj256ELj13ELNS0_17block_load_methodE3ELS4_3ELS4_3ELNS0_20block_scan_algorithmE0ELj4294967295EEENS1_25partition_config_selectorILNS1_17partition_subalgoE3EjNS0_10empty_typeEbEEZZNS1_14partition_implILS8_3ELb0ES6_jNS0_17counting_iteratorIjlEEPS9_SE_NS0_5tupleIJPjSE_EEENSF_IJSE_SE_EEES9_SG_JZNS1_25segmented_radix_sort_implINS0_14default_configELb0EPK12hip_bfloat16PSL_PKlPlN2at6native12_GLOBAL__N_18offset_tEEE10hipError_tPvRmT1_PNSt15iterator_traitsISZ_E10value_typeET2_T3_PNS10_IS15_E10value_typeET4_jRbjT5_S1B_jjP12ihipStream_tbEUljE_EEESW_SX_SY_S15_S19_S1B_T6_T7_T9_mT8_S1D_bDpT10_ENKUlT_T0_E_clISt17integral_constantIbLb1EES1P_IbLb0EEEEDaS1L_S1M_EUlS1L_E_NS1_11comp_targetILNS1_3genE0ELNS1_11target_archE4294967295ELNS1_3gpuE0ELNS1_3repE0EEENS1_30default_config_static_selectorELNS0_4arch9wavefront6targetE1EEEvSZ_, .Lfunc_end2031-_ZN7rocprim17ROCPRIM_400000_NS6detail17trampoline_kernelINS0_13select_configILj256ELj13ELNS0_17block_load_methodE3ELS4_3ELS4_3ELNS0_20block_scan_algorithmE0ELj4294967295EEENS1_25partition_config_selectorILNS1_17partition_subalgoE3EjNS0_10empty_typeEbEEZZNS1_14partition_implILS8_3ELb0ES6_jNS0_17counting_iteratorIjlEEPS9_SE_NS0_5tupleIJPjSE_EEENSF_IJSE_SE_EEES9_SG_JZNS1_25segmented_radix_sort_implINS0_14default_configELb0EPK12hip_bfloat16PSL_PKlPlN2at6native12_GLOBAL__N_18offset_tEEE10hipError_tPvRmT1_PNSt15iterator_traitsISZ_E10value_typeET2_T3_PNS10_IS15_E10value_typeET4_jRbjT5_S1B_jjP12ihipStream_tbEUljE_EEESW_SX_SY_S15_S19_S1B_T6_T7_T9_mT8_S1D_bDpT10_ENKUlT_T0_E_clISt17integral_constantIbLb1EES1P_IbLb0EEEEDaS1L_S1M_EUlS1L_E_NS1_11comp_targetILNS1_3genE0ELNS1_11target_archE4294967295ELNS1_3gpuE0ELNS1_3repE0EEENS1_30default_config_static_selectorELNS0_4arch9wavefront6targetE1EEEvSZ_
                                        ; -- End function
	.section	.AMDGPU.csdata,"",@progbits
; Kernel info:
; codeLenInByte = 0
; NumSgprs: 4
; NumVgprs: 0
; NumAgprs: 0
; TotalNumVgprs: 0
; ScratchSize: 0
; MemoryBound: 0
; FloatMode: 240
; IeeeMode: 1
; LDSByteSize: 0 bytes/workgroup (compile time only)
; SGPRBlocks: 0
; VGPRBlocks: 0
; NumSGPRsForWavesPerEU: 4
; NumVGPRsForWavesPerEU: 1
; AccumOffset: 4
; Occupancy: 8
; WaveLimiterHint : 0
; COMPUTE_PGM_RSRC2:SCRATCH_EN: 0
; COMPUTE_PGM_RSRC2:USER_SGPR: 6
; COMPUTE_PGM_RSRC2:TRAP_HANDLER: 0
; COMPUTE_PGM_RSRC2:TGID_X_EN: 1
; COMPUTE_PGM_RSRC2:TGID_Y_EN: 0
; COMPUTE_PGM_RSRC2:TGID_Z_EN: 0
; COMPUTE_PGM_RSRC2:TIDIG_COMP_CNT: 0
; COMPUTE_PGM_RSRC3_GFX90A:ACCUM_OFFSET: 0
; COMPUTE_PGM_RSRC3_GFX90A:TG_SPLIT: 0
	.section	.text._ZN7rocprim17ROCPRIM_400000_NS6detail17trampoline_kernelINS0_13select_configILj256ELj13ELNS0_17block_load_methodE3ELS4_3ELS4_3ELNS0_20block_scan_algorithmE0ELj4294967295EEENS1_25partition_config_selectorILNS1_17partition_subalgoE3EjNS0_10empty_typeEbEEZZNS1_14partition_implILS8_3ELb0ES6_jNS0_17counting_iteratorIjlEEPS9_SE_NS0_5tupleIJPjSE_EEENSF_IJSE_SE_EEES9_SG_JZNS1_25segmented_radix_sort_implINS0_14default_configELb0EPK12hip_bfloat16PSL_PKlPlN2at6native12_GLOBAL__N_18offset_tEEE10hipError_tPvRmT1_PNSt15iterator_traitsISZ_E10value_typeET2_T3_PNS10_IS15_E10value_typeET4_jRbjT5_S1B_jjP12ihipStream_tbEUljE_EEESW_SX_SY_S15_S19_S1B_T6_T7_T9_mT8_S1D_bDpT10_ENKUlT_T0_E_clISt17integral_constantIbLb1EES1P_IbLb0EEEEDaS1L_S1M_EUlS1L_E_NS1_11comp_targetILNS1_3genE5ELNS1_11target_archE942ELNS1_3gpuE9ELNS1_3repE0EEENS1_30default_config_static_selectorELNS0_4arch9wavefront6targetE1EEEvSZ_,"axG",@progbits,_ZN7rocprim17ROCPRIM_400000_NS6detail17trampoline_kernelINS0_13select_configILj256ELj13ELNS0_17block_load_methodE3ELS4_3ELS4_3ELNS0_20block_scan_algorithmE0ELj4294967295EEENS1_25partition_config_selectorILNS1_17partition_subalgoE3EjNS0_10empty_typeEbEEZZNS1_14partition_implILS8_3ELb0ES6_jNS0_17counting_iteratorIjlEEPS9_SE_NS0_5tupleIJPjSE_EEENSF_IJSE_SE_EEES9_SG_JZNS1_25segmented_radix_sort_implINS0_14default_configELb0EPK12hip_bfloat16PSL_PKlPlN2at6native12_GLOBAL__N_18offset_tEEE10hipError_tPvRmT1_PNSt15iterator_traitsISZ_E10value_typeET2_T3_PNS10_IS15_E10value_typeET4_jRbjT5_S1B_jjP12ihipStream_tbEUljE_EEESW_SX_SY_S15_S19_S1B_T6_T7_T9_mT8_S1D_bDpT10_ENKUlT_T0_E_clISt17integral_constantIbLb1EES1P_IbLb0EEEEDaS1L_S1M_EUlS1L_E_NS1_11comp_targetILNS1_3genE5ELNS1_11target_archE942ELNS1_3gpuE9ELNS1_3repE0EEENS1_30default_config_static_selectorELNS0_4arch9wavefront6targetE1EEEvSZ_,comdat
	.globl	_ZN7rocprim17ROCPRIM_400000_NS6detail17trampoline_kernelINS0_13select_configILj256ELj13ELNS0_17block_load_methodE3ELS4_3ELS4_3ELNS0_20block_scan_algorithmE0ELj4294967295EEENS1_25partition_config_selectorILNS1_17partition_subalgoE3EjNS0_10empty_typeEbEEZZNS1_14partition_implILS8_3ELb0ES6_jNS0_17counting_iteratorIjlEEPS9_SE_NS0_5tupleIJPjSE_EEENSF_IJSE_SE_EEES9_SG_JZNS1_25segmented_radix_sort_implINS0_14default_configELb0EPK12hip_bfloat16PSL_PKlPlN2at6native12_GLOBAL__N_18offset_tEEE10hipError_tPvRmT1_PNSt15iterator_traitsISZ_E10value_typeET2_T3_PNS10_IS15_E10value_typeET4_jRbjT5_S1B_jjP12ihipStream_tbEUljE_EEESW_SX_SY_S15_S19_S1B_T6_T7_T9_mT8_S1D_bDpT10_ENKUlT_T0_E_clISt17integral_constantIbLb1EES1P_IbLb0EEEEDaS1L_S1M_EUlS1L_E_NS1_11comp_targetILNS1_3genE5ELNS1_11target_archE942ELNS1_3gpuE9ELNS1_3repE0EEENS1_30default_config_static_selectorELNS0_4arch9wavefront6targetE1EEEvSZ_ ; -- Begin function _ZN7rocprim17ROCPRIM_400000_NS6detail17trampoline_kernelINS0_13select_configILj256ELj13ELNS0_17block_load_methodE3ELS4_3ELS4_3ELNS0_20block_scan_algorithmE0ELj4294967295EEENS1_25partition_config_selectorILNS1_17partition_subalgoE3EjNS0_10empty_typeEbEEZZNS1_14partition_implILS8_3ELb0ES6_jNS0_17counting_iteratorIjlEEPS9_SE_NS0_5tupleIJPjSE_EEENSF_IJSE_SE_EEES9_SG_JZNS1_25segmented_radix_sort_implINS0_14default_configELb0EPK12hip_bfloat16PSL_PKlPlN2at6native12_GLOBAL__N_18offset_tEEE10hipError_tPvRmT1_PNSt15iterator_traitsISZ_E10value_typeET2_T3_PNS10_IS15_E10value_typeET4_jRbjT5_S1B_jjP12ihipStream_tbEUljE_EEESW_SX_SY_S15_S19_S1B_T6_T7_T9_mT8_S1D_bDpT10_ENKUlT_T0_E_clISt17integral_constantIbLb1EES1P_IbLb0EEEEDaS1L_S1M_EUlS1L_E_NS1_11comp_targetILNS1_3genE5ELNS1_11target_archE942ELNS1_3gpuE9ELNS1_3repE0EEENS1_30default_config_static_selectorELNS0_4arch9wavefront6targetE1EEEvSZ_
	.p2align	8
	.type	_ZN7rocprim17ROCPRIM_400000_NS6detail17trampoline_kernelINS0_13select_configILj256ELj13ELNS0_17block_load_methodE3ELS4_3ELS4_3ELNS0_20block_scan_algorithmE0ELj4294967295EEENS1_25partition_config_selectorILNS1_17partition_subalgoE3EjNS0_10empty_typeEbEEZZNS1_14partition_implILS8_3ELb0ES6_jNS0_17counting_iteratorIjlEEPS9_SE_NS0_5tupleIJPjSE_EEENSF_IJSE_SE_EEES9_SG_JZNS1_25segmented_radix_sort_implINS0_14default_configELb0EPK12hip_bfloat16PSL_PKlPlN2at6native12_GLOBAL__N_18offset_tEEE10hipError_tPvRmT1_PNSt15iterator_traitsISZ_E10value_typeET2_T3_PNS10_IS15_E10value_typeET4_jRbjT5_S1B_jjP12ihipStream_tbEUljE_EEESW_SX_SY_S15_S19_S1B_T6_T7_T9_mT8_S1D_bDpT10_ENKUlT_T0_E_clISt17integral_constantIbLb1EES1P_IbLb0EEEEDaS1L_S1M_EUlS1L_E_NS1_11comp_targetILNS1_3genE5ELNS1_11target_archE942ELNS1_3gpuE9ELNS1_3repE0EEENS1_30default_config_static_selectorELNS0_4arch9wavefront6targetE1EEEvSZ_,@function
_ZN7rocprim17ROCPRIM_400000_NS6detail17trampoline_kernelINS0_13select_configILj256ELj13ELNS0_17block_load_methodE3ELS4_3ELS4_3ELNS0_20block_scan_algorithmE0ELj4294967295EEENS1_25partition_config_selectorILNS1_17partition_subalgoE3EjNS0_10empty_typeEbEEZZNS1_14partition_implILS8_3ELb0ES6_jNS0_17counting_iteratorIjlEEPS9_SE_NS0_5tupleIJPjSE_EEENSF_IJSE_SE_EEES9_SG_JZNS1_25segmented_radix_sort_implINS0_14default_configELb0EPK12hip_bfloat16PSL_PKlPlN2at6native12_GLOBAL__N_18offset_tEEE10hipError_tPvRmT1_PNSt15iterator_traitsISZ_E10value_typeET2_T3_PNS10_IS15_E10value_typeET4_jRbjT5_S1B_jjP12ihipStream_tbEUljE_EEESW_SX_SY_S15_S19_S1B_T6_T7_T9_mT8_S1D_bDpT10_ENKUlT_T0_E_clISt17integral_constantIbLb1EES1P_IbLb0EEEEDaS1L_S1M_EUlS1L_E_NS1_11comp_targetILNS1_3genE5ELNS1_11target_archE942ELNS1_3gpuE9ELNS1_3repE0EEENS1_30default_config_static_selectorELNS0_4arch9wavefront6targetE1EEEvSZ_: ; @_ZN7rocprim17ROCPRIM_400000_NS6detail17trampoline_kernelINS0_13select_configILj256ELj13ELNS0_17block_load_methodE3ELS4_3ELS4_3ELNS0_20block_scan_algorithmE0ELj4294967295EEENS1_25partition_config_selectorILNS1_17partition_subalgoE3EjNS0_10empty_typeEbEEZZNS1_14partition_implILS8_3ELb0ES6_jNS0_17counting_iteratorIjlEEPS9_SE_NS0_5tupleIJPjSE_EEENSF_IJSE_SE_EEES9_SG_JZNS1_25segmented_radix_sort_implINS0_14default_configELb0EPK12hip_bfloat16PSL_PKlPlN2at6native12_GLOBAL__N_18offset_tEEE10hipError_tPvRmT1_PNSt15iterator_traitsISZ_E10value_typeET2_T3_PNS10_IS15_E10value_typeET4_jRbjT5_S1B_jjP12ihipStream_tbEUljE_EEESW_SX_SY_S15_S19_S1B_T6_T7_T9_mT8_S1D_bDpT10_ENKUlT_T0_E_clISt17integral_constantIbLb1EES1P_IbLb0EEEEDaS1L_S1M_EUlS1L_E_NS1_11comp_targetILNS1_3genE5ELNS1_11target_archE942ELNS1_3gpuE9ELNS1_3repE0EEENS1_30default_config_static_selectorELNS0_4arch9wavefront6targetE1EEEvSZ_
; %bb.0:
	.section	.rodata,"a",@progbits
	.p2align	6, 0x0
	.amdhsa_kernel _ZN7rocprim17ROCPRIM_400000_NS6detail17trampoline_kernelINS0_13select_configILj256ELj13ELNS0_17block_load_methodE3ELS4_3ELS4_3ELNS0_20block_scan_algorithmE0ELj4294967295EEENS1_25partition_config_selectorILNS1_17partition_subalgoE3EjNS0_10empty_typeEbEEZZNS1_14partition_implILS8_3ELb0ES6_jNS0_17counting_iteratorIjlEEPS9_SE_NS0_5tupleIJPjSE_EEENSF_IJSE_SE_EEES9_SG_JZNS1_25segmented_radix_sort_implINS0_14default_configELb0EPK12hip_bfloat16PSL_PKlPlN2at6native12_GLOBAL__N_18offset_tEEE10hipError_tPvRmT1_PNSt15iterator_traitsISZ_E10value_typeET2_T3_PNS10_IS15_E10value_typeET4_jRbjT5_S1B_jjP12ihipStream_tbEUljE_EEESW_SX_SY_S15_S19_S1B_T6_T7_T9_mT8_S1D_bDpT10_ENKUlT_T0_E_clISt17integral_constantIbLb1EES1P_IbLb0EEEEDaS1L_S1M_EUlS1L_E_NS1_11comp_targetILNS1_3genE5ELNS1_11target_archE942ELNS1_3gpuE9ELNS1_3repE0EEENS1_30default_config_static_selectorELNS0_4arch9wavefront6targetE1EEEvSZ_
		.amdhsa_group_segment_fixed_size 0
		.amdhsa_private_segment_fixed_size 0
		.amdhsa_kernarg_size 144
		.amdhsa_user_sgpr_count 6
		.amdhsa_user_sgpr_private_segment_buffer 1
		.amdhsa_user_sgpr_dispatch_ptr 0
		.amdhsa_user_sgpr_queue_ptr 0
		.amdhsa_user_sgpr_kernarg_segment_ptr 1
		.amdhsa_user_sgpr_dispatch_id 0
		.amdhsa_user_sgpr_flat_scratch_init 0
		.amdhsa_user_sgpr_kernarg_preload_length 0
		.amdhsa_user_sgpr_kernarg_preload_offset 0
		.amdhsa_user_sgpr_private_segment_size 0
		.amdhsa_uses_dynamic_stack 0
		.amdhsa_system_sgpr_private_segment_wavefront_offset 0
		.amdhsa_system_sgpr_workgroup_id_x 1
		.amdhsa_system_sgpr_workgroup_id_y 0
		.amdhsa_system_sgpr_workgroup_id_z 0
		.amdhsa_system_sgpr_workgroup_info 0
		.amdhsa_system_vgpr_workitem_id 0
		.amdhsa_next_free_vgpr 1
		.amdhsa_next_free_sgpr 0
		.amdhsa_accum_offset 4
		.amdhsa_reserve_vcc 0
		.amdhsa_reserve_flat_scratch 0
		.amdhsa_float_round_mode_32 0
		.amdhsa_float_round_mode_16_64 0
		.amdhsa_float_denorm_mode_32 3
		.amdhsa_float_denorm_mode_16_64 3
		.amdhsa_dx10_clamp 1
		.amdhsa_ieee_mode 1
		.amdhsa_fp16_overflow 0
		.amdhsa_tg_split 0
		.amdhsa_exception_fp_ieee_invalid_op 0
		.amdhsa_exception_fp_denorm_src 0
		.amdhsa_exception_fp_ieee_div_zero 0
		.amdhsa_exception_fp_ieee_overflow 0
		.amdhsa_exception_fp_ieee_underflow 0
		.amdhsa_exception_fp_ieee_inexact 0
		.amdhsa_exception_int_div_zero 0
	.end_amdhsa_kernel
	.section	.text._ZN7rocprim17ROCPRIM_400000_NS6detail17trampoline_kernelINS0_13select_configILj256ELj13ELNS0_17block_load_methodE3ELS4_3ELS4_3ELNS0_20block_scan_algorithmE0ELj4294967295EEENS1_25partition_config_selectorILNS1_17partition_subalgoE3EjNS0_10empty_typeEbEEZZNS1_14partition_implILS8_3ELb0ES6_jNS0_17counting_iteratorIjlEEPS9_SE_NS0_5tupleIJPjSE_EEENSF_IJSE_SE_EEES9_SG_JZNS1_25segmented_radix_sort_implINS0_14default_configELb0EPK12hip_bfloat16PSL_PKlPlN2at6native12_GLOBAL__N_18offset_tEEE10hipError_tPvRmT1_PNSt15iterator_traitsISZ_E10value_typeET2_T3_PNS10_IS15_E10value_typeET4_jRbjT5_S1B_jjP12ihipStream_tbEUljE_EEESW_SX_SY_S15_S19_S1B_T6_T7_T9_mT8_S1D_bDpT10_ENKUlT_T0_E_clISt17integral_constantIbLb1EES1P_IbLb0EEEEDaS1L_S1M_EUlS1L_E_NS1_11comp_targetILNS1_3genE5ELNS1_11target_archE942ELNS1_3gpuE9ELNS1_3repE0EEENS1_30default_config_static_selectorELNS0_4arch9wavefront6targetE1EEEvSZ_,"axG",@progbits,_ZN7rocprim17ROCPRIM_400000_NS6detail17trampoline_kernelINS0_13select_configILj256ELj13ELNS0_17block_load_methodE3ELS4_3ELS4_3ELNS0_20block_scan_algorithmE0ELj4294967295EEENS1_25partition_config_selectorILNS1_17partition_subalgoE3EjNS0_10empty_typeEbEEZZNS1_14partition_implILS8_3ELb0ES6_jNS0_17counting_iteratorIjlEEPS9_SE_NS0_5tupleIJPjSE_EEENSF_IJSE_SE_EEES9_SG_JZNS1_25segmented_radix_sort_implINS0_14default_configELb0EPK12hip_bfloat16PSL_PKlPlN2at6native12_GLOBAL__N_18offset_tEEE10hipError_tPvRmT1_PNSt15iterator_traitsISZ_E10value_typeET2_T3_PNS10_IS15_E10value_typeET4_jRbjT5_S1B_jjP12ihipStream_tbEUljE_EEESW_SX_SY_S15_S19_S1B_T6_T7_T9_mT8_S1D_bDpT10_ENKUlT_T0_E_clISt17integral_constantIbLb1EES1P_IbLb0EEEEDaS1L_S1M_EUlS1L_E_NS1_11comp_targetILNS1_3genE5ELNS1_11target_archE942ELNS1_3gpuE9ELNS1_3repE0EEENS1_30default_config_static_selectorELNS0_4arch9wavefront6targetE1EEEvSZ_,comdat
.Lfunc_end2032:
	.size	_ZN7rocprim17ROCPRIM_400000_NS6detail17trampoline_kernelINS0_13select_configILj256ELj13ELNS0_17block_load_methodE3ELS4_3ELS4_3ELNS0_20block_scan_algorithmE0ELj4294967295EEENS1_25partition_config_selectorILNS1_17partition_subalgoE3EjNS0_10empty_typeEbEEZZNS1_14partition_implILS8_3ELb0ES6_jNS0_17counting_iteratorIjlEEPS9_SE_NS0_5tupleIJPjSE_EEENSF_IJSE_SE_EEES9_SG_JZNS1_25segmented_radix_sort_implINS0_14default_configELb0EPK12hip_bfloat16PSL_PKlPlN2at6native12_GLOBAL__N_18offset_tEEE10hipError_tPvRmT1_PNSt15iterator_traitsISZ_E10value_typeET2_T3_PNS10_IS15_E10value_typeET4_jRbjT5_S1B_jjP12ihipStream_tbEUljE_EEESW_SX_SY_S15_S19_S1B_T6_T7_T9_mT8_S1D_bDpT10_ENKUlT_T0_E_clISt17integral_constantIbLb1EES1P_IbLb0EEEEDaS1L_S1M_EUlS1L_E_NS1_11comp_targetILNS1_3genE5ELNS1_11target_archE942ELNS1_3gpuE9ELNS1_3repE0EEENS1_30default_config_static_selectorELNS0_4arch9wavefront6targetE1EEEvSZ_, .Lfunc_end2032-_ZN7rocprim17ROCPRIM_400000_NS6detail17trampoline_kernelINS0_13select_configILj256ELj13ELNS0_17block_load_methodE3ELS4_3ELS4_3ELNS0_20block_scan_algorithmE0ELj4294967295EEENS1_25partition_config_selectorILNS1_17partition_subalgoE3EjNS0_10empty_typeEbEEZZNS1_14partition_implILS8_3ELb0ES6_jNS0_17counting_iteratorIjlEEPS9_SE_NS0_5tupleIJPjSE_EEENSF_IJSE_SE_EEES9_SG_JZNS1_25segmented_radix_sort_implINS0_14default_configELb0EPK12hip_bfloat16PSL_PKlPlN2at6native12_GLOBAL__N_18offset_tEEE10hipError_tPvRmT1_PNSt15iterator_traitsISZ_E10value_typeET2_T3_PNS10_IS15_E10value_typeET4_jRbjT5_S1B_jjP12ihipStream_tbEUljE_EEESW_SX_SY_S15_S19_S1B_T6_T7_T9_mT8_S1D_bDpT10_ENKUlT_T0_E_clISt17integral_constantIbLb1EES1P_IbLb0EEEEDaS1L_S1M_EUlS1L_E_NS1_11comp_targetILNS1_3genE5ELNS1_11target_archE942ELNS1_3gpuE9ELNS1_3repE0EEENS1_30default_config_static_selectorELNS0_4arch9wavefront6targetE1EEEvSZ_
                                        ; -- End function
	.section	.AMDGPU.csdata,"",@progbits
; Kernel info:
; codeLenInByte = 0
; NumSgprs: 4
; NumVgprs: 0
; NumAgprs: 0
; TotalNumVgprs: 0
; ScratchSize: 0
; MemoryBound: 0
; FloatMode: 240
; IeeeMode: 1
; LDSByteSize: 0 bytes/workgroup (compile time only)
; SGPRBlocks: 0
; VGPRBlocks: 0
; NumSGPRsForWavesPerEU: 4
; NumVGPRsForWavesPerEU: 1
; AccumOffset: 4
; Occupancy: 8
; WaveLimiterHint : 0
; COMPUTE_PGM_RSRC2:SCRATCH_EN: 0
; COMPUTE_PGM_RSRC2:USER_SGPR: 6
; COMPUTE_PGM_RSRC2:TRAP_HANDLER: 0
; COMPUTE_PGM_RSRC2:TGID_X_EN: 1
; COMPUTE_PGM_RSRC2:TGID_Y_EN: 0
; COMPUTE_PGM_RSRC2:TGID_Z_EN: 0
; COMPUTE_PGM_RSRC2:TIDIG_COMP_CNT: 0
; COMPUTE_PGM_RSRC3_GFX90A:ACCUM_OFFSET: 0
; COMPUTE_PGM_RSRC3_GFX90A:TG_SPLIT: 0
	.section	.text._ZN7rocprim17ROCPRIM_400000_NS6detail17trampoline_kernelINS0_13select_configILj256ELj13ELNS0_17block_load_methodE3ELS4_3ELS4_3ELNS0_20block_scan_algorithmE0ELj4294967295EEENS1_25partition_config_selectorILNS1_17partition_subalgoE3EjNS0_10empty_typeEbEEZZNS1_14partition_implILS8_3ELb0ES6_jNS0_17counting_iteratorIjlEEPS9_SE_NS0_5tupleIJPjSE_EEENSF_IJSE_SE_EEES9_SG_JZNS1_25segmented_radix_sort_implINS0_14default_configELb0EPK12hip_bfloat16PSL_PKlPlN2at6native12_GLOBAL__N_18offset_tEEE10hipError_tPvRmT1_PNSt15iterator_traitsISZ_E10value_typeET2_T3_PNS10_IS15_E10value_typeET4_jRbjT5_S1B_jjP12ihipStream_tbEUljE_EEESW_SX_SY_S15_S19_S1B_T6_T7_T9_mT8_S1D_bDpT10_ENKUlT_T0_E_clISt17integral_constantIbLb1EES1P_IbLb0EEEEDaS1L_S1M_EUlS1L_E_NS1_11comp_targetILNS1_3genE4ELNS1_11target_archE910ELNS1_3gpuE8ELNS1_3repE0EEENS1_30default_config_static_selectorELNS0_4arch9wavefront6targetE1EEEvSZ_,"axG",@progbits,_ZN7rocprim17ROCPRIM_400000_NS6detail17trampoline_kernelINS0_13select_configILj256ELj13ELNS0_17block_load_methodE3ELS4_3ELS4_3ELNS0_20block_scan_algorithmE0ELj4294967295EEENS1_25partition_config_selectorILNS1_17partition_subalgoE3EjNS0_10empty_typeEbEEZZNS1_14partition_implILS8_3ELb0ES6_jNS0_17counting_iteratorIjlEEPS9_SE_NS0_5tupleIJPjSE_EEENSF_IJSE_SE_EEES9_SG_JZNS1_25segmented_radix_sort_implINS0_14default_configELb0EPK12hip_bfloat16PSL_PKlPlN2at6native12_GLOBAL__N_18offset_tEEE10hipError_tPvRmT1_PNSt15iterator_traitsISZ_E10value_typeET2_T3_PNS10_IS15_E10value_typeET4_jRbjT5_S1B_jjP12ihipStream_tbEUljE_EEESW_SX_SY_S15_S19_S1B_T6_T7_T9_mT8_S1D_bDpT10_ENKUlT_T0_E_clISt17integral_constantIbLb1EES1P_IbLb0EEEEDaS1L_S1M_EUlS1L_E_NS1_11comp_targetILNS1_3genE4ELNS1_11target_archE910ELNS1_3gpuE8ELNS1_3repE0EEENS1_30default_config_static_selectorELNS0_4arch9wavefront6targetE1EEEvSZ_,comdat
	.globl	_ZN7rocprim17ROCPRIM_400000_NS6detail17trampoline_kernelINS0_13select_configILj256ELj13ELNS0_17block_load_methodE3ELS4_3ELS4_3ELNS0_20block_scan_algorithmE0ELj4294967295EEENS1_25partition_config_selectorILNS1_17partition_subalgoE3EjNS0_10empty_typeEbEEZZNS1_14partition_implILS8_3ELb0ES6_jNS0_17counting_iteratorIjlEEPS9_SE_NS0_5tupleIJPjSE_EEENSF_IJSE_SE_EEES9_SG_JZNS1_25segmented_radix_sort_implINS0_14default_configELb0EPK12hip_bfloat16PSL_PKlPlN2at6native12_GLOBAL__N_18offset_tEEE10hipError_tPvRmT1_PNSt15iterator_traitsISZ_E10value_typeET2_T3_PNS10_IS15_E10value_typeET4_jRbjT5_S1B_jjP12ihipStream_tbEUljE_EEESW_SX_SY_S15_S19_S1B_T6_T7_T9_mT8_S1D_bDpT10_ENKUlT_T0_E_clISt17integral_constantIbLb1EES1P_IbLb0EEEEDaS1L_S1M_EUlS1L_E_NS1_11comp_targetILNS1_3genE4ELNS1_11target_archE910ELNS1_3gpuE8ELNS1_3repE0EEENS1_30default_config_static_selectorELNS0_4arch9wavefront6targetE1EEEvSZ_ ; -- Begin function _ZN7rocprim17ROCPRIM_400000_NS6detail17trampoline_kernelINS0_13select_configILj256ELj13ELNS0_17block_load_methodE3ELS4_3ELS4_3ELNS0_20block_scan_algorithmE0ELj4294967295EEENS1_25partition_config_selectorILNS1_17partition_subalgoE3EjNS0_10empty_typeEbEEZZNS1_14partition_implILS8_3ELb0ES6_jNS0_17counting_iteratorIjlEEPS9_SE_NS0_5tupleIJPjSE_EEENSF_IJSE_SE_EEES9_SG_JZNS1_25segmented_radix_sort_implINS0_14default_configELb0EPK12hip_bfloat16PSL_PKlPlN2at6native12_GLOBAL__N_18offset_tEEE10hipError_tPvRmT1_PNSt15iterator_traitsISZ_E10value_typeET2_T3_PNS10_IS15_E10value_typeET4_jRbjT5_S1B_jjP12ihipStream_tbEUljE_EEESW_SX_SY_S15_S19_S1B_T6_T7_T9_mT8_S1D_bDpT10_ENKUlT_T0_E_clISt17integral_constantIbLb1EES1P_IbLb0EEEEDaS1L_S1M_EUlS1L_E_NS1_11comp_targetILNS1_3genE4ELNS1_11target_archE910ELNS1_3gpuE8ELNS1_3repE0EEENS1_30default_config_static_selectorELNS0_4arch9wavefront6targetE1EEEvSZ_
	.p2align	8
	.type	_ZN7rocprim17ROCPRIM_400000_NS6detail17trampoline_kernelINS0_13select_configILj256ELj13ELNS0_17block_load_methodE3ELS4_3ELS4_3ELNS0_20block_scan_algorithmE0ELj4294967295EEENS1_25partition_config_selectorILNS1_17partition_subalgoE3EjNS0_10empty_typeEbEEZZNS1_14partition_implILS8_3ELb0ES6_jNS0_17counting_iteratorIjlEEPS9_SE_NS0_5tupleIJPjSE_EEENSF_IJSE_SE_EEES9_SG_JZNS1_25segmented_radix_sort_implINS0_14default_configELb0EPK12hip_bfloat16PSL_PKlPlN2at6native12_GLOBAL__N_18offset_tEEE10hipError_tPvRmT1_PNSt15iterator_traitsISZ_E10value_typeET2_T3_PNS10_IS15_E10value_typeET4_jRbjT5_S1B_jjP12ihipStream_tbEUljE_EEESW_SX_SY_S15_S19_S1B_T6_T7_T9_mT8_S1D_bDpT10_ENKUlT_T0_E_clISt17integral_constantIbLb1EES1P_IbLb0EEEEDaS1L_S1M_EUlS1L_E_NS1_11comp_targetILNS1_3genE4ELNS1_11target_archE910ELNS1_3gpuE8ELNS1_3repE0EEENS1_30default_config_static_selectorELNS0_4arch9wavefront6targetE1EEEvSZ_,@function
_ZN7rocprim17ROCPRIM_400000_NS6detail17trampoline_kernelINS0_13select_configILj256ELj13ELNS0_17block_load_methodE3ELS4_3ELS4_3ELNS0_20block_scan_algorithmE0ELj4294967295EEENS1_25partition_config_selectorILNS1_17partition_subalgoE3EjNS0_10empty_typeEbEEZZNS1_14partition_implILS8_3ELb0ES6_jNS0_17counting_iteratorIjlEEPS9_SE_NS0_5tupleIJPjSE_EEENSF_IJSE_SE_EEES9_SG_JZNS1_25segmented_radix_sort_implINS0_14default_configELb0EPK12hip_bfloat16PSL_PKlPlN2at6native12_GLOBAL__N_18offset_tEEE10hipError_tPvRmT1_PNSt15iterator_traitsISZ_E10value_typeET2_T3_PNS10_IS15_E10value_typeET4_jRbjT5_S1B_jjP12ihipStream_tbEUljE_EEESW_SX_SY_S15_S19_S1B_T6_T7_T9_mT8_S1D_bDpT10_ENKUlT_T0_E_clISt17integral_constantIbLb1EES1P_IbLb0EEEEDaS1L_S1M_EUlS1L_E_NS1_11comp_targetILNS1_3genE4ELNS1_11target_archE910ELNS1_3gpuE8ELNS1_3repE0EEENS1_30default_config_static_selectorELNS0_4arch9wavefront6targetE1EEEvSZ_: ; @_ZN7rocprim17ROCPRIM_400000_NS6detail17trampoline_kernelINS0_13select_configILj256ELj13ELNS0_17block_load_methodE3ELS4_3ELS4_3ELNS0_20block_scan_algorithmE0ELj4294967295EEENS1_25partition_config_selectorILNS1_17partition_subalgoE3EjNS0_10empty_typeEbEEZZNS1_14partition_implILS8_3ELb0ES6_jNS0_17counting_iteratorIjlEEPS9_SE_NS0_5tupleIJPjSE_EEENSF_IJSE_SE_EEES9_SG_JZNS1_25segmented_radix_sort_implINS0_14default_configELb0EPK12hip_bfloat16PSL_PKlPlN2at6native12_GLOBAL__N_18offset_tEEE10hipError_tPvRmT1_PNSt15iterator_traitsISZ_E10value_typeET2_T3_PNS10_IS15_E10value_typeET4_jRbjT5_S1B_jjP12ihipStream_tbEUljE_EEESW_SX_SY_S15_S19_S1B_T6_T7_T9_mT8_S1D_bDpT10_ENKUlT_T0_E_clISt17integral_constantIbLb1EES1P_IbLb0EEEEDaS1L_S1M_EUlS1L_E_NS1_11comp_targetILNS1_3genE4ELNS1_11target_archE910ELNS1_3gpuE8ELNS1_3repE0EEENS1_30default_config_static_selectorELNS0_4arch9wavefront6targetE1EEEvSZ_
; %bb.0:
	s_load_dwordx2 s[26:27], s[4:5], 0x58
	s_load_dwordx4 s[20:23], s[4:5], 0x48
	s_load_dword s13, s[4:5], 0x8
	s_load_dwordx2 s[28:29], s[4:5], 0x10
	s_load_dword s12, s[4:5], 0x70
	s_load_dword s7, s[4:5], 0x88
	s_load_dwordx4 s[8:11], s[4:5], 0x78
	s_waitcnt lgkmcnt(0)
	s_load_dwordx2 s[30:31], s[22:23], 0x0
	v_pk_mov_b32 v[2:3], s[26:27], s[26:27] op_sel:[0,1]
	s_add_i32 s2, s12, -1
	s_mulk_i32 s12, 0xd00
	s_add_u32 s0, s28, s12
	s_addc_u32 s1, s29, 0
	s_cmp_eq_u32 s6, s2
	s_cselect_b64 s[22:23], -1, 0
	s_cmp_lg_u32 s6, s2
	s_mul_i32 s42, s6, 0xd00
	v_cmp_lt_u64_e32 vcc, s[0:1], v[2:3]
	s_cselect_b64 s[0:1], -1, 0
	s_or_b64 s[2:3], s[0:1], vcc
	s_add_i32 s0, s13, s42
	s_add_i32 s0, s0, s28
	v_add_u32_e32 v2, s0, v0
	s_mov_b64 s[0:1], -1
	s_and_b64 vcc, exec, s[2:3]
	v_lshlrev_b32_e32 v1, 2, v0
	s_cbranch_vccz .LBB2033_2
; %bb.1:
	v_add_u32_e32 v3, 0x100, v2
	v_add_u32_e32 v4, 0x200, v2
	;; [unrolled: 1-line block ×12, first 2 shown]
	ds_write2st64_b32 v1, v2, v3 offset1:4
	ds_write2st64_b32 v1, v4, v5 offset0:8 offset1:12
	ds_write2st64_b32 v1, v6, v7 offset0:16 offset1:20
	;; [unrolled: 1-line block ×5, first 2 shown]
	ds_write_b32 v1, v14 offset:12288
	s_waitcnt lgkmcnt(0)
	s_barrier
	s_mov_b64 s[0:1], 0
.LBB2033_2:
	s_andn2_b64 vcc, exec, s[0:1]
	s_add_i32 s12, s12, s28
	s_cbranch_vccnz .LBB2033_4
; %bb.3:
	v_add_u32_e32 v3, 0x100, v2
	v_add_u32_e32 v4, 0x200, v2
	;; [unrolled: 1-line block ×12, first 2 shown]
	ds_write2st64_b32 v1, v2, v3 offset1:4
	ds_write2st64_b32 v1, v4, v5 offset0:8 offset1:12
	ds_write2st64_b32 v1, v6, v7 offset0:16 offset1:20
	;; [unrolled: 1-line block ×5, first 2 shown]
	ds_write_b32 v1, v14 offset:12288
	s_waitcnt lgkmcnt(0)
	s_barrier
.LBB2033_4:
	v_mul_u32_u24_e32 v33, 13, v0
	v_lshlrev_b32_e32 v2, 2, v33
	s_waitcnt lgkmcnt(0)
	ds_read2_b32 v[30:31], v2 offset1:1
	ds_read2_b32 v[28:29], v2 offset0:2 offset1:3
	ds_read2_b32 v[26:27], v2 offset0:4 offset1:5
	;; [unrolled: 1-line block ×5, first 2 shown]
	ds_read_b32 v32, v2 offset:48
	v_cndmask_b32_e64 v2, 0, 1, s[2:3]
	s_sub_i32 s33, s26, s12
	v_cmp_ne_u32_e64 s[0:1], 1, v2
	s_andn2_b64 vcc, exec, s[2:3]
	s_waitcnt lgkmcnt(0)
	s_barrier
	s_cbranch_vccnz .LBB2033_6
; %bb.5:
	v_add_u32_e32 v2, s9, v30
	v_add_u32_e32 v3, s11, v30
	v_mul_lo_u32 v2, v2, s8
	v_mul_lo_u32 v3, v3, s10
	v_sub_u32_e32 v2, v2, v3
	v_add_u32_e32 v3, s9, v31
	v_add_u32_e32 v4, s11, v31
	v_mul_lo_u32 v3, v3, s8
	v_mul_lo_u32 v4, v4, s10
	v_sub_u32_e32 v3, v3, v4
	v_add_u32_e32 v4, s9, v28
	v_add_u32_e32 v5, s11, v28
	v_mul_lo_u32 v4, v4, s8
	v_mul_lo_u32 v5, v5, s10
	v_sub_u32_e32 v4, v4, v5
	v_add_u32_e32 v5, s9, v29
	v_add_u32_e32 v6, s11, v29
	v_mul_lo_u32 v5, v5, s8
	v_mul_lo_u32 v6, v6, s10
	v_sub_u32_e32 v5, v5, v6
	v_add_u32_e32 v6, s9, v26
	v_add_u32_e32 v7, s11, v26
	v_mul_lo_u32 v6, v6, s8
	v_mul_lo_u32 v7, v7, s10
	v_sub_u32_e32 v6, v6, v7
	v_add_u32_e32 v7, s9, v27
	v_add_u32_e32 v8, s11, v27
	v_mul_lo_u32 v7, v7, s8
	v_mul_lo_u32 v8, v8, s10
	v_sub_u32_e32 v7, v7, v8
	v_add_u32_e32 v8, s9, v24
	v_add_u32_e32 v9, s11, v24
	v_mul_lo_u32 v8, v8, s8
	v_mul_lo_u32 v9, v9, s10
	v_cmp_lt_u32_e32 vcc, s7, v2
	v_sub_u32_e32 v8, v8, v9
	v_add_u32_e32 v9, s9, v25
	v_add_u32_e32 v10, s11, v25
	v_cndmask_b32_e64 v2, 0, 1, vcc
	v_cmp_lt_u32_e32 vcc, s7, v3
	v_mul_lo_u32 v9, v9, s8
	v_mul_lo_u32 v10, v10, s10
	v_cndmask_b32_e64 v3, 0, 1, vcc
	v_cmp_lt_u32_e32 vcc, s7, v4
	v_sub_u32_e32 v9, v9, v10
	v_add_u32_e32 v10, s9, v22
	v_add_u32_e32 v11, s11, v22
	v_cndmask_b32_e64 v4, 0, 1, vcc
	v_cmp_lt_u32_e32 vcc, s7, v5
	v_mul_lo_u32 v10, v10, s8
	v_mul_lo_u32 v11, v11, s10
	v_cndmask_b32_e64 v5, 0, 1, vcc
	v_cmp_lt_u32_e32 vcc, s7, v6
	v_sub_u32_e32 v10, v10, v11
	v_add_u32_e32 v11, s9, v23
	v_add_u32_e32 v12, s11, v23
	v_cndmask_b32_e64 v6, 0, 1, vcc
	v_cmp_lt_u32_e32 vcc, s7, v7
	v_mul_lo_u32 v11, v11, s8
	v_mul_lo_u32 v12, v12, s10
	v_cndmask_b32_e64 v7, 0, 1, vcc
	v_cmp_lt_u32_e32 vcc, s7, v8
	v_sub_u32_e32 v11, v11, v12
	v_add_u32_e32 v12, s9, v20
	v_add_u32_e32 v13, s11, v20
	v_cndmask_b32_e64 v8, 0, 1, vcc
	v_cmp_lt_u32_e32 vcc, s7, v9
	v_mul_lo_u32 v12, v12, s8
	v_mul_lo_u32 v13, v13, s10
	v_cndmask_b32_e64 v9, 0, 1, vcc
	v_cmp_lt_u32_e32 vcc, s7, v10
	v_sub_u32_e32 v12, v12, v13
	v_add_u32_e32 v13, s9, v21
	v_add_u32_e32 v14, s11, v21
	v_lshlrev_b16_e32 v3, 8, v3
	v_cndmask_b32_e64 v10, 0, 1, vcc
	v_cmp_lt_u32_e32 vcc, s7, v11
	v_mul_lo_u32 v13, v13, s8
	v_mul_lo_u32 v14, v14, s10
	v_or_b32_e32 v2, v2, v3
	v_lshlrev_b16_e32 v3, 8, v5
	v_cndmask_b32_e64 v11, 0, 1, vcc
	v_cmp_lt_u32_e32 vcc, s7, v12
	v_sub_u32_e32 v13, v13, v14
	v_or_b32_sdwa v3, v4, v3 dst_sel:WORD_1 dst_unused:UNUSED_PAD src0_sel:DWORD src1_sel:DWORD
	v_cndmask_b32_e64 v12, 0, 1, vcc
	v_cmp_lt_u32_e32 vcc, s7, v13
	v_add_u32_e32 v14, s9, v32
	v_add_u32_e32 v15, s11, v32
	v_or_b32_sdwa v37, v2, v3 dst_sel:DWORD dst_unused:UNUSED_PAD src0_sel:WORD_0 src1_sel:DWORD
	v_lshlrev_b16_e32 v2, 8, v7
	v_lshlrev_b16_e32 v3, 8, v9
	v_cndmask_b32_e64 v13, 0, 1, vcc
	v_mul_lo_u32 v14, v14, s8
	v_mul_lo_u32 v15, v15, s10
	v_or_b32_e32 v2, v6, v2
	v_or_b32_sdwa v3, v8, v3 dst_sel:WORD_1 dst_unused:UNUSED_PAD src0_sel:DWORD src1_sel:DWORD
	v_sub_u32_e32 v14, v14, v15
	v_or_b32_sdwa v36, v2, v3 dst_sel:DWORD dst_unused:UNUSED_PAD src0_sel:WORD_0 src1_sel:DWORD
	v_lshlrev_b16_e32 v2, 8, v11
	v_lshlrev_b16_e32 v3, 8, v13
	v_cmp_lt_u32_e32 vcc, s7, v14
	v_or_b32_e32 v2, v10, v2
	v_or_b32_sdwa v3, v12, v3 dst_sel:WORD_1 dst_unused:UNUSED_PAD src0_sel:DWORD src1_sel:DWORD
	v_cndmask_b32_e64 v34, 0, 1, vcc
	v_or_b32_sdwa v35, v2, v3 dst_sel:DWORD dst_unused:UNUSED_PAD src0_sel:WORD_0 src1_sel:DWORD
	s_mov_b64 s[2:3], 0
	s_branch .LBB2033_7
.LBB2033_6:
	s_mov_b64 s[2:3], -1
                                        ; implicit-def: $vgpr34
                                        ; implicit-def: $vgpr35
                                        ; implicit-def: $vgpr36
                                        ; implicit-def: $vgpr37
.LBB2033_7:
	s_load_dwordx2 s[24:25], s[4:5], 0x28
	s_load_dwordx2 s[34:35], s[4:5], 0x68
	s_andn2_b64 vcc, exec, s[2:3]
	s_addk_i32 s33, 0xd00
	s_cbranch_vccnz .LBB2033_35
; %bb.8:
	v_cmp_gt_u32_e32 vcc, s33, v33
	v_mov_b32_e32 v3, 0
	v_mov_b32_e32 v2, 0
	s_and_saveexec_b64 s[2:3], vcc
; %bb.9:
	v_add_u32_e32 v2, s9, v30
	v_add_u32_e32 v4, s11, v30
	v_mul_lo_u32 v2, v2, s8
	v_mul_lo_u32 v4, v4, s10
	v_sub_u32_e32 v2, v2, v4
	v_cmp_lt_u32_e32 vcc, s7, v2
	v_cndmask_b32_e64 v2, 0, 1, vcc
; %bb.10:
	s_or_b64 exec, exec, s[2:3]
	v_add_u32_e32 v4, 1, v33
	v_cmp_gt_u32_e32 vcc, s33, v4
	s_and_saveexec_b64 s[2:3], vcc
; %bb.11:
	v_add_u32_e32 v3, s9, v31
	v_add_u32_e32 v4, s11, v31
	v_mul_lo_u32 v3, v3, s8
	v_mul_lo_u32 v4, v4, s10
	v_sub_u32_e32 v3, v3, v4
	v_cmp_lt_u32_e32 vcc, s7, v3
	v_cndmask_b32_e64 v3, 0, 1, vcc
; %bb.12:
	s_or_b64 exec, exec, s[2:3]
	v_add_u32_e32 v4, 2, v33
	v_cmp_gt_u32_e32 vcc, s33, v4
	v_mov_b32_e32 v5, 0
	v_mov_b32_e32 v4, 0
	s_and_saveexec_b64 s[2:3], vcc
; %bb.13:
	v_add_u32_e32 v4, s9, v28
	v_add_u32_e32 v6, s11, v28
	v_mul_lo_u32 v4, v4, s8
	v_mul_lo_u32 v6, v6, s10
	v_sub_u32_e32 v4, v4, v6
	v_cmp_lt_u32_e32 vcc, s7, v4
	v_cndmask_b32_e64 v4, 0, 1, vcc
; %bb.14:
	s_or_b64 exec, exec, s[2:3]
	v_add_u32_e32 v6, 3, v33
	v_cmp_gt_u32_e32 vcc, s33, v6
	s_and_saveexec_b64 s[2:3], vcc
; %bb.15:
	v_add_u32_e32 v5, s9, v29
	v_add_u32_e32 v6, s11, v29
	v_mul_lo_u32 v5, v5, s8
	v_mul_lo_u32 v6, v6, s10
	v_sub_u32_e32 v5, v5, v6
	v_cmp_lt_u32_e32 vcc, s7, v5
	v_cndmask_b32_e64 v5, 0, 1, vcc
; %bb.16:
	s_or_b64 exec, exec, s[2:3]
	v_add_u32_e32 v6, 4, v33
	v_cmp_gt_u32_e32 vcc, s33, v6
	v_mov_b32_e32 v7, 0
	v_mov_b32_e32 v6, 0
	s_and_saveexec_b64 s[2:3], vcc
; %bb.17:
	v_add_u32_e32 v6, s9, v26
	v_add_u32_e32 v8, s11, v26
	v_mul_lo_u32 v6, v6, s8
	v_mul_lo_u32 v8, v8, s10
	v_sub_u32_e32 v6, v6, v8
	v_cmp_lt_u32_e32 vcc, s7, v6
	v_cndmask_b32_e64 v6, 0, 1, vcc
; %bb.18:
	s_or_b64 exec, exec, s[2:3]
	v_add_u32_e32 v8, 5, v33
	v_cmp_gt_u32_e32 vcc, s33, v8
	s_and_saveexec_b64 s[2:3], vcc
; %bb.19:
	v_add_u32_e32 v7, s9, v27
	v_add_u32_e32 v8, s11, v27
	v_mul_lo_u32 v7, v7, s8
	v_mul_lo_u32 v8, v8, s10
	v_sub_u32_e32 v7, v7, v8
	v_cmp_lt_u32_e32 vcc, s7, v7
	v_cndmask_b32_e64 v7, 0, 1, vcc
; %bb.20:
	s_or_b64 exec, exec, s[2:3]
	v_add_u32_e32 v8, 6, v33
	v_cmp_gt_u32_e32 vcc, s33, v8
	v_mov_b32_e32 v9, 0
	v_mov_b32_e32 v8, 0
	s_and_saveexec_b64 s[2:3], vcc
; %bb.21:
	v_add_u32_e32 v8, s9, v24
	v_add_u32_e32 v10, s11, v24
	v_mul_lo_u32 v8, v8, s8
	v_mul_lo_u32 v10, v10, s10
	v_sub_u32_e32 v8, v8, v10
	v_cmp_lt_u32_e32 vcc, s7, v8
	v_cndmask_b32_e64 v8, 0, 1, vcc
; %bb.22:
	s_or_b64 exec, exec, s[2:3]
	v_add_u32_e32 v10, 7, v33
	v_cmp_gt_u32_e32 vcc, s33, v10
	s_and_saveexec_b64 s[2:3], vcc
; %bb.23:
	v_add_u32_e32 v9, s9, v25
	v_add_u32_e32 v10, s11, v25
	v_mul_lo_u32 v9, v9, s8
	v_mul_lo_u32 v10, v10, s10
	v_sub_u32_e32 v9, v9, v10
	v_cmp_lt_u32_e32 vcc, s7, v9
	v_cndmask_b32_e64 v9, 0, 1, vcc
; %bb.24:
	s_or_b64 exec, exec, s[2:3]
	v_add_u32_e32 v10, 8, v33
	v_cmp_gt_u32_e32 vcc, s33, v10
	v_mov_b32_e32 v11, 0
	v_mov_b32_e32 v10, 0
	s_and_saveexec_b64 s[2:3], vcc
; %bb.25:
	v_add_u32_e32 v10, s9, v22
	v_add_u32_e32 v12, s11, v22
	v_mul_lo_u32 v10, v10, s8
	v_mul_lo_u32 v12, v12, s10
	v_sub_u32_e32 v10, v10, v12
	v_cmp_lt_u32_e32 vcc, s7, v10
	v_cndmask_b32_e64 v10, 0, 1, vcc
; %bb.26:
	s_or_b64 exec, exec, s[2:3]
	v_add_u32_e32 v12, 9, v33
	v_cmp_gt_u32_e32 vcc, s33, v12
	s_and_saveexec_b64 s[2:3], vcc
; %bb.27:
	v_add_u32_e32 v11, s9, v23
	v_add_u32_e32 v12, s11, v23
	v_mul_lo_u32 v11, v11, s8
	v_mul_lo_u32 v12, v12, s10
	v_sub_u32_e32 v11, v11, v12
	v_cmp_lt_u32_e32 vcc, s7, v11
	v_cndmask_b32_e64 v11, 0, 1, vcc
; %bb.28:
	s_or_b64 exec, exec, s[2:3]
	v_add_u32_e32 v12, 10, v33
	v_cmp_gt_u32_e32 vcc, s33, v12
	v_mov_b32_e32 v13, 0
	v_mov_b32_e32 v12, 0
	s_and_saveexec_b64 s[2:3], vcc
; %bb.29:
	v_add_u32_e32 v12, s9, v20
	v_add_u32_e32 v14, s11, v20
	v_mul_lo_u32 v12, v12, s8
	v_mul_lo_u32 v14, v14, s10
	v_sub_u32_e32 v12, v12, v14
	v_cmp_lt_u32_e32 vcc, s7, v12
	v_cndmask_b32_e64 v12, 0, 1, vcc
; %bb.30:
	s_or_b64 exec, exec, s[2:3]
	v_add_u32_e32 v14, 11, v33
	v_cmp_gt_u32_e32 vcc, s33, v14
	s_and_saveexec_b64 s[2:3], vcc
; %bb.31:
	v_add_u32_e32 v13, s9, v21
	v_add_u32_e32 v14, s11, v21
	v_mul_lo_u32 v13, v13, s8
	v_mul_lo_u32 v14, v14, s10
	v_sub_u32_e32 v13, v13, v14
	v_cmp_lt_u32_e32 vcc, s7, v13
	v_cndmask_b32_e64 v13, 0, 1, vcc
; %bb.32:
	s_or_b64 exec, exec, s[2:3]
	v_add_u32_e32 v14, 12, v33
	v_cmp_gt_u32_e32 vcc, s33, v14
	v_mov_b32_e32 v34, 0
	s_and_saveexec_b64 s[2:3], vcc
; %bb.33:
	v_add_u32_e32 v14, s9, v32
	v_add_u32_e32 v15, s11, v32
	v_mul_lo_u32 v14, v14, s8
	v_mul_lo_u32 v15, v15, s10
	v_sub_u32_e32 v14, v14, v15
	v_cmp_lt_u32_e32 vcc, s7, v14
	v_cndmask_b32_e64 v34, 0, 1, vcc
; %bb.34:
	s_or_b64 exec, exec, s[2:3]
	v_lshlrev_b16_e32 v3, 8, v3
	v_or_b32_e32 v2, v2, v3
	v_lshlrev_b16_e32 v3, 8, v5
	v_or_b32_sdwa v3, v4, v3 dst_sel:WORD_1 dst_unused:UNUSED_PAD src0_sel:DWORD src1_sel:DWORD
	v_or_b32_sdwa v37, v2, v3 dst_sel:DWORD dst_unused:UNUSED_PAD src0_sel:WORD_0 src1_sel:DWORD
	v_lshlrev_b16_e32 v2, 8, v7
	v_lshlrev_b16_e32 v3, 8, v9
	v_or_b32_e32 v2, v6, v2
	v_or_b32_sdwa v3, v8, v3 dst_sel:WORD_1 dst_unused:UNUSED_PAD src0_sel:DWORD src1_sel:DWORD
	v_or_b32_sdwa v36, v2, v3 dst_sel:DWORD dst_unused:UNUSED_PAD src0_sel:WORD_0 src1_sel:DWORD
	v_lshlrev_b16_e32 v2, 8, v11
	v_lshlrev_b16_e32 v3, 8, v13
	v_or_b32_e32 v2, v10, v2
	v_or_b32_sdwa v3, v12, v3 dst_sel:WORD_1 dst_unused:UNUSED_PAD src0_sel:DWORD src1_sel:DWORD
	v_or_b32_sdwa v35, v2, v3 dst_sel:DWORD dst_unused:UNUSED_PAD src0_sel:WORD_0 src1_sel:DWORD
.LBB2033_35:
	v_and_b32_e32 v41, 0xff, v37
	v_bfe_u32 v42, v37, 8, 8
	v_bfe_u32 v43, v37, 16, 8
	v_lshrrev_b32_e32 v40, 24, v37
	v_and_b32_e32 v44, 0xff, v36
	v_add3_u32 v3, v42, v41, v43
	v_bfe_u32 v45, v36, 8, 8
	v_bfe_u32 v46, v36, 16, 8
	v_add3_u32 v3, v3, v40, v44
	v_lshrrev_b32_e32 v39, 24, v36
	v_and_b32_e32 v47, 0xff, v35
	v_add3_u32 v3, v3, v45, v46
	v_bfe_u32 v48, v35, 8, 8
	v_bfe_u32 v49, v35, 16, 8
	v_add3_u32 v3, v3, v39, v47
	v_lshrrev_b32_e32 v38, 24, v35
	v_and_b32_e32 v2, 0xff, v34
	v_add3_u32 v3, v3, v48, v49
	v_add3_u32 v52, v3, v38, v2
	v_mbcnt_lo_u32_b32 v2, -1, 0
	v_mbcnt_hi_u32_b32 v50, -1, v2
	v_and_b32_e32 v2, 15, v50
	v_cmp_eq_u32_e64 s[14:15], 0, v2
	v_cmp_lt_u32_e64 s[12:13], 1, v2
	v_cmp_lt_u32_e64 s[10:11], 3, v2
	;; [unrolled: 1-line block ×3, first 2 shown]
	v_and_b32_e32 v2, 16, v50
	v_cmp_eq_u32_e64 s[18:19], 0, v2
	v_or_b32_e32 v2, 63, v0
	s_cmp_lg_u32 s6, 0
	v_cmp_lt_u32_e64 s[2:3], 31, v50
	v_lshrrev_b32_e32 v51, 6, v0
	v_cmp_eq_u32_e64 s[4:5], v2, v0
	s_cbranch_scc0 .LBB2033_66
; %bb.36:
	v_mov_b32_dpp v2, v52 row_shr:1 row_mask:0xf bank_mask:0xf
	v_cndmask_b32_e64 v2, v2, 0, s[14:15]
	v_add_u32_e32 v2, v2, v52
	s_nop 1
	v_mov_b32_dpp v3, v2 row_shr:2 row_mask:0xf bank_mask:0xf
	v_cndmask_b32_e64 v3, 0, v3, s[12:13]
	v_add_u32_e32 v2, v2, v3
	s_nop 1
	;; [unrolled: 4-line block ×4, first 2 shown]
	v_mov_b32_dpp v3, v2 row_bcast:15 row_mask:0xf bank_mask:0xf
	v_cndmask_b32_e64 v3, v3, 0, s[18:19]
	v_add_u32_e32 v2, v2, v3
	s_nop 1
	v_mov_b32_dpp v3, v2 row_bcast:31 row_mask:0xf bank_mask:0xf
	v_cndmask_b32_e64 v3, 0, v3, s[2:3]
	v_add_u32_e32 v2, v2, v3
	s_and_saveexec_b64 s[16:17], s[4:5]
	s_cbranch_execz .LBB2033_38
; %bb.37:
	v_lshlrev_b32_e32 v3, 2, v51
	ds_write_b32 v3, v2
.LBB2033_38:
	s_or_b64 exec, exec, s[16:17]
	v_cmp_gt_u32_e32 vcc, 4, v0
	s_waitcnt lgkmcnt(0)
	s_barrier
	s_and_saveexec_b64 s[16:17], vcc
	s_cbranch_execz .LBB2033_40
; %bb.39:
	ds_read_b32 v3, v1
	v_and_b32_e32 v4, 3, v50
	v_cmp_ne_u32_e32 vcc, 0, v4
	s_waitcnt lgkmcnt(0)
	v_mov_b32_dpp v5, v3 row_shr:1 row_mask:0xf bank_mask:0xf
	v_cndmask_b32_e32 v5, 0, v5, vcc
	v_add_u32_e32 v3, v5, v3
	v_cmp_lt_u32_e32 vcc, 1, v4
	s_nop 0
	v_mov_b32_dpp v5, v3 row_shr:2 row_mask:0xf bank_mask:0xf
	v_cndmask_b32_e32 v4, 0, v5, vcc
	v_add_u32_e32 v3, v3, v4
	ds_write_b32 v1, v3
.LBB2033_40:
	s_or_b64 exec, exec, s[16:17]
	v_cmp_gt_u32_e32 vcc, 64, v0
	v_cmp_lt_u32_e64 s[16:17], 63, v0
	s_waitcnt lgkmcnt(0)
	s_barrier
	s_waitcnt lgkmcnt(0)
                                        ; implicit-def: $vgpr12
	s_and_saveexec_b64 s[36:37], s[16:17]
	s_cbranch_execz .LBB2033_42
; %bb.41:
	v_lshl_add_u32 v3, v51, 2, -4
	ds_read_b32 v12, v3
	s_waitcnt lgkmcnt(0)
	v_add_u32_e32 v2, v12, v2
.LBB2033_42:
	s_or_b64 exec, exec, s[36:37]
	v_add_u32_e32 v3, -1, v50
	v_and_b32_e32 v4, 64, v50
	v_cmp_lt_i32_e64 s[16:17], v3, v4
	v_cndmask_b32_e64 v3, v3, v50, s[16:17]
	v_lshlrev_b32_e32 v3, 2, v3
	ds_bpermute_b32 v13, v3, v2
	v_cmp_eq_u32_e64 s[16:17], 0, v50
	s_and_saveexec_b64 s[36:37], vcc
	s_cbranch_execz .LBB2033_65
; %bb.43:
	v_mov_b32_e32 v11, 0
	ds_read_b32 v2, v11 offset:12
	s_and_saveexec_b64 s[38:39], s[16:17]
	s_cbranch_execz .LBB2033_45
; %bb.44:
	s_add_i32 s40, s6, 64
	s_mov_b32 s41, 0
	s_lshl_b64 s[40:41], s[40:41], 3
	s_add_u32 s40, s34, s40
	v_mov_b32_e32 v3, 1
	s_addc_u32 s41, s35, s41
	s_waitcnt lgkmcnt(0)
	global_store_dwordx2 v11, v[2:3], s[40:41]
.LBB2033_45:
	s_or_b64 exec, exec, s[38:39]
	v_xad_u32 v4, v50, -1, s6
	v_add_u32_e32 v10, 64, v4
	v_lshlrev_b64 v[6:7], 3, v[10:11]
	v_mov_b32_e32 v3, s35
	v_add_co_u32_e32 v6, vcc, s34, v6
	v_addc_co_u32_e32 v7, vcc, v3, v7, vcc
	global_load_dwordx2 v[8:9], v[6:7], off glc
	s_waitcnt vmcnt(0)
	v_cmp_eq_u16_sdwa s[40:41], v9, v11 src0_sel:BYTE_0 src1_sel:DWORD
	s_and_saveexec_b64 s[38:39], s[40:41]
	s_cbranch_execz .LBB2033_51
; %bb.46:
	s_mov_b32 s7, 1
	s_mov_b64 s[40:41], 0
	v_mov_b32_e32 v3, 0
.LBB2033_47:                            ; =>This Loop Header: Depth=1
                                        ;     Child Loop BB2033_48 Depth 2
	s_max_u32 s43, s7, 1
.LBB2033_48:                            ;   Parent Loop BB2033_47 Depth=1
                                        ; =>  This Inner Loop Header: Depth=2
	s_add_i32 s43, s43, -1
	s_cmp_eq_u32 s43, 0
	s_sleep 1
	s_cbranch_scc0 .LBB2033_48
; %bb.49:                               ;   in Loop: Header=BB2033_47 Depth=1
	global_load_dwordx2 v[8:9], v[6:7], off glc
	s_cmp_lt_u32 s7, 32
	s_cselect_b64 s[44:45], -1, 0
	s_cmp_lg_u64 s[44:45], 0
	s_addc_u32 s7, s7, 0
	s_waitcnt vmcnt(0)
	v_cmp_ne_u16_sdwa s[44:45], v9, v3 src0_sel:BYTE_0 src1_sel:DWORD
	s_or_b64 s[40:41], s[44:45], s[40:41]
	s_andn2_b64 exec, exec, s[40:41]
	s_cbranch_execnz .LBB2033_47
; %bb.50:
	s_or_b64 exec, exec, s[40:41]
.LBB2033_51:
	s_or_b64 exec, exec, s[38:39]
	v_and_b32_e32 v14, 63, v50
	v_mov_b32_e32 v3, 2
	v_cmp_ne_u32_e32 vcc, 63, v14
	v_cmp_eq_u16_sdwa s[38:39], v9, v3 src0_sel:BYTE_0 src1_sel:DWORD
	v_lshlrev_b64 v[6:7], v50, -1
	v_addc_co_u32_e32 v11, vcc, 0, v50, vcc
	v_and_b32_e32 v5, s39, v7
	v_lshlrev_b32_e32 v15, 2, v11
	v_or_b32_e32 v5, 0x80000000, v5
	ds_bpermute_b32 v11, v15, v8
	v_and_b32_e32 v10, s38, v6
	v_ffbl_b32_e32 v5, v5
	v_add_u32_e32 v5, 32, v5
	v_ffbl_b32_e32 v10, v10
	v_min_u32_e32 v5, v10, v5
	v_cmp_lt_u32_e32 vcc, v14, v5
	s_waitcnt lgkmcnt(0)
	v_cndmask_b32_e32 v10, 0, v11, vcc
	v_cmp_gt_u32_e32 vcc, 62, v14
	v_add_u32_e32 v8, v10, v8
	v_cndmask_b32_e64 v10, 0, 1, vcc
	v_lshlrev_b32_e32 v10, 1, v10
	v_add_lshl_u32 v16, v10, v50, 2
	ds_bpermute_b32 v10, v16, v8
	v_add_u32_e32 v17, 2, v14
	v_cmp_le_u32_e32 vcc, v17, v5
	v_add_u32_e32 v19, 4, v14
	v_add_u32_e32 v54, 8, v14
	s_waitcnt lgkmcnt(0)
	v_cndmask_b32_e32 v10, 0, v10, vcc
	v_cmp_gt_u32_e32 vcc, 60, v14
	v_add_u32_e32 v8, v8, v10
	v_cndmask_b32_e64 v10, 0, 1, vcc
	v_lshlrev_b32_e32 v10, 2, v10
	v_add_lshl_u32 v18, v10, v50, 2
	ds_bpermute_b32 v10, v18, v8
	v_cmp_le_u32_e32 vcc, v19, v5
	v_add_u32_e32 v57, 16, v14
	v_add_u32_e32 v59, 32, v14
	s_waitcnt lgkmcnt(0)
	v_cndmask_b32_e32 v10, 0, v10, vcc
	v_cmp_gt_u32_e32 vcc, 56, v14
	v_add_u32_e32 v8, v8, v10
	v_cndmask_b32_e64 v10, 0, 1, vcc
	v_lshlrev_b32_e32 v10, 3, v10
	v_add_lshl_u32 v53, v10, v50, 2
	ds_bpermute_b32 v10, v53, v8
	v_cmp_le_u32_e32 vcc, v54, v5
	s_waitcnt lgkmcnt(0)
	v_cndmask_b32_e32 v10, 0, v10, vcc
	v_cmp_gt_u32_e32 vcc, 48, v14
	v_add_u32_e32 v8, v8, v10
	v_cndmask_b32_e64 v10, 0, 1, vcc
	v_lshlrev_b32_e32 v10, 4, v10
	v_add_lshl_u32 v56, v10, v50, 2
	ds_bpermute_b32 v10, v56, v8
	v_cmp_le_u32_e32 vcc, v57, v5
	;; [unrolled: 9-line block ×3, first 2 shown]
	s_waitcnt lgkmcnt(0)
	v_cndmask_b32_e32 v5, 0, v10, vcc
	v_add_u32_e32 v8, v8, v5
	v_mov_b32_e32 v5, 0
	s_branch .LBB2033_53
.LBB2033_52:                            ;   in Loop: Header=BB2033_53 Depth=1
	s_or_b64 exec, exec, s[38:39]
	v_cmp_eq_u16_sdwa s[38:39], v9, v3 src0_sel:BYTE_0 src1_sel:DWORD
	v_and_b32_e32 v10, s39, v7
	v_or_b32_e32 v10, 0x80000000, v10
	ds_bpermute_b32 v60, v15, v8
	v_and_b32_e32 v11, s38, v6
	v_ffbl_b32_e32 v10, v10
	v_add_u32_e32 v10, 32, v10
	v_ffbl_b32_e32 v11, v11
	v_min_u32_e32 v10, v11, v10
	v_cmp_lt_u32_e32 vcc, v14, v10
	s_waitcnt lgkmcnt(0)
	v_cndmask_b32_e32 v11, 0, v60, vcc
	v_add_u32_e32 v8, v11, v8
	ds_bpermute_b32 v11, v16, v8
	v_cmp_le_u32_e32 vcc, v17, v10
	v_subrev_u32_e32 v4, 64, v4
	s_waitcnt lgkmcnt(0)
	v_cndmask_b32_e32 v11, 0, v11, vcc
	v_add_u32_e32 v8, v8, v11
	ds_bpermute_b32 v11, v18, v8
	v_cmp_le_u32_e32 vcc, v19, v10
	s_waitcnt lgkmcnt(0)
	v_cndmask_b32_e32 v11, 0, v11, vcc
	v_add_u32_e32 v8, v8, v11
	ds_bpermute_b32 v11, v53, v8
	v_cmp_le_u32_e32 vcc, v54, v10
	s_waitcnt lgkmcnt(0)
	v_cndmask_b32_e32 v11, 0, v11, vcc
	v_add_u32_e32 v8, v8, v11
	ds_bpermute_b32 v11, v56, v8
	v_cmp_le_u32_e32 vcc, v57, v10
	s_waitcnt lgkmcnt(0)
	v_cndmask_b32_e32 v11, 0, v11, vcc
	v_add_u32_e32 v8, v8, v11
	ds_bpermute_b32 v11, v58, v8
	v_cmp_le_u32_e32 vcc, v59, v10
	s_waitcnt lgkmcnt(0)
	v_cndmask_b32_e32 v10, 0, v11, vcc
	v_add3_u32 v8, v10, v55, v8
.LBB2033_53:                            ; =>This Loop Header: Depth=1
                                        ;     Child Loop BB2033_56 Depth 2
                                        ;       Child Loop BB2033_57 Depth 3
	v_cmp_ne_u16_sdwa s[38:39], v9, v3 src0_sel:BYTE_0 src1_sel:DWORD
	v_cndmask_b32_e64 v9, 0, 1, s[38:39]
	;;#ASMSTART
	;;#ASMEND
	v_cmp_ne_u32_e32 vcc, 0, v9
	s_cmp_lg_u64 vcc, exec
	v_mov_b32_e32 v55, v8
	s_cbranch_scc1 .LBB2033_60
; %bb.54:                               ;   in Loop: Header=BB2033_53 Depth=1
	v_lshlrev_b64 v[8:9], 3, v[4:5]
	v_mov_b32_e32 v11, s35
	v_add_co_u32_e32 v10, vcc, s34, v8
	v_addc_co_u32_e32 v11, vcc, v11, v9, vcc
	global_load_dwordx2 v[8:9], v[10:11], off glc
	s_waitcnt vmcnt(0)
	v_cmp_eq_u16_sdwa s[40:41], v9, v5 src0_sel:BYTE_0 src1_sel:DWORD
	s_and_saveexec_b64 s[38:39], s[40:41]
	s_cbranch_execz .LBB2033_52
; %bb.55:                               ;   in Loop: Header=BB2033_53 Depth=1
	s_mov_b32 s7, 1
	s_mov_b64 s[40:41], 0
.LBB2033_56:                            ;   Parent Loop BB2033_53 Depth=1
                                        ; =>  This Loop Header: Depth=2
                                        ;       Child Loop BB2033_57 Depth 3
	s_max_u32 s43, s7, 1
.LBB2033_57:                            ;   Parent Loop BB2033_53 Depth=1
                                        ;     Parent Loop BB2033_56 Depth=2
                                        ; =>    This Inner Loop Header: Depth=3
	s_add_i32 s43, s43, -1
	s_cmp_eq_u32 s43, 0
	s_sleep 1
	s_cbranch_scc0 .LBB2033_57
; %bb.58:                               ;   in Loop: Header=BB2033_56 Depth=2
	global_load_dwordx2 v[8:9], v[10:11], off glc
	s_cmp_lt_u32 s7, 32
	s_cselect_b64 s[44:45], -1, 0
	s_cmp_lg_u64 s[44:45], 0
	s_addc_u32 s7, s7, 0
	s_waitcnt vmcnt(0)
	v_cmp_ne_u16_sdwa s[44:45], v9, v5 src0_sel:BYTE_0 src1_sel:DWORD
	s_or_b64 s[40:41], s[44:45], s[40:41]
	s_andn2_b64 exec, exec, s[40:41]
	s_cbranch_execnz .LBB2033_56
; %bb.59:                               ;   in Loop: Header=BB2033_53 Depth=1
	s_or_b64 exec, exec, s[40:41]
	s_branch .LBB2033_52
.LBB2033_60:                            ;   in Loop: Header=BB2033_53 Depth=1
                                        ; implicit-def: $vgpr8
                                        ; implicit-def: $vgpr9
	s_cbranch_execz .LBB2033_53
; %bb.61:
	s_and_saveexec_b64 s[38:39], s[16:17]
	s_cbranch_execz .LBB2033_63
; %bb.62:
	s_add_i32 s6, s6, 64
	s_mov_b32 s7, 0
	s_lshl_b64 s[6:7], s[6:7], 3
	s_add_u32 s6, s34, s6
	v_add_u32_e32 v4, v55, v2
	v_mov_b32_e32 v5, 2
	s_addc_u32 s7, s35, s7
	v_mov_b32_e32 v3, 0
	global_store_dwordx2 v3, v[4:5], s[6:7]
	s_movk_i32 s6, 0x3400
	v_add_u32_e64 v3, s6, 0
	ds_write2_b32 v3, v2, v55 offset1:2
.LBB2033_63:
	s_or_b64 exec, exec, s[38:39]
	v_cmp_eq_u32_e32 vcc, 0, v0
	s_and_b64 exec, exec, vcc
	s_cbranch_execz .LBB2033_65
; %bb.64:
	v_mov_b32_e32 v2, 0
	ds_write_b32 v2, v55 offset:12
.LBB2033_65:
	s_or_b64 exec, exec, s[36:37]
	v_mov_b32_e32 v2, 0
	s_waitcnt lgkmcnt(0)
	s_barrier
	ds_read_b32 v2, v2 offset:12
	v_cndmask_b32_e64 v3, v13, v12, s[16:17]
	v_cmp_ne_u32_e32 vcc, 0, v0
	v_cndmask_b32_e32 v3, 0, v3, vcc
	s_movk_i32 s6, 0x3400
	s_waitcnt lgkmcnt(0)
	v_add_u32_e32 v2, v2, v3
	v_add_u32_e32 v3, v2, v41
	;; [unrolled: 1-line block ×8, first 2 shown]
	v_add_u32_e64 v12, s6, 0
	v_add_u32_e32 v10, v9, v39
	s_barrier
	ds_read2_b32 v[18:19], v12 offset1:2
	v_add_u32_e32 v11, v10, v47
	v_add_u32_e32 v12, v11, v48
	;; [unrolled: 1-line block ×4, first 2 shown]
	s_branch .LBB2033_76
.LBB2033_66:
                                        ; implicit-def: $vgpr19
                                        ; implicit-def: $vgpr2_vgpr3_vgpr4_vgpr5_vgpr6_vgpr7_vgpr8_vgpr9_vgpr10_vgpr11_vgpr12_vgpr13_vgpr14_vgpr15_vgpr16_vgpr17
	s_cbranch_execz .LBB2033_76
; %bb.67:
	s_nop 0
	v_mov_b32_dpp v2, v52 row_shr:1 row_mask:0xf bank_mask:0xf
	v_cndmask_b32_e64 v2, v2, 0, s[14:15]
	v_add_u32_e32 v2, v2, v52
	s_nop 1
	v_mov_b32_dpp v3, v2 row_shr:2 row_mask:0xf bank_mask:0xf
	v_cndmask_b32_e64 v3, 0, v3, s[12:13]
	v_add_u32_e32 v2, v2, v3
	;; [unrolled: 4-line block ×4, first 2 shown]
	s_nop 1
	v_mov_b32_dpp v3, v2 row_bcast:15 row_mask:0xf bank_mask:0xf
	v_cndmask_b32_e64 v3, v3, 0, s[18:19]
	v_add_u32_e32 v2, v2, v3
	s_nop 1
	v_mov_b32_dpp v3, v2 row_bcast:31 row_mask:0xf bank_mask:0xf
	v_cndmask_b32_e64 v3, 0, v3, s[2:3]
	v_add_u32_e32 v2, v2, v3
	s_and_saveexec_b64 s[2:3], s[4:5]
	s_cbranch_execz .LBB2033_69
; %bb.68:
	v_lshlrev_b32_e32 v3, 2, v51
	ds_write_b32 v3, v2
.LBB2033_69:
	s_or_b64 exec, exec, s[2:3]
	v_cmp_gt_u32_e32 vcc, 4, v0
	s_waitcnt lgkmcnt(0)
	s_barrier
	s_and_saveexec_b64 s[2:3], vcc
	s_cbranch_execz .LBB2033_71
; %bb.70:
	ds_read_b32 v3, v1
	v_and_b32_e32 v4, 3, v50
	v_cmp_ne_u32_e32 vcc, 0, v4
	s_waitcnt lgkmcnt(0)
	v_mov_b32_dpp v5, v3 row_shr:1 row_mask:0xf bank_mask:0xf
	v_cndmask_b32_e32 v5, 0, v5, vcc
	v_add_u32_e32 v3, v5, v3
	v_cmp_lt_u32_e32 vcc, 1, v4
	s_nop 0
	v_mov_b32_dpp v5, v3 row_shr:2 row_mask:0xf bank_mask:0xf
	v_cndmask_b32_e32 v4, 0, v5, vcc
	v_add_u32_e32 v3, v3, v4
	ds_write_b32 v1, v3
.LBB2033_71:
	s_or_b64 exec, exec, s[2:3]
	v_cmp_lt_u32_e32 vcc, 63, v0
	v_mov_b32_e32 v4, 0
	v_mov_b32_e32 v3, 0
	s_waitcnt lgkmcnt(0)
	s_barrier
	s_and_saveexec_b64 s[2:3], vcc
	s_cbranch_execz .LBB2033_73
; %bb.72:
	v_lshl_add_u32 v3, v51, 2, -4
	ds_read_b32 v3, v3
.LBB2033_73:
	s_or_b64 exec, exec, s[2:3]
	v_add_u32_e32 v5, -1, v50
	v_and_b32_e32 v6, 64, v50
	v_cmp_lt_i32_e32 vcc, v5, v6
	v_cndmask_b32_e32 v5, v5, v50, vcc
	s_waitcnt lgkmcnt(0)
	v_add_u32_e32 v2, v3, v2
	v_lshlrev_b32_e32 v5, 2, v5
	ds_bpermute_b32 v2, v5, v2
	ds_read_b32 v18, v4 offset:12
	v_cmp_eq_u32_e32 vcc, 0, v0
	s_and_saveexec_b64 s[2:3], vcc
	s_cbranch_execz .LBB2033_75
; %bb.74:
	v_mov_b32_e32 v4, 0
	v_mov_b32_e32 v19, 2
	s_waitcnt lgkmcnt(0)
	global_store_dwordx2 v4, v[18:19], s[34:35] offset:512
.LBB2033_75:
	s_or_b64 exec, exec, s[2:3]
	v_cmp_eq_u32_e64 s[2:3], 0, v50
	s_waitcnt lgkmcnt(1)
	v_cndmask_b32_e64 v2, v2, v3, s[2:3]
	v_cndmask_b32_e64 v2, v2, 0, vcc
	v_add_u32_e32 v3, v2, v41
	v_add_u32_e32 v4, v3, v42
	;; [unrolled: 1-line block ×11, first 2 shown]
	v_mov_b32_e32 v19, 0
	v_add_u32_e32 v14, v13, v38
	s_waitcnt lgkmcnt(0)
	s_barrier
.LBB2033_76:
	s_waitcnt lgkmcnt(0)
	v_add_u32_e32 v33, v18, v33
	v_sub_u32_e32 v2, v2, v19
	v_and_b32_e32 v42, 1, v37
	v_sub_u32_e32 v41, v33, v2
	v_cmp_eq_u32_e32 vcc, 1, v42
	v_cndmask_b32_e32 v2, v41, v2, vcc
	v_lshlrev_b32_e32 v2, 2, v2
	v_lshrrev_b32_e32 v17, 8, v37
	ds_write_b32 v2, v30
	v_sub_u32_e32 v2, v3, v19
	v_sub_u32_e32 v3, v33, v2
	v_and_b32_e32 v17, 1, v17
	v_add_u32_e32 v3, 1, v3
	v_cmp_eq_u32_e32 vcc, 1, v17
	v_cndmask_b32_e32 v2, v3, v2, vcc
	v_lshlrev_b32_e32 v2, 2, v2
	ds_write_b32 v2, v31
	v_sub_u32_e32 v2, v4, v19
	v_mov_b32_e32 v4, 1
	v_sub_u32_e32 v3, v33, v2
	v_and_b32_sdwa v17, v4, v37 dst_sel:DWORD dst_unused:UNUSED_PAD src0_sel:DWORD src1_sel:WORD_1
	v_add_u32_e32 v3, 2, v3
	v_cmp_eq_u32_e32 vcc, 1, v17
	v_cndmask_b32_e32 v2, v3, v2, vcc
	v_lshlrev_b32_e32 v2, 2, v2
	ds_write_b32 v2, v28
	v_sub_u32_e32 v2, v5, v19
	v_sub_u32_e32 v3, v33, v2
	v_and_b32_e32 v5, 1, v40
	v_add_u32_e32 v3, 3, v3
	v_cmp_eq_u32_e32 vcc, 1, v5
	v_cndmask_b32_e32 v2, v3, v2, vcc
	v_lshlrev_b32_e32 v2, 2, v2
	ds_write_b32 v2, v29
	v_sub_u32_e32 v2, v6, v19
	v_sub_u32_e32 v3, v33, v2
	v_and_b32_e32 v5, 1, v36
	v_add_u32_e32 v3, 4, v3
	v_cmp_eq_u32_e32 vcc, 1, v5
	v_cndmask_b32_e32 v2, v3, v2, vcc
	v_lshlrev_b32_e32 v2, 2, v2
	v_lshrrev_b32_e32 v16, 8, v36
	ds_write_b32 v2, v26
	v_sub_u32_e32 v2, v7, v19
	v_sub_u32_e32 v3, v33, v2
	v_and_b32_e32 v5, 1, v16
	v_add_u32_e32 v3, 5, v3
	v_cmp_eq_u32_e32 vcc, 1, v5
	v_cndmask_b32_e32 v2, v3, v2, vcc
	v_lshlrev_b32_e32 v2, 2, v2
	ds_write_b32 v2, v27
	v_sub_u32_e32 v2, v8, v19
	v_sub_u32_e32 v3, v33, v2
	v_and_b32_sdwa v5, v4, v36 dst_sel:DWORD dst_unused:UNUSED_PAD src0_sel:DWORD src1_sel:WORD_1
	v_add_u32_e32 v3, 6, v3
	v_cmp_eq_u32_e32 vcc, 1, v5
	v_cndmask_b32_e32 v2, v3, v2, vcc
	v_lshlrev_b32_e32 v2, 2, v2
	ds_write_b32 v2, v24
	v_sub_u32_e32 v2, v9, v19
	v_sub_u32_e32 v3, v33, v2
	v_and_b32_e32 v5, 1, v39
	v_add_u32_e32 v3, 7, v3
	v_cmp_eq_u32_e32 vcc, 1, v5
	v_cndmask_b32_e32 v2, v3, v2, vcc
	v_lshlrev_b32_e32 v2, 2, v2
	ds_write_b32 v2, v25
	v_sub_u32_e32 v2, v10, v19
	v_sub_u32_e32 v3, v33, v2
	v_and_b32_e32 v5, 1, v35
	v_add_u32_e32 v3, 8, v3
	v_cmp_eq_u32_e32 vcc, 1, v5
	v_cndmask_b32_e32 v2, v3, v2, vcc
	v_lshlrev_b32_e32 v2, 2, v2
	v_lshrrev_b32_e32 v15, 8, v35
	ds_write_b32 v2, v22
	v_sub_u32_e32 v2, v11, v19
	v_sub_u32_e32 v3, v33, v2
	v_and_b32_e32 v5, 1, v15
	v_add_u32_e32 v3, 9, v3
	v_cmp_eq_u32_e32 vcc, 1, v5
	v_cndmask_b32_e32 v2, v3, v2, vcc
	v_lshlrev_b32_e32 v2, 2, v2
	ds_write_b32 v2, v23
	v_sub_u32_e32 v2, v12, v19
	v_sub_u32_e32 v3, v33, v2
	v_and_b32_sdwa v4, v4, v35 dst_sel:DWORD dst_unused:UNUSED_PAD src0_sel:DWORD src1_sel:WORD_1
	v_add_u32_e32 v3, 10, v3
	v_cmp_eq_u32_e32 vcc, 1, v4
	v_cndmask_b32_e32 v2, v3, v2, vcc
	v_lshlrev_b32_e32 v2, 2, v2
	ds_write_b32 v2, v20
	v_sub_u32_e32 v2, v13, v19
	v_sub_u32_e32 v3, v33, v2
	v_and_b32_e32 v4, 1, v38
	v_add_u32_e32 v3, 11, v3
	v_cmp_eq_u32_e32 vcc, 1, v4
	v_cndmask_b32_e32 v2, v3, v2, vcc
	v_lshlrev_b32_e32 v2, 2, v2
	ds_write_b32 v2, v21
	v_sub_u32_e32 v2, v14, v19
	v_sub_u32_e32 v3, v33, v2
	v_and_b32_e32 v4, 1, v34
	v_add_u32_e32 v3, 12, v3
	v_cmp_eq_u32_e32 vcc, 1, v4
	v_cndmask_b32_e32 v2, v3, v2, vcc
	s_add_u32 s2, s28, s42
	v_lshlrev_b32_e32 v2, 2, v2
	s_addc_u32 s3, s29, 0
	ds_write_b32 v2, v32
	s_waitcnt lgkmcnt(0)
	s_barrier
	ds_read2st64_b32 v[12:13], v1 offset1:4
	ds_read2st64_b32 v[10:11], v1 offset0:8 offset1:12
	ds_read2st64_b32 v[8:9], v1 offset0:16 offset1:20
	;; [unrolled: 1-line block ×5, first 2 shown]
	ds_read_b32 v17, v1 offset:12288
	v_mov_b32_e32 v14, s31
	v_add_co_u32_e32 v1, vcc, s30, v19
	s_sub_u32 s2, s26, s2
	v_addc_co_u32_e32 v16, vcc, 0, v14, vcc
	s_subb_u32 s3, s27, s3
	v_mov_b32_e32 v14, s3
	v_add_co_u32_e32 v15, vcc, s2, v18
	v_addc_co_u32_e32 v14, vcc, 0, v14, vcc
	s_and_b64 vcc, exec, s[0:1]
	v_add_co_u32_e64 v19, s[0:1], v15, v1
	v_or_b32_e32 v32, 0x100, v0
	v_or_b32_e32 v31, 0x200, v0
	;; [unrolled: 1-line block ×12, first 2 shown]
	v_addc_co_u32_e64 v21, s[0:1], v14, v16, s[0:1]
	s_cbranch_vccnz .LBB2033_130
; %bb.77:
	v_cmp_ge_u32_e32 vcc, v0, v18
                                        ; implicit-def: $vgpr14_vgpr15
	s_and_saveexec_b64 s[0:1], vcc
	s_xor_b64 s[0:1], exec, s[0:1]
; %bb.78:
	v_not_b32_e32 v14, v0
	v_ashrrev_i32_e32 v15, 31, v14
	v_add_co_u32_e32 v14, vcc, v19, v14
	v_addc_co_u32_e32 v15, vcc, v21, v15, vcc
; %bb.79:
	s_andn2_saveexec_b64 s[0:1], s[0:1]
; %bb.80:
	v_add_co_u32_e32 v14, vcc, v1, v0
	v_addc_co_u32_e32 v15, vcc, 0, v16, vcc
; %bb.81:
	s_or_b64 exec, exec, s[0:1]
	v_lshlrev_b64 v[14:15], 2, v[14:15]
	v_mov_b32_e32 v33, s25
	v_add_co_u32_e32 v14, vcc, s24, v14
	v_addc_co_u32_e32 v15, vcc, v33, v15, vcc
	v_cmp_ge_u32_e32 vcc, v32, v18
	s_waitcnt lgkmcnt(6)
	global_store_dword v[14:15], v12, off
                                        ; implicit-def: $vgpr14_vgpr15
	s_and_saveexec_b64 s[0:1], vcc
	s_xor_b64 s[0:1], exec, s[0:1]
; %bb.82:
	v_xor_b32_e32 v14, 0xfffffeff, v0
	v_ashrrev_i32_e32 v15, 31, v14
	v_add_co_u32_e32 v14, vcc, v19, v14
	v_addc_co_u32_e32 v15, vcc, v21, v15, vcc
; %bb.83:
	s_andn2_saveexec_b64 s[0:1], s[0:1]
; %bb.84:
	v_add_co_u32_e32 v14, vcc, v1, v32
	v_addc_co_u32_e32 v15, vcc, 0, v16, vcc
; %bb.85:
	s_or_b64 exec, exec, s[0:1]
	v_lshlrev_b64 v[14:15], 2, v[14:15]
	v_mov_b32_e32 v33, s25
	v_add_co_u32_e32 v14, vcc, s24, v14
	v_addc_co_u32_e32 v15, vcc, v33, v15, vcc
	v_cmp_ge_u32_e32 vcc, v31, v18
	global_store_dword v[14:15], v13, off
                                        ; implicit-def: $vgpr14_vgpr15
	s_and_saveexec_b64 s[0:1], vcc
	s_xor_b64 s[0:1], exec, s[0:1]
; %bb.86:
	v_xor_b32_e32 v14, 0xfffffdff, v0
	v_ashrrev_i32_e32 v15, 31, v14
	v_add_co_u32_e32 v14, vcc, v19, v14
	v_addc_co_u32_e32 v15, vcc, v21, v15, vcc
; %bb.87:
	s_andn2_saveexec_b64 s[0:1], s[0:1]
; %bb.88:
	v_add_co_u32_e32 v14, vcc, v1, v31
	v_addc_co_u32_e32 v15, vcc, 0, v16, vcc
; %bb.89:
	s_or_b64 exec, exec, s[0:1]
	v_lshlrev_b64 v[14:15], 2, v[14:15]
	v_mov_b32_e32 v33, s25
	v_add_co_u32_e32 v14, vcc, s24, v14
	v_addc_co_u32_e32 v15, vcc, v33, v15, vcc
	v_cmp_ge_u32_e32 vcc, v30, v18
	s_waitcnt lgkmcnt(5)
	global_store_dword v[14:15], v10, off
                                        ; implicit-def: $vgpr14_vgpr15
	s_and_saveexec_b64 s[0:1], vcc
	s_xor_b64 s[0:1], exec, s[0:1]
; %bb.90:
	v_xor_b32_e32 v14, 0xfffffcff, v0
	v_ashrrev_i32_e32 v15, 31, v14
	v_add_co_u32_e32 v14, vcc, v19, v14
	v_addc_co_u32_e32 v15, vcc, v21, v15, vcc
; %bb.91:
	s_andn2_saveexec_b64 s[0:1], s[0:1]
; %bb.92:
	v_add_co_u32_e32 v14, vcc, v1, v30
	v_addc_co_u32_e32 v15, vcc, 0, v16, vcc
; %bb.93:
	s_or_b64 exec, exec, s[0:1]
	v_lshlrev_b64 v[14:15], 2, v[14:15]
	v_mov_b32_e32 v33, s25
	v_add_co_u32_e32 v14, vcc, s24, v14
	v_addc_co_u32_e32 v15, vcc, v33, v15, vcc
	v_cmp_ge_u32_e32 vcc, v29, v18
	global_store_dword v[14:15], v11, off
                                        ; implicit-def: $vgpr14_vgpr15
	s_and_saveexec_b64 s[0:1], vcc
	s_xor_b64 s[0:1], exec, s[0:1]
; %bb.94:
	v_xor_b32_e32 v14, 0xfffffbff, v0
	;; [unrolled: 43-line block ×6, first 2 shown]
	v_ashrrev_i32_e32 v15, 31, v14
	v_add_co_u32_e32 v14, vcc, v19, v14
	v_addc_co_u32_e32 v15, vcc, v21, v15, vcc
; %bb.127:
	s_andn2_saveexec_b64 s[0:1], s[0:1]
; %bb.128:
	v_add_co_u32_e32 v14, vcc, v1, v20
	v_addc_co_u32_e32 v15, vcc, 0, v16, vcc
; %bb.129:
	s_or_b64 exec, exec, s[0:1]
	s_mov_b64 s[0:1], -1
	s_branch .LBB2033_210
.LBB2033_130:
	s_mov_b64 s[0:1], 0
                                        ; implicit-def: $vgpr14_vgpr15
	s_cbranch_execz .LBB2033_210
; %bb.131:
	v_cmp_gt_u32_e32 vcc, s33, v0
	s_and_saveexec_b64 s[2:3], vcc
	s_cbranch_execz .LBB2033_167
; %bb.132:
	v_cmp_ge_u32_e32 vcc, v0, v18
                                        ; implicit-def: $vgpr14_vgpr15
	s_and_saveexec_b64 s[4:5], vcc
	s_xor_b64 s[4:5], exec, s[4:5]
; %bb.133:
	v_not_b32_e32 v14, v0
	v_ashrrev_i32_e32 v15, 31, v14
	v_add_co_u32_e32 v14, vcc, v19, v14
	v_addc_co_u32_e32 v15, vcc, v21, v15, vcc
; %bb.134:
	s_andn2_saveexec_b64 s[4:5], s[4:5]
; %bb.135:
	v_add_co_u32_e32 v14, vcc, v1, v0
	v_addc_co_u32_e32 v15, vcc, 0, v16, vcc
; %bb.136:
	s_or_b64 exec, exec, s[4:5]
	v_lshlrev_b64 v[14:15], 2, v[14:15]
	v_mov_b32_e32 v33, s25
	v_add_co_u32_e32 v14, vcc, s24, v14
	v_addc_co_u32_e32 v15, vcc, v33, v15, vcc
	s_waitcnt lgkmcnt(6)
	global_store_dword v[14:15], v12, off
	s_or_b64 exec, exec, s[2:3]
	v_cmp_gt_u32_e32 vcc, s33, v32
	s_and_saveexec_b64 s[2:3], vcc
	s_cbranch_execnz .LBB2033_168
.LBB2033_137:
	s_or_b64 exec, exec, s[2:3]
	v_cmp_gt_u32_e32 vcc, s33, v31
	s_and_saveexec_b64 s[2:3], vcc
	s_cbranch_execz .LBB2033_173
.LBB2033_138:
	v_cmp_ge_u32_e32 vcc, v31, v18
                                        ; implicit-def: $vgpr12_vgpr13
	s_and_saveexec_b64 s[4:5], vcc
	s_xor_b64 s[4:5], exec, s[4:5]
	s_cbranch_execz .LBB2033_140
; %bb.139:
	s_waitcnt lgkmcnt(6)
	v_xor_b32_e32 v12, 0xfffffdff, v0
	v_ashrrev_i32_e32 v13, 31, v12
	v_add_co_u32_e32 v12, vcc, v19, v12
	v_addc_co_u32_e32 v13, vcc, v21, v13, vcc
                                        ; implicit-def: $vgpr31
.LBB2033_140:
	s_andn2_saveexec_b64 s[4:5], s[4:5]
	s_cbranch_execz .LBB2033_142
; %bb.141:
	s_waitcnt lgkmcnt(6)
	v_add_co_u32_e32 v12, vcc, v1, v31
	v_addc_co_u32_e32 v13, vcc, 0, v16, vcc
.LBB2033_142:
	s_or_b64 exec, exec, s[4:5]
	s_waitcnt lgkmcnt(6)
	v_lshlrev_b64 v[12:13], 2, v[12:13]
	v_mov_b32_e32 v14, s25
	v_add_co_u32_e32 v12, vcc, s24, v12
	v_addc_co_u32_e32 v13, vcc, v14, v13, vcc
	s_waitcnt lgkmcnt(5)
	global_store_dword v[12:13], v10, off
	s_or_b64 exec, exec, s[2:3]
	v_cmp_gt_u32_e32 vcc, s33, v30
	s_and_saveexec_b64 s[2:3], vcc
	s_cbranch_execnz .LBB2033_174
.LBB2033_143:
	s_or_b64 exec, exec, s[2:3]
	v_cmp_gt_u32_e32 vcc, s33, v29
	s_and_saveexec_b64 s[2:3], vcc
	s_cbranch_execz .LBB2033_179
.LBB2033_144:
	v_cmp_ge_u32_e32 vcc, v29, v18
                                        ; implicit-def: $vgpr10_vgpr11
	s_and_saveexec_b64 s[4:5], vcc
	s_xor_b64 s[4:5], exec, s[4:5]
	s_cbranch_execz .LBB2033_146
; %bb.145:
	s_waitcnt lgkmcnt(5)
	v_xor_b32_e32 v10, 0xfffffbff, v0
	v_ashrrev_i32_e32 v11, 31, v10
	v_add_co_u32_e32 v10, vcc, v19, v10
	v_addc_co_u32_e32 v11, vcc, v21, v11, vcc
                                        ; implicit-def: $vgpr29
.LBB2033_146:
	s_andn2_saveexec_b64 s[4:5], s[4:5]
	s_cbranch_execz .LBB2033_148
; %bb.147:
	s_waitcnt lgkmcnt(5)
	v_add_co_u32_e32 v10, vcc, v1, v29
	v_addc_co_u32_e32 v11, vcc, 0, v16, vcc
.LBB2033_148:
	s_or_b64 exec, exec, s[4:5]
	s_waitcnt lgkmcnt(5)
	v_lshlrev_b64 v[10:11], 2, v[10:11]
	v_mov_b32_e32 v12, s25
	v_add_co_u32_e32 v10, vcc, s24, v10
	v_addc_co_u32_e32 v11, vcc, v12, v11, vcc
	s_waitcnt lgkmcnt(4)
	global_store_dword v[10:11], v8, off
	s_or_b64 exec, exec, s[2:3]
	v_cmp_gt_u32_e32 vcc, s33, v28
	s_and_saveexec_b64 s[2:3], vcc
	s_cbranch_execnz .LBB2033_180
.LBB2033_149:
	s_or_b64 exec, exec, s[2:3]
	v_cmp_gt_u32_e32 vcc, s33, v27
	s_and_saveexec_b64 s[2:3], vcc
	s_cbranch_execz .LBB2033_185
.LBB2033_150:
	v_cmp_ge_u32_e32 vcc, v27, v18
                                        ; implicit-def: $vgpr8_vgpr9
	s_and_saveexec_b64 s[4:5], vcc
	s_xor_b64 s[4:5], exec, s[4:5]
	s_cbranch_execz .LBB2033_152
; %bb.151:
	s_waitcnt lgkmcnt(4)
	v_xor_b32_e32 v8, 0xfffff9ff, v0
	v_ashrrev_i32_e32 v9, 31, v8
	v_add_co_u32_e32 v8, vcc, v19, v8
	v_addc_co_u32_e32 v9, vcc, v21, v9, vcc
                                        ; implicit-def: $vgpr27
.LBB2033_152:
	s_andn2_saveexec_b64 s[4:5], s[4:5]
	s_cbranch_execz .LBB2033_154
; %bb.153:
	s_waitcnt lgkmcnt(4)
	v_add_co_u32_e32 v8, vcc, v1, v27
	v_addc_co_u32_e32 v9, vcc, 0, v16, vcc
.LBB2033_154:
	s_or_b64 exec, exec, s[4:5]
	s_waitcnt lgkmcnt(4)
	v_lshlrev_b64 v[8:9], 2, v[8:9]
	v_mov_b32_e32 v10, s25
	v_add_co_u32_e32 v8, vcc, s24, v8
	v_addc_co_u32_e32 v9, vcc, v10, v9, vcc
	s_waitcnt lgkmcnt(3)
	global_store_dword v[8:9], v6, off
	s_or_b64 exec, exec, s[2:3]
	v_cmp_gt_u32_e32 vcc, s33, v26
	s_and_saveexec_b64 s[2:3], vcc
	s_cbranch_execnz .LBB2033_186
.LBB2033_155:
	s_or_b64 exec, exec, s[2:3]
	v_cmp_gt_u32_e32 vcc, s33, v25
	s_and_saveexec_b64 s[2:3], vcc
	s_cbranch_execz .LBB2033_191
.LBB2033_156:
	v_cmp_ge_u32_e32 vcc, v25, v18
                                        ; implicit-def: $vgpr6_vgpr7
	s_and_saveexec_b64 s[4:5], vcc
	s_xor_b64 s[4:5], exec, s[4:5]
	s_cbranch_execz .LBB2033_158
; %bb.157:
	s_waitcnt lgkmcnt(3)
	v_xor_b32_e32 v6, 0xfffff7ff, v0
	v_ashrrev_i32_e32 v7, 31, v6
	v_add_co_u32_e32 v6, vcc, v19, v6
	v_addc_co_u32_e32 v7, vcc, v21, v7, vcc
                                        ; implicit-def: $vgpr25
.LBB2033_158:
	s_andn2_saveexec_b64 s[4:5], s[4:5]
	s_cbranch_execz .LBB2033_160
; %bb.159:
	s_waitcnt lgkmcnt(3)
	v_add_co_u32_e32 v6, vcc, v1, v25
	v_addc_co_u32_e32 v7, vcc, 0, v16, vcc
.LBB2033_160:
	s_or_b64 exec, exec, s[4:5]
	s_waitcnt lgkmcnt(3)
	v_lshlrev_b64 v[6:7], 2, v[6:7]
	v_mov_b32_e32 v8, s25
	v_add_co_u32_e32 v6, vcc, s24, v6
	v_addc_co_u32_e32 v7, vcc, v8, v7, vcc
	s_waitcnt lgkmcnt(2)
	global_store_dword v[6:7], v4, off
	s_or_b64 exec, exec, s[2:3]
	v_cmp_gt_u32_e32 vcc, s33, v24
	s_and_saveexec_b64 s[2:3], vcc
	s_cbranch_execnz .LBB2033_192
.LBB2033_161:
	s_or_b64 exec, exec, s[2:3]
	v_cmp_gt_u32_e32 vcc, s33, v23
	s_and_saveexec_b64 s[2:3], vcc
	s_cbranch_execz .LBB2033_197
.LBB2033_162:
	v_cmp_ge_u32_e32 vcc, v23, v18
                                        ; implicit-def: $vgpr4_vgpr5
	s_and_saveexec_b64 s[4:5], vcc
	s_xor_b64 s[4:5], exec, s[4:5]
	s_cbranch_execz .LBB2033_164
; %bb.163:
	s_waitcnt lgkmcnt(2)
	v_xor_b32_e32 v4, 0xfffff5ff, v0
	v_ashrrev_i32_e32 v5, 31, v4
	v_add_co_u32_e32 v4, vcc, v19, v4
	v_addc_co_u32_e32 v5, vcc, v21, v5, vcc
                                        ; implicit-def: $vgpr23
.LBB2033_164:
	s_andn2_saveexec_b64 s[4:5], s[4:5]
	s_cbranch_execz .LBB2033_166
; %bb.165:
	s_waitcnt lgkmcnt(2)
	v_add_co_u32_e32 v4, vcc, v1, v23
	v_addc_co_u32_e32 v5, vcc, 0, v16, vcc
.LBB2033_166:
	s_or_b64 exec, exec, s[4:5]
	s_waitcnt lgkmcnt(2)
	v_lshlrev_b64 v[4:5], 2, v[4:5]
	v_mov_b32_e32 v6, s25
	v_add_co_u32_e32 v4, vcc, s24, v4
	v_addc_co_u32_e32 v5, vcc, v6, v5, vcc
	s_waitcnt lgkmcnt(1)
	global_store_dword v[4:5], v2, off
	s_or_b64 exec, exec, s[2:3]
	v_cmp_gt_u32_e32 vcc, s33, v22
	s_and_saveexec_b64 s[2:3], vcc
	s_cbranch_execz .LBB2033_203
	s_branch .LBB2033_198
.LBB2033_167:
	s_or_b64 exec, exec, s[2:3]
	v_cmp_gt_u32_e32 vcc, s33, v32
	s_and_saveexec_b64 s[2:3], vcc
	s_cbranch_execz .LBB2033_137
.LBB2033_168:
	v_cmp_ge_u32_e32 vcc, v32, v18
                                        ; implicit-def: $vgpr14_vgpr15
	s_and_saveexec_b64 s[4:5], vcc
	s_xor_b64 s[4:5], exec, s[4:5]
	s_cbranch_execz .LBB2033_170
; %bb.169:
	s_waitcnt lgkmcnt(6)
	v_xor_b32_e32 v12, 0xfffffeff, v0
	v_ashrrev_i32_e32 v15, 31, v12
	v_add_co_u32_e32 v14, vcc, v19, v12
	v_addc_co_u32_e32 v15, vcc, v21, v15, vcc
                                        ; implicit-def: $vgpr32
.LBB2033_170:
	s_andn2_saveexec_b64 s[4:5], s[4:5]
; %bb.171:
	v_add_co_u32_e32 v14, vcc, v1, v32
	v_addc_co_u32_e32 v15, vcc, 0, v16, vcc
; %bb.172:
	s_or_b64 exec, exec, s[4:5]
	v_lshlrev_b64 v[14:15], 2, v[14:15]
	s_waitcnt lgkmcnt(6)
	v_mov_b32_e32 v12, s25
	v_add_co_u32_e32 v14, vcc, s24, v14
	v_addc_co_u32_e32 v15, vcc, v12, v15, vcc
	global_store_dword v[14:15], v13, off
	s_or_b64 exec, exec, s[2:3]
	v_cmp_gt_u32_e32 vcc, s33, v31
	s_and_saveexec_b64 s[2:3], vcc
	s_cbranch_execnz .LBB2033_138
.LBB2033_173:
	s_or_b64 exec, exec, s[2:3]
	v_cmp_gt_u32_e32 vcc, s33, v30
	s_and_saveexec_b64 s[2:3], vcc
	s_cbranch_execz .LBB2033_143
.LBB2033_174:
	v_cmp_ge_u32_e32 vcc, v30, v18
                                        ; implicit-def: $vgpr12_vgpr13
	s_and_saveexec_b64 s[4:5], vcc
	s_xor_b64 s[4:5], exec, s[4:5]
	s_cbranch_execz .LBB2033_176
; %bb.175:
	s_waitcnt lgkmcnt(5)
	v_xor_b32_e32 v10, 0xfffffcff, v0
	v_ashrrev_i32_e32 v13, 31, v10
	v_add_co_u32_e32 v12, vcc, v19, v10
	v_addc_co_u32_e32 v13, vcc, v21, v13, vcc
                                        ; implicit-def: $vgpr30
.LBB2033_176:
	s_andn2_saveexec_b64 s[4:5], s[4:5]
	s_cbranch_execz .LBB2033_178
; %bb.177:
	s_waitcnt lgkmcnt(6)
	v_add_co_u32_e32 v12, vcc, v1, v30
	v_addc_co_u32_e32 v13, vcc, 0, v16, vcc
.LBB2033_178:
	s_or_b64 exec, exec, s[4:5]
	s_waitcnt lgkmcnt(6)
	v_lshlrev_b64 v[12:13], 2, v[12:13]
	s_waitcnt lgkmcnt(5)
	v_mov_b32_e32 v10, s25
	v_add_co_u32_e32 v12, vcc, s24, v12
	v_addc_co_u32_e32 v13, vcc, v10, v13, vcc
	global_store_dword v[12:13], v11, off
	s_or_b64 exec, exec, s[2:3]
	v_cmp_gt_u32_e32 vcc, s33, v29
	s_and_saveexec_b64 s[2:3], vcc
	s_cbranch_execnz .LBB2033_144
.LBB2033_179:
	s_or_b64 exec, exec, s[2:3]
	v_cmp_gt_u32_e32 vcc, s33, v28
	s_and_saveexec_b64 s[2:3], vcc
	s_cbranch_execz .LBB2033_149
.LBB2033_180:
	v_cmp_ge_u32_e32 vcc, v28, v18
                                        ; implicit-def: $vgpr10_vgpr11
	s_and_saveexec_b64 s[4:5], vcc
	s_xor_b64 s[4:5], exec, s[4:5]
	s_cbranch_execz .LBB2033_182
; %bb.181:
	s_waitcnt lgkmcnt(4)
	v_xor_b32_e32 v8, 0xfffffaff, v0
	v_ashrrev_i32_e32 v11, 31, v8
	v_add_co_u32_e32 v10, vcc, v19, v8
	v_addc_co_u32_e32 v11, vcc, v21, v11, vcc
                                        ; implicit-def: $vgpr28
.LBB2033_182:
	s_andn2_saveexec_b64 s[4:5], s[4:5]
	s_cbranch_execz .LBB2033_184
; %bb.183:
	s_waitcnt lgkmcnt(5)
	v_add_co_u32_e32 v10, vcc, v1, v28
	v_addc_co_u32_e32 v11, vcc, 0, v16, vcc
.LBB2033_184:
	s_or_b64 exec, exec, s[4:5]
	s_waitcnt lgkmcnt(5)
	v_lshlrev_b64 v[10:11], 2, v[10:11]
	s_waitcnt lgkmcnt(4)
	v_mov_b32_e32 v8, s25
	v_add_co_u32_e32 v10, vcc, s24, v10
	v_addc_co_u32_e32 v11, vcc, v8, v11, vcc
	global_store_dword v[10:11], v9, off
	s_or_b64 exec, exec, s[2:3]
	v_cmp_gt_u32_e32 vcc, s33, v27
	s_and_saveexec_b64 s[2:3], vcc
	s_cbranch_execnz .LBB2033_150
.LBB2033_185:
	s_or_b64 exec, exec, s[2:3]
	v_cmp_gt_u32_e32 vcc, s33, v26
	s_and_saveexec_b64 s[2:3], vcc
	s_cbranch_execz .LBB2033_155
.LBB2033_186:
	v_cmp_ge_u32_e32 vcc, v26, v18
                                        ; implicit-def: $vgpr8_vgpr9
	s_and_saveexec_b64 s[4:5], vcc
	s_xor_b64 s[4:5], exec, s[4:5]
	s_cbranch_execz .LBB2033_188
; %bb.187:
	s_waitcnt lgkmcnt(3)
	v_xor_b32_e32 v6, 0xfffff8ff, v0
	v_ashrrev_i32_e32 v9, 31, v6
	v_add_co_u32_e32 v8, vcc, v19, v6
	v_addc_co_u32_e32 v9, vcc, v21, v9, vcc
                                        ; implicit-def: $vgpr26
.LBB2033_188:
	s_andn2_saveexec_b64 s[4:5], s[4:5]
	s_cbranch_execz .LBB2033_190
; %bb.189:
	s_waitcnt lgkmcnt(4)
	v_add_co_u32_e32 v8, vcc, v1, v26
	v_addc_co_u32_e32 v9, vcc, 0, v16, vcc
.LBB2033_190:
	s_or_b64 exec, exec, s[4:5]
	s_waitcnt lgkmcnt(4)
	v_lshlrev_b64 v[8:9], 2, v[8:9]
	s_waitcnt lgkmcnt(3)
	v_mov_b32_e32 v6, s25
	v_add_co_u32_e32 v8, vcc, s24, v8
	v_addc_co_u32_e32 v9, vcc, v6, v9, vcc
	global_store_dword v[8:9], v7, off
	s_or_b64 exec, exec, s[2:3]
	v_cmp_gt_u32_e32 vcc, s33, v25
	s_and_saveexec_b64 s[2:3], vcc
	s_cbranch_execnz .LBB2033_156
.LBB2033_191:
	s_or_b64 exec, exec, s[2:3]
	v_cmp_gt_u32_e32 vcc, s33, v24
	s_and_saveexec_b64 s[2:3], vcc
	s_cbranch_execz .LBB2033_161
.LBB2033_192:
	v_cmp_ge_u32_e32 vcc, v24, v18
                                        ; implicit-def: $vgpr6_vgpr7
	s_and_saveexec_b64 s[4:5], vcc
	s_xor_b64 s[4:5], exec, s[4:5]
	s_cbranch_execz .LBB2033_194
; %bb.193:
	s_waitcnt lgkmcnt(2)
	v_xor_b32_e32 v4, 0xfffff6ff, v0
	v_ashrrev_i32_e32 v7, 31, v4
	v_add_co_u32_e32 v6, vcc, v19, v4
	v_addc_co_u32_e32 v7, vcc, v21, v7, vcc
                                        ; implicit-def: $vgpr24
.LBB2033_194:
	s_andn2_saveexec_b64 s[4:5], s[4:5]
	s_cbranch_execz .LBB2033_196
; %bb.195:
	s_waitcnt lgkmcnt(3)
	v_add_co_u32_e32 v6, vcc, v1, v24
	v_addc_co_u32_e32 v7, vcc, 0, v16, vcc
.LBB2033_196:
	s_or_b64 exec, exec, s[4:5]
	s_waitcnt lgkmcnt(3)
	v_lshlrev_b64 v[6:7], 2, v[6:7]
	s_waitcnt lgkmcnt(2)
	v_mov_b32_e32 v4, s25
	v_add_co_u32_e32 v6, vcc, s24, v6
	v_addc_co_u32_e32 v7, vcc, v4, v7, vcc
	global_store_dword v[6:7], v5, off
	s_or_b64 exec, exec, s[2:3]
	v_cmp_gt_u32_e32 vcc, s33, v23
	s_and_saveexec_b64 s[2:3], vcc
	s_cbranch_execnz .LBB2033_162
.LBB2033_197:
	s_or_b64 exec, exec, s[2:3]
	v_cmp_gt_u32_e32 vcc, s33, v22
	s_and_saveexec_b64 s[2:3], vcc
	s_cbranch_execz .LBB2033_203
.LBB2033_198:
	v_cmp_ge_u32_e32 vcc, v22, v18
                                        ; implicit-def: $vgpr4_vgpr5
	s_and_saveexec_b64 s[4:5], vcc
	s_xor_b64 s[4:5], exec, s[4:5]
	s_cbranch_execz .LBB2033_200
; %bb.199:
	s_waitcnt lgkmcnt(1)
	v_xor_b32_e32 v2, 0xfffff4ff, v0
	v_ashrrev_i32_e32 v5, 31, v2
	v_add_co_u32_e32 v4, vcc, v19, v2
	v_addc_co_u32_e32 v5, vcc, v21, v5, vcc
                                        ; implicit-def: $vgpr22
.LBB2033_200:
	s_andn2_saveexec_b64 s[4:5], s[4:5]
	s_cbranch_execz .LBB2033_202
; %bb.201:
	s_waitcnt lgkmcnt(2)
	v_add_co_u32_e32 v4, vcc, v1, v22
	v_addc_co_u32_e32 v5, vcc, 0, v16, vcc
.LBB2033_202:
	s_or_b64 exec, exec, s[4:5]
	s_waitcnt lgkmcnt(2)
	v_lshlrev_b64 v[4:5], 2, v[4:5]
	s_waitcnt lgkmcnt(1)
	v_mov_b32_e32 v2, s25
	v_add_co_u32_e32 v4, vcc, s24, v4
	v_addc_co_u32_e32 v5, vcc, v2, v5, vcc
	global_store_dword v[4:5], v3, off
.LBB2033_203:
	s_or_b64 exec, exec, s[2:3]
	v_cmp_gt_u32_e32 vcc, s33, v20
                                        ; implicit-def: $vgpr14_vgpr15
	s_and_saveexec_b64 s[2:3], vcc
	s_cbranch_execz .LBB2033_209
; %bb.204:
	v_cmp_ge_u32_e32 vcc, v20, v18
                                        ; implicit-def: $vgpr14_vgpr15
	s_and_saveexec_b64 s[4:5], vcc
	s_xor_b64 s[4:5], exec, s[4:5]
	s_cbranch_execz .LBB2033_206
; %bb.205:
	s_waitcnt lgkmcnt(1)
	v_xor_b32_e32 v2, 0xfffff3ff, v0
	v_ashrrev_i32_e32 v3, 31, v2
	v_add_co_u32_e32 v14, vcc, v19, v2
	v_addc_co_u32_e32 v15, vcc, v21, v3, vcc
                                        ; implicit-def: $vgpr20
.LBB2033_206:
	s_andn2_saveexec_b64 s[4:5], s[4:5]
; %bb.207:
	v_add_co_u32_e32 v14, vcc, v1, v20
	v_addc_co_u32_e32 v15, vcc, 0, v16, vcc
; %bb.208:
	s_or_b64 exec, exec, s[4:5]
	s_or_b64 s[0:1], s[0:1], exec
.LBB2033_209:
	s_or_b64 exec, exec, s[2:3]
.LBB2033_210:
	s_and_saveexec_b64 s[2:3], s[0:1]
	s_cbranch_execz .LBB2033_212
; %bb.211:
	s_waitcnt lgkmcnt(1)
	v_lshlrev_b64 v[2:3], 2, v[14:15]
	v_mov_b32_e32 v4, s25
	v_add_co_u32_e32 v2, vcc, s24, v2
	v_addc_co_u32_e32 v3, vcc, v4, v3, vcc
	s_waitcnt lgkmcnt(0)
	global_store_dword v[2:3], v17, off
.LBB2033_212:
	s_or_b64 exec, exec, s[2:3]
	v_cmp_eq_u32_e32 vcc, 0, v0
	s_and_b64 s[0:1], vcc, s[22:23]
	s_and_saveexec_b64 s[2:3], s[0:1]
	s_cbranch_execz .LBB2033_214
; %bb.213:
	v_add_co_u32_e32 v0, vcc, v1, v18
	s_waitcnt lgkmcnt(1)
	v_mov_b32_e32 v2, 0
	v_addc_co_u32_e32 v1, vcc, 0, v16, vcc
	global_store_dwordx2 v2, v[0:1], s[20:21]
.LBB2033_214:
	s_endpgm
	.section	.rodata,"a",@progbits
	.p2align	6, 0x0
	.amdhsa_kernel _ZN7rocprim17ROCPRIM_400000_NS6detail17trampoline_kernelINS0_13select_configILj256ELj13ELNS0_17block_load_methodE3ELS4_3ELS4_3ELNS0_20block_scan_algorithmE0ELj4294967295EEENS1_25partition_config_selectorILNS1_17partition_subalgoE3EjNS0_10empty_typeEbEEZZNS1_14partition_implILS8_3ELb0ES6_jNS0_17counting_iteratorIjlEEPS9_SE_NS0_5tupleIJPjSE_EEENSF_IJSE_SE_EEES9_SG_JZNS1_25segmented_radix_sort_implINS0_14default_configELb0EPK12hip_bfloat16PSL_PKlPlN2at6native12_GLOBAL__N_18offset_tEEE10hipError_tPvRmT1_PNSt15iterator_traitsISZ_E10value_typeET2_T3_PNS10_IS15_E10value_typeET4_jRbjT5_S1B_jjP12ihipStream_tbEUljE_EEESW_SX_SY_S15_S19_S1B_T6_T7_T9_mT8_S1D_bDpT10_ENKUlT_T0_E_clISt17integral_constantIbLb1EES1P_IbLb0EEEEDaS1L_S1M_EUlS1L_E_NS1_11comp_targetILNS1_3genE4ELNS1_11target_archE910ELNS1_3gpuE8ELNS1_3repE0EEENS1_30default_config_static_selectorELNS0_4arch9wavefront6targetE1EEEvSZ_
		.amdhsa_group_segment_fixed_size 13324
		.amdhsa_private_segment_fixed_size 0
		.amdhsa_kernarg_size 144
		.amdhsa_user_sgpr_count 6
		.amdhsa_user_sgpr_private_segment_buffer 1
		.amdhsa_user_sgpr_dispatch_ptr 0
		.amdhsa_user_sgpr_queue_ptr 0
		.amdhsa_user_sgpr_kernarg_segment_ptr 1
		.amdhsa_user_sgpr_dispatch_id 0
		.amdhsa_user_sgpr_flat_scratch_init 0
		.amdhsa_user_sgpr_kernarg_preload_length 0
		.amdhsa_user_sgpr_kernarg_preload_offset 0
		.amdhsa_user_sgpr_private_segment_size 0
		.amdhsa_uses_dynamic_stack 0
		.amdhsa_system_sgpr_private_segment_wavefront_offset 0
		.amdhsa_system_sgpr_workgroup_id_x 1
		.amdhsa_system_sgpr_workgroup_id_y 0
		.amdhsa_system_sgpr_workgroup_id_z 0
		.amdhsa_system_sgpr_workgroup_info 0
		.amdhsa_system_vgpr_workitem_id 0
		.amdhsa_next_free_vgpr 61
		.amdhsa_next_free_sgpr 46
		.amdhsa_accum_offset 64
		.amdhsa_reserve_vcc 1
		.amdhsa_reserve_flat_scratch 0
		.amdhsa_float_round_mode_32 0
		.amdhsa_float_round_mode_16_64 0
		.amdhsa_float_denorm_mode_32 3
		.amdhsa_float_denorm_mode_16_64 3
		.amdhsa_dx10_clamp 1
		.amdhsa_ieee_mode 1
		.amdhsa_fp16_overflow 0
		.amdhsa_tg_split 0
		.amdhsa_exception_fp_ieee_invalid_op 0
		.amdhsa_exception_fp_denorm_src 0
		.amdhsa_exception_fp_ieee_div_zero 0
		.amdhsa_exception_fp_ieee_overflow 0
		.amdhsa_exception_fp_ieee_underflow 0
		.amdhsa_exception_fp_ieee_inexact 0
		.amdhsa_exception_int_div_zero 0
	.end_amdhsa_kernel
	.section	.text._ZN7rocprim17ROCPRIM_400000_NS6detail17trampoline_kernelINS0_13select_configILj256ELj13ELNS0_17block_load_methodE3ELS4_3ELS4_3ELNS0_20block_scan_algorithmE0ELj4294967295EEENS1_25partition_config_selectorILNS1_17partition_subalgoE3EjNS0_10empty_typeEbEEZZNS1_14partition_implILS8_3ELb0ES6_jNS0_17counting_iteratorIjlEEPS9_SE_NS0_5tupleIJPjSE_EEENSF_IJSE_SE_EEES9_SG_JZNS1_25segmented_radix_sort_implINS0_14default_configELb0EPK12hip_bfloat16PSL_PKlPlN2at6native12_GLOBAL__N_18offset_tEEE10hipError_tPvRmT1_PNSt15iterator_traitsISZ_E10value_typeET2_T3_PNS10_IS15_E10value_typeET4_jRbjT5_S1B_jjP12ihipStream_tbEUljE_EEESW_SX_SY_S15_S19_S1B_T6_T7_T9_mT8_S1D_bDpT10_ENKUlT_T0_E_clISt17integral_constantIbLb1EES1P_IbLb0EEEEDaS1L_S1M_EUlS1L_E_NS1_11comp_targetILNS1_3genE4ELNS1_11target_archE910ELNS1_3gpuE8ELNS1_3repE0EEENS1_30default_config_static_selectorELNS0_4arch9wavefront6targetE1EEEvSZ_,"axG",@progbits,_ZN7rocprim17ROCPRIM_400000_NS6detail17trampoline_kernelINS0_13select_configILj256ELj13ELNS0_17block_load_methodE3ELS4_3ELS4_3ELNS0_20block_scan_algorithmE0ELj4294967295EEENS1_25partition_config_selectorILNS1_17partition_subalgoE3EjNS0_10empty_typeEbEEZZNS1_14partition_implILS8_3ELb0ES6_jNS0_17counting_iteratorIjlEEPS9_SE_NS0_5tupleIJPjSE_EEENSF_IJSE_SE_EEES9_SG_JZNS1_25segmented_radix_sort_implINS0_14default_configELb0EPK12hip_bfloat16PSL_PKlPlN2at6native12_GLOBAL__N_18offset_tEEE10hipError_tPvRmT1_PNSt15iterator_traitsISZ_E10value_typeET2_T3_PNS10_IS15_E10value_typeET4_jRbjT5_S1B_jjP12ihipStream_tbEUljE_EEESW_SX_SY_S15_S19_S1B_T6_T7_T9_mT8_S1D_bDpT10_ENKUlT_T0_E_clISt17integral_constantIbLb1EES1P_IbLb0EEEEDaS1L_S1M_EUlS1L_E_NS1_11comp_targetILNS1_3genE4ELNS1_11target_archE910ELNS1_3gpuE8ELNS1_3repE0EEENS1_30default_config_static_selectorELNS0_4arch9wavefront6targetE1EEEvSZ_,comdat
.Lfunc_end2033:
	.size	_ZN7rocprim17ROCPRIM_400000_NS6detail17trampoline_kernelINS0_13select_configILj256ELj13ELNS0_17block_load_methodE3ELS4_3ELS4_3ELNS0_20block_scan_algorithmE0ELj4294967295EEENS1_25partition_config_selectorILNS1_17partition_subalgoE3EjNS0_10empty_typeEbEEZZNS1_14partition_implILS8_3ELb0ES6_jNS0_17counting_iteratorIjlEEPS9_SE_NS0_5tupleIJPjSE_EEENSF_IJSE_SE_EEES9_SG_JZNS1_25segmented_radix_sort_implINS0_14default_configELb0EPK12hip_bfloat16PSL_PKlPlN2at6native12_GLOBAL__N_18offset_tEEE10hipError_tPvRmT1_PNSt15iterator_traitsISZ_E10value_typeET2_T3_PNS10_IS15_E10value_typeET4_jRbjT5_S1B_jjP12ihipStream_tbEUljE_EEESW_SX_SY_S15_S19_S1B_T6_T7_T9_mT8_S1D_bDpT10_ENKUlT_T0_E_clISt17integral_constantIbLb1EES1P_IbLb0EEEEDaS1L_S1M_EUlS1L_E_NS1_11comp_targetILNS1_3genE4ELNS1_11target_archE910ELNS1_3gpuE8ELNS1_3repE0EEENS1_30default_config_static_selectorELNS0_4arch9wavefront6targetE1EEEvSZ_, .Lfunc_end2033-_ZN7rocprim17ROCPRIM_400000_NS6detail17trampoline_kernelINS0_13select_configILj256ELj13ELNS0_17block_load_methodE3ELS4_3ELS4_3ELNS0_20block_scan_algorithmE0ELj4294967295EEENS1_25partition_config_selectorILNS1_17partition_subalgoE3EjNS0_10empty_typeEbEEZZNS1_14partition_implILS8_3ELb0ES6_jNS0_17counting_iteratorIjlEEPS9_SE_NS0_5tupleIJPjSE_EEENSF_IJSE_SE_EEES9_SG_JZNS1_25segmented_radix_sort_implINS0_14default_configELb0EPK12hip_bfloat16PSL_PKlPlN2at6native12_GLOBAL__N_18offset_tEEE10hipError_tPvRmT1_PNSt15iterator_traitsISZ_E10value_typeET2_T3_PNS10_IS15_E10value_typeET4_jRbjT5_S1B_jjP12ihipStream_tbEUljE_EEESW_SX_SY_S15_S19_S1B_T6_T7_T9_mT8_S1D_bDpT10_ENKUlT_T0_E_clISt17integral_constantIbLb1EES1P_IbLb0EEEEDaS1L_S1M_EUlS1L_E_NS1_11comp_targetILNS1_3genE4ELNS1_11target_archE910ELNS1_3gpuE8ELNS1_3repE0EEENS1_30default_config_static_selectorELNS0_4arch9wavefront6targetE1EEEvSZ_
                                        ; -- End function
	.section	.AMDGPU.csdata,"",@progbits
; Kernel info:
; codeLenInByte = 7756
; NumSgprs: 50
; NumVgprs: 61
; NumAgprs: 0
; TotalNumVgprs: 61
; ScratchSize: 0
; MemoryBound: 0
; FloatMode: 240
; IeeeMode: 1
; LDSByteSize: 13324 bytes/workgroup (compile time only)
; SGPRBlocks: 6
; VGPRBlocks: 7
; NumSGPRsForWavesPerEU: 50
; NumVGPRsForWavesPerEU: 61
; AccumOffset: 64
; Occupancy: 4
; WaveLimiterHint : 0
; COMPUTE_PGM_RSRC2:SCRATCH_EN: 0
; COMPUTE_PGM_RSRC2:USER_SGPR: 6
; COMPUTE_PGM_RSRC2:TRAP_HANDLER: 0
; COMPUTE_PGM_RSRC2:TGID_X_EN: 1
; COMPUTE_PGM_RSRC2:TGID_Y_EN: 0
; COMPUTE_PGM_RSRC2:TGID_Z_EN: 0
; COMPUTE_PGM_RSRC2:TIDIG_COMP_CNT: 0
; COMPUTE_PGM_RSRC3_GFX90A:ACCUM_OFFSET: 15
; COMPUTE_PGM_RSRC3_GFX90A:TG_SPLIT: 0
	.section	.text._ZN7rocprim17ROCPRIM_400000_NS6detail17trampoline_kernelINS0_13select_configILj256ELj13ELNS0_17block_load_methodE3ELS4_3ELS4_3ELNS0_20block_scan_algorithmE0ELj4294967295EEENS1_25partition_config_selectorILNS1_17partition_subalgoE3EjNS0_10empty_typeEbEEZZNS1_14partition_implILS8_3ELb0ES6_jNS0_17counting_iteratorIjlEEPS9_SE_NS0_5tupleIJPjSE_EEENSF_IJSE_SE_EEES9_SG_JZNS1_25segmented_radix_sort_implINS0_14default_configELb0EPK12hip_bfloat16PSL_PKlPlN2at6native12_GLOBAL__N_18offset_tEEE10hipError_tPvRmT1_PNSt15iterator_traitsISZ_E10value_typeET2_T3_PNS10_IS15_E10value_typeET4_jRbjT5_S1B_jjP12ihipStream_tbEUljE_EEESW_SX_SY_S15_S19_S1B_T6_T7_T9_mT8_S1D_bDpT10_ENKUlT_T0_E_clISt17integral_constantIbLb1EES1P_IbLb0EEEEDaS1L_S1M_EUlS1L_E_NS1_11comp_targetILNS1_3genE3ELNS1_11target_archE908ELNS1_3gpuE7ELNS1_3repE0EEENS1_30default_config_static_selectorELNS0_4arch9wavefront6targetE1EEEvSZ_,"axG",@progbits,_ZN7rocprim17ROCPRIM_400000_NS6detail17trampoline_kernelINS0_13select_configILj256ELj13ELNS0_17block_load_methodE3ELS4_3ELS4_3ELNS0_20block_scan_algorithmE0ELj4294967295EEENS1_25partition_config_selectorILNS1_17partition_subalgoE3EjNS0_10empty_typeEbEEZZNS1_14partition_implILS8_3ELb0ES6_jNS0_17counting_iteratorIjlEEPS9_SE_NS0_5tupleIJPjSE_EEENSF_IJSE_SE_EEES9_SG_JZNS1_25segmented_radix_sort_implINS0_14default_configELb0EPK12hip_bfloat16PSL_PKlPlN2at6native12_GLOBAL__N_18offset_tEEE10hipError_tPvRmT1_PNSt15iterator_traitsISZ_E10value_typeET2_T3_PNS10_IS15_E10value_typeET4_jRbjT5_S1B_jjP12ihipStream_tbEUljE_EEESW_SX_SY_S15_S19_S1B_T6_T7_T9_mT8_S1D_bDpT10_ENKUlT_T0_E_clISt17integral_constantIbLb1EES1P_IbLb0EEEEDaS1L_S1M_EUlS1L_E_NS1_11comp_targetILNS1_3genE3ELNS1_11target_archE908ELNS1_3gpuE7ELNS1_3repE0EEENS1_30default_config_static_selectorELNS0_4arch9wavefront6targetE1EEEvSZ_,comdat
	.globl	_ZN7rocprim17ROCPRIM_400000_NS6detail17trampoline_kernelINS0_13select_configILj256ELj13ELNS0_17block_load_methodE3ELS4_3ELS4_3ELNS0_20block_scan_algorithmE0ELj4294967295EEENS1_25partition_config_selectorILNS1_17partition_subalgoE3EjNS0_10empty_typeEbEEZZNS1_14partition_implILS8_3ELb0ES6_jNS0_17counting_iteratorIjlEEPS9_SE_NS0_5tupleIJPjSE_EEENSF_IJSE_SE_EEES9_SG_JZNS1_25segmented_radix_sort_implINS0_14default_configELb0EPK12hip_bfloat16PSL_PKlPlN2at6native12_GLOBAL__N_18offset_tEEE10hipError_tPvRmT1_PNSt15iterator_traitsISZ_E10value_typeET2_T3_PNS10_IS15_E10value_typeET4_jRbjT5_S1B_jjP12ihipStream_tbEUljE_EEESW_SX_SY_S15_S19_S1B_T6_T7_T9_mT8_S1D_bDpT10_ENKUlT_T0_E_clISt17integral_constantIbLb1EES1P_IbLb0EEEEDaS1L_S1M_EUlS1L_E_NS1_11comp_targetILNS1_3genE3ELNS1_11target_archE908ELNS1_3gpuE7ELNS1_3repE0EEENS1_30default_config_static_selectorELNS0_4arch9wavefront6targetE1EEEvSZ_ ; -- Begin function _ZN7rocprim17ROCPRIM_400000_NS6detail17trampoline_kernelINS0_13select_configILj256ELj13ELNS0_17block_load_methodE3ELS4_3ELS4_3ELNS0_20block_scan_algorithmE0ELj4294967295EEENS1_25partition_config_selectorILNS1_17partition_subalgoE3EjNS0_10empty_typeEbEEZZNS1_14partition_implILS8_3ELb0ES6_jNS0_17counting_iteratorIjlEEPS9_SE_NS0_5tupleIJPjSE_EEENSF_IJSE_SE_EEES9_SG_JZNS1_25segmented_radix_sort_implINS0_14default_configELb0EPK12hip_bfloat16PSL_PKlPlN2at6native12_GLOBAL__N_18offset_tEEE10hipError_tPvRmT1_PNSt15iterator_traitsISZ_E10value_typeET2_T3_PNS10_IS15_E10value_typeET4_jRbjT5_S1B_jjP12ihipStream_tbEUljE_EEESW_SX_SY_S15_S19_S1B_T6_T7_T9_mT8_S1D_bDpT10_ENKUlT_T0_E_clISt17integral_constantIbLb1EES1P_IbLb0EEEEDaS1L_S1M_EUlS1L_E_NS1_11comp_targetILNS1_3genE3ELNS1_11target_archE908ELNS1_3gpuE7ELNS1_3repE0EEENS1_30default_config_static_selectorELNS0_4arch9wavefront6targetE1EEEvSZ_
	.p2align	8
	.type	_ZN7rocprim17ROCPRIM_400000_NS6detail17trampoline_kernelINS0_13select_configILj256ELj13ELNS0_17block_load_methodE3ELS4_3ELS4_3ELNS0_20block_scan_algorithmE0ELj4294967295EEENS1_25partition_config_selectorILNS1_17partition_subalgoE3EjNS0_10empty_typeEbEEZZNS1_14partition_implILS8_3ELb0ES6_jNS0_17counting_iteratorIjlEEPS9_SE_NS0_5tupleIJPjSE_EEENSF_IJSE_SE_EEES9_SG_JZNS1_25segmented_radix_sort_implINS0_14default_configELb0EPK12hip_bfloat16PSL_PKlPlN2at6native12_GLOBAL__N_18offset_tEEE10hipError_tPvRmT1_PNSt15iterator_traitsISZ_E10value_typeET2_T3_PNS10_IS15_E10value_typeET4_jRbjT5_S1B_jjP12ihipStream_tbEUljE_EEESW_SX_SY_S15_S19_S1B_T6_T7_T9_mT8_S1D_bDpT10_ENKUlT_T0_E_clISt17integral_constantIbLb1EES1P_IbLb0EEEEDaS1L_S1M_EUlS1L_E_NS1_11comp_targetILNS1_3genE3ELNS1_11target_archE908ELNS1_3gpuE7ELNS1_3repE0EEENS1_30default_config_static_selectorELNS0_4arch9wavefront6targetE1EEEvSZ_,@function
_ZN7rocprim17ROCPRIM_400000_NS6detail17trampoline_kernelINS0_13select_configILj256ELj13ELNS0_17block_load_methodE3ELS4_3ELS4_3ELNS0_20block_scan_algorithmE0ELj4294967295EEENS1_25partition_config_selectorILNS1_17partition_subalgoE3EjNS0_10empty_typeEbEEZZNS1_14partition_implILS8_3ELb0ES6_jNS0_17counting_iteratorIjlEEPS9_SE_NS0_5tupleIJPjSE_EEENSF_IJSE_SE_EEES9_SG_JZNS1_25segmented_radix_sort_implINS0_14default_configELb0EPK12hip_bfloat16PSL_PKlPlN2at6native12_GLOBAL__N_18offset_tEEE10hipError_tPvRmT1_PNSt15iterator_traitsISZ_E10value_typeET2_T3_PNS10_IS15_E10value_typeET4_jRbjT5_S1B_jjP12ihipStream_tbEUljE_EEESW_SX_SY_S15_S19_S1B_T6_T7_T9_mT8_S1D_bDpT10_ENKUlT_T0_E_clISt17integral_constantIbLb1EES1P_IbLb0EEEEDaS1L_S1M_EUlS1L_E_NS1_11comp_targetILNS1_3genE3ELNS1_11target_archE908ELNS1_3gpuE7ELNS1_3repE0EEENS1_30default_config_static_selectorELNS0_4arch9wavefront6targetE1EEEvSZ_: ; @_ZN7rocprim17ROCPRIM_400000_NS6detail17trampoline_kernelINS0_13select_configILj256ELj13ELNS0_17block_load_methodE3ELS4_3ELS4_3ELNS0_20block_scan_algorithmE0ELj4294967295EEENS1_25partition_config_selectorILNS1_17partition_subalgoE3EjNS0_10empty_typeEbEEZZNS1_14partition_implILS8_3ELb0ES6_jNS0_17counting_iteratorIjlEEPS9_SE_NS0_5tupleIJPjSE_EEENSF_IJSE_SE_EEES9_SG_JZNS1_25segmented_radix_sort_implINS0_14default_configELb0EPK12hip_bfloat16PSL_PKlPlN2at6native12_GLOBAL__N_18offset_tEEE10hipError_tPvRmT1_PNSt15iterator_traitsISZ_E10value_typeET2_T3_PNS10_IS15_E10value_typeET4_jRbjT5_S1B_jjP12ihipStream_tbEUljE_EEESW_SX_SY_S15_S19_S1B_T6_T7_T9_mT8_S1D_bDpT10_ENKUlT_T0_E_clISt17integral_constantIbLb1EES1P_IbLb0EEEEDaS1L_S1M_EUlS1L_E_NS1_11comp_targetILNS1_3genE3ELNS1_11target_archE908ELNS1_3gpuE7ELNS1_3repE0EEENS1_30default_config_static_selectorELNS0_4arch9wavefront6targetE1EEEvSZ_
; %bb.0:
	.section	.rodata,"a",@progbits
	.p2align	6, 0x0
	.amdhsa_kernel _ZN7rocprim17ROCPRIM_400000_NS6detail17trampoline_kernelINS0_13select_configILj256ELj13ELNS0_17block_load_methodE3ELS4_3ELS4_3ELNS0_20block_scan_algorithmE0ELj4294967295EEENS1_25partition_config_selectorILNS1_17partition_subalgoE3EjNS0_10empty_typeEbEEZZNS1_14partition_implILS8_3ELb0ES6_jNS0_17counting_iteratorIjlEEPS9_SE_NS0_5tupleIJPjSE_EEENSF_IJSE_SE_EEES9_SG_JZNS1_25segmented_radix_sort_implINS0_14default_configELb0EPK12hip_bfloat16PSL_PKlPlN2at6native12_GLOBAL__N_18offset_tEEE10hipError_tPvRmT1_PNSt15iterator_traitsISZ_E10value_typeET2_T3_PNS10_IS15_E10value_typeET4_jRbjT5_S1B_jjP12ihipStream_tbEUljE_EEESW_SX_SY_S15_S19_S1B_T6_T7_T9_mT8_S1D_bDpT10_ENKUlT_T0_E_clISt17integral_constantIbLb1EES1P_IbLb0EEEEDaS1L_S1M_EUlS1L_E_NS1_11comp_targetILNS1_3genE3ELNS1_11target_archE908ELNS1_3gpuE7ELNS1_3repE0EEENS1_30default_config_static_selectorELNS0_4arch9wavefront6targetE1EEEvSZ_
		.amdhsa_group_segment_fixed_size 0
		.amdhsa_private_segment_fixed_size 0
		.amdhsa_kernarg_size 144
		.amdhsa_user_sgpr_count 6
		.amdhsa_user_sgpr_private_segment_buffer 1
		.amdhsa_user_sgpr_dispatch_ptr 0
		.amdhsa_user_sgpr_queue_ptr 0
		.amdhsa_user_sgpr_kernarg_segment_ptr 1
		.amdhsa_user_sgpr_dispatch_id 0
		.amdhsa_user_sgpr_flat_scratch_init 0
		.amdhsa_user_sgpr_kernarg_preload_length 0
		.amdhsa_user_sgpr_kernarg_preload_offset 0
		.amdhsa_user_sgpr_private_segment_size 0
		.amdhsa_uses_dynamic_stack 0
		.amdhsa_system_sgpr_private_segment_wavefront_offset 0
		.amdhsa_system_sgpr_workgroup_id_x 1
		.amdhsa_system_sgpr_workgroup_id_y 0
		.amdhsa_system_sgpr_workgroup_id_z 0
		.amdhsa_system_sgpr_workgroup_info 0
		.amdhsa_system_vgpr_workitem_id 0
		.amdhsa_next_free_vgpr 1
		.amdhsa_next_free_sgpr 0
		.amdhsa_accum_offset 4
		.amdhsa_reserve_vcc 0
		.amdhsa_reserve_flat_scratch 0
		.amdhsa_float_round_mode_32 0
		.amdhsa_float_round_mode_16_64 0
		.amdhsa_float_denorm_mode_32 3
		.amdhsa_float_denorm_mode_16_64 3
		.amdhsa_dx10_clamp 1
		.amdhsa_ieee_mode 1
		.amdhsa_fp16_overflow 0
		.amdhsa_tg_split 0
		.amdhsa_exception_fp_ieee_invalid_op 0
		.amdhsa_exception_fp_denorm_src 0
		.amdhsa_exception_fp_ieee_div_zero 0
		.amdhsa_exception_fp_ieee_overflow 0
		.amdhsa_exception_fp_ieee_underflow 0
		.amdhsa_exception_fp_ieee_inexact 0
		.amdhsa_exception_int_div_zero 0
	.end_amdhsa_kernel
	.section	.text._ZN7rocprim17ROCPRIM_400000_NS6detail17trampoline_kernelINS0_13select_configILj256ELj13ELNS0_17block_load_methodE3ELS4_3ELS4_3ELNS0_20block_scan_algorithmE0ELj4294967295EEENS1_25partition_config_selectorILNS1_17partition_subalgoE3EjNS0_10empty_typeEbEEZZNS1_14partition_implILS8_3ELb0ES6_jNS0_17counting_iteratorIjlEEPS9_SE_NS0_5tupleIJPjSE_EEENSF_IJSE_SE_EEES9_SG_JZNS1_25segmented_radix_sort_implINS0_14default_configELb0EPK12hip_bfloat16PSL_PKlPlN2at6native12_GLOBAL__N_18offset_tEEE10hipError_tPvRmT1_PNSt15iterator_traitsISZ_E10value_typeET2_T3_PNS10_IS15_E10value_typeET4_jRbjT5_S1B_jjP12ihipStream_tbEUljE_EEESW_SX_SY_S15_S19_S1B_T6_T7_T9_mT8_S1D_bDpT10_ENKUlT_T0_E_clISt17integral_constantIbLb1EES1P_IbLb0EEEEDaS1L_S1M_EUlS1L_E_NS1_11comp_targetILNS1_3genE3ELNS1_11target_archE908ELNS1_3gpuE7ELNS1_3repE0EEENS1_30default_config_static_selectorELNS0_4arch9wavefront6targetE1EEEvSZ_,"axG",@progbits,_ZN7rocprim17ROCPRIM_400000_NS6detail17trampoline_kernelINS0_13select_configILj256ELj13ELNS0_17block_load_methodE3ELS4_3ELS4_3ELNS0_20block_scan_algorithmE0ELj4294967295EEENS1_25partition_config_selectorILNS1_17partition_subalgoE3EjNS0_10empty_typeEbEEZZNS1_14partition_implILS8_3ELb0ES6_jNS0_17counting_iteratorIjlEEPS9_SE_NS0_5tupleIJPjSE_EEENSF_IJSE_SE_EEES9_SG_JZNS1_25segmented_radix_sort_implINS0_14default_configELb0EPK12hip_bfloat16PSL_PKlPlN2at6native12_GLOBAL__N_18offset_tEEE10hipError_tPvRmT1_PNSt15iterator_traitsISZ_E10value_typeET2_T3_PNS10_IS15_E10value_typeET4_jRbjT5_S1B_jjP12ihipStream_tbEUljE_EEESW_SX_SY_S15_S19_S1B_T6_T7_T9_mT8_S1D_bDpT10_ENKUlT_T0_E_clISt17integral_constantIbLb1EES1P_IbLb0EEEEDaS1L_S1M_EUlS1L_E_NS1_11comp_targetILNS1_3genE3ELNS1_11target_archE908ELNS1_3gpuE7ELNS1_3repE0EEENS1_30default_config_static_selectorELNS0_4arch9wavefront6targetE1EEEvSZ_,comdat
.Lfunc_end2034:
	.size	_ZN7rocprim17ROCPRIM_400000_NS6detail17trampoline_kernelINS0_13select_configILj256ELj13ELNS0_17block_load_methodE3ELS4_3ELS4_3ELNS0_20block_scan_algorithmE0ELj4294967295EEENS1_25partition_config_selectorILNS1_17partition_subalgoE3EjNS0_10empty_typeEbEEZZNS1_14partition_implILS8_3ELb0ES6_jNS0_17counting_iteratorIjlEEPS9_SE_NS0_5tupleIJPjSE_EEENSF_IJSE_SE_EEES9_SG_JZNS1_25segmented_radix_sort_implINS0_14default_configELb0EPK12hip_bfloat16PSL_PKlPlN2at6native12_GLOBAL__N_18offset_tEEE10hipError_tPvRmT1_PNSt15iterator_traitsISZ_E10value_typeET2_T3_PNS10_IS15_E10value_typeET4_jRbjT5_S1B_jjP12ihipStream_tbEUljE_EEESW_SX_SY_S15_S19_S1B_T6_T7_T9_mT8_S1D_bDpT10_ENKUlT_T0_E_clISt17integral_constantIbLb1EES1P_IbLb0EEEEDaS1L_S1M_EUlS1L_E_NS1_11comp_targetILNS1_3genE3ELNS1_11target_archE908ELNS1_3gpuE7ELNS1_3repE0EEENS1_30default_config_static_selectorELNS0_4arch9wavefront6targetE1EEEvSZ_, .Lfunc_end2034-_ZN7rocprim17ROCPRIM_400000_NS6detail17trampoline_kernelINS0_13select_configILj256ELj13ELNS0_17block_load_methodE3ELS4_3ELS4_3ELNS0_20block_scan_algorithmE0ELj4294967295EEENS1_25partition_config_selectorILNS1_17partition_subalgoE3EjNS0_10empty_typeEbEEZZNS1_14partition_implILS8_3ELb0ES6_jNS0_17counting_iteratorIjlEEPS9_SE_NS0_5tupleIJPjSE_EEENSF_IJSE_SE_EEES9_SG_JZNS1_25segmented_radix_sort_implINS0_14default_configELb0EPK12hip_bfloat16PSL_PKlPlN2at6native12_GLOBAL__N_18offset_tEEE10hipError_tPvRmT1_PNSt15iterator_traitsISZ_E10value_typeET2_T3_PNS10_IS15_E10value_typeET4_jRbjT5_S1B_jjP12ihipStream_tbEUljE_EEESW_SX_SY_S15_S19_S1B_T6_T7_T9_mT8_S1D_bDpT10_ENKUlT_T0_E_clISt17integral_constantIbLb1EES1P_IbLb0EEEEDaS1L_S1M_EUlS1L_E_NS1_11comp_targetILNS1_3genE3ELNS1_11target_archE908ELNS1_3gpuE7ELNS1_3repE0EEENS1_30default_config_static_selectorELNS0_4arch9wavefront6targetE1EEEvSZ_
                                        ; -- End function
	.section	.AMDGPU.csdata,"",@progbits
; Kernel info:
; codeLenInByte = 0
; NumSgprs: 4
; NumVgprs: 0
; NumAgprs: 0
; TotalNumVgprs: 0
; ScratchSize: 0
; MemoryBound: 0
; FloatMode: 240
; IeeeMode: 1
; LDSByteSize: 0 bytes/workgroup (compile time only)
; SGPRBlocks: 0
; VGPRBlocks: 0
; NumSGPRsForWavesPerEU: 4
; NumVGPRsForWavesPerEU: 1
; AccumOffset: 4
; Occupancy: 8
; WaveLimiterHint : 0
; COMPUTE_PGM_RSRC2:SCRATCH_EN: 0
; COMPUTE_PGM_RSRC2:USER_SGPR: 6
; COMPUTE_PGM_RSRC2:TRAP_HANDLER: 0
; COMPUTE_PGM_RSRC2:TGID_X_EN: 1
; COMPUTE_PGM_RSRC2:TGID_Y_EN: 0
; COMPUTE_PGM_RSRC2:TGID_Z_EN: 0
; COMPUTE_PGM_RSRC2:TIDIG_COMP_CNT: 0
; COMPUTE_PGM_RSRC3_GFX90A:ACCUM_OFFSET: 0
; COMPUTE_PGM_RSRC3_GFX90A:TG_SPLIT: 0
	.section	.text._ZN7rocprim17ROCPRIM_400000_NS6detail17trampoline_kernelINS0_13select_configILj256ELj13ELNS0_17block_load_methodE3ELS4_3ELS4_3ELNS0_20block_scan_algorithmE0ELj4294967295EEENS1_25partition_config_selectorILNS1_17partition_subalgoE3EjNS0_10empty_typeEbEEZZNS1_14partition_implILS8_3ELb0ES6_jNS0_17counting_iteratorIjlEEPS9_SE_NS0_5tupleIJPjSE_EEENSF_IJSE_SE_EEES9_SG_JZNS1_25segmented_radix_sort_implINS0_14default_configELb0EPK12hip_bfloat16PSL_PKlPlN2at6native12_GLOBAL__N_18offset_tEEE10hipError_tPvRmT1_PNSt15iterator_traitsISZ_E10value_typeET2_T3_PNS10_IS15_E10value_typeET4_jRbjT5_S1B_jjP12ihipStream_tbEUljE_EEESW_SX_SY_S15_S19_S1B_T6_T7_T9_mT8_S1D_bDpT10_ENKUlT_T0_E_clISt17integral_constantIbLb1EES1P_IbLb0EEEEDaS1L_S1M_EUlS1L_E_NS1_11comp_targetILNS1_3genE2ELNS1_11target_archE906ELNS1_3gpuE6ELNS1_3repE0EEENS1_30default_config_static_selectorELNS0_4arch9wavefront6targetE1EEEvSZ_,"axG",@progbits,_ZN7rocprim17ROCPRIM_400000_NS6detail17trampoline_kernelINS0_13select_configILj256ELj13ELNS0_17block_load_methodE3ELS4_3ELS4_3ELNS0_20block_scan_algorithmE0ELj4294967295EEENS1_25partition_config_selectorILNS1_17partition_subalgoE3EjNS0_10empty_typeEbEEZZNS1_14partition_implILS8_3ELb0ES6_jNS0_17counting_iteratorIjlEEPS9_SE_NS0_5tupleIJPjSE_EEENSF_IJSE_SE_EEES9_SG_JZNS1_25segmented_radix_sort_implINS0_14default_configELb0EPK12hip_bfloat16PSL_PKlPlN2at6native12_GLOBAL__N_18offset_tEEE10hipError_tPvRmT1_PNSt15iterator_traitsISZ_E10value_typeET2_T3_PNS10_IS15_E10value_typeET4_jRbjT5_S1B_jjP12ihipStream_tbEUljE_EEESW_SX_SY_S15_S19_S1B_T6_T7_T9_mT8_S1D_bDpT10_ENKUlT_T0_E_clISt17integral_constantIbLb1EES1P_IbLb0EEEEDaS1L_S1M_EUlS1L_E_NS1_11comp_targetILNS1_3genE2ELNS1_11target_archE906ELNS1_3gpuE6ELNS1_3repE0EEENS1_30default_config_static_selectorELNS0_4arch9wavefront6targetE1EEEvSZ_,comdat
	.globl	_ZN7rocprim17ROCPRIM_400000_NS6detail17trampoline_kernelINS0_13select_configILj256ELj13ELNS0_17block_load_methodE3ELS4_3ELS4_3ELNS0_20block_scan_algorithmE0ELj4294967295EEENS1_25partition_config_selectorILNS1_17partition_subalgoE3EjNS0_10empty_typeEbEEZZNS1_14partition_implILS8_3ELb0ES6_jNS0_17counting_iteratorIjlEEPS9_SE_NS0_5tupleIJPjSE_EEENSF_IJSE_SE_EEES9_SG_JZNS1_25segmented_radix_sort_implINS0_14default_configELb0EPK12hip_bfloat16PSL_PKlPlN2at6native12_GLOBAL__N_18offset_tEEE10hipError_tPvRmT1_PNSt15iterator_traitsISZ_E10value_typeET2_T3_PNS10_IS15_E10value_typeET4_jRbjT5_S1B_jjP12ihipStream_tbEUljE_EEESW_SX_SY_S15_S19_S1B_T6_T7_T9_mT8_S1D_bDpT10_ENKUlT_T0_E_clISt17integral_constantIbLb1EES1P_IbLb0EEEEDaS1L_S1M_EUlS1L_E_NS1_11comp_targetILNS1_3genE2ELNS1_11target_archE906ELNS1_3gpuE6ELNS1_3repE0EEENS1_30default_config_static_selectorELNS0_4arch9wavefront6targetE1EEEvSZ_ ; -- Begin function _ZN7rocprim17ROCPRIM_400000_NS6detail17trampoline_kernelINS0_13select_configILj256ELj13ELNS0_17block_load_methodE3ELS4_3ELS4_3ELNS0_20block_scan_algorithmE0ELj4294967295EEENS1_25partition_config_selectorILNS1_17partition_subalgoE3EjNS0_10empty_typeEbEEZZNS1_14partition_implILS8_3ELb0ES6_jNS0_17counting_iteratorIjlEEPS9_SE_NS0_5tupleIJPjSE_EEENSF_IJSE_SE_EEES9_SG_JZNS1_25segmented_radix_sort_implINS0_14default_configELb0EPK12hip_bfloat16PSL_PKlPlN2at6native12_GLOBAL__N_18offset_tEEE10hipError_tPvRmT1_PNSt15iterator_traitsISZ_E10value_typeET2_T3_PNS10_IS15_E10value_typeET4_jRbjT5_S1B_jjP12ihipStream_tbEUljE_EEESW_SX_SY_S15_S19_S1B_T6_T7_T9_mT8_S1D_bDpT10_ENKUlT_T0_E_clISt17integral_constantIbLb1EES1P_IbLb0EEEEDaS1L_S1M_EUlS1L_E_NS1_11comp_targetILNS1_3genE2ELNS1_11target_archE906ELNS1_3gpuE6ELNS1_3repE0EEENS1_30default_config_static_selectorELNS0_4arch9wavefront6targetE1EEEvSZ_
	.p2align	8
	.type	_ZN7rocprim17ROCPRIM_400000_NS6detail17trampoline_kernelINS0_13select_configILj256ELj13ELNS0_17block_load_methodE3ELS4_3ELS4_3ELNS0_20block_scan_algorithmE0ELj4294967295EEENS1_25partition_config_selectorILNS1_17partition_subalgoE3EjNS0_10empty_typeEbEEZZNS1_14partition_implILS8_3ELb0ES6_jNS0_17counting_iteratorIjlEEPS9_SE_NS0_5tupleIJPjSE_EEENSF_IJSE_SE_EEES9_SG_JZNS1_25segmented_radix_sort_implINS0_14default_configELb0EPK12hip_bfloat16PSL_PKlPlN2at6native12_GLOBAL__N_18offset_tEEE10hipError_tPvRmT1_PNSt15iterator_traitsISZ_E10value_typeET2_T3_PNS10_IS15_E10value_typeET4_jRbjT5_S1B_jjP12ihipStream_tbEUljE_EEESW_SX_SY_S15_S19_S1B_T6_T7_T9_mT8_S1D_bDpT10_ENKUlT_T0_E_clISt17integral_constantIbLb1EES1P_IbLb0EEEEDaS1L_S1M_EUlS1L_E_NS1_11comp_targetILNS1_3genE2ELNS1_11target_archE906ELNS1_3gpuE6ELNS1_3repE0EEENS1_30default_config_static_selectorELNS0_4arch9wavefront6targetE1EEEvSZ_,@function
_ZN7rocprim17ROCPRIM_400000_NS6detail17trampoline_kernelINS0_13select_configILj256ELj13ELNS0_17block_load_methodE3ELS4_3ELS4_3ELNS0_20block_scan_algorithmE0ELj4294967295EEENS1_25partition_config_selectorILNS1_17partition_subalgoE3EjNS0_10empty_typeEbEEZZNS1_14partition_implILS8_3ELb0ES6_jNS0_17counting_iteratorIjlEEPS9_SE_NS0_5tupleIJPjSE_EEENSF_IJSE_SE_EEES9_SG_JZNS1_25segmented_radix_sort_implINS0_14default_configELb0EPK12hip_bfloat16PSL_PKlPlN2at6native12_GLOBAL__N_18offset_tEEE10hipError_tPvRmT1_PNSt15iterator_traitsISZ_E10value_typeET2_T3_PNS10_IS15_E10value_typeET4_jRbjT5_S1B_jjP12ihipStream_tbEUljE_EEESW_SX_SY_S15_S19_S1B_T6_T7_T9_mT8_S1D_bDpT10_ENKUlT_T0_E_clISt17integral_constantIbLb1EES1P_IbLb0EEEEDaS1L_S1M_EUlS1L_E_NS1_11comp_targetILNS1_3genE2ELNS1_11target_archE906ELNS1_3gpuE6ELNS1_3repE0EEENS1_30default_config_static_selectorELNS0_4arch9wavefront6targetE1EEEvSZ_: ; @_ZN7rocprim17ROCPRIM_400000_NS6detail17trampoline_kernelINS0_13select_configILj256ELj13ELNS0_17block_load_methodE3ELS4_3ELS4_3ELNS0_20block_scan_algorithmE0ELj4294967295EEENS1_25partition_config_selectorILNS1_17partition_subalgoE3EjNS0_10empty_typeEbEEZZNS1_14partition_implILS8_3ELb0ES6_jNS0_17counting_iteratorIjlEEPS9_SE_NS0_5tupleIJPjSE_EEENSF_IJSE_SE_EEES9_SG_JZNS1_25segmented_radix_sort_implINS0_14default_configELb0EPK12hip_bfloat16PSL_PKlPlN2at6native12_GLOBAL__N_18offset_tEEE10hipError_tPvRmT1_PNSt15iterator_traitsISZ_E10value_typeET2_T3_PNS10_IS15_E10value_typeET4_jRbjT5_S1B_jjP12ihipStream_tbEUljE_EEESW_SX_SY_S15_S19_S1B_T6_T7_T9_mT8_S1D_bDpT10_ENKUlT_T0_E_clISt17integral_constantIbLb1EES1P_IbLb0EEEEDaS1L_S1M_EUlS1L_E_NS1_11comp_targetILNS1_3genE2ELNS1_11target_archE906ELNS1_3gpuE6ELNS1_3repE0EEENS1_30default_config_static_selectorELNS0_4arch9wavefront6targetE1EEEvSZ_
; %bb.0:
	.section	.rodata,"a",@progbits
	.p2align	6, 0x0
	.amdhsa_kernel _ZN7rocprim17ROCPRIM_400000_NS6detail17trampoline_kernelINS0_13select_configILj256ELj13ELNS0_17block_load_methodE3ELS4_3ELS4_3ELNS0_20block_scan_algorithmE0ELj4294967295EEENS1_25partition_config_selectorILNS1_17partition_subalgoE3EjNS0_10empty_typeEbEEZZNS1_14partition_implILS8_3ELb0ES6_jNS0_17counting_iteratorIjlEEPS9_SE_NS0_5tupleIJPjSE_EEENSF_IJSE_SE_EEES9_SG_JZNS1_25segmented_radix_sort_implINS0_14default_configELb0EPK12hip_bfloat16PSL_PKlPlN2at6native12_GLOBAL__N_18offset_tEEE10hipError_tPvRmT1_PNSt15iterator_traitsISZ_E10value_typeET2_T3_PNS10_IS15_E10value_typeET4_jRbjT5_S1B_jjP12ihipStream_tbEUljE_EEESW_SX_SY_S15_S19_S1B_T6_T7_T9_mT8_S1D_bDpT10_ENKUlT_T0_E_clISt17integral_constantIbLb1EES1P_IbLb0EEEEDaS1L_S1M_EUlS1L_E_NS1_11comp_targetILNS1_3genE2ELNS1_11target_archE906ELNS1_3gpuE6ELNS1_3repE0EEENS1_30default_config_static_selectorELNS0_4arch9wavefront6targetE1EEEvSZ_
		.amdhsa_group_segment_fixed_size 0
		.amdhsa_private_segment_fixed_size 0
		.amdhsa_kernarg_size 144
		.amdhsa_user_sgpr_count 6
		.amdhsa_user_sgpr_private_segment_buffer 1
		.amdhsa_user_sgpr_dispatch_ptr 0
		.amdhsa_user_sgpr_queue_ptr 0
		.amdhsa_user_sgpr_kernarg_segment_ptr 1
		.amdhsa_user_sgpr_dispatch_id 0
		.amdhsa_user_sgpr_flat_scratch_init 0
		.amdhsa_user_sgpr_kernarg_preload_length 0
		.amdhsa_user_sgpr_kernarg_preload_offset 0
		.amdhsa_user_sgpr_private_segment_size 0
		.amdhsa_uses_dynamic_stack 0
		.amdhsa_system_sgpr_private_segment_wavefront_offset 0
		.amdhsa_system_sgpr_workgroup_id_x 1
		.amdhsa_system_sgpr_workgroup_id_y 0
		.amdhsa_system_sgpr_workgroup_id_z 0
		.amdhsa_system_sgpr_workgroup_info 0
		.amdhsa_system_vgpr_workitem_id 0
		.amdhsa_next_free_vgpr 1
		.amdhsa_next_free_sgpr 0
		.amdhsa_accum_offset 4
		.amdhsa_reserve_vcc 0
		.amdhsa_reserve_flat_scratch 0
		.amdhsa_float_round_mode_32 0
		.amdhsa_float_round_mode_16_64 0
		.amdhsa_float_denorm_mode_32 3
		.amdhsa_float_denorm_mode_16_64 3
		.amdhsa_dx10_clamp 1
		.amdhsa_ieee_mode 1
		.amdhsa_fp16_overflow 0
		.amdhsa_tg_split 0
		.amdhsa_exception_fp_ieee_invalid_op 0
		.amdhsa_exception_fp_denorm_src 0
		.amdhsa_exception_fp_ieee_div_zero 0
		.amdhsa_exception_fp_ieee_overflow 0
		.amdhsa_exception_fp_ieee_underflow 0
		.amdhsa_exception_fp_ieee_inexact 0
		.amdhsa_exception_int_div_zero 0
	.end_amdhsa_kernel
	.section	.text._ZN7rocprim17ROCPRIM_400000_NS6detail17trampoline_kernelINS0_13select_configILj256ELj13ELNS0_17block_load_methodE3ELS4_3ELS4_3ELNS0_20block_scan_algorithmE0ELj4294967295EEENS1_25partition_config_selectorILNS1_17partition_subalgoE3EjNS0_10empty_typeEbEEZZNS1_14partition_implILS8_3ELb0ES6_jNS0_17counting_iteratorIjlEEPS9_SE_NS0_5tupleIJPjSE_EEENSF_IJSE_SE_EEES9_SG_JZNS1_25segmented_radix_sort_implINS0_14default_configELb0EPK12hip_bfloat16PSL_PKlPlN2at6native12_GLOBAL__N_18offset_tEEE10hipError_tPvRmT1_PNSt15iterator_traitsISZ_E10value_typeET2_T3_PNS10_IS15_E10value_typeET4_jRbjT5_S1B_jjP12ihipStream_tbEUljE_EEESW_SX_SY_S15_S19_S1B_T6_T7_T9_mT8_S1D_bDpT10_ENKUlT_T0_E_clISt17integral_constantIbLb1EES1P_IbLb0EEEEDaS1L_S1M_EUlS1L_E_NS1_11comp_targetILNS1_3genE2ELNS1_11target_archE906ELNS1_3gpuE6ELNS1_3repE0EEENS1_30default_config_static_selectorELNS0_4arch9wavefront6targetE1EEEvSZ_,"axG",@progbits,_ZN7rocprim17ROCPRIM_400000_NS6detail17trampoline_kernelINS0_13select_configILj256ELj13ELNS0_17block_load_methodE3ELS4_3ELS4_3ELNS0_20block_scan_algorithmE0ELj4294967295EEENS1_25partition_config_selectorILNS1_17partition_subalgoE3EjNS0_10empty_typeEbEEZZNS1_14partition_implILS8_3ELb0ES6_jNS0_17counting_iteratorIjlEEPS9_SE_NS0_5tupleIJPjSE_EEENSF_IJSE_SE_EEES9_SG_JZNS1_25segmented_radix_sort_implINS0_14default_configELb0EPK12hip_bfloat16PSL_PKlPlN2at6native12_GLOBAL__N_18offset_tEEE10hipError_tPvRmT1_PNSt15iterator_traitsISZ_E10value_typeET2_T3_PNS10_IS15_E10value_typeET4_jRbjT5_S1B_jjP12ihipStream_tbEUljE_EEESW_SX_SY_S15_S19_S1B_T6_T7_T9_mT8_S1D_bDpT10_ENKUlT_T0_E_clISt17integral_constantIbLb1EES1P_IbLb0EEEEDaS1L_S1M_EUlS1L_E_NS1_11comp_targetILNS1_3genE2ELNS1_11target_archE906ELNS1_3gpuE6ELNS1_3repE0EEENS1_30default_config_static_selectorELNS0_4arch9wavefront6targetE1EEEvSZ_,comdat
.Lfunc_end2035:
	.size	_ZN7rocprim17ROCPRIM_400000_NS6detail17trampoline_kernelINS0_13select_configILj256ELj13ELNS0_17block_load_methodE3ELS4_3ELS4_3ELNS0_20block_scan_algorithmE0ELj4294967295EEENS1_25partition_config_selectorILNS1_17partition_subalgoE3EjNS0_10empty_typeEbEEZZNS1_14partition_implILS8_3ELb0ES6_jNS0_17counting_iteratorIjlEEPS9_SE_NS0_5tupleIJPjSE_EEENSF_IJSE_SE_EEES9_SG_JZNS1_25segmented_radix_sort_implINS0_14default_configELb0EPK12hip_bfloat16PSL_PKlPlN2at6native12_GLOBAL__N_18offset_tEEE10hipError_tPvRmT1_PNSt15iterator_traitsISZ_E10value_typeET2_T3_PNS10_IS15_E10value_typeET4_jRbjT5_S1B_jjP12ihipStream_tbEUljE_EEESW_SX_SY_S15_S19_S1B_T6_T7_T9_mT8_S1D_bDpT10_ENKUlT_T0_E_clISt17integral_constantIbLb1EES1P_IbLb0EEEEDaS1L_S1M_EUlS1L_E_NS1_11comp_targetILNS1_3genE2ELNS1_11target_archE906ELNS1_3gpuE6ELNS1_3repE0EEENS1_30default_config_static_selectorELNS0_4arch9wavefront6targetE1EEEvSZ_, .Lfunc_end2035-_ZN7rocprim17ROCPRIM_400000_NS6detail17trampoline_kernelINS0_13select_configILj256ELj13ELNS0_17block_load_methodE3ELS4_3ELS4_3ELNS0_20block_scan_algorithmE0ELj4294967295EEENS1_25partition_config_selectorILNS1_17partition_subalgoE3EjNS0_10empty_typeEbEEZZNS1_14partition_implILS8_3ELb0ES6_jNS0_17counting_iteratorIjlEEPS9_SE_NS0_5tupleIJPjSE_EEENSF_IJSE_SE_EEES9_SG_JZNS1_25segmented_radix_sort_implINS0_14default_configELb0EPK12hip_bfloat16PSL_PKlPlN2at6native12_GLOBAL__N_18offset_tEEE10hipError_tPvRmT1_PNSt15iterator_traitsISZ_E10value_typeET2_T3_PNS10_IS15_E10value_typeET4_jRbjT5_S1B_jjP12ihipStream_tbEUljE_EEESW_SX_SY_S15_S19_S1B_T6_T7_T9_mT8_S1D_bDpT10_ENKUlT_T0_E_clISt17integral_constantIbLb1EES1P_IbLb0EEEEDaS1L_S1M_EUlS1L_E_NS1_11comp_targetILNS1_3genE2ELNS1_11target_archE906ELNS1_3gpuE6ELNS1_3repE0EEENS1_30default_config_static_selectorELNS0_4arch9wavefront6targetE1EEEvSZ_
                                        ; -- End function
	.section	.AMDGPU.csdata,"",@progbits
; Kernel info:
; codeLenInByte = 0
; NumSgprs: 4
; NumVgprs: 0
; NumAgprs: 0
; TotalNumVgprs: 0
; ScratchSize: 0
; MemoryBound: 0
; FloatMode: 240
; IeeeMode: 1
; LDSByteSize: 0 bytes/workgroup (compile time only)
; SGPRBlocks: 0
; VGPRBlocks: 0
; NumSGPRsForWavesPerEU: 4
; NumVGPRsForWavesPerEU: 1
; AccumOffset: 4
; Occupancy: 8
; WaveLimiterHint : 0
; COMPUTE_PGM_RSRC2:SCRATCH_EN: 0
; COMPUTE_PGM_RSRC2:USER_SGPR: 6
; COMPUTE_PGM_RSRC2:TRAP_HANDLER: 0
; COMPUTE_PGM_RSRC2:TGID_X_EN: 1
; COMPUTE_PGM_RSRC2:TGID_Y_EN: 0
; COMPUTE_PGM_RSRC2:TGID_Z_EN: 0
; COMPUTE_PGM_RSRC2:TIDIG_COMP_CNT: 0
; COMPUTE_PGM_RSRC3_GFX90A:ACCUM_OFFSET: 0
; COMPUTE_PGM_RSRC3_GFX90A:TG_SPLIT: 0
	.section	.text._ZN7rocprim17ROCPRIM_400000_NS6detail17trampoline_kernelINS0_13select_configILj256ELj13ELNS0_17block_load_methodE3ELS4_3ELS4_3ELNS0_20block_scan_algorithmE0ELj4294967295EEENS1_25partition_config_selectorILNS1_17partition_subalgoE3EjNS0_10empty_typeEbEEZZNS1_14partition_implILS8_3ELb0ES6_jNS0_17counting_iteratorIjlEEPS9_SE_NS0_5tupleIJPjSE_EEENSF_IJSE_SE_EEES9_SG_JZNS1_25segmented_radix_sort_implINS0_14default_configELb0EPK12hip_bfloat16PSL_PKlPlN2at6native12_GLOBAL__N_18offset_tEEE10hipError_tPvRmT1_PNSt15iterator_traitsISZ_E10value_typeET2_T3_PNS10_IS15_E10value_typeET4_jRbjT5_S1B_jjP12ihipStream_tbEUljE_EEESW_SX_SY_S15_S19_S1B_T6_T7_T9_mT8_S1D_bDpT10_ENKUlT_T0_E_clISt17integral_constantIbLb1EES1P_IbLb0EEEEDaS1L_S1M_EUlS1L_E_NS1_11comp_targetILNS1_3genE10ELNS1_11target_archE1200ELNS1_3gpuE4ELNS1_3repE0EEENS1_30default_config_static_selectorELNS0_4arch9wavefront6targetE1EEEvSZ_,"axG",@progbits,_ZN7rocprim17ROCPRIM_400000_NS6detail17trampoline_kernelINS0_13select_configILj256ELj13ELNS0_17block_load_methodE3ELS4_3ELS4_3ELNS0_20block_scan_algorithmE0ELj4294967295EEENS1_25partition_config_selectorILNS1_17partition_subalgoE3EjNS0_10empty_typeEbEEZZNS1_14partition_implILS8_3ELb0ES6_jNS0_17counting_iteratorIjlEEPS9_SE_NS0_5tupleIJPjSE_EEENSF_IJSE_SE_EEES9_SG_JZNS1_25segmented_radix_sort_implINS0_14default_configELb0EPK12hip_bfloat16PSL_PKlPlN2at6native12_GLOBAL__N_18offset_tEEE10hipError_tPvRmT1_PNSt15iterator_traitsISZ_E10value_typeET2_T3_PNS10_IS15_E10value_typeET4_jRbjT5_S1B_jjP12ihipStream_tbEUljE_EEESW_SX_SY_S15_S19_S1B_T6_T7_T9_mT8_S1D_bDpT10_ENKUlT_T0_E_clISt17integral_constantIbLb1EES1P_IbLb0EEEEDaS1L_S1M_EUlS1L_E_NS1_11comp_targetILNS1_3genE10ELNS1_11target_archE1200ELNS1_3gpuE4ELNS1_3repE0EEENS1_30default_config_static_selectorELNS0_4arch9wavefront6targetE1EEEvSZ_,comdat
	.globl	_ZN7rocprim17ROCPRIM_400000_NS6detail17trampoline_kernelINS0_13select_configILj256ELj13ELNS0_17block_load_methodE3ELS4_3ELS4_3ELNS0_20block_scan_algorithmE0ELj4294967295EEENS1_25partition_config_selectorILNS1_17partition_subalgoE3EjNS0_10empty_typeEbEEZZNS1_14partition_implILS8_3ELb0ES6_jNS0_17counting_iteratorIjlEEPS9_SE_NS0_5tupleIJPjSE_EEENSF_IJSE_SE_EEES9_SG_JZNS1_25segmented_radix_sort_implINS0_14default_configELb0EPK12hip_bfloat16PSL_PKlPlN2at6native12_GLOBAL__N_18offset_tEEE10hipError_tPvRmT1_PNSt15iterator_traitsISZ_E10value_typeET2_T3_PNS10_IS15_E10value_typeET4_jRbjT5_S1B_jjP12ihipStream_tbEUljE_EEESW_SX_SY_S15_S19_S1B_T6_T7_T9_mT8_S1D_bDpT10_ENKUlT_T0_E_clISt17integral_constantIbLb1EES1P_IbLb0EEEEDaS1L_S1M_EUlS1L_E_NS1_11comp_targetILNS1_3genE10ELNS1_11target_archE1200ELNS1_3gpuE4ELNS1_3repE0EEENS1_30default_config_static_selectorELNS0_4arch9wavefront6targetE1EEEvSZ_ ; -- Begin function _ZN7rocprim17ROCPRIM_400000_NS6detail17trampoline_kernelINS0_13select_configILj256ELj13ELNS0_17block_load_methodE3ELS4_3ELS4_3ELNS0_20block_scan_algorithmE0ELj4294967295EEENS1_25partition_config_selectorILNS1_17partition_subalgoE3EjNS0_10empty_typeEbEEZZNS1_14partition_implILS8_3ELb0ES6_jNS0_17counting_iteratorIjlEEPS9_SE_NS0_5tupleIJPjSE_EEENSF_IJSE_SE_EEES9_SG_JZNS1_25segmented_radix_sort_implINS0_14default_configELb0EPK12hip_bfloat16PSL_PKlPlN2at6native12_GLOBAL__N_18offset_tEEE10hipError_tPvRmT1_PNSt15iterator_traitsISZ_E10value_typeET2_T3_PNS10_IS15_E10value_typeET4_jRbjT5_S1B_jjP12ihipStream_tbEUljE_EEESW_SX_SY_S15_S19_S1B_T6_T7_T9_mT8_S1D_bDpT10_ENKUlT_T0_E_clISt17integral_constantIbLb1EES1P_IbLb0EEEEDaS1L_S1M_EUlS1L_E_NS1_11comp_targetILNS1_3genE10ELNS1_11target_archE1200ELNS1_3gpuE4ELNS1_3repE0EEENS1_30default_config_static_selectorELNS0_4arch9wavefront6targetE1EEEvSZ_
	.p2align	8
	.type	_ZN7rocprim17ROCPRIM_400000_NS6detail17trampoline_kernelINS0_13select_configILj256ELj13ELNS0_17block_load_methodE3ELS4_3ELS4_3ELNS0_20block_scan_algorithmE0ELj4294967295EEENS1_25partition_config_selectorILNS1_17partition_subalgoE3EjNS0_10empty_typeEbEEZZNS1_14partition_implILS8_3ELb0ES6_jNS0_17counting_iteratorIjlEEPS9_SE_NS0_5tupleIJPjSE_EEENSF_IJSE_SE_EEES9_SG_JZNS1_25segmented_radix_sort_implINS0_14default_configELb0EPK12hip_bfloat16PSL_PKlPlN2at6native12_GLOBAL__N_18offset_tEEE10hipError_tPvRmT1_PNSt15iterator_traitsISZ_E10value_typeET2_T3_PNS10_IS15_E10value_typeET4_jRbjT5_S1B_jjP12ihipStream_tbEUljE_EEESW_SX_SY_S15_S19_S1B_T6_T7_T9_mT8_S1D_bDpT10_ENKUlT_T0_E_clISt17integral_constantIbLb1EES1P_IbLb0EEEEDaS1L_S1M_EUlS1L_E_NS1_11comp_targetILNS1_3genE10ELNS1_11target_archE1200ELNS1_3gpuE4ELNS1_3repE0EEENS1_30default_config_static_selectorELNS0_4arch9wavefront6targetE1EEEvSZ_,@function
_ZN7rocprim17ROCPRIM_400000_NS6detail17trampoline_kernelINS0_13select_configILj256ELj13ELNS0_17block_load_methodE3ELS4_3ELS4_3ELNS0_20block_scan_algorithmE0ELj4294967295EEENS1_25partition_config_selectorILNS1_17partition_subalgoE3EjNS0_10empty_typeEbEEZZNS1_14partition_implILS8_3ELb0ES6_jNS0_17counting_iteratorIjlEEPS9_SE_NS0_5tupleIJPjSE_EEENSF_IJSE_SE_EEES9_SG_JZNS1_25segmented_radix_sort_implINS0_14default_configELb0EPK12hip_bfloat16PSL_PKlPlN2at6native12_GLOBAL__N_18offset_tEEE10hipError_tPvRmT1_PNSt15iterator_traitsISZ_E10value_typeET2_T3_PNS10_IS15_E10value_typeET4_jRbjT5_S1B_jjP12ihipStream_tbEUljE_EEESW_SX_SY_S15_S19_S1B_T6_T7_T9_mT8_S1D_bDpT10_ENKUlT_T0_E_clISt17integral_constantIbLb1EES1P_IbLb0EEEEDaS1L_S1M_EUlS1L_E_NS1_11comp_targetILNS1_3genE10ELNS1_11target_archE1200ELNS1_3gpuE4ELNS1_3repE0EEENS1_30default_config_static_selectorELNS0_4arch9wavefront6targetE1EEEvSZ_: ; @_ZN7rocprim17ROCPRIM_400000_NS6detail17trampoline_kernelINS0_13select_configILj256ELj13ELNS0_17block_load_methodE3ELS4_3ELS4_3ELNS0_20block_scan_algorithmE0ELj4294967295EEENS1_25partition_config_selectorILNS1_17partition_subalgoE3EjNS0_10empty_typeEbEEZZNS1_14partition_implILS8_3ELb0ES6_jNS0_17counting_iteratorIjlEEPS9_SE_NS0_5tupleIJPjSE_EEENSF_IJSE_SE_EEES9_SG_JZNS1_25segmented_radix_sort_implINS0_14default_configELb0EPK12hip_bfloat16PSL_PKlPlN2at6native12_GLOBAL__N_18offset_tEEE10hipError_tPvRmT1_PNSt15iterator_traitsISZ_E10value_typeET2_T3_PNS10_IS15_E10value_typeET4_jRbjT5_S1B_jjP12ihipStream_tbEUljE_EEESW_SX_SY_S15_S19_S1B_T6_T7_T9_mT8_S1D_bDpT10_ENKUlT_T0_E_clISt17integral_constantIbLb1EES1P_IbLb0EEEEDaS1L_S1M_EUlS1L_E_NS1_11comp_targetILNS1_3genE10ELNS1_11target_archE1200ELNS1_3gpuE4ELNS1_3repE0EEENS1_30default_config_static_selectorELNS0_4arch9wavefront6targetE1EEEvSZ_
; %bb.0:
	.section	.rodata,"a",@progbits
	.p2align	6, 0x0
	.amdhsa_kernel _ZN7rocprim17ROCPRIM_400000_NS6detail17trampoline_kernelINS0_13select_configILj256ELj13ELNS0_17block_load_methodE3ELS4_3ELS4_3ELNS0_20block_scan_algorithmE0ELj4294967295EEENS1_25partition_config_selectorILNS1_17partition_subalgoE3EjNS0_10empty_typeEbEEZZNS1_14partition_implILS8_3ELb0ES6_jNS0_17counting_iteratorIjlEEPS9_SE_NS0_5tupleIJPjSE_EEENSF_IJSE_SE_EEES9_SG_JZNS1_25segmented_radix_sort_implINS0_14default_configELb0EPK12hip_bfloat16PSL_PKlPlN2at6native12_GLOBAL__N_18offset_tEEE10hipError_tPvRmT1_PNSt15iterator_traitsISZ_E10value_typeET2_T3_PNS10_IS15_E10value_typeET4_jRbjT5_S1B_jjP12ihipStream_tbEUljE_EEESW_SX_SY_S15_S19_S1B_T6_T7_T9_mT8_S1D_bDpT10_ENKUlT_T0_E_clISt17integral_constantIbLb1EES1P_IbLb0EEEEDaS1L_S1M_EUlS1L_E_NS1_11comp_targetILNS1_3genE10ELNS1_11target_archE1200ELNS1_3gpuE4ELNS1_3repE0EEENS1_30default_config_static_selectorELNS0_4arch9wavefront6targetE1EEEvSZ_
		.amdhsa_group_segment_fixed_size 0
		.amdhsa_private_segment_fixed_size 0
		.amdhsa_kernarg_size 144
		.amdhsa_user_sgpr_count 6
		.amdhsa_user_sgpr_private_segment_buffer 1
		.amdhsa_user_sgpr_dispatch_ptr 0
		.amdhsa_user_sgpr_queue_ptr 0
		.amdhsa_user_sgpr_kernarg_segment_ptr 1
		.amdhsa_user_sgpr_dispatch_id 0
		.amdhsa_user_sgpr_flat_scratch_init 0
		.amdhsa_user_sgpr_kernarg_preload_length 0
		.amdhsa_user_sgpr_kernarg_preload_offset 0
		.amdhsa_user_sgpr_private_segment_size 0
		.amdhsa_uses_dynamic_stack 0
		.amdhsa_system_sgpr_private_segment_wavefront_offset 0
		.amdhsa_system_sgpr_workgroup_id_x 1
		.amdhsa_system_sgpr_workgroup_id_y 0
		.amdhsa_system_sgpr_workgroup_id_z 0
		.amdhsa_system_sgpr_workgroup_info 0
		.amdhsa_system_vgpr_workitem_id 0
		.amdhsa_next_free_vgpr 1
		.amdhsa_next_free_sgpr 0
		.amdhsa_accum_offset 4
		.amdhsa_reserve_vcc 0
		.amdhsa_reserve_flat_scratch 0
		.amdhsa_float_round_mode_32 0
		.amdhsa_float_round_mode_16_64 0
		.amdhsa_float_denorm_mode_32 3
		.amdhsa_float_denorm_mode_16_64 3
		.amdhsa_dx10_clamp 1
		.amdhsa_ieee_mode 1
		.amdhsa_fp16_overflow 0
		.amdhsa_tg_split 0
		.amdhsa_exception_fp_ieee_invalid_op 0
		.amdhsa_exception_fp_denorm_src 0
		.amdhsa_exception_fp_ieee_div_zero 0
		.amdhsa_exception_fp_ieee_overflow 0
		.amdhsa_exception_fp_ieee_underflow 0
		.amdhsa_exception_fp_ieee_inexact 0
		.amdhsa_exception_int_div_zero 0
	.end_amdhsa_kernel
	.section	.text._ZN7rocprim17ROCPRIM_400000_NS6detail17trampoline_kernelINS0_13select_configILj256ELj13ELNS0_17block_load_methodE3ELS4_3ELS4_3ELNS0_20block_scan_algorithmE0ELj4294967295EEENS1_25partition_config_selectorILNS1_17partition_subalgoE3EjNS0_10empty_typeEbEEZZNS1_14partition_implILS8_3ELb0ES6_jNS0_17counting_iteratorIjlEEPS9_SE_NS0_5tupleIJPjSE_EEENSF_IJSE_SE_EEES9_SG_JZNS1_25segmented_radix_sort_implINS0_14default_configELb0EPK12hip_bfloat16PSL_PKlPlN2at6native12_GLOBAL__N_18offset_tEEE10hipError_tPvRmT1_PNSt15iterator_traitsISZ_E10value_typeET2_T3_PNS10_IS15_E10value_typeET4_jRbjT5_S1B_jjP12ihipStream_tbEUljE_EEESW_SX_SY_S15_S19_S1B_T6_T7_T9_mT8_S1D_bDpT10_ENKUlT_T0_E_clISt17integral_constantIbLb1EES1P_IbLb0EEEEDaS1L_S1M_EUlS1L_E_NS1_11comp_targetILNS1_3genE10ELNS1_11target_archE1200ELNS1_3gpuE4ELNS1_3repE0EEENS1_30default_config_static_selectorELNS0_4arch9wavefront6targetE1EEEvSZ_,"axG",@progbits,_ZN7rocprim17ROCPRIM_400000_NS6detail17trampoline_kernelINS0_13select_configILj256ELj13ELNS0_17block_load_methodE3ELS4_3ELS4_3ELNS0_20block_scan_algorithmE0ELj4294967295EEENS1_25partition_config_selectorILNS1_17partition_subalgoE3EjNS0_10empty_typeEbEEZZNS1_14partition_implILS8_3ELb0ES6_jNS0_17counting_iteratorIjlEEPS9_SE_NS0_5tupleIJPjSE_EEENSF_IJSE_SE_EEES9_SG_JZNS1_25segmented_radix_sort_implINS0_14default_configELb0EPK12hip_bfloat16PSL_PKlPlN2at6native12_GLOBAL__N_18offset_tEEE10hipError_tPvRmT1_PNSt15iterator_traitsISZ_E10value_typeET2_T3_PNS10_IS15_E10value_typeET4_jRbjT5_S1B_jjP12ihipStream_tbEUljE_EEESW_SX_SY_S15_S19_S1B_T6_T7_T9_mT8_S1D_bDpT10_ENKUlT_T0_E_clISt17integral_constantIbLb1EES1P_IbLb0EEEEDaS1L_S1M_EUlS1L_E_NS1_11comp_targetILNS1_3genE10ELNS1_11target_archE1200ELNS1_3gpuE4ELNS1_3repE0EEENS1_30default_config_static_selectorELNS0_4arch9wavefront6targetE1EEEvSZ_,comdat
.Lfunc_end2036:
	.size	_ZN7rocprim17ROCPRIM_400000_NS6detail17trampoline_kernelINS0_13select_configILj256ELj13ELNS0_17block_load_methodE3ELS4_3ELS4_3ELNS0_20block_scan_algorithmE0ELj4294967295EEENS1_25partition_config_selectorILNS1_17partition_subalgoE3EjNS0_10empty_typeEbEEZZNS1_14partition_implILS8_3ELb0ES6_jNS0_17counting_iteratorIjlEEPS9_SE_NS0_5tupleIJPjSE_EEENSF_IJSE_SE_EEES9_SG_JZNS1_25segmented_radix_sort_implINS0_14default_configELb0EPK12hip_bfloat16PSL_PKlPlN2at6native12_GLOBAL__N_18offset_tEEE10hipError_tPvRmT1_PNSt15iterator_traitsISZ_E10value_typeET2_T3_PNS10_IS15_E10value_typeET4_jRbjT5_S1B_jjP12ihipStream_tbEUljE_EEESW_SX_SY_S15_S19_S1B_T6_T7_T9_mT8_S1D_bDpT10_ENKUlT_T0_E_clISt17integral_constantIbLb1EES1P_IbLb0EEEEDaS1L_S1M_EUlS1L_E_NS1_11comp_targetILNS1_3genE10ELNS1_11target_archE1200ELNS1_3gpuE4ELNS1_3repE0EEENS1_30default_config_static_selectorELNS0_4arch9wavefront6targetE1EEEvSZ_, .Lfunc_end2036-_ZN7rocprim17ROCPRIM_400000_NS6detail17trampoline_kernelINS0_13select_configILj256ELj13ELNS0_17block_load_methodE3ELS4_3ELS4_3ELNS0_20block_scan_algorithmE0ELj4294967295EEENS1_25partition_config_selectorILNS1_17partition_subalgoE3EjNS0_10empty_typeEbEEZZNS1_14partition_implILS8_3ELb0ES6_jNS0_17counting_iteratorIjlEEPS9_SE_NS0_5tupleIJPjSE_EEENSF_IJSE_SE_EEES9_SG_JZNS1_25segmented_radix_sort_implINS0_14default_configELb0EPK12hip_bfloat16PSL_PKlPlN2at6native12_GLOBAL__N_18offset_tEEE10hipError_tPvRmT1_PNSt15iterator_traitsISZ_E10value_typeET2_T3_PNS10_IS15_E10value_typeET4_jRbjT5_S1B_jjP12ihipStream_tbEUljE_EEESW_SX_SY_S15_S19_S1B_T6_T7_T9_mT8_S1D_bDpT10_ENKUlT_T0_E_clISt17integral_constantIbLb1EES1P_IbLb0EEEEDaS1L_S1M_EUlS1L_E_NS1_11comp_targetILNS1_3genE10ELNS1_11target_archE1200ELNS1_3gpuE4ELNS1_3repE0EEENS1_30default_config_static_selectorELNS0_4arch9wavefront6targetE1EEEvSZ_
                                        ; -- End function
	.section	.AMDGPU.csdata,"",@progbits
; Kernel info:
; codeLenInByte = 0
; NumSgprs: 4
; NumVgprs: 0
; NumAgprs: 0
; TotalNumVgprs: 0
; ScratchSize: 0
; MemoryBound: 0
; FloatMode: 240
; IeeeMode: 1
; LDSByteSize: 0 bytes/workgroup (compile time only)
; SGPRBlocks: 0
; VGPRBlocks: 0
; NumSGPRsForWavesPerEU: 4
; NumVGPRsForWavesPerEU: 1
; AccumOffset: 4
; Occupancy: 8
; WaveLimiterHint : 0
; COMPUTE_PGM_RSRC2:SCRATCH_EN: 0
; COMPUTE_PGM_RSRC2:USER_SGPR: 6
; COMPUTE_PGM_RSRC2:TRAP_HANDLER: 0
; COMPUTE_PGM_RSRC2:TGID_X_EN: 1
; COMPUTE_PGM_RSRC2:TGID_Y_EN: 0
; COMPUTE_PGM_RSRC2:TGID_Z_EN: 0
; COMPUTE_PGM_RSRC2:TIDIG_COMP_CNT: 0
; COMPUTE_PGM_RSRC3_GFX90A:ACCUM_OFFSET: 0
; COMPUTE_PGM_RSRC3_GFX90A:TG_SPLIT: 0
	.section	.text._ZN7rocprim17ROCPRIM_400000_NS6detail17trampoline_kernelINS0_13select_configILj256ELj13ELNS0_17block_load_methodE3ELS4_3ELS4_3ELNS0_20block_scan_algorithmE0ELj4294967295EEENS1_25partition_config_selectorILNS1_17partition_subalgoE3EjNS0_10empty_typeEbEEZZNS1_14partition_implILS8_3ELb0ES6_jNS0_17counting_iteratorIjlEEPS9_SE_NS0_5tupleIJPjSE_EEENSF_IJSE_SE_EEES9_SG_JZNS1_25segmented_radix_sort_implINS0_14default_configELb0EPK12hip_bfloat16PSL_PKlPlN2at6native12_GLOBAL__N_18offset_tEEE10hipError_tPvRmT1_PNSt15iterator_traitsISZ_E10value_typeET2_T3_PNS10_IS15_E10value_typeET4_jRbjT5_S1B_jjP12ihipStream_tbEUljE_EEESW_SX_SY_S15_S19_S1B_T6_T7_T9_mT8_S1D_bDpT10_ENKUlT_T0_E_clISt17integral_constantIbLb1EES1P_IbLb0EEEEDaS1L_S1M_EUlS1L_E_NS1_11comp_targetILNS1_3genE9ELNS1_11target_archE1100ELNS1_3gpuE3ELNS1_3repE0EEENS1_30default_config_static_selectorELNS0_4arch9wavefront6targetE1EEEvSZ_,"axG",@progbits,_ZN7rocprim17ROCPRIM_400000_NS6detail17trampoline_kernelINS0_13select_configILj256ELj13ELNS0_17block_load_methodE3ELS4_3ELS4_3ELNS0_20block_scan_algorithmE0ELj4294967295EEENS1_25partition_config_selectorILNS1_17partition_subalgoE3EjNS0_10empty_typeEbEEZZNS1_14partition_implILS8_3ELb0ES6_jNS0_17counting_iteratorIjlEEPS9_SE_NS0_5tupleIJPjSE_EEENSF_IJSE_SE_EEES9_SG_JZNS1_25segmented_radix_sort_implINS0_14default_configELb0EPK12hip_bfloat16PSL_PKlPlN2at6native12_GLOBAL__N_18offset_tEEE10hipError_tPvRmT1_PNSt15iterator_traitsISZ_E10value_typeET2_T3_PNS10_IS15_E10value_typeET4_jRbjT5_S1B_jjP12ihipStream_tbEUljE_EEESW_SX_SY_S15_S19_S1B_T6_T7_T9_mT8_S1D_bDpT10_ENKUlT_T0_E_clISt17integral_constantIbLb1EES1P_IbLb0EEEEDaS1L_S1M_EUlS1L_E_NS1_11comp_targetILNS1_3genE9ELNS1_11target_archE1100ELNS1_3gpuE3ELNS1_3repE0EEENS1_30default_config_static_selectorELNS0_4arch9wavefront6targetE1EEEvSZ_,comdat
	.globl	_ZN7rocprim17ROCPRIM_400000_NS6detail17trampoline_kernelINS0_13select_configILj256ELj13ELNS0_17block_load_methodE3ELS4_3ELS4_3ELNS0_20block_scan_algorithmE0ELj4294967295EEENS1_25partition_config_selectorILNS1_17partition_subalgoE3EjNS0_10empty_typeEbEEZZNS1_14partition_implILS8_3ELb0ES6_jNS0_17counting_iteratorIjlEEPS9_SE_NS0_5tupleIJPjSE_EEENSF_IJSE_SE_EEES9_SG_JZNS1_25segmented_radix_sort_implINS0_14default_configELb0EPK12hip_bfloat16PSL_PKlPlN2at6native12_GLOBAL__N_18offset_tEEE10hipError_tPvRmT1_PNSt15iterator_traitsISZ_E10value_typeET2_T3_PNS10_IS15_E10value_typeET4_jRbjT5_S1B_jjP12ihipStream_tbEUljE_EEESW_SX_SY_S15_S19_S1B_T6_T7_T9_mT8_S1D_bDpT10_ENKUlT_T0_E_clISt17integral_constantIbLb1EES1P_IbLb0EEEEDaS1L_S1M_EUlS1L_E_NS1_11comp_targetILNS1_3genE9ELNS1_11target_archE1100ELNS1_3gpuE3ELNS1_3repE0EEENS1_30default_config_static_selectorELNS0_4arch9wavefront6targetE1EEEvSZ_ ; -- Begin function _ZN7rocprim17ROCPRIM_400000_NS6detail17trampoline_kernelINS0_13select_configILj256ELj13ELNS0_17block_load_methodE3ELS4_3ELS4_3ELNS0_20block_scan_algorithmE0ELj4294967295EEENS1_25partition_config_selectorILNS1_17partition_subalgoE3EjNS0_10empty_typeEbEEZZNS1_14partition_implILS8_3ELb0ES6_jNS0_17counting_iteratorIjlEEPS9_SE_NS0_5tupleIJPjSE_EEENSF_IJSE_SE_EEES9_SG_JZNS1_25segmented_radix_sort_implINS0_14default_configELb0EPK12hip_bfloat16PSL_PKlPlN2at6native12_GLOBAL__N_18offset_tEEE10hipError_tPvRmT1_PNSt15iterator_traitsISZ_E10value_typeET2_T3_PNS10_IS15_E10value_typeET4_jRbjT5_S1B_jjP12ihipStream_tbEUljE_EEESW_SX_SY_S15_S19_S1B_T6_T7_T9_mT8_S1D_bDpT10_ENKUlT_T0_E_clISt17integral_constantIbLb1EES1P_IbLb0EEEEDaS1L_S1M_EUlS1L_E_NS1_11comp_targetILNS1_3genE9ELNS1_11target_archE1100ELNS1_3gpuE3ELNS1_3repE0EEENS1_30default_config_static_selectorELNS0_4arch9wavefront6targetE1EEEvSZ_
	.p2align	8
	.type	_ZN7rocprim17ROCPRIM_400000_NS6detail17trampoline_kernelINS0_13select_configILj256ELj13ELNS0_17block_load_methodE3ELS4_3ELS4_3ELNS0_20block_scan_algorithmE0ELj4294967295EEENS1_25partition_config_selectorILNS1_17partition_subalgoE3EjNS0_10empty_typeEbEEZZNS1_14partition_implILS8_3ELb0ES6_jNS0_17counting_iteratorIjlEEPS9_SE_NS0_5tupleIJPjSE_EEENSF_IJSE_SE_EEES9_SG_JZNS1_25segmented_radix_sort_implINS0_14default_configELb0EPK12hip_bfloat16PSL_PKlPlN2at6native12_GLOBAL__N_18offset_tEEE10hipError_tPvRmT1_PNSt15iterator_traitsISZ_E10value_typeET2_T3_PNS10_IS15_E10value_typeET4_jRbjT5_S1B_jjP12ihipStream_tbEUljE_EEESW_SX_SY_S15_S19_S1B_T6_T7_T9_mT8_S1D_bDpT10_ENKUlT_T0_E_clISt17integral_constantIbLb1EES1P_IbLb0EEEEDaS1L_S1M_EUlS1L_E_NS1_11comp_targetILNS1_3genE9ELNS1_11target_archE1100ELNS1_3gpuE3ELNS1_3repE0EEENS1_30default_config_static_selectorELNS0_4arch9wavefront6targetE1EEEvSZ_,@function
_ZN7rocprim17ROCPRIM_400000_NS6detail17trampoline_kernelINS0_13select_configILj256ELj13ELNS0_17block_load_methodE3ELS4_3ELS4_3ELNS0_20block_scan_algorithmE0ELj4294967295EEENS1_25partition_config_selectorILNS1_17partition_subalgoE3EjNS0_10empty_typeEbEEZZNS1_14partition_implILS8_3ELb0ES6_jNS0_17counting_iteratorIjlEEPS9_SE_NS0_5tupleIJPjSE_EEENSF_IJSE_SE_EEES9_SG_JZNS1_25segmented_radix_sort_implINS0_14default_configELb0EPK12hip_bfloat16PSL_PKlPlN2at6native12_GLOBAL__N_18offset_tEEE10hipError_tPvRmT1_PNSt15iterator_traitsISZ_E10value_typeET2_T3_PNS10_IS15_E10value_typeET4_jRbjT5_S1B_jjP12ihipStream_tbEUljE_EEESW_SX_SY_S15_S19_S1B_T6_T7_T9_mT8_S1D_bDpT10_ENKUlT_T0_E_clISt17integral_constantIbLb1EES1P_IbLb0EEEEDaS1L_S1M_EUlS1L_E_NS1_11comp_targetILNS1_3genE9ELNS1_11target_archE1100ELNS1_3gpuE3ELNS1_3repE0EEENS1_30default_config_static_selectorELNS0_4arch9wavefront6targetE1EEEvSZ_: ; @_ZN7rocprim17ROCPRIM_400000_NS6detail17trampoline_kernelINS0_13select_configILj256ELj13ELNS0_17block_load_methodE3ELS4_3ELS4_3ELNS0_20block_scan_algorithmE0ELj4294967295EEENS1_25partition_config_selectorILNS1_17partition_subalgoE3EjNS0_10empty_typeEbEEZZNS1_14partition_implILS8_3ELb0ES6_jNS0_17counting_iteratorIjlEEPS9_SE_NS0_5tupleIJPjSE_EEENSF_IJSE_SE_EEES9_SG_JZNS1_25segmented_radix_sort_implINS0_14default_configELb0EPK12hip_bfloat16PSL_PKlPlN2at6native12_GLOBAL__N_18offset_tEEE10hipError_tPvRmT1_PNSt15iterator_traitsISZ_E10value_typeET2_T3_PNS10_IS15_E10value_typeET4_jRbjT5_S1B_jjP12ihipStream_tbEUljE_EEESW_SX_SY_S15_S19_S1B_T6_T7_T9_mT8_S1D_bDpT10_ENKUlT_T0_E_clISt17integral_constantIbLb1EES1P_IbLb0EEEEDaS1L_S1M_EUlS1L_E_NS1_11comp_targetILNS1_3genE9ELNS1_11target_archE1100ELNS1_3gpuE3ELNS1_3repE0EEENS1_30default_config_static_selectorELNS0_4arch9wavefront6targetE1EEEvSZ_
; %bb.0:
	.section	.rodata,"a",@progbits
	.p2align	6, 0x0
	.amdhsa_kernel _ZN7rocprim17ROCPRIM_400000_NS6detail17trampoline_kernelINS0_13select_configILj256ELj13ELNS0_17block_load_methodE3ELS4_3ELS4_3ELNS0_20block_scan_algorithmE0ELj4294967295EEENS1_25partition_config_selectorILNS1_17partition_subalgoE3EjNS0_10empty_typeEbEEZZNS1_14partition_implILS8_3ELb0ES6_jNS0_17counting_iteratorIjlEEPS9_SE_NS0_5tupleIJPjSE_EEENSF_IJSE_SE_EEES9_SG_JZNS1_25segmented_radix_sort_implINS0_14default_configELb0EPK12hip_bfloat16PSL_PKlPlN2at6native12_GLOBAL__N_18offset_tEEE10hipError_tPvRmT1_PNSt15iterator_traitsISZ_E10value_typeET2_T3_PNS10_IS15_E10value_typeET4_jRbjT5_S1B_jjP12ihipStream_tbEUljE_EEESW_SX_SY_S15_S19_S1B_T6_T7_T9_mT8_S1D_bDpT10_ENKUlT_T0_E_clISt17integral_constantIbLb1EES1P_IbLb0EEEEDaS1L_S1M_EUlS1L_E_NS1_11comp_targetILNS1_3genE9ELNS1_11target_archE1100ELNS1_3gpuE3ELNS1_3repE0EEENS1_30default_config_static_selectorELNS0_4arch9wavefront6targetE1EEEvSZ_
		.amdhsa_group_segment_fixed_size 0
		.amdhsa_private_segment_fixed_size 0
		.amdhsa_kernarg_size 144
		.amdhsa_user_sgpr_count 6
		.amdhsa_user_sgpr_private_segment_buffer 1
		.amdhsa_user_sgpr_dispatch_ptr 0
		.amdhsa_user_sgpr_queue_ptr 0
		.amdhsa_user_sgpr_kernarg_segment_ptr 1
		.amdhsa_user_sgpr_dispatch_id 0
		.amdhsa_user_sgpr_flat_scratch_init 0
		.amdhsa_user_sgpr_kernarg_preload_length 0
		.amdhsa_user_sgpr_kernarg_preload_offset 0
		.amdhsa_user_sgpr_private_segment_size 0
		.amdhsa_uses_dynamic_stack 0
		.amdhsa_system_sgpr_private_segment_wavefront_offset 0
		.amdhsa_system_sgpr_workgroup_id_x 1
		.amdhsa_system_sgpr_workgroup_id_y 0
		.amdhsa_system_sgpr_workgroup_id_z 0
		.amdhsa_system_sgpr_workgroup_info 0
		.amdhsa_system_vgpr_workitem_id 0
		.amdhsa_next_free_vgpr 1
		.amdhsa_next_free_sgpr 0
		.amdhsa_accum_offset 4
		.amdhsa_reserve_vcc 0
		.amdhsa_reserve_flat_scratch 0
		.amdhsa_float_round_mode_32 0
		.amdhsa_float_round_mode_16_64 0
		.amdhsa_float_denorm_mode_32 3
		.amdhsa_float_denorm_mode_16_64 3
		.amdhsa_dx10_clamp 1
		.amdhsa_ieee_mode 1
		.amdhsa_fp16_overflow 0
		.amdhsa_tg_split 0
		.amdhsa_exception_fp_ieee_invalid_op 0
		.amdhsa_exception_fp_denorm_src 0
		.amdhsa_exception_fp_ieee_div_zero 0
		.amdhsa_exception_fp_ieee_overflow 0
		.amdhsa_exception_fp_ieee_underflow 0
		.amdhsa_exception_fp_ieee_inexact 0
		.amdhsa_exception_int_div_zero 0
	.end_amdhsa_kernel
	.section	.text._ZN7rocprim17ROCPRIM_400000_NS6detail17trampoline_kernelINS0_13select_configILj256ELj13ELNS0_17block_load_methodE3ELS4_3ELS4_3ELNS0_20block_scan_algorithmE0ELj4294967295EEENS1_25partition_config_selectorILNS1_17partition_subalgoE3EjNS0_10empty_typeEbEEZZNS1_14partition_implILS8_3ELb0ES6_jNS0_17counting_iteratorIjlEEPS9_SE_NS0_5tupleIJPjSE_EEENSF_IJSE_SE_EEES9_SG_JZNS1_25segmented_radix_sort_implINS0_14default_configELb0EPK12hip_bfloat16PSL_PKlPlN2at6native12_GLOBAL__N_18offset_tEEE10hipError_tPvRmT1_PNSt15iterator_traitsISZ_E10value_typeET2_T3_PNS10_IS15_E10value_typeET4_jRbjT5_S1B_jjP12ihipStream_tbEUljE_EEESW_SX_SY_S15_S19_S1B_T6_T7_T9_mT8_S1D_bDpT10_ENKUlT_T0_E_clISt17integral_constantIbLb1EES1P_IbLb0EEEEDaS1L_S1M_EUlS1L_E_NS1_11comp_targetILNS1_3genE9ELNS1_11target_archE1100ELNS1_3gpuE3ELNS1_3repE0EEENS1_30default_config_static_selectorELNS0_4arch9wavefront6targetE1EEEvSZ_,"axG",@progbits,_ZN7rocprim17ROCPRIM_400000_NS6detail17trampoline_kernelINS0_13select_configILj256ELj13ELNS0_17block_load_methodE3ELS4_3ELS4_3ELNS0_20block_scan_algorithmE0ELj4294967295EEENS1_25partition_config_selectorILNS1_17partition_subalgoE3EjNS0_10empty_typeEbEEZZNS1_14partition_implILS8_3ELb0ES6_jNS0_17counting_iteratorIjlEEPS9_SE_NS0_5tupleIJPjSE_EEENSF_IJSE_SE_EEES9_SG_JZNS1_25segmented_radix_sort_implINS0_14default_configELb0EPK12hip_bfloat16PSL_PKlPlN2at6native12_GLOBAL__N_18offset_tEEE10hipError_tPvRmT1_PNSt15iterator_traitsISZ_E10value_typeET2_T3_PNS10_IS15_E10value_typeET4_jRbjT5_S1B_jjP12ihipStream_tbEUljE_EEESW_SX_SY_S15_S19_S1B_T6_T7_T9_mT8_S1D_bDpT10_ENKUlT_T0_E_clISt17integral_constantIbLb1EES1P_IbLb0EEEEDaS1L_S1M_EUlS1L_E_NS1_11comp_targetILNS1_3genE9ELNS1_11target_archE1100ELNS1_3gpuE3ELNS1_3repE0EEENS1_30default_config_static_selectorELNS0_4arch9wavefront6targetE1EEEvSZ_,comdat
.Lfunc_end2037:
	.size	_ZN7rocprim17ROCPRIM_400000_NS6detail17trampoline_kernelINS0_13select_configILj256ELj13ELNS0_17block_load_methodE3ELS4_3ELS4_3ELNS0_20block_scan_algorithmE0ELj4294967295EEENS1_25partition_config_selectorILNS1_17partition_subalgoE3EjNS0_10empty_typeEbEEZZNS1_14partition_implILS8_3ELb0ES6_jNS0_17counting_iteratorIjlEEPS9_SE_NS0_5tupleIJPjSE_EEENSF_IJSE_SE_EEES9_SG_JZNS1_25segmented_radix_sort_implINS0_14default_configELb0EPK12hip_bfloat16PSL_PKlPlN2at6native12_GLOBAL__N_18offset_tEEE10hipError_tPvRmT1_PNSt15iterator_traitsISZ_E10value_typeET2_T3_PNS10_IS15_E10value_typeET4_jRbjT5_S1B_jjP12ihipStream_tbEUljE_EEESW_SX_SY_S15_S19_S1B_T6_T7_T9_mT8_S1D_bDpT10_ENKUlT_T0_E_clISt17integral_constantIbLb1EES1P_IbLb0EEEEDaS1L_S1M_EUlS1L_E_NS1_11comp_targetILNS1_3genE9ELNS1_11target_archE1100ELNS1_3gpuE3ELNS1_3repE0EEENS1_30default_config_static_selectorELNS0_4arch9wavefront6targetE1EEEvSZ_, .Lfunc_end2037-_ZN7rocprim17ROCPRIM_400000_NS6detail17trampoline_kernelINS0_13select_configILj256ELj13ELNS0_17block_load_methodE3ELS4_3ELS4_3ELNS0_20block_scan_algorithmE0ELj4294967295EEENS1_25partition_config_selectorILNS1_17partition_subalgoE3EjNS0_10empty_typeEbEEZZNS1_14partition_implILS8_3ELb0ES6_jNS0_17counting_iteratorIjlEEPS9_SE_NS0_5tupleIJPjSE_EEENSF_IJSE_SE_EEES9_SG_JZNS1_25segmented_radix_sort_implINS0_14default_configELb0EPK12hip_bfloat16PSL_PKlPlN2at6native12_GLOBAL__N_18offset_tEEE10hipError_tPvRmT1_PNSt15iterator_traitsISZ_E10value_typeET2_T3_PNS10_IS15_E10value_typeET4_jRbjT5_S1B_jjP12ihipStream_tbEUljE_EEESW_SX_SY_S15_S19_S1B_T6_T7_T9_mT8_S1D_bDpT10_ENKUlT_T0_E_clISt17integral_constantIbLb1EES1P_IbLb0EEEEDaS1L_S1M_EUlS1L_E_NS1_11comp_targetILNS1_3genE9ELNS1_11target_archE1100ELNS1_3gpuE3ELNS1_3repE0EEENS1_30default_config_static_selectorELNS0_4arch9wavefront6targetE1EEEvSZ_
                                        ; -- End function
	.section	.AMDGPU.csdata,"",@progbits
; Kernel info:
; codeLenInByte = 0
; NumSgprs: 4
; NumVgprs: 0
; NumAgprs: 0
; TotalNumVgprs: 0
; ScratchSize: 0
; MemoryBound: 0
; FloatMode: 240
; IeeeMode: 1
; LDSByteSize: 0 bytes/workgroup (compile time only)
; SGPRBlocks: 0
; VGPRBlocks: 0
; NumSGPRsForWavesPerEU: 4
; NumVGPRsForWavesPerEU: 1
; AccumOffset: 4
; Occupancy: 8
; WaveLimiterHint : 0
; COMPUTE_PGM_RSRC2:SCRATCH_EN: 0
; COMPUTE_PGM_RSRC2:USER_SGPR: 6
; COMPUTE_PGM_RSRC2:TRAP_HANDLER: 0
; COMPUTE_PGM_RSRC2:TGID_X_EN: 1
; COMPUTE_PGM_RSRC2:TGID_Y_EN: 0
; COMPUTE_PGM_RSRC2:TGID_Z_EN: 0
; COMPUTE_PGM_RSRC2:TIDIG_COMP_CNT: 0
; COMPUTE_PGM_RSRC3_GFX90A:ACCUM_OFFSET: 0
; COMPUTE_PGM_RSRC3_GFX90A:TG_SPLIT: 0
	.section	.text._ZN7rocprim17ROCPRIM_400000_NS6detail17trampoline_kernelINS0_13select_configILj256ELj13ELNS0_17block_load_methodE3ELS4_3ELS4_3ELNS0_20block_scan_algorithmE0ELj4294967295EEENS1_25partition_config_selectorILNS1_17partition_subalgoE3EjNS0_10empty_typeEbEEZZNS1_14partition_implILS8_3ELb0ES6_jNS0_17counting_iteratorIjlEEPS9_SE_NS0_5tupleIJPjSE_EEENSF_IJSE_SE_EEES9_SG_JZNS1_25segmented_radix_sort_implINS0_14default_configELb0EPK12hip_bfloat16PSL_PKlPlN2at6native12_GLOBAL__N_18offset_tEEE10hipError_tPvRmT1_PNSt15iterator_traitsISZ_E10value_typeET2_T3_PNS10_IS15_E10value_typeET4_jRbjT5_S1B_jjP12ihipStream_tbEUljE_EEESW_SX_SY_S15_S19_S1B_T6_T7_T9_mT8_S1D_bDpT10_ENKUlT_T0_E_clISt17integral_constantIbLb1EES1P_IbLb0EEEEDaS1L_S1M_EUlS1L_E_NS1_11comp_targetILNS1_3genE8ELNS1_11target_archE1030ELNS1_3gpuE2ELNS1_3repE0EEENS1_30default_config_static_selectorELNS0_4arch9wavefront6targetE1EEEvSZ_,"axG",@progbits,_ZN7rocprim17ROCPRIM_400000_NS6detail17trampoline_kernelINS0_13select_configILj256ELj13ELNS0_17block_load_methodE3ELS4_3ELS4_3ELNS0_20block_scan_algorithmE0ELj4294967295EEENS1_25partition_config_selectorILNS1_17partition_subalgoE3EjNS0_10empty_typeEbEEZZNS1_14partition_implILS8_3ELb0ES6_jNS0_17counting_iteratorIjlEEPS9_SE_NS0_5tupleIJPjSE_EEENSF_IJSE_SE_EEES9_SG_JZNS1_25segmented_radix_sort_implINS0_14default_configELb0EPK12hip_bfloat16PSL_PKlPlN2at6native12_GLOBAL__N_18offset_tEEE10hipError_tPvRmT1_PNSt15iterator_traitsISZ_E10value_typeET2_T3_PNS10_IS15_E10value_typeET4_jRbjT5_S1B_jjP12ihipStream_tbEUljE_EEESW_SX_SY_S15_S19_S1B_T6_T7_T9_mT8_S1D_bDpT10_ENKUlT_T0_E_clISt17integral_constantIbLb1EES1P_IbLb0EEEEDaS1L_S1M_EUlS1L_E_NS1_11comp_targetILNS1_3genE8ELNS1_11target_archE1030ELNS1_3gpuE2ELNS1_3repE0EEENS1_30default_config_static_selectorELNS0_4arch9wavefront6targetE1EEEvSZ_,comdat
	.globl	_ZN7rocprim17ROCPRIM_400000_NS6detail17trampoline_kernelINS0_13select_configILj256ELj13ELNS0_17block_load_methodE3ELS4_3ELS4_3ELNS0_20block_scan_algorithmE0ELj4294967295EEENS1_25partition_config_selectorILNS1_17partition_subalgoE3EjNS0_10empty_typeEbEEZZNS1_14partition_implILS8_3ELb0ES6_jNS0_17counting_iteratorIjlEEPS9_SE_NS0_5tupleIJPjSE_EEENSF_IJSE_SE_EEES9_SG_JZNS1_25segmented_radix_sort_implINS0_14default_configELb0EPK12hip_bfloat16PSL_PKlPlN2at6native12_GLOBAL__N_18offset_tEEE10hipError_tPvRmT1_PNSt15iterator_traitsISZ_E10value_typeET2_T3_PNS10_IS15_E10value_typeET4_jRbjT5_S1B_jjP12ihipStream_tbEUljE_EEESW_SX_SY_S15_S19_S1B_T6_T7_T9_mT8_S1D_bDpT10_ENKUlT_T0_E_clISt17integral_constantIbLb1EES1P_IbLb0EEEEDaS1L_S1M_EUlS1L_E_NS1_11comp_targetILNS1_3genE8ELNS1_11target_archE1030ELNS1_3gpuE2ELNS1_3repE0EEENS1_30default_config_static_selectorELNS0_4arch9wavefront6targetE1EEEvSZ_ ; -- Begin function _ZN7rocprim17ROCPRIM_400000_NS6detail17trampoline_kernelINS0_13select_configILj256ELj13ELNS0_17block_load_methodE3ELS4_3ELS4_3ELNS0_20block_scan_algorithmE0ELj4294967295EEENS1_25partition_config_selectorILNS1_17partition_subalgoE3EjNS0_10empty_typeEbEEZZNS1_14partition_implILS8_3ELb0ES6_jNS0_17counting_iteratorIjlEEPS9_SE_NS0_5tupleIJPjSE_EEENSF_IJSE_SE_EEES9_SG_JZNS1_25segmented_radix_sort_implINS0_14default_configELb0EPK12hip_bfloat16PSL_PKlPlN2at6native12_GLOBAL__N_18offset_tEEE10hipError_tPvRmT1_PNSt15iterator_traitsISZ_E10value_typeET2_T3_PNS10_IS15_E10value_typeET4_jRbjT5_S1B_jjP12ihipStream_tbEUljE_EEESW_SX_SY_S15_S19_S1B_T6_T7_T9_mT8_S1D_bDpT10_ENKUlT_T0_E_clISt17integral_constantIbLb1EES1P_IbLb0EEEEDaS1L_S1M_EUlS1L_E_NS1_11comp_targetILNS1_3genE8ELNS1_11target_archE1030ELNS1_3gpuE2ELNS1_3repE0EEENS1_30default_config_static_selectorELNS0_4arch9wavefront6targetE1EEEvSZ_
	.p2align	8
	.type	_ZN7rocprim17ROCPRIM_400000_NS6detail17trampoline_kernelINS0_13select_configILj256ELj13ELNS0_17block_load_methodE3ELS4_3ELS4_3ELNS0_20block_scan_algorithmE0ELj4294967295EEENS1_25partition_config_selectorILNS1_17partition_subalgoE3EjNS0_10empty_typeEbEEZZNS1_14partition_implILS8_3ELb0ES6_jNS0_17counting_iteratorIjlEEPS9_SE_NS0_5tupleIJPjSE_EEENSF_IJSE_SE_EEES9_SG_JZNS1_25segmented_radix_sort_implINS0_14default_configELb0EPK12hip_bfloat16PSL_PKlPlN2at6native12_GLOBAL__N_18offset_tEEE10hipError_tPvRmT1_PNSt15iterator_traitsISZ_E10value_typeET2_T3_PNS10_IS15_E10value_typeET4_jRbjT5_S1B_jjP12ihipStream_tbEUljE_EEESW_SX_SY_S15_S19_S1B_T6_T7_T9_mT8_S1D_bDpT10_ENKUlT_T0_E_clISt17integral_constantIbLb1EES1P_IbLb0EEEEDaS1L_S1M_EUlS1L_E_NS1_11comp_targetILNS1_3genE8ELNS1_11target_archE1030ELNS1_3gpuE2ELNS1_3repE0EEENS1_30default_config_static_selectorELNS0_4arch9wavefront6targetE1EEEvSZ_,@function
_ZN7rocprim17ROCPRIM_400000_NS6detail17trampoline_kernelINS0_13select_configILj256ELj13ELNS0_17block_load_methodE3ELS4_3ELS4_3ELNS0_20block_scan_algorithmE0ELj4294967295EEENS1_25partition_config_selectorILNS1_17partition_subalgoE3EjNS0_10empty_typeEbEEZZNS1_14partition_implILS8_3ELb0ES6_jNS0_17counting_iteratorIjlEEPS9_SE_NS0_5tupleIJPjSE_EEENSF_IJSE_SE_EEES9_SG_JZNS1_25segmented_radix_sort_implINS0_14default_configELb0EPK12hip_bfloat16PSL_PKlPlN2at6native12_GLOBAL__N_18offset_tEEE10hipError_tPvRmT1_PNSt15iterator_traitsISZ_E10value_typeET2_T3_PNS10_IS15_E10value_typeET4_jRbjT5_S1B_jjP12ihipStream_tbEUljE_EEESW_SX_SY_S15_S19_S1B_T6_T7_T9_mT8_S1D_bDpT10_ENKUlT_T0_E_clISt17integral_constantIbLb1EES1P_IbLb0EEEEDaS1L_S1M_EUlS1L_E_NS1_11comp_targetILNS1_3genE8ELNS1_11target_archE1030ELNS1_3gpuE2ELNS1_3repE0EEENS1_30default_config_static_selectorELNS0_4arch9wavefront6targetE1EEEvSZ_: ; @_ZN7rocprim17ROCPRIM_400000_NS6detail17trampoline_kernelINS0_13select_configILj256ELj13ELNS0_17block_load_methodE3ELS4_3ELS4_3ELNS0_20block_scan_algorithmE0ELj4294967295EEENS1_25partition_config_selectorILNS1_17partition_subalgoE3EjNS0_10empty_typeEbEEZZNS1_14partition_implILS8_3ELb0ES6_jNS0_17counting_iteratorIjlEEPS9_SE_NS0_5tupleIJPjSE_EEENSF_IJSE_SE_EEES9_SG_JZNS1_25segmented_radix_sort_implINS0_14default_configELb0EPK12hip_bfloat16PSL_PKlPlN2at6native12_GLOBAL__N_18offset_tEEE10hipError_tPvRmT1_PNSt15iterator_traitsISZ_E10value_typeET2_T3_PNS10_IS15_E10value_typeET4_jRbjT5_S1B_jjP12ihipStream_tbEUljE_EEESW_SX_SY_S15_S19_S1B_T6_T7_T9_mT8_S1D_bDpT10_ENKUlT_T0_E_clISt17integral_constantIbLb1EES1P_IbLb0EEEEDaS1L_S1M_EUlS1L_E_NS1_11comp_targetILNS1_3genE8ELNS1_11target_archE1030ELNS1_3gpuE2ELNS1_3repE0EEENS1_30default_config_static_selectorELNS0_4arch9wavefront6targetE1EEEvSZ_
; %bb.0:
	.section	.rodata,"a",@progbits
	.p2align	6, 0x0
	.amdhsa_kernel _ZN7rocprim17ROCPRIM_400000_NS6detail17trampoline_kernelINS0_13select_configILj256ELj13ELNS0_17block_load_methodE3ELS4_3ELS4_3ELNS0_20block_scan_algorithmE0ELj4294967295EEENS1_25partition_config_selectorILNS1_17partition_subalgoE3EjNS0_10empty_typeEbEEZZNS1_14partition_implILS8_3ELb0ES6_jNS0_17counting_iteratorIjlEEPS9_SE_NS0_5tupleIJPjSE_EEENSF_IJSE_SE_EEES9_SG_JZNS1_25segmented_radix_sort_implINS0_14default_configELb0EPK12hip_bfloat16PSL_PKlPlN2at6native12_GLOBAL__N_18offset_tEEE10hipError_tPvRmT1_PNSt15iterator_traitsISZ_E10value_typeET2_T3_PNS10_IS15_E10value_typeET4_jRbjT5_S1B_jjP12ihipStream_tbEUljE_EEESW_SX_SY_S15_S19_S1B_T6_T7_T9_mT8_S1D_bDpT10_ENKUlT_T0_E_clISt17integral_constantIbLb1EES1P_IbLb0EEEEDaS1L_S1M_EUlS1L_E_NS1_11comp_targetILNS1_3genE8ELNS1_11target_archE1030ELNS1_3gpuE2ELNS1_3repE0EEENS1_30default_config_static_selectorELNS0_4arch9wavefront6targetE1EEEvSZ_
		.amdhsa_group_segment_fixed_size 0
		.amdhsa_private_segment_fixed_size 0
		.amdhsa_kernarg_size 144
		.amdhsa_user_sgpr_count 6
		.amdhsa_user_sgpr_private_segment_buffer 1
		.amdhsa_user_sgpr_dispatch_ptr 0
		.amdhsa_user_sgpr_queue_ptr 0
		.amdhsa_user_sgpr_kernarg_segment_ptr 1
		.amdhsa_user_sgpr_dispatch_id 0
		.amdhsa_user_sgpr_flat_scratch_init 0
		.amdhsa_user_sgpr_kernarg_preload_length 0
		.amdhsa_user_sgpr_kernarg_preload_offset 0
		.amdhsa_user_sgpr_private_segment_size 0
		.amdhsa_uses_dynamic_stack 0
		.amdhsa_system_sgpr_private_segment_wavefront_offset 0
		.amdhsa_system_sgpr_workgroup_id_x 1
		.amdhsa_system_sgpr_workgroup_id_y 0
		.amdhsa_system_sgpr_workgroup_id_z 0
		.amdhsa_system_sgpr_workgroup_info 0
		.amdhsa_system_vgpr_workitem_id 0
		.amdhsa_next_free_vgpr 1
		.amdhsa_next_free_sgpr 0
		.amdhsa_accum_offset 4
		.amdhsa_reserve_vcc 0
		.amdhsa_reserve_flat_scratch 0
		.amdhsa_float_round_mode_32 0
		.amdhsa_float_round_mode_16_64 0
		.amdhsa_float_denorm_mode_32 3
		.amdhsa_float_denorm_mode_16_64 3
		.amdhsa_dx10_clamp 1
		.amdhsa_ieee_mode 1
		.amdhsa_fp16_overflow 0
		.amdhsa_tg_split 0
		.amdhsa_exception_fp_ieee_invalid_op 0
		.amdhsa_exception_fp_denorm_src 0
		.amdhsa_exception_fp_ieee_div_zero 0
		.amdhsa_exception_fp_ieee_overflow 0
		.amdhsa_exception_fp_ieee_underflow 0
		.amdhsa_exception_fp_ieee_inexact 0
		.amdhsa_exception_int_div_zero 0
	.end_amdhsa_kernel
	.section	.text._ZN7rocprim17ROCPRIM_400000_NS6detail17trampoline_kernelINS0_13select_configILj256ELj13ELNS0_17block_load_methodE3ELS4_3ELS4_3ELNS0_20block_scan_algorithmE0ELj4294967295EEENS1_25partition_config_selectorILNS1_17partition_subalgoE3EjNS0_10empty_typeEbEEZZNS1_14partition_implILS8_3ELb0ES6_jNS0_17counting_iteratorIjlEEPS9_SE_NS0_5tupleIJPjSE_EEENSF_IJSE_SE_EEES9_SG_JZNS1_25segmented_radix_sort_implINS0_14default_configELb0EPK12hip_bfloat16PSL_PKlPlN2at6native12_GLOBAL__N_18offset_tEEE10hipError_tPvRmT1_PNSt15iterator_traitsISZ_E10value_typeET2_T3_PNS10_IS15_E10value_typeET4_jRbjT5_S1B_jjP12ihipStream_tbEUljE_EEESW_SX_SY_S15_S19_S1B_T6_T7_T9_mT8_S1D_bDpT10_ENKUlT_T0_E_clISt17integral_constantIbLb1EES1P_IbLb0EEEEDaS1L_S1M_EUlS1L_E_NS1_11comp_targetILNS1_3genE8ELNS1_11target_archE1030ELNS1_3gpuE2ELNS1_3repE0EEENS1_30default_config_static_selectorELNS0_4arch9wavefront6targetE1EEEvSZ_,"axG",@progbits,_ZN7rocprim17ROCPRIM_400000_NS6detail17trampoline_kernelINS0_13select_configILj256ELj13ELNS0_17block_load_methodE3ELS4_3ELS4_3ELNS0_20block_scan_algorithmE0ELj4294967295EEENS1_25partition_config_selectorILNS1_17partition_subalgoE3EjNS0_10empty_typeEbEEZZNS1_14partition_implILS8_3ELb0ES6_jNS0_17counting_iteratorIjlEEPS9_SE_NS0_5tupleIJPjSE_EEENSF_IJSE_SE_EEES9_SG_JZNS1_25segmented_radix_sort_implINS0_14default_configELb0EPK12hip_bfloat16PSL_PKlPlN2at6native12_GLOBAL__N_18offset_tEEE10hipError_tPvRmT1_PNSt15iterator_traitsISZ_E10value_typeET2_T3_PNS10_IS15_E10value_typeET4_jRbjT5_S1B_jjP12ihipStream_tbEUljE_EEESW_SX_SY_S15_S19_S1B_T6_T7_T9_mT8_S1D_bDpT10_ENKUlT_T0_E_clISt17integral_constantIbLb1EES1P_IbLb0EEEEDaS1L_S1M_EUlS1L_E_NS1_11comp_targetILNS1_3genE8ELNS1_11target_archE1030ELNS1_3gpuE2ELNS1_3repE0EEENS1_30default_config_static_selectorELNS0_4arch9wavefront6targetE1EEEvSZ_,comdat
.Lfunc_end2038:
	.size	_ZN7rocprim17ROCPRIM_400000_NS6detail17trampoline_kernelINS0_13select_configILj256ELj13ELNS0_17block_load_methodE3ELS4_3ELS4_3ELNS0_20block_scan_algorithmE0ELj4294967295EEENS1_25partition_config_selectorILNS1_17partition_subalgoE3EjNS0_10empty_typeEbEEZZNS1_14partition_implILS8_3ELb0ES6_jNS0_17counting_iteratorIjlEEPS9_SE_NS0_5tupleIJPjSE_EEENSF_IJSE_SE_EEES9_SG_JZNS1_25segmented_radix_sort_implINS0_14default_configELb0EPK12hip_bfloat16PSL_PKlPlN2at6native12_GLOBAL__N_18offset_tEEE10hipError_tPvRmT1_PNSt15iterator_traitsISZ_E10value_typeET2_T3_PNS10_IS15_E10value_typeET4_jRbjT5_S1B_jjP12ihipStream_tbEUljE_EEESW_SX_SY_S15_S19_S1B_T6_T7_T9_mT8_S1D_bDpT10_ENKUlT_T0_E_clISt17integral_constantIbLb1EES1P_IbLb0EEEEDaS1L_S1M_EUlS1L_E_NS1_11comp_targetILNS1_3genE8ELNS1_11target_archE1030ELNS1_3gpuE2ELNS1_3repE0EEENS1_30default_config_static_selectorELNS0_4arch9wavefront6targetE1EEEvSZ_, .Lfunc_end2038-_ZN7rocprim17ROCPRIM_400000_NS6detail17trampoline_kernelINS0_13select_configILj256ELj13ELNS0_17block_load_methodE3ELS4_3ELS4_3ELNS0_20block_scan_algorithmE0ELj4294967295EEENS1_25partition_config_selectorILNS1_17partition_subalgoE3EjNS0_10empty_typeEbEEZZNS1_14partition_implILS8_3ELb0ES6_jNS0_17counting_iteratorIjlEEPS9_SE_NS0_5tupleIJPjSE_EEENSF_IJSE_SE_EEES9_SG_JZNS1_25segmented_radix_sort_implINS0_14default_configELb0EPK12hip_bfloat16PSL_PKlPlN2at6native12_GLOBAL__N_18offset_tEEE10hipError_tPvRmT1_PNSt15iterator_traitsISZ_E10value_typeET2_T3_PNS10_IS15_E10value_typeET4_jRbjT5_S1B_jjP12ihipStream_tbEUljE_EEESW_SX_SY_S15_S19_S1B_T6_T7_T9_mT8_S1D_bDpT10_ENKUlT_T0_E_clISt17integral_constantIbLb1EES1P_IbLb0EEEEDaS1L_S1M_EUlS1L_E_NS1_11comp_targetILNS1_3genE8ELNS1_11target_archE1030ELNS1_3gpuE2ELNS1_3repE0EEENS1_30default_config_static_selectorELNS0_4arch9wavefront6targetE1EEEvSZ_
                                        ; -- End function
	.section	.AMDGPU.csdata,"",@progbits
; Kernel info:
; codeLenInByte = 0
; NumSgprs: 4
; NumVgprs: 0
; NumAgprs: 0
; TotalNumVgprs: 0
; ScratchSize: 0
; MemoryBound: 0
; FloatMode: 240
; IeeeMode: 1
; LDSByteSize: 0 bytes/workgroup (compile time only)
; SGPRBlocks: 0
; VGPRBlocks: 0
; NumSGPRsForWavesPerEU: 4
; NumVGPRsForWavesPerEU: 1
; AccumOffset: 4
; Occupancy: 8
; WaveLimiterHint : 0
; COMPUTE_PGM_RSRC2:SCRATCH_EN: 0
; COMPUTE_PGM_RSRC2:USER_SGPR: 6
; COMPUTE_PGM_RSRC2:TRAP_HANDLER: 0
; COMPUTE_PGM_RSRC2:TGID_X_EN: 1
; COMPUTE_PGM_RSRC2:TGID_Y_EN: 0
; COMPUTE_PGM_RSRC2:TGID_Z_EN: 0
; COMPUTE_PGM_RSRC2:TIDIG_COMP_CNT: 0
; COMPUTE_PGM_RSRC3_GFX90A:ACCUM_OFFSET: 0
; COMPUTE_PGM_RSRC3_GFX90A:TG_SPLIT: 0
	.section	.text._ZN7rocprim17ROCPRIM_400000_NS6detail17trampoline_kernelINS0_13select_configILj256ELj13ELNS0_17block_load_methodE3ELS4_3ELS4_3ELNS0_20block_scan_algorithmE0ELj4294967295EEENS1_25partition_config_selectorILNS1_17partition_subalgoE3EjNS0_10empty_typeEbEEZZNS1_14partition_implILS8_3ELb0ES6_jNS0_17counting_iteratorIjlEEPS9_SE_NS0_5tupleIJPjSE_EEENSF_IJSE_SE_EEES9_SG_JZNS1_25segmented_radix_sort_implINS0_14default_configELb0EPK12hip_bfloat16PSL_PKlPlN2at6native12_GLOBAL__N_18offset_tEEE10hipError_tPvRmT1_PNSt15iterator_traitsISZ_E10value_typeET2_T3_PNS10_IS15_E10value_typeET4_jRbjT5_S1B_jjP12ihipStream_tbEUljE_EEESW_SX_SY_S15_S19_S1B_T6_T7_T9_mT8_S1D_bDpT10_ENKUlT_T0_E_clISt17integral_constantIbLb0EES1P_IbLb1EEEEDaS1L_S1M_EUlS1L_E_NS1_11comp_targetILNS1_3genE0ELNS1_11target_archE4294967295ELNS1_3gpuE0ELNS1_3repE0EEENS1_30default_config_static_selectorELNS0_4arch9wavefront6targetE1EEEvSZ_,"axG",@progbits,_ZN7rocprim17ROCPRIM_400000_NS6detail17trampoline_kernelINS0_13select_configILj256ELj13ELNS0_17block_load_methodE3ELS4_3ELS4_3ELNS0_20block_scan_algorithmE0ELj4294967295EEENS1_25partition_config_selectorILNS1_17partition_subalgoE3EjNS0_10empty_typeEbEEZZNS1_14partition_implILS8_3ELb0ES6_jNS0_17counting_iteratorIjlEEPS9_SE_NS0_5tupleIJPjSE_EEENSF_IJSE_SE_EEES9_SG_JZNS1_25segmented_radix_sort_implINS0_14default_configELb0EPK12hip_bfloat16PSL_PKlPlN2at6native12_GLOBAL__N_18offset_tEEE10hipError_tPvRmT1_PNSt15iterator_traitsISZ_E10value_typeET2_T3_PNS10_IS15_E10value_typeET4_jRbjT5_S1B_jjP12ihipStream_tbEUljE_EEESW_SX_SY_S15_S19_S1B_T6_T7_T9_mT8_S1D_bDpT10_ENKUlT_T0_E_clISt17integral_constantIbLb0EES1P_IbLb1EEEEDaS1L_S1M_EUlS1L_E_NS1_11comp_targetILNS1_3genE0ELNS1_11target_archE4294967295ELNS1_3gpuE0ELNS1_3repE0EEENS1_30default_config_static_selectorELNS0_4arch9wavefront6targetE1EEEvSZ_,comdat
	.globl	_ZN7rocprim17ROCPRIM_400000_NS6detail17trampoline_kernelINS0_13select_configILj256ELj13ELNS0_17block_load_methodE3ELS4_3ELS4_3ELNS0_20block_scan_algorithmE0ELj4294967295EEENS1_25partition_config_selectorILNS1_17partition_subalgoE3EjNS0_10empty_typeEbEEZZNS1_14partition_implILS8_3ELb0ES6_jNS0_17counting_iteratorIjlEEPS9_SE_NS0_5tupleIJPjSE_EEENSF_IJSE_SE_EEES9_SG_JZNS1_25segmented_radix_sort_implINS0_14default_configELb0EPK12hip_bfloat16PSL_PKlPlN2at6native12_GLOBAL__N_18offset_tEEE10hipError_tPvRmT1_PNSt15iterator_traitsISZ_E10value_typeET2_T3_PNS10_IS15_E10value_typeET4_jRbjT5_S1B_jjP12ihipStream_tbEUljE_EEESW_SX_SY_S15_S19_S1B_T6_T7_T9_mT8_S1D_bDpT10_ENKUlT_T0_E_clISt17integral_constantIbLb0EES1P_IbLb1EEEEDaS1L_S1M_EUlS1L_E_NS1_11comp_targetILNS1_3genE0ELNS1_11target_archE4294967295ELNS1_3gpuE0ELNS1_3repE0EEENS1_30default_config_static_selectorELNS0_4arch9wavefront6targetE1EEEvSZ_ ; -- Begin function _ZN7rocprim17ROCPRIM_400000_NS6detail17trampoline_kernelINS0_13select_configILj256ELj13ELNS0_17block_load_methodE3ELS4_3ELS4_3ELNS0_20block_scan_algorithmE0ELj4294967295EEENS1_25partition_config_selectorILNS1_17partition_subalgoE3EjNS0_10empty_typeEbEEZZNS1_14partition_implILS8_3ELb0ES6_jNS0_17counting_iteratorIjlEEPS9_SE_NS0_5tupleIJPjSE_EEENSF_IJSE_SE_EEES9_SG_JZNS1_25segmented_radix_sort_implINS0_14default_configELb0EPK12hip_bfloat16PSL_PKlPlN2at6native12_GLOBAL__N_18offset_tEEE10hipError_tPvRmT1_PNSt15iterator_traitsISZ_E10value_typeET2_T3_PNS10_IS15_E10value_typeET4_jRbjT5_S1B_jjP12ihipStream_tbEUljE_EEESW_SX_SY_S15_S19_S1B_T6_T7_T9_mT8_S1D_bDpT10_ENKUlT_T0_E_clISt17integral_constantIbLb0EES1P_IbLb1EEEEDaS1L_S1M_EUlS1L_E_NS1_11comp_targetILNS1_3genE0ELNS1_11target_archE4294967295ELNS1_3gpuE0ELNS1_3repE0EEENS1_30default_config_static_selectorELNS0_4arch9wavefront6targetE1EEEvSZ_
	.p2align	8
	.type	_ZN7rocprim17ROCPRIM_400000_NS6detail17trampoline_kernelINS0_13select_configILj256ELj13ELNS0_17block_load_methodE3ELS4_3ELS4_3ELNS0_20block_scan_algorithmE0ELj4294967295EEENS1_25partition_config_selectorILNS1_17partition_subalgoE3EjNS0_10empty_typeEbEEZZNS1_14partition_implILS8_3ELb0ES6_jNS0_17counting_iteratorIjlEEPS9_SE_NS0_5tupleIJPjSE_EEENSF_IJSE_SE_EEES9_SG_JZNS1_25segmented_radix_sort_implINS0_14default_configELb0EPK12hip_bfloat16PSL_PKlPlN2at6native12_GLOBAL__N_18offset_tEEE10hipError_tPvRmT1_PNSt15iterator_traitsISZ_E10value_typeET2_T3_PNS10_IS15_E10value_typeET4_jRbjT5_S1B_jjP12ihipStream_tbEUljE_EEESW_SX_SY_S15_S19_S1B_T6_T7_T9_mT8_S1D_bDpT10_ENKUlT_T0_E_clISt17integral_constantIbLb0EES1P_IbLb1EEEEDaS1L_S1M_EUlS1L_E_NS1_11comp_targetILNS1_3genE0ELNS1_11target_archE4294967295ELNS1_3gpuE0ELNS1_3repE0EEENS1_30default_config_static_selectorELNS0_4arch9wavefront6targetE1EEEvSZ_,@function
_ZN7rocprim17ROCPRIM_400000_NS6detail17trampoline_kernelINS0_13select_configILj256ELj13ELNS0_17block_load_methodE3ELS4_3ELS4_3ELNS0_20block_scan_algorithmE0ELj4294967295EEENS1_25partition_config_selectorILNS1_17partition_subalgoE3EjNS0_10empty_typeEbEEZZNS1_14partition_implILS8_3ELb0ES6_jNS0_17counting_iteratorIjlEEPS9_SE_NS0_5tupleIJPjSE_EEENSF_IJSE_SE_EEES9_SG_JZNS1_25segmented_radix_sort_implINS0_14default_configELb0EPK12hip_bfloat16PSL_PKlPlN2at6native12_GLOBAL__N_18offset_tEEE10hipError_tPvRmT1_PNSt15iterator_traitsISZ_E10value_typeET2_T3_PNS10_IS15_E10value_typeET4_jRbjT5_S1B_jjP12ihipStream_tbEUljE_EEESW_SX_SY_S15_S19_S1B_T6_T7_T9_mT8_S1D_bDpT10_ENKUlT_T0_E_clISt17integral_constantIbLb0EES1P_IbLb1EEEEDaS1L_S1M_EUlS1L_E_NS1_11comp_targetILNS1_3genE0ELNS1_11target_archE4294967295ELNS1_3gpuE0ELNS1_3repE0EEENS1_30default_config_static_selectorELNS0_4arch9wavefront6targetE1EEEvSZ_: ; @_ZN7rocprim17ROCPRIM_400000_NS6detail17trampoline_kernelINS0_13select_configILj256ELj13ELNS0_17block_load_methodE3ELS4_3ELS4_3ELNS0_20block_scan_algorithmE0ELj4294967295EEENS1_25partition_config_selectorILNS1_17partition_subalgoE3EjNS0_10empty_typeEbEEZZNS1_14partition_implILS8_3ELb0ES6_jNS0_17counting_iteratorIjlEEPS9_SE_NS0_5tupleIJPjSE_EEENSF_IJSE_SE_EEES9_SG_JZNS1_25segmented_radix_sort_implINS0_14default_configELb0EPK12hip_bfloat16PSL_PKlPlN2at6native12_GLOBAL__N_18offset_tEEE10hipError_tPvRmT1_PNSt15iterator_traitsISZ_E10value_typeET2_T3_PNS10_IS15_E10value_typeET4_jRbjT5_S1B_jjP12ihipStream_tbEUljE_EEESW_SX_SY_S15_S19_S1B_T6_T7_T9_mT8_S1D_bDpT10_ENKUlT_T0_E_clISt17integral_constantIbLb0EES1P_IbLb1EEEEDaS1L_S1M_EUlS1L_E_NS1_11comp_targetILNS1_3genE0ELNS1_11target_archE4294967295ELNS1_3gpuE0ELNS1_3repE0EEENS1_30default_config_static_selectorELNS0_4arch9wavefront6targetE1EEEvSZ_
; %bb.0:
	.section	.rodata,"a",@progbits
	.p2align	6, 0x0
	.amdhsa_kernel _ZN7rocprim17ROCPRIM_400000_NS6detail17trampoline_kernelINS0_13select_configILj256ELj13ELNS0_17block_load_methodE3ELS4_3ELS4_3ELNS0_20block_scan_algorithmE0ELj4294967295EEENS1_25partition_config_selectorILNS1_17partition_subalgoE3EjNS0_10empty_typeEbEEZZNS1_14partition_implILS8_3ELb0ES6_jNS0_17counting_iteratorIjlEEPS9_SE_NS0_5tupleIJPjSE_EEENSF_IJSE_SE_EEES9_SG_JZNS1_25segmented_radix_sort_implINS0_14default_configELb0EPK12hip_bfloat16PSL_PKlPlN2at6native12_GLOBAL__N_18offset_tEEE10hipError_tPvRmT1_PNSt15iterator_traitsISZ_E10value_typeET2_T3_PNS10_IS15_E10value_typeET4_jRbjT5_S1B_jjP12ihipStream_tbEUljE_EEESW_SX_SY_S15_S19_S1B_T6_T7_T9_mT8_S1D_bDpT10_ENKUlT_T0_E_clISt17integral_constantIbLb0EES1P_IbLb1EEEEDaS1L_S1M_EUlS1L_E_NS1_11comp_targetILNS1_3genE0ELNS1_11target_archE4294967295ELNS1_3gpuE0ELNS1_3repE0EEENS1_30default_config_static_selectorELNS0_4arch9wavefront6targetE1EEEvSZ_
		.amdhsa_group_segment_fixed_size 0
		.amdhsa_private_segment_fixed_size 0
		.amdhsa_kernarg_size 152
		.amdhsa_user_sgpr_count 6
		.amdhsa_user_sgpr_private_segment_buffer 1
		.amdhsa_user_sgpr_dispatch_ptr 0
		.amdhsa_user_sgpr_queue_ptr 0
		.amdhsa_user_sgpr_kernarg_segment_ptr 1
		.amdhsa_user_sgpr_dispatch_id 0
		.amdhsa_user_sgpr_flat_scratch_init 0
		.amdhsa_user_sgpr_kernarg_preload_length 0
		.amdhsa_user_sgpr_kernarg_preload_offset 0
		.amdhsa_user_sgpr_private_segment_size 0
		.amdhsa_uses_dynamic_stack 0
		.amdhsa_system_sgpr_private_segment_wavefront_offset 0
		.amdhsa_system_sgpr_workgroup_id_x 1
		.amdhsa_system_sgpr_workgroup_id_y 0
		.amdhsa_system_sgpr_workgroup_id_z 0
		.amdhsa_system_sgpr_workgroup_info 0
		.amdhsa_system_vgpr_workitem_id 0
		.amdhsa_next_free_vgpr 1
		.amdhsa_next_free_sgpr 0
		.amdhsa_accum_offset 4
		.amdhsa_reserve_vcc 0
		.amdhsa_reserve_flat_scratch 0
		.amdhsa_float_round_mode_32 0
		.amdhsa_float_round_mode_16_64 0
		.amdhsa_float_denorm_mode_32 3
		.amdhsa_float_denorm_mode_16_64 3
		.amdhsa_dx10_clamp 1
		.amdhsa_ieee_mode 1
		.amdhsa_fp16_overflow 0
		.amdhsa_tg_split 0
		.amdhsa_exception_fp_ieee_invalid_op 0
		.amdhsa_exception_fp_denorm_src 0
		.amdhsa_exception_fp_ieee_div_zero 0
		.amdhsa_exception_fp_ieee_overflow 0
		.amdhsa_exception_fp_ieee_underflow 0
		.amdhsa_exception_fp_ieee_inexact 0
		.amdhsa_exception_int_div_zero 0
	.end_amdhsa_kernel
	.section	.text._ZN7rocprim17ROCPRIM_400000_NS6detail17trampoline_kernelINS0_13select_configILj256ELj13ELNS0_17block_load_methodE3ELS4_3ELS4_3ELNS0_20block_scan_algorithmE0ELj4294967295EEENS1_25partition_config_selectorILNS1_17partition_subalgoE3EjNS0_10empty_typeEbEEZZNS1_14partition_implILS8_3ELb0ES6_jNS0_17counting_iteratorIjlEEPS9_SE_NS0_5tupleIJPjSE_EEENSF_IJSE_SE_EEES9_SG_JZNS1_25segmented_radix_sort_implINS0_14default_configELb0EPK12hip_bfloat16PSL_PKlPlN2at6native12_GLOBAL__N_18offset_tEEE10hipError_tPvRmT1_PNSt15iterator_traitsISZ_E10value_typeET2_T3_PNS10_IS15_E10value_typeET4_jRbjT5_S1B_jjP12ihipStream_tbEUljE_EEESW_SX_SY_S15_S19_S1B_T6_T7_T9_mT8_S1D_bDpT10_ENKUlT_T0_E_clISt17integral_constantIbLb0EES1P_IbLb1EEEEDaS1L_S1M_EUlS1L_E_NS1_11comp_targetILNS1_3genE0ELNS1_11target_archE4294967295ELNS1_3gpuE0ELNS1_3repE0EEENS1_30default_config_static_selectorELNS0_4arch9wavefront6targetE1EEEvSZ_,"axG",@progbits,_ZN7rocprim17ROCPRIM_400000_NS6detail17trampoline_kernelINS0_13select_configILj256ELj13ELNS0_17block_load_methodE3ELS4_3ELS4_3ELNS0_20block_scan_algorithmE0ELj4294967295EEENS1_25partition_config_selectorILNS1_17partition_subalgoE3EjNS0_10empty_typeEbEEZZNS1_14partition_implILS8_3ELb0ES6_jNS0_17counting_iteratorIjlEEPS9_SE_NS0_5tupleIJPjSE_EEENSF_IJSE_SE_EEES9_SG_JZNS1_25segmented_radix_sort_implINS0_14default_configELb0EPK12hip_bfloat16PSL_PKlPlN2at6native12_GLOBAL__N_18offset_tEEE10hipError_tPvRmT1_PNSt15iterator_traitsISZ_E10value_typeET2_T3_PNS10_IS15_E10value_typeET4_jRbjT5_S1B_jjP12ihipStream_tbEUljE_EEESW_SX_SY_S15_S19_S1B_T6_T7_T9_mT8_S1D_bDpT10_ENKUlT_T0_E_clISt17integral_constantIbLb0EES1P_IbLb1EEEEDaS1L_S1M_EUlS1L_E_NS1_11comp_targetILNS1_3genE0ELNS1_11target_archE4294967295ELNS1_3gpuE0ELNS1_3repE0EEENS1_30default_config_static_selectorELNS0_4arch9wavefront6targetE1EEEvSZ_,comdat
.Lfunc_end2039:
	.size	_ZN7rocprim17ROCPRIM_400000_NS6detail17trampoline_kernelINS0_13select_configILj256ELj13ELNS0_17block_load_methodE3ELS4_3ELS4_3ELNS0_20block_scan_algorithmE0ELj4294967295EEENS1_25partition_config_selectorILNS1_17partition_subalgoE3EjNS0_10empty_typeEbEEZZNS1_14partition_implILS8_3ELb0ES6_jNS0_17counting_iteratorIjlEEPS9_SE_NS0_5tupleIJPjSE_EEENSF_IJSE_SE_EEES9_SG_JZNS1_25segmented_radix_sort_implINS0_14default_configELb0EPK12hip_bfloat16PSL_PKlPlN2at6native12_GLOBAL__N_18offset_tEEE10hipError_tPvRmT1_PNSt15iterator_traitsISZ_E10value_typeET2_T3_PNS10_IS15_E10value_typeET4_jRbjT5_S1B_jjP12ihipStream_tbEUljE_EEESW_SX_SY_S15_S19_S1B_T6_T7_T9_mT8_S1D_bDpT10_ENKUlT_T0_E_clISt17integral_constantIbLb0EES1P_IbLb1EEEEDaS1L_S1M_EUlS1L_E_NS1_11comp_targetILNS1_3genE0ELNS1_11target_archE4294967295ELNS1_3gpuE0ELNS1_3repE0EEENS1_30default_config_static_selectorELNS0_4arch9wavefront6targetE1EEEvSZ_, .Lfunc_end2039-_ZN7rocprim17ROCPRIM_400000_NS6detail17trampoline_kernelINS0_13select_configILj256ELj13ELNS0_17block_load_methodE3ELS4_3ELS4_3ELNS0_20block_scan_algorithmE0ELj4294967295EEENS1_25partition_config_selectorILNS1_17partition_subalgoE3EjNS0_10empty_typeEbEEZZNS1_14partition_implILS8_3ELb0ES6_jNS0_17counting_iteratorIjlEEPS9_SE_NS0_5tupleIJPjSE_EEENSF_IJSE_SE_EEES9_SG_JZNS1_25segmented_radix_sort_implINS0_14default_configELb0EPK12hip_bfloat16PSL_PKlPlN2at6native12_GLOBAL__N_18offset_tEEE10hipError_tPvRmT1_PNSt15iterator_traitsISZ_E10value_typeET2_T3_PNS10_IS15_E10value_typeET4_jRbjT5_S1B_jjP12ihipStream_tbEUljE_EEESW_SX_SY_S15_S19_S1B_T6_T7_T9_mT8_S1D_bDpT10_ENKUlT_T0_E_clISt17integral_constantIbLb0EES1P_IbLb1EEEEDaS1L_S1M_EUlS1L_E_NS1_11comp_targetILNS1_3genE0ELNS1_11target_archE4294967295ELNS1_3gpuE0ELNS1_3repE0EEENS1_30default_config_static_selectorELNS0_4arch9wavefront6targetE1EEEvSZ_
                                        ; -- End function
	.section	.AMDGPU.csdata,"",@progbits
; Kernel info:
; codeLenInByte = 0
; NumSgprs: 4
; NumVgprs: 0
; NumAgprs: 0
; TotalNumVgprs: 0
; ScratchSize: 0
; MemoryBound: 0
; FloatMode: 240
; IeeeMode: 1
; LDSByteSize: 0 bytes/workgroup (compile time only)
; SGPRBlocks: 0
; VGPRBlocks: 0
; NumSGPRsForWavesPerEU: 4
; NumVGPRsForWavesPerEU: 1
; AccumOffset: 4
; Occupancy: 8
; WaveLimiterHint : 0
; COMPUTE_PGM_RSRC2:SCRATCH_EN: 0
; COMPUTE_PGM_RSRC2:USER_SGPR: 6
; COMPUTE_PGM_RSRC2:TRAP_HANDLER: 0
; COMPUTE_PGM_RSRC2:TGID_X_EN: 1
; COMPUTE_PGM_RSRC2:TGID_Y_EN: 0
; COMPUTE_PGM_RSRC2:TGID_Z_EN: 0
; COMPUTE_PGM_RSRC2:TIDIG_COMP_CNT: 0
; COMPUTE_PGM_RSRC3_GFX90A:ACCUM_OFFSET: 0
; COMPUTE_PGM_RSRC3_GFX90A:TG_SPLIT: 0
	.section	.text._ZN7rocprim17ROCPRIM_400000_NS6detail17trampoline_kernelINS0_13select_configILj256ELj13ELNS0_17block_load_methodE3ELS4_3ELS4_3ELNS0_20block_scan_algorithmE0ELj4294967295EEENS1_25partition_config_selectorILNS1_17partition_subalgoE3EjNS0_10empty_typeEbEEZZNS1_14partition_implILS8_3ELb0ES6_jNS0_17counting_iteratorIjlEEPS9_SE_NS0_5tupleIJPjSE_EEENSF_IJSE_SE_EEES9_SG_JZNS1_25segmented_radix_sort_implINS0_14default_configELb0EPK12hip_bfloat16PSL_PKlPlN2at6native12_GLOBAL__N_18offset_tEEE10hipError_tPvRmT1_PNSt15iterator_traitsISZ_E10value_typeET2_T3_PNS10_IS15_E10value_typeET4_jRbjT5_S1B_jjP12ihipStream_tbEUljE_EEESW_SX_SY_S15_S19_S1B_T6_T7_T9_mT8_S1D_bDpT10_ENKUlT_T0_E_clISt17integral_constantIbLb0EES1P_IbLb1EEEEDaS1L_S1M_EUlS1L_E_NS1_11comp_targetILNS1_3genE5ELNS1_11target_archE942ELNS1_3gpuE9ELNS1_3repE0EEENS1_30default_config_static_selectorELNS0_4arch9wavefront6targetE1EEEvSZ_,"axG",@progbits,_ZN7rocprim17ROCPRIM_400000_NS6detail17trampoline_kernelINS0_13select_configILj256ELj13ELNS0_17block_load_methodE3ELS4_3ELS4_3ELNS0_20block_scan_algorithmE0ELj4294967295EEENS1_25partition_config_selectorILNS1_17partition_subalgoE3EjNS0_10empty_typeEbEEZZNS1_14partition_implILS8_3ELb0ES6_jNS0_17counting_iteratorIjlEEPS9_SE_NS0_5tupleIJPjSE_EEENSF_IJSE_SE_EEES9_SG_JZNS1_25segmented_radix_sort_implINS0_14default_configELb0EPK12hip_bfloat16PSL_PKlPlN2at6native12_GLOBAL__N_18offset_tEEE10hipError_tPvRmT1_PNSt15iterator_traitsISZ_E10value_typeET2_T3_PNS10_IS15_E10value_typeET4_jRbjT5_S1B_jjP12ihipStream_tbEUljE_EEESW_SX_SY_S15_S19_S1B_T6_T7_T9_mT8_S1D_bDpT10_ENKUlT_T0_E_clISt17integral_constantIbLb0EES1P_IbLb1EEEEDaS1L_S1M_EUlS1L_E_NS1_11comp_targetILNS1_3genE5ELNS1_11target_archE942ELNS1_3gpuE9ELNS1_3repE0EEENS1_30default_config_static_selectorELNS0_4arch9wavefront6targetE1EEEvSZ_,comdat
	.globl	_ZN7rocprim17ROCPRIM_400000_NS6detail17trampoline_kernelINS0_13select_configILj256ELj13ELNS0_17block_load_methodE3ELS4_3ELS4_3ELNS0_20block_scan_algorithmE0ELj4294967295EEENS1_25partition_config_selectorILNS1_17partition_subalgoE3EjNS0_10empty_typeEbEEZZNS1_14partition_implILS8_3ELb0ES6_jNS0_17counting_iteratorIjlEEPS9_SE_NS0_5tupleIJPjSE_EEENSF_IJSE_SE_EEES9_SG_JZNS1_25segmented_radix_sort_implINS0_14default_configELb0EPK12hip_bfloat16PSL_PKlPlN2at6native12_GLOBAL__N_18offset_tEEE10hipError_tPvRmT1_PNSt15iterator_traitsISZ_E10value_typeET2_T3_PNS10_IS15_E10value_typeET4_jRbjT5_S1B_jjP12ihipStream_tbEUljE_EEESW_SX_SY_S15_S19_S1B_T6_T7_T9_mT8_S1D_bDpT10_ENKUlT_T0_E_clISt17integral_constantIbLb0EES1P_IbLb1EEEEDaS1L_S1M_EUlS1L_E_NS1_11comp_targetILNS1_3genE5ELNS1_11target_archE942ELNS1_3gpuE9ELNS1_3repE0EEENS1_30default_config_static_selectorELNS0_4arch9wavefront6targetE1EEEvSZ_ ; -- Begin function _ZN7rocprim17ROCPRIM_400000_NS6detail17trampoline_kernelINS0_13select_configILj256ELj13ELNS0_17block_load_methodE3ELS4_3ELS4_3ELNS0_20block_scan_algorithmE0ELj4294967295EEENS1_25partition_config_selectorILNS1_17partition_subalgoE3EjNS0_10empty_typeEbEEZZNS1_14partition_implILS8_3ELb0ES6_jNS0_17counting_iteratorIjlEEPS9_SE_NS0_5tupleIJPjSE_EEENSF_IJSE_SE_EEES9_SG_JZNS1_25segmented_radix_sort_implINS0_14default_configELb0EPK12hip_bfloat16PSL_PKlPlN2at6native12_GLOBAL__N_18offset_tEEE10hipError_tPvRmT1_PNSt15iterator_traitsISZ_E10value_typeET2_T3_PNS10_IS15_E10value_typeET4_jRbjT5_S1B_jjP12ihipStream_tbEUljE_EEESW_SX_SY_S15_S19_S1B_T6_T7_T9_mT8_S1D_bDpT10_ENKUlT_T0_E_clISt17integral_constantIbLb0EES1P_IbLb1EEEEDaS1L_S1M_EUlS1L_E_NS1_11comp_targetILNS1_3genE5ELNS1_11target_archE942ELNS1_3gpuE9ELNS1_3repE0EEENS1_30default_config_static_selectorELNS0_4arch9wavefront6targetE1EEEvSZ_
	.p2align	8
	.type	_ZN7rocprim17ROCPRIM_400000_NS6detail17trampoline_kernelINS0_13select_configILj256ELj13ELNS0_17block_load_methodE3ELS4_3ELS4_3ELNS0_20block_scan_algorithmE0ELj4294967295EEENS1_25partition_config_selectorILNS1_17partition_subalgoE3EjNS0_10empty_typeEbEEZZNS1_14partition_implILS8_3ELb0ES6_jNS0_17counting_iteratorIjlEEPS9_SE_NS0_5tupleIJPjSE_EEENSF_IJSE_SE_EEES9_SG_JZNS1_25segmented_radix_sort_implINS0_14default_configELb0EPK12hip_bfloat16PSL_PKlPlN2at6native12_GLOBAL__N_18offset_tEEE10hipError_tPvRmT1_PNSt15iterator_traitsISZ_E10value_typeET2_T3_PNS10_IS15_E10value_typeET4_jRbjT5_S1B_jjP12ihipStream_tbEUljE_EEESW_SX_SY_S15_S19_S1B_T6_T7_T9_mT8_S1D_bDpT10_ENKUlT_T0_E_clISt17integral_constantIbLb0EES1P_IbLb1EEEEDaS1L_S1M_EUlS1L_E_NS1_11comp_targetILNS1_3genE5ELNS1_11target_archE942ELNS1_3gpuE9ELNS1_3repE0EEENS1_30default_config_static_selectorELNS0_4arch9wavefront6targetE1EEEvSZ_,@function
_ZN7rocprim17ROCPRIM_400000_NS6detail17trampoline_kernelINS0_13select_configILj256ELj13ELNS0_17block_load_methodE3ELS4_3ELS4_3ELNS0_20block_scan_algorithmE0ELj4294967295EEENS1_25partition_config_selectorILNS1_17partition_subalgoE3EjNS0_10empty_typeEbEEZZNS1_14partition_implILS8_3ELb0ES6_jNS0_17counting_iteratorIjlEEPS9_SE_NS0_5tupleIJPjSE_EEENSF_IJSE_SE_EEES9_SG_JZNS1_25segmented_radix_sort_implINS0_14default_configELb0EPK12hip_bfloat16PSL_PKlPlN2at6native12_GLOBAL__N_18offset_tEEE10hipError_tPvRmT1_PNSt15iterator_traitsISZ_E10value_typeET2_T3_PNS10_IS15_E10value_typeET4_jRbjT5_S1B_jjP12ihipStream_tbEUljE_EEESW_SX_SY_S15_S19_S1B_T6_T7_T9_mT8_S1D_bDpT10_ENKUlT_T0_E_clISt17integral_constantIbLb0EES1P_IbLb1EEEEDaS1L_S1M_EUlS1L_E_NS1_11comp_targetILNS1_3genE5ELNS1_11target_archE942ELNS1_3gpuE9ELNS1_3repE0EEENS1_30default_config_static_selectorELNS0_4arch9wavefront6targetE1EEEvSZ_: ; @_ZN7rocprim17ROCPRIM_400000_NS6detail17trampoline_kernelINS0_13select_configILj256ELj13ELNS0_17block_load_methodE3ELS4_3ELS4_3ELNS0_20block_scan_algorithmE0ELj4294967295EEENS1_25partition_config_selectorILNS1_17partition_subalgoE3EjNS0_10empty_typeEbEEZZNS1_14partition_implILS8_3ELb0ES6_jNS0_17counting_iteratorIjlEEPS9_SE_NS0_5tupleIJPjSE_EEENSF_IJSE_SE_EEES9_SG_JZNS1_25segmented_radix_sort_implINS0_14default_configELb0EPK12hip_bfloat16PSL_PKlPlN2at6native12_GLOBAL__N_18offset_tEEE10hipError_tPvRmT1_PNSt15iterator_traitsISZ_E10value_typeET2_T3_PNS10_IS15_E10value_typeET4_jRbjT5_S1B_jjP12ihipStream_tbEUljE_EEESW_SX_SY_S15_S19_S1B_T6_T7_T9_mT8_S1D_bDpT10_ENKUlT_T0_E_clISt17integral_constantIbLb0EES1P_IbLb1EEEEDaS1L_S1M_EUlS1L_E_NS1_11comp_targetILNS1_3genE5ELNS1_11target_archE942ELNS1_3gpuE9ELNS1_3repE0EEENS1_30default_config_static_selectorELNS0_4arch9wavefront6targetE1EEEvSZ_
; %bb.0:
	.section	.rodata,"a",@progbits
	.p2align	6, 0x0
	.amdhsa_kernel _ZN7rocprim17ROCPRIM_400000_NS6detail17trampoline_kernelINS0_13select_configILj256ELj13ELNS0_17block_load_methodE3ELS4_3ELS4_3ELNS0_20block_scan_algorithmE0ELj4294967295EEENS1_25partition_config_selectorILNS1_17partition_subalgoE3EjNS0_10empty_typeEbEEZZNS1_14partition_implILS8_3ELb0ES6_jNS0_17counting_iteratorIjlEEPS9_SE_NS0_5tupleIJPjSE_EEENSF_IJSE_SE_EEES9_SG_JZNS1_25segmented_radix_sort_implINS0_14default_configELb0EPK12hip_bfloat16PSL_PKlPlN2at6native12_GLOBAL__N_18offset_tEEE10hipError_tPvRmT1_PNSt15iterator_traitsISZ_E10value_typeET2_T3_PNS10_IS15_E10value_typeET4_jRbjT5_S1B_jjP12ihipStream_tbEUljE_EEESW_SX_SY_S15_S19_S1B_T6_T7_T9_mT8_S1D_bDpT10_ENKUlT_T0_E_clISt17integral_constantIbLb0EES1P_IbLb1EEEEDaS1L_S1M_EUlS1L_E_NS1_11comp_targetILNS1_3genE5ELNS1_11target_archE942ELNS1_3gpuE9ELNS1_3repE0EEENS1_30default_config_static_selectorELNS0_4arch9wavefront6targetE1EEEvSZ_
		.amdhsa_group_segment_fixed_size 0
		.amdhsa_private_segment_fixed_size 0
		.amdhsa_kernarg_size 152
		.amdhsa_user_sgpr_count 6
		.amdhsa_user_sgpr_private_segment_buffer 1
		.amdhsa_user_sgpr_dispatch_ptr 0
		.amdhsa_user_sgpr_queue_ptr 0
		.amdhsa_user_sgpr_kernarg_segment_ptr 1
		.amdhsa_user_sgpr_dispatch_id 0
		.amdhsa_user_sgpr_flat_scratch_init 0
		.amdhsa_user_sgpr_kernarg_preload_length 0
		.amdhsa_user_sgpr_kernarg_preload_offset 0
		.amdhsa_user_sgpr_private_segment_size 0
		.amdhsa_uses_dynamic_stack 0
		.amdhsa_system_sgpr_private_segment_wavefront_offset 0
		.amdhsa_system_sgpr_workgroup_id_x 1
		.amdhsa_system_sgpr_workgroup_id_y 0
		.amdhsa_system_sgpr_workgroup_id_z 0
		.amdhsa_system_sgpr_workgroup_info 0
		.amdhsa_system_vgpr_workitem_id 0
		.amdhsa_next_free_vgpr 1
		.amdhsa_next_free_sgpr 0
		.amdhsa_accum_offset 4
		.amdhsa_reserve_vcc 0
		.amdhsa_reserve_flat_scratch 0
		.amdhsa_float_round_mode_32 0
		.amdhsa_float_round_mode_16_64 0
		.amdhsa_float_denorm_mode_32 3
		.amdhsa_float_denorm_mode_16_64 3
		.amdhsa_dx10_clamp 1
		.amdhsa_ieee_mode 1
		.amdhsa_fp16_overflow 0
		.amdhsa_tg_split 0
		.amdhsa_exception_fp_ieee_invalid_op 0
		.amdhsa_exception_fp_denorm_src 0
		.amdhsa_exception_fp_ieee_div_zero 0
		.amdhsa_exception_fp_ieee_overflow 0
		.amdhsa_exception_fp_ieee_underflow 0
		.amdhsa_exception_fp_ieee_inexact 0
		.amdhsa_exception_int_div_zero 0
	.end_amdhsa_kernel
	.section	.text._ZN7rocprim17ROCPRIM_400000_NS6detail17trampoline_kernelINS0_13select_configILj256ELj13ELNS0_17block_load_methodE3ELS4_3ELS4_3ELNS0_20block_scan_algorithmE0ELj4294967295EEENS1_25partition_config_selectorILNS1_17partition_subalgoE3EjNS0_10empty_typeEbEEZZNS1_14partition_implILS8_3ELb0ES6_jNS0_17counting_iteratorIjlEEPS9_SE_NS0_5tupleIJPjSE_EEENSF_IJSE_SE_EEES9_SG_JZNS1_25segmented_radix_sort_implINS0_14default_configELb0EPK12hip_bfloat16PSL_PKlPlN2at6native12_GLOBAL__N_18offset_tEEE10hipError_tPvRmT1_PNSt15iterator_traitsISZ_E10value_typeET2_T3_PNS10_IS15_E10value_typeET4_jRbjT5_S1B_jjP12ihipStream_tbEUljE_EEESW_SX_SY_S15_S19_S1B_T6_T7_T9_mT8_S1D_bDpT10_ENKUlT_T0_E_clISt17integral_constantIbLb0EES1P_IbLb1EEEEDaS1L_S1M_EUlS1L_E_NS1_11comp_targetILNS1_3genE5ELNS1_11target_archE942ELNS1_3gpuE9ELNS1_3repE0EEENS1_30default_config_static_selectorELNS0_4arch9wavefront6targetE1EEEvSZ_,"axG",@progbits,_ZN7rocprim17ROCPRIM_400000_NS6detail17trampoline_kernelINS0_13select_configILj256ELj13ELNS0_17block_load_methodE3ELS4_3ELS4_3ELNS0_20block_scan_algorithmE0ELj4294967295EEENS1_25partition_config_selectorILNS1_17partition_subalgoE3EjNS0_10empty_typeEbEEZZNS1_14partition_implILS8_3ELb0ES6_jNS0_17counting_iteratorIjlEEPS9_SE_NS0_5tupleIJPjSE_EEENSF_IJSE_SE_EEES9_SG_JZNS1_25segmented_radix_sort_implINS0_14default_configELb0EPK12hip_bfloat16PSL_PKlPlN2at6native12_GLOBAL__N_18offset_tEEE10hipError_tPvRmT1_PNSt15iterator_traitsISZ_E10value_typeET2_T3_PNS10_IS15_E10value_typeET4_jRbjT5_S1B_jjP12ihipStream_tbEUljE_EEESW_SX_SY_S15_S19_S1B_T6_T7_T9_mT8_S1D_bDpT10_ENKUlT_T0_E_clISt17integral_constantIbLb0EES1P_IbLb1EEEEDaS1L_S1M_EUlS1L_E_NS1_11comp_targetILNS1_3genE5ELNS1_11target_archE942ELNS1_3gpuE9ELNS1_3repE0EEENS1_30default_config_static_selectorELNS0_4arch9wavefront6targetE1EEEvSZ_,comdat
.Lfunc_end2040:
	.size	_ZN7rocprim17ROCPRIM_400000_NS6detail17trampoline_kernelINS0_13select_configILj256ELj13ELNS0_17block_load_methodE3ELS4_3ELS4_3ELNS0_20block_scan_algorithmE0ELj4294967295EEENS1_25partition_config_selectorILNS1_17partition_subalgoE3EjNS0_10empty_typeEbEEZZNS1_14partition_implILS8_3ELb0ES6_jNS0_17counting_iteratorIjlEEPS9_SE_NS0_5tupleIJPjSE_EEENSF_IJSE_SE_EEES9_SG_JZNS1_25segmented_radix_sort_implINS0_14default_configELb0EPK12hip_bfloat16PSL_PKlPlN2at6native12_GLOBAL__N_18offset_tEEE10hipError_tPvRmT1_PNSt15iterator_traitsISZ_E10value_typeET2_T3_PNS10_IS15_E10value_typeET4_jRbjT5_S1B_jjP12ihipStream_tbEUljE_EEESW_SX_SY_S15_S19_S1B_T6_T7_T9_mT8_S1D_bDpT10_ENKUlT_T0_E_clISt17integral_constantIbLb0EES1P_IbLb1EEEEDaS1L_S1M_EUlS1L_E_NS1_11comp_targetILNS1_3genE5ELNS1_11target_archE942ELNS1_3gpuE9ELNS1_3repE0EEENS1_30default_config_static_selectorELNS0_4arch9wavefront6targetE1EEEvSZ_, .Lfunc_end2040-_ZN7rocprim17ROCPRIM_400000_NS6detail17trampoline_kernelINS0_13select_configILj256ELj13ELNS0_17block_load_methodE3ELS4_3ELS4_3ELNS0_20block_scan_algorithmE0ELj4294967295EEENS1_25partition_config_selectorILNS1_17partition_subalgoE3EjNS0_10empty_typeEbEEZZNS1_14partition_implILS8_3ELb0ES6_jNS0_17counting_iteratorIjlEEPS9_SE_NS0_5tupleIJPjSE_EEENSF_IJSE_SE_EEES9_SG_JZNS1_25segmented_radix_sort_implINS0_14default_configELb0EPK12hip_bfloat16PSL_PKlPlN2at6native12_GLOBAL__N_18offset_tEEE10hipError_tPvRmT1_PNSt15iterator_traitsISZ_E10value_typeET2_T3_PNS10_IS15_E10value_typeET4_jRbjT5_S1B_jjP12ihipStream_tbEUljE_EEESW_SX_SY_S15_S19_S1B_T6_T7_T9_mT8_S1D_bDpT10_ENKUlT_T0_E_clISt17integral_constantIbLb0EES1P_IbLb1EEEEDaS1L_S1M_EUlS1L_E_NS1_11comp_targetILNS1_3genE5ELNS1_11target_archE942ELNS1_3gpuE9ELNS1_3repE0EEENS1_30default_config_static_selectorELNS0_4arch9wavefront6targetE1EEEvSZ_
                                        ; -- End function
	.section	.AMDGPU.csdata,"",@progbits
; Kernel info:
; codeLenInByte = 0
; NumSgprs: 4
; NumVgprs: 0
; NumAgprs: 0
; TotalNumVgprs: 0
; ScratchSize: 0
; MemoryBound: 0
; FloatMode: 240
; IeeeMode: 1
; LDSByteSize: 0 bytes/workgroup (compile time only)
; SGPRBlocks: 0
; VGPRBlocks: 0
; NumSGPRsForWavesPerEU: 4
; NumVGPRsForWavesPerEU: 1
; AccumOffset: 4
; Occupancy: 8
; WaveLimiterHint : 0
; COMPUTE_PGM_RSRC2:SCRATCH_EN: 0
; COMPUTE_PGM_RSRC2:USER_SGPR: 6
; COMPUTE_PGM_RSRC2:TRAP_HANDLER: 0
; COMPUTE_PGM_RSRC2:TGID_X_EN: 1
; COMPUTE_PGM_RSRC2:TGID_Y_EN: 0
; COMPUTE_PGM_RSRC2:TGID_Z_EN: 0
; COMPUTE_PGM_RSRC2:TIDIG_COMP_CNT: 0
; COMPUTE_PGM_RSRC3_GFX90A:ACCUM_OFFSET: 0
; COMPUTE_PGM_RSRC3_GFX90A:TG_SPLIT: 0
	.section	.text._ZN7rocprim17ROCPRIM_400000_NS6detail17trampoline_kernelINS0_13select_configILj256ELj13ELNS0_17block_load_methodE3ELS4_3ELS4_3ELNS0_20block_scan_algorithmE0ELj4294967295EEENS1_25partition_config_selectorILNS1_17partition_subalgoE3EjNS0_10empty_typeEbEEZZNS1_14partition_implILS8_3ELb0ES6_jNS0_17counting_iteratorIjlEEPS9_SE_NS0_5tupleIJPjSE_EEENSF_IJSE_SE_EEES9_SG_JZNS1_25segmented_radix_sort_implINS0_14default_configELb0EPK12hip_bfloat16PSL_PKlPlN2at6native12_GLOBAL__N_18offset_tEEE10hipError_tPvRmT1_PNSt15iterator_traitsISZ_E10value_typeET2_T3_PNS10_IS15_E10value_typeET4_jRbjT5_S1B_jjP12ihipStream_tbEUljE_EEESW_SX_SY_S15_S19_S1B_T6_T7_T9_mT8_S1D_bDpT10_ENKUlT_T0_E_clISt17integral_constantIbLb0EES1P_IbLb1EEEEDaS1L_S1M_EUlS1L_E_NS1_11comp_targetILNS1_3genE4ELNS1_11target_archE910ELNS1_3gpuE8ELNS1_3repE0EEENS1_30default_config_static_selectorELNS0_4arch9wavefront6targetE1EEEvSZ_,"axG",@progbits,_ZN7rocprim17ROCPRIM_400000_NS6detail17trampoline_kernelINS0_13select_configILj256ELj13ELNS0_17block_load_methodE3ELS4_3ELS4_3ELNS0_20block_scan_algorithmE0ELj4294967295EEENS1_25partition_config_selectorILNS1_17partition_subalgoE3EjNS0_10empty_typeEbEEZZNS1_14partition_implILS8_3ELb0ES6_jNS0_17counting_iteratorIjlEEPS9_SE_NS0_5tupleIJPjSE_EEENSF_IJSE_SE_EEES9_SG_JZNS1_25segmented_radix_sort_implINS0_14default_configELb0EPK12hip_bfloat16PSL_PKlPlN2at6native12_GLOBAL__N_18offset_tEEE10hipError_tPvRmT1_PNSt15iterator_traitsISZ_E10value_typeET2_T3_PNS10_IS15_E10value_typeET4_jRbjT5_S1B_jjP12ihipStream_tbEUljE_EEESW_SX_SY_S15_S19_S1B_T6_T7_T9_mT8_S1D_bDpT10_ENKUlT_T0_E_clISt17integral_constantIbLb0EES1P_IbLb1EEEEDaS1L_S1M_EUlS1L_E_NS1_11comp_targetILNS1_3genE4ELNS1_11target_archE910ELNS1_3gpuE8ELNS1_3repE0EEENS1_30default_config_static_selectorELNS0_4arch9wavefront6targetE1EEEvSZ_,comdat
	.globl	_ZN7rocprim17ROCPRIM_400000_NS6detail17trampoline_kernelINS0_13select_configILj256ELj13ELNS0_17block_load_methodE3ELS4_3ELS4_3ELNS0_20block_scan_algorithmE0ELj4294967295EEENS1_25partition_config_selectorILNS1_17partition_subalgoE3EjNS0_10empty_typeEbEEZZNS1_14partition_implILS8_3ELb0ES6_jNS0_17counting_iteratorIjlEEPS9_SE_NS0_5tupleIJPjSE_EEENSF_IJSE_SE_EEES9_SG_JZNS1_25segmented_radix_sort_implINS0_14default_configELb0EPK12hip_bfloat16PSL_PKlPlN2at6native12_GLOBAL__N_18offset_tEEE10hipError_tPvRmT1_PNSt15iterator_traitsISZ_E10value_typeET2_T3_PNS10_IS15_E10value_typeET4_jRbjT5_S1B_jjP12ihipStream_tbEUljE_EEESW_SX_SY_S15_S19_S1B_T6_T7_T9_mT8_S1D_bDpT10_ENKUlT_T0_E_clISt17integral_constantIbLb0EES1P_IbLb1EEEEDaS1L_S1M_EUlS1L_E_NS1_11comp_targetILNS1_3genE4ELNS1_11target_archE910ELNS1_3gpuE8ELNS1_3repE0EEENS1_30default_config_static_selectorELNS0_4arch9wavefront6targetE1EEEvSZ_ ; -- Begin function _ZN7rocprim17ROCPRIM_400000_NS6detail17trampoline_kernelINS0_13select_configILj256ELj13ELNS0_17block_load_methodE3ELS4_3ELS4_3ELNS0_20block_scan_algorithmE0ELj4294967295EEENS1_25partition_config_selectorILNS1_17partition_subalgoE3EjNS0_10empty_typeEbEEZZNS1_14partition_implILS8_3ELb0ES6_jNS0_17counting_iteratorIjlEEPS9_SE_NS0_5tupleIJPjSE_EEENSF_IJSE_SE_EEES9_SG_JZNS1_25segmented_radix_sort_implINS0_14default_configELb0EPK12hip_bfloat16PSL_PKlPlN2at6native12_GLOBAL__N_18offset_tEEE10hipError_tPvRmT1_PNSt15iterator_traitsISZ_E10value_typeET2_T3_PNS10_IS15_E10value_typeET4_jRbjT5_S1B_jjP12ihipStream_tbEUljE_EEESW_SX_SY_S15_S19_S1B_T6_T7_T9_mT8_S1D_bDpT10_ENKUlT_T0_E_clISt17integral_constantIbLb0EES1P_IbLb1EEEEDaS1L_S1M_EUlS1L_E_NS1_11comp_targetILNS1_3genE4ELNS1_11target_archE910ELNS1_3gpuE8ELNS1_3repE0EEENS1_30default_config_static_selectorELNS0_4arch9wavefront6targetE1EEEvSZ_
	.p2align	8
	.type	_ZN7rocprim17ROCPRIM_400000_NS6detail17trampoline_kernelINS0_13select_configILj256ELj13ELNS0_17block_load_methodE3ELS4_3ELS4_3ELNS0_20block_scan_algorithmE0ELj4294967295EEENS1_25partition_config_selectorILNS1_17partition_subalgoE3EjNS0_10empty_typeEbEEZZNS1_14partition_implILS8_3ELb0ES6_jNS0_17counting_iteratorIjlEEPS9_SE_NS0_5tupleIJPjSE_EEENSF_IJSE_SE_EEES9_SG_JZNS1_25segmented_radix_sort_implINS0_14default_configELb0EPK12hip_bfloat16PSL_PKlPlN2at6native12_GLOBAL__N_18offset_tEEE10hipError_tPvRmT1_PNSt15iterator_traitsISZ_E10value_typeET2_T3_PNS10_IS15_E10value_typeET4_jRbjT5_S1B_jjP12ihipStream_tbEUljE_EEESW_SX_SY_S15_S19_S1B_T6_T7_T9_mT8_S1D_bDpT10_ENKUlT_T0_E_clISt17integral_constantIbLb0EES1P_IbLb1EEEEDaS1L_S1M_EUlS1L_E_NS1_11comp_targetILNS1_3genE4ELNS1_11target_archE910ELNS1_3gpuE8ELNS1_3repE0EEENS1_30default_config_static_selectorELNS0_4arch9wavefront6targetE1EEEvSZ_,@function
_ZN7rocprim17ROCPRIM_400000_NS6detail17trampoline_kernelINS0_13select_configILj256ELj13ELNS0_17block_load_methodE3ELS4_3ELS4_3ELNS0_20block_scan_algorithmE0ELj4294967295EEENS1_25partition_config_selectorILNS1_17partition_subalgoE3EjNS0_10empty_typeEbEEZZNS1_14partition_implILS8_3ELb0ES6_jNS0_17counting_iteratorIjlEEPS9_SE_NS0_5tupleIJPjSE_EEENSF_IJSE_SE_EEES9_SG_JZNS1_25segmented_radix_sort_implINS0_14default_configELb0EPK12hip_bfloat16PSL_PKlPlN2at6native12_GLOBAL__N_18offset_tEEE10hipError_tPvRmT1_PNSt15iterator_traitsISZ_E10value_typeET2_T3_PNS10_IS15_E10value_typeET4_jRbjT5_S1B_jjP12ihipStream_tbEUljE_EEESW_SX_SY_S15_S19_S1B_T6_T7_T9_mT8_S1D_bDpT10_ENKUlT_T0_E_clISt17integral_constantIbLb0EES1P_IbLb1EEEEDaS1L_S1M_EUlS1L_E_NS1_11comp_targetILNS1_3genE4ELNS1_11target_archE910ELNS1_3gpuE8ELNS1_3repE0EEENS1_30default_config_static_selectorELNS0_4arch9wavefront6targetE1EEEvSZ_: ; @_ZN7rocprim17ROCPRIM_400000_NS6detail17trampoline_kernelINS0_13select_configILj256ELj13ELNS0_17block_load_methodE3ELS4_3ELS4_3ELNS0_20block_scan_algorithmE0ELj4294967295EEENS1_25partition_config_selectorILNS1_17partition_subalgoE3EjNS0_10empty_typeEbEEZZNS1_14partition_implILS8_3ELb0ES6_jNS0_17counting_iteratorIjlEEPS9_SE_NS0_5tupleIJPjSE_EEENSF_IJSE_SE_EEES9_SG_JZNS1_25segmented_radix_sort_implINS0_14default_configELb0EPK12hip_bfloat16PSL_PKlPlN2at6native12_GLOBAL__N_18offset_tEEE10hipError_tPvRmT1_PNSt15iterator_traitsISZ_E10value_typeET2_T3_PNS10_IS15_E10value_typeET4_jRbjT5_S1B_jjP12ihipStream_tbEUljE_EEESW_SX_SY_S15_S19_S1B_T6_T7_T9_mT8_S1D_bDpT10_ENKUlT_T0_E_clISt17integral_constantIbLb0EES1P_IbLb1EEEEDaS1L_S1M_EUlS1L_E_NS1_11comp_targetILNS1_3genE4ELNS1_11target_archE910ELNS1_3gpuE8ELNS1_3repE0EEENS1_30default_config_static_selectorELNS0_4arch9wavefront6targetE1EEEvSZ_
; %bb.0:
	s_load_dwordx2 s[28:29], s[4:5], 0x10
	s_load_dwordx2 s[24:25], s[4:5], 0x28
	;; [unrolled: 1-line block ×3, first 2 shown]
	s_load_dwordx4 s[20:23], s[4:5], 0x48
	s_load_dword s14, s[4:5], 0x90
	s_load_dwordx2 s[30:31], s[4:5], 0x68
	s_load_dwordx4 s[8:11], s[4:5], 0x80
	v_cmp_eq_u32_e64 s[0:1], 0, v0
	s_and_saveexec_b64 s[2:3], s[0:1]
	s_cbranch_execz .LBB2041_4
; %bb.1:
	s_mov_b64 s[12:13], exec
	v_mbcnt_lo_u32_b32 v1, s12, 0
	v_mbcnt_hi_u32_b32 v1, s13, v1
	v_cmp_eq_u32_e32 vcc, 0, v1
                                        ; implicit-def: $vgpr2
	s_and_saveexec_b64 s[6:7], vcc
	s_cbranch_execz .LBB2041_3
; %bb.2:
	s_load_dwordx2 s[16:17], s[4:5], 0x78
	s_bcnt1_i32_b64 s12, s[12:13]
	v_mov_b32_e32 v2, 0
	v_mov_b32_e32 v3, s12
	s_waitcnt lgkmcnt(0)
	global_atomic_add v2, v2, v3, s[16:17] glc
.LBB2041_3:
	s_or_b64 exec, exec, s[6:7]
	s_waitcnt vmcnt(0)
	v_readfirstlane_b32 s6, v2
	v_add_u32_e32 v1, s6, v1
	v_mov_b32_e32 v2, 0
	ds_write_b32 v2, v1
.LBB2041_4:
	s_or_b64 exec, exec, s[2:3]
	v_mov_b32_e32 v1, 0
	s_load_dword s2, s[4:5], 0x8
	s_load_dword s6, s[4:5], 0x70
	s_waitcnt lgkmcnt(0)
	s_barrier
	ds_read_b32 v2, v1
	s_waitcnt lgkmcnt(0)
	s_barrier
	global_load_dwordx2 v[20:21], v1, s[22:23]
	s_add_i32 s7, s2, s28
	s_movk_i32 s2, 0xd00
	s_add_i32 s4, s6, -1
	s_mulk_i32 s6, 0xd00
	v_mul_lo_u32 v34, v2, s2
	s_add_u32 s2, s28, s6
	v_readfirstlane_b32 s40, v2
	s_addc_u32 s3, s29, 0
	s_cmp_eq_u32 s40, s4
	v_pk_mov_b32 v[2:3], s[26:27], s[26:27] op_sel:[0,1]
	s_cselect_b64 s[22:23], -1, 0
	s_cmp_lg_u32 s40, s4
	v_cmp_lt_u64_e32 vcc, s[2:3], v[2:3]
	s_cselect_b64 s[2:3], -1, 0
	s_or_b64 s[4:5], vcc, s[2:3]
	v_add_u32_e32 v1, s7, v34
	s_mov_b64 s[2:3], -1
	s_and_b64 vcc, exec, s[4:5]
	v_add_u32_e32 v2, v1, v0
	v_lshlrev_b32_e32 v1, 2, v0
	s_cbranch_vccz .LBB2041_6
; %bb.5:
	v_add_u32_e32 v3, 0x100, v2
	v_add_u32_e32 v4, 0x200, v2
	;; [unrolled: 1-line block ×12, first 2 shown]
	ds_write2st64_b32 v1, v2, v3 offset1:4
	ds_write2st64_b32 v1, v4, v5 offset0:8 offset1:12
	ds_write2st64_b32 v1, v6, v7 offset0:16 offset1:20
	ds_write2st64_b32 v1, v8, v9 offset0:24 offset1:28
	ds_write2st64_b32 v1, v10, v11 offset0:32 offset1:36
	ds_write2st64_b32 v1, v12, v13 offset0:40 offset1:44
	ds_write_b32 v1, v14 offset:12288
	s_waitcnt lgkmcnt(0)
	s_barrier
	s_mov_b64 s[2:3], 0
.LBB2041_6:
	s_andn2_b64 vcc, exec, s[2:3]
	s_add_i32 s6, s6, s28
	s_cbranch_vccnz .LBB2041_8
; %bb.7:
	v_add_u32_e32 v3, 0x100, v2
	v_add_u32_e32 v4, 0x200, v2
	v_add_u32_e32 v5, 0x300, v2
	v_add_u32_e32 v6, 0x400, v2
	v_add_u32_e32 v7, 0x500, v2
	v_add_u32_e32 v8, 0x600, v2
	v_add_u32_e32 v9, 0x700, v2
	v_add_u32_e32 v10, 0x800, v2
	v_add_u32_e32 v11, 0x900, v2
	v_add_u32_e32 v12, 0xa00, v2
	v_add_u32_e32 v13, 0xb00, v2
	v_add_u32_e32 v14, 0xc00, v2
	ds_write2st64_b32 v1, v2, v3 offset1:4
	ds_write2st64_b32 v1, v4, v5 offset0:8 offset1:12
	ds_write2st64_b32 v1, v6, v7 offset0:16 offset1:20
	;; [unrolled: 1-line block ×5, first 2 shown]
	ds_write_b32 v1, v14 offset:12288
	s_waitcnt lgkmcnt(0)
	s_barrier
.LBB2041_8:
	v_mul_u32_u24_e32 v36, 13, v0
	v_lshlrev_b32_e32 v2, 2, v36
	ds_read2_b32 v[32:33], v2 offset1:1
	ds_read2_b32 v[30:31], v2 offset0:2 offset1:3
	ds_read2_b32 v[28:29], v2 offset0:4 offset1:5
	;; [unrolled: 1-line block ×5, first 2 shown]
	ds_read_b32 v35, v2 offset:48
	v_cndmask_b32_e64 v2, 0, 1, s[4:5]
	s_sub_i32 s33, s26, s6
	v_cmp_ne_u32_e64 s[2:3], 1, v2
	s_andn2_b64 vcc, exec, s[4:5]
	s_waitcnt lgkmcnt(0)
	s_barrier
	s_cbranch_vccnz .LBB2041_10
; %bb.9:
	v_add_u32_e32 v2, s9, v32
	v_add_u32_e32 v3, s11, v32
	v_mul_lo_u32 v2, v2, s8
	v_mul_lo_u32 v3, v3, s10
	v_sub_u32_e32 v2, v2, v3
	v_add_u32_e32 v3, s9, v33
	v_add_u32_e32 v4, s11, v33
	v_mul_lo_u32 v3, v3, s8
	v_mul_lo_u32 v4, v4, s10
	v_sub_u32_e32 v3, v3, v4
	;; [unrolled: 5-line block ×6, first 2 shown]
	v_add_u32_e32 v8, s9, v26
	v_add_u32_e32 v9, s11, v26
	v_mul_lo_u32 v8, v8, s8
	v_mul_lo_u32 v9, v9, s10
	v_cmp_lt_u32_e32 vcc, s14, v2
	v_sub_u32_e32 v8, v8, v9
	v_add_u32_e32 v9, s9, v27
	v_add_u32_e32 v10, s11, v27
	v_cndmask_b32_e64 v2, 0, 1, vcc
	v_cmp_lt_u32_e32 vcc, s14, v3
	v_mul_lo_u32 v9, v9, s8
	v_mul_lo_u32 v10, v10, s10
	v_cndmask_b32_e64 v3, 0, 1, vcc
	v_cmp_lt_u32_e32 vcc, s14, v4
	v_sub_u32_e32 v9, v9, v10
	v_add_u32_e32 v10, s9, v24
	v_add_u32_e32 v11, s11, v24
	v_cndmask_b32_e64 v4, 0, 1, vcc
	v_cmp_lt_u32_e32 vcc, s14, v5
	v_mul_lo_u32 v10, v10, s8
	v_mul_lo_u32 v11, v11, s10
	v_cndmask_b32_e64 v5, 0, 1, vcc
	;; [unrolled: 9-line block ×4, first 2 shown]
	v_cmp_lt_u32_e32 vcc, s14, v10
	v_sub_u32_e32 v12, v12, v13
	v_add_u32_e32 v13, s9, v23
	v_add_u32_e32 v14, s11, v23
	v_lshlrev_b16_e32 v3, 8, v3
	v_cndmask_b32_e64 v10, 0, 1, vcc
	v_cmp_lt_u32_e32 vcc, s14, v11
	v_mul_lo_u32 v13, v13, s8
	v_mul_lo_u32 v14, v14, s10
	v_or_b32_e32 v2, v2, v3
	v_lshlrev_b16_e32 v3, 8, v5
	v_cndmask_b32_e64 v11, 0, 1, vcc
	v_cmp_lt_u32_e32 vcc, s14, v12
	v_sub_u32_e32 v13, v13, v14
	v_or_b32_sdwa v3, v4, v3 dst_sel:WORD_1 dst_unused:UNUSED_PAD src0_sel:DWORD src1_sel:DWORD
	v_cndmask_b32_e64 v12, 0, 1, vcc
	v_cmp_lt_u32_e32 vcc, s14, v13
	v_add_u32_e32 v14, s9, v35
	v_add_u32_e32 v15, s11, v35
	v_or_b32_sdwa v40, v2, v3 dst_sel:DWORD dst_unused:UNUSED_PAD src0_sel:WORD_0 src1_sel:DWORD
	v_lshlrev_b16_e32 v2, 8, v7
	v_lshlrev_b16_e32 v3, 8, v9
	v_cndmask_b32_e64 v13, 0, 1, vcc
	v_mul_lo_u32 v14, v14, s8
	v_mul_lo_u32 v15, v15, s10
	v_or_b32_e32 v2, v6, v2
	v_or_b32_sdwa v3, v8, v3 dst_sel:WORD_1 dst_unused:UNUSED_PAD src0_sel:DWORD src1_sel:DWORD
	v_sub_u32_e32 v14, v14, v15
	v_or_b32_sdwa v39, v2, v3 dst_sel:DWORD dst_unused:UNUSED_PAD src0_sel:WORD_0 src1_sel:DWORD
	v_lshlrev_b16_e32 v2, 8, v11
	v_lshlrev_b16_e32 v3, 8, v13
	v_cmp_lt_u32_e32 vcc, s14, v14
	v_or_b32_e32 v2, v10, v2
	v_or_b32_sdwa v3, v12, v3 dst_sel:WORD_1 dst_unused:UNUSED_PAD src0_sel:DWORD src1_sel:DWORD
	v_cndmask_b32_e64 v37, 0, 1, vcc
	v_or_b32_sdwa v38, v2, v3 dst_sel:DWORD dst_unused:UNUSED_PAD src0_sel:WORD_0 src1_sel:DWORD
	s_addk_i32 s33, 0xd00
	s_cbranch_execz .LBB2041_11
	s_branch .LBB2041_38
.LBB2041_10:
                                        ; implicit-def: $vgpr37
                                        ; implicit-def: $vgpr38
                                        ; implicit-def: $vgpr39
                                        ; implicit-def: $vgpr40
	s_addk_i32 s33, 0xd00
.LBB2041_11:
	v_cmp_gt_u32_e32 vcc, s33, v36
	v_mov_b32_e32 v3, 0
	v_mov_b32_e32 v2, 0
	s_and_saveexec_b64 s[4:5], vcc
; %bb.12:
	v_add_u32_e32 v2, s9, v32
	v_add_u32_e32 v4, s11, v32
	v_mul_lo_u32 v2, v2, s8
	v_mul_lo_u32 v4, v4, s10
	v_sub_u32_e32 v2, v2, v4
	v_cmp_lt_u32_e32 vcc, s14, v2
	v_cndmask_b32_e64 v2, 0, 1, vcc
; %bb.13:
	s_or_b64 exec, exec, s[4:5]
	v_add_u32_e32 v4, 1, v36
	v_cmp_gt_u32_e32 vcc, s33, v4
	s_and_saveexec_b64 s[4:5], vcc
; %bb.14:
	v_add_u32_e32 v3, s9, v33
	v_add_u32_e32 v4, s11, v33
	v_mul_lo_u32 v3, v3, s8
	v_mul_lo_u32 v4, v4, s10
	v_sub_u32_e32 v3, v3, v4
	v_cmp_lt_u32_e32 vcc, s14, v3
	v_cndmask_b32_e64 v3, 0, 1, vcc
; %bb.15:
	s_or_b64 exec, exec, s[4:5]
	v_add_u32_e32 v4, 2, v36
	v_cmp_gt_u32_e32 vcc, s33, v4
	v_mov_b32_e32 v5, 0
	v_mov_b32_e32 v4, 0
	s_and_saveexec_b64 s[4:5], vcc
; %bb.16:
	v_add_u32_e32 v4, s9, v30
	v_add_u32_e32 v6, s11, v30
	v_mul_lo_u32 v4, v4, s8
	v_mul_lo_u32 v6, v6, s10
	v_sub_u32_e32 v4, v4, v6
	v_cmp_lt_u32_e32 vcc, s14, v4
	v_cndmask_b32_e64 v4, 0, 1, vcc
; %bb.17:
	s_or_b64 exec, exec, s[4:5]
	v_add_u32_e32 v6, 3, v36
	v_cmp_gt_u32_e32 vcc, s33, v6
	s_and_saveexec_b64 s[4:5], vcc
; %bb.18:
	v_add_u32_e32 v5, s9, v31
	v_add_u32_e32 v6, s11, v31
	v_mul_lo_u32 v5, v5, s8
	v_mul_lo_u32 v6, v6, s10
	v_sub_u32_e32 v5, v5, v6
	v_cmp_lt_u32_e32 vcc, s14, v5
	v_cndmask_b32_e64 v5, 0, 1, vcc
; %bb.19:
	s_or_b64 exec, exec, s[4:5]
	v_add_u32_e32 v6, 4, v36
	;; [unrolled: 28-line block ×6, first 2 shown]
	v_cmp_gt_u32_e32 vcc, s33, v14
	v_mov_b32_e32 v37, 0
	s_and_saveexec_b64 s[4:5], vcc
; %bb.36:
	v_add_u32_e32 v14, s9, v35
	v_add_u32_e32 v15, s11, v35
	v_mul_lo_u32 v14, v14, s8
	v_mul_lo_u32 v15, v15, s10
	v_sub_u32_e32 v14, v14, v15
	v_cmp_lt_u32_e32 vcc, s14, v14
	v_cndmask_b32_e64 v37, 0, 1, vcc
; %bb.37:
	s_or_b64 exec, exec, s[4:5]
	v_lshlrev_b16_e32 v3, 8, v3
	v_or_b32_e32 v2, v2, v3
	v_lshlrev_b16_e32 v3, 8, v5
	v_or_b32_sdwa v3, v4, v3 dst_sel:WORD_1 dst_unused:UNUSED_PAD src0_sel:DWORD src1_sel:DWORD
	v_or_b32_sdwa v40, v2, v3 dst_sel:DWORD dst_unused:UNUSED_PAD src0_sel:WORD_0 src1_sel:DWORD
	v_lshlrev_b16_e32 v2, 8, v7
	v_lshlrev_b16_e32 v3, 8, v9
	v_or_b32_e32 v2, v6, v2
	v_or_b32_sdwa v3, v8, v3 dst_sel:WORD_1 dst_unused:UNUSED_PAD src0_sel:DWORD src1_sel:DWORD
	v_or_b32_sdwa v39, v2, v3 dst_sel:DWORD dst_unused:UNUSED_PAD src0_sel:WORD_0 src1_sel:DWORD
	v_lshlrev_b16_e32 v2, 8, v11
	v_lshlrev_b16_e32 v3, 8, v13
	v_or_b32_e32 v2, v10, v2
	v_or_b32_sdwa v3, v12, v3 dst_sel:WORD_1 dst_unused:UNUSED_PAD src0_sel:DWORD src1_sel:DWORD
	v_or_b32_sdwa v38, v2, v3 dst_sel:DWORD dst_unused:UNUSED_PAD src0_sel:WORD_0 src1_sel:DWORD
.LBB2041_38:
	v_and_b32_e32 v44, 0xff, v40
	v_bfe_u32 v45, v40, 8, 8
	v_bfe_u32 v46, v40, 16, 8
	v_lshrrev_b32_e32 v43, 24, v40
	v_and_b32_e32 v47, 0xff, v39
	v_add3_u32 v3, v45, v44, v46
	v_bfe_u32 v48, v39, 8, 8
	v_bfe_u32 v49, v39, 16, 8
	v_add3_u32 v3, v3, v43, v47
	v_lshrrev_b32_e32 v42, 24, v39
	v_and_b32_e32 v50, 0xff, v38
	v_add3_u32 v3, v3, v48, v49
	v_bfe_u32 v51, v38, 8, 8
	v_bfe_u32 v52, v38, 16, 8
	v_add3_u32 v3, v3, v42, v50
	v_lshrrev_b32_e32 v41, 24, v38
	v_and_b32_e32 v2, 0xff, v37
	v_add3_u32 v3, v3, v51, v52
	v_add3_u32 v55, v3, v41, v2
	v_mbcnt_lo_u32_b32 v2, -1, 0
	v_mbcnt_hi_u32_b32 v53, -1, v2
	v_and_b32_e32 v2, 15, v53
	v_cmp_eq_u32_e64 s[16:17], 0, v2
	v_cmp_lt_u32_e64 s[14:15], 1, v2
	v_cmp_lt_u32_e64 s[12:13], 3, v2
	;; [unrolled: 1-line block ×3, first 2 shown]
	v_and_b32_e32 v2, 16, v53
	v_cmp_eq_u32_e64 s[8:9], 0, v2
	v_or_b32_e32 v2, 63, v0
	s_cmp_lg_u32 s40, 0
	v_cmp_lt_u32_e64 s[4:5], 31, v53
	v_lshrrev_b32_e32 v54, 6, v0
	v_cmp_eq_u32_e64 s[6:7], v2, v0
	s_cbranch_scc0 .LBB2041_65
; %bb.39:
	v_mov_b32_dpp v2, v55 row_shr:1 row_mask:0xf bank_mask:0xf
	v_cndmask_b32_e64 v2, v2, 0, s[16:17]
	v_add_u32_e32 v2, v2, v55
	s_nop 1
	v_mov_b32_dpp v3, v2 row_shr:2 row_mask:0xf bank_mask:0xf
	v_cndmask_b32_e64 v3, 0, v3, s[14:15]
	v_add_u32_e32 v2, v2, v3
	s_nop 1
	;; [unrolled: 4-line block ×4, first 2 shown]
	v_mov_b32_dpp v3, v2 row_bcast:15 row_mask:0xf bank_mask:0xf
	v_cndmask_b32_e64 v3, v3, 0, s[8:9]
	v_add_u32_e32 v2, v2, v3
	s_nop 1
	v_mov_b32_dpp v3, v2 row_bcast:31 row_mask:0xf bank_mask:0xf
	v_cndmask_b32_e64 v3, 0, v3, s[4:5]
	v_add_u32_e32 v2, v2, v3
	s_and_saveexec_b64 s[18:19], s[6:7]
	s_cbranch_execz .LBB2041_41
; %bb.40:
	v_lshlrev_b32_e32 v3, 2, v54
	ds_write_b32 v3, v2
.LBB2041_41:
	s_or_b64 exec, exec, s[18:19]
	v_cmp_gt_u32_e32 vcc, 4, v0
	s_waitcnt lgkmcnt(0)
	s_barrier
	s_and_saveexec_b64 s[18:19], vcc
	s_cbranch_execz .LBB2041_43
; %bb.42:
	ds_read_b32 v3, v1
	v_and_b32_e32 v4, 3, v53
	v_cmp_ne_u32_e32 vcc, 0, v4
	s_waitcnt lgkmcnt(0)
	v_mov_b32_dpp v5, v3 row_shr:1 row_mask:0xf bank_mask:0xf
	v_cndmask_b32_e32 v5, 0, v5, vcc
	v_add_u32_e32 v3, v5, v3
	v_cmp_lt_u32_e32 vcc, 1, v4
	s_nop 0
	v_mov_b32_dpp v5, v3 row_shr:2 row_mask:0xf bank_mask:0xf
	v_cndmask_b32_e32 v4, 0, v5, vcc
	v_add_u32_e32 v3, v3, v4
	ds_write_b32 v1, v3
.LBB2041_43:
	s_or_b64 exec, exec, s[18:19]
	v_cmp_gt_u32_e32 vcc, 64, v0
	v_cmp_lt_u32_e64 s[18:19], 63, v0
	s_waitcnt lgkmcnt(0)
	s_barrier
	s_waitcnt lgkmcnt(0)
                                        ; implicit-def: $vgpr12
	s_and_saveexec_b64 s[34:35], s[18:19]
	s_cbranch_execz .LBB2041_45
; %bb.44:
	v_lshl_add_u32 v3, v54, 2, -4
	ds_read_b32 v12, v3
	s_waitcnt lgkmcnt(0)
	v_add_u32_e32 v2, v12, v2
.LBB2041_45:
	s_or_b64 exec, exec, s[34:35]
	v_add_u32_e32 v3, -1, v53
	v_and_b32_e32 v4, 64, v53
	v_cmp_lt_i32_e64 s[18:19], v3, v4
	v_cndmask_b32_e64 v3, v3, v53, s[18:19]
	v_lshlrev_b32_e32 v3, 2, v3
	ds_bpermute_b32 v13, v3, v2
	v_cmp_eq_u32_e64 s[18:19], 0, v53
	s_and_saveexec_b64 s[34:35], vcc
	s_cbranch_execz .LBB2041_64
; %bb.46:
	v_mov_b32_e32 v9, 0
	ds_read_b32 v2, v9 offset:12
	s_and_saveexec_b64 s[36:37], s[18:19]
	s_cbranch_execz .LBB2041_48
; %bb.47:
	s_add_i32 s38, s40, 64
	s_mov_b32 s39, 0
	s_lshl_b64 s[38:39], s[38:39], 3
	s_add_u32 s38, s30, s38
	v_mov_b32_e32 v3, 1
	s_addc_u32 s39, s31, s39
	s_waitcnt lgkmcnt(0)
	global_store_dwordx2 v9, v[2:3], s[38:39]
.LBB2041_48:
	s_or_b64 exec, exec, s[36:37]
	v_xad_u32 v4, v53, -1, s40
	v_add_u32_e32 v8, 64, v4
	v_lshlrev_b64 v[6:7], 3, v[8:9]
	v_mov_b32_e32 v3, s31
	v_add_co_u32_e32 v10, vcc, s30, v6
	v_addc_co_u32_e32 v11, vcc, v3, v7, vcc
	global_load_dwordx2 v[6:7], v[10:11], off glc
	s_waitcnt vmcnt(0)
	v_cmp_eq_u16_sdwa s[38:39], v7, v9 src0_sel:BYTE_0 src1_sel:DWORD
	s_and_saveexec_b64 s[36:37], s[38:39]
	s_cbranch_execz .LBB2041_52
; %bb.49:
	s_mov_b64 s[38:39], 0
	v_mov_b32_e32 v3, 0
.LBB2041_50:                            ; =>This Inner Loop Header: Depth=1
	global_load_dwordx2 v[6:7], v[10:11], off glc
	s_waitcnt vmcnt(0)
	v_cmp_ne_u16_sdwa s[42:43], v7, v3 src0_sel:BYTE_0 src1_sel:DWORD
	s_or_b64 s[38:39], s[42:43], s[38:39]
	s_andn2_b64 exec, exec, s[38:39]
	s_cbranch_execnz .LBB2041_50
; %bb.51:
	s_or_b64 exec, exec, s[38:39]
.LBB2041_52:
	s_or_b64 exec, exec, s[36:37]
	v_and_b32_e32 v14, 63, v53
	v_mov_b32_e32 v3, 2
	v_cmp_ne_u32_e32 vcc, 63, v14
	v_cmp_eq_u16_sdwa s[36:37], v7, v3 src0_sel:BYTE_0 src1_sel:DWORD
	v_lshlrev_b64 v[8:9], v53, -1
	v_addc_co_u32_e32 v11, vcc, 0, v53, vcc
	v_and_b32_e32 v5, s37, v9
	v_lshlrev_b32_e32 v15, 2, v11
	v_or_b32_e32 v5, 0x80000000, v5
	ds_bpermute_b32 v11, v15, v6
	v_and_b32_e32 v10, s36, v8
	v_ffbl_b32_e32 v5, v5
	v_add_u32_e32 v5, 32, v5
	v_ffbl_b32_e32 v10, v10
	v_min_u32_e32 v5, v10, v5
	v_cmp_lt_u32_e32 vcc, v14, v5
	s_waitcnt lgkmcnt(0)
	v_cndmask_b32_e32 v10, 0, v11, vcc
	v_cmp_gt_u32_e32 vcc, 62, v14
	v_add_u32_e32 v6, v10, v6
	v_cndmask_b32_e64 v10, 0, 1, vcc
	v_lshlrev_b32_e32 v10, 1, v10
	v_add_lshl_u32 v16, v10, v53, 2
	ds_bpermute_b32 v10, v16, v6
	v_add_u32_e32 v17, 2, v14
	v_cmp_le_u32_e32 vcc, v17, v5
	v_add_u32_e32 v19, 4, v14
	v_add_u32_e32 v57, 8, v14
	s_waitcnt lgkmcnt(0)
	v_cndmask_b32_e32 v10, 0, v10, vcc
	v_cmp_gt_u32_e32 vcc, 60, v14
	v_add_u32_e32 v6, v6, v10
	v_cndmask_b32_e64 v10, 0, 1, vcc
	v_lshlrev_b32_e32 v10, 2, v10
	v_add_lshl_u32 v18, v10, v53, 2
	ds_bpermute_b32 v10, v18, v6
	v_cmp_le_u32_e32 vcc, v19, v5
	v_add_u32_e32 v60, 16, v14
	v_add_u32_e32 v62, 32, v14
	s_waitcnt lgkmcnt(0)
	v_cndmask_b32_e32 v10, 0, v10, vcc
	v_cmp_gt_u32_e32 vcc, 56, v14
	v_add_u32_e32 v6, v6, v10
	v_cndmask_b32_e64 v10, 0, 1, vcc
	v_lshlrev_b32_e32 v10, 3, v10
	v_add_lshl_u32 v56, v10, v53, 2
	ds_bpermute_b32 v10, v56, v6
	v_cmp_le_u32_e32 vcc, v57, v5
	s_waitcnt lgkmcnt(0)
	v_cndmask_b32_e32 v10, 0, v10, vcc
	v_cmp_gt_u32_e32 vcc, 48, v14
	v_add_u32_e32 v6, v6, v10
	v_cndmask_b32_e64 v10, 0, 1, vcc
	v_lshlrev_b32_e32 v10, 4, v10
	v_add_lshl_u32 v59, v10, v53, 2
	ds_bpermute_b32 v10, v59, v6
	v_cmp_le_u32_e32 vcc, v60, v5
	;; [unrolled: 9-line block ×3, first 2 shown]
	s_waitcnt lgkmcnt(0)
	v_cndmask_b32_e32 v5, 0, v10, vcc
	v_add_u32_e32 v6, v6, v5
	v_mov_b32_e32 v5, 0
	s_branch .LBB2041_54
.LBB2041_53:                            ;   in Loop: Header=BB2041_54 Depth=1
	s_or_b64 exec, exec, s[36:37]
	v_cmp_eq_u16_sdwa s[36:37], v7, v3 src0_sel:BYTE_0 src1_sel:DWORD
	v_and_b32_e32 v10, s37, v9
	v_or_b32_e32 v10, 0x80000000, v10
	ds_bpermute_b32 v63, v15, v6
	v_and_b32_e32 v11, s36, v8
	v_ffbl_b32_e32 v10, v10
	v_add_u32_e32 v10, 32, v10
	v_ffbl_b32_e32 v11, v11
	v_min_u32_e32 v10, v11, v10
	v_cmp_lt_u32_e32 vcc, v14, v10
	s_waitcnt lgkmcnt(0)
	v_cndmask_b32_e32 v11, 0, v63, vcc
	v_add_u32_e32 v6, v11, v6
	ds_bpermute_b32 v11, v16, v6
	v_cmp_le_u32_e32 vcc, v17, v10
	v_subrev_u32_e32 v4, 64, v4
	s_waitcnt lgkmcnt(0)
	v_cndmask_b32_e32 v11, 0, v11, vcc
	v_add_u32_e32 v6, v6, v11
	ds_bpermute_b32 v11, v18, v6
	v_cmp_le_u32_e32 vcc, v19, v10
	s_waitcnt lgkmcnt(0)
	v_cndmask_b32_e32 v11, 0, v11, vcc
	v_add_u32_e32 v6, v6, v11
	ds_bpermute_b32 v11, v56, v6
	v_cmp_le_u32_e32 vcc, v57, v10
	;; [unrolled: 5-line block ×4, first 2 shown]
	s_waitcnt lgkmcnt(0)
	v_cndmask_b32_e32 v10, 0, v11, vcc
	v_add3_u32 v6, v10, v58, v6
.LBB2041_54:                            ; =>This Loop Header: Depth=1
                                        ;     Child Loop BB2041_57 Depth 2
	v_cmp_ne_u16_sdwa s[36:37], v7, v3 src0_sel:BYTE_0 src1_sel:DWORD
	v_cndmask_b32_e64 v7, 0, 1, s[36:37]
	;;#ASMSTART
	;;#ASMEND
	v_cmp_ne_u32_e32 vcc, 0, v7
	s_cmp_lg_u64 vcc, exec
	v_mov_b32_e32 v58, v6
	s_cbranch_scc1 .LBB2041_59
; %bb.55:                               ;   in Loop: Header=BB2041_54 Depth=1
	v_lshlrev_b64 v[6:7], 3, v[4:5]
	v_mov_b32_e32 v11, s31
	v_add_co_u32_e32 v10, vcc, s30, v6
	v_addc_co_u32_e32 v11, vcc, v11, v7, vcc
	global_load_dwordx2 v[6:7], v[10:11], off glc
	s_waitcnt vmcnt(0)
	v_cmp_eq_u16_sdwa s[38:39], v7, v5 src0_sel:BYTE_0 src1_sel:DWORD
	s_and_saveexec_b64 s[36:37], s[38:39]
	s_cbranch_execz .LBB2041_53
; %bb.56:                               ;   in Loop: Header=BB2041_54 Depth=1
	s_mov_b64 s[38:39], 0
.LBB2041_57:                            ;   Parent Loop BB2041_54 Depth=1
                                        ; =>  This Inner Loop Header: Depth=2
	global_load_dwordx2 v[6:7], v[10:11], off glc
	s_waitcnt vmcnt(0)
	v_cmp_ne_u16_sdwa s[42:43], v7, v5 src0_sel:BYTE_0 src1_sel:DWORD
	s_or_b64 s[38:39], s[42:43], s[38:39]
	s_andn2_b64 exec, exec, s[38:39]
	s_cbranch_execnz .LBB2041_57
; %bb.58:                               ;   in Loop: Header=BB2041_54 Depth=1
	s_or_b64 exec, exec, s[38:39]
	s_branch .LBB2041_53
.LBB2041_59:                            ;   in Loop: Header=BB2041_54 Depth=1
                                        ; implicit-def: $vgpr6
                                        ; implicit-def: $vgpr7
	s_cbranch_execz .LBB2041_54
; %bb.60:
	s_and_saveexec_b64 s[36:37], s[18:19]
	s_cbranch_execz .LBB2041_62
; %bb.61:
	s_add_i32 s38, s40, 64
	s_mov_b32 s39, 0
	s_lshl_b64 s[38:39], s[38:39], 3
	s_add_u32 s38, s30, s38
	v_add_u32_e32 v4, v58, v2
	v_mov_b32_e32 v5, 2
	s_addc_u32 s39, s31, s39
	v_mov_b32_e32 v3, 0
	global_store_dwordx2 v3, v[4:5], s[38:39]
	s_movk_i32 s38, 0x3400
	v_add_u32_e64 v3, s38, 0
	ds_write2_b32 v3, v2, v58 offset1:2
.LBB2041_62:
	s_or_b64 exec, exec, s[36:37]
	s_and_b64 exec, exec, s[0:1]
	s_cbranch_execz .LBB2041_64
; %bb.63:
	v_mov_b32_e32 v2, 0
	ds_write_b32 v2, v58 offset:12
.LBB2041_64:
	s_or_b64 exec, exec, s[34:35]
	v_mov_b32_e32 v2, 0
	s_waitcnt lgkmcnt(0)
	s_barrier
	ds_read_b32 v2, v2 offset:12
	v_cndmask_b32_e64 v3, v13, v12, s[18:19]
	v_cndmask_b32_e64 v3, v3, 0, s[0:1]
	s_movk_i32 s18, 0x3400
	v_add_u32_e64 v12, s18, 0
	s_waitcnt lgkmcnt(0)
	v_add_u32_e32 v2, v2, v3
	v_add_u32_e32 v3, v2, v44
	;; [unrolled: 1-line block ×9, first 2 shown]
	s_barrier
	ds_read2_b32 v[18:19], v12 offset1:2
	v_add_u32_e32 v11, v10, v50
	v_add_u32_e32 v12, v11, v51
	;; [unrolled: 1-line block ×4, first 2 shown]
	s_branch .LBB2041_75
.LBB2041_65:
                                        ; implicit-def: $vgpr19
                                        ; implicit-def: $vgpr2_vgpr3_vgpr4_vgpr5_vgpr6_vgpr7_vgpr8_vgpr9_vgpr10_vgpr11_vgpr12_vgpr13_vgpr14_vgpr15_vgpr16_vgpr17
	s_cbranch_execz .LBB2041_75
; %bb.66:
	s_nop 0
	v_mov_b32_dpp v2, v55 row_shr:1 row_mask:0xf bank_mask:0xf
	v_cndmask_b32_e64 v2, v2, 0, s[16:17]
	v_add_u32_e32 v2, v2, v55
	s_nop 1
	v_mov_b32_dpp v3, v2 row_shr:2 row_mask:0xf bank_mask:0xf
	v_cndmask_b32_e64 v3, 0, v3, s[14:15]
	v_add_u32_e32 v2, v2, v3
	;; [unrolled: 4-line block ×4, first 2 shown]
	s_nop 1
	v_mov_b32_dpp v3, v2 row_bcast:15 row_mask:0xf bank_mask:0xf
	v_cndmask_b32_e64 v3, v3, 0, s[8:9]
	v_add_u32_e32 v2, v2, v3
	s_nop 1
	v_mov_b32_dpp v3, v2 row_bcast:31 row_mask:0xf bank_mask:0xf
	v_cndmask_b32_e64 v3, 0, v3, s[4:5]
	v_add_u32_e32 v2, v2, v3
	s_and_saveexec_b64 s[4:5], s[6:7]
	s_cbranch_execz .LBB2041_68
; %bb.67:
	v_lshlrev_b32_e32 v3, 2, v54
	ds_write_b32 v3, v2
.LBB2041_68:
	s_or_b64 exec, exec, s[4:5]
	v_cmp_gt_u32_e32 vcc, 4, v0
	s_waitcnt lgkmcnt(0)
	s_barrier
	s_and_saveexec_b64 s[4:5], vcc
	s_cbranch_execz .LBB2041_70
; %bb.69:
	ds_read_b32 v3, v1
	v_and_b32_e32 v4, 3, v53
	v_cmp_ne_u32_e32 vcc, 0, v4
	s_waitcnt lgkmcnt(0)
	v_mov_b32_dpp v5, v3 row_shr:1 row_mask:0xf bank_mask:0xf
	v_cndmask_b32_e32 v5, 0, v5, vcc
	v_add_u32_e32 v3, v5, v3
	v_cmp_lt_u32_e32 vcc, 1, v4
	s_nop 0
	v_mov_b32_dpp v5, v3 row_shr:2 row_mask:0xf bank_mask:0xf
	v_cndmask_b32_e32 v4, 0, v5, vcc
	v_add_u32_e32 v3, v3, v4
	ds_write_b32 v1, v3
.LBB2041_70:
	s_or_b64 exec, exec, s[4:5]
	v_cmp_lt_u32_e32 vcc, 63, v0
	v_mov_b32_e32 v4, 0
	v_mov_b32_e32 v3, 0
	s_waitcnt lgkmcnt(0)
	s_barrier
	s_and_saveexec_b64 s[4:5], vcc
	s_cbranch_execz .LBB2041_72
; %bb.71:
	v_lshl_add_u32 v3, v54, 2, -4
	ds_read_b32 v3, v3
.LBB2041_72:
	s_or_b64 exec, exec, s[4:5]
	v_add_u32_e32 v5, -1, v53
	v_and_b32_e32 v6, 64, v53
	v_cmp_lt_i32_e32 vcc, v5, v6
	v_cndmask_b32_e32 v5, v5, v53, vcc
	s_waitcnt lgkmcnt(0)
	v_add_u32_e32 v2, v3, v2
	v_lshlrev_b32_e32 v5, 2, v5
	ds_bpermute_b32 v2, v5, v2
	ds_read_b32 v18, v4 offset:12
	s_and_saveexec_b64 s[4:5], s[0:1]
	s_cbranch_execz .LBB2041_74
; %bb.73:
	v_mov_b32_e32 v4, 0
	v_mov_b32_e32 v19, 2
	s_waitcnt lgkmcnt(0)
	global_store_dwordx2 v4, v[18:19], s[30:31] offset:512
.LBB2041_74:
	s_or_b64 exec, exec, s[4:5]
	v_cmp_eq_u32_e32 vcc, 0, v53
	s_waitcnt lgkmcnt(1)
	v_cndmask_b32_e32 v2, v2, v3, vcc
	v_cndmask_b32_e64 v2, v2, 0, s[0:1]
	v_add_u32_e32 v3, v2, v44
	v_add_u32_e32 v4, v3, v45
	;; [unrolled: 1-line block ×11, first 2 shown]
	v_mov_b32_e32 v19, 0
	v_add_u32_e32 v14, v13, v41
	s_waitcnt lgkmcnt(0)
	s_barrier
.LBB2041_75:
	s_waitcnt lgkmcnt(0)
	v_add_u32_e32 v36, v18, v36
	v_sub_u32_e32 v2, v2, v19
	v_and_b32_e32 v45, 1, v40
	v_sub_u32_e32 v44, v36, v2
	v_cmp_eq_u32_e32 vcc, 1, v45
	v_cndmask_b32_e32 v2, v44, v2, vcc
	v_lshlrev_b32_e32 v2, 2, v2
	v_lshrrev_b32_e32 v17, 8, v40
	ds_write_b32 v2, v32
	v_sub_u32_e32 v2, v3, v19
	v_sub_u32_e32 v3, v36, v2
	v_and_b32_e32 v17, 1, v17
	v_add_u32_e32 v3, 1, v3
	v_cmp_eq_u32_e32 vcc, 1, v17
	v_cndmask_b32_e32 v2, v3, v2, vcc
	v_lshlrev_b32_e32 v2, 2, v2
	ds_write_b32 v2, v33
	v_sub_u32_e32 v2, v4, v19
	v_mov_b32_e32 v4, 1
	v_sub_u32_e32 v3, v36, v2
	v_and_b32_sdwa v17, v4, v40 dst_sel:DWORD dst_unused:UNUSED_PAD src0_sel:DWORD src1_sel:WORD_1
	v_add_u32_e32 v3, 2, v3
	v_cmp_eq_u32_e32 vcc, 1, v17
	v_cndmask_b32_e32 v2, v3, v2, vcc
	v_lshlrev_b32_e32 v2, 2, v2
	ds_write_b32 v2, v30
	v_sub_u32_e32 v2, v5, v19
	v_sub_u32_e32 v3, v36, v2
	v_and_b32_e32 v5, 1, v43
	v_add_u32_e32 v3, 3, v3
	v_cmp_eq_u32_e32 vcc, 1, v5
	v_cndmask_b32_e32 v2, v3, v2, vcc
	v_lshlrev_b32_e32 v2, 2, v2
	ds_write_b32 v2, v31
	v_sub_u32_e32 v2, v6, v19
	v_sub_u32_e32 v3, v36, v2
	v_and_b32_e32 v5, 1, v39
	v_add_u32_e32 v3, 4, v3
	v_cmp_eq_u32_e32 vcc, 1, v5
	v_cndmask_b32_e32 v2, v3, v2, vcc
	v_lshlrev_b32_e32 v2, 2, v2
	v_lshrrev_b32_e32 v16, 8, v39
	ds_write_b32 v2, v28
	v_sub_u32_e32 v2, v7, v19
	v_sub_u32_e32 v3, v36, v2
	v_and_b32_e32 v5, 1, v16
	v_add_u32_e32 v3, 5, v3
	v_cmp_eq_u32_e32 vcc, 1, v5
	v_cndmask_b32_e32 v2, v3, v2, vcc
	v_lshlrev_b32_e32 v2, 2, v2
	ds_write_b32 v2, v29
	v_sub_u32_e32 v2, v8, v19
	v_sub_u32_e32 v3, v36, v2
	v_and_b32_sdwa v5, v4, v39 dst_sel:DWORD dst_unused:UNUSED_PAD src0_sel:DWORD src1_sel:WORD_1
	v_add_u32_e32 v3, 6, v3
	v_cmp_eq_u32_e32 vcc, 1, v5
	v_cndmask_b32_e32 v2, v3, v2, vcc
	v_lshlrev_b32_e32 v2, 2, v2
	ds_write_b32 v2, v26
	v_sub_u32_e32 v2, v9, v19
	v_sub_u32_e32 v3, v36, v2
	v_and_b32_e32 v5, 1, v42
	v_add_u32_e32 v3, 7, v3
	v_cmp_eq_u32_e32 vcc, 1, v5
	v_cndmask_b32_e32 v2, v3, v2, vcc
	v_lshlrev_b32_e32 v2, 2, v2
	ds_write_b32 v2, v27
	v_sub_u32_e32 v2, v10, v19
	v_sub_u32_e32 v3, v36, v2
	v_and_b32_e32 v5, 1, v38
	v_add_u32_e32 v3, 8, v3
	v_cmp_eq_u32_e32 vcc, 1, v5
	v_cndmask_b32_e32 v2, v3, v2, vcc
	v_lshlrev_b32_e32 v2, 2, v2
	v_lshrrev_b32_e32 v15, 8, v38
	ds_write_b32 v2, v24
	v_sub_u32_e32 v2, v11, v19
	v_sub_u32_e32 v3, v36, v2
	v_and_b32_e32 v5, 1, v15
	v_add_u32_e32 v3, 9, v3
	v_cmp_eq_u32_e32 vcc, 1, v5
	v_cndmask_b32_e32 v2, v3, v2, vcc
	v_lshlrev_b32_e32 v2, 2, v2
	ds_write_b32 v2, v25
	v_sub_u32_e32 v2, v12, v19
	v_sub_u32_e32 v3, v36, v2
	v_and_b32_sdwa v4, v4, v38 dst_sel:DWORD dst_unused:UNUSED_PAD src0_sel:DWORD src1_sel:WORD_1
	v_add_u32_e32 v3, 10, v3
	v_cmp_eq_u32_e32 vcc, 1, v4
	v_cndmask_b32_e32 v2, v3, v2, vcc
	v_lshlrev_b32_e32 v2, 2, v2
	ds_write_b32 v2, v22
	v_sub_u32_e32 v2, v13, v19
	v_sub_u32_e32 v3, v36, v2
	v_and_b32_e32 v4, 1, v41
	v_add_u32_e32 v3, 11, v3
	v_cmp_eq_u32_e32 vcc, 1, v4
	v_cndmask_b32_e32 v2, v3, v2, vcc
	v_lshlrev_b32_e32 v2, 2, v2
	ds_write_b32 v2, v23
	v_sub_u32_e32 v2, v14, v19
	v_sub_u32_e32 v3, v36, v2
	v_and_b32_e32 v4, 1, v37
	v_add_u32_e32 v3, 12, v3
	v_cmp_eq_u32_e32 vcc, 1, v4
	v_cndmask_b32_e32 v2, v3, v2, vcc
	v_lshlrev_b32_e32 v2, 2, v2
	ds_write_b32 v2, v35
	s_waitcnt lgkmcnt(0)
	s_barrier
	ds_read2st64_b32 v[12:13], v1 offset1:4
	ds_read2st64_b32 v[10:11], v1 offset0:8 offset1:12
	ds_read2st64_b32 v[8:9], v1 offset0:16 offset1:20
	;; [unrolled: 1-line block ×5, first 2 shown]
	ds_read_b32 v17, v1 offset:12288
	s_waitcnt vmcnt(0)
	v_add_co_u32_e32 v1, vcc, v20, v19
	v_addc_co_u32_e32 v16, vcc, 0, v21, vcc
	v_mov_b32_e32 v14, s29
	v_add_co_u32_e32 v15, vcc, s28, v34
	v_addc_co_u32_e32 v14, vcc, 0, v14, vcc
	v_mov_b32_e32 v19, s27
	v_sub_co_u32_e32 v15, vcc, s26, v15
	v_subb_co_u32_e32 v14, vcc, v19, v14, vcc
	v_add_co_u32_e32 v15, vcc, v15, v18
	v_addc_co_u32_e32 v14, vcc, 0, v14, vcc
	s_and_b64 vcc, exec, s[2:3]
	v_add_co_u32_e64 v19, s[2:3], v15, v1
	v_or_b32_e32 v33, 0x100, v0
	v_or_b32_e32 v32, 0x200, v0
	;; [unrolled: 1-line block ×12, first 2 shown]
	v_addc_co_u32_e64 v20, s[2:3], v14, v16, s[2:3]
	s_cbranch_vccnz .LBB2041_132
; %bb.76:
	v_cmp_ge_u32_e32 vcc, v0, v18
                                        ; implicit-def: $vgpr14_vgpr15
	s_and_saveexec_b64 s[2:3], vcc
	s_xor_b64 s[2:3], exec, s[2:3]
; %bb.77:
	v_not_b32_e32 v14, v0
	v_ashrrev_i32_e32 v15, 31, v14
	v_add_co_u32_e32 v14, vcc, v19, v14
	v_addc_co_u32_e32 v15, vcc, v20, v15, vcc
; %bb.78:
	s_andn2_saveexec_b64 s[2:3], s[2:3]
; %bb.79:
	v_add_co_u32_e32 v14, vcc, v1, v0
	v_addc_co_u32_e32 v15, vcc, 0, v16, vcc
; %bb.80:
	s_or_b64 exec, exec, s[2:3]
	v_lshlrev_b64 v[14:15], 2, v[14:15]
	v_mov_b32_e32 v21, s25
	v_add_co_u32_e32 v14, vcc, s24, v14
	v_addc_co_u32_e32 v15, vcc, v21, v15, vcc
	v_cmp_ge_u32_e32 vcc, v33, v18
	s_waitcnt lgkmcnt(6)
	global_store_dword v[14:15], v12, off
                                        ; implicit-def: $vgpr14_vgpr15
	s_and_saveexec_b64 s[2:3], vcc
	s_xor_b64 s[2:3], exec, s[2:3]
; %bb.81:
	v_xor_b32_e32 v14, 0xfffffeff, v0
	v_ashrrev_i32_e32 v15, 31, v14
	v_add_co_u32_e32 v14, vcc, v19, v14
	v_addc_co_u32_e32 v15, vcc, v20, v15, vcc
; %bb.82:
	s_andn2_saveexec_b64 s[2:3], s[2:3]
; %bb.83:
	v_add_co_u32_e32 v14, vcc, v1, v33
	v_addc_co_u32_e32 v15, vcc, 0, v16, vcc
; %bb.84:
	s_or_b64 exec, exec, s[2:3]
	v_lshlrev_b64 v[14:15], 2, v[14:15]
	v_mov_b32_e32 v21, s25
	v_add_co_u32_e32 v14, vcc, s24, v14
	v_addc_co_u32_e32 v15, vcc, v21, v15, vcc
	v_cmp_ge_u32_e32 vcc, v32, v18
	global_store_dword v[14:15], v13, off
                                        ; implicit-def: $vgpr14_vgpr15
	s_and_saveexec_b64 s[2:3], vcc
	s_xor_b64 s[2:3], exec, s[2:3]
; %bb.85:
	v_xor_b32_e32 v14, 0xfffffdff, v0
	v_ashrrev_i32_e32 v15, 31, v14
	v_add_co_u32_e32 v14, vcc, v19, v14
	v_addc_co_u32_e32 v15, vcc, v20, v15, vcc
; %bb.86:
	s_andn2_saveexec_b64 s[2:3], s[2:3]
; %bb.87:
	v_add_co_u32_e32 v14, vcc, v1, v32
	v_addc_co_u32_e32 v15, vcc, 0, v16, vcc
; %bb.88:
	s_or_b64 exec, exec, s[2:3]
	v_lshlrev_b64 v[14:15], 2, v[14:15]
	v_mov_b32_e32 v21, s25
	v_add_co_u32_e32 v14, vcc, s24, v14
	v_addc_co_u32_e32 v15, vcc, v21, v15, vcc
	v_cmp_ge_u32_e32 vcc, v31, v18
	s_waitcnt lgkmcnt(5)
	global_store_dword v[14:15], v10, off
                                        ; implicit-def: $vgpr14_vgpr15
	s_and_saveexec_b64 s[2:3], vcc
	s_xor_b64 s[2:3], exec, s[2:3]
; %bb.89:
	v_xor_b32_e32 v14, 0xfffffcff, v0
	v_ashrrev_i32_e32 v15, 31, v14
	v_add_co_u32_e32 v14, vcc, v19, v14
	v_addc_co_u32_e32 v15, vcc, v20, v15, vcc
; %bb.90:
	s_andn2_saveexec_b64 s[2:3], s[2:3]
; %bb.91:
	v_add_co_u32_e32 v14, vcc, v1, v31
	v_addc_co_u32_e32 v15, vcc, 0, v16, vcc
; %bb.92:
	s_or_b64 exec, exec, s[2:3]
	v_lshlrev_b64 v[14:15], 2, v[14:15]
	v_mov_b32_e32 v21, s25
	v_add_co_u32_e32 v14, vcc, s24, v14
	v_addc_co_u32_e32 v15, vcc, v21, v15, vcc
	v_cmp_ge_u32_e32 vcc, v30, v18
	global_store_dword v[14:15], v11, off
                                        ; implicit-def: $vgpr14_vgpr15
	s_and_saveexec_b64 s[2:3], vcc
	s_xor_b64 s[2:3], exec, s[2:3]
; %bb.93:
	v_xor_b32_e32 v14, 0xfffffbff, v0
	;; [unrolled: 43-line block ×6, first 2 shown]
	v_ashrrev_i32_e32 v15, 31, v14
	v_add_co_u32_e32 v14, vcc, v19, v14
	v_addc_co_u32_e32 v15, vcc, v20, v15, vcc
; %bb.126:
	s_andn2_saveexec_b64 s[2:3], s[2:3]
; %bb.127:
	v_add_co_u32_e32 v14, vcc, v1, v22
	v_addc_co_u32_e32 v15, vcc, 0, v16, vcc
; %bb.128:
	s_or_b64 exec, exec, s[2:3]
	s_mov_b64 s[2:3], -1
.LBB2041_129:
	s_and_saveexec_b64 s[4:5], s[2:3]
	s_cbranch_execz .LBB2041_212
.LBB2041_130:
	s_waitcnt lgkmcnt(1)
	v_lshlrev_b64 v[2:3], 2, v[14:15]
	v_mov_b32_e32 v0, s25
	v_add_co_u32_e32 v2, vcc, s24, v2
	v_addc_co_u32_e32 v3, vcc, v0, v3, vcc
	s_waitcnt lgkmcnt(0)
	global_store_dword v[2:3], v17, off
	s_or_b64 exec, exec, s[4:5]
	s_and_b64 s[0:1], s[0:1], s[22:23]
	s_and_saveexec_b64 s[2:3], s[0:1]
	s_cbranch_execnz .LBB2041_213
.LBB2041_131:
	s_endpgm
.LBB2041_132:
	s_mov_b64 s[2:3], 0
                                        ; implicit-def: $vgpr14_vgpr15
	s_cbranch_execz .LBB2041_129
; %bb.133:
	v_cmp_gt_u32_e32 vcc, s33, v0
	s_and_saveexec_b64 s[4:5], vcc
	s_cbranch_execz .LBB2041_169
; %bb.134:
	v_cmp_ge_u32_e32 vcc, v0, v18
                                        ; implicit-def: $vgpr14_vgpr15
	s_and_saveexec_b64 s[6:7], vcc
	s_xor_b64 s[6:7], exec, s[6:7]
; %bb.135:
	v_not_b32_e32 v14, v0
	v_ashrrev_i32_e32 v15, 31, v14
	v_add_co_u32_e32 v14, vcc, v19, v14
	v_addc_co_u32_e32 v15, vcc, v20, v15, vcc
; %bb.136:
	s_andn2_saveexec_b64 s[6:7], s[6:7]
; %bb.137:
	v_add_co_u32_e32 v14, vcc, v1, v0
	v_addc_co_u32_e32 v15, vcc, 0, v16, vcc
; %bb.138:
	s_or_b64 exec, exec, s[6:7]
	v_lshlrev_b64 v[14:15], 2, v[14:15]
	v_mov_b32_e32 v21, s25
	v_add_co_u32_e32 v14, vcc, s24, v14
	v_addc_co_u32_e32 v15, vcc, v21, v15, vcc
	s_waitcnt lgkmcnt(6)
	global_store_dword v[14:15], v12, off
	s_or_b64 exec, exec, s[4:5]
	v_cmp_gt_u32_e32 vcc, s33, v33
	s_and_saveexec_b64 s[4:5], vcc
	s_cbranch_execnz .LBB2041_170
.LBB2041_139:
	s_or_b64 exec, exec, s[4:5]
	v_cmp_gt_u32_e32 vcc, s33, v32
	s_and_saveexec_b64 s[4:5], vcc
	s_cbranch_execz .LBB2041_175
.LBB2041_140:
	v_cmp_ge_u32_e32 vcc, v32, v18
                                        ; implicit-def: $vgpr12_vgpr13
	s_and_saveexec_b64 s[6:7], vcc
	s_xor_b64 s[6:7], exec, s[6:7]
	s_cbranch_execz .LBB2041_142
; %bb.141:
	s_waitcnt lgkmcnt(6)
	v_xor_b32_e32 v12, 0xfffffdff, v0
	v_ashrrev_i32_e32 v13, 31, v12
	v_add_co_u32_e32 v12, vcc, v19, v12
	v_addc_co_u32_e32 v13, vcc, v20, v13, vcc
                                        ; implicit-def: $vgpr32
.LBB2041_142:
	s_andn2_saveexec_b64 s[6:7], s[6:7]
	s_cbranch_execz .LBB2041_144
; %bb.143:
	s_waitcnt lgkmcnt(6)
	v_add_co_u32_e32 v12, vcc, v1, v32
	v_addc_co_u32_e32 v13, vcc, 0, v16, vcc
.LBB2041_144:
	s_or_b64 exec, exec, s[6:7]
	s_waitcnt lgkmcnt(6)
	v_lshlrev_b64 v[12:13], 2, v[12:13]
	v_mov_b32_e32 v14, s25
	v_add_co_u32_e32 v12, vcc, s24, v12
	v_addc_co_u32_e32 v13, vcc, v14, v13, vcc
	s_waitcnt lgkmcnt(5)
	global_store_dword v[12:13], v10, off
	s_or_b64 exec, exec, s[4:5]
	v_cmp_gt_u32_e32 vcc, s33, v31
	s_and_saveexec_b64 s[4:5], vcc
	s_cbranch_execnz .LBB2041_176
.LBB2041_145:
	s_or_b64 exec, exec, s[4:5]
	v_cmp_gt_u32_e32 vcc, s33, v30
	s_and_saveexec_b64 s[4:5], vcc
	s_cbranch_execz .LBB2041_181
.LBB2041_146:
	v_cmp_ge_u32_e32 vcc, v30, v18
                                        ; implicit-def: $vgpr10_vgpr11
	s_and_saveexec_b64 s[6:7], vcc
	s_xor_b64 s[6:7], exec, s[6:7]
	s_cbranch_execz .LBB2041_148
; %bb.147:
	s_waitcnt lgkmcnt(5)
	v_xor_b32_e32 v10, 0xfffffbff, v0
	v_ashrrev_i32_e32 v11, 31, v10
	v_add_co_u32_e32 v10, vcc, v19, v10
	v_addc_co_u32_e32 v11, vcc, v20, v11, vcc
                                        ; implicit-def: $vgpr30
.LBB2041_148:
	s_andn2_saveexec_b64 s[6:7], s[6:7]
	s_cbranch_execz .LBB2041_150
; %bb.149:
	s_waitcnt lgkmcnt(5)
	v_add_co_u32_e32 v10, vcc, v1, v30
	v_addc_co_u32_e32 v11, vcc, 0, v16, vcc
.LBB2041_150:
	s_or_b64 exec, exec, s[6:7]
	s_waitcnt lgkmcnt(5)
	v_lshlrev_b64 v[10:11], 2, v[10:11]
	v_mov_b32_e32 v12, s25
	v_add_co_u32_e32 v10, vcc, s24, v10
	v_addc_co_u32_e32 v11, vcc, v12, v11, vcc
	s_waitcnt lgkmcnt(4)
	global_store_dword v[10:11], v8, off
	s_or_b64 exec, exec, s[4:5]
	v_cmp_gt_u32_e32 vcc, s33, v29
	s_and_saveexec_b64 s[4:5], vcc
	s_cbranch_execnz .LBB2041_182
.LBB2041_151:
	s_or_b64 exec, exec, s[4:5]
	v_cmp_gt_u32_e32 vcc, s33, v28
	s_and_saveexec_b64 s[4:5], vcc
	s_cbranch_execz .LBB2041_187
.LBB2041_152:
	v_cmp_ge_u32_e32 vcc, v28, v18
                                        ; implicit-def: $vgpr8_vgpr9
	s_and_saveexec_b64 s[6:7], vcc
	s_xor_b64 s[6:7], exec, s[6:7]
	s_cbranch_execz .LBB2041_154
; %bb.153:
	s_waitcnt lgkmcnt(4)
	v_xor_b32_e32 v8, 0xfffff9ff, v0
	v_ashrrev_i32_e32 v9, 31, v8
	v_add_co_u32_e32 v8, vcc, v19, v8
	v_addc_co_u32_e32 v9, vcc, v20, v9, vcc
                                        ; implicit-def: $vgpr28
.LBB2041_154:
	s_andn2_saveexec_b64 s[6:7], s[6:7]
	s_cbranch_execz .LBB2041_156
; %bb.155:
	s_waitcnt lgkmcnt(4)
	v_add_co_u32_e32 v8, vcc, v1, v28
	v_addc_co_u32_e32 v9, vcc, 0, v16, vcc
.LBB2041_156:
	s_or_b64 exec, exec, s[6:7]
	s_waitcnt lgkmcnt(4)
	v_lshlrev_b64 v[8:9], 2, v[8:9]
	v_mov_b32_e32 v10, s25
	v_add_co_u32_e32 v8, vcc, s24, v8
	v_addc_co_u32_e32 v9, vcc, v10, v9, vcc
	s_waitcnt lgkmcnt(3)
	global_store_dword v[8:9], v6, off
	s_or_b64 exec, exec, s[4:5]
	v_cmp_gt_u32_e32 vcc, s33, v27
	s_and_saveexec_b64 s[4:5], vcc
	s_cbranch_execnz .LBB2041_188
.LBB2041_157:
	s_or_b64 exec, exec, s[4:5]
	v_cmp_gt_u32_e32 vcc, s33, v26
	s_and_saveexec_b64 s[4:5], vcc
	s_cbranch_execz .LBB2041_193
.LBB2041_158:
	v_cmp_ge_u32_e32 vcc, v26, v18
                                        ; implicit-def: $vgpr6_vgpr7
	s_and_saveexec_b64 s[6:7], vcc
	s_xor_b64 s[6:7], exec, s[6:7]
	s_cbranch_execz .LBB2041_160
; %bb.159:
	s_waitcnt lgkmcnt(3)
	v_xor_b32_e32 v6, 0xfffff7ff, v0
	v_ashrrev_i32_e32 v7, 31, v6
	v_add_co_u32_e32 v6, vcc, v19, v6
	v_addc_co_u32_e32 v7, vcc, v20, v7, vcc
                                        ; implicit-def: $vgpr26
.LBB2041_160:
	s_andn2_saveexec_b64 s[6:7], s[6:7]
	s_cbranch_execz .LBB2041_162
; %bb.161:
	s_waitcnt lgkmcnt(3)
	v_add_co_u32_e32 v6, vcc, v1, v26
	v_addc_co_u32_e32 v7, vcc, 0, v16, vcc
.LBB2041_162:
	s_or_b64 exec, exec, s[6:7]
	s_waitcnt lgkmcnt(3)
	v_lshlrev_b64 v[6:7], 2, v[6:7]
	v_mov_b32_e32 v8, s25
	v_add_co_u32_e32 v6, vcc, s24, v6
	v_addc_co_u32_e32 v7, vcc, v8, v7, vcc
	s_waitcnt lgkmcnt(2)
	global_store_dword v[6:7], v4, off
	s_or_b64 exec, exec, s[4:5]
	v_cmp_gt_u32_e32 vcc, s33, v25
	s_and_saveexec_b64 s[4:5], vcc
	s_cbranch_execnz .LBB2041_194
.LBB2041_163:
	s_or_b64 exec, exec, s[4:5]
	v_cmp_gt_u32_e32 vcc, s33, v24
	s_and_saveexec_b64 s[4:5], vcc
	s_cbranch_execz .LBB2041_199
.LBB2041_164:
	v_cmp_ge_u32_e32 vcc, v24, v18
                                        ; implicit-def: $vgpr4_vgpr5
	s_and_saveexec_b64 s[6:7], vcc
	s_xor_b64 s[6:7], exec, s[6:7]
	s_cbranch_execz .LBB2041_166
; %bb.165:
	s_waitcnt lgkmcnt(2)
	v_xor_b32_e32 v4, 0xfffff5ff, v0
	v_ashrrev_i32_e32 v5, 31, v4
	v_add_co_u32_e32 v4, vcc, v19, v4
	v_addc_co_u32_e32 v5, vcc, v20, v5, vcc
                                        ; implicit-def: $vgpr24
.LBB2041_166:
	s_andn2_saveexec_b64 s[6:7], s[6:7]
	s_cbranch_execz .LBB2041_168
; %bb.167:
	s_waitcnt lgkmcnt(2)
	v_add_co_u32_e32 v4, vcc, v1, v24
	v_addc_co_u32_e32 v5, vcc, 0, v16, vcc
.LBB2041_168:
	s_or_b64 exec, exec, s[6:7]
	s_waitcnt lgkmcnt(2)
	v_lshlrev_b64 v[4:5], 2, v[4:5]
	v_mov_b32_e32 v6, s25
	v_add_co_u32_e32 v4, vcc, s24, v4
	v_addc_co_u32_e32 v5, vcc, v6, v5, vcc
	s_waitcnt lgkmcnt(1)
	global_store_dword v[4:5], v2, off
	s_or_b64 exec, exec, s[4:5]
	v_cmp_gt_u32_e32 vcc, s33, v23
	s_and_saveexec_b64 s[4:5], vcc
	s_cbranch_execz .LBB2041_205
	s_branch .LBB2041_200
.LBB2041_169:
	s_or_b64 exec, exec, s[4:5]
	v_cmp_gt_u32_e32 vcc, s33, v33
	s_and_saveexec_b64 s[4:5], vcc
	s_cbranch_execz .LBB2041_139
.LBB2041_170:
	v_cmp_ge_u32_e32 vcc, v33, v18
                                        ; implicit-def: $vgpr14_vgpr15
	s_and_saveexec_b64 s[6:7], vcc
	s_xor_b64 s[6:7], exec, s[6:7]
	s_cbranch_execz .LBB2041_172
; %bb.171:
	s_waitcnt lgkmcnt(6)
	v_xor_b32_e32 v12, 0xfffffeff, v0
	v_ashrrev_i32_e32 v15, 31, v12
	v_add_co_u32_e32 v14, vcc, v19, v12
	v_addc_co_u32_e32 v15, vcc, v20, v15, vcc
                                        ; implicit-def: $vgpr33
.LBB2041_172:
	s_andn2_saveexec_b64 s[6:7], s[6:7]
; %bb.173:
	v_add_co_u32_e32 v14, vcc, v1, v33
	v_addc_co_u32_e32 v15, vcc, 0, v16, vcc
; %bb.174:
	s_or_b64 exec, exec, s[6:7]
	v_lshlrev_b64 v[14:15], 2, v[14:15]
	s_waitcnt lgkmcnt(6)
	v_mov_b32_e32 v12, s25
	v_add_co_u32_e32 v14, vcc, s24, v14
	v_addc_co_u32_e32 v15, vcc, v12, v15, vcc
	global_store_dword v[14:15], v13, off
	s_or_b64 exec, exec, s[4:5]
	v_cmp_gt_u32_e32 vcc, s33, v32
	s_and_saveexec_b64 s[4:5], vcc
	s_cbranch_execnz .LBB2041_140
.LBB2041_175:
	s_or_b64 exec, exec, s[4:5]
	v_cmp_gt_u32_e32 vcc, s33, v31
	s_and_saveexec_b64 s[4:5], vcc
	s_cbranch_execz .LBB2041_145
.LBB2041_176:
	v_cmp_ge_u32_e32 vcc, v31, v18
                                        ; implicit-def: $vgpr12_vgpr13
	s_and_saveexec_b64 s[6:7], vcc
	s_xor_b64 s[6:7], exec, s[6:7]
	s_cbranch_execz .LBB2041_178
; %bb.177:
	s_waitcnt lgkmcnt(5)
	v_xor_b32_e32 v10, 0xfffffcff, v0
	v_ashrrev_i32_e32 v13, 31, v10
	v_add_co_u32_e32 v12, vcc, v19, v10
	v_addc_co_u32_e32 v13, vcc, v20, v13, vcc
                                        ; implicit-def: $vgpr31
.LBB2041_178:
	s_andn2_saveexec_b64 s[6:7], s[6:7]
	s_cbranch_execz .LBB2041_180
; %bb.179:
	s_waitcnt lgkmcnt(6)
	v_add_co_u32_e32 v12, vcc, v1, v31
	v_addc_co_u32_e32 v13, vcc, 0, v16, vcc
.LBB2041_180:
	s_or_b64 exec, exec, s[6:7]
	s_waitcnt lgkmcnt(6)
	v_lshlrev_b64 v[12:13], 2, v[12:13]
	s_waitcnt lgkmcnt(5)
	v_mov_b32_e32 v10, s25
	v_add_co_u32_e32 v12, vcc, s24, v12
	v_addc_co_u32_e32 v13, vcc, v10, v13, vcc
	global_store_dword v[12:13], v11, off
	s_or_b64 exec, exec, s[4:5]
	v_cmp_gt_u32_e32 vcc, s33, v30
	s_and_saveexec_b64 s[4:5], vcc
	s_cbranch_execnz .LBB2041_146
.LBB2041_181:
	s_or_b64 exec, exec, s[4:5]
	v_cmp_gt_u32_e32 vcc, s33, v29
	s_and_saveexec_b64 s[4:5], vcc
	s_cbranch_execz .LBB2041_151
.LBB2041_182:
	v_cmp_ge_u32_e32 vcc, v29, v18
                                        ; implicit-def: $vgpr10_vgpr11
	s_and_saveexec_b64 s[6:7], vcc
	s_xor_b64 s[6:7], exec, s[6:7]
	s_cbranch_execz .LBB2041_184
; %bb.183:
	s_waitcnt lgkmcnt(4)
	v_xor_b32_e32 v8, 0xfffffaff, v0
	v_ashrrev_i32_e32 v11, 31, v8
	v_add_co_u32_e32 v10, vcc, v19, v8
	v_addc_co_u32_e32 v11, vcc, v20, v11, vcc
                                        ; implicit-def: $vgpr29
.LBB2041_184:
	s_andn2_saveexec_b64 s[6:7], s[6:7]
	s_cbranch_execz .LBB2041_186
; %bb.185:
	s_waitcnt lgkmcnt(5)
	v_add_co_u32_e32 v10, vcc, v1, v29
	v_addc_co_u32_e32 v11, vcc, 0, v16, vcc
.LBB2041_186:
	s_or_b64 exec, exec, s[6:7]
	s_waitcnt lgkmcnt(5)
	v_lshlrev_b64 v[10:11], 2, v[10:11]
	s_waitcnt lgkmcnt(4)
	v_mov_b32_e32 v8, s25
	v_add_co_u32_e32 v10, vcc, s24, v10
	v_addc_co_u32_e32 v11, vcc, v8, v11, vcc
	global_store_dword v[10:11], v9, off
	s_or_b64 exec, exec, s[4:5]
	v_cmp_gt_u32_e32 vcc, s33, v28
	s_and_saveexec_b64 s[4:5], vcc
	s_cbranch_execnz .LBB2041_152
.LBB2041_187:
	s_or_b64 exec, exec, s[4:5]
	v_cmp_gt_u32_e32 vcc, s33, v27
	s_and_saveexec_b64 s[4:5], vcc
	s_cbranch_execz .LBB2041_157
.LBB2041_188:
	v_cmp_ge_u32_e32 vcc, v27, v18
                                        ; implicit-def: $vgpr8_vgpr9
	s_and_saveexec_b64 s[6:7], vcc
	s_xor_b64 s[6:7], exec, s[6:7]
	s_cbranch_execz .LBB2041_190
; %bb.189:
	s_waitcnt lgkmcnt(3)
	v_xor_b32_e32 v6, 0xfffff8ff, v0
	v_ashrrev_i32_e32 v9, 31, v6
	v_add_co_u32_e32 v8, vcc, v19, v6
	v_addc_co_u32_e32 v9, vcc, v20, v9, vcc
                                        ; implicit-def: $vgpr27
.LBB2041_190:
	s_andn2_saveexec_b64 s[6:7], s[6:7]
	s_cbranch_execz .LBB2041_192
; %bb.191:
	s_waitcnt lgkmcnt(4)
	v_add_co_u32_e32 v8, vcc, v1, v27
	v_addc_co_u32_e32 v9, vcc, 0, v16, vcc
.LBB2041_192:
	s_or_b64 exec, exec, s[6:7]
	s_waitcnt lgkmcnt(4)
	v_lshlrev_b64 v[8:9], 2, v[8:9]
	s_waitcnt lgkmcnt(3)
	v_mov_b32_e32 v6, s25
	v_add_co_u32_e32 v8, vcc, s24, v8
	v_addc_co_u32_e32 v9, vcc, v6, v9, vcc
	global_store_dword v[8:9], v7, off
	s_or_b64 exec, exec, s[4:5]
	v_cmp_gt_u32_e32 vcc, s33, v26
	s_and_saveexec_b64 s[4:5], vcc
	s_cbranch_execnz .LBB2041_158
.LBB2041_193:
	s_or_b64 exec, exec, s[4:5]
	v_cmp_gt_u32_e32 vcc, s33, v25
	s_and_saveexec_b64 s[4:5], vcc
	s_cbranch_execz .LBB2041_163
.LBB2041_194:
	v_cmp_ge_u32_e32 vcc, v25, v18
                                        ; implicit-def: $vgpr6_vgpr7
	s_and_saveexec_b64 s[6:7], vcc
	s_xor_b64 s[6:7], exec, s[6:7]
	s_cbranch_execz .LBB2041_196
; %bb.195:
	s_waitcnt lgkmcnt(2)
	v_xor_b32_e32 v4, 0xfffff6ff, v0
	v_ashrrev_i32_e32 v7, 31, v4
	v_add_co_u32_e32 v6, vcc, v19, v4
	v_addc_co_u32_e32 v7, vcc, v20, v7, vcc
                                        ; implicit-def: $vgpr25
.LBB2041_196:
	s_andn2_saveexec_b64 s[6:7], s[6:7]
	s_cbranch_execz .LBB2041_198
; %bb.197:
	s_waitcnt lgkmcnt(3)
	v_add_co_u32_e32 v6, vcc, v1, v25
	v_addc_co_u32_e32 v7, vcc, 0, v16, vcc
.LBB2041_198:
	s_or_b64 exec, exec, s[6:7]
	s_waitcnt lgkmcnt(3)
	v_lshlrev_b64 v[6:7], 2, v[6:7]
	s_waitcnt lgkmcnt(2)
	v_mov_b32_e32 v4, s25
	v_add_co_u32_e32 v6, vcc, s24, v6
	v_addc_co_u32_e32 v7, vcc, v4, v7, vcc
	global_store_dword v[6:7], v5, off
	s_or_b64 exec, exec, s[4:5]
	v_cmp_gt_u32_e32 vcc, s33, v24
	s_and_saveexec_b64 s[4:5], vcc
	s_cbranch_execnz .LBB2041_164
.LBB2041_199:
	s_or_b64 exec, exec, s[4:5]
	v_cmp_gt_u32_e32 vcc, s33, v23
	s_and_saveexec_b64 s[4:5], vcc
	s_cbranch_execz .LBB2041_205
.LBB2041_200:
	v_cmp_ge_u32_e32 vcc, v23, v18
                                        ; implicit-def: $vgpr4_vgpr5
	s_and_saveexec_b64 s[6:7], vcc
	s_xor_b64 s[6:7], exec, s[6:7]
	s_cbranch_execz .LBB2041_202
; %bb.201:
	s_waitcnt lgkmcnt(1)
	v_xor_b32_e32 v2, 0xfffff4ff, v0
	v_ashrrev_i32_e32 v5, 31, v2
	v_add_co_u32_e32 v4, vcc, v19, v2
	v_addc_co_u32_e32 v5, vcc, v20, v5, vcc
                                        ; implicit-def: $vgpr23
.LBB2041_202:
	s_andn2_saveexec_b64 s[6:7], s[6:7]
	s_cbranch_execz .LBB2041_204
; %bb.203:
	s_waitcnt lgkmcnt(2)
	v_add_co_u32_e32 v4, vcc, v1, v23
	v_addc_co_u32_e32 v5, vcc, 0, v16, vcc
.LBB2041_204:
	s_or_b64 exec, exec, s[6:7]
	s_waitcnt lgkmcnt(2)
	v_lshlrev_b64 v[4:5], 2, v[4:5]
	s_waitcnt lgkmcnt(1)
	v_mov_b32_e32 v2, s25
	v_add_co_u32_e32 v4, vcc, s24, v4
	v_addc_co_u32_e32 v5, vcc, v2, v5, vcc
	global_store_dword v[4:5], v3, off
.LBB2041_205:
	s_or_b64 exec, exec, s[4:5]
	v_cmp_gt_u32_e32 vcc, s33, v22
                                        ; implicit-def: $vgpr14_vgpr15
	s_and_saveexec_b64 s[4:5], vcc
	s_cbranch_execz .LBB2041_211
; %bb.206:
	v_cmp_ge_u32_e32 vcc, v22, v18
                                        ; implicit-def: $vgpr14_vgpr15
	s_and_saveexec_b64 s[6:7], vcc
	s_xor_b64 s[6:7], exec, s[6:7]
	s_cbranch_execz .LBB2041_208
; %bb.207:
	v_xor_b32_e32 v0, 0xfffff3ff, v0
	s_waitcnt lgkmcnt(1)
	v_ashrrev_i32_e32 v2, 31, v0
	v_add_co_u32_e32 v14, vcc, v19, v0
	v_addc_co_u32_e32 v15, vcc, v20, v2, vcc
                                        ; implicit-def: $vgpr22
.LBB2041_208:
	s_andn2_saveexec_b64 s[6:7], s[6:7]
; %bb.209:
	v_add_co_u32_e32 v14, vcc, v1, v22
	v_addc_co_u32_e32 v15, vcc, 0, v16, vcc
; %bb.210:
	s_or_b64 exec, exec, s[6:7]
	s_or_b64 s[2:3], s[2:3], exec
.LBB2041_211:
	s_or_b64 exec, exec, s[4:5]
	s_and_saveexec_b64 s[4:5], s[2:3]
	s_cbranch_execnz .LBB2041_130
.LBB2041_212:
	s_or_b64 exec, exec, s[4:5]
	s_and_b64 s[0:1], s[0:1], s[22:23]
	s_and_saveexec_b64 s[2:3], s[0:1]
	s_cbranch_execz .LBB2041_131
.LBB2041_213:
	v_add_co_u32_e32 v0, vcc, v1, v18
	s_waitcnt lgkmcnt(1)
	v_mov_b32_e32 v2, 0
	v_addc_co_u32_e32 v1, vcc, 0, v16, vcc
	global_store_dwordx2 v2, v[0:1], s[20:21]
	s_endpgm
	.section	.rodata,"a",@progbits
	.p2align	6, 0x0
	.amdhsa_kernel _ZN7rocprim17ROCPRIM_400000_NS6detail17trampoline_kernelINS0_13select_configILj256ELj13ELNS0_17block_load_methodE3ELS4_3ELS4_3ELNS0_20block_scan_algorithmE0ELj4294967295EEENS1_25partition_config_selectorILNS1_17partition_subalgoE3EjNS0_10empty_typeEbEEZZNS1_14partition_implILS8_3ELb0ES6_jNS0_17counting_iteratorIjlEEPS9_SE_NS0_5tupleIJPjSE_EEENSF_IJSE_SE_EEES9_SG_JZNS1_25segmented_radix_sort_implINS0_14default_configELb0EPK12hip_bfloat16PSL_PKlPlN2at6native12_GLOBAL__N_18offset_tEEE10hipError_tPvRmT1_PNSt15iterator_traitsISZ_E10value_typeET2_T3_PNS10_IS15_E10value_typeET4_jRbjT5_S1B_jjP12ihipStream_tbEUljE_EEESW_SX_SY_S15_S19_S1B_T6_T7_T9_mT8_S1D_bDpT10_ENKUlT_T0_E_clISt17integral_constantIbLb0EES1P_IbLb1EEEEDaS1L_S1M_EUlS1L_E_NS1_11comp_targetILNS1_3genE4ELNS1_11target_archE910ELNS1_3gpuE8ELNS1_3repE0EEENS1_30default_config_static_selectorELNS0_4arch9wavefront6targetE1EEEvSZ_
		.amdhsa_group_segment_fixed_size 13324
		.amdhsa_private_segment_fixed_size 0
		.amdhsa_kernarg_size 152
		.amdhsa_user_sgpr_count 6
		.amdhsa_user_sgpr_private_segment_buffer 1
		.amdhsa_user_sgpr_dispatch_ptr 0
		.amdhsa_user_sgpr_queue_ptr 0
		.amdhsa_user_sgpr_kernarg_segment_ptr 1
		.amdhsa_user_sgpr_dispatch_id 0
		.amdhsa_user_sgpr_flat_scratch_init 0
		.amdhsa_user_sgpr_kernarg_preload_length 0
		.amdhsa_user_sgpr_kernarg_preload_offset 0
		.amdhsa_user_sgpr_private_segment_size 0
		.amdhsa_uses_dynamic_stack 0
		.amdhsa_system_sgpr_private_segment_wavefront_offset 0
		.amdhsa_system_sgpr_workgroup_id_x 1
		.amdhsa_system_sgpr_workgroup_id_y 0
		.amdhsa_system_sgpr_workgroup_id_z 0
		.amdhsa_system_sgpr_workgroup_info 0
		.amdhsa_system_vgpr_workitem_id 0
		.amdhsa_next_free_vgpr 64
		.amdhsa_next_free_sgpr 44
		.amdhsa_accum_offset 64
		.amdhsa_reserve_vcc 1
		.amdhsa_reserve_flat_scratch 0
		.amdhsa_float_round_mode_32 0
		.amdhsa_float_round_mode_16_64 0
		.amdhsa_float_denorm_mode_32 3
		.amdhsa_float_denorm_mode_16_64 3
		.amdhsa_dx10_clamp 1
		.amdhsa_ieee_mode 1
		.amdhsa_fp16_overflow 0
		.amdhsa_tg_split 0
		.amdhsa_exception_fp_ieee_invalid_op 0
		.amdhsa_exception_fp_denorm_src 0
		.amdhsa_exception_fp_ieee_div_zero 0
		.amdhsa_exception_fp_ieee_overflow 0
		.amdhsa_exception_fp_ieee_underflow 0
		.amdhsa_exception_fp_ieee_inexact 0
		.amdhsa_exception_int_div_zero 0
	.end_amdhsa_kernel
	.section	.text._ZN7rocprim17ROCPRIM_400000_NS6detail17trampoline_kernelINS0_13select_configILj256ELj13ELNS0_17block_load_methodE3ELS4_3ELS4_3ELNS0_20block_scan_algorithmE0ELj4294967295EEENS1_25partition_config_selectorILNS1_17partition_subalgoE3EjNS0_10empty_typeEbEEZZNS1_14partition_implILS8_3ELb0ES6_jNS0_17counting_iteratorIjlEEPS9_SE_NS0_5tupleIJPjSE_EEENSF_IJSE_SE_EEES9_SG_JZNS1_25segmented_radix_sort_implINS0_14default_configELb0EPK12hip_bfloat16PSL_PKlPlN2at6native12_GLOBAL__N_18offset_tEEE10hipError_tPvRmT1_PNSt15iterator_traitsISZ_E10value_typeET2_T3_PNS10_IS15_E10value_typeET4_jRbjT5_S1B_jjP12ihipStream_tbEUljE_EEESW_SX_SY_S15_S19_S1B_T6_T7_T9_mT8_S1D_bDpT10_ENKUlT_T0_E_clISt17integral_constantIbLb0EES1P_IbLb1EEEEDaS1L_S1M_EUlS1L_E_NS1_11comp_targetILNS1_3genE4ELNS1_11target_archE910ELNS1_3gpuE8ELNS1_3repE0EEENS1_30default_config_static_selectorELNS0_4arch9wavefront6targetE1EEEvSZ_,"axG",@progbits,_ZN7rocprim17ROCPRIM_400000_NS6detail17trampoline_kernelINS0_13select_configILj256ELj13ELNS0_17block_load_methodE3ELS4_3ELS4_3ELNS0_20block_scan_algorithmE0ELj4294967295EEENS1_25partition_config_selectorILNS1_17partition_subalgoE3EjNS0_10empty_typeEbEEZZNS1_14partition_implILS8_3ELb0ES6_jNS0_17counting_iteratorIjlEEPS9_SE_NS0_5tupleIJPjSE_EEENSF_IJSE_SE_EEES9_SG_JZNS1_25segmented_radix_sort_implINS0_14default_configELb0EPK12hip_bfloat16PSL_PKlPlN2at6native12_GLOBAL__N_18offset_tEEE10hipError_tPvRmT1_PNSt15iterator_traitsISZ_E10value_typeET2_T3_PNS10_IS15_E10value_typeET4_jRbjT5_S1B_jjP12ihipStream_tbEUljE_EEESW_SX_SY_S15_S19_S1B_T6_T7_T9_mT8_S1D_bDpT10_ENKUlT_T0_E_clISt17integral_constantIbLb0EES1P_IbLb1EEEEDaS1L_S1M_EUlS1L_E_NS1_11comp_targetILNS1_3genE4ELNS1_11target_archE910ELNS1_3gpuE8ELNS1_3repE0EEENS1_30default_config_static_selectorELNS0_4arch9wavefront6targetE1EEEvSZ_,comdat
.Lfunc_end2041:
	.size	_ZN7rocprim17ROCPRIM_400000_NS6detail17trampoline_kernelINS0_13select_configILj256ELj13ELNS0_17block_load_methodE3ELS4_3ELS4_3ELNS0_20block_scan_algorithmE0ELj4294967295EEENS1_25partition_config_selectorILNS1_17partition_subalgoE3EjNS0_10empty_typeEbEEZZNS1_14partition_implILS8_3ELb0ES6_jNS0_17counting_iteratorIjlEEPS9_SE_NS0_5tupleIJPjSE_EEENSF_IJSE_SE_EEES9_SG_JZNS1_25segmented_radix_sort_implINS0_14default_configELb0EPK12hip_bfloat16PSL_PKlPlN2at6native12_GLOBAL__N_18offset_tEEE10hipError_tPvRmT1_PNSt15iterator_traitsISZ_E10value_typeET2_T3_PNS10_IS15_E10value_typeET4_jRbjT5_S1B_jjP12ihipStream_tbEUljE_EEESW_SX_SY_S15_S19_S1B_T6_T7_T9_mT8_S1D_bDpT10_ENKUlT_T0_E_clISt17integral_constantIbLb0EES1P_IbLb1EEEEDaS1L_S1M_EUlS1L_E_NS1_11comp_targetILNS1_3genE4ELNS1_11target_archE910ELNS1_3gpuE8ELNS1_3repE0EEENS1_30default_config_static_selectorELNS0_4arch9wavefront6targetE1EEEvSZ_, .Lfunc_end2041-_ZN7rocprim17ROCPRIM_400000_NS6detail17trampoline_kernelINS0_13select_configILj256ELj13ELNS0_17block_load_methodE3ELS4_3ELS4_3ELNS0_20block_scan_algorithmE0ELj4294967295EEENS1_25partition_config_selectorILNS1_17partition_subalgoE3EjNS0_10empty_typeEbEEZZNS1_14partition_implILS8_3ELb0ES6_jNS0_17counting_iteratorIjlEEPS9_SE_NS0_5tupleIJPjSE_EEENSF_IJSE_SE_EEES9_SG_JZNS1_25segmented_radix_sort_implINS0_14default_configELb0EPK12hip_bfloat16PSL_PKlPlN2at6native12_GLOBAL__N_18offset_tEEE10hipError_tPvRmT1_PNSt15iterator_traitsISZ_E10value_typeET2_T3_PNS10_IS15_E10value_typeET4_jRbjT5_S1B_jjP12ihipStream_tbEUljE_EEESW_SX_SY_S15_S19_S1B_T6_T7_T9_mT8_S1D_bDpT10_ENKUlT_T0_E_clISt17integral_constantIbLb0EES1P_IbLb1EEEEDaS1L_S1M_EUlS1L_E_NS1_11comp_targetILNS1_3genE4ELNS1_11target_archE910ELNS1_3gpuE8ELNS1_3repE0EEENS1_30default_config_static_selectorELNS0_4arch9wavefront6targetE1EEEvSZ_
                                        ; -- End function
	.section	.AMDGPU.csdata,"",@progbits
; Kernel info:
; codeLenInByte = 7816
; NumSgprs: 48
; NumVgprs: 64
; NumAgprs: 0
; TotalNumVgprs: 64
; ScratchSize: 0
; MemoryBound: 0
; FloatMode: 240
; IeeeMode: 1
; LDSByteSize: 13324 bytes/workgroup (compile time only)
; SGPRBlocks: 5
; VGPRBlocks: 7
; NumSGPRsForWavesPerEU: 48
; NumVGPRsForWavesPerEU: 64
; AccumOffset: 64
; Occupancy: 4
; WaveLimiterHint : 0
; COMPUTE_PGM_RSRC2:SCRATCH_EN: 0
; COMPUTE_PGM_RSRC2:USER_SGPR: 6
; COMPUTE_PGM_RSRC2:TRAP_HANDLER: 0
; COMPUTE_PGM_RSRC2:TGID_X_EN: 1
; COMPUTE_PGM_RSRC2:TGID_Y_EN: 0
; COMPUTE_PGM_RSRC2:TGID_Z_EN: 0
; COMPUTE_PGM_RSRC2:TIDIG_COMP_CNT: 0
; COMPUTE_PGM_RSRC3_GFX90A:ACCUM_OFFSET: 15
; COMPUTE_PGM_RSRC3_GFX90A:TG_SPLIT: 0
	.section	.text._ZN7rocprim17ROCPRIM_400000_NS6detail17trampoline_kernelINS0_13select_configILj256ELj13ELNS0_17block_load_methodE3ELS4_3ELS4_3ELNS0_20block_scan_algorithmE0ELj4294967295EEENS1_25partition_config_selectorILNS1_17partition_subalgoE3EjNS0_10empty_typeEbEEZZNS1_14partition_implILS8_3ELb0ES6_jNS0_17counting_iteratorIjlEEPS9_SE_NS0_5tupleIJPjSE_EEENSF_IJSE_SE_EEES9_SG_JZNS1_25segmented_radix_sort_implINS0_14default_configELb0EPK12hip_bfloat16PSL_PKlPlN2at6native12_GLOBAL__N_18offset_tEEE10hipError_tPvRmT1_PNSt15iterator_traitsISZ_E10value_typeET2_T3_PNS10_IS15_E10value_typeET4_jRbjT5_S1B_jjP12ihipStream_tbEUljE_EEESW_SX_SY_S15_S19_S1B_T6_T7_T9_mT8_S1D_bDpT10_ENKUlT_T0_E_clISt17integral_constantIbLb0EES1P_IbLb1EEEEDaS1L_S1M_EUlS1L_E_NS1_11comp_targetILNS1_3genE3ELNS1_11target_archE908ELNS1_3gpuE7ELNS1_3repE0EEENS1_30default_config_static_selectorELNS0_4arch9wavefront6targetE1EEEvSZ_,"axG",@progbits,_ZN7rocprim17ROCPRIM_400000_NS6detail17trampoline_kernelINS0_13select_configILj256ELj13ELNS0_17block_load_methodE3ELS4_3ELS4_3ELNS0_20block_scan_algorithmE0ELj4294967295EEENS1_25partition_config_selectorILNS1_17partition_subalgoE3EjNS0_10empty_typeEbEEZZNS1_14partition_implILS8_3ELb0ES6_jNS0_17counting_iteratorIjlEEPS9_SE_NS0_5tupleIJPjSE_EEENSF_IJSE_SE_EEES9_SG_JZNS1_25segmented_radix_sort_implINS0_14default_configELb0EPK12hip_bfloat16PSL_PKlPlN2at6native12_GLOBAL__N_18offset_tEEE10hipError_tPvRmT1_PNSt15iterator_traitsISZ_E10value_typeET2_T3_PNS10_IS15_E10value_typeET4_jRbjT5_S1B_jjP12ihipStream_tbEUljE_EEESW_SX_SY_S15_S19_S1B_T6_T7_T9_mT8_S1D_bDpT10_ENKUlT_T0_E_clISt17integral_constantIbLb0EES1P_IbLb1EEEEDaS1L_S1M_EUlS1L_E_NS1_11comp_targetILNS1_3genE3ELNS1_11target_archE908ELNS1_3gpuE7ELNS1_3repE0EEENS1_30default_config_static_selectorELNS0_4arch9wavefront6targetE1EEEvSZ_,comdat
	.globl	_ZN7rocprim17ROCPRIM_400000_NS6detail17trampoline_kernelINS0_13select_configILj256ELj13ELNS0_17block_load_methodE3ELS4_3ELS4_3ELNS0_20block_scan_algorithmE0ELj4294967295EEENS1_25partition_config_selectorILNS1_17partition_subalgoE3EjNS0_10empty_typeEbEEZZNS1_14partition_implILS8_3ELb0ES6_jNS0_17counting_iteratorIjlEEPS9_SE_NS0_5tupleIJPjSE_EEENSF_IJSE_SE_EEES9_SG_JZNS1_25segmented_radix_sort_implINS0_14default_configELb0EPK12hip_bfloat16PSL_PKlPlN2at6native12_GLOBAL__N_18offset_tEEE10hipError_tPvRmT1_PNSt15iterator_traitsISZ_E10value_typeET2_T3_PNS10_IS15_E10value_typeET4_jRbjT5_S1B_jjP12ihipStream_tbEUljE_EEESW_SX_SY_S15_S19_S1B_T6_T7_T9_mT8_S1D_bDpT10_ENKUlT_T0_E_clISt17integral_constantIbLb0EES1P_IbLb1EEEEDaS1L_S1M_EUlS1L_E_NS1_11comp_targetILNS1_3genE3ELNS1_11target_archE908ELNS1_3gpuE7ELNS1_3repE0EEENS1_30default_config_static_selectorELNS0_4arch9wavefront6targetE1EEEvSZ_ ; -- Begin function _ZN7rocprim17ROCPRIM_400000_NS6detail17trampoline_kernelINS0_13select_configILj256ELj13ELNS0_17block_load_methodE3ELS4_3ELS4_3ELNS0_20block_scan_algorithmE0ELj4294967295EEENS1_25partition_config_selectorILNS1_17partition_subalgoE3EjNS0_10empty_typeEbEEZZNS1_14partition_implILS8_3ELb0ES6_jNS0_17counting_iteratorIjlEEPS9_SE_NS0_5tupleIJPjSE_EEENSF_IJSE_SE_EEES9_SG_JZNS1_25segmented_radix_sort_implINS0_14default_configELb0EPK12hip_bfloat16PSL_PKlPlN2at6native12_GLOBAL__N_18offset_tEEE10hipError_tPvRmT1_PNSt15iterator_traitsISZ_E10value_typeET2_T3_PNS10_IS15_E10value_typeET4_jRbjT5_S1B_jjP12ihipStream_tbEUljE_EEESW_SX_SY_S15_S19_S1B_T6_T7_T9_mT8_S1D_bDpT10_ENKUlT_T0_E_clISt17integral_constantIbLb0EES1P_IbLb1EEEEDaS1L_S1M_EUlS1L_E_NS1_11comp_targetILNS1_3genE3ELNS1_11target_archE908ELNS1_3gpuE7ELNS1_3repE0EEENS1_30default_config_static_selectorELNS0_4arch9wavefront6targetE1EEEvSZ_
	.p2align	8
	.type	_ZN7rocprim17ROCPRIM_400000_NS6detail17trampoline_kernelINS0_13select_configILj256ELj13ELNS0_17block_load_methodE3ELS4_3ELS4_3ELNS0_20block_scan_algorithmE0ELj4294967295EEENS1_25partition_config_selectorILNS1_17partition_subalgoE3EjNS0_10empty_typeEbEEZZNS1_14partition_implILS8_3ELb0ES6_jNS0_17counting_iteratorIjlEEPS9_SE_NS0_5tupleIJPjSE_EEENSF_IJSE_SE_EEES9_SG_JZNS1_25segmented_radix_sort_implINS0_14default_configELb0EPK12hip_bfloat16PSL_PKlPlN2at6native12_GLOBAL__N_18offset_tEEE10hipError_tPvRmT1_PNSt15iterator_traitsISZ_E10value_typeET2_T3_PNS10_IS15_E10value_typeET4_jRbjT5_S1B_jjP12ihipStream_tbEUljE_EEESW_SX_SY_S15_S19_S1B_T6_T7_T9_mT8_S1D_bDpT10_ENKUlT_T0_E_clISt17integral_constantIbLb0EES1P_IbLb1EEEEDaS1L_S1M_EUlS1L_E_NS1_11comp_targetILNS1_3genE3ELNS1_11target_archE908ELNS1_3gpuE7ELNS1_3repE0EEENS1_30default_config_static_selectorELNS0_4arch9wavefront6targetE1EEEvSZ_,@function
_ZN7rocprim17ROCPRIM_400000_NS6detail17trampoline_kernelINS0_13select_configILj256ELj13ELNS0_17block_load_methodE3ELS4_3ELS4_3ELNS0_20block_scan_algorithmE0ELj4294967295EEENS1_25partition_config_selectorILNS1_17partition_subalgoE3EjNS0_10empty_typeEbEEZZNS1_14partition_implILS8_3ELb0ES6_jNS0_17counting_iteratorIjlEEPS9_SE_NS0_5tupleIJPjSE_EEENSF_IJSE_SE_EEES9_SG_JZNS1_25segmented_radix_sort_implINS0_14default_configELb0EPK12hip_bfloat16PSL_PKlPlN2at6native12_GLOBAL__N_18offset_tEEE10hipError_tPvRmT1_PNSt15iterator_traitsISZ_E10value_typeET2_T3_PNS10_IS15_E10value_typeET4_jRbjT5_S1B_jjP12ihipStream_tbEUljE_EEESW_SX_SY_S15_S19_S1B_T6_T7_T9_mT8_S1D_bDpT10_ENKUlT_T0_E_clISt17integral_constantIbLb0EES1P_IbLb1EEEEDaS1L_S1M_EUlS1L_E_NS1_11comp_targetILNS1_3genE3ELNS1_11target_archE908ELNS1_3gpuE7ELNS1_3repE0EEENS1_30default_config_static_selectorELNS0_4arch9wavefront6targetE1EEEvSZ_: ; @_ZN7rocprim17ROCPRIM_400000_NS6detail17trampoline_kernelINS0_13select_configILj256ELj13ELNS0_17block_load_methodE3ELS4_3ELS4_3ELNS0_20block_scan_algorithmE0ELj4294967295EEENS1_25partition_config_selectorILNS1_17partition_subalgoE3EjNS0_10empty_typeEbEEZZNS1_14partition_implILS8_3ELb0ES6_jNS0_17counting_iteratorIjlEEPS9_SE_NS0_5tupleIJPjSE_EEENSF_IJSE_SE_EEES9_SG_JZNS1_25segmented_radix_sort_implINS0_14default_configELb0EPK12hip_bfloat16PSL_PKlPlN2at6native12_GLOBAL__N_18offset_tEEE10hipError_tPvRmT1_PNSt15iterator_traitsISZ_E10value_typeET2_T3_PNS10_IS15_E10value_typeET4_jRbjT5_S1B_jjP12ihipStream_tbEUljE_EEESW_SX_SY_S15_S19_S1B_T6_T7_T9_mT8_S1D_bDpT10_ENKUlT_T0_E_clISt17integral_constantIbLb0EES1P_IbLb1EEEEDaS1L_S1M_EUlS1L_E_NS1_11comp_targetILNS1_3genE3ELNS1_11target_archE908ELNS1_3gpuE7ELNS1_3repE0EEENS1_30default_config_static_selectorELNS0_4arch9wavefront6targetE1EEEvSZ_
; %bb.0:
	.section	.rodata,"a",@progbits
	.p2align	6, 0x0
	.amdhsa_kernel _ZN7rocprim17ROCPRIM_400000_NS6detail17trampoline_kernelINS0_13select_configILj256ELj13ELNS0_17block_load_methodE3ELS4_3ELS4_3ELNS0_20block_scan_algorithmE0ELj4294967295EEENS1_25partition_config_selectorILNS1_17partition_subalgoE3EjNS0_10empty_typeEbEEZZNS1_14partition_implILS8_3ELb0ES6_jNS0_17counting_iteratorIjlEEPS9_SE_NS0_5tupleIJPjSE_EEENSF_IJSE_SE_EEES9_SG_JZNS1_25segmented_radix_sort_implINS0_14default_configELb0EPK12hip_bfloat16PSL_PKlPlN2at6native12_GLOBAL__N_18offset_tEEE10hipError_tPvRmT1_PNSt15iterator_traitsISZ_E10value_typeET2_T3_PNS10_IS15_E10value_typeET4_jRbjT5_S1B_jjP12ihipStream_tbEUljE_EEESW_SX_SY_S15_S19_S1B_T6_T7_T9_mT8_S1D_bDpT10_ENKUlT_T0_E_clISt17integral_constantIbLb0EES1P_IbLb1EEEEDaS1L_S1M_EUlS1L_E_NS1_11comp_targetILNS1_3genE3ELNS1_11target_archE908ELNS1_3gpuE7ELNS1_3repE0EEENS1_30default_config_static_selectorELNS0_4arch9wavefront6targetE1EEEvSZ_
		.amdhsa_group_segment_fixed_size 0
		.amdhsa_private_segment_fixed_size 0
		.amdhsa_kernarg_size 152
		.amdhsa_user_sgpr_count 6
		.amdhsa_user_sgpr_private_segment_buffer 1
		.amdhsa_user_sgpr_dispatch_ptr 0
		.amdhsa_user_sgpr_queue_ptr 0
		.amdhsa_user_sgpr_kernarg_segment_ptr 1
		.amdhsa_user_sgpr_dispatch_id 0
		.amdhsa_user_sgpr_flat_scratch_init 0
		.amdhsa_user_sgpr_kernarg_preload_length 0
		.amdhsa_user_sgpr_kernarg_preload_offset 0
		.amdhsa_user_sgpr_private_segment_size 0
		.amdhsa_uses_dynamic_stack 0
		.amdhsa_system_sgpr_private_segment_wavefront_offset 0
		.amdhsa_system_sgpr_workgroup_id_x 1
		.amdhsa_system_sgpr_workgroup_id_y 0
		.amdhsa_system_sgpr_workgroup_id_z 0
		.amdhsa_system_sgpr_workgroup_info 0
		.amdhsa_system_vgpr_workitem_id 0
		.amdhsa_next_free_vgpr 1
		.amdhsa_next_free_sgpr 0
		.amdhsa_accum_offset 4
		.amdhsa_reserve_vcc 0
		.amdhsa_reserve_flat_scratch 0
		.amdhsa_float_round_mode_32 0
		.amdhsa_float_round_mode_16_64 0
		.amdhsa_float_denorm_mode_32 3
		.amdhsa_float_denorm_mode_16_64 3
		.amdhsa_dx10_clamp 1
		.amdhsa_ieee_mode 1
		.amdhsa_fp16_overflow 0
		.amdhsa_tg_split 0
		.amdhsa_exception_fp_ieee_invalid_op 0
		.amdhsa_exception_fp_denorm_src 0
		.amdhsa_exception_fp_ieee_div_zero 0
		.amdhsa_exception_fp_ieee_overflow 0
		.amdhsa_exception_fp_ieee_underflow 0
		.amdhsa_exception_fp_ieee_inexact 0
		.amdhsa_exception_int_div_zero 0
	.end_amdhsa_kernel
	.section	.text._ZN7rocprim17ROCPRIM_400000_NS6detail17trampoline_kernelINS0_13select_configILj256ELj13ELNS0_17block_load_methodE3ELS4_3ELS4_3ELNS0_20block_scan_algorithmE0ELj4294967295EEENS1_25partition_config_selectorILNS1_17partition_subalgoE3EjNS0_10empty_typeEbEEZZNS1_14partition_implILS8_3ELb0ES6_jNS0_17counting_iteratorIjlEEPS9_SE_NS0_5tupleIJPjSE_EEENSF_IJSE_SE_EEES9_SG_JZNS1_25segmented_radix_sort_implINS0_14default_configELb0EPK12hip_bfloat16PSL_PKlPlN2at6native12_GLOBAL__N_18offset_tEEE10hipError_tPvRmT1_PNSt15iterator_traitsISZ_E10value_typeET2_T3_PNS10_IS15_E10value_typeET4_jRbjT5_S1B_jjP12ihipStream_tbEUljE_EEESW_SX_SY_S15_S19_S1B_T6_T7_T9_mT8_S1D_bDpT10_ENKUlT_T0_E_clISt17integral_constantIbLb0EES1P_IbLb1EEEEDaS1L_S1M_EUlS1L_E_NS1_11comp_targetILNS1_3genE3ELNS1_11target_archE908ELNS1_3gpuE7ELNS1_3repE0EEENS1_30default_config_static_selectorELNS0_4arch9wavefront6targetE1EEEvSZ_,"axG",@progbits,_ZN7rocprim17ROCPRIM_400000_NS6detail17trampoline_kernelINS0_13select_configILj256ELj13ELNS0_17block_load_methodE3ELS4_3ELS4_3ELNS0_20block_scan_algorithmE0ELj4294967295EEENS1_25partition_config_selectorILNS1_17partition_subalgoE3EjNS0_10empty_typeEbEEZZNS1_14partition_implILS8_3ELb0ES6_jNS0_17counting_iteratorIjlEEPS9_SE_NS0_5tupleIJPjSE_EEENSF_IJSE_SE_EEES9_SG_JZNS1_25segmented_radix_sort_implINS0_14default_configELb0EPK12hip_bfloat16PSL_PKlPlN2at6native12_GLOBAL__N_18offset_tEEE10hipError_tPvRmT1_PNSt15iterator_traitsISZ_E10value_typeET2_T3_PNS10_IS15_E10value_typeET4_jRbjT5_S1B_jjP12ihipStream_tbEUljE_EEESW_SX_SY_S15_S19_S1B_T6_T7_T9_mT8_S1D_bDpT10_ENKUlT_T0_E_clISt17integral_constantIbLb0EES1P_IbLb1EEEEDaS1L_S1M_EUlS1L_E_NS1_11comp_targetILNS1_3genE3ELNS1_11target_archE908ELNS1_3gpuE7ELNS1_3repE0EEENS1_30default_config_static_selectorELNS0_4arch9wavefront6targetE1EEEvSZ_,comdat
.Lfunc_end2042:
	.size	_ZN7rocprim17ROCPRIM_400000_NS6detail17trampoline_kernelINS0_13select_configILj256ELj13ELNS0_17block_load_methodE3ELS4_3ELS4_3ELNS0_20block_scan_algorithmE0ELj4294967295EEENS1_25partition_config_selectorILNS1_17partition_subalgoE3EjNS0_10empty_typeEbEEZZNS1_14partition_implILS8_3ELb0ES6_jNS0_17counting_iteratorIjlEEPS9_SE_NS0_5tupleIJPjSE_EEENSF_IJSE_SE_EEES9_SG_JZNS1_25segmented_radix_sort_implINS0_14default_configELb0EPK12hip_bfloat16PSL_PKlPlN2at6native12_GLOBAL__N_18offset_tEEE10hipError_tPvRmT1_PNSt15iterator_traitsISZ_E10value_typeET2_T3_PNS10_IS15_E10value_typeET4_jRbjT5_S1B_jjP12ihipStream_tbEUljE_EEESW_SX_SY_S15_S19_S1B_T6_T7_T9_mT8_S1D_bDpT10_ENKUlT_T0_E_clISt17integral_constantIbLb0EES1P_IbLb1EEEEDaS1L_S1M_EUlS1L_E_NS1_11comp_targetILNS1_3genE3ELNS1_11target_archE908ELNS1_3gpuE7ELNS1_3repE0EEENS1_30default_config_static_selectorELNS0_4arch9wavefront6targetE1EEEvSZ_, .Lfunc_end2042-_ZN7rocprim17ROCPRIM_400000_NS6detail17trampoline_kernelINS0_13select_configILj256ELj13ELNS0_17block_load_methodE3ELS4_3ELS4_3ELNS0_20block_scan_algorithmE0ELj4294967295EEENS1_25partition_config_selectorILNS1_17partition_subalgoE3EjNS0_10empty_typeEbEEZZNS1_14partition_implILS8_3ELb0ES6_jNS0_17counting_iteratorIjlEEPS9_SE_NS0_5tupleIJPjSE_EEENSF_IJSE_SE_EEES9_SG_JZNS1_25segmented_radix_sort_implINS0_14default_configELb0EPK12hip_bfloat16PSL_PKlPlN2at6native12_GLOBAL__N_18offset_tEEE10hipError_tPvRmT1_PNSt15iterator_traitsISZ_E10value_typeET2_T3_PNS10_IS15_E10value_typeET4_jRbjT5_S1B_jjP12ihipStream_tbEUljE_EEESW_SX_SY_S15_S19_S1B_T6_T7_T9_mT8_S1D_bDpT10_ENKUlT_T0_E_clISt17integral_constantIbLb0EES1P_IbLb1EEEEDaS1L_S1M_EUlS1L_E_NS1_11comp_targetILNS1_3genE3ELNS1_11target_archE908ELNS1_3gpuE7ELNS1_3repE0EEENS1_30default_config_static_selectorELNS0_4arch9wavefront6targetE1EEEvSZ_
                                        ; -- End function
	.section	.AMDGPU.csdata,"",@progbits
; Kernel info:
; codeLenInByte = 0
; NumSgprs: 4
; NumVgprs: 0
; NumAgprs: 0
; TotalNumVgprs: 0
; ScratchSize: 0
; MemoryBound: 0
; FloatMode: 240
; IeeeMode: 1
; LDSByteSize: 0 bytes/workgroup (compile time only)
; SGPRBlocks: 0
; VGPRBlocks: 0
; NumSGPRsForWavesPerEU: 4
; NumVGPRsForWavesPerEU: 1
; AccumOffset: 4
; Occupancy: 8
; WaveLimiterHint : 0
; COMPUTE_PGM_RSRC2:SCRATCH_EN: 0
; COMPUTE_PGM_RSRC2:USER_SGPR: 6
; COMPUTE_PGM_RSRC2:TRAP_HANDLER: 0
; COMPUTE_PGM_RSRC2:TGID_X_EN: 1
; COMPUTE_PGM_RSRC2:TGID_Y_EN: 0
; COMPUTE_PGM_RSRC2:TGID_Z_EN: 0
; COMPUTE_PGM_RSRC2:TIDIG_COMP_CNT: 0
; COMPUTE_PGM_RSRC3_GFX90A:ACCUM_OFFSET: 0
; COMPUTE_PGM_RSRC3_GFX90A:TG_SPLIT: 0
	.section	.text._ZN7rocprim17ROCPRIM_400000_NS6detail17trampoline_kernelINS0_13select_configILj256ELj13ELNS0_17block_load_methodE3ELS4_3ELS4_3ELNS0_20block_scan_algorithmE0ELj4294967295EEENS1_25partition_config_selectorILNS1_17partition_subalgoE3EjNS0_10empty_typeEbEEZZNS1_14partition_implILS8_3ELb0ES6_jNS0_17counting_iteratorIjlEEPS9_SE_NS0_5tupleIJPjSE_EEENSF_IJSE_SE_EEES9_SG_JZNS1_25segmented_radix_sort_implINS0_14default_configELb0EPK12hip_bfloat16PSL_PKlPlN2at6native12_GLOBAL__N_18offset_tEEE10hipError_tPvRmT1_PNSt15iterator_traitsISZ_E10value_typeET2_T3_PNS10_IS15_E10value_typeET4_jRbjT5_S1B_jjP12ihipStream_tbEUljE_EEESW_SX_SY_S15_S19_S1B_T6_T7_T9_mT8_S1D_bDpT10_ENKUlT_T0_E_clISt17integral_constantIbLb0EES1P_IbLb1EEEEDaS1L_S1M_EUlS1L_E_NS1_11comp_targetILNS1_3genE2ELNS1_11target_archE906ELNS1_3gpuE6ELNS1_3repE0EEENS1_30default_config_static_selectorELNS0_4arch9wavefront6targetE1EEEvSZ_,"axG",@progbits,_ZN7rocprim17ROCPRIM_400000_NS6detail17trampoline_kernelINS0_13select_configILj256ELj13ELNS0_17block_load_methodE3ELS4_3ELS4_3ELNS0_20block_scan_algorithmE0ELj4294967295EEENS1_25partition_config_selectorILNS1_17partition_subalgoE3EjNS0_10empty_typeEbEEZZNS1_14partition_implILS8_3ELb0ES6_jNS0_17counting_iteratorIjlEEPS9_SE_NS0_5tupleIJPjSE_EEENSF_IJSE_SE_EEES9_SG_JZNS1_25segmented_radix_sort_implINS0_14default_configELb0EPK12hip_bfloat16PSL_PKlPlN2at6native12_GLOBAL__N_18offset_tEEE10hipError_tPvRmT1_PNSt15iterator_traitsISZ_E10value_typeET2_T3_PNS10_IS15_E10value_typeET4_jRbjT5_S1B_jjP12ihipStream_tbEUljE_EEESW_SX_SY_S15_S19_S1B_T6_T7_T9_mT8_S1D_bDpT10_ENKUlT_T0_E_clISt17integral_constantIbLb0EES1P_IbLb1EEEEDaS1L_S1M_EUlS1L_E_NS1_11comp_targetILNS1_3genE2ELNS1_11target_archE906ELNS1_3gpuE6ELNS1_3repE0EEENS1_30default_config_static_selectorELNS0_4arch9wavefront6targetE1EEEvSZ_,comdat
	.globl	_ZN7rocprim17ROCPRIM_400000_NS6detail17trampoline_kernelINS0_13select_configILj256ELj13ELNS0_17block_load_methodE3ELS4_3ELS4_3ELNS0_20block_scan_algorithmE0ELj4294967295EEENS1_25partition_config_selectorILNS1_17partition_subalgoE3EjNS0_10empty_typeEbEEZZNS1_14partition_implILS8_3ELb0ES6_jNS0_17counting_iteratorIjlEEPS9_SE_NS0_5tupleIJPjSE_EEENSF_IJSE_SE_EEES9_SG_JZNS1_25segmented_radix_sort_implINS0_14default_configELb0EPK12hip_bfloat16PSL_PKlPlN2at6native12_GLOBAL__N_18offset_tEEE10hipError_tPvRmT1_PNSt15iterator_traitsISZ_E10value_typeET2_T3_PNS10_IS15_E10value_typeET4_jRbjT5_S1B_jjP12ihipStream_tbEUljE_EEESW_SX_SY_S15_S19_S1B_T6_T7_T9_mT8_S1D_bDpT10_ENKUlT_T0_E_clISt17integral_constantIbLb0EES1P_IbLb1EEEEDaS1L_S1M_EUlS1L_E_NS1_11comp_targetILNS1_3genE2ELNS1_11target_archE906ELNS1_3gpuE6ELNS1_3repE0EEENS1_30default_config_static_selectorELNS0_4arch9wavefront6targetE1EEEvSZ_ ; -- Begin function _ZN7rocprim17ROCPRIM_400000_NS6detail17trampoline_kernelINS0_13select_configILj256ELj13ELNS0_17block_load_methodE3ELS4_3ELS4_3ELNS0_20block_scan_algorithmE0ELj4294967295EEENS1_25partition_config_selectorILNS1_17partition_subalgoE3EjNS0_10empty_typeEbEEZZNS1_14partition_implILS8_3ELb0ES6_jNS0_17counting_iteratorIjlEEPS9_SE_NS0_5tupleIJPjSE_EEENSF_IJSE_SE_EEES9_SG_JZNS1_25segmented_radix_sort_implINS0_14default_configELb0EPK12hip_bfloat16PSL_PKlPlN2at6native12_GLOBAL__N_18offset_tEEE10hipError_tPvRmT1_PNSt15iterator_traitsISZ_E10value_typeET2_T3_PNS10_IS15_E10value_typeET4_jRbjT5_S1B_jjP12ihipStream_tbEUljE_EEESW_SX_SY_S15_S19_S1B_T6_T7_T9_mT8_S1D_bDpT10_ENKUlT_T0_E_clISt17integral_constantIbLb0EES1P_IbLb1EEEEDaS1L_S1M_EUlS1L_E_NS1_11comp_targetILNS1_3genE2ELNS1_11target_archE906ELNS1_3gpuE6ELNS1_3repE0EEENS1_30default_config_static_selectorELNS0_4arch9wavefront6targetE1EEEvSZ_
	.p2align	8
	.type	_ZN7rocprim17ROCPRIM_400000_NS6detail17trampoline_kernelINS0_13select_configILj256ELj13ELNS0_17block_load_methodE3ELS4_3ELS4_3ELNS0_20block_scan_algorithmE0ELj4294967295EEENS1_25partition_config_selectorILNS1_17partition_subalgoE3EjNS0_10empty_typeEbEEZZNS1_14partition_implILS8_3ELb0ES6_jNS0_17counting_iteratorIjlEEPS9_SE_NS0_5tupleIJPjSE_EEENSF_IJSE_SE_EEES9_SG_JZNS1_25segmented_radix_sort_implINS0_14default_configELb0EPK12hip_bfloat16PSL_PKlPlN2at6native12_GLOBAL__N_18offset_tEEE10hipError_tPvRmT1_PNSt15iterator_traitsISZ_E10value_typeET2_T3_PNS10_IS15_E10value_typeET4_jRbjT5_S1B_jjP12ihipStream_tbEUljE_EEESW_SX_SY_S15_S19_S1B_T6_T7_T9_mT8_S1D_bDpT10_ENKUlT_T0_E_clISt17integral_constantIbLb0EES1P_IbLb1EEEEDaS1L_S1M_EUlS1L_E_NS1_11comp_targetILNS1_3genE2ELNS1_11target_archE906ELNS1_3gpuE6ELNS1_3repE0EEENS1_30default_config_static_selectorELNS0_4arch9wavefront6targetE1EEEvSZ_,@function
_ZN7rocprim17ROCPRIM_400000_NS6detail17trampoline_kernelINS0_13select_configILj256ELj13ELNS0_17block_load_methodE3ELS4_3ELS4_3ELNS0_20block_scan_algorithmE0ELj4294967295EEENS1_25partition_config_selectorILNS1_17partition_subalgoE3EjNS0_10empty_typeEbEEZZNS1_14partition_implILS8_3ELb0ES6_jNS0_17counting_iteratorIjlEEPS9_SE_NS0_5tupleIJPjSE_EEENSF_IJSE_SE_EEES9_SG_JZNS1_25segmented_radix_sort_implINS0_14default_configELb0EPK12hip_bfloat16PSL_PKlPlN2at6native12_GLOBAL__N_18offset_tEEE10hipError_tPvRmT1_PNSt15iterator_traitsISZ_E10value_typeET2_T3_PNS10_IS15_E10value_typeET4_jRbjT5_S1B_jjP12ihipStream_tbEUljE_EEESW_SX_SY_S15_S19_S1B_T6_T7_T9_mT8_S1D_bDpT10_ENKUlT_T0_E_clISt17integral_constantIbLb0EES1P_IbLb1EEEEDaS1L_S1M_EUlS1L_E_NS1_11comp_targetILNS1_3genE2ELNS1_11target_archE906ELNS1_3gpuE6ELNS1_3repE0EEENS1_30default_config_static_selectorELNS0_4arch9wavefront6targetE1EEEvSZ_: ; @_ZN7rocprim17ROCPRIM_400000_NS6detail17trampoline_kernelINS0_13select_configILj256ELj13ELNS0_17block_load_methodE3ELS4_3ELS4_3ELNS0_20block_scan_algorithmE0ELj4294967295EEENS1_25partition_config_selectorILNS1_17partition_subalgoE3EjNS0_10empty_typeEbEEZZNS1_14partition_implILS8_3ELb0ES6_jNS0_17counting_iteratorIjlEEPS9_SE_NS0_5tupleIJPjSE_EEENSF_IJSE_SE_EEES9_SG_JZNS1_25segmented_radix_sort_implINS0_14default_configELb0EPK12hip_bfloat16PSL_PKlPlN2at6native12_GLOBAL__N_18offset_tEEE10hipError_tPvRmT1_PNSt15iterator_traitsISZ_E10value_typeET2_T3_PNS10_IS15_E10value_typeET4_jRbjT5_S1B_jjP12ihipStream_tbEUljE_EEESW_SX_SY_S15_S19_S1B_T6_T7_T9_mT8_S1D_bDpT10_ENKUlT_T0_E_clISt17integral_constantIbLb0EES1P_IbLb1EEEEDaS1L_S1M_EUlS1L_E_NS1_11comp_targetILNS1_3genE2ELNS1_11target_archE906ELNS1_3gpuE6ELNS1_3repE0EEENS1_30default_config_static_selectorELNS0_4arch9wavefront6targetE1EEEvSZ_
; %bb.0:
	.section	.rodata,"a",@progbits
	.p2align	6, 0x0
	.amdhsa_kernel _ZN7rocprim17ROCPRIM_400000_NS6detail17trampoline_kernelINS0_13select_configILj256ELj13ELNS0_17block_load_methodE3ELS4_3ELS4_3ELNS0_20block_scan_algorithmE0ELj4294967295EEENS1_25partition_config_selectorILNS1_17partition_subalgoE3EjNS0_10empty_typeEbEEZZNS1_14partition_implILS8_3ELb0ES6_jNS0_17counting_iteratorIjlEEPS9_SE_NS0_5tupleIJPjSE_EEENSF_IJSE_SE_EEES9_SG_JZNS1_25segmented_radix_sort_implINS0_14default_configELb0EPK12hip_bfloat16PSL_PKlPlN2at6native12_GLOBAL__N_18offset_tEEE10hipError_tPvRmT1_PNSt15iterator_traitsISZ_E10value_typeET2_T3_PNS10_IS15_E10value_typeET4_jRbjT5_S1B_jjP12ihipStream_tbEUljE_EEESW_SX_SY_S15_S19_S1B_T6_T7_T9_mT8_S1D_bDpT10_ENKUlT_T0_E_clISt17integral_constantIbLb0EES1P_IbLb1EEEEDaS1L_S1M_EUlS1L_E_NS1_11comp_targetILNS1_3genE2ELNS1_11target_archE906ELNS1_3gpuE6ELNS1_3repE0EEENS1_30default_config_static_selectorELNS0_4arch9wavefront6targetE1EEEvSZ_
		.amdhsa_group_segment_fixed_size 0
		.amdhsa_private_segment_fixed_size 0
		.amdhsa_kernarg_size 152
		.amdhsa_user_sgpr_count 6
		.amdhsa_user_sgpr_private_segment_buffer 1
		.amdhsa_user_sgpr_dispatch_ptr 0
		.amdhsa_user_sgpr_queue_ptr 0
		.amdhsa_user_sgpr_kernarg_segment_ptr 1
		.amdhsa_user_sgpr_dispatch_id 0
		.amdhsa_user_sgpr_flat_scratch_init 0
		.amdhsa_user_sgpr_kernarg_preload_length 0
		.amdhsa_user_sgpr_kernarg_preload_offset 0
		.amdhsa_user_sgpr_private_segment_size 0
		.amdhsa_uses_dynamic_stack 0
		.amdhsa_system_sgpr_private_segment_wavefront_offset 0
		.amdhsa_system_sgpr_workgroup_id_x 1
		.amdhsa_system_sgpr_workgroup_id_y 0
		.amdhsa_system_sgpr_workgroup_id_z 0
		.amdhsa_system_sgpr_workgroup_info 0
		.amdhsa_system_vgpr_workitem_id 0
		.amdhsa_next_free_vgpr 1
		.amdhsa_next_free_sgpr 0
		.amdhsa_accum_offset 4
		.amdhsa_reserve_vcc 0
		.amdhsa_reserve_flat_scratch 0
		.amdhsa_float_round_mode_32 0
		.amdhsa_float_round_mode_16_64 0
		.amdhsa_float_denorm_mode_32 3
		.amdhsa_float_denorm_mode_16_64 3
		.amdhsa_dx10_clamp 1
		.amdhsa_ieee_mode 1
		.amdhsa_fp16_overflow 0
		.amdhsa_tg_split 0
		.amdhsa_exception_fp_ieee_invalid_op 0
		.amdhsa_exception_fp_denorm_src 0
		.amdhsa_exception_fp_ieee_div_zero 0
		.amdhsa_exception_fp_ieee_overflow 0
		.amdhsa_exception_fp_ieee_underflow 0
		.amdhsa_exception_fp_ieee_inexact 0
		.amdhsa_exception_int_div_zero 0
	.end_amdhsa_kernel
	.section	.text._ZN7rocprim17ROCPRIM_400000_NS6detail17trampoline_kernelINS0_13select_configILj256ELj13ELNS0_17block_load_methodE3ELS4_3ELS4_3ELNS0_20block_scan_algorithmE0ELj4294967295EEENS1_25partition_config_selectorILNS1_17partition_subalgoE3EjNS0_10empty_typeEbEEZZNS1_14partition_implILS8_3ELb0ES6_jNS0_17counting_iteratorIjlEEPS9_SE_NS0_5tupleIJPjSE_EEENSF_IJSE_SE_EEES9_SG_JZNS1_25segmented_radix_sort_implINS0_14default_configELb0EPK12hip_bfloat16PSL_PKlPlN2at6native12_GLOBAL__N_18offset_tEEE10hipError_tPvRmT1_PNSt15iterator_traitsISZ_E10value_typeET2_T3_PNS10_IS15_E10value_typeET4_jRbjT5_S1B_jjP12ihipStream_tbEUljE_EEESW_SX_SY_S15_S19_S1B_T6_T7_T9_mT8_S1D_bDpT10_ENKUlT_T0_E_clISt17integral_constantIbLb0EES1P_IbLb1EEEEDaS1L_S1M_EUlS1L_E_NS1_11comp_targetILNS1_3genE2ELNS1_11target_archE906ELNS1_3gpuE6ELNS1_3repE0EEENS1_30default_config_static_selectorELNS0_4arch9wavefront6targetE1EEEvSZ_,"axG",@progbits,_ZN7rocprim17ROCPRIM_400000_NS6detail17trampoline_kernelINS0_13select_configILj256ELj13ELNS0_17block_load_methodE3ELS4_3ELS4_3ELNS0_20block_scan_algorithmE0ELj4294967295EEENS1_25partition_config_selectorILNS1_17partition_subalgoE3EjNS0_10empty_typeEbEEZZNS1_14partition_implILS8_3ELb0ES6_jNS0_17counting_iteratorIjlEEPS9_SE_NS0_5tupleIJPjSE_EEENSF_IJSE_SE_EEES9_SG_JZNS1_25segmented_radix_sort_implINS0_14default_configELb0EPK12hip_bfloat16PSL_PKlPlN2at6native12_GLOBAL__N_18offset_tEEE10hipError_tPvRmT1_PNSt15iterator_traitsISZ_E10value_typeET2_T3_PNS10_IS15_E10value_typeET4_jRbjT5_S1B_jjP12ihipStream_tbEUljE_EEESW_SX_SY_S15_S19_S1B_T6_T7_T9_mT8_S1D_bDpT10_ENKUlT_T0_E_clISt17integral_constantIbLb0EES1P_IbLb1EEEEDaS1L_S1M_EUlS1L_E_NS1_11comp_targetILNS1_3genE2ELNS1_11target_archE906ELNS1_3gpuE6ELNS1_3repE0EEENS1_30default_config_static_selectorELNS0_4arch9wavefront6targetE1EEEvSZ_,comdat
.Lfunc_end2043:
	.size	_ZN7rocprim17ROCPRIM_400000_NS6detail17trampoline_kernelINS0_13select_configILj256ELj13ELNS0_17block_load_methodE3ELS4_3ELS4_3ELNS0_20block_scan_algorithmE0ELj4294967295EEENS1_25partition_config_selectorILNS1_17partition_subalgoE3EjNS0_10empty_typeEbEEZZNS1_14partition_implILS8_3ELb0ES6_jNS0_17counting_iteratorIjlEEPS9_SE_NS0_5tupleIJPjSE_EEENSF_IJSE_SE_EEES9_SG_JZNS1_25segmented_radix_sort_implINS0_14default_configELb0EPK12hip_bfloat16PSL_PKlPlN2at6native12_GLOBAL__N_18offset_tEEE10hipError_tPvRmT1_PNSt15iterator_traitsISZ_E10value_typeET2_T3_PNS10_IS15_E10value_typeET4_jRbjT5_S1B_jjP12ihipStream_tbEUljE_EEESW_SX_SY_S15_S19_S1B_T6_T7_T9_mT8_S1D_bDpT10_ENKUlT_T0_E_clISt17integral_constantIbLb0EES1P_IbLb1EEEEDaS1L_S1M_EUlS1L_E_NS1_11comp_targetILNS1_3genE2ELNS1_11target_archE906ELNS1_3gpuE6ELNS1_3repE0EEENS1_30default_config_static_selectorELNS0_4arch9wavefront6targetE1EEEvSZ_, .Lfunc_end2043-_ZN7rocprim17ROCPRIM_400000_NS6detail17trampoline_kernelINS0_13select_configILj256ELj13ELNS0_17block_load_methodE3ELS4_3ELS4_3ELNS0_20block_scan_algorithmE0ELj4294967295EEENS1_25partition_config_selectorILNS1_17partition_subalgoE3EjNS0_10empty_typeEbEEZZNS1_14partition_implILS8_3ELb0ES6_jNS0_17counting_iteratorIjlEEPS9_SE_NS0_5tupleIJPjSE_EEENSF_IJSE_SE_EEES9_SG_JZNS1_25segmented_radix_sort_implINS0_14default_configELb0EPK12hip_bfloat16PSL_PKlPlN2at6native12_GLOBAL__N_18offset_tEEE10hipError_tPvRmT1_PNSt15iterator_traitsISZ_E10value_typeET2_T3_PNS10_IS15_E10value_typeET4_jRbjT5_S1B_jjP12ihipStream_tbEUljE_EEESW_SX_SY_S15_S19_S1B_T6_T7_T9_mT8_S1D_bDpT10_ENKUlT_T0_E_clISt17integral_constantIbLb0EES1P_IbLb1EEEEDaS1L_S1M_EUlS1L_E_NS1_11comp_targetILNS1_3genE2ELNS1_11target_archE906ELNS1_3gpuE6ELNS1_3repE0EEENS1_30default_config_static_selectorELNS0_4arch9wavefront6targetE1EEEvSZ_
                                        ; -- End function
	.section	.AMDGPU.csdata,"",@progbits
; Kernel info:
; codeLenInByte = 0
; NumSgprs: 4
; NumVgprs: 0
; NumAgprs: 0
; TotalNumVgprs: 0
; ScratchSize: 0
; MemoryBound: 0
; FloatMode: 240
; IeeeMode: 1
; LDSByteSize: 0 bytes/workgroup (compile time only)
; SGPRBlocks: 0
; VGPRBlocks: 0
; NumSGPRsForWavesPerEU: 4
; NumVGPRsForWavesPerEU: 1
; AccumOffset: 4
; Occupancy: 8
; WaveLimiterHint : 0
; COMPUTE_PGM_RSRC2:SCRATCH_EN: 0
; COMPUTE_PGM_RSRC2:USER_SGPR: 6
; COMPUTE_PGM_RSRC2:TRAP_HANDLER: 0
; COMPUTE_PGM_RSRC2:TGID_X_EN: 1
; COMPUTE_PGM_RSRC2:TGID_Y_EN: 0
; COMPUTE_PGM_RSRC2:TGID_Z_EN: 0
; COMPUTE_PGM_RSRC2:TIDIG_COMP_CNT: 0
; COMPUTE_PGM_RSRC3_GFX90A:ACCUM_OFFSET: 0
; COMPUTE_PGM_RSRC3_GFX90A:TG_SPLIT: 0
	.section	.text._ZN7rocprim17ROCPRIM_400000_NS6detail17trampoline_kernelINS0_13select_configILj256ELj13ELNS0_17block_load_methodE3ELS4_3ELS4_3ELNS0_20block_scan_algorithmE0ELj4294967295EEENS1_25partition_config_selectorILNS1_17partition_subalgoE3EjNS0_10empty_typeEbEEZZNS1_14partition_implILS8_3ELb0ES6_jNS0_17counting_iteratorIjlEEPS9_SE_NS0_5tupleIJPjSE_EEENSF_IJSE_SE_EEES9_SG_JZNS1_25segmented_radix_sort_implINS0_14default_configELb0EPK12hip_bfloat16PSL_PKlPlN2at6native12_GLOBAL__N_18offset_tEEE10hipError_tPvRmT1_PNSt15iterator_traitsISZ_E10value_typeET2_T3_PNS10_IS15_E10value_typeET4_jRbjT5_S1B_jjP12ihipStream_tbEUljE_EEESW_SX_SY_S15_S19_S1B_T6_T7_T9_mT8_S1D_bDpT10_ENKUlT_T0_E_clISt17integral_constantIbLb0EES1P_IbLb1EEEEDaS1L_S1M_EUlS1L_E_NS1_11comp_targetILNS1_3genE10ELNS1_11target_archE1200ELNS1_3gpuE4ELNS1_3repE0EEENS1_30default_config_static_selectorELNS0_4arch9wavefront6targetE1EEEvSZ_,"axG",@progbits,_ZN7rocprim17ROCPRIM_400000_NS6detail17trampoline_kernelINS0_13select_configILj256ELj13ELNS0_17block_load_methodE3ELS4_3ELS4_3ELNS0_20block_scan_algorithmE0ELj4294967295EEENS1_25partition_config_selectorILNS1_17partition_subalgoE3EjNS0_10empty_typeEbEEZZNS1_14partition_implILS8_3ELb0ES6_jNS0_17counting_iteratorIjlEEPS9_SE_NS0_5tupleIJPjSE_EEENSF_IJSE_SE_EEES9_SG_JZNS1_25segmented_radix_sort_implINS0_14default_configELb0EPK12hip_bfloat16PSL_PKlPlN2at6native12_GLOBAL__N_18offset_tEEE10hipError_tPvRmT1_PNSt15iterator_traitsISZ_E10value_typeET2_T3_PNS10_IS15_E10value_typeET4_jRbjT5_S1B_jjP12ihipStream_tbEUljE_EEESW_SX_SY_S15_S19_S1B_T6_T7_T9_mT8_S1D_bDpT10_ENKUlT_T0_E_clISt17integral_constantIbLb0EES1P_IbLb1EEEEDaS1L_S1M_EUlS1L_E_NS1_11comp_targetILNS1_3genE10ELNS1_11target_archE1200ELNS1_3gpuE4ELNS1_3repE0EEENS1_30default_config_static_selectorELNS0_4arch9wavefront6targetE1EEEvSZ_,comdat
	.globl	_ZN7rocprim17ROCPRIM_400000_NS6detail17trampoline_kernelINS0_13select_configILj256ELj13ELNS0_17block_load_methodE3ELS4_3ELS4_3ELNS0_20block_scan_algorithmE0ELj4294967295EEENS1_25partition_config_selectorILNS1_17partition_subalgoE3EjNS0_10empty_typeEbEEZZNS1_14partition_implILS8_3ELb0ES6_jNS0_17counting_iteratorIjlEEPS9_SE_NS0_5tupleIJPjSE_EEENSF_IJSE_SE_EEES9_SG_JZNS1_25segmented_radix_sort_implINS0_14default_configELb0EPK12hip_bfloat16PSL_PKlPlN2at6native12_GLOBAL__N_18offset_tEEE10hipError_tPvRmT1_PNSt15iterator_traitsISZ_E10value_typeET2_T3_PNS10_IS15_E10value_typeET4_jRbjT5_S1B_jjP12ihipStream_tbEUljE_EEESW_SX_SY_S15_S19_S1B_T6_T7_T9_mT8_S1D_bDpT10_ENKUlT_T0_E_clISt17integral_constantIbLb0EES1P_IbLb1EEEEDaS1L_S1M_EUlS1L_E_NS1_11comp_targetILNS1_3genE10ELNS1_11target_archE1200ELNS1_3gpuE4ELNS1_3repE0EEENS1_30default_config_static_selectorELNS0_4arch9wavefront6targetE1EEEvSZ_ ; -- Begin function _ZN7rocprim17ROCPRIM_400000_NS6detail17trampoline_kernelINS0_13select_configILj256ELj13ELNS0_17block_load_methodE3ELS4_3ELS4_3ELNS0_20block_scan_algorithmE0ELj4294967295EEENS1_25partition_config_selectorILNS1_17partition_subalgoE3EjNS0_10empty_typeEbEEZZNS1_14partition_implILS8_3ELb0ES6_jNS0_17counting_iteratorIjlEEPS9_SE_NS0_5tupleIJPjSE_EEENSF_IJSE_SE_EEES9_SG_JZNS1_25segmented_radix_sort_implINS0_14default_configELb0EPK12hip_bfloat16PSL_PKlPlN2at6native12_GLOBAL__N_18offset_tEEE10hipError_tPvRmT1_PNSt15iterator_traitsISZ_E10value_typeET2_T3_PNS10_IS15_E10value_typeET4_jRbjT5_S1B_jjP12ihipStream_tbEUljE_EEESW_SX_SY_S15_S19_S1B_T6_T7_T9_mT8_S1D_bDpT10_ENKUlT_T0_E_clISt17integral_constantIbLb0EES1P_IbLb1EEEEDaS1L_S1M_EUlS1L_E_NS1_11comp_targetILNS1_3genE10ELNS1_11target_archE1200ELNS1_3gpuE4ELNS1_3repE0EEENS1_30default_config_static_selectorELNS0_4arch9wavefront6targetE1EEEvSZ_
	.p2align	8
	.type	_ZN7rocprim17ROCPRIM_400000_NS6detail17trampoline_kernelINS0_13select_configILj256ELj13ELNS0_17block_load_methodE3ELS4_3ELS4_3ELNS0_20block_scan_algorithmE0ELj4294967295EEENS1_25partition_config_selectorILNS1_17partition_subalgoE3EjNS0_10empty_typeEbEEZZNS1_14partition_implILS8_3ELb0ES6_jNS0_17counting_iteratorIjlEEPS9_SE_NS0_5tupleIJPjSE_EEENSF_IJSE_SE_EEES9_SG_JZNS1_25segmented_radix_sort_implINS0_14default_configELb0EPK12hip_bfloat16PSL_PKlPlN2at6native12_GLOBAL__N_18offset_tEEE10hipError_tPvRmT1_PNSt15iterator_traitsISZ_E10value_typeET2_T3_PNS10_IS15_E10value_typeET4_jRbjT5_S1B_jjP12ihipStream_tbEUljE_EEESW_SX_SY_S15_S19_S1B_T6_T7_T9_mT8_S1D_bDpT10_ENKUlT_T0_E_clISt17integral_constantIbLb0EES1P_IbLb1EEEEDaS1L_S1M_EUlS1L_E_NS1_11comp_targetILNS1_3genE10ELNS1_11target_archE1200ELNS1_3gpuE4ELNS1_3repE0EEENS1_30default_config_static_selectorELNS0_4arch9wavefront6targetE1EEEvSZ_,@function
_ZN7rocprim17ROCPRIM_400000_NS6detail17trampoline_kernelINS0_13select_configILj256ELj13ELNS0_17block_load_methodE3ELS4_3ELS4_3ELNS0_20block_scan_algorithmE0ELj4294967295EEENS1_25partition_config_selectorILNS1_17partition_subalgoE3EjNS0_10empty_typeEbEEZZNS1_14partition_implILS8_3ELb0ES6_jNS0_17counting_iteratorIjlEEPS9_SE_NS0_5tupleIJPjSE_EEENSF_IJSE_SE_EEES9_SG_JZNS1_25segmented_radix_sort_implINS0_14default_configELb0EPK12hip_bfloat16PSL_PKlPlN2at6native12_GLOBAL__N_18offset_tEEE10hipError_tPvRmT1_PNSt15iterator_traitsISZ_E10value_typeET2_T3_PNS10_IS15_E10value_typeET4_jRbjT5_S1B_jjP12ihipStream_tbEUljE_EEESW_SX_SY_S15_S19_S1B_T6_T7_T9_mT8_S1D_bDpT10_ENKUlT_T0_E_clISt17integral_constantIbLb0EES1P_IbLb1EEEEDaS1L_S1M_EUlS1L_E_NS1_11comp_targetILNS1_3genE10ELNS1_11target_archE1200ELNS1_3gpuE4ELNS1_3repE0EEENS1_30default_config_static_selectorELNS0_4arch9wavefront6targetE1EEEvSZ_: ; @_ZN7rocprim17ROCPRIM_400000_NS6detail17trampoline_kernelINS0_13select_configILj256ELj13ELNS0_17block_load_methodE3ELS4_3ELS4_3ELNS0_20block_scan_algorithmE0ELj4294967295EEENS1_25partition_config_selectorILNS1_17partition_subalgoE3EjNS0_10empty_typeEbEEZZNS1_14partition_implILS8_3ELb0ES6_jNS0_17counting_iteratorIjlEEPS9_SE_NS0_5tupleIJPjSE_EEENSF_IJSE_SE_EEES9_SG_JZNS1_25segmented_radix_sort_implINS0_14default_configELb0EPK12hip_bfloat16PSL_PKlPlN2at6native12_GLOBAL__N_18offset_tEEE10hipError_tPvRmT1_PNSt15iterator_traitsISZ_E10value_typeET2_T3_PNS10_IS15_E10value_typeET4_jRbjT5_S1B_jjP12ihipStream_tbEUljE_EEESW_SX_SY_S15_S19_S1B_T6_T7_T9_mT8_S1D_bDpT10_ENKUlT_T0_E_clISt17integral_constantIbLb0EES1P_IbLb1EEEEDaS1L_S1M_EUlS1L_E_NS1_11comp_targetILNS1_3genE10ELNS1_11target_archE1200ELNS1_3gpuE4ELNS1_3repE0EEENS1_30default_config_static_selectorELNS0_4arch9wavefront6targetE1EEEvSZ_
; %bb.0:
	.section	.rodata,"a",@progbits
	.p2align	6, 0x0
	.amdhsa_kernel _ZN7rocprim17ROCPRIM_400000_NS6detail17trampoline_kernelINS0_13select_configILj256ELj13ELNS0_17block_load_methodE3ELS4_3ELS4_3ELNS0_20block_scan_algorithmE0ELj4294967295EEENS1_25partition_config_selectorILNS1_17partition_subalgoE3EjNS0_10empty_typeEbEEZZNS1_14partition_implILS8_3ELb0ES6_jNS0_17counting_iteratorIjlEEPS9_SE_NS0_5tupleIJPjSE_EEENSF_IJSE_SE_EEES9_SG_JZNS1_25segmented_radix_sort_implINS0_14default_configELb0EPK12hip_bfloat16PSL_PKlPlN2at6native12_GLOBAL__N_18offset_tEEE10hipError_tPvRmT1_PNSt15iterator_traitsISZ_E10value_typeET2_T3_PNS10_IS15_E10value_typeET4_jRbjT5_S1B_jjP12ihipStream_tbEUljE_EEESW_SX_SY_S15_S19_S1B_T6_T7_T9_mT8_S1D_bDpT10_ENKUlT_T0_E_clISt17integral_constantIbLb0EES1P_IbLb1EEEEDaS1L_S1M_EUlS1L_E_NS1_11comp_targetILNS1_3genE10ELNS1_11target_archE1200ELNS1_3gpuE4ELNS1_3repE0EEENS1_30default_config_static_selectorELNS0_4arch9wavefront6targetE1EEEvSZ_
		.amdhsa_group_segment_fixed_size 0
		.amdhsa_private_segment_fixed_size 0
		.amdhsa_kernarg_size 152
		.amdhsa_user_sgpr_count 6
		.amdhsa_user_sgpr_private_segment_buffer 1
		.amdhsa_user_sgpr_dispatch_ptr 0
		.amdhsa_user_sgpr_queue_ptr 0
		.amdhsa_user_sgpr_kernarg_segment_ptr 1
		.amdhsa_user_sgpr_dispatch_id 0
		.amdhsa_user_sgpr_flat_scratch_init 0
		.amdhsa_user_sgpr_kernarg_preload_length 0
		.amdhsa_user_sgpr_kernarg_preload_offset 0
		.amdhsa_user_sgpr_private_segment_size 0
		.amdhsa_uses_dynamic_stack 0
		.amdhsa_system_sgpr_private_segment_wavefront_offset 0
		.amdhsa_system_sgpr_workgroup_id_x 1
		.amdhsa_system_sgpr_workgroup_id_y 0
		.amdhsa_system_sgpr_workgroup_id_z 0
		.amdhsa_system_sgpr_workgroup_info 0
		.amdhsa_system_vgpr_workitem_id 0
		.amdhsa_next_free_vgpr 1
		.amdhsa_next_free_sgpr 0
		.amdhsa_accum_offset 4
		.amdhsa_reserve_vcc 0
		.amdhsa_reserve_flat_scratch 0
		.amdhsa_float_round_mode_32 0
		.amdhsa_float_round_mode_16_64 0
		.amdhsa_float_denorm_mode_32 3
		.amdhsa_float_denorm_mode_16_64 3
		.amdhsa_dx10_clamp 1
		.amdhsa_ieee_mode 1
		.amdhsa_fp16_overflow 0
		.amdhsa_tg_split 0
		.amdhsa_exception_fp_ieee_invalid_op 0
		.amdhsa_exception_fp_denorm_src 0
		.amdhsa_exception_fp_ieee_div_zero 0
		.amdhsa_exception_fp_ieee_overflow 0
		.amdhsa_exception_fp_ieee_underflow 0
		.amdhsa_exception_fp_ieee_inexact 0
		.amdhsa_exception_int_div_zero 0
	.end_amdhsa_kernel
	.section	.text._ZN7rocprim17ROCPRIM_400000_NS6detail17trampoline_kernelINS0_13select_configILj256ELj13ELNS0_17block_load_methodE3ELS4_3ELS4_3ELNS0_20block_scan_algorithmE0ELj4294967295EEENS1_25partition_config_selectorILNS1_17partition_subalgoE3EjNS0_10empty_typeEbEEZZNS1_14partition_implILS8_3ELb0ES6_jNS0_17counting_iteratorIjlEEPS9_SE_NS0_5tupleIJPjSE_EEENSF_IJSE_SE_EEES9_SG_JZNS1_25segmented_radix_sort_implINS0_14default_configELb0EPK12hip_bfloat16PSL_PKlPlN2at6native12_GLOBAL__N_18offset_tEEE10hipError_tPvRmT1_PNSt15iterator_traitsISZ_E10value_typeET2_T3_PNS10_IS15_E10value_typeET4_jRbjT5_S1B_jjP12ihipStream_tbEUljE_EEESW_SX_SY_S15_S19_S1B_T6_T7_T9_mT8_S1D_bDpT10_ENKUlT_T0_E_clISt17integral_constantIbLb0EES1P_IbLb1EEEEDaS1L_S1M_EUlS1L_E_NS1_11comp_targetILNS1_3genE10ELNS1_11target_archE1200ELNS1_3gpuE4ELNS1_3repE0EEENS1_30default_config_static_selectorELNS0_4arch9wavefront6targetE1EEEvSZ_,"axG",@progbits,_ZN7rocprim17ROCPRIM_400000_NS6detail17trampoline_kernelINS0_13select_configILj256ELj13ELNS0_17block_load_methodE3ELS4_3ELS4_3ELNS0_20block_scan_algorithmE0ELj4294967295EEENS1_25partition_config_selectorILNS1_17partition_subalgoE3EjNS0_10empty_typeEbEEZZNS1_14partition_implILS8_3ELb0ES6_jNS0_17counting_iteratorIjlEEPS9_SE_NS0_5tupleIJPjSE_EEENSF_IJSE_SE_EEES9_SG_JZNS1_25segmented_radix_sort_implINS0_14default_configELb0EPK12hip_bfloat16PSL_PKlPlN2at6native12_GLOBAL__N_18offset_tEEE10hipError_tPvRmT1_PNSt15iterator_traitsISZ_E10value_typeET2_T3_PNS10_IS15_E10value_typeET4_jRbjT5_S1B_jjP12ihipStream_tbEUljE_EEESW_SX_SY_S15_S19_S1B_T6_T7_T9_mT8_S1D_bDpT10_ENKUlT_T0_E_clISt17integral_constantIbLb0EES1P_IbLb1EEEEDaS1L_S1M_EUlS1L_E_NS1_11comp_targetILNS1_3genE10ELNS1_11target_archE1200ELNS1_3gpuE4ELNS1_3repE0EEENS1_30default_config_static_selectorELNS0_4arch9wavefront6targetE1EEEvSZ_,comdat
.Lfunc_end2044:
	.size	_ZN7rocprim17ROCPRIM_400000_NS6detail17trampoline_kernelINS0_13select_configILj256ELj13ELNS0_17block_load_methodE3ELS4_3ELS4_3ELNS0_20block_scan_algorithmE0ELj4294967295EEENS1_25partition_config_selectorILNS1_17partition_subalgoE3EjNS0_10empty_typeEbEEZZNS1_14partition_implILS8_3ELb0ES6_jNS0_17counting_iteratorIjlEEPS9_SE_NS0_5tupleIJPjSE_EEENSF_IJSE_SE_EEES9_SG_JZNS1_25segmented_radix_sort_implINS0_14default_configELb0EPK12hip_bfloat16PSL_PKlPlN2at6native12_GLOBAL__N_18offset_tEEE10hipError_tPvRmT1_PNSt15iterator_traitsISZ_E10value_typeET2_T3_PNS10_IS15_E10value_typeET4_jRbjT5_S1B_jjP12ihipStream_tbEUljE_EEESW_SX_SY_S15_S19_S1B_T6_T7_T9_mT8_S1D_bDpT10_ENKUlT_T0_E_clISt17integral_constantIbLb0EES1P_IbLb1EEEEDaS1L_S1M_EUlS1L_E_NS1_11comp_targetILNS1_3genE10ELNS1_11target_archE1200ELNS1_3gpuE4ELNS1_3repE0EEENS1_30default_config_static_selectorELNS0_4arch9wavefront6targetE1EEEvSZ_, .Lfunc_end2044-_ZN7rocprim17ROCPRIM_400000_NS6detail17trampoline_kernelINS0_13select_configILj256ELj13ELNS0_17block_load_methodE3ELS4_3ELS4_3ELNS0_20block_scan_algorithmE0ELj4294967295EEENS1_25partition_config_selectorILNS1_17partition_subalgoE3EjNS0_10empty_typeEbEEZZNS1_14partition_implILS8_3ELb0ES6_jNS0_17counting_iteratorIjlEEPS9_SE_NS0_5tupleIJPjSE_EEENSF_IJSE_SE_EEES9_SG_JZNS1_25segmented_radix_sort_implINS0_14default_configELb0EPK12hip_bfloat16PSL_PKlPlN2at6native12_GLOBAL__N_18offset_tEEE10hipError_tPvRmT1_PNSt15iterator_traitsISZ_E10value_typeET2_T3_PNS10_IS15_E10value_typeET4_jRbjT5_S1B_jjP12ihipStream_tbEUljE_EEESW_SX_SY_S15_S19_S1B_T6_T7_T9_mT8_S1D_bDpT10_ENKUlT_T0_E_clISt17integral_constantIbLb0EES1P_IbLb1EEEEDaS1L_S1M_EUlS1L_E_NS1_11comp_targetILNS1_3genE10ELNS1_11target_archE1200ELNS1_3gpuE4ELNS1_3repE0EEENS1_30default_config_static_selectorELNS0_4arch9wavefront6targetE1EEEvSZ_
                                        ; -- End function
	.section	.AMDGPU.csdata,"",@progbits
; Kernel info:
; codeLenInByte = 0
; NumSgprs: 4
; NumVgprs: 0
; NumAgprs: 0
; TotalNumVgprs: 0
; ScratchSize: 0
; MemoryBound: 0
; FloatMode: 240
; IeeeMode: 1
; LDSByteSize: 0 bytes/workgroup (compile time only)
; SGPRBlocks: 0
; VGPRBlocks: 0
; NumSGPRsForWavesPerEU: 4
; NumVGPRsForWavesPerEU: 1
; AccumOffset: 4
; Occupancy: 8
; WaveLimiterHint : 0
; COMPUTE_PGM_RSRC2:SCRATCH_EN: 0
; COMPUTE_PGM_RSRC2:USER_SGPR: 6
; COMPUTE_PGM_RSRC2:TRAP_HANDLER: 0
; COMPUTE_PGM_RSRC2:TGID_X_EN: 1
; COMPUTE_PGM_RSRC2:TGID_Y_EN: 0
; COMPUTE_PGM_RSRC2:TGID_Z_EN: 0
; COMPUTE_PGM_RSRC2:TIDIG_COMP_CNT: 0
; COMPUTE_PGM_RSRC3_GFX90A:ACCUM_OFFSET: 0
; COMPUTE_PGM_RSRC3_GFX90A:TG_SPLIT: 0
	.section	.text._ZN7rocprim17ROCPRIM_400000_NS6detail17trampoline_kernelINS0_13select_configILj256ELj13ELNS0_17block_load_methodE3ELS4_3ELS4_3ELNS0_20block_scan_algorithmE0ELj4294967295EEENS1_25partition_config_selectorILNS1_17partition_subalgoE3EjNS0_10empty_typeEbEEZZNS1_14partition_implILS8_3ELb0ES6_jNS0_17counting_iteratorIjlEEPS9_SE_NS0_5tupleIJPjSE_EEENSF_IJSE_SE_EEES9_SG_JZNS1_25segmented_radix_sort_implINS0_14default_configELb0EPK12hip_bfloat16PSL_PKlPlN2at6native12_GLOBAL__N_18offset_tEEE10hipError_tPvRmT1_PNSt15iterator_traitsISZ_E10value_typeET2_T3_PNS10_IS15_E10value_typeET4_jRbjT5_S1B_jjP12ihipStream_tbEUljE_EEESW_SX_SY_S15_S19_S1B_T6_T7_T9_mT8_S1D_bDpT10_ENKUlT_T0_E_clISt17integral_constantIbLb0EES1P_IbLb1EEEEDaS1L_S1M_EUlS1L_E_NS1_11comp_targetILNS1_3genE9ELNS1_11target_archE1100ELNS1_3gpuE3ELNS1_3repE0EEENS1_30default_config_static_selectorELNS0_4arch9wavefront6targetE1EEEvSZ_,"axG",@progbits,_ZN7rocprim17ROCPRIM_400000_NS6detail17trampoline_kernelINS0_13select_configILj256ELj13ELNS0_17block_load_methodE3ELS4_3ELS4_3ELNS0_20block_scan_algorithmE0ELj4294967295EEENS1_25partition_config_selectorILNS1_17partition_subalgoE3EjNS0_10empty_typeEbEEZZNS1_14partition_implILS8_3ELb0ES6_jNS0_17counting_iteratorIjlEEPS9_SE_NS0_5tupleIJPjSE_EEENSF_IJSE_SE_EEES9_SG_JZNS1_25segmented_radix_sort_implINS0_14default_configELb0EPK12hip_bfloat16PSL_PKlPlN2at6native12_GLOBAL__N_18offset_tEEE10hipError_tPvRmT1_PNSt15iterator_traitsISZ_E10value_typeET2_T3_PNS10_IS15_E10value_typeET4_jRbjT5_S1B_jjP12ihipStream_tbEUljE_EEESW_SX_SY_S15_S19_S1B_T6_T7_T9_mT8_S1D_bDpT10_ENKUlT_T0_E_clISt17integral_constantIbLb0EES1P_IbLb1EEEEDaS1L_S1M_EUlS1L_E_NS1_11comp_targetILNS1_3genE9ELNS1_11target_archE1100ELNS1_3gpuE3ELNS1_3repE0EEENS1_30default_config_static_selectorELNS0_4arch9wavefront6targetE1EEEvSZ_,comdat
	.globl	_ZN7rocprim17ROCPRIM_400000_NS6detail17trampoline_kernelINS0_13select_configILj256ELj13ELNS0_17block_load_methodE3ELS4_3ELS4_3ELNS0_20block_scan_algorithmE0ELj4294967295EEENS1_25partition_config_selectorILNS1_17partition_subalgoE3EjNS0_10empty_typeEbEEZZNS1_14partition_implILS8_3ELb0ES6_jNS0_17counting_iteratorIjlEEPS9_SE_NS0_5tupleIJPjSE_EEENSF_IJSE_SE_EEES9_SG_JZNS1_25segmented_radix_sort_implINS0_14default_configELb0EPK12hip_bfloat16PSL_PKlPlN2at6native12_GLOBAL__N_18offset_tEEE10hipError_tPvRmT1_PNSt15iterator_traitsISZ_E10value_typeET2_T3_PNS10_IS15_E10value_typeET4_jRbjT5_S1B_jjP12ihipStream_tbEUljE_EEESW_SX_SY_S15_S19_S1B_T6_T7_T9_mT8_S1D_bDpT10_ENKUlT_T0_E_clISt17integral_constantIbLb0EES1P_IbLb1EEEEDaS1L_S1M_EUlS1L_E_NS1_11comp_targetILNS1_3genE9ELNS1_11target_archE1100ELNS1_3gpuE3ELNS1_3repE0EEENS1_30default_config_static_selectorELNS0_4arch9wavefront6targetE1EEEvSZ_ ; -- Begin function _ZN7rocprim17ROCPRIM_400000_NS6detail17trampoline_kernelINS0_13select_configILj256ELj13ELNS0_17block_load_methodE3ELS4_3ELS4_3ELNS0_20block_scan_algorithmE0ELj4294967295EEENS1_25partition_config_selectorILNS1_17partition_subalgoE3EjNS0_10empty_typeEbEEZZNS1_14partition_implILS8_3ELb0ES6_jNS0_17counting_iteratorIjlEEPS9_SE_NS0_5tupleIJPjSE_EEENSF_IJSE_SE_EEES9_SG_JZNS1_25segmented_radix_sort_implINS0_14default_configELb0EPK12hip_bfloat16PSL_PKlPlN2at6native12_GLOBAL__N_18offset_tEEE10hipError_tPvRmT1_PNSt15iterator_traitsISZ_E10value_typeET2_T3_PNS10_IS15_E10value_typeET4_jRbjT5_S1B_jjP12ihipStream_tbEUljE_EEESW_SX_SY_S15_S19_S1B_T6_T7_T9_mT8_S1D_bDpT10_ENKUlT_T0_E_clISt17integral_constantIbLb0EES1P_IbLb1EEEEDaS1L_S1M_EUlS1L_E_NS1_11comp_targetILNS1_3genE9ELNS1_11target_archE1100ELNS1_3gpuE3ELNS1_3repE0EEENS1_30default_config_static_selectorELNS0_4arch9wavefront6targetE1EEEvSZ_
	.p2align	8
	.type	_ZN7rocprim17ROCPRIM_400000_NS6detail17trampoline_kernelINS0_13select_configILj256ELj13ELNS0_17block_load_methodE3ELS4_3ELS4_3ELNS0_20block_scan_algorithmE0ELj4294967295EEENS1_25partition_config_selectorILNS1_17partition_subalgoE3EjNS0_10empty_typeEbEEZZNS1_14partition_implILS8_3ELb0ES6_jNS0_17counting_iteratorIjlEEPS9_SE_NS0_5tupleIJPjSE_EEENSF_IJSE_SE_EEES9_SG_JZNS1_25segmented_radix_sort_implINS0_14default_configELb0EPK12hip_bfloat16PSL_PKlPlN2at6native12_GLOBAL__N_18offset_tEEE10hipError_tPvRmT1_PNSt15iterator_traitsISZ_E10value_typeET2_T3_PNS10_IS15_E10value_typeET4_jRbjT5_S1B_jjP12ihipStream_tbEUljE_EEESW_SX_SY_S15_S19_S1B_T6_T7_T9_mT8_S1D_bDpT10_ENKUlT_T0_E_clISt17integral_constantIbLb0EES1P_IbLb1EEEEDaS1L_S1M_EUlS1L_E_NS1_11comp_targetILNS1_3genE9ELNS1_11target_archE1100ELNS1_3gpuE3ELNS1_3repE0EEENS1_30default_config_static_selectorELNS0_4arch9wavefront6targetE1EEEvSZ_,@function
_ZN7rocprim17ROCPRIM_400000_NS6detail17trampoline_kernelINS0_13select_configILj256ELj13ELNS0_17block_load_methodE3ELS4_3ELS4_3ELNS0_20block_scan_algorithmE0ELj4294967295EEENS1_25partition_config_selectorILNS1_17partition_subalgoE3EjNS0_10empty_typeEbEEZZNS1_14partition_implILS8_3ELb0ES6_jNS0_17counting_iteratorIjlEEPS9_SE_NS0_5tupleIJPjSE_EEENSF_IJSE_SE_EEES9_SG_JZNS1_25segmented_radix_sort_implINS0_14default_configELb0EPK12hip_bfloat16PSL_PKlPlN2at6native12_GLOBAL__N_18offset_tEEE10hipError_tPvRmT1_PNSt15iterator_traitsISZ_E10value_typeET2_T3_PNS10_IS15_E10value_typeET4_jRbjT5_S1B_jjP12ihipStream_tbEUljE_EEESW_SX_SY_S15_S19_S1B_T6_T7_T9_mT8_S1D_bDpT10_ENKUlT_T0_E_clISt17integral_constantIbLb0EES1P_IbLb1EEEEDaS1L_S1M_EUlS1L_E_NS1_11comp_targetILNS1_3genE9ELNS1_11target_archE1100ELNS1_3gpuE3ELNS1_3repE0EEENS1_30default_config_static_selectorELNS0_4arch9wavefront6targetE1EEEvSZ_: ; @_ZN7rocprim17ROCPRIM_400000_NS6detail17trampoline_kernelINS0_13select_configILj256ELj13ELNS0_17block_load_methodE3ELS4_3ELS4_3ELNS0_20block_scan_algorithmE0ELj4294967295EEENS1_25partition_config_selectorILNS1_17partition_subalgoE3EjNS0_10empty_typeEbEEZZNS1_14partition_implILS8_3ELb0ES6_jNS0_17counting_iteratorIjlEEPS9_SE_NS0_5tupleIJPjSE_EEENSF_IJSE_SE_EEES9_SG_JZNS1_25segmented_radix_sort_implINS0_14default_configELb0EPK12hip_bfloat16PSL_PKlPlN2at6native12_GLOBAL__N_18offset_tEEE10hipError_tPvRmT1_PNSt15iterator_traitsISZ_E10value_typeET2_T3_PNS10_IS15_E10value_typeET4_jRbjT5_S1B_jjP12ihipStream_tbEUljE_EEESW_SX_SY_S15_S19_S1B_T6_T7_T9_mT8_S1D_bDpT10_ENKUlT_T0_E_clISt17integral_constantIbLb0EES1P_IbLb1EEEEDaS1L_S1M_EUlS1L_E_NS1_11comp_targetILNS1_3genE9ELNS1_11target_archE1100ELNS1_3gpuE3ELNS1_3repE0EEENS1_30default_config_static_selectorELNS0_4arch9wavefront6targetE1EEEvSZ_
; %bb.0:
	.section	.rodata,"a",@progbits
	.p2align	6, 0x0
	.amdhsa_kernel _ZN7rocprim17ROCPRIM_400000_NS6detail17trampoline_kernelINS0_13select_configILj256ELj13ELNS0_17block_load_methodE3ELS4_3ELS4_3ELNS0_20block_scan_algorithmE0ELj4294967295EEENS1_25partition_config_selectorILNS1_17partition_subalgoE3EjNS0_10empty_typeEbEEZZNS1_14partition_implILS8_3ELb0ES6_jNS0_17counting_iteratorIjlEEPS9_SE_NS0_5tupleIJPjSE_EEENSF_IJSE_SE_EEES9_SG_JZNS1_25segmented_radix_sort_implINS0_14default_configELb0EPK12hip_bfloat16PSL_PKlPlN2at6native12_GLOBAL__N_18offset_tEEE10hipError_tPvRmT1_PNSt15iterator_traitsISZ_E10value_typeET2_T3_PNS10_IS15_E10value_typeET4_jRbjT5_S1B_jjP12ihipStream_tbEUljE_EEESW_SX_SY_S15_S19_S1B_T6_T7_T9_mT8_S1D_bDpT10_ENKUlT_T0_E_clISt17integral_constantIbLb0EES1P_IbLb1EEEEDaS1L_S1M_EUlS1L_E_NS1_11comp_targetILNS1_3genE9ELNS1_11target_archE1100ELNS1_3gpuE3ELNS1_3repE0EEENS1_30default_config_static_selectorELNS0_4arch9wavefront6targetE1EEEvSZ_
		.amdhsa_group_segment_fixed_size 0
		.amdhsa_private_segment_fixed_size 0
		.amdhsa_kernarg_size 152
		.amdhsa_user_sgpr_count 6
		.amdhsa_user_sgpr_private_segment_buffer 1
		.amdhsa_user_sgpr_dispatch_ptr 0
		.amdhsa_user_sgpr_queue_ptr 0
		.amdhsa_user_sgpr_kernarg_segment_ptr 1
		.amdhsa_user_sgpr_dispatch_id 0
		.amdhsa_user_sgpr_flat_scratch_init 0
		.amdhsa_user_sgpr_kernarg_preload_length 0
		.amdhsa_user_sgpr_kernarg_preload_offset 0
		.amdhsa_user_sgpr_private_segment_size 0
		.amdhsa_uses_dynamic_stack 0
		.amdhsa_system_sgpr_private_segment_wavefront_offset 0
		.amdhsa_system_sgpr_workgroup_id_x 1
		.amdhsa_system_sgpr_workgroup_id_y 0
		.amdhsa_system_sgpr_workgroup_id_z 0
		.amdhsa_system_sgpr_workgroup_info 0
		.amdhsa_system_vgpr_workitem_id 0
		.amdhsa_next_free_vgpr 1
		.amdhsa_next_free_sgpr 0
		.amdhsa_accum_offset 4
		.amdhsa_reserve_vcc 0
		.amdhsa_reserve_flat_scratch 0
		.amdhsa_float_round_mode_32 0
		.amdhsa_float_round_mode_16_64 0
		.amdhsa_float_denorm_mode_32 3
		.amdhsa_float_denorm_mode_16_64 3
		.amdhsa_dx10_clamp 1
		.amdhsa_ieee_mode 1
		.amdhsa_fp16_overflow 0
		.amdhsa_tg_split 0
		.amdhsa_exception_fp_ieee_invalid_op 0
		.amdhsa_exception_fp_denorm_src 0
		.amdhsa_exception_fp_ieee_div_zero 0
		.amdhsa_exception_fp_ieee_overflow 0
		.amdhsa_exception_fp_ieee_underflow 0
		.amdhsa_exception_fp_ieee_inexact 0
		.amdhsa_exception_int_div_zero 0
	.end_amdhsa_kernel
	.section	.text._ZN7rocprim17ROCPRIM_400000_NS6detail17trampoline_kernelINS0_13select_configILj256ELj13ELNS0_17block_load_methodE3ELS4_3ELS4_3ELNS0_20block_scan_algorithmE0ELj4294967295EEENS1_25partition_config_selectorILNS1_17partition_subalgoE3EjNS0_10empty_typeEbEEZZNS1_14partition_implILS8_3ELb0ES6_jNS0_17counting_iteratorIjlEEPS9_SE_NS0_5tupleIJPjSE_EEENSF_IJSE_SE_EEES9_SG_JZNS1_25segmented_radix_sort_implINS0_14default_configELb0EPK12hip_bfloat16PSL_PKlPlN2at6native12_GLOBAL__N_18offset_tEEE10hipError_tPvRmT1_PNSt15iterator_traitsISZ_E10value_typeET2_T3_PNS10_IS15_E10value_typeET4_jRbjT5_S1B_jjP12ihipStream_tbEUljE_EEESW_SX_SY_S15_S19_S1B_T6_T7_T9_mT8_S1D_bDpT10_ENKUlT_T0_E_clISt17integral_constantIbLb0EES1P_IbLb1EEEEDaS1L_S1M_EUlS1L_E_NS1_11comp_targetILNS1_3genE9ELNS1_11target_archE1100ELNS1_3gpuE3ELNS1_3repE0EEENS1_30default_config_static_selectorELNS0_4arch9wavefront6targetE1EEEvSZ_,"axG",@progbits,_ZN7rocprim17ROCPRIM_400000_NS6detail17trampoline_kernelINS0_13select_configILj256ELj13ELNS0_17block_load_methodE3ELS4_3ELS4_3ELNS0_20block_scan_algorithmE0ELj4294967295EEENS1_25partition_config_selectorILNS1_17partition_subalgoE3EjNS0_10empty_typeEbEEZZNS1_14partition_implILS8_3ELb0ES6_jNS0_17counting_iteratorIjlEEPS9_SE_NS0_5tupleIJPjSE_EEENSF_IJSE_SE_EEES9_SG_JZNS1_25segmented_radix_sort_implINS0_14default_configELb0EPK12hip_bfloat16PSL_PKlPlN2at6native12_GLOBAL__N_18offset_tEEE10hipError_tPvRmT1_PNSt15iterator_traitsISZ_E10value_typeET2_T3_PNS10_IS15_E10value_typeET4_jRbjT5_S1B_jjP12ihipStream_tbEUljE_EEESW_SX_SY_S15_S19_S1B_T6_T7_T9_mT8_S1D_bDpT10_ENKUlT_T0_E_clISt17integral_constantIbLb0EES1P_IbLb1EEEEDaS1L_S1M_EUlS1L_E_NS1_11comp_targetILNS1_3genE9ELNS1_11target_archE1100ELNS1_3gpuE3ELNS1_3repE0EEENS1_30default_config_static_selectorELNS0_4arch9wavefront6targetE1EEEvSZ_,comdat
.Lfunc_end2045:
	.size	_ZN7rocprim17ROCPRIM_400000_NS6detail17trampoline_kernelINS0_13select_configILj256ELj13ELNS0_17block_load_methodE3ELS4_3ELS4_3ELNS0_20block_scan_algorithmE0ELj4294967295EEENS1_25partition_config_selectorILNS1_17partition_subalgoE3EjNS0_10empty_typeEbEEZZNS1_14partition_implILS8_3ELb0ES6_jNS0_17counting_iteratorIjlEEPS9_SE_NS0_5tupleIJPjSE_EEENSF_IJSE_SE_EEES9_SG_JZNS1_25segmented_radix_sort_implINS0_14default_configELb0EPK12hip_bfloat16PSL_PKlPlN2at6native12_GLOBAL__N_18offset_tEEE10hipError_tPvRmT1_PNSt15iterator_traitsISZ_E10value_typeET2_T3_PNS10_IS15_E10value_typeET4_jRbjT5_S1B_jjP12ihipStream_tbEUljE_EEESW_SX_SY_S15_S19_S1B_T6_T7_T9_mT8_S1D_bDpT10_ENKUlT_T0_E_clISt17integral_constantIbLb0EES1P_IbLb1EEEEDaS1L_S1M_EUlS1L_E_NS1_11comp_targetILNS1_3genE9ELNS1_11target_archE1100ELNS1_3gpuE3ELNS1_3repE0EEENS1_30default_config_static_selectorELNS0_4arch9wavefront6targetE1EEEvSZ_, .Lfunc_end2045-_ZN7rocprim17ROCPRIM_400000_NS6detail17trampoline_kernelINS0_13select_configILj256ELj13ELNS0_17block_load_methodE3ELS4_3ELS4_3ELNS0_20block_scan_algorithmE0ELj4294967295EEENS1_25partition_config_selectorILNS1_17partition_subalgoE3EjNS0_10empty_typeEbEEZZNS1_14partition_implILS8_3ELb0ES6_jNS0_17counting_iteratorIjlEEPS9_SE_NS0_5tupleIJPjSE_EEENSF_IJSE_SE_EEES9_SG_JZNS1_25segmented_radix_sort_implINS0_14default_configELb0EPK12hip_bfloat16PSL_PKlPlN2at6native12_GLOBAL__N_18offset_tEEE10hipError_tPvRmT1_PNSt15iterator_traitsISZ_E10value_typeET2_T3_PNS10_IS15_E10value_typeET4_jRbjT5_S1B_jjP12ihipStream_tbEUljE_EEESW_SX_SY_S15_S19_S1B_T6_T7_T9_mT8_S1D_bDpT10_ENKUlT_T0_E_clISt17integral_constantIbLb0EES1P_IbLb1EEEEDaS1L_S1M_EUlS1L_E_NS1_11comp_targetILNS1_3genE9ELNS1_11target_archE1100ELNS1_3gpuE3ELNS1_3repE0EEENS1_30default_config_static_selectorELNS0_4arch9wavefront6targetE1EEEvSZ_
                                        ; -- End function
	.section	.AMDGPU.csdata,"",@progbits
; Kernel info:
; codeLenInByte = 0
; NumSgprs: 4
; NumVgprs: 0
; NumAgprs: 0
; TotalNumVgprs: 0
; ScratchSize: 0
; MemoryBound: 0
; FloatMode: 240
; IeeeMode: 1
; LDSByteSize: 0 bytes/workgroup (compile time only)
; SGPRBlocks: 0
; VGPRBlocks: 0
; NumSGPRsForWavesPerEU: 4
; NumVGPRsForWavesPerEU: 1
; AccumOffset: 4
; Occupancy: 8
; WaveLimiterHint : 0
; COMPUTE_PGM_RSRC2:SCRATCH_EN: 0
; COMPUTE_PGM_RSRC2:USER_SGPR: 6
; COMPUTE_PGM_RSRC2:TRAP_HANDLER: 0
; COMPUTE_PGM_RSRC2:TGID_X_EN: 1
; COMPUTE_PGM_RSRC2:TGID_Y_EN: 0
; COMPUTE_PGM_RSRC2:TGID_Z_EN: 0
; COMPUTE_PGM_RSRC2:TIDIG_COMP_CNT: 0
; COMPUTE_PGM_RSRC3_GFX90A:ACCUM_OFFSET: 0
; COMPUTE_PGM_RSRC3_GFX90A:TG_SPLIT: 0
	.section	.text._ZN7rocprim17ROCPRIM_400000_NS6detail17trampoline_kernelINS0_13select_configILj256ELj13ELNS0_17block_load_methodE3ELS4_3ELS4_3ELNS0_20block_scan_algorithmE0ELj4294967295EEENS1_25partition_config_selectorILNS1_17partition_subalgoE3EjNS0_10empty_typeEbEEZZNS1_14partition_implILS8_3ELb0ES6_jNS0_17counting_iteratorIjlEEPS9_SE_NS0_5tupleIJPjSE_EEENSF_IJSE_SE_EEES9_SG_JZNS1_25segmented_radix_sort_implINS0_14default_configELb0EPK12hip_bfloat16PSL_PKlPlN2at6native12_GLOBAL__N_18offset_tEEE10hipError_tPvRmT1_PNSt15iterator_traitsISZ_E10value_typeET2_T3_PNS10_IS15_E10value_typeET4_jRbjT5_S1B_jjP12ihipStream_tbEUljE_EEESW_SX_SY_S15_S19_S1B_T6_T7_T9_mT8_S1D_bDpT10_ENKUlT_T0_E_clISt17integral_constantIbLb0EES1P_IbLb1EEEEDaS1L_S1M_EUlS1L_E_NS1_11comp_targetILNS1_3genE8ELNS1_11target_archE1030ELNS1_3gpuE2ELNS1_3repE0EEENS1_30default_config_static_selectorELNS0_4arch9wavefront6targetE1EEEvSZ_,"axG",@progbits,_ZN7rocprim17ROCPRIM_400000_NS6detail17trampoline_kernelINS0_13select_configILj256ELj13ELNS0_17block_load_methodE3ELS4_3ELS4_3ELNS0_20block_scan_algorithmE0ELj4294967295EEENS1_25partition_config_selectorILNS1_17partition_subalgoE3EjNS0_10empty_typeEbEEZZNS1_14partition_implILS8_3ELb0ES6_jNS0_17counting_iteratorIjlEEPS9_SE_NS0_5tupleIJPjSE_EEENSF_IJSE_SE_EEES9_SG_JZNS1_25segmented_radix_sort_implINS0_14default_configELb0EPK12hip_bfloat16PSL_PKlPlN2at6native12_GLOBAL__N_18offset_tEEE10hipError_tPvRmT1_PNSt15iterator_traitsISZ_E10value_typeET2_T3_PNS10_IS15_E10value_typeET4_jRbjT5_S1B_jjP12ihipStream_tbEUljE_EEESW_SX_SY_S15_S19_S1B_T6_T7_T9_mT8_S1D_bDpT10_ENKUlT_T0_E_clISt17integral_constantIbLb0EES1P_IbLb1EEEEDaS1L_S1M_EUlS1L_E_NS1_11comp_targetILNS1_3genE8ELNS1_11target_archE1030ELNS1_3gpuE2ELNS1_3repE0EEENS1_30default_config_static_selectorELNS0_4arch9wavefront6targetE1EEEvSZ_,comdat
	.globl	_ZN7rocprim17ROCPRIM_400000_NS6detail17trampoline_kernelINS0_13select_configILj256ELj13ELNS0_17block_load_methodE3ELS4_3ELS4_3ELNS0_20block_scan_algorithmE0ELj4294967295EEENS1_25partition_config_selectorILNS1_17partition_subalgoE3EjNS0_10empty_typeEbEEZZNS1_14partition_implILS8_3ELb0ES6_jNS0_17counting_iteratorIjlEEPS9_SE_NS0_5tupleIJPjSE_EEENSF_IJSE_SE_EEES9_SG_JZNS1_25segmented_radix_sort_implINS0_14default_configELb0EPK12hip_bfloat16PSL_PKlPlN2at6native12_GLOBAL__N_18offset_tEEE10hipError_tPvRmT1_PNSt15iterator_traitsISZ_E10value_typeET2_T3_PNS10_IS15_E10value_typeET4_jRbjT5_S1B_jjP12ihipStream_tbEUljE_EEESW_SX_SY_S15_S19_S1B_T6_T7_T9_mT8_S1D_bDpT10_ENKUlT_T0_E_clISt17integral_constantIbLb0EES1P_IbLb1EEEEDaS1L_S1M_EUlS1L_E_NS1_11comp_targetILNS1_3genE8ELNS1_11target_archE1030ELNS1_3gpuE2ELNS1_3repE0EEENS1_30default_config_static_selectorELNS0_4arch9wavefront6targetE1EEEvSZ_ ; -- Begin function _ZN7rocprim17ROCPRIM_400000_NS6detail17trampoline_kernelINS0_13select_configILj256ELj13ELNS0_17block_load_methodE3ELS4_3ELS4_3ELNS0_20block_scan_algorithmE0ELj4294967295EEENS1_25partition_config_selectorILNS1_17partition_subalgoE3EjNS0_10empty_typeEbEEZZNS1_14partition_implILS8_3ELb0ES6_jNS0_17counting_iteratorIjlEEPS9_SE_NS0_5tupleIJPjSE_EEENSF_IJSE_SE_EEES9_SG_JZNS1_25segmented_radix_sort_implINS0_14default_configELb0EPK12hip_bfloat16PSL_PKlPlN2at6native12_GLOBAL__N_18offset_tEEE10hipError_tPvRmT1_PNSt15iterator_traitsISZ_E10value_typeET2_T3_PNS10_IS15_E10value_typeET4_jRbjT5_S1B_jjP12ihipStream_tbEUljE_EEESW_SX_SY_S15_S19_S1B_T6_T7_T9_mT8_S1D_bDpT10_ENKUlT_T0_E_clISt17integral_constantIbLb0EES1P_IbLb1EEEEDaS1L_S1M_EUlS1L_E_NS1_11comp_targetILNS1_3genE8ELNS1_11target_archE1030ELNS1_3gpuE2ELNS1_3repE0EEENS1_30default_config_static_selectorELNS0_4arch9wavefront6targetE1EEEvSZ_
	.p2align	8
	.type	_ZN7rocprim17ROCPRIM_400000_NS6detail17trampoline_kernelINS0_13select_configILj256ELj13ELNS0_17block_load_methodE3ELS4_3ELS4_3ELNS0_20block_scan_algorithmE0ELj4294967295EEENS1_25partition_config_selectorILNS1_17partition_subalgoE3EjNS0_10empty_typeEbEEZZNS1_14partition_implILS8_3ELb0ES6_jNS0_17counting_iteratorIjlEEPS9_SE_NS0_5tupleIJPjSE_EEENSF_IJSE_SE_EEES9_SG_JZNS1_25segmented_radix_sort_implINS0_14default_configELb0EPK12hip_bfloat16PSL_PKlPlN2at6native12_GLOBAL__N_18offset_tEEE10hipError_tPvRmT1_PNSt15iterator_traitsISZ_E10value_typeET2_T3_PNS10_IS15_E10value_typeET4_jRbjT5_S1B_jjP12ihipStream_tbEUljE_EEESW_SX_SY_S15_S19_S1B_T6_T7_T9_mT8_S1D_bDpT10_ENKUlT_T0_E_clISt17integral_constantIbLb0EES1P_IbLb1EEEEDaS1L_S1M_EUlS1L_E_NS1_11comp_targetILNS1_3genE8ELNS1_11target_archE1030ELNS1_3gpuE2ELNS1_3repE0EEENS1_30default_config_static_selectorELNS0_4arch9wavefront6targetE1EEEvSZ_,@function
_ZN7rocprim17ROCPRIM_400000_NS6detail17trampoline_kernelINS0_13select_configILj256ELj13ELNS0_17block_load_methodE3ELS4_3ELS4_3ELNS0_20block_scan_algorithmE0ELj4294967295EEENS1_25partition_config_selectorILNS1_17partition_subalgoE3EjNS0_10empty_typeEbEEZZNS1_14partition_implILS8_3ELb0ES6_jNS0_17counting_iteratorIjlEEPS9_SE_NS0_5tupleIJPjSE_EEENSF_IJSE_SE_EEES9_SG_JZNS1_25segmented_radix_sort_implINS0_14default_configELb0EPK12hip_bfloat16PSL_PKlPlN2at6native12_GLOBAL__N_18offset_tEEE10hipError_tPvRmT1_PNSt15iterator_traitsISZ_E10value_typeET2_T3_PNS10_IS15_E10value_typeET4_jRbjT5_S1B_jjP12ihipStream_tbEUljE_EEESW_SX_SY_S15_S19_S1B_T6_T7_T9_mT8_S1D_bDpT10_ENKUlT_T0_E_clISt17integral_constantIbLb0EES1P_IbLb1EEEEDaS1L_S1M_EUlS1L_E_NS1_11comp_targetILNS1_3genE8ELNS1_11target_archE1030ELNS1_3gpuE2ELNS1_3repE0EEENS1_30default_config_static_selectorELNS0_4arch9wavefront6targetE1EEEvSZ_: ; @_ZN7rocprim17ROCPRIM_400000_NS6detail17trampoline_kernelINS0_13select_configILj256ELj13ELNS0_17block_load_methodE3ELS4_3ELS4_3ELNS0_20block_scan_algorithmE0ELj4294967295EEENS1_25partition_config_selectorILNS1_17partition_subalgoE3EjNS0_10empty_typeEbEEZZNS1_14partition_implILS8_3ELb0ES6_jNS0_17counting_iteratorIjlEEPS9_SE_NS0_5tupleIJPjSE_EEENSF_IJSE_SE_EEES9_SG_JZNS1_25segmented_radix_sort_implINS0_14default_configELb0EPK12hip_bfloat16PSL_PKlPlN2at6native12_GLOBAL__N_18offset_tEEE10hipError_tPvRmT1_PNSt15iterator_traitsISZ_E10value_typeET2_T3_PNS10_IS15_E10value_typeET4_jRbjT5_S1B_jjP12ihipStream_tbEUljE_EEESW_SX_SY_S15_S19_S1B_T6_T7_T9_mT8_S1D_bDpT10_ENKUlT_T0_E_clISt17integral_constantIbLb0EES1P_IbLb1EEEEDaS1L_S1M_EUlS1L_E_NS1_11comp_targetILNS1_3genE8ELNS1_11target_archE1030ELNS1_3gpuE2ELNS1_3repE0EEENS1_30default_config_static_selectorELNS0_4arch9wavefront6targetE1EEEvSZ_
; %bb.0:
	.section	.rodata,"a",@progbits
	.p2align	6, 0x0
	.amdhsa_kernel _ZN7rocprim17ROCPRIM_400000_NS6detail17trampoline_kernelINS0_13select_configILj256ELj13ELNS0_17block_load_methodE3ELS4_3ELS4_3ELNS0_20block_scan_algorithmE0ELj4294967295EEENS1_25partition_config_selectorILNS1_17partition_subalgoE3EjNS0_10empty_typeEbEEZZNS1_14partition_implILS8_3ELb0ES6_jNS0_17counting_iteratorIjlEEPS9_SE_NS0_5tupleIJPjSE_EEENSF_IJSE_SE_EEES9_SG_JZNS1_25segmented_radix_sort_implINS0_14default_configELb0EPK12hip_bfloat16PSL_PKlPlN2at6native12_GLOBAL__N_18offset_tEEE10hipError_tPvRmT1_PNSt15iterator_traitsISZ_E10value_typeET2_T3_PNS10_IS15_E10value_typeET4_jRbjT5_S1B_jjP12ihipStream_tbEUljE_EEESW_SX_SY_S15_S19_S1B_T6_T7_T9_mT8_S1D_bDpT10_ENKUlT_T0_E_clISt17integral_constantIbLb0EES1P_IbLb1EEEEDaS1L_S1M_EUlS1L_E_NS1_11comp_targetILNS1_3genE8ELNS1_11target_archE1030ELNS1_3gpuE2ELNS1_3repE0EEENS1_30default_config_static_selectorELNS0_4arch9wavefront6targetE1EEEvSZ_
		.amdhsa_group_segment_fixed_size 0
		.amdhsa_private_segment_fixed_size 0
		.amdhsa_kernarg_size 152
		.amdhsa_user_sgpr_count 6
		.amdhsa_user_sgpr_private_segment_buffer 1
		.amdhsa_user_sgpr_dispatch_ptr 0
		.amdhsa_user_sgpr_queue_ptr 0
		.amdhsa_user_sgpr_kernarg_segment_ptr 1
		.amdhsa_user_sgpr_dispatch_id 0
		.amdhsa_user_sgpr_flat_scratch_init 0
		.amdhsa_user_sgpr_kernarg_preload_length 0
		.amdhsa_user_sgpr_kernarg_preload_offset 0
		.amdhsa_user_sgpr_private_segment_size 0
		.amdhsa_uses_dynamic_stack 0
		.amdhsa_system_sgpr_private_segment_wavefront_offset 0
		.amdhsa_system_sgpr_workgroup_id_x 1
		.amdhsa_system_sgpr_workgroup_id_y 0
		.amdhsa_system_sgpr_workgroup_id_z 0
		.amdhsa_system_sgpr_workgroup_info 0
		.amdhsa_system_vgpr_workitem_id 0
		.amdhsa_next_free_vgpr 1
		.amdhsa_next_free_sgpr 0
		.amdhsa_accum_offset 4
		.amdhsa_reserve_vcc 0
		.amdhsa_reserve_flat_scratch 0
		.amdhsa_float_round_mode_32 0
		.amdhsa_float_round_mode_16_64 0
		.amdhsa_float_denorm_mode_32 3
		.amdhsa_float_denorm_mode_16_64 3
		.amdhsa_dx10_clamp 1
		.amdhsa_ieee_mode 1
		.amdhsa_fp16_overflow 0
		.amdhsa_tg_split 0
		.amdhsa_exception_fp_ieee_invalid_op 0
		.amdhsa_exception_fp_denorm_src 0
		.amdhsa_exception_fp_ieee_div_zero 0
		.amdhsa_exception_fp_ieee_overflow 0
		.amdhsa_exception_fp_ieee_underflow 0
		.amdhsa_exception_fp_ieee_inexact 0
		.amdhsa_exception_int_div_zero 0
	.end_amdhsa_kernel
	.section	.text._ZN7rocprim17ROCPRIM_400000_NS6detail17trampoline_kernelINS0_13select_configILj256ELj13ELNS0_17block_load_methodE3ELS4_3ELS4_3ELNS0_20block_scan_algorithmE0ELj4294967295EEENS1_25partition_config_selectorILNS1_17partition_subalgoE3EjNS0_10empty_typeEbEEZZNS1_14partition_implILS8_3ELb0ES6_jNS0_17counting_iteratorIjlEEPS9_SE_NS0_5tupleIJPjSE_EEENSF_IJSE_SE_EEES9_SG_JZNS1_25segmented_radix_sort_implINS0_14default_configELb0EPK12hip_bfloat16PSL_PKlPlN2at6native12_GLOBAL__N_18offset_tEEE10hipError_tPvRmT1_PNSt15iterator_traitsISZ_E10value_typeET2_T3_PNS10_IS15_E10value_typeET4_jRbjT5_S1B_jjP12ihipStream_tbEUljE_EEESW_SX_SY_S15_S19_S1B_T6_T7_T9_mT8_S1D_bDpT10_ENKUlT_T0_E_clISt17integral_constantIbLb0EES1P_IbLb1EEEEDaS1L_S1M_EUlS1L_E_NS1_11comp_targetILNS1_3genE8ELNS1_11target_archE1030ELNS1_3gpuE2ELNS1_3repE0EEENS1_30default_config_static_selectorELNS0_4arch9wavefront6targetE1EEEvSZ_,"axG",@progbits,_ZN7rocprim17ROCPRIM_400000_NS6detail17trampoline_kernelINS0_13select_configILj256ELj13ELNS0_17block_load_methodE3ELS4_3ELS4_3ELNS0_20block_scan_algorithmE0ELj4294967295EEENS1_25partition_config_selectorILNS1_17partition_subalgoE3EjNS0_10empty_typeEbEEZZNS1_14partition_implILS8_3ELb0ES6_jNS0_17counting_iteratorIjlEEPS9_SE_NS0_5tupleIJPjSE_EEENSF_IJSE_SE_EEES9_SG_JZNS1_25segmented_radix_sort_implINS0_14default_configELb0EPK12hip_bfloat16PSL_PKlPlN2at6native12_GLOBAL__N_18offset_tEEE10hipError_tPvRmT1_PNSt15iterator_traitsISZ_E10value_typeET2_T3_PNS10_IS15_E10value_typeET4_jRbjT5_S1B_jjP12ihipStream_tbEUljE_EEESW_SX_SY_S15_S19_S1B_T6_T7_T9_mT8_S1D_bDpT10_ENKUlT_T0_E_clISt17integral_constantIbLb0EES1P_IbLb1EEEEDaS1L_S1M_EUlS1L_E_NS1_11comp_targetILNS1_3genE8ELNS1_11target_archE1030ELNS1_3gpuE2ELNS1_3repE0EEENS1_30default_config_static_selectorELNS0_4arch9wavefront6targetE1EEEvSZ_,comdat
.Lfunc_end2046:
	.size	_ZN7rocprim17ROCPRIM_400000_NS6detail17trampoline_kernelINS0_13select_configILj256ELj13ELNS0_17block_load_methodE3ELS4_3ELS4_3ELNS0_20block_scan_algorithmE0ELj4294967295EEENS1_25partition_config_selectorILNS1_17partition_subalgoE3EjNS0_10empty_typeEbEEZZNS1_14partition_implILS8_3ELb0ES6_jNS0_17counting_iteratorIjlEEPS9_SE_NS0_5tupleIJPjSE_EEENSF_IJSE_SE_EEES9_SG_JZNS1_25segmented_radix_sort_implINS0_14default_configELb0EPK12hip_bfloat16PSL_PKlPlN2at6native12_GLOBAL__N_18offset_tEEE10hipError_tPvRmT1_PNSt15iterator_traitsISZ_E10value_typeET2_T3_PNS10_IS15_E10value_typeET4_jRbjT5_S1B_jjP12ihipStream_tbEUljE_EEESW_SX_SY_S15_S19_S1B_T6_T7_T9_mT8_S1D_bDpT10_ENKUlT_T0_E_clISt17integral_constantIbLb0EES1P_IbLb1EEEEDaS1L_S1M_EUlS1L_E_NS1_11comp_targetILNS1_3genE8ELNS1_11target_archE1030ELNS1_3gpuE2ELNS1_3repE0EEENS1_30default_config_static_selectorELNS0_4arch9wavefront6targetE1EEEvSZ_, .Lfunc_end2046-_ZN7rocprim17ROCPRIM_400000_NS6detail17trampoline_kernelINS0_13select_configILj256ELj13ELNS0_17block_load_methodE3ELS4_3ELS4_3ELNS0_20block_scan_algorithmE0ELj4294967295EEENS1_25partition_config_selectorILNS1_17partition_subalgoE3EjNS0_10empty_typeEbEEZZNS1_14partition_implILS8_3ELb0ES6_jNS0_17counting_iteratorIjlEEPS9_SE_NS0_5tupleIJPjSE_EEENSF_IJSE_SE_EEES9_SG_JZNS1_25segmented_radix_sort_implINS0_14default_configELb0EPK12hip_bfloat16PSL_PKlPlN2at6native12_GLOBAL__N_18offset_tEEE10hipError_tPvRmT1_PNSt15iterator_traitsISZ_E10value_typeET2_T3_PNS10_IS15_E10value_typeET4_jRbjT5_S1B_jjP12ihipStream_tbEUljE_EEESW_SX_SY_S15_S19_S1B_T6_T7_T9_mT8_S1D_bDpT10_ENKUlT_T0_E_clISt17integral_constantIbLb0EES1P_IbLb1EEEEDaS1L_S1M_EUlS1L_E_NS1_11comp_targetILNS1_3genE8ELNS1_11target_archE1030ELNS1_3gpuE2ELNS1_3repE0EEENS1_30default_config_static_selectorELNS0_4arch9wavefront6targetE1EEEvSZ_
                                        ; -- End function
	.section	.AMDGPU.csdata,"",@progbits
; Kernel info:
; codeLenInByte = 0
; NumSgprs: 4
; NumVgprs: 0
; NumAgprs: 0
; TotalNumVgprs: 0
; ScratchSize: 0
; MemoryBound: 0
; FloatMode: 240
; IeeeMode: 1
; LDSByteSize: 0 bytes/workgroup (compile time only)
; SGPRBlocks: 0
; VGPRBlocks: 0
; NumSGPRsForWavesPerEU: 4
; NumVGPRsForWavesPerEU: 1
; AccumOffset: 4
; Occupancy: 8
; WaveLimiterHint : 0
; COMPUTE_PGM_RSRC2:SCRATCH_EN: 0
; COMPUTE_PGM_RSRC2:USER_SGPR: 6
; COMPUTE_PGM_RSRC2:TRAP_HANDLER: 0
; COMPUTE_PGM_RSRC2:TGID_X_EN: 1
; COMPUTE_PGM_RSRC2:TGID_Y_EN: 0
; COMPUTE_PGM_RSRC2:TGID_Z_EN: 0
; COMPUTE_PGM_RSRC2:TIDIG_COMP_CNT: 0
; COMPUTE_PGM_RSRC3_GFX90A:ACCUM_OFFSET: 0
; COMPUTE_PGM_RSRC3_GFX90A:TG_SPLIT: 0
	.section	.text._ZN7rocprim17ROCPRIM_400000_NS6detail17trampoline_kernelINS0_14default_configENS1_36segmented_radix_sort_config_selectorI12hip_bfloat16lEEZNS1_25segmented_radix_sort_implIS3_Lb0EPKS5_PS5_PKlPlN2at6native12_GLOBAL__N_18offset_tEEE10hipError_tPvRmT1_PNSt15iterator_traitsISL_E10value_typeET2_T3_PNSM_ISR_E10value_typeET4_jRbjT5_SX_jjP12ihipStream_tbEUlT_E_NS1_11comp_targetILNS1_3genE0ELNS1_11target_archE4294967295ELNS1_3gpuE0ELNS1_3repE0EEENS1_30default_config_static_selectorELNS0_4arch9wavefront6targetE1EEEvSL_,"axG",@progbits,_ZN7rocprim17ROCPRIM_400000_NS6detail17trampoline_kernelINS0_14default_configENS1_36segmented_radix_sort_config_selectorI12hip_bfloat16lEEZNS1_25segmented_radix_sort_implIS3_Lb0EPKS5_PS5_PKlPlN2at6native12_GLOBAL__N_18offset_tEEE10hipError_tPvRmT1_PNSt15iterator_traitsISL_E10value_typeET2_T3_PNSM_ISR_E10value_typeET4_jRbjT5_SX_jjP12ihipStream_tbEUlT_E_NS1_11comp_targetILNS1_3genE0ELNS1_11target_archE4294967295ELNS1_3gpuE0ELNS1_3repE0EEENS1_30default_config_static_selectorELNS0_4arch9wavefront6targetE1EEEvSL_,comdat
	.globl	_ZN7rocprim17ROCPRIM_400000_NS6detail17trampoline_kernelINS0_14default_configENS1_36segmented_radix_sort_config_selectorI12hip_bfloat16lEEZNS1_25segmented_radix_sort_implIS3_Lb0EPKS5_PS5_PKlPlN2at6native12_GLOBAL__N_18offset_tEEE10hipError_tPvRmT1_PNSt15iterator_traitsISL_E10value_typeET2_T3_PNSM_ISR_E10value_typeET4_jRbjT5_SX_jjP12ihipStream_tbEUlT_E_NS1_11comp_targetILNS1_3genE0ELNS1_11target_archE4294967295ELNS1_3gpuE0ELNS1_3repE0EEENS1_30default_config_static_selectorELNS0_4arch9wavefront6targetE1EEEvSL_ ; -- Begin function _ZN7rocprim17ROCPRIM_400000_NS6detail17trampoline_kernelINS0_14default_configENS1_36segmented_radix_sort_config_selectorI12hip_bfloat16lEEZNS1_25segmented_radix_sort_implIS3_Lb0EPKS5_PS5_PKlPlN2at6native12_GLOBAL__N_18offset_tEEE10hipError_tPvRmT1_PNSt15iterator_traitsISL_E10value_typeET2_T3_PNSM_ISR_E10value_typeET4_jRbjT5_SX_jjP12ihipStream_tbEUlT_E_NS1_11comp_targetILNS1_3genE0ELNS1_11target_archE4294967295ELNS1_3gpuE0ELNS1_3repE0EEENS1_30default_config_static_selectorELNS0_4arch9wavefront6targetE1EEEvSL_
	.p2align	8
	.type	_ZN7rocprim17ROCPRIM_400000_NS6detail17trampoline_kernelINS0_14default_configENS1_36segmented_radix_sort_config_selectorI12hip_bfloat16lEEZNS1_25segmented_radix_sort_implIS3_Lb0EPKS5_PS5_PKlPlN2at6native12_GLOBAL__N_18offset_tEEE10hipError_tPvRmT1_PNSt15iterator_traitsISL_E10value_typeET2_T3_PNSM_ISR_E10value_typeET4_jRbjT5_SX_jjP12ihipStream_tbEUlT_E_NS1_11comp_targetILNS1_3genE0ELNS1_11target_archE4294967295ELNS1_3gpuE0ELNS1_3repE0EEENS1_30default_config_static_selectorELNS0_4arch9wavefront6targetE1EEEvSL_,@function
_ZN7rocprim17ROCPRIM_400000_NS6detail17trampoline_kernelINS0_14default_configENS1_36segmented_radix_sort_config_selectorI12hip_bfloat16lEEZNS1_25segmented_radix_sort_implIS3_Lb0EPKS5_PS5_PKlPlN2at6native12_GLOBAL__N_18offset_tEEE10hipError_tPvRmT1_PNSt15iterator_traitsISL_E10value_typeET2_T3_PNSM_ISR_E10value_typeET4_jRbjT5_SX_jjP12ihipStream_tbEUlT_E_NS1_11comp_targetILNS1_3genE0ELNS1_11target_archE4294967295ELNS1_3gpuE0ELNS1_3repE0EEENS1_30default_config_static_selectorELNS0_4arch9wavefront6targetE1EEEvSL_: ; @_ZN7rocprim17ROCPRIM_400000_NS6detail17trampoline_kernelINS0_14default_configENS1_36segmented_radix_sort_config_selectorI12hip_bfloat16lEEZNS1_25segmented_radix_sort_implIS3_Lb0EPKS5_PS5_PKlPlN2at6native12_GLOBAL__N_18offset_tEEE10hipError_tPvRmT1_PNSt15iterator_traitsISL_E10value_typeET2_T3_PNSM_ISR_E10value_typeET4_jRbjT5_SX_jjP12ihipStream_tbEUlT_E_NS1_11comp_targetILNS1_3genE0ELNS1_11target_archE4294967295ELNS1_3gpuE0ELNS1_3repE0EEENS1_30default_config_static_selectorELNS0_4arch9wavefront6targetE1EEEvSL_
; %bb.0:
	.section	.rodata,"a",@progbits
	.p2align	6, 0x0
	.amdhsa_kernel _ZN7rocprim17ROCPRIM_400000_NS6detail17trampoline_kernelINS0_14default_configENS1_36segmented_radix_sort_config_selectorI12hip_bfloat16lEEZNS1_25segmented_radix_sort_implIS3_Lb0EPKS5_PS5_PKlPlN2at6native12_GLOBAL__N_18offset_tEEE10hipError_tPvRmT1_PNSt15iterator_traitsISL_E10value_typeET2_T3_PNSM_ISR_E10value_typeET4_jRbjT5_SX_jjP12ihipStream_tbEUlT_E_NS1_11comp_targetILNS1_3genE0ELNS1_11target_archE4294967295ELNS1_3gpuE0ELNS1_3repE0EEENS1_30default_config_static_selectorELNS0_4arch9wavefront6targetE1EEEvSL_
		.amdhsa_group_segment_fixed_size 0
		.amdhsa_private_segment_fixed_size 0
		.amdhsa_kernarg_size 96
		.amdhsa_user_sgpr_count 6
		.amdhsa_user_sgpr_private_segment_buffer 1
		.amdhsa_user_sgpr_dispatch_ptr 0
		.amdhsa_user_sgpr_queue_ptr 0
		.amdhsa_user_sgpr_kernarg_segment_ptr 1
		.amdhsa_user_sgpr_dispatch_id 0
		.amdhsa_user_sgpr_flat_scratch_init 0
		.amdhsa_user_sgpr_kernarg_preload_length 0
		.amdhsa_user_sgpr_kernarg_preload_offset 0
		.amdhsa_user_sgpr_private_segment_size 0
		.amdhsa_uses_dynamic_stack 0
		.amdhsa_system_sgpr_private_segment_wavefront_offset 0
		.amdhsa_system_sgpr_workgroup_id_x 1
		.amdhsa_system_sgpr_workgroup_id_y 0
		.amdhsa_system_sgpr_workgroup_id_z 0
		.amdhsa_system_sgpr_workgroup_info 0
		.amdhsa_system_vgpr_workitem_id 0
		.amdhsa_next_free_vgpr 1
		.amdhsa_next_free_sgpr 0
		.amdhsa_accum_offset 4
		.amdhsa_reserve_vcc 0
		.amdhsa_reserve_flat_scratch 0
		.amdhsa_float_round_mode_32 0
		.amdhsa_float_round_mode_16_64 0
		.amdhsa_float_denorm_mode_32 3
		.amdhsa_float_denorm_mode_16_64 3
		.amdhsa_dx10_clamp 1
		.amdhsa_ieee_mode 1
		.amdhsa_fp16_overflow 0
		.amdhsa_tg_split 0
		.amdhsa_exception_fp_ieee_invalid_op 0
		.amdhsa_exception_fp_denorm_src 0
		.amdhsa_exception_fp_ieee_div_zero 0
		.amdhsa_exception_fp_ieee_overflow 0
		.amdhsa_exception_fp_ieee_underflow 0
		.amdhsa_exception_fp_ieee_inexact 0
		.amdhsa_exception_int_div_zero 0
	.end_amdhsa_kernel
	.section	.text._ZN7rocprim17ROCPRIM_400000_NS6detail17trampoline_kernelINS0_14default_configENS1_36segmented_radix_sort_config_selectorI12hip_bfloat16lEEZNS1_25segmented_radix_sort_implIS3_Lb0EPKS5_PS5_PKlPlN2at6native12_GLOBAL__N_18offset_tEEE10hipError_tPvRmT1_PNSt15iterator_traitsISL_E10value_typeET2_T3_PNSM_ISR_E10value_typeET4_jRbjT5_SX_jjP12ihipStream_tbEUlT_E_NS1_11comp_targetILNS1_3genE0ELNS1_11target_archE4294967295ELNS1_3gpuE0ELNS1_3repE0EEENS1_30default_config_static_selectorELNS0_4arch9wavefront6targetE1EEEvSL_,"axG",@progbits,_ZN7rocprim17ROCPRIM_400000_NS6detail17trampoline_kernelINS0_14default_configENS1_36segmented_radix_sort_config_selectorI12hip_bfloat16lEEZNS1_25segmented_radix_sort_implIS3_Lb0EPKS5_PS5_PKlPlN2at6native12_GLOBAL__N_18offset_tEEE10hipError_tPvRmT1_PNSt15iterator_traitsISL_E10value_typeET2_T3_PNSM_ISR_E10value_typeET4_jRbjT5_SX_jjP12ihipStream_tbEUlT_E_NS1_11comp_targetILNS1_3genE0ELNS1_11target_archE4294967295ELNS1_3gpuE0ELNS1_3repE0EEENS1_30default_config_static_selectorELNS0_4arch9wavefront6targetE1EEEvSL_,comdat
.Lfunc_end2047:
	.size	_ZN7rocprim17ROCPRIM_400000_NS6detail17trampoline_kernelINS0_14default_configENS1_36segmented_radix_sort_config_selectorI12hip_bfloat16lEEZNS1_25segmented_radix_sort_implIS3_Lb0EPKS5_PS5_PKlPlN2at6native12_GLOBAL__N_18offset_tEEE10hipError_tPvRmT1_PNSt15iterator_traitsISL_E10value_typeET2_T3_PNSM_ISR_E10value_typeET4_jRbjT5_SX_jjP12ihipStream_tbEUlT_E_NS1_11comp_targetILNS1_3genE0ELNS1_11target_archE4294967295ELNS1_3gpuE0ELNS1_3repE0EEENS1_30default_config_static_selectorELNS0_4arch9wavefront6targetE1EEEvSL_, .Lfunc_end2047-_ZN7rocprim17ROCPRIM_400000_NS6detail17trampoline_kernelINS0_14default_configENS1_36segmented_radix_sort_config_selectorI12hip_bfloat16lEEZNS1_25segmented_radix_sort_implIS3_Lb0EPKS5_PS5_PKlPlN2at6native12_GLOBAL__N_18offset_tEEE10hipError_tPvRmT1_PNSt15iterator_traitsISL_E10value_typeET2_T3_PNSM_ISR_E10value_typeET4_jRbjT5_SX_jjP12ihipStream_tbEUlT_E_NS1_11comp_targetILNS1_3genE0ELNS1_11target_archE4294967295ELNS1_3gpuE0ELNS1_3repE0EEENS1_30default_config_static_selectorELNS0_4arch9wavefront6targetE1EEEvSL_
                                        ; -- End function
	.section	.AMDGPU.csdata,"",@progbits
; Kernel info:
; codeLenInByte = 0
; NumSgprs: 4
; NumVgprs: 0
; NumAgprs: 0
; TotalNumVgprs: 0
; ScratchSize: 0
; MemoryBound: 0
; FloatMode: 240
; IeeeMode: 1
; LDSByteSize: 0 bytes/workgroup (compile time only)
; SGPRBlocks: 0
; VGPRBlocks: 0
; NumSGPRsForWavesPerEU: 4
; NumVGPRsForWavesPerEU: 1
; AccumOffset: 4
; Occupancy: 8
; WaveLimiterHint : 0
; COMPUTE_PGM_RSRC2:SCRATCH_EN: 0
; COMPUTE_PGM_RSRC2:USER_SGPR: 6
; COMPUTE_PGM_RSRC2:TRAP_HANDLER: 0
; COMPUTE_PGM_RSRC2:TGID_X_EN: 1
; COMPUTE_PGM_RSRC2:TGID_Y_EN: 0
; COMPUTE_PGM_RSRC2:TGID_Z_EN: 0
; COMPUTE_PGM_RSRC2:TIDIG_COMP_CNT: 0
; COMPUTE_PGM_RSRC3_GFX90A:ACCUM_OFFSET: 0
; COMPUTE_PGM_RSRC3_GFX90A:TG_SPLIT: 0
	.section	.text._ZN7rocprim17ROCPRIM_400000_NS6detail17trampoline_kernelINS0_14default_configENS1_36segmented_radix_sort_config_selectorI12hip_bfloat16lEEZNS1_25segmented_radix_sort_implIS3_Lb0EPKS5_PS5_PKlPlN2at6native12_GLOBAL__N_18offset_tEEE10hipError_tPvRmT1_PNSt15iterator_traitsISL_E10value_typeET2_T3_PNSM_ISR_E10value_typeET4_jRbjT5_SX_jjP12ihipStream_tbEUlT_E_NS1_11comp_targetILNS1_3genE5ELNS1_11target_archE942ELNS1_3gpuE9ELNS1_3repE0EEENS1_30default_config_static_selectorELNS0_4arch9wavefront6targetE1EEEvSL_,"axG",@progbits,_ZN7rocprim17ROCPRIM_400000_NS6detail17trampoline_kernelINS0_14default_configENS1_36segmented_radix_sort_config_selectorI12hip_bfloat16lEEZNS1_25segmented_radix_sort_implIS3_Lb0EPKS5_PS5_PKlPlN2at6native12_GLOBAL__N_18offset_tEEE10hipError_tPvRmT1_PNSt15iterator_traitsISL_E10value_typeET2_T3_PNSM_ISR_E10value_typeET4_jRbjT5_SX_jjP12ihipStream_tbEUlT_E_NS1_11comp_targetILNS1_3genE5ELNS1_11target_archE942ELNS1_3gpuE9ELNS1_3repE0EEENS1_30default_config_static_selectorELNS0_4arch9wavefront6targetE1EEEvSL_,comdat
	.globl	_ZN7rocprim17ROCPRIM_400000_NS6detail17trampoline_kernelINS0_14default_configENS1_36segmented_radix_sort_config_selectorI12hip_bfloat16lEEZNS1_25segmented_radix_sort_implIS3_Lb0EPKS5_PS5_PKlPlN2at6native12_GLOBAL__N_18offset_tEEE10hipError_tPvRmT1_PNSt15iterator_traitsISL_E10value_typeET2_T3_PNSM_ISR_E10value_typeET4_jRbjT5_SX_jjP12ihipStream_tbEUlT_E_NS1_11comp_targetILNS1_3genE5ELNS1_11target_archE942ELNS1_3gpuE9ELNS1_3repE0EEENS1_30default_config_static_selectorELNS0_4arch9wavefront6targetE1EEEvSL_ ; -- Begin function _ZN7rocprim17ROCPRIM_400000_NS6detail17trampoline_kernelINS0_14default_configENS1_36segmented_radix_sort_config_selectorI12hip_bfloat16lEEZNS1_25segmented_radix_sort_implIS3_Lb0EPKS5_PS5_PKlPlN2at6native12_GLOBAL__N_18offset_tEEE10hipError_tPvRmT1_PNSt15iterator_traitsISL_E10value_typeET2_T3_PNSM_ISR_E10value_typeET4_jRbjT5_SX_jjP12ihipStream_tbEUlT_E_NS1_11comp_targetILNS1_3genE5ELNS1_11target_archE942ELNS1_3gpuE9ELNS1_3repE0EEENS1_30default_config_static_selectorELNS0_4arch9wavefront6targetE1EEEvSL_
	.p2align	8
	.type	_ZN7rocprim17ROCPRIM_400000_NS6detail17trampoline_kernelINS0_14default_configENS1_36segmented_radix_sort_config_selectorI12hip_bfloat16lEEZNS1_25segmented_radix_sort_implIS3_Lb0EPKS5_PS5_PKlPlN2at6native12_GLOBAL__N_18offset_tEEE10hipError_tPvRmT1_PNSt15iterator_traitsISL_E10value_typeET2_T3_PNSM_ISR_E10value_typeET4_jRbjT5_SX_jjP12ihipStream_tbEUlT_E_NS1_11comp_targetILNS1_3genE5ELNS1_11target_archE942ELNS1_3gpuE9ELNS1_3repE0EEENS1_30default_config_static_selectorELNS0_4arch9wavefront6targetE1EEEvSL_,@function
_ZN7rocprim17ROCPRIM_400000_NS6detail17trampoline_kernelINS0_14default_configENS1_36segmented_radix_sort_config_selectorI12hip_bfloat16lEEZNS1_25segmented_radix_sort_implIS3_Lb0EPKS5_PS5_PKlPlN2at6native12_GLOBAL__N_18offset_tEEE10hipError_tPvRmT1_PNSt15iterator_traitsISL_E10value_typeET2_T3_PNSM_ISR_E10value_typeET4_jRbjT5_SX_jjP12ihipStream_tbEUlT_E_NS1_11comp_targetILNS1_3genE5ELNS1_11target_archE942ELNS1_3gpuE9ELNS1_3repE0EEENS1_30default_config_static_selectorELNS0_4arch9wavefront6targetE1EEEvSL_: ; @_ZN7rocprim17ROCPRIM_400000_NS6detail17trampoline_kernelINS0_14default_configENS1_36segmented_radix_sort_config_selectorI12hip_bfloat16lEEZNS1_25segmented_radix_sort_implIS3_Lb0EPKS5_PS5_PKlPlN2at6native12_GLOBAL__N_18offset_tEEE10hipError_tPvRmT1_PNSt15iterator_traitsISL_E10value_typeET2_T3_PNSM_ISR_E10value_typeET4_jRbjT5_SX_jjP12ihipStream_tbEUlT_E_NS1_11comp_targetILNS1_3genE5ELNS1_11target_archE942ELNS1_3gpuE9ELNS1_3repE0EEENS1_30default_config_static_selectorELNS0_4arch9wavefront6targetE1EEEvSL_
; %bb.0:
	.section	.rodata,"a",@progbits
	.p2align	6, 0x0
	.amdhsa_kernel _ZN7rocprim17ROCPRIM_400000_NS6detail17trampoline_kernelINS0_14default_configENS1_36segmented_radix_sort_config_selectorI12hip_bfloat16lEEZNS1_25segmented_radix_sort_implIS3_Lb0EPKS5_PS5_PKlPlN2at6native12_GLOBAL__N_18offset_tEEE10hipError_tPvRmT1_PNSt15iterator_traitsISL_E10value_typeET2_T3_PNSM_ISR_E10value_typeET4_jRbjT5_SX_jjP12ihipStream_tbEUlT_E_NS1_11comp_targetILNS1_3genE5ELNS1_11target_archE942ELNS1_3gpuE9ELNS1_3repE0EEENS1_30default_config_static_selectorELNS0_4arch9wavefront6targetE1EEEvSL_
		.amdhsa_group_segment_fixed_size 0
		.amdhsa_private_segment_fixed_size 0
		.amdhsa_kernarg_size 96
		.amdhsa_user_sgpr_count 6
		.amdhsa_user_sgpr_private_segment_buffer 1
		.amdhsa_user_sgpr_dispatch_ptr 0
		.amdhsa_user_sgpr_queue_ptr 0
		.amdhsa_user_sgpr_kernarg_segment_ptr 1
		.amdhsa_user_sgpr_dispatch_id 0
		.amdhsa_user_sgpr_flat_scratch_init 0
		.amdhsa_user_sgpr_kernarg_preload_length 0
		.amdhsa_user_sgpr_kernarg_preload_offset 0
		.amdhsa_user_sgpr_private_segment_size 0
		.amdhsa_uses_dynamic_stack 0
		.amdhsa_system_sgpr_private_segment_wavefront_offset 0
		.amdhsa_system_sgpr_workgroup_id_x 1
		.amdhsa_system_sgpr_workgroup_id_y 0
		.amdhsa_system_sgpr_workgroup_id_z 0
		.amdhsa_system_sgpr_workgroup_info 0
		.amdhsa_system_vgpr_workitem_id 0
		.amdhsa_next_free_vgpr 1
		.amdhsa_next_free_sgpr 0
		.amdhsa_accum_offset 4
		.amdhsa_reserve_vcc 0
		.amdhsa_reserve_flat_scratch 0
		.amdhsa_float_round_mode_32 0
		.amdhsa_float_round_mode_16_64 0
		.amdhsa_float_denorm_mode_32 3
		.amdhsa_float_denorm_mode_16_64 3
		.amdhsa_dx10_clamp 1
		.amdhsa_ieee_mode 1
		.amdhsa_fp16_overflow 0
		.amdhsa_tg_split 0
		.amdhsa_exception_fp_ieee_invalid_op 0
		.amdhsa_exception_fp_denorm_src 0
		.amdhsa_exception_fp_ieee_div_zero 0
		.amdhsa_exception_fp_ieee_overflow 0
		.amdhsa_exception_fp_ieee_underflow 0
		.amdhsa_exception_fp_ieee_inexact 0
		.amdhsa_exception_int_div_zero 0
	.end_amdhsa_kernel
	.section	.text._ZN7rocprim17ROCPRIM_400000_NS6detail17trampoline_kernelINS0_14default_configENS1_36segmented_radix_sort_config_selectorI12hip_bfloat16lEEZNS1_25segmented_radix_sort_implIS3_Lb0EPKS5_PS5_PKlPlN2at6native12_GLOBAL__N_18offset_tEEE10hipError_tPvRmT1_PNSt15iterator_traitsISL_E10value_typeET2_T3_PNSM_ISR_E10value_typeET4_jRbjT5_SX_jjP12ihipStream_tbEUlT_E_NS1_11comp_targetILNS1_3genE5ELNS1_11target_archE942ELNS1_3gpuE9ELNS1_3repE0EEENS1_30default_config_static_selectorELNS0_4arch9wavefront6targetE1EEEvSL_,"axG",@progbits,_ZN7rocprim17ROCPRIM_400000_NS6detail17trampoline_kernelINS0_14default_configENS1_36segmented_radix_sort_config_selectorI12hip_bfloat16lEEZNS1_25segmented_radix_sort_implIS3_Lb0EPKS5_PS5_PKlPlN2at6native12_GLOBAL__N_18offset_tEEE10hipError_tPvRmT1_PNSt15iterator_traitsISL_E10value_typeET2_T3_PNSM_ISR_E10value_typeET4_jRbjT5_SX_jjP12ihipStream_tbEUlT_E_NS1_11comp_targetILNS1_3genE5ELNS1_11target_archE942ELNS1_3gpuE9ELNS1_3repE0EEENS1_30default_config_static_selectorELNS0_4arch9wavefront6targetE1EEEvSL_,comdat
.Lfunc_end2048:
	.size	_ZN7rocprim17ROCPRIM_400000_NS6detail17trampoline_kernelINS0_14default_configENS1_36segmented_radix_sort_config_selectorI12hip_bfloat16lEEZNS1_25segmented_radix_sort_implIS3_Lb0EPKS5_PS5_PKlPlN2at6native12_GLOBAL__N_18offset_tEEE10hipError_tPvRmT1_PNSt15iterator_traitsISL_E10value_typeET2_T3_PNSM_ISR_E10value_typeET4_jRbjT5_SX_jjP12ihipStream_tbEUlT_E_NS1_11comp_targetILNS1_3genE5ELNS1_11target_archE942ELNS1_3gpuE9ELNS1_3repE0EEENS1_30default_config_static_selectorELNS0_4arch9wavefront6targetE1EEEvSL_, .Lfunc_end2048-_ZN7rocprim17ROCPRIM_400000_NS6detail17trampoline_kernelINS0_14default_configENS1_36segmented_radix_sort_config_selectorI12hip_bfloat16lEEZNS1_25segmented_radix_sort_implIS3_Lb0EPKS5_PS5_PKlPlN2at6native12_GLOBAL__N_18offset_tEEE10hipError_tPvRmT1_PNSt15iterator_traitsISL_E10value_typeET2_T3_PNSM_ISR_E10value_typeET4_jRbjT5_SX_jjP12ihipStream_tbEUlT_E_NS1_11comp_targetILNS1_3genE5ELNS1_11target_archE942ELNS1_3gpuE9ELNS1_3repE0EEENS1_30default_config_static_selectorELNS0_4arch9wavefront6targetE1EEEvSL_
                                        ; -- End function
	.section	.AMDGPU.csdata,"",@progbits
; Kernel info:
; codeLenInByte = 0
; NumSgprs: 4
; NumVgprs: 0
; NumAgprs: 0
; TotalNumVgprs: 0
; ScratchSize: 0
; MemoryBound: 0
; FloatMode: 240
; IeeeMode: 1
; LDSByteSize: 0 bytes/workgroup (compile time only)
; SGPRBlocks: 0
; VGPRBlocks: 0
; NumSGPRsForWavesPerEU: 4
; NumVGPRsForWavesPerEU: 1
; AccumOffset: 4
; Occupancy: 8
; WaveLimiterHint : 0
; COMPUTE_PGM_RSRC2:SCRATCH_EN: 0
; COMPUTE_PGM_RSRC2:USER_SGPR: 6
; COMPUTE_PGM_RSRC2:TRAP_HANDLER: 0
; COMPUTE_PGM_RSRC2:TGID_X_EN: 1
; COMPUTE_PGM_RSRC2:TGID_Y_EN: 0
; COMPUTE_PGM_RSRC2:TGID_Z_EN: 0
; COMPUTE_PGM_RSRC2:TIDIG_COMP_CNT: 0
; COMPUTE_PGM_RSRC3_GFX90A:ACCUM_OFFSET: 0
; COMPUTE_PGM_RSRC3_GFX90A:TG_SPLIT: 0
	.text
	.p2align	2                               ; -- Begin function _ZN7rocprim17ROCPRIM_400000_NS6detail40segmented_radix_sort_single_block_helperI12hip_bfloat16lLj256ELj8ELb0EE4sortIPKS3_PS3_PKlPlEEbT_T0_T1_T2_jjjjRNS4_12storage_typeE
	.type	_ZN7rocprim17ROCPRIM_400000_NS6detail40segmented_radix_sort_single_block_helperI12hip_bfloat16lLj256ELj8ELb0EE4sortIPKS3_PS3_PKlPlEEbT_T0_T1_T2_jjjjRNS4_12storage_typeE,@function
_ZN7rocprim17ROCPRIM_400000_NS6detail40segmented_radix_sort_single_block_helperI12hip_bfloat16lLj256ELj8ELb0EE4sortIPKS3_PS3_PKlPlEEbT_T0_T1_T2_jjjjRNS4_12storage_typeE: ; @_ZN7rocprim17ROCPRIM_400000_NS6detail40segmented_radix_sort_single_block_helperI12hip_bfloat16lLj256ELj8ELb0EE4sortIPKS3_PS3_PKlPlEEbT_T0_T1_T2_jjjjRNS4_12storage_typeE
; %bb.0:
	s_waitcnt vmcnt(0) expcnt(0) lgkmcnt(0)
	s_or_saveexec_b64 s[4:5], -1
	buffer_store_dword v40, off, s[0:3], s32 ; 4-byte Folded Spill
	s_mov_b64 exec, s[4:5]
	v_writelane_b32 v40, s34, 0
	v_writelane_b32 v40, s35, 1
	;; [unrolled: 1-line block ×16, first 2 shown]
	v_sub_u32_e32 v148, v9, v8
	s_movk_i32 s4, 0x801
	v_cmp_gt_u32_e32 vcc, s4, v148
	s_and_saveexec_b64 s[38:39], vcc
	s_cbranch_execz .LBB2049_199
; %bb.1:
	s_movk_i32 s4, 0x400
	v_cmp_lt_u32_e32 vcc, s4, v148
	v_bfe_u32 v16, v31, 10, 10
	v_bfe_u32 v17, v31, 20, 10
	v_mbcnt_lo_u32_b32 v14, -1, 0
	s_and_saveexec_b64 s[4:5], vcc
	s_xor_b64 s[40:41], exec, s[4:5]
	s_cbranch_execz .LBB2049_79
; %bb.2:
	s_load_dwordx2 s[4:5], s[8:9], 0x0
	v_mov_b32_e32 v9, 0
	v_mbcnt_hi_u32_b32 v28, -1, v14
	v_lshlrev_b64 v[20:21], 1, v[8:9]
	v_and_b32_e32 v29, 63, v28
	s_waitcnt lgkmcnt(0)
	s_cmp_lt_u32 s12, s4
	s_cselect_b32 s6, 12, 18
	s_cmp_lt_u32 s13, s5
	s_cselect_b32 s4, 14, 20
	s_add_u32 s4, s8, s4
	s_addc_u32 s5, s9, 0
	s_add_u32 s6, s8, s6
	global_load_ushort v18, v9, s[4:5]
	s_addc_u32 s7, s9, 0
	global_load_ushort v19, v9, s[6:7]
	v_add_co_u32_e32 v0, vcc, v0, v20
	v_addc_co_u32_e32 v1, vcc, v1, v21, vcc
	v_lshlrev_b32_e32 v14, 1, v29
	v_and_b32_e32 v22, 0x3ff, v31
	v_mov_b32_e32 v23, 0x7fff
	v_add_co_u32_e32 v24, vcc, v0, v14
	v_addc_co_u32_e32 v25, vcc, 0, v1, vcc
	v_mov_b32_e32 v15, v9
	s_waitcnt vmcnt(1)
	v_mad_u32_u24 v0, v17, v18, v16
	s_waitcnt vmcnt(0)
	v_mad_u64_u32 v[0:1], s[4:5], v0, v19, v[22:23]
	v_lshlrev_b32_e32 v1, 3, v0
	v_and_b32_e32 v14, 0xfffffe00, v1
	v_lshlrev_b64 v[16:17], 1, v[14:15]
	v_add_co_u32_e32 v16, vcc, v24, v16
	v_or_b32_e32 v1, v14, v29
	v_addc_co_u32_e32 v17, vcc, v25, v17, vcc
	v_cmp_lt_u32_e32 vcc, v1, v148
	v_mov_b32_e32 v24, 0x7fff
	s_and_saveexec_b64 s[4:5], vcc
	s_cbranch_execz .LBB2049_4
; %bb.3:
	flat_load_ushort v24, v[16:17]
.LBB2049_4:
	s_or_b64 exec, exec, s[4:5]
	v_or_b32_e32 v18, 64, v1
	v_cmp_lt_u32_e64 s[4:5], v18, v148
	s_and_saveexec_b64 s[6:7], s[4:5]
	s_cbranch_execz .LBB2049_6
; %bb.5:
	flat_load_ushort v23, v[16:17] offset:128
.LBB2049_6:
	s_or_b64 exec, exec, s[6:7]
	v_or_b32_e32 v18, 0x80, v1
	v_cmp_lt_u32_e64 s[6:7], v18, v148
	v_mov_b32_e32 v25, 0x7fff
	v_mov_b32_e32 v26, 0x7fff
	s_and_saveexec_b64 s[10:11], s[6:7]
	s_cbranch_execz .LBB2049_8
; %bb.7:
	flat_load_ushort v26, v[16:17] offset:256
.LBB2049_8:
	s_or_b64 exec, exec, s[10:11]
	v_or_b32_e32 v18, 0xc0, v1
	v_cmp_lt_u32_e64 s[10:11], v18, v148
	s_and_saveexec_b64 s[14:15], s[10:11]
	s_cbranch_execz .LBB2049_10
; %bb.9:
	flat_load_ushort v25, v[16:17] offset:384
.LBB2049_10:
	s_or_b64 exec, exec, s[14:15]
	v_or_b32_e32 v18, 0x100, v1
	v_cmp_lt_u32_e64 s[20:21], v18, v148
	v_mov_b32_e32 v27, 0x7fff
	v_mov_b32_e32 v30, 0x7fff
	s_and_saveexec_b64 s[14:15], s[20:21]
	s_cbranch_execz .LBB2049_12
; %bb.11:
	flat_load_ushort v30, v[16:17] offset:512
.LBB2049_12:
	;; [unrolled: 18-line block ×3, first 2 shown]
	s_or_b64 exec, exec, s[18:19]
	v_or_b32_e32 v1, 0x1c0, v1
	v_cmp_lt_u32_e64 s[18:19], v1, v148
	s_and_saveexec_b64 s[22:23], s[18:19]
	s_cbranch_execz .LBB2049_18
; %bb.17:
	flat_load_ushort v31, v[16:17] offset:896
.LBB2049_18:
	s_or_b64 exec, exec, s[22:23]
	v_lshlrev_b64 v[8:9], 3, v[8:9]
	v_add_co_u32_e64 v1, s[22:23], v4, v8
	v_addc_co_u32_e64 v4, s[22:23], v5, v9, s[22:23]
	v_lshlrev_b32_e32 v5, 3, v29
	v_add_co_u32_e64 v1, s[22:23], v1, v5
	v_addc_co_u32_e64 v16, s[22:23], 0, v4, s[22:23]
	v_lshlrev_b64 v[4:5], 3, v[14:15]
	v_add_co_u32_e64 v4, s[22:23], v1, v4
	v_addc_co_u32_e64 v5, s[22:23], v16, v5, s[22:23]
                                        ; implicit-def: $vgpr16_vgpr17
	s_and_saveexec_b64 s[22:23], vcc
	s_cbranch_execnz .LBB2049_112
; %bb.19:
	s_or_b64 exec, exec, s[22:23]
                                        ; implicit-def: $vgpr18_vgpr19
	s_and_saveexec_b64 s[22:23], s[4:5]
	s_cbranch_execnz .LBB2049_113
.LBB2049_20:
	s_or_b64 exec, exec, s[22:23]
                                        ; implicit-def: $vgpr66_vgpr67
	s_and_saveexec_b64 s[4:5], s[6:7]
	s_cbranch_execnz .LBB2049_114
.LBB2049_21:
	s_or_b64 exec, exec, s[4:5]
                                        ; implicit-def: $vgpr68_vgpr69
	s_and_saveexec_b64 s[4:5], s[10:11]
	s_cbranch_execnz .LBB2049_115
.LBB2049_22:
	s_or_b64 exec, exec, s[4:5]
                                        ; implicit-def: $vgpr80_vgpr81
	s_and_saveexec_b64 s[4:5], s[20:21]
	s_cbranch_execnz .LBB2049_116
.LBB2049_23:
	s_or_b64 exec, exec, s[4:5]
                                        ; implicit-def: $vgpr86_vgpr87
	s_and_saveexec_b64 s[4:5], s[14:15]
	s_cbranch_execnz .LBB2049_117
.LBB2049_24:
	s_or_b64 exec, exec, s[4:5]
                                        ; implicit-def: $vgpr102_vgpr103
	s_and_saveexec_b64 s[4:5], s[16:17]
	s_cbranch_execnz .LBB2049_118
.LBB2049_25:
	s_or_b64 exec, exec, s[4:5]
                                        ; implicit-def: $vgpr114_vgpr115
	s_and_saveexec_b64 s[4:5], s[18:19]
	s_cbranch_execz .LBB2049_27
.LBB2049_26:
	flat_load_dwordx2 v[114:115], v[4:5] offset:3584
.LBB2049_27:
	s_or_b64 exec, exec, s[4:5]
	v_mov_b32_e32 v1, 0xffff8000
	s_waitcnt vmcnt(0) lgkmcnt(0)
	v_cmp_lt_i16_e32 vcc, -1, v24
	v_cndmask_b32_e32 v4, -1, v1, vcc
	v_cmp_lt_i16_e32 vcc, -1, v23
	v_xor_b32_e32 v71, v4, v24
	v_cndmask_b32_e32 v4, -1, v1, vcc
	v_cmp_lt_i16_e32 vcc, -1, v26
	v_xor_b32_e32 v83, v4, v23
	v_cndmask_b32_e32 v4, -1, v1, vcc
	v_cmp_lt_i16_e32 vcc, -1, v25
	v_xor_b32_e32 v85, v4, v26
	v_cndmask_b32_e32 v4, -1, v1, vcc
	v_cmp_lt_i16_e32 vcc, -1, v30
	v_xor_b32_e32 v97, v4, v25
	v_cndmask_b32_e32 v4, -1, v1, vcc
	v_cmp_lt_i16_e32 vcc, -1, v27
	v_xor_b32_e32 v99, v4, v30
	v_cndmask_b32_e32 v4, -1, v1, vcc
	v_cmp_lt_i16_e32 vcc, -1, v32
	v_xor_b32_e32 v101, v4, v27
	v_cndmask_b32_e32 v4, -1, v1, vcc
	v_cmp_lt_i16_e32 vcc, -1, v31
	v_xor_b32_e32 v113, v4, v32
	v_cndmask_b32_e32 v4, -1, v1, vcc
	v_add_co_u32_e32 v23, vcc, 16, v12
	v_xor_b32_e32 v177, v4, v31
	v_addc_co_u32_e32 v149, vcc, 0, v13, vcc
	v_lshlrev_b32_e32 v4, 4, v22
	v_add_co_u32_e32 v4, vcc, v12, v4
	s_getpc_b64 s[4:5]
	s_add_u32 s4, s4, _ZN7rocprim17ROCPRIM_400000_NS16block_radix_sortI12hip_bfloat16Lj256ELj8ElLj1ELj1ELj8ELNS0_26block_radix_rank_algorithmE2ELNS0_18block_padding_hintE2ELNS0_4arch9wavefront6targetE1EE19radix_bits_per_passE@rel32@lo+4
	s_addc_u32 s5, s5, _ZN7rocprim17ROCPRIM_400000_NS16block_radix_sortI12hip_bfloat16Lj256ELj8ElLj1ELj1ELj8ELNS0_26block_radix_rank_algorithmE2ELNS0_18block_padding_hintE2ELNS0_4arch9wavefront6targetE1EE19radix_bits_per_passE@rel32@hi+12
	v_addc_co_u32_e32 v5, vcc, 0, v13, vcc
	v_and_b32_e32 v24, 15, v28
	s_load_dword s46, s[4:5], 0x0
	v_cmp_eq_u32_e32 vcc, 0, v24
	v_cmp_lt_u32_e64 s[4:5], 1, v24
	v_cmp_lt_u32_e64 s[6:7], 3, v24
	;; [unrolled: 1-line block ×3, first 2 shown]
	v_and_b32_e32 v24, 16, v28
	v_cmp_eq_u32_e64 s[30:31], 0, v24
	v_and_b32_e32 v24, 0x3c0, v22
	v_min_u32_e32 v24, 0xc0, v24
	v_or_b32_e32 v24, 63, v24
	v_cmp_eq_u32_e64 s[16:17], v24, v22
	v_add_u32_e32 v24, -1, v28
	v_and_b32_e32 v25, 64, v28
	v_cmp_lt_i32_e64 s[22:23], v24, v25
	v_lshrrev_b32_e32 v30, 6, v22
	v_cndmask_b32_e64 v24, v24, v28, s[22:23]
	v_lshlrev_b32_e32 v151, 2, v24
	v_lshlrev_b32_e32 v24, 2, v30
	v_add_co_u32_e64 v24, s[26:27], v12, v24
	v_lshlrev_b32_e32 v14, 2, v22
	v_addc_co_u32_e64 v25, s[26:27], 0, v13, s[26:27]
	v_add_co_u32_e64 v26, s[26:27], v12, v14
	v_addc_co_u32_e64 v27, s[26:27], 0, v13, s[26:27]
	v_and_b32_e32 v14, 3, v28
	v_mov_b32_e32 v15, 0
	v_cmp_eq_u32_e64 s[26:27], 0, v14
	v_cmp_lt_u32_e64 s[28:29], 1, v14
	v_add_u32_e32 v14, -1, v30
	v_lshlrev_b64 v[30:31], 2, v[14:15]
	v_add_co_u32_e64 v38, s[34:35], v12, v30
	v_addc_co_u32_e64 v39, s[34:35], v13, v31, s[34:35]
	v_lshlrev_b32_e32 v14, 3, v22
	s_movk_i32 s34, 0x1e00
	v_and_or_b32 v14, v14, s34, v29
	v_cmp_lt_u32_e64 s[14:15], 31, v28
	v_cmp_eq_u32_e64 s[22:23], 0, v28
	v_lshlrev_b32_e32 v28, 1, v14
	v_add_co_u32_e64 v54, s[34:35], v12, v28
	v_addc_co_u32_e64 v55, s[34:35], 0, v13, s[34:35]
	v_lshrrev_b32_e32 v150, 6, v0
	v_cmp_gt_u32_e64 s[18:19], 4, v22
	v_cmp_lt_u32_e64 s[20:21], 63, v22
	v_cmp_eq_u32_e64 s[24:25], 0, v22
	v_mad_u64_u32 v[64:65], s[34:35], v14, 6, v[54:55]
	v_sub_u32_e32 v160, v11, v10
	s_mov_b64 s[42:43], 0
	s_movk_i32 s47, 0x7fff
	s_waitcnt lgkmcnt(0)
	s_barrier
	s_branch .LBB2049_29
.LBB2049_28:                            ;   in Loop: Header=BB2049_29 Depth=1
	s_or_b64 exec, exec, s[36:37]
	s_and_b64 s[34:35], exec, s[44:45]
	s_or_b64 s[42:43], s[34:35], s[42:43]
	s_andn2_b64 exec, exec, s[42:43]
	s_cbranch_execz .LBB2049_53
.LBB2049_29:                            ; =>This Inner Loop Header: Depth=1
	s_waitcnt vmcnt(0)
	v_pk_mov_b32 v[52:53], v[16:17], v[16:17] op_sel:[0,1]
	v_pk_mov_b32 v[50:51], v[18:19], v[18:19] op_sel:[0,1]
	v_mov_b32_e32 v176, v71
	v_min_u32_e32 v18, s46, v160
	v_mov_b32_e32 v14, v15
	v_mov_b32_e32 v16, v15
	;; [unrolled: 1-line block ×3, first 2 shown]
	flat_store_dwordx4 v[4:5], v[14:17] offset:16
	v_cmp_ne_u16_e64 s[34:35], s47, v176
	v_lshlrev_b32_e64 v14, v18, -1
	v_not_b32_e32 v18, v14
	v_cndmask_b32_e64 v14, v1, v176, s[34:35]
	v_lshrrev_b32_sdwa v14, v10, v14 dst_sel:DWORD dst_unused:UNUSED_PAD src0_sel:DWORD src1_sel:WORD_0
	v_and_b32_e32 v14, v14, v18
	v_lshlrev_b32_e32 v16, 2, v14
	v_add_lshl_u32 v16, v16, v150, 2
	v_pk_mov_b32 v[48:49], v[66:67], v[66:67] op_sel:[0,1]
	v_add_co_u32_e64 v66, s[34:35], v23, v16
	v_addc_co_u32_e64 v67, s[34:35], 0, v149, s[34:35]
	v_and_b32_e32 v16, 1, v14
	v_add_co_u32_e64 v17, s[34:35], -1, v16
	v_addc_co_u32_e64 v19, s[34:35], 0, -1, s[34:35]
	v_cmp_ne_u32_e64 s[34:35], 0, v16
	v_xor_b32_e32 v16, s35, v19
	v_xor_b32_e32 v17, s34, v17
	v_pk_mov_b32 v[36:37], v[68:69], v[68:69] op_sel:[0,1]
	v_and_b32_e32 v19, exec_hi, v16
	v_and_b32_e32 v68, exec_lo, v17
	v_lshlrev_b32_e32 v17, 30, v14
	v_mov_b32_e32 v16, v15
	v_cmp_gt_i64_e64 s[34:35], 0, v[16:17]
	v_not_b32_e32 v16, v17
	v_ashrrev_i32_e32 v16, 31, v16
	v_xor_b32_e32 v17, s35, v16
	v_xor_b32_e32 v16, s34, v16
	v_and_b32_e32 v19, v19, v17
	v_and_b32_e32 v68, v68, v16
	v_lshlrev_b32_e32 v17, 29, v14
	v_mov_b32_e32 v16, v15
	v_cmp_gt_i64_e64 s[34:35], 0, v[16:17]
	v_not_b32_e32 v16, v17
	v_ashrrev_i32_e32 v16, 31, v16
	v_xor_b32_e32 v17, s35, v16
	v_xor_b32_e32 v16, s34, v16
	v_and_b32_e32 v19, v19, v17
	v_and_b32_e32 v68, v68, v16
	;; [unrolled: 9-line block ×5, first 2 shown]
	v_lshlrev_b32_e32 v17, 25, v14
	v_mov_b32_e32 v16, v15
	v_cmp_gt_i64_e64 s[34:35], 0, v[16:17]
	v_not_b32_e32 v16, v17
	v_ashrrev_i32_e32 v16, 31, v16
	v_xor_b32_e32 v17, s35, v16
	v_xor_b32_e32 v16, s34, v16
	v_and_b32_e32 v19, v19, v17
	v_lshlrev_b32_e32 v17, 24, v14
	v_and_b32_e32 v68, v68, v16
	v_mov_b32_e32 v16, v15
	v_not_b32_e32 v14, v17
	v_cmp_gt_i64_e64 s[34:35], 0, v[16:17]
	v_ashrrev_i32_e32 v14, 31, v14
	v_xor_b32_e32 v16, s35, v14
	v_xor_b32_e32 v14, s34, v14
	v_and_b32_e32 v17, v19, v16
	v_and_b32_e32 v16, v68, v14
	v_mbcnt_lo_u32_b32 v14, v16, 0
	v_mbcnt_hi_u32_b32 v14, v17, v14
	v_cmp_eq_u32_e64 s[34:35], 0, v14
	v_cmp_ne_u64_e64 s[36:37], 0, v[16:17]
	v_pk_mov_b32 v[34:35], v[80:81], v[80:81] op_sel:[0,1]
	v_pk_mov_b32 v[32:33], v[86:87], v[86:87] op_sel:[0,1]
	;; [unrolled: 1-line block ×4, first 2 shown]
	v_mov_b32_e32 v167, v83
	v_mov_b32_e32 v166, v85
	;; [unrolled: 1-line block ×7, first 2 shown]
	s_and_b64 s[36:37], s[36:37], s[34:35]
	s_waitcnt lgkmcnt(0)
	s_barrier
	s_waitcnt lgkmcnt(0)
	; wave barrier
	s_and_saveexec_b64 s[34:35], s[36:37]
	s_cbranch_execz .LBB2049_31
; %bb.30:                               ;   in Loop: Header=BB2049_29 Depth=1
	v_bcnt_u32_b32 v16, v16, 0
	v_bcnt_u32_b32 v16, v17, v16
	flat_store_dword v[66:67], v16
.LBB2049_31:                            ;   in Loop: Header=BB2049_29 Depth=1
	s_or_b64 exec, exec, s[34:35]
	v_cmp_ne_u16_e64 s[34:35], s47, v167
	v_cndmask_b32_e64 v16, v1, v167, s[34:35]
	v_lshrrev_b32_sdwa v16, v10, v16 dst_sel:DWORD dst_unused:UNUSED_PAD src0_sel:DWORD src1_sel:WORD_0
	v_and_b32_e32 v19, v16, v18
	v_lshlrev_b32_e32 v16, 2, v19
	v_add_lshl_u32 v16, v16, v150, 2
	v_add_co_u32_e64 v68, s[34:35], v23, v16
	v_addc_co_u32_e64 v69, s[34:35], 0, v149, s[34:35]
	; wave barrier
	flat_load_dword v98, v[68:69]
	v_and_b32_e32 v16, 1, v19
	v_add_co_u32_e64 v17, s[34:35], -1, v16
	v_addc_co_u32_e64 v70, s[34:35], 0, -1, s[34:35]
	v_cmp_ne_u32_e64 s[34:35], 0, v16
	v_xor_b32_e32 v16, s35, v70
	v_xor_b32_e32 v17, s34, v17
	v_and_b32_e32 v70, exec_hi, v16
	v_and_b32_e32 v71, exec_lo, v17
	v_lshlrev_b32_e32 v17, 30, v19
	v_mov_b32_e32 v16, v15
	v_cmp_gt_i64_e64 s[34:35], 0, v[16:17]
	v_not_b32_e32 v16, v17
	v_ashrrev_i32_e32 v16, 31, v16
	v_xor_b32_e32 v17, s35, v16
	v_xor_b32_e32 v16, s34, v16
	v_and_b32_e32 v70, v70, v17
	v_and_b32_e32 v71, v71, v16
	v_lshlrev_b32_e32 v17, 29, v19
	v_mov_b32_e32 v16, v15
	v_cmp_gt_i64_e64 s[34:35], 0, v[16:17]
	v_not_b32_e32 v16, v17
	v_ashrrev_i32_e32 v16, 31, v16
	v_xor_b32_e32 v17, s35, v16
	v_xor_b32_e32 v16, s34, v16
	v_and_b32_e32 v70, v70, v17
	v_and_b32_e32 v71, v71, v16
	;; [unrolled: 9-line block ×7, first 2 shown]
	v_mbcnt_lo_u32_b32 v19, v16, 0
	v_mbcnt_hi_u32_b32 v100, v17, v19
	v_cmp_eq_u32_e64 s[34:35], 0, v100
	v_cmp_ne_u64_e64 s[36:37], 0, v[16:17]
	s_and_b64 s[36:37], s[36:37], s[34:35]
	; wave barrier
	s_and_saveexec_b64 s[34:35], s[36:37]
	s_cbranch_execz .LBB2049_33
; %bb.32:                               ;   in Loop: Header=BB2049_29 Depth=1
	v_bcnt_u32_b32 v16, v16, 0
	v_bcnt_u32_b32 v16, v17, v16
	s_waitcnt vmcnt(0) lgkmcnt(0)
	v_add_u32_e32 v16, v98, v16
	flat_store_dword v[68:69], v16
.LBB2049_33:                            ;   in Loop: Header=BB2049_29 Depth=1
	s_or_b64 exec, exec, s[34:35]
	v_cmp_ne_u16_e64 s[34:35], s47, v166
	v_cndmask_b32_e64 v16, v1, v166, s[34:35]
	v_lshrrev_b32_sdwa v16, v10, v16 dst_sel:DWORD dst_unused:UNUSED_PAD src0_sel:DWORD src1_sel:WORD_0
	v_and_b32_e32 v19, v16, v18
	v_lshlrev_b32_e32 v16, 2, v19
	v_add_lshl_u32 v16, v16, v150, 2
	v_add_co_u32_e64 v70, s[34:35], v23, v16
	v_addc_co_u32_e64 v71, s[34:35], 0, v149, s[34:35]
	; wave barrier
	flat_load_dword v102, v[70:71]
	v_and_b32_e32 v16, 1, v19
	v_add_co_u32_e64 v17, s[34:35], -1, v16
	v_addc_co_u32_e64 v80, s[34:35], 0, -1, s[34:35]
	v_cmp_ne_u32_e64 s[34:35], 0, v16
	v_xor_b32_e32 v16, s35, v80
	v_xor_b32_e32 v17, s34, v17
	v_and_b32_e32 v80, exec_hi, v16
	v_and_b32_e32 v81, exec_lo, v17
	v_lshlrev_b32_e32 v17, 30, v19
	v_mov_b32_e32 v16, v15
	v_cmp_gt_i64_e64 s[34:35], 0, v[16:17]
	v_not_b32_e32 v16, v17
	v_ashrrev_i32_e32 v16, 31, v16
	v_xor_b32_e32 v17, s35, v16
	v_xor_b32_e32 v16, s34, v16
	v_and_b32_e32 v80, v80, v17
	v_and_b32_e32 v81, v81, v16
	v_lshlrev_b32_e32 v17, 29, v19
	v_mov_b32_e32 v16, v15
	v_cmp_gt_i64_e64 s[34:35], 0, v[16:17]
	v_not_b32_e32 v16, v17
	v_ashrrev_i32_e32 v16, 31, v16
	v_xor_b32_e32 v17, s35, v16
	v_xor_b32_e32 v16, s34, v16
	v_and_b32_e32 v80, v80, v17
	v_and_b32_e32 v81, v81, v16
	;; [unrolled: 9-line block ×7, first 2 shown]
	v_mbcnt_lo_u32_b32 v19, v16, 0
	v_mbcnt_hi_u32_b32 v103, v17, v19
	v_cmp_eq_u32_e64 s[34:35], 0, v103
	v_cmp_ne_u64_e64 s[36:37], 0, v[16:17]
	s_and_b64 s[36:37], s[36:37], s[34:35]
	; wave barrier
	s_and_saveexec_b64 s[34:35], s[36:37]
	s_cbranch_execz .LBB2049_35
; %bb.34:                               ;   in Loop: Header=BB2049_29 Depth=1
	v_bcnt_u32_b32 v16, v16, 0
	v_bcnt_u32_b32 v16, v17, v16
	s_waitcnt vmcnt(0) lgkmcnt(0)
	v_add_u32_e32 v16, v102, v16
	flat_store_dword v[70:71], v16
.LBB2049_35:                            ;   in Loop: Header=BB2049_29 Depth=1
	s_or_b64 exec, exec, s[34:35]
	v_cmp_ne_u16_e64 s[34:35], s47, v165
	v_cndmask_b32_e64 v16, v1, v165, s[34:35]
	v_lshrrev_b32_sdwa v16, v10, v16 dst_sel:DWORD dst_unused:UNUSED_PAD src0_sel:DWORD src1_sel:WORD_0
	v_and_b32_e32 v19, v16, v18
	v_lshlrev_b32_e32 v16, 2, v19
	v_add_lshl_u32 v16, v16, v150, 2
	v_add_co_u32_e64 v80, s[34:35], v23, v16
	v_addc_co_u32_e64 v81, s[34:35], 0, v149, s[34:35]
	; wave barrier
	flat_load_dword v112, v[80:81]
	v_and_b32_e32 v16, 1, v19
	v_add_co_u32_e64 v17, s[34:35], -1, v16
	v_addc_co_u32_e64 v82, s[34:35], 0, -1, s[34:35]
	v_cmp_ne_u32_e64 s[34:35], 0, v16
	v_xor_b32_e32 v16, s35, v82
	v_xor_b32_e32 v17, s34, v17
	v_and_b32_e32 v82, exec_hi, v16
	v_and_b32_e32 v83, exec_lo, v17
	v_lshlrev_b32_e32 v17, 30, v19
	v_mov_b32_e32 v16, v15
	v_cmp_gt_i64_e64 s[34:35], 0, v[16:17]
	v_not_b32_e32 v16, v17
	v_ashrrev_i32_e32 v16, 31, v16
	v_xor_b32_e32 v17, s35, v16
	v_xor_b32_e32 v16, s34, v16
	v_and_b32_e32 v82, v82, v17
	v_and_b32_e32 v83, v83, v16
	v_lshlrev_b32_e32 v17, 29, v19
	v_mov_b32_e32 v16, v15
	v_cmp_gt_i64_e64 s[34:35], 0, v[16:17]
	v_not_b32_e32 v16, v17
	v_ashrrev_i32_e32 v16, 31, v16
	v_xor_b32_e32 v17, s35, v16
	v_xor_b32_e32 v16, s34, v16
	v_and_b32_e32 v82, v82, v17
	v_and_b32_e32 v83, v83, v16
	;; [unrolled: 9-line block ×7, first 2 shown]
	v_mbcnt_lo_u32_b32 v19, v16, 0
	v_mbcnt_hi_u32_b32 v114, v17, v19
	v_cmp_eq_u32_e64 s[34:35], 0, v114
	v_cmp_ne_u64_e64 s[36:37], 0, v[16:17]
	s_and_b64 s[36:37], s[36:37], s[34:35]
	; wave barrier
	s_and_saveexec_b64 s[34:35], s[36:37]
	s_cbranch_execz .LBB2049_37
; %bb.36:                               ;   in Loop: Header=BB2049_29 Depth=1
	v_bcnt_u32_b32 v16, v16, 0
	v_bcnt_u32_b32 v16, v17, v16
	s_waitcnt vmcnt(0) lgkmcnt(0)
	v_add_u32_e32 v16, v112, v16
	flat_store_dword v[80:81], v16
.LBB2049_37:                            ;   in Loop: Header=BB2049_29 Depth=1
	s_or_b64 exec, exec, s[34:35]
	v_cmp_ne_u16_e64 s[34:35], s47, v164
	v_cndmask_b32_e64 v16, v1, v164, s[34:35]
	v_lshrrev_b32_sdwa v16, v10, v16 dst_sel:DWORD dst_unused:UNUSED_PAD src0_sel:DWORD src1_sel:WORD_0
	v_and_b32_e32 v19, v16, v18
	v_lshlrev_b32_e32 v16, 2, v19
	v_add_lshl_u32 v16, v16, v150, 2
	v_add_co_u32_e64 v82, s[34:35], v23, v16
	v_addc_co_u32_e64 v83, s[34:35], 0, v149, s[34:35]
	; wave barrier
	flat_load_dword v115, v[82:83]
	v_and_b32_e32 v16, 1, v19
	v_add_co_u32_e64 v17, s[34:35], -1, v16
	v_addc_co_u32_e64 v84, s[34:35], 0, -1, s[34:35]
	v_cmp_ne_u32_e64 s[34:35], 0, v16
	v_xor_b32_e32 v16, s35, v84
	v_xor_b32_e32 v17, s34, v17
	v_and_b32_e32 v84, exec_hi, v16
	v_and_b32_e32 v85, exec_lo, v17
	v_lshlrev_b32_e32 v17, 30, v19
	v_mov_b32_e32 v16, v15
	v_cmp_gt_i64_e64 s[34:35], 0, v[16:17]
	v_not_b32_e32 v16, v17
	v_ashrrev_i32_e32 v16, 31, v16
	v_xor_b32_e32 v17, s35, v16
	v_xor_b32_e32 v16, s34, v16
	v_and_b32_e32 v84, v84, v17
	v_and_b32_e32 v85, v85, v16
	v_lshlrev_b32_e32 v17, 29, v19
	v_mov_b32_e32 v16, v15
	v_cmp_gt_i64_e64 s[34:35], 0, v[16:17]
	v_not_b32_e32 v16, v17
	v_ashrrev_i32_e32 v16, 31, v16
	v_xor_b32_e32 v17, s35, v16
	v_xor_b32_e32 v16, s34, v16
	v_and_b32_e32 v84, v84, v17
	v_and_b32_e32 v85, v85, v16
	;; [unrolled: 9-line block ×7, first 2 shown]
	v_mbcnt_lo_u32_b32 v19, v16, 0
	v_mbcnt_hi_u32_b32 v116, v17, v19
	v_cmp_eq_u32_e64 s[34:35], 0, v116
	v_cmp_ne_u64_e64 s[36:37], 0, v[16:17]
	s_and_b64 s[36:37], s[36:37], s[34:35]
	; wave barrier
	s_and_saveexec_b64 s[34:35], s[36:37]
	s_cbranch_execz .LBB2049_39
; %bb.38:                               ;   in Loop: Header=BB2049_29 Depth=1
	v_bcnt_u32_b32 v16, v16, 0
	v_bcnt_u32_b32 v16, v17, v16
	s_waitcnt vmcnt(0) lgkmcnt(0)
	v_add_u32_e32 v16, v115, v16
	flat_store_dword v[82:83], v16
.LBB2049_39:                            ;   in Loop: Header=BB2049_29 Depth=1
	s_or_b64 exec, exec, s[34:35]
	v_cmp_ne_u16_e64 s[34:35], s47, v163
	v_cndmask_b32_e64 v16, v1, v163, s[34:35]
	v_lshrrev_b32_sdwa v16, v10, v16 dst_sel:DWORD dst_unused:UNUSED_PAD src0_sel:DWORD src1_sel:WORD_0
	v_and_b32_e32 v19, v16, v18
	v_lshlrev_b32_e32 v16, 2, v19
	v_add_lshl_u32 v16, v16, v150, 2
	v_add_co_u32_e64 v84, s[34:35], v23, v16
	v_addc_co_u32_e64 v85, s[34:35], 0, v149, s[34:35]
	; wave barrier
	flat_load_dword v117, v[84:85]
	v_and_b32_e32 v16, 1, v19
	v_add_co_u32_e64 v17, s[34:35], -1, v16
	v_addc_co_u32_e64 v86, s[34:35], 0, -1, s[34:35]
	v_cmp_ne_u32_e64 s[34:35], 0, v16
	v_xor_b32_e32 v16, s35, v86
	v_xor_b32_e32 v17, s34, v17
	v_and_b32_e32 v86, exec_hi, v16
	v_and_b32_e32 v87, exec_lo, v17
	v_lshlrev_b32_e32 v17, 30, v19
	v_mov_b32_e32 v16, v15
	v_cmp_gt_i64_e64 s[34:35], 0, v[16:17]
	v_not_b32_e32 v16, v17
	v_ashrrev_i32_e32 v16, 31, v16
	v_xor_b32_e32 v17, s35, v16
	v_xor_b32_e32 v16, s34, v16
	v_and_b32_e32 v86, v86, v17
	v_and_b32_e32 v87, v87, v16
	v_lshlrev_b32_e32 v17, 29, v19
	v_mov_b32_e32 v16, v15
	v_cmp_gt_i64_e64 s[34:35], 0, v[16:17]
	v_not_b32_e32 v16, v17
	v_ashrrev_i32_e32 v16, 31, v16
	v_xor_b32_e32 v17, s35, v16
	v_xor_b32_e32 v16, s34, v16
	v_and_b32_e32 v86, v86, v17
	v_and_b32_e32 v87, v87, v16
	v_lshlrev_b32_e32 v17, 28, v19
	v_mov_b32_e32 v16, v15
	v_cmp_gt_i64_e64 s[34:35], 0, v[16:17]
	v_not_b32_e32 v16, v17
	v_ashrrev_i32_e32 v16, 31, v16
	v_xor_b32_e32 v17, s35, v16
	v_xor_b32_e32 v16, s34, v16
	v_and_b32_e32 v86, v86, v17
	v_and_b32_e32 v87, v87, v16
	v_lshlrev_b32_e32 v17, 27, v19
	v_mov_b32_e32 v16, v15
	v_cmp_gt_i64_e64 s[34:35], 0, v[16:17]
	v_not_b32_e32 v16, v17
	v_ashrrev_i32_e32 v16, 31, v16
	v_xor_b32_e32 v17, s35, v16
	v_xor_b32_e32 v16, s34, v16
	v_and_b32_e32 v86, v86, v17
	v_and_b32_e32 v87, v87, v16
	v_lshlrev_b32_e32 v17, 26, v19
	v_mov_b32_e32 v16, v15
	v_cmp_gt_i64_e64 s[34:35], 0, v[16:17]
	v_not_b32_e32 v16, v17
	v_ashrrev_i32_e32 v16, 31, v16
	v_xor_b32_e32 v17, s35, v16
	v_xor_b32_e32 v16, s34, v16
	v_and_b32_e32 v86, v86, v17
	v_and_b32_e32 v87, v87, v16
	v_lshlrev_b32_e32 v17, 25, v19
	v_mov_b32_e32 v16, v15
	v_cmp_gt_i64_e64 s[34:35], 0, v[16:17]
	v_not_b32_e32 v16, v17
	v_ashrrev_i32_e32 v16, 31, v16
	v_xor_b32_e32 v17, s35, v16
	v_xor_b32_e32 v16, s34, v16
	v_and_b32_e32 v86, v86, v17
	v_and_b32_e32 v87, v87, v16
	v_lshlrev_b32_e32 v17, 24, v19
	v_mov_b32_e32 v16, v15
	v_cmp_gt_i64_e64 s[34:35], 0, v[16:17]
	v_not_b32_e32 v16, v17
	v_ashrrev_i32_e32 v16, 31, v16
	v_xor_b32_e32 v17, s35, v16
	v_xor_b32_e32 v16, s34, v16
	v_and_b32_e32 v16, v87, v16
	v_and_b32_e32 v17, v86, v17
	v_mbcnt_lo_u32_b32 v19, v16, 0
	v_mbcnt_hi_u32_b32 v118, v17, v19
	v_cmp_eq_u32_e64 s[34:35], 0, v118
	v_cmp_ne_u64_e64 s[36:37], 0, v[16:17]
	s_and_b64 s[36:37], s[36:37], s[34:35]
	; wave barrier
	s_and_saveexec_b64 s[34:35], s[36:37]
	s_cbranch_execz .LBB2049_41
; %bb.40:                               ;   in Loop: Header=BB2049_29 Depth=1
	v_bcnt_u32_b32 v16, v16, 0
	v_bcnt_u32_b32 v16, v17, v16
	s_waitcnt vmcnt(0) lgkmcnt(0)
	v_add_u32_e32 v16, v117, v16
	flat_store_dword v[84:85], v16
.LBB2049_41:                            ;   in Loop: Header=BB2049_29 Depth=1
	s_or_b64 exec, exec, s[34:35]
	v_cmp_ne_u16_e64 s[34:35], s47, v162
	v_cndmask_b32_e64 v16, v1, v162, s[34:35]
	v_lshrrev_b32_sdwa v16, v10, v16 dst_sel:DWORD dst_unused:UNUSED_PAD src0_sel:DWORD src1_sel:WORD_0
	v_and_b32_e32 v19, v16, v18
	v_lshlrev_b32_e32 v16, 2, v19
	v_add_lshl_u32 v16, v16, v150, 2
	v_add_co_u32_e64 v86, s[34:35], v23, v16
	v_addc_co_u32_e64 v87, s[34:35], 0, v149, s[34:35]
	; wave barrier
	flat_load_dword v119, v[86:87]
	v_and_b32_e32 v16, 1, v19
	v_add_co_u32_e64 v17, s[34:35], -1, v16
	v_addc_co_u32_e64 v96, s[34:35], 0, -1, s[34:35]
	v_cmp_ne_u32_e64 s[34:35], 0, v16
	v_xor_b32_e32 v16, s35, v96
	v_xor_b32_e32 v17, s34, v17
	v_and_b32_e32 v96, exec_hi, v16
	v_and_b32_e32 v97, exec_lo, v17
	v_lshlrev_b32_e32 v17, 30, v19
	v_mov_b32_e32 v16, v15
	v_cmp_gt_i64_e64 s[34:35], 0, v[16:17]
	v_not_b32_e32 v16, v17
	v_ashrrev_i32_e32 v16, 31, v16
	v_xor_b32_e32 v17, s35, v16
	v_xor_b32_e32 v16, s34, v16
	v_and_b32_e32 v96, v96, v17
	v_and_b32_e32 v97, v97, v16
	v_lshlrev_b32_e32 v17, 29, v19
	v_mov_b32_e32 v16, v15
	v_cmp_gt_i64_e64 s[34:35], 0, v[16:17]
	v_not_b32_e32 v16, v17
	v_ashrrev_i32_e32 v16, 31, v16
	v_xor_b32_e32 v17, s35, v16
	v_xor_b32_e32 v16, s34, v16
	v_and_b32_e32 v96, v96, v17
	v_and_b32_e32 v97, v97, v16
	;; [unrolled: 9-line block ×7, first 2 shown]
	v_mbcnt_lo_u32_b32 v19, v16, 0
	v_mbcnt_hi_u32_b32 v128, v17, v19
	v_cmp_eq_u32_e64 s[34:35], 0, v128
	v_cmp_ne_u64_e64 s[36:37], 0, v[16:17]
	s_and_b64 s[36:37], s[36:37], s[34:35]
	; wave barrier
	s_and_saveexec_b64 s[34:35], s[36:37]
	s_cbranch_execz .LBB2049_43
; %bb.42:                               ;   in Loop: Header=BB2049_29 Depth=1
	v_bcnt_u32_b32 v16, v16, 0
	v_bcnt_u32_b32 v16, v17, v16
	s_waitcnt vmcnt(0) lgkmcnt(0)
	v_add_u32_e32 v16, v119, v16
	flat_store_dword v[86:87], v16
.LBB2049_43:                            ;   in Loop: Header=BB2049_29 Depth=1
	s_or_b64 exec, exec, s[34:35]
	v_cmp_ne_u16_e64 s[34:35], s47, v161
	v_cndmask_b32_e64 v16, v1, v161, s[34:35]
	v_lshrrev_b32_sdwa v16, v10, v16 dst_sel:DWORD dst_unused:UNUSED_PAD src0_sel:DWORD src1_sel:WORD_0
	v_and_b32_e32 v18, v16, v18
	v_lshlrev_b32_e32 v16, 2, v18
	v_add_lshl_u32 v16, v16, v150, 2
	v_add_co_u32_e64 v96, s[34:35], v23, v16
	v_addc_co_u32_e64 v97, s[34:35], 0, v149, s[34:35]
	; wave barrier
	flat_load_dword v129, v[96:97]
	v_and_b32_e32 v16, 1, v18
	v_add_co_u32_e64 v17, s[34:35], -1, v16
	v_addc_co_u32_e64 v19, s[34:35], 0, -1, s[34:35]
	v_cmp_ne_u32_e64 s[34:35], 0, v16
	v_xor_b32_e32 v16, s35, v19
	v_xor_b32_e32 v17, s34, v17
	v_and_b32_e32 v19, exec_hi, v16
	v_and_b32_e32 v99, exec_lo, v17
	v_lshlrev_b32_e32 v17, 30, v18
	v_mov_b32_e32 v16, v15
	v_cmp_gt_i64_e64 s[34:35], 0, v[16:17]
	v_not_b32_e32 v16, v17
	v_ashrrev_i32_e32 v16, 31, v16
	v_xor_b32_e32 v17, s35, v16
	v_xor_b32_e32 v16, s34, v16
	v_and_b32_e32 v19, v19, v17
	v_and_b32_e32 v99, v99, v16
	v_lshlrev_b32_e32 v17, 29, v18
	v_mov_b32_e32 v16, v15
	v_cmp_gt_i64_e64 s[34:35], 0, v[16:17]
	v_not_b32_e32 v16, v17
	v_ashrrev_i32_e32 v16, 31, v16
	v_xor_b32_e32 v17, s35, v16
	v_xor_b32_e32 v16, s34, v16
	v_and_b32_e32 v19, v19, v17
	v_and_b32_e32 v99, v99, v16
	;; [unrolled: 9-line block ×7, first 2 shown]
	v_mbcnt_lo_u32_b32 v18, v16, 0
	v_mbcnt_hi_u32_b32 v130, v17, v18
	v_cmp_eq_u32_e64 s[34:35], 0, v130
	v_cmp_ne_u64_e64 s[36:37], 0, v[16:17]
	s_and_b64 s[36:37], s[36:37], s[34:35]
	; wave barrier
	s_and_saveexec_b64 s[34:35], s[36:37]
	s_cbranch_execz .LBB2049_45
; %bb.44:                               ;   in Loop: Header=BB2049_29 Depth=1
	v_bcnt_u32_b32 v16, v16, 0
	v_bcnt_u32_b32 v16, v17, v16
	s_waitcnt vmcnt(0) lgkmcnt(0)
	v_add_u32_e32 v16, v129, v16
	flat_store_dword v[96:97], v16
.LBB2049_45:                            ;   in Loop: Header=BB2049_29 Depth=1
	s_or_b64 exec, exec, s[34:35]
	; wave barrier
	s_waitcnt lgkmcnt(0)
	s_barrier
	flat_load_dwordx4 v[16:19], v[4:5] offset:16
	s_waitcnt vmcnt(0) lgkmcnt(0)
	v_add_u32_e32 v99, v17, v16
	v_add3_u32 v19, v99, v18, v19
	s_nop 1
	v_mov_b32_dpp v99, v19 row_shr:1 row_mask:0xf bank_mask:0xf
	v_cndmask_b32_e64 v99, v99, 0, vcc
	v_add_u32_e32 v19, v99, v19
	s_nop 1
	v_mov_b32_dpp v99, v19 row_shr:2 row_mask:0xf bank_mask:0xf
	v_cndmask_b32_e64 v99, 0, v99, s[4:5]
	v_add_u32_e32 v19, v19, v99
	s_nop 1
	v_mov_b32_dpp v99, v19 row_shr:4 row_mask:0xf bank_mask:0xf
	v_cndmask_b32_e64 v99, 0, v99, s[6:7]
	;; [unrolled: 4-line block ×3, first 2 shown]
	v_add_u32_e32 v19, v19, v99
	s_nop 1
	v_mov_b32_dpp v99, v19 row_bcast:15 row_mask:0xf bank_mask:0xf
	v_cndmask_b32_e64 v99, v99, 0, s[30:31]
	v_add_u32_e32 v19, v19, v99
	s_nop 1
	v_mov_b32_dpp v99, v19 row_bcast:31 row_mask:0xf bank_mask:0xf
	v_cndmask_b32_e64 v99, 0, v99, s[14:15]
	v_add_u32_e32 v19, v19, v99
	s_and_saveexec_b64 s[34:35], s[16:17]
	s_cbranch_execz .LBB2049_47
; %bb.46:                               ;   in Loop: Header=BB2049_29 Depth=1
	flat_store_dword v[24:25], v19
.LBB2049_47:                            ;   in Loop: Header=BB2049_29 Depth=1
	s_or_b64 exec, exec, s[34:35]
	s_waitcnt lgkmcnt(0)
	s_barrier
	s_and_saveexec_b64 s[34:35], s[18:19]
	s_cbranch_execz .LBB2049_49
; %bb.48:                               ;   in Loop: Header=BB2049_29 Depth=1
	flat_load_dword v99, v[26:27]
	s_waitcnt vmcnt(0) lgkmcnt(0)
	s_nop 0
	v_mov_b32_dpp v101, v99 row_shr:1 row_mask:0xf bank_mask:0xf
	v_cndmask_b32_e64 v101, v101, 0, s[26:27]
	v_add_u32_e32 v99, v101, v99
	s_nop 1
	v_mov_b32_dpp v101, v99 row_shr:2 row_mask:0xf bank_mask:0xf
	v_cndmask_b32_e64 v101, 0, v101, s[28:29]
	v_add_u32_e32 v99, v99, v101
	flat_store_dword v[26:27], v99
.LBB2049_49:                            ;   in Loop: Header=BB2049_29 Depth=1
	s_or_b64 exec, exec, s[34:35]
	v_mov_b32_e32 v99, 0
	s_waitcnt lgkmcnt(0)
	s_barrier
	s_and_saveexec_b64 s[34:35], s[20:21]
	s_cbranch_execz .LBB2049_51
; %bb.50:                               ;   in Loop: Header=BB2049_29 Depth=1
	flat_load_dword v99, v[38:39]
.LBB2049_51:                            ;   in Loop: Header=BB2049_29 Depth=1
	s_or_b64 exec, exec, s[34:35]
	s_waitcnt vmcnt(0) lgkmcnt(0)
	v_add_u32_e32 v19, v99, v19
	ds_bpermute_b32 v19, v151, v19
	v_mov_b32_e32 v101, v15
	v_mov_b32_e32 v113, v15
	v_add_u32_e32 v10, 8, v10
	v_cmp_lt_u32_e64 s[34:35], v10, v11
	s_waitcnt lgkmcnt(0)
	v_cndmask_b32_e64 v19, v19, v99, s[22:23]
	v_cndmask_b32_e64 v132, v19, 0, s[24:25]
	v_add_u32_e32 v133, v132, v16
	v_add_u32_e32 v134, v133, v17
	;; [unrolled: 1-line block ×3, first 2 shown]
	flat_store_dwordx4 v[4:5], v[132:135] offset:16
	s_waitcnt lgkmcnt(0)
	s_barrier
	flat_load_dword v16, v[66:67]
	flat_load_dword v17, v[68:69]
	;; [unrolled: 1-line block ×8, first 2 shown]
	v_mov_b32_e32 v71, v15
	v_mov_b32_e32 v83, v15
	;; [unrolled: 1-line block ×5, first 2 shown]
	s_mov_b64 s[44:45], -1
	s_waitcnt lgkmcnt(0)
                                        ; implicit-def: $vgpr177
	s_waitcnt vmcnt(0) lgkmcnt(0)
	v_add_u32_e32 v14, v16, v14
	v_add3_u32 v70, v100, v98, v17
	v_lshlrev_b64 v[16:17], 1, v[14:15]
	v_add3_u32 v82, v103, v102, v18
	v_add3_u32 v96, v116, v115, v131
	v_add_co_u32_e64 v116, s[36:37], v12, v16
	v_add3_u32 v84, v114, v112, v19
	v_add3_u32 v98, v118, v117, v132
	v_lshlrev_b64 v[18:19], 1, v[70:71]
	v_addc_co_u32_e64 v117, s[36:37], v13, v17, s[36:37]
	v_add_co_u32_e64 v118, s[36:37], v12, v18
	v_add3_u32 v100, v128, v119, v133
	v_lshlrev_b64 v[66:67], 1, v[82:83]
	v_addc_co_u32_e64 v119, s[36:37], v13, v19, s[36:37]
	v_add_co_u32_e64 v128, s[36:37], v12, v66
	;; [unrolled: 4-line block ×3, first 2 shown]
	v_lshlrev_b64 v[80:81], 1, v[96:97]
	v_addc_co_u32_e64 v131, s[36:37], v13, v69, s[36:37]
	v_add_co_u32_e64 v132, s[36:37], v12, v80
	v_lshlrev_b64 v[86:87], 1, v[98:99]
	v_addc_co_u32_e64 v133, s[36:37], v13, v81, s[36:37]
	v_add_co_u32_e64 v134, s[36:37], v12, v86
	;; [unrolled: 3-line block ×4, first 2 shown]
	v_addc_co_u32_e64 v147, s[36:37], v13, v115, s[36:37]
                                        ; implicit-def: $vgpr16_vgpr17
                                        ; implicit-def: $vgpr18_vgpr19
                                        ; implicit-def: $vgpr66_vgpr67
                                        ; implicit-def: $vgpr68_vgpr69
                                        ; implicit-def: $vgpr80_vgpr81
                                        ; implicit-def: $vgpr86_vgpr87
                                        ; implicit-def: $vgpr102_vgpr103
                                        ; implicit-def: $vgpr114_vgpr115
                                        ; implicit-def: $vgpr71
                                        ; implicit-def: $vgpr83
                                        ; implicit-def: $vgpr85
                                        ; implicit-def: $vgpr97
                                        ; implicit-def: $vgpr99
                                        ; implicit-def: $vgpr101
                                        ; implicit-def: $vgpr113
	s_and_saveexec_b64 s[36:37], s[34:35]
	s_cbranch_execz .LBB2049_28
; %bb.52:                               ;   in Loop: Header=BB2049_29 Depth=1
	v_mad_u64_u32 v[16:17], s[34:35], v14, 6, v[116:117]
	s_barrier
	flat_store_short v[116:117], v176
	flat_store_short v[118:119], v167
	;; [unrolled: 1-line block ×8, first 2 shown]
	s_waitcnt lgkmcnt(0)
	s_barrier
	flat_load_ushort v71, v[54:55]
	flat_load_ushort v83, v[54:55] offset:128
	flat_load_ushort v85, v[54:55] offset:256
	;; [unrolled: 1-line block ×7, first 2 shown]
	s_waitcnt lgkmcnt(0)
	s_barrier
	flat_store_dwordx2 v[16:17], v[52:53]
	v_mad_u64_u32 v[16:17], s[34:35], v70, 6, v[118:119]
	flat_store_dwordx2 v[16:17], v[50:51]
	v_mad_u64_u32 v[16:17], s[34:35], v82, 6, v[128:129]
	;; [unrolled: 2-line block ×7, first 2 shown]
	flat_store_dwordx2 v[16:17], v[28:29]
	s_waitcnt lgkmcnt(0)
	s_barrier
	flat_load_dwordx2 v[16:17], v[64:65]
	flat_load_dwordx2 v[18:19], v[64:65] offset:512
	flat_load_dwordx2 v[66:67], v[64:65] offset:1024
	;; [unrolled: 1-line block ×7, first 2 shown]
	v_add_u32_e32 v160, -8, v160
	s_xor_b64 s[44:45], exec, -1
	s_waitcnt lgkmcnt(0)
	s_barrier
	s_branch .LBB2049_28
.LBB2049_53:
	s_or_b64 exec, exec, s[42:43]
	v_lshlrev_b32_e32 v1, 1, v22
	v_add_co_u32_e32 v4, vcc, v12, v1
	v_addc_co_u32_e32 v5, vcc, 0, v13, vcc
	v_mad_u64_u32 v[10:11], s[4:5], v14, 6, v[116:117]
	s_barrier
	flat_store_short v[116:117], v176
	flat_store_short v[118:119], v167
	;; [unrolled: 1-line block ×8, first 2 shown]
	s_waitcnt lgkmcnt(0)
	s_barrier
	s_waitcnt vmcnt(0)
	flat_load_ushort v66, v[4:5]
	flat_load_ushort v65, v[4:5] offset:512
	flat_load_ushort v64, v[4:5] offset:1024
	;; [unrolled: 1-line block ×7, first 2 shown]
	s_waitcnt lgkmcnt(0)
	s_barrier
	flat_store_dwordx2 v[10:11], v[52:53]
	v_mad_u64_u32 v[10:11], s[4:5], v70, 6, v[118:119]
	flat_store_dwordx2 v[10:11], v[50:51]
	v_mad_u64_u32 v[10:11], s[4:5], v82, 6, v[128:129]
	;; [unrolled: 2-line block ×7, first 2 shown]
	v_mad_u64_u32 v[4:5], s[4:5], v22, 6, v[4:5]
	s_movk_i32 s4, 0x1000
	flat_store_dwordx2 v[10:11], v[28:29]
	v_add_co_u32_e32 v10, vcc, s4, v4
	v_mov_b32_e32 v1, 0x2000
	v_addc_co_u32_e32 v11, vcc, 0, v5, vcc
	v_lshl_or_b32 v1, v22, 3, v1
	v_add_co_u32_e32 v28, vcc, v12, v1
	s_movk_i32 s4, 0x2000
	v_addc_co_u32_e32 v29, vcc, 0, v13, vcc
	v_add_co_u32_e32 v30, vcc, s4, v4
	v_addc_co_u32_e32 v31, vcc, 0, v5, vcc
	s_movk_i32 s4, 0x3000
	v_add_co_u32_e32 v32, vcc, s4, v4
	s_waitcnt lgkmcnt(0)
	s_barrier
	flat_load_dwordx2 v[26:27], v[4:5]
	flat_load_dwordx2 v[24:25], v[4:5] offset:2048
	flat_load_dwordx2 v[18:19], v[10:11]
	flat_load_dwordx2 v[14:15], v[10:11] offset:2048
	v_addc_co_u32_e32 v33, vcc, 0, v5, vcc
	flat_load_dwordx2 v[16:17], v[28:29]
	flat_load_dwordx2 v[12:13], v[30:31] offset:2048
	flat_load_dwordx2 v[10:11], v[32:33]
	flat_load_dwordx2 v[4:5], v[32:33] offset:2048
	v_mov_b32_e32 v1, 0
	v_add_co_u32_e32 v20, vcc, v2, v20
	v_addc_co_u32_e32 v21, vcc, v3, v21, vcc
	v_lshlrev_b64 v[2:3], 1, v[0:1]
	v_add_co_u32_e32 v2, vcc, v20, v2
	v_addc_co_u32_e32 v3, vcc, v21, v3, vcc
	v_cmp_lt_u32_e32 vcc, v0, v148
	s_waitcnt lgkmcnt(0)
	s_barrier
	s_and_saveexec_b64 s[6:7], vcc
	s_cbranch_execz .LBB2049_55
; %bb.54:
	v_mov_b32_e32 v20, 0xffff8000
	s_waitcnt vmcnt(0)
	v_cmp_lt_i16_e64 s[4:5], -1, v66
	v_cndmask_b32_e64 v20, v20, -1, s[4:5]
	v_xor_b32_e32 v20, v20, v66
	flat_store_short v[2:3], v20
.LBB2049_55:
	s_or_b64 exec, exec, s[6:7]
	v_add_u32_e32 v20, 0x100, v0
	v_cmp_lt_u32_e64 s[4:5], v20, v148
	s_and_saveexec_b64 s[10:11], s[4:5]
	s_cbranch_execz .LBB2049_57
; %bb.56:
	v_mov_b32_e32 v20, 0xffff8000
	s_waitcnt vmcnt(0)
	v_cmp_lt_i16_e64 s[6:7], -1, v65
	v_cndmask_b32_e64 v20, v20, -1, s[6:7]
	v_xor_b32_e32 v20, v20, v65
	flat_store_short v[2:3], v20 offset:512
.LBB2049_57:
	s_or_b64 exec, exec, s[10:11]
	v_add_u32_e32 v20, 0x200, v0
	v_cmp_lt_u32_e64 s[6:7], v20, v148
	s_and_saveexec_b64 s[14:15], s[6:7]
	s_cbranch_execz .LBB2049_59
; %bb.58:
	v_mov_b32_e32 v20, 0xffff8000
	s_waitcnt vmcnt(0)
	v_cmp_lt_i16_e64 s[10:11], -1, v64
	v_cndmask_b32_e64 v20, v20, -1, s[10:11]
	v_xor_b32_e32 v20, v20, v64
	flat_store_short v[2:3], v20 offset:1024
.LBB2049_59:
	;; [unrolled: 13-line block ×7, first 2 shown]
	s_or_b64 exec, exec, s[24:25]
	v_add_co_u32_e64 v2, s[22:23], v6, v8
	v_addc_co_u32_e64 v3, s[22:23], v7, v9, s[22:23]
	v_lshlrev_b64 v[0:1], 3, v[0:1]
	v_add_co_u32_e64 v0, s[22:23], v2, v0
	v_addc_co_u32_e64 v1, s[22:23], v3, v1, s[22:23]
	s_and_saveexec_b64 s[22:23], vcc
	s_cbranch_execnz .LBB2049_119
; %bb.70:
	s_or_b64 exec, exec, s[22:23]
	s_and_saveexec_b64 s[22:23], s[4:5]
	s_cbranch_execnz .LBB2049_120
.LBB2049_71:
	s_or_b64 exec, exec, s[22:23]
	s_and_saveexec_b64 s[4:5], s[6:7]
	s_cbranch_execnz .LBB2049_121
.LBB2049_72:
	s_or_b64 exec, exec, s[4:5]
	s_and_saveexec_b64 s[4:5], s[10:11]
	s_cbranch_execnz .LBB2049_122
.LBB2049_73:
	s_or_b64 exec, exec, s[4:5]
	s_and_saveexec_b64 s[4:5], s[20:21]
	s_cbranch_execnz .LBB2049_123
.LBB2049_74:
	s_or_b64 exec, exec, s[4:5]
	s_and_saveexec_b64 s[4:5], s[14:15]
	s_cbranch_execnz .LBB2049_124
.LBB2049_75:
	s_or_b64 exec, exec, s[4:5]
	s_and_saveexec_b64 s[4:5], s[16:17]
	s_cbranch_execnz .LBB2049_125
.LBB2049_76:
	s_or_b64 exec, exec, s[4:5]
	s_and_saveexec_b64 s[4:5], s[18:19]
	s_cbranch_execz .LBB2049_78
.LBB2049_77:
	v_add_co_u32_e32 v0, vcc, 0x3000, v0
	v_addc_co_u32_e32 v1, vcc, 0, v1, vcc
	s_waitcnt vmcnt(0)
	flat_store_dwordx2 v[0:1], v[4:5] offset:2048
.LBB2049_78:
	s_or_b64 exec, exec, s[4:5]
                                        ; implicit-def: $vgpr148
                                        ; implicit-def: $vgpr0
                                        ; implicit-def: $vgpr1
                                        ; implicit-def: $vgpr2
                                        ; implicit-def: $vgpr3
                                        ; implicit-def: $vgpr4
                                        ; implicit-def: $vgpr5
                                        ; implicit-def: $vgpr6
                                        ; implicit-def: $vgpr7
                                        ; implicit-def: $vgpr8
                                        ; implicit-def: $vgpr10
                                        ; implicit-def: $vgpr11
                                        ; implicit-def: $vgpr12
                                        ; implicit-def: $vgpr13
                                        ; implicit-def: $vgpr31
                                        ; implicit-def: $vgpr16
                                        ; implicit-def: $vgpr17
                                        ; implicit-def: $vgpr14
.LBB2049_79:
	s_andn2_saveexec_b64 s[4:5], s[40:41]
	s_cbranch_execz .LBB2049_199
; %bb.80:
	s_movk_i32 s4, 0x200
	v_cmp_lt_u32_e32 vcc, s4, v148
	s_and_saveexec_b64 s[4:5], vcc
	s_xor_b64 s[40:41], exec, s[4:5]
	s_cbranch_execz .LBB2049_140
; %bb.81:
	s_load_dwordx2 s[4:5], s[8:9], 0x0
	v_mov_b32_e32 v9, 0
	s_waitcnt vmcnt(0)
	v_mbcnt_hi_u32_b32 v18, -1, v14
	v_lshlrev_b64 v[36:37], 1, v[8:9]
	v_and_b32_e32 v19, 63, v18
	s_waitcnt lgkmcnt(0)
	s_cmp_lt_u32 s12, s4
	s_cselect_b32 s6, 12, 18
	s_cmp_lt_u32 s13, s5
	s_cselect_b32 s4, 14, 20
	s_add_u32 s4, s8, s4
	s_addc_u32 s5, s9, 0
	s_add_u32 s6, s8, s6
	global_load_ushort v21, v9, s[4:5]
	s_addc_u32 s7, s9, 0
	global_load_ushort v22, v9, s[6:7]
	v_add_co_u32_e32 v0, vcc, v0, v36
	v_addc_co_u32_e32 v1, vcc, v1, v37, vcc
	v_lshlrev_b32_e32 v14, 1, v19
	v_and_b32_e32 v34, 0x3ff, v31
	v_add_co_u32_e32 v23, vcc, v0, v14
	v_addc_co_u32_e32 v24, vcc, 0, v1, vcc
	v_mov_b32_e32 v15, v9
	v_mov_b32_e32 v20, 0x7fff
	s_waitcnt vmcnt(1)
	v_mad_u32_u24 v0, v17, v21, v16
	v_mov_b32_e32 v21, 0x7fff
	s_waitcnt vmcnt(0)
	v_mad_u64_u32 v[0:1], s[4:5], v0, v22, v[34:35]
	v_lshlrev_b32_e32 v1, 2, v0
	v_and_b32_e32 v14, 0xffffff00, v1
	v_lshlrev_b64 v[16:17], 1, v[14:15]
	v_or_b32_e32 v1, v14, v19
	v_add_co_u32_e32 v16, vcc, v23, v16
	v_addc_co_u32_e32 v17, vcc, v24, v17, vcc
	v_cmp_lt_u32_e64 s[10:11], v1, v148
	s_and_saveexec_b64 s[4:5], s[10:11]
	s_cbranch_execz .LBB2049_83
; %bb.82:
	flat_load_ushort v21, v[16:17]
.LBB2049_83:
	s_or_b64 exec, exec, s[4:5]
	v_or_b32_e32 v22, 64, v1
	v_cmp_lt_u32_e64 s[6:7], v22, v148
	s_and_saveexec_b64 s[4:5], s[6:7]
	s_cbranch_execz .LBB2049_85
; %bb.84:
	flat_load_ushort v20, v[16:17] offset:128
.LBB2049_85:
	s_or_b64 exec, exec, s[4:5]
	v_or_b32_e32 v22, 0x80, v1
	v_cmp_lt_u32_e64 s[4:5], v22, v148
	v_mov_b32_e32 v30, 0x7fff
	v_mov_b32_e32 v31, 0x7fff
	s_and_saveexec_b64 s[14:15], s[4:5]
	s_cbranch_execz .LBB2049_87
; %bb.86:
	flat_load_ushort v31, v[16:17] offset:256
.LBB2049_87:
	s_or_b64 exec, exec, s[14:15]
	v_or_b32_e32 v1, 0xc0, v1
	v_cmp_lt_u32_e32 vcc, v1, v148
	s_and_saveexec_b64 s[14:15], vcc
	s_cbranch_execz .LBB2049_89
; %bb.88:
	flat_load_ushort v30, v[16:17] offset:384
.LBB2049_89:
	s_or_b64 exec, exec, s[14:15]
	v_lshlrev_b64 v[8:9], 3, v[8:9]
	v_add_co_u32_e64 v1, s[14:15], v4, v8
	v_addc_co_u32_e64 v4, s[14:15], v5, v9, s[14:15]
	v_lshlrev_b32_e32 v5, 3, v19
	v_add_co_u32_e64 v1, s[14:15], v1, v5
	v_addc_co_u32_e64 v16, s[14:15], 0, v4, s[14:15]
	v_lshlrev_b64 v[4:5], 3, v[14:15]
	v_add_co_u32_e64 v4, s[14:15], v1, v4
	v_addc_co_u32_e64 v5, s[14:15], v16, v5, s[14:15]
                                        ; implicit-def: $vgpr22_vgpr23_vgpr24_vgpr25_vgpr26_vgpr27_vgpr28_vgpr29
	s_and_saveexec_b64 s[14:15], s[10:11]
	s_cbranch_execnz .LBB2049_164
; %bb.90:
	s_or_b64 exec, exec, s[14:15]
	s_and_saveexec_b64 s[10:11], s[6:7]
	s_cbranch_execnz .LBB2049_165
.LBB2049_91:
	s_or_b64 exec, exec, s[10:11]
	s_and_saveexec_b64 s[6:7], s[4:5]
	s_cbranch_execnz .LBB2049_166
.LBB2049_92:
	s_or_b64 exec, exec, s[6:7]
	s_and_saveexec_b64 s[4:5], vcc
	s_cbranch_execz .LBB2049_94
.LBB2049_93:
	flat_load_dwordx2 v[28:29], v[4:5] offset:1536
.LBB2049_94:
	s_or_b64 exec, exec, s[4:5]
	v_mov_b32_e32 v1, 0xffff8000
	s_waitcnt vmcnt(0) lgkmcnt(0)
	v_cmp_lt_i16_e32 vcc, -1, v21
	v_cndmask_b32_e32 v4, -1, v1, vcc
	v_cmp_lt_i16_e32 vcc, -1, v20
	v_xor_b32_e32 v67, v4, v21
	v_cndmask_b32_e32 v4, -1, v1, vcc
	v_cmp_lt_i16_e32 vcc, -1, v31
	v_xor_b32_e32 v69, v4, v20
	;; [unrolled: 3-line block ×3, first 2 shown]
	v_cndmask_b32_e32 v4, -1, v1, vcc
	v_add_co_u32_e32 v35, vcc, 16, v12
	v_and_b32_e32 v14, 0x3c0, v34
	v_xor_b32_e32 v112, v4, v30
	v_addc_co_u32_e32 v96, vcc, 0, v13, vcc
	v_lshlrev_b32_e32 v4, 4, v34
	v_min_u32_e32 v14, 0xc0, v14
	v_add_co_u32_e32 v38, vcc, v12, v4
	v_or_b32_e32 v14, 63, v14
	s_getpc_b64 s[4:5]
	s_add_u32 s4, s4, _ZN7rocprim17ROCPRIM_400000_NS16block_radix_sortI12hip_bfloat16Lj256ELj4ElLj1ELj1ELj8ELNS0_26block_radix_rank_algorithmE2ELNS0_18block_padding_hintE2ELNS0_4arch9wavefront6targetE1EE19radix_bits_per_passE@rel32@lo+4
	s_addc_u32 s5, s5, _ZN7rocprim17ROCPRIM_400000_NS16block_radix_sortI12hip_bfloat16Lj256ELj4ElLj1ELj1ELj8ELNS0_26block_radix_rank_algorithmE2ELNS0_18block_padding_hintE2ELNS0_4arch9wavefront6targetE1EE19radix_bits_per_passE@rel32@hi+12
	v_addc_co_u32_e32 v39, vcc, 0, v13, vcc
	v_and_b32_e32 v4, 15, v18
	v_cmp_eq_u32_e64 s[16:17], v14, v34
	v_add_u32_e32 v14, -1, v18
	v_and_b32_e32 v15, 64, v18
	s_load_dword s46, s[4:5], 0x0
	v_cmp_eq_u32_e32 vcc, 0, v4
	v_cmp_lt_u32_e64 s[4:5], 1, v4
	v_cmp_lt_u32_e64 s[6:7], 3, v4
	;; [unrolled: 1-line block ×3, first 2 shown]
	v_and_b32_e32 v4, 16, v18
	v_cmp_lt_i32_e64 s[22:23], v14, v15
	v_cmp_eq_u32_e64 s[30:31], 0, v4
	v_lshrrev_b32_e32 v4, 6, v34
	v_cndmask_b32_e64 v14, v14, v18, s[22:23]
	v_lshlrev_b32_e32 v98, 2, v14
	v_lshlrev_b32_e32 v14, 2, v4
	v_add_co_u32_e64 v48, s[26:27], v12, v14
	v_lshlrev_b32_e32 v16, 2, v34
	v_addc_co_u32_e64 v49, s[26:27], 0, v13, s[26:27]
	v_add_co_u32_e64 v50, s[26:27], v12, v16
	v_mov_b32_e32 v5, 0
	v_addc_co_u32_e64 v51, s[26:27], 0, v13, s[26:27]
	v_and_b32_e32 v14, 3, v18
	v_add_u32_e32 v4, -1, v4
	v_cmp_eq_u32_e64 s[26:27], 0, v14
	v_cmp_lt_u32_e64 s[28:29], 1, v14
	v_lshlrev_b64 v[14:15], 2, v[4:5]
	v_add_co_u32_e64 v52, s[34:35], v12, v14
	v_addc_co_u32_e64 v53, s[34:35], v13, v15, s[34:35]
	s_movk_i32 s34, 0xf00
	v_and_or_b32 v4, v16, s34, v19
	v_lshlrev_b32_e32 v14, 1, v4
	v_add_co_u32_e64 v54, s[34:35], v12, v14
	v_addc_co_u32_e64 v55, s[34:35], 0, v13, s[34:35]
	v_lshrrev_b32_e32 v97, 6, v0
	v_cmp_lt_u32_e64 s[14:15], 31, v18
	v_cmp_gt_u32_e64 s[18:19], 4, v34
	v_cmp_lt_u32_e64 s[20:21], 63, v34
	v_cmp_eq_u32_e64 s[22:23], 0, v18
	v_cmp_eq_u32_e64 s[24:25], 0, v34
	v_mad_u64_u32 v[64:65], s[34:35], v4, 6, v[54:55]
	v_sub_u32_e32 v99, v11, v10
	s_mov_b64 s[42:43], 0
	s_movk_i32 s47, 0x7fff
	v_mov_b32_e32 v30, v5
	v_mov_b32_e32 v31, v5
	;; [unrolled: 1-line block ×4, first 2 shown]
	s_waitcnt lgkmcnt(0)
	s_barrier
	s_branch .LBB2049_96
.LBB2049_95:                            ;   in Loop: Header=BB2049_96 Depth=1
	s_or_b64 exec, exec, s[36:37]
	s_and_b64 s[34:35], exec, s[44:45]
	s_or_b64 s[42:43], s[34:35], s[42:43]
	s_andn2_b64 exec, exec, s[42:43]
	s_cbranch_execz .LBB2049_126
.LBB2049_96:                            ; =>This Inner Loop Header: Depth=1
	s_waitcnt vmcnt(0)
	v_mov_b32_e32 v103, v67
	v_min_u32_e32 v4, s46, v99
	v_pk_mov_b32 v[14:15], v[22:23], v[22:23] op_sel:[0,1]
	v_lshlrev_b32_e64 v4, v4, -1
	v_cmp_ne_u16_e64 s[34:35], s47, v103
	v_pk_mov_b32 v[16:17], v[24:25], v[24:25] op_sel:[0,1]
	v_pk_mov_b32 v[18:19], v[26:27], v[26:27] op_sel:[0,1]
	;; [unrolled: 1-line block ×3, first 2 shown]
	v_not_b32_e32 v24, v4
	v_cndmask_b32_e64 v4, v1, v103, s[34:35]
	v_lshrrev_b32_sdwa v4, v10, v4 dst_sel:DWORD dst_unused:UNUSED_PAD src0_sel:DWORD src1_sel:WORD_0
	v_and_b32_e32 v4, v4, v24
	v_lshlrev_b32_e32 v22, 2, v4
	v_add_lshl_u32 v22, v22, v97, 2
	v_add_co_u32_e64 v26, s[34:35], v35, v22
	v_addc_co_u32_e64 v27, s[34:35], 0, v96, s[34:35]
	v_and_b32_e32 v22, 1, v4
	v_add_co_u32_e64 v23, s[34:35], -1, v22
	v_addc_co_u32_e64 v25, s[34:35], 0, -1, s[34:35]
	v_cmp_ne_u32_e64 s[34:35], 0, v22
	v_xor_b32_e32 v22, s35, v25
	v_xor_b32_e32 v23, s34, v23
	v_and_b32_e32 v25, exec_hi, v22
	v_and_b32_e32 v28, exec_lo, v23
	v_lshlrev_b32_e32 v23, 30, v4
	v_mov_b32_e32 v22, v5
	v_cmp_gt_i64_e64 s[34:35], 0, v[22:23]
	v_not_b32_e32 v22, v23
	v_ashrrev_i32_e32 v22, 31, v22
	v_xor_b32_e32 v23, s35, v22
	v_xor_b32_e32 v22, s34, v22
	v_and_b32_e32 v25, v25, v23
	v_and_b32_e32 v28, v28, v22
	v_lshlrev_b32_e32 v23, 29, v4
	v_mov_b32_e32 v22, v5
	v_cmp_gt_i64_e64 s[34:35], 0, v[22:23]
	v_not_b32_e32 v22, v23
	v_ashrrev_i32_e32 v22, 31, v22
	v_xor_b32_e32 v23, s35, v22
	v_xor_b32_e32 v22, s34, v22
	v_and_b32_e32 v25, v25, v23
	v_and_b32_e32 v28, v28, v22
	;; [unrolled: 9-line block ×5, first 2 shown]
	v_lshlrev_b32_e32 v23, 25, v4
	v_mov_b32_e32 v22, v5
	v_cmp_gt_i64_e64 s[34:35], 0, v[22:23]
	v_not_b32_e32 v22, v23
	v_ashrrev_i32_e32 v22, 31, v22
	v_xor_b32_e32 v23, s35, v22
	v_xor_b32_e32 v22, s34, v22
	v_and_b32_e32 v25, v25, v23
	v_lshlrev_b32_e32 v23, 24, v4
	v_and_b32_e32 v28, v28, v22
	v_mov_b32_e32 v22, v5
	v_not_b32_e32 v4, v23
	v_cmp_gt_i64_e64 s[34:35], 0, v[22:23]
	v_ashrrev_i32_e32 v4, 31, v4
	v_xor_b32_e32 v22, s35, v4
	v_xor_b32_e32 v4, s34, v4
	v_and_b32_e32 v23, v25, v22
	v_and_b32_e32 v22, v28, v4
	v_mbcnt_lo_u32_b32 v4, v22, 0
	v_mbcnt_hi_u32_b32 v4, v23, v4
	v_cmp_eq_u32_e64 s[34:35], 0, v4
	v_cmp_ne_u64_e64 s[36:37], 0, v[22:23]
	v_mov_b32_e32 v102, v69
	v_mov_b32_e32 v101, v71
	v_mov_b32_e32 v100, v112
	s_and_b64 s[36:37], s[36:37], s[34:35]
	flat_store_dwordx4 v[38:39], v[30:33] offset:16
	s_waitcnt lgkmcnt(0)
	s_barrier
	s_waitcnt lgkmcnt(0)
	; wave barrier
	s_and_saveexec_b64 s[34:35], s[36:37]
	s_cbranch_execz .LBB2049_98
; %bb.97:                               ;   in Loop: Header=BB2049_96 Depth=1
	v_bcnt_u32_b32 v22, v22, 0
	v_bcnt_u32_b32 v22, v23, v22
	flat_store_dword v[26:27], v22
.LBB2049_98:                            ;   in Loop: Header=BB2049_96 Depth=1
	s_or_b64 exec, exec, s[34:35]
	v_cmp_ne_u16_e64 s[34:35], s47, v102
	v_cndmask_b32_e64 v22, v1, v102, s[34:35]
	v_lshrrev_b32_sdwa v22, v10, v22 dst_sel:DWORD dst_unused:UNUSED_PAD src0_sel:DWORD src1_sel:WORD_0
	v_and_b32_e32 v25, v22, v24
	v_lshlrev_b32_e32 v22, 2, v25
	v_add_lshl_u32 v22, v22, v97, 2
	v_add_co_u32_e64 v28, s[34:35], v35, v22
	v_addc_co_u32_e64 v29, s[34:35], 0, v96, s[34:35]
	; wave barrier
	flat_load_dword v70, v[28:29]
	v_and_b32_e32 v22, 1, v25
	v_add_co_u32_e64 v23, s[34:35], -1, v22
	v_addc_co_u32_e64 v66, s[34:35], 0, -1, s[34:35]
	v_cmp_ne_u32_e64 s[34:35], 0, v22
	v_xor_b32_e32 v22, s35, v66
	v_xor_b32_e32 v23, s34, v23
	v_and_b32_e32 v66, exec_hi, v22
	v_and_b32_e32 v67, exec_lo, v23
	v_lshlrev_b32_e32 v23, 30, v25
	v_mov_b32_e32 v22, v5
	v_cmp_gt_i64_e64 s[34:35], 0, v[22:23]
	v_not_b32_e32 v22, v23
	v_ashrrev_i32_e32 v22, 31, v22
	v_xor_b32_e32 v23, s35, v22
	v_xor_b32_e32 v22, s34, v22
	v_and_b32_e32 v66, v66, v23
	v_and_b32_e32 v67, v67, v22
	v_lshlrev_b32_e32 v23, 29, v25
	v_mov_b32_e32 v22, v5
	v_cmp_gt_i64_e64 s[34:35], 0, v[22:23]
	v_not_b32_e32 v22, v23
	v_ashrrev_i32_e32 v22, 31, v22
	v_xor_b32_e32 v23, s35, v22
	v_xor_b32_e32 v22, s34, v22
	v_and_b32_e32 v66, v66, v23
	v_and_b32_e32 v67, v67, v22
	;; [unrolled: 9-line block ×7, first 2 shown]
	v_mbcnt_lo_u32_b32 v25, v22, 0
	v_mbcnt_hi_u32_b32 v80, v23, v25
	v_cmp_eq_u32_e64 s[34:35], 0, v80
	v_cmp_ne_u64_e64 s[36:37], 0, v[22:23]
	s_and_b64 s[36:37], s[36:37], s[34:35]
	; wave barrier
	s_and_saveexec_b64 s[34:35], s[36:37]
	s_cbranch_execz .LBB2049_100
; %bb.99:                               ;   in Loop: Header=BB2049_96 Depth=1
	v_bcnt_u32_b32 v22, v22, 0
	v_bcnt_u32_b32 v22, v23, v22
	s_waitcnt vmcnt(0) lgkmcnt(0)
	v_add_u32_e32 v22, v70, v22
	flat_store_dword v[28:29], v22
.LBB2049_100:                           ;   in Loop: Header=BB2049_96 Depth=1
	s_or_b64 exec, exec, s[34:35]
	v_cmp_ne_u16_e64 s[34:35], s47, v101
	v_cndmask_b32_e64 v22, v1, v101, s[34:35]
	v_lshrrev_b32_sdwa v22, v10, v22 dst_sel:DWORD dst_unused:UNUSED_PAD src0_sel:DWORD src1_sel:WORD_0
	v_and_b32_e32 v25, v22, v24
	v_lshlrev_b32_e32 v22, 2, v25
	v_add_lshl_u32 v22, v22, v97, 2
	v_add_co_u32_e64 v66, s[34:35], v35, v22
	v_addc_co_u32_e64 v67, s[34:35], 0, v96, s[34:35]
	; wave barrier
	flat_load_dword v81, v[66:67]
	v_and_b32_e32 v22, 1, v25
	v_add_co_u32_e64 v23, s[34:35], -1, v22
	v_addc_co_u32_e64 v68, s[34:35], 0, -1, s[34:35]
	v_cmp_ne_u32_e64 s[34:35], 0, v22
	v_xor_b32_e32 v22, s35, v68
	v_xor_b32_e32 v23, s34, v23
	v_and_b32_e32 v68, exec_hi, v22
	v_and_b32_e32 v69, exec_lo, v23
	v_lshlrev_b32_e32 v23, 30, v25
	v_mov_b32_e32 v22, v5
	v_cmp_gt_i64_e64 s[34:35], 0, v[22:23]
	v_not_b32_e32 v22, v23
	v_ashrrev_i32_e32 v22, 31, v22
	v_xor_b32_e32 v23, s35, v22
	v_xor_b32_e32 v22, s34, v22
	v_and_b32_e32 v68, v68, v23
	v_and_b32_e32 v69, v69, v22
	v_lshlrev_b32_e32 v23, 29, v25
	v_mov_b32_e32 v22, v5
	v_cmp_gt_i64_e64 s[34:35], 0, v[22:23]
	v_not_b32_e32 v22, v23
	v_ashrrev_i32_e32 v22, 31, v22
	v_xor_b32_e32 v23, s35, v22
	v_xor_b32_e32 v22, s34, v22
	v_and_b32_e32 v68, v68, v23
	v_and_b32_e32 v69, v69, v22
	;; [unrolled: 9-line block ×7, first 2 shown]
	v_mbcnt_lo_u32_b32 v25, v22, 0
	v_mbcnt_hi_u32_b32 v82, v23, v25
	v_cmp_eq_u32_e64 s[34:35], 0, v82
	v_cmp_ne_u64_e64 s[36:37], 0, v[22:23]
	s_and_b64 s[36:37], s[36:37], s[34:35]
	; wave barrier
	s_and_saveexec_b64 s[34:35], s[36:37]
	s_cbranch_execz .LBB2049_102
; %bb.101:                              ;   in Loop: Header=BB2049_96 Depth=1
	v_bcnt_u32_b32 v22, v22, 0
	v_bcnt_u32_b32 v22, v23, v22
	s_waitcnt vmcnt(0) lgkmcnt(0)
	v_add_u32_e32 v22, v81, v22
	flat_store_dword v[66:67], v22
.LBB2049_102:                           ;   in Loop: Header=BB2049_96 Depth=1
	s_or_b64 exec, exec, s[34:35]
	v_cmp_ne_u16_e64 s[34:35], s47, v100
	v_cndmask_b32_e64 v22, v1, v100, s[34:35]
	v_lshrrev_b32_sdwa v22, v10, v22 dst_sel:DWORD dst_unused:UNUSED_PAD src0_sel:DWORD src1_sel:WORD_0
	v_and_b32_e32 v24, v22, v24
	v_lshlrev_b32_e32 v22, 2, v24
	v_add_lshl_u32 v22, v22, v97, 2
	v_add_co_u32_e64 v68, s[34:35], v35, v22
	v_addc_co_u32_e64 v69, s[34:35], 0, v96, s[34:35]
	; wave barrier
	flat_load_dword v83, v[68:69]
	v_and_b32_e32 v22, 1, v24
	v_add_co_u32_e64 v23, s[34:35], -1, v22
	v_addc_co_u32_e64 v25, s[34:35], 0, -1, s[34:35]
	v_cmp_ne_u32_e64 s[34:35], 0, v22
	v_xor_b32_e32 v22, s35, v25
	v_xor_b32_e32 v23, s34, v23
	v_and_b32_e32 v25, exec_hi, v22
	v_and_b32_e32 v71, exec_lo, v23
	v_lshlrev_b32_e32 v23, 30, v24
	v_mov_b32_e32 v22, v5
	v_cmp_gt_i64_e64 s[34:35], 0, v[22:23]
	v_not_b32_e32 v22, v23
	v_ashrrev_i32_e32 v22, 31, v22
	v_xor_b32_e32 v23, s35, v22
	v_xor_b32_e32 v22, s34, v22
	v_and_b32_e32 v25, v25, v23
	v_and_b32_e32 v71, v71, v22
	v_lshlrev_b32_e32 v23, 29, v24
	v_mov_b32_e32 v22, v5
	v_cmp_gt_i64_e64 s[34:35], 0, v[22:23]
	v_not_b32_e32 v22, v23
	v_ashrrev_i32_e32 v22, 31, v22
	v_xor_b32_e32 v23, s35, v22
	v_xor_b32_e32 v22, s34, v22
	v_and_b32_e32 v25, v25, v23
	v_and_b32_e32 v71, v71, v22
	;; [unrolled: 9-line block ×7, first 2 shown]
	v_mbcnt_lo_u32_b32 v24, v22, 0
	v_mbcnt_hi_u32_b32 v84, v23, v24
	v_cmp_eq_u32_e64 s[34:35], 0, v84
	v_cmp_ne_u64_e64 s[36:37], 0, v[22:23]
	s_and_b64 s[36:37], s[36:37], s[34:35]
	; wave barrier
	s_and_saveexec_b64 s[34:35], s[36:37]
	s_cbranch_execz .LBB2049_104
; %bb.103:                              ;   in Loop: Header=BB2049_96 Depth=1
	v_bcnt_u32_b32 v22, v22, 0
	v_bcnt_u32_b32 v22, v23, v22
	s_waitcnt vmcnt(0) lgkmcnt(0)
	v_add_u32_e32 v22, v83, v22
	flat_store_dword v[68:69], v22
.LBB2049_104:                           ;   in Loop: Header=BB2049_96 Depth=1
	s_or_b64 exec, exec, s[34:35]
	; wave barrier
	s_waitcnt lgkmcnt(0)
	s_barrier
	flat_load_dwordx4 v[22:25], v[38:39] offset:16
	s_waitcnt vmcnt(0) lgkmcnt(0)
	v_add_u32_e32 v71, v23, v22
	v_add3_u32 v25, v71, v24, v25
	s_nop 1
	v_mov_b32_dpp v71, v25 row_shr:1 row_mask:0xf bank_mask:0xf
	v_cndmask_b32_e64 v71, v71, 0, vcc
	v_add_u32_e32 v25, v71, v25
	s_nop 1
	v_mov_b32_dpp v71, v25 row_shr:2 row_mask:0xf bank_mask:0xf
	v_cndmask_b32_e64 v71, 0, v71, s[4:5]
	v_add_u32_e32 v25, v25, v71
	s_nop 1
	v_mov_b32_dpp v71, v25 row_shr:4 row_mask:0xf bank_mask:0xf
	v_cndmask_b32_e64 v71, 0, v71, s[6:7]
	;; [unrolled: 4-line block ×3, first 2 shown]
	v_add_u32_e32 v25, v25, v71
	s_nop 1
	v_mov_b32_dpp v71, v25 row_bcast:15 row_mask:0xf bank_mask:0xf
	v_cndmask_b32_e64 v71, v71, 0, s[30:31]
	v_add_u32_e32 v25, v25, v71
	s_nop 1
	v_mov_b32_dpp v71, v25 row_bcast:31 row_mask:0xf bank_mask:0xf
	v_cndmask_b32_e64 v71, 0, v71, s[14:15]
	v_add_u32_e32 v25, v25, v71
	s_and_saveexec_b64 s[34:35], s[16:17]
	s_cbranch_execz .LBB2049_106
; %bb.105:                              ;   in Loop: Header=BB2049_96 Depth=1
	flat_store_dword v[48:49], v25
.LBB2049_106:                           ;   in Loop: Header=BB2049_96 Depth=1
	s_or_b64 exec, exec, s[34:35]
	s_waitcnt lgkmcnt(0)
	s_barrier
	s_and_saveexec_b64 s[34:35], s[18:19]
	s_cbranch_execz .LBB2049_108
; %bb.107:                              ;   in Loop: Header=BB2049_96 Depth=1
	flat_load_dword v71, v[50:51]
	s_waitcnt vmcnt(0) lgkmcnt(0)
	s_nop 0
	v_mov_b32_dpp v85, v71 row_shr:1 row_mask:0xf bank_mask:0xf
	v_cndmask_b32_e64 v85, v85, 0, s[26:27]
	v_add_u32_e32 v71, v85, v71
	s_nop 1
	v_mov_b32_dpp v85, v71 row_shr:2 row_mask:0xf bank_mask:0xf
	v_cndmask_b32_e64 v85, 0, v85, s[28:29]
	v_add_u32_e32 v71, v71, v85
	flat_store_dword v[50:51], v71
.LBB2049_108:                           ;   in Loop: Header=BB2049_96 Depth=1
	s_or_b64 exec, exec, s[34:35]
	v_mov_b32_e32 v71, 0
	s_waitcnt lgkmcnt(0)
	s_barrier
	s_and_saveexec_b64 s[34:35], s[20:21]
	s_cbranch_execz .LBB2049_110
; %bb.109:                              ;   in Loop: Header=BB2049_96 Depth=1
	flat_load_dword v71, v[52:53]
.LBB2049_110:                           ;   in Loop: Header=BB2049_96 Depth=1
	s_or_b64 exec, exec, s[34:35]
	s_waitcnt vmcnt(0) lgkmcnt(0)
	v_add_u32_e32 v25, v71, v25
	ds_bpermute_b32 v25, v98, v25
	v_add_u32_e32 v10, 8, v10
	v_cmp_lt_u32_e64 s[34:35], v10, v11
	s_mov_b64 s[44:45], -1
	s_waitcnt lgkmcnt(0)
	v_cndmask_b32_e64 v25, v25, v71, s[22:23]
	v_cndmask_b32_e64 v112, v25, 0, s[24:25]
	v_add_u32_e32 v113, v112, v22
	v_add_u32_e32 v114, v113, v23
	;; [unrolled: 1-line block ×3, first 2 shown]
	flat_store_dwordx4 v[38:39], v[112:115] offset:16
	s_waitcnt lgkmcnt(0)
	s_barrier
	flat_load_dword v22, v[26:27]
	flat_load_dword v23, v[28:29]
	;; [unrolled: 1-line block ×4, first 2 shown]
	v_mov_b32_e32 v67, v5
	v_mov_b32_e32 v69, v5
	;; [unrolled: 1-line block ×3, first 2 shown]
	s_waitcnt lgkmcnt(0)
                                        ; implicit-def: $vgpr112
	s_waitcnt vmcnt(0) lgkmcnt(0)
	v_add_u32_e32 v4, v22, v4
	v_add3_u32 v66, v80, v70, v23
	v_lshlrev_b64 v[22:23], 1, v[4:5]
	v_add_co_u32_e64 v86, s[36:37], v12, v22
	v_add3_u32 v68, v82, v81, v24
	v_add3_u32 v70, v84, v83, v25
	v_lshlrev_b64 v[24:25], 1, v[66:67]
	v_addc_co_u32_e64 v87, s[36:37], v13, v23, s[36:37]
	v_add_co_u32_e64 v84, s[36:37], v12, v24
	v_lshlrev_b64 v[26:27], 1, v[68:69]
	v_addc_co_u32_e64 v85, s[36:37], v13, v25, s[36:37]
	v_add_co_u32_e64 v82, s[36:37], v12, v26
	;; [unrolled: 3-line block ×3, first 2 shown]
	v_addc_co_u32_e64 v81, s[36:37], v13, v29, s[36:37]
                                        ; implicit-def: $vgpr22_vgpr23_vgpr24_vgpr25_vgpr26_vgpr27_vgpr28_vgpr29
                                        ; implicit-def: $vgpr67
                                        ; implicit-def: $vgpr69
                                        ; implicit-def: $vgpr71
	s_and_saveexec_b64 s[36:37], s[34:35]
	s_cbranch_execz .LBB2049_95
; %bb.111:                              ;   in Loop: Header=BB2049_96 Depth=1
	v_mad_u64_u32 v[22:23], s[34:35], v4, 6, v[86:87]
	s_barrier
	flat_store_short v[86:87], v103
	flat_store_short v[84:85], v102
	;; [unrolled: 1-line block ×4, first 2 shown]
	s_waitcnt lgkmcnt(0)
	s_barrier
	flat_load_ushort v67, v[54:55]
	flat_load_ushort v69, v[54:55] offset:128
	flat_load_ushort v71, v[54:55] offset:256
	;; [unrolled: 1-line block ×3, first 2 shown]
	s_waitcnt lgkmcnt(0)
	s_barrier
	flat_store_dwordx2 v[22:23], v[14:15]
	v_mad_u64_u32 v[22:23], s[34:35], v66, 6, v[84:85]
	flat_store_dwordx2 v[22:23], v[16:17]
	v_mad_u64_u32 v[22:23], s[34:35], v68, 6, v[82:83]
	flat_store_dwordx2 v[22:23], v[18:19]
	v_mad_u64_u32 v[22:23], s[34:35], v70, 6, v[80:81]
	flat_store_dwordx2 v[22:23], v[20:21]
	s_waitcnt lgkmcnt(0)
	s_barrier
	flat_load_dwordx2 v[22:23], v[64:65]
	flat_load_dwordx2 v[24:25], v[64:65] offset:512
	flat_load_dwordx2 v[26:27], v[64:65] offset:1024
	;; [unrolled: 1-line block ×3, first 2 shown]
	v_add_u32_e32 v99, -8, v99
	s_xor_b64 s[44:45], exec, -1
	s_waitcnt lgkmcnt(0)
	s_barrier
	s_branch .LBB2049_95
.LBB2049_112:
	flat_load_dwordx2 v[16:17], v[4:5]
	s_or_b64 exec, exec, s[22:23]
                                        ; implicit-def: $vgpr18_vgpr19
	s_and_saveexec_b64 s[22:23], s[4:5]
	s_cbranch_execz .LBB2049_20
.LBB2049_113:
	flat_load_dwordx2 v[18:19], v[4:5] offset:512
	s_or_b64 exec, exec, s[22:23]
                                        ; implicit-def: $vgpr66_vgpr67
	s_and_saveexec_b64 s[4:5], s[6:7]
	s_cbranch_execz .LBB2049_21
.LBB2049_114:
	flat_load_dwordx2 v[66:67], v[4:5] offset:1024
	s_or_b64 exec, exec, s[4:5]
                                        ; implicit-def: $vgpr68_vgpr69
	s_and_saveexec_b64 s[4:5], s[10:11]
	s_cbranch_execz .LBB2049_22
.LBB2049_115:
	flat_load_dwordx2 v[68:69], v[4:5] offset:1536
	s_or_b64 exec, exec, s[4:5]
                                        ; implicit-def: $vgpr80_vgpr81
	s_and_saveexec_b64 s[4:5], s[20:21]
	s_cbranch_execz .LBB2049_23
.LBB2049_116:
	flat_load_dwordx2 v[80:81], v[4:5] offset:2048
	s_or_b64 exec, exec, s[4:5]
                                        ; implicit-def: $vgpr86_vgpr87
	s_and_saveexec_b64 s[4:5], s[14:15]
	s_cbranch_execz .LBB2049_24
.LBB2049_117:
	flat_load_dwordx2 v[86:87], v[4:5] offset:2560
	s_or_b64 exec, exec, s[4:5]
                                        ; implicit-def: $vgpr102_vgpr103
	s_and_saveexec_b64 s[4:5], s[16:17]
	s_cbranch_execz .LBB2049_25
.LBB2049_118:
	flat_load_dwordx2 v[102:103], v[4:5] offset:3072
	s_or_b64 exec, exec, s[4:5]
                                        ; implicit-def: $vgpr114_vgpr115
	s_and_saveexec_b64 s[4:5], s[18:19]
	s_cbranch_execnz .LBB2049_26
	s_branch .LBB2049_27
.LBB2049_119:
	s_waitcnt vmcnt(0)
	flat_store_dwordx2 v[0:1], v[26:27]
	s_or_b64 exec, exec, s[22:23]
	s_and_saveexec_b64 s[22:23], s[4:5]
	s_cbranch_execz .LBB2049_71
.LBB2049_120:
	s_waitcnt vmcnt(0)
	flat_store_dwordx2 v[0:1], v[24:25] offset:2048
	s_or_b64 exec, exec, s[22:23]
	s_and_saveexec_b64 s[4:5], s[6:7]
	s_cbranch_execz .LBB2049_72
.LBB2049_121:
	v_add_co_u32_e32 v2, vcc, 0x1000, v0
	v_addc_co_u32_e32 v3, vcc, 0, v1, vcc
	s_waitcnt vmcnt(0)
	flat_store_dwordx2 v[2:3], v[18:19]
	s_or_b64 exec, exec, s[4:5]
	s_and_saveexec_b64 s[4:5], s[10:11]
	s_cbranch_execz .LBB2049_73
.LBB2049_122:
	v_add_co_u32_e32 v2, vcc, 0x1000, v0
	v_addc_co_u32_e32 v3, vcc, 0, v1, vcc
	s_waitcnt vmcnt(0)
	flat_store_dwordx2 v[2:3], v[14:15] offset:2048
	s_or_b64 exec, exec, s[4:5]
	s_and_saveexec_b64 s[4:5], s[20:21]
	s_cbranch_execz .LBB2049_74
.LBB2049_123:
	v_add_co_u32_e32 v2, vcc, 0x2000, v0
	v_addc_co_u32_e32 v3, vcc, 0, v1, vcc
	s_waitcnt vmcnt(0)
	flat_store_dwordx2 v[2:3], v[16:17]
	s_or_b64 exec, exec, s[4:5]
	s_and_saveexec_b64 s[4:5], s[14:15]
	s_cbranch_execz .LBB2049_75
.LBB2049_124:
	v_add_co_u32_e32 v2, vcc, 0x2000, v0
	v_addc_co_u32_e32 v3, vcc, 0, v1, vcc
	s_waitcnt vmcnt(0)
	flat_store_dwordx2 v[2:3], v[12:13] offset:2048
	s_or_b64 exec, exec, s[4:5]
	s_and_saveexec_b64 s[4:5], s[16:17]
	s_cbranch_execz .LBB2049_76
.LBB2049_125:
	v_add_co_u32_e32 v2, vcc, 0x3000, v0
	v_addc_co_u32_e32 v3, vcc, 0, v1, vcc
	s_waitcnt vmcnt(0)
	flat_store_dwordx2 v[2:3], v[10:11]
	s_or_b64 exec, exec, s[4:5]
	s_and_saveexec_b64 s[4:5], s[18:19]
	s_cbranch_execnz .LBB2049_77
	s_branch .LBB2049_78
.LBB2049_126:
	s_or_b64 exec, exec, s[42:43]
	v_lshlrev_b32_e32 v1, 1, v34
	v_add_co_u32_e32 v10, vcc, v12, v1
	v_addc_co_u32_e32 v11, vcc, 0, v13, vcc
	v_mad_u64_u32 v[4:5], s[4:5], v4, 6, v[86:87]
	s_barrier
	flat_store_short v[86:87], v103
	flat_store_short v[84:85], v102
	;; [unrolled: 1-line block ×4, first 2 shown]
	s_waitcnt lgkmcnt(0)
	s_barrier
	s_waitcnt vmcnt(0)
	flat_load_ushort v25, v[10:11]
	flat_load_ushort v24, v[10:11] offset:512
	flat_load_ushort v23, v[10:11] offset:1024
	;; [unrolled: 1-line block ×3, first 2 shown]
	s_waitcnt lgkmcnt(0)
	s_barrier
	flat_store_dwordx2 v[4:5], v[14:15]
	v_mad_u64_u32 v[4:5], s[4:5], v66, 6, v[84:85]
	flat_store_dwordx2 v[4:5], v[16:17]
	v_mad_u64_u32 v[4:5], s[4:5], v68, 6, v[82:83]
	;; [unrolled: 2-line block ×3, first 2 shown]
	v_mad_u64_u32 v[16:17], s[4:5], v34, 6, v[10:11]
	s_movk_i32 s4, 0x1000
	v_add_co_u32_e32 v18, vcc, s4, v16
	flat_store_dwordx2 v[4:5], v[20:21]
	s_waitcnt lgkmcnt(0)
	s_barrier
	v_addc_co_u32_e32 v19, vcc, 0, v17, vcc
	flat_load_dwordx2 v[14:15], v[16:17]
	flat_load_dwordx2 v[12:13], v[16:17] offset:2048
	flat_load_dwordx2 v[10:11], v[18:19]
	flat_load_dwordx2 v[4:5], v[18:19] offset:2048
	v_mov_b32_e32 v1, 0
	v_add_co_u32_e32 v16, vcc, v2, v36
	v_addc_co_u32_e32 v17, vcc, v3, v37, vcc
	v_lshlrev_b64 v[2:3], 1, v[0:1]
	v_add_co_u32_e32 v2, vcc, v16, v2
	v_addc_co_u32_e32 v3, vcc, v17, v3, vcc
	v_cmp_lt_u32_e32 vcc, v0, v148
	s_waitcnt lgkmcnt(0)
	s_barrier
	s_and_saveexec_b64 s[6:7], vcc
	s_cbranch_execz .LBB2049_128
; %bb.127:
	v_mov_b32_e32 v16, 0xffff8000
	s_waitcnt vmcnt(0)
	v_cmp_lt_i16_e64 s[4:5], -1, v25
	v_cndmask_b32_e64 v16, v16, -1, s[4:5]
	v_xor_b32_e32 v16, v16, v25
	flat_store_short v[2:3], v16
.LBB2049_128:
	s_or_b64 exec, exec, s[6:7]
	v_add_u32_e32 v16, 0x100, v0
	v_cmp_lt_u32_e64 s[4:5], v16, v148
	s_and_saveexec_b64 s[10:11], s[4:5]
	s_cbranch_execz .LBB2049_130
; %bb.129:
	v_mov_b32_e32 v16, 0xffff8000
	s_waitcnt vmcnt(0)
	v_cmp_lt_i16_e64 s[6:7], -1, v24
	v_cndmask_b32_e64 v16, v16, -1, s[6:7]
	v_xor_b32_e32 v16, v16, v24
	flat_store_short v[2:3], v16 offset:512
.LBB2049_130:
	s_or_b64 exec, exec, s[10:11]
	v_add_u32_e32 v16, 0x200, v0
	v_cmp_lt_u32_e64 s[6:7], v16, v148
	s_and_saveexec_b64 s[14:15], s[6:7]
	s_cbranch_execz .LBB2049_132
; %bb.131:
	v_mov_b32_e32 v16, 0xffff8000
	s_waitcnt vmcnt(0)
	v_cmp_lt_i16_e64 s[10:11], -1, v23
	v_cndmask_b32_e64 v16, v16, -1, s[10:11]
	v_xor_b32_e32 v16, v16, v23
	flat_store_short v[2:3], v16 offset:1024
.LBB2049_132:
	;; [unrolled: 13-line block ×3, first 2 shown]
	s_or_b64 exec, exec, s[16:17]
	v_add_co_u32_e64 v2, s[14:15], v6, v8
	v_addc_co_u32_e64 v3, s[14:15], v7, v9, s[14:15]
	v_lshlrev_b64 v[0:1], 3, v[0:1]
	v_add_co_u32_e64 v0, s[14:15], v2, v0
	v_addc_co_u32_e64 v1, s[14:15], v3, v1, s[14:15]
	s_and_saveexec_b64 s[14:15], vcc
	s_cbranch_execnz .LBB2049_167
; %bb.135:
	s_or_b64 exec, exec, s[14:15]
	s_and_saveexec_b64 s[14:15], s[4:5]
	s_cbranch_execnz .LBB2049_168
.LBB2049_136:
	s_or_b64 exec, exec, s[14:15]
	s_and_saveexec_b64 s[4:5], s[6:7]
	s_cbranch_execnz .LBB2049_169
.LBB2049_137:
	s_or_b64 exec, exec, s[4:5]
	s_and_saveexec_b64 s[4:5], s[10:11]
	s_cbranch_execz .LBB2049_139
.LBB2049_138:
	v_add_co_u32_e32 v0, vcc, 0x1000, v0
	v_addc_co_u32_e32 v1, vcc, 0, v1, vcc
	s_waitcnt vmcnt(0)
	flat_store_dwordx2 v[0:1], v[4:5] offset:2048
.LBB2049_139:
	s_or_b64 exec, exec, s[4:5]
                                        ; implicit-def: $vgpr148
                                        ; implicit-def: $vgpr0
                                        ; implicit-def: $vgpr1
                                        ; implicit-def: $vgpr2
                                        ; implicit-def: $vgpr3
                                        ; implicit-def: $vgpr4
                                        ; implicit-def: $vgpr5
                                        ; implicit-def: $vgpr6
                                        ; implicit-def: $vgpr7
                                        ; implicit-def: $vgpr8
                                        ; implicit-def: $vgpr10
                                        ; implicit-def: $vgpr11
                                        ; implicit-def: $vgpr12
                                        ; implicit-def: $vgpr13
                                        ; implicit-def: $vgpr31
                                        ; implicit-def: $vgpr16
                                        ; implicit-def: $vgpr17
                                        ; implicit-def: $vgpr14
.LBB2049_140:
	s_andn2_saveexec_b64 s[4:5], s[40:41]
	s_cbranch_execz .LBB2049_199
; %bb.141:
	s_load_dwordx2 s[4:5], s[8:9], 0x0
	v_mov_b32_e32 v9, 0
	s_waitcnt vmcnt(0)
	v_and_b32_e32 v26, 0x3ff, v31
	v_lshlrev_b64 v[24:25], 1, v[8:9]
	s_waitcnt lgkmcnt(0)
	s_cmp_lt_u32 s12, s4
	s_cselect_b32 s6, 12, 18
	s_cmp_lt_u32 s13, s5
	s_cselect_b32 s4, 14, 20
	s_add_u32 s4, s8, s4
	s_addc_u32 s5, s9, 0
	s_add_u32 s6, s8, s6
	global_load_ushort v15, v9, s[4:5]
	s_addc_u32 s7, s9, 0
	global_load_ushort v18, v9, s[6:7]
	s_movk_i32 s4, 0x100
	v_cmp_lt_u32_e32 vcc, s4, v148
	s_waitcnt vmcnt(1)
	v_mad_u32_u24 v15, v17, v15, v16
	s_waitcnt vmcnt(0)
	v_mad_u64_u32 v[22:23], s[4:5], v15, v18, v[26:27]
	s_and_saveexec_b64 s[4:5], vcc
	s_xor_b64 s[34:35], exec, s[4:5]
	s_cbranch_execz .LBB2049_179
; %bb.142:
	v_mbcnt_hi_u32_b32 v17, -1, v14
	v_add_co_u32_e32 v0, vcc, v0, v24
	v_and_b32_e32 v16, 63, v17
	v_addc_co_u32_e32 v1, vcc, v1, v25, vcc
	v_lshlrev_b32_e32 v14, 1, v22
	v_lshlrev_b32_e32 v15, 1, v16
	v_and_b32_e32 v14, 0xffffff80, v14
	v_add_co_u32_e32 v18, vcc, v0, v15
	v_mov_b32_e32 v15, v9
	v_addc_co_u32_e32 v19, vcc, 0, v1, vcc
	v_lshlrev_b64 v[0:1], 1, v[14:15]
	v_add_co_u32_e32 v0, vcc, v18, v0
	v_addc_co_u32_e32 v1, vcc, v19, v1, vcc
	v_or_b32_e32 v18, v16, v14
	v_cmp_lt_u32_e32 vcc, v18, v148
	v_mov_b32_e32 v27, 0x7fff
	v_mov_b32_e32 v28, 0x7fff
	s_and_saveexec_b64 s[4:5], vcc
	s_cbranch_execz .LBB2049_144
; %bb.143:
	flat_load_ushort v28, v[0:1]
.LBB2049_144:
	s_or_b64 exec, exec, s[4:5]
	v_or_b32_e32 v18, 64, v18
	v_cmp_lt_u32_e64 s[4:5], v18, v148
	s_and_saveexec_b64 s[6:7], s[4:5]
	s_cbranch_execz .LBB2049_146
; %bb.145:
	flat_load_ushort v27, v[0:1] offset:128
.LBB2049_146:
	s_or_b64 exec, exec, s[6:7]
	v_lshlrev_b64 v[0:1], 3, v[8:9]
	v_add_co_u32_e64 v4, s[6:7], v4, v0
	v_addc_co_u32_e64 v5, s[6:7], v5, v1, s[6:7]
	v_lshlrev_b32_e32 v8, 3, v16
	v_add_co_u32_e64 v8, s[6:7], v4, v8
	v_addc_co_u32_e64 v9, s[6:7], 0, v5, s[6:7]
	v_lshlrev_b64 v[4:5], 3, v[14:15]
	v_add_co_u32_e64 v4, s[6:7], v8, v4
	v_addc_co_u32_e64 v5, s[6:7], v9, v5, s[6:7]
                                        ; implicit-def: $vgpr18_vgpr19
	s_and_saveexec_b64 s[6:7], vcc
	s_cbranch_execz .LBB2049_148
; %bb.147:
	flat_load_dwordx2 v[18:19], v[4:5]
.LBB2049_148:
	s_or_b64 exec, exec, s[6:7]
                                        ; implicit-def: $vgpr20_vgpr21
	s_and_saveexec_b64 s[6:7], s[4:5]
	s_cbranch_execz .LBB2049_150
; %bb.149:
	flat_load_dwordx2 v[20:21], v[4:5] offset:512
.LBB2049_150:
	s_or_b64 exec, exec, s[6:7]
	v_mov_b32_e32 v23, 0xffff8000
	s_waitcnt vmcnt(0) lgkmcnt(0)
	v_cmp_lt_i16_e32 vcc, -1, v28
	v_cndmask_b32_e32 v4, -1, v23, vcc
	v_cmp_lt_i16_e32 vcc, -1, v27
	v_xor_b32_e32 v51, v4, v28
	v_cndmask_b32_e32 v4, -1, v23, vcc
	v_xor_b32_e32 v70, v4, v27
	v_add_co_u32_e32 v27, vcc, 16, v12
	v_and_b32_e32 v15, 0x3c0, v26
	v_addc_co_u32_e32 v64, vcc, 0, v13, vcc
	v_lshlrev_b32_e32 v8, 4, v26
	v_min_u32_e32 v15, 0xc0, v15
	v_add_co_u32_e32 v8, vcc, v12, v8
	v_or_b32_e32 v15, 63, v15
	s_getpc_b64 s[4:5]
	s_add_u32 s4, s4, _ZN7rocprim17ROCPRIM_400000_NS16block_radix_sortI12hip_bfloat16Lj256ELj2ElLj1ELj1ELj8ELNS0_26block_radix_rank_algorithmE2ELNS0_18block_padding_hintE2ELNS0_4arch9wavefront6targetE1EE19radix_bits_per_passE@rel32@lo+4
	s_addc_u32 s5, s5, _ZN7rocprim17ROCPRIM_400000_NS16block_radix_sortI12hip_bfloat16Lj256ELj2ElLj1ELj1ELj8ELNS0_26block_radix_rank_algorithmE2ELNS0_18block_padding_hintE2ELNS0_4arch9wavefront6targetE1EE19radix_bits_per_passE@rel32@hi+12
	v_addc_co_u32_e32 v9, vcc, 0, v13, vcc
	v_and_b32_e32 v14, 15, v17
	v_cmp_eq_u32_e64 s[14:15], v15, v26
	v_add_u32_e32 v15, -1, v17
	v_and_b32_e32 v28, 64, v17
	s_load_dword s42, s[4:5], 0x0
	v_cmp_eq_u32_e32 vcc, 0, v14
	v_cmp_lt_u32_e64 s[4:5], 1, v14
	v_cmp_lt_u32_e64 s[6:7], 3, v14
	;; [unrolled: 1-line block ×3, first 2 shown]
	v_and_b32_e32 v14, 16, v17
	v_cmp_lt_i32_e64 s[20:21], v15, v28
	v_cmp_eq_u32_e64 s[10:11], 0, v14
	v_lshrrev_b32_e32 v14, 6, v26
	v_cndmask_b32_e64 v15, v15, v17, s[20:21]
	v_lshlrev_b32_e32 v66, 2, v15
	v_lshlrev_b32_e32 v15, 2, v14
	v_add_co_u32_e64 v28, s[24:25], v12, v15
	v_lshlrev_b32_e32 v4, 2, v26
	v_addc_co_u32_e64 v29, s[24:25], 0, v13, s[24:25]
	v_add_co_u32_e64 v30, s[24:25], v12, v4
	v_addc_co_u32_e64 v31, s[24:25], 0, v13, s[24:25]
	v_and_b32_e32 v4, 3, v17
	v_mov_b32_e32 v5, 0
	v_cmp_eq_u32_e64 s[24:25], 0, v4
	v_cmp_lt_u32_e64 s[26:27], 1, v4
	v_add_u32_e32 v4, -1, v14
	v_lshlrev_b64 v[14:15], 2, v[4:5]
	v_add_co_u32_e64 v32, s[28:29], v12, v14
	v_addc_co_u32_e64 v33, s[28:29], v13, v15, s[28:29]
	v_lshlrev_b32_e32 v4, 1, v26
	s_movk_i32 s28, 0x780
	v_and_or_b32 v4, v4, s28, v16
	v_lshlrev_b32_e32 v14, 1, v4
	v_add_co_u32_e64 v38, s[28:29], v12, v14
	v_addc_co_u32_e64 v39, s[28:29], 0, v13, s[28:29]
	v_lshrrev_b32_e32 v65, 6, v22
	v_cmp_lt_u32_e64 s[12:13], 31, v17
	v_cmp_gt_u32_e64 s[16:17], 4, v26
	v_cmp_lt_u32_e64 s[18:19], 63, v26
	v_cmp_eq_u32_e64 s[20:21], 0, v17
	v_cmp_eq_u32_e64 s[22:23], 0, v26
	v_mad_u64_u32 v[48:49], s[28:29], v4, 6, v[38:39]
	v_sub_u32_e32 v67, v11, v10
	s_mov_b64 s[36:37], 0
	s_movk_i32 s43, 0x7fff
	v_mov_b32_e32 v14, v5
	v_mov_b32_e32 v15, v5
	;; [unrolled: 1-line block ×4, first 2 shown]
	s_waitcnt lgkmcnt(0)
	s_barrier
	s_branch .LBB2049_152
.LBB2049_151:                           ;   in Loop: Header=BB2049_152 Depth=1
	s_or_b64 exec, exec, s[30:31]
	s_and_b64 s[28:29], exec, s[40:41]
	s_or_b64 s[36:37], s[28:29], s[36:37]
	s_andn2_b64 exec, exec, s[36:37]
	s_cbranch_execz .LBB2049_170
.LBB2049_152:                           ; =>This Inner Loop Header: Depth=1
	s_waitcnt vmcnt(0)
	v_mov_b32_e32 v69, v51
	v_min_u32_e32 v4, s42, v67
	v_lshlrev_b32_e64 v4, v4, -1
	v_cmp_ne_u16_e64 s[28:29], s43, v69
	v_pk_mov_b32 v[34:35], v[20:21], v[20:21] op_sel:[0,1]
	v_not_b32_e32 v20, v4
	v_cndmask_b32_e64 v4, v23, v69, s[28:29]
	v_lshrrev_b32_sdwa v4, v10, v4 dst_sel:DWORD dst_unused:UNUSED_PAD src0_sel:DWORD src1_sel:WORD_0
	v_and_b32_e32 v4, v4, v20
	v_pk_mov_b32 v[36:37], v[18:19], v[18:19] op_sel:[0,1]
	v_lshlrev_b32_e32 v18, 2, v4
	v_add_lshl_u32 v18, v18, v65, 2
	v_add_co_u32_e64 v50, s[28:29], v27, v18
	v_addc_co_u32_e64 v51, s[28:29], 0, v64, s[28:29]
	v_and_b32_e32 v18, 1, v4
	v_add_co_u32_e64 v19, s[28:29], -1, v18
	v_addc_co_u32_e64 v21, s[28:29], 0, -1, s[28:29]
	v_cmp_ne_u32_e64 s[28:29], 0, v18
	v_xor_b32_e32 v18, s29, v21
	v_xor_b32_e32 v19, s28, v19
	v_and_b32_e32 v21, exec_hi, v18
	v_and_b32_e32 v52, exec_lo, v19
	v_lshlrev_b32_e32 v19, 30, v4
	v_mov_b32_e32 v18, v5
	v_cmp_gt_i64_e64 s[28:29], 0, v[18:19]
	v_not_b32_e32 v18, v19
	v_ashrrev_i32_e32 v18, 31, v18
	v_xor_b32_e32 v19, s29, v18
	v_xor_b32_e32 v18, s28, v18
	v_and_b32_e32 v21, v21, v19
	v_and_b32_e32 v52, v52, v18
	v_lshlrev_b32_e32 v19, 29, v4
	v_mov_b32_e32 v18, v5
	v_cmp_gt_i64_e64 s[28:29], 0, v[18:19]
	v_not_b32_e32 v18, v19
	v_ashrrev_i32_e32 v18, 31, v18
	v_xor_b32_e32 v19, s29, v18
	v_xor_b32_e32 v18, s28, v18
	v_and_b32_e32 v21, v21, v19
	v_and_b32_e32 v52, v52, v18
	;; [unrolled: 9-line block ×5, first 2 shown]
	v_lshlrev_b32_e32 v19, 25, v4
	v_mov_b32_e32 v18, v5
	v_cmp_gt_i64_e64 s[28:29], 0, v[18:19]
	v_not_b32_e32 v18, v19
	v_ashrrev_i32_e32 v18, 31, v18
	v_xor_b32_e32 v19, s29, v18
	v_xor_b32_e32 v18, s28, v18
	v_and_b32_e32 v21, v21, v19
	v_lshlrev_b32_e32 v19, 24, v4
	v_and_b32_e32 v52, v52, v18
	v_mov_b32_e32 v18, v5
	v_not_b32_e32 v4, v19
	v_cmp_gt_i64_e64 s[28:29], 0, v[18:19]
	v_ashrrev_i32_e32 v4, 31, v4
	v_xor_b32_e32 v18, s29, v4
	v_xor_b32_e32 v4, s28, v4
	v_and_b32_e32 v19, v21, v18
	v_and_b32_e32 v18, v52, v4
	v_mbcnt_lo_u32_b32 v4, v18, 0
	v_mbcnt_hi_u32_b32 v4, v19, v4
	v_cmp_eq_u32_e64 s[28:29], 0, v4
	v_cmp_ne_u64_e64 s[30:31], 0, v[18:19]
	v_mov_b32_e32 v68, v70
	s_and_b64 s[30:31], s[30:31], s[28:29]
	flat_store_dwordx4 v[8:9], v[14:17] offset:16
	s_waitcnt lgkmcnt(0)
	s_barrier
	s_waitcnt lgkmcnt(0)
	; wave barrier
	s_and_saveexec_b64 s[28:29], s[30:31]
	s_cbranch_execz .LBB2049_154
; %bb.153:                              ;   in Loop: Header=BB2049_152 Depth=1
	v_bcnt_u32_b32 v18, v18, 0
	v_bcnt_u32_b32 v18, v19, v18
	flat_store_dword v[50:51], v18
.LBB2049_154:                           ;   in Loop: Header=BB2049_152 Depth=1
	s_or_b64 exec, exec, s[28:29]
	v_cmp_ne_u16_e64 s[28:29], s43, v68
	v_cndmask_b32_e64 v18, v23, v68, s[28:29]
	v_lshrrev_b32_sdwa v18, v10, v18 dst_sel:DWORD dst_unused:UNUSED_PAD src0_sel:DWORD src1_sel:WORD_0
	v_and_b32_e32 v20, v18, v20
	v_lshlrev_b32_e32 v18, 2, v20
	v_add_lshl_u32 v18, v18, v65, 2
	v_add_co_u32_e64 v52, s[28:29], v27, v18
	v_addc_co_u32_e64 v53, s[28:29], 0, v64, s[28:29]
	; wave barrier
	flat_load_dword v54, v[52:53]
	v_and_b32_e32 v18, 1, v20
	v_add_co_u32_e64 v19, s[28:29], -1, v18
	v_addc_co_u32_e64 v21, s[28:29], 0, -1, s[28:29]
	v_cmp_ne_u32_e64 s[28:29], 0, v18
	v_xor_b32_e32 v18, s29, v21
	v_xor_b32_e32 v19, s28, v19
	v_and_b32_e32 v21, exec_hi, v18
	v_and_b32_e32 v55, exec_lo, v19
	v_lshlrev_b32_e32 v19, 30, v20
	v_mov_b32_e32 v18, v5
	v_cmp_gt_i64_e64 s[28:29], 0, v[18:19]
	v_not_b32_e32 v18, v19
	v_ashrrev_i32_e32 v18, 31, v18
	v_xor_b32_e32 v19, s29, v18
	v_xor_b32_e32 v18, s28, v18
	v_and_b32_e32 v21, v21, v19
	v_and_b32_e32 v55, v55, v18
	v_lshlrev_b32_e32 v19, 29, v20
	v_mov_b32_e32 v18, v5
	v_cmp_gt_i64_e64 s[28:29], 0, v[18:19]
	v_not_b32_e32 v18, v19
	v_ashrrev_i32_e32 v18, 31, v18
	v_xor_b32_e32 v19, s29, v18
	v_xor_b32_e32 v18, s28, v18
	v_and_b32_e32 v21, v21, v19
	v_and_b32_e32 v55, v55, v18
	;; [unrolled: 9-line block ×7, first 2 shown]
	v_mbcnt_lo_u32_b32 v20, v18, 0
	v_mbcnt_hi_u32_b32 v55, v19, v20
	v_cmp_eq_u32_e64 s[28:29], 0, v55
	v_cmp_ne_u64_e64 s[30:31], 0, v[18:19]
	s_and_b64 s[30:31], s[30:31], s[28:29]
	; wave barrier
	s_and_saveexec_b64 s[28:29], s[30:31]
	s_cbranch_execz .LBB2049_156
; %bb.155:                              ;   in Loop: Header=BB2049_152 Depth=1
	v_bcnt_u32_b32 v18, v18, 0
	v_bcnt_u32_b32 v18, v19, v18
	s_waitcnt vmcnt(0) lgkmcnt(0)
	v_add_u32_e32 v18, v54, v18
	flat_store_dword v[52:53], v18
.LBB2049_156:                           ;   in Loop: Header=BB2049_152 Depth=1
	s_or_b64 exec, exec, s[28:29]
	; wave barrier
	s_waitcnt lgkmcnt(0)
	s_barrier
	flat_load_dwordx4 v[18:21], v[8:9] offset:16
	s_waitcnt vmcnt(0) lgkmcnt(0)
	v_add_u32_e32 v70, v19, v18
	v_add3_u32 v21, v70, v20, v21
	s_nop 1
	v_mov_b32_dpp v70, v21 row_shr:1 row_mask:0xf bank_mask:0xf
	v_cndmask_b32_e64 v70, v70, 0, vcc
	v_add_u32_e32 v21, v70, v21
	s_nop 1
	v_mov_b32_dpp v70, v21 row_shr:2 row_mask:0xf bank_mask:0xf
	v_cndmask_b32_e64 v70, 0, v70, s[4:5]
	v_add_u32_e32 v21, v21, v70
	s_nop 1
	v_mov_b32_dpp v70, v21 row_shr:4 row_mask:0xf bank_mask:0xf
	v_cndmask_b32_e64 v70, 0, v70, s[6:7]
	;; [unrolled: 4-line block ×3, first 2 shown]
	v_add_u32_e32 v21, v21, v70
	s_nop 1
	v_mov_b32_dpp v70, v21 row_bcast:15 row_mask:0xf bank_mask:0xf
	v_cndmask_b32_e64 v70, v70, 0, s[10:11]
	v_add_u32_e32 v21, v21, v70
	s_nop 1
	v_mov_b32_dpp v70, v21 row_bcast:31 row_mask:0xf bank_mask:0xf
	v_cndmask_b32_e64 v70, 0, v70, s[12:13]
	v_add_u32_e32 v21, v21, v70
	s_and_saveexec_b64 s[28:29], s[14:15]
	s_cbranch_execz .LBB2049_158
; %bb.157:                              ;   in Loop: Header=BB2049_152 Depth=1
	flat_store_dword v[28:29], v21
.LBB2049_158:                           ;   in Loop: Header=BB2049_152 Depth=1
	s_or_b64 exec, exec, s[28:29]
	s_waitcnt lgkmcnt(0)
	s_barrier
	s_and_saveexec_b64 s[28:29], s[16:17]
	s_cbranch_execz .LBB2049_160
; %bb.159:                              ;   in Loop: Header=BB2049_152 Depth=1
	flat_load_dword v70, v[30:31]
	s_waitcnt vmcnt(0) lgkmcnt(0)
	s_nop 0
	v_mov_b32_dpp v71, v70 row_shr:1 row_mask:0xf bank_mask:0xf
	v_cndmask_b32_e64 v71, v71, 0, s[24:25]
	v_add_u32_e32 v70, v71, v70
	s_nop 1
	v_mov_b32_dpp v71, v70 row_shr:2 row_mask:0xf bank_mask:0xf
	v_cndmask_b32_e64 v71, 0, v71, s[26:27]
	v_add_u32_e32 v70, v70, v71
	flat_store_dword v[30:31], v70
.LBB2049_160:                           ;   in Loop: Header=BB2049_152 Depth=1
	s_or_b64 exec, exec, s[28:29]
	v_mov_b32_e32 v70, 0
	s_waitcnt lgkmcnt(0)
	s_barrier
	s_and_saveexec_b64 s[28:29], s[18:19]
	s_cbranch_execz .LBB2049_162
; %bb.161:                              ;   in Loop: Header=BB2049_152 Depth=1
	flat_load_dword v70, v[32:33]
.LBB2049_162:                           ;   in Loop: Header=BB2049_152 Depth=1
	s_or_b64 exec, exec, s[28:29]
	s_waitcnt vmcnt(0) lgkmcnt(0)
	v_add_u32_e32 v21, v70, v21
	ds_bpermute_b32 v21, v66, v21
	v_add_u32_e32 v10, 8, v10
	v_cmp_lt_u32_e64 s[28:29], v10, v11
	s_mov_b64 s[40:41], -1
	s_waitcnt lgkmcnt(0)
	v_cndmask_b32_e64 v21, v21, v70, s[20:21]
	v_cndmask_b32_e64 v80, v21, 0, s[22:23]
	v_add_u32_e32 v81, v80, v18
	v_add_u32_e32 v82, v81, v19
	;; [unrolled: 1-line block ×3, first 2 shown]
	flat_store_dwordx4 v[8:9], v[80:83] offset:16
	s_waitcnt lgkmcnt(0)
	s_barrier
	flat_load_dword v18, v[50:51]
	flat_load_dword v19, v[52:53]
	v_mov_b32_e32 v51, v5
	s_waitcnt lgkmcnt(0)
                                        ; implicit-def: $vgpr70
	s_waitcnt vmcnt(0) lgkmcnt(0)
	v_add_u32_e32 v4, v18, v4
	v_add3_u32 v50, v55, v54, v19
	v_lshlrev_b64 v[18:19], 1, v[4:5]
	v_add_co_u32_e64 v52, s[30:31], v12, v18
	v_lshlrev_b64 v[20:21], 1, v[50:51]
	v_addc_co_u32_e64 v53, s[30:31], v13, v19, s[30:31]
	v_add_co_u32_e64 v54, s[30:31], v12, v20
	v_addc_co_u32_e64 v55, s[30:31], v13, v21, s[30:31]
                                        ; implicit-def: $vgpr20_vgpr21
                                        ; implicit-def: $vgpr18_vgpr19
                                        ; implicit-def: $vgpr51
	s_and_saveexec_b64 s[30:31], s[28:29]
	s_cbranch_execz .LBB2049_151
; %bb.163:                              ;   in Loop: Header=BB2049_152 Depth=1
	v_mad_u64_u32 v[18:19], s[28:29], v4, 6, v[52:53]
	s_barrier
	flat_store_short v[52:53], v69
	flat_store_short v[54:55], v68
	s_waitcnt lgkmcnt(0)
	s_barrier
	flat_load_ushort v51, v[38:39]
	flat_load_ushort v70, v[38:39] offset:128
	s_waitcnt lgkmcnt(0)
	s_barrier
	flat_store_dwordx2 v[18:19], v[36:37]
	v_mad_u64_u32 v[18:19], s[28:29], v50, 6, v[54:55]
	flat_store_dwordx2 v[18:19], v[34:35]
	s_waitcnt lgkmcnt(0)
	s_barrier
	flat_load_dwordx2 v[18:19], v[48:49]
	flat_load_dwordx2 v[20:21], v[48:49] offset:512
	v_add_u32_e32 v67, -8, v67
	s_xor_b64 s[40:41], exec, -1
	s_waitcnt lgkmcnt(0)
	s_barrier
	s_branch .LBB2049_151
.LBB2049_164:
	flat_load_dwordx2 v[22:23], v[4:5]
	s_or_b64 exec, exec, s[14:15]
	s_and_saveexec_b64 s[10:11], s[6:7]
	s_cbranch_execz .LBB2049_91
.LBB2049_165:
	flat_load_dwordx2 v[24:25], v[4:5] offset:512
	s_or_b64 exec, exec, s[10:11]
	s_and_saveexec_b64 s[6:7], s[4:5]
	s_cbranch_execz .LBB2049_92
.LBB2049_166:
	flat_load_dwordx2 v[26:27], v[4:5] offset:1024
	s_or_b64 exec, exec, s[6:7]
	s_and_saveexec_b64 s[4:5], vcc
	s_cbranch_execnz .LBB2049_93
	s_branch .LBB2049_94
.LBB2049_167:
	s_waitcnt vmcnt(0)
	flat_store_dwordx2 v[0:1], v[14:15]
	s_or_b64 exec, exec, s[14:15]
	s_and_saveexec_b64 s[14:15], s[4:5]
	s_cbranch_execz .LBB2049_136
.LBB2049_168:
	s_waitcnt vmcnt(0)
	flat_store_dwordx2 v[0:1], v[12:13] offset:2048
	s_or_b64 exec, exec, s[14:15]
	s_and_saveexec_b64 s[4:5], s[6:7]
	s_cbranch_execz .LBB2049_137
.LBB2049_169:
	v_add_co_u32_e32 v2, vcc, 0x1000, v0
	v_addc_co_u32_e32 v3, vcc, 0, v1, vcc
	s_waitcnt vmcnt(0)
	flat_store_dwordx2 v[2:3], v[10:11]
	s_or_b64 exec, exec, s[4:5]
	s_and_saveexec_b64 s[4:5], s[10:11]
	s_cbranch_execnz .LBB2049_138
	s_branch .LBB2049_139
.LBB2049_170:
	s_or_b64 exec, exec, s[36:37]
	v_lshlrev_b32_e32 v5, 1, v26
	v_add_co_u32_e32 v8, vcc, v12, v5
	v_addc_co_u32_e32 v9, vcc, 0, v13, vcc
	v_mad_u64_u32 v[4:5], s[4:5], v4, 6, v[52:53]
	s_barrier
	flat_store_short v[52:53], v69
	flat_store_short v[54:55], v68
	s_waitcnt lgkmcnt(0)
	s_barrier
	flat_load_ushort v11, v[8:9]
	flat_load_ushort v10, v[8:9] offset:512
	s_waitcnt lgkmcnt(0)
	s_barrier
	flat_store_dwordx2 v[4:5], v[36:37]
	v_mad_u64_u32 v[4:5], s[4:5], v50, 6, v[54:55]
	v_mad_u64_u32 v[12:13], s[4:5], v26, 6, v[8:9]
	flat_store_dwordx2 v[4:5], v[34:35]
	s_waitcnt lgkmcnt(0)
	s_barrier
	flat_load_dwordx2 v[8:9], v[12:13]
	flat_load_dwordx2 v[4:5], v[12:13] offset:2048
	v_mov_b32_e32 v23, 0
	v_add_co_u32_e32 v12, vcc, v2, v24
	v_addc_co_u32_e32 v13, vcc, v3, v25, vcc
	v_lshlrev_b64 v[2:3], 1, v[22:23]
	v_add_co_u32_e32 v2, vcc, v12, v2
	v_addc_co_u32_e32 v3, vcc, v13, v3, vcc
	v_cmp_lt_u32_e32 vcc, v22, v148
	s_waitcnt lgkmcnt(0)
	s_barrier
	s_and_saveexec_b64 s[6:7], vcc
	s_cbranch_execz .LBB2049_172
; %bb.171:
	v_mov_b32_e32 v12, 0xffff8000
	s_waitcnt vmcnt(0)
	v_cmp_lt_i16_e64 s[4:5], -1, v11
	v_cndmask_b32_e64 v12, v12, -1, s[4:5]
	v_xor_b32_e32 v11, v12, v11
	flat_store_short v[2:3], v11
.LBB2049_172:
	s_or_b64 exec, exec, s[6:7]
	s_waitcnt vmcnt(0)
	v_add_u32_e32 v11, 0x100, v22
	v_cmp_lt_u32_e64 s[4:5], v11, v148
	s_and_saveexec_b64 s[8:9], s[4:5]
	s_cbranch_execz .LBB2049_174
; %bb.173:
	v_mov_b32_e32 v11, 0xffff8000
	v_cmp_lt_i16_e64 s[6:7], -1, v10
	v_cndmask_b32_e64 v11, v11, -1, s[6:7]
	v_xor_b32_e32 v10, v11, v10
	flat_store_short v[2:3], v10 offset:512
.LBB2049_174:
	s_or_b64 exec, exec, s[8:9]
	v_add_co_u32_e64 v2, s[6:7], v6, v0
	v_addc_co_u32_e64 v3, s[6:7], v7, v1, s[6:7]
	v_lshlrev_b64 v[0:1], 3, v[22:23]
	v_add_co_u32_e64 v0, s[6:7], v2, v0
	v_addc_co_u32_e64 v1, s[6:7], v3, v1, s[6:7]
	s_and_saveexec_b64 s[6:7], vcc
	s_cbranch_execz .LBB2049_176
; %bb.175:
	flat_store_dwordx2 v[0:1], v[8:9]
.LBB2049_176:
	s_or_b64 exec, exec, s[6:7]
	s_and_saveexec_b64 s[6:7], s[4:5]
	s_cbranch_execz .LBB2049_178
; %bb.177:
	flat_store_dwordx2 v[0:1], v[4:5] offset:2048
.LBB2049_178:
	s_or_b64 exec, exec, s[6:7]
                                        ; implicit-def: $vgpr26
                                        ; implicit-def: $vgpr22_vgpr23
                                        ; implicit-def: $vgpr8_vgpr9
                                        ; implicit-def: $vgpr24_vgpr25
                                        ; implicit-def: $vgpr148
                                        ; implicit-def: $vgpr0
                                        ; implicit-def: $vgpr1
                                        ; implicit-def: $vgpr2
                                        ; implicit-def: $vgpr3
                                        ; implicit-def: $vgpr4
                                        ; implicit-def: $vgpr5
                                        ; implicit-def: $vgpr6
                                        ; implicit-def: $vgpr7
                                        ; implicit-def: $vgpr10
                                        ; implicit-def: $vgpr11
                                        ; implicit-def: $vgpr12
                                        ; implicit-def: $vgpr13
                                        ; implicit-def: $vgpr14
.LBB2049_179:
	s_andn2_saveexec_b64 s[4:5], s[34:35]
	s_cbranch_execz .LBB2049_199
; %bb.180:
	v_mbcnt_hi_u32_b32 v17, -1, v14
	v_bfi_b32 v15, 63, v17, v22
	v_and_b32_e32 v16, 63, v17
	v_and_b32_e32 v14, 0xffffffc0, v22
	v_cmp_lt_u32_e32 vcc, v15, v148
	v_mov_b32_e32 v20, 0x7fff
	s_and_saveexec_b64 s[6:7], vcc
	s_cbranch_execz .LBB2049_182
; %bb.181:
	v_add_co_u32_e64 v0, s[4:5], v0, v24
	v_addc_co_u32_e64 v1, s[4:5], v1, v25, s[4:5]
	v_lshlrev_b32_e32 v18, 1, v16
	v_mov_b32_e32 v15, 0
	v_add_co_u32_e64 v18, s[4:5], v0, v18
	v_addc_co_u32_e64 v19, s[4:5], 0, v1, s[4:5]
	v_lshlrev_b64 v[0:1], 1, v[14:15]
	v_add_co_u32_e64 v0, s[4:5], v18, v0
	v_addc_co_u32_e64 v1, s[4:5], v19, v1, s[4:5]
	flat_load_ushort v20, v[0:1]
.LBB2049_182:
	s_or_b64 exec, exec, s[6:7]
	v_lshlrev_b64 v[0:1], 3, v[8:9]
                                        ; implicit-def: $vgpr18_vgpr19
	s_and_saveexec_b64 s[4:5], vcc
	s_cbranch_execz .LBB2049_184
; %bb.183:
	v_add_co_u32_e32 v4, vcc, v4, v0
	v_addc_co_u32_e32 v5, vcc, v5, v1, vcc
	v_lshlrev_b32_e32 v8, 3, v16
	v_mov_b32_e32 v15, 0
	v_add_co_u32_e32 v8, vcc, v4, v8
	v_addc_co_u32_e32 v9, vcc, 0, v5, vcc
	v_lshlrev_b64 v[4:5], 3, v[14:15]
	v_add_co_u32_e32 v4, vcc, v8, v4
	v_addc_co_u32_e32 v5, vcc, v9, v5, vcc
	flat_load_dwordx2 v[18:19], v[4:5]
.LBB2049_184:
	s_or_b64 exec, exec, s[4:5]
	v_mov_b32_e32 v23, 0xffff8000
	s_waitcnt vmcnt(0) lgkmcnt(0)
	v_cmp_lt_i16_e32 vcc, -1, v20
	v_cndmask_b32_e32 v4, -1, v23, vcc
	v_xor_b32_e32 v48, v4, v20
	v_add_co_u32_e32 v27, vcc, 16, v12
	v_and_b32_e32 v20, 0x3c0, v26
	v_addc_co_u32_e32 v50, vcc, 0, v13, vcc
	v_lshlrev_b32_e32 v8, 4, v26
	v_min_u32_e32 v15, 0xc0, v20
	v_add_co_u32_e32 v8, vcc, v12, v8
	v_or_b32_e32 v15, 63, v15
	s_getpc_b64 s[4:5]
	s_add_u32 s4, s4, _ZN7rocprim17ROCPRIM_400000_NS16block_radix_sortI12hip_bfloat16Lj256ELj1ElLj1ELj1ELj8ELNS0_26block_radix_rank_algorithmE2ELNS0_18block_padding_hintE2ELNS0_4arch9wavefront6targetE1EE19radix_bits_per_passE@rel32@lo+4
	s_addc_u32 s5, s5, _ZN7rocprim17ROCPRIM_400000_NS16block_radix_sortI12hip_bfloat16Lj256ELj1ElLj1ELj1ELj8ELNS0_26block_radix_rank_algorithmE2ELNS0_18block_padding_hintE2ELNS0_4arch9wavefront6targetE1EE19radix_bits_per_passE@rel32@hi+12
	v_addc_co_u32_e32 v9, vcc, 0, v13, vcc
	v_and_b32_e32 v14, 15, v17
	v_cmp_eq_u32_e64 s[14:15], v15, v26
	v_add_u32_e32 v15, -1, v17
	v_and_b32_e32 v21, 64, v17
	s_load_dword s40, s[4:5], 0x0
	v_cmp_eq_u32_e32 vcc, 0, v14
	v_cmp_lt_u32_e64 s[4:5], 1, v14
	v_cmp_lt_u32_e64 s[6:7], 3, v14
	;; [unrolled: 1-line block ×3, first 2 shown]
	v_and_b32_e32 v14, 16, v17
	v_cmp_lt_i32_e64 s[20:21], v15, v21
	v_cmp_eq_u32_e64 s[10:11], 0, v14
	v_lshrrev_b32_e32 v14, 6, v26
	v_cndmask_b32_e64 v15, v15, v17, s[20:21]
	v_lshlrev_b32_e32 v52, 2, v15
	v_lshlrev_b32_e32 v15, 2, v14
	v_add_co_u32_e64 v28, s[24:25], v12, v15
	v_lshlrev_b32_e32 v4, 2, v26
	v_addc_co_u32_e64 v29, s[24:25], 0, v13, s[24:25]
	v_add_co_u32_e64 v30, s[24:25], v12, v4
	v_addc_co_u32_e64 v31, s[24:25], 0, v13, s[24:25]
	v_and_b32_e32 v4, 3, v17
	v_mov_b32_e32 v5, 0
	v_cmp_eq_u32_e64 s[24:25], 0, v4
	v_cmp_lt_u32_e64 s[26:27], 1, v4
	v_add_u32_e32 v4, -1, v14
	v_lshlrev_b64 v[14:15], 2, v[4:5]
	v_add_co_u32_e64 v32, s[28:29], v12, v14
	v_or_b32_e32 v4, v16, v20
	v_addc_co_u32_e64 v33, s[28:29], v13, v15, s[28:29]
	v_lshlrev_b32_e32 v14, 1, v4
	v_add_co_u32_e64 v36, s[28:29], v12, v14
	v_addc_co_u32_e64 v37, s[28:29], 0, v13, s[28:29]
	v_lshrrev_b32_e32 v51, 6, v22
	v_cmp_lt_u32_e64 s[12:13], 31, v17
	v_cmp_gt_u32_e64 s[16:17], 4, v26
	v_cmp_lt_u32_e64 s[18:19], 63, v26
	v_cmp_eq_u32_e64 s[20:21], 0, v17
	v_cmp_eq_u32_e64 s[22:23], 0, v26
	v_mad_u64_u32 v[38:39], s[28:29], v4, 6, v[36:37]
	v_sub_u32_e32 v53, v11, v10
	s_mov_b64 s[34:35], 0
	s_movk_i32 s41, 0x7fff
	v_mov_b32_e32 v14, v5
	v_mov_b32_e32 v15, v5
	;; [unrolled: 1-line block ×4, first 2 shown]
	s_waitcnt lgkmcnt(0)
	s_barrier
	s_branch .LBB2049_186
.LBB2049_185:                           ;   in Loop: Header=BB2049_186 Depth=1
	s_or_b64 exec, exec, s[30:31]
	s_and_b64 s[28:29], exec, s[36:37]
	s_or_b64 s[34:35], s[28:29], s[34:35]
	s_andn2_b64 exec, exec, s[34:35]
	s_cbranch_execz .LBB2049_196
.LBB2049_186:                           ; =>This Inner Loop Header: Depth=1
	s_waitcnt vmcnt(0)
	v_mov_b32_e32 v54, v48
	v_cmp_ne_u16_e64 s[28:29], s41, v54
	v_pk_mov_b32 v[34:35], v[18:19], v[18:19] op_sel:[0,1]
	v_cndmask_b32_e64 v18, v23, v54, s[28:29]
	v_min_u32_e32 v4, s40, v53
	v_lshrrev_b32_sdwa v18, v10, v18 dst_sel:DWORD dst_unused:UNUSED_PAD src0_sel:DWORD src1_sel:WORD_0
	v_bfe_u32 v4, v18, 0, v4
	v_lshlrev_b32_e32 v18, 2, v4
	v_add_lshl_u32 v18, v18, v51, 2
	v_add_co_u32_e64 v48, s[28:29], v27, v18
	v_addc_co_u32_e64 v49, s[28:29], 0, v50, s[28:29]
	v_and_b32_e32 v18, 1, v4
	v_add_co_u32_e64 v19, s[28:29], -1, v18
	v_addc_co_u32_e64 v20, s[28:29], 0, -1, s[28:29]
	v_cmp_ne_u32_e64 s[28:29], 0, v18
	v_xor_b32_e32 v18, s29, v20
	v_xor_b32_e32 v19, s28, v19
	v_and_b32_e32 v20, exec_hi, v18
	v_and_b32_e32 v21, exec_lo, v19
	v_lshlrev_b32_e32 v19, 30, v4
	v_mov_b32_e32 v18, v5
	v_cmp_gt_i64_e64 s[28:29], 0, v[18:19]
	v_not_b32_e32 v18, v19
	v_ashrrev_i32_e32 v18, 31, v18
	v_xor_b32_e32 v19, s29, v18
	v_xor_b32_e32 v18, s28, v18
	v_and_b32_e32 v20, v20, v19
	v_and_b32_e32 v21, v21, v18
	v_lshlrev_b32_e32 v19, 29, v4
	v_mov_b32_e32 v18, v5
	v_cmp_gt_i64_e64 s[28:29], 0, v[18:19]
	v_not_b32_e32 v18, v19
	v_ashrrev_i32_e32 v18, 31, v18
	v_xor_b32_e32 v19, s29, v18
	v_xor_b32_e32 v18, s28, v18
	v_and_b32_e32 v20, v20, v19
	v_and_b32_e32 v21, v21, v18
	v_lshlrev_b32_e32 v19, 28, v4
	v_mov_b32_e32 v18, v5
	v_cmp_gt_i64_e64 s[28:29], 0, v[18:19]
	v_not_b32_e32 v18, v19
	v_ashrrev_i32_e32 v18, 31, v18
	v_xor_b32_e32 v19, s29, v18
	v_xor_b32_e32 v18, s28, v18
	v_and_b32_e32 v20, v20, v19
	v_and_b32_e32 v21, v21, v18
	v_lshlrev_b32_e32 v19, 27, v4
	v_mov_b32_e32 v18, v5
	v_cmp_gt_i64_e64 s[28:29], 0, v[18:19]
	v_not_b32_e32 v18, v19
	v_ashrrev_i32_e32 v18, 31, v18
	v_xor_b32_e32 v19, s29, v18
	v_xor_b32_e32 v18, s28, v18
	v_and_b32_e32 v20, v20, v19
	v_and_b32_e32 v21, v21, v18
	v_lshlrev_b32_e32 v19, 26, v4
	v_mov_b32_e32 v18, v5
	v_cmp_gt_i64_e64 s[28:29], 0, v[18:19]
	v_not_b32_e32 v18, v19
	v_ashrrev_i32_e32 v18, 31, v18
	v_xor_b32_e32 v19, s29, v18
	v_xor_b32_e32 v18, s28, v18
	v_and_b32_e32 v20, v20, v19
	v_and_b32_e32 v21, v21, v18
	v_lshlrev_b32_e32 v19, 25, v4
	v_mov_b32_e32 v18, v5
	v_cmp_gt_i64_e64 s[28:29], 0, v[18:19]
	v_not_b32_e32 v18, v19
	v_ashrrev_i32_e32 v18, 31, v18
	v_xor_b32_e32 v19, s29, v18
	v_xor_b32_e32 v18, s28, v18
	v_and_b32_e32 v20, v20, v19
	v_lshlrev_b32_e32 v19, 24, v4
	v_and_b32_e32 v21, v21, v18
	v_mov_b32_e32 v18, v5
	v_not_b32_e32 v4, v19
	v_cmp_gt_i64_e64 s[28:29], 0, v[18:19]
	v_ashrrev_i32_e32 v4, 31, v4
	v_xor_b32_e32 v18, s29, v4
	v_xor_b32_e32 v4, s28, v4
	v_and_b32_e32 v19, v20, v18
	v_and_b32_e32 v18, v21, v4
	v_mbcnt_lo_u32_b32 v4, v18, 0
	v_mbcnt_hi_u32_b32 v4, v19, v4
	v_cmp_eq_u32_e64 s[28:29], 0, v4
	v_cmp_ne_u64_e64 s[30:31], 0, v[18:19]
	s_and_b64 s[30:31], s[30:31], s[28:29]
	flat_store_dwordx4 v[8:9], v[14:17] offset:16
	s_waitcnt lgkmcnt(0)
	s_barrier
	s_waitcnt lgkmcnt(0)
	; wave barrier
	s_and_saveexec_b64 s[28:29], s[30:31]
	s_cbranch_execz .LBB2049_188
; %bb.187:                              ;   in Loop: Header=BB2049_186 Depth=1
	v_bcnt_u32_b32 v18, v18, 0
	v_bcnt_u32_b32 v18, v19, v18
	flat_store_dword v[48:49], v18
.LBB2049_188:                           ;   in Loop: Header=BB2049_186 Depth=1
	s_or_b64 exec, exec, s[28:29]
	; wave barrier
	s_waitcnt lgkmcnt(0)
	s_barrier
	flat_load_dwordx4 v[18:21], v[8:9] offset:16
	s_waitcnt vmcnt(0) lgkmcnt(0)
	v_add_u32_e32 v55, v19, v18
	v_add3_u32 v21, v55, v20, v21
	s_nop 1
	v_mov_b32_dpp v55, v21 row_shr:1 row_mask:0xf bank_mask:0xf
	v_cndmask_b32_e64 v55, v55, 0, vcc
	v_add_u32_e32 v21, v55, v21
	s_nop 1
	v_mov_b32_dpp v55, v21 row_shr:2 row_mask:0xf bank_mask:0xf
	v_cndmask_b32_e64 v55, 0, v55, s[4:5]
	v_add_u32_e32 v21, v21, v55
	s_nop 1
	v_mov_b32_dpp v55, v21 row_shr:4 row_mask:0xf bank_mask:0xf
	v_cndmask_b32_e64 v55, 0, v55, s[6:7]
	;; [unrolled: 4-line block ×3, first 2 shown]
	v_add_u32_e32 v21, v21, v55
	s_nop 1
	v_mov_b32_dpp v55, v21 row_bcast:15 row_mask:0xf bank_mask:0xf
	v_cndmask_b32_e64 v55, v55, 0, s[10:11]
	v_add_u32_e32 v21, v21, v55
	s_nop 1
	v_mov_b32_dpp v55, v21 row_bcast:31 row_mask:0xf bank_mask:0xf
	v_cndmask_b32_e64 v55, 0, v55, s[12:13]
	v_add_u32_e32 v21, v21, v55
	s_and_saveexec_b64 s[28:29], s[14:15]
	s_cbranch_execz .LBB2049_190
; %bb.189:                              ;   in Loop: Header=BB2049_186 Depth=1
	flat_store_dword v[28:29], v21
.LBB2049_190:                           ;   in Loop: Header=BB2049_186 Depth=1
	s_or_b64 exec, exec, s[28:29]
	s_waitcnt lgkmcnt(0)
	s_barrier
	s_and_saveexec_b64 s[28:29], s[16:17]
	s_cbranch_execz .LBB2049_192
; %bb.191:                              ;   in Loop: Header=BB2049_186 Depth=1
	flat_load_dword v55, v[30:31]
	s_waitcnt vmcnt(0) lgkmcnt(0)
	s_nop 0
	v_mov_b32_dpp v64, v55 row_shr:1 row_mask:0xf bank_mask:0xf
	v_cndmask_b32_e64 v64, v64, 0, s[24:25]
	v_add_u32_e32 v55, v64, v55
	s_nop 1
	v_mov_b32_dpp v64, v55 row_shr:2 row_mask:0xf bank_mask:0xf
	v_cndmask_b32_e64 v64, 0, v64, s[26:27]
	v_add_u32_e32 v55, v55, v64
	flat_store_dword v[30:31], v55
.LBB2049_192:                           ;   in Loop: Header=BB2049_186 Depth=1
	s_or_b64 exec, exec, s[28:29]
	v_mov_b32_e32 v55, 0
	s_waitcnt lgkmcnt(0)
	s_barrier
	s_and_saveexec_b64 s[28:29], s[18:19]
	s_cbranch_execz .LBB2049_194
; %bb.193:                              ;   in Loop: Header=BB2049_186 Depth=1
	flat_load_dword v55, v[32:33]
.LBB2049_194:                           ;   in Loop: Header=BB2049_186 Depth=1
	s_or_b64 exec, exec, s[28:29]
	s_waitcnt vmcnt(0) lgkmcnt(0)
	v_add_u32_e32 v21, v55, v21
	ds_bpermute_b32 v21, v52, v21
	v_add_u32_e32 v10, 8, v10
	v_cmp_lt_u32_e64 s[28:29], v10, v11
	s_mov_b64 s[36:37], -1
	s_waitcnt lgkmcnt(0)
	v_cndmask_b32_e64 v21, v21, v55, s[20:21]
	v_cndmask_b32_e64 v64, v21, 0, s[22:23]
	v_add_u32_e32 v65, v64, v18
	v_add_u32_e32 v66, v65, v19
	;; [unrolled: 1-line block ×3, first 2 shown]
	flat_store_dwordx4 v[8:9], v[64:67] offset:16
	s_waitcnt lgkmcnt(0)
	s_barrier
	flat_load_dword v18, v[48:49]
	s_waitcnt lgkmcnt(0)
                                        ; implicit-def: $vgpr48
	s_waitcnt vmcnt(0) lgkmcnt(0)
	v_add_u32_e32 v4, v18, v4
	v_lshlrev_b64 v[18:19], 1, v[4:5]
	v_add_co_u32_e64 v20, s[30:31], v12, v18
	v_addc_co_u32_e64 v21, s[30:31], v13, v19, s[30:31]
                                        ; implicit-def: $vgpr18_vgpr19
	s_and_saveexec_b64 s[30:31], s[28:29]
	s_cbranch_execz .LBB2049_185
; %bb.195:                              ;   in Loop: Header=BB2049_186 Depth=1
	v_mad_u64_u32 v[18:19], s[28:29], v4, 6, v[20:21]
	s_barrier
	flat_store_short v[20:21], v54
	s_waitcnt lgkmcnt(0)
	s_barrier
	flat_load_ushort v48, v[36:37]
	s_waitcnt lgkmcnt(0)
	s_barrier
	flat_store_dwordx2 v[18:19], v[34:35]
	s_waitcnt lgkmcnt(0)
	s_barrier
	flat_load_dwordx2 v[18:19], v[38:39]
	v_add_u32_e32 v53, -8, v53
	s_xor_b64 s[36:37], exec, -1
	s_waitcnt lgkmcnt(0)
	s_barrier
	s_branch .LBB2049_185
.LBB2049_196:
	s_or_b64 exec, exec, s[34:35]
	v_lshlrev_b32_e32 v5, 1, v26
	v_add_co_u32_e32 v10, vcc, v12, v5
	v_addc_co_u32_e32 v11, vcc, 0, v13, vcc
	v_mad_u64_u32 v[4:5], s[4:5], v4, 6, v[20:21]
	s_barrier
	flat_store_short v[20:21], v54
	s_waitcnt lgkmcnt(0)
	s_barrier
	flat_load_ushort v8, v[10:11]
	s_waitcnt lgkmcnt(0)
	s_barrier
	flat_store_dwordx2 v[4:5], v[34:35]
	v_mad_u64_u32 v[4:5], s[4:5], v26, 6, v[10:11]
	s_waitcnt lgkmcnt(0)
	s_barrier
	flat_load_dwordx2 v[4:5], v[4:5]
	v_mov_b32_e32 v23, 0
	v_cmp_lt_u32_e32 vcc, v22, v148
	s_waitcnt lgkmcnt(0)
	s_barrier
	s_and_saveexec_b64 s[4:5], vcc
	s_cbranch_execz .LBB2049_198
; %bb.197:
	v_add_co_u32_e32 v6, vcc, v6, v0
	v_addc_co_u32_e32 v7, vcc, v7, v1, vcc
	v_lshlrev_b64 v[0:1], 3, v[22:23]
	v_add_co_u32_e32 v0, vcc, v6, v0
	v_addc_co_u32_e32 v1, vcc, v7, v1, vcc
	v_mov_b32_e32 v6, 0xffff8000
	s_waitcnt vmcnt(0)
	v_cmp_lt_i16_e32 vcc, -1, v8
	v_cndmask_b32_e64 v6, v6, -1, vcc
	v_add_co_u32_e32 v7, vcc, v2, v24
	v_xor_b32_e32 v6, v6, v8
	v_addc_co_u32_e32 v8, vcc, v3, v25, vcc
	v_lshlrev_b64 v[2:3], 1, v[22:23]
	v_add_co_u32_e32 v2, vcc, v7, v2
	v_addc_co_u32_e32 v3, vcc, v8, v3, vcc
	flat_store_short v[2:3], v6
	flat_store_dwordx2 v[0:1], v[4:5]
.LBB2049_198:
	s_or_b64 exec, exec, s[4:5]
.LBB2049_199:
	s_or_b64 exec, exec, s[38:39]
	v_readlane_b32 s30, v40, 14
	v_readlane_b32 s31, v40, 15
	;; [unrolled: 1-line block ×16, first 2 shown]
	s_or_saveexec_b64 s[4:5], -1
	buffer_load_dword v40, off, s[0:3], s32 ; 4-byte Folded Reload
	s_mov_b64 exec, s[4:5]
	s_waitcnt vmcnt(0) lgkmcnt(0)
	s_setpc_b64 s[30:31]
.Lfunc_end2049:
	.size	_ZN7rocprim17ROCPRIM_400000_NS6detail40segmented_radix_sort_single_block_helperI12hip_bfloat16lLj256ELj8ELb0EE4sortIPKS3_PS3_PKlPlEEbT_T0_T1_T2_jjjjRNS4_12storage_typeE, .Lfunc_end2049-_ZN7rocprim17ROCPRIM_400000_NS6detail40segmented_radix_sort_single_block_helperI12hip_bfloat16lLj256ELj8ELb0EE4sortIPKS3_PS3_PKlPlEEbT_T0_T1_T2_jjjjRNS4_12storage_typeE
                                        ; -- End function
	.section	.AMDGPU.csdata,"",@progbits
; Function info:
; codeLenInByte = 17164
; NumSgprs: 52
; NumVgprs: 178
; NumAgprs: 0
; TotalNumVgprs: 178
; ScratchSize: 8
; MemoryBound: 1
	.section	.text._ZN7rocprim17ROCPRIM_400000_NS6detail17trampoline_kernelINS0_14default_configENS1_36segmented_radix_sort_config_selectorI12hip_bfloat16lEEZNS1_25segmented_radix_sort_implIS3_Lb0EPKS5_PS5_PKlPlN2at6native12_GLOBAL__N_18offset_tEEE10hipError_tPvRmT1_PNSt15iterator_traitsISL_E10value_typeET2_T3_PNSM_ISR_E10value_typeET4_jRbjT5_SX_jjP12ihipStream_tbEUlT_E_NS1_11comp_targetILNS1_3genE4ELNS1_11target_archE910ELNS1_3gpuE8ELNS1_3repE0EEENS1_30default_config_static_selectorELNS0_4arch9wavefront6targetE1EEEvSL_,"axG",@progbits,_ZN7rocprim17ROCPRIM_400000_NS6detail17trampoline_kernelINS0_14default_configENS1_36segmented_radix_sort_config_selectorI12hip_bfloat16lEEZNS1_25segmented_radix_sort_implIS3_Lb0EPKS5_PS5_PKlPlN2at6native12_GLOBAL__N_18offset_tEEE10hipError_tPvRmT1_PNSt15iterator_traitsISL_E10value_typeET2_T3_PNSM_ISR_E10value_typeET4_jRbjT5_SX_jjP12ihipStream_tbEUlT_E_NS1_11comp_targetILNS1_3genE4ELNS1_11target_archE910ELNS1_3gpuE8ELNS1_3repE0EEENS1_30default_config_static_selectorELNS0_4arch9wavefront6targetE1EEEvSL_,comdat
	.globl	_ZN7rocprim17ROCPRIM_400000_NS6detail17trampoline_kernelINS0_14default_configENS1_36segmented_radix_sort_config_selectorI12hip_bfloat16lEEZNS1_25segmented_radix_sort_implIS3_Lb0EPKS5_PS5_PKlPlN2at6native12_GLOBAL__N_18offset_tEEE10hipError_tPvRmT1_PNSt15iterator_traitsISL_E10value_typeET2_T3_PNSM_ISR_E10value_typeET4_jRbjT5_SX_jjP12ihipStream_tbEUlT_E_NS1_11comp_targetILNS1_3genE4ELNS1_11target_archE910ELNS1_3gpuE8ELNS1_3repE0EEENS1_30default_config_static_selectorELNS0_4arch9wavefront6targetE1EEEvSL_ ; -- Begin function _ZN7rocprim17ROCPRIM_400000_NS6detail17trampoline_kernelINS0_14default_configENS1_36segmented_radix_sort_config_selectorI12hip_bfloat16lEEZNS1_25segmented_radix_sort_implIS3_Lb0EPKS5_PS5_PKlPlN2at6native12_GLOBAL__N_18offset_tEEE10hipError_tPvRmT1_PNSt15iterator_traitsISL_E10value_typeET2_T3_PNSM_ISR_E10value_typeET4_jRbjT5_SX_jjP12ihipStream_tbEUlT_E_NS1_11comp_targetILNS1_3genE4ELNS1_11target_archE910ELNS1_3gpuE8ELNS1_3repE0EEENS1_30default_config_static_selectorELNS0_4arch9wavefront6targetE1EEEvSL_
	.p2align	8
	.type	_ZN7rocprim17ROCPRIM_400000_NS6detail17trampoline_kernelINS0_14default_configENS1_36segmented_radix_sort_config_selectorI12hip_bfloat16lEEZNS1_25segmented_radix_sort_implIS3_Lb0EPKS5_PS5_PKlPlN2at6native12_GLOBAL__N_18offset_tEEE10hipError_tPvRmT1_PNSt15iterator_traitsISL_E10value_typeET2_T3_PNSM_ISR_E10value_typeET4_jRbjT5_SX_jjP12ihipStream_tbEUlT_E_NS1_11comp_targetILNS1_3genE4ELNS1_11target_archE910ELNS1_3gpuE8ELNS1_3repE0EEENS1_30default_config_static_selectorELNS0_4arch9wavefront6targetE1EEEvSL_,@function
_ZN7rocprim17ROCPRIM_400000_NS6detail17trampoline_kernelINS0_14default_configENS1_36segmented_radix_sort_config_selectorI12hip_bfloat16lEEZNS1_25segmented_radix_sort_implIS3_Lb0EPKS5_PS5_PKlPlN2at6native12_GLOBAL__N_18offset_tEEE10hipError_tPvRmT1_PNSt15iterator_traitsISL_E10value_typeET2_T3_PNSM_ISR_E10value_typeET4_jRbjT5_SX_jjP12ihipStream_tbEUlT_E_NS1_11comp_targetILNS1_3genE4ELNS1_11target_archE910ELNS1_3gpuE8ELNS1_3repE0EEENS1_30default_config_static_selectorELNS0_4arch9wavefront6targetE1EEEvSL_: ; @_ZN7rocprim17ROCPRIM_400000_NS6detail17trampoline_kernelINS0_14default_configENS1_36segmented_radix_sort_config_selectorI12hip_bfloat16lEEZNS1_25segmented_radix_sort_implIS3_Lb0EPKS5_PS5_PKlPlN2at6native12_GLOBAL__N_18offset_tEEE10hipError_tPvRmT1_PNSt15iterator_traitsISL_E10value_typeET2_T3_PNSM_ISR_E10value_typeET4_jRbjT5_SX_jjP12ihipStream_tbEUlT_E_NS1_11comp_targetILNS1_3genE4ELNS1_11target_archE910ELNS1_3gpuE8ELNS1_3repE0EEENS1_30default_config_static_selectorELNS0_4arch9wavefront6targetE1EEEvSL_
; %bb.0:
	s_add_u32 flat_scratch_lo, s6, s10
	s_addc_u32 flat_scratch_hi, s7, 0
	s_mov_b32 s33, s9
	s_mov_b64 s[48:49], s[4:5]
	s_mov_b32 s50, s8
	s_load_dwordx2 s[8:9], s[4:5], 0x38
	s_nop 0
	s_load_dwordx4 s[4:7], s[4:5], 0x40
	s_add_u32 s0, s0, s10
	s_mov_b32 s11, 0
	s_mov_b32 s10, s50
	s_addc_u32 s1, s1, 0
	s_lshl_b64 s[10:11], s[10:11], 2
	s_waitcnt lgkmcnt(0)
	s_add_u32 s8, s8, s10
	s_addc_u32 s9, s9, s11
	s_load_dword s8, s[8:9], 0x0
	s_mov_b32 s32, 0
	s_waitcnt lgkmcnt(0)
	s_add_i32 s51, s8, s5
	s_add_i32 s76, s8, s7
	s_mul_i32 s51, s51, s4
	s_mul_i32 s76, s76, s6
	s_cmp_le_u32 s76, s51
	s_cbranch_scc1 .LBB2050_678
; %bb.1:
	s_load_dword s4, s[48:49], 0x30
	s_load_dwordx4 s[64:67], s[48:49], 0x20
	s_load_dwordx4 s[68:71], s[48:49], 0x50
	s_load_dwordx8 s[56:63], s[48:49], 0x0
	s_waitcnt lgkmcnt(0)
	s_bitcmp1_b32 s4, 0
	s_cselect_b64 s[54:55], -1, 0
	s_sub_i32 s71, s76, s51
	s_cmpk_lt_u32 s71, 0x801
	s_mov_b64 s[4:5], -1
	s_cbranch_scc0 .LBB2050_7
; %bb.2:
	s_and_b32 s4, s68, 1
	v_cndmask_b32_e64 v1, 0, 1, s[54:55]
	v_cmp_ne_u32_e32 vcc, s4, v1
	s_mov_b64 s[4:5], -1
	s_cbranch_vccnz .LBB2050_4
; %bb.3:
	s_add_u32 s8, s48, 0x60
	s_mov_b64 s[4:5], src_shared_base
	s_addc_u32 s9, s49, 0
	s_mov_b32 s12, s50
	s_mov_b32 s13, s33
	v_mov_b32_e32 v31, v0
	v_mov_b32_e32 v41, v0
	;; [unrolled: 1-line block ×16, first 2 shown]
	s_getpc_b64 s[6:7]
	s_add_u32 s6, s6, _ZN7rocprim17ROCPRIM_400000_NS6detail40segmented_radix_sort_single_block_helperI12hip_bfloat16lLj256ELj8ELb0EE4sortIPKS3_PS3_PKlPlEEbT_T0_T1_T2_jjjjRNS4_12storage_typeE@rel32@lo+4
	s_addc_u32 s7, s7, _ZN7rocprim17ROCPRIM_400000_NS6detail40segmented_radix_sort_single_block_helperI12hip_bfloat16lLj256ELj8ELb0EE4sortIPKS3_PS3_PKlPlEEbT_T0_T1_T2_jjjjRNS4_12storage_typeE@rel32@hi+12
	s_swappc_b64 s[30:31], s[6:7]
	v_mov_b32_e32 v0, v41
	s_mov_b64 s[4:5], 0
.LBB2050_4:
	s_andn2_b64 vcc, exec, s[4:5]
	s_cbranch_vccnz .LBB2050_6
; %bb.5:
	s_add_u32 s8, s48, 0x60
	s_mov_b64 s[4:5], src_shared_base
	s_addc_u32 s9, s49, 0
	s_mov_b32 s12, s50
	s_mov_b32 s13, s33
	v_mov_b32_e32 v31, v0
	v_mov_b32_e32 v41, v0
	;; [unrolled: 1-line block ×16, first 2 shown]
	s_getpc_b64 s[6:7]
	s_add_u32 s6, s6, _ZN7rocprim17ROCPRIM_400000_NS6detail40segmented_radix_sort_single_block_helperI12hip_bfloat16lLj256ELj8ELb0EE4sortIPKS3_PS3_PKlPlEEbT_T0_T1_T2_jjjjRNS4_12storage_typeE@rel32@lo+4
	s_addc_u32 s7, s7, _ZN7rocprim17ROCPRIM_400000_NS6detail40segmented_radix_sort_single_block_helperI12hip_bfloat16lLj256ELj8ELb0EE4sortIPKS3_PS3_PKlPlEEbT_T0_T1_T2_jjjjRNS4_12storage_typeE@rel32@hi+12
	s_swappc_b64 s[30:31], s[6:7]
	v_mov_b32_e32 v0, v41
.LBB2050_6:
	s_mov_b64 s[4:5], 0
.LBB2050_7:
	s_andn2_b64 vcc, exec, s[4:5]
	s_cbranch_vccnz .LBB2050_678
; %bb.8:
	s_cmp_ge_u32 s69, s70
	s_cbranch_scc1 .LBB2050_678
; %bb.9:
	v_and_b32_e32 v2, 0x3ff, v0
	v_lshlrev_b32_e32 v5, 1, v2
	v_mov_b32_e32 v6, s61
	v_add_co_u32_e32 v27, vcc, s60, v5
	v_addc_co_u32_e32 v28, vcc, 0, v6, vcc
	v_or_b32_e32 v6, 63, v2
	v_lshlrev_b32_e32 v3, 2, v2
	v_cmp_eq_u32_e64 s[6:7], v6, v2
	v_lshrrev_b32_e32 v6, 4, v2
	v_mad_u32_u24 v33, v2, 12, v3
	v_and_b32_e32 v34, 12, v6
	v_lshlrev_b32_e32 v6, 3, v2
	v_bfe_u32 v39, v0, 20, 10
	v_bfe_u32 v40, v0, 10, 10
	v_mul_u32_u24_e32 v0, 5, v2
	v_mov_b32_e32 v42, 0x410
	v_and_b32_e32 v38, 0x600, v6
	v_add_u32_e32 v41, v33, v3
	v_lshl_add_u32 v43, v0, 2, v42
	v_lshlrev_b32_e32 v0, 4, v2
	v_sub_u32_e32 v44, v41, v0
	v_lshlrev_b32_e32 v0, 3, v38
	v_mov_b32_e32 v6, s67
	v_add_co_u32_e32 v45, vcc, s66, v0
	v_addc_co_u32_e32 v46, vcc, 0, v6, vcc
	v_lshlrev_b32_e32 v6, 1, v38
	v_mov_b32_e32 v7, s61
	v_add_co_u32_e32 v47, vcc, s60, v6
	v_addc_co_u32_e32 v48, vcc, 0, v7, vcc
	v_mov_b32_e32 v7, s59
	v_add_co_u32_e32 v52, vcc, s58, v5
	v_addc_co_u32_e32 v53, vcc, 0, v7, vcc
	;; [unrolled: 3-line block ×5, first 2 shown]
	v_sub_u32_e32 v49, v44, v5
	v_add_u32_e32 v50, 0x400, v5
	v_mov_b32_e32 v5, s63
	v_add_co_u32_e32 v60, vcc, s62, v0
	v_addc_co_u32_e32 v61, vcc, 0, v5, vcc
	v_mov_b32_e32 v0, s57
	v_add_co_u32_e32 v62, vcc, s56, v6
	s_movk_i32 s4, 0x100
	v_and_b32_e32 v1, 3, v2
	s_add_u32 s74, s48, 0x60
	s_movk_i32 s14, 0xff
	v_addc_co_u32_e32 v63, vcc, 0, v0, vcc
	v_mbcnt_lo_u32_b32 v0, -1, 0
	s_mov_b32 s73, 0
	v_mov_b32_e32 v4, 0
	v_or_b32_e32 v24, 0x100, v2
	v_or_b32_e32 v25, 0x200, v2
	;; [unrolled: 1-line block ×7, first 2 shown]
	v_cmp_gt_u32_e64 s[4:5], s4, v2
	v_or_b32_e32 v35, 0x4400, v34
	v_cmp_gt_u32_e64 s[8:9], 4, v2
	v_add_u32_e32 v36, 0x4400, v3
	v_cmp_lt_u32_e64 s[10:11], 63, v2
	v_add_u32_e32 v37, 0x43fc, v34
	s_addc_u32 s75, s49, 0
	v_cmp_eq_u32_e64 s[12:13], 0, v2
	v_cmp_ne_u32_e64 s[14:15], s14, v2
	v_mul_u32_u24_e32 v51, 6, v2
	s_movk_i32 s68, 0x7fff
	v_mov_b32_e32 v64, 1
	v_lshlrev_b32_e32 v65, 1, v2
	v_mov_b32_e32 v66, 0xffff8000
	v_lshlrev_b32_e32 v67, 2, v1
	v_mbcnt_hi_u32_b32 v68, -1, v0
	s_mov_b32 s77, s69
	s_branch .LBB2050_12
.LBB2050_10:                            ;   in Loop: Header=BB2050_12 Depth=1
	s_waitcnt lgkmcnt(0)
	s_barrier
.LBB2050_11:                            ;   in Loop: Header=BB2050_12 Depth=1
	s_add_i32 s77, s77, 8
	s_cmp_ge_u32 s77, s70
	s_cbranch_scc1 .LBB2050_678
.LBB2050_12:                            ; =>This Loop Header: Depth=1
                                        ;     Child Loop BB2050_16 Depth 2
                                        ;     Child Loop BB2050_66 Depth 2
	;; [unrolled: 1-line block ×8, first 2 shown]
	s_sub_i32 s16, s70, s77
	s_min_u32 s16, s16, 8
	s_lshl_b32 s16, -1, s16
	s_xor_b64 s[54:55], s[54:55], -1
	s_not_b32 s78, s16
	s_cmp_lg_u32 s77, s69
	s_mov_b64 s[16:17], -1
	ds_write2st64_b32 v3, v4, v4 offset1:4
	ds_write2st64_b32 v3, v4, v4 offset0:8 offset1:12
	s_waitcnt lgkmcnt(0)
	s_cbranch_scc0 .LBB2050_346
; %bb.13:                               ;   in Loop: Header=BB2050_12 Depth=1
	s_and_b64 vcc, exec, s[54:55]
	s_cbranch_vccz .LBB2050_179
; %bb.14:                               ;   in Loop: Header=BB2050_12 Depth=1
	s_mov_b32 s22, s71
	s_mov_b32 s72, s51
	s_barrier
	s_waitcnt lgkmcnt(0)
                                        ; implicit-def: $vgpr12
                                        ; implicit-def: $vgpr5
                                        ; implicit-def: $vgpr6
                                        ; implicit-def: $vgpr7
                                        ; implicit-def: $vgpr8
                                        ; implicit-def: $vgpr9
                                        ; implicit-def: $vgpr10
                                        ; implicit-def: $vgpr11
	s_branch .LBB2050_16
.LBB2050_15:                            ;   in Loop: Header=BB2050_16 Depth=2
	s_or_b64 exec, exec, s[16:17]
	s_addk_i32 s22, 0xf800
	s_cmp_ge_u32 s23, s76
	s_mov_b32 s72, s23
	s_cbranch_scc1 .LBB2050_54
.LBB2050_16:                            ;   Parent Loop BB2050_12 Depth=1
                                        ; =>  This Inner Loop Header: Depth=2
	s_add_i32 s23, s72, 0x800
	s_cmp_gt_u32 s23, s76
	s_cbranch_scc1 .LBB2050_19
; %bb.17:                               ;   in Loop: Header=BB2050_16 Depth=2
	s_lshl_b64 s[16:17], s[72:73], 1
	v_mov_b32_e32 v1, s17
	v_add_co_u32_e32 v0, vcc, s16, v27
	v_addc_co_u32_e32 v1, vcc, v28, v1, vcc
	global_load_ushort v14, v[0:1], off
	global_load_ushort v15, v[0:1], off offset:512
	global_load_ushort v16, v[0:1], off offset:1024
	;; [unrolled: 1-line block ×6, first 2 shown]
	v_add_co_u32_e32 v0, vcc, 0xe00, v0
	v_addc_co_u32_e32 v1, vcc, 0, v1, vcc
	s_mov_b64 s[16:17], -1
	s_movk_i32 s24, 0x800
	s_cbranch_execz .LBB2050_20
; %bb.18:                               ;   in Loop: Header=BB2050_16 Depth=2
                                        ; implicit-def: $vgpr11
                                        ; implicit-def: $vgpr10
                                        ; implicit-def: $vgpr9
                                        ; implicit-def: $vgpr8
                                        ; implicit-def: $vgpr7
                                        ; implicit-def: $vgpr6
                                        ; implicit-def: $vgpr5
                                        ; implicit-def: $vgpr12
	v_mov_b32_e32 v13, s22
	s_and_saveexec_b64 s[18:19], s[16:17]
	s_cbranch_execnz .LBB2050_31
	s_branch .LBB2050_32
.LBB2050_19:                            ;   in Loop: Header=BB2050_16 Depth=2
	s_mov_b64 s[16:17], 0
                                        ; implicit-def: $sgpr24
                                        ; implicit-def: $vgpr14
                                        ; implicit-def: $vgpr15
                                        ; implicit-def: $vgpr16
                                        ; implicit-def: $vgpr17
                                        ; implicit-def: $vgpr18
                                        ; implicit-def: $vgpr19
                                        ; implicit-def: $vgpr20
                                        ; implicit-def: $vgpr0_vgpr1
.LBB2050_20:                            ;   in Loop: Header=BB2050_16 Depth=2
	s_lshl_b64 s[18:19], s[72:73], 1
	s_add_u32 s18, s60, s18
	s_addc_u32 s19, s61, s19
	v_cmp_gt_u32_e32 vcc, s22, v2
	s_and_saveexec_b64 s[20:21], vcc
	s_cbranch_execz .LBB2050_48
; %bb.21:                               ;   in Loop: Header=BB2050_16 Depth=2
	global_load_ushort v11, v65, s[18:19]
	s_or_b64 exec, exec, s[20:21]
	v_cmp_gt_u32_e32 vcc, s22, v24
	s_and_saveexec_b64 s[20:21], vcc
	s_cbranch_execnz .LBB2050_49
.LBB2050_22:                            ;   in Loop: Header=BB2050_16 Depth=2
	s_or_b64 exec, exec, s[20:21]
	v_cmp_gt_u32_e32 vcc, s22, v25
	s_and_saveexec_b64 s[20:21], vcc
	s_cbranch_execz .LBB2050_50
.LBB2050_23:                            ;   in Loop: Header=BB2050_16 Depth=2
	global_load_ushort v9, v65, s[18:19] offset:1024
	s_or_b64 exec, exec, s[20:21]
	v_cmp_gt_u32_e32 vcc, s22, v26
	s_and_saveexec_b64 s[20:21], vcc
	s_cbranch_execnz .LBB2050_51
.LBB2050_24:                            ;   in Loop: Header=BB2050_16 Depth=2
	s_or_b64 exec, exec, s[20:21]
	v_cmp_gt_u32_e32 vcc, s22, v29
	s_and_saveexec_b64 s[20:21], vcc
	s_cbranch_execz .LBB2050_52
.LBB2050_25:                            ;   in Loop: Header=BB2050_16 Depth=2
	global_load_ushort v7, v65, s[18:19] offset:2048
	s_or_b64 exec, exec, s[20:21]
	v_cmp_gt_u32_e32 vcc, s22, v30
	s_and_saveexec_b64 s[20:21], vcc
	s_cbranch_execnz .LBB2050_53
.LBB2050_26:                            ;   in Loop: Header=BB2050_16 Depth=2
	s_or_b64 exec, exec, s[20:21]
	v_cmp_gt_u32_e32 vcc, s22, v31
	s_and_saveexec_b64 s[20:21], vcc
	s_cbranch_execz .LBB2050_28
.LBB2050_27:                            ;   in Loop: Header=BB2050_16 Depth=2
	global_load_ushort v5, v65, s[18:19] offset:3072
.LBB2050_28:                            ;   in Loop: Header=BB2050_16 Depth=2
	s_or_b64 exec, exec, s[20:21]
	v_cmp_gt_u32_e32 vcc, s22, v32
                                        ; implicit-def: $sgpr24
                                        ; implicit-def: $vgpr0_vgpr1
	s_and_saveexec_b64 s[20:21], vcc
	s_cbranch_execz .LBB2050_30
; %bb.29:                               ;   in Loop: Header=BB2050_16 Depth=2
	v_mov_b32_e32 v0, s19
	v_add_co_u32_e32 v1, vcc, s18, v65
	s_waitcnt vmcnt(0)
	v_addc_co_u32_e32 v12, vcc, 0, v0, vcc
	v_add_co_u32_e32 v0, vcc, 0xe00, v1
	s_sub_i32 s24, s76, s72
	v_addc_co_u32_e32 v1, vcc, 0, v12, vcc
	s_or_b64 s[16:17], s[16:17], exec
                                        ; implicit-def: $vgpr12
.LBB2050_30:                            ;   in Loop: Header=BB2050_16 Depth=2
	s_or_b64 exec, exec, s[20:21]
	s_waitcnt vmcnt(0)
	v_mov_b32_e32 v14, v11
	v_mov_b32_e32 v15, v10
	;; [unrolled: 1-line block ×8, first 2 shown]
	s_and_saveexec_b64 s[18:19], s[16:17]
	s_cbranch_execz .LBB2050_32
.LBB2050_31:                            ;   in Loop: Header=BB2050_16 Depth=2
	global_load_ushort v12, v[0:1], off
	v_mov_b32_e32 v13, s24
	s_waitcnt vmcnt(1)
	v_mov_b32_e32 v5, v20
	v_mov_b32_e32 v6, v19
	;; [unrolled: 1-line block ×7, first 2 shown]
.LBB2050_32:                            ;   in Loop: Header=BB2050_16 Depth=2
	s_or_b64 exec, exec, s[18:19]
	v_cmp_lt_u32_e32 vcc, v2, v13
	s_and_saveexec_b64 s[16:17], vcc
	s_cbranch_execz .LBB2050_40
; %bb.33:                               ;   in Loop: Header=BB2050_16 Depth=2
	v_cmp_lt_i16_e32 vcc, -1, v11
	v_cndmask_b32_e32 v0, -1, v66, vcc
	v_xor_b32_e32 v0, v0, v11
	v_cmp_ne_u16_e32 vcc, s68, v0
	v_cndmask_b32_e32 v0, v66, v0, vcc
	v_lshrrev_b32_sdwa v0, s77, v0 dst_sel:DWORD dst_unused:UNUSED_PAD src0_sel:DWORD src1_sel:WORD_0
	v_and_b32_e32 v0, s78, v0
	v_lshl_or_b32 v0, v0, 4, v67
	ds_add_u32 v0, v64
	s_or_b64 exec, exec, s[16:17]
	v_cmp_lt_u32_e32 vcc, v24, v13
	s_and_saveexec_b64 s[16:17], vcc
	s_cbranch_execnz .LBB2050_41
.LBB2050_34:                            ;   in Loop: Header=BB2050_16 Depth=2
	s_or_b64 exec, exec, s[16:17]
	v_cmp_lt_u32_e32 vcc, v25, v13
	s_and_saveexec_b64 s[16:17], vcc
	s_cbranch_execz .LBB2050_42
.LBB2050_35:                            ;   in Loop: Header=BB2050_16 Depth=2
	v_cmp_lt_i16_e32 vcc, -1, v9
	v_cndmask_b32_e32 v0, -1, v66, vcc
	v_xor_b32_e32 v0, v0, v9
	v_cmp_ne_u16_e32 vcc, s68, v0
	v_cndmask_b32_e32 v0, v66, v0, vcc
	v_lshrrev_b32_sdwa v0, s77, v0 dst_sel:DWORD dst_unused:UNUSED_PAD src0_sel:DWORD src1_sel:WORD_0
	v_and_b32_e32 v0, s78, v0
	v_lshl_or_b32 v0, v0, 4, v67
	ds_add_u32 v0, v64
	s_or_b64 exec, exec, s[16:17]
	v_cmp_lt_u32_e32 vcc, v26, v13
	s_and_saveexec_b64 s[16:17], vcc
	s_cbranch_execnz .LBB2050_43
.LBB2050_36:                            ;   in Loop: Header=BB2050_16 Depth=2
	s_or_b64 exec, exec, s[16:17]
	v_cmp_lt_u32_e32 vcc, v29, v13
	s_and_saveexec_b64 s[16:17], vcc
	s_cbranch_execz .LBB2050_44
.LBB2050_37:                            ;   in Loop: Header=BB2050_16 Depth=2
	v_cmp_lt_i16_e32 vcc, -1, v7
	v_cndmask_b32_e32 v0, -1, v66, vcc
	v_xor_b32_e32 v0, v0, v7
	v_cmp_ne_u16_e32 vcc, s68, v0
	v_cndmask_b32_e32 v0, v66, v0, vcc
	v_lshrrev_b32_sdwa v0, s77, v0 dst_sel:DWORD dst_unused:UNUSED_PAD src0_sel:DWORD src1_sel:WORD_0
	v_and_b32_e32 v0, s78, v0
	v_lshl_or_b32 v0, v0, 4, v67
	ds_add_u32 v0, v64
	s_or_b64 exec, exec, s[16:17]
	v_cmp_lt_u32_e32 vcc, v30, v13
	s_and_saveexec_b64 s[16:17], vcc
	s_cbranch_execnz .LBB2050_45
.LBB2050_38:                            ;   in Loop: Header=BB2050_16 Depth=2
	s_or_b64 exec, exec, s[16:17]
	v_cmp_lt_u32_e32 vcc, v31, v13
	s_and_saveexec_b64 s[16:17], vcc
	s_cbranch_execz .LBB2050_46
.LBB2050_39:                            ;   in Loop: Header=BB2050_16 Depth=2
	v_cmp_lt_i16_e32 vcc, -1, v5
	v_cndmask_b32_e32 v0, -1, v66, vcc
	v_xor_b32_e32 v0, v0, v5
	v_cmp_ne_u16_e32 vcc, s68, v0
	v_cndmask_b32_e32 v0, v66, v0, vcc
	v_lshrrev_b32_sdwa v0, s77, v0 dst_sel:DWORD dst_unused:UNUSED_PAD src0_sel:DWORD src1_sel:WORD_0
	v_and_b32_e32 v0, s78, v0
	v_lshl_or_b32 v0, v0, 4, v67
	ds_add_u32 v0, v64
	s_or_b64 exec, exec, s[16:17]
	v_cmp_lt_u32_e32 vcc, v32, v13
	s_and_saveexec_b64 s[16:17], vcc
	s_cbranch_execz .LBB2050_15
	s_branch .LBB2050_47
.LBB2050_40:                            ;   in Loop: Header=BB2050_16 Depth=2
	s_or_b64 exec, exec, s[16:17]
	v_cmp_lt_u32_e32 vcc, v24, v13
	s_and_saveexec_b64 s[16:17], vcc
	s_cbranch_execz .LBB2050_34
.LBB2050_41:                            ;   in Loop: Header=BB2050_16 Depth=2
	v_cmp_lt_i16_e32 vcc, -1, v10
	v_cndmask_b32_e32 v0, -1, v66, vcc
	v_xor_b32_e32 v0, v0, v10
	v_cmp_ne_u16_e32 vcc, s68, v0
	v_cndmask_b32_e32 v0, v66, v0, vcc
	v_lshrrev_b32_sdwa v0, s77, v0 dst_sel:DWORD dst_unused:UNUSED_PAD src0_sel:DWORD src1_sel:WORD_0
	v_and_b32_e32 v0, s78, v0
	v_lshl_or_b32 v0, v0, 4, v67
	ds_add_u32 v0, v64
	s_or_b64 exec, exec, s[16:17]
	v_cmp_lt_u32_e32 vcc, v25, v13
	s_and_saveexec_b64 s[16:17], vcc
	s_cbranch_execnz .LBB2050_35
.LBB2050_42:                            ;   in Loop: Header=BB2050_16 Depth=2
	s_or_b64 exec, exec, s[16:17]
	v_cmp_lt_u32_e32 vcc, v26, v13
	s_and_saveexec_b64 s[16:17], vcc
	s_cbranch_execz .LBB2050_36
.LBB2050_43:                            ;   in Loop: Header=BB2050_16 Depth=2
	v_cmp_lt_i16_e32 vcc, -1, v8
	v_cndmask_b32_e32 v0, -1, v66, vcc
	v_xor_b32_e32 v0, v0, v8
	v_cmp_ne_u16_e32 vcc, s68, v0
	v_cndmask_b32_e32 v0, v66, v0, vcc
	v_lshrrev_b32_sdwa v0, s77, v0 dst_sel:DWORD dst_unused:UNUSED_PAD src0_sel:DWORD src1_sel:WORD_0
	v_and_b32_e32 v0, s78, v0
	v_lshl_or_b32 v0, v0, 4, v67
	ds_add_u32 v0, v64
	s_or_b64 exec, exec, s[16:17]
	v_cmp_lt_u32_e32 vcc, v29, v13
	s_and_saveexec_b64 s[16:17], vcc
	s_cbranch_execnz .LBB2050_37
.LBB2050_44:                            ;   in Loop: Header=BB2050_16 Depth=2
	s_or_b64 exec, exec, s[16:17]
	v_cmp_lt_u32_e32 vcc, v30, v13
	s_and_saveexec_b64 s[16:17], vcc
	s_cbranch_execz .LBB2050_38
.LBB2050_45:                            ;   in Loop: Header=BB2050_16 Depth=2
	v_cmp_lt_i16_e32 vcc, -1, v6
	v_cndmask_b32_e32 v0, -1, v66, vcc
	v_xor_b32_e32 v0, v0, v6
	v_cmp_ne_u16_e32 vcc, s68, v0
	v_cndmask_b32_e32 v0, v66, v0, vcc
	v_lshrrev_b32_sdwa v0, s77, v0 dst_sel:DWORD dst_unused:UNUSED_PAD src0_sel:DWORD src1_sel:WORD_0
	v_and_b32_e32 v0, s78, v0
	v_lshl_or_b32 v0, v0, 4, v67
	ds_add_u32 v0, v64
	s_or_b64 exec, exec, s[16:17]
	v_cmp_lt_u32_e32 vcc, v31, v13
	s_and_saveexec_b64 s[16:17], vcc
	s_cbranch_execnz .LBB2050_39
.LBB2050_46:                            ;   in Loop: Header=BB2050_16 Depth=2
	s_or_b64 exec, exec, s[16:17]
	v_cmp_lt_u32_e32 vcc, v32, v13
	s_and_saveexec_b64 s[16:17], vcc
	s_cbranch_execz .LBB2050_15
.LBB2050_47:                            ;   in Loop: Header=BB2050_16 Depth=2
	s_waitcnt vmcnt(0)
	v_cmp_lt_i16_e32 vcc, -1, v12
	v_cndmask_b32_e32 v0, -1, v66, vcc
	v_xor_b32_e32 v0, v0, v12
	v_cmp_ne_u16_e32 vcc, s68, v0
	v_cndmask_b32_e32 v0, v66, v0, vcc
	v_lshrrev_b32_sdwa v0, s77, v0 dst_sel:DWORD dst_unused:UNUSED_PAD src0_sel:DWORD src1_sel:WORD_0
	v_and_b32_e32 v0, s78, v0
	v_lshl_or_b32 v0, v0, 4, v67
	ds_add_u32 v0, v64
	s_branch .LBB2050_15
.LBB2050_48:                            ;   in Loop: Header=BB2050_16 Depth=2
	s_or_b64 exec, exec, s[20:21]
	v_cmp_gt_u32_e32 vcc, s22, v24
	s_and_saveexec_b64 s[20:21], vcc
	s_cbranch_execz .LBB2050_22
.LBB2050_49:                            ;   in Loop: Header=BB2050_16 Depth=2
	global_load_ushort v10, v65, s[18:19] offset:512
	s_or_b64 exec, exec, s[20:21]
	v_cmp_gt_u32_e32 vcc, s22, v25
	s_and_saveexec_b64 s[20:21], vcc
	s_cbranch_execnz .LBB2050_23
.LBB2050_50:                            ;   in Loop: Header=BB2050_16 Depth=2
	s_or_b64 exec, exec, s[20:21]
	v_cmp_gt_u32_e32 vcc, s22, v26
	s_and_saveexec_b64 s[20:21], vcc
	s_cbranch_execz .LBB2050_24
.LBB2050_51:                            ;   in Loop: Header=BB2050_16 Depth=2
	global_load_ushort v8, v65, s[18:19] offset:1536
	s_or_b64 exec, exec, s[20:21]
	v_cmp_gt_u32_e32 vcc, s22, v29
	s_and_saveexec_b64 s[20:21], vcc
	s_cbranch_execnz .LBB2050_25
.LBB2050_52:                            ;   in Loop: Header=BB2050_16 Depth=2
	s_or_b64 exec, exec, s[20:21]
	v_cmp_gt_u32_e32 vcc, s22, v30
	s_and_saveexec_b64 s[20:21], vcc
	s_cbranch_execz .LBB2050_26
.LBB2050_53:                            ;   in Loop: Header=BB2050_16 Depth=2
	global_load_ushort v6, v65, s[18:19] offset:2560
	s_or_b64 exec, exec, s[20:21]
	v_cmp_gt_u32_e32 vcc, s22, v31
	s_and_saveexec_b64 s[20:21], vcc
	s_cbranch_execz .LBB2050_28
	s_branch .LBB2050_27
.LBB2050_54:                            ;   in Loop: Header=BB2050_12 Depth=1
	v_mov_b32_e32 v0, 0
	s_waitcnt lgkmcnt(0)
	s_barrier
	s_and_saveexec_b64 s[16:17], s[4:5]
	s_cbranch_execz .LBB2050_56
; %bb.55:                               ;   in Loop: Header=BB2050_12 Depth=1
	ds_read2_b64 v[6:9], v33 offset1:1
	s_waitcnt lgkmcnt(0)
	v_add_u32_e32 v0, v7, v6
	v_add3_u32 v0, v0, v8, v9
.LBB2050_56:                            ;   in Loop: Header=BB2050_12 Depth=1
	s_or_b64 exec, exec, s[16:17]
	v_and_b32_e32 v1, 15, v68
	v_mov_b32_dpp v5, v0 row_shr:1 row_mask:0xf bank_mask:0xf
	v_cmp_eq_u32_e64 s[16:17], 0, v1
	v_cndmask_b32_e64 v5, v5, 0, s[16:17]
	v_add_u32_e32 v0, v5, v0
	v_cmp_lt_u32_e64 s[18:19], 1, v1
	v_cmp_lt_u32_e64 s[20:21], 3, v1
	v_mov_b32_dpp v5, v0 row_shr:2 row_mask:0xf bank_mask:0xf
	v_cndmask_b32_e64 v5, 0, v5, s[18:19]
	v_add_u32_e32 v0, v0, v5
	v_cmp_lt_u32_e64 s[22:23], 7, v1
	v_cmp_lt_u32_e64 s[26:27], 31, v68
	v_mov_b32_dpp v5, v0 row_shr:4 row_mask:0xf bank_mask:0xf
	v_cndmask_b32_e64 v5, 0, v5, s[20:21]
	v_add_u32_e32 v0, v0, v5
	v_and_b32_e32 v6, 16, v68
	v_cmp_eq_u32_e64 s[24:25], 0, v6
	v_mov_b32_dpp v5, v0 row_shr:8 row_mask:0xf bank_mask:0xf
	v_cndmask_b32_e64 v1, 0, v5, s[22:23]
	v_add_u32_e32 v0, v0, v1
	v_bfe_i32 v5, v68, 4, 1
	s_nop 0
	v_mov_b32_dpp v1, v0 row_bcast:15 row_mask:0xf bank_mask:0xf
	v_and_b32_e32 v1, v5, v1
	v_add_u32_e32 v0, v0, v1
	s_nop 1
	v_mov_b32_dpp v1, v0 row_bcast:31 row_mask:0xf bank_mask:0xf
	v_cndmask_b32_e64 v1, 0, v1, s[26:27]
	v_add_u32_e32 v1, v0, v1
	s_and_saveexec_b64 s[28:29], s[6:7]
	s_cbranch_execz .LBB2050_58
; %bb.57:                               ;   in Loop: Header=BB2050_12 Depth=1
	ds_write_b32 v35, v1
.LBB2050_58:                            ;   in Loop: Header=BB2050_12 Depth=1
	s_or_b64 exec, exec, s[28:29]
	v_and_b32_e32 v0, 3, v68
	s_waitcnt lgkmcnt(0)
	s_barrier
	s_and_saveexec_b64 s[28:29], s[8:9]
	s_cbranch_execz .LBB2050_60
; %bb.59:                               ;   in Loop: Header=BB2050_12 Depth=1
	ds_read_b32 v5, v36
	v_cmp_ne_u32_e32 vcc, 0, v0
	s_waitcnt lgkmcnt(0)
	v_mov_b32_dpp v6, v5 row_shr:1 row_mask:0xf bank_mask:0xf
	v_cndmask_b32_e32 v6, 0, v6, vcc
	v_add_u32_e32 v5, v6, v5
	v_cmp_lt_u32_e32 vcc, 1, v0
	s_nop 0
	v_mov_b32_dpp v6, v5 row_shr:2 row_mask:0xf bank_mask:0xf
	v_cndmask_b32_e32 v6, 0, v6, vcc
	v_add_u32_e32 v5, v5, v6
	ds_write_b32 v36, v5
.LBB2050_60:                            ;   in Loop: Header=BB2050_12 Depth=1
	s_or_b64 exec, exec, s[28:29]
	v_mov_b32_e32 v5, 0
	s_waitcnt lgkmcnt(0)
	s_barrier
	s_and_saveexec_b64 s[28:29], s[10:11]
	s_cbranch_execz .LBB2050_62
; %bb.61:                               ;   in Loop: Header=BB2050_12 Depth=1
	ds_read_b32 v5, v37
.LBB2050_62:                            ;   in Loop: Header=BB2050_12 Depth=1
	s_or_b64 exec, exec, s[28:29]
	v_add_u32_e32 v6, -1, v68
	v_and_b32_e32 v7, 64, v68
	v_cmp_lt_i32_e32 vcc, v6, v7
	v_cndmask_b32_e32 v6, v6, v68, vcc
	s_waitcnt lgkmcnt(0)
	v_add_u32_e32 v1, v5, v1
	v_lshlrev_b32_e32 v69, 2, v6
	ds_bpermute_b32 v1, v69, v1
	v_cmp_eq_u32_e64 s[28:29], 0, v68
	s_waitcnt lgkmcnt(0)
	s_barrier
	s_and_saveexec_b64 s[30:31], s[4:5]
	s_cbranch_execz .LBB2050_64
; %bb.63:                               ;   in Loop: Header=BB2050_12 Depth=1
	v_cndmask_b32_e64 v1, v1, v5, s[28:29]
	v_add_u32_e32 v1, s51, v1
	ds_write_b32 v3, v1
.LBB2050_64:                            ;   in Loop: Header=BB2050_12 Depth=1
	s_or_b64 exec, exec, s[30:31]
	s_load_dword s30, s[74:75], 0x4
	s_load_dword s36, s[74:75], 0xc
	s_waitcnt vmcnt(0)
	v_and_b32_e32 v20, 63, v68
	v_lshlrev_b32_e32 v21, 3, v20
	v_add_co_u32_e32 v77, vcc, v45, v21
	s_waitcnt lgkmcnt(0)
	s_cmp_lt_u32 s33, s30
	s_cselect_b32 s30, 14, 20
	s_add_u32 s30, s74, s30
	s_addc_u32 s31, s75, 0
	global_load_ushort v5, v4, s[30:31]
	v_or_b32_e32 v74, v20, v38
	v_lshlrev_b32_e32 v20, 1, v20
	v_addc_co_u32_e32 v79, vcc, 0, v46, vcc
	v_add_co_u32_e32 v88, vcc, v47, v20
	v_addc_co_u32_e32 v89, vcc, 0, v48, vcc
	s_and_b32 s36, s36, 0xffff
	v_add_co_u32_e32 v90, vcc, 0x380, v88
	v_cmp_eq_u32_e64 s[30:31], 0, v0
	v_cmp_lt_u32_e64 s[34:35], 1, v0
	s_mov_b32 s79, s71
	v_or_b32_e32 v81, 64, v74
	v_or_b32_e32 v82, 0x80, v74
	;; [unrolled: 1-line block ×7, first 2 shown]
	v_addc_co_u32_e32 v91, vcc, 0, v89, vcc
	s_mov_b32 s72, s51
                                        ; implicit-def: $vgpr0_vgpr1
                                        ; implicit-def: $vgpr6_vgpr7
                                        ; implicit-def: $vgpr8_vgpr9
                                        ; implicit-def: $vgpr10_vgpr11
                                        ; implicit-def: $vgpr12_vgpr13
                                        ; implicit-def: $vgpr14_vgpr15
                                        ; implicit-def: $vgpr16_vgpr17
                                        ; implicit-def: $vgpr18_vgpr19
                                        ; implicit-def: $vgpr70
                                        ; implicit-def: $vgpr71
                                        ; implicit-def: $vgpr72
                                        ; implicit-def: $vgpr73
                                        ; implicit-def: $vgpr75
                                        ; implicit-def: $vgpr76
                                        ; implicit-def: $vgpr78
                                        ; implicit-def: $vgpr80
	s_waitcnt vmcnt(0)
	v_mad_u32_u24 v5, v39, v5, v40
	v_mad_u64_u32 v[20:21], s[36:37], v5, s36, v[2:3]
	v_lshrrev_b32_e32 v92, 6, v20
	s_branch .LBB2050_66
.LBB2050_65:                            ;   in Loop: Header=BB2050_66 Depth=2
	s_or_b64 exec, exec, s[36:37]
	s_addk_i32 s79, 0xf800
	s_cmp_lt_u32 s80, s76
	s_mov_b32 s72, s80
	s_cbranch_scc0 .LBB2050_178
.LBB2050_66:                            ;   Parent Loop BB2050_12 Depth=1
                                        ; =>  This Inner Loop Header: Depth=2
	s_add_i32 s80, s72, 0x800
	s_cmp_gt_u32 s80, s76
	s_cbranch_scc1 .LBB2050_69
; %bb.67:                               ;   in Loop: Header=BB2050_66 Depth=2
	s_lshl_b64 s[36:37], s[72:73], 1
	v_mov_b32_e32 v5, s37
	v_add_co_u32_e32 v20, vcc, s36, v88
	v_addc_co_u32_e32 v21, vcc, v89, v5, vcc
	global_load_ushort v5, v[20:21], off
	global_load_ushort v97, v[20:21], off offset:128
	global_load_ushort v101, v[20:21], off offset:256
	;; [unrolled: 1-line block ×6, first 2 shown]
	s_mov_b64 s[36:37], -1
	s_movk_i32 s40, 0x800
	s_cbranch_execz .LBB2050_70
; %bb.68:                               ;   in Loop: Header=BB2050_66 Depth=2
                                        ; implicit-def: $sgpr38
	v_mov_b32_e32 v23, s38
	v_mov_b32_e32 v93, s79
	s_and_saveexec_b64 s[38:39], s[36:37]
	s_cbranch_execnz .LBB2050_85
	s_branch .LBB2050_86
.LBB2050_69:                            ;   in Loop: Header=BB2050_66 Depth=2
	s_mov_b64 s[36:37], 0
                                        ; implicit-def: $sgpr40
                                        ; implicit-def: $vgpr5
                                        ; implicit-def: $vgpr97
                                        ; implicit-def: $vgpr101
                                        ; implicit-def: $vgpr106
                                        ; implicit-def: $vgpr109
                                        ; implicit-def: $vgpr104
                                        ; implicit-def: $vgpr22
.LBB2050_70:                            ;   in Loop: Header=BB2050_66 Depth=2
	s_lshl_b64 s[36:37], s[72:73], 1
	s_waitcnt vmcnt(6)
	v_mov_b32_e32 v5, s37
	v_add_co_u32_e32 v20, vcc, s36, v88
	v_addc_co_u32_e32 v21, vcc, v89, v5, vcc
	v_cmp_gt_u32_e32 vcc, s79, v74
	s_waitcnt vmcnt(5)
	v_mov_b32_e32 v97, 0x7fff
	v_mov_b32_e32 v5, 0x7fff
	s_and_saveexec_b64 s[36:37], vcc
	s_cbranch_execz .LBB2050_72
; %bb.71:                               ;   in Loop: Header=BB2050_66 Depth=2
	global_load_ushort v5, v[20:21], off
.LBB2050_72:                            ;   in Loop: Header=BB2050_66 Depth=2
	s_or_b64 exec, exec, s[36:37]
	v_cmp_gt_u32_e32 vcc, s79, v81
	s_and_saveexec_b64 s[36:37], vcc
	s_cbranch_execz .LBB2050_74
; %bb.73:                               ;   in Loop: Header=BB2050_66 Depth=2
	global_load_ushort v97, v[20:21], off offset:128
.LBB2050_74:                            ;   in Loop: Header=BB2050_66 Depth=2
	s_or_b64 exec, exec, s[36:37]
	v_cmp_gt_u32_e32 vcc, s79, v82
	s_waitcnt vmcnt(3)
	v_mov_b32_e32 v106, 0x7fff
	v_mov_b32_e32 v101, 0x7fff
	s_and_saveexec_b64 s[36:37], vcc
	s_cbranch_execz .LBB2050_76
; %bb.75:                               ;   in Loop: Header=BB2050_66 Depth=2
	global_load_ushort v101, v[20:21], off offset:256
.LBB2050_76:                            ;   in Loop: Header=BB2050_66 Depth=2
	s_or_b64 exec, exec, s[36:37]
	v_cmp_gt_u32_e32 vcc, s79, v83
	s_and_saveexec_b64 s[36:37], vcc
	s_cbranch_execz .LBB2050_78
; %bb.77:                               ;   in Loop: Header=BB2050_66 Depth=2
	global_load_ushort v106, v[20:21], off offset:384
.LBB2050_78:                            ;   in Loop: Header=BB2050_66 Depth=2
	s_or_b64 exec, exec, s[36:37]
	v_cmp_gt_u32_e32 vcc, s79, v84
	s_waitcnt vmcnt(1)
	v_mov_b32_e32 v104, 0x7fff
	v_mov_b32_e32 v109, 0x7fff
	s_and_saveexec_b64 s[36:37], vcc
	s_cbranch_execz .LBB2050_80
; %bb.79:                               ;   in Loop: Header=BB2050_66 Depth=2
	global_load_ushort v109, v[20:21], off offset:512
.LBB2050_80:                            ;   in Loop: Header=BB2050_66 Depth=2
	s_or_b64 exec, exec, s[36:37]
	v_cmp_gt_u32_e32 vcc, s79, v85
	s_and_saveexec_b64 s[36:37], vcc
	s_cbranch_execz .LBB2050_82
; %bb.81:                               ;   in Loop: Header=BB2050_66 Depth=2
	global_load_ushort v104, v[20:21], off offset:640
.LBB2050_82:                            ;   in Loop: Header=BB2050_66 Depth=2
	s_or_b64 exec, exec, s[36:37]
	v_cmp_gt_u32_e32 vcc, s79, v86
	s_waitcnt vmcnt(0)
	v_mov_b32_e32 v22, 0x7fff
	s_and_saveexec_b64 s[36:37], vcc
	s_cbranch_execz .LBB2050_84
; %bb.83:                               ;   in Loop: Header=BB2050_66 Depth=2
	global_load_ushort v22, v[20:21], off offset:768
.LBB2050_84:                            ;   in Loop: Header=BB2050_66 Depth=2
	s_or_b64 exec, exec, s[36:37]
	s_sub_i32 s40, s76, s72
	v_cmp_gt_u32_e64 s[36:37], s79, v87
	s_movk_i32 s38, 0x7fff
	v_mov_b32_e32 v23, s38
	v_mov_b32_e32 v93, s79
	s_and_saveexec_b64 s[38:39], s[36:37]
	s_cbranch_execz .LBB2050_86
.LBB2050_85:                            ;   in Loop: Header=BB2050_66 Depth=2
	s_lshl_b64 s[36:37], s[72:73], 1
	v_mov_b32_e32 v21, s37
	v_add_co_u32_e32 v20, vcc, s36, v90
	v_addc_co_u32_e32 v21, vcc, v91, v21, vcc
	global_load_ushort v23, v[20:21], off
	v_mov_b32_e32 v93, s40
.LBB2050_86:                            ;   in Loop: Header=BB2050_66 Depth=2
	s_or_b64 exec, exec, s[38:39]
	s_waitcnt vmcnt(6)
	v_cmp_lt_i16_e32 vcc, -1, v5
	v_cndmask_b32_e32 v20, -1, v66, vcc
	v_xor_b32_e32 v94, v20, v5
	v_add_u32_e32 v5, 0x410, v41
	v_cmp_ne_u16_e32 vcc, s68, v94
	ds_write2_b32 v5, v4, v4 offset1:1
	ds_write2_b32 v43, v4, v4 offset0:2 offset1:3
	ds_write_b32 v43, v4 offset:16
	v_cndmask_b32_e32 v5, v66, v94, vcc
	v_lshrrev_b32_sdwa v5, s77, v5 dst_sel:DWORD dst_unused:UNUSED_PAD src0_sel:DWORD src1_sel:WORD_0
	v_and_b32_e32 v20, s78, v5
	v_mad_u32_u24 v5, v20, 5, v92
	v_lshl_add_u32 v95, v5, 2, v42
	v_and_b32_e32 v5, 1, v20
	v_add_co_u32_e32 v21, vcc, -1, v5
	v_addc_co_u32_e64 v96, s[36:37], 0, -1, vcc
	v_cmp_ne_u32_e32 vcc, 0, v5
	v_xor_b32_e32 v5, vcc_hi, v96
	v_and_b32_e32 v96, exec_hi, v5
	v_lshlrev_b32_e32 v5, 30, v20
	v_xor_b32_e32 v21, vcc_lo, v21
	v_cmp_gt_i64_e32 vcc, 0, v[4:5]
	v_not_b32_e32 v5, v5
	v_ashrrev_i32_e32 v5, 31, v5
	v_and_b32_e32 v21, exec_lo, v21
	v_xor_b32_e32 v98, vcc_hi, v5
	v_xor_b32_e32 v5, vcc_lo, v5
	v_and_b32_e32 v21, v21, v5
	v_lshlrev_b32_e32 v5, 29, v20
	v_cmp_gt_i64_e32 vcc, 0, v[4:5]
	v_not_b32_e32 v5, v5
	v_ashrrev_i32_e32 v5, 31, v5
	v_and_b32_e32 v96, v96, v98
	v_xor_b32_e32 v98, vcc_hi, v5
	v_xor_b32_e32 v5, vcc_lo, v5
	v_and_b32_e32 v21, v21, v5
	v_lshlrev_b32_e32 v5, 28, v20
	v_cmp_gt_i64_e32 vcc, 0, v[4:5]
	v_not_b32_e32 v5, v5
	v_ashrrev_i32_e32 v5, 31, v5
	v_and_b32_e32 v96, v96, v98
	v_xor_b32_e32 v98, vcc_hi, v5
	v_xor_b32_e32 v5, vcc_lo, v5
	v_and_b32_e32 v21, v21, v5
	v_lshlrev_b32_e32 v5, 27, v20
	v_cmp_gt_i64_e32 vcc, 0, v[4:5]
	v_not_b32_e32 v5, v5
	v_ashrrev_i32_e32 v5, 31, v5
	v_and_b32_e32 v96, v96, v98
	v_xor_b32_e32 v98, vcc_hi, v5
	v_xor_b32_e32 v5, vcc_lo, v5
	v_and_b32_e32 v21, v21, v5
	v_lshlrev_b32_e32 v5, 26, v20
	v_cmp_gt_i64_e32 vcc, 0, v[4:5]
	v_not_b32_e32 v5, v5
	v_ashrrev_i32_e32 v5, 31, v5
	v_and_b32_e32 v96, v96, v98
	v_xor_b32_e32 v98, vcc_hi, v5
	v_xor_b32_e32 v5, vcc_lo, v5
	v_and_b32_e32 v21, v21, v5
	v_lshlrev_b32_e32 v5, 25, v20
	v_cmp_gt_i64_e32 vcc, 0, v[4:5]
	v_not_b32_e32 v5, v5
	v_ashrrev_i32_e32 v5, 31, v5
	v_and_b32_e32 v96, v96, v98
	v_xor_b32_e32 v98, vcc_hi, v5
	v_xor_b32_e32 v5, vcc_lo, v5
	v_and_b32_e32 v96, v96, v98
	v_and_b32_e32 v98, v21, v5
	v_lshlrev_b32_e32 v5, 24, v20
	v_cmp_gt_i64_e32 vcc, 0, v[4:5]
	v_not_b32_e32 v5, v5
	v_ashrrev_i32_e32 v5, 31, v5
	v_xor_b32_e32 v20, vcc_hi, v5
	v_xor_b32_e32 v5, vcc_lo, v5
	v_and_b32_e32 v21, v96, v20
	v_and_b32_e32 v20, v98, v5
	v_mbcnt_lo_u32_b32 v5, v20, 0
	v_mbcnt_hi_u32_b32 v96, v21, v5
	v_cmp_eq_u32_e32 vcc, 0, v96
	v_cmp_ne_u64_e64 s[36:37], 0, v[20:21]
	s_and_b64 s[38:39], s[36:37], vcc
	s_waitcnt lgkmcnt(0)
	s_barrier
	s_waitcnt lgkmcnt(0)
	; wave barrier
	s_and_saveexec_b64 s[36:37], s[38:39]
	s_cbranch_execz .LBB2050_88
; %bb.87:                               ;   in Loop: Header=BB2050_66 Depth=2
	v_bcnt_u32_b32 v5, v20, 0
	v_bcnt_u32_b32 v5, v21, v5
	ds_write_b32 v95, v5
.LBB2050_88:                            ;   in Loop: Header=BB2050_66 Depth=2
	s_or_b64 exec, exec, s[36:37]
	s_waitcnt vmcnt(5)
	v_cmp_lt_i16_e32 vcc, -1, v97
	v_cndmask_b32_e32 v5, -1, v66, vcc
	v_xor_b32_e32 v97, v5, v97
	v_cmp_ne_u16_e32 vcc, s68, v97
	v_cndmask_b32_e32 v5, v66, v97, vcc
	v_lshrrev_b32_sdwa v5, s77, v5 dst_sel:DWORD dst_unused:UNUSED_PAD src0_sel:DWORD src1_sel:WORD_0
	v_and_b32_e32 v20, s78, v5
	v_mul_u32_u24_e32 v5, 5, v20
	v_add_lshl_u32 v5, v5, v92, 2
	; wave barrier
	v_add_u32_e32 v99, 0x410, v5
	ds_read_b32 v98, v5 offset:1040
	v_and_b32_e32 v5, 1, v20
	v_add_co_u32_e32 v21, vcc, -1, v5
	v_addc_co_u32_e64 v100, s[36:37], 0, -1, vcc
	v_cmp_ne_u32_e32 vcc, 0, v5
	v_xor_b32_e32 v5, vcc_hi, v100
	v_and_b32_e32 v100, exec_hi, v5
	v_lshlrev_b32_e32 v5, 30, v20
	v_xor_b32_e32 v21, vcc_lo, v21
	v_cmp_gt_i64_e32 vcc, 0, v[4:5]
	v_not_b32_e32 v5, v5
	v_ashrrev_i32_e32 v5, 31, v5
	v_and_b32_e32 v21, exec_lo, v21
	v_xor_b32_e32 v102, vcc_hi, v5
	v_xor_b32_e32 v5, vcc_lo, v5
	v_and_b32_e32 v21, v21, v5
	v_lshlrev_b32_e32 v5, 29, v20
	v_cmp_gt_i64_e32 vcc, 0, v[4:5]
	v_not_b32_e32 v5, v5
	v_ashrrev_i32_e32 v5, 31, v5
	v_and_b32_e32 v100, v100, v102
	v_xor_b32_e32 v102, vcc_hi, v5
	v_xor_b32_e32 v5, vcc_lo, v5
	v_and_b32_e32 v21, v21, v5
	v_lshlrev_b32_e32 v5, 28, v20
	v_cmp_gt_i64_e32 vcc, 0, v[4:5]
	v_not_b32_e32 v5, v5
	v_ashrrev_i32_e32 v5, 31, v5
	v_and_b32_e32 v100, v100, v102
	;; [unrolled: 8-line block ×5, first 2 shown]
	v_xor_b32_e32 v102, vcc_hi, v5
	v_xor_b32_e32 v5, vcc_lo, v5
	v_and_b32_e32 v100, v100, v102
	v_and_b32_e32 v102, v21, v5
	v_lshlrev_b32_e32 v5, 24, v20
	v_cmp_gt_i64_e32 vcc, 0, v[4:5]
	v_not_b32_e32 v5, v5
	v_ashrrev_i32_e32 v5, 31, v5
	v_xor_b32_e32 v20, vcc_hi, v5
	v_xor_b32_e32 v5, vcc_lo, v5
	v_and_b32_e32 v21, v100, v20
	v_and_b32_e32 v20, v102, v5
	v_mbcnt_lo_u32_b32 v5, v20, 0
	v_mbcnt_hi_u32_b32 v100, v21, v5
	v_cmp_eq_u32_e32 vcc, 0, v100
	v_cmp_ne_u64_e64 s[36:37], 0, v[20:21]
	s_and_b64 s[38:39], s[36:37], vcc
	; wave barrier
	s_and_saveexec_b64 s[36:37], s[38:39]
	s_cbranch_execz .LBB2050_90
; %bb.89:                               ;   in Loop: Header=BB2050_66 Depth=2
	v_bcnt_u32_b32 v5, v20, 0
	v_bcnt_u32_b32 v5, v21, v5
	s_waitcnt lgkmcnt(0)
	v_add_u32_e32 v5, v98, v5
	ds_write_b32 v99, v5
.LBB2050_90:                            ;   in Loop: Header=BB2050_66 Depth=2
	s_or_b64 exec, exec, s[36:37]
	s_waitcnt vmcnt(4)
	v_cmp_lt_i16_e32 vcc, -1, v101
	v_cndmask_b32_e32 v5, -1, v66, vcc
	v_xor_b32_e32 v101, v5, v101
	v_cmp_ne_u16_e32 vcc, s68, v101
	v_cndmask_b32_e32 v5, v66, v101, vcc
	v_lshrrev_b32_sdwa v5, s77, v5 dst_sel:DWORD dst_unused:UNUSED_PAD src0_sel:DWORD src1_sel:WORD_0
	v_and_b32_e32 v20, s78, v5
	v_mul_u32_u24_e32 v5, 5, v20
	v_add_lshl_u32 v5, v5, v92, 2
	; wave barrier
	v_add_u32_e32 v103, 0x410, v5
	ds_read_b32 v102, v5 offset:1040
	v_and_b32_e32 v5, 1, v20
	v_add_co_u32_e32 v21, vcc, -1, v5
	v_addc_co_u32_e64 v105, s[36:37], 0, -1, vcc
	v_cmp_ne_u32_e32 vcc, 0, v5
	v_xor_b32_e32 v5, vcc_hi, v105
	v_and_b32_e32 v105, exec_hi, v5
	v_lshlrev_b32_e32 v5, 30, v20
	v_xor_b32_e32 v21, vcc_lo, v21
	v_cmp_gt_i64_e32 vcc, 0, v[4:5]
	v_not_b32_e32 v5, v5
	v_ashrrev_i32_e32 v5, 31, v5
	v_and_b32_e32 v21, exec_lo, v21
	v_xor_b32_e32 v107, vcc_hi, v5
	v_xor_b32_e32 v5, vcc_lo, v5
	v_and_b32_e32 v21, v21, v5
	v_lshlrev_b32_e32 v5, 29, v20
	v_cmp_gt_i64_e32 vcc, 0, v[4:5]
	v_not_b32_e32 v5, v5
	v_ashrrev_i32_e32 v5, 31, v5
	v_and_b32_e32 v105, v105, v107
	v_xor_b32_e32 v107, vcc_hi, v5
	v_xor_b32_e32 v5, vcc_lo, v5
	v_and_b32_e32 v21, v21, v5
	v_lshlrev_b32_e32 v5, 28, v20
	v_cmp_gt_i64_e32 vcc, 0, v[4:5]
	v_not_b32_e32 v5, v5
	v_ashrrev_i32_e32 v5, 31, v5
	v_and_b32_e32 v105, v105, v107
	v_xor_b32_e32 v107, vcc_hi, v5
	v_xor_b32_e32 v5, vcc_lo, v5
	v_and_b32_e32 v21, v21, v5
	v_lshlrev_b32_e32 v5, 27, v20
	v_cmp_gt_i64_e32 vcc, 0, v[4:5]
	v_not_b32_e32 v5, v5
	v_ashrrev_i32_e32 v5, 31, v5
	v_and_b32_e32 v105, v105, v107
	v_xor_b32_e32 v107, vcc_hi, v5
	v_xor_b32_e32 v5, vcc_lo, v5
	v_and_b32_e32 v21, v21, v5
	v_lshlrev_b32_e32 v5, 26, v20
	v_cmp_gt_i64_e32 vcc, 0, v[4:5]
	v_not_b32_e32 v5, v5
	v_ashrrev_i32_e32 v5, 31, v5
	v_and_b32_e32 v105, v105, v107
	v_xor_b32_e32 v107, vcc_hi, v5
	v_xor_b32_e32 v5, vcc_lo, v5
	v_and_b32_e32 v21, v21, v5
	v_lshlrev_b32_e32 v5, 25, v20
	v_cmp_gt_i64_e32 vcc, 0, v[4:5]
	v_not_b32_e32 v5, v5
	v_ashrrev_i32_e32 v5, 31, v5
	v_and_b32_e32 v105, v105, v107
	v_xor_b32_e32 v107, vcc_hi, v5
	v_xor_b32_e32 v5, vcc_lo, v5
	v_and_b32_e32 v105, v105, v107
	v_and_b32_e32 v107, v21, v5
	v_lshlrev_b32_e32 v5, 24, v20
	v_cmp_gt_i64_e32 vcc, 0, v[4:5]
	v_not_b32_e32 v5, v5
	v_ashrrev_i32_e32 v5, 31, v5
	v_xor_b32_e32 v20, vcc_hi, v5
	v_xor_b32_e32 v5, vcc_lo, v5
	v_and_b32_e32 v21, v105, v20
	v_and_b32_e32 v20, v107, v5
	v_mbcnt_lo_u32_b32 v5, v20, 0
	v_mbcnt_hi_u32_b32 v105, v21, v5
	v_cmp_eq_u32_e32 vcc, 0, v105
	v_cmp_ne_u64_e64 s[36:37], 0, v[20:21]
	s_and_b64 s[38:39], s[36:37], vcc
	; wave barrier
	s_and_saveexec_b64 s[36:37], s[38:39]
	s_cbranch_execz .LBB2050_92
; %bb.91:                               ;   in Loop: Header=BB2050_66 Depth=2
	v_bcnt_u32_b32 v5, v20, 0
	v_bcnt_u32_b32 v5, v21, v5
	s_waitcnt lgkmcnt(0)
	v_add_u32_e32 v5, v102, v5
	ds_write_b32 v103, v5
.LBB2050_92:                            ;   in Loop: Header=BB2050_66 Depth=2
	s_or_b64 exec, exec, s[36:37]
	s_waitcnt vmcnt(3)
	v_cmp_lt_i16_e32 vcc, -1, v106
	v_cndmask_b32_e32 v5, -1, v66, vcc
	v_xor_b32_e32 v106, v5, v106
	v_cmp_ne_u16_e32 vcc, s68, v106
	v_cndmask_b32_e32 v5, v66, v106, vcc
	v_lshrrev_b32_sdwa v5, s77, v5 dst_sel:DWORD dst_unused:UNUSED_PAD src0_sel:DWORD src1_sel:WORD_0
	v_and_b32_e32 v20, s78, v5
	v_mul_u32_u24_e32 v5, 5, v20
	v_add_lshl_u32 v5, v5, v92, 2
	; wave barrier
	v_add_u32_e32 v108, 0x410, v5
	ds_read_b32 v107, v5 offset:1040
	v_and_b32_e32 v5, 1, v20
	v_add_co_u32_e32 v21, vcc, -1, v5
	v_addc_co_u32_e64 v110, s[36:37], 0, -1, vcc
	v_cmp_ne_u32_e32 vcc, 0, v5
	v_xor_b32_e32 v5, vcc_hi, v110
	v_and_b32_e32 v110, exec_hi, v5
	v_lshlrev_b32_e32 v5, 30, v20
	v_xor_b32_e32 v21, vcc_lo, v21
	v_cmp_gt_i64_e32 vcc, 0, v[4:5]
	v_not_b32_e32 v5, v5
	v_ashrrev_i32_e32 v5, 31, v5
	v_and_b32_e32 v21, exec_lo, v21
	v_xor_b32_e32 v111, vcc_hi, v5
	v_xor_b32_e32 v5, vcc_lo, v5
	v_and_b32_e32 v21, v21, v5
	v_lshlrev_b32_e32 v5, 29, v20
	v_cmp_gt_i64_e32 vcc, 0, v[4:5]
	v_not_b32_e32 v5, v5
	v_ashrrev_i32_e32 v5, 31, v5
	v_and_b32_e32 v110, v110, v111
	v_xor_b32_e32 v111, vcc_hi, v5
	v_xor_b32_e32 v5, vcc_lo, v5
	v_and_b32_e32 v21, v21, v5
	v_lshlrev_b32_e32 v5, 28, v20
	v_cmp_gt_i64_e32 vcc, 0, v[4:5]
	v_not_b32_e32 v5, v5
	v_ashrrev_i32_e32 v5, 31, v5
	v_and_b32_e32 v110, v110, v111
	;; [unrolled: 8-line block ×5, first 2 shown]
	v_xor_b32_e32 v111, vcc_hi, v5
	v_xor_b32_e32 v5, vcc_lo, v5
	v_and_b32_e32 v110, v110, v111
	v_and_b32_e32 v111, v21, v5
	v_lshlrev_b32_e32 v5, 24, v20
	v_cmp_gt_i64_e32 vcc, 0, v[4:5]
	v_not_b32_e32 v5, v5
	v_ashrrev_i32_e32 v5, 31, v5
	v_xor_b32_e32 v20, vcc_hi, v5
	v_xor_b32_e32 v5, vcc_lo, v5
	v_and_b32_e32 v21, v110, v20
	v_and_b32_e32 v20, v111, v5
	v_mbcnt_lo_u32_b32 v5, v20, 0
	v_mbcnt_hi_u32_b32 v110, v21, v5
	v_cmp_eq_u32_e32 vcc, 0, v110
	v_cmp_ne_u64_e64 s[36:37], 0, v[20:21]
	s_and_b64 s[38:39], s[36:37], vcc
	; wave barrier
	s_and_saveexec_b64 s[36:37], s[38:39]
	s_cbranch_execz .LBB2050_94
; %bb.93:                               ;   in Loop: Header=BB2050_66 Depth=2
	v_bcnt_u32_b32 v5, v20, 0
	v_bcnt_u32_b32 v5, v21, v5
	s_waitcnt lgkmcnt(0)
	v_add_u32_e32 v5, v107, v5
	ds_write_b32 v108, v5
.LBB2050_94:                            ;   in Loop: Header=BB2050_66 Depth=2
	s_or_b64 exec, exec, s[36:37]
	s_waitcnt vmcnt(2)
	v_cmp_lt_i16_e32 vcc, -1, v109
	v_cndmask_b32_e32 v5, -1, v66, vcc
	v_xor_b32_e32 v109, v5, v109
	v_cmp_ne_u16_e32 vcc, s68, v109
	v_cndmask_b32_e32 v5, v66, v109, vcc
	v_lshrrev_b32_sdwa v5, s77, v5 dst_sel:DWORD dst_unused:UNUSED_PAD src0_sel:DWORD src1_sel:WORD_0
	v_and_b32_e32 v20, s78, v5
	v_mul_u32_u24_e32 v5, 5, v20
	v_add_lshl_u32 v5, v5, v92, 2
	; wave barrier
	v_add_u32_e32 v112, 0x410, v5
	ds_read_b32 v111, v5 offset:1040
	v_and_b32_e32 v5, 1, v20
	v_add_co_u32_e32 v21, vcc, -1, v5
	v_addc_co_u32_e64 v113, s[36:37], 0, -1, vcc
	v_cmp_ne_u32_e32 vcc, 0, v5
	v_xor_b32_e32 v5, vcc_hi, v113
	v_and_b32_e32 v113, exec_hi, v5
	v_lshlrev_b32_e32 v5, 30, v20
	v_xor_b32_e32 v21, vcc_lo, v21
	v_cmp_gt_i64_e32 vcc, 0, v[4:5]
	v_not_b32_e32 v5, v5
	v_ashrrev_i32_e32 v5, 31, v5
	v_and_b32_e32 v21, exec_lo, v21
	v_xor_b32_e32 v114, vcc_hi, v5
	v_xor_b32_e32 v5, vcc_lo, v5
	v_and_b32_e32 v21, v21, v5
	v_lshlrev_b32_e32 v5, 29, v20
	v_cmp_gt_i64_e32 vcc, 0, v[4:5]
	v_not_b32_e32 v5, v5
	v_ashrrev_i32_e32 v5, 31, v5
	v_and_b32_e32 v113, v113, v114
	v_xor_b32_e32 v114, vcc_hi, v5
	v_xor_b32_e32 v5, vcc_lo, v5
	v_and_b32_e32 v21, v21, v5
	v_lshlrev_b32_e32 v5, 28, v20
	v_cmp_gt_i64_e32 vcc, 0, v[4:5]
	v_not_b32_e32 v5, v5
	v_ashrrev_i32_e32 v5, 31, v5
	v_and_b32_e32 v113, v113, v114
	v_xor_b32_e32 v114, vcc_hi, v5
	v_xor_b32_e32 v5, vcc_lo, v5
	v_and_b32_e32 v21, v21, v5
	v_lshlrev_b32_e32 v5, 27, v20
	v_cmp_gt_i64_e32 vcc, 0, v[4:5]
	v_not_b32_e32 v5, v5
	v_ashrrev_i32_e32 v5, 31, v5
	v_and_b32_e32 v113, v113, v114
	v_xor_b32_e32 v114, vcc_hi, v5
	v_xor_b32_e32 v5, vcc_lo, v5
	v_and_b32_e32 v21, v21, v5
	v_lshlrev_b32_e32 v5, 26, v20
	v_cmp_gt_i64_e32 vcc, 0, v[4:5]
	v_not_b32_e32 v5, v5
	v_ashrrev_i32_e32 v5, 31, v5
	v_and_b32_e32 v113, v113, v114
	v_xor_b32_e32 v114, vcc_hi, v5
	v_xor_b32_e32 v5, vcc_lo, v5
	v_and_b32_e32 v21, v21, v5
	v_lshlrev_b32_e32 v5, 25, v20
	v_cmp_gt_i64_e32 vcc, 0, v[4:5]
	v_not_b32_e32 v5, v5
	v_ashrrev_i32_e32 v5, 31, v5
	v_and_b32_e32 v113, v113, v114
	v_xor_b32_e32 v114, vcc_hi, v5
	v_xor_b32_e32 v5, vcc_lo, v5
	v_and_b32_e32 v113, v113, v114
	v_and_b32_e32 v114, v21, v5
	v_lshlrev_b32_e32 v5, 24, v20
	v_cmp_gt_i64_e32 vcc, 0, v[4:5]
	v_not_b32_e32 v5, v5
	v_ashrrev_i32_e32 v5, 31, v5
	v_xor_b32_e32 v20, vcc_hi, v5
	v_xor_b32_e32 v5, vcc_lo, v5
	v_and_b32_e32 v21, v113, v20
	v_and_b32_e32 v20, v114, v5
	v_mbcnt_lo_u32_b32 v5, v20, 0
	v_mbcnt_hi_u32_b32 v113, v21, v5
	v_cmp_eq_u32_e32 vcc, 0, v113
	v_cmp_ne_u64_e64 s[36:37], 0, v[20:21]
	s_and_b64 s[38:39], s[36:37], vcc
	; wave barrier
	s_and_saveexec_b64 s[36:37], s[38:39]
	s_cbranch_execz .LBB2050_96
; %bb.95:                               ;   in Loop: Header=BB2050_66 Depth=2
	v_bcnt_u32_b32 v5, v20, 0
	v_bcnt_u32_b32 v5, v21, v5
	s_waitcnt lgkmcnt(0)
	v_add_u32_e32 v5, v111, v5
	ds_write_b32 v112, v5
.LBB2050_96:                            ;   in Loop: Header=BB2050_66 Depth=2
	s_or_b64 exec, exec, s[36:37]
	s_waitcnt vmcnt(1)
	v_cmp_lt_i16_e32 vcc, -1, v104
	v_cndmask_b32_e32 v5, -1, v66, vcc
	v_xor_b32_e32 v104, v5, v104
	v_cmp_ne_u16_e32 vcc, s68, v104
	v_cndmask_b32_e32 v5, v66, v104, vcc
	v_lshrrev_b32_sdwa v5, s77, v5 dst_sel:DWORD dst_unused:UNUSED_PAD src0_sel:DWORD src1_sel:WORD_0
	v_and_b32_e32 v20, s78, v5
	v_mul_u32_u24_e32 v5, 5, v20
	v_add_lshl_u32 v5, v5, v92, 2
	; wave barrier
	v_add_u32_e32 v115, 0x410, v5
	ds_read_b32 v114, v5 offset:1040
	v_and_b32_e32 v5, 1, v20
	v_add_co_u32_e32 v21, vcc, -1, v5
	v_addc_co_u32_e64 v116, s[36:37], 0, -1, vcc
	v_cmp_ne_u32_e32 vcc, 0, v5
	v_xor_b32_e32 v5, vcc_hi, v116
	v_and_b32_e32 v116, exec_hi, v5
	v_lshlrev_b32_e32 v5, 30, v20
	v_xor_b32_e32 v21, vcc_lo, v21
	v_cmp_gt_i64_e32 vcc, 0, v[4:5]
	v_not_b32_e32 v5, v5
	v_ashrrev_i32_e32 v5, 31, v5
	v_and_b32_e32 v21, exec_lo, v21
	v_xor_b32_e32 v117, vcc_hi, v5
	v_xor_b32_e32 v5, vcc_lo, v5
	v_and_b32_e32 v21, v21, v5
	v_lshlrev_b32_e32 v5, 29, v20
	v_cmp_gt_i64_e32 vcc, 0, v[4:5]
	v_not_b32_e32 v5, v5
	v_ashrrev_i32_e32 v5, 31, v5
	v_and_b32_e32 v116, v116, v117
	v_xor_b32_e32 v117, vcc_hi, v5
	v_xor_b32_e32 v5, vcc_lo, v5
	v_and_b32_e32 v21, v21, v5
	v_lshlrev_b32_e32 v5, 28, v20
	v_cmp_gt_i64_e32 vcc, 0, v[4:5]
	v_not_b32_e32 v5, v5
	v_ashrrev_i32_e32 v5, 31, v5
	v_and_b32_e32 v116, v116, v117
	;; [unrolled: 8-line block ×5, first 2 shown]
	v_xor_b32_e32 v117, vcc_hi, v5
	v_xor_b32_e32 v5, vcc_lo, v5
	v_and_b32_e32 v116, v116, v117
	v_and_b32_e32 v117, v21, v5
	v_lshlrev_b32_e32 v5, 24, v20
	v_cmp_gt_i64_e32 vcc, 0, v[4:5]
	v_not_b32_e32 v5, v5
	v_ashrrev_i32_e32 v5, 31, v5
	v_xor_b32_e32 v20, vcc_hi, v5
	v_xor_b32_e32 v5, vcc_lo, v5
	v_and_b32_e32 v21, v116, v20
	v_and_b32_e32 v20, v117, v5
	v_mbcnt_lo_u32_b32 v5, v20, 0
	v_mbcnt_hi_u32_b32 v116, v21, v5
	v_cmp_eq_u32_e32 vcc, 0, v116
	v_cmp_ne_u64_e64 s[36:37], 0, v[20:21]
	s_and_b64 s[38:39], s[36:37], vcc
	; wave barrier
	s_and_saveexec_b64 s[36:37], s[38:39]
	s_cbranch_execz .LBB2050_98
; %bb.97:                               ;   in Loop: Header=BB2050_66 Depth=2
	v_bcnt_u32_b32 v5, v20, 0
	v_bcnt_u32_b32 v5, v21, v5
	s_waitcnt lgkmcnt(0)
	v_add_u32_e32 v5, v114, v5
	ds_write_b32 v115, v5
.LBB2050_98:                            ;   in Loop: Header=BB2050_66 Depth=2
	s_or_b64 exec, exec, s[36:37]
	s_waitcnt vmcnt(0)
	v_cmp_lt_i16_e32 vcc, -1, v22
	v_cndmask_b32_e32 v5, -1, v66, vcc
	v_xor_b32_e32 v117, v5, v22
	v_cmp_ne_u16_e32 vcc, s68, v117
	v_cndmask_b32_e32 v5, v66, v117, vcc
	v_lshrrev_b32_sdwa v5, s77, v5 dst_sel:DWORD dst_unused:UNUSED_PAD src0_sel:DWORD src1_sel:WORD_0
	v_and_b32_e32 v20, s78, v5
	v_mul_u32_u24_e32 v5, 5, v20
	v_add_lshl_u32 v5, v5, v92, 2
	; wave barrier
	v_add_u32_e32 v119, 0x410, v5
	ds_read_b32 v118, v5 offset:1040
	v_and_b32_e32 v5, 1, v20
	v_add_co_u32_e32 v21, vcc, -1, v5
	v_addc_co_u32_e64 v22, s[36:37], 0, -1, vcc
	v_cmp_ne_u32_e32 vcc, 0, v5
	v_xor_b32_e32 v5, vcc_hi, v22
	v_and_b32_e32 v22, exec_hi, v5
	v_lshlrev_b32_e32 v5, 30, v20
	v_xor_b32_e32 v21, vcc_lo, v21
	v_cmp_gt_i64_e32 vcc, 0, v[4:5]
	v_not_b32_e32 v5, v5
	v_ashrrev_i32_e32 v5, 31, v5
	v_and_b32_e32 v21, exec_lo, v21
	v_xor_b32_e32 v120, vcc_hi, v5
	v_xor_b32_e32 v5, vcc_lo, v5
	v_and_b32_e32 v21, v21, v5
	v_lshlrev_b32_e32 v5, 29, v20
	v_cmp_gt_i64_e32 vcc, 0, v[4:5]
	v_not_b32_e32 v5, v5
	v_ashrrev_i32_e32 v5, 31, v5
	v_and_b32_e32 v22, v22, v120
	v_xor_b32_e32 v120, vcc_hi, v5
	v_xor_b32_e32 v5, vcc_lo, v5
	v_and_b32_e32 v21, v21, v5
	v_lshlrev_b32_e32 v5, 28, v20
	v_cmp_gt_i64_e32 vcc, 0, v[4:5]
	v_not_b32_e32 v5, v5
	v_ashrrev_i32_e32 v5, 31, v5
	v_and_b32_e32 v22, v22, v120
	;; [unrolled: 8-line block ×5, first 2 shown]
	v_xor_b32_e32 v120, vcc_hi, v5
	v_xor_b32_e32 v5, vcc_lo, v5
	v_and_b32_e32 v22, v22, v120
	v_and_b32_e32 v120, v21, v5
	v_lshlrev_b32_e32 v5, 24, v20
	v_cmp_gt_i64_e32 vcc, 0, v[4:5]
	v_not_b32_e32 v5, v5
	v_ashrrev_i32_e32 v5, 31, v5
	v_xor_b32_e32 v20, vcc_hi, v5
	v_xor_b32_e32 v5, vcc_lo, v5
	v_and_b32_e32 v21, v22, v20
	v_and_b32_e32 v20, v120, v5
	v_mbcnt_lo_u32_b32 v5, v20, 0
	v_mbcnt_hi_u32_b32 v120, v21, v5
	v_cmp_eq_u32_e32 vcc, 0, v120
	v_cmp_ne_u64_e64 s[36:37], 0, v[20:21]
	s_and_b64 s[38:39], s[36:37], vcc
	; wave barrier
	s_and_saveexec_b64 s[36:37], s[38:39]
	s_cbranch_execz .LBB2050_100
; %bb.99:                               ;   in Loop: Header=BB2050_66 Depth=2
	v_bcnt_u32_b32 v5, v20, 0
	v_bcnt_u32_b32 v5, v21, v5
	s_waitcnt lgkmcnt(0)
	v_add_u32_e32 v5, v118, v5
	ds_write_b32 v119, v5
.LBB2050_100:                           ;   in Loop: Header=BB2050_66 Depth=2
	s_or_b64 exec, exec, s[36:37]
	v_cmp_lt_i16_e32 vcc, -1, v23
	v_cndmask_b32_e32 v5, -1, v66, vcc
	v_xor_b32_e32 v121, v5, v23
	v_cmp_ne_u16_e32 vcc, s68, v121
	v_cndmask_b32_e32 v5, v66, v121, vcc
	v_lshrrev_b32_sdwa v5, s77, v5 dst_sel:DWORD dst_unused:UNUSED_PAD src0_sel:DWORD src1_sel:WORD_0
	v_and_b32_e32 v20, s78, v5
	v_mul_u32_u24_e32 v5, 5, v20
	v_add_lshl_u32 v5, v5, v92, 2
	; wave barrier
	v_add_u32_e32 v123, 0x410, v5
	ds_read_b32 v122, v5 offset:1040
	v_and_b32_e32 v5, 1, v20
	v_add_co_u32_e32 v21, vcc, -1, v5
	v_addc_co_u32_e64 v22, s[36:37], 0, -1, vcc
	v_cmp_ne_u32_e32 vcc, 0, v5
	v_xor_b32_e32 v5, vcc_hi, v22
	v_and_b32_e32 v22, exec_hi, v5
	v_lshlrev_b32_e32 v5, 30, v20
	v_xor_b32_e32 v21, vcc_lo, v21
	v_cmp_gt_i64_e32 vcc, 0, v[4:5]
	v_not_b32_e32 v5, v5
	v_ashrrev_i32_e32 v5, 31, v5
	v_and_b32_e32 v21, exec_lo, v21
	v_xor_b32_e32 v23, vcc_hi, v5
	v_xor_b32_e32 v5, vcc_lo, v5
	v_and_b32_e32 v21, v21, v5
	v_lshlrev_b32_e32 v5, 29, v20
	v_cmp_gt_i64_e32 vcc, 0, v[4:5]
	v_not_b32_e32 v5, v5
	v_ashrrev_i32_e32 v5, 31, v5
	v_and_b32_e32 v22, v22, v23
	v_xor_b32_e32 v23, vcc_hi, v5
	v_xor_b32_e32 v5, vcc_lo, v5
	v_and_b32_e32 v21, v21, v5
	v_lshlrev_b32_e32 v5, 28, v20
	v_cmp_gt_i64_e32 vcc, 0, v[4:5]
	v_not_b32_e32 v5, v5
	v_ashrrev_i32_e32 v5, 31, v5
	v_and_b32_e32 v22, v22, v23
	;; [unrolled: 8-line block ×5, first 2 shown]
	v_xor_b32_e32 v23, vcc_hi, v5
	v_xor_b32_e32 v5, vcc_lo, v5
	v_and_b32_e32 v22, v22, v23
	v_and_b32_e32 v23, v21, v5
	v_lshlrev_b32_e32 v5, 24, v20
	v_cmp_gt_i64_e32 vcc, 0, v[4:5]
	v_not_b32_e32 v5, v5
	v_ashrrev_i32_e32 v5, 31, v5
	v_xor_b32_e32 v20, vcc_hi, v5
	v_xor_b32_e32 v5, vcc_lo, v5
	v_and_b32_e32 v21, v22, v20
	v_and_b32_e32 v20, v23, v5
	v_mbcnt_lo_u32_b32 v5, v20, 0
	v_mbcnt_hi_u32_b32 v124, v21, v5
	v_cmp_eq_u32_e32 vcc, 0, v124
	v_cmp_ne_u64_e64 s[36:37], 0, v[20:21]
	s_and_b64 s[38:39], s[36:37], vcc
	; wave barrier
	s_and_saveexec_b64 s[36:37], s[38:39]
	s_cbranch_execz .LBB2050_102
; %bb.101:                              ;   in Loop: Header=BB2050_66 Depth=2
	v_bcnt_u32_b32 v5, v20, 0
	v_bcnt_u32_b32 v5, v21, v5
	s_waitcnt lgkmcnt(0)
	v_add_u32_e32 v5, v122, v5
	ds_write_b32 v123, v5
.LBB2050_102:                           ;   in Loop: Header=BB2050_66 Depth=2
	s_or_b64 exec, exec, s[36:37]
	; wave barrier
	s_waitcnt lgkmcnt(0)
	s_barrier
	ds_read_b32 v5, v41 offset:1040
	ds_read2_b32 v[22:23], v43 offset0:1 offset1:2
	ds_read2_b32 v[20:21], v43 offset0:3 offset1:4
	s_waitcnt lgkmcnt(1)
	v_add3_u32 v125, v22, v5, v23
	s_waitcnt lgkmcnt(0)
	v_add3_u32 v21, v125, v20, v21
	s_nop 1
	v_mov_b32_dpp v125, v21 row_shr:1 row_mask:0xf bank_mask:0xf
	v_cndmask_b32_e64 v125, v125, 0, s[16:17]
	v_add_u32_e32 v21, v125, v21
	s_nop 1
	v_mov_b32_dpp v125, v21 row_shr:2 row_mask:0xf bank_mask:0xf
	v_cndmask_b32_e64 v125, 0, v125, s[18:19]
	v_add_u32_e32 v21, v21, v125
	;; [unrolled: 4-line block ×4, first 2 shown]
	s_nop 1
	v_mov_b32_dpp v125, v21 row_bcast:15 row_mask:0xf bank_mask:0xf
	v_cndmask_b32_e64 v125, v125, 0, s[24:25]
	v_add_u32_e32 v21, v21, v125
	s_nop 1
	v_mov_b32_dpp v125, v21 row_bcast:31 row_mask:0xf bank_mask:0xf
	v_cndmask_b32_e64 v125, 0, v125, s[26:27]
	v_add_u32_e32 v21, v21, v125
	s_and_saveexec_b64 s[36:37], s[6:7]
	s_cbranch_execz .LBB2050_104
; %bb.103:                              ;   in Loop: Header=BB2050_66 Depth=2
	ds_write_b32 v34, v21 offset:1024
.LBB2050_104:                           ;   in Loop: Header=BB2050_66 Depth=2
	s_or_b64 exec, exec, s[36:37]
	s_waitcnt lgkmcnt(0)
	s_barrier
	s_and_saveexec_b64 s[36:37], s[8:9]
	s_cbranch_execz .LBB2050_106
; %bb.105:                              ;   in Loop: Header=BB2050_66 Depth=2
	ds_read_b32 v125, v44 offset:1024
	s_waitcnt lgkmcnt(0)
	s_nop 0
	v_mov_b32_dpp v126, v125 row_shr:1 row_mask:0xf bank_mask:0xf
	v_cndmask_b32_e64 v126, v126, 0, s[30:31]
	v_add_u32_e32 v125, v126, v125
	s_nop 1
	v_mov_b32_dpp v126, v125 row_shr:2 row_mask:0xf bank_mask:0xf
	v_cndmask_b32_e64 v126, 0, v126, s[34:35]
	v_add_u32_e32 v125, v125, v126
	ds_write_b32 v44, v125 offset:1024
.LBB2050_106:                           ;   in Loop: Header=BB2050_66 Depth=2
	s_or_b64 exec, exec, s[36:37]
	v_mov_b32_e32 v125, 0
	s_waitcnt lgkmcnt(0)
	s_barrier
	s_and_saveexec_b64 s[36:37], s[10:11]
	s_cbranch_execz .LBB2050_108
; %bb.107:                              ;   in Loop: Header=BB2050_66 Depth=2
	ds_read_b32 v125, v34 offset:1020
.LBB2050_108:                           ;   in Loop: Header=BB2050_66 Depth=2
	s_or_b64 exec, exec, s[36:37]
	s_waitcnt lgkmcnt(0)
	v_add_u32_e32 v21, v125, v21
	ds_bpermute_b32 v21, v69, v21
	s_waitcnt lgkmcnt(0)
	v_cndmask_b32_e64 v21, v21, v125, s[28:29]
	v_cndmask_b32_e64 v21, v21, 0, s[12:13]
	v_add_u32_e32 v5, v21, v5
	ds_write_b32 v41, v21 offset:1040
	v_add_u32_e32 v21, v5, v22
	v_add_u32_e32 v22, v21, v23
	ds_write2_b32 v43, v5, v21 offset0:1 offset1:2
	v_add_u32_e32 v5, v22, v20
	ds_write2_b32 v43, v22, v5 offset0:3 offset1:4
	s_waitcnt lgkmcnt(0)
	s_barrier
	ds_read_b32 v20, v99
	ds_read_b32 v21, v103
	;; [unrolled: 1-line block ×8, first 2 shown]
	ds_read_b32 v99, v41 offset:1040
	v_mov_b32_e32 v5, 0x800
	s_and_saveexec_b64 s[36:37], s[14:15]
	s_cbranch_execz .LBB2050_110
; %bb.109:                              ;   in Loop: Header=BB2050_66 Depth=2
	ds_read_b32 v5, v41 offset:1060
.LBB2050_110:                           ;   in Loop: Header=BB2050_66 Depth=2
	s_or_b64 exec, exec, s[36:37]
	s_waitcnt lgkmcnt(0)
	s_barrier
	s_and_saveexec_b64 s[36:37], s[4:5]
	s_cbranch_execz .LBB2050_112
; %bb.111:                              ;   in Loop: Header=BB2050_66 Depth=2
	ds_read_b32 v103, v3
	s_waitcnt lgkmcnt(0)
	v_sub_u32_e32 v99, v103, v99
	ds_write_b32 v3, v99
.LBB2050_112:                           ;   in Loop: Header=BB2050_66 Depth=2
	s_or_b64 exec, exec, s[36:37]
	v_add_u32_e32 v103, v95, v96
	v_add3_u32 v100, v100, v98, v20
	v_lshlrev_b32_e32 v20, 1, v103
	v_add3_u32 v99, v105, v102, v21
	ds_write_b16 v20, v94 offset:1024
	v_lshlrev_b32_e32 v20, 1, v100
	v_add3_u32 v98, v110, v107, v22
	ds_write_b16 v20, v97 offset:1024
	;; [unrolled: 3-line block ×6, first 2 shown]
	v_lshlrev_b32_e32 v20, 1, v23
	ds_write_b16 v20, v117 offset:1024
	v_lshlrev_b32_e32 v20, 1, v22
	v_cmp_lt_u32_e32 vcc, v2, v93
	ds_write_b16 v20, v121 offset:1024
	s_waitcnt lgkmcnt(0)
	s_barrier
	s_and_saveexec_b64 s[38:39], vcc
	s_cbranch_execz .LBB2050_120
; %bb.113:                              ;   in Loop: Header=BB2050_66 Depth=2
	ds_read_u16 v20, v49 offset:1024
	v_mov_b32_e32 v21, v4
	v_mov_b32_e32 v97, s59
	s_waitcnt lgkmcnt(0)
	v_cmp_ne_u16_e64 s[36:37], s68, v20
	v_cndmask_b32_e64 v94, v66, v20, s[36:37]
	v_lshrrev_b32_sdwa v94, s77, v94 dst_sel:DWORD dst_unused:UNUSED_PAD src0_sel:DWORD src1_sel:WORD_0
	v_and_b32_e32 v94, s78, v94
	v_lshlrev_b32_e32 v94, 2, v94
	ds_read_b32 v94, v94
	v_cmp_lt_i16_e64 s[36:37], -1, v20
	v_cndmask_b32_e64 v101, v66, -1, s[36:37]
	v_xor_b32_e32 v101, v101, v20
	s_waitcnt lgkmcnt(0)
	v_add_u32_e32 v20, v94, v2
	v_lshlrev_b64 v[20:21], 1, v[20:21]
	v_add_co_u32_e64 v20, s[36:37], s58, v20
	v_addc_co_u32_e64 v21, s[36:37], v97, v21, s[36:37]
	global_store_short v[20:21], v101, off
	s_or_b64 exec, exec, s[38:39]
	v_cmp_lt_u32_e64 s[36:37], v24, v93
	s_and_saveexec_b64 s[40:41], s[36:37]
	s_cbranch_execnz .LBB2050_121
.LBB2050_114:                           ;   in Loop: Header=BB2050_66 Depth=2
	s_or_b64 exec, exec, s[40:41]
	v_cmp_lt_u32_e64 s[38:39], v25, v93
	s_and_saveexec_b64 s[42:43], s[38:39]
	s_cbranch_execz .LBB2050_122
.LBB2050_115:                           ;   in Loop: Header=BB2050_66 Depth=2
	ds_read_u16 v20, v50 offset:1024
	v_mov_b32_e32 v21, v4
	v_mov_b32_e32 v97, s59
	s_waitcnt lgkmcnt(0)
	v_cmp_ne_u16_e64 s[40:41], s68, v20
	v_cndmask_b32_e64 v94, v66, v20, s[40:41]
	v_lshrrev_b32_sdwa v94, s77, v94 dst_sel:DWORD dst_unused:UNUSED_PAD src0_sel:DWORD src1_sel:WORD_0
	v_and_b32_e32 v94, s78, v94
	v_lshlrev_b32_e32 v94, 2, v94
	ds_read_b32 v94, v94
	v_cmp_lt_i16_e64 s[40:41], -1, v20
	v_cndmask_b32_e64 v101, v66, -1, s[40:41]
	v_xor_b32_e32 v101, v101, v20
	s_waitcnt lgkmcnt(0)
	v_add_u32_e32 v20, v94, v25
	v_lshlrev_b64 v[20:21], 1, v[20:21]
	v_add_co_u32_e64 v20, s[40:41], s58, v20
	v_addc_co_u32_e64 v21, s[40:41], v97, v21, s[40:41]
	global_store_short v[20:21], v101, off
	s_or_b64 exec, exec, s[42:43]
	v_cmp_lt_u32_e64 s[40:41], v26, v93
	s_and_saveexec_b64 s[44:45], s[40:41]
	s_cbranch_execnz .LBB2050_123
.LBB2050_116:                           ;   in Loop: Header=BB2050_66 Depth=2
	s_or_b64 exec, exec, s[44:45]
	v_cmp_lt_u32_e64 s[42:43], v29, v93
	s_and_saveexec_b64 s[46:47], s[42:43]
	s_cbranch_execz .LBB2050_124
.LBB2050_117:                           ;   in Loop: Header=BB2050_66 Depth=2
	ds_read_u16 v20, v50 offset:2048
	v_mov_b32_e32 v21, v4
	v_mov_b32_e32 v97, s59
	s_waitcnt lgkmcnt(0)
	v_cmp_ne_u16_e64 s[44:45], s68, v20
	v_cndmask_b32_e64 v94, v66, v20, s[44:45]
	v_lshrrev_b32_sdwa v94, s77, v94 dst_sel:DWORD dst_unused:UNUSED_PAD src0_sel:DWORD src1_sel:WORD_0
	v_and_b32_e32 v94, s78, v94
	v_lshlrev_b32_e32 v94, 2, v94
	ds_read_b32 v94, v94
	v_cmp_lt_i16_e64 s[44:45], -1, v20
	v_cndmask_b32_e64 v101, v66, -1, s[44:45]
	v_xor_b32_e32 v101, v101, v20
	s_waitcnt lgkmcnt(0)
	v_add_u32_e32 v20, v94, v29
	v_lshlrev_b64 v[20:21], 1, v[20:21]
	v_add_co_u32_e64 v20, s[44:45], s58, v20
	v_addc_co_u32_e64 v21, s[44:45], v97, v21, s[44:45]
	global_store_short v[20:21], v101, off
	s_or_b64 exec, exec, s[46:47]
	v_cmp_lt_u32_e64 s[44:45], v30, v93
	s_and_saveexec_b64 s[48:49], s[44:45]
	s_cbranch_execnz .LBB2050_125
.LBB2050_118:                           ;   in Loop: Header=BB2050_66 Depth=2
	s_or_b64 exec, exec, s[48:49]
	v_cmp_lt_u32_e64 s[46:47], v31, v93
	s_and_saveexec_b64 s[52:53], s[46:47]
	s_cbranch_execz .LBB2050_126
.LBB2050_119:                           ;   in Loop: Header=BB2050_66 Depth=2
	ds_read_u16 v20, v50 offset:3072
	v_mov_b32_e32 v21, v4
	v_mov_b32_e32 v97, s59
	s_waitcnt lgkmcnt(0)
	v_cmp_ne_u16_e64 s[48:49], s68, v20
	v_cndmask_b32_e64 v94, v66, v20, s[48:49]
	v_lshrrev_b32_sdwa v94, s77, v94 dst_sel:DWORD dst_unused:UNUSED_PAD src0_sel:DWORD src1_sel:WORD_0
	v_and_b32_e32 v94, s78, v94
	v_lshlrev_b32_e32 v94, 2, v94
	ds_read_b32 v94, v94
	v_cmp_lt_i16_e64 s[48:49], -1, v20
	v_cndmask_b32_e64 v101, v66, -1, s[48:49]
	v_xor_b32_e32 v101, v101, v20
	s_waitcnt lgkmcnt(0)
	v_add_u32_e32 v20, v94, v31
	v_lshlrev_b64 v[20:21], 1, v[20:21]
	v_add_co_u32_e64 v20, s[48:49], s58, v20
	v_addc_co_u32_e64 v21, s[48:49], v97, v21, s[48:49]
	global_store_short v[20:21], v101, off
	s_or_b64 exec, exec, s[52:53]
	v_cmp_lt_u32_e64 s[48:49], v32, v93
	s_and_saveexec_b64 s[62:63], s[48:49]
	s_cbranch_execnz .LBB2050_127
	s_branch .LBB2050_128
.LBB2050_120:                           ;   in Loop: Header=BB2050_66 Depth=2
	s_or_b64 exec, exec, s[38:39]
	v_cmp_lt_u32_e64 s[36:37], v24, v93
	s_and_saveexec_b64 s[40:41], s[36:37]
	s_cbranch_execz .LBB2050_114
.LBB2050_121:                           ;   in Loop: Header=BB2050_66 Depth=2
	ds_read_u16 v20, v50 offset:512
	v_mov_b32_e32 v21, v4
	v_mov_b32_e32 v97, s59
	s_waitcnt lgkmcnt(0)
	v_cmp_ne_u16_e64 s[38:39], s68, v20
	v_cndmask_b32_e64 v94, v66, v20, s[38:39]
	v_lshrrev_b32_sdwa v94, s77, v94 dst_sel:DWORD dst_unused:UNUSED_PAD src0_sel:DWORD src1_sel:WORD_0
	v_and_b32_e32 v94, s78, v94
	v_lshlrev_b32_e32 v94, 2, v94
	ds_read_b32 v94, v94
	v_cmp_lt_i16_e64 s[38:39], -1, v20
	v_cndmask_b32_e64 v101, v66, -1, s[38:39]
	v_xor_b32_e32 v101, v101, v20
	s_waitcnt lgkmcnt(0)
	v_add_u32_e32 v20, v94, v24
	v_lshlrev_b64 v[20:21], 1, v[20:21]
	v_add_co_u32_e64 v20, s[38:39], s58, v20
	v_addc_co_u32_e64 v21, s[38:39], v97, v21, s[38:39]
	global_store_short v[20:21], v101, off
	s_or_b64 exec, exec, s[40:41]
	v_cmp_lt_u32_e64 s[38:39], v25, v93
	s_and_saveexec_b64 s[42:43], s[38:39]
	s_cbranch_execnz .LBB2050_115
.LBB2050_122:                           ;   in Loop: Header=BB2050_66 Depth=2
	s_or_b64 exec, exec, s[42:43]
	v_cmp_lt_u32_e64 s[40:41], v26, v93
	s_and_saveexec_b64 s[44:45], s[40:41]
	s_cbranch_execz .LBB2050_116
.LBB2050_123:                           ;   in Loop: Header=BB2050_66 Depth=2
	ds_read_u16 v20, v50 offset:1536
	v_mov_b32_e32 v21, v4
	v_mov_b32_e32 v97, s59
	s_waitcnt lgkmcnt(0)
	v_cmp_ne_u16_e64 s[42:43], s68, v20
	v_cndmask_b32_e64 v94, v66, v20, s[42:43]
	v_lshrrev_b32_sdwa v94, s77, v94 dst_sel:DWORD dst_unused:UNUSED_PAD src0_sel:DWORD src1_sel:WORD_0
	v_and_b32_e32 v94, s78, v94
	v_lshlrev_b32_e32 v94, 2, v94
	ds_read_b32 v94, v94
	v_cmp_lt_i16_e64 s[42:43], -1, v20
	v_cndmask_b32_e64 v101, v66, -1, s[42:43]
	v_xor_b32_e32 v101, v101, v20
	s_waitcnt lgkmcnt(0)
	v_add_u32_e32 v20, v94, v26
	v_lshlrev_b64 v[20:21], 1, v[20:21]
	v_add_co_u32_e64 v20, s[42:43], s58, v20
	v_addc_co_u32_e64 v21, s[42:43], v97, v21, s[42:43]
	global_store_short v[20:21], v101, off
	s_or_b64 exec, exec, s[44:45]
	v_cmp_lt_u32_e64 s[42:43], v29, v93
	s_and_saveexec_b64 s[46:47], s[42:43]
	s_cbranch_execnz .LBB2050_117
.LBB2050_124:                           ;   in Loop: Header=BB2050_66 Depth=2
	s_or_b64 exec, exec, s[46:47]
	v_cmp_lt_u32_e64 s[44:45], v30, v93
	s_and_saveexec_b64 s[48:49], s[44:45]
	s_cbranch_execz .LBB2050_118
.LBB2050_125:                           ;   in Loop: Header=BB2050_66 Depth=2
	ds_read_u16 v20, v50 offset:2560
	v_mov_b32_e32 v21, v4
	v_mov_b32_e32 v97, s59
	s_waitcnt lgkmcnt(0)
	v_cmp_ne_u16_e64 s[46:47], s68, v20
	v_cndmask_b32_e64 v94, v66, v20, s[46:47]
	v_lshrrev_b32_sdwa v94, s77, v94 dst_sel:DWORD dst_unused:UNUSED_PAD src0_sel:DWORD src1_sel:WORD_0
	v_and_b32_e32 v94, s78, v94
	v_lshlrev_b32_e32 v94, 2, v94
	ds_read_b32 v94, v94
	v_cmp_lt_i16_e64 s[46:47], -1, v20
	v_cndmask_b32_e64 v101, v66, -1, s[46:47]
	v_xor_b32_e32 v101, v101, v20
	s_waitcnt lgkmcnt(0)
	v_add_u32_e32 v20, v94, v30
	v_lshlrev_b64 v[20:21], 1, v[20:21]
	v_add_co_u32_e64 v20, s[46:47], s58, v20
	v_addc_co_u32_e64 v21, s[46:47], v97, v21, s[46:47]
	global_store_short v[20:21], v101, off
	s_or_b64 exec, exec, s[48:49]
	v_cmp_lt_u32_e64 s[46:47], v31, v93
	s_and_saveexec_b64 s[52:53], s[46:47]
	s_cbranch_execnz .LBB2050_119
.LBB2050_126:                           ;   in Loop: Header=BB2050_66 Depth=2
	s_or_b64 exec, exec, s[52:53]
	v_cmp_lt_u32_e64 s[48:49], v32, v93
	s_and_saveexec_b64 s[62:63], s[48:49]
	s_cbranch_execz .LBB2050_128
.LBB2050_127:                           ;   in Loop: Header=BB2050_66 Depth=2
	ds_read_u16 v20, v50 offset:3584
	v_mov_b32_e32 v21, v4
	v_mov_b32_e32 v97, s59
	s_waitcnt lgkmcnt(0)
	v_cmp_ne_u16_e64 s[52:53], s68, v20
	v_cndmask_b32_e64 v94, v66, v20, s[52:53]
	v_lshrrev_b32_sdwa v94, s77, v94 dst_sel:DWORD dst_unused:UNUSED_PAD src0_sel:DWORD src1_sel:WORD_0
	v_and_b32_e32 v94, s78, v94
	v_lshlrev_b32_e32 v94, 2, v94
	ds_read_b32 v94, v94
	v_cmp_lt_i16_e64 s[52:53], -1, v20
	v_cndmask_b32_e64 v101, v66, -1, s[52:53]
	v_xor_b32_e32 v101, v101, v20
	s_waitcnt lgkmcnt(0)
	v_add_u32_e32 v20, v94, v32
	v_lshlrev_b64 v[20:21], 1, v[20:21]
	v_add_co_u32_e64 v20, s[52:53], s58, v20
	v_addc_co_u32_e64 v21, s[52:53], v97, v21, s[52:53]
	global_store_short v[20:21], v101, off
.LBB2050_128:                           ;   in Loop: Header=BB2050_66 Depth=2
	s_or_b64 exec, exec, s[62:63]
	s_lshl_b64 s[52:53], s[72:73], 3
	v_mov_b32_e32 v21, s53
	v_add_co_u32_e64 v20, s[52:53], s52, v77
	v_addc_co_u32_e64 v21, s[52:53], v79, v21, s[52:53]
	v_cmp_lt_u32_e64 s[52:53], v74, v93
	s_and_saveexec_b64 s[62:63], s[52:53]
	s_xor_b64 s[52:53], exec, s[62:63]
	s_cbranch_execz .LBB2050_144
; %bb.129:                              ;   in Loop: Header=BB2050_66 Depth=2
	global_load_dwordx2 v[18:19], v[20:21], off
	s_or_b64 exec, exec, s[52:53]
	v_cmp_lt_u32_e64 s[52:53], v81, v93
	s_and_saveexec_b64 s[62:63], s[52:53]
	s_cbranch_execnz .LBB2050_145
.LBB2050_130:                           ;   in Loop: Header=BB2050_66 Depth=2
	s_or_b64 exec, exec, s[62:63]
	v_cmp_lt_u32_e64 s[52:53], v82, v93
	s_and_saveexec_b64 s[62:63], s[52:53]
	s_cbranch_execz .LBB2050_146
.LBB2050_131:                           ;   in Loop: Header=BB2050_66 Depth=2
	global_load_dwordx2 v[14:15], v[20:21], off offset:1024
	s_or_b64 exec, exec, s[62:63]
	v_cmp_lt_u32_e64 s[52:53], v83, v93
	s_and_saveexec_b64 s[62:63], s[52:53]
	s_cbranch_execnz .LBB2050_147
.LBB2050_132:                           ;   in Loop: Header=BB2050_66 Depth=2
	s_or_b64 exec, exec, s[62:63]
	v_cmp_lt_u32_e64 s[52:53], v84, v93
	s_and_saveexec_b64 s[62:63], s[52:53]
	s_cbranch_execz .LBB2050_148
.LBB2050_133:                           ;   in Loop: Header=BB2050_66 Depth=2
	global_load_dwordx2 v[10:11], v[20:21], off offset:2048
	s_or_b64 exec, exec, s[62:63]
	v_cmp_lt_u32_e64 s[52:53], v85, v93
	s_and_saveexec_b64 s[62:63], s[52:53]
	s_cbranch_execnz .LBB2050_149
.LBB2050_134:                           ;   in Loop: Header=BB2050_66 Depth=2
	s_or_b64 exec, exec, s[62:63]
	v_cmp_lt_u32_e64 s[52:53], v86, v93
	s_and_saveexec_b64 s[62:63], s[52:53]
	s_cbranch_execz .LBB2050_150
.LBB2050_135:                           ;   in Loop: Header=BB2050_66 Depth=2
	global_load_dwordx2 v[6:7], v[20:21], off offset:3072
	s_or_b64 exec, exec, s[62:63]
	v_cmp_lt_u32_e64 s[52:53], v87, v93
	s_and_saveexec_b64 s[62:63], s[52:53]
	s_cbranch_execnz .LBB2050_151
.LBB2050_136:                           ;   in Loop: Header=BB2050_66 Depth=2
	s_or_b64 exec, exec, s[62:63]
	s_and_saveexec_b64 s[62:63], vcc
	s_cbranch_execz .LBB2050_152
.LBB2050_137:                           ;   in Loop: Header=BB2050_66 Depth=2
	ds_read_u16 v20, v49 offset:1024
	s_waitcnt lgkmcnt(0)
	v_cmp_ne_u16_e64 s[52:53], s68, v20
	v_cndmask_b32_e64 v20, v66, v20, s[52:53]
	v_lshrrev_b32_sdwa v20, s77, v20 dst_sel:DWORD dst_unused:UNUSED_PAD src0_sel:DWORD src1_sel:WORD_0
	v_and_b32_e32 v80, s78, v20
	s_or_b64 exec, exec, s[62:63]
	s_and_saveexec_b64 s[62:63], s[36:37]
	s_cbranch_execnz .LBB2050_153
.LBB2050_138:                           ;   in Loop: Header=BB2050_66 Depth=2
	s_or_b64 exec, exec, s[62:63]
	s_and_saveexec_b64 s[62:63], s[38:39]
	s_cbranch_execz .LBB2050_154
.LBB2050_139:                           ;   in Loop: Header=BB2050_66 Depth=2
	ds_read_u16 v20, v50 offset:1024
	s_waitcnt lgkmcnt(0)
	v_cmp_ne_u16_e64 s[52:53], s68, v20
	v_cndmask_b32_e64 v20, v66, v20, s[52:53]
	v_lshrrev_b32_sdwa v20, s77, v20 dst_sel:DWORD dst_unused:UNUSED_PAD src0_sel:DWORD src1_sel:WORD_0
	v_and_b32_e32 v76, s78, v20
	s_or_b64 exec, exec, s[62:63]
	s_and_saveexec_b64 s[62:63], s[40:41]
	s_cbranch_execnz .LBB2050_155
.LBB2050_140:                           ;   in Loop: Header=BB2050_66 Depth=2
	s_or_b64 exec, exec, s[62:63]
	s_and_saveexec_b64 s[62:63], s[42:43]
	s_cbranch_execz .LBB2050_156
.LBB2050_141:                           ;   in Loop: Header=BB2050_66 Depth=2
	ds_read_u16 v20, v50 offset:2048
	s_waitcnt lgkmcnt(0)
	v_cmp_ne_u16_e64 s[52:53], s68, v20
	v_cndmask_b32_e64 v20, v66, v20, s[52:53]
	v_lshrrev_b32_sdwa v20, s77, v20 dst_sel:DWORD dst_unused:UNUSED_PAD src0_sel:DWORD src1_sel:WORD_0
	v_and_b32_e32 v73, s78, v20
	s_or_b64 exec, exec, s[62:63]
	s_and_saveexec_b64 s[62:63], s[44:45]
	s_cbranch_execnz .LBB2050_157
.LBB2050_142:                           ;   in Loop: Header=BB2050_66 Depth=2
	s_or_b64 exec, exec, s[62:63]
	s_and_saveexec_b64 s[62:63], s[46:47]
	s_cbranch_execz .LBB2050_158
.LBB2050_143:                           ;   in Loop: Header=BB2050_66 Depth=2
	ds_read_u16 v20, v50 offset:3072
	s_waitcnt lgkmcnt(0)
	v_cmp_ne_u16_e64 s[52:53], s68, v20
	v_cndmask_b32_e64 v20, v66, v20, s[52:53]
	v_lshrrev_b32_sdwa v20, s77, v20 dst_sel:DWORD dst_unused:UNUSED_PAD src0_sel:DWORD src1_sel:WORD_0
	v_and_b32_e32 v71, s78, v20
	s_or_b64 exec, exec, s[62:63]
	s_and_saveexec_b64 s[62:63], s[48:49]
	s_cbranch_execnz .LBB2050_159
	s_branch .LBB2050_160
.LBB2050_144:                           ;   in Loop: Header=BB2050_66 Depth=2
	s_or_b64 exec, exec, s[52:53]
	v_cmp_lt_u32_e64 s[52:53], v81, v93
	s_and_saveexec_b64 s[62:63], s[52:53]
	s_cbranch_execz .LBB2050_130
.LBB2050_145:                           ;   in Loop: Header=BB2050_66 Depth=2
	global_load_dwordx2 v[16:17], v[20:21], off offset:512
	s_or_b64 exec, exec, s[62:63]
	v_cmp_lt_u32_e64 s[52:53], v82, v93
	s_and_saveexec_b64 s[62:63], s[52:53]
	s_cbranch_execnz .LBB2050_131
.LBB2050_146:                           ;   in Loop: Header=BB2050_66 Depth=2
	s_or_b64 exec, exec, s[62:63]
	v_cmp_lt_u32_e64 s[52:53], v83, v93
	s_and_saveexec_b64 s[62:63], s[52:53]
	s_cbranch_execz .LBB2050_132
.LBB2050_147:                           ;   in Loop: Header=BB2050_66 Depth=2
	global_load_dwordx2 v[12:13], v[20:21], off offset:1536
	s_or_b64 exec, exec, s[62:63]
	v_cmp_lt_u32_e64 s[52:53], v84, v93
	s_and_saveexec_b64 s[62:63], s[52:53]
	s_cbranch_execnz .LBB2050_133
.LBB2050_148:                           ;   in Loop: Header=BB2050_66 Depth=2
	s_or_b64 exec, exec, s[62:63]
	v_cmp_lt_u32_e64 s[52:53], v85, v93
	s_and_saveexec_b64 s[62:63], s[52:53]
	s_cbranch_execz .LBB2050_134
.LBB2050_149:                           ;   in Loop: Header=BB2050_66 Depth=2
	global_load_dwordx2 v[8:9], v[20:21], off offset:2560
	s_or_b64 exec, exec, s[62:63]
	v_cmp_lt_u32_e64 s[52:53], v86, v93
	s_and_saveexec_b64 s[62:63], s[52:53]
	s_cbranch_execnz .LBB2050_135
.LBB2050_150:                           ;   in Loop: Header=BB2050_66 Depth=2
	s_or_b64 exec, exec, s[62:63]
	v_cmp_lt_u32_e64 s[52:53], v87, v93
	s_and_saveexec_b64 s[62:63], s[52:53]
	s_cbranch_execz .LBB2050_136
.LBB2050_151:                           ;   in Loop: Header=BB2050_66 Depth=2
	global_load_dwordx2 v[0:1], v[20:21], off offset:3584
	s_or_b64 exec, exec, s[62:63]
	s_and_saveexec_b64 s[62:63], vcc
	s_cbranch_execnz .LBB2050_137
.LBB2050_152:                           ;   in Loop: Header=BB2050_66 Depth=2
	s_or_b64 exec, exec, s[62:63]
	s_and_saveexec_b64 s[62:63], s[36:37]
	s_cbranch_execz .LBB2050_138
.LBB2050_153:                           ;   in Loop: Header=BB2050_66 Depth=2
	ds_read_u16 v20, v50 offset:512
	s_waitcnt lgkmcnt(0)
	v_cmp_ne_u16_e64 s[52:53], s68, v20
	v_cndmask_b32_e64 v20, v66, v20, s[52:53]
	v_lshrrev_b32_sdwa v20, s77, v20 dst_sel:DWORD dst_unused:UNUSED_PAD src0_sel:DWORD src1_sel:WORD_0
	v_and_b32_e32 v78, s78, v20
	s_or_b64 exec, exec, s[62:63]
	s_and_saveexec_b64 s[62:63], s[38:39]
	s_cbranch_execnz .LBB2050_139
.LBB2050_154:                           ;   in Loop: Header=BB2050_66 Depth=2
	s_or_b64 exec, exec, s[62:63]
	s_and_saveexec_b64 s[62:63], s[40:41]
	s_cbranch_execz .LBB2050_140
.LBB2050_155:                           ;   in Loop: Header=BB2050_66 Depth=2
	ds_read_u16 v20, v50 offset:1536
	s_waitcnt lgkmcnt(0)
	v_cmp_ne_u16_e64 s[52:53], s68, v20
	v_cndmask_b32_e64 v20, v66, v20, s[52:53]
	v_lshrrev_b32_sdwa v20, s77, v20 dst_sel:DWORD dst_unused:UNUSED_PAD src0_sel:DWORD src1_sel:WORD_0
	v_and_b32_e32 v75, s78, v20
	s_or_b64 exec, exec, s[62:63]
	s_and_saveexec_b64 s[62:63], s[42:43]
	s_cbranch_execnz .LBB2050_141
.LBB2050_156:                           ;   in Loop: Header=BB2050_66 Depth=2
	s_or_b64 exec, exec, s[62:63]
	s_and_saveexec_b64 s[62:63], s[44:45]
	s_cbranch_execz .LBB2050_142
.LBB2050_157:                           ;   in Loop: Header=BB2050_66 Depth=2
	ds_read_u16 v20, v50 offset:2560
	s_waitcnt lgkmcnt(0)
	v_cmp_ne_u16_e64 s[52:53], s68, v20
	v_cndmask_b32_e64 v20, v66, v20, s[52:53]
	v_lshrrev_b32_sdwa v20, s77, v20 dst_sel:DWORD dst_unused:UNUSED_PAD src0_sel:DWORD src1_sel:WORD_0
	v_and_b32_e32 v72, s78, v20
	s_or_b64 exec, exec, s[62:63]
	s_and_saveexec_b64 s[62:63], s[46:47]
	s_cbranch_execnz .LBB2050_143
.LBB2050_158:                           ;   in Loop: Header=BB2050_66 Depth=2
	s_or_b64 exec, exec, s[62:63]
	s_and_saveexec_b64 s[62:63], s[48:49]
	s_cbranch_execz .LBB2050_160
.LBB2050_159:                           ;   in Loop: Header=BB2050_66 Depth=2
	ds_read_u16 v20, v50 offset:3584
	s_waitcnt lgkmcnt(0)
	v_cmp_ne_u16_e64 s[52:53], s68, v20
	v_cndmask_b32_e64 v20, v66, v20, s[52:53]
	v_lshrrev_b32_sdwa v20, s77, v20 dst_sel:DWORD dst_unused:UNUSED_PAD src0_sel:DWORD src1_sel:WORD_0
	v_and_b32_e32 v70, s78, v20
.LBB2050_160:                           ;   in Loop: Header=BB2050_66 Depth=2
	s_or_b64 exec, exec, s[62:63]
	v_lshlrev_b32_e32 v20, 3, v103
	s_barrier
	s_waitcnt vmcnt(0)
	ds_write_b64 v20, v[18:19] offset:1024
	v_lshlrev_b32_e32 v20, 3, v100
	ds_write_b64 v20, v[16:17] offset:1024
	v_lshlrev_b32_e32 v20, 3, v99
	ds_write_b64 v20, v[14:15] offset:1024
	v_lshlrev_b32_e32 v20, 3, v98
	ds_write_b64 v20, v[12:13] offset:1024
	v_lshlrev_b32_e32 v20, 3, v96
	ds_write_b64 v20, v[10:11] offset:1024
	v_lshlrev_b32_e32 v20, 3, v95
	ds_write_b64 v20, v[8:9] offset:1024
	v_lshlrev_b32_e32 v20, 3, v23
	ds_write_b64 v20, v[6:7] offset:1024
	v_lshlrev_b32_e32 v20, 3, v22
	ds_write_b64 v20, v[0:1] offset:1024
	s_waitcnt lgkmcnt(0)
	s_barrier
	s_and_saveexec_b64 s[52:53], vcc
	s_cbranch_execz .LBB2050_168
; %bb.161:                              ;   in Loop: Header=BB2050_66 Depth=2
	v_lshlrev_b32_e32 v20, 2, v80
	ds_read_b32 v20, v20
	v_add_u32_e32 v22, v49, v51
	ds_read_b64 v[22:23], v22 offset:1024
	v_mov_b32_e32 v21, v4
	v_mov_b32_e32 v93, s65
	s_waitcnt lgkmcnt(1)
	v_add_u32_e32 v20, v20, v2
	v_lshlrev_b64 v[20:21], 3, v[20:21]
	v_add_co_u32_e32 v20, vcc, s64, v20
	v_addc_co_u32_e32 v21, vcc, v93, v21, vcc
	s_waitcnt lgkmcnt(0)
	global_store_dwordx2 v[20:21], v[22:23], off
	s_or_b64 exec, exec, s[52:53]
	s_and_saveexec_b64 s[52:53], s[36:37]
	s_cbranch_execnz .LBB2050_169
.LBB2050_162:                           ;   in Loop: Header=BB2050_66 Depth=2
	s_or_b64 exec, exec, s[52:53]
	s_and_saveexec_b64 s[36:37], s[38:39]
	s_cbranch_execz .LBB2050_170
.LBB2050_163:                           ;   in Loop: Header=BB2050_66 Depth=2
	v_lshlrev_b32_e32 v20, 2, v76
	ds_read_b32 v22, v20
	v_add_u32_e32 v20, v50, v51
	ds_read_b64 v[20:21], v20 offset:4096
	v_mov_b32_e32 v23, v4
	v_mov_b32_e32 v93, s65
	s_waitcnt lgkmcnt(1)
	v_add_u32_e32 v22, v22, v25
	v_lshlrev_b64 v[22:23], 3, v[22:23]
	v_add_co_u32_e32 v22, vcc, s64, v22
	v_addc_co_u32_e32 v23, vcc, v93, v23, vcc
	s_waitcnt lgkmcnt(0)
	global_store_dwordx2 v[22:23], v[20:21], off
	s_or_b64 exec, exec, s[36:37]
	s_and_saveexec_b64 s[36:37], s[40:41]
	s_cbranch_execnz .LBB2050_171
.LBB2050_164:                           ;   in Loop: Header=BB2050_66 Depth=2
	s_or_b64 exec, exec, s[36:37]
	s_and_saveexec_b64 s[36:37], s[42:43]
	s_cbranch_execz .LBB2050_172
.LBB2050_165:                           ;   in Loop: Header=BB2050_66 Depth=2
	v_lshlrev_b32_e32 v20, 2, v73
	ds_read_b32 v22, v20
	v_add_u32_e32 v20, v50, v51
	ds_read_b64 v[20:21], v20 offset:8192
	v_mov_b32_e32 v23, v4
	v_mov_b32_e32 v93, s65
	s_waitcnt lgkmcnt(1)
	v_add_u32_e32 v22, v22, v29
	v_lshlrev_b64 v[22:23], 3, v[22:23]
	v_add_co_u32_e32 v22, vcc, s64, v22
	v_addc_co_u32_e32 v23, vcc, v93, v23, vcc
	s_waitcnt lgkmcnt(0)
	global_store_dwordx2 v[22:23], v[20:21], off
	s_or_b64 exec, exec, s[36:37]
	s_and_saveexec_b64 s[36:37], s[44:45]
	s_cbranch_execnz .LBB2050_173
.LBB2050_166:                           ;   in Loop: Header=BB2050_66 Depth=2
	s_or_b64 exec, exec, s[36:37]
	s_and_saveexec_b64 s[36:37], s[46:47]
	s_cbranch_execz .LBB2050_174
.LBB2050_167:                           ;   in Loop: Header=BB2050_66 Depth=2
	v_lshlrev_b32_e32 v20, 2, v71
	ds_read_b32 v22, v20
	v_add_u32_e32 v20, v50, v51
	ds_read_b64 v[20:21], v20 offset:12288
	v_mov_b32_e32 v23, v4
	v_mov_b32_e32 v93, s65
	s_waitcnt lgkmcnt(1)
	v_add_u32_e32 v22, v22, v31
	v_lshlrev_b64 v[22:23], 3, v[22:23]
	v_add_co_u32_e32 v22, vcc, s64, v22
	v_addc_co_u32_e32 v23, vcc, v93, v23, vcc
	s_waitcnt lgkmcnt(0)
	global_store_dwordx2 v[22:23], v[20:21], off
	s_or_b64 exec, exec, s[36:37]
	s_and_saveexec_b64 s[36:37], s[48:49]
	s_cbranch_execnz .LBB2050_175
	s_branch .LBB2050_176
.LBB2050_168:                           ;   in Loop: Header=BB2050_66 Depth=2
	s_or_b64 exec, exec, s[52:53]
	s_and_saveexec_b64 s[52:53], s[36:37]
	s_cbranch_execz .LBB2050_162
.LBB2050_169:                           ;   in Loop: Header=BB2050_66 Depth=2
	v_lshlrev_b32_e32 v20, 2, v78
	ds_read_b32 v22, v20
	v_add_u32_e32 v20, v50, v51
	ds_read_b64 v[20:21], v20 offset:2048
	v_mov_b32_e32 v23, v4
	v_mov_b32_e32 v93, s65
	s_waitcnt lgkmcnt(1)
	v_add_u32_e32 v22, v22, v24
	v_lshlrev_b64 v[22:23], 3, v[22:23]
	v_add_co_u32_e32 v22, vcc, s64, v22
	v_addc_co_u32_e32 v23, vcc, v93, v23, vcc
	s_waitcnt lgkmcnt(0)
	global_store_dwordx2 v[22:23], v[20:21], off
	s_or_b64 exec, exec, s[52:53]
	s_and_saveexec_b64 s[36:37], s[38:39]
	s_cbranch_execnz .LBB2050_163
.LBB2050_170:                           ;   in Loop: Header=BB2050_66 Depth=2
	s_or_b64 exec, exec, s[36:37]
	s_and_saveexec_b64 s[36:37], s[40:41]
	s_cbranch_execz .LBB2050_164
.LBB2050_171:                           ;   in Loop: Header=BB2050_66 Depth=2
	v_lshlrev_b32_e32 v20, 2, v75
	ds_read_b32 v22, v20
	v_add_u32_e32 v20, v50, v51
	ds_read_b64 v[20:21], v20 offset:6144
	v_mov_b32_e32 v23, v4
	v_mov_b32_e32 v93, s65
	s_waitcnt lgkmcnt(1)
	v_add_u32_e32 v22, v22, v26
	v_lshlrev_b64 v[22:23], 3, v[22:23]
	v_add_co_u32_e32 v22, vcc, s64, v22
	v_addc_co_u32_e32 v23, vcc, v93, v23, vcc
	s_waitcnt lgkmcnt(0)
	global_store_dwordx2 v[22:23], v[20:21], off
	s_or_b64 exec, exec, s[36:37]
	s_and_saveexec_b64 s[36:37], s[42:43]
	s_cbranch_execnz .LBB2050_165
.LBB2050_172:                           ;   in Loop: Header=BB2050_66 Depth=2
	s_or_b64 exec, exec, s[36:37]
	s_and_saveexec_b64 s[36:37], s[44:45]
	s_cbranch_execz .LBB2050_166
.LBB2050_173:                           ;   in Loop: Header=BB2050_66 Depth=2
	v_lshlrev_b32_e32 v20, 2, v72
	ds_read_b32 v22, v20
	v_add_u32_e32 v20, v50, v51
	ds_read_b64 v[20:21], v20 offset:10240
	v_mov_b32_e32 v23, v4
	v_mov_b32_e32 v93, s65
	s_waitcnt lgkmcnt(1)
	v_add_u32_e32 v22, v22, v30
	v_lshlrev_b64 v[22:23], 3, v[22:23]
	v_add_co_u32_e32 v22, vcc, s64, v22
	v_addc_co_u32_e32 v23, vcc, v93, v23, vcc
	s_waitcnt lgkmcnt(0)
	global_store_dwordx2 v[22:23], v[20:21], off
	s_or_b64 exec, exec, s[36:37]
	s_and_saveexec_b64 s[36:37], s[46:47]
	s_cbranch_execnz .LBB2050_167
.LBB2050_174:                           ;   in Loop: Header=BB2050_66 Depth=2
	s_or_b64 exec, exec, s[36:37]
	s_and_saveexec_b64 s[36:37], s[48:49]
	s_cbranch_execz .LBB2050_176
.LBB2050_175:                           ;   in Loop: Header=BB2050_66 Depth=2
	v_lshlrev_b32_e32 v20, 2, v70
	ds_read_b32 v22, v20
	v_add_u32_e32 v20, v50, v51
	ds_read_b64 v[20:21], v20 offset:14336
	v_mov_b32_e32 v23, v4
	v_mov_b32_e32 v93, s65
	s_waitcnt lgkmcnt(1)
	v_add_u32_e32 v22, v22, v32
	v_lshlrev_b64 v[22:23], 3, v[22:23]
	v_add_co_u32_e32 v22, vcc, s64, v22
	v_addc_co_u32_e32 v23, vcc, v93, v23, vcc
	s_waitcnt lgkmcnt(0)
	global_store_dwordx2 v[22:23], v[20:21], off
.LBB2050_176:                           ;   in Loop: Header=BB2050_66 Depth=2
	s_or_b64 exec, exec, s[36:37]
	s_barrier
	s_and_saveexec_b64 s[36:37], s[4:5]
	s_cbranch_execz .LBB2050_65
; %bb.177:                              ;   in Loop: Header=BB2050_66 Depth=2
	ds_read_b32 v20, v3
	s_waitcnt lgkmcnt(0)
	v_add_u32_e32 v5, v20, v5
	ds_write_b32 v3, v5
	s_branch .LBB2050_65
.LBB2050_178:                           ;   in Loop: Header=BB2050_12 Depth=1
	s_waitcnt lgkmcnt(0)
	s_barrier
	s_mov_b64 s[16:17], 0
.LBB2050_179:                           ;   in Loop: Header=BB2050_12 Depth=1
	s_and_b64 vcc, exec, s[16:17]
	s_cbranch_vccz .LBB2050_345
; %bb.180:                              ;   in Loop: Header=BB2050_12 Depth=1
	s_mov_b32 s22, s71
	s_mov_b32 s72, s51
	s_barrier
	s_waitcnt lgkmcnt(0)
                                        ; implicit-def: $vgpr12
                                        ; implicit-def: $vgpr5
                                        ; implicit-def: $vgpr6
                                        ; implicit-def: $vgpr7
                                        ; implicit-def: $vgpr8
                                        ; implicit-def: $vgpr9
                                        ; implicit-def: $vgpr10
                                        ; implicit-def: $vgpr11
	s_branch .LBB2050_182
.LBB2050_181:                           ;   in Loop: Header=BB2050_182 Depth=2
	s_or_b64 exec, exec, s[16:17]
	s_addk_i32 s22, 0xf800
	s_cmp_ge_u32 s23, s76
	s_mov_b32 s72, s23
	s_cbranch_scc1 .LBB2050_220
.LBB2050_182:                           ;   Parent Loop BB2050_12 Depth=1
                                        ; =>  This Inner Loop Header: Depth=2
	s_add_i32 s23, s72, 0x800
	s_cmp_gt_u32 s23, s76
	s_cbranch_scc1 .LBB2050_185
; %bb.183:                              ;   in Loop: Header=BB2050_182 Depth=2
	s_lshl_b64 s[16:17], s[72:73], 1
	v_mov_b32_e32 v1, s17
	v_add_co_u32_e32 v0, vcc, s16, v52
	v_addc_co_u32_e32 v1, vcc, v53, v1, vcc
	global_load_ushort v14, v[0:1], off
	global_load_ushort v15, v[0:1], off offset:512
	global_load_ushort v16, v[0:1], off offset:1024
	;; [unrolled: 1-line block ×6, first 2 shown]
	v_add_co_u32_e32 v0, vcc, 0xe00, v0
	v_addc_co_u32_e32 v1, vcc, 0, v1, vcc
	s_mov_b64 s[16:17], -1
	s_movk_i32 s24, 0x800
	s_cbranch_execz .LBB2050_186
; %bb.184:                              ;   in Loop: Header=BB2050_182 Depth=2
                                        ; implicit-def: $vgpr11
                                        ; implicit-def: $vgpr10
                                        ; implicit-def: $vgpr9
                                        ; implicit-def: $vgpr8
                                        ; implicit-def: $vgpr7
                                        ; implicit-def: $vgpr6
                                        ; implicit-def: $vgpr5
                                        ; implicit-def: $vgpr12
	v_mov_b32_e32 v13, s22
	s_and_saveexec_b64 s[18:19], s[16:17]
	s_cbranch_execnz .LBB2050_197
	s_branch .LBB2050_198
.LBB2050_185:                           ;   in Loop: Header=BB2050_182 Depth=2
	s_mov_b64 s[16:17], 0
                                        ; implicit-def: $sgpr24
                                        ; implicit-def: $vgpr14
                                        ; implicit-def: $vgpr15
                                        ; implicit-def: $vgpr16
                                        ; implicit-def: $vgpr17
                                        ; implicit-def: $vgpr18
                                        ; implicit-def: $vgpr19
                                        ; implicit-def: $vgpr20
                                        ; implicit-def: $vgpr0_vgpr1
.LBB2050_186:                           ;   in Loop: Header=BB2050_182 Depth=2
	s_lshl_b64 s[18:19], s[72:73], 1
	s_add_u32 s18, s58, s18
	s_addc_u32 s19, s59, s19
	v_cmp_gt_u32_e32 vcc, s22, v2
	s_and_saveexec_b64 s[20:21], vcc
	s_cbranch_execz .LBB2050_214
; %bb.187:                              ;   in Loop: Header=BB2050_182 Depth=2
	global_load_ushort v11, v65, s[18:19]
	s_or_b64 exec, exec, s[20:21]
	v_cmp_gt_u32_e32 vcc, s22, v24
	s_and_saveexec_b64 s[20:21], vcc
	s_cbranch_execnz .LBB2050_215
.LBB2050_188:                           ;   in Loop: Header=BB2050_182 Depth=2
	s_or_b64 exec, exec, s[20:21]
	v_cmp_gt_u32_e32 vcc, s22, v25
	s_and_saveexec_b64 s[20:21], vcc
	s_cbranch_execz .LBB2050_216
.LBB2050_189:                           ;   in Loop: Header=BB2050_182 Depth=2
	global_load_ushort v9, v65, s[18:19] offset:1024
	s_or_b64 exec, exec, s[20:21]
	v_cmp_gt_u32_e32 vcc, s22, v26
	s_and_saveexec_b64 s[20:21], vcc
	s_cbranch_execnz .LBB2050_217
.LBB2050_190:                           ;   in Loop: Header=BB2050_182 Depth=2
	s_or_b64 exec, exec, s[20:21]
	v_cmp_gt_u32_e32 vcc, s22, v29
	s_and_saveexec_b64 s[20:21], vcc
	s_cbranch_execz .LBB2050_218
.LBB2050_191:                           ;   in Loop: Header=BB2050_182 Depth=2
	global_load_ushort v7, v65, s[18:19] offset:2048
	s_or_b64 exec, exec, s[20:21]
	v_cmp_gt_u32_e32 vcc, s22, v30
	s_and_saveexec_b64 s[20:21], vcc
	s_cbranch_execnz .LBB2050_219
.LBB2050_192:                           ;   in Loop: Header=BB2050_182 Depth=2
	s_or_b64 exec, exec, s[20:21]
	v_cmp_gt_u32_e32 vcc, s22, v31
	s_and_saveexec_b64 s[20:21], vcc
	s_cbranch_execz .LBB2050_194
.LBB2050_193:                           ;   in Loop: Header=BB2050_182 Depth=2
	global_load_ushort v5, v65, s[18:19] offset:3072
.LBB2050_194:                           ;   in Loop: Header=BB2050_182 Depth=2
	s_or_b64 exec, exec, s[20:21]
	v_cmp_gt_u32_e32 vcc, s22, v32
                                        ; implicit-def: $sgpr24
                                        ; implicit-def: $vgpr0_vgpr1
	s_and_saveexec_b64 s[20:21], vcc
	s_cbranch_execz .LBB2050_196
; %bb.195:                              ;   in Loop: Header=BB2050_182 Depth=2
	v_mov_b32_e32 v0, s19
	v_add_co_u32_e32 v1, vcc, s18, v65
	s_waitcnt vmcnt(0)
	v_addc_co_u32_e32 v12, vcc, 0, v0, vcc
	v_add_co_u32_e32 v0, vcc, 0xe00, v1
	s_sub_i32 s24, s76, s72
	v_addc_co_u32_e32 v1, vcc, 0, v12, vcc
	s_or_b64 s[16:17], s[16:17], exec
                                        ; implicit-def: $vgpr12
.LBB2050_196:                           ;   in Loop: Header=BB2050_182 Depth=2
	s_or_b64 exec, exec, s[20:21]
	s_waitcnt vmcnt(0)
	v_mov_b32_e32 v14, v11
	v_mov_b32_e32 v15, v10
	;; [unrolled: 1-line block ×8, first 2 shown]
	s_and_saveexec_b64 s[18:19], s[16:17]
	s_cbranch_execz .LBB2050_198
.LBB2050_197:                           ;   in Loop: Header=BB2050_182 Depth=2
	global_load_ushort v12, v[0:1], off
	v_mov_b32_e32 v13, s24
	s_waitcnt vmcnt(1)
	v_mov_b32_e32 v5, v20
	v_mov_b32_e32 v6, v19
	;; [unrolled: 1-line block ×7, first 2 shown]
.LBB2050_198:                           ;   in Loop: Header=BB2050_182 Depth=2
	s_or_b64 exec, exec, s[18:19]
	v_cmp_lt_u32_e32 vcc, v2, v13
	s_and_saveexec_b64 s[16:17], vcc
	s_cbranch_execz .LBB2050_206
; %bb.199:                              ;   in Loop: Header=BB2050_182 Depth=2
	v_cmp_lt_i16_e32 vcc, -1, v11
	v_cndmask_b32_e32 v0, -1, v66, vcc
	v_xor_b32_e32 v0, v0, v11
	v_cmp_ne_u16_e32 vcc, s68, v0
	v_cndmask_b32_e32 v0, v66, v0, vcc
	v_lshrrev_b32_sdwa v0, s77, v0 dst_sel:DWORD dst_unused:UNUSED_PAD src0_sel:DWORD src1_sel:WORD_0
	v_and_b32_e32 v0, s78, v0
	v_lshl_or_b32 v0, v0, 4, v67
	ds_add_u32 v0, v64
	s_or_b64 exec, exec, s[16:17]
	v_cmp_lt_u32_e32 vcc, v24, v13
	s_and_saveexec_b64 s[16:17], vcc
	s_cbranch_execnz .LBB2050_207
.LBB2050_200:                           ;   in Loop: Header=BB2050_182 Depth=2
	s_or_b64 exec, exec, s[16:17]
	v_cmp_lt_u32_e32 vcc, v25, v13
	s_and_saveexec_b64 s[16:17], vcc
	s_cbranch_execz .LBB2050_208
.LBB2050_201:                           ;   in Loop: Header=BB2050_182 Depth=2
	v_cmp_lt_i16_e32 vcc, -1, v9
	v_cndmask_b32_e32 v0, -1, v66, vcc
	v_xor_b32_e32 v0, v0, v9
	v_cmp_ne_u16_e32 vcc, s68, v0
	v_cndmask_b32_e32 v0, v66, v0, vcc
	v_lshrrev_b32_sdwa v0, s77, v0 dst_sel:DWORD dst_unused:UNUSED_PAD src0_sel:DWORD src1_sel:WORD_0
	v_and_b32_e32 v0, s78, v0
	v_lshl_or_b32 v0, v0, 4, v67
	ds_add_u32 v0, v64
	s_or_b64 exec, exec, s[16:17]
	v_cmp_lt_u32_e32 vcc, v26, v13
	s_and_saveexec_b64 s[16:17], vcc
	s_cbranch_execnz .LBB2050_209
.LBB2050_202:                           ;   in Loop: Header=BB2050_182 Depth=2
	s_or_b64 exec, exec, s[16:17]
	v_cmp_lt_u32_e32 vcc, v29, v13
	s_and_saveexec_b64 s[16:17], vcc
	s_cbranch_execz .LBB2050_210
.LBB2050_203:                           ;   in Loop: Header=BB2050_182 Depth=2
	v_cmp_lt_i16_e32 vcc, -1, v7
	v_cndmask_b32_e32 v0, -1, v66, vcc
	v_xor_b32_e32 v0, v0, v7
	v_cmp_ne_u16_e32 vcc, s68, v0
	v_cndmask_b32_e32 v0, v66, v0, vcc
	v_lshrrev_b32_sdwa v0, s77, v0 dst_sel:DWORD dst_unused:UNUSED_PAD src0_sel:DWORD src1_sel:WORD_0
	v_and_b32_e32 v0, s78, v0
	v_lshl_or_b32 v0, v0, 4, v67
	ds_add_u32 v0, v64
	s_or_b64 exec, exec, s[16:17]
	v_cmp_lt_u32_e32 vcc, v30, v13
	s_and_saveexec_b64 s[16:17], vcc
	s_cbranch_execnz .LBB2050_211
.LBB2050_204:                           ;   in Loop: Header=BB2050_182 Depth=2
	s_or_b64 exec, exec, s[16:17]
	v_cmp_lt_u32_e32 vcc, v31, v13
	s_and_saveexec_b64 s[16:17], vcc
	s_cbranch_execz .LBB2050_212
.LBB2050_205:                           ;   in Loop: Header=BB2050_182 Depth=2
	v_cmp_lt_i16_e32 vcc, -1, v5
	v_cndmask_b32_e32 v0, -1, v66, vcc
	v_xor_b32_e32 v0, v0, v5
	v_cmp_ne_u16_e32 vcc, s68, v0
	v_cndmask_b32_e32 v0, v66, v0, vcc
	v_lshrrev_b32_sdwa v0, s77, v0 dst_sel:DWORD dst_unused:UNUSED_PAD src0_sel:DWORD src1_sel:WORD_0
	v_and_b32_e32 v0, s78, v0
	v_lshl_or_b32 v0, v0, 4, v67
	ds_add_u32 v0, v64
	s_or_b64 exec, exec, s[16:17]
	v_cmp_lt_u32_e32 vcc, v32, v13
	s_and_saveexec_b64 s[16:17], vcc
	s_cbranch_execz .LBB2050_181
	s_branch .LBB2050_213
.LBB2050_206:                           ;   in Loop: Header=BB2050_182 Depth=2
	s_or_b64 exec, exec, s[16:17]
	v_cmp_lt_u32_e32 vcc, v24, v13
	s_and_saveexec_b64 s[16:17], vcc
	s_cbranch_execz .LBB2050_200
.LBB2050_207:                           ;   in Loop: Header=BB2050_182 Depth=2
	v_cmp_lt_i16_e32 vcc, -1, v10
	v_cndmask_b32_e32 v0, -1, v66, vcc
	v_xor_b32_e32 v0, v0, v10
	v_cmp_ne_u16_e32 vcc, s68, v0
	v_cndmask_b32_e32 v0, v66, v0, vcc
	v_lshrrev_b32_sdwa v0, s77, v0 dst_sel:DWORD dst_unused:UNUSED_PAD src0_sel:DWORD src1_sel:WORD_0
	v_and_b32_e32 v0, s78, v0
	v_lshl_or_b32 v0, v0, 4, v67
	ds_add_u32 v0, v64
	s_or_b64 exec, exec, s[16:17]
	v_cmp_lt_u32_e32 vcc, v25, v13
	s_and_saveexec_b64 s[16:17], vcc
	s_cbranch_execnz .LBB2050_201
.LBB2050_208:                           ;   in Loop: Header=BB2050_182 Depth=2
	s_or_b64 exec, exec, s[16:17]
	v_cmp_lt_u32_e32 vcc, v26, v13
	s_and_saveexec_b64 s[16:17], vcc
	s_cbranch_execz .LBB2050_202
.LBB2050_209:                           ;   in Loop: Header=BB2050_182 Depth=2
	v_cmp_lt_i16_e32 vcc, -1, v8
	v_cndmask_b32_e32 v0, -1, v66, vcc
	v_xor_b32_e32 v0, v0, v8
	v_cmp_ne_u16_e32 vcc, s68, v0
	v_cndmask_b32_e32 v0, v66, v0, vcc
	v_lshrrev_b32_sdwa v0, s77, v0 dst_sel:DWORD dst_unused:UNUSED_PAD src0_sel:DWORD src1_sel:WORD_0
	v_and_b32_e32 v0, s78, v0
	v_lshl_or_b32 v0, v0, 4, v67
	ds_add_u32 v0, v64
	s_or_b64 exec, exec, s[16:17]
	v_cmp_lt_u32_e32 vcc, v29, v13
	s_and_saveexec_b64 s[16:17], vcc
	s_cbranch_execnz .LBB2050_203
.LBB2050_210:                           ;   in Loop: Header=BB2050_182 Depth=2
	s_or_b64 exec, exec, s[16:17]
	v_cmp_lt_u32_e32 vcc, v30, v13
	s_and_saveexec_b64 s[16:17], vcc
	s_cbranch_execz .LBB2050_204
.LBB2050_211:                           ;   in Loop: Header=BB2050_182 Depth=2
	v_cmp_lt_i16_e32 vcc, -1, v6
	v_cndmask_b32_e32 v0, -1, v66, vcc
	v_xor_b32_e32 v0, v0, v6
	v_cmp_ne_u16_e32 vcc, s68, v0
	v_cndmask_b32_e32 v0, v66, v0, vcc
	v_lshrrev_b32_sdwa v0, s77, v0 dst_sel:DWORD dst_unused:UNUSED_PAD src0_sel:DWORD src1_sel:WORD_0
	v_and_b32_e32 v0, s78, v0
	v_lshl_or_b32 v0, v0, 4, v67
	ds_add_u32 v0, v64
	s_or_b64 exec, exec, s[16:17]
	v_cmp_lt_u32_e32 vcc, v31, v13
	s_and_saveexec_b64 s[16:17], vcc
	s_cbranch_execnz .LBB2050_205
.LBB2050_212:                           ;   in Loop: Header=BB2050_182 Depth=2
	s_or_b64 exec, exec, s[16:17]
	v_cmp_lt_u32_e32 vcc, v32, v13
	s_and_saveexec_b64 s[16:17], vcc
	s_cbranch_execz .LBB2050_181
.LBB2050_213:                           ;   in Loop: Header=BB2050_182 Depth=2
	s_waitcnt vmcnt(0)
	v_cmp_lt_i16_e32 vcc, -1, v12
	v_cndmask_b32_e32 v0, -1, v66, vcc
	v_xor_b32_e32 v0, v0, v12
	v_cmp_ne_u16_e32 vcc, s68, v0
	v_cndmask_b32_e32 v0, v66, v0, vcc
	v_lshrrev_b32_sdwa v0, s77, v0 dst_sel:DWORD dst_unused:UNUSED_PAD src0_sel:DWORD src1_sel:WORD_0
	v_and_b32_e32 v0, s78, v0
	v_lshl_or_b32 v0, v0, 4, v67
	ds_add_u32 v0, v64
	s_branch .LBB2050_181
.LBB2050_214:                           ;   in Loop: Header=BB2050_182 Depth=2
	s_or_b64 exec, exec, s[20:21]
	v_cmp_gt_u32_e32 vcc, s22, v24
	s_and_saveexec_b64 s[20:21], vcc
	s_cbranch_execz .LBB2050_188
.LBB2050_215:                           ;   in Loop: Header=BB2050_182 Depth=2
	global_load_ushort v10, v65, s[18:19] offset:512
	s_or_b64 exec, exec, s[20:21]
	v_cmp_gt_u32_e32 vcc, s22, v25
	s_and_saveexec_b64 s[20:21], vcc
	s_cbranch_execnz .LBB2050_189
.LBB2050_216:                           ;   in Loop: Header=BB2050_182 Depth=2
	s_or_b64 exec, exec, s[20:21]
	v_cmp_gt_u32_e32 vcc, s22, v26
	s_and_saveexec_b64 s[20:21], vcc
	s_cbranch_execz .LBB2050_190
.LBB2050_217:                           ;   in Loop: Header=BB2050_182 Depth=2
	global_load_ushort v8, v65, s[18:19] offset:1536
	s_or_b64 exec, exec, s[20:21]
	v_cmp_gt_u32_e32 vcc, s22, v29
	s_and_saveexec_b64 s[20:21], vcc
	s_cbranch_execnz .LBB2050_191
.LBB2050_218:                           ;   in Loop: Header=BB2050_182 Depth=2
	s_or_b64 exec, exec, s[20:21]
	v_cmp_gt_u32_e32 vcc, s22, v30
	s_and_saveexec_b64 s[20:21], vcc
	s_cbranch_execz .LBB2050_192
.LBB2050_219:                           ;   in Loop: Header=BB2050_182 Depth=2
	global_load_ushort v6, v65, s[18:19] offset:2560
	s_or_b64 exec, exec, s[20:21]
	v_cmp_gt_u32_e32 vcc, s22, v31
	s_and_saveexec_b64 s[20:21], vcc
	s_cbranch_execz .LBB2050_194
	s_branch .LBB2050_193
.LBB2050_220:                           ;   in Loop: Header=BB2050_12 Depth=1
	v_mov_b32_e32 v0, 0
	s_waitcnt lgkmcnt(0)
	s_barrier
	s_and_saveexec_b64 s[16:17], s[4:5]
	s_cbranch_execz .LBB2050_222
; %bb.221:                              ;   in Loop: Header=BB2050_12 Depth=1
	ds_read2_b64 v[6:9], v33 offset1:1
	s_waitcnt lgkmcnt(0)
	v_add_u32_e32 v0, v7, v6
	v_add3_u32 v0, v0, v8, v9
.LBB2050_222:                           ;   in Loop: Header=BB2050_12 Depth=1
	s_or_b64 exec, exec, s[16:17]
	v_and_b32_e32 v1, 15, v68
	v_mov_b32_dpp v5, v0 row_shr:1 row_mask:0xf bank_mask:0xf
	v_cmp_eq_u32_e64 s[16:17], 0, v1
	v_cndmask_b32_e64 v5, v5, 0, s[16:17]
	v_add_u32_e32 v0, v5, v0
	v_cmp_lt_u32_e64 s[18:19], 1, v1
	v_cmp_lt_u32_e64 s[20:21], 3, v1
	v_mov_b32_dpp v5, v0 row_shr:2 row_mask:0xf bank_mask:0xf
	v_cndmask_b32_e64 v5, 0, v5, s[18:19]
	v_add_u32_e32 v0, v0, v5
	v_cmp_lt_u32_e64 s[22:23], 7, v1
	v_cmp_lt_u32_e64 s[26:27], 31, v68
	v_mov_b32_dpp v5, v0 row_shr:4 row_mask:0xf bank_mask:0xf
	v_cndmask_b32_e64 v5, 0, v5, s[20:21]
	v_add_u32_e32 v0, v0, v5
	v_and_b32_e32 v6, 16, v68
	v_cmp_eq_u32_e64 s[24:25], 0, v6
	v_mov_b32_dpp v5, v0 row_shr:8 row_mask:0xf bank_mask:0xf
	v_cndmask_b32_e64 v1, 0, v5, s[22:23]
	v_add_u32_e32 v0, v0, v1
	v_bfe_i32 v5, v68, 4, 1
	s_nop 0
	v_mov_b32_dpp v1, v0 row_bcast:15 row_mask:0xf bank_mask:0xf
	v_and_b32_e32 v1, v5, v1
	v_add_u32_e32 v0, v0, v1
	s_nop 1
	v_mov_b32_dpp v1, v0 row_bcast:31 row_mask:0xf bank_mask:0xf
	v_cndmask_b32_e64 v1, 0, v1, s[26:27]
	v_add_u32_e32 v1, v0, v1
	s_and_saveexec_b64 s[28:29], s[6:7]
	s_cbranch_execz .LBB2050_224
; %bb.223:                              ;   in Loop: Header=BB2050_12 Depth=1
	ds_write_b32 v35, v1
.LBB2050_224:                           ;   in Loop: Header=BB2050_12 Depth=1
	s_or_b64 exec, exec, s[28:29]
	v_and_b32_e32 v0, 3, v68
	s_waitcnt lgkmcnt(0)
	s_barrier
	s_and_saveexec_b64 s[28:29], s[8:9]
	s_cbranch_execz .LBB2050_226
; %bb.225:                              ;   in Loop: Header=BB2050_12 Depth=1
	ds_read_b32 v5, v36
	v_cmp_ne_u32_e32 vcc, 0, v0
	s_waitcnt lgkmcnt(0)
	v_mov_b32_dpp v6, v5 row_shr:1 row_mask:0xf bank_mask:0xf
	v_cndmask_b32_e32 v6, 0, v6, vcc
	v_add_u32_e32 v5, v6, v5
	v_cmp_lt_u32_e32 vcc, 1, v0
	s_nop 0
	v_mov_b32_dpp v6, v5 row_shr:2 row_mask:0xf bank_mask:0xf
	v_cndmask_b32_e32 v6, 0, v6, vcc
	v_add_u32_e32 v5, v5, v6
	ds_write_b32 v36, v5
.LBB2050_226:                           ;   in Loop: Header=BB2050_12 Depth=1
	s_or_b64 exec, exec, s[28:29]
	v_mov_b32_e32 v5, 0
	s_waitcnt lgkmcnt(0)
	s_barrier
	s_and_saveexec_b64 s[28:29], s[10:11]
	s_cbranch_execz .LBB2050_228
; %bb.227:                              ;   in Loop: Header=BB2050_12 Depth=1
	ds_read_b32 v5, v37
.LBB2050_228:                           ;   in Loop: Header=BB2050_12 Depth=1
	s_or_b64 exec, exec, s[28:29]
	v_add_u32_e32 v6, -1, v68
	v_and_b32_e32 v7, 64, v68
	v_cmp_lt_i32_e32 vcc, v6, v7
	v_cndmask_b32_e32 v6, v6, v68, vcc
	s_waitcnt lgkmcnt(0)
	v_add_u32_e32 v1, v5, v1
	v_lshlrev_b32_e32 v69, 2, v6
	ds_bpermute_b32 v1, v69, v1
	v_cmp_eq_u32_e64 s[28:29], 0, v68
	s_waitcnt lgkmcnt(0)
	s_barrier
	s_and_saveexec_b64 s[30:31], s[4:5]
	s_cbranch_execz .LBB2050_230
; %bb.229:                              ;   in Loop: Header=BB2050_12 Depth=1
	v_cndmask_b32_e64 v1, v1, v5, s[28:29]
	v_add_u32_e32 v1, s51, v1
	ds_write_b32 v3, v1
.LBB2050_230:                           ;   in Loop: Header=BB2050_12 Depth=1
	s_or_b64 exec, exec, s[30:31]
	s_load_dwordx2 s[30:31], s[74:75], 0x0
	v_and_b32_e32 v21, 63, v68
	v_lshlrev_b32_e32 v22, 3, v21
	v_add_co_u32_e32 v77, vcc, v54, v22
	s_waitcnt lgkmcnt(0)
	s_cmp_lt_u32 s50, s30
	s_cselect_b32 s34, 12, 18
	s_cmp_lt_u32 s33, s31
	s_cselect_b32 s30, 14, 20
	s_add_u32 s30, s74, s30
	s_addc_u32 s31, s75, 0
	s_add_u32 s34, s74, s34
	global_load_ushort v5, v4, s[30:31]
	s_addc_u32 s35, s75, 0
	global_load_ushort v20, v4, s[34:35]
	v_or_b32_e32 v74, v21, v38
	v_lshlrev_b32_e32 v21, 1, v21
	v_addc_co_u32_e32 v79, vcc, 0, v55, vcc
	v_add_co_u32_e32 v88, vcc, v56, v21
	v_addc_co_u32_e32 v89, vcc, 0, v57, vcc
	v_add_co_u32_e32 v90, vcc, 0x380, v88
	v_cmp_eq_u32_e64 s[30:31], 0, v0
	v_cmp_lt_u32_e64 s[34:35], 1, v0
	s_mov_b32 s79, s71
	v_or_b32_e32 v81, 64, v74
	v_or_b32_e32 v82, 0x80, v74
	;; [unrolled: 1-line block ×7, first 2 shown]
	v_addc_co_u32_e32 v91, vcc, 0, v89, vcc
	s_mov_b32 s72, s51
                                        ; implicit-def: $vgpr0_vgpr1
                                        ; implicit-def: $vgpr6_vgpr7
                                        ; implicit-def: $vgpr8_vgpr9
                                        ; implicit-def: $vgpr10_vgpr11
                                        ; implicit-def: $vgpr12_vgpr13
                                        ; implicit-def: $vgpr14_vgpr15
                                        ; implicit-def: $vgpr16_vgpr17
                                        ; implicit-def: $vgpr18_vgpr19
                                        ; implicit-def: $vgpr70
                                        ; implicit-def: $vgpr71
                                        ; implicit-def: $vgpr72
                                        ; implicit-def: $vgpr73
                                        ; implicit-def: $vgpr75
                                        ; implicit-def: $vgpr76
                                        ; implicit-def: $vgpr78
                                        ; implicit-def: $vgpr80
	s_waitcnt vmcnt(1)
	v_mad_u32_u24 v5, v39, v5, v40
	s_waitcnt vmcnt(0)
	v_mad_u64_u32 v[20:21], s[36:37], v5, v20, v[2:3]
	v_lshrrev_b32_e32 v92, 6, v20
	s_branch .LBB2050_232
.LBB2050_231:                           ;   in Loop: Header=BB2050_232 Depth=2
	s_or_b64 exec, exec, s[36:37]
	s_addk_i32 s79, 0xf800
	s_cmp_lt_u32 s80, s76
	s_mov_b32 s72, s80
	s_cbranch_scc0 .LBB2050_344
.LBB2050_232:                           ;   Parent Loop BB2050_12 Depth=1
                                        ; =>  This Inner Loop Header: Depth=2
	s_add_i32 s80, s72, 0x800
	s_cmp_gt_u32 s80, s76
	s_cbranch_scc1 .LBB2050_235
; %bb.233:                              ;   in Loop: Header=BB2050_232 Depth=2
	s_lshl_b64 s[36:37], s[72:73], 1
	v_mov_b32_e32 v5, s37
	v_add_co_u32_e32 v20, vcc, s36, v88
	v_addc_co_u32_e32 v21, vcc, v89, v5, vcc
	global_load_ushort v5, v[20:21], off
	global_load_ushort v97, v[20:21], off offset:128
	global_load_ushort v101, v[20:21], off offset:256
	;; [unrolled: 1-line block ×6, first 2 shown]
	s_mov_b64 s[36:37], -1
	s_movk_i32 s40, 0x800
	s_cbranch_execz .LBB2050_236
; %bb.234:                              ;   in Loop: Header=BB2050_232 Depth=2
                                        ; implicit-def: $sgpr38
	v_mov_b32_e32 v23, s38
	v_mov_b32_e32 v93, s79
	s_and_saveexec_b64 s[38:39], s[36:37]
	s_cbranch_execnz .LBB2050_251
	s_branch .LBB2050_252
.LBB2050_235:                           ;   in Loop: Header=BB2050_232 Depth=2
	s_mov_b64 s[36:37], 0
                                        ; implicit-def: $sgpr40
                                        ; implicit-def: $vgpr5
                                        ; implicit-def: $vgpr97
                                        ; implicit-def: $vgpr101
                                        ; implicit-def: $vgpr106
                                        ; implicit-def: $vgpr109
                                        ; implicit-def: $vgpr104
                                        ; implicit-def: $vgpr22
.LBB2050_236:                           ;   in Loop: Header=BB2050_232 Depth=2
	s_lshl_b64 s[36:37], s[72:73], 1
	s_waitcnt vmcnt(6)
	v_mov_b32_e32 v5, s37
	v_add_co_u32_e32 v20, vcc, s36, v88
	v_addc_co_u32_e32 v21, vcc, v89, v5, vcc
	v_cmp_gt_u32_e32 vcc, s79, v74
	s_waitcnt vmcnt(5)
	v_mov_b32_e32 v97, 0x7fff
	v_mov_b32_e32 v5, 0x7fff
	s_and_saveexec_b64 s[36:37], vcc
	s_cbranch_execz .LBB2050_238
; %bb.237:                              ;   in Loop: Header=BB2050_232 Depth=2
	global_load_ushort v5, v[20:21], off
.LBB2050_238:                           ;   in Loop: Header=BB2050_232 Depth=2
	s_or_b64 exec, exec, s[36:37]
	v_cmp_gt_u32_e32 vcc, s79, v81
	s_and_saveexec_b64 s[36:37], vcc
	s_cbranch_execz .LBB2050_240
; %bb.239:                              ;   in Loop: Header=BB2050_232 Depth=2
	global_load_ushort v97, v[20:21], off offset:128
.LBB2050_240:                           ;   in Loop: Header=BB2050_232 Depth=2
	s_or_b64 exec, exec, s[36:37]
	v_cmp_gt_u32_e32 vcc, s79, v82
	s_waitcnt vmcnt(3)
	v_mov_b32_e32 v106, 0x7fff
	v_mov_b32_e32 v101, 0x7fff
	s_and_saveexec_b64 s[36:37], vcc
	s_cbranch_execz .LBB2050_242
; %bb.241:                              ;   in Loop: Header=BB2050_232 Depth=2
	global_load_ushort v101, v[20:21], off offset:256
.LBB2050_242:                           ;   in Loop: Header=BB2050_232 Depth=2
	s_or_b64 exec, exec, s[36:37]
	v_cmp_gt_u32_e32 vcc, s79, v83
	s_and_saveexec_b64 s[36:37], vcc
	s_cbranch_execz .LBB2050_244
; %bb.243:                              ;   in Loop: Header=BB2050_232 Depth=2
	global_load_ushort v106, v[20:21], off offset:384
.LBB2050_244:                           ;   in Loop: Header=BB2050_232 Depth=2
	s_or_b64 exec, exec, s[36:37]
	v_cmp_gt_u32_e32 vcc, s79, v84
	s_waitcnt vmcnt(1)
	v_mov_b32_e32 v104, 0x7fff
	v_mov_b32_e32 v109, 0x7fff
	s_and_saveexec_b64 s[36:37], vcc
	s_cbranch_execz .LBB2050_246
; %bb.245:                              ;   in Loop: Header=BB2050_232 Depth=2
	global_load_ushort v109, v[20:21], off offset:512
.LBB2050_246:                           ;   in Loop: Header=BB2050_232 Depth=2
	s_or_b64 exec, exec, s[36:37]
	v_cmp_gt_u32_e32 vcc, s79, v85
	s_and_saveexec_b64 s[36:37], vcc
	s_cbranch_execz .LBB2050_248
; %bb.247:                              ;   in Loop: Header=BB2050_232 Depth=2
	global_load_ushort v104, v[20:21], off offset:640
.LBB2050_248:                           ;   in Loop: Header=BB2050_232 Depth=2
	s_or_b64 exec, exec, s[36:37]
	v_cmp_gt_u32_e32 vcc, s79, v86
	s_waitcnt vmcnt(0)
	v_mov_b32_e32 v22, 0x7fff
	s_and_saveexec_b64 s[36:37], vcc
	s_cbranch_execz .LBB2050_250
; %bb.249:                              ;   in Loop: Header=BB2050_232 Depth=2
	global_load_ushort v22, v[20:21], off offset:768
.LBB2050_250:                           ;   in Loop: Header=BB2050_232 Depth=2
	s_or_b64 exec, exec, s[36:37]
	s_sub_i32 s40, s76, s72
	v_cmp_gt_u32_e64 s[36:37], s79, v87
	s_movk_i32 s38, 0x7fff
	v_mov_b32_e32 v23, s38
	v_mov_b32_e32 v93, s79
	s_and_saveexec_b64 s[38:39], s[36:37]
	s_cbranch_execz .LBB2050_252
.LBB2050_251:                           ;   in Loop: Header=BB2050_232 Depth=2
	s_lshl_b64 s[36:37], s[72:73], 1
	v_mov_b32_e32 v21, s37
	v_add_co_u32_e32 v20, vcc, s36, v90
	v_addc_co_u32_e32 v21, vcc, v91, v21, vcc
	global_load_ushort v23, v[20:21], off
	v_mov_b32_e32 v93, s40
.LBB2050_252:                           ;   in Loop: Header=BB2050_232 Depth=2
	s_or_b64 exec, exec, s[38:39]
	s_waitcnt vmcnt(6)
	v_cmp_lt_i16_e32 vcc, -1, v5
	v_cndmask_b32_e32 v20, -1, v66, vcc
	v_xor_b32_e32 v94, v20, v5
	v_add_u32_e32 v5, 0x410, v41
	v_cmp_ne_u16_e32 vcc, s68, v94
	ds_write2_b32 v5, v4, v4 offset1:1
	ds_write2_b32 v43, v4, v4 offset0:2 offset1:3
	ds_write_b32 v43, v4 offset:16
	v_cndmask_b32_e32 v5, v66, v94, vcc
	v_lshrrev_b32_sdwa v5, s77, v5 dst_sel:DWORD dst_unused:UNUSED_PAD src0_sel:DWORD src1_sel:WORD_0
	v_and_b32_e32 v20, s78, v5
	v_mad_u32_u24 v5, v20, 5, v92
	v_lshl_add_u32 v95, v5, 2, v42
	v_and_b32_e32 v5, 1, v20
	v_add_co_u32_e32 v21, vcc, -1, v5
	v_addc_co_u32_e64 v96, s[36:37], 0, -1, vcc
	v_cmp_ne_u32_e32 vcc, 0, v5
	v_xor_b32_e32 v5, vcc_hi, v96
	v_and_b32_e32 v96, exec_hi, v5
	v_lshlrev_b32_e32 v5, 30, v20
	v_xor_b32_e32 v21, vcc_lo, v21
	v_cmp_gt_i64_e32 vcc, 0, v[4:5]
	v_not_b32_e32 v5, v5
	v_ashrrev_i32_e32 v5, 31, v5
	v_and_b32_e32 v21, exec_lo, v21
	v_xor_b32_e32 v98, vcc_hi, v5
	v_xor_b32_e32 v5, vcc_lo, v5
	v_and_b32_e32 v21, v21, v5
	v_lshlrev_b32_e32 v5, 29, v20
	v_cmp_gt_i64_e32 vcc, 0, v[4:5]
	v_not_b32_e32 v5, v5
	v_ashrrev_i32_e32 v5, 31, v5
	v_and_b32_e32 v96, v96, v98
	v_xor_b32_e32 v98, vcc_hi, v5
	v_xor_b32_e32 v5, vcc_lo, v5
	v_and_b32_e32 v21, v21, v5
	v_lshlrev_b32_e32 v5, 28, v20
	v_cmp_gt_i64_e32 vcc, 0, v[4:5]
	v_not_b32_e32 v5, v5
	v_ashrrev_i32_e32 v5, 31, v5
	v_and_b32_e32 v96, v96, v98
	;; [unrolled: 8-line block ×5, first 2 shown]
	v_xor_b32_e32 v98, vcc_hi, v5
	v_xor_b32_e32 v5, vcc_lo, v5
	v_and_b32_e32 v96, v96, v98
	v_and_b32_e32 v98, v21, v5
	v_lshlrev_b32_e32 v5, 24, v20
	v_cmp_gt_i64_e32 vcc, 0, v[4:5]
	v_not_b32_e32 v5, v5
	v_ashrrev_i32_e32 v5, 31, v5
	v_xor_b32_e32 v20, vcc_hi, v5
	v_xor_b32_e32 v5, vcc_lo, v5
	v_and_b32_e32 v21, v96, v20
	v_and_b32_e32 v20, v98, v5
	v_mbcnt_lo_u32_b32 v5, v20, 0
	v_mbcnt_hi_u32_b32 v96, v21, v5
	v_cmp_eq_u32_e32 vcc, 0, v96
	v_cmp_ne_u64_e64 s[36:37], 0, v[20:21]
	s_and_b64 s[38:39], s[36:37], vcc
	s_waitcnt lgkmcnt(0)
	s_barrier
	s_waitcnt lgkmcnt(0)
	; wave barrier
	s_and_saveexec_b64 s[36:37], s[38:39]
	s_cbranch_execz .LBB2050_254
; %bb.253:                              ;   in Loop: Header=BB2050_232 Depth=2
	v_bcnt_u32_b32 v5, v20, 0
	v_bcnt_u32_b32 v5, v21, v5
	ds_write_b32 v95, v5
.LBB2050_254:                           ;   in Loop: Header=BB2050_232 Depth=2
	s_or_b64 exec, exec, s[36:37]
	s_waitcnt vmcnt(5)
	v_cmp_lt_i16_e32 vcc, -1, v97
	v_cndmask_b32_e32 v5, -1, v66, vcc
	v_xor_b32_e32 v97, v5, v97
	v_cmp_ne_u16_e32 vcc, s68, v97
	v_cndmask_b32_e32 v5, v66, v97, vcc
	v_lshrrev_b32_sdwa v5, s77, v5 dst_sel:DWORD dst_unused:UNUSED_PAD src0_sel:DWORD src1_sel:WORD_0
	v_and_b32_e32 v20, s78, v5
	v_mul_u32_u24_e32 v5, 5, v20
	v_add_lshl_u32 v5, v5, v92, 2
	; wave barrier
	v_add_u32_e32 v99, 0x410, v5
	ds_read_b32 v98, v5 offset:1040
	v_and_b32_e32 v5, 1, v20
	v_add_co_u32_e32 v21, vcc, -1, v5
	v_addc_co_u32_e64 v100, s[36:37], 0, -1, vcc
	v_cmp_ne_u32_e32 vcc, 0, v5
	v_xor_b32_e32 v5, vcc_hi, v100
	v_and_b32_e32 v100, exec_hi, v5
	v_lshlrev_b32_e32 v5, 30, v20
	v_xor_b32_e32 v21, vcc_lo, v21
	v_cmp_gt_i64_e32 vcc, 0, v[4:5]
	v_not_b32_e32 v5, v5
	v_ashrrev_i32_e32 v5, 31, v5
	v_and_b32_e32 v21, exec_lo, v21
	v_xor_b32_e32 v102, vcc_hi, v5
	v_xor_b32_e32 v5, vcc_lo, v5
	v_and_b32_e32 v21, v21, v5
	v_lshlrev_b32_e32 v5, 29, v20
	v_cmp_gt_i64_e32 vcc, 0, v[4:5]
	v_not_b32_e32 v5, v5
	v_ashrrev_i32_e32 v5, 31, v5
	v_and_b32_e32 v100, v100, v102
	v_xor_b32_e32 v102, vcc_hi, v5
	v_xor_b32_e32 v5, vcc_lo, v5
	v_and_b32_e32 v21, v21, v5
	v_lshlrev_b32_e32 v5, 28, v20
	v_cmp_gt_i64_e32 vcc, 0, v[4:5]
	v_not_b32_e32 v5, v5
	v_ashrrev_i32_e32 v5, 31, v5
	v_and_b32_e32 v100, v100, v102
	;; [unrolled: 8-line block ×5, first 2 shown]
	v_xor_b32_e32 v102, vcc_hi, v5
	v_xor_b32_e32 v5, vcc_lo, v5
	v_and_b32_e32 v100, v100, v102
	v_and_b32_e32 v102, v21, v5
	v_lshlrev_b32_e32 v5, 24, v20
	v_cmp_gt_i64_e32 vcc, 0, v[4:5]
	v_not_b32_e32 v5, v5
	v_ashrrev_i32_e32 v5, 31, v5
	v_xor_b32_e32 v20, vcc_hi, v5
	v_xor_b32_e32 v5, vcc_lo, v5
	v_and_b32_e32 v21, v100, v20
	v_and_b32_e32 v20, v102, v5
	v_mbcnt_lo_u32_b32 v5, v20, 0
	v_mbcnt_hi_u32_b32 v100, v21, v5
	v_cmp_eq_u32_e32 vcc, 0, v100
	v_cmp_ne_u64_e64 s[36:37], 0, v[20:21]
	s_and_b64 s[38:39], s[36:37], vcc
	; wave barrier
	s_and_saveexec_b64 s[36:37], s[38:39]
	s_cbranch_execz .LBB2050_256
; %bb.255:                              ;   in Loop: Header=BB2050_232 Depth=2
	v_bcnt_u32_b32 v5, v20, 0
	v_bcnt_u32_b32 v5, v21, v5
	s_waitcnt lgkmcnt(0)
	v_add_u32_e32 v5, v98, v5
	ds_write_b32 v99, v5
.LBB2050_256:                           ;   in Loop: Header=BB2050_232 Depth=2
	s_or_b64 exec, exec, s[36:37]
	s_waitcnt vmcnt(4)
	v_cmp_lt_i16_e32 vcc, -1, v101
	v_cndmask_b32_e32 v5, -1, v66, vcc
	v_xor_b32_e32 v101, v5, v101
	v_cmp_ne_u16_e32 vcc, s68, v101
	v_cndmask_b32_e32 v5, v66, v101, vcc
	v_lshrrev_b32_sdwa v5, s77, v5 dst_sel:DWORD dst_unused:UNUSED_PAD src0_sel:DWORD src1_sel:WORD_0
	v_and_b32_e32 v20, s78, v5
	v_mul_u32_u24_e32 v5, 5, v20
	v_add_lshl_u32 v5, v5, v92, 2
	; wave barrier
	v_add_u32_e32 v103, 0x410, v5
	ds_read_b32 v102, v5 offset:1040
	v_and_b32_e32 v5, 1, v20
	v_add_co_u32_e32 v21, vcc, -1, v5
	v_addc_co_u32_e64 v105, s[36:37], 0, -1, vcc
	v_cmp_ne_u32_e32 vcc, 0, v5
	v_xor_b32_e32 v5, vcc_hi, v105
	v_and_b32_e32 v105, exec_hi, v5
	v_lshlrev_b32_e32 v5, 30, v20
	v_xor_b32_e32 v21, vcc_lo, v21
	v_cmp_gt_i64_e32 vcc, 0, v[4:5]
	v_not_b32_e32 v5, v5
	v_ashrrev_i32_e32 v5, 31, v5
	v_and_b32_e32 v21, exec_lo, v21
	v_xor_b32_e32 v107, vcc_hi, v5
	v_xor_b32_e32 v5, vcc_lo, v5
	v_and_b32_e32 v21, v21, v5
	v_lshlrev_b32_e32 v5, 29, v20
	v_cmp_gt_i64_e32 vcc, 0, v[4:5]
	v_not_b32_e32 v5, v5
	v_ashrrev_i32_e32 v5, 31, v5
	v_and_b32_e32 v105, v105, v107
	v_xor_b32_e32 v107, vcc_hi, v5
	v_xor_b32_e32 v5, vcc_lo, v5
	v_and_b32_e32 v21, v21, v5
	v_lshlrev_b32_e32 v5, 28, v20
	v_cmp_gt_i64_e32 vcc, 0, v[4:5]
	v_not_b32_e32 v5, v5
	v_ashrrev_i32_e32 v5, 31, v5
	v_and_b32_e32 v105, v105, v107
	;; [unrolled: 8-line block ×5, first 2 shown]
	v_xor_b32_e32 v107, vcc_hi, v5
	v_xor_b32_e32 v5, vcc_lo, v5
	v_and_b32_e32 v105, v105, v107
	v_and_b32_e32 v107, v21, v5
	v_lshlrev_b32_e32 v5, 24, v20
	v_cmp_gt_i64_e32 vcc, 0, v[4:5]
	v_not_b32_e32 v5, v5
	v_ashrrev_i32_e32 v5, 31, v5
	v_xor_b32_e32 v20, vcc_hi, v5
	v_xor_b32_e32 v5, vcc_lo, v5
	v_and_b32_e32 v21, v105, v20
	v_and_b32_e32 v20, v107, v5
	v_mbcnt_lo_u32_b32 v5, v20, 0
	v_mbcnt_hi_u32_b32 v105, v21, v5
	v_cmp_eq_u32_e32 vcc, 0, v105
	v_cmp_ne_u64_e64 s[36:37], 0, v[20:21]
	s_and_b64 s[38:39], s[36:37], vcc
	; wave barrier
	s_and_saveexec_b64 s[36:37], s[38:39]
	s_cbranch_execz .LBB2050_258
; %bb.257:                              ;   in Loop: Header=BB2050_232 Depth=2
	v_bcnt_u32_b32 v5, v20, 0
	v_bcnt_u32_b32 v5, v21, v5
	s_waitcnt lgkmcnt(0)
	v_add_u32_e32 v5, v102, v5
	ds_write_b32 v103, v5
.LBB2050_258:                           ;   in Loop: Header=BB2050_232 Depth=2
	s_or_b64 exec, exec, s[36:37]
	s_waitcnt vmcnt(3)
	v_cmp_lt_i16_e32 vcc, -1, v106
	v_cndmask_b32_e32 v5, -1, v66, vcc
	v_xor_b32_e32 v106, v5, v106
	v_cmp_ne_u16_e32 vcc, s68, v106
	v_cndmask_b32_e32 v5, v66, v106, vcc
	v_lshrrev_b32_sdwa v5, s77, v5 dst_sel:DWORD dst_unused:UNUSED_PAD src0_sel:DWORD src1_sel:WORD_0
	v_and_b32_e32 v20, s78, v5
	v_mul_u32_u24_e32 v5, 5, v20
	v_add_lshl_u32 v5, v5, v92, 2
	; wave barrier
	v_add_u32_e32 v108, 0x410, v5
	ds_read_b32 v107, v5 offset:1040
	v_and_b32_e32 v5, 1, v20
	v_add_co_u32_e32 v21, vcc, -1, v5
	v_addc_co_u32_e64 v110, s[36:37], 0, -1, vcc
	v_cmp_ne_u32_e32 vcc, 0, v5
	v_xor_b32_e32 v5, vcc_hi, v110
	v_and_b32_e32 v110, exec_hi, v5
	v_lshlrev_b32_e32 v5, 30, v20
	v_xor_b32_e32 v21, vcc_lo, v21
	v_cmp_gt_i64_e32 vcc, 0, v[4:5]
	v_not_b32_e32 v5, v5
	v_ashrrev_i32_e32 v5, 31, v5
	v_and_b32_e32 v21, exec_lo, v21
	v_xor_b32_e32 v111, vcc_hi, v5
	v_xor_b32_e32 v5, vcc_lo, v5
	v_and_b32_e32 v21, v21, v5
	v_lshlrev_b32_e32 v5, 29, v20
	v_cmp_gt_i64_e32 vcc, 0, v[4:5]
	v_not_b32_e32 v5, v5
	v_ashrrev_i32_e32 v5, 31, v5
	v_and_b32_e32 v110, v110, v111
	v_xor_b32_e32 v111, vcc_hi, v5
	v_xor_b32_e32 v5, vcc_lo, v5
	v_and_b32_e32 v21, v21, v5
	v_lshlrev_b32_e32 v5, 28, v20
	v_cmp_gt_i64_e32 vcc, 0, v[4:5]
	v_not_b32_e32 v5, v5
	v_ashrrev_i32_e32 v5, 31, v5
	v_and_b32_e32 v110, v110, v111
	;; [unrolled: 8-line block ×5, first 2 shown]
	v_xor_b32_e32 v111, vcc_hi, v5
	v_xor_b32_e32 v5, vcc_lo, v5
	v_and_b32_e32 v110, v110, v111
	v_and_b32_e32 v111, v21, v5
	v_lshlrev_b32_e32 v5, 24, v20
	v_cmp_gt_i64_e32 vcc, 0, v[4:5]
	v_not_b32_e32 v5, v5
	v_ashrrev_i32_e32 v5, 31, v5
	v_xor_b32_e32 v20, vcc_hi, v5
	v_xor_b32_e32 v5, vcc_lo, v5
	v_and_b32_e32 v21, v110, v20
	v_and_b32_e32 v20, v111, v5
	v_mbcnt_lo_u32_b32 v5, v20, 0
	v_mbcnt_hi_u32_b32 v110, v21, v5
	v_cmp_eq_u32_e32 vcc, 0, v110
	v_cmp_ne_u64_e64 s[36:37], 0, v[20:21]
	s_and_b64 s[38:39], s[36:37], vcc
	; wave barrier
	s_and_saveexec_b64 s[36:37], s[38:39]
	s_cbranch_execz .LBB2050_260
; %bb.259:                              ;   in Loop: Header=BB2050_232 Depth=2
	v_bcnt_u32_b32 v5, v20, 0
	v_bcnt_u32_b32 v5, v21, v5
	s_waitcnt lgkmcnt(0)
	v_add_u32_e32 v5, v107, v5
	ds_write_b32 v108, v5
.LBB2050_260:                           ;   in Loop: Header=BB2050_232 Depth=2
	s_or_b64 exec, exec, s[36:37]
	s_waitcnt vmcnt(2)
	v_cmp_lt_i16_e32 vcc, -1, v109
	v_cndmask_b32_e32 v5, -1, v66, vcc
	v_xor_b32_e32 v109, v5, v109
	v_cmp_ne_u16_e32 vcc, s68, v109
	v_cndmask_b32_e32 v5, v66, v109, vcc
	v_lshrrev_b32_sdwa v5, s77, v5 dst_sel:DWORD dst_unused:UNUSED_PAD src0_sel:DWORD src1_sel:WORD_0
	v_and_b32_e32 v20, s78, v5
	v_mul_u32_u24_e32 v5, 5, v20
	v_add_lshl_u32 v5, v5, v92, 2
	; wave barrier
	v_add_u32_e32 v112, 0x410, v5
	ds_read_b32 v111, v5 offset:1040
	v_and_b32_e32 v5, 1, v20
	v_add_co_u32_e32 v21, vcc, -1, v5
	v_addc_co_u32_e64 v113, s[36:37], 0, -1, vcc
	v_cmp_ne_u32_e32 vcc, 0, v5
	v_xor_b32_e32 v5, vcc_hi, v113
	v_and_b32_e32 v113, exec_hi, v5
	v_lshlrev_b32_e32 v5, 30, v20
	v_xor_b32_e32 v21, vcc_lo, v21
	v_cmp_gt_i64_e32 vcc, 0, v[4:5]
	v_not_b32_e32 v5, v5
	v_ashrrev_i32_e32 v5, 31, v5
	v_and_b32_e32 v21, exec_lo, v21
	v_xor_b32_e32 v114, vcc_hi, v5
	v_xor_b32_e32 v5, vcc_lo, v5
	v_and_b32_e32 v21, v21, v5
	v_lshlrev_b32_e32 v5, 29, v20
	v_cmp_gt_i64_e32 vcc, 0, v[4:5]
	v_not_b32_e32 v5, v5
	v_ashrrev_i32_e32 v5, 31, v5
	v_and_b32_e32 v113, v113, v114
	v_xor_b32_e32 v114, vcc_hi, v5
	v_xor_b32_e32 v5, vcc_lo, v5
	v_and_b32_e32 v21, v21, v5
	v_lshlrev_b32_e32 v5, 28, v20
	v_cmp_gt_i64_e32 vcc, 0, v[4:5]
	v_not_b32_e32 v5, v5
	v_ashrrev_i32_e32 v5, 31, v5
	v_and_b32_e32 v113, v113, v114
	;; [unrolled: 8-line block ×5, first 2 shown]
	v_xor_b32_e32 v114, vcc_hi, v5
	v_xor_b32_e32 v5, vcc_lo, v5
	v_and_b32_e32 v113, v113, v114
	v_and_b32_e32 v114, v21, v5
	v_lshlrev_b32_e32 v5, 24, v20
	v_cmp_gt_i64_e32 vcc, 0, v[4:5]
	v_not_b32_e32 v5, v5
	v_ashrrev_i32_e32 v5, 31, v5
	v_xor_b32_e32 v20, vcc_hi, v5
	v_xor_b32_e32 v5, vcc_lo, v5
	v_and_b32_e32 v21, v113, v20
	v_and_b32_e32 v20, v114, v5
	v_mbcnt_lo_u32_b32 v5, v20, 0
	v_mbcnt_hi_u32_b32 v113, v21, v5
	v_cmp_eq_u32_e32 vcc, 0, v113
	v_cmp_ne_u64_e64 s[36:37], 0, v[20:21]
	s_and_b64 s[38:39], s[36:37], vcc
	; wave barrier
	s_and_saveexec_b64 s[36:37], s[38:39]
	s_cbranch_execz .LBB2050_262
; %bb.261:                              ;   in Loop: Header=BB2050_232 Depth=2
	v_bcnt_u32_b32 v5, v20, 0
	v_bcnt_u32_b32 v5, v21, v5
	s_waitcnt lgkmcnt(0)
	v_add_u32_e32 v5, v111, v5
	ds_write_b32 v112, v5
.LBB2050_262:                           ;   in Loop: Header=BB2050_232 Depth=2
	s_or_b64 exec, exec, s[36:37]
	s_waitcnt vmcnt(1)
	v_cmp_lt_i16_e32 vcc, -1, v104
	v_cndmask_b32_e32 v5, -1, v66, vcc
	v_xor_b32_e32 v104, v5, v104
	v_cmp_ne_u16_e32 vcc, s68, v104
	v_cndmask_b32_e32 v5, v66, v104, vcc
	v_lshrrev_b32_sdwa v5, s77, v5 dst_sel:DWORD dst_unused:UNUSED_PAD src0_sel:DWORD src1_sel:WORD_0
	v_and_b32_e32 v20, s78, v5
	v_mul_u32_u24_e32 v5, 5, v20
	v_add_lshl_u32 v5, v5, v92, 2
	; wave barrier
	v_add_u32_e32 v115, 0x410, v5
	ds_read_b32 v114, v5 offset:1040
	v_and_b32_e32 v5, 1, v20
	v_add_co_u32_e32 v21, vcc, -1, v5
	v_addc_co_u32_e64 v116, s[36:37], 0, -1, vcc
	v_cmp_ne_u32_e32 vcc, 0, v5
	v_xor_b32_e32 v5, vcc_hi, v116
	v_and_b32_e32 v116, exec_hi, v5
	v_lshlrev_b32_e32 v5, 30, v20
	v_xor_b32_e32 v21, vcc_lo, v21
	v_cmp_gt_i64_e32 vcc, 0, v[4:5]
	v_not_b32_e32 v5, v5
	v_ashrrev_i32_e32 v5, 31, v5
	v_and_b32_e32 v21, exec_lo, v21
	v_xor_b32_e32 v117, vcc_hi, v5
	v_xor_b32_e32 v5, vcc_lo, v5
	v_and_b32_e32 v21, v21, v5
	v_lshlrev_b32_e32 v5, 29, v20
	v_cmp_gt_i64_e32 vcc, 0, v[4:5]
	v_not_b32_e32 v5, v5
	v_ashrrev_i32_e32 v5, 31, v5
	v_and_b32_e32 v116, v116, v117
	v_xor_b32_e32 v117, vcc_hi, v5
	v_xor_b32_e32 v5, vcc_lo, v5
	v_and_b32_e32 v21, v21, v5
	v_lshlrev_b32_e32 v5, 28, v20
	v_cmp_gt_i64_e32 vcc, 0, v[4:5]
	v_not_b32_e32 v5, v5
	v_ashrrev_i32_e32 v5, 31, v5
	v_and_b32_e32 v116, v116, v117
	;; [unrolled: 8-line block ×5, first 2 shown]
	v_xor_b32_e32 v117, vcc_hi, v5
	v_xor_b32_e32 v5, vcc_lo, v5
	v_and_b32_e32 v116, v116, v117
	v_and_b32_e32 v117, v21, v5
	v_lshlrev_b32_e32 v5, 24, v20
	v_cmp_gt_i64_e32 vcc, 0, v[4:5]
	v_not_b32_e32 v5, v5
	v_ashrrev_i32_e32 v5, 31, v5
	v_xor_b32_e32 v20, vcc_hi, v5
	v_xor_b32_e32 v5, vcc_lo, v5
	v_and_b32_e32 v21, v116, v20
	v_and_b32_e32 v20, v117, v5
	v_mbcnt_lo_u32_b32 v5, v20, 0
	v_mbcnt_hi_u32_b32 v116, v21, v5
	v_cmp_eq_u32_e32 vcc, 0, v116
	v_cmp_ne_u64_e64 s[36:37], 0, v[20:21]
	s_and_b64 s[38:39], s[36:37], vcc
	; wave barrier
	s_and_saveexec_b64 s[36:37], s[38:39]
	s_cbranch_execz .LBB2050_264
; %bb.263:                              ;   in Loop: Header=BB2050_232 Depth=2
	v_bcnt_u32_b32 v5, v20, 0
	v_bcnt_u32_b32 v5, v21, v5
	s_waitcnt lgkmcnt(0)
	v_add_u32_e32 v5, v114, v5
	ds_write_b32 v115, v5
.LBB2050_264:                           ;   in Loop: Header=BB2050_232 Depth=2
	s_or_b64 exec, exec, s[36:37]
	s_waitcnt vmcnt(0)
	v_cmp_lt_i16_e32 vcc, -1, v22
	v_cndmask_b32_e32 v5, -1, v66, vcc
	v_xor_b32_e32 v117, v5, v22
	v_cmp_ne_u16_e32 vcc, s68, v117
	v_cndmask_b32_e32 v5, v66, v117, vcc
	v_lshrrev_b32_sdwa v5, s77, v5 dst_sel:DWORD dst_unused:UNUSED_PAD src0_sel:DWORD src1_sel:WORD_0
	v_and_b32_e32 v20, s78, v5
	v_mul_u32_u24_e32 v5, 5, v20
	v_add_lshl_u32 v5, v5, v92, 2
	; wave barrier
	v_add_u32_e32 v119, 0x410, v5
	ds_read_b32 v118, v5 offset:1040
	v_and_b32_e32 v5, 1, v20
	v_add_co_u32_e32 v21, vcc, -1, v5
	v_addc_co_u32_e64 v22, s[36:37], 0, -1, vcc
	v_cmp_ne_u32_e32 vcc, 0, v5
	v_xor_b32_e32 v5, vcc_hi, v22
	v_and_b32_e32 v22, exec_hi, v5
	v_lshlrev_b32_e32 v5, 30, v20
	v_xor_b32_e32 v21, vcc_lo, v21
	v_cmp_gt_i64_e32 vcc, 0, v[4:5]
	v_not_b32_e32 v5, v5
	v_ashrrev_i32_e32 v5, 31, v5
	v_and_b32_e32 v21, exec_lo, v21
	v_xor_b32_e32 v120, vcc_hi, v5
	v_xor_b32_e32 v5, vcc_lo, v5
	v_and_b32_e32 v21, v21, v5
	v_lshlrev_b32_e32 v5, 29, v20
	v_cmp_gt_i64_e32 vcc, 0, v[4:5]
	v_not_b32_e32 v5, v5
	v_ashrrev_i32_e32 v5, 31, v5
	v_and_b32_e32 v22, v22, v120
	v_xor_b32_e32 v120, vcc_hi, v5
	v_xor_b32_e32 v5, vcc_lo, v5
	v_and_b32_e32 v21, v21, v5
	v_lshlrev_b32_e32 v5, 28, v20
	v_cmp_gt_i64_e32 vcc, 0, v[4:5]
	v_not_b32_e32 v5, v5
	v_ashrrev_i32_e32 v5, 31, v5
	v_and_b32_e32 v22, v22, v120
	;; [unrolled: 8-line block ×5, first 2 shown]
	v_xor_b32_e32 v120, vcc_hi, v5
	v_xor_b32_e32 v5, vcc_lo, v5
	v_and_b32_e32 v22, v22, v120
	v_and_b32_e32 v120, v21, v5
	v_lshlrev_b32_e32 v5, 24, v20
	v_cmp_gt_i64_e32 vcc, 0, v[4:5]
	v_not_b32_e32 v5, v5
	v_ashrrev_i32_e32 v5, 31, v5
	v_xor_b32_e32 v20, vcc_hi, v5
	v_xor_b32_e32 v5, vcc_lo, v5
	v_and_b32_e32 v21, v22, v20
	v_and_b32_e32 v20, v120, v5
	v_mbcnt_lo_u32_b32 v5, v20, 0
	v_mbcnt_hi_u32_b32 v120, v21, v5
	v_cmp_eq_u32_e32 vcc, 0, v120
	v_cmp_ne_u64_e64 s[36:37], 0, v[20:21]
	s_and_b64 s[38:39], s[36:37], vcc
	; wave barrier
	s_and_saveexec_b64 s[36:37], s[38:39]
	s_cbranch_execz .LBB2050_266
; %bb.265:                              ;   in Loop: Header=BB2050_232 Depth=2
	v_bcnt_u32_b32 v5, v20, 0
	v_bcnt_u32_b32 v5, v21, v5
	s_waitcnt lgkmcnt(0)
	v_add_u32_e32 v5, v118, v5
	ds_write_b32 v119, v5
.LBB2050_266:                           ;   in Loop: Header=BB2050_232 Depth=2
	s_or_b64 exec, exec, s[36:37]
	v_cmp_lt_i16_e32 vcc, -1, v23
	v_cndmask_b32_e32 v5, -1, v66, vcc
	v_xor_b32_e32 v121, v5, v23
	v_cmp_ne_u16_e32 vcc, s68, v121
	v_cndmask_b32_e32 v5, v66, v121, vcc
	v_lshrrev_b32_sdwa v5, s77, v5 dst_sel:DWORD dst_unused:UNUSED_PAD src0_sel:DWORD src1_sel:WORD_0
	v_and_b32_e32 v20, s78, v5
	v_mul_u32_u24_e32 v5, 5, v20
	v_add_lshl_u32 v5, v5, v92, 2
	; wave barrier
	v_add_u32_e32 v123, 0x410, v5
	ds_read_b32 v122, v5 offset:1040
	v_and_b32_e32 v5, 1, v20
	v_add_co_u32_e32 v21, vcc, -1, v5
	v_addc_co_u32_e64 v22, s[36:37], 0, -1, vcc
	v_cmp_ne_u32_e32 vcc, 0, v5
	v_xor_b32_e32 v5, vcc_hi, v22
	v_and_b32_e32 v22, exec_hi, v5
	v_lshlrev_b32_e32 v5, 30, v20
	v_xor_b32_e32 v21, vcc_lo, v21
	v_cmp_gt_i64_e32 vcc, 0, v[4:5]
	v_not_b32_e32 v5, v5
	v_ashrrev_i32_e32 v5, 31, v5
	v_and_b32_e32 v21, exec_lo, v21
	v_xor_b32_e32 v23, vcc_hi, v5
	v_xor_b32_e32 v5, vcc_lo, v5
	v_and_b32_e32 v21, v21, v5
	v_lshlrev_b32_e32 v5, 29, v20
	v_cmp_gt_i64_e32 vcc, 0, v[4:5]
	v_not_b32_e32 v5, v5
	v_ashrrev_i32_e32 v5, 31, v5
	v_and_b32_e32 v22, v22, v23
	v_xor_b32_e32 v23, vcc_hi, v5
	v_xor_b32_e32 v5, vcc_lo, v5
	v_and_b32_e32 v21, v21, v5
	v_lshlrev_b32_e32 v5, 28, v20
	v_cmp_gt_i64_e32 vcc, 0, v[4:5]
	v_not_b32_e32 v5, v5
	v_ashrrev_i32_e32 v5, 31, v5
	v_and_b32_e32 v22, v22, v23
	;; [unrolled: 8-line block ×5, first 2 shown]
	v_xor_b32_e32 v23, vcc_hi, v5
	v_xor_b32_e32 v5, vcc_lo, v5
	v_and_b32_e32 v22, v22, v23
	v_and_b32_e32 v23, v21, v5
	v_lshlrev_b32_e32 v5, 24, v20
	v_cmp_gt_i64_e32 vcc, 0, v[4:5]
	v_not_b32_e32 v5, v5
	v_ashrrev_i32_e32 v5, 31, v5
	v_xor_b32_e32 v20, vcc_hi, v5
	v_xor_b32_e32 v5, vcc_lo, v5
	v_and_b32_e32 v21, v22, v20
	v_and_b32_e32 v20, v23, v5
	v_mbcnt_lo_u32_b32 v5, v20, 0
	v_mbcnt_hi_u32_b32 v124, v21, v5
	v_cmp_eq_u32_e32 vcc, 0, v124
	v_cmp_ne_u64_e64 s[36:37], 0, v[20:21]
	s_and_b64 s[38:39], s[36:37], vcc
	; wave barrier
	s_and_saveexec_b64 s[36:37], s[38:39]
	s_cbranch_execz .LBB2050_268
; %bb.267:                              ;   in Loop: Header=BB2050_232 Depth=2
	v_bcnt_u32_b32 v5, v20, 0
	v_bcnt_u32_b32 v5, v21, v5
	s_waitcnt lgkmcnt(0)
	v_add_u32_e32 v5, v122, v5
	ds_write_b32 v123, v5
.LBB2050_268:                           ;   in Loop: Header=BB2050_232 Depth=2
	s_or_b64 exec, exec, s[36:37]
	; wave barrier
	s_waitcnt lgkmcnt(0)
	s_barrier
	ds_read_b32 v5, v41 offset:1040
	ds_read2_b32 v[22:23], v43 offset0:1 offset1:2
	ds_read2_b32 v[20:21], v43 offset0:3 offset1:4
	s_waitcnt lgkmcnt(1)
	v_add3_u32 v125, v22, v5, v23
	s_waitcnt lgkmcnt(0)
	v_add3_u32 v21, v125, v20, v21
	s_nop 1
	v_mov_b32_dpp v125, v21 row_shr:1 row_mask:0xf bank_mask:0xf
	v_cndmask_b32_e64 v125, v125, 0, s[16:17]
	v_add_u32_e32 v21, v125, v21
	s_nop 1
	v_mov_b32_dpp v125, v21 row_shr:2 row_mask:0xf bank_mask:0xf
	v_cndmask_b32_e64 v125, 0, v125, s[18:19]
	v_add_u32_e32 v21, v21, v125
	;; [unrolled: 4-line block ×4, first 2 shown]
	s_nop 1
	v_mov_b32_dpp v125, v21 row_bcast:15 row_mask:0xf bank_mask:0xf
	v_cndmask_b32_e64 v125, v125, 0, s[24:25]
	v_add_u32_e32 v21, v21, v125
	s_nop 1
	v_mov_b32_dpp v125, v21 row_bcast:31 row_mask:0xf bank_mask:0xf
	v_cndmask_b32_e64 v125, 0, v125, s[26:27]
	v_add_u32_e32 v21, v21, v125
	s_and_saveexec_b64 s[36:37], s[6:7]
	s_cbranch_execz .LBB2050_270
; %bb.269:                              ;   in Loop: Header=BB2050_232 Depth=2
	ds_write_b32 v34, v21 offset:1024
.LBB2050_270:                           ;   in Loop: Header=BB2050_232 Depth=2
	s_or_b64 exec, exec, s[36:37]
	s_waitcnt lgkmcnt(0)
	s_barrier
	s_and_saveexec_b64 s[36:37], s[8:9]
	s_cbranch_execz .LBB2050_272
; %bb.271:                              ;   in Loop: Header=BB2050_232 Depth=2
	ds_read_b32 v125, v44 offset:1024
	s_waitcnt lgkmcnt(0)
	s_nop 0
	v_mov_b32_dpp v126, v125 row_shr:1 row_mask:0xf bank_mask:0xf
	v_cndmask_b32_e64 v126, v126, 0, s[30:31]
	v_add_u32_e32 v125, v126, v125
	s_nop 1
	v_mov_b32_dpp v126, v125 row_shr:2 row_mask:0xf bank_mask:0xf
	v_cndmask_b32_e64 v126, 0, v126, s[34:35]
	v_add_u32_e32 v125, v125, v126
	ds_write_b32 v44, v125 offset:1024
.LBB2050_272:                           ;   in Loop: Header=BB2050_232 Depth=2
	s_or_b64 exec, exec, s[36:37]
	v_mov_b32_e32 v125, 0
	s_waitcnt lgkmcnt(0)
	s_barrier
	s_and_saveexec_b64 s[36:37], s[10:11]
	s_cbranch_execz .LBB2050_274
; %bb.273:                              ;   in Loop: Header=BB2050_232 Depth=2
	ds_read_b32 v125, v34 offset:1020
.LBB2050_274:                           ;   in Loop: Header=BB2050_232 Depth=2
	s_or_b64 exec, exec, s[36:37]
	s_waitcnt lgkmcnt(0)
	v_add_u32_e32 v21, v125, v21
	ds_bpermute_b32 v21, v69, v21
	s_waitcnt lgkmcnt(0)
	v_cndmask_b32_e64 v21, v21, v125, s[28:29]
	v_cndmask_b32_e64 v21, v21, 0, s[12:13]
	v_add_u32_e32 v5, v21, v5
	ds_write_b32 v41, v21 offset:1040
	v_add_u32_e32 v21, v5, v22
	v_add_u32_e32 v22, v21, v23
	ds_write2_b32 v43, v5, v21 offset0:1 offset1:2
	v_add_u32_e32 v5, v22, v20
	ds_write2_b32 v43, v22, v5 offset0:3 offset1:4
	s_waitcnt lgkmcnt(0)
	s_barrier
	ds_read_b32 v20, v99
	ds_read_b32 v21, v103
	;; [unrolled: 1-line block ×8, first 2 shown]
	ds_read_b32 v99, v41 offset:1040
	v_mov_b32_e32 v5, 0x800
	s_and_saveexec_b64 s[36:37], s[14:15]
	s_cbranch_execz .LBB2050_276
; %bb.275:                              ;   in Loop: Header=BB2050_232 Depth=2
	ds_read_b32 v5, v41 offset:1060
.LBB2050_276:                           ;   in Loop: Header=BB2050_232 Depth=2
	s_or_b64 exec, exec, s[36:37]
	s_waitcnt lgkmcnt(0)
	s_barrier
	s_and_saveexec_b64 s[36:37], s[4:5]
	s_cbranch_execz .LBB2050_278
; %bb.277:                              ;   in Loop: Header=BB2050_232 Depth=2
	ds_read_b32 v103, v3
	s_waitcnt lgkmcnt(0)
	v_sub_u32_e32 v99, v103, v99
	ds_write_b32 v3, v99
.LBB2050_278:                           ;   in Loop: Header=BB2050_232 Depth=2
	s_or_b64 exec, exec, s[36:37]
	v_add_u32_e32 v103, v95, v96
	v_add3_u32 v100, v100, v98, v20
	v_lshlrev_b32_e32 v20, 1, v103
	v_add3_u32 v99, v105, v102, v21
	ds_write_b16 v20, v94 offset:1024
	v_lshlrev_b32_e32 v20, 1, v100
	v_add3_u32 v98, v110, v107, v22
	ds_write_b16 v20, v97 offset:1024
	;; [unrolled: 3-line block ×6, first 2 shown]
	v_lshlrev_b32_e32 v20, 1, v23
	ds_write_b16 v20, v117 offset:1024
	v_lshlrev_b32_e32 v20, 1, v22
	v_cmp_lt_u32_e32 vcc, v2, v93
	ds_write_b16 v20, v121 offset:1024
	s_waitcnt lgkmcnt(0)
	s_barrier
	s_and_saveexec_b64 s[38:39], vcc
	s_cbranch_execz .LBB2050_286
; %bb.279:                              ;   in Loop: Header=BB2050_232 Depth=2
	ds_read_u16 v20, v49 offset:1024
	v_mov_b32_e32 v21, v4
	v_mov_b32_e32 v97, s61
	s_waitcnt lgkmcnt(0)
	v_cmp_ne_u16_e64 s[36:37], s68, v20
	v_cndmask_b32_e64 v94, v66, v20, s[36:37]
	v_lshrrev_b32_sdwa v94, s77, v94 dst_sel:DWORD dst_unused:UNUSED_PAD src0_sel:DWORD src1_sel:WORD_0
	v_and_b32_e32 v94, s78, v94
	v_lshlrev_b32_e32 v94, 2, v94
	ds_read_b32 v94, v94
	v_cmp_lt_i16_e64 s[36:37], -1, v20
	v_cndmask_b32_e64 v101, v66, -1, s[36:37]
	v_xor_b32_e32 v101, v101, v20
	s_waitcnt lgkmcnt(0)
	v_add_u32_e32 v20, v94, v2
	v_lshlrev_b64 v[20:21], 1, v[20:21]
	v_add_co_u32_e64 v20, s[36:37], s60, v20
	v_addc_co_u32_e64 v21, s[36:37], v97, v21, s[36:37]
	global_store_short v[20:21], v101, off
	s_or_b64 exec, exec, s[38:39]
	v_cmp_lt_u32_e64 s[36:37], v24, v93
	s_and_saveexec_b64 s[40:41], s[36:37]
	s_cbranch_execnz .LBB2050_287
.LBB2050_280:                           ;   in Loop: Header=BB2050_232 Depth=2
	s_or_b64 exec, exec, s[40:41]
	v_cmp_lt_u32_e64 s[38:39], v25, v93
	s_and_saveexec_b64 s[42:43], s[38:39]
	s_cbranch_execz .LBB2050_288
.LBB2050_281:                           ;   in Loop: Header=BB2050_232 Depth=2
	ds_read_u16 v20, v50 offset:1024
	v_mov_b32_e32 v21, v4
	v_mov_b32_e32 v97, s61
	s_waitcnt lgkmcnt(0)
	v_cmp_ne_u16_e64 s[40:41], s68, v20
	v_cndmask_b32_e64 v94, v66, v20, s[40:41]
	v_lshrrev_b32_sdwa v94, s77, v94 dst_sel:DWORD dst_unused:UNUSED_PAD src0_sel:DWORD src1_sel:WORD_0
	v_and_b32_e32 v94, s78, v94
	v_lshlrev_b32_e32 v94, 2, v94
	ds_read_b32 v94, v94
	v_cmp_lt_i16_e64 s[40:41], -1, v20
	v_cndmask_b32_e64 v101, v66, -1, s[40:41]
	v_xor_b32_e32 v101, v101, v20
	s_waitcnt lgkmcnt(0)
	v_add_u32_e32 v20, v94, v25
	v_lshlrev_b64 v[20:21], 1, v[20:21]
	v_add_co_u32_e64 v20, s[40:41], s60, v20
	v_addc_co_u32_e64 v21, s[40:41], v97, v21, s[40:41]
	global_store_short v[20:21], v101, off
	s_or_b64 exec, exec, s[42:43]
	v_cmp_lt_u32_e64 s[40:41], v26, v93
	s_and_saveexec_b64 s[44:45], s[40:41]
	s_cbranch_execnz .LBB2050_289
.LBB2050_282:                           ;   in Loop: Header=BB2050_232 Depth=2
	s_or_b64 exec, exec, s[44:45]
	v_cmp_lt_u32_e64 s[42:43], v29, v93
	s_and_saveexec_b64 s[46:47], s[42:43]
	s_cbranch_execz .LBB2050_290
.LBB2050_283:                           ;   in Loop: Header=BB2050_232 Depth=2
	ds_read_u16 v20, v50 offset:2048
	v_mov_b32_e32 v21, v4
	v_mov_b32_e32 v97, s61
	s_waitcnt lgkmcnt(0)
	v_cmp_ne_u16_e64 s[44:45], s68, v20
	v_cndmask_b32_e64 v94, v66, v20, s[44:45]
	v_lshrrev_b32_sdwa v94, s77, v94 dst_sel:DWORD dst_unused:UNUSED_PAD src0_sel:DWORD src1_sel:WORD_0
	v_and_b32_e32 v94, s78, v94
	v_lshlrev_b32_e32 v94, 2, v94
	ds_read_b32 v94, v94
	v_cmp_lt_i16_e64 s[44:45], -1, v20
	v_cndmask_b32_e64 v101, v66, -1, s[44:45]
	v_xor_b32_e32 v101, v101, v20
	s_waitcnt lgkmcnt(0)
	v_add_u32_e32 v20, v94, v29
	v_lshlrev_b64 v[20:21], 1, v[20:21]
	v_add_co_u32_e64 v20, s[44:45], s60, v20
	v_addc_co_u32_e64 v21, s[44:45], v97, v21, s[44:45]
	global_store_short v[20:21], v101, off
	s_or_b64 exec, exec, s[46:47]
	v_cmp_lt_u32_e64 s[44:45], v30, v93
	s_and_saveexec_b64 s[48:49], s[44:45]
	s_cbranch_execnz .LBB2050_291
.LBB2050_284:                           ;   in Loop: Header=BB2050_232 Depth=2
	s_or_b64 exec, exec, s[48:49]
	v_cmp_lt_u32_e64 s[46:47], v31, v93
	s_and_saveexec_b64 s[52:53], s[46:47]
	s_cbranch_execz .LBB2050_292
.LBB2050_285:                           ;   in Loop: Header=BB2050_232 Depth=2
	ds_read_u16 v20, v50 offset:3072
	v_mov_b32_e32 v21, v4
	v_mov_b32_e32 v97, s61
	s_waitcnt lgkmcnt(0)
	v_cmp_ne_u16_e64 s[48:49], s68, v20
	v_cndmask_b32_e64 v94, v66, v20, s[48:49]
	v_lshrrev_b32_sdwa v94, s77, v94 dst_sel:DWORD dst_unused:UNUSED_PAD src0_sel:DWORD src1_sel:WORD_0
	v_and_b32_e32 v94, s78, v94
	v_lshlrev_b32_e32 v94, 2, v94
	ds_read_b32 v94, v94
	v_cmp_lt_i16_e64 s[48:49], -1, v20
	v_cndmask_b32_e64 v101, v66, -1, s[48:49]
	v_xor_b32_e32 v101, v101, v20
	s_waitcnt lgkmcnt(0)
	v_add_u32_e32 v20, v94, v31
	v_lshlrev_b64 v[20:21], 1, v[20:21]
	v_add_co_u32_e64 v20, s[48:49], s60, v20
	v_addc_co_u32_e64 v21, s[48:49], v97, v21, s[48:49]
	global_store_short v[20:21], v101, off
	s_or_b64 exec, exec, s[52:53]
	v_cmp_lt_u32_e64 s[48:49], v32, v93
	s_and_saveexec_b64 s[62:63], s[48:49]
	s_cbranch_execnz .LBB2050_293
	s_branch .LBB2050_294
.LBB2050_286:                           ;   in Loop: Header=BB2050_232 Depth=2
	s_or_b64 exec, exec, s[38:39]
	v_cmp_lt_u32_e64 s[36:37], v24, v93
	s_and_saveexec_b64 s[40:41], s[36:37]
	s_cbranch_execz .LBB2050_280
.LBB2050_287:                           ;   in Loop: Header=BB2050_232 Depth=2
	ds_read_u16 v20, v50 offset:512
	v_mov_b32_e32 v21, v4
	v_mov_b32_e32 v97, s61
	s_waitcnt lgkmcnt(0)
	v_cmp_ne_u16_e64 s[38:39], s68, v20
	v_cndmask_b32_e64 v94, v66, v20, s[38:39]
	v_lshrrev_b32_sdwa v94, s77, v94 dst_sel:DWORD dst_unused:UNUSED_PAD src0_sel:DWORD src1_sel:WORD_0
	v_and_b32_e32 v94, s78, v94
	v_lshlrev_b32_e32 v94, 2, v94
	ds_read_b32 v94, v94
	v_cmp_lt_i16_e64 s[38:39], -1, v20
	v_cndmask_b32_e64 v101, v66, -1, s[38:39]
	v_xor_b32_e32 v101, v101, v20
	s_waitcnt lgkmcnt(0)
	v_add_u32_e32 v20, v94, v24
	v_lshlrev_b64 v[20:21], 1, v[20:21]
	v_add_co_u32_e64 v20, s[38:39], s60, v20
	v_addc_co_u32_e64 v21, s[38:39], v97, v21, s[38:39]
	global_store_short v[20:21], v101, off
	s_or_b64 exec, exec, s[40:41]
	v_cmp_lt_u32_e64 s[38:39], v25, v93
	s_and_saveexec_b64 s[42:43], s[38:39]
	s_cbranch_execnz .LBB2050_281
.LBB2050_288:                           ;   in Loop: Header=BB2050_232 Depth=2
	s_or_b64 exec, exec, s[42:43]
	v_cmp_lt_u32_e64 s[40:41], v26, v93
	s_and_saveexec_b64 s[44:45], s[40:41]
	s_cbranch_execz .LBB2050_282
.LBB2050_289:                           ;   in Loop: Header=BB2050_232 Depth=2
	ds_read_u16 v20, v50 offset:1536
	v_mov_b32_e32 v21, v4
	v_mov_b32_e32 v97, s61
	s_waitcnt lgkmcnt(0)
	v_cmp_ne_u16_e64 s[42:43], s68, v20
	v_cndmask_b32_e64 v94, v66, v20, s[42:43]
	v_lshrrev_b32_sdwa v94, s77, v94 dst_sel:DWORD dst_unused:UNUSED_PAD src0_sel:DWORD src1_sel:WORD_0
	v_and_b32_e32 v94, s78, v94
	v_lshlrev_b32_e32 v94, 2, v94
	ds_read_b32 v94, v94
	v_cmp_lt_i16_e64 s[42:43], -1, v20
	v_cndmask_b32_e64 v101, v66, -1, s[42:43]
	v_xor_b32_e32 v101, v101, v20
	s_waitcnt lgkmcnt(0)
	v_add_u32_e32 v20, v94, v26
	v_lshlrev_b64 v[20:21], 1, v[20:21]
	v_add_co_u32_e64 v20, s[42:43], s60, v20
	v_addc_co_u32_e64 v21, s[42:43], v97, v21, s[42:43]
	global_store_short v[20:21], v101, off
	s_or_b64 exec, exec, s[44:45]
	v_cmp_lt_u32_e64 s[42:43], v29, v93
	s_and_saveexec_b64 s[46:47], s[42:43]
	s_cbranch_execnz .LBB2050_283
.LBB2050_290:                           ;   in Loop: Header=BB2050_232 Depth=2
	s_or_b64 exec, exec, s[46:47]
	v_cmp_lt_u32_e64 s[44:45], v30, v93
	s_and_saveexec_b64 s[48:49], s[44:45]
	s_cbranch_execz .LBB2050_284
.LBB2050_291:                           ;   in Loop: Header=BB2050_232 Depth=2
	ds_read_u16 v20, v50 offset:2560
	v_mov_b32_e32 v21, v4
	v_mov_b32_e32 v97, s61
	s_waitcnt lgkmcnt(0)
	v_cmp_ne_u16_e64 s[46:47], s68, v20
	v_cndmask_b32_e64 v94, v66, v20, s[46:47]
	v_lshrrev_b32_sdwa v94, s77, v94 dst_sel:DWORD dst_unused:UNUSED_PAD src0_sel:DWORD src1_sel:WORD_0
	v_and_b32_e32 v94, s78, v94
	v_lshlrev_b32_e32 v94, 2, v94
	ds_read_b32 v94, v94
	v_cmp_lt_i16_e64 s[46:47], -1, v20
	v_cndmask_b32_e64 v101, v66, -1, s[46:47]
	v_xor_b32_e32 v101, v101, v20
	s_waitcnt lgkmcnt(0)
	v_add_u32_e32 v20, v94, v30
	v_lshlrev_b64 v[20:21], 1, v[20:21]
	v_add_co_u32_e64 v20, s[46:47], s60, v20
	v_addc_co_u32_e64 v21, s[46:47], v97, v21, s[46:47]
	global_store_short v[20:21], v101, off
	s_or_b64 exec, exec, s[48:49]
	v_cmp_lt_u32_e64 s[46:47], v31, v93
	s_and_saveexec_b64 s[52:53], s[46:47]
	s_cbranch_execnz .LBB2050_285
.LBB2050_292:                           ;   in Loop: Header=BB2050_232 Depth=2
	s_or_b64 exec, exec, s[52:53]
	v_cmp_lt_u32_e64 s[48:49], v32, v93
	s_and_saveexec_b64 s[62:63], s[48:49]
	s_cbranch_execz .LBB2050_294
.LBB2050_293:                           ;   in Loop: Header=BB2050_232 Depth=2
	ds_read_u16 v20, v50 offset:3584
	v_mov_b32_e32 v21, v4
	v_mov_b32_e32 v97, s61
	s_waitcnt lgkmcnt(0)
	v_cmp_ne_u16_e64 s[52:53], s68, v20
	v_cndmask_b32_e64 v94, v66, v20, s[52:53]
	v_lshrrev_b32_sdwa v94, s77, v94 dst_sel:DWORD dst_unused:UNUSED_PAD src0_sel:DWORD src1_sel:WORD_0
	v_and_b32_e32 v94, s78, v94
	v_lshlrev_b32_e32 v94, 2, v94
	ds_read_b32 v94, v94
	v_cmp_lt_i16_e64 s[52:53], -1, v20
	v_cndmask_b32_e64 v101, v66, -1, s[52:53]
	v_xor_b32_e32 v101, v101, v20
	s_waitcnt lgkmcnt(0)
	v_add_u32_e32 v20, v94, v32
	v_lshlrev_b64 v[20:21], 1, v[20:21]
	v_add_co_u32_e64 v20, s[52:53], s60, v20
	v_addc_co_u32_e64 v21, s[52:53], v97, v21, s[52:53]
	global_store_short v[20:21], v101, off
.LBB2050_294:                           ;   in Loop: Header=BB2050_232 Depth=2
	s_or_b64 exec, exec, s[62:63]
	s_lshl_b64 s[52:53], s[72:73], 3
	v_mov_b32_e32 v21, s53
	v_add_co_u32_e64 v20, s[52:53], s52, v77
	v_addc_co_u32_e64 v21, s[52:53], v79, v21, s[52:53]
	v_cmp_lt_u32_e64 s[52:53], v74, v93
	s_and_saveexec_b64 s[62:63], s[52:53]
	s_xor_b64 s[52:53], exec, s[62:63]
	s_cbranch_execz .LBB2050_310
; %bb.295:                              ;   in Loop: Header=BB2050_232 Depth=2
	global_load_dwordx2 v[18:19], v[20:21], off
	s_or_b64 exec, exec, s[52:53]
	v_cmp_lt_u32_e64 s[52:53], v81, v93
	s_and_saveexec_b64 s[62:63], s[52:53]
	s_cbranch_execnz .LBB2050_311
.LBB2050_296:                           ;   in Loop: Header=BB2050_232 Depth=2
	s_or_b64 exec, exec, s[62:63]
	v_cmp_lt_u32_e64 s[52:53], v82, v93
	s_and_saveexec_b64 s[62:63], s[52:53]
	s_cbranch_execz .LBB2050_312
.LBB2050_297:                           ;   in Loop: Header=BB2050_232 Depth=2
	global_load_dwordx2 v[14:15], v[20:21], off offset:1024
	s_or_b64 exec, exec, s[62:63]
	v_cmp_lt_u32_e64 s[52:53], v83, v93
	s_and_saveexec_b64 s[62:63], s[52:53]
	s_cbranch_execnz .LBB2050_313
.LBB2050_298:                           ;   in Loop: Header=BB2050_232 Depth=2
	s_or_b64 exec, exec, s[62:63]
	v_cmp_lt_u32_e64 s[52:53], v84, v93
	s_and_saveexec_b64 s[62:63], s[52:53]
	s_cbranch_execz .LBB2050_314
.LBB2050_299:                           ;   in Loop: Header=BB2050_232 Depth=2
	global_load_dwordx2 v[10:11], v[20:21], off offset:2048
	s_or_b64 exec, exec, s[62:63]
	v_cmp_lt_u32_e64 s[52:53], v85, v93
	s_and_saveexec_b64 s[62:63], s[52:53]
	s_cbranch_execnz .LBB2050_315
.LBB2050_300:                           ;   in Loop: Header=BB2050_232 Depth=2
	s_or_b64 exec, exec, s[62:63]
	v_cmp_lt_u32_e64 s[52:53], v86, v93
	s_and_saveexec_b64 s[62:63], s[52:53]
	s_cbranch_execz .LBB2050_316
.LBB2050_301:                           ;   in Loop: Header=BB2050_232 Depth=2
	global_load_dwordx2 v[6:7], v[20:21], off offset:3072
	s_or_b64 exec, exec, s[62:63]
	v_cmp_lt_u32_e64 s[52:53], v87, v93
	s_and_saveexec_b64 s[62:63], s[52:53]
	s_cbranch_execnz .LBB2050_317
.LBB2050_302:                           ;   in Loop: Header=BB2050_232 Depth=2
	s_or_b64 exec, exec, s[62:63]
	s_and_saveexec_b64 s[62:63], vcc
	s_cbranch_execz .LBB2050_318
.LBB2050_303:                           ;   in Loop: Header=BB2050_232 Depth=2
	ds_read_u16 v20, v49 offset:1024
	s_waitcnt lgkmcnt(0)
	v_cmp_ne_u16_e64 s[52:53], s68, v20
	v_cndmask_b32_e64 v20, v66, v20, s[52:53]
	v_lshrrev_b32_sdwa v20, s77, v20 dst_sel:DWORD dst_unused:UNUSED_PAD src0_sel:DWORD src1_sel:WORD_0
	v_and_b32_e32 v80, s78, v20
	s_or_b64 exec, exec, s[62:63]
	s_and_saveexec_b64 s[62:63], s[36:37]
	s_cbranch_execnz .LBB2050_319
.LBB2050_304:                           ;   in Loop: Header=BB2050_232 Depth=2
	s_or_b64 exec, exec, s[62:63]
	s_and_saveexec_b64 s[62:63], s[38:39]
	s_cbranch_execz .LBB2050_320
.LBB2050_305:                           ;   in Loop: Header=BB2050_232 Depth=2
	ds_read_u16 v20, v50 offset:1024
	s_waitcnt lgkmcnt(0)
	v_cmp_ne_u16_e64 s[52:53], s68, v20
	v_cndmask_b32_e64 v20, v66, v20, s[52:53]
	v_lshrrev_b32_sdwa v20, s77, v20 dst_sel:DWORD dst_unused:UNUSED_PAD src0_sel:DWORD src1_sel:WORD_0
	v_and_b32_e32 v76, s78, v20
	s_or_b64 exec, exec, s[62:63]
	s_and_saveexec_b64 s[62:63], s[40:41]
	s_cbranch_execnz .LBB2050_321
.LBB2050_306:                           ;   in Loop: Header=BB2050_232 Depth=2
	s_or_b64 exec, exec, s[62:63]
	s_and_saveexec_b64 s[62:63], s[42:43]
	s_cbranch_execz .LBB2050_322
.LBB2050_307:                           ;   in Loop: Header=BB2050_232 Depth=2
	ds_read_u16 v20, v50 offset:2048
	s_waitcnt lgkmcnt(0)
	v_cmp_ne_u16_e64 s[52:53], s68, v20
	v_cndmask_b32_e64 v20, v66, v20, s[52:53]
	v_lshrrev_b32_sdwa v20, s77, v20 dst_sel:DWORD dst_unused:UNUSED_PAD src0_sel:DWORD src1_sel:WORD_0
	v_and_b32_e32 v73, s78, v20
	s_or_b64 exec, exec, s[62:63]
	s_and_saveexec_b64 s[62:63], s[44:45]
	s_cbranch_execnz .LBB2050_323
.LBB2050_308:                           ;   in Loop: Header=BB2050_232 Depth=2
	s_or_b64 exec, exec, s[62:63]
	s_and_saveexec_b64 s[62:63], s[46:47]
	s_cbranch_execz .LBB2050_324
.LBB2050_309:                           ;   in Loop: Header=BB2050_232 Depth=2
	ds_read_u16 v20, v50 offset:3072
	s_waitcnt lgkmcnt(0)
	v_cmp_ne_u16_e64 s[52:53], s68, v20
	v_cndmask_b32_e64 v20, v66, v20, s[52:53]
	v_lshrrev_b32_sdwa v20, s77, v20 dst_sel:DWORD dst_unused:UNUSED_PAD src0_sel:DWORD src1_sel:WORD_0
	v_and_b32_e32 v71, s78, v20
	s_or_b64 exec, exec, s[62:63]
	s_and_saveexec_b64 s[62:63], s[48:49]
	s_cbranch_execnz .LBB2050_325
	s_branch .LBB2050_326
.LBB2050_310:                           ;   in Loop: Header=BB2050_232 Depth=2
	s_or_b64 exec, exec, s[52:53]
	v_cmp_lt_u32_e64 s[52:53], v81, v93
	s_and_saveexec_b64 s[62:63], s[52:53]
	s_cbranch_execz .LBB2050_296
.LBB2050_311:                           ;   in Loop: Header=BB2050_232 Depth=2
	global_load_dwordx2 v[16:17], v[20:21], off offset:512
	s_or_b64 exec, exec, s[62:63]
	v_cmp_lt_u32_e64 s[52:53], v82, v93
	s_and_saveexec_b64 s[62:63], s[52:53]
	s_cbranch_execnz .LBB2050_297
.LBB2050_312:                           ;   in Loop: Header=BB2050_232 Depth=2
	s_or_b64 exec, exec, s[62:63]
	v_cmp_lt_u32_e64 s[52:53], v83, v93
	s_and_saveexec_b64 s[62:63], s[52:53]
	s_cbranch_execz .LBB2050_298
.LBB2050_313:                           ;   in Loop: Header=BB2050_232 Depth=2
	global_load_dwordx2 v[12:13], v[20:21], off offset:1536
	s_or_b64 exec, exec, s[62:63]
	v_cmp_lt_u32_e64 s[52:53], v84, v93
	s_and_saveexec_b64 s[62:63], s[52:53]
	s_cbranch_execnz .LBB2050_299
.LBB2050_314:                           ;   in Loop: Header=BB2050_232 Depth=2
	s_or_b64 exec, exec, s[62:63]
	v_cmp_lt_u32_e64 s[52:53], v85, v93
	s_and_saveexec_b64 s[62:63], s[52:53]
	s_cbranch_execz .LBB2050_300
.LBB2050_315:                           ;   in Loop: Header=BB2050_232 Depth=2
	global_load_dwordx2 v[8:9], v[20:21], off offset:2560
	s_or_b64 exec, exec, s[62:63]
	v_cmp_lt_u32_e64 s[52:53], v86, v93
	s_and_saveexec_b64 s[62:63], s[52:53]
	s_cbranch_execnz .LBB2050_301
.LBB2050_316:                           ;   in Loop: Header=BB2050_232 Depth=2
	s_or_b64 exec, exec, s[62:63]
	v_cmp_lt_u32_e64 s[52:53], v87, v93
	s_and_saveexec_b64 s[62:63], s[52:53]
	s_cbranch_execz .LBB2050_302
.LBB2050_317:                           ;   in Loop: Header=BB2050_232 Depth=2
	global_load_dwordx2 v[0:1], v[20:21], off offset:3584
	s_or_b64 exec, exec, s[62:63]
	s_and_saveexec_b64 s[62:63], vcc
	s_cbranch_execnz .LBB2050_303
.LBB2050_318:                           ;   in Loop: Header=BB2050_232 Depth=2
	s_or_b64 exec, exec, s[62:63]
	s_and_saveexec_b64 s[62:63], s[36:37]
	s_cbranch_execz .LBB2050_304
.LBB2050_319:                           ;   in Loop: Header=BB2050_232 Depth=2
	ds_read_u16 v20, v50 offset:512
	s_waitcnt lgkmcnt(0)
	v_cmp_ne_u16_e64 s[52:53], s68, v20
	v_cndmask_b32_e64 v20, v66, v20, s[52:53]
	v_lshrrev_b32_sdwa v20, s77, v20 dst_sel:DWORD dst_unused:UNUSED_PAD src0_sel:DWORD src1_sel:WORD_0
	v_and_b32_e32 v78, s78, v20
	s_or_b64 exec, exec, s[62:63]
	s_and_saveexec_b64 s[62:63], s[38:39]
	s_cbranch_execnz .LBB2050_305
.LBB2050_320:                           ;   in Loop: Header=BB2050_232 Depth=2
	s_or_b64 exec, exec, s[62:63]
	s_and_saveexec_b64 s[62:63], s[40:41]
	s_cbranch_execz .LBB2050_306
.LBB2050_321:                           ;   in Loop: Header=BB2050_232 Depth=2
	ds_read_u16 v20, v50 offset:1536
	s_waitcnt lgkmcnt(0)
	v_cmp_ne_u16_e64 s[52:53], s68, v20
	v_cndmask_b32_e64 v20, v66, v20, s[52:53]
	v_lshrrev_b32_sdwa v20, s77, v20 dst_sel:DWORD dst_unused:UNUSED_PAD src0_sel:DWORD src1_sel:WORD_0
	v_and_b32_e32 v75, s78, v20
	s_or_b64 exec, exec, s[62:63]
	s_and_saveexec_b64 s[62:63], s[42:43]
	s_cbranch_execnz .LBB2050_307
.LBB2050_322:                           ;   in Loop: Header=BB2050_232 Depth=2
	s_or_b64 exec, exec, s[62:63]
	s_and_saveexec_b64 s[62:63], s[44:45]
	s_cbranch_execz .LBB2050_308
.LBB2050_323:                           ;   in Loop: Header=BB2050_232 Depth=2
	ds_read_u16 v20, v50 offset:2560
	s_waitcnt lgkmcnt(0)
	v_cmp_ne_u16_e64 s[52:53], s68, v20
	v_cndmask_b32_e64 v20, v66, v20, s[52:53]
	v_lshrrev_b32_sdwa v20, s77, v20 dst_sel:DWORD dst_unused:UNUSED_PAD src0_sel:DWORD src1_sel:WORD_0
	v_and_b32_e32 v72, s78, v20
	s_or_b64 exec, exec, s[62:63]
	s_and_saveexec_b64 s[62:63], s[46:47]
	s_cbranch_execnz .LBB2050_309
.LBB2050_324:                           ;   in Loop: Header=BB2050_232 Depth=2
	s_or_b64 exec, exec, s[62:63]
	s_and_saveexec_b64 s[62:63], s[48:49]
	s_cbranch_execz .LBB2050_326
.LBB2050_325:                           ;   in Loop: Header=BB2050_232 Depth=2
	ds_read_u16 v20, v50 offset:3584
	s_waitcnt lgkmcnt(0)
	v_cmp_ne_u16_e64 s[52:53], s68, v20
	v_cndmask_b32_e64 v20, v66, v20, s[52:53]
	v_lshrrev_b32_sdwa v20, s77, v20 dst_sel:DWORD dst_unused:UNUSED_PAD src0_sel:DWORD src1_sel:WORD_0
	v_and_b32_e32 v70, s78, v20
.LBB2050_326:                           ;   in Loop: Header=BB2050_232 Depth=2
	s_or_b64 exec, exec, s[62:63]
	v_lshlrev_b32_e32 v20, 3, v103
	s_barrier
	s_waitcnt vmcnt(0)
	ds_write_b64 v20, v[18:19] offset:1024
	v_lshlrev_b32_e32 v20, 3, v100
	ds_write_b64 v20, v[16:17] offset:1024
	v_lshlrev_b32_e32 v20, 3, v99
	;; [unrolled: 2-line block ×7, first 2 shown]
	ds_write_b64 v20, v[0:1] offset:1024
	s_waitcnt lgkmcnt(0)
	s_barrier
	s_and_saveexec_b64 s[52:53], vcc
	s_cbranch_execz .LBB2050_334
; %bb.327:                              ;   in Loop: Header=BB2050_232 Depth=2
	v_lshlrev_b32_e32 v20, 2, v80
	ds_read_b32 v20, v20
	v_add_u32_e32 v22, v49, v51
	ds_read_b64 v[22:23], v22 offset:1024
	v_mov_b32_e32 v21, v4
	v_mov_b32_e32 v93, s67
	s_waitcnt lgkmcnt(1)
	v_add_u32_e32 v20, v20, v2
	v_lshlrev_b64 v[20:21], 3, v[20:21]
	v_add_co_u32_e32 v20, vcc, s66, v20
	v_addc_co_u32_e32 v21, vcc, v93, v21, vcc
	s_waitcnt lgkmcnt(0)
	global_store_dwordx2 v[20:21], v[22:23], off
	s_or_b64 exec, exec, s[52:53]
	s_and_saveexec_b64 s[52:53], s[36:37]
	s_cbranch_execnz .LBB2050_335
.LBB2050_328:                           ;   in Loop: Header=BB2050_232 Depth=2
	s_or_b64 exec, exec, s[52:53]
	s_and_saveexec_b64 s[36:37], s[38:39]
	s_cbranch_execz .LBB2050_336
.LBB2050_329:                           ;   in Loop: Header=BB2050_232 Depth=2
	v_lshlrev_b32_e32 v20, 2, v76
	ds_read_b32 v22, v20
	v_add_u32_e32 v20, v50, v51
	ds_read_b64 v[20:21], v20 offset:4096
	v_mov_b32_e32 v23, v4
	v_mov_b32_e32 v93, s67
	s_waitcnt lgkmcnt(1)
	v_add_u32_e32 v22, v22, v25
	v_lshlrev_b64 v[22:23], 3, v[22:23]
	v_add_co_u32_e32 v22, vcc, s66, v22
	v_addc_co_u32_e32 v23, vcc, v93, v23, vcc
	s_waitcnt lgkmcnt(0)
	global_store_dwordx2 v[22:23], v[20:21], off
	s_or_b64 exec, exec, s[36:37]
	s_and_saveexec_b64 s[36:37], s[40:41]
	s_cbranch_execnz .LBB2050_337
.LBB2050_330:                           ;   in Loop: Header=BB2050_232 Depth=2
	s_or_b64 exec, exec, s[36:37]
	s_and_saveexec_b64 s[36:37], s[42:43]
	s_cbranch_execz .LBB2050_338
.LBB2050_331:                           ;   in Loop: Header=BB2050_232 Depth=2
	v_lshlrev_b32_e32 v20, 2, v73
	ds_read_b32 v22, v20
	v_add_u32_e32 v20, v50, v51
	ds_read_b64 v[20:21], v20 offset:8192
	v_mov_b32_e32 v23, v4
	v_mov_b32_e32 v93, s67
	s_waitcnt lgkmcnt(1)
	v_add_u32_e32 v22, v22, v29
	v_lshlrev_b64 v[22:23], 3, v[22:23]
	v_add_co_u32_e32 v22, vcc, s66, v22
	v_addc_co_u32_e32 v23, vcc, v93, v23, vcc
	s_waitcnt lgkmcnt(0)
	global_store_dwordx2 v[22:23], v[20:21], off
	s_or_b64 exec, exec, s[36:37]
	s_and_saveexec_b64 s[36:37], s[44:45]
	s_cbranch_execnz .LBB2050_339
.LBB2050_332:                           ;   in Loop: Header=BB2050_232 Depth=2
	s_or_b64 exec, exec, s[36:37]
	s_and_saveexec_b64 s[36:37], s[46:47]
	s_cbranch_execz .LBB2050_340
.LBB2050_333:                           ;   in Loop: Header=BB2050_232 Depth=2
	v_lshlrev_b32_e32 v20, 2, v71
	ds_read_b32 v22, v20
	v_add_u32_e32 v20, v50, v51
	ds_read_b64 v[20:21], v20 offset:12288
	v_mov_b32_e32 v23, v4
	v_mov_b32_e32 v93, s67
	s_waitcnt lgkmcnt(1)
	v_add_u32_e32 v22, v22, v31
	v_lshlrev_b64 v[22:23], 3, v[22:23]
	v_add_co_u32_e32 v22, vcc, s66, v22
	v_addc_co_u32_e32 v23, vcc, v93, v23, vcc
	s_waitcnt lgkmcnt(0)
	global_store_dwordx2 v[22:23], v[20:21], off
	s_or_b64 exec, exec, s[36:37]
	s_and_saveexec_b64 s[36:37], s[48:49]
	s_cbranch_execnz .LBB2050_341
	s_branch .LBB2050_342
.LBB2050_334:                           ;   in Loop: Header=BB2050_232 Depth=2
	s_or_b64 exec, exec, s[52:53]
	s_and_saveexec_b64 s[52:53], s[36:37]
	s_cbranch_execz .LBB2050_328
.LBB2050_335:                           ;   in Loop: Header=BB2050_232 Depth=2
	v_lshlrev_b32_e32 v20, 2, v78
	ds_read_b32 v22, v20
	v_add_u32_e32 v20, v50, v51
	ds_read_b64 v[20:21], v20 offset:2048
	v_mov_b32_e32 v23, v4
	v_mov_b32_e32 v93, s67
	s_waitcnt lgkmcnt(1)
	v_add_u32_e32 v22, v22, v24
	v_lshlrev_b64 v[22:23], 3, v[22:23]
	v_add_co_u32_e32 v22, vcc, s66, v22
	v_addc_co_u32_e32 v23, vcc, v93, v23, vcc
	s_waitcnt lgkmcnt(0)
	global_store_dwordx2 v[22:23], v[20:21], off
	s_or_b64 exec, exec, s[52:53]
	s_and_saveexec_b64 s[36:37], s[38:39]
	s_cbranch_execnz .LBB2050_329
.LBB2050_336:                           ;   in Loop: Header=BB2050_232 Depth=2
	s_or_b64 exec, exec, s[36:37]
	s_and_saveexec_b64 s[36:37], s[40:41]
	s_cbranch_execz .LBB2050_330
.LBB2050_337:                           ;   in Loop: Header=BB2050_232 Depth=2
	v_lshlrev_b32_e32 v20, 2, v75
	ds_read_b32 v22, v20
	v_add_u32_e32 v20, v50, v51
	ds_read_b64 v[20:21], v20 offset:6144
	v_mov_b32_e32 v23, v4
	v_mov_b32_e32 v93, s67
	s_waitcnt lgkmcnt(1)
	v_add_u32_e32 v22, v22, v26
	v_lshlrev_b64 v[22:23], 3, v[22:23]
	v_add_co_u32_e32 v22, vcc, s66, v22
	v_addc_co_u32_e32 v23, vcc, v93, v23, vcc
	s_waitcnt lgkmcnt(0)
	global_store_dwordx2 v[22:23], v[20:21], off
	s_or_b64 exec, exec, s[36:37]
	s_and_saveexec_b64 s[36:37], s[42:43]
	s_cbranch_execnz .LBB2050_331
.LBB2050_338:                           ;   in Loop: Header=BB2050_232 Depth=2
	s_or_b64 exec, exec, s[36:37]
	s_and_saveexec_b64 s[36:37], s[44:45]
	s_cbranch_execz .LBB2050_332
.LBB2050_339:                           ;   in Loop: Header=BB2050_232 Depth=2
	v_lshlrev_b32_e32 v20, 2, v72
	ds_read_b32 v22, v20
	v_add_u32_e32 v20, v50, v51
	ds_read_b64 v[20:21], v20 offset:10240
	v_mov_b32_e32 v23, v4
	v_mov_b32_e32 v93, s67
	s_waitcnt lgkmcnt(1)
	v_add_u32_e32 v22, v22, v30
	v_lshlrev_b64 v[22:23], 3, v[22:23]
	v_add_co_u32_e32 v22, vcc, s66, v22
	v_addc_co_u32_e32 v23, vcc, v93, v23, vcc
	s_waitcnt lgkmcnt(0)
	global_store_dwordx2 v[22:23], v[20:21], off
	s_or_b64 exec, exec, s[36:37]
	s_and_saveexec_b64 s[36:37], s[46:47]
	s_cbranch_execnz .LBB2050_333
.LBB2050_340:                           ;   in Loop: Header=BB2050_232 Depth=2
	s_or_b64 exec, exec, s[36:37]
	s_and_saveexec_b64 s[36:37], s[48:49]
	s_cbranch_execz .LBB2050_342
.LBB2050_341:                           ;   in Loop: Header=BB2050_232 Depth=2
	v_lshlrev_b32_e32 v20, 2, v70
	ds_read_b32 v22, v20
	v_add_u32_e32 v20, v50, v51
	ds_read_b64 v[20:21], v20 offset:14336
	v_mov_b32_e32 v23, v4
	v_mov_b32_e32 v93, s67
	s_waitcnt lgkmcnt(1)
	v_add_u32_e32 v22, v22, v32
	v_lshlrev_b64 v[22:23], 3, v[22:23]
	v_add_co_u32_e32 v22, vcc, s66, v22
	v_addc_co_u32_e32 v23, vcc, v93, v23, vcc
	s_waitcnt lgkmcnt(0)
	global_store_dwordx2 v[22:23], v[20:21], off
.LBB2050_342:                           ;   in Loop: Header=BB2050_232 Depth=2
	s_or_b64 exec, exec, s[36:37]
	s_barrier
	s_and_saveexec_b64 s[36:37], s[4:5]
	s_cbranch_execz .LBB2050_231
; %bb.343:                              ;   in Loop: Header=BB2050_232 Depth=2
	ds_read_b32 v20, v3
	s_waitcnt lgkmcnt(0)
	v_add_u32_e32 v5, v20, v5
	ds_write_b32 v3, v5
	s_branch .LBB2050_231
.LBB2050_344:                           ;   in Loop: Header=BB2050_12 Depth=1
	s_waitcnt lgkmcnt(0)
	s_barrier
.LBB2050_345:                           ;   in Loop: Header=BB2050_12 Depth=1
	s_mov_b64 s[16:17], 0
.LBB2050_346:                           ;   in Loop: Header=BB2050_12 Depth=1
	s_andn2_b64 vcc, exec, s[16:17]
	s_cbranch_vccnz .LBB2050_11
; %bb.347:                              ;   in Loop: Header=BB2050_12 Depth=1
	s_mov_b64 s[16:17], -1
	s_and_b64 vcc, exec, s[54:55]
	s_cbranch_vccz .LBB2050_513
; %bb.348:                              ;   in Loop: Header=BB2050_12 Depth=1
	s_mov_b32 s22, s71
	s_mov_b32 s72, s51
	s_barrier
	s_waitcnt lgkmcnt(0)
                                        ; implicit-def: $vgpr12
                                        ; implicit-def: $vgpr5
                                        ; implicit-def: $vgpr6
                                        ; implicit-def: $vgpr7
                                        ; implicit-def: $vgpr8
                                        ; implicit-def: $vgpr9
                                        ; implicit-def: $vgpr10
                                        ; implicit-def: $vgpr11
	s_branch .LBB2050_350
.LBB2050_349:                           ;   in Loop: Header=BB2050_350 Depth=2
	s_or_b64 exec, exec, s[16:17]
	s_addk_i32 s22, 0xf800
	s_cmp_ge_u32 s23, s76
	s_mov_b32 s72, s23
	s_cbranch_scc1 .LBB2050_388
.LBB2050_350:                           ;   Parent Loop BB2050_12 Depth=1
                                        ; =>  This Inner Loop Header: Depth=2
	s_add_i32 s23, s72, 0x800
	s_cmp_gt_u32 s23, s76
	s_cbranch_scc1 .LBB2050_353
; %bb.351:                              ;   in Loop: Header=BB2050_350 Depth=2
	s_lshl_b64 s[16:17], s[72:73], 1
	v_mov_b32_e32 v1, s17
	v_add_co_u32_e32 v0, vcc, s16, v58
	v_addc_co_u32_e32 v1, vcc, v59, v1, vcc
	global_load_ushort v14, v[0:1], off
	global_load_ushort v15, v[0:1], off offset:512
	global_load_ushort v16, v[0:1], off offset:1024
	;; [unrolled: 1-line block ×6, first 2 shown]
	v_add_co_u32_e32 v0, vcc, 0xe00, v0
	v_addc_co_u32_e32 v1, vcc, 0, v1, vcc
	s_mov_b64 s[16:17], -1
	s_movk_i32 s24, 0x800
	s_cbranch_execz .LBB2050_354
; %bb.352:                              ;   in Loop: Header=BB2050_350 Depth=2
                                        ; implicit-def: $vgpr11
                                        ; implicit-def: $vgpr10
                                        ; implicit-def: $vgpr9
                                        ; implicit-def: $vgpr8
                                        ; implicit-def: $vgpr7
                                        ; implicit-def: $vgpr6
                                        ; implicit-def: $vgpr5
                                        ; implicit-def: $vgpr12
	v_mov_b32_e32 v13, s22
	s_and_saveexec_b64 s[18:19], s[16:17]
	s_cbranch_execnz .LBB2050_365
	s_branch .LBB2050_366
.LBB2050_353:                           ;   in Loop: Header=BB2050_350 Depth=2
	s_mov_b64 s[16:17], 0
                                        ; implicit-def: $sgpr24
                                        ; implicit-def: $vgpr14
                                        ; implicit-def: $vgpr15
                                        ; implicit-def: $vgpr16
                                        ; implicit-def: $vgpr17
                                        ; implicit-def: $vgpr18
                                        ; implicit-def: $vgpr19
                                        ; implicit-def: $vgpr20
                                        ; implicit-def: $vgpr0_vgpr1
.LBB2050_354:                           ;   in Loop: Header=BB2050_350 Depth=2
	s_lshl_b64 s[18:19], s[72:73], 1
	s_add_u32 s18, s56, s18
	s_addc_u32 s19, s57, s19
	v_cmp_gt_u32_e32 vcc, s22, v2
	s_and_saveexec_b64 s[20:21], vcc
	s_cbranch_execz .LBB2050_382
; %bb.355:                              ;   in Loop: Header=BB2050_350 Depth=2
	global_load_ushort v11, v65, s[18:19]
	s_or_b64 exec, exec, s[20:21]
	v_cmp_gt_u32_e32 vcc, s22, v24
	s_and_saveexec_b64 s[20:21], vcc
	s_cbranch_execnz .LBB2050_383
.LBB2050_356:                           ;   in Loop: Header=BB2050_350 Depth=2
	s_or_b64 exec, exec, s[20:21]
	v_cmp_gt_u32_e32 vcc, s22, v25
	s_and_saveexec_b64 s[20:21], vcc
	s_cbranch_execz .LBB2050_384
.LBB2050_357:                           ;   in Loop: Header=BB2050_350 Depth=2
	global_load_ushort v9, v65, s[18:19] offset:1024
	s_or_b64 exec, exec, s[20:21]
	v_cmp_gt_u32_e32 vcc, s22, v26
	s_and_saveexec_b64 s[20:21], vcc
	s_cbranch_execnz .LBB2050_385
.LBB2050_358:                           ;   in Loop: Header=BB2050_350 Depth=2
	s_or_b64 exec, exec, s[20:21]
	v_cmp_gt_u32_e32 vcc, s22, v29
	s_and_saveexec_b64 s[20:21], vcc
	s_cbranch_execz .LBB2050_386
.LBB2050_359:                           ;   in Loop: Header=BB2050_350 Depth=2
	global_load_ushort v7, v65, s[18:19] offset:2048
	s_or_b64 exec, exec, s[20:21]
	v_cmp_gt_u32_e32 vcc, s22, v30
	s_and_saveexec_b64 s[20:21], vcc
	s_cbranch_execnz .LBB2050_387
.LBB2050_360:                           ;   in Loop: Header=BB2050_350 Depth=2
	s_or_b64 exec, exec, s[20:21]
	v_cmp_gt_u32_e32 vcc, s22, v31
	s_and_saveexec_b64 s[20:21], vcc
	s_cbranch_execz .LBB2050_362
.LBB2050_361:                           ;   in Loop: Header=BB2050_350 Depth=2
	global_load_ushort v5, v65, s[18:19] offset:3072
.LBB2050_362:                           ;   in Loop: Header=BB2050_350 Depth=2
	s_or_b64 exec, exec, s[20:21]
	v_cmp_gt_u32_e32 vcc, s22, v32
                                        ; implicit-def: $sgpr24
                                        ; implicit-def: $vgpr0_vgpr1
	s_and_saveexec_b64 s[20:21], vcc
	s_cbranch_execz .LBB2050_364
; %bb.363:                              ;   in Loop: Header=BB2050_350 Depth=2
	v_mov_b32_e32 v0, s19
	v_add_co_u32_e32 v1, vcc, s18, v65
	s_waitcnt vmcnt(0)
	v_addc_co_u32_e32 v12, vcc, 0, v0, vcc
	v_add_co_u32_e32 v0, vcc, 0xe00, v1
	s_sub_i32 s24, s76, s72
	v_addc_co_u32_e32 v1, vcc, 0, v12, vcc
	s_or_b64 s[16:17], s[16:17], exec
                                        ; implicit-def: $vgpr12
.LBB2050_364:                           ;   in Loop: Header=BB2050_350 Depth=2
	s_or_b64 exec, exec, s[20:21]
	s_waitcnt vmcnt(0)
	v_mov_b32_e32 v14, v11
	v_mov_b32_e32 v15, v10
	v_mov_b32_e32 v16, v9
	v_mov_b32_e32 v17, v8
	v_mov_b32_e32 v18, v7
	v_mov_b32_e32 v19, v6
	v_mov_b32_e32 v20, v5
	v_mov_b32_e32 v13, s22
	s_and_saveexec_b64 s[18:19], s[16:17]
	s_cbranch_execz .LBB2050_366
.LBB2050_365:                           ;   in Loop: Header=BB2050_350 Depth=2
	global_load_ushort v12, v[0:1], off
	v_mov_b32_e32 v13, s24
	s_waitcnt vmcnt(1)
	v_mov_b32_e32 v5, v20
	v_mov_b32_e32 v6, v19
	;; [unrolled: 1-line block ×7, first 2 shown]
.LBB2050_366:                           ;   in Loop: Header=BB2050_350 Depth=2
	s_or_b64 exec, exec, s[18:19]
	v_cmp_lt_u32_e32 vcc, v2, v13
	s_and_saveexec_b64 s[16:17], vcc
	s_cbranch_execz .LBB2050_374
; %bb.367:                              ;   in Loop: Header=BB2050_350 Depth=2
	v_cmp_lt_i16_e32 vcc, -1, v11
	v_cndmask_b32_e32 v0, -1, v66, vcc
	v_xor_b32_e32 v0, v0, v11
	v_cmp_ne_u16_e32 vcc, s68, v0
	v_cndmask_b32_e32 v0, v66, v0, vcc
	v_lshrrev_b32_sdwa v0, s69, v0 dst_sel:DWORD dst_unused:UNUSED_PAD src0_sel:DWORD src1_sel:WORD_0
	v_and_b32_e32 v0, s78, v0
	v_lshl_or_b32 v0, v0, 4, v67
	ds_add_u32 v0, v64
	s_or_b64 exec, exec, s[16:17]
	v_cmp_lt_u32_e32 vcc, v24, v13
	s_and_saveexec_b64 s[16:17], vcc
	s_cbranch_execnz .LBB2050_375
.LBB2050_368:                           ;   in Loop: Header=BB2050_350 Depth=2
	s_or_b64 exec, exec, s[16:17]
	v_cmp_lt_u32_e32 vcc, v25, v13
	s_and_saveexec_b64 s[16:17], vcc
	s_cbranch_execz .LBB2050_376
.LBB2050_369:                           ;   in Loop: Header=BB2050_350 Depth=2
	v_cmp_lt_i16_e32 vcc, -1, v9
	v_cndmask_b32_e32 v0, -1, v66, vcc
	v_xor_b32_e32 v0, v0, v9
	v_cmp_ne_u16_e32 vcc, s68, v0
	v_cndmask_b32_e32 v0, v66, v0, vcc
	v_lshrrev_b32_sdwa v0, s69, v0 dst_sel:DWORD dst_unused:UNUSED_PAD src0_sel:DWORD src1_sel:WORD_0
	v_and_b32_e32 v0, s78, v0
	v_lshl_or_b32 v0, v0, 4, v67
	ds_add_u32 v0, v64
	s_or_b64 exec, exec, s[16:17]
	v_cmp_lt_u32_e32 vcc, v26, v13
	s_and_saveexec_b64 s[16:17], vcc
	s_cbranch_execnz .LBB2050_377
.LBB2050_370:                           ;   in Loop: Header=BB2050_350 Depth=2
	s_or_b64 exec, exec, s[16:17]
	v_cmp_lt_u32_e32 vcc, v29, v13
	s_and_saveexec_b64 s[16:17], vcc
	s_cbranch_execz .LBB2050_378
.LBB2050_371:                           ;   in Loop: Header=BB2050_350 Depth=2
	v_cmp_lt_i16_e32 vcc, -1, v7
	v_cndmask_b32_e32 v0, -1, v66, vcc
	v_xor_b32_e32 v0, v0, v7
	v_cmp_ne_u16_e32 vcc, s68, v0
	v_cndmask_b32_e32 v0, v66, v0, vcc
	v_lshrrev_b32_sdwa v0, s69, v0 dst_sel:DWORD dst_unused:UNUSED_PAD src0_sel:DWORD src1_sel:WORD_0
	v_and_b32_e32 v0, s78, v0
	v_lshl_or_b32 v0, v0, 4, v67
	ds_add_u32 v0, v64
	s_or_b64 exec, exec, s[16:17]
	v_cmp_lt_u32_e32 vcc, v30, v13
	s_and_saveexec_b64 s[16:17], vcc
	s_cbranch_execnz .LBB2050_379
.LBB2050_372:                           ;   in Loop: Header=BB2050_350 Depth=2
	s_or_b64 exec, exec, s[16:17]
	v_cmp_lt_u32_e32 vcc, v31, v13
	s_and_saveexec_b64 s[16:17], vcc
	s_cbranch_execz .LBB2050_380
.LBB2050_373:                           ;   in Loop: Header=BB2050_350 Depth=2
	v_cmp_lt_i16_e32 vcc, -1, v5
	v_cndmask_b32_e32 v0, -1, v66, vcc
	v_xor_b32_e32 v0, v0, v5
	v_cmp_ne_u16_e32 vcc, s68, v0
	v_cndmask_b32_e32 v0, v66, v0, vcc
	v_lshrrev_b32_sdwa v0, s69, v0 dst_sel:DWORD dst_unused:UNUSED_PAD src0_sel:DWORD src1_sel:WORD_0
	v_and_b32_e32 v0, s78, v0
	v_lshl_or_b32 v0, v0, 4, v67
	ds_add_u32 v0, v64
	s_or_b64 exec, exec, s[16:17]
	v_cmp_lt_u32_e32 vcc, v32, v13
	s_and_saveexec_b64 s[16:17], vcc
	s_cbranch_execz .LBB2050_349
	s_branch .LBB2050_381
.LBB2050_374:                           ;   in Loop: Header=BB2050_350 Depth=2
	s_or_b64 exec, exec, s[16:17]
	v_cmp_lt_u32_e32 vcc, v24, v13
	s_and_saveexec_b64 s[16:17], vcc
	s_cbranch_execz .LBB2050_368
.LBB2050_375:                           ;   in Loop: Header=BB2050_350 Depth=2
	v_cmp_lt_i16_e32 vcc, -1, v10
	v_cndmask_b32_e32 v0, -1, v66, vcc
	v_xor_b32_e32 v0, v0, v10
	v_cmp_ne_u16_e32 vcc, s68, v0
	v_cndmask_b32_e32 v0, v66, v0, vcc
	v_lshrrev_b32_sdwa v0, s69, v0 dst_sel:DWORD dst_unused:UNUSED_PAD src0_sel:DWORD src1_sel:WORD_0
	v_and_b32_e32 v0, s78, v0
	v_lshl_or_b32 v0, v0, 4, v67
	ds_add_u32 v0, v64
	s_or_b64 exec, exec, s[16:17]
	v_cmp_lt_u32_e32 vcc, v25, v13
	s_and_saveexec_b64 s[16:17], vcc
	s_cbranch_execnz .LBB2050_369
.LBB2050_376:                           ;   in Loop: Header=BB2050_350 Depth=2
	s_or_b64 exec, exec, s[16:17]
	v_cmp_lt_u32_e32 vcc, v26, v13
	s_and_saveexec_b64 s[16:17], vcc
	s_cbranch_execz .LBB2050_370
.LBB2050_377:                           ;   in Loop: Header=BB2050_350 Depth=2
	v_cmp_lt_i16_e32 vcc, -1, v8
	v_cndmask_b32_e32 v0, -1, v66, vcc
	v_xor_b32_e32 v0, v0, v8
	v_cmp_ne_u16_e32 vcc, s68, v0
	v_cndmask_b32_e32 v0, v66, v0, vcc
	v_lshrrev_b32_sdwa v0, s69, v0 dst_sel:DWORD dst_unused:UNUSED_PAD src0_sel:DWORD src1_sel:WORD_0
	v_and_b32_e32 v0, s78, v0
	v_lshl_or_b32 v0, v0, 4, v67
	ds_add_u32 v0, v64
	s_or_b64 exec, exec, s[16:17]
	v_cmp_lt_u32_e32 vcc, v29, v13
	s_and_saveexec_b64 s[16:17], vcc
	s_cbranch_execnz .LBB2050_371
.LBB2050_378:                           ;   in Loop: Header=BB2050_350 Depth=2
	s_or_b64 exec, exec, s[16:17]
	v_cmp_lt_u32_e32 vcc, v30, v13
	s_and_saveexec_b64 s[16:17], vcc
	s_cbranch_execz .LBB2050_372
.LBB2050_379:                           ;   in Loop: Header=BB2050_350 Depth=2
	v_cmp_lt_i16_e32 vcc, -1, v6
	v_cndmask_b32_e32 v0, -1, v66, vcc
	v_xor_b32_e32 v0, v0, v6
	v_cmp_ne_u16_e32 vcc, s68, v0
	v_cndmask_b32_e32 v0, v66, v0, vcc
	v_lshrrev_b32_sdwa v0, s69, v0 dst_sel:DWORD dst_unused:UNUSED_PAD src0_sel:DWORD src1_sel:WORD_0
	v_and_b32_e32 v0, s78, v0
	v_lshl_or_b32 v0, v0, 4, v67
	ds_add_u32 v0, v64
	s_or_b64 exec, exec, s[16:17]
	v_cmp_lt_u32_e32 vcc, v31, v13
	s_and_saveexec_b64 s[16:17], vcc
	s_cbranch_execnz .LBB2050_373
.LBB2050_380:                           ;   in Loop: Header=BB2050_350 Depth=2
	s_or_b64 exec, exec, s[16:17]
	v_cmp_lt_u32_e32 vcc, v32, v13
	s_and_saveexec_b64 s[16:17], vcc
	s_cbranch_execz .LBB2050_349
.LBB2050_381:                           ;   in Loop: Header=BB2050_350 Depth=2
	s_waitcnt vmcnt(0)
	v_cmp_lt_i16_e32 vcc, -1, v12
	v_cndmask_b32_e32 v0, -1, v66, vcc
	v_xor_b32_e32 v0, v0, v12
	v_cmp_ne_u16_e32 vcc, s68, v0
	v_cndmask_b32_e32 v0, v66, v0, vcc
	v_lshrrev_b32_sdwa v0, s69, v0 dst_sel:DWORD dst_unused:UNUSED_PAD src0_sel:DWORD src1_sel:WORD_0
	v_and_b32_e32 v0, s78, v0
	v_lshl_or_b32 v0, v0, 4, v67
	ds_add_u32 v0, v64
	s_branch .LBB2050_349
.LBB2050_382:                           ;   in Loop: Header=BB2050_350 Depth=2
	s_or_b64 exec, exec, s[20:21]
	v_cmp_gt_u32_e32 vcc, s22, v24
	s_and_saveexec_b64 s[20:21], vcc
	s_cbranch_execz .LBB2050_356
.LBB2050_383:                           ;   in Loop: Header=BB2050_350 Depth=2
	global_load_ushort v10, v65, s[18:19] offset:512
	s_or_b64 exec, exec, s[20:21]
	v_cmp_gt_u32_e32 vcc, s22, v25
	s_and_saveexec_b64 s[20:21], vcc
	s_cbranch_execnz .LBB2050_357
.LBB2050_384:                           ;   in Loop: Header=BB2050_350 Depth=2
	s_or_b64 exec, exec, s[20:21]
	v_cmp_gt_u32_e32 vcc, s22, v26
	s_and_saveexec_b64 s[20:21], vcc
	s_cbranch_execz .LBB2050_358
.LBB2050_385:                           ;   in Loop: Header=BB2050_350 Depth=2
	global_load_ushort v8, v65, s[18:19] offset:1536
	s_or_b64 exec, exec, s[20:21]
	v_cmp_gt_u32_e32 vcc, s22, v29
	s_and_saveexec_b64 s[20:21], vcc
	s_cbranch_execnz .LBB2050_359
.LBB2050_386:                           ;   in Loop: Header=BB2050_350 Depth=2
	s_or_b64 exec, exec, s[20:21]
	v_cmp_gt_u32_e32 vcc, s22, v30
	s_and_saveexec_b64 s[20:21], vcc
	s_cbranch_execz .LBB2050_360
.LBB2050_387:                           ;   in Loop: Header=BB2050_350 Depth=2
	global_load_ushort v6, v65, s[18:19] offset:2560
	s_or_b64 exec, exec, s[20:21]
	v_cmp_gt_u32_e32 vcc, s22, v31
	s_and_saveexec_b64 s[20:21], vcc
	s_cbranch_execz .LBB2050_362
	s_branch .LBB2050_361
.LBB2050_388:                           ;   in Loop: Header=BB2050_12 Depth=1
	v_mov_b32_e32 v0, 0
	s_waitcnt lgkmcnt(0)
	s_barrier
	s_and_saveexec_b64 s[16:17], s[4:5]
	s_cbranch_execz .LBB2050_390
; %bb.389:                              ;   in Loop: Header=BB2050_12 Depth=1
	ds_read2_b64 v[6:9], v33 offset1:1
	s_waitcnt lgkmcnt(0)
	v_add_u32_e32 v0, v7, v6
	v_add3_u32 v0, v0, v8, v9
.LBB2050_390:                           ;   in Loop: Header=BB2050_12 Depth=1
	s_or_b64 exec, exec, s[16:17]
	v_and_b32_e32 v1, 15, v68
	v_mov_b32_dpp v5, v0 row_shr:1 row_mask:0xf bank_mask:0xf
	v_cmp_eq_u32_e64 s[16:17], 0, v1
	v_cndmask_b32_e64 v5, v5, 0, s[16:17]
	v_add_u32_e32 v0, v5, v0
	v_cmp_lt_u32_e64 s[18:19], 1, v1
	v_cmp_lt_u32_e64 s[20:21], 3, v1
	v_mov_b32_dpp v5, v0 row_shr:2 row_mask:0xf bank_mask:0xf
	v_cndmask_b32_e64 v5, 0, v5, s[18:19]
	v_add_u32_e32 v0, v0, v5
	v_cmp_lt_u32_e64 s[22:23], 7, v1
	v_cmp_lt_u32_e64 s[26:27], 31, v68
	v_mov_b32_dpp v5, v0 row_shr:4 row_mask:0xf bank_mask:0xf
	v_cndmask_b32_e64 v5, 0, v5, s[20:21]
	v_add_u32_e32 v0, v0, v5
	v_and_b32_e32 v6, 16, v68
	v_cmp_eq_u32_e64 s[24:25], 0, v6
	v_mov_b32_dpp v5, v0 row_shr:8 row_mask:0xf bank_mask:0xf
	v_cndmask_b32_e64 v1, 0, v5, s[22:23]
	v_add_u32_e32 v0, v0, v1
	v_bfe_i32 v5, v68, 4, 1
	s_nop 0
	v_mov_b32_dpp v1, v0 row_bcast:15 row_mask:0xf bank_mask:0xf
	v_and_b32_e32 v1, v5, v1
	v_add_u32_e32 v0, v0, v1
	s_nop 1
	v_mov_b32_dpp v1, v0 row_bcast:31 row_mask:0xf bank_mask:0xf
	v_cndmask_b32_e64 v1, 0, v1, s[26:27]
	v_add_u32_e32 v1, v0, v1
	s_and_saveexec_b64 s[28:29], s[6:7]
	s_cbranch_execz .LBB2050_392
; %bb.391:                              ;   in Loop: Header=BB2050_12 Depth=1
	ds_write_b32 v35, v1
.LBB2050_392:                           ;   in Loop: Header=BB2050_12 Depth=1
	s_or_b64 exec, exec, s[28:29]
	v_and_b32_e32 v0, 3, v68
	s_waitcnt lgkmcnt(0)
	s_barrier
	s_and_saveexec_b64 s[28:29], s[8:9]
	s_cbranch_execz .LBB2050_394
; %bb.393:                              ;   in Loop: Header=BB2050_12 Depth=1
	ds_read_b32 v5, v36
	v_cmp_ne_u32_e32 vcc, 0, v0
	s_waitcnt lgkmcnt(0)
	v_mov_b32_dpp v6, v5 row_shr:1 row_mask:0xf bank_mask:0xf
	v_cndmask_b32_e32 v6, 0, v6, vcc
	v_add_u32_e32 v5, v6, v5
	v_cmp_lt_u32_e32 vcc, 1, v0
	s_nop 0
	v_mov_b32_dpp v6, v5 row_shr:2 row_mask:0xf bank_mask:0xf
	v_cndmask_b32_e32 v6, 0, v6, vcc
	v_add_u32_e32 v5, v5, v6
	ds_write_b32 v36, v5
.LBB2050_394:                           ;   in Loop: Header=BB2050_12 Depth=1
	s_or_b64 exec, exec, s[28:29]
	v_mov_b32_e32 v5, 0
	s_waitcnt lgkmcnt(0)
	s_barrier
	s_and_saveexec_b64 s[28:29], s[10:11]
	s_cbranch_execz .LBB2050_396
; %bb.395:                              ;   in Loop: Header=BB2050_12 Depth=1
	ds_read_b32 v5, v37
.LBB2050_396:                           ;   in Loop: Header=BB2050_12 Depth=1
	s_or_b64 exec, exec, s[28:29]
	v_add_u32_e32 v6, -1, v68
	v_and_b32_e32 v7, 64, v68
	v_cmp_lt_i32_e32 vcc, v6, v7
	v_cndmask_b32_e32 v6, v6, v68, vcc
	s_waitcnt lgkmcnt(0)
	v_add_u32_e32 v1, v5, v1
	v_lshlrev_b32_e32 v69, 2, v6
	ds_bpermute_b32 v1, v69, v1
	v_cmp_eq_u32_e64 s[28:29], 0, v68
	s_waitcnt lgkmcnt(0)
	s_barrier
	s_and_saveexec_b64 s[30:31], s[4:5]
	s_cbranch_execz .LBB2050_398
; %bb.397:                              ;   in Loop: Header=BB2050_12 Depth=1
	v_cndmask_b32_e64 v1, v1, v5, s[28:29]
	v_add_u32_e32 v1, s51, v1
	ds_write_b32 v3, v1
.LBB2050_398:                           ;   in Loop: Header=BB2050_12 Depth=1
	s_or_b64 exec, exec, s[30:31]
	s_load_dwordx2 s[30:31], s[74:75], 0x0
	v_and_b32_e32 v21, 63, v68
	v_lshlrev_b32_e32 v22, 3, v21
	v_add_co_u32_e32 v77, vcc, v60, v22
	s_waitcnt lgkmcnt(0)
	s_cmp_lt_u32 s50, s30
	s_cselect_b32 s34, 12, 18
	s_cmp_lt_u32 s33, s31
	s_cselect_b32 s30, 14, 20
	s_add_u32 s30, s74, s30
	s_addc_u32 s31, s75, 0
	s_add_u32 s34, s74, s34
	global_load_ushort v5, v4, s[30:31]
	s_addc_u32 s35, s75, 0
	global_load_ushort v20, v4, s[34:35]
	v_or_b32_e32 v74, v21, v38
	v_lshlrev_b32_e32 v21, 1, v21
	v_addc_co_u32_e32 v79, vcc, 0, v61, vcc
	v_add_co_u32_e32 v88, vcc, v62, v21
	v_addc_co_u32_e32 v89, vcc, 0, v63, vcc
	v_add_co_u32_e32 v90, vcc, 0x380, v88
	v_cmp_eq_u32_e64 s[30:31], 0, v0
	v_cmp_lt_u32_e64 s[34:35], 1, v0
	s_mov_b32 s79, s71
	v_or_b32_e32 v81, 64, v74
	v_or_b32_e32 v82, 0x80, v74
	v_or_b32_e32 v83, 0xc0, v74
	v_or_b32_e32 v84, 0x100, v74
	v_or_b32_e32 v85, 0x140, v74
	v_or_b32_e32 v86, 0x180, v74
	v_or_b32_e32 v87, 0x1c0, v74
	v_addc_co_u32_e32 v91, vcc, 0, v89, vcc
	s_mov_b32 s72, s51
                                        ; implicit-def: $vgpr0_vgpr1
                                        ; implicit-def: $vgpr6_vgpr7
                                        ; implicit-def: $vgpr8_vgpr9
                                        ; implicit-def: $vgpr10_vgpr11
                                        ; implicit-def: $vgpr12_vgpr13
                                        ; implicit-def: $vgpr14_vgpr15
                                        ; implicit-def: $vgpr16_vgpr17
                                        ; implicit-def: $vgpr18_vgpr19
                                        ; implicit-def: $vgpr70
                                        ; implicit-def: $vgpr71
                                        ; implicit-def: $vgpr72
                                        ; implicit-def: $vgpr73
                                        ; implicit-def: $vgpr75
                                        ; implicit-def: $vgpr76
                                        ; implicit-def: $vgpr78
                                        ; implicit-def: $vgpr80
	s_waitcnt vmcnt(1)
	v_mad_u32_u24 v5, v39, v5, v40
	s_waitcnt vmcnt(0)
	v_mad_u64_u32 v[20:21], s[36:37], v5, v20, v[2:3]
	v_lshrrev_b32_e32 v92, 6, v20
	s_branch .LBB2050_400
.LBB2050_399:                           ;   in Loop: Header=BB2050_400 Depth=2
	s_or_b64 exec, exec, s[36:37]
	s_addk_i32 s79, 0xf800
	s_cmp_lt_u32 s80, s76
	s_mov_b32 s72, s80
	s_cbranch_scc0 .LBB2050_512
.LBB2050_400:                           ;   Parent Loop BB2050_12 Depth=1
                                        ; =>  This Inner Loop Header: Depth=2
	s_add_i32 s80, s72, 0x800
	s_cmp_gt_u32 s80, s76
	s_cbranch_scc1 .LBB2050_403
; %bb.401:                              ;   in Loop: Header=BB2050_400 Depth=2
	s_lshl_b64 s[36:37], s[72:73], 1
	v_mov_b32_e32 v5, s37
	v_add_co_u32_e32 v20, vcc, s36, v88
	v_addc_co_u32_e32 v21, vcc, v89, v5, vcc
	global_load_ushort v5, v[20:21], off
	global_load_ushort v97, v[20:21], off offset:128
	global_load_ushort v101, v[20:21], off offset:256
	;; [unrolled: 1-line block ×6, first 2 shown]
	s_mov_b64 s[36:37], -1
	s_movk_i32 s40, 0x800
	s_cbranch_execz .LBB2050_404
; %bb.402:                              ;   in Loop: Header=BB2050_400 Depth=2
                                        ; implicit-def: $sgpr38
	v_mov_b32_e32 v23, s38
	v_mov_b32_e32 v93, s79
	s_and_saveexec_b64 s[38:39], s[36:37]
	s_cbranch_execnz .LBB2050_419
	s_branch .LBB2050_420
.LBB2050_403:                           ;   in Loop: Header=BB2050_400 Depth=2
	s_mov_b64 s[36:37], 0
                                        ; implicit-def: $sgpr40
                                        ; implicit-def: $vgpr5
                                        ; implicit-def: $vgpr97
                                        ; implicit-def: $vgpr101
                                        ; implicit-def: $vgpr106
                                        ; implicit-def: $vgpr109
                                        ; implicit-def: $vgpr104
                                        ; implicit-def: $vgpr22
.LBB2050_404:                           ;   in Loop: Header=BB2050_400 Depth=2
	s_lshl_b64 s[36:37], s[72:73], 1
	s_waitcnt vmcnt(6)
	v_mov_b32_e32 v5, s37
	v_add_co_u32_e32 v20, vcc, s36, v88
	v_addc_co_u32_e32 v21, vcc, v89, v5, vcc
	v_cmp_gt_u32_e32 vcc, s79, v74
	s_waitcnt vmcnt(5)
	v_mov_b32_e32 v97, 0x7fff
	v_mov_b32_e32 v5, 0x7fff
	s_and_saveexec_b64 s[36:37], vcc
	s_cbranch_execz .LBB2050_406
; %bb.405:                              ;   in Loop: Header=BB2050_400 Depth=2
	global_load_ushort v5, v[20:21], off
.LBB2050_406:                           ;   in Loop: Header=BB2050_400 Depth=2
	s_or_b64 exec, exec, s[36:37]
	v_cmp_gt_u32_e32 vcc, s79, v81
	s_and_saveexec_b64 s[36:37], vcc
	s_cbranch_execz .LBB2050_408
; %bb.407:                              ;   in Loop: Header=BB2050_400 Depth=2
	global_load_ushort v97, v[20:21], off offset:128
.LBB2050_408:                           ;   in Loop: Header=BB2050_400 Depth=2
	s_or_b64 exec, exec, s[36:37]
	v_cmp_gt_u32_e32 vcc, s79, v82
	s_waitcnt vmcnt(3)
	v_mov_b32_e32 v106, 0x7fff
	v_mov_b32_e32 v101, 0x7fff
	s_and_saveexec_b64 s[36:37], vcc
	s_cbranch_execz .LBB2050_410
; %bb.409:                              ;   in Loop: Header=BB2050_400 Depth=2
	global_load_ushort v101, v[20:21], off offset:256
.LBB2050_410:                           ;   in Loop: Header=BB2050_400 Depth=2
	s_or_b64 exec, exec, s[36:37]
	v_cmp_gt_u32_e32 vcc, s79, v83
	s_and_saveexec_b64 s[36:37], vcc
	s_cbranch_execz .LBB2050_412
; %bb.411:                              ;   in Loop: Header=BB2050_400 Depth=2
	global_load_ushort v106, v[20:21], off offset:384
.LBB2050_412:                           ;   in Loop: Header=BB2050_400 Depth=2
	s_or_b64 exec, exec, s[36:37]
	v_cmp_gt_u32_e32 vcc, s79, v84
	s_waitcnt vmcnt(1)
	v_mov_b32_e32 v104, 0x7fff
	v_mov_b32_e32 v109, 0x7fff
	s_and_saveexec_b64 s[36:37], vcc
	s_cbranch_execz .LBB2050_414
; %bb.413:                              ;   in Loop: Header=BB2050_400 Depth=2
	global_load_ushort v109, v[20:21], off offset:512
.LBB2050_414:                           ;   in Loop: Header=BB2050_400 Depth=2
	s_or_b64 exec, exec, s[36:37]
	v_cmp_gt_u32_e32 vcc, s79, v85
	s_and_saveexec_b64 s[36:37], vcc
	s_cbranch_execz .LBB2050_416
; %bb.415:                              ;   in Loop: Header=BB2050_400 Depth=2
	global_load_ushort v104, v[20:21], off offset:640
.LBB2050_416:                           ;   in Loop: Header=BB2050_400 Depth=2
	s_or_b64 exec, exec, s[36:37]
	v_cmp_gt_u32_e32 vcc, s79, v86
	s_waitcnt vmcnt(0)
	v_mov_b32_e32 v22, 0x7fff
	s_and_saveexec_b64 s[36:37], vcc
	s_cbranch_execz .LBB2050_418
; %bb.417:                              ;   in Loop: Header=BB2050_400 Depth=2
	global_load_ushort v22, v[20:21], off offset:768
.LBB2050_418:                           ;   in Loop: Header=BB2050_400 Depth=2
	s_or_b64 exec, exec, s[36:37]
	s_sub_i32 s40, s76, s72
	v_cmp_gt_u32_e64 s[36:37], s79, v87
	s_movk_i32 s38, 0x7fff
	v_mov_b32_e32 v23, s38
	v_mov_b32_e32 v93, s79
	s_and_saveexec_b64 s[38:39], s[36:37]
	s_cbranch_execz .LBB2050_420
.LBB2050_419:                           ;   in Loop: Header=BB2050_400 Depth=2
	s_lshl_b64 s[36:37], s[72:73], 1
	v_mov_b32_e32 v21, s37
	v_add_co_u32_e32 v20, vcc, s36, v90
	v_addc_co_u32_e32 v21, vcc, v91, v21, vcc
	global_load_ushort v23, v[20:21], off
	v_mov_b32_e32 v93, s40
.LBB2050_420:                           ;   in Loop: Header=BB2050_400 Depth=2
	s_or_b64 exec, exec, s[38:39]
	s_waitcnt vmcnt(6)
	v_cmp_lt_i16_e32 vcc, -1, v5
	v_cndmask_b32_e32 v20, -1, v66, vcc
	v_xor_b32_e32 v94, v20, v5
	v_add_u32_e32 v5, 0x410, v41
	v_cmp_ne_u16_e32 vcc, s68, v94
	ds_write2_b32 v5, v4, v4 offset1:1
	ds_write2_b32 v43, v4, v4 offset0:2 offset1:3
	ds_write_b32 v43, v4 offset:16
	v_cndmask_b32_e32 v5, v66, v94, vcc
	v_lshrrev_b32_sdwa v5, s69, v5 dst_sel:DWORD dst_unused:UNUSED_PAD src0_sel:DWORD src1_sel:WORD_0
	v_and_b32_e32 v20, s78, v5
	v_mad_u32_u24 v5, v20, 5, v92
	v_lshl_add_u32 v95, v5, 2, v42
	v_and_b32_e32 v5, 1, v20
	v_add_co_u32_e32 v21, vcc, -1, v5
	v_addc_co_u32_e64 v96, s[36:37], 0, -1, vcc
	v_cmp_ne_u32_e32 vcc, 0, v5
	v_xor_b32_e32 v5, vcc_hi, v96
	v_and_b32_e32 v96, exec_hi, v5
	v_lshlrev_b32_e32 v5, 30, v20
	v_xor_b32_e32 v21, vcc_lo, v21
	v_cmp_gt_i64_e32 vcc, 0, v[4:5]
	v_not_b32_e32 v5, v5
	v_ashrrev_i32_e32 v5, 31, v5
	v_and_b32_e32 v21, exec_lo, v21
	v_xor_b32_e32 v98, vcc_hi, v5
	v_xor_b32_e32 v5, vcc_lo, v5
	v_and_b32_e32 v21, v21, v5
	v_lshlrev_b32_e32 v5, 29, v20
	v_cmp_gt_i64_e32 vcc, 0, v[4:5]
	v_not_b32_e32 v5, v5
	v_ashrrev_i32_e32 v5, 31, v5
	v_and_b32_e32 v96, v96, v98
	v_xor_b32_e32 v98, vcc_hi, v5
	v_xor_b32_e32 v5, vcc_lo, v5
	v_and_b32_e32 v21, v21, v5
	v_lshlrev_b32_e32 v5, 28, v20
	v_cmp_gt_i64_e32 vcc, 0, v[4:5]
	v_not_b32_e32 v5, v5
	v_ashrrev_i32_e32 v5, 31, v5
	v_and_b32_e32 v96, v96, v98
	;; [unrolled: 8-line block ×5, first 2 shown]
	v_xor_b32_e32 v98, vcc_hi, v5
	v_xor_b32_e32 v5, vcc_lo, v5
	v_and_b32_e32 v96, v96, v98
	v_and_b32_e32 v98, v21, v5
	v_lshlrev_b32_e32 v5, 24, v20
	v_cmp_gt_i64_e32 vcc, 0, v[4:5]
	v_not_b32_e32 v5, v5
	v_ashrrev_i32_e32 v5, 31, v5
	v_xor_b32_e32 v20, vcc_hi, v5
	v_xor_b32_e32 v5, vcc_lo, v5
	v_and_b32_e32 v21, v96, v20
	v_and_b32_e32 v20, v98, v5
	v_mbcnt_lo_u32_b32 v5, v20, 0
	v_mbcnt_hi_u32_b32 v96, v21, v5
	v_cmp_eq_u32_e32 vcc, 0, v96
	v_cmp_ne_u64_e64 s[36:37], 0, v[20:21]
	s_and_b64 s[38:39], s[36:37], vcc
	s_waitcnt lgkmcnt(0)
	s_barrier
	s_waitcnt lgkmcnt(0)
	; wave barrier
	s_and_saveexec_b64 s[36:37], s[38:39]
	s_cbranch_execz .LBB2050_422
; %bb.421:                              ;   in Loop: Header=BB2050_400 Depth=2
	v_bcnt_u32_b32 v5, v20, 0
	v_bcnt_u32_b32 v5, v21, v5
	ds_write_b32 v95, v5
.LBB2050_422:                           ;   in Loop: Header=BB2050_400 Depth=2
	s_or_b64 exec, exec, s[36:37]
	s_waitcnt vmcnt(5)
	v_cmp_lt_i16_e32 vcc, -1, v97
	v_cndmask_b32_e32 v5, -1, v66, vcc
	v_xor_b32_e32 v97, v5, v97
	v_cmp_ne_u16_e32 vcc, s68, v97
	v_cndmask_b32_e32 v5, v66, v97, vcc
	v_lshrrev_b32_sdwa v5, s69, v5 dst_sel:DWORD dst_unused:UNUSED_PAD src0_sel:DWORD src1_sel:WORD_0
	v_and_b32_e32 v20, s78, v5
	v_mul_u32_u24_e32 v5, 5, v20
	v_add_lshl_u32 v5, v5, v92, 2
	; wave barrier
	v_add_u32_e32 v99, 0x410, v5
	ds_read_b32 v98, v5 offset:1040
	v_and_b32_e32 v5, 1, v20
	v_add_co_u32_e32 v21, vcc, -1, v5
	v_addc_co_u32_e64 v100, s[36:37], 0, -1, vcc
	v_cmp_ne_u32_e32 vcc, 0, v5
	v_xor_b32_e32 v5, vcc_hi, v100
	v_and_b32_e32 v100, exec_hi, v5
	v_lshlrev_b32_e32 v5, 30, v20
	v_xor_b32_e32 v21, vcc_lo, v21
	v_cmp_gt_i64_e32 vcc, 0, v[4:5]
	v_not_b32_e32 v5, v5
	v_ashrrev_i32_e32 v5, 31, v5
	v_and_b32_e32 v21, exec_lo, v21
	v_xor_b32_e32 v102, vcc_hi, v5
	v_xor_b32_e32 v5, vcc_lo, v5
	v_and_b32_e32 v21, v21, v5
	v_lshlrev_b32_e32 v5, 29, v20
	v_cmp_gt_i64_e32 vcc, 0, v[4:5]
	v_not_b32_e32 v5, v5
	v_ashrrev_i32_e32 v5, 31, v5
	v_and_b32_e32 v100, v100, v102
	v_xor_b32_e32 v102, vcc_hi, v5
	v_xor_b32_e32 v5, vcc_lo, v5
	v_and_b32_e32 v21, v21, v5
	v_lshlrev_b32_e32 v5, 28, v20
	v_cmp_gt_i64_e32 vcc, 0, v[4:5]
	v_not_b32_e32 v5, v5
	v_ashrrev_i32_e32 v5, 31, v5
	v_and_b32_e32 v100, v100, v102
	;; [unrolled: 8-line block ×5, first 2 shown]
	v_xor_b32_e32 v102, vcc_hi, v5
	v_xor_b32_e32 v5, vcc_lo, v5
	v_and_b32_e32 v100, v100, v102
	v_and_b32_e32 v102, v21, v5
	v_lshlrev_b32_e32 v5, 24, v20
	v_cmp_gt_i64_e32 vcc, 0, v[4:5]
	v_not_b32_e32 v5, v5
	v_ashrrev_i32_e32 v5, 31, v5
	v_xor_b32_e32 v20, vcc_hi, v5
	v_xor_b32_e32 v5, vcc_lo, v5
	v_and_b32_e32 v21, v100, v20
	v_and_b32_e32 v20, v102, v5
	v_mbcnt_lo_u32_b32 v5, v20, 0
	v_mbcnt_hi_u32_b32 v100, v21, v5
	v_cmp_eq_u32_e32 vcc, 0, v100
	v_cmp_ne_u64_e64 s[36:37], 0, v[20:21]
	s_and_b64 s[38:39], s[36:37], vcc
	; wave barrier
	s_and_saveexec_b64 s[36:37], s[38:39]
	s_cbranch_execz .LBB2050_424
; %bb.423:                              ;   in Loop: Header=BB2050_400 Depth=2
	v_bcnt_u32_b32 v5, v20, 0
	v_bcnt_u32_b32 v5, v21, v5
	s_waitcnt lgkmcnt(0)
	v_add_u32_e32 v5, v98, v5
	ds_write_b32 v99, v5
.LBB2050_424:                           ;   in Loop: Header=BB2050_400 Depth=2
	s_or_b64 exec, exec, s[36:37]
	s_waitcnt vmcnt(4)
	v_cmp_lt_i16_e32 vcc, -1, v101
	v_cndmask_b32_e32 v5, -1, v66, vcc
	v_xor_b32_e32 v101, v5, v101
	v_cmp_ne_u16_e32 vcc, s68, v101
	v_cndmask_b32_e32 v5, v66, v101, vcc
	v_lshrrev_b32_sdwa v5, s69, v5 dst_sel:DWORD dst_unused:UNUSED_PAD src0_sel:DWORD src1_sel:WORD_0
	v_and_b32_e32 v20, s78, v5
	v_mul_u32_u24_e32 v5, 5, v20
	v_add_lshl_u32 v5, v5, v92, 2
	; wave barrier
	v_add_u32_e32 v103, 0x410, v5
	ds_read_b32 v102, v5 offset:1040
	v_and_b32_e32 v5, 1, v20
	v_add_co_u32_e32 v21, vcc, -1, v5
	v_addc_co_u32_e64 v105, s[36:37], 0, -1, vcc
	v_cmp_ne_u32_e32 vcc, 0, v5
	v_xor_b32_e32 v5, vcc_hi, v105
	v_and_b32_e32 v105, exec_hi, v5
	v_lshlrev_b32_e32 v5, 30, v20
	v_xor_b32_e32 v21, vcc_lo, v21
	v_cmp_gt_i64_e32 vcc, 0, v[4:5]
	v_not_b32_e32 v5, v5
	v_ashrrev_i32_e32 v5, 31, v5
	v_and_b32_e32 v21, exec_lo, v21
	v_xor_b32_e32 v107, vcc_hi, v5
	v_xor_b32_e32 v5, vcc_lo, v5
	v_and_b32_e32 v21, v21, v5
	v_lshlrev_b32_e32 v5, 29, v20
	v_cmp_gt_i64_e32 vcc, 0, v[4:5]
	v_not_b32_e32 v5, v5
	v_ashrrev_i32_e32 v5, 31, v5
	v_and_b32_e32 v105, v105, v107
	v_xor_b32_e32 v107, vcc_hi, v5
	v_xor_b32_e32 v5, vcc_lo, v5
	v_and_b32_e32 v21, v21, v5
	v_lshlrev_b32_e32 v5, 28, v20
	v_cmp_gt_i64_e32 vcc, 0, v[4:5]
	v_not_b32_e32 v5, v5
	v_ashrrev_i32_e32 v5, 31, v5
	v_and_b32_e32 v105, v105, v107
	v_xor_b32_e32 v107, vcc_hi, v5
	v_xor_b32_e32 v5, vcc_lo, v5
	v_and_b32_e32 v21, v21, v5
	v_lshlrev_b32_e32 v5, 27, v20
	v_cmp_gt_i64_e32 vcc, 0, v[4:5]
	v_not_b32_e32 v5, v5
	v_ashrrev_i32_e32 v5, 31, v5
	v_and_b32_e32 v105, v105, v107
	v_xor_b32_e32 v107, vcc_hi, v5
	v_xor_b32_e32 v5, vcc_lo, v5
	v_and_b32_e32 v21, v21, v5
	v_lshlrev_b32_e32 v5, 26, v20
	v_cmp_gt_i64_e32 vcc, 0, v[4:5]
	v_not_b32_e32 v5, v5
	v_ashrrev_i32_e32 v5, 31, v5
	v_and_b32_e32 v105, v105, v107
	v_xor_b32_e32 v107, vcc_hi, v5
	v_xor_b32_e32 v5, vcc_lo, v5
	v_and_b32_e32 v21, v21, v5
	v_lshlrev_b32_e32 v5, 25, v20
	v_cmp_gt_i64_e32 vcc, 0, v[4:5]
	v_not_b32_e32 v5, v5
	v_ashrrev_i32_e32 v5, 31, v5
	v_and_b32_e32 v105, v105, v107
	v_xor_b32_e32 v107, vcc_hi, v5
	v_xor_b32_e32 v5, vcc_lo, v5
	v_and_b32_e32 v105, v105, v107
	v_and_b32_e32 v107, v21, v5
	v_lshlrev_b32_e32 v5, 24, v20
	v_cmp_gt_i64_e32 vcc, 0, v[4:5]
	v_not_b32_e32 v5, v5
	v_ashrrev_i32_e32 v5, 31, v5
	v_xor_b32_e32 v20, vcc_hi, v5
	v_xor_b32_e32 v5, vcc_lo, v5
	v_and_b32_e32 v21, v105, v20
	v_and_b32_e32 v20, v107, v5
	v_mbcnt_lo_u32_b32 v5, v20, 0
	v_mbcnt_hi_u32_b32 v105, v21, v5
	v_cmp_eq_u32_e32 vcc, 0, v105
	v_cmp_ne_u64_e64 s[36:37], 0, v[20:21]
	s_and_b64 s[38:39], s[36:37], vcc
	; wave barrier
	s_and_saveexec_b64 s[36:37], s[38:39]
	s_cbranch_execz .LBB2050_426
; %bb.425:                              ;   in Loop: Header=BB2050_400 Depth=2
	v_bcnt_u32_b32 v5, v20, 0
	v_bcnt_u32_b32 v5, v21, v5
	s_waitcnt lgkmcnt(0)
	v_add_u32_e32 v5, v102, v5
	ds_write_b32 v103, v5
.LBB2050_426:                           ;   in Loop: Header=BB2050_400 Depth=2
	s_or_b64 exec, exec, s[36:37]
	s_waitcnt vmcnt(3)
	v_cmp_lt_i16_e32 vcc, -1, v106
	v_cndmask_b32_e32 v5, -1, v66, vcc
	v_xor_b32_e32 v106, v5, v106
	v_cmp_ne_u16_e32 vcc, s68, v106
	v_cndmask_b32_e32 v5, v66, v106, vcc
	v_lshrrev_b32_sdwa v5, s69, v5 dst_sel:DWORD dst_unused:UNUSED_PAD src0_sel:DWORD src1_sel:WORD_0
	v_and_b32_e32 v20, s78, v5
	v_mul_u32_u24_e32 v5, 5, v20
	v_add_lshl_u32 v5, v5, v92, 2
	; wave barrier
	v_add_u32_e32 v108, 0x410, v5
	ds_read_b32 v107, v5 offset:1040
	v_and_b32_e32 v5, 1, v20
	v_add_co_u32_e32 v21, vcc, -1, v5
	v_addc_co_u32_e64 v110, s[36:37], 0, -1, vcc
	v_cmp_ne_u32_e32 vcc, 0, v5
	v_xor_b32_e32 v5, vcc_hi, v110
	v_and_b32_e32 v110, exec_hi, v5
	v_lshlrev_b32_e32 v5, 30, v20
	v_xor_b32_e32 v21, vcc_lo, v21
	v_cmp_gt_i64_e32 vcc, 0, v[4:5]
	v_not_b32_e32 v5, v5
	v_ashrrev_i32_e32 v5, 31, v5
	v_and_b32_e32 v21, exec_lo, v21
	v_xor_b32_e32 v111, vcc_hi, v5
	v_xor_b32_e32 v5, vcc_lo, v5
	v_and_b32_e32 v21, v21, v5
	v_lshlrev_b32_e32 v5, 29, v20
	v_cmp_gt_i64_e32 vcc, 0, v[4:5]
	v_not_b32_e32 v5, v5
	v_ashrrev_i32_e32 v5, 31, v5
	v_and_b32_e32 v110, v110, v111
	v_xor_b32_e32 v111, vcc_hi, v5
	v_xor_b32_e32 v5, vcc_lo, v5
	v_and_b32_e32 v21, v21, v5
	v_lshlrev_b32_e32 v5, 28, v20
	v_cmp_gt_i64_e32 vcc, 0, v[4:5]
	v_not_b32_e32 v5, v5
	v_ashrrev_i32_e32 v5, 31, v5
	v_and_b32_e32 v110, v110, v111
	;; [unrolled: 8-line block ×5, first 2 shown]
	v_xor_b32_e32 v111, vcc_hi, v5
	v_xor_b32_e32 v5, vcc_lo, v5
	v_and_b32_e32 v110, v110, v111
	v_and_b32_e32 v111, v21, v5
	v_lshlrev_b32_e32 v5, 24, v20
	v_cmp_gt_i64_e32 vcc, 0, v[4:5]
	v_not_b32_e32 v5, v5
	v_ashrrev_i32_e32 v5, 31, v5
	v_xor_b32_e32 v20, vcc_hi, v5
	v_xor_b32_e32 v5, vcc_lo, v5
	v_and_b32_e32 v21, v110, v20
	v_and_b32_e32 v20, v111, v5
	v_mbcnt_lo_u32_b32 v5, v20, 0
	v_mbcnt_hi_u32_b32 v110, v21, v5
	v_cmp_eq_u32_e32 vcc, 0, v110
	v_cmp_ne_u64_e64 s[36:37], 0, v[20:21]
	s_and_b64 s[38:39], s[36:37], vcc
	; wave barrier
	s_and_saveexec_b64 s[36:37], s[38:39]
	s_cbranch_execz .LBB2050_428
; %bb.427:                              ;   in Loop: Header=BB2050_400 Depth=2
	v_bcnt_u32_b32 v5, v20, 0
	v_bcnt_u32_b32 v5, v21, v5
	s_waitcnt lgkmcnt(0)
	v_add_u32_e32 v5, v107, v5
	ds_write_b32 v108, v5
.LBB2050_428:                           ;   in Loop: Header=BB2050_400 Depth=2
	s_or_b64 exec, exec, s[36:37]
	s_waitcnt vmcnt(2)
	v_cmp_lt_i16_e32 vcc, -1, v109
	v_cndmask_b32_e32 v5, -1, v66, vcc
	v_xor_b32_e32 v109, v5, v109
	v_cmp_ne_u16_e32 vcc, s68, v109
	v_cndmask_b32_e32 v5, v66, v109, vcc
	v_lshrrev_b32_sdwa v5, s69, v5 dst_sel:DWORD dst_unused:UNUSED_PAD src0_sel:DWORD src1_sel:WORD_0
	v_and_b32_e32 v20, s78, v5
	v_mul_u32_u24_e32 v5, 5, v20
	v_add_lshl_u32 v5, v5, v92, 2
	; wave barrier
	v_add_u32_e32 v112, 0x410, v5
	ds_read_b32 v111, v5 offset:1040
	v_and_b32_e32 v5, 1, v20
	v_add_co_u32_e32 v21, vcc, -1, v5
	v_addc_co_u32_e64 v113, s[36:37], 0, -1, vcc
	v_cmp_ne_u32_e32 vcc, 0, v5
	v_xor_b32_e32 v5, vcc_hi, v113
	v_and_b32_e32 v113, exec_hi, v5
	v_lshlrev_b32_e32 v5, 30, v20
	v_xor_b32_e32 v21, vcc_lo, v21
	v_cmp_gt_i64_e32 vcc, 0, v[4:5]
	v_not_b32_e32 v5, v5
	v_ashrrev_i32_e32 v5, 31, v5
	v_and_b32_e32 v21, exec_lo, v21
	v_xor_b32_e32 v114, vcc_hi, v5
	v_xor_b32_e32 v5, vcc_lo, v5
	v_and_b32_e32 v21, v21, v5
	v_lshlrev_b32_e32 v5, 29, v20
	v_cmp_gt_i64_e32 vcc, 0, v[4:5]
	v_not_b32_e32 v5, v5
	v_ashrrev_i32_e32 v5, 31, v5
	v_and_b32_e32 v113, v113, v114
	v_xor_b32_e32 v114, vcc_hi, v5
	v_xor_b32_e32 v5, vcc_lo, v5
	v_and_b32_e32 v21, v21, v5
	v_lshlrev_b32_e32 v5, 28, v20
	v_cmp_gt_i64_e32 vcc, 0, v[4:5]
	v_not_b32_e32 v5, v5
	v_ashrrev_i32_e32 v5, 31, v5
	v_and_b32_e32 v113, v113, v114
	;; [unrolled: 8-line block ×5, first 2 shown]
	v_xor_b32_e32 v114, vcc_hi, v5
	v_xor_b32_e32 v5, vcc_lo, v5
	v_and_b32_e32 v113, v113, v114
	v_and_b32_e32 v114, v21, v5
	v_lshlrev_b32_e32 v5, 24, v20
	v_cmp_gt_i64_e32 vcc, 0, v[4:5]
	v_not_b32_e32 v5, v5
	v_ashrrev_i32_e32 v5, 31, v5
	v_xor_b32_e32 v20, vcc_hi, v5
	v_xor_b32_e32 v5, vcc_lo, v5
	v_and_b32_e32 v21, v113, v20
	v_and_b32_e32 v20, v114, v5
	v_mbcnt_lo_u32_b32 v5, v20, 0
	v_mbcnt_hi_u32_b32 v113, v21, v5
	v_cmp_eq_u32_e32 vcc, 0, v113
	v_cmp_ne_u64_e64 s[36:37], 0, v[20:21]
	s_and_b64 s[38:39], s[36:37], vcc
	; wave barrier
	s_and_saveexec_b64 s[36:37], s[38:39]
	s_cbranch_execz .LBB2050_430
; %bb.429:                              ;   in Loop: Header=BB2050_400 Depth=2
	v_bcnt_u32_b32 v5, v20, 0
	v_bcnt_u32_b32 v5, v21, v5
	s_waitcnt lgkmcnt(0)
	v_add_u32_e32 v5, v111, v5
	ds_write_b32 v112, v5
.LBB2050_430:                           ;   in Loop: Header=BB2050_400 Depth=2
	s_or_b64 exec, exec, s[36:37]
	s_waitcnt vmcnt(1)
	v_cmp_lt_i16_e32 vcc, -1, v104
	v_cndmask_b32_e32 v5, -1, v66, vcc
	v_xor_b32_e32 v104, v5, v104
	v_cmp_ne_u16_e32 vcc, s68, v104
	v_cndmask_b32_e32 v5, v66, v104, vcc
	v_lshrrev_b32_sdwa v5, s69, v5 dst_sel:DWORD dst_unused:UNUSED_PAD src0_sel:DWORD src1_sel:WORD_0
	v_and_b32_e32 v20, s78, v5
	v_mul_u32_u24_e32 v5, 5, v20
	v_add_lshl_u32 v5, v5, v92, 2
	; wave barrier
	v_add_u32_e32 v115, 0x410, v5
	ds_read_b32 v114, v5 offset:1040
	v_and_b32_e32 v5, 1, v20
	v_add_co_u32_e32 v21, vcc, -1, v5
	v_addc_co_u32_e64 v116, s[36:37], 0, -1, vcc
	v_cmp_ne_u32_e32 vcc, 0, v5
	v_xor_b32_e32 v5, vcc_hi, v116
	v_and_b32_e32 v116, exec_hi, v5
	v_lshlrev_b32_e32 v5, 30, v20
	v_xor_b32_e32 v21, vcc_lo, v21
	v_cmp_gt_i64_e32 vcc, 0, v[4:5]
	v_not_b32_e32 v5, v5
	v_ashrrev_i32_e32 v5, 31, v5
	v_and_b32_e32 v21, exec_lo, v21
	v_xor_b32_e32 v117, vcc_hi, v5
	v_xor_b32_e32 v5, vcc_lo, v5
	v_and_b32_e32 v21, v21, v5
	v_lshlrev_b32_e32 v5, 29, v20
	v_cmp_gt_i64_e32 vcc, 0, v[4:5]
	v_not_b32_e32 v5, v5
	v_ashrrev_i32_e32 v5, 31, v5
	v_and_b32_e32 v116, v116, v117
	v_xor_b32_e32 v117, vcc_hi, v5
	v_xor_b32_e32 v5, vcc_lo, v5
	v_and_b32_e32 v21, v21, v5
	v_lshlrev_b32_e32 v5, 28, v20
	v_cmp_gt_i64_e32 vcc, 0, v[4:5]
	v_not_b32_e32 v5, v5
	v_ashrrev_i32_e32 v5, 31, v5
	v_and_b32_e32 v116, v116, v117
	;; [unrolled: 8-line block ×5, first 2 shown]
	v_xor_b32_e32 v117, vcc_hi, v5
	v_xor_b32_e32 v5, vcc_lo, v5
	v_and_b32_e32 v116, v116, v117
	v_and_b32_e32 v117, v21, v5
	v_lshlrev_b32_e32 v5, 24, v20
	v_cmp_gt_i64_e32 vcc, 0, v[4:5]
	v_not_b32_e32 v5, v5
	v_ashrrev_i32_e32 v5, 31, v5
	v_xor_b32_e32 v20, vcc_hi, v5
	v_xor_b32_e32 v5, vcc_lo, v5
	v_and_b32_e32 v21, v116, v20
	v_and_b32_e32 v20, v117, v5
	v_mbcnt_lo_u32_b32 v5, v20, 0
	v_mbcnt_hi_u32_b32 v116, v21, v5
	v_cmp_eq_u32_e32 vcc, 0, v116
	v_cmp_ne_u64_e64 s[36:37], 0, v[20:21]
	s_and_b64 s[38:39], s[36:37], vcc
	; wave barrier
	s_and_saveexec_b64 s[36:37], s[38:39]
	s_cbranch_execz .LBB2050_432
; %bb.431:                              ;   in Loop: Header=BB2050_400 Depth=2
	v_bcnt_u32_b32 v5, v20, 0
	v_bcnt_u32_b32 v5, v21, v5
	s_waitcnt lgkmcnt(0)
	v_add_u32_e32 v5, v114, v5
	ds_write_b32 v115, v5
.LBB2050_432:                           ;   in Loop: Header=BB2050_400 Depth=2
	s_or_b64 exec, exec, s[36:37]
	s_waitcnt vmcnt(0)
	v_cmp_lt_i16_e32 vcc, -1, v22
	v_cndmask_b32_e32 v5, -1, v66, vcc
	v_xor_b32_e32 v117, v5, v22
	v_cmp_ne_u16_e32 vcc, s68, v117
	v_cndmask_b32_e32 v5, v66, v117, vcc
	v_lshrrev_b32_sdwa v5, s69, v5 dst_sel:DWORD dst_unused:UNUSED_PAD src0_sel:DWORD src1_sel:WORD_0
	v_and_b32_e32 v20, s78, v5
	v_mul_u32_u24_e32 v5, 5, v20
	v_add_lshl_u32 v5, v5, v92, 2
	; wave barrier
	v_add_u32_e32 v119, 0x410, v5
	ds_read_b32 v118, v5 offset:1040
	v_and_b32_e32 v5, 1, v20
	v_add_co_u32_e32 v21, vcc, -1, v5
	v_addc_co_u32_e64 v22, s[36:37], 0, -1, vcc
	v_cmp_ne_u32_e32 vcc, 0, v5
	v_xor_b32_e32 v5, vcc_hi, v22
	v_and_b32_e32 v22, exec_hi, v5
	v_lshlrev_b32_e32 v5, 30, v20
	v_xor_b32_e32 v21, vcc_lo, v21
	v_cmp_gt_i64_e32 vcc, 0, v[4:5]
	v_not_b32_e32 v5, v5
	v_ashrrev_i32_e32 v5, 31, v5
	v_and_b32_e32 v21, exec_lo, v21
	v_xor_b32_e32 v120, vcc_hi, v5
	v_xor_b32_e32 v5, vcc_lo, v5
	v_and_b32_e32 v21, v21, v5
	v_lshlrev_b32_e32 v5, 29, v20
	v_cmp_gt_i64_e32 vcc, 0, v[4:5]
	v_not_b32_e32 v5, v5
	v_ashrrev_i32_e32 v5, 31, v5
	v_and_b32_e32 v22, v22, v120
	v_xor_b32_e32 v120, vcc_hi, v5
	v_xor_b32_e32 v5, vcc_lo, v5
	v_and_b32_e32 v21, v21, v5
	v_lshlrev_b32_e32 v5, 28, v20
	v_cmp_gt_i64_e32 vcc, 0, v[4:5]
	v_not_b32_e32 v5, v5
	v_ashrrev_i32_e32 v5, 31, v5
	v_and_b32_e32 v22, v22, v120
	;; [unrolled: 8-line block ×5, first 2 shown]
	v_xor_b32_e32 v120, vcc_hi, v5
	v_xor_b32_e32 v5, vcc_lo, v5
	v_and_b32_e32 v22, v22, v120
	v_and_b32_e32 v120, v21, v5
	v_lshlrev_b32_e32 v5, 24, v20
	v_cmp_gt_i64_e32 vcc, 0, v[4:5]
	v_not_b32_e32 v5, v5
	v_ashrrev_i32_e32 v5, 31, v5
	v_xor_b32_e32 v20, vcc_hi, v5
	v_xor_b32_e32 v5, vcc_lo, v5
	v_and_b32_e32 v21, v22, v20
	v_and_b32_e32 v20, v120, v5
	v_mbcnt_lo_u32_b32 v5, v20, 0
	v_mbcnt_hi_u32_b32 v120, v21, v5
	v_cmp_eq_u32_e32 vcc, 0, v120
	v_cmp_ne_u64_e64 s[36:37], 0, v[20:21]
	s_and_b64 s[38:39], s[36:37], vcc
	; wave barrier
	s_and_saveexec_b64 s[36:37], s[38:39]
	s_cbranch_execz .LBB2050_434
; %bb.433:                              ;   in Loop: Header=BB2050_400 Depth=2
	v_bcnt_u32_b32 v5, v20, 0
	v_bcnt_u32_b32 v5, v21, v5
	s_waitcnt lgkmcnt(0)
	v_add_u32_e32 v5, v118, v5
	ds_write_b32 v119, v5
.LBB2050_434:                           ;   in Loop: Header=BB2050_400 Depth=2
	s_or_b64 exec, exec, s[36:37]
	v_cmp_lt_i16_e32 vcc, -1, v23
	v_cndmask_b32_e32 v5, -1, v66, vcc
	v_xor_b32_e32 v121, v5, v23
	v_cmp_ne_u16_e32 vcc, s68, v121
	v_cndmask_b32_e32 v5, v66, v121, vcc
	v_lshrrev_b32_sdwa v5, s69, v5 dst_sel:DWORD dst_unused:UNUSED_PAD src0_sel:DWORD src1_sel:WORD_0
	v_and_b32_e32 v20, s78, v5
	v_mul_u32_u24_e32 v5, 5, v20
	v_add_lshl_u32 v5, v5, v92, 2
	; wave barrier
	v_add_u32_e32 v123, 0x410, v5
	ds_read_b32 v122, v5 offset:1040
	v_and_b32_e32 v5, 1, v20
	v_add_co_u32_e32 v21, vcc, -1, v5
	v_addc_co_u32_e64 v22, s[36:37], 0, -1, vcc
	v_cmp_ne_u32_e32 vcc, 0, v5
	v_xor_b32_e32 v5, vcc_hi, v22
	v_and_b32_e32 v22, exec_hi, v5
	v_lshlrev_b32_e32 v5, 30, v20
	v_xor_b32_e32 v21, vcc_lo, v21
	v_cmp_gt_i64_e32 vcc, 0, v[4:5]
	v_not_b32_e32 v5, v5
	v_ashrrev_i32_e32 v5, 31, v5
	v_and_b32_e32 v21, exec_lo, v21
	v_xor_b32_e32 v23, vcc_hi, v5
	v_xor_b32_e32 v5, vcc_lo, v5
	v_and_b32_e32 v21, v21, v5
	v_lshlrev_b32_e32 v5, 29, v20
	v_cmp_gt_i64_e32 vcc, 0, v[4:5]
	v_not_b32_e32 v5, v5
	v_ashrrev_i32_e32 v5, 31, v5
	v_and_b32_e32 v22, v22, v23
	v_xor_b32_e32 v23, vcc_hi, v5
	v_xor_b32_e32 v5, vcc_lo, v5
	v_and_b32_e32 v21, v21, v5
	v_lshlrev_b32_e32 v5, 28, v20
	v_cmp_gt_i64_e32 vcc, 0, v[4:5]
	v_not_b32_e32 v5, v5
	v_ashrrev_i32_e32 v5, 31, v5
	v_and_b32_e32 v22, v22, v23
	;; [unrolled: 8-line block ×5, first 2 shown]
	v_xor_b32_e32 v23, vcc_hi, v5
	v_xor_b32_e32 v5, vcc_lo, v5
	v_and_b32_e32 v22, v22, v23
	v_and_b32_e32 v23, v21, v5
	v_lshlrev_b32_e32 v5, 24, v20
	v_cmp_gt_i64_e32 vcc, 0, v[4:5]
	v_not_b32_e32 v5, v5
	v_ashrrev_i32_e32 v5, 31, v5
	v_xor_b32_e32 v20, vcc_hi, v5
	v_xor_b32_e32 v5, vcc_lo, v5
	v_and_b32_e32 v21, v22, v20
	v_and_b32_e32 v20, v23, v5
	v_mbcnt_lo_u32_b32 v5, v20, 0
	v_mbcnt_hi_u32_b32 v124, v21, v5
	v_cmp_eq_u32_e32 vcc, 0, v124
	v_cmp_ne_u64_e64 s[36:37], 0, v[20:21]
	s_and_b64 s[38:39], s[36:37], vcc
	; wave barrier
	s_and_saveexec_b64 s[36:37], s[38:39]
	s_cbranch_execz .LBB2050_436
; %bb.435:                              ;   in Loop: Header=BB2050_400 Depth=2
	v_bcnt_u32_b32 v5, v20, 0
	v_bcnt_u32_b32 v5, v21, v5
	s_waitcnt lgkmcnt(0)
	v_add_u32_e32 v5, v122, v5
	ds_write_b32 v123, v5
.LBB2050_436:                           ;   in Loop: Header=BB2050_400 Depth=2
	s_or_b64 exec, exec, s[36:37]
	; wave barrier
	s_waitcnt lgkmcnt(0)
	s_barrier
	ds_read_b32 v5, v41 offset:1040
	ds_read2_b32 v[22:23], v43 offset0:1 offset1:2
	ds_read2_b32 v[20:21], v43 offset0:3 offset1:4
	s_waitcnt lgkmcnt(1)
	v_add3_u32 v125, v22, v5, v23
	s_waitcnt lgkmcnt(0)
	v_add3_u32 v21, v125, v20, v21
	s_nop 1
	v_mov_b32_dpp v125, v21 row_shr:1 row_mask:0xf bank_mask:0xf
	v_cndmask_b32_e64 v125, v125, 0, s[16:17]
	v_add_u32_e32 v21, v125, v21
	s_nop 1
	v_mov_b32_dpp v125, v21 row_shr:2 row_mask:0xf bank_mask:0xf
	v_cndmask_b32_e64 v125, 0, v125, s[18:19]
	v_add_u32_e32 v21, v21, v125
	;; [unrolled: 4-line block ×4, first 2 shown]
	s_nop 1
	v_mov_b32_dpp v125, v21 row_bcast:15 row_mask:0xf bank_mask:0xf
	v_cndmask_b32_e64 v125, v125, 0, s[24:25]
	v_add_u32_e32 v21, v21, v125
	s_nop 1
	v_mov_b32_dpp v125, v21 row_bcast:31 row_mask:0xf bank_mask:0xf
	v_cndmask_b32_e64 v125, 0, v125, s[26:27]
	v_add_u32_e32 v21, v21, v125
	s_and_saveexec_b64 s[36:37], s[6:7]
	s_cbranch_execz .LBB2050_438
; %bb.437:                              ;   in Loop: Header=BB2050_400 Depth=2
	ds_write_b32 v34, v21 offset:1024
.LBB2050_438:                           ;   in Loop: Header=BB2050_400 Depth=2
	s_or_b64 exec, exec, s[36:37]
	s_waitcnt lgkmcnt(0)
	s_barrier
	s_and_saveexec_b64 s[36:37], s[8:9]
	s_cbranch_execz .LBB2050_440
; %bb.439:                              ;   in Loop: Header=BB2050_400 Depth=2
	ds_read_b32 v125, v44 offset:1024
	s_waitcnt lgkmcnt(0)
	s_nop 0
	v_mov_b32_dpp v126, v125 row_shr:1 row_mask:0xf bank_mask:0xf
	v_cndmask_b32_e64 v126, v126, 0, s[30:31]
	v_add_u32_e32 v125, v126, v125
	s_nop 1
	v_mov_b32_dpp v126, v125 row_shr:2 row_mask:0xf bank_mask:0xf
	v_cndmask_b32_e64 v126, 0, v126, s[34:35]
	v_add_u32_e32 v125, v125, v126
	ds_write_b32 v44, v125 offset:1024
.LBB2050_440:                           ;   in Loop: Header=BB2050_400 Depth=2
	s_or_b64 exec, exec, s[36:37]
	v_mov_b32_e32 v125, 0
	s_waitcnt lgkmcnt(0)
	s_barrier
	s_and_saveexec_b64 s[36:37], s[10:11]
	s_cbranch_execz .LBB2050_442
; %bb.441:                              ;   in Loop: Header=BB2050_400 Depth=2
	ds_read_b32 v125, v34 offset:1020
.LBB2050_442:                           ;   in Loop: Header=BB2050_400 Depth=2
	s_or_b64 exec, exec, s[36:37]
	s_waitcnt lgkmcnt(0)
	v_add_u32_e32 v21, v125, v21
	ds_bpermute_b32 v21, v69, v21
	s_waitcnt lgkmcnt(0)
	v_cndmask_b32_e64 v21, v21, v125, s[28:29]
	v_cndmask_b32_e64 v21, v21, 0, s[12:13]
	v_add_u32_e32 v5, v21, v5
	ds_write_b32 v41, v21 offset:1040
	v_add_u32_e32 v21, v5, v22
	v_add_u32_e32 v22, v21, v23
	ds_write2_b32 v43, v5, v21 offset0:1 offset1:2
	v_add_u32_e32 v5, v22, v20
	ds_write2_b32 v43, v22, v5 offset0:3 offset1:4
	s_waitcnt lgkmcnt(0)
	s_barrier
	ds_read_b32 v20, v99
	ds_read_b32 v21, v103
	;; [unrolled: 1-line block ×8, first 2 shown]
	ds_read_b32 v99, v41 offset:1040
	v_mov_b32_e32 v5, 0x800
	s_and_saveexec_b64 s[36:37], s[14:15]
	s_cbranch_execz .LBB2050_444
; %bb.443:                              ;   in Loop: Header=BB2050_400 Depth=2
	ds_read_b32 v5, v41 offset:1060
.LBB2050_444:                           ;   in Loop: Header=BB2050_400 Depth=2
	s_or_b64 exec, exec, s[36:37]
	s_waitcnt lgkmcnt(0)
	s_barrier
	s_and_saveexec_b64 s[36:37], s[4:5]
	s_cbranch_execz .LBB2050_446
; %bb.445:                              ;   in Loop: Header=BB2050_400 Depth=2
	ds_read_b32 v103, v3
	s_waitcnt lgkmcnt(0)
	v_sub_u32_e32 v99, v103, v99
	ds_write_b32 v3, v99
.LBB2050_446:                           ;   in Loop: Header=BB2050_400 Depth=2
	s_or_b64 exec, exec, s[36:37]
	v_add_u32_e32 v103, v95, v96
	v_add3_u32 v100, v100, v98, v20
	v_lshlrev_b32_e32 v20, 1, v103
	v_add3_u32 v99, v105, v102, v21
	ds_write_b16 v20, v94 offset:1024
	v_lshlrev_b32_e32 v20, 1, v100
	v_add3_u32 v98, v110, v107, v22
	ds_write_b16 v20, v97 offset:1024
	;; [unrolled: 3-line block ×6, first 2 shown]
	v_lshlrev_b32_e32 v20, 1, v23
	ds_write_b16 v20, v117 offset:1024
	v_lshlrev_b32_e32 v20, 1, v22
	v_cmp_lt_u32_e32 vcc, v2, v93
	ds_write_b16 v20, v121 offset:1024
	s_waitcnt lgkmcnt(0)
	s_barrier
	s_and_saveexec_b64 s[38:39], vcc
	s_cbranch_execz .LBB2050_454
; %bb.447:                              ;   in Loop: Header=BB2050_400 Depth=2
	ds_read_u16 v20, v49 offset:1024
	v_mov_b32_e32 v21, v4
	v_mov_b32_e32 v97, s59
	s_waitcnt lgkmcnt(0)
	v_cmp_ne_u16_e64 s[36:37], s68, v20
	v_cndmask_b32_e64 v94, v66, v20, s[36:37]
	v_lshrrev_b32_sdwa v94, s69, v94 dst_sel:DWORD dst_unused:UNUSED_PAD src0_sel:DWORD src1_sel:WORD_0
	v_and_b32_e32 v94, s78, v94
	v_lshlrev_b32_e32 v94, 2, v94
	ds_read_b32 v94, v94
	v_cmp_lt_i16_e64 s[36:37], -1, v20
	v_cndmask_b32_e64 v101, v66, -1, s[36:37]
	v_xor_b32_e32 v101, v101, v20
	s_waitcnt lgkmcnt(0)
	v_add_u32_e32 v20, v94, v2
	v_lshlrev_b64 v[20:21], 1, v[20:21]
	v_add_co_u32_e64 v20, s[36:37], s58, v20
	v_addc_co_u32_e64 v21, s[36:37], v97, v21, s[36:37]
	global_store_short v[20:21], v101, off
	s_or_b64 exec, exec, s[38:39]
	v_cmp_lt_u32_e64 s[36:37], v24, v93
	s_and_saveexec_b64 s[40:41], s[36:37]
	s_cbranch_execnz .LBB2050_455
.LBB2050_448:                           ;   in Loop: Header=BB2050_400 Depth=2
	s_or_b64 exec, exec, s[40:41]
	v_cmp_lt_u32_e64 s[38:39], v25, v93
	s_and_saveexec_b64 s[42:43], s[38:39]
	s_cbranch_execz .LBB2050_456
.LBB2050_449:                           ;   in Loop: Header=BB2050_400 Depth=2
	ds_read_u16 v20, v50 offset:1024
	v_mov_b32_e32 v21, v4
	v_mov_b32_e32 v97, s59
	s_waitcnt lgkmcnt(0)
	v_cmp_ne_u16_e64 s[40:41], s68, v20
	v_cndmask_b32_e64 v94, v66, v20, s[40:41]
	v_lshrrev_b32_sdwa v94, s69, v94 dst_sel:DWORD dst_unused:UNUSED_PAD src0_sel:DWORD src1_sel:WORD_0
	v_and_b32_e32 v94, s78, v94
	v_lshlrev_b32_e32 v94, 2, v94
	ds_read_b32 v94, v94
	v_cmp_lt_i16_e64 s[40:41], -1, v20
	v_cndmask_b32_e64 v101, v66, -1, s[40:41]
	v_xor_b32_e32 v101, v101, v20
	s_waitcnt lgkmcnt(0)
	v_add_u32_e32 v20, v94, v25
	v_lshlrev_b64 v[20:21], 1, v[20:21]
	v_add_co_u32_e64 v20, s[40:41], s58, v20
	v_addc_co_u32_e64 v21, s[40:41], v97, v21, s[40:41]
	global_store_short v[20:21], v101, off
	s_or_b64 exec, exec, s[42:43]
	v_cmp_lt_u32_e64 s[40:41], v26, v93
	s_and_saveexec_b64 s[44:45], s[40:41]
	s_cbranch_execnz .LBB2050_457
.LBB2050_450:                           ;   in Loop: Header=BB2050_400 Depth=2
	s_or_b64 exec, exec, s[44:45]
	v_cmp_lt_u32_e64 s[42:43], v29, v93
	s_and_saveexec_b64 s[46:47], s[42:43]
	s_cbranch_execz .LBB2050_458
.LBB2050_451:                           ;   in Loop: Header=BB2050_400 Depth=2
	ds_read_u16 v20, v50 offset:2048
	v_mov_b32_e32 v21, v4
	v_mov_b32_e32 v97, s59
	s_waitcnt lgkmcnt(0)
	v_cmp_ne_u16_e64 s[44:45], s68, v20
	v_cndmask_b32_e64 v94, v66, v20, s[44:45]
	v_lshrrev_b32_sdwa v94, s69, v94 dst_sel:DWORD dst_unused:UNUSED_PAD src0_sel:DWORD src1_sel:WORD_0
	v_and_b32_e32 v94, s78, v94
	v_lshlrev_b32_e32 v94, 2, v94
	ds_read_b32 v94, v94
	v_cmp_lt_i16_e64 s[44:45], -1, v20
	v_cndmask_b32_e64 v101, v66, -1, s[44:45]
	v_xor_b32_e32 v101, v101, v20
	s_waitcnt lgkmcnt(0)
	v_add_u32_e32 v20, v94, v29
	v_lshlrev_b64 v[20:21], 1, v[20:21]
	v_add_co_u32_e64 v20, s[44:45], s58, v20
	v_addc_co_u32_e64 v21, s[44:45], v97, v21, s[44:45]
	global_store_short v[20:21], v101, off
	s_or_b64 exec, exec, s[46:47]
	v_cmp_lt_u32_e64 s[44:45], v30, v93
	s_and_saveexec_b64 s[48:49], s[44:45]
	s_cbranch_execnz .LBB2050_459
.LBB2050_452:                           ;   in Loop: Header=BB2050_400 Depth=2
	s_or_b64 exec, exec, s[48:49]
	v_cmp_lt_u32_e64 s[46:47], v31, v93
	s_and_saveexec_b64 s[52:53], s[46:47]
	s_cbranch_execz .LBB2050_460
.LBB2050_453:                           ;   in Loop: Header=BB2050_400 Depth=2
	ds_read_u16 v20, v50 offset:3072
	v_mov_b32_e32 v21, v4
	v_mov_b32_e32 v97, s59
	s_waitcnt lgkmcnt(0)
	v_cmp_ne_u16_e64 s[48:49], s68, v20
	v_cndmask_b32_e64 v94, v66, v20, s[48:49]
	v_lshrrev_b32_sdwa v94, s69, v94 dst_sel:DWORD dst_unused:UNUSED_PAD src0_sel:DWORD src1_sel:WORD_0
	v_and_b32_e32 v94, s78, v94
	v_lshlrev_b32_e32 v94, 2, v94
	ds_read_b32 v94, v94
	v_cmp_lt_i16_e64 s[48:49], -1, v20
	v_cndmask_b32_e64 v101, v66, -1, s[48:49]
	v_xor_b32_e32 v101, v101, v20
	s_waitcnt lgkmcnt(0)
	v_add_u32_e32 v20, v94, v31
	v_lshlrev_b64 v[20:21], 1, v[20:21]
	v_add_co_u32_e64 v20, s[48:49], s58, v20
	v_addc_co_u32_e64 v21, s[48:49], v97, v21, s[48:49]
	global_store_short v[20:21], v101, off
	s_or_b64 exec, exec, s[52:53]
	v_cmp_lt_u32_e64 s[48:49], v32, v93
	s_and_saveexec_b64 s[62:63], s[48:49]
	s_cbranch_execnz .LBB2050_461
	s_branch .LBB2050_462
.LBB2050_454:                           ;   in Loop: Header=BB2050_400 Depth=2
	s_or_b64 exec, exec, s[38:39]
	v_cmp_lt_u32_e64 s[36:37], v24, v93
	s_and_saveexec_b64 s[40:41], s[36:37]
	s_cbranch_execz .LBB2050_448
.LBB2050_455:                           ;   in Loop: Header=BB2050_400 Depth=2
	ds_read_u16 v20, v50 offset:512
	v_mov_b32_e32 v21, v4
	v_mov_b32_e32 v97, s59
	s_waitcnt lgkmcnt(0)
	v_cmp_ne_u16_e64 s[38:39], s68, v20
	v_cndmask_b32_e64 v94, v66, v20, s[38:39]
	v_lshrrev_b32_sdwa v94, s69, v94 dst_sel:DWORD dst_unused:UNUSED_PAD src0_sel:DWORD src1_sel:WORD_0
	v_and_b32_e32 v94, s78, v94
	v_lshlrev_b32_e32 v94, 2, v94
	ds_read_b32 v94, v94
	v_cmp_lt_i16_e64 s[38:39], -1, v20
	v_cndmask_b32_e64 v101, v66, -1, s[38:39]
	v_xor_b32_e32 v101, v101, v20
	s_waitcnt lgkmcnt(0)
	v_add_u32_e32 v20, v94, v24
	v_lshlrev_b64 v[20:21], 1, v[20:21]
	v_add_co_u32_e64 v20, s[38:39], s58, v20
	v_addc_co_u32_e64 v21, s[38:39], v97, v21, s[38:39]
	global_store_short v[20:21], v101, off
	s_or_b64 exec, exec, s[40:41]
	v_cmp_lt_u32_e64 s[38:39], v25, v93
	s_and_saveexec_b64 s[42:43], s[38:39]
	s_cbranch_execnz .LBB2050_449
.LBB2050_456:                           ;   in Loop: Header=BB2050_400 Depth=2
	s_or_b64 exec, exec, s[42:43]
	v_cmp_lt_u32_e64 s[40:41], v26, v93
	s_and_saveexec_b64 s[44:45], s[40:41]
	s_cbranch_execz .LBB2050_450
.LBB2050_457:                           ;   in Loop: Header=BB2050_400 Depth=2
	ds_read_u16 v20, v50 offset:1536
	v_mov_b32_e32 v21, v4
	v_mov_b32_e32 v97, s59
	s_waitcnt lgkmcnt(0)
	v_cmp_ne_u16_e64 s[42:43], s68, v20
	v_cndmask_b32_e64 v94, v66, v20, s[42:43]
	v_lshrrev_b32_sdwa v94, s69, v94 dst_sel:DWORD dst_unused:UNUSED_PAD src0_sel:DWORD src1_sel:WORD_0
	v_and_b32_e32 v94, s78, v94
	v_lshlrev_b32_e32 v94, 2, v94
	ds_read_b32 v94, v94
	v_cmp_lt_i16_e64 s[42:43], -1, v20
	v_cndmask_b32_e64 v101, v66, -1, s[42:43]
	v_xor_b32_e32 v101, v101, v20
	s_waitcnt lgkmcnt(0)
	v_add_u32_e32 v20, v94, v26
	v_lshlrev_b64 v[20:21], 1, v[20:21]
	v_add_co_u32_e64 v20, s[42:43], s58, v20
	v_addc_co_u32_e64 v21, s[42:43], v97, v21, s[42:43]
	global_store_short v[20:21], v101, off
	s_or_b64 exec, exec, s[44:45]
	v_cmp_lt_u32_e64 s[42:43], v29, v93
	s_and_saveexec_b64 s[46:47], s[42:43]
	s_cbranch_execnz .LBB2050_451
.LBB2050_458:                           ;   in Loop: Header=BB2050_400 Depth=2
	s_or_b64 exec, exec, s[46:47]
	v_cmp_lt_u32_e64 s[44:45], v30, v93
	s_and_saveexec_b64 s[48:49], s[44:45]
	s_cbranch_execz .LBB2050_452
.LBB2050_459:                           ;   in Loop: Header=BB2050_400 Depth=2
	ds_read_u16 v20, v50 offset:2560
	v_mov_b32_e32 v21, v4
	v_mov_b32_e32 v97, s59
	s_waitcnt lgkmcnt(0)
	v_cmp_ne_u16_e64 s[46:47], s68, v20
	v_cndmask_b32_e64 v94, v66, v20, s[46:47]
	v_lshrrev_b32_sdwa v94, s69, v94 dst_sel:DWORD dst_unused:UNUSED_PAD src0_sel:DWORD src1_sel:WORD_0
	v_and_b32_e32 v94, s78, v94
	v_lshlrev_b32_e32 v94, 2, v94
	ds_read_b32 v94, v94
	v_cmp_lt_i16_e64 s[46:47], -1, v20
	v_cndmask_b32_e64 v101, v66, -1, s[46:47]
	v_xor_b32_e32 v101, v101, v20
	s_waitcnt lgkmcnt(0)
	v_add_u32_e32 v20, v94, v30
	v_lshlrev_b64 v[20:21], 1, v[20:21]
	v_add_co_u32_e64 v20, s[46:47], s58, v20
	v_addc_co_u32_e64 v21, s[46:47], v97, v21, s[46:47]
	global_store_short v[20:21], v101, off
	s_or_b64 exec, exec, s[48:49]
	v_cmp_lt_u32_e64 s[46:47], v31, v93
	s_and_saveexec_b64 s[52:53], s[46:47]
	s_cbranch_execnz .LBB2050_453
.LBB2050_460:                           ;   in Loop: Header=BB2050_400 Depth=2
	s_or_b64 exec, exec, s[52:53]
	v_cmp_lt_u32_e64 s[48:49], v32, v93
	s_and_saveexec_b64 s[62:63], s[48:49]
	s_cbranch_execz .LBB2050_462
.LBB2050_461:                           ;   in Loop: Header=BB2050_400 Depth=2
	ds_read_u16 v20, v50 offset:3584
	v_mov_b32_e32 v21, v4
	v_mov_b32_e32 v97, s59
	s_waitcnt lgkmcnt(0)
	v_cmp_ne_u16_e64 s[52:53], s68, v20
	v_cndmask_b32_e64 v94, v66, v20, s[52:53]
	v_lshrrev_b32_sdwa v94, s69, v94 dst_sel:DWORD dst_unused:UNUSED_PAD src0_sel:DWORD src1_sel:WORD_0
	v_and_b32_e32 v94, s78, v94
	v_lshlrev_b32_e32 v94, 2, v94
	ds_read_b32 v94, v94
	v_cmp_lt_i16_e64 s[52:53], -1, v20
	v_cndmask_b32_e64 v101, v66, -1, s[52:53]
	v_xor_b32_e32 v101, v101, v20
	s_waitcnt lgkmcnt(0)
	v_add_u32_e32 v20, v94, v32
	v_lshlrev_b64 v[20:21], 1, v[20:21]
	v_add_co_u32_e64 v20, s[52:53], s58, v20
	v_addc_co_u32_e64 v21, s[52:53], v97, v21, s[52:53]
	global_store_short v[20:21], v101, off
.LBB2050_462:                           ;   in Loop: Header=BB2050_400 Depth=2
	s_or_b64 exec, exec, s[62:63]
	s_lshl_b64 s[52:53], s[72:73], 3
	v_mov_b32_e32 v21, s53
	v_add_co_u32_e64 v20, s[52:53], s52, v77
	v_addc_co_u32_e64 v21, s[52:53], v79, v21, s[52:53]
	v_cmp_lt_u32_e64 s[52:53], v74, v93
	s_and_saveexec_b64 s[62:63], s[52:53]
	s_xor_b64 s[52:53], exec, s[62:63]
	s_cbranch_execz .LBB2050_478
; %bb.463:                              ;   in Loop: Header=BB2050_400 Depth=2
	global_load_dwordx2 v[18:19], v[20:21], off
	s_or_b64 exec, exec, s[52:53]
	v_cmp_lt_u32_e64 s[52:53], v81, v93
	s_and_saveexec_b64 s[62:63], s[52:53]
	s_cbranch_execnz .LBB2050_479
.LBB2050_464:                           ;   in Loop: Header=BB2050_400 Depth=2
	s_or_b64 exec, exec, s[62:63]
	v_cmp_lt_u32_e64 s[52:53], v82, v93
	s_and_saveexec_b64 s[62:63], s[52:53]
	s_cbranch_execz .LBB2050_480
.LBB2050_465:                           ;   in Loop: Header=BB2050_400 Depth=2
	global_load_dwordx2 v[14:15], v[20:21], off offset:1024
	s_or_b64 exec, exec, s[62:63]
	v_cmp_lt_u32_e64 s[52:53], v83, v93
	s_and_saveexec_b64 s[62:63], s[52:53]
	s_cbranch_execnz .LBB2050_481
.LBB2050_466:                           ;   in Loop: Header=BB2050_400 Depth=2
	s_or_b64 exec, exec, s[62:63]
	v_cmp_lt_u32_e64 s[52:53], v84, v93
	s_and_saveexec_b64 s[62:63], s[52:53]
	s_cbranch_execz .LBB2050_482
.LBB2050_467:                           ;   in Loop: Header=BB2050_400 Depth=2
	global_load_dwordx2 v[10:11], v[20:21], off offset:2048
	s_or_b64 exec, exec, s[62:63]
	v_cmp_lt_u32_e64 s[52:53], v85, v93
	s_and_saveexec_b64 s[62:63], s[52:53]
	s_cbranch_execnz .LBB2050_483
.LBB2050_468:                           ;   in Loop: Header=BB2050_400 Depth=2
	s_or_b64 exec, exec, s[62:63]
	v_cmp_lt_u32_e64 s[52:53], v86, v93
	s_and_saveexec_b64 s[62:63], s[52:53]
	s_cbranch_execz .LBB2050_484
.LBB2050_469:                           ;   in Loop: Header=BB2050_400 Depth=2
	global_load_dwordx2 v[6:7], v[20:21], off offset:3072
	s_or_b64 exec, exec, s[62:63]
	v_cmp_lt_u32_e64 s[52:53], v87, v93
	s_and_saveexec_b64 s[62:63], s[52:53]
	s_cbranch_execnz .LBB2050_485
.LBB2050_470:                           ;   in Loop: Header=BB2050_400 Depth=2
	s_or_b64 exec, exec, s[62:63]
	s_and_saveexec_b64 s[62:63], vcc
	s_cbranch_execz .LBB2050_486
.LBB2050_471:                           ;   in Loop: Header=BB2050_400 Depth=2
	ds_read_u16 v20, v49 offset:1024
	s_waitcnt lgkmcnt(0)
	v_cmp_ne_u16_e64 s[52:53], s68, v20
	v_cndmask_b32_e64 v20, v66, v20, s[52:53]
	v_lshrrev_b32_sdwa v20, s69, v20 dst_sel:DWORD dst_unused:UNUSED_PAD src0_sel:DWORD src1_sel:WORD_0
	v_and_b32_e32 v80, s78, v20
	s_or_b64 exec, exec, s[62:63]
	s_and_saveexec_b64 s[62:63], s[36:37]
	s_cbranch_execnz .LBB2050_487
.LBB2050_472:                           ;   in Loop: Header=BB2050_400 Depth=2
	s_or_b64 exec, exec, s[62:63]
	s_and_saveexec_b64 s[62:63], s[38:39]
	s_cbranch_execz .LBB2050_488
.LBB2050_473:                           ;   in Loop: Header=BB2050_400 Depth=2
	ds_read_u16 v20, v50 offset:1024
	s_waitcnt lgkmcnt(0)
	v_cmp_ne_u16_e64 s[52:53], s68, v20
	v_cndmask_b32_e64 v20, v66, v20, s[52:53]
	v_lshrrev_b32_sdwa v20, s69, v20 dst_sel:DWORD dst_unused:UNUSED_PAD src0_sel:DWORD src1_sel:WORD_0
	v_and_b32_e32 v76, s78, v20
	s_or_b64 exec, exec, s[62:63]
	s_and_saveexec_b64 s[62:63], s[40:41]
	s_cbranch_execnz .LBB2050_489
.LBB2050_474:                           ;   in Loop: Header=BB2050_400 Depth=2
	s_or_b64 exec, exec, s[62:63]
	s_and_saveexec_b64 s[62:63], s[42:43]
	s_cbranch_execz .LBB2050_490
.LBB2050_475:                           ;   in Loop: Header=BB2050_400 Depth=2
	ds_read_u16 v20, v50 offset:2048
	s_waitcnt lgkmcnt(0)
	v_cmp_ne_u16_e64 s[52:53], s68, v20
	v_cndmask_b32_e64 v20, v66, v20, s[52:53]
	v_lshrrev_b32_sdwa v20, s69, v20 dst_sel:DWORD dst_unused:UNUSED_PAD src0_sel:DWORD src1_sel:WORD_0
	v_and_b32_e32 v73, s78, v20
	s_or_b64 exec, exec, s[62:63]
	s_and_saveexec_b64 s[62:63], s[44:45]
	s_cbranch_execnz .LBB2050_491
.LBB2050_476:                           ;   in Loop: Header=BB2050_400 Depth=2
	s_or_b64 exec, exec, s[62:63]
	s_and_saveexec_b64 s[62:63], s[46:47]
	s_cbranch_execz .LBB2050_492
.LBB2050_477:                           ;   in Loop: Header=BB2050_400 Depth=2
	ds_read_u16 v20, v50 offset:3072
	s_waitcnt lgkmcnt(0)
	v_cmp_ne_u16_e64 s[52:53], s68, v20
	v_cndmask_b32_e64 v20, v66, v20, s[52:53]
	v_lshrrev_b32_sdwa v20, s69, v20 dst_sel:DWORD dst_unused:UNUSED_PAD src0_sel:DWORD src1_sel:WORD_0
	v_and_b32_e32 v71, s78, v20
	s_or_b64 exec, exec, s[62:63]
	s_and_saveexec_b64 s[62:63], s[48:49]
	s_cbranch_execnz .LBB2050_493
	s_branch .LBB2050_494
.LBB2050_478:                           ;   in Loop: Header=BB2050_400 Depth=2
	s_or_b64 exec, exec, s[52:53]
	v_cmp_lt_u32_e64 s[52:53], v81, v93
	s_and_saveexec_b64 s[62:63], s[52:53]
	s_cbranch_execz .LBB2050_464
.LBB2050_479:                           ;   in Loop: Header=BB2050_400 Depth=2
	global_load_dwordx2 v[16:17], v[20:21], off offset:512
	s_or_b64 exec, exec, s[62:63]
	v_cmp_lt_u32_e64 s[52:53], v82, v93
	s_and_saveexec_b64 s[62:63], s[52:53]
	s_cbranch_execnz .LBB2050_465
.LBB2050_480:                           ;   in Loop: Header=BB2050_400 Depth=2
	s_or_b64 exec, exec, s[62:63]
	v_cmp_lt_u32_e64 s[52:53], v83, v93
	s_and_saveexec_b64 s[62:63], s[52:53]
	s_cbranch_execz .LBB2050_466
.LBB2050_481:                           ;   in Loop: Header=BB2050_400 Depth=2
	global_load_dwordx2 v[12:13], v[20:21], off offset:1536
	s_or_b64 exec, exec, s[62:63]
	v_cmp_lt_u32_e64 s[52:53], v84, v93
	s_and_saveexec_b64 s[62:63], s[52:53]
	s_cbranch_execnz .LBB2050_467
.LBB2050_482:                           ;   in Loop: Header=BB2050_400 Depth=2
	s_or_b64 exec, exec, s[62:63]
	v_cmp_lt_u32_e64 s[52:53], v85, v93
	s_and_saveexec_b64 s[62:63], s[52:53]
	s_cbranch_execz .LBB2050_468
.LBB2050_483:                           ;   in Loop: Header=BB2050_400 Depth=2
	global_load_dwordx2 v[8:9], v[20:21], off offset:2560
	s_or_b64 exec, exec, s[62:63]
	v_cmp_lt_u32_e64 s[52:53], v86, v93
	s_and_saveexec_b64 s[62:63], s[52:53]
	s_cbranch_execnz .LBB2050_469
.LBB2050_484:                           ;   in Loop: Header=BB2050_400 Depth=2
	s_or_b64 exec, exec, s[62:63]
	v_cmp_lt_u32_e64 s[52:53], v87, v93
	s_and_saveexec_b64 s[62:63], s[52:53]
	s_cbranch_execz .LBB2050_470
.LBB2050_485:                           ;   in Loop: Header=BB2050_400 Depth=2
	global_load_dwordx2 v[0:1], v[20:21], off offset:3584
	s_or_b64 exec, exec, s[62:63]
	s_and_saveexec_b64 s[62:63], vcc
	s_cbranch_execnz .LBB2050_471
.LBB2050_486:                           ;   in Loop: Header=BB2050_400 Depth=2
	s_or_b64 exec, exec, s[62:63]
	s_and_saveexec_b64 s[62:63], s[36:37]
	s_cbranch_execz .LBB2050_472
.LBB2050_487:                           ;   in Loop: Header=BB2050_400 Depth=2
	ds_read_u16 v20, v50 offset:512
	s_waitcnt lgkmcnt(0)
	v_cmp_ne_u16_e64 s[52:53], s68, v20
	v_cndmask_b32_e64 v20, v66, v20, s[52:53]
	v_lshrrev_b32_sdwa v20, s69, v20 dst_sel:DWORD dst_unused:UNUSED_PAD src0_sel:DWORD src1_sel:WORD_0
	v_and_b32_e32 v78, s78, v20
	s_or_b64 exec, exec, s[62:63]
	s_and_saveexec_b64 s[62:63], s[38:39]
	s_cbranch_execnz .LBB2050_473
.LBB2050_488:                           ;   in Loop: Header=BB2050_400 Depth=2
	s_or_b64 exec, exec, s[62:63]
	s_and_saveexec_b64 s[62:63], s[40:41]
	s_cbranch_execz .LBB2050_474
.LBB2050_489:                           ;   in Loop: Header=BB2050_400 Depth=2
	ds_read_u16 v20, v50 offset:1536
	s_waitcnt lgkmcnt(0)
	v_cmp_ne_u16_e64 s[52:53], s68, v20
	v_cndmask_b32_e64 v20, v66, v20, s[52:53]
	v_lshrrev_b32_sdwa v20, s69, v20 dst_sel:DWORD dst_unused:UNUSED_PAD src0_sel:DWORD src1_sel:WORD_0
	v_and_b32_e32 v75, s78, v20
	s_or_b64 exec, exec, s[62:63]
	s_and_saveexec_b64 s[62:63], s[42:43]
	s_cbranch_execnz .LBB2050_475
.LBB2050_490:                           ;   in Loop: Header=BB2050_400 Depth=2
	s_or_b64 exec, exec, s[62:63]
	s_and_saveexec_b64 s[62:63], s[44:45]
	s_cbranch_execz .LBB2050_476
.LBB2050_491:                           ;   in Loop: Header=BB2050_400 Depth=2
	ds_read_u16 v20, v50 offset:2560
	s_waitcnt lgkmcnt(0)
	v_cmp_ne_u16_e64 s[52:53], s68, v20
	v_cndmask_b32_e64 v20, v66, v20, s[52:53]
	v_lshrrev_b32_sdwa v20, s69, v20 dst_sel:DWORD dst_unused:UNUSED_PAD src0_sel:DWORD src1_sel:WORD_0
	v_and_b32_e32 v72, s78, v20
	s_or_b64 exec, exec, s[62:63]
	s_and_saveexec_b64 s[62:63], s[46:47]
	s_cbranch_execnz .LBB2050_477
.LBB2050_492:                           ;   in Loop: Header=BB2050_400 Depth=2
	s_or_b64 exec, exec, s[62:63]
	s_and_saveexec_b64 s[62:63], s[48:49]
	s_cbranch_execz .LBB2050_494
.LBB2050_493:                           ;   in Loop: Header=BB2050_400 Depth=2
	ds_read_u16 v20, v50 offset:3584
	s_waitcnt lgkmcnt(0)
	v_cmp_ne_u16_e64 s[52:53], s68, v20
	v_cndmask_b32_e64 v20, v66, v20, s[52:53]
	v_lshrrev_b32_sdwa v20, s69, v20 dst_sel:DWORD dst_unused:UNUSED_PAD src0_sel:DWORD src1_sel:WORD_0
	v_and_b32_e32 v70, s78, v20
.LBB2050_494:                           ;   in Loop: Header=BB2050_400 Depth=2
	s_or_b64 exec, exec, s[62:63]
	v_lshlrev_b32_e32 v20, 3, v103
	s_barrier
	s_waitcnt vmcnt(0)
	ds_write_b64 v20, v[18:19] offset:1024
	v_lshlrev_b32_e32 v20, 3, v100
	ds_write_b64 v20, v[16:17] offset:1024
	v_lshlrev_b32_e32 v20, 3, v99
	;; [unrolled: 2-line block ×7, first 2 shown]
	ds_write_b64 v20, v[0:1] offset:1024
	s_waitcnt lgkmcnt(0)
	s_barrier
	s_and_saveexec_b64 s[52:53], vcc
	s_cbranch_execz .LBB2050_502
; %bb.495:                              ;   in Loop: Header=BB2050_400 Depth=2
	v_lshlrev_b32_e32 v20, 2, v80
	ds_read_b32 v20, v20
	v_add_u32_e32 v22, v49, v51
	ds_read_b64 v[22:23], v22 offset:1024
	v_mov_b32_e32 v21, v4
	v_mov_b32_e32 v93, s65
	s_waitcnt lgkmcnt(1)
	v_add_u32_e32 v20, v20, v2
	v_lshlrev_b64 v[20:21], 3, v[20:21]
	v_add_co_u32_e32 v20, vcc, s64, v20
	v_addc_co_u32_e32 v21, vcc, v93, v21, vcc
	s_waitcnt lgkmcnt(0)
	global_store_dwordx2 v[20:21], v[22:23], off
	s_or_b64 exec, exec, s[52:53]
	s_and_saveexec_b64 s[52:53], s[36:37]
	s_cbranch_execnz .LBB2050_503
.LBB2050_496:                           ;   in Loop: Header=BB2050_400 Depth=2
	s_or_b64 exec, exec, s[52:53]
	s_and_saveexec_b64 s[36:37], s[38:39]
	s_cbranch_execz .LBB2050_504
.LBB2050_497:                           ;   in Loop: Header=BB2050_400 Depth=2
	v_lshlrev_b32_e32 v20, 2, v76
	ds_read_b32 v22, v20
	v_add_u32_e32 v20, v50, v51
	ds_read_b64 v[20:21], v20 offset:4096
	v_mov_b32_e32 v23, v4
	v_mov_b32_e32 v93, s65
	s_waitcnt lgkmcnt(1)
	v_add_u32_e32 v22, v22, v25
	v_lshlrev_b64 v[22:23], 3, v[22:23]
	v_add_co_u32_e32 v22, vcc, s64, v22
	v_addc_co_u32_e32 v23, vcc, v93, v23, vcc
	s_waitcnt lgkmcnt(0)
	global_store_dwordx2 v[22:23], v[20:21], off
	s_or_b64 exec, exec, s[36:37]
	s_and_saveexec_b64 s[36:37], s[40:41]
	s_cbranch_execnz .LBB2050_505
.LBB2050_498:                           ;   in Loop: Header=BB2050_400 Depth=2
	s_or_b64 exec, exec, s[36:37]
	s_and_saveexec_b64 s[36:37], s[42:43]
	s_cbranch_execz .LBB2050_506
.LBB2050_499:                           ;   in Loop: Header=BB2050_400 Depth=2
	v_lshlrev_b32_e32 v20, 2, v73
	ds_read_b32 v22, v20
	v_add_u32_e32 v20, v50, v51
	ds_read_b64 v[20:21], v20 offset:8192
	v_mov_b32_e32 v23, v4
	v_mov_b32_e32 v93, s65
	s_waitcnt lgkmcnt(1)
	v_add_u32_e32 v22, v22, v29
	v_lshlrev_b64 v[22:23], 3, v[22:23]
	v_add_co_u32_e32 v22, vcc, s64, v22
	v_addc_co_u32_e32 v23, vcc, v93, v23, vcc
	s_waitcnt lgkmcnt(0)
	global_store_dwordx2 v[22:23], v[20:21], off
	s_or_b64 exec, exec, s[36:37]
	s_and_saveexec_b64 s[36:37], s[44:45]
	s_cbranch_execnz .LBB2050_507
.LBB2050_500:                           ;   in Loop: Header=BB2050_400 Depth=2
	s_or_b64 exec, exec, s[36:37]
	s_and_saveexec_b64 s[36:37], s[46:47]
	s_cbranch_execz .LBB2050_508
.LBB2050_501:                           ;   in Loop: Header=BB2050_400 Depth=2
	v_lshlrev_b32_e32 v20, 2, v71
	ds_read_b32 v22, v20
	v_add_u32_e32 v20, v50, v51
	ds_read_b64 v[20:21], v20 offset:12288
	v_mov_b32_e32 v23, v4
	v_mov_b32_e32 v93, s65
	s_waitcnt lgkmcnt(1)
	v_add_u32_e32 v22, v22, v31
	v_lshlrev_b64 v[22:23], 3, v[22:23]
	v_add_co_u32_e32 v22, vcc, s64, v22
	v_addc_co_u32_e32 v23, vcc, v93, v23, vcc
	s_waitcnt lgkmcnt(0)
	global_store_dwordx2 v[22:23], v[20:21], off
	s_or_b64 exec, exec, s[36:37]
	s_and_saveexec_b64 s[36:37], s[48:49]
	s_cbranch_execnz .LBB2050_509
	s_branch .LBB2050_510
.LBB2050_502:                           ;   in Loop: Header=BB2050_400 Depth=2
	s_or_b64 exec, exec, s[52:53]
	s_and_saveexec_b64 s[52:53], s[36:37]
	s_cbranch_execz .LBB2050_496
.LBB2050_503:                           ;   in Loop: Header=BB2050_400 Depth=2
	v_lshlrev_b32_e32 v20, 2, v78
	ds_read_b32 v22, v20
	v_add_u32_e32 v20, v50, v51
	ds_read_b64 v[20:21], v20 offset:2048
	v_mov_b32_e32 v23, v4
	v_mov_b32_e32 v93, s65
	s_waitcnt lgkmcnt(1)
	v_add_u32_e32 v22, v22, v24
	v_lshlrev_b64 v[22:23], 3, v[22:23]
	v_add_co_u32_e32 v22, vcc, s64, v22
	v_addc_co_u32_e32 v23, vcc, v93, v23, vcc
	s_waitcnt lgkmcnt(0)
	global_store_dwordx2 v[22:23], v[20:21], off
	s_or_b64 exec, exec, s[52:53]
	s_and_saveexec_b64 s[36:37], s[38:39]
	s_cbranch_execnz .LBB2050_497
.LBB2050_504:                           ;   in Loop: Header=BB2050_400 Depth=2
	s_or_b64 exec, exec, s[36:37]
	s_and_saveexec_b64 s[36:37], s[40:41]
	s_cbranch_execz .LBB2050_498
.LBB2050_505:                           ;   in Loop: Header=BB2050_400 Depth=2
	v_lshlrev_b32_e32 v20, 2, v75
	ds_read_b32 v22, v20
	v_add_u32_e32 v20, v50, v51
	ds_read_b64 v[20:21], v20 offset:6144
	v_mov_b32_e32 v23, v4
	v_mov_b32_e32 v93, s65
	s_waitcnt lgkmcnt(1)
	v_add_u32_e32 v22, v22, v26
	v_lshlrev_b64 v[22:23], 3, v[22:23]
	v_add_co_u32_e32 v22, vcc, s64, v22
	v_addc_co_u32_e32 v23, vcc, v93, v23, vcc
	s_waitcnt lgkmcnt(0)
	global_store_dwordx2 v[22:23], v[20:21], off
	s_or_b64 exec, exec, s[36:37]
	s_and_saveexec_b64 s[36:37], s[42:43]
	s_cbranch_execnz .LBB2050_499
.LBB2050_506:                           ;   in Loop: Header=BB2050_400 Depth=2
	s_or_b64 exec, exec, s[36:37]
	s_and_saveexec_b64 s[36:37], s[44:45]
	s_cbranch_execz .LBB2050_500
.LBB2050_507:                           ;   in Loop: Header=BB2050_400 Depth=2
	v_lshlrev_b32_e32 v20, 2, v72
	ds_read_b32 v22, v20
	v_add_u32_e32 v20, v50, v51
	ds_read_b64 v[20:21], v20 offset:10240
	v_mov_b32_e32 v23, v4
	v_mov_b32_e32 v93, s65
	s_waitcnt lgkmcnt(1)
	v_add_u32_e32 v22, v22, v30
	v_lshlrev_b64 v[22:23], 3, v[22:23]
	v_add_co_u32_e32 v22, vcc, s64, v22
	v_addc_co_u32_e32 v23, vcc, v93, v23, vcc
	s_waitcnt lgkmcnt(0)
	global_store_dwordx2 v[22:23], v[20:21], off
	s_or_b64 exec, exec, s[36:37]
	s_and_saveexec_b64 s[36:37], s[46:47]
	s_cbranch_execnz .LBB2050_501
.LBB2050_508:                           ;   in Loop: Header=BB2050_400 Depth=2
	s_or_b64 exec, exec, s[36:37]
	s_and_saveexec_b64 s[36:37], s[48:49]
	s_cbranch_execz .LBB2050_510
.LBB2050_509:                           ;   in Loop: Header=BB2050_400 Depth=2
	v_lshlrev_b32_e32 v20, 2, v70
	ds_read_b32 v22, v20
	v_add_u32_e32 v20, v50, v51
	ds_read_b64 v[20:21], v20 offset:14336
	v_mov_b32_e32 v23, v4
	v_mov_b32_e32 v93, s65
	s_waitcnt lgkmcnt(1)
	v_add_u32_e32 v22, v22, v32
	v_lshlrev_b64 v[22:23], 3, v[22:23]
	v_add_co_u32_e32 v22, vcc, s64, v22
	v_addc_co_u32_e32 v23, vcc, v93, v23, vcc
	s_waitcnt lgkmcnt(0)
	global_store_dwordx2 v[22:23], v[20:21], off
.LBB2050_510:                           ;   in Loop: Header=BB2050_400 Depth=2
	s_or_b64 exec, exec, s[36:37]
	s_barrier
	s_and_saveexec_b64 s[36:37], s[4:5]
	s_cbranch_execz .LBB2050_399
; %bb.511:                              ;   in Loop: Header=BB2050_400 Depth=2
	ds_read_b32 v20, v3
	s_waitcnt lgkmcnt(0)
	v_add_u32_e32 v5, v20, v5
	ds_write_b32 v3, v5
	s_branch .LBB2050_399
.LBB2050_512:                           ;   in Loop: Header=BB2050_12 Depth=1
	s_waitcnt lgkmcnt(0)
	s_barrier
	s_mov_b64 s[16:17], 0
.LBB2050_513:                           ;   in Loop: Header=BB2050_12 Depth=1
	s_and_b64 vcc, exec, s[16:17]
	s_cbranch_vccz .LBB2050_11
; %bb.514:                              ;   in Loop: Header=BB2050_12 Depth=1
	s_mov_b32 s22, s71
	s_mov_b32 s72, s51
	s_barrier
	s_waitcnt lgkmcnt(0)
                                        ; implicit-def: $vgpr12
                                        ; implicit-def: $vgpr5
                                        ; implicit-def: $vgpr6
                                        ; implicit-def: $vgpr7
                                        ; implicit-def: $vgpr8
                                        ; implicit-def: $vgpr9
                                        ; implicit-def: $vgpr10
                                        ; implicit-def: $vgpr11
	s_branch .LBB2050_516
.LBB2050_515:                           ;   in Loop: Header=BB2050_516 Depth=2
	s_or_b64 exec, exec, s[16:17]
	s_addk_i32 s22, 0xf800
	s_cmp_ge_u32 s23, s76
	s_mov_b32 s72, s23
	s_cbranch_scc1 .LBB2050_554
.LBB2050_516:                           ;   Parent Loop BB2050_12 Depth=1
                                        ; =>  This Inner Loop Header: Depth=2
	s_add_i32 s23, s72, 0x800
	s_cmp_gt_u32 s23, s76
	s_cbranch_scc1 .LBB2050_519
; %bb.517:                              ;   in Loop: Header=BB2050_516 Depth=2
	s_lshl_b64 s[16:17], s[72:73], 1
	v_mov_b32_e32 v1, s17
	v_add_co_u32_e32 v0, vcc, s16, v58
	v_addc_co_u32_e32 v1, vcc, v59, v1, vcc
	global_load_ushort v14, v[0:1], off
	global_load_ushort v15, v[0:1], off offset:512
	global_load_ushort v16, v[0:1], off offset:1024
	global_load_ushort v17, v[0:1], off offset:1536
	global_load_ushort v18, v[0:1], off offset:2048
	global_load_ushort v19, v[0:1], off offset:2560
	global_load_ushort v20, v[0:1], off offset:3072
	v_add_co_u32_e32 v0, vcc, 0xe00, v0
	v_addc_co_u32_e32 v1, vcc, 0, v1, vcc
	s_mov_b64 s[16:17], -1
	s_movk_i32 s24, 0x800
	s_cbranch_execz .LBB2050_520
; %bb.518:                              ;   in Loop: Header=BB2050_516 Depth=2
                                        ; implicit-def: $vgpr11
                                        ; implicit-def: $vgpr10
                                        ; implicit-def: $vgpr9
                                        ; implicit-def: $vgpr8
                                        ; implicit-def: $vgpr7
                                        ; implicit-def: $vgpr6
                                        ; implicit-def: $vgpr5
                                        ; implicit-def: $vgpr12
	v_mov_b32_e32 v13, s22
	s_and_saveexec_b64 s[18:19], s[16:17]
	s_cbranch_execnz .LBB2050_531
	s_branch .LBB2050_532
.LBB2050_519:                           ;   in Loop: Header=BB2050_516 Depth=2
	s_mov_b64 s[16:17], 0
                                        ; implicit-def: $sgpr24
                                        ; implicit-def: $vgpr14
                                        ; implicit-def: $vgpr15
                                        ; implicit-def: $vgpr16
                                        ; implicit-def: $vgpr17
                                        ; implicit-def: $vgpr18
                                        ; implicit-def: $vgpr19
                                        ; implicit-def: $vgpr20
                                        ; implicit-def: $vgpr0_vgpr1
.LBB2050_520:                           ;   in Loop: Header=BB2050_516 Depth=2
	s_lshl_b64 s[18:19], s[72:73], 1
	s_add_u32 s18, s56, s18
	s_addc_u32 s19, s57, s19
	v_cmp_gt_u32_e32 vcc, s22, v2
	s_and_saveexec_b64 s[20:21], vcc
	s_cbranch_execz .LBB2050_548
; %bb.521:                              ;   in Loop: Header=BB2050_516 Depth=2
	global_load_ushort v11, v65, s[18:19]
	s_or_b64 exec, exec, s[20:21]
	v_cmp_gt_u32_e32 vcc, s22, v24
	s_and_saveexec_b64 s[20:21], vcc
	s_cbranch_execnz .LBB2050_549
.LBB2050_522:                           ;   in Loop: Header=BB2050_516 Depth=2
	s_or_b64 exec, exec, s[20:21]
	v_cmp_gt_u32_e32 vcc, s22, v25
	s_and_saveexec_b64 s[20:21], vcc
	s_cbranch_execz .LBB2050_550
.LBB2050_523:                           ;   in Loop: Header=BB2050_516 Depth=2
	global_load_ushort v9, v65, s[18:19] offset:1024
	s_or_b64 exec, exec, s[20:21]
	v_cmp_gt_u32_e32 vcc, s22, v26
	s_and_saveexec_b64 s[20:21], vcc
	s_cbranch_execnz .LBB2050_551
.LBB2050_524:                           ;   in Loop: Header=BB2050_516 Depth=2
	s_or_b64 exec, exec, s[20:21]
	v_cmp_gt_u32_e32 vcc, s22, v29
	s_and_saveexec_b64 s[20:21], vcc
	s_cbranch_execz .LBB2050_552
.LBB2050_525:                           ;   in Loop: Header=BB2050_516 Depth=2
	global_load_ushort v7, v65, s[18:19] offset:2048
	s_or_b64 exec, exec, s[20:21]
	v_cmp_gt_u32_e32 vcc, s22, v30
	s_and_saveexec_b64 s[20:21], vcc
	s_cbranch_execnz .LBB2050_553
.LBB2050_526:                           ;   in Loop: Header=BB2050_516 Depth=2
	s_or_b64 exec, exec, s[20:21]
	v_cmp_gt_u32_e32 vcc, s22, v31
	s_and_saveexec_b64 s[20:21], vcc
	s_cbranch_execz .LBB2050_528
.LBB2050_527:                           ;   in Loop: Header=BB2050_516 Depth=2
	global_load_ushort v5, v65, s[18:19] offset:3072
.LBB2050_528:                           ;   in Loop: Header=BB2050_516 Depth=2
	s_or_b64 exec, exec, s[20:21]
	v_cmp_gt_u32_e32 vcc, s22, v32
                                        ; implicit-def: $sgpr24
                                        ; implicit-def: $vgpr0_vgpr1
	s_and_saveexec_b64 s[20:21], vcc
	s_cbranch_execz .LBB2050_530
; %bb.529:                              ;   in Loop: Header=BB2050_516 Depth=2
	v_mov_b32_e32 v0, s19
	v_add_co_u32_e32 v1, vcc, s18, v65
	s_waitcnt vmcnt(0)
	v_addc_co_u32_e32 v12, vcc, 0, v0, vcc
	v_add_co_u32_e32 v0, vcc, 0xe00, v1
	s_sub_i32 s24, s76, s72
	v_addc_co_u32_e32 v1, vcc, 0, v12, vcc
	s_or_b64 s[16:17], s[16:17], exec
                                        ; implicit-def: $vgpr12
.LBB2050_530:                           ;   in Loop: Header=BB2050_516 Depth=2
	s_or_b64 exec, exec, s[20:21]
	s_waitcnt vmcnt(0)
	v_mov_b32_e32 v14, v11
	v_mov_b32_e32 v15, v10
	;; [unrolled: 1-line block ×8, first 2 shown]
	s_and_saveexec_b64 s[18:19], s[16:17]
	s_cbranch_execz .LBB2050_532
.LBB2050_531:                           ;   in Loop: Header=BB2050_516 Depth=2
	global_load_ushort v12, v[0:1], off
	v_mov_b32_e32 v13, s24
	s_waitcnt vmcnt(1)
	v_mov_b32_e32 v5, v20
	v_mov_b32_e32 v6, v19
	;; [unrolled: 1-line block ×7, first 2 shown]
.LBB2050_532:                           ;   in Loop: Header=BB2050_516 Depth=2
	s_or_b64 exec, exec, s[18:19]
	v_cmp_lt_u32_e32 vcc, v2, v13
	s_and_saveexec_b64 s[16:17], vcc
	s_cbranch_execz .LBB2050_540
; %bb.533:                              ;   in Loop: Header=BB2050_516 Depth=2
	v_cmp_lt_i16_e32 vcc, -1, v11
	v_cndmask_b32_e32 v0, -1, v66, vcc
	v_xor_b32_e32 v0, v0, v11
	v_cmp_ne_u16_e32 vcc, s68, v0
	v_cndmask_b32_e32 v0, v66, v0, vcc
	v_lshrrev_b32_sdwa v0, s69, v0 dst_sel:DWORD dst_unused:UNUSED_PAD src0_sel:DWORD src1_sel:WORD_0
	v_and_b32_e32 v0, s78, v0
	v_lshl_or_b32 v0, v0, 4, v67
	ds_add_u32 v0, v64
	s_or_b64 exec, exec, s[16:17]
	v_cmp_lt_u32_e32 vcc, v24, v13
	s_and_saveexec_b64 s[16:17], vcc
	s_cbranch_execnz .LBB2050_541
.LBB2050_534:                           ;   in Loop: Header=BB2050_516 Depth=2
	s_or_b64 exec, exec, s[16:17]
	v_cmp_lt_u32_e32 vcc, v25, v13
	s_and_saveexec_b64 s[16:17], vcc
	s_cbranch_execz .LBB2050_542
.LBB2050_535:                           ;   in Loop: Header=BB2050_516 Depth=2
	v_cmp_lt_i16_e32 vcc, -1, v9
	v_cndmask_b32_e32 v0, -1, v66, vcc
	v_xor_b32_e32 v0, v0, v9
	v_cmp_ne_u16_e32 vcc, s68, v0
	v_cndmask_b32_e32 v0, v66, v0, vcc
	v_lshrrev_b32_sdwa v0, s69, v0 dst_sel:DWORD dst_unused:UNUSED_PAD src0_sel:DWORD src1_sel:WORD_0
	v_and_b32_e32 v0, s78, v0
	v_lshl_or_b32 v0, v0, 4, v67
	ds_add_u32 v0, v64
	s_or_b64 exec, exec, s[16:17]
	v_cmp_lt_u32_e32 vcc, v26, v13
	s_and_saveexec_b64 s[16:17], vcc
	s_cbranch_execnz .LBB2050_543
.LBB2050_536:                           ;   in Loop: Header=BB2050_516 Depth=2
	s_or_b64 exec, exec, s[16:17]
	v_cmp_lt_u32_e32 vcc, v29, v13
	s_and_saveexec_b64 s[16:17], vcc
	s_cbranch_execz .LBB2050_544
.LBB2050_537:                           ;   in Loop: Header=BB2050_516 Depth=2
	v_cmp_lt_i16_e32 vcc, -1, v7
	v_cndmask_b32_e32 v0, -1, v66, vcc
	v_xor_b32_e32 v0, v0, v7
	v_cmp_ne_u16_e32 vcc, s68, v0
	v_cndmask_b32_e32 v0, v66, v0, vcc
	v_lshrrev_b32_sdwa v0, s69, v0 dst_sel:DWORD dst_unused:UNUSED_PAD src0_sel:DWORD src1_sel:WORD_0
	v_and_b32_e32 v0, s78, v0
	v_lshl_or_b32 v0, v0, 4, v67
	ds_add_u32 v0, v64
	s_or_b64 exec, exec, s[16:17]
	v_cmp_lt_u32_e32 vcc, v30, v13
	s_and_saveexec_b64 s[16:17], vcc
	s_cbranch_execnz .LBB2050_545
.LBB2050_538:                           ;   in Loop: Header=BB2050_516 Depth=2
	s_or_b64 exec, exec, s[16:17]
	v_cmp_lt_u32_e32 vcc, v31, v13
	s_and_saveexec_b64 s[16:17], vcc
	s_cbranch_execz .LBB2050_546
.LBB2050_539:                           ;   in Loop: Header=BB2050_516 Depth=2
	v_cmp_lt_i16_e32 vcc, -1, v5
	v_cndmask_b32_e32 v0, -1, v66, vcc
	v_xor_b32_e32 v0, v0, v5
	v_cmp_ne_u16_e32 vcc, s68, v0
	v_cndmask_b32_e32 v0, v66, v0, vcc
	v_lshrrev_b32_sdwa v0, s69, v0 dst_sel:DWORD dst_unused:UNUSED_PAD src0_sel:DWORD src1_sel:WORD_0
	v_and_b32_e32 v0, s78, v0
	v_lshl_or_b32 v0, v0, 4, v67
	ds_add_u32 v0, v64
	s_or_b64 exec, exec, s[16:17]
	v_cmp_lt_u32_e32 vcc, v32, v13
	s_and_saveexec_b64 s[16:17], vcc
	s_cbranch_execz .LBB2050_515
	s_branch .LBB2050_547
.LBB2050_540:                           ;   in Loop: Header=BB2050_516 Depth=2
	s_or_b64 exec, exec, s[16:17]
	v_cmp_lt_u32_e32 vcc, v24, v13
	s_and_saveexec_b64 s[16:17], vcc
	s_cbranch_execz .LBB2050_534
.LBB2050_541:                           ;   in Loop: Header=BB2050_516 Depth=2
	v_cmp_lt_i16_e32 vcc, -1, v10
	v_cndmask_b32_e32 v0, -1, v66, vcc
	v_xor_b32_e32 v0, v0, v10
	v_cmp_ne_u16_e32 vcc, s68, v0
	v_cndmask_b32_e32 v0, v66, v0, vcc
	v_lshrrev_b32_sdwa v0, s69, v0 dst_sel:DWORD dst_unused:UNUSED_PAD src0_sel:DWORD src1_sel:WORD_0
	v_and_b32_e32 v0, s78, v0
	v_lshl_or_b32 v0, v0, 4, v67
	ds_add_u32 v0, v64
	s_or_b64 exec, exec, s[16:17]
	v_cmp_lt_u32_e32 vcc, v25, v13
	s_and_saveexec_b64 s[16:17], vcc
	s_cbranch_execnz .LBB2050_535
.LBB2050_542:                           ;   in Loop: Header=BB2050_516 Depth=2
	s_or_b64 exec, exec, s[16:17]
	v_cmp_lt_u32_e32 vcc, v26, v13
	s_and_saveexec_b64 s[16:17], vcc
	s_cbranch_execz .LBB2050_536
.LBB2050_543:                           ;   in Loop: Header=BB2050_516 Depth=2
	v_cmp_lt_i16_e32 vcc, -1, v8
	v_cndmask_b32_e32 v0, -1, v66, vcc
	v_xor_b32_e32 v0, v0, v8
	v_cmp_ne_u16_e32 vcc, s68, v0
	v_cndmask_b32_e32 v0, v66, v0, vcc
	v_lshrrev_b32_sdwa v0, s69, v0 dst_sel:DWORD dst_unused:UNUSED_PAD src0_sel:DWORD src1_sel:WORD_0
	v_and_b32_e32 v0, s78, v0
	v_lshl_or_b32 v0, v0, 4, v67
	ds_add_u32 v0, v64
	s_or_b64 exec, exec, s[16:17]
	v_cmp_lt_u32_e32 vcc, v29, v13
	s_and_saveexec_b64 s[16:17], vcc
	s_cbranch_execnz .LBB2050_537
.LBB2050_544:                           ;   in Loop: Header=BB2050_516 Depth=2
	s_or_b64 exec, exec, s[16:17]
	v_cmp_lt_u32_e32 vcc, v30, v13
	s_and_saveexec_b64 s[16:17], vcc
	s_cbranch_execz .LBB2050_538
.LBB2050_545:                           ;   in Loop: Header=BB2050_516 Depth=2
	v_cmp_lt_i16_e32 vcc, -1, v6
	v_cndmask_b32_e32 v0, -1, v66, vcc
	v_xor_b32_e32 v0, v0, v6
	v_cmp_ne_u16_e32 vcc, s68, v0
	v_cndmask_b32_e32 v0, v66, v0, vcc
	v_lshrrev_b32_sdwa v0, s69, v0 dst_sel:DWORD dst_unused:UNUSED_PAD src0_sel:DWORD src1_sel:WORD_0
	v_and_b32_e32 v0, s78, v0
	v_lshl_or_b32 v0, v0, 4, v67
	ds_add_u32 v0, v64
	s_or_b64 exec, exec, s[16:17]
	v_cmp_lt_u32_e32 vcc, v31, v13
	s_and_saveexec_b64 s[16:17], vcc
	s_cbranch_execnz .LBB2050_539
.LBB2050_546:                           ;   in Loop: Header=BB2050_516 Depth=2
	s_or_b64 exec, exec, s[16:17]
	v_cmp_lt_u32_e32 vcc, v32, v13
	s_and_saveexec_b64 s[16:17], vcc
	s_cbranch_execz .LBB2050_515
.LBB2050_547:                           ;   in Loop: Header=BB2050_516 Depth=2
	s_waitcnt vmcnt(0)
	v_cmp_lt_i16_e32 vcc, -1, v12
	v_cndmask_b32_e32 v0, -1, v66, vcc
	v_xor_b32_e32 v0, v0, v12
	v_cmp_ne_u16_e32 vcc, s68, v0
	v_cndmask_b32_e32 v0, v66, v0, vcc
	v_lshrrev_b32_sdwa v0, s69, v0 dst_sel:DWORD dst_unused:UNUSED_PAD src0_sel:DWORD src1_sel:WORD_0
	v_and_b32_e32 v0, s78, v0
	v_lshl_or_b32 v0, v0, 4, v67
	ds_add_u32 v0, v64
	s_branch .LBB2050_515
.LBB2050_548:                           ;   in Loop: Header=BB2050_516 Depth=2
	s_or_b64 exec, exec, s[20:21]
	v_cmp_gt_u32_e32 vcc, s22, v24
	s_and_saveexec_b64 s[20:21], vcc
	s_cbranch_execz .LBB2050_522
.LBB2050_549:                           ;   in Loop: Header=BB2050_516 Depth=2
	global_load_ushort v10, v65, s[18:19] offset:512
	s_or_b64 exec, exec, s[20:21]
	v_cmp_gt_u32_e32 vcc, s22, v25
	s_and_saveexec_b64 s[20:21], vcc
	s_cbranch_execnz .LBB2050_523
.LBB2050_550:                           ;   in Loop: Header=BB2050_516 Depth=2
	s_or_b64 exec, exec, s[20:21]
	v_cmp_gt_u32_e32 vcc, s22, v26
	s_and_saveexec_b64 s[20:21], vcc
	s_cbranch_execz .LBB2050_524
.LBB2050_551:                           ;   in Loop: Header=BB2050_516 Depth=2
	global_load_ushort v8, v65, s[18:19] offset:1536
	s_or_b64 exec, exec, s[20:21]
	v_cmp_gt_u32_e32 vcc, s22, v29
	s_and_saveexec_b64 s[20:21], vcc
	s_cbranch_execnz .LBB2050_525
.LBB2050_552:                           ;   in Loop: Header=BB2050_516 Depth=2
	s_or_b64 exec, exec, s[20:21]
	v_cmp_gt_u32_e32 vcc, s22, v30
	s_and_saveexec_b64 s[20:21], vcc
	s_cbranch_execz .LBB2050_526
.LBB2050_553:                           ;   in Loop: Header=BB2050_516 Depth=2
	global_load_ushort v6, v65, s[18:19] offset:2560
	s_or_b64 exec, exec, s[20:21]
	v_cmp_gt_u32_e32 vcc, s22, v31
	s_and_saveexec_b64 s[20:21], vcc
	s_cbranch_execz .LBB2050_528
	s_branch .LBB2050_527
.LBB2050_554:                           ;   in Loop: Header=BB2050_12 Depth=1
	v_mov_b32_e32 v0, 0
	s_waitcnt lgkmcnt(0)
	s_barrier
	s_and_saveexec_b64 s[16:17], s[4:5]
	s_cbranch_execz .LBB2050_556
; %bb.555:                              ;   in Loop: Header=BB2050_12 Depth=1
	ds_read2_b64 v[6:9], v33 offset1:1
	s_waitcnt lgkmcnt(0)
	v_add_u32_e32 v0, v7, v6
	v_add3_u32 v0, v0, v8, v9
.LBB2050_556:                           ;   in Loop: Header=BB2050_12 Depth=1
	s_or_b64 exec, exec, s[16:17]
	v_and_b32_e32 v1, 15, v68
	v_mov_b32_dpp v5, v0 row_shr:1 row_mask:0xf bank_mask:0xf
	v_cmp_eq_u32_e64 s[16:17], 0, v1
	v_cndmask_b32_e64 v5, v5, 0, s[16:17]
	v_add_u32_e32 v0, v5, v0
	v_cmp_lt_u32_e64 s[18:19], 1, v1
	v_cmp_lt_u32_e64 s[20:21], 3, v1
	v_mov_b32_dpp v5, v0 row_shr:2 row_mask:0xf bank_mask:0xf
	v_cndmask_b32_e64 v5, 0, v5, s[18:19]
	v_add_u32_e32 v0, v0, v5
	v_cmp_lt_u32_e64 s[22:23], 7, v1
	v_cmp_lt_u32_e64 s[26:27], 31, v68
	v_mov_b32_dpp v5, v0 row_shr:4 row_mask:0xf bank_mask:0xf
	v_cndmask_b32_e64 v5, 0, v5, s[20:21]
	v_add_u32_e32 v0, v0, v5
	v_and_b32_e32 v6, 16, v68
	v_cmp_eq_u32_e64 s[24:25], 0, v6
	v_mov_b32_dpp v5, v0 row_shr:8 row_mask:0xf bank_mask:0xf
	v_cndmask_b32_e64 v1, 0, v5, s[22:23]
	v_add_u32_e32 v0, v0, v1
	v_bfe_i32 v5, v68, 4, 1
	s_nop 0
	v_mov_b32_dpp v1, v0 row_bcast:15 row_mask:0xf bank_mask:0xf
	v_and_b32_e32 v1, v5, v1
	v_add_u32_e32 v0, v0, v1
	s_nop 1
	v_mov_b32_dpp v1, v0 row_bcast:31 row_mask:0xf bank_mask:0xf
	v_cndmask_b32_e64 v1, 0, v1, s[26:27]
	v_add_u32_e32 v1, v0, v1
	s_and_saveexec_b64 s[28:29], s[6:7]
	s_cbranch_execz .LBB2050_558
; %bb.557:                              ;   in Loop: Header=BB2050_12 Depth=1
	ds_write_b32 v35, v1
.LBB2050_558:                           ;   in Loop: Header=BB2050_12 Depth=1
	s_or_b64 exec, exec, s[28:29]
	v_and_b32_e32 v0, 3, v68
	s_waitcnt lgkmcnt(0)
	s_barrier
	s_and_saveexec_b64 s[28:29], s[8:9]
	s_cbranch_execz .LBB2050_560
; %bb.559:                              ;   in Loop: Header=BB2050_12 Depth=1
	ds_read_b32 v5, v36
	v_cmp_ne_u32_e32 vcc, 0, v0
	s_waitcnt lgkmcnt(0)
	v_mov_b32_dpp v6, v5 row_shr:1 row_mask:0xf bank_mask:0xf
	v_cndmask_b32_e32 v6, 0, v6, vcc
	v_add_u32_e32 v5, v6, v5
	v_cmp_lt_u32_e32 vcc, 1, v0
	s_nop 0
	v_mov_b32_dpp v6, v5 row_shr:2 row_mask:0xf bank_mask:0xf
	v_cndmask_b32_e32 v6, 0, v6, vcc
	v_add_u32_e32 v5, v5, v6
	ds_write_b32 v36, v5
.LBB2050_560:                           ;   in Loop: Header=BB2050_12 Depth=1
	s_or_b64 exec, exec, s[28:29]
	v_mov_b32_e32 v5, 0
	s_waitcnt lgkmcnt(0)
	s_barrier
	s_and_saveexec_b64 s[28:29], s[10:11]
	s_cbranch_execz .LBB2050_562
; %bb.561:                              ;   in Loop: Header=BB2050_12 Depth=1
	ds_read_b32 v5, v37
.LBB2050_562:                           ;   in Loop: Header=BB2050_12 Depth=1
	s_or_b64 exec, exec, s[28:29]
	v_add_u32_e32 v6, -1, v68
	v_and_b32_e32 v7, 64, v68
	v_cmp_lt_i32_e32 vcc, v6, v7
	v_cndmask_b32_e32 v6, v6, v68, vcc
	s_waitcnt lgkmcnt(0)
	v_add_u32_e32 v1, v5, v1
	v_lshlrev_b32_e32 v69, 2, v6
	ds_bpermute_b32 v1, v69, v1
	v_cmp_eq_u32_e64 s[28:29], 0, v68
	s_waitcnt lgkmcnt(0)
	s_barrier
	s_and_saveexec_b64 s[30:31], s[4:5]
	s_cbranch_execz .LBB2050_564
; %bb.563:                              ;   in Loop: Header=BB2050_12 Depth=1
	v_cndmask_b32_e64 v1, v1, v5, s[28:29]
	v_add_u32_e32 v1, s51, v1
	ds_write_b32 v3, v1
.LBB2050_564:                           ;   in Loop: Header=BB2050_12 Depth=1
	s_or_b64 exec, exec, s[30:31]
	s_load_dwordx2 s[30:31], s[74:75], 0x0
	v_and_b32_e32 v21, 63, v68
	v_lshlrev_b32_e32 v22, 3, v21
	v_add_co_u32_e32 v77, vcc, v60, v22
	s_waitcnt lgkmcnt(0)
	s_cmp_lt_u32 s50, s30
	s_cselect_b32 s34, 12, 18
	s_cmp_lt_u32 s33, s31
	s_cselect_b32 s30, 14, 20
	s_add_u32 s30, s74, s30
	s_addc_u32 s31, s75, 0
	s_add_u32 s34, s74, s34
	global_load_ushort v5, v4, s[30:31]
	s_addc_u32 s35, s75, 0
	global_load_ushort v20, v4, s[34:35]
	v_or_b32_e32 v74, v21, v38
	v_lshlrev_b32_e32 v21, 1, v21
	v_addc_co_u32_e32 v79, vcc, 0, v61, vcc
	v_add_co_u32_e32 v88, vcc, v62, v21
	v_addc_co_u32_e32 v89, vcc, 0, v63, vcc
	v_add_co_u32_e32 v90, vcc, 0x380, v88
	v_cmp_eq_u32_e64 s[30:31], 0, v0
	v_cmp_lt_u32_e64 s[34:35], 1, v0
	s_mov_b32 s79, s71
	v_or_b32_e32 v81, 64, v74
	v_or_b32_e32 v82, 0x80, v74
	;; [unrolled: 1-line block ×7, first 2 shown]
	v_addc_co_u32_e32 v91, vcc, 0, v89, vcc
	s_mov_b32 s72, s51
                                        ; implicit-def: $vgpr0_vgpr1
                                        ; implicit-def: $vgpr6_vgpr7
                                        ; implicit-def: $vgpr8_vgpr9
                                        ; implicit-def: $vgpr10_vgpr11
                                        ; implicit-def: $vgpr12_vgpr13
                                        ; implicit-def: $vgpr14_vgpr15
                                        ; implicit-def: $vgpr16_vgpr17
                                        ; implicit-def: $vgpr18_vgpr19
                                        ; implicit-def: $vgpr70
                                        ; implicit-def: $vgpr71
                                        ; implicit-def: $vgpr72
                                        ; implicit-def: $vgpr73
                                        ; implicit-def: $vgpr75
                                        ; implicit-def: $vgpr76
                                        ; implicit-def: $vgpr78
                                        ; implicit-def: $vgpr80
	s_waitcnt vmcnt(1)
	v_mad_u32_u24 v5, v39, v5, v40
	s_waitcnt vmcnt(0)
	v_mad_u64_u32 v[20:21], s[36:37], v5, v20, v[2:3]
	v_lshrrev_b32_e32 v92, 6, v20
	s_branch .LBB2050_566
.LBB2050_565:                           ;   in Loop: Header=BB2050_566 Depth=2
	s_or_b64 exec, exec, s[36:37]
	s_addk_i32 s79, 0xf800
	s_cmp_lt_u32 s80, s76
	s_mov_b32 s72, s80
	s_cbranch_scc0 .LBB2050_10
.LBB2050_566:                           ;   Parent Loop BB2050_12 Depth=1
                                        ; =>  This Inner Loop Header: Depth=2
	s_add_i32 s80, s72, 0x800
	s_cmp_gt_u32 s80, s76
	s_cbranch_scc1 .LBB2050_569
; %bb.567:                              ;   in Loop: Header=BB2050_566 Depth=2
	s_lshl_b64 s[36:37], s[72:73], 1
	v_mov_b32_e32 v5, s37
	v_add_co_u32_e32 v20, vcc, s36, v88
	v_addc_co_u32_e32 v21, vcc, v89, v5, vcc
	global_load_ushort v5, v[20:21], off
	global_load_ushort v97, v[20:21], off offset:128
	global_load_ushort v101, v[20:21], off offset:256
	;; [unrolled: 1-line block ×6, first 2 shown]
	s_mov_b64 s[36:37], -1
	s_movk_i32 s40, 0x800
	s_cbranch_execz .LBB2050_570
; %bb.568:                              ;   in Loop: Header=BB2050_566 Depth=2
                                        ; implicit-def: $sgpr38
	v_mov_b32_e32 v23, s38
	v_mov_b32_e32 v93, s79
	s_and_saveexec_b64 s[38:39], s[36:37]
	s_cbranch_execnz .LBB2050_585
	s_branch .LBB2050_586
.LBB2050_569:                           ;   in Loop: Header=BB2050_566 Depth=2
	s_mov_b64 s[36:37], 0
                                        ; implicit-def: $sgpr40
                                        ; implicit-def: $vgpr5
                                        ; implicit-def: $vgpr97
                                        ; implicit-def: $vgpr101
                                        ; implicit-def: $vgpr106
                                        ; implicit-def: $vgpr109
                                        ; implicit-def: $vgpr104
                                        ; implicit-def: $vgpr22
.LBB2050_570:                           ;   in Loop: Header=BB2050_566 Depth=2
	s_lshl_b64 s[36:37], s[72:73], 1
	s_waitcnt vmcnt(6)
	v_mov_b32_e32 v5, s37
	v_add_co_u32_e32 v20, vcc, s36, v88
	v_addc_co_u32_e32 v21, vcc, v89, v5, vcc
	v_cmp_gt_u32_e32 vcc, s79, v74
	s_waitcnt vmcnt(5)
	v_mov_b32_e32 v97, 0x7fff
	v_mov_b32_e32 v5, 0x7fff
	s_and_saveexec_b64 s[36:37], vcc
	s_cbranch_execz .LBB2050_572
; %bb.571:                              ;   in Loop: Header=BB2050_566 Depth=2
	global_load_ushort v5, v[20:21], off
.LBB2050_572:                           ;   in Loop: Header=BB2050_566 Depth=2
	s_or_b64 exec, exec, s[36:37]
	v_cmp_gt_u32_e32 vcc, s79, v81
	s_and_saveexec_b64 s[36:37], vcc
	s_cbranch_execz .LBB2050_574
; %bb.573:                              ;   in Loop: Header=BB2050_566 Depth=2
	global_load_ushort v97, v[20:21], off offset:128
.LBB2050_574:                           ;   in Loop: Header=BB2050_566 Depth=2
	s_or_b64 exec, exec, s[36:37]
	v_cmp_gt_u32_e32 vcc, s79, v82
	s_waitcnt vmcnt(3)
	v_mov_b32_e32 v106, 0x7fff
	v_mov_b32_e32 v101, 0x7fff
	s_and_saveexec_b64 s[36:37], vcc
	s_cbranch_execz .LBB2050_576
; %bb.575:                              ;   in Loop: Header=BB2050_566 Depth=2
	global_load_ushort v101, v[20:21], off offset:256
.LBB2050_576:                           ;   in Loop: Header=BB2050_566 Depth=2
	s_or_b64 exec, exec, s[36:37]
	v_cmp_gt_u32_e32 vcc, s79, v83
	s_and_saveexec_b64 s[36:37], vcc
	s_cbranch_execz .LBB2050_578
; %bb.577:                              ;   in Loop: Header=BB2050_566 Depth=2
	global_load_ushort v106, v[20:21], off offset:384
.LBB2050_578:                           ;   in Loop: Header=BB2050_566 Depth=2
	s_or_b64 exec, exec, s[36:37]
	v_cmp_gt_u32_e32 vcc, s79, v84
	s_waitcnt vmcnt(1)
	v_mov_b32_e32 v104, 0x7fff
	v_mov_b32_e32 v109, 0x7fff
	s_and_saveexec_b64 s[36:37], vcc
	s_cbranch_execz .LBB2050_580
; %bb.579:                              ;   in Loop: Header=BB2050_566 Depth=2
	global_load_ushort v109, v[20:21], off offset:512
.LBB2050_580:                           ;   in Loop: Header=BB2050_566 Depth=2
	s_or_b64 exec, exec, s[36:37]
	v_cmp_gt_u32_e32 vcc, s79, v85
	s_and_saveexec_b64 s[36:37], vcc
	s_cbranch_execz .LBB2050_582
; %bb.581:                              ;   in Loop: Header=BB2050_566 Depth=2
	global_load_ushort v104, v[20:21], off offset:640
.LBB2050_582:                           ;   in Loop: Header=BB2050_566 Depth=2
	s_or_b64 exec, exec, s[36:37]
	v_cmp_gt_u32_e32 vcc, s79, v86
	s_waitcnt vmcnt(0)
	v_mov_b32_e32 v22, 0x7fff
	s_and_saveexec_b64 s[36:37], vcc
	s_cbranch_execz .LBB2050_584
; %bb.583:                              ;   in Loop: Header=BB2050_566 Depth=2
	global_load_ushort v22, v[20:21], off offset:768
.LBB2050_584:                           ;   in Loop: Header=BB2050_566 Depth=2
	s_or_b64 exec, exec, s[36:37]
	s_sub_i32 s40, s76, s72
	v_cmp_gt_u32_e64 s[36:37], s79, v87
	s_movk_i32 s38, 0x7fff
	v_mov_b32_e32 v23, s38
	v_mov_b32_e32 v93, s79
	s_and_saveexec_b64 s[38:39], s[36:37]
	s_cbranch_execz .LBB2050_586
.LBB2050_585:                           ;   in Loop: Header=BB2050_566 Depth=2
	s_lshl_b64 s[36:37], s[72:73], 1
	v_mov_b32_e32 v21, s37
	v_add_co_u32_e32 v20, vcc, s36, v90
	v_addc_co_u32_e32 v21, vcc, v91, v21, vcc
	global_load_ushort v23, v[20:21], off
	v_mov_b32_e32 v93, s40
.LBB2050_586:                           ;   in Loop: Header=BB2050_566 Depth=2
	s_or_b64 exec, exec, s[38:39]
	s_waitcnt vmcnt(6)
	v_cmp_lt_i16_e32 vcc, -1, v5
	v_cndmask_b32_e32 v20, -1, v66, vcc
	v_xor_b32_e32 v94, v20, v5
	v_add_u32_e32 v5, 0x410, v41
	v_cmp_ne_u16_e32 vcc, s68, v94
	ds_write2_b32 v5, v4, v4 offset1:1
	ds_write2_b32 v43, v4, v4 offset0:2 offset1:3
	ds_write_b32 v43, v4 offset:16
	v_cndmask_b32_e32 v5, v66, v94, vcc
	v_lshrrev_b32_sdwa v5, s69, v5 dst_sel:DWORD dst_unused:UNUSED_PAD src0_sel:DWORD src1_sel:WORD_0
	v_and_b32_e32 v20, s78, v5
	v_mad_u32_u24 v5, v20, 5, v92
	v_lshl_add_u32 v95, v5, 2, v42
	v_and_b32_e32 v5, 1, v20
	v_add_co_u32_e32 v21, vcc, -1, v5
	v_addc_co_u32_e64 v96, s[36:37], 0, -1, vcc
	v_cmp_ne_u32_e32 vcc, 0, v5
	v_xor_b32_e32 v5, vcc_hi, v96
	v_and_b32_e32 v96, exec_hi, v5
	v_lshlrev_b32_e32 v5, 30, v20
	v_xor_b32_e32 v21, vcc_lo, v21
	v_cmp_gt_i64_e32 vcc, 0, v[4:5]
	v_not_b32_e32 v5, v5
	v_ashrrev_i32_e32 v5, 31, v5
	v_and_b32_e32 v21, exec_lo, v21
	v_xor_b32_e32 v98, vcc_hi, v5
	v_xor_b32_e32 v5, vcc_lo, v5
	v_and_b32_e32 v21, v21, v5
	v_lshlrev_b32_e32 v5, 29, v20
	v_cmp_gt_i64_e32 vcc, 0, v[4:5]
	v_not_b32_e32 v5, v5
	v_ashrrev_i32_e32 v5, 31, v5
	v_and_b32_e32 v96, v96, v98
	v_xor_b32_e32 v98, vcc_hi, v5
	v_xor_b32_e32 v5, vcc_lo, v5
	v_and_b32_e32 v21, v21, v5
	v_lshlrev_b32_e32 v5, 28, v20
	v_cmp_gt_i64_e32 vcc, 0, v[4:5]
	v_not_b32_e32 v5, v5
	v_ashrrev_i32_e32 v5, 31, v5
	v_and_b32_e32 v96, v96, v98
	;; [unrolled: 8-line block ×5, first 2 shown]
	v_xor_b32_e32 v98, vcc_hi, v5
	v_xor_b32_e32 v5, vcc_lo, v5
	v_and_b32_e32 v96, v96, v98
	v_and_b32_e32 v98, v21, v5
	v_lshlrev_b32_e32 v5, 24, v20
	v_cmp_gt_i64_e32 vcc, 0, v[4:5]
	v_not_b32_e32 v5, v5
	v_ashrrev_i32_e32 v5, 31, v5
	v_xor_b32_e32 v20, vcc_hi, v5
	v_xor_b32_e32 v5, vcc_lo, v5
	v_and_b32_e32 v21, v96, v20
	v_and_b32_e32 v20, v98, v5
	v_mbcnt_lo_u32_b32 v5, v20, 0
	v_mbcnt_hi_u32_b32 v96, v21, v5
	v_cmp_eq_u32_e32 vcc, 0, v96
	v_cmp_ne_u64_e64 s[36:37], 0, v[20:21]
	s_and_b64 s[38:39], s[36:37], vcc
	s_waitcnt lgkmcnt(0)
	s_barrier
	s_waitcnt lgkmcnt(0)
	; wave barrier
	s_and_saveexec_b64 s[36:37], s[38:39]
	s_cbranch_execz .LBB2050_588
; %bb.587:                              ;   in Loop: Header=BB2050_566 Depth=2
	v_bcnt_u32_b32 v5, v20, 0
	v_bcnt_u32_b32 v5, v21, v5
	ds_write_b32 v95, v5
.LBB2050_588:                           ;   in Loop: Header=BB2050_566 Depth=2
	s_or_b64 exec, exec, s[36:37]
	s_waitcnt vmcnt(5)
	v_cmp_lt_i16_e32 vcc, -1, v97
	v_cndmask_b32_e32 v5, -1, v66, vcc
	v_xor_b32_e32 v97, v5, v97
	v_cmp_ne_u16_e32 vcc, s68, v97
	v_cndmask_b32_e32 v5, v66, v97, vcc
	v_lshrrev_b32_sdwa v5, s69, v5 dst_sel:DWORD dst_unused:UNUSED_PAD src0_sel:DWORD src1_sel:WORD_0
	v_and_b32_e32 v20, s78, v5
	v_mul_u32_u24_e32 v5, 5, v20
	v_add_lshl_u32 v5, v5, v92, 2
	; wave barrier
	v_add_u32_e32 v99, 0x410, v5
	ds_read_b32 v98, v5 offset:1040
	v_and_b32_e32 v5, 1, v20
	v_add_co_u32_e32 v21, vcc, -1, v5
	v_addc_co_u32_e64 v100, s[36:37], 0, -1, vcc
	v_cmp_ne_u32_e32 vcc, 0, v5
	v_xor_b32_e32 v5, vcc_hi, v100
	v_and_b32_e32 v100, exec_hi, v5
	v_lshlrev_b32_e32 v5, 30, v20
	v_xor_b32_e32 v21, vcc_lo, v21
	v_cmp_gt_i64_e32 vcc, 0, v[4:5]
	v_not_b32_e32 v5, v5
	v_ashrrev_i32_e32 v5, 31, v5
	v_and_b32_e32 v21, exec_lo, v21
	v_xor_b32_e32 v102, vcc_hi, v5
	v_xor_b32_e32 v5, vcc_lo, v5
	v_and_b32_e32 v21, v21, v5
	v_lshlrev_b32_e32 v5, 29, v20
	v_cmp_gt_i64_e32 vcc, 0, v[4:5]
	v_not_b32_e32 v5, v5
	v_ashrrev_i32_e32 v5, 31, v5
	v_and_b32_e32 v100, v100, v102
	v_xor_b32_e32 v102, vcc_hi, v5
	v_xor_b32_e32 v5, vcc_lo, v5
	v_and_b32_e32 v21, v21, v5
	v_lshlrev_b32_e32 v5, 28, v20
	v_cmp_gt_i64_e32 vcc, 0, v[4:5]
	v_not_b32_e32 v5, v5
	v_ashrrev_i32_e32 v5, 31, v5
	v_and_b32_e32 v100, v100, v102
	v_xor_b32_e32 v102, vcc_hi, v5
	v_xor_b32_e32 v5, vcc_lo, v5
	v_and_b32_e32 v21, v21, v5
	v_lshlrev_b32_e32 v5, 27, v20
	v_cmp_gt_i64_e32 vcc, 0, v[4:5]
	v_not_b32_e32 v5, v5
	v_ashrrev_i32_e32 v5, 31, v5
	v_and_b32_e32 v100, v100, v102
	v_xor_b32_e32 v102, vcc_hi, v5
	v_xor_b32_e32 v5, vcc_lo, v5
	v_and_b32_e32 v21, v21, v5
	v_lshlrev_b32_e32 v5, 26, v20
	v_cmp_gt_i64_e32 vcc, 0, v[4:5]
	v_not_b32_e32 v5, v5
	v_ashrrev_i32_e32 v5, 31, v5
	v_and_b32_e32 v100, v100, v102
	v_xor_b32_e32 v102, vcc_hi, v5
	v_xor_b32_e32 v5, vcc_lo, v5
	v_and_b32_e32 v21, v21, v5
	v_lshlrev_b32_e32 v5, 25, v20
	v_cmp_gt_i64_e32 vcc, 0, v[4:5]
	v_not_b32_e32 v5, v5
	v_ashrrev_i32_e32 v5, 31, v5
	v_and_b32_e32 v100, v100, v102
	v_xor_b32_e32 v102, vcc_hi, v5
	v_xor_b32_e32 v5, vcc_lo, v5
	v_and_b32_e32 v100, v100, v102
	v_and_b32_e32 v102, v21, v5
	v_lshlrev_b32_e32 v5, 24, v20
	v_cmp_gt_i64_e32 vcc, 0, v[4:5]
	v_not_b32_e32 v5, v5
	v_ashrrev_i32_e32 v5, 31, v5
	v_xor_b32_e32 v20, vcc_hi, v5
	v_xor_b32_e32 v5, vcc_lo, v5
	v_and_b32_e32 v21, v100, v20
	v_and_b32_e32 v20, v102, v5
	v_mbcnt_lo_u32_b32 v5, v20, 0
	v_mbcnt_hi_u32_b32 v100, v21, v5
	v_cmp_eq_u32_e32 vcc, 0, v100
	v_cmp_ne_u64_e64 s[36:37], 0, v[20:21]
	s_and_b64 s[38:39], s[36:37], vcc
	; wave barrier
	s_and_saveexec_b64 s[36:37], s[38:39]
	s_cbranch_execz .LBB2050_590
; %bb.589:                              ;   in Loop: Header=BB2050_566 Depth=2
	v_bcnt_u32_b32 v5, v20, 0
	v_bcnt_u32_b32 v5, v21, v5
	s_waitcnt lgkmcnt(0)
	v_add_u32_e32 v5, v98, v5
	ds_write_b32 v99, v5
.LBB2050_590:                           ;   in Loop: Header=BB2050_566 Depth=2
	s_or_b64 exec, exec, s[36:37]
	s_waitcnt vmcnt(4)
	v_cmp_lt_i16_e32 vcc, -1, v101
	v_cndmask_b32_e32 v5, -1, v66, vcc
	v_xor_b32_e32 v101, v5, v101
	v_cmp_ne_u16_e32 vcc, s68, v101
	v_cndmask_b32_e32 v5, v66, v101, vcc
	v_lshrrev_b32_sdwa v5, s69, v5 dst_sel:DWORD dst_unused:UNUSED_PAD src0_sel:DWORD src1_sel:WORD_0
	v_and_b32_e32 v20, s78, v5
	v_mul_u32_u24_e32 v5, 5, v20
	v_add_lshl_u32 v5, v5, v92, 2
	; wave barrier
	v_add_u32_e32 v103, 0x410, v5
	ds_read_b32 v102, v5 offset:1040
	v_and_b32_e32 v5, 1, v20
	v_add_co_u32_e32 v21, vcc, -1, v5
	v_addc_co_u32_e64 v105, s[36:37], 0, -1, vcc
	v_cmp_ne_u32_e32 vcc, 0, v5
	v_xor_b32_e32 v5, vcc_hi, v105
	v_and_b32_e32 v105, exec_hi, v5
	v_lshlrev_b32_e32 v5, 30, v20
	v_xor_b32_e32 v21, vcc_lo, v21
	v_cmp_gt_i64_e32 vcc, 0, v[4:5]
	v_not_b32_e32 v5, v5
	v_ashrrev_i32_e32 v5, 31, v5
	v_and_b32_e32 v21, exec_lo, v21
	v_xor_b32_e32 v107, vcc_hi, v5
	v_xor_b32_e32 v5, vcc_lo, v5
	v_and_b32_e32 v21, v21, v5
	v_lshlrev_b32_e32 v5, 29, v20
	v_cmp_gt_i64_e32 vcc, 0, v[4:5]
	v_not_b32_e32 v5, v5
	v_ashrrev_i32_e32 v5, 31, v5
	v_and_b32_e32 v105, v105, v107
	v_xor_b32_e32 v107, vcc_hi, v5
	v_xor_b32_e32 v5, vcc_lo, v5
	v_and_b32_e32 v21, v21, v5
	v_lshlrev_b32_e32 v5, 28, v20
	v_cmp_gt_i64_e32 vcc, 0, v[4:5]
	v_not_b32_e32 v5, v5
	v_ashrrev_i32_e32 v5, 31, v5
	v_and_b32_e32 v105, v105, v107
	;; [unrolled: 8-line block ×5, first 2 shown]
	v_xor_b32_e32 v107, vcc_hi, v5
	v_xor_b32_e32 v5, vcc_lo, v5
	v_and_b32_e32 v105, v105, v107
	v_and_b32_e32 v107, v21, v5
	v_lshlrev_b32_e32 v5, 24, v20
	v_cmp_gt_i64_e32 vcc, 0, v[4:5]
	v_not_b32_e32 v5, v5
	v_ashrrev_i32_e32 v5, 31, v5
	v_xor_b32_e32 v20, vcc_hi, v5
	v_xor_b32_e32 v5, vcc_lo, v5
	v_and_b32_e32 v21, v105, v20
	v_and_b32_e32 v20, v107, v5
	v_mbcnt_lo_u32_b32 v5, v20, 0
	v_mbcnt_hi_u32_b32 v105, v21, v5
	v_cmp_eq_u32_e32 vcc, 0, v105
	v_cmp_ne_u64_e64 s[36:37], 0, v[20:21]
	s_and_b64 s[38:39], s[36:37], vcc
	; wave barrier
	s_and_saveexec_b64 s[36:37], s[38:39]
	s_cbranch_execz .LBB2050_592
; %bb.591:                              ;   in Loop: Header=BB2050_566 Depth=2
	v_bcnt_u32_b32 v5, v20, 0
	v_bcnt_u32_b32 v5, v21, v5
	s_waitcnt lgkmcnt(0)
	v_add_u32_e32 v5, v102, v5
	ds_write_b32 v103, v5
.LBB2050_592:                           ;   in Loop: Header=BB2050_566 Depth=2
	s_or_b64 exec, exec, s[36:37]
	s_waitcnt vmcnt(3)
	v_cmp_lt_i16_e32 vcc, -1, v106
	v_cndmask_b32_e32 v5, -1, v66, vcc
	v_xor_b32_e32 v106, v5, v106
	v_cmp_ne_u16_e32 vcc, s68, v106
	v_cndmask_b32_e32 v5, v66, v106, vcc
	v_lshrrev_b32_sdwa v5, s69, v5 dst_sel:DWORD dst_unused:UNUSED_PAD src0_sel:DWORD src1_sel:WORD_0
	v_and_b32_e32 v20, s78, v5
	v_mul_u32_u24_e32 v5, 5, v20
	v_add_lshl_u32 v5, v5, v92, 2
	; wave barrier
	v_add_u32_e32 v108, 0x410, v5
	ds_read_b32 v107, v5 offset:1040
	v_and_b32_e32 v5, 1, v20
	v_add_co_u32_e32 v21, vcc, -1, v5
	v_addc_co_u32_e64 v110, s[36:37], 0, -1, vcc
	v_cmp_ne_u32_e32 vcc, 0, v5
	v_xor_b32_e32 v5, vcc_hi, v110
	v_and_b32_e32 v110, exec_hi, v5
	v_lshlrev_b32_e32 v5, 30, v20
	v_xor_b32_e32 v21, vcc_lo, v21
	v_cmp_gt_i64_e32 vcc, 0, v[4:5]
	v_not_b32_e32 v5, v5
	v_ashrrev_i32_e32 v5, 31, v5
	v_and_b32_e32 v21, exec_lo, v21
	v_xor_b32_e32 v111, vcc_hi, v5
	v_xor_b32_e32 v5, vcc_lo, v5
	v_and_b32_e32 v21, v21, v5
	v_lshlrev_b32_e32 v5, 29, v20
	v_cmp_gt_i64_e32 vcc, 0, v[4:5]
	v_not_b32_e32 v5, v5
	v_ashrrev_i32_e32 v5, 31, v5
	v_and_b32_e32 v110, v110, v111
	v_xor_b32_e32 v111, vcc_hi, v5
	v_xor_b32_e32 v5, vcc_lo, v5
	v_and_b32_e32 v21, v21, v5
	v_lshlrev_b32_e32 v5, 28, v20
	v_cmp_gt_i64_e32 vcc, 0, v[4:5]
	v_not_b32_e32 v5, v5
	v_ashrrev_i32_e32 v5, 31, v5
	v_and_b32_e32 v110, v110, v111
	;; [unrolled: 8-line block ×5, first 2 shown]
	v_xor_b32_e32 v111, vcc_hi, v5
	v_xor_b32_e32 v5, vcc_lo, v5
	v_and_b32_e32 v110, v110, v111
	v_and_b32_e32 v111, v21, v5
	v_lshlrev_b32_e32 v5, 24, v20
	v_cmp_gt_i64_e32 vcc, 0, v[4:5]
	v_not_b32_e32 v5, v5
	v_ashrrev_i32_e32 v5, 31, v5
	v_xor_b32_e32 v20, vcc_hi, v5
	v_xor_b32_e32 v5, vcc_lo, v5
	v_and_b32_e32 v21, v110, v20
	v_and_b32_e32 v20, v111, v5
	v_mbcnt_lo_u32_b32 v5, v20, 0
	v_mbcnt_hi_u32_b32 v110, v21, v5
	v_cmp_eq_u32_e32 vcc, 0, v110
	v_cmp_ne_u64_e64 s[36:37], 0, v[20:21]
	s_and_b64 s[38:39], s[36:37], vcc
	; wave barrier
	s_and_saveexec_b64 s[36:37], s[38:39]
	s_cbranch_execz .LBB2050_594
; %bb.593:                              ;   in Loop: Header=BB2050_566 Depth=2
	v_bcnt_u32_b32 v5, v20, 0
	v_bcnt_u32_b32 v5, v21, v5
	s_waitcnt lgkmcnt(0)
	v_add_u32_e32 v5, v107, v5
	ds_write_b32 v108, v5
.LBB2050_594:                           ;   in Loop: Header=BB2050_566 Depth=2
	s_or_b64 exec, exec, s[36:37]
	s_waitcnt vmcnt(2)
	v_cmp_lt_i16_e32 vcc, -1, v109
	v_cndmask_b32_e32 v5, -1, v66, vcc
	v_xor_b32_e32 v109, v5, v109
	v_cmp_ne_u16_e32 vcc, s68, v109
	v_cndmask_b32_e32 v5, v66, v109, vcc
	v_lshrrev_b32_sdwa v5, s69, v5 dst_sel:DWORD dst_unused:UNUSED_PAD src0_sel:DWORD src1_sel:WORD_0
	v_and_b32_e32 v20, s78, v5
	v_mul_u32_u24_e32 v5, 5, v20
	v_add_lshl_u32 v5, v5, v92, 2
	; wave barrier
	v_add_u32_e32 v112, 0x410, v5
	ds_read_b32 v111, v5 offset:1040
	v_and_b32_e32 v5, 1, v20
	v_add_co_u32_e32 v21, vcc, -1, v5
	v_addc_co_u32_e64 v113, s[36:37], 0, -1, vcc
	v_cmp_ne_u32_e32 vcc, 0, v5
	v_xor_b32_e32 v5, vcc_hi, v113
	v_and_b32_e32 v113, exec_hi, v5
	v_lshlrev_b32_e32 v5, 30, v20
	v_xor_b32_e32 v21, vcc_lo, v21
	v_cmp_gt_i64_e32 vcc, 0, v[4:5]
	v_not_b32_e32 v5, v5
	v_ashrrev_i32_e32 v5, 31, v5
	v_and_b32_e32 v21, exec_lo, v21
	v_xor_b32_e32 v114, vcc_hi, v5
	v_xor_b32_e32 v5, vcc_lo, v5
	v_and_b32_e32 v21, v21, v5
	v_lshlrev_b32_e32 v5, 29, v20
	v_cmp_gt_i64_e32 vcc, 0, v[4:5]
	v_not_b32_e32 v5, v5
	v_ashrrev_i32_e32 v5, 31, v5
	v_and_b32_e32 v113, v113, v114
	v_xor_b32_e32 v114, vcc_hi, v5
	v_xor_b32_e32 v5, vcc_lo, v5
	v_and_b32_e32 v21, v21, v5
	v_lshlrev_b32_e32 v5, 28, v20
	v_cmp_gt_i64_e32 vcc, 0, v[4:5]
	v_not_b32_e32 v5, v5
	v_ashrrev_i32_e32 v5, 31, v5
	v_and_b32_e32 v113, v113, v114
	;; [unrolled: 8-line block ×5, first 2 shown]
	v_xor_b32_e32 v114, vcc_hi, v5
	v_xor_b32_e32 v5, vcc_lo, v5
	v_and_b32_e32 v113, v113, v114
	v_and_b32_e32 v114, v21, v5
	v_lshlrev_b32_e32 v5, 24, v20
	v_cmp_gt_i64_e32 vcc, 0, v[4:5]
	v_not_b32_e32 v5, v5
	v_ashrrev_i32_e32 v5, 31, v5
	v_xor_b32_e32 v20, vcc_hi, v5
	v_xor_b32_e32 v5, vcc_lo, v5
	v_and_b32_e32 v21, v113, v20
	v_and_b32_e32 v20, v114, v5
	v_mbcnt_lo_u32_b32 v5, v20, 0
	v_mbcnt_hi_u32_b32 v113, v21, v5
	v_cmp_eq_u32_e32 vcc, 0, v113
	v_cmp_ne_u64_e64 s[36:37], 0, v[20:21]
	s_and_b64 s[38:39], s[36:37], vcc
	; wave barrier
	s_and_saveexec_b64 s[36:37], s[38:39]
	s_cbranch_execz .LBB2050_596
; %bb.595:                              ;   in Loop: Header=BB2050_566 Depth=2
	v_bcnt_u32_b32 v5, v20, 0
	v_bcnt_u32_b32 v5, v21, v5
	s_waitcnt lgkmcnt(0)
	v_add_u32_e32 v5, v111, v5
	ds_write_b32 v112, v5
.LBB2050_596:                           ;   in Loop: Header=BB2050_566 Depth=2
	s_or_b64 exec, exec, s[36:37]
	s_waitcnt vmcnt(1)
	v_cmp_lt_i16_e32 vcc, -1, v104
	v_cndmask_b32_e32 v5, -1, v66, vcc
	v_xor_b32_e32 v104, v5, v104
	v_cmp_ne_u16_e32 vcc, s68, v104
	v_cndmask_b32_e32 v5, v66, v104, vcc
	v_lshrrev_b32_sdwa v5, s69, v5 dst_sel:DWORD dst_unused:UNUSED_PAD src0_sel:DWORD src1_sel:WORD_0
	v_and_b32_e32 v20, s78, v5
	v_mul_u32_u24_e32 v5, 5, v20
	v_add_lshl_u32 v5, v5, v92, 2
	; wave barrier
	v_add_u32_e32 v115, 0x410, v5
	ds_read_b32 v114, v5 offset:1040
	v_and_b32_e32 v5, 1, v20
	v_add_co_u32_e32 v21, vcc, -1, v5
	v_addc_co_u32_e64 v116, s[36:37], 0, -1, vcc
	v_cmp_ne_u32_e32 vcc, 0, v5
	v_xor_b32_e32 v5, vcc_hi, v116
	v_and_b32_e32 v116, exec_hi, v5
	v_lshlrev_b32_e32 v5, 30, v20
	v_xor_b32_e32 v21, vcc_lo, v21
	v_cmp_gt_i64_e32 vcc, 0, v[4:5]
	v_not_b32_e32 v5, v5
	v_ashrrev_i32_e32 v5, 31, v5
	v_and_b32_e32 v21, exec_lo, v21
	v_xor_b32_e32 v117, vcc_hi, v5
	v_xor_b32_e32 v5, vcc_lo, v5
	v_and_b32_e32 v21, v21, v5
	v_lshlrev_b32_e32 v5, 29, v20
	v_cmp_gt_i64_e32 vcc, 0, v[4:5]
	v_not_b32_e32 v5, v5
	v_ashrrev_i32_e32 v5, 31, v5
	v_and_b32_e32 v116, v116, v117
	v_xor_b32_e32 v117, vcc_hi, v5
	v_xor_b32_e32 v5, vcc_lo, v5
	v_and_b32_e32 v21, v21, v5
	v_lshlrev_b32_e32 v5, 28, v20
	v_cmp_gt_i64_e32 vcc, 0, v[4:5]
	v_not_b32_e32 v5, v5
	v_ashrrev_i32_e32 v5, 31, v5
	v_and_b32_e32 v116, v116, v117
	;; [unrolled: 8-line block ×5, first 2 shown]
	v_xor_b32_e32 v117, vcc_hi, v5
	v_xor_b32_e32 v5, vcc_lo, v5
	v_and_b32_e32 v116, v116, v117
	v_and_b32_e32 v117, v21, v5
	v_lshlrev_b32_e32 v5, 24, v20
	v_cmp_gt_i64_e32 vcc, 0, v[4:5]
	v_not_b32_e32 v5, v5
	v_ashrrev_i32_e32 v5, 31, v5
	v_xor_b32_e32 v20, vcc_hi, v5
	v_xor_b32_e32 v5, vcc_lo, v5
	v_and_b32_e32 v21, v116, v20
	v_and_b32_e32 v20, v117, v5
	v_mbcnt_lo_u32_b32 v5, v20, 0
	v_mbcnt_hi_u32_b32 v116, v21, v5
	v_cmp_eq_u32_e32 vcc, 0, v116
	v_cmp_ne_u64_e64 s[36:37], 0, v[20:21]
	s_and_b64 s[38:39], s[36:37], vcc
	; wave barrier
	s_and_saveexec_b64 s[36:37], s[38:39]
	s_cbranch_execz .LBB2050_598
; %bb.597:                              ;   in Loop: Header=BB2050_566 Depth=2
	v_bcnt_u32_b32 v5, v20, 0
	v_bcnt_u32_b32 v5, v21, v5
	s_waitcnt lgkmcnt(0)
	v_add_u32_e32 v5, v114, v5
	ds_write_b32 v115, v5
.LBB2050_598:                           ;   in Loop: Header=BB2050_566 Depth=2
	s_or_b64 exec, exec, s[36:37]
	s_waitcnt vmcnt(0)
	v_cmp_lt_i16_e32 vcc, -1, v22
	v_cndmask_b32_e32 v5, -1, v66, vcc
	v_xor_b32_e32 v117, v5, v22
	v_cmp_ne_u16_e32 vcc, s68, v117
	v_cndmask_b32_e32 v5, v66, v117, vcc
	v_lshrrev_b32_sdwa v5, s69, v5 dst_sel:DWORD dst_unused:UNUSED_PAD src0_sel:DWORD src1_sel:WORD_0
	v_and_b32_e32 v20, s78, v5
	v_mul_u32_u24_e32 v5, 5, v20
	v_add_lshl_u32 v5, v5, v92, 2
	; wave barrier
	v_add_u32_e32 v119, 0x410, v5
	ds_read_b32 v118, v5 offset:1040
	v_and_b32_e32 v5, 1, v20
	v_add_co_u32_e32 v21, vcc, -1, v5
	v_addc_co_u32_e64 v22, s[36:37], 0, -1, vcc
	v_cmp_ne_u32_e32 vcc, 0, v5
	v_xor_b32_e32 v5, vcc_hi, v22
	v_and_b32_e32 v22, exec_hi, v5
	v_lshlrev_b32_e32 v5, 30, v20
	v_xor_b32_e32 v21, vcc_lo, v21
	v_cmp_gt_i64_e32 vcc, 0, v[4:5]
	v_not_b32_e32 v5, v5
	v_ashrrev_i32_e32 v5, 31, v5
	v_and_b32_e32 v21, exec_lo, v21
	v_xor_b32_e32 v120, vcc_hi, v5
	v_xor_b32_e32 v5, vcc_lo, v5
	v_and_b32_e32 v21, v21, v5
	v_lshlrev_b32_e32 v5, 29, v20
	v_cmp_gt_i64_e32 vcc, 0, v[4:5]
	v_not_b32_e32 v5, v5
	v_ashrrev_i32_e32 v5, 31, v5
	v_and_b32_e32 v22, v22, v120
	v_xor_b32_e32 v120, vcc_hi, v5
	v_xor_b32_e32 v5, vcc_lo, v5
	v_and_b32_e32 v21, v21, v5
	v_lshlrev_b32_e32 v5, 28, v20
	v_cmp_gt_i64_e32 vcc, 0, v[4:5]
	v_not_b32_e32 v5, v5
	v_ashrrev_i32_e32 v5, 31, v5
	v_and_b32_e32 v22, v22, v120
	;; [unrolled: 8-line block ×5, first 2 shown]
	v_xor_b32_e32 v120, vcc_hi, v5
	v_xor_b32_e32 v5, vcc_lo, v5
	v_and_b32_e32 v22, v22, v120
	v_and_b32_e32 v120, v21, v5
	v_lshlrev_b32_e32 v5, 24, v20
	v_cmp_gt_i64_e32 vcc, 0, v[4:5]
	v_not_b32_e32 v5, v5
	v_ashrrev_i32_e32 v5, 31, v5
	v_xor_b32_e32 v20, vcc_hi, v5
	v_xor_b32_e32 v5, vcc_lo, v5
	v_and_b32_e32 v21, v22, v20
	v_and_b32_e32 v20, v120, v5
	v_mbcnt_lo_u32_b32 v5, v20, 0
	v_mbcnt_hi_u32_b32 v120, v21, v5
	v_cmp_eq_u32_e32 vcc, 0, v120
	v_cmp_ne_u64_e64 s[36:37], 0, v[20:21]
	s_and_b64 s[38:39], s[36:37], vcc
	; wave barrier
	s_and_saveexec_b64 s[36:37], s[38:39]
	s_cbranch_execz .LBB2050_600
; %bb.599:                              ;   in Loop: Header=BB2050_566 Depth=2
	v_bcnt_u32_b32 v5, v20, 0
	v_bcnt_u32_b32 v5, v21, v5
	s_waitcnt lgkmcnt(0)
	v_add_u32_e32 v5, v118, v5
	ds_write_b32 v119, v5
.LBB2050_600:                           ;   in Loop: Header=BB2050_566 Depth=2
	s_or_b64 exec, exec, s[36:37]
	v_cmp_lt_i16_e32 vcc, -1, v23
	v_cndmask_b32_e32 v5, -1, v66, vcc
	v_xor_b32_e32 v121, v5, v23
	v_cmp_ne_u16_e32 vcc, s68, v121
	v_cndmask_b32_e32 v5, v66, v121, vcc
	v_lshrrev_b32_sdwa v5, s69, v5 dst_sel:DWORD dst_unused:UNUSED_PAD src0_sel:DWORD src1_sel:WORD_0
	v_and_b32_e32 v20, s78, v5
	v_mul_u32_u24_e32 v5, 5, v20
	v_add_lshl_u32 v5, v5, v92, 2
	; wave barrier
	v_add_u32_e32 v123, 0x410, v5
	ds_read_b32 v122, v5 offset:1040
	v_and_b32_e32 v5, 1, v20
	v_add_co_u32_e32 v21, vcc, -1, v5
	v_addc_co_u32_e64 v22, s[36:37], 0, -1, vcc
	v_cmp_ne_u32_e32 vcc, 0, v5
	v_xor_b32_e32 v5, vcc_hi, v22
	v_and_b32_e32 v22, exec_hi, v5
	v_lshlrev_b32_e32 v5, 30, v20
	v_xor_b32_e32 v21, vcc_lo, v21
	v_cmp_gt_i64_e32 vcc, 0, v[4:5]
	v_not_b32_e32 v5, v5
	v_ashrrev_i32_e32 v5, 31, v5
	v_and_b32_e32 v21, exec_lo, v21
	v_xor_b32_e32 v23, vcc_hi, v5
	v_xor_b32_e32 v5, vcc_lo, v5
	v_and_b32_e32 v21, v21, v5
	v_lshlrev_b32_e32 v5, 29, v20
	v_cmp_gt_i64_e32 vcc, 0, v[4:5]
	v_not_b32_e32 v5, v5
	v_ashrrev_i32_e32 v5, 31, v5
	v_and_b32_e32 v22, v22, v23
	v_xor_b32_e32 v23, vcc_hi, v5
	v_xor_b32_e32 v5, vcc_lo, v5
	v_and_b32_e32 v21, v21, v5
	v_lshlrev_b32_e32 v5, 28, v20
	v_cmp_gt_i64_e32 vcc, 0, v[4:5]
	v_not_b32_e32 v5, v5
	v_ashrrev_i32_e32 v5, 31, v5
	v_and_b32_e32 v22, v22, v23
	;; [unrolled: 8-line block ×5, first 2 shown]
	v_xor_b32_e32 v23, vcc_hi, v5
	v_xor_b32_e32 v5, vcc_lo, v5
	v_and_b32_e32 v22, v22, v23
	v_and_b32_e32 v23, v21, v5
	v_lshlrev_b32_e32 v5, 24, v20
	v_cmp_gt_i64_e32 vcc, 0, v[4:5]
	v_not_b32_e32 v5, v5
	v_ashrrev_i32_e32 v5, 31, v5
	v_xor_b32_e32 v20, vcc_hi, v5
	v_xor_b32_e32 v5, vcc_lo, v5
	v_and_b32_e32 v21, v22, v20
	v_and_b32_e32 v20, v23, v5
	v_mbcnt_lo_u32_b32 v5, v20, 0
	v_mbcnt_hi_u32_b32 v124, v21, v5
	v_cmp_eq_u32_e32 vcc, 0, v124
	v_cmp_ne_u64_e64 s[36:37], 0, v[20:21]
	s_and_b64 s[38:39], s[36:37], vcc
	; wave barrier
	s_and_saveexec_b64 s[36:37], s[38:39]
	s_cbranch_execz .LBB2050_602
; %bb.601:                              ;   in Loop: Header=BB2050_566 Depth=2
	v_bcnt_u32_b32 v5, v20, 0
	v_bcnt_u32_b32 v5, v21, v5
	s_waitcnt lgkmcnt(0)
	v_add_u32_e32 v5, v122, v5
	ds_write_b32 v123, v5
.LBB2050_602:                           ;   in Loop: Header=BB2050_566 Depth=2
	s_or_b64 exec, exec, s[36:37]
	; wave barrier
	s_waitcnt lgkmcnt(0)
	s_barrier
	ds_read_b32 v5, v41 offset:1040
	ds_read2_b32 v[22:23], v43 offset0:1 offset1:2
	ds_read2_b32 v[20:21], v43 offset0:3 offset1:4
	s_waitcnt lgkmcnt(1)
	v_add3_u32 v125, v22, v5, v23
	s_waitcnt lgkmcnt(0)
	v_add3_u32 v21, v125, v20, v21
	s_nop 1
	v_mov_b32_dpp v125, v21 row_shr:1 row_mask:0xf bank_mask:0xf
	v_cndmask_b32_e64 v125, v125, 0, s[16:17]
	v_add_u32_e32 v21, v125, v21
	s_nop 1
	v_mov_b32_dpp v125, v21 row_shr:2 row_mask:0xf bank_mask:0xf
	v_cndmask_b32_e64 v125, 0, v125, s[18:19]
	v_add_u32_e32 v21, v21, v125
	;; [unrolled: 4-line block ×4, first 2 shown]
	s_nop 1
	v_mov_b32_dpp v125, v21 row_bcast:15 row_mask:0xf bank_mask:0xf
	v_cndmask_b32_e64 v125, v125, 0, s[24:25]
	v_add_u32_e32 v21, v21, v125
	s_nop 1
	v_mov_b32_dpp v125, v21 row_bcast:31 row_mask:0xf bank_mask:0xf
	v_cndmask_b32_e64 v125, 0, v125, s[26:27]
	v_add_u32_e32 v21, v21, v125
	s_and_saveexec_b64 s[36:37], s[6:7]
	s_cbranch_execz .LBB2050_604
; %bb.603:                              ;   in Loop: Header=BB2050_566 Depth=2
	ds_write_b32 v34, v21 offset:1024
.LBB2050_604:                           ;   in Loop: Header=BB2050_566 Depth=2
	s_or_b64 exec, exec, s[36:37]
	s_waitcnt lgkmcnt(0)
	s_barrier
	s_and_saveexec_b64 s[36:37], s[8:9]
	s_cbranch_execz .LBB2050_606
; %bb.605:                              ;   in Loop: Header=BB2050_566 Depth=2
	ds_read_b32 v125, v44 offset:1024
	s_waitcnt lgkmcnt(0)
	s_nop 0
	v_mov_b32_dpp v126, v125 row_shr:1 row_mask:0xf bank_mask:0xf
	v_cndmask_b32_e64 v126, v126, 0, s[30:31]
	v_add_u32_e32 v125, v126, v125
	s_nop 1
	v_mov_b32_dpp v126, v125 row_shr:2 row_mask:0xf bank_mask:0xf
	v_cndmask_b32_e64 v126, 0, v126, s[34:35]
	v_add_u32_e32 v125, v125, v126
	ds_write_b32 v44, v125 offset:1024
.LBB2050_606:                           ;   in Loop: Header=BB2050_566 Depth=2
	s_or_b64 exec, exec, s[36:37]
	v_mov_b32_e32 v125, 0
	s_waitcnt lgkmcnt(0)
	s_barrier
	s_and_saveexec_b64 s[36:37], s[10:11]
	s_cbranch_execz .LBB2050_608
; %bb.607:                              ;   in Loop: Header=BB2050_566 Depth=2
	ds_read_b32 v125, v34 offset:1020
.LBB2050_608:                           ;   in Loop: Header=BB2050_566 Depth=2
	s_or_b64 exec, exec, s[36:37]
	s_waitcnt lgkmcnt(0)
	v_add_u32_e32 v21, v125, v21
	ds_bpermute_b32 v21, v69, v21
	s_waitcnt lgkmcnt(0)
	v_cndmask_b32_e64 v21, v21, v125, s[28:29]
	v_cndmask_b32_e64 v21, v21, 0, s[12:13]
	v_add_u32_e32 v5, v21, v5
	ds_write_b32 v41, v21 offset:1040
	v_add_u32_e32 v21, v5, v22
	v_add_u32_e32 v22, v21, v23
	ds_write2_b32 v43, v5, v21 offset0:1 offset1:2
	v_add_u32_e32 v5, v22, v20
	ds_write2_b32 v43, v22, v5 offset0:3 offset1:4
	s_waitcnt lgkmcnt(0)
	s_barrier
	ds_read_b32 v20, v99
	ds_read_b32 v21, v103
	;; [unrolled: 1-line block ×8, first 2 shown]
	ds_read_b32 v99, v41 offset:1040
	v_mov_b32_e32 v5, 0x800
	s_and_saveexec_b64 s[36:37], s[14:15]
	s_cbranch_execz .LBB2050_610
; %bb.609:                              ;   in Loop: Header=BB2050_566 Depth=2
	ds_read_b32 v5, v41 offset:1060
.LBB2050_610:                           ;   in Loop: Header=BB2050_566 Depth=2
	s_or_b64 exec, exec, s[36:37]
	s_waitcnt lgkmcnt(0)
	s_barrier
	s_and_saveexec_b64 s[36:37], s[4:5]
	s_cbranch_execz .LBB2050_612
; %bb.611:                              ;   in Loop: Header=BB2050_566 Depth=2
	ds_read_b32 v103, v3
	s_waitcnt lgkmcnt(0)
	v_sub_u32_e32 v99, v103, v99
	ds_write_b32 v3, v99
.LBB2050_612:                           ;   in Loop: Header=BB2050_566 Depth=2
	s_or_b64 exec, exec, s[36:37]
	v_add_u32_e32 v103, v95, v96
	v_add3_u32 v100, v100, v98, v20
	v_lshlrev_b32_e32 v20, 1, v103
	v_add3_u32 v99, v105, v102, v21
	ds_write_b16 v20, v94 offset:1024
	v_lshlrev_b32_e32 v20, 1, v100
	v_add3_u32 v98, v110, v107, v22
	ds_write_b16 v20, v97 offset:1024
	v_lshlrev_b32_e32 v20, 1, v99
	v_add3_u32 v96, v113, v111, v23
	ds_write_b16 v20, v101 offset:1024
	v_lshlrev_b32_e32 v20, 1, v98
	v_add3_u32 v95, v116, v114, v108
	ds_write_b16 v20, v106 offset:1024
	v_lshlrev_b32_e32 v20, 1, v96
	v_add3_u32 v23, v120, v118, v112
	ds_write_b16 v20, v109 offset:1024
	v_lshlrev_b32_e32 v20, 1, v95
	v_add3_u32 v22, v124, v122, v115
	ds_write_b16 v20, v104 offset:1024
	v_lshlrev_b32_e32 v20, 1, v23
	ds_write_b16 v20, v117 offset:1024
	v_lshlrev_b32_e32 v20, 1, v22
	v_cmp_lt_u32_e32 vcc, v2, v93
	ds_write_b16 v20, v121 offset:1024
	s_waitcnt lgkmcnt(0)
	s_barrier
	s_and_saveexec_b64 s[38:39], vcc
	s_cbranch_execz .LBB2050_620
; %bb.613:                              ;   in Loop: Header=BB2050_566 Depth=2
	ds_read_u16 v20, v49 offset:1024
	v_mov_b32_e32 v21, v4
	v_mov_b32_e32 v97, s61
	s_waitcnt lgkmcnt(0)
	v_cmp_ne_u16_e64 s[36:37], s68, v20
	v_cndmask_b32_e64 v94, v66, v20, s[36:37]
	v_lshrrev_b32_sdwa v94, s69, v94 dst_sel:DWORD dst_unused:UNUSED_PAD src0_sel:DWORD src1_sel:WORD_0
	v_and_b32_e32 v94, s78, v94
	v_lshlrev_b32_e32 v94, 2, v94
	ds_read_b32 v94, v94
	v_cmp_lt_i16_e64 s[36:37], -1, v20
	v_cndmask_b32_e64 v101, v66, -1, s[36:37]
	v_xor_b32_e32 v101, v101, v20
	s_waitcnt lgkmcnt(0)
	v_add_u32_e32 v20, v94, v2
	v_lshlrev_b64 v[20:21], 1, v[20:21]
	v_add_co_u32_e64 v20, s[36:37], s60, v20
	v_addc_co_u32_e64 v21, s[36:37], v97, v21, s[36:37]
	global_store_short v[20:21], v101, off
	s_or_b64 exec, exec, s[38:39]
	v_cmp_lt_u32_e64 s[36:37], v24, v93
	s_and_saveexec_b64 s[40:41], s[36:37]
	s_cbranch_execnz .LBB2050_621
.LBB2050_614:                           ;   in Loop: Header=BB2050_566 Depth=2
	s_or_b64 exec, exec, s[40:41]
	v_cmp_lt_u32_e64 s[38:39], v25, v93
	s_and_saveexec_b64 s[42:43], s[38:39]
	s_cbranch_execz .LBB2050_622
.LBB2050_615:                           ;   in Loop: Header=BB2050_566 Depth=2
	ds_read_u16 v20, v50 offset:1024
	v_mov_b32_e32 v21, v4
	v_mov_b32_e32 v97, s61
	s_waitcnt lgkmcnt(0)
	v_cmp_ne_u16_e64 s[40:41], s68, v20
	v_cndmask_b32_e64 v94, v66, v20, s[40:41]
	v_lshrrev_b32_sdwa v94, s69, v94 dst_sel:DWORD dst_unused:UNUSED_PAD src0_sel:DWORD src1_sel:WORD_0
	v_and_b32_e32 v94, s78, v94
	v_lshlrev_b32_e32 v94, 2, v94
	ds_read_b32 v94, v94
	v_cmp_lt_i16_e64 s[40:41], -1, v20
	v_cndmask_b32_e64 v101, v66, -1, s[40:41]
	v_xor_b32_e32 v101, v101, v20
	s_waitcnt lgkmcnt(0)
	v_add_u32_e32 v20, v94, v25
	v_lshlrev_b64 v[20:21], 1, v[20:21]
	v_add_co_u32_e64 v20, s[40:41], s60, v20
	v_addc_co_u32_e64 v21, s[40:41], v97, v21, s[40:41]
	global_store_short v[20:21], v101, off
	s_or_b64 exec, exec, s[42:43]
	v_cmp_lt_u32_e64 s[40:41], v26, v93
	s_and_saveexec_b64 s[44:45], s[40:41]
	s_cbranch_execnz .LBB2050_623
.LBB2050_616:                           ;   in Loop: Header=BB2050_566 Depth=2
	s_or_b64 exec, exec, s[44:45]
	v_cmp_lt_u32_e64 s[42:43], v29, v93
	s_and_saveexec_b64 s[46:47], s[42:43]
	s_cbranch_execz .LBB2050_624
.LBB2050_617:                           ;   in Loop: Header=BB2050_566 Depth=2
	ds_read_u16 v20, v50 offset:2048
	v_mov_b32_e32 v21, v4
	v_mov_b32_e32 v97, s61
	s_waitcnt lgkmcnt(0)
	v_cmp_ne_u16_e64 s[44:45], s68, v20
	v_cndmask_b32_e64 v94, v66, v20, s[44:45]
	v_lshrrev_b32_sdwa v94, s69, v94 dst_sel:DWORD dst_unused:UNUSED_PAD src0_sel:DWORD src1_sel:WORD_0
	v_and_b32_e32 v94, s78, v94
	v_lshlrev_b32_e32 v94, 2, v94
	ds_read_b32 v94, v94
	v_cmp_lt_i16_e64 s[44:45], -1, v20
	v_cndmask_b32_e64 v101, v66, -1, s[44:45]
	v_xor_b32_e32 v101, v101, v20
	s_waitcnt lgkmcnt(0)
	v_add_u32_e32 v20, v94, v29
	v_lshlrev_b64 v[20:21], 1, v[20:21]
	v_add_co_u32_e64 v20, s[44:45], s60, v20
	v_addc_co_u32_e64 v21, s[44:45], v97, v21, s[44:45]
	global_store_short v[20:21], v101, off
	s_or_b64 exec, exec, s[46:47]
	v_cmp_lt_u32_e64 s[44:45], v30, v93
	s_and_saveexec_b64 s[48:49], s[44:45]
	s_cbranch_execnz .LBB2050_625
.LBB2050_618:                           ;   in Loop: Header=BB2050_566 Depth=2
	s_or_b64 exec, exec, s[48:49]
	v_cmp_lt_u32_e64 s[46:47], v31, v93
	s_and_saveexec_b64 s[52:53], s[46:47]
	s_cbranch_execz .LBB2050_626
.LBB2050_619:                           ;   in Loop: Header=BB2050_566 Depth=2
	ds_read_u16 v20, v50 offset:3072
	v_mov_b32_e32 v21, v4
	v_mov_b32_e32 v97, s61
	s_waitcnt lgkmcnt(0)
	v_cmp_ne_u16_e64 s[48:49], s68, v20
	v_cndmask_b32_e64 v94, v66, v20, s[48:49]
	v_lshrrev_b32_sdwa v94, s69, v94 dst_sel:DWORD dst_unused:UNUSED_PAD src0_sel:DWORD src1_sel:WORD_0
	v_and_b32_e32 v94, s78, v94
	v_lshlrev_b32_e32 v94, 2, v94
	ds_read_b32 v94, v94
	v_cmp_lt_i16_e64 s[48:49], -1, v20
	v_cndmask_b32_e64 v101, v66, -1, s[48:49]
	v_xor_b32_e32 v101, v101, v20
	s_waitcnt lgkmcnt(0)
	v_add_u32_e32 v20, v94, v31
	v_lshlrev_b64 v[20:21], 1, v[20:21]
	v_add_co_u32_e64 v20, s[48:49], s60, v20
	v_addc_co_u32_e64 v21, s[48:49], v97, v21, s[48:49]
	global_store_short v[20:21], v101, off
	s_or_b64 exec, exec, s[52:53]
	v_cmp_lt_u32_e64 s[48:49], v32, v93
	s_and_saveexec_b64 s[62:63], s[48:49]
	s_cbranch_execnz .LBB2050_627
	s_branch .LBB2050_628
.LBB2050_620:                           ;   in Loop: Header=BB2050_566 Depth=2
	s_or_b64 exec, exec, s[38:39]
	v_cmp_lt_u32_e64 s[36:37], v24, v93
	s_and_saveexec_b64 s[40:41], s[36:37]
	s_cbranch_execz .LBB2050_614
.LBB2050_621:                           ;   in Loop: Header=BB2050_566 Depth=2
	ds_read_u16 v20, v50 offset:512
	v_mov_b32_e32 v21, v4
	v_mov_b32_e32 v97, s61
	s_waitcnt lgkmcnt(0)
	v_cmp_ne_u16_e64 s[38:39], s68, v20
	v_cndmask_b32_e64 v94, v66, v20, s[38:39]
	v_lshrrev_b32_sdwa v94, s69, v94 dst_sel:DWORD dst_unused:UNUSED_PAD src0_sel:DWORD src1_sel:WORD_0
	v_and_b32_e32 v94, s78, v94
	v_lshlrev_b32_e32 v94, 2, v94
	ds_read_b32 v94, v94
	v_cmp_lt_i16_e64 s[38:39], -1, v20
	v_cndmask_b32_e64 v101, v66, -1, s[38:39]
	v_xor_b32_e32 v101, v101, v20
	s_waitcnt lgkmcnt(0)
	v_add_u32_e32 v20, v94, v24
	v_lshlrev_b64 v[20:21], 1, v[20:21]
	v_add_co_u32_e64 v20, s[38:39], s60, v20
	v_addc_co_u32_e64 v21, s[38:39], v97, v21, s[38:39]
	global_store_short v[20:21], v101, off
	s_or_b64 exec, exec, s[40:41]
	v_cmp_lt_u32_e64 s[38:39], v25, v93
	s_and_saveexec_b64 s[42:43], s[38:39]
	s_cbranch_execnz .LBB2050_615
.LBB2050_622:                           ;   in Loop: Header=BB2050_566 Depth=2
	s_or_b64 exec, exec, s[42:43]
	v_cmp_lt_u32_e64 s[40:41], v26, v93
	s_and_saveexec_b64 s[44:45], s[40:41]
	s_cbranch_execz .LBB2050_616
.LBB2050_623:                           ;   in Loop: Header=BB2050_566 Depth=2
	ds_read_u16 v20, v50 offset:1536
	v_mov_b32_e32 v21, v4
	v_mov_b32_e32 v97, s61
	s_waitcnt lgkmcnt(0)
	v_cmp_ne_u16_e64 s[42:43], s68, v20
	v_cndmask_b32_e64 v94, v66, v20, s[42:43]
	v_lshrrev_b32_sdwa v94, s69, v94 dst_sel:DWORD dst_unused:UNUSED_PAD src0_sel:DWORD src1_sel:WORD_0
	v_and_b32_e32 v94, s78, v94
	v_lshlrev_b32_e32 v94, 2, v94
	ds_read_b32 v94, v94
	v_cmp_lt_i16_e64 s[42:43], -1, v20
	v_cndmask_b32_e64 v101, v66, -1, s[42:43]
	v_xor_b32_e32 v101, v101, v20
	s_waitcnt lgkmcnt(0)
	v_add_u32_e32 v20, v94, v26
	v_lshlrev_b64 v[20:21], 1, v[20:21]
	v_add_co_u32_e64 v20, s[42:43], s60, v20
	v_addc_co_u32_e64 v21, s[42:43], v97, v21, s[42:43]
	global_store_short v[20:21], v101, off
	s_or_b64 exec, exec, s[44:45]
	v_cmp_lt_u32_e64 s[42:43], v29, v93
	s_and_saveexec_b64 s[46:47], s[42:43]
	s_cbranch_execnz .LBB2050_617
.LBB2050_624:                           ;   in Loop: Header=BB2050_566 Depth=2
	s_or_b64 exec, exec, s[46:47]
	v_cmp_lt_u32_e64 s[44:45], v30, v93
	s_and_saveexec_b64 s[48:49], s[44:45]
	s_cbranch_execz .LBB2050_618
.LBB2050_625:                           ;   in Loop: Header=BB2050_566 Depth=2
	ds_read_u16 v20, v50 offset:2560
	v_mov_b32_e32 v21, v4
	v_mov_b32_e32 v97, s61
	s_waitcnt lgkmcnt(0)
	v_cmp_ne_u16_e64 s[46:47], s68, v20
	v_cndmask_b32_e64 v94, v66, v20, s[46:47]
	v_lshrrev_b32_sdwa v94, s69, v94 dst_sel:DWORD dst_unused:UNUSED_PAD src0_sel:DWORD src1_sel:WORD_0
	v_and_b32_e32 v94, s78, v94
	v_lshlrev_b32_e32 v94, 2, v94
	ds_read_b32 v94, v94
	v_cmp_lt_i16_e64 s[46:47], -1, v20
	v_cndmask_b32_e64 v101, v66, -1, s[46:47]
	v_xor_b32_e32 v101, v101, v20
	s_waitcnt lgkmcnt(0)
	v_add_u32_e32 v20, v94, v30
	v_lshlrev_b64 v[20:21], 1, v[20:21]
	v_add_co_u32_e64 v20, s[46:47], s60, v20
	v_addc_co_u32_e64 v21, s[46:47], v97, v21, s[46:47]
	global_store_short v[20:21], v101, off
	s_or_b64 exec, exec, s[48:49]
	v_cmp_lt_u32_e64 s[46:47], v31, v93
	s_and_saveexec_b64 s[52:53], s[46:47]
	s_cbranch_execnz .LBB2050_619
.LBB2050_626:                           ;   in Loop: Header=BB2050_566 Depth=2
	s_or_b64 exec, exec, s[52:53]
	v_cmp_lt_u32_e64 s[48:49], v32, v93
	s_and_saveexec_b64 s[62:63], s[48:49]
	s_cbranch_execz .LBB2050_628
.LBB2050_627:                           ;   in Loop: Header=BB2050_566 Depth=2
	ds_read_u16 v20, v50 offset:3584
	v_mov_b32_e32 v21, v4
	v_mov_b32_e32 v97, s61
	s_waitcnt lgkmcnt(0)
	v_cmp_ne_u16_e64 s[52:53], s68, v20
	v_cndmask_b32_e64 v94, v66, v20, s[52:53]
	v_lshrrev_b32_sdwa v94, s69, v94 dst_sel:DWORD dst_unused:UNUSED_PAD src0_sel:DWORD src1_sel:WORD_0
	v_and_b32_e32 v94, s78, v94
	v_lshlrev_b32_e32 v94, 2, v94
	ds_read_b32 v94, v94
	v_cmp_lt_i16_e64 s[52:53], -1, v20
	v_cndmask_b32_e64 v101, v66, -1, s[52:53]
	v_xor_b32_e32 v101, v101, v20
	s_waitcnt lgkmcnt(0)
	v_add_u32_e32 v20, v94, v32
	v_lshlrev_b64 v[20:21], 1, v[20:21]
	v_add_co_u32_e64 v20, s[52:53], s60, v20
	v_addc_co_u32_e64 v21, s[52:53], v97, v21, s[52:53]
	global_store_short v[20:21], v101, off
.LBB2050_628:                           ;   in Loop: Header=BB2050_566 Depth=2
	s_or_b64 exec, exec, s[62:63]
	s_lshl_b64 s[52:53], s[72:73], 3
	v_mov_b32_e32 v21, s53
	v_add_co_u32_e64 v20, s[52:53], s52, v77
	v_addc_co_u32_e64 v21, s[52:53], v79, v21, s[52:53]
	v_cmp_lt_u32_e64 s[52:53], v74, v93
	s_and_saveexec_b64 s[62:63], s[52:53]
	s_xor_b64 s[52:53], exec, s[62:63]
	s_cbranch_execz .LBB2050_644
; %bb.629:                              ;   in Loop: Header=BB2050_566 Depth=2
	global_load_dwordx2 v[18:19], v[20:21], off
	s_or_b64 exec, exec, s[52:53]
	v_cmp_lt_u32_e64 s[52:53], v81, v93
	s_and_saveexec_b64 s[62:63], s[52:53]
	s_cbranch_execnz .LBB2050_645
.LBB2050_630:                           ;   in Loop: Header=BB2050_566 Depth=2
	s_or_b64 exec, exec, s[62:63]
	v_cmp_lt_u32_e64 s[52:53], v82, v93
	s_and_saveexec_b64 s[62:63], s[52:53]
	s_cbranch_execz .LBB2050_646
.LBB2050_631:                           ;   in Loop: Header=BB2050_566 Depth=2
	global_load_dwordx2 v[14:15], v[20:21], off offset:1024
	s_or_b64 exec, exec, s[62:63]
	v_cmp_lt_u32_e64 s[52:53], v83, v93
	s_and_saveexec_b64 s[62:63], s[52:53]
	s_cbranch_execnz .LBB2050_647
.LBB2050_632:                           ;   in Loop: Header=BB2050_566 Depth=2
	s_or_b64 exec, exec, s[62:63]
	v_cmp_lt_u32_e64 s[52:53], v84, v93
	s_and_saveexec_b64 s[62:63], s[52:53]
	s_cbranch_execz .LBB2050_648
.LBB2050_633:                           ;   in Loop: Header=BB2050_566 Depth=2
	global_load_dwordx2 v[10:11], v[20:21], off offset:2048
	s_or_b64 exec, exec, s[62:63]
	v_cmp_lt_u32_e64 s[52:53], v85, v93
	s_and_saveexec_b64 s[62:63], s[52:53]
	s_cbranch_execnz .LBB2050_649
.LBB2050_634:                           ;   in Loop: Header=BB2050_566 Depth=2
	s_or_b64 exec, exec, s[62:63]
	v_cmp_lt_u32_e64 s[52:53], v86, v93
	s_and_saveexec_b64 s[62:63], s[52:53]
	s_cbranch_execz .LBB2050_650
.LBB2050_635:                           ;   in Loop: Header=BB2050_566 Depth=2
	global_load_dwordx2 v[6:7], v[20:21], off offset:3072
	s_or_b64 exec, exec, s[62:63]
	v_cmp_lt_u32_e64 s[52:53], v87, v93
	s_and_saveexec_b64 s[62:63], s[52:53]
	s_cbranch_execnz .LBB2050_651
.LBB2050_636:                           ;   in Loop: Header=BB2050_566 Depth=2
	s_or_b64 exec, exec, s[62:63]
	s_and_saveexec_b64 s[62:63], vcc
	s_cbranch_execz .LBB2050_652
.LBB2050_637:                           ;   in Loop: Header=BB2050_566 Depth=2
	ds_read_u16 v20, v49 offset:1024
	s_waitcnt lgkmcnt(0)
	v_cmp_ne_u16_e64 s[52:53], s68, v20
	v_cndmask_b32_e64 v20, v66, v20, s[52:53]
	v_lshrrev_b32_sdwa v20, s69, v20 dst_sel:DWORD dst_unused:UNUSED_PAD src0_sel:DWORD src1_sel:WORD_0
	v_and_b32_e32 v80, s78, v20
	s_or_b64 exec, exec, s[62:63]
	s_and_saveexec_b64 s[62:63], s[36:37]
	s_cbranch_execnz .LBB2050_653
.LBB2050_638:                           ;   in Loop: Header=BB2050_566 Depth=2
	s_or_b64 exec, exec, s[62:63]
	s_and_saveexec_b64 s[62:63], s[38:39]
	s_cbranch_execz .LBB2050_654
.LBB2050_639:                           ;   in Loop: Header=BB2050_566 Depth=2
	ds_read_u16 v20, v50 offset:1024
	s_waitcnt lgkmcnt(0)
	v_cmp_ne_u16_e64 s[52:53], s68, v20
	v_cndmask_b32_e64 v20, v66, v20, s[52:53]
	v_lshrrev_b32_sdwa v20, s69, v20 dst_sel:DWORD dst_unused:UNUSED_PAD src0_sel:DWORD src1_sel:WORD_0
	v_and_b32_e32 v76, s78, v20
	s_or_b64 exec, exec, s[62:63]
	s_and_saveexec_b64 s[62:63], s[40:41]
	s_cbranch_execnz .LBB2050_655
.LBB2050_640:                           ;   in Loop: Header=BB2050_566 Depth=2
	s_or_b64 exec, exec, s[62:63]
	s_and_saveexec_b64 s[62:63], s[42:43]
	s_cbranch_execz .LBB2050_656
.LBB2050_641:                           ;   in Loop: Header=BB2050_566 Depth=2
	ds_read_u16 v20, v50 offset:2048
	s_waitcnt lgkmcnt(0)
	v_cmp_ne_u16_e64 s[52:53], s68, v20
	v_cndmask_b32_e64 v20, v66, v20, s[52:53]
	v_lshrrev_b32_sdwa v20, s69, v20 dst_sel:DWORD dst_unused:UNUSED_PAD src0_sel:DWORD src1_sel:WORD_0
	v_and_b32_e32 v73, s78, v20
	s_or_b64 exec, exec, s[62:63]
	s_and_saveexec_b64 s[62:63], s[44:45]
	s_cbranch_execnz .LBB2050_657
.LBB2050_642:                           ;   in Loop: Header=BB2050_566 Depth=2
	s_or_b64 exec, exec, s[62:63]
	s_and_saveexec_b64 s[62:63], s[46:47]
	s_cbranch_execz .LBB2050_658
.LBB2050_643:                           ;   in Loop: Header=BB2050_566 Depth=2
	ds_read_u16 v20, v50 offset:3072
	s_waitcnt lgkmcnt(0)
	v_cmp_ne_u16_e64 s[52:53], s68, v20
	v_cndmask_b32_e64 v20, v66, v20, s[52:53]
	v_lshrrev_b32_sdwa v20, s69, v20 dst_sel:DWORD dst_unused:UNUSED_PAD src0_sel:DWORD src1_sel:WORD_0
	v_and_b32_e32 v71, s78, v20
	s_or_b64 exec, exec, s[62:63]
	s_and_saveexec_b64 s[62:63], s[48:49]
	s_cbranch_execnz .LBB2050_659
	s_branch .LBB2050_660
.LBB2050_644:                           ;   in Loop: Header=BB2050_566 Depth=2
	s_or_b64 exec, exec, s[52:53]
	v_cmp_lt_u32_e64 s[52:53], v81, v93
	s_and_saveexec_b64 s[62:63], s[52:53]
	s_cbranch_execz .LBB2050_630
.LBB2050_645:                           ;   in Loop: Header=BB2050_566 Depth=2
	global_load_dwordx2 v[16:17], v[20:21], off offset:512
	s_or_b64 exec, exec, s[62:63]
	v_cmp_lt_u32_e64 s[52:53], v82, v93
	s_and_saveexec_b64 s[62:63], s[52:53]
	s_cbranch_execnz .LBB2050_631
.LBB2050_646:                           ;   in Loop: Header=BB2050_566 Depth=2
	s_or_b64 exec, exec, s[62:63]
	v_cmp_lt_u32_e64 s[52:53], v83, v93
	s_and_saveexec_b64 s[62:63], s[52:53]
	s_cbranch_execz .LBB2050_632
.LBB2050_647:                           ;   in Loop: Header=BB2050_566 Depth=2
	global_load_dwordx2 v[12:13], v[20:21], off offset:1536
	s_or_b64 exec, exec, s[62:63]
	v_cmp_lt_u32_e64 s[52:53], v84, v93
	s_and_saveexec_b64 s[62:63], s[52:53]
	s_cbranch_execnz .LBB2050_633
.LBB2050_648:                           ;   in Loop: Header=BB2050_566 Depth=2
	s_or_b64 exec, exec, s[62:63]
	v_cmp_lt_u32_e64 s[52:53], v85, v93
	s_and_saveexec_b64 s[62:63], s[52:53]
	s_cbranch_execz .LBB2050_634
.LBB2050_649:                           ;   in Loop: Header=BB2050_566 Depth=2
	global_load_dwordx2 v[8:9], v[20:21], off offset:2560
	s_or_b64 exec, exec, s[62:63]
	v_cmp_lt_u32_e64 s[52:53], v86, v93
	s_and_saveexec_b64 s[62:63], s[52:53]
	s_cbranch_execnz .LBB2050_635
.LBB2050_650:                           ;   in Loop: Header=BB2050_566 Depth=2
	s_or_b64 exec, exec, s[62:63]
	v_cmp_lt_u32_e64 s[52:53], v87, v93
	s_and_saveexec_b64 s[62:63], s[52:53]
	s_cbranch_execz .LBB2050_636
.LBB2050_651:                           ;   in Loop: Header=BB2050_566 Depth=2
	global_load_dwordx2 v[0:1], v[20:21], off offset:3584
	s_or_b64 exec, exec, s[62:63]
	s_and_saveexec_b64 s[62:63], vcc
	s_cbranch_execnz .LBB2050_637
.LBB2050_652:                           ;   in Loop: Header=BB2050_566 Depth=2
	s_or_b64 exec, exec, s[62:63]
	s_and_saveexec_b64 s[62:63], s[36:37]
	s_cbranch_execz .LBB2050_638
.LBB2050_653:                           ;   in Loop: Header=BB2050_566 Depth=2
	ds_read_u16 v20, v50 offset:512
	s_waitcnt lgkmcnt(0)
	v_cmp_ne_u16_e64 s[52:53], s68, v20
	v_cndmask_b32_e64 v20, v66, v20, s[52:53]
	v_lshrrev_b32_sdwa v20, s69, v20 dst_sel:DWORD dst_unused:UNUSED_PAD src0_sel:DWORD src1_sel:WORD_0
	v_and_b32_e32 v78, s78, v20
	s_or_b64 exec, exec, s[62:63]
	s_and_saveexec_b64 s[62:63], s[38:39]
	s_cbranch_execnz .LBB2050_639
.LBB2050_654:                           ;   in Loop: Header=BB2050_566 Depth=2
	s_or_b64 exec, exec, s[62:63]
	s_and_saveexec_b64 s[62:63], s[40:41]
	s_cbranch_execz .LBB2050_640
.LBB2050_655:                           ;   in Loop: Header=BB2050_566 Depth=2
	ds_read_u16 v20, v50 offset:1536
	s_waitcnt lgkmcnt(0)
	v_cmp_ne_u16_e64 s[52:53], s68, v20
	v_cndmask_b32_e64 v20, v66, v20, s[52:53]
	v_lshrrev_b32_sdwa v20, s69, v20 dst_sel:DWORD dst_unused:UNUSED_PAD src0_sel:DWORD src1_sel:WORD_0
	v_and_b32_e32 v75, s78, v20
	s_or_b64 exec, exec, s[62:63]
	s_and_saveexec_b64 s[62:63], s[42:43]
	s_cbranch_execnz .LBB2050_641
.LBB2050_656:                           ;   in Loop: Header=BB2050_566 Depth=2
	s_or_b64 exec, exec, s[62:63]
	s_and_saveexec_b64 s[62:63], s[44:45]
	s_cbranch_execz .LBB2050_642
.LBB2050_657:                           ;   in Loop: Header=BB2050_566 Depth=2
	ds_read_u16 v20, v50 offset:2560
	s_waitcnt lgkmcnt(0)
	v_cmp_ne_u16_e64 s[52:53], s68, v20
	v_cndmask_b32_e64 v20, v66, v20, s[52:53]
	v_lshrrev_b32_sdwa v20, s69, v20 dst_sel:DWORD dst_unused:UNUSED_PAD src0_sel:DWORD src1_sel:WORD_0
	v_and_b32_e32 v72, s78, v20
	s_or_b64 exec, exec, s[62:63]
	s_and_saveexec_b64 s[62:63], s[46:47]
	s_cbranch_execnz .LBB2050_643
.LBB2050_658:                           ;   in Loop: Header=BB2050_566 Depth=2
	s_or_b64 exec, exec, s[62:63]
	s_and_saveexec_b64 s[62:63], s[48:49]
	s_cbranch_execz .LBB2050_660
.LBB2050_659:                           ;   in Loop: Header=BB2050_566 Depth=2
	ds_read_u16 v20, v50 offset:3584
	s_waitcnt lgkmcnt(0)
	v_cmp_ne_u16_e64 s[52:53], s68, v20
	v_cndmask_b32_e64 v20, v66, v20, s[52:53]
	v_lshrrev_b32_sdwa v20, s69, v20 dst_sel:DWORD dst_unused:UNUSED_PAD src0_sel:DWORD src1_sel:WORD_0
	v_and_b32_e32 v70, s78, v20
.LBB2050_660:                           ;   in Loop: Header=BB2050_566 Depth=2
	s_or_b64 exec, exec, s[62:63]
	v_lshlrev_b32_e32 v20, 3, v103
	s_barrier
	s_waitcnt vmcnt(0)
	ds_write_b64 v20, v[18:19] offset:1024
	v_lshlrev_b32_e32 v20, 3, v100
	ds_write_b64 v20, v[16:17] offset:1024
	v_lshlrev_b32_e32 v20, 3, v99
	;; [unrolled: 2-line block ×7, first 2 shown]
	ds_write_b64 v20, v[0:1] offset:1024
	s_waitcnt lgkmcnt(0)
	s_barrier
	s_and_saveexec_b64 s[52:53], vcc
	s_cbranch_execz .LBB2050_668
; %bb.661:                              ;   in Loop: Header=BB2050_566 Depth=2
	v_lshlrev_b32_e32 v20, 2, v80
	ds_read_b32 v20, v20
	v_add_u32_e32 v22, v49, v51
	ds_read_b64 v[22:23], v22 offset:1024
	v_mov_b32_e32 v21, v4
	v_mov_b32_e32 v93, s67
	s_waitcnt lgkmcnt(1)
	v_add_u32_e32 v20, v20, v2
	v_lshlrev_b64 v[20:21], 3, v[20:21]
	v_add_co_u32_e32 v20, vcc, s66, v20
	v_addc_co_u32_e32 v21, vcc, v93, v21, vcc
	s_waitcnt lgkmcnt(0)
	global_store_dwordx2 v[20:21], v[22:23], off
	s_or_b64 exec, exec, s[52:53]
	v_add_u32_e32 v20, v50, v51
	s_and_saveexec_b64 s[52:53], s[36:37]
	s_cbranch_execnz .LBB2050_669
.LBB2050_662:                           ;   in Loop: Header=BB2050_566 Depth=2
	s_or_b64 exec, exec, s[52:53]
	s_and_saveexec_b64 s[36:37], s[38:39]
	s_cbranch_execz .LBB2050_670
.LBB2050_663:                           ;   in Loop: Header=BB2050_566 Depth=2
	v_lshlrev_b32_e32 v21, 2, v76
	ds_read_b32 v21, v21
	ds_read_b64 v[22:23], v20 offset:4096
	v_mov_b32_e32 v95, v4
	v_mov_b32_e32 v93, s67
	s_waitcnt lgkmcnt(1)
	v_add_u32_e32 v94, v21, v25
	v_lshlrev_b64 v[94:95], 3, v[94:95]
	v_add_co_u32_e32 v94, vcc, s66, v94
	v_addc_co_u32_e32 v95, vcc, v93, v95, vcc
	s_waitcnt lgkmcnt(0)
	global_store_dwordx2 v[94:95], v[22:23], off
	s_or_b64 exec, exec, s[36:37]
	s_and_saveexec_b64 s[36:37], s[40:41]
	s_cbranch_execnz .LBB2050_671
.LBB2050_664:                           ;   in Loop: Header=BB2050_566 Depth=2
	s_or_b64 exec, exec, s[36:37]
	s_and_saveexec_b64 s[36:37], s[42:43]
	s_cbranch_execz .LBB2050_672
.LBB2050_665:                           ;   in Loop: Header=BB2050_566 Depth=2
	v_lshlrev_b32_e32 v21, 2, v73
	ds_read_b32 v21, v21
	ds_read_b64 v[22:23], v20 offset:8192
	v_mov_b32_e32 v95, v4
	v_mov_b32_e32 v93, s67
	s_waitcnt lgkmcnt(1)
	v_add_u32_e32 v94, v21, v29
	v_lshlrev_b64 v[94:95], 3, v[94:95]
	v_add_co_u32_e32 v94, vcc, s66, v94
	v_addc_co_u32_e32 v95, vcc, v93, v95, vcc
	s_waitcnt lgkmcnt(0)
	global_store_dwordx2 v[94:95], v[22:23], off
	s_or_b64 exec, exec, s[36:37]
	s_and_saveexec_b64 s[36:37], s[44:45]
	s_cbranch_execnz .LBB2050_673
.LBB2050_666:                           ;   in Loop: Header=BB2050_566 Depth=2
	s_or_b64 exec, exec, s[36:37]
	s_and_saveexec_b64 s[36:37], s[46:47]
	s_cbranch_execz .LBB2050_674
.LBB2050_667:                           ;   in Loop: Header=BB2050_566 Depth=2
	v_lshlrev_b32_e32 v21, 2, v71
	ds_read_b32 v21, v21
	ds_read_b64 v[22:23], v20 offset:12288
	v_mov_b32_e32 v95, v4
	v_mov_b32_e32 v93, s67
	s_waitcnt lgkmcnt(1)
	v_add_u32_e32 v94, v21, v31
	v_lshlrev_b64 v[94:95], 3, v[94:95]
	v_add_co_u32_e32 v94, vcc, s66, v94
	v_addc_co_u32_e32 v95, vcc, v93, v95, vcc
	s_waitcnt lgkmcnt(0)
	global_store_dwordx2 v[94:95], v[22:23], off
	s_or_b64 exec, exec, s[36:37]
	s_and_saveexec_b64 s[36:37], s[48:49]
	s_cbranch_execnz .LBB2050_675
	s_branch .LBB2050_676
.LBB2050_668:                           ;   in Loop: Header=BB2050_566 Depth=2
	s_or_b64 exec, exec, s[52:53]
	v_add_u32_e32 v20, v50, v51
	s_and_saveexec_b64 s[52:53], s[36:37]
	s_cbranch_execz .LBB2050_662
.LBB2050_669:                           ;   in Loop: Header=BB2050_566 Depth=2
	v_lshlrev_b32_e32 v21, 2, v78
	ds_read_b32 v21, v21
	ds_read_b64 v[22:23], v20 offset:2048
	v_mov_b32_e32 v95, v4
	v_mov_b32_e32 v93, s67
	s_waitcnt lgkmcnt(1)
	v_add_u32_e32 v94, v21, v24
	v_lshlrev_b64 v[94:95], 3, v[94:95]
	v_add_co_u32_e32 v94, vcc, s66, v94
	v_addc_co_u32_e32 v95, vcc, v93, v95, vcc
	s_waitcnt lgkmcnt(0)
	global_store_dwordx2 v[94:95], v[22:23], off
	s_or_b64 exec, exec, s[52:53]
	s_and_saveexec_b64 s[36:37], s[38:39]
	s_cbranch_execnz .LBB2050_663
.LBB2050_670:                           ;   in Loop: Header=BB2050_566 Depth=2
	s_or_b64 exec, exec, s[36:37]
	s_and_saveexec_b64 s[36:37], s[40:41]
	s_cbranch_execz .LBB2050_664
.LBB2050_671:                           ;   in Loop: Header=BB2050_566 Depth=2
	v_lshlrev_b32_e32 v21, 2, v75
	ds_read_b32 v21, v21
	ds_read_b64 v[22:23], v20 offset:6144
	v_mov_b32_e32 v95, v4
	v_mov_b32_e32 v93, s67
	s_waitcnt lgkmcnt(1)
	v_add_u32_e32 v94, v21, v26
	v_lshlrev_b64 v[94:95], 3, v[94:95]
	v_add_co_u32_e32 v94, vcc, s66, v94
	v_addc_co_u32_e32 v95, vcc, v93, v95, vcc
	s_waitcnt lgkmcnt(0)
	global_store_dwordx2 v[94:95], v[22:23], off
	s_or_b64 exec, exec, s[36:37]
	s_and_saveexec_b64 s[36:37], s[42:43]
	s_cbranch_execnz .LBB2050_665
.LBB2050_672:                           ;   in Loop: Header=BB2050_566 Depth=2
	s_or_b64 exec, exec, s[36:37]
	s_and_saveexec_b64 s[36:37], s[44:45]
	s_cbranch_execz .LBB2050_666
.LBB2050_673:                           ;   in Loop: Header=BB2050_566 Depth=2
	v_lshlrev_b32_e32 v21, 2, v72
	ds_read_b32 v21, v21
	ds_read_b64 v[22:23], v20 offset:10240
	v_mov_b32_e32 v95, v4
	v_mov_b32_e32 v93, s67
	s_waitcnt lgkmcnt(1)
	v_add_u32_e32 v94, v21, v30
	v_lshlrev_b64 v[94:95], 3, v[94:95]
	v_add_co_u32_e32 v94, vcc, s66, v94
	v_addc_co_u32_e32 v95, vcc, v93, v95, vcc
	s_waitcnt lgkmcnt(0)
	global_store_dwordx2 v[94:95], v[22:23], off
	s_or_b64 exec, exec, s[36:37]
	s_and_saveexec_b64 s[36:37], s[46:47]
	s_cbranch_execnz .LBB2050_667
.LBB2050_674:                           ;   in Loop: Header=BB2050_566 Depth=2
	s_or_b64 exec, exec, s[36:37]
	s_and_saveexec_b64 s[36:37], s[48:49]
	s_cbranch_execz .LBB2050_676
.LBB2050_675:                           ;   in Loop: Header=BB2050_566 Depth=2
	v_lshlrev_b32_e32 v21, 2, v70
	ds_read_b32 v22, v21
	ds_read_b64 v[20:21], v20 offset:14336
	v_mov_b32_e32 v23, v4
	v_mov_b32_e32 v93, s67
	s_waitcnt lgkmcnt(1)
	v_add_u32_e32 v22, v22, v32
	v_lshlrev_b64 v[22:23], 3, v[22:23]
	v_add_co_u32_e32 v22, vcc, s66, v22
	v_addc_co_u32_e32 v23, vcc, v93, v23, vcc
	s_waitcnt lgkmcnt(0)
	global_store_dwordx2 v[22:23], v[20:21], off
.LBB2050_676:                           ;   in Loop: Header=BB2050_566 Depth=2
	s_or_b64 exec, exec, s[36:37]
	s_barrier
	s_and_saveexec_b64 s[36:37], s[4:5]
	s_cbranch_execz .LBB2050_565
; %bb.677:                              ;   in Loop: Header=BB2050_566 Depth=2
	ds_read_b32 v20, v3
	s_waitcnt lgkmcnt(0)
	v_add_u32_e32 v5, v20, v5
	ds_write_b32 v3, v5
	s_branch .LBB2050_565
.LBB2050_678:
	s_endpgm
	.section	.rodata,"a",@progbits
	.p2align	6, 0x0
	.amdhsa_kernel _ZN7rocprim17ROCPRIM_400000_NS6detail17trampoline_kernelINS0_14default_configENS1_36segmented_radix_sort_config_selectorI12hip_bfloat16lEEZNS1_25segmented_radix_sort_implIS3_Lb0EPKS5_PS5_PKlPlN2at6native12_GLOBAL__N_18offset_tEEE10hipError_tPvRmT1_PNSt15iterator_traitsISL_E10value_typeET2_T3_PNSM_ISR_E10value_typeET4_jRbjT5_SX_jjP12ihipStream_tbEUlT_E_NS1_11comp_targetILNS1_3genE4ELNS1_11target_archE910ELNS1_3gpuE8ELNS1_3repE0EEENS1_30default_config_static_selectorELNS0_4arch9wavefront6targetE1EEEvSL_
		.amdhsa_group_segment_fixed_size 17424
		.amdhsa_private_segment_fixed_size 8
		.amdhsa_kernarg_size 352
		.amdhsa_user_sgpr_count 8
		.amdhsa_user_sgpr_private_segment_buffer 1
		.amdhsa_user_sgpr_dispatch_ptr 0
		.amdhsa_user_sgpr_queue_ptr 0
		.amdhsa_user_sgpr_kernarg_segment_ptr 1
		.amdhsa_user_sgpr_dispatch_id 0
		.amdhsa_user_sgpr_flat_scratch_init 1
		.amdhsa_user_sgpr_kernarg_preload_length 0
		.amdhsa_user_sgpr_kernarg_preload_offset 0
		.amdhsa_user_sgpr_private_segment_size 0
		.amdhsa_uses_dynamic_stack 0
		.amdhsa_system_sgpr_private_segment_wavefront_offset 1
		.amdhsa_system_sgpr_workgroup_id_x 1
		.amdhsa_system_sgpr_workgroup_id_y 1
		.amdhsa_system_sgpr_workgroup_id_z 0
		.amdhsa_system_sgpr_workgroup_info 0
		.amdhsa_system_vgpr_workitem_id 2
		.amdhsa_next_free_vgpr 178
		.amdhsa_next_free_sgpr 81
		.amdhsa_accum_offset 180
		.amdhsa_reserve_vcc 1
		.amdhsa_reserve_flat_scratch 1
		.amdhsa_float_round_mode_32 0
		.amdhsa_float_round_mode_16_64 0
		.amdhsa_float_denorm_mode_32 3
		.amdhsa_float_denorm_mode_16_64 3
		.amdhsa_dx10_clamp 1
		.amdhsa_ieee_mode 1
		.amdhsa_fp16_overflow 0
		.amdhsa_tg_split 0
		.amdhsa_exception_fp_ieee_invalid_op 0
		.amdhsa_exception_fp_denorm_src 0
		.amdhsa_exception_fp_ieee_div_zero 0
		.amdhsa_exception_fp_ieee_overflow 0
		.amdhsa_exception_fp_ieee_underflow 0
		.amdhsa_exception_fp_ieee_inexact 0
		.amdhsa_exception_int_div_zero 0
	.end_amdhsa_kernel
	.section	.text._ZN7rocprim17ROCPRIM_400000_NS6detail17trampoline_kernelINS0_14default_configENS1_36segmented_radix_sort_config_selectorI12hip_bfloat16lEEZNS1_25segmented_radix_sort_implIS3_Lb0EPKS5_PS5_PKlPlN2at6native12_GLOBAL__N_18offset_tEEE10hipError_tPvRmT1_PNSt15iterator_traitsISL_E10value_typeET2_T3_PNSM_ISR_E10value_typeET4_jRbjT5_SX_jjP12ihipStream_tbEUlT_E_NS1_11comp_targetILNS1_3genE4ELNS1_11target_archE910ELNS1_3gpuE8ELNS1_3repE0EEENS1_30default_config_static_selectorELNS0_4arch9wavefront6targetE1EEEvSL_,"axG",@progbits,_ZN7rocprim17ROCPRIM_400000_NS6detail17trampoline_kernelINS0_14default_configENS1_36segmented_radix_sort_config_selectorI12hip_bfloat16lEEZNS1_25segmented_radix_sort_implIS3_Lb0EPKS5_PS5_PKlPlN2at6native12_GLOBAL__N_18offset_tEEE10hipError_tPvRmT1_PNSt15iterator_traitsISL_E10value_typeET2_T3_PNSM_ISR_E10value_typeET4_jRbjT5_SX_jjP12ihipStream_tbEUlT_E_NS1_11comp_targetILNS1_3genE4ELNS1_11target_archE910ELNS1_3gpuE8ELNS1_3repE0EEENS1_30default_config_static_selectorELNS0_4arch9wavefront6targetE1EEEvSL_,comdat
.Lfunc_end2050:
	.size	_ZN7rocprim17ROCPRIM_400000_NS6detail17trampoline_kernelINS0_14default_configENS1_36segmented_radix_sort_config_selectorI12hip_bfloat16lEEZNS1_25segmented_radix_sort_implIS3_Lb0EPKS5_PS5_PKlPlN2at6native12_GLOBAL__N_18offset_tEEE10hipError_tPvRmT1_PNSt15iterator_traitsISL_E10value_typeET2_T3_PNSM_ISR_E10value_typeET4_jRbjT5_SX_jjP12ihipStream_tbEUlT_E_NS1_11comp_targetILNS1_3genE4ELNS1_11target_archE910ELNS1_3gpuE8ELNS1_3repE0EEENS1_30default_config_static_selectorELNS0_4arch9wavefront6targetE1EEEvSL_, .Lfunc_end2050-_ZN7rocprim17ROCPRIM_400000_NS6detail17trampoline_kernelINS0_14default_configENS1_36segmented_radix_sort_config_selectorI12hip_bfloat16lEEZNS1_25segmented_radix_sort_implIS3_Lb0EPKS5_PS5_PKlPlN2at6native12_GLOBAL__N_18offset_tEEE10hipError_tPvRmT1_PNSt15iterator_traitsISL_E10value_typeET2_T3_PNSM_ISR_E10value_typeET4_jRbjT5_SX_jjP12ihipStream_tbEUlT_E_NS1_11comp_targetILNS1_3genE4ELNS1_11target_archE910ELNS1_3gpuE8ELNS1_3repE0EEENS1_30default_config_static_selectorELNS0_4arch9wavefront6targetE1EEEvSL_
                                        ; -- End function
	.section	.AMDGPU.csdata,"",@progbits
; Kernel info:
; codeLenInByte = 38496
; NumSgprs: 87
; NumVgprs: 178
; NumAgprs: 0
; TotalNumVgprs: 178
; ScratchSize: 8
; MemoryBound: 0
; FloatMode: 240
; IeeeMode: 1
; LDSByteSize: 17424 bytes/workgroup (compile time only)
; SGPRBlocks: 10
; VGPRBlocks: 22
; NumSGPRsForWavesPerEU: 87
; NumVGPRsForWavesPerEU: 178
; AccumOffset: 180
; Occupancy: 2
; WaveLimiterHint : 1
; COMPUTE_PGM_RSRC2:SCRATCH_EN: 1
; COMPUTE_PGM_RSRC2:USER_SGPR: 8
; COMPUTE_PGM_RSRC2:TRAP_HANDLER: 0
; COMPUTE_PGM_RSRC2:TGID_X_EN: 1
; COMPUTE_PGM_RSRC2:TGID_Y_EN: 1
; COMPUTE_PGM_RSRC2:TGID_Z_EN: 0
; COMPUTE_PGM_RSRC2:TIDIG_COMP_CNT: 2
; COMPUTE_PGM_RSRC3_GFX90A:ACCUM_OFFSET: 44
; COMPUTE_PGM_RSRC3_GFX90A:TG_SPLIT: 0
	.section	.text._ZN7rocprim17ROCPRIM_400000_NS6detail17trampoline_kernelINS0_14default_configENS1_36segmented_radix_sort_config_selectorI12hip_bfloat16lEEZNS1_25segmented_radix_sort_implIS3_Lb0EPKS5_PS5_PKlPlN2at6native12_GLOBAL__N_18offset_tEEE10hipError_tPvRmT1_PNSt15iterator_traitsISL_E10value_typeET2_T3_PNSM_ISR_E10value_typeET4_jRbjT5_SX_jjP12ihipStream_tbEUlT_E_NS1_11comp_targetILNS1_3genE3ELNS1_11target_archE908ELNS1_3gpuE7ELNS1_3repE0EEENS1_30default_config_static_selectorELNS0_4arch9wavefront6targetE1EEEvSL_,"axG",@progbits,_ZN7rocprim17ROCPRIM_400000_NS6detail17trampoline_kernelINS0_14default_configENS1_36segmented_radix_sort_config_selectorI12hip_bfloat16lEEZNS1_25segmented_radix_sort_implIS3_Lb0EPKS5_PS5_PKlPlN2at6native12_GLOBAL__N_18offset_tEEE10hipError_tPvRmT1_PNSt15iterator_traitsISL_E10value_typeET2_T3_PNSM_ISR_E10value_typeET4_jRbjT5_SX_jjP12ihipStream_tbEUlT_E_NS1_11comp_targetILNS1_3genE3ELNS1_11target_archE908ELNS1_3gpuE7ELNS1_3repE0EEENS1_30default_config_static_selectorELNS0_4arch9wavefront6targetE1EEEvSL_,comdat
	.globl	_ZN7rocprim17ROCPRIM_400000_NS6detail17trampoline_kernelINS0_14default_configENS1_36segmented_radix_sort_config_selectorI12hip_bfloat16lEEZNS1_25segmented_radix_sort_implIS3_Lb0EPKS5_PS5_PKlPlN2at6native12_GLOBAL__N_18offset_tEEE10hipError_tPvRmT1_PNSt15iterator_traitsISL_E10value_typeET2_T3_PNSM_ISR_E10value_typeET4_jRbjT5_SX_jjP12ihipStream_tbEUlT_E_NS1_11comp_targetILNS1_3genE3ELNS1_11target_archE908ELNS1_3gpuE7ELNS1_3repE0EEENS1_30default_config_static_selectorELNS0_4arch9wavefront6targetE1EEEvSL_ ; -- Begin function _ZN7rocprim17ROCPRIM_400000_NS6detail17trampoline_kernelINS0_14default_configENS1_36segmented_radix_sort_config_selectorI12hip_bfloat16lEEZNS1_25segmented_radix_sort_implIS3_Lb0EPKS5_PS5_PKlPlN2at6native12_GLOBAL__N_18offset_tEEE10hipError_tPvRmT1_PNSt15iterator_traitsISL_E10value_typeET2_T3_PNSM_ISR_E10value_typeET4_jRbjT5_SX_jjP12ihipStream_tbEUlT_E_NS1_11comp_targetILNS1_3genE3ELNS1_11target_archE908ELNS1_3gpuE7ELNS1_3repE0EEENS1_30default_config_static_selectorELNS0_4arch9wavefront6targetE1EEEvSL_
	.p2align	8
	.type	_ZN7rocprim17ROCPRIM_400000_NS6detail17trampoline_kernelINS0_14default_configENS1_36segmented_radix_sort_config_selectorI12hip_bfloat16lEEZNS1_25segmented_radix_sort_implIS3_Lb0EPKS5_PS5_PKlPlN2at6native12_GLOBAL__N_18offset_tEEE10hipError_tPvRmT1_PNSt15iterator_traitsISL_E10value_typeET2_T3_PNSM_ISR_E10value_typeET4_jRbjT5_SX_jjP12ihipStream_tbEUlT_E_NS1_11comp_targetILNS1_3genE3ELNS1_11target_archE908ELNS1_3gpuE7ELNS1_3repE0EEENS1_30default_config_static_selectorELNS0_4arch9wavefront6targetE1EEEvSL_,@function
_ZN7rocprim17ROCPRIM_400000_NS6detail17trampoline_kernelINS0_14default_configENS1_36segmented_radix_sort_config_selectorI12hip_bfloat16lEEZNS1_25segmented_radix_sort_implIS3_Lb0EPKS5_PS5_PKlPlN2at6native12_GLOBAL__N_18offset_tEEE10hipError_tPvRmT1_PNSt15iterator_traitsISL_E10value_typeET2_T3_PNSM_ISR_E10value_typeET4_jRbjT5_SX_jjP12ihipStream_tbEUlT_E_NS1_11comp_targetILNS1_3genE3ELNS1_11target_archE908ELNS1_3gpuE7ELNS1_3repE0EEENS1_30default_config_static_selectorELNS0_4arch9wavefront6targetE1EEEvSL_: ; @_ZN7rocprim17ROCPRIM_400000_NS6detail17trampoline_kernelINS0_14default_configENS1_36segmented_radix_sort_config_selectorI12hip_bfloat16lEEZNS1_25segmented_radix_sort_implIS3_Lb0EPKS5_PS5_PKlPlN2at6native12_GLOBAL__N_18offset_tEEE10hipError_tPvRmT1_PNSt15iterator_traitsISL_E10value_typeET2_T3_PNSM_ISR_E10value_typeET4_jRbjT5_SX_jjP12ihipStream_tbEUlT_E_NS1_11comp_targetILNS1_3genE3ELNS1_11target_archE908ELNS1_3gpuE7ELNS1_3repE0EEENS1_30default_config_static_selectorELNS0_4arch9wavefront6targetE1EEEvSL_
; %bb.0:
	.section	.rodata,"a",@progbits
	.p2align	6, 0x0
	.amdhsa_kernel _ZN7rocprim17ROCPRIM_400000_NS6detail17trampoline_kernelINS0_14default_configENS1_36segmented_radix_sort_config_selectorI12hip_bfloat16lEEZNS1_25segmented_radix_sort_implIS3_Lb0EPKS5_PS5_PKlPlN2at6native12_GLOBAL__N_18offset_tEEE10hipError_tPvRmT1_PNSt15iterator_traitsISL_E10value_typeET2_T3_PNSM_ISR_E10value_typeET4_jRbjT5_SX_jjP12ihipStream_tbEUlT_E_NS1_11comp_targetILNS1_3genE3ELNS1_11target_archE908ELNS1_3gpuE7ELNS1_3repE0EEENS1_30default_config_static_selectorELNS0_4arch9wavefront6targetE1EEEvSL_
		.amdhsa_group_segment_fixed_size 0
		.amdhsa_private_segment_fixed_size 0
		.amdhsa_kernarg_size 96
		.amdhsa_user_sgpr_count 6
		.amdhsa_user_sgpr_private_segment_buffer 1
		.amdhsa_user_sgpr_dispatch_ptr 0
		.amdhsa_user_sgpr_queue_ptr 0
		.amdhsa_user_sgpr_kernarg_segment_ptr 1
		.amdhsa_user_sgpr_dispatch_id 0
		.amdhsa_user_sgpr_flat_scratch_init 0
		.amdhsa_user_sgpr_kernarg_preload_length 0
		.amdhsa_user_sgpr_kernarg_preload_offset 0
		.amdhsa_user_sgpr_private_segment_size 0
		.amdhsa_uses_dynamic_stack 0
		.amdhsa_system_sgpr_private_segment_wavefront_offset 0
		.amdhsa_system_sgpr_workgroup_id_x 1
		.amdhsa_system_sgpr_workgroup_id_y 0
		.amdhsa_system_sgpr_workgroup_id_z 0
		.amdhsa_system_sgpr_workgroup_info 0
		.amdhsa_system_vgpr_workitem_id 0
		.amdhsa_next_free_vgpr 1
		.amdhsa_next_free_sgpr 0
		.amdhsa_accum_offset 4
		.amdhsa_reserve_vcc 0
		.amdhsa_reserve_flat_scratch 0
		.amdhsa_float_round_mode_32 0
		.amdhsa_float_round_mode_16_64 0
		.amdhsa_float_denorm_mode_32 3
		.amdhsa_float_denorm_mode_16_64 3
		.amdhsa_dx10_clamp 1
		.amdhsa_ieee_mode 1
		.amdhsa_fp16_overflow 0
		.amdhsa_tg_split 0
		.amdhsa_exception_fp_ieee_invalid_op 0
		.amdhsa_exception_fp_denorm_src 0
		.amdhsa_exception_fp_ieee_div_zero 0
		.amdhsa_exception_fp_ieee_overflow 0
		.amdhsa_exception_fp_ieee_underflow 0
		.amdhsa_exception_fp_ieee_inexact 0
		.amdhsa_exception_int_div_zero 0
	.end_amdhsa_kernel
	.section	.text._ZN7rocprim17ROCPRIM_400000_NS6detail17trampoline_kernelINS0_14default_configENS1_36segmented_radix_sort_config_selectorI12hip_bfloat16lEEZNS1_25segmented_radix_sort_implIS3_Lb0EPKS5_PS5_PKlPlN2at6native12_GLOBAL__N_18offset_tEEE10hipError_tPvRmT1_PNSt15iterator_traitsISL_E10value_typeET2_T3_PNSM_ISR_E10value_typeET4_jRbjT5_SX_jjP12ihipStream_tbEUlT_E_NS1_11comp_targetILNS1_3genE3ELNS1_11target_archE908ELNS1_3gpuE7ELNS1_3repE0EEENS1_30default_config_static_selectorELNS0_4arch9wavefront6targetE1EEEvSL_,"axG",@progbits,_ZN7rocprim17ROCPRIM_400000_NS6detail17trampoline_kernelINS0_14default_configENS1_36segmented_radix_sort_config_selectorI12hip_bfloat16lEEZNS1_25segmented_radix_sort_implIS3_Lb0EPKS5_PS5_PKlPlN2at6native12_GLOBAL__N_18offset_tEEE10hipError_tPvRmT1_PNSt15iterator_traitsISL_E10value_typeET2_T3_PNSM_ISR_E10value_typeET4_jRbjT5_SX_jjP12ihipStream_tbEUlT_E_NS1_11comp_targetILNS1_3genE3ELNS1_11target_archE908ELNS1_3gpuE7ELNS1_3repE0EEENS1_30default_config_static_selectorELNS0_4arch9wavefront6targetE1EEEvSL_,comdat
.Lfunc_end2051:
	.size	_ZN7rocprim17ROCPRIM_400000_NS6detail17trampoline_kernelINS0_14default_configENS1_36segmented_radix_sort_config_selectorI12hip_bfloat16lEEZNS1_25segmented_radix_sort_implIS3_Lb0EPKS5_PS5_PKlPlN2at6native12_GLOBAL__N_18offset_tEEE10hipError_tPvRmT1_PNSt15iterator_traitsISL_E10value_typeET2_T3_PNSM_ISR_E10value_typeET4_jRbjT5_SX_jjP12ihipStream_tbEUlT_E_NS1_11comp_targetILNS1_3genE3ELNS1_11target_archE908ELNS1_3gpuE7ELNS1_3repE0EEENS1_30default_config_static_selectorELNS0_4arch9wavefront6targetE1EEEvSL_, .Lfunc_end2051-_ZN7rocprim17ROCPRIM_400000_NS6detail17trampoline_kernelINS0_14default_configENS1_36segmented_radix_sort_config_selectorI12hip_bfloat16lEEZNS1_25segmented_radix_sort_implIS3_Lb0EPKS5_PS5_PKlPlN2at6native12_GLOBAL__N_18offset_tEEE10hipError_tPvRmT1_PNSt15iterator_traitsISL_E10value_typeET2_T3_PNSM_ISR_E10value_typeET4_jRbjT5_SX_jjP12ihipStream_tbEUlT_E_NS1_11comp_targetILNS1_3genE3ELNS1_11target_archE908ELNS1_3gpuE7ELNS1_3repE0EEENS1_30default_config_static_selectorELNS0_4arch9wavefront6targetE1EEEvSL_
                                        ; -- End function
	.section	.AMDGPU.csdata,"",@progbits
; Kernel info:
; codeLenInByte = 0
; NumSgprs: 4
; NumVgprs: 0
; NumAgprs: 0
; TotalNumVgprs: 0
; ScratchSize: 0
; MemoryBound: 0
; FloatMode: 240
; IeeeMode: 1
; LDSByteSize: 0 bytes/workgroup (compile time only)
; SGPRBlocks: 0
; VGPRBlocks: 0
; NumSGPRsForWavesPerEU: 4
; NumVGPRsForWavesPerEU: 1
; AccumOffset: 4
; Occupancy: 8
; WaveLimiterHint : 0
; COMPUTE_PGM_RSRC2:SCRATCH_EN: 0
; COMPUTE_PGM_RSRC2:USER_SGPR: 6
; COMPUTE_PGM_RSRC2:TRAP_HANDLER: 0
; COMPUTE_PGM_RSRC2:TGID_X_EN: 1
; COMPUTE_PGM_RSRC2:TGID_Y_EN: 0
; COMPUTE_PGM_RSRC2:TGID_Z_EN: 0
; COMPUTE_PGM_RSRC2:TIDIG_COMP_CNT: 0
; COMPUTE_PGM_RSRC3_GFX90A:ACCUM_OFFSET: 0
; COMPUTE_PGM_RSRC3_GFX90A:TG_SPLIT: 0
	.section	.text._ZN7rocprim17ROCPRIM_400000_NS6detail17trampoline_kernelINS0_14default_configENS1_36segmented_radix_sort_config_selectorI12hip_bfloat16lEEZNS1_25segmented_radix_sort_implIS3_Lb0EPKS5_PS5_PKlPlN2at6native12_GLOBAL__N_18offset_tEEE10hipError_tPvRmT1_PNSt15iterator_traitsISL_E10value_typeET2_T3_PNSM_ISR_E10value_typeET4_jRbjT5_SX_jjP12ihipStream_tbEUlT_E_NS1_11comp_targetILNS1_3genE2ELNS1_11target_archE906ELNS1_3gpuE6ELNS1_3repE0EEENS1_30default_config_static_selectorELNS0_4arch9wavefront6targetE1EEEvSL_,"axG",@progbits,_ZN7rocprim17ROCPRIM_400000_NS6detail17trampoline_kernelINS0_14default_configENS1_36segmented_radix_sort_config_selectorI12hip_bfloat16lEEZNS1_25segmented_radix_sort_implIS3_Lb0EPKS5_PS5_PKlPlN2at6native12_GLOBAL__N_18offset_tEEE10hipError_tPvRmT1_PNSt15iterator_traitsISL_E10value_typeET2_T3_PNSM_ISR_E10value_typeET4_jRbjT5_SX_jjP12ihipStream_tbEUlT_E_NS1_11comp_targetILNS1_3genE2ELNS1_11target_archE906ELNS1_3gpuE6ELNS1_3repE0EEENS1_30default_config_static_selectorELNS0_4arch9wavefront6targetE1EEEvSL_,comdat
	.globl	_ZN7rocprim17ROCPRIM_400000_NS6detail17trampoline_kernelINS0_14default_configENS1_36segmented_radix_sort_config_selectorI12hip_bfloat16lEEZNS1_25segmented_radix_sort_implIS3_Lb0EPKS5_PS5_PKlPlN2at6native12_GLOBAL__N_18offset_tEEE10hipError_tPvRmT1_PNSt15iterator_traitsISL_E10value_typeET2_T3_PNSM_ISR_E10value_typeET4_jRbjT5_SX_jjP12ihipStream_tbEUlT_E_NS1_11comp_targetILNS1_3genE2ELNS1_11target_archE906ELNS1_3gpuE6ELNS1_3repE0EEENS1_30default_config_static_selectorELNS0_4arch9wavefront6targetE1EEEvSL_ ; -- Begin function _ZN7rocprim17ROCPRIM_400000_NS6detail17trampoline_kernelINS0_14default_configENS1_36segmented_radix_sort_config_selectorI12hip_bfloat16lEEZNS1_25segmented_radix_sort_implIS3_Lb0EPKS5_PS5_PKlPlN2at6native12_GLOBAL__N_18offset_tEEE10hipError_tPvRmT1_PNSt15iterator_traitsISL_E10value_typeET2_T3_PNSM_ISR_E10value_typeET4_jRbjT5_SX_jjP12ihipStream_tbEUlT_E_NS1_11comp_targetILNS1_3genE2ELNS1_11target_archE906ELNS1_3gpuE6ELNS1_3repE0EEENS1_30default_config_static_selectorELNS0_4arch9wavefront6targetE1EEEvSL_
	.p2align	8
	.type	_ZN7rocprim17ROCPRIM_400000_NS6detail17trampoline_kernelINS0_14default_configENS1_36segmented_radix_sort_config_selectorI12hip_bfloat16lEEZNS1_25segmented_radix_sort_implIS3_Lb0EPKS5_PS5_PKlPlN2at6native12_GLOBAL__N_18offset_tEEE10hipError_tPvRmT1_PNSt15iterator_traitsISL_E10value_typeET2_T3_PNSM_ISR_E10value_typeET4_jRbjT5_SX_jjP12ihipStream_tbEUlT_E_NS1_11comp_targetILNS1_3genE2ELNS1_11target_archE906ELNS1_3gpuE6ELNS1_3repE0EEENS1_30default_config_static_selectorELNS0_4arch9wavefront6targetE1EEEvSL_,@function
_ZN7rocprim17ROCPRIM_400000_NS6detail17trampoline_kernelINS0_14default_configENS1_36segmented_radix_sort_config_selectorI12hip_bfloat16lEEZNS1_25segmented_radix_sort_implIS3_Lb0EPKS5_PS5_PKlPlN2at6native12_GLOBAL__N_18offset_tEEE10hipError_tPvRmT1_PNSt15iterator_traitsISL_E10value_typeET2_T3_PNSM_ISR_E10value_typeET4_jRbjT5_SX_jjP12ihipStream_tbEUlT_E_NS1_11comp_targetILNS1_3genE2ELNS1_11target_archE906ELNS1_3gpuE6ELNS1_3repE0EEENS1_30default_config_static_selectorELNS0_4arch9wavefront6targetE1EEEvSL_: ; @_ZN7rocprim17ROCPRIM_400000_NS6detail17trampoline_kernelINS0_14default_configENS1_36segmented_radix_sort_config_selectorI12hip_bfloat16lEEZNS1_25segmented_radix_sort_implIS3_Lb0EPKS5_PS5_PKlPlN2at6native12_GLOBAL__N_18offset_tEEE10hipError_tPvRmT1_PNSt15iterator_traitsISL_E10value_typeET2_T3_PNSM_ISR_E10value_typeET4_jRbjT5_SX_jjP12ihipStream_tbEUlT_E_NS1_11comp_targetILNS1_3genE2ELNS1_11target_archE906ELNS1_3gpuE6ELNS1_3repE0EEENS1_30default_config_static_selectorELNS0_4arch9wavefront6targetE1EEEvSL_
; %bb.0:
	.section	.rodata,"a",@progbits
	.p2align	6, 0x0
	.amdhsa_kernel _ZN7rocprim17ROCPRIM_400000_NS6detail17trampoline_kernelINS0_14default_configENS1_36segmented_radix_sort_config_selectorI12hip_bfloat16lEEZNS1_25segmented_radix_sort_implIS3_Lb0EPKS5_PS5_PKlPlN2at6native12_GLOBAL__N_18offset_tEEE10hipError_tPvRmT1_PNSt15iterator_traitsISL_E10value_typeET2_T3_PNSM_ISR_E10value_typeET4_jRbjT5_SX_jjP12ihipStream_tbEUlT_E_NS1_11comp_targetILNS1_3genE2ELNS1_11target_archE906ELNS1_3gpuE6ELNS1_3repE0EEENS1_30default_config_static_selectorELNS0_4arch9wavefront6targetE1EEEvSL_
		.amdhsa_group_segment_fixed_size 0
		.amdhsa_private_segment_fixed_size 0
		.amdhsa_kernarg_size 96
		.amdhsa_user_sgpr_count 6
		.amdhsa_user_sgpr_private_segment_buffer 1
		.amdhsa_user_sgpr_dispatch_ptr 0
		.amdhsa_user_sgpr_queue_ptr 0
		.amdhsa_user_sgpr_kernarg_segment_ptr 1
		.amdhsa_user_sgpr_dispatch_id 0
		.amdhsa_user_sgpr_flat_scratch_init 0
		.amdhsa_user_sgpr_kernarg_preload_length 0
		.amdhsa_user_sgpr_kernarg_preload_offset 0
		.amdhsa_user_sgpr_private_segment_size 0
		.amdhsa_uses_dynamic_stack 0
		.amdhsa_system_sgpr_private_segment_wavefront_offset 0
		.amdhsa_system_sgpr_workgroup_id_x 1
		.amdhsa_system_sgpr_workgroup_id_y 0
		.amdhsa_system_sgpr_workgroup_id_z 0
		.amdhsa_system_sgpr_workgroup_info 0
		.amdhsa_system_vgpr_workitem_id 0
		.amdhsa_next_free_vgpr 1
		.amdhsa_next_free_sgpr 0
		.amdhsa_accum_offset 4
		.amdhsa_reserve_vcc 0
		.amdhsa_reserve_flat_scratch 0
		.amdhsa_float_round_mode_32 0
		.amdhsa_float_round_mode_16_64 0
		.amdhsa_float_denorm_mode_32 3
		.amdhsa_float_denorm_mode_16_64 3
		.amdhsa_dx10_clamp 1
		.amdhsa_ieee_mode 1
		.amdhsa_fp16_overflow 0
		.amdhsa_tg_split 0
		.amdhsa_exception_fp_ieee_invalid_op 0
		.amdhsa_exception_fp_denorm_src 0
		.amdhsa_exception_fp_ieee_div_zero 0
		.amdhsa_exception_fp_ieee_overflow 0
		.amdhsa_exception_fp_ieee_underflow 0
		.amdhsa_exception_fp_ieee_inexact 0
		.amdhsa_exception_int_div_zero 0
	.end_amdhsa_kernel
	.section	.text._ZN7rocprim17ROCPRIM_400000_NS6detail17trampoline_kernelINS0_14default_configENS1_36segmented_radix_sort_config_selectorI12hip_bfloat16lEEZNS1_25segmented_radix_sort_implIS3_Lb0EPKS5_PS5_PKlPlN2at6native12_GLOBAL__N_18offset_tEEE10hipError_tPvRmT1_PNSt15iterator_traitsISL_E10value_typeET2_T3_PNSM_ISR_E10value_typeET4_jRbjT5_SX_jjP12ihipStream_tbEUlT_E_NS1_11comp_targetILNS1_3genE2ELNS1_11target_archE906ELNS1_3gpuE6ELNS1_3repE0EEENS1_30default_config_static_selectorELNS0_4arch9wavefront6targetE1EEEvSL_,"axG",@progbits,_ZN7rocprim17ROCPRIM_400000_NS6detail17trampoline_kernelINS0_14default_configENS1_36segmented_radix_sort_config_selectorI12hip_bfloat16lEEZNS1_25segmented_radix_sort_implIS3_Lb0EPKS5_PS5_PKlPlN2at6native12_GLOBAL__N_18offset_tEEE10hipError_tPvRmT1_PNSt15iterator_traitsISL_E10value_typeET2_T3_PNSM_ISR_E10value_typeET4_jRbjT5_SX_jjP12ihipStream_tbEUlT_E_NS1_11comp_targetILNS1_3genE2ELNS1_11target_archE906ELNS1_3gpuE6ELNS1_3repE0EEENS1_30default_config_static_selectorELNS0_4arch9wavefront6targetE1EEEvSL_,comdat
.Lfunc_end2052:
	.size	_ZN7rocprim17ROCPRIM_400000_NS6detail17trampoline_kernelINS0_14default_configENS1_36segmented_radix_sort_config_selectorI12hip_bfloat16lEEZNS1_25segmented_radix_sort_implIS3_Lb0EPKS5_PS5_PKlPlN2at6native12_GLOBAL__N_18offset_tEEE10hipError_tPvRmT1_PNSt15iterator_traitsISL_E10value_typeET2_T3_PNSM_ISR_E10value_typeET4_jRbjT5_SX_jjP12ihipStream_tbEUlT_E_NS1_11comp_targetILNS1_3genE2ELNS1_11target_archE906ELNS1_3gpuE6ELNS1_3repE0EEENS1_30default_config_static_selectorELNS0_4arch9wavefront6targetE1EEEvSL_, .Lfunc_end2052-_ZN7rocprim17ROCPRIM_400000_NS6detail17trampoline_kernelINS0_14default_configENS1_36segmented_radix_sort_config_selectorI12hip_bfloat16lEEZNS1_25segmented_radix_sort_implIS3_Lb0EPKS5_PS5_PKlPlN2at6native12_GLOBAL__N_18offset_tEEE10hipError_tPvRmT1_PNSt15iterator_traitsISL_E10value_typeET2_T3_PNSM_ISR_E10value_typeET4_jRbjT5_SX_jjP12ihipStream_tbEUlT_E_NS1_11comp_targetILNS1_3genE2ELNS1_11target_archE906ELNS1_3gpuE6ELNS1_3repE0EEENS1_30default_config_static_selectorELNS0_4arch9wavefront6targetE1EEEvSL_
                                        ; -- End function
	.section	.AMDGPU.csdata,"",@progbits
; Kernel info:
; codeLenInByte = 0
; NumSgprs: 4
; NumVgprs: 0
; NumAgprs: 0
; TotalNumVgprs: 0
; ScratchSize: 0
; MemoryBound: 0
; FloatMode: 240
; IeeeMode: 1
; LDSByteSize: 0 bytes/workgroup (compile time only)
; SGPRBlocks: 0
; VGPRBlocks: 0
; NumSGPRsForWavesPerEU: 4
; NumVGPRsForWavesPerEU: 1
; AccumOffset: 4
; Occupancy: 8
; WaveLimiterHint : 0
; COMPUTE_PGM_RSRC2:SCRATCH_EN: 0
; COMPUTE_PGM_RSRC2:USER_SGPR: 6
; COMPUTE_PGM_RSRC2:TRAP_HANDLER: 0
; COMPUTE_PGM_RSRC2:TGID_X_EN: 1
; COMPUTE_PGM_RSRC2:TGID_Y_EN: 0
; COMPUTE_PGM_RSRC2:TGID_Z_EN: 0
; COMPUTE_PGM_RSRC2:TIDIG_COMP_CNT: 0
; COMPUTE_PGM_RSRC3_GFX90A:ACCUM_OFFSET: 0
; COMPUTE_PGM_RSRC3_GFX90A:TG_SPLIT: 0
	.section	.text._ZN7rocprim17ROCPRIM_400000_NS6detail17trampoline_kernelINS0_14default_configENS1_36segmented_radix_sort_config_selectorI12hip_bfloat16lEEZNS1_25segmented_radix_sort_implIS3_Lb0EPKS5_PS5_PKlPlN2at6native12_GLOBAL__N_18offset_tEEE10hipError_tPvRmT1_PNSt15iterator_traitsISL_E10value_typeET2_T3_PNSM_ISR_E10value_typeET4_jRbjT5_SX_jjP12ihipStream_tbEUlT_E_NS1_11comp_targetILNS1_3genE10ELNS1_11target_archE1201ELNS1_3gpuE5ELNS1_3repE0EEENS1_30default_config_static_selectorELNS0_4arch9wavefront6targetE1EEEvSL_,"axG",@progbits,_ZN7rocprim17ROCPRIM_400000_NS6detail17trampoline_kernelINS0_14default_configENS1_36segmented_radix_sort_config_selectorI12hip_bfloat16lEEZNS1_25segmented_radix_sort_implIS3_Lb0EPKS5_PS5_PKlPlN2at6native12_GLOBAL__N_18offset_tEEE10hipError_tPvRmT1_PNSt15iterator_traitsISL_E10value_typeET2_T3_PNSM_ISR_E10value_typeET4_jRbjT5_SX_jjP12ihipStream_tbEUlT_E_NS1_11comp_targetILNS1_3genE10ELNS1_11target_archE1201ELNS1_3gpuE5ELNS1_3repE0EEENS1_30default_config_static_selectorELNS0_4arch9wavefront6targetE1EEEvSL_,comdat
	.globl	_ZN7rocprim17ROCPRIM_400000_NS6detail17trampoline_kernelINS0_14default_configENS1_36segmented_radix_sort_config_selectorI12hip_bfloat16lEEZNS1_25segmented_radix_sort_implIS3_Lb0EPKS5_PS5_PKlPlN2at6native12_GLOBAL__N_18offset_tEEE10hipError_tPvRmT1_PNSt15iterator_traitsISL_E10value_typeET2_T3_PNSM_ISR_E10value_typeET4_jRbjT5_SX_jjP12ihipStream_tbEUlT_E_NS1_11comp_targetILNS1_3genE10ELNS1_11target_archE1201ELNS1_3gpuE5ELNS1_3repE0EEENS1_30default_config_static_selectorELNS0_4arch9wavefront6targetE1EEEvSL_ ; -- Begin function _ZN7rocprim17ROCPRIM_400000_NS6detail17trampoline_kernelINS0_14default_configENS1_36segmented_radix_sort_config_selectorI12hip_bfloat16lEEZNS1_25segmented_radix_sort_implIS3_Lb0EPKS5_PS5_PKlPlN2at6native12_GLOBAL__N_18offset_tEEE10hipError_tPvRmT1_PNSt15iterator_traitsISL_E10value_typeET2_T3_PNSM_ISR_E10value_typeET4_jRbjT5_SX_jjP12ihipStream_tbEUlT_E_NS1_11comp_targetILNS1_3genE10ELNS1_11target_archE1201ELNS1_3gpuE5ELNS1_3repE0EEENS1_30default_config_static_selectorELNS0_4arch9wavefront6targetE1EEEvSL_
	.p2align	8
	.type	_ZN7rocprim17ROCPRIM_400000_NS6detail17trampoline_kernelINS0_14default_configENS1_36segmented_radix_sort_config_selectorI12hip_bfloat16lEEZNS1_25segmented_radix_sort_implIS3_Lb0EPKS5_PS5_PKlPlN2at6native12_GLOBAL__N_18offset_tEEE10hipError_tPvRmT1_PNSt15iterator_traitsISL_E10value_typeET2_T3_PNSM_ISR_E10value_typeET4_jRbjT5_SX_jjP12ihipStream_tbEUlT_E_NS1_11comp_targetILNS1_3genE10ELNS1_11target_archE1201ELNS1_3gpuE5ELNS1_3repE0EEENS1_30default_config_static_selectorELNS0_4arch9wavefront6targetE1EEEvSL_,@function
_ZN7rocprim17ROCPRIM_400000_NS6detail17trampoline_kernelINS0_14default_configENS1_36segmented_radix_sort_config_selectorI12hip_bfloat16lEEZNS1_25segmented_radix_sort_implIS3_Lb0EPKS5_PS5_PKlPlN2at6native12_GLOBAL__N_18offset_tEEE10hipError_tPvRmT1_PNSt15iterator_traitsISL_E10value_typeET2_T3_PNSM_ISR_E10value_typeET4_jRbjT5_SX_jjP12ihipStream_tbEUlT_E_NS1_11comp_targetILNS1_3genE10ELNS1_11target_archE1201ELNS1_3gpuE5ELNS1_3repE0EEENS1_30default_config_static_selectorELNS0_4arch9wavefront6targetE1EEEvSL_: ; @_ZN7rocprim17ROCPRIM_400000_NS6detail17trampoline_kernelINS0_14default_configENS1_36segmented_radix_sort_config_selectorI12hip_bfloat16lEEZNS1_25segmented_radix_sort_implIS3_Lb0EPKS5_PS5_PKlPlN2at6native12_GLOBAL__N_18offset_tEEE10hipError_tPvRmT1_PNSt15iterator_traitsISL_E10value_typeET2_T3_PNSM_ISR_E10value_typeET4_jRbjT5_SX_jjP12ihipStream_tbEUlT_E_NS1_11comp_targetILNS1_3genE10ELNS1_11target_archE1201ELNS1_3gpuE5ELNS1_3repE0EEENS1_30default_config_static_selectorELNS0_4arch9wavefront6targetE1EEEvSL_
; %bb.0:
	.section	.rodata,"a",@progbits
	.p2align	6, 0x0
	.amdhsa_kernel _ZN7rocprim17ROCPRIM_400000_NS6detail17trampoline_kernelINS0_14default_configENS1_36segmented_radix_sort_config_selectorI12hip_bfloat16lEEZNS1_25segmented_radix_sort_implIS3_Lb0EPKS5_PS5_PKlPlN2at6native12_GLOBAL__N_18offset_tEEE10hipError_tPvRmT1_PNSt15iterator_traitsISL_E10value_typeET2_T3_PNSM_ISR_E10value_typeET4_jRbjT5_SX_jjP12ihipStream_tbEUlT_E_NS1_11comp_targetILNS1_3genE10ELNS1_11target_archE1201ELNS1_3gpuE5ELNS1_3repE0EEENS1_30default_config_static_selectorELNS0_4arch9wavefront6targetE1EEEvSL_
		.amdhsa_group_segment_fixed_size 0
		.amdhsa_private_segment_fixed_size 0
		.amdhsa_kernarg_size 96
		.amdhsa_user_sgpr_count 6
		.amdhsa_user_sgpr_private_segment_buffer 1
		.amdhsa_user_sgpr_dispatch_ptr 0
		.amdhsa_user_sgpr_queue_ptr 0
		.amdhsa_user_sgpr_kernarg_segment_ptr 1
		.amdhsa_user_sgpr_dispatch_id 0
		.amdhsa_user_sgpr_flat_scratch_init 0
		.amdhsa_user_sgpr_kernarg_preload_length 0
		.amdhsa_user_sgpr_kernarg_preload_offset 0
		.amdhsa_user_sgpr_private_segment_size 0
		.amdhsa_uses_dynamic_stack 0
		.amdhsa_system_sgpr_private_segment_wavefront_offset 0
		.amdhsa_system_sgpr_workgroup_id_x 1
		.amdhsa_system_sgpr_workgroup_id_y 0
		.amdhsa_system_sgpr_workgroup_id_z 0
		.amdhsa_system_sgpr_workgroup_info 0
		.amdhsa_system_vgpr_workitem_id 0
		.amdhsa_next_free_vgpr 1
		.amdhsa_next_free_sgpr 0
		.amdhsa_accum_offset 4
		.amdhsa_reserve_vcc 0
		.amdhsa_reserve_flat_scratch 0
		.amdhsa_float_round_mode_32 0
		.amdhsa_float_round_mode_16_64 0
		.amdhsa_float_denorm_mode_32 3
		.amdhsa_float_denorm_mode_16_64 3
		.amdhsa_dx10_clamp 1
		.amdhsa_ieee_mode 1
		.amdhsa_fp16_overflow 0
		.amdhsa_tg_split 0
		.amdhsa_exception_fp_ieee_invalid_op 0
		.amdhsa_exception_fp_denorm_src 0
		.amdhsa_exception_fp_ieee_div_zero 0
		.amdhsa_exception_fp_ieee_overflow 0
		.amdhsa_exception_fp_ieee_underflow 0
		.amdhsa_exception_fp_ieee_inexact 0
		.amdhsa_exception_int_div_zero 0
	.end_amdhsa_kernel
	.section	.text._ZN7rocprim17ROCPRIM_400000_NS6detail17trampoline_kernelINS0_14default_configENS1_36segmented_radix_sort_config_selectorI12hip_bfloat16lEEZNS1_25segmented_radix_sort_implIS3_Lb0EPKS5_PS5_PKlPlN2at6native12_GLOBAL__N_18offset_tEEE10hipError_tPvRmT1_PNSt15iterator_traitsISL_E10value_typeET2_T3_PNSM_ISR_E10value_typeET4_jRbjT5_SX_jjP12ihipStream_tbEUlT_E_NS1_11comp_targetILNS1_3genE10ELNS1_11target_archE1201ELNS1_3gpuE5ELNS1_3repE0EEENS1_30default_config_static_selectorELNS0_4arch9wavefront6targetE1EEEvSL_,"axG",@progbits,_ZN7rocprim17ROCPRIM_400000_NS6detail17trampoline_kernelINS0_14default_configENS1_36segmented_radix_sort_config_selectorI12hip_bfloat16lEEZNS1_25segmented_radix_sort_implIS3_Lb0EPKS5_PS5_PKlPlN2at6native12_GLOBAL__N_18offset_tEEE10hipError_tPvRmT1_PNSt15iterator_traitsISL_E10value_typeET2_T3_PNSM_ISR_E10value_typeET4_jRbjT5_SX_jjP12ihipStream_tbEUlT_E_NS1_11comp_targetILNS1_3genE10ELNS1_11target_archE1201ELNS1_3gpuE5ELNS1_3repE0EEENS1_30default_config_static_selectorELNS0_4arch9wavefront6targetE1EEEvSL_,comdat
.Lfunc_end2053:
	.size	_ZN7rocprim17ROCPRIM_400000_NS6detail17trampoline_kernelINS0_14default_configENS1_36segmented_radix_sort_config_selectorI12hip_bfloat16lEEZNS1_25segmented_radix_sort_implIS3_Lb0EPKS5_PS5_PKlPlN2at6native12_GLOBAL__N_18offset_tEEE10hipError_tPvRmT1_PNSt15iterator_traitsISL_E10value_typeET2_T3_PNSM_ISR_E10value_typeET4_jRbjT5_SX_jjP12ihipStream_tbEUlT_E_NS1_11comp_targetILNS1_3genE10ELNS1_11target_archE1201ELNS1_3gpuE5ELNS1_3repE0EEENS1_30default_config_static_selectorELNS0_4arch9wavefront6targetE1EEEvSL_, .Lfunc_end2053-_ZN7rocprim17ROCPRIM_400000_NS6detail17trampoline_kernelINS0_14default_configENS1_36segmented_radix_sort_config_selectorI12hip_bfloat16lEEZNS1_25segmented_radix_sort_implIS3_Lb0EPKS5_PS5_PKlPlN2at6native12_GLOBAL__N_18offset_tEEE10hipError_tPvRmT1_PNSt15iterator_traitsISL_E10value_typeET2_T3_PNSM_ISR_E10value_typeET4_jRbjT5_SX_jjP12ihipStream_tbEUlT_E_NS1_11comp_targetILNS1_3genE10ELNS1_11target_archE1201ELNS1_3gpuE5ELNS1_3repE0EEENS1_30default_config_static_selectorELNS0_4arch9wavefront6targetE1EEEvSL_
                                        ; -- End function
	.section	.AMDGPU.csdata,"",@progbits
; Kernel info:
; codeLenInByte = 0
; NumSgprs: 4
; NumVgprs: 0
; NumAgprs: 0
; TotalNumVgprs: 0
; ScratchSize: 0
; MemoryBound: 0
; FloatMode: 240
; IeeeMode: 1
; LDSByteSize: 0 bytes/workgroup (compile time only)
; SGPRBlocks: 0
; VGPRBlocks: 0
; NumSGPRsForWavesPerEU: 4
; NumVGPRsForWavesPerEU: 1
; AccumOffset: 4
; Occupancy: 8
; WaveLimiterHint : 0
; COMPUTE_PGM_RSRC2:SCRATCH_EN: 0
; COMPUTE_PGM_RSRC2:USER_SGPR: 6
; COMPUTE_PGM_RSRC2:TRAP_HANDLER: 0
; COMPUTE_PGM_RSRC2:TGID_X_EN: 1
; COMPUTE_PGM_RSRC2:TGID_Y_EN: 0
; COMPUTE_PGM_RSRC2:TGID_Z_EN: 0
; COMPUTE_PGM_RSRC2:TIDIG_COMP_CNT: 0
; COMPUTE_PGM_RSRC3_GFX90A:ACCUM_OFFSET: 0
; COMPUTE_PGM_RSRC3_GFX90A:TG_SPLIT: 0
	.section	.text._ZN7rocprim17ROCPRIM_400000_NS6detail17trampoline_kernelINS0_14default_configENS1_36segmented_radix_sort_config_selectorI12hip_bfloat16lEEZNS1_25segmented_radix_sort_implIS3_Lb0EPKS5_PS5_PKlPlN2at6native12_GLOBAL__N_18offset_tEEE10hipError_tPvRmT1_PNSt15iterator_traitsISL_E10value_typeET2_T3_PNSM_ISR_E10value_typeET4_jRbjT5_SX_jjP12ihipStream_tbEUlT_E_NS1_11comp_targetILNS1_3genE10ELNS1_11target_archE1200ELNS1_3gpuE4ELNS1_3repE0EEENS1_30default_config_static_selectorELNS0_4arch9wavefront6targetE1EEEvSL_,"axG",@progbits,_ZN7rocprim17ROCPRIM_400000_NS6detail17trampoline_kernelINS0_14default_configENS1_36segmented_radix_sort_config_selectorI12hip_bfloat16lEEZNS1_25segmented_radix_sort_implIS3_Lb0EPKS5_PS5_PKlPlN2at6native12_GLOBAL__N_18offset_tEEE10hipError_tPvRmT1_PNSt15iterator_traitsISL_E10value_typeET2_T3_PNSM_ISR_E10value_typeET4_jRbjT5_SX_jjP12ihipStream_tbEUlT_E_NS1_11comp_targetILNS1_3genE10ELNS1_11target_archE1200ELNS1_3gpuE4ELNS1_3repE0EEENS1_30default_config_static_selectorELNS0_4arch9wavefront6targetE1EEEvSL_,comdat
	.globl	_ZN7rocprim17ROCPRIM_400000_NS6detail17trampoline_kernelINS0_14default_configENS1_36segmented_radix_sort_config_selectorI12hip_bfloat16lEEZNS1_25segmented_radix_sort_implIS3_Lb0EPKS5_PS5_PKlPlN2at6native12_GLOBAL__N_18offset_tEEE10hipError_tPvRmT1_PNSt15iterator_traitsISL_E10value_typeET2_T3_PNSM_ISR_E10value_typeET4_jRbjT5_SX_jjP12ihipStream_tbEUlT_E_NS1_11comp_targetILNS1_3genE10ELNS1_11target_archE1200ELNS1_3gpuE4ELNS1_3repE0EEENS1_30default_config_static_selectorELNS0_4arch9wavefront6targetE1EEEvSL_ ; -- Begin function _ZN7rocprim17ROCPRIM_400000_NS6detail17trampoline_kernelINS0_14default_configENS1_36segmented_radix_sort_config_selectorI12hip_bfloat16lEEZNS1_25segmented_radix_sort_implIS3_Lb0EPKS5_PS5_PKlPlN2at6native12_GLOBAL__N_18offset_tEEE10hipError_tPvRmT1_PNSt15iterator_traitsISL_E10value_typeET2_T3_PNSM_ISR_E10value_typeET4_jRbjT5_SX_jjP12ihipStream_tbEUlT_E_NS1_11comp_targetILNS1_3genE10ELNS1_11target_archE1200ELNS1_3gpuE4ELNS1_3repE0EEENS1_30default_config_static_selectorELNS0_4arch9wavefront6targetE1EEEvSL_
	.p2align	8
	.type	_ZN7rocprim17ROCPRIM_400000_NS6detail17trampoline_kernelINS0_14default_configENS1_36segmented_radix_sort_config_selectorI12hip_bfloat16lEEZNS1_25segmented_radix_sort_implIS3_Lb0EPKS5_PS5_PKlPlN2at6native12_GLOBAL__N_18offset_tEEE10hipError_tPvRmT1_PNSt15iterator_traitsISL_E10value_typeET2_T3_PNSM_ISR_E10value_typeET4_jRbjT5_SX_jjP12ihipStream_tbEUlT_E_NS1_11comp_targetILNS1_3genE10ELNS1_11target_archE1200ELNS1_3gpuE4ELNS1_3repE0EEENS1_30default_config_static_selectorELNS0_4arch9wavefront6targetE1EEEvSL_,@function
_ZN7rocprim17ROCPRIM_400000_NS6detail17trampoline_kernelINS0_14default_configENS1_36segmented_radix_sort_config_selectorI12hip_bfloat16lEEZNS1_25segmented_radix_sort_implIS3_Lb0EPKS5_PS5_PKlPlN2at6native12_GLOBAL__N_18offset_tEEE10hipError_tPvRmT1_PNSt15iterator_traitsISL_E10value_typeET2_T3_PNSM_ISR_E10value_typeET4_jRbjT5_SX_jjP12ihipStream_tbEUlT_E_NS1_11comp_targetILNS1_3genE10ELNS1_11target_archE1200ELNS1_3gpuE4ELNS1_3repE0EEENS1_30default_config_static_selectorELNS0_4arch9wavefront6targetE1EEEvSL_: ; @_ZN7rocprim17ROCPRIM_400000_NS6detail17trampoline_kernelINS0_14default_configENS1_36segmented_radix_sort_config_selectorI12hip_bfloat16lEEZNS1_25segmented_radix_sort_implIS3_Lb0EPKS5_PS5_PKlPlN2at6native12_GLOBAL__N_18offset_tEEE10hipError_tPvRmT1_PNSt15iterator_traitsISL_E10value_typeET2_T3_PNSM_ISR_E10value_typeET4_jRbjT5_SX_jjP12ihipStream_tbEUlT_E_NS1_11comp_targetILNS1_3genE10ELNS1_11target_archE1200ELNS1_3gpuE4ELNS1_3repE0EEENS1_30default_config_static_selectorELNS0_4arch9wavefront6targetE1EEEvSL_
; %bb.0:
	.section	.rodata,"a",@progbits
	.p2align	6, 0x0
	.amdhsa_kernel _ZN7rocprim17ROCPRIM_400000_NS6detail17trampoline_kernelINS0_14default_configENS1_36segmented_radix_sort_config_selectorI12hip_bfloat16lEEZNS1_25segmented_radix_sort_implIS3_Lb0EPKS5_PS5_PKlPlN2at6native12_GLOBAL__N_18offset_tEEE10hipError_tPvRmT1_PNSt15iterator_traitsISL_E10value_typeET2_T3_PNSM_ISR_E10value_typeET4_jRbjT5_SX_jjP12ihipStream_tbEUlT_E_NS1_11comp_targetILNS1_3genE10ELNS1_11target_archE1200ELNS1_3gpuE4ELNS1_3repE0EEENS1_30default_config_static_selectorELNS0_4arch9wavefront6targetE1EEEvSL_
		.amdhsa_group_segment_fixed_size 0
		.amdhsa_private_segment_fixed_size 0
		.amdhsa_kernarg_size 96
		.amdhsa_user_sgpr_count 6
		.amdhsa_user_sgpr_private_segment_buffer 1
		.amdhsa_user_sgpr_dispatch_ptr 0
		.amdhsa_user_sgpr_queue_ptr 0
		.amdhsa_user_sgpr_kernarg_segment_ptr 1
		.amdhsa_user_sgpr_dispatch_id 0
		.amdhsa_user_sgpr_flat_scratch_init 0
		.amdhsa_user_sgpr_kernarg_preload_length 0
		.amdhsa_user_sgpr_kernarg_preload_offset 0
		.amdhsa_user_sgpr_private_segment_size 0
		.amdhsa_uses_dynamic_stack 0
		.amdhsa_system_sgpr_private_segment_wavefront_offset 0
		.amdhsa_system_sgpr_workgroup_id_x 1
		.amdhsa_system_sgpr_workgroup_id_y 0
		.amdhsa_system_sgpr_workgroup_id_z 0
		.amdhsa_system_sgpr_workgroup_info 0
		.amdhsa_system_vgpr_workitem_id 0
		.amdhsa_next_free_vgpr 1
		.amdhsa_next_free_sgpr 0
		.amdhsa_accum_offset 4
		.amdhsa_reserve_vcc 0
		.amdhsa_reserve_flat_scratch 0
		.amdhsa_float_round_mode_32 0
		.amdhsa_float_round_mode_16_64 0
		.amdhsa_float_denorm_mode_32 3
		.amdhsa_float_denorm_mode_16_64 3
		.amdhsa_dx10_clamp 1
		.amdhsa_ieee_mode 1
		.amdhsa_fp16_overflow 0
		.amdhsa_tg_split 0
		.amdhsa_exception_fp_ieee_invalid_op 0
		.amdhsa_exception_fp_denorm_src 0
		.amdhsa_exception_fp_ieee_div_zero 0
		.amdhsa_exception_fp_ieee_overflow 0
		.amdhsa_exception_fp_ieee_underflow 0
		.amdhsa_exception_fp_ieee_inexact 0
		.amdhsa_exception_int_div_zero 0
	.end_amdhsa_kernel
	.section	.text._ZN7rocprim17ROCPRIM_400000_NS6detail17trampoline_kernelINS0_14default_configENS1_36segmented_radix_sort_config_selectorI12hip_bfloat16lEEZNS1_25segmented_radix_sort_implIS3_Lb0EPKS5_PS5_PKlPlN2at6native12_GLOBAL__N_18offset_tEEE10hipError_tPvRmT1_PNSt15iterator_traitsISL_E10value_typeET2_T3_PNSM_ISR_E10value_typeET4_jRbjT5_SX_jjP12ihipStream_tbEUlT_E_NS1_11comp_targetILNS1_3genE10ELNS1_11target_archE1200ELNS1_3gpuE4ELNS1_3repE0EEENS1_30default_config_static_selectorELNS0_4arch9wavefront6targetE1EEEvSL_,"axG",@progbits,_ZN7rocprim17ROCPRIM_400000_NS6detail17trampoline_kernelINS0_14default_configENS1_36segmented_radix_sort_config_selectorI12hip_bfloat16lEEZNS1_25segmented_radix_sort_implIS3_Lb0EPKS5_PS5_PKlPlN2at6native12_GLOBAL__N_18offset_tEEE10hipError_tPvRmT1_PNSt15iterator_traitsISL_E10value_typeET2_T3_PNSM_ISR_E10value_typeET4_jRbjT5_SX_jjP12ihipStream_tbEUlT_E_NS1_11comp_targetILNS1_3genE10ELNS1_11target_archE1200ELNS1_3gpuE4ELNS1_3repE0EEENS1_30default_config_static_selectorELNS0_4arch9wavefront6targetE1EEEvSL_,comdat
.Lfunc_end2054:
	.size	_ZN7rocprim17ROCPRIM_400000_NS6detail17trampoline_kernelINS0_14default_configENS1_36segmented_radix_sort_config_selectorI12hip_bfloat16lEEZNS1_25segmented_radix_sort_implIS3_Lb0EPKS5_PS5_PKlPlN2at6native12_GLOBAL__N_18offset_tEEE10hipError_tPvRmT1_PNSt15iterator_traitsISL_E10value_typeET2_T3_PNSM_ISR_E10value_typeET4_jRbjT5_SX_jjP12ihipStream_tbEUlT_E_NS1_11comp_targetILNS1_3genE10ELNS1_11target_archE1200ELNS1_3gpuE4ELNS1_3repE0EEENS1_30default_config_static_selectorELNS0_4arch9wavefront6targetE1EEEvSL_, .Lfunc_end2054-_ZN7rocprim17ROCPRIM_400000_NS6detail17trampoline_kernelINS0_14default_configENS1_36segmented_radix_sort_config_selectorI12hip_bfloat16lEEZNS1_25segmented_radix_sort_implIS3_Lb0EPKS5_PS5_PKlPlN2at6native12_GLOBAL__N_18offset_tEEE10hipError_tPvRmT1_PNSt15iterator_traitsISL_E10value_typeET2_T3_PNSM_ISR_E10value_typeET4_jRbjT5_SX_jjP12ihipStream_tbEUlT_E_NS1_11comp_targetILNS1_3genE10ELNS1_11target_archE1200ELNS1_3gpuE4ELNS1_3repE0EEENS1_30default_config_static_selectorELNS0_4arch9wavefront6targetE1EEEvSL_
                                        ; -- End function
	.section	.AMDGPU.csdata,"",@progbits
; Kernel info:
; codeLenInByte = 0
; NumSgprs: 4
; NumVgprs: 0
; NumAgprs: 0
; TotalNumVgprs: 0
; ScratchSize: 0
; MemoryBound: 0
; FloatMode: 240
; IeeeMode: 1
; LDSByteSize: 0 bytes/workgroup (compile time only)
; SGPRBlocks: 0
; VGPRBlocks: 0
; NumSGPRsForWavesPerEU: 4
; NumVGPRsForWavesPerEU: 1
; AccumOffset: 4
; Occupancy: 8
; WaveLimiterHint : 0
; COMPUTE_PGM_RSRC2:SCRATCH_EN: 0
; COMPUTE_PGM_RSRC2:USER_SGPR: 6
; COMPUTE_PGM_RSRC2:TRAP_HANDLER: 0
; COMPUTE_PGM_RSRC2:TGID_X_EN: 1
; COMPUTE_PGM_RSRC2:TGID_Y_EN: 0
; COMPUTE_PGM_RSRC2:TGID_Z_EN: 0
; COMPUTE_PGM_RSRC2:TIDIG_COMP_CNT: 0
; COMPUTE_PGM_RSRC3_GFX90A:ACCUM_OFFSET: 0
; COMPUTE_PGM_RSRC3_GFX90A:TG_SPLIT: 0
	.section	.text._ZN7rocprim17ROCPRIM_400000_NS6detail17trampoline_kernelINS0_14default_configENS1_36segmented_radix_sort_config_selectorI12hip_bfloat16lEEZNS1_25segmented_radix_sort_implIS3_Lb0EPKS5_PS5_PKlPlN2at6native12_GLOBAL__N_18offset_tEEE10hipError_tPvRmT1_PNSt15iterator_traitsISL_E10value_typeET2_T3_PNSM_ISR_E10value_typeET4_jRbjT5_SX_jjP12ihipStream_tbEUlT_E_NS1_11comp_targetILNS1_3genE9ELNS1_11target_archE1100ELNS1_3gpuE3ELNS1_3repE0EEENS1_30default_config_static_selectorELNS0_4arch9wavefront6targetE1EEEvSL_,"axG",@progbits,_ZN7rocprim17ROCPRIM_400000_NS6detail17trampoline_kernelINS0_14default_configENS1_36segmented_radix_sort_config_selectorI12hip_bfloat16lEEZNS1_25segmented_radix_sort_implIS3_Lb0EPKS5_PS5_PKlPlN2at6native12_GLOBAL__N_18offset_tEEE10hipError_tPvRmT1_PNSt15iterator_traitsISL_E10value_typeET2_T3_PNSM_ISR_E10value_typeET4_jRbjT5_SX_jjP12ihipStream_tbEUlT_E_NS1_11comp_targetILNS1_3genE9ELNS1_11target_archE1100ELNS1_3gpuE3ELNS1_3repE0EEENS1_30default_config_static_selectorELNS0_4arch9wavefront6targetE1EEEvSL_,comdat
	.globl	_ZN7rocprim17ROCPRIM_400000_NS6detail17trampoline_kernelINS0_14default_configENS1_36segmented_radix_sort_config_selectorI12hip_bfloat16lEEZNS1_25segmented_radix_sort_implIS3_Lb0EPKS5_PS5_PKlPlN2at6native12_GLOBAL__N_18offset_tEEE10hipError_tPvRmT1_PNSt15iterator_traitsISL_E10value_typeET2_T3_PNSM_ISR_E10value_typeET4_jRbjT5_SX_jjP12ihipStream_tbEUlT_E_NS1_11comp_targetILNS1_3genE9ELNS1_11target_archE1100ELNS1_3gpuE3ELNS1_3repE0EEENS1_30default_config_static_selectorELNS0_4arch9wavefront6targetE1EEEvSL_ ; -- Begin function _ZN7rocprim17ROCPRIM_400000_NS6detail17trampoline_kernelINS0_14default_configENS1_36segmented_radix_sort_config_selectorI12hip_bfloat16lEEZNS1_25segmented_radix_sort_implIS3_Lb0EPKS5_PS5_PKlPlN2at6native12_GLOBAL__N_18offset_tEEE10hipError_tPvRmT1_PNSt15iterator_traitsISL_E10value_typeET2_T3_PNSM_ISR_E10value_typeET4_jRbjT5_SX_jjP12ihipStream_tbEUlT_E_NS1_11comp_targetILNS1_3genE9ELNS1_11target_archE1100ELNS1_3gpuE3ELNS1_3repE0EEENS1_30default_config_static_selectorELNS0_4arch9wavefront6targetE1EEEvSL_
	.p2align	8
	.type	_ZN7rocprim17ROCPRIM_400000_NS6detail17trampoline_kernelINS0_14default_configENS1_36segmented_radix_sort_config_selectorI12hip_bfloat16lEEZNS1_25segmented_radix_sort_implIS3_Lb0EPKS5_PS5_PKlPlN2at6native12_GLOBAL__N_18offset_tEEE10hipError_tPvRmT1_PNSt15iterator_traitsISL_E10value_typeET2_T3_PNSM_ISR_E10value_typeET4_jRbjT5_SX_jjP12ihipStream_tbEUlT_E_NS1_11comp_targetILNS1_3genE9ELNS1_11target_archE1100ELNS1_3gpuE3ELNS1_3repE0EEENS1_30default_config_static_selectorELNS0_4arch9wavefront6targetE1EEEvSL_,@function
_ZN7rocprim17ROCPRIM_400000_NS6detail17trampoline_kernelINS0_14default_configENS1_36segmented_radix_sort_config_selectorI12hip_bfloat16lEEZNS1_25segmented_radix_sort_implIS3_Lb0EPKS5_PS5_PKlPlN2at6native12_GLOBAL__N_18offset_tEEE10hipError_tPvRmT1_PNSt15iterator_traitsISL_E10value_typeET2_T3_PNSM_ISR_E10value_typeET4_jRbjT5_SX_jjP12ihipStream_tbEUlT_E_NS1_11comp_targetILNS1_3genE9ELNS1_11target_archE1100ELNS1_3gpuE3ELNS1_3repE0EEENS1_30default_config_static_selectorELNS0_4arch9wavefront6targetE1EEEvSL_: ; @_ZN7rocprim17ROCPRIM_400000_NS6detail17trampoline_kernelINS0_14default_configENS1_36segmented_radix_sort_config_selectorI12hip_bfloat16lEEZNS1_25segmented_radix_sort_implIS3_Lb0EPKS5_PS5_PKlPlN2at6native12_GLOBAL__N_18offset_tEEE10hipError_tPvRmT1_PNSt15iterator_traitsISL_E10value_typeET2_T3_PNSM_ISR_E10value_typeET4_jRbjT5_SX_jjP12ihipStream_tbEUlT_E_NS1_11comp_targetILNS1_3genE9ELNS1_11target_archE1100ELNS1_3gpuE3ELNS1_3repE0EEENS1_30default_config_static_selectorELNS0_4arch9wavefront6targetE1EEEvSL_
; %bb.0:
	.section	.rodata,"a",@progbits
	.p2align	6, 0x0
	.amdhsa_kernel _ZN7rocprim17ROCPRIM_400000_NS6detail17trampoline_kernelINS0_14default_configENS1_36segmented_radix_sort_config_selectorI12hip_bfloat16lEEZNS1_25segmented_radix_sort_implIS3_Lb0EPKS5_PS5_PKlPlN2at6native12_GLOBAL__N_18offset_tEEE10hipError_tPvRmT1_PNSt15iterator_traitsISL_E10value_typeET2_T3_PNSM_ISR_E10value_typeET4_jRbjT5_SX_jjP12ihipStream_tbEUlT_E_NS1_11comp_targetILNS1_3genE9ELNS1_11target_archE1100ELNS1_3gpuE3ELNS1_3repE0EEENS1_30default_config_static_selectorELNS0_4arch9wavefront6targetE1EEEvSL_
		.amdhsa_group_segment_fixed_size 0
		.amdhsa_private_segment_fixed_size 0
		.amdhsa_kernarg_size 96
		.amdhsa_user_sgpr_count 6
		.amdhsa_user_sgpr_private_segment_buffer 1
		.amdhsa_user_sgpr_dispatch_ptr 0
		.amdhsa_user_sgpr_queue_ptr 0
		.amdhsa_user_sgpr_kernarg_segment_ptr 1
		.amdhsa_user_sgpr_dispatch_id 0
		.amdhsa_user_sgpr_flat_scratch_init 0
		.amdhsa_user_sgpr_kernarg_preload_length 0
		.amdhsa_user_sgpr_kernarg_preload_offset 0
		.amdhsa_user_sgpr_private_segment_size 0
		.amdhsa_uses_dynamic_stack 0
		.amdhsa_system_sgpr_private_segment_wavefront_offset 0
		.amdhsa_system_sgpr_workgroup_id_x 1
		.amdhsa_system_sgpr_workgroup_id_y 0
		.amdhsa_system_sgpr_workgroup_id_z 0
		.amdhsa_system_sgpr_workgroup_info 0
		.amdhsa_system_vgpr_workitem_id 0
		.amdhsa_next_free_vgpr 1
		.amdhsa_next_free_sgpr 0
		.amdhsa_accum_offset 4
		.amdhsa_reserve_vcc 0
		.amdhsa_reserve_flat_scratch 0
		.amdhsa_float_round_mode_32 0
		.amdhsa_float_round_mode_16_64 0
		.amdhsa_float_denorm_mode_32 3
		.amdhsa_float_denorm_mode_16_64 3
		.amdhsa_dx10_clamp 1
		.amdhsa_ieee_mode 1
		.amdhsa_fp16_overflow 0
		.amdhsa_tg_split 0
		.amdhsa_exception_fp_ieee_invalid_op 0
		.amdhsa_exception_fp_denorm_src 0
		.amdhsa_exception_fp_ieee_div_zero 0
		.amdhsa_exception_fp_ieee_overflow 0
		.amdhsa_exception_fp_ieee_underflow 0
		.amdhsa_exception_fp_ieee_inexact 0
		.amdhsa_exception_int_div_zero 0
	.end_amdhsa_kernel
	.section	.text._ZN7rocprim17ROCPRIM_400000_NS6detail17trampoline_kernelINS0_14default_configENS1_36segmented_radix_sort_config_selectorI12hip_bfloat16lEEZNS1_25segmented_radix_sort_implIS3_Lb0EPKS5_PS5_PKlPlN2at6native12_GLOBAL__N_18offset_tEEE10hipError_tPvRmT1_PNSt15iterator_traitsISL_E10value_typeET2_T3_PNSM_ISR_E10value_typeET4_jRbjT5_SX_jjP12ihipStream_tbEUlT_E_NS1_11comp_targetILNS1_3genE9ELNS1_11target_archE1100ELNS1_3gpuE3ELNS1_3repE0EEENS1_30default_config_static_selectorELNS0_4arch9wavefront6targetE1EEEvSL_,"axG",@progbits,_ZN7rocprim17ROCPRIM_400000_NS6detail17trampoline_kernelINS0_14default_configENS1_36segmented_radix_sort_config_selectorI12hip_bfloat16lEEZNS1_25segmented_radix_sort_implIS3_Lb0EPKS5_PS5_PKlPlN2at6native12_GLOBAL__N_18offset_tEEE10hipError_tPvRmT1_PNSt15iterator_traitsISL_E10value_typeET2_T3_PNSM_ISR_E10value_typeET4_jRbjT5_SX_jjP12ihipStream_tbEUlT_E_NS1_11comp_targetILNS1_3genE9ELNS1_11target_archE1100ELNS1_3gpuE3ELNS1_3repE0EEENS1_30default_config_static_selectorELNS0_4arch9wavefront6targetE1EEEvSL_,comdat
.Lfunc_end2055:
	.size	_ZN7rocprim17ROCPRIM_400000_NS6detail17trampoline_kernelINS0_14default_configENS1_36segmented_radix_sort_config_selectorI12hip_bfloat16lEEZNS1_25segmented_radix_sort_implIS3_Lb0EPKS5_PS5_PKlPlN2at6native12_GLOBAL__N_18offset_tEEE10hipError_tPvRmT1_PNSt15iterator_traitsISL_E10value_typeET2_T3_PNSM_ISR_E10value_typeET4_jRbjT5_SX_jjP12ihipStream_tbEUlT_E_NS1_11comp_targetILNS1_3genE9ELNS1_11target_archE1100ELNS1_3gpuE3ELNS1_3repE0EEENS1_30default_config_static_selectorELNS0_4arch9wavefront6targetE1EEEvSL_, .Lfunc_end2055-_ZN7rocprim17ROCPRIM_400000_NS6detail17trampoline_kernelINS0_14default_configENS1_36segmented_radix_sort_config_selectorI12hip_bfloat16lEEZNS1_25segmented_radix_sort_implIS3_Lb0EPKS5_PS5_PKlPlN2at6native12_GLOBAL__N_18offset_tEEE10hipError_tPvRmT1_PNSt15iterator_traitsISL_E10value_typeET2_T3_PNSM_ISR_E10value_typeET4_jRbjT5_SX_jjP12ihipStream_tbEUlT_E_NS1_11comp_targetILNS1_3genE9ELNS1_11target_archE1100ELNS1_3gpuE3ELNS1_3repE0EEENS1_30default_config_static_selectorELNS0_4arch9wavefront6targetE1EEEvSL_
                                        ; -- End function
	.section	.AMDGPU.csdata,"",@progbits
; Kernel info:
; codeLenInByte = 0
; NumSgprs: 4
; NumVgprs: 0
; NumAgprs: 0
; TotalNumVgprs: 0
; ScratchSize: 0
; MemoryBound: 0
; FloatMode: 240
; IeeeMode: 1
; LDSByteSize: 0 bytes/workgroup (compile time only)
; SGPRBlocks: 0
; VGPRBlocks: 0
; NumSGPRsForWavesPerEU: 4
; NumVGPRsForWavesPerEU: 1
; AccumOffset: 4
; Occupancy: 8
; WaveLimiterHint : 0
; COMPUTE_PGM_RSRC2:SCRATCH_EN: 0
; COMPUTE_PGM_RSRC2:USER_SGPR: 6
; COMPUTE_PGM_RSRC2:TRAP_HANDLER: 0
; COMPUTE_PGM_RSRC2:TGID_X_EN: 1
; COMPUTE_PGM_RSRC2:TGID_Y_EN: 0
; COMPUTE_PGM_RSRC2:TGID_Z_EN: 0
; COMPUTE_PGM_RSRC2:TIDIG_COMP_CNT: 0
; COMPUTE_PGM_RSRC3_GFX90A:ACCUM_OFFSET: 0
; COMPUTE_PGM_RSRC3_GFX90A:TG_SPLIT: 0
	.section	.text._ZN7rocprim17ROCPRIM_400000_NS6detail17trampoline_kernelINS0_14default_configENS1_36segmented_radix_sort_config_selectorI12hip_bfloat16lEEZNS1_25segmented_radix_sort_implIS3_Lb0EPKS5_PS5_PKlPlN2at6native12_GLOBAL__N_18offset_tEEE10hipError_tPvRmT1_PNSt15iterator_traitsISL_E10value_typeET2_T3_PNSM_ISR_E10value_typeET4_jRbjT5_SX_jjP12ihipStream_tbEUlT_E_NS1_11comp_targetILNS1_3genE8ELNS1_11target_archE1030ELNS1_3gpuE2ELNS1_3repE0EEENS1_30default_config_static_selectorELNS0_4arch9wavefront6targetE1EEEvSL_,"axG",@progbits,_ZN7rocprim17ROCPRIM_400000_NS6detail17trampoline_kernelINS0_14default_configENS1_36segmented_radix_sort_config_selectorI12hip_bfloat16lEEZNS1_25segmented_radix_sort_implIS3_Lb0EPKS5_PS5_PKlPlN2at6native12_GLOBAL__N_18offset_tEEE10hipError_tPvRmT1_PNSt15iterator_traitsISL_E10value_typeET2_T3_PNSM_ISR_E10value_typeET4_jRbjT5_SX_jjP12ihipStream_tbEUlT_E_NS1_11comp_targetILNS1_3genE8ELNS1_11target_archE1030ELNS1_3gpuE2ELNS1_3repE0EEENS1_30default_config_static_selectorELNS0_4arch9wavefront6targetE1EEEvSL_,comdat
	.globl	_ZN7rocprim17ROCPRIM_400000_NS6detail17trampoline_kernelINS0_14default_configENS1_36segmented_radix_sort_config_selectorI12hip_bfloat16lEEZNS1_25segmented_radix_sort_implIS3_Lb0EPKS5_PS5_PKlPlN2at6native12_GLOBAL__N_18offset_tEEE10hipError_tPvRmT1_PNSt15iterator_traitsISL_E10value_typeET2_T3_PNSM_ISR_E10value_typeET4_jRbjT5_SX_jjP12ihipStream_tbEUlT_E_NS1_11comp_targetILNS1_3genE8ELNS1_11target_archE1030ELNS1_3gpuE2ELNS1_3repE0EEENS1_30default_config_static_selectorELNS0_4arch9wavefront6targetE1EEEvSL_ ; -- Begin function _ZN7rocprim17ROCPRIM_400000_NS6detail17trampoline_kernelINS0_14default_configENS1_36segmented_radix_sort_config_selectorI12hip_bfloat16lEEZNS1_25segmented_radix_sort_implIS3_Lb0EPKS5_PS5_PKlPlN2at6native12_GLOBAL__N_18offset_tEEE10hipError_tPvRmT1_PNSt15iterator_traitsISL_E10value_typeET2_T3_PNSM_ISR_E10value_typeET4_jRbjT5_SX_jjP12ihipStream_tbEUlT_E_NS1_11comp_targetILNS1_3genE8ELNS1_11target_archE1030ELNS1_3gpuE2ELNS1_3repE0EEENS1_30default_config_static_selectorELNS0_4arch9wavefront6targetE1EEEvSL_
	.p2align	8
	.type	_ZN7rocprim17ROCPRIM_400000_NS6detail17trampoline_kernelINS0_14default_configENS1_36segmented_radix_sort_config_selectorI12hip_bfloat16lEEZNS1_25segmented_radix_sort_implIS3_Lb0EPKS5_PS5_PKlPlN2at6native12_GLOBAL__N_18offset_tEEE10hipError_tPvRmT1_PNSt15iterator_traitsISL_E10value_typeET2_T3_PNSM_ISR_E10value_typeET4_jRbjT5_SX_jjP12ihipStream_tbEUlT_E_NS1_11comp_targetILNS1_3genE8ELNS1_11target_archE1030ELNS1_3gpuE2ELNS1_3repE0EEENS1_30default_config_static_selectorELNS0_4arch9wavefront6targetE1EEEvSL_,@function
_ZN7rocprim17ROCPRIM_400000_NS6detail17trampoline_kernelINS0_14default_configENS1_36segmented_radix_sort_config_selectorI12hip_bfloat16lEEZNS1_25segmented_radix_sort_implIS3_Lb0EPKS5_PS5_PKlPlN2at6native12_GLOBAL__N_18offset_tEEE10hipError_tPvRmT1_PNSt15iterator_traitsISL_E10value_typeET2_T3_PNSM_ISR_E10value_typeET4_jRbjT5_SX_jjP12ihipStream_tbEUlT_E_NS1_11comp_targetILNS1_3genE8ELNS1_11target_archE1030ELNS1_3gpuE2ELNS1_3repE0EEENS1_30default_config_static_selectorELNS0_4arch9wavefront6targetE1EEEvSL_: ; @_ZN7rocprim17ROCPRIM_400000_NS6detail17trampoline_kernelINS0_14default_configENS1_36segmented_radix_sort_config_selectorI12hip_bfloat16lEEZNS1_25segmented_radix_sort_implIS3_Lb0EPKS5_PS5_PKlPlN2at6native12_GLOBAL__N_18offset_tEEE10hipError_tPvRmT1_PNSt15iterator_traitsISL_E10value_typeET2_T3_PNSM_ISR_E10value_typeET4_jRbjT5_SX_jjP12ihipStream_tbEUlT_E_NS1_11comp_targetILNS1_3genE8ELNS1_11target_archE1030ELNS1_3gpuE2ELNS1_3repE0EEENS1_30default_config_static_selectorELNS0_4arch9wavefront6targetE1EEEvSL_
; %bb.0:
	.section	.rodata,"a",@progbits
	.p2align	6, 0x0
	.amdhsa_kernel _ZN7rocprim17ROCPRIM_400000_NS6detail17trampoline_kernelINS0_14default_configENS1_36segmented_radix_sort_config_selectorI12hip_bfloat16lEEZNS1_25segmented_radix_sort_implIS3_Lb0EPKS5_PS5_PKlPlN2at6native12_GLOBAL__N_18offset_tEEE10hipError_tPvRmT1_PNSt15iterator_traitsISL_E10value_typeET2_T3_PNSM_ISR_E10value_typeET4_jRbjT5_SX_jjP12ihipStream_tbEUlT_E_NS1_11comp_targetILNS1_3genE8ELNS1_11target_archE1030ELNS1_3gpuE2ELNS1_3repE0EEENS1_30default_config_static_selectorELNS0_4arch9wavefront6targetE1EEEvSL_
		.amdhsa_group_segment_fixed_size 0
		.amdhsa_private_segment_fixed_size 0
		.amdhsa_kernarg_size 96
		.amdhsa_user_sgpr_count 6
		.amdhsa_user_sgpr_private_segment_buffer 1
		.amdhsa_user_sgpr_dispatch_ptr 0
		.amdhsa_user_sgpr_queue_ptr 0
		.amdhsa_user_sgpr_kernarg_segment_ptr 1
		.amdhsa_user_sgpr_dispatch_id 0
		.amdhsa_user_sgpr_flat_scratch_init 0
		.amdhsa_user_sgpr_kernarg_preload_length 0
		.amdhsa_user_sgpr_kernarg_preload_offset 0
		.amdhsa_user_sgpr_private_segment_size 0
		.amdhsa_uses_dynamic_stack 0
		.amdhsa_system_sgpr_private_segment_wavefront_offset 0
		.amdhsa_system_sgpr_workgroup_id_x 1
		.amdhsa_system_sgpr_workgroup_id_y 0
		.amdhsa_system_sgpr_workgroup_id_z 0
		.amdhsa_system_sgpr_workgroup_info 0
		.amdhsa_system_vgpr_workitem_id 0
		.amdhsa_next_free_vgpr 1
		.amdhsa_next_free_sgpr 0
		.amdhsa_accum_offset 4
		.amdhsa_reserve_vcc 0
		.amdhsa_reserve_flat_scratch 0
		.amdhsa_float_round_mode_32 0
		.amdhsa_float_round_mode_16_64 0
		.amdhsa_float_denorm_mode_32 3
		.amdhsa_float_denorm_mode_16_64 3
		.amdhsa_dx10_clamp 1
		.amdhsa_ieee_mode 1
		.amdhsa_fp16_overflow 0
		.amdhsa_tg_split 0
		.amdhsa_exception_fp_ieee_invalid_op 0
		.amdhsa_exception_fp_denorm_src 0
		.amdhsa_exception_fp_ieee_div_zero 0
		.amdhsa_exception_fp_ieee_overflow 0
		.amdhsa_exception_fp_ieee_underflow 0
		.amdhsa_exception_fp_ieee_inexact 0
		.amdhsa_exception_int_div_zero 0
	.end_amdhsa_kernel
	.section	.text._ZN7rocprim17ROCPRIM_400000_NS6detail17trampoline_kernelINS0_14default_configENS1_36segmented_radix_sort_config_selectorI12hip_bfloat16lEEZNS1_25segmented_radix_sort_implIS3_Lb0EPKS5_PS5_PKlPlN2at6native12_GLOBAL__N_18offset_tEEE10hipError_tPvRmT1_PNSt15iterator_traitsISL_E10value_typeET2_T3_PNSM_ISR_E10value_typeET4_jRbjT5_SX_jjP12ihipStream_tbEUlT_E_NS1_11comp_targetILNS1_3genE8ELNS1_11target_archE1030ELNS1_3gpuE2ELNS1_3repE0EEENS1_30default_config_static_selectorELNS0_4arch9wavefront6targetE1EEEvSL_,"axG",@progbits,_ZN7rocprim17ROCPRIM_400000_NS6detail17trampoline_kernelINS0_14default_configENS1_36segmented_radix_sort_config_selectorI12hip_bfloat16lEEZNS1_25segmented_radix_sort_implIS3_Lb0EPKS5_PS5_PKlPlN2at6native12_GLOBAL__N_18offset_tEEE10hipError_tPvRmT1_PNSt15iterator_traitsISL_E10value_typeET2_T3_PNSM_ISR_E10value_typeET4_jRbjT5_SX_jjP12ihipStream_tbEUlT_E_NS1_11comp_targetILNS1_3genE8ELNS1_11target_archE1030ELNS1_3gpuE2ELNS1_3repE0EEENS1_30default_config_static_selectorELNS0_4arch9wavefront6targetE1EEEvSL_,comdat
.Lfunc_end2056:
	.size	_ZN7rocprim17ROCPRIM_400000_NS6detail17trampoline_kernelINS0_14default_configENS1_36segmented_radix_sort_config_selectorI12hip_bfloat16lEEZNS1_25segmented_radix_sort_implIS3_Lb0EPKS5_PS5_PKlPlN2at6native12_GLOBAL__N_18offset_tEEE10hipError_tPvRmT1_PNSt15iterator_traitsISL_E10value_typeET2_T3_PNSM_ISR_E10value_typeET4_jRbjT5_SX_jjP12ihipStream_tbEUlT_E_NS1_11comp_targetILNS1_3genE8ELNS1_11target_archE1030ELNS1_3gpuE2ELNS1_3repE0EEENS1_30default_config_static_selectorELNS0_4arch9wavefront6targetE1EEEvSL_, .Lfunc_end2056-_ZN7rocprim17ROCPRIM_400000_NS6detail17trampoline_kernelINS0_14default_configENS1_36segmented_radix_sort_config_selectorI12hip_bfloat16lEEZNS1_25segmented_radix_sort_implIS3_Lb0EPKS5_PS5_PKlPlN2at6native12_GLOBAL__N_18offset_tEEE10hipError_tPvRmT1_PNSt15iterator_traitsISL_E10value_typeET2_T3_PNSM_ISR_E10value_typeET4_jRbjT5_SX_jjP12ihipStream_tbEUlT_E_NS1_11comp_targetILNS1_3genE8ELNS1_11target_archE1030ELNS1_3gpuE2ELNS1_3repE0EEENS1_30default_config_static_selectorELNS0_4arch9wavefront6targetE1EEEvSL_
                                        ; -- End function
	.section	.AMDGPU.csdata,"",@progbits
; Kernel info:
; codeLenInByte = 0
; NumSgprs: 4
; NumVgprs: 0
; NumAgprs: 0
; TotalNumVgprs: 0
; ScratchSize: 0
; MemoryBound: 0
; FloatMode: 240
; IeeeMode: 1
; LDSByteSize: 0 bytes/workgroup (compile time only)
; SGPRBlocks: 0
; VGPRBlocks: 0
; NumSGPRsForWavesPerEU: 4
; NumVGPRsForWavesPerEU: 1
; AccumOffset: 4
; Occupancy: 8
; WaveLimiterHint : 0
; COMPUTE_PGM_RSRC2:SCRATCH_EN: 0
; COMPUTE_PGM_RSRC2:USER_SGPR: 6
; COMPUTE_PGM_RSRC2:TRAP_HANDLER: 0
; COMPUTE_PGM_RSRC2:TGID_X_EN: 1
; COMPUTE_PGM_RSRC2:TGID_Y_EN: 0
; COMPUTE_PGM_RSRC2:TGID_Z_EN: 0
; COMPUTE_PGM_RSRC2:TIDIG_COMP_CNT: 0
; COMPUTE_PGM_RSRC3_GFX90A:ACCUM_OFFSET: 0
; COMPUTE_PGM_RSRC3_GFX90A:TG_SPLIT: 0
	.section	.text._ZN7rocprim17ROCPRIM_400000_NS6detail17trampoline_kernelINS0_14default_configENS1_36segmented_radix_sort_config_selectorI12hip_bfloat16lEEZNS1_25segmented_radix_sort_implIS3_Lb0EPKS5_PS5_PKlPlN2at6native12_GLOBAL__N_18offset_tEEE10hipError_tPvRmT1_PNSt15iterator_traitsISL_E10value_typeET2_T3_PNSM_ISR_E10value_typeET4_jRbjT5_SX_jjP12ihipStream_tbEUlT_E0_NS1_11comp_targetILNS1_3genE0ELNS1_11target_archE4294967295ELNS1_3gpuE0ELNS1_3repE0EEENS1_60segmented_radix_sort_warp_sort_medium_config_static_selectorELNS0_4arch9wavefront6targetE1EEEvSL_,"axG",@progbits,_ZN7rocprim17ROCPRIM_400000_NS6detail17trampoline_kernelINS0_14default_configENS1_36segmented_radix_sort_config_selectorI12hip_bfloat16lEEZNS1_25segmented_radix_sort_implIS3_Lb0EPKS5_PS5_PKlPlN2at6native12_GLOBAL__N_18offset_tEEE10hipError_tPvRmT1_PNSt15iterator_traitsISL_E10value_typeET2_T3_PNSM_ISR_E10value_typeET4_jRbjT5_SX_jjP12ihipStream_tbEUlT_E0_NS1_11comp_targetILNS1_3genE0ELNS1_11target_archE4294967295ELNS1_3gpuE0ELNS1_3repE0EEENS1_60segmented_radix_sort_warp_sort_medium_config_static_selectorELNS0_4arch9wavefront6targetE1EEEvSL_,comdat
	.globl	_ZN7rocprim17ROCPRIM_400000_NS6detail17trampoline_kernelINS0_14default_configENS1_36segmented_radix_sort_config_selectorI12hip_bfloat16lEEZNS1_25segmented_radix_sort_implIS3_Lb0EPKS5_PS5_PKlPlN2at6native12_GLOBAL__N_18offset_tEEE10hipError_tPvRmT1_PNSt15iterator_traitsISL_E10value_typeET2_T3_PNSM_ISR_E10value_typeET4_jRbjT5_SX_jjP12ihipStream_tbEUlT_E0_NS1_11comp_targetILNS1_3genE0ELNS1_11target_archE4294967295ELNS1_3gpuE0ELNS1_3repE0EEENS1_60segmented_radix_sort_warp_sort_medium_config_static_selectorELNS0_4arch9wavefront6targetE1EEEvSL_ ; -- Begin function _ZN7rocprim17ROCPRIM_400000_NS6detail17trampoline_kernelINS0_14default_configENS1_36segmented_radix_sort_config_selectorI12hip_bfloat16lEEZNS1_25segmented_radix_sort_implIS3_Lb0EPKS5_PS5_PKlPlN2at6native12_GLOBAL__N_18offset_tEEE10hipError_tPvRmT1_PNSt15iterator_traitsISL_E10value_typeET2_T3_PNSM_ISR_E10value_typeET4_jRbjT5_SX_jjP12ihipStream_tbEUlT_E0_NS1_11comp_targetILNS1_3genE0ELNS1_11target_archE4294967295ELNS1_3gpuE0ELNS1_3repE0EEENS1_60segmented_radix_sort_warp_sort_medium_config_static_selectorELNS0_4arch9wavefront6targetE1EEEvSL_
	.p2align	8
	.type	_ZN7rocprim17ROCPRIM_400000_NS6detail17trampoline_kernelINS0_14default_configENS1_36segmented_radix_sort_config_selectorI12hip_bfloat16lEEZNS1_25segmented_radix_sort_implIS3_Lb0EPKS5_PS5_PKlPlN2at6native12_GLOBAL__N_18offset_tEEE10hipError_tPvRmT1_PNSt15iterator_traitsISL_E10value_typeET2_T3_PNSM_ISR_E10value_typeET4_jRbjT5_SX_jjP12ihipStream_tbEUlT_E0_NS1_11comp_targetILNS1_3genE0ELNS1_11target_archE4294967295ELNS1_3gpuE0ELNS1_3repE0EEENS1_60segmented_radix_sort_warp_sort_medium_config_static_selectorELNS0_4arch9wavefront6targetE1EEEvSL_,@function
_ZN7rocprim17ROCPRIM_400000_NS6detail17trampoline_kernelINS0_14default_configENS1_36segmented_radix_sort_config_selectorI12hip_bfloat16lEEZNS1_25segmented_radix_sort_implIS3_Lb0EPKS5_PS5_PKlPlN2at6native12_GLOBAL__N_18offset_tEEE10hipError_tPvRmT1_PNSt15iterator_traitsISL_E10value_typeET2_T3_PNSM_ISR_E10value_typeET4_jRbjT5_SX_jjP12ihipStream_tbEUlT_E0_NS1_11comp_targetILNS1_3genE0ELNS1_11target_archE4294967295ELNS1_3gpuE0ELNS1_3repE0EEENS1_60segmented_radix_sort_warp_sort_medium_config_static_selectorELNS0_4arch9wavefront6targetE1EEEvSL_: ; @_ZN7rocprim17ROCPRIM_400000_NS6detail17trampoline_kernelINS0_14default_configENS1_36segmented_radix_sort_config_selectorI12hip_bfloat16lEEZNS1_25segmented_radix_sort_implIS3_Lb0EPKS5_PS5_PKlPlN2at6native12_GLOBAL__N_18offset_tEEE10hipError_tPvRmT1_PNSt15iterator_traitsISL_E10value_typeET2_T3_PNSM_ISR_E10value_typeET4_jRbjT5_SX_jjP12ihipStream_tbEUlT_E0_NS1_11comp_targetILNS1_3genE0ELNS1_11target_archE4294967295ELNS1_3gpuE0ELNS1_3repE0EEENS1_60segmented_radix_sort_warp_sort_medium_config_static_selectorELNS0_4arch9wavefront6targetE1EEEvSL_
; %bb.0:
	.section	.rodata,"a",@progbits
	.p2align	6, 0x0
	.amdhsa_kernel _ZN7rocprim17ROCPRIM_400000_NS6detail17trampoline_kernelINS0_14default_configENS1_36segmented_radix_sort_config_selectorI12hip_bfloat16lEEZNS1_25segmented_radix_sort_implIS3_Lb0EPKS5_PS5_PKlPlN2at6native12_GLOBAL__N_18offset_tEEE10hipError_tPvRmT1_PNSt15iterator_traitsISL_E10value_typeET2_T3_PNSM_ISR_E10value_typeET4_jRbjT5_SX_jjP12ihipStream_tbEUlT_E0_NS1_11comp_targetILNS1_3genE0ELNS1_11target_archE4294967295ELNS1_3gpuE0ELNS1_3repE0EEENS1_60segmented_radix_sort_warp_sort_medium_config_static_selectorELNS0_4arch9wavefront6targetE1EEEvSL_
		.amdhsa_group_segment_fixed_size 0
		.amdhsa_private_segment_fixed_size 0
		.amdhsa_kernarg_size 88
		.amdhsa_user_sgpr_count 6
		.amdhsa_user_sgpr_private_segment_buffer 1
		.amdhsa_user_sgpr_dispatch_ptr 0
		.amdhsa_user_sgpr_queue_ptr 0
		.amdhsa_user_sgpr_kernarg_segment_ptr 1
		.amdhsa_user_sgpr_dispatch_id 0
		.amdhsa_user_sgpr_flat_scratch_init 0
		.amdhsa_user_sgpr_kernarg_preload_length 0
		.amdhsa_user_sgpr_kernarg_preload_offset 0
		.amdhsa_user_sgpr_private_segment_size 0
		.amdhsa_uses_dynamic_stack 0
		.amdhsa_system_sgpr_private_segment_wavefront_offset 0
		.amdhsa_system_sgpr_workgroup_id_x 1
		.amdhsa_system_sgpr_workgroup_id_y 0
		.amdhsa_system_sgpr_workgroup_id_z 0
		.amdhsa_system_sgpr_workgroup_info 0
		.amdhsa_system_vgpr_workitem_id 0
		.amdhsa_next_free_vgpr 1
		.amdhsa_next_free_sgpr 0
		.amdhsa_accum_offset 4
		.amdhsa_reserve_vcc 0
		.amdhsa_reserve_flat_scratch 0
		.amdhsa_float_round_mode_32 0
		.amdhsa_float_round_mode_16_64 0
		.amdhsa_float_denorm_mode_32 3
		.amdhsa_float_denorm_mode_16_64 3
		.amdhsa_dx10_clamp 1
		.amdhsa_ieee_mode 1
		.amdhsa_fp16_overflow 0
		.amdhsa_tg_split 0
		.amdhsa_exception_fp_ieee_invalid_op 0
		.amdhsa_exception_fp_denorm_src 0
		.amdhsa_exception_fp_ieee_div_zero 0
		.amdhsa_exception_fp_ieee_overflow 0
		.amdhsa_exception_fp_ieee_underflow 0
		.amdhsa_exception_fp_ieee_inexact 0
		.amdhsa_exception_int_div_zero 0
	.end_amdhsa_kernel
	.section	.text._ZN7rocprim17ROCPRIM_400000_NS6detail17trampoline_kernelINS0_14default_configENS1_36segmented_radix_sort_config_selectorI12hip_bfloat16lEEZNS1_25segmented_radix_sort_implIS3_Lb0EPKS5_PS5_PKlPlN2at6native12_GLOBAL__N_18offset_tEEE10hipError_tPvRmT1_PNSt15iterator_traitsISL_E10value_typeET2_T3_PNSM_ISR_E10value_typeET4_jRbjT5_SX_jjP12ihipStream_tbEUlT_E0_NS1_11comp_targetILNS1_3genE0ELNS1_11target_archE4294967295ELNS1_3gpuE0ELNS1_3repE0EEENS1_60segmented_radix_sort_warp_sort_medium_config_static_selectorELNS0_4arch9wavefront6targetE1EEEvSL_,"axG",@progbits,_ZN7rocprim17ROCPRIM_400000_NS6detail17trampoline_kernelINS0_14default_configENS1_36segmented_radix_sort_config_selectorI12hip_bfloat16lEEZNS1_25segmented_radix_sort_implIS3_Lb0EPKS5_PS5_PKlPlN2at6native12_GLOBAL__N_18offset_tEEE10hipError_tPvRmT1_PNSt15iterator_traitsISL_E10value_typeET2_T3_PNSM_ISR_E10value_typeET4_jRbjT5_SX_jjP12ihipStream_tbEUlT_E0_NS1_11comp_targetILNS1_3genE0ELNS1_11target_archE4294967295ELNS1_3gpuE0ELNS1_3repE0EEENS1_60segmented_radix_sort_warp_sort_medium_config_static_selectorELNS0_4arch9wavefront6targetE1EEEvSL_,comdat
.Lfunc_end2057:
	.size	_ZN7rocprim17ROCPRIM_400000_NS6detail17trampoline_kernelINS0_14default_configENS1_36segmented_radix_sort_config_selectorI12hip_bfloat16lEEZNS1_25segmented_radix_sort_implIS3_Lb0EPKS5_PS5_PKlPlN2at6native12_GLOBAL__N_18offset_tEEE10hipError_tPvRmT1_PNSt15iterator_traitsISL_E10value_typeET2_T3_PNSM_ISR_E10value_typeET4_jRbjT5_SX_jjP12ihipStream_tbEUlT_E0_NS1_11comp_targetILNS1_3genE0ELNS1_11target_archE4294967295ELNS1_3gpuE0ELNS1_3repE0EEENS1_60segmented_radix_sort_warp_sort_medium_config_static_selectorELNS0_4arch9wavefront6targetE1EEEvSL_, .Lfunc_end2057-_ZN7rocprim17ROCPRIM_400000_NS6detail17trampoline_kernelINS0_14default_configENS1_36segmented_radix_sort_config_selectorI12hip_bfloat16lEEZNS1_25segmented_radix_sort_implIS3_Lb0EPKS5_PS5_PKlPlN2at6native12_GLOBAL__N_18offset_tEEE10hipError_tPvRmT1_PNSt15iterator_traitsISL_E10value_typeET2_T3_PNSM_ISR_E10value_typeET4_jRbjT5_SX_jjP12ihipStream_tbEUlT_E0_NS1_11comp_targetILNS1_3genE0ELNS1_11target_archE4294967295ELNS1_3gpuE0ELNS1_3repE0EEENS1_60segmented_radix_sort_warp_sort_medium_config_static_selectorELNS0_4arch9wavefront6targetE1EEEvSL_
                                        ; -- End function
	.section	.AMDGPU.csdata,"",@progbits
; Kernel info:
; codeLenInByte = 0
; NumSgprs: 4
; NumVgprs: 0
; NumAgprs: 0
; TotalNumVgprs: 0
; ScratchSize: 0
; MemoryBound: 0
; FloatMode: 240
; IeeeMode: 1
; LDSByteSize: 0 bytes/workgroup (compile time only)
; SGPRBlocks: 0
; VGPRBlocks: 0
; NumSGPRsForWavesPerEU: 4
; NumVGPRsForWavesPerEU: 1
; AccumOffset: 4
; Occupancy: 8
; WaveLimiterHint : 0
; COMPUTE_PGM_RSRC2:SCRATCH_EN: 0
; COMPUTE_PGM_RSRC2:USER_SGPR: 6
; COMPUTE_PGM_RSRC2:TRAP_HANDLER: 0
; COMPUTE_PGM_RSRC2:TGID_X_EN: 1
; COMPUTE_PGM_RSRC2:TGID_Y_EN: 0
; COMPUTE_PGM_RSRC2:TGID_Z_EN: 0
; COMPUTE_PGM_RSRC2:TIDIG_COMP_CNT: 0
; COMPUTE_PGM_RSRC3_GFX90A:ACCUM_OFFSET: 0
; COMPUTE_PGM_RSRC3_GFX90A:TG_SPLIT: 0
	.section	.text._ZN7rocprim17ROCPRIM_400000_NS6detail17trampoline_kernelINS0_14default_configENS1_36segmented_radix_sort_config_selectorI12hip_bfloat16lEEZNS1_25segmented_radix_sort_implIS3_Lb0EPKS5_PS5_PKlPlN2at6native12_GLOBAL__N_18offset_tEEE10hipError_tPvRmT1_PNSt15iterator_traitsISL_E10value_typeET2_T3_PNSM_ISR_E10value_typeET4_jRbjT5_SX_jjP12ihipStream_tbEUlT_E0_NS1_11comp_targetILNS1_3genE5ELNS1_11target_archE942ELNS1_3gpuE9ELNS1_3repE0EEENS1_60segmented_radix_sort_warp_sort_medium_config_static_selectorELNS0_4arch9wavefront6targetE1EEEvSL_,"axG",@progbits,_ZN7rocprim17ROCPRIM_400000_NS6detail17trampoline_kernelINS0_14default_configENS1_36segmented_radix_sort_config_selectorI12hip_bfloat16lEEZNS1_25segmented_radix_sort_implIS3_Lb0EPKS5_PS5_PKlPlN2at6native12_GLOBAL__N_18offset_tEEE10hipError_tPvRmT1_PNSt15iterator_traitsISL_E10value_typeET2_T3_PNSM_ISR_E10value_typeET4_jRbjT5_SX_jjP12ihipStream_tbEUlT_E0_NS1_11comp_targetILNS1_3genE5ELNS1_11target_archE942ELNS1_3gpuE9ELNS1_3repE0EEENS1_60segmented_radix_sort_warp_sort_medium_config_static_selectorELNS0_4arch9wavefront6targetE1EEEvSL_,comdat
	.globl	_ZN7rocprim17ROCPRIM_400000_NS6detail17trampoline_kernelINS0_14default_configENS1_36segmented_radix_sort_config_selectorI12hip_bfloat16lEEZNS1_25segmented_radix_sort_implIS3_Lb0EPKS5_PS5_PKlPlN2at6native12_GLOBAL__N_18offset_tEEE10hipError_tPvRmT1_PNSt15iterator_traitsISL_E10value_typeET2_T3_PNSM_ISR_E10value_typeET4_jRbjT5_SX_jjP12ihipStream_tbEUlT_E0_NS1_11comp_targetILNS1_3genE5ELNS1_11target_archE942ELNS1_3gpuE9ELNS1_3repE0EEENS1_60segmented_radix_sort_warp_sort_medium_config_static_selectorELNS0_4arch9wavefront6targetE1EEEvSL_ ; -- Begin function _ZN7rocprim17ROCPRIM_400000_NS6detail17trampoline_kernelINS0_14default_configENS1_36segmented_radix_sort_config_selectorI12hip_bfloat16lEEZNS1_25segmented_radix_sort_implIS3_Lb0EPKS5_PS5_PKlPlN2at6native12_GLOBAL__N_18offset_tEEE10hipError_tPvRmT1_PNSt15iterator_traitsISL_E10value_typeET2_T3_PNSM_ISR_E10value_typeET4_jRbjT5_SX_jjP12ihipStream_tbEUlT_E0_NS1_11comp_targetILNS1_3genE5ELNS1_11target_archE942ELNS1_3gpuE9ELNS1_3repE0EEENS1_60segmented_radix_sort_warp_sort_medium_config_static_selectorELNS0_4arch9wavefront6targetE1EEEvSL_
	.p2align	8
	.type	_ZN7rocprim17ROCPRIM_400000_NS6detail17trampoline_kernelINS0_14default_configENS1_36segmented_radix_sort_config_selectorI12hip_bfloat16lEEZNS1_25segmented_radix_sort_implIS3_Lb0EPKS5_PS5_PKlPlN2at6native12_GLOBAL__N_18offset_tEEE10hipError_tPvRmT1_PNSt15iterator_traitsISL_E10value_typeET2_T3_PNSM_ISR_E10value_typeET4_jRbjT5_SX_jjP12ihipStream_tbEUlT_E0_NS1_11comp_targetILNS1_3genE5ELNS1_11target_archE942ELNS1_3gpuE9ELNS1_3repE0EEENS1_60segmented_radix_sort_warp_sort_medium_config_static_selectorELNS0_4arch9wavefront6targetE1EEEvSL_,@function
_ZN7rocprim17ROCPRIM_400000_NS6detail17trampoline_kernelINS0_14default_configENS1_36segmented_radix_sort_config_selectorI12hip_bfloat16lEEZNS1_25segmented_radix_sort_implIS3_Lb0EPKS5_PS5_PKlPlN2at6native12_GLOBAL__N_18offset_tEEE10hipError_tPvRmT1_PNSt15iterator_traitsISL_E10value_typeET2_T3_PNSM_ISR_E10value_typeET4_jRbjT5_SX_jjP12ihipStream_tbEUlT_E0_NS1_11comp_targetILNS1_3genE5ELNS1_11target_archE942ELNS1_3gpuE9ELNS1_3repE0EEENS1_60segmented_radix_sort_warp_sort_medium_config_static_selectorELNS0_4arch9wavefront6targetE1EEEvSL_: ; @_ZN7rocprim17ROCPRIM_400000_NS6detail17trampoline_kernelINS0_14default_configENS1_36segmented_radix_sort_config_selectorI12hip_bfloat16lEEZNS1_25segmented_radix_sort_implIS3_Lb0EPKS5_PS5_PKlPlN2at6native12_GLOBAL__N_18offset_tEEE10hipError_tPvRmT1_PNSt15iterator_traitsISL_E10value_typeET2_T3_PNSM_ISR_E10value_typeET4_jRbjT5_SX_jjP12ihipStream_tbEUlT_E0_NS1_11comp_targetILNS1_3genE5ELNS1_11target_archE942ELNS1_3gpuE9ELNS1_3repE0EEENS1_60segmented_radix_sort_warp_sort_medium_config_static_selectorELNS0_4arch9wavefront6targetE1EEEvSL_
; %bb.0:
	.section	.rodata,"a",@progbits
	.p2align	6, 0x0
	.amdhsa_kernel _ZN7rocprim17ROCPRIM_400000_NS6detail17trampoline_kernelINS0_14default_configENS1_36segmented_radix_sort_config_selectorI12hip_bfloat16lEEZNS1_25segmented_radix_sort_implIS3_Lb0EPKS5_PS5_PKlPlN2at6native12_GLOBAL__N_18offset_tEEE10hipError_tPvRmT1_PNSt15iterator_traitsISL_E10value_typeET2_T3_PNSM_ISR_E10value_typeET4_jRbjT5_SX_jjP12ihipStream_tbEUlT_E0_NS1_11comp_targetILNS1_3genE5ELNS1_11target_archE942ELNS1_3gpuE9ELNS1_3repE0EEENS1_60segmented_radix_sort_warp_sort_medium_config_static_selectorELNS0_4arch9wavefront6targetE1EEEvSL_
		.amdhsa_group_segment_fixed_size 0
		.amdhsa_private_segment_fixed_size 0
		.amdhsa_kernarg_size 88
		.amdhsa_user_sgpr_count 6
		.amdhsa_user_sgpr_private_segment_buffer 1
		.amdhsa_user_sgpr_dispatch_ptr 0
		.amdhsa_user_sgpr_queue_ptr 0
		.amdhsa_user_sgpr_kernarg_segment_ptr 1
		.amdhsa_user_sgpr_dispatch_id 0
		.amdhsa_user_sgpr_flat_scratch_init 0
		.amdhsa_user_sgpr_kernarg_preload_length 0
		.amdhsa_user_sgpr_kernarg_preload_offset 0
		.amdhsa_user_sgpr_private_segment_size 0
		.amdhsa_uses_dynamic_stack 0
		.amdhsa_system_sgpr_private_segment_wavefront_offset 0
		.amdhsa_system_sgpr_workgroup_id_x 1
		.amdhsa_system_sgpr_workgroup_id_y 0
		.amdhsa_system_sgpr_workgroup_id_z 0
		.amdhsa_system_sgpr_workgroup_info 0
		.amdhsa_system_vgpr_workitem_id 0
		.amdhsa_next_free_vgpr 1
		.amdhsa_next_free_sgpr 0
		.amdhsa_accum_offset 4
		.amdhsa_reserve_vcc 0
		.amdhsa_reserve_flat_scratch 0
		.amdhsa_float_round_mode_32 0
		.amdhsa_float_round_mode_16_64 0
		.amdhsa_float_denorm_mode_32 3
		.amdhsa_float_denorm_mode_16_64 3
		.amdhsa_dx10_clamp 1
		.amdhsa_ieee_mode 1
		.amdhsa_fp16_overflow 0
		.amdhsa_tg_split 0
		.amdhsa_exception_fp_ieee_invalid_op 0
		.amdhsa_exception_fp_denorm_src 0
		.amdhsa_exception_fp_ieee_div_zero 0
		.amdhsa_exception_fp_ieee_overflow 0
		.amdhsa_exception_fp_ieee_underflow 0
		.amdhsa_exception_fp_ieee_inexact 0
		.amdhsa_exception_int_div_zero 0
	.end_amdhsa_kernel
	.section	.text._ZN7rocprim17ROCPRIM_400000_NS6detail17trampoline_kernelINS0_14default_configENS1_36segmented_radix_sort_config_selectorI12hip_bfloat16lEEZNS1_25segmented_radix_sort_implIS3_Lb0EPKS5_PS5_PKlPlN2at6native12_GLOBAL__N_18offset_tEEE10hipError_tPvRmT1_PNSt15iterator_traitsISL_E10value_typeET2_T3_PNSM_ISR_E10value_typeET4_jRbjT5_SX_jjP12ihipStream_tbEUlT_E0_NS1_11comp_targetILNS1_3genE5ELNS1_11target_archE942ELNS1_3gpuE9ELNS1_3repE0EEENS1_60segmented_radix_sort_warp_sort_medium_config_static_selectorELNS0_4arch9wavefront6targetE1EEEvSL_,"axG",@progbits,_ZN7rocprim17ROCPRIM_400000_NS6detail17trampoline_kernelINS0_14default_configENS1_36segmented_radix_sort_config_selectorI12hip_bfloat16lEEZNS1_25segmented_radix_sort_implIS3_Lb0EPKS5_PS5_PKlPlN2at6native12_GLOBAL__N_18offset_tEEE10hipError_tPvRmT1_PNSt15iterator_traitsISL_E10value_typeET2_T3_PNSM_ISR_E10value_typeET4_jRbjT5_SX_jjP12ihipStream_tbEUlT_E0_NS1_11comp_targetILNS1_3genE5ELNS1_11target_archE942ELNS1_3gpuE9ELNS1_3repE0EEENS1_60segmented_radix_sort_warp_sort_medium_config_static_selectorELNS0_4arch9wavefront6targetE1EEEvSL_,comdat
.Lfunc_end2058:
	.size	_ZN7rocprim17ROCPRIM_400000_NS6detail17trampoline_kernelINS0_14default_configENS1_36segmented_radix_sort_config_selectorI12hip_bfloat16lEEZNS1_25segmented_radix_sort_implIS3_Lb0EPKS5_PS5_PKlPlN2at6native12_GLOBAL__N_18offset_tEEE10hipError_tPvRmT1_PNSt15iterator_traitsISL_E10value_typeET2_T3_PNSM_ISR_E10value_typeET4_jRbjT5_SX_jjP12ihipStream_tbEUlT_E0_NS1_11comp_targetILNS1_3genE5ELNS1_11target_archE942ELNS1_3gpuE9ELNS1_3repE0EEENS1_60segmented_radix_sort_warp_sort_medium_config_static_selectorELNS0_4arch9wavefront6targetE1EEEvSL_, .Lfunc_end2058-_ZN7rocprim17ROCPRIM_400000_NS6detail17trampoline_kernelINS0_14default_configENS1_36segmented_radix_sort_config_selectorI12hip_bfloat16lEEZNS1_25segmented_radix_sort_implIS3_Lb0EPKS5_PS5_PKlPlN2at6native12_GLOBAL__N_18offset_tEEE10hipError_tPvRmT1_PNSt15iterator_traitsISL_E10value_typeET2_T3_PNSM_ISR_E10value_typeET4_jRbjT5_SX_jjP12ihipStream_tbEUlT_E0_NS1_11comp_targetILNS1_3genE5ELNS1_11target_archE942ELNS1_3gpuE9ELNS1_3repE0EEENS1_60segmented_radix_sort_warp_sort_medium_config_static_selectorELNS0_4arch9wavefront6targetE1EEEvSL_
                                        ; -- End function
	.section	.AMDGPU.csdata,"",@progbits
; Kernel info:
; codeLenInByte = 0
; NumSgprs: 4
; NumVgprs: 0
; NumAgprs: 0
; TotalNumVgprs: 0
; ScratchSize: 0
; MemoryBound: 0
; FloatMode: 240
; IeeeMode: 1
; LDSByteSize: 0 bytes/workgroup (compile time only)
; SGPRBlocks: 0
; VGPRBlocks: 0
; NumSGPRsForWavesPerEU: 4
; NumVGPRsForWavesPerEU: 1
; AccumOffset: 4
; Occupancy: 8
; WaveLimiterHint : 0
; COMPUTE_PGM_RSRC2:SCRATCH_EN: 0
; COMPUTE_PGM_RSRC2:USER_SGPR: 6
; COMPUTE_PGM_RSRC2:TRAP_HANDLER: 0
; COMPUTE_PGM_RSRC2:TGID_X_EN: 1
; COMPUTE_PGM_RSRC2:TGID_Y_EN: 0
; COMPUTE_PGM_RSRC2:TGID_Z_EN: 0
; COMPUTE_PGM_RSRC2:TIDIG_COMP_CNT: 0
; COMPUTE_PGM_RSRC3_GFX90A:ACCUM_OFFSET: 0
; COMPUTE_PGM_RSRC3_GFX90A:TG_SPLIT: 0
	.text
	.p2align	2                               ; -- Begin function _ZN7rocprim17ROCPRIM_400000_NS6detail26segmented_warp_sort_helperINS1_20WarpSortHelperConfigILj16ELj8ELj256EEE12hip_bfloat16lLi256ELb0EvE4sortIPKS5_PS5_PKlPlEEvT_T0_T1_T2_jjjjRNS6_12storage_typeE
	.type	_ZN7rocprim17ROCPRIM_400000_NS6detail26segmented_warp_sort_helperINS1_20WarpSortHelperConfigILj16ELj8ELj256EEE12hip_bfloat16lLi256ELb0EvE4sortIPKS5_PS5_PKlPlEEvT_T0_T1_T2_jjjjRNS6_12storage_typeE,@function
_ZN7rocprim17ROCPRIM_400000_NS6detail26segmented_warp_sort_helperINS1_20WarpSortHelperConfigILj16ELj8ELj256EEE12hip_bfloat16lLi256ELb0EvE4sortIPKS5_PS5_PKlPlEEvT_T0_T1_T2_jjjjRNS6_12storage_typeE: ; @_ZN7rocprim17ROCPRIM_400000_NS6detail26segmented_warp_sort_helperINS1_20WarpSortHelperConfigILj16ELj8ELj256EEE12hip_bfloat16lLi256ELb0EvE4sortIPKS5_PS5_PKlPlEEvT_T0_T1_T2_jjjjRNS6_12storage_typeE
; %bb.0:
	s_waitcnt vmcnt(0) expcnt(0) lgkmcnt(0)
	s_or_saveexec_b64 s[4:5], -1
	buffer_store_dword v40, off, s[0:3], s32 ; 4-byte Folded Spill
	s_mov_b64 exec, s[4:5]
	v_writelane_b32 v40, s34, 0
	v_writelane_b32 v40, s35, 1
	v_writelane_b32 v40, s36, 2
	v_writelane_b32 v40, s37, 3
	v_writelane_b32 v40, s38, 4
	v_writelane_b32 v40, s39, 5
	v_writelane_b32 v40, s40, 6
	v_writelane_b32 v40, s41, 7
	v_writelane_b32 v40, s42, 8
	v_writelane_b32 v40, s43, 9
	v_writelane_b32 v40, s44, 10
	v_writelane_b32 v40, s45, 11
	v_writelane_b32 v40, s30, 12
	v_writelane_b32 v40, s31, 13
	v_mbcnt_lo_u32_b32 v11, -1, 0
	v_sub_u32_e32 v10, v9, v8
	v_mov_b32_e32 v9, 0
	v_mbcnt_hi_u32_b32 v11, -1, v11
	v_lshlrev_b64 v[24:25], 1, v[8:9]
	v_lshlrev_b32_e32 v37, 3, v11
	v_add_co_u32_e32 v0, vcc, v0, v24
	v_and_b32_e32 v36, 0x78, v37
	v_addc_co_u32_e32 v1, vcc, v1, v25, vcc
	v_lshlrev_b32_e32 v34, 1, v36
	v_add_co_u32_e32 v0, vcc, v0, v34
	v_addc_co_u32_e32 v1, vcc, 0, v1, vcc
	v_cmp_lt_u32_e32 vcc, v36, v10
	v_mov_b32_e32 v50, 0x7fff
	v_mov_b32_e32 v38, 0x7fff
	s_and_saveexec_b64 s[4:5], vcc
	s_cbranch_execz .LBB2059_2
; %bb.1:
	flat_load_ushort v38, v[0:1]
.LBB2059_2:
	s_or_b64 exec, exec, s[4:5]
	v_or_b32_e32 v11, 1, v36
	v_cmp_lt_u32_e64 s[4:5], v11, v10
	s_and_saveexec_b64 s[6:7], s[4:5]
	s_cbranch_execz .LBB2059_4
; %bb.3:
	flat_load_ushort v50, v[0:1] offset:2
.LBB2059_4:
	s_or_b64 exec, exec, s[6:7]
	v_or_b32_e32 v11, 2, v36
	v_cmp_lt_u32_e64 s[6:7], v11, v10
	v_mov_b32_e32 v53, 0x7fff
	v_mov_b32_e32 v51, 0x7fff
	s_and_saveexec_b64 s[10:11], s[6:7]
	s_cbranch_execz .LBB2059_6
; %bb.5:
	flat_load_ushort v51, v[0:1] offset:4
.LBB2059_6:
	s_or_b64 exec, exec, s[10:11]
	v_or_b32_e32 v11, 3, v36
	v_cmp_lt_u32_e64 s[18:19], v11, v10
	s_and_saveexec_b64 s[10:11], s[18:19]
	s_cbranch_execz .LBB2059_8
; %bb.7:
	flat_load_ushort v53, v[0:1] offset:6
.LBB2059_8:
	s_or_b64 exec, exec, s[10:11]
	v_or_b32_e32 v11, 4, v36
	v_cmp_lt_u32_e64 s[10:11], v11, v10
	v_mov_b32_e32 v48, 0x7fff
	v_mov_b32_e32 v49, 0x7fff
	s_and_saveexec_b64 s[14:15], s[10:11]
	s_cbranch_execz .LBB2059_10
; %bb.9:
	flat_load_ushort v49, v[0:1] offset:8
.LBB2059_10:
	;; [unrolled: 18-line block ×3, first 2 shown]
	s_or_b64 exec, exec, s[16:17]
	v_or_b32_e32 v11, 7, v36
	v_cmp_lt_u32_e64 s[16:17], v11, v10
	s_and_saveexec_b64 s[22:23], s[16:17]
	s_cbranch_execz .LBB2059_16
; %bb.15:
	flat_load_ushort v39, v[0:1] offset:14
.LBB2059_16:
	s_or_b64 exec, exec, s[22:23]
	v_lshlrev_b64 v[0:1], 3, v[8:9]
	v_add_co_u32_e64 v4, s[22:23], v4, v0
	v_addc_co_u32_e64 v5, s[22:23], v5, v1, s[22:23]
	v_lshlrev_b32_e32 v35, 3, v36
	v_add_co_u32_e64 v32, s[22:23], v4, v35
	v_addc_co_u32_e64 v33, s[22:23], 0, v5, s[22:23]
	; wave barrier
                                        ; implicit-def: $vgpr4_vgpr5
	s_and_saveexec_b64 s[22:23], vcc
	s_cbranch_execnz .LBB2059_318
; %bb.17:
	s_or_b64 exec, exec, s[22:23]
	s_and_saveexec_b64 s[22:23], s[4:5]
                                        ; implicit-def: $vgpr8_vgpr9_vgpr10_vgpr11
	s_cbranch_execnz .LBB2059_319
.LBB2059_18:
	s_or_b64 exec, exec, s[22:23]
                                        ; implicit-def: $vgpr26_vgpr27
	s_and_saveexec_b64 s[22:23], s[6:7]
	s_cbranch_execnz .LBB2059_320
.LBB2059_19:
	s_or_b64 exec, exec, s[22:23]
	s_and_saveexec_b64 s[22:23], s[18:19]
                                        ; implicit-def: $vgpr12_vgpr13_vgpr14_vgpr15
	s_cbranch_execnz .LBB2059_321
.LBB2059_20:
	s_or_b64 exec, exec, s[22:23]
                                        ; implicit-def: $vgpr28_vgpr29
	s_and_saveexec_b64 s[22:23], s[10:11]
	s_cbranch_execnz .LBB2059_322
.LBB2059_21:
	s_or_b64 exec, exec, s[22:23]
	s_and_saveexec_b64 s[22:23], s[20:21]
                                        ; implicit-def: $vgpr16_vgpr17_vgpr18_vgpr19
	s_cbranch_execnz .LBB2059_323
.LBB2059_22:
	s_or_b64 exec, exec, s[22:23]
                                        ; implicit-def: $vgpr16_vgpr17
	s_and_saveexec_b64 s[22:23], s[14:15]
	s_cbranch_execnz .LBB2059_324
.LBB2059_23:
	s_or_b64 exec, exec, s[22:23]
	s_and_saveexec_b64 s[22:23], s[16:17]
                                        ; implicit-def: $vgpr20_vgpr21_vgpr22_vgpr23
	s_cbranch_execz .LBB2059_25
.LBB2059_24:
	flat_load_dwordx2 v[22:23], v[32:33] offset:56
.LBB2059_25:
	s_or_b64 exec, exec, s[22:23]
	; wave barrier
	s_load_dwordx2 s[22:23], s[8:9], 0x0
	v_mov_b32_e32 v8, 0
	v_bfe_u32 v13, v31, 20, 10
	v_and_b32_e32 v20, 0x3ff, v31
	s_waitcnt lgkmcnt(0)
	s_cmp_lt_u32 s12, s22
	s_cselect_b32 s22, 12, 18
	s_cmp_lt_u32 s13, s23
	s_cselect_b32 s12, 14, 20
	s_add_u32 s12, s8, s12
	s_addc_u32 s13, s9, 0
	s_add_u32 s8, s8, s22
	s_addc_u32 s9, s9, 0
	global_load_ushort v9, v8, s[12:13]
	global_load_ushort v12, v8, s[8:9]
	v_bfe_u32 v8, v31, 10, 10
	s_movk_i32 s8, 0x800
	s_waitcnt vmcnt(0)
	v_mad_u32_u24 v8, v13, v9, v8
	v_mul_lo_u32 v8, v8, v12
	v_add_lshl_u32 v32, v8, v20, 3
	v_cmp_gt_u32_e64 s[8:9], s8, v32
	s_and_saveexec_b64 s[12:13], s[8:9]
	s_cbranch_execz .LBB2059_307
; %bb.26:
	v_lshlrev_b32_e32 v8, 16, v38
	v_add_f32_e32 v9, 0, v8
	s_mov_b32 s8, 0x7f800000
	v_and_b32_e32 v8, 0x7f800000, v9
	v_cmp_ne_u32_e64 s[8:9], s8, v8
                                        ; implicit-def: $vgpr8
	s_and_saveexec_b64 s[22:23], s[8:9]
	s_xor_b64 s[8:9], exec, s[22:23]
; %bb.27:
	v_bfe_u32 v8, v9, 16, 1
	s_movk_i32 s22, 0x7fff
	v_add3_u32 v8, v9, v8, s22
                                        ; implicit-def: $vgpr9
; %bb.28:
	s_andn2_saveexec_b64 s[22:23], s[8:9]
; %bb.29:
	v_mov_b32_e32 v8, 0
	v_or_b32_e32 v12, 0x10000, v9
	v_cmp_eq_u32_sdwa s[8:9], v9, v8 src0_sel:WORD_0 src1_sel:DWORD
	v_cndmask_b32_e64 v8, v12, v9, s[8:9]
; %bb.30:
	s_or_b64 exec, exec, s[22:23]
	v_lshlrev_b32_e32 v9, 16, v50
	v_add_f32_e32 v12, 0, v9
	s_mov_b32 s8, 0x7f800000
	v_and_b32_e32 v9, 0x7f800000, v12
	v_cmp_ne_u32_e64 s[8:9], s8, v9
                                        ; implicit-def: $vgpr9
	s_and_saveexec_b64 s[22:23], s[8:9]
	s_xor_b64 s[8:9], exec, s[22:23]
; %bb.31:
	v_bfe_u32 v9, v12, 16, 1
	s_movk_i32 s22, 0x7fff
	v_add3_u32 v9, v12, v9, s22
                                        ; implicit-def: $vgpr12
; %bb.32:
	s_andn2_saveexec_b64 s[22:23], s[8:9]
; %bb.33:
	v_mov_b32_e32 v9, 0
	v_or_b32_e32 v13, 0x10000, v12
	v_cmp_eq_u32_sdwa s[8:9], v12, v9 src0_sel:WORD_0 src1_sel:DWORD
	v_cndmask_b32_e64 v9, v13, v12, s[8:9]
; %bb.34:
	s_or_b64 exec, exec, s[22:23]
	s_mov_b32 s8, 0x7060302
	v_perm_b32 v12, v9, v8, s8
	v_mov_b32_e32 v13, 0xffff8000
	v_cmp_lt_i32_e64 s[8:9], -1, v8
	v_cndmask_b32_e64 v8, -1, v13, s[8:9]
	v_cmp_lt_i32_e64 s[8:9], -1, v9
	v_cndmask_b32_e64 v9, -1, v13, s[8:9]
	s_mov_b32 s8, 0x5040100
	v_perm_b32 v8, v9, v8, s8
	v_xor_b32_e32 v8, v8, v12
	v_cmp_gt_u16_sdwa s[22:23], v8, v8 src0_sel:DWORD src1_sel:WORD_1
	v_mov_b32_e32 v33, v50
	v_pk_mov_b32 v[20:21], v[10:11], v[10:11] op_sel:[0,1]
	s_and_saveexec_b64 s[8:9], s[22:23]
; %bb.35:
	v_mov_b32_e32 v33, v38
	v_mov_b32_e32 v38, v50
	v_pk_mov_b32 v[20:21], v[4:5], v[4:5] op_sel:[0,1]
	v_pk_mov_b32 v[4:5], v[10:11], v[10:11] op_sel:[0,1]
; %bb.36:
	s_or_b64 exec, exec, s[8:9]
	v_lshlrev_b32_e32 v8, 16, v51
	v_add_f32_e32 v9, 0, v8
	s_mov_b32 s8, 0x7f800000
	v_and_b32_e32 v8, 0x7f800000, v9
	v_cmp_ne_u32_e64 s[8:9], s8, v8
                                        ; implicit-def: $vgpr8
	s_and_saveexec_b64 s[22:23], s[8:9]
	s_xor_b64 s[8:9], exec, s[22:23]
; %bb.37:
	v_bfe_u32 v8, v9, 16, 1
	s_movk_i32 s22, 0x7fff
	v_add3_u32 v8, v9, v8, s22
                                        ; implicit-def: $vgpr9
; %bb.38:
	s_andn2_saveexec_b64 s[22:23], s[8:9]
; %bb.39:
	v_mov_b32_e32 v8, 0
	v_or_b32_e32 v10, 0x10000, v9
	v_cmp_eq_u32_sdwa s[8:9], v9, v8 src0_sel:WORD_0 src1_sel:DWORD
	v_cndmask_b32_e64 v8, v10, v9, s[8:9]
; %bb.40:
	s_or_b64 exec, exec, s[22:23]
	v_lshlrev_b32_e32 v9, 16, v53
	v_add_f32_e32 v10, 0, v9
	s_mov_b32 s8, 0x7f800000
	v_and_b32_e32 v9, 0x7f800000, v10
	v_cmp_ne_u32_e64 s[8:9], s8, v9
                                        ; implicit-def: $vgpr9
	s_and_saveexec_b64 s[22:23], s[8:9]
	s_xor_b64 s[8:9], exec, s[22:23]
; %bb.41:
	v_bfe_u32 v9, v10, 16, 1
	s_movk_i32 s22, 0x7fff
	v_add3_u32 v9, v10, v9, s22
                                        ; implicit-def: $vgpr10
; %bb.42:
	s_andn2_saveexec_b64 s[22:23], s[8:9]
; %bb.43:
	v_mov_b32_e32 v9, 0
	v_or_b32_e32 v11, 0x10000, v10
	v_cmp_eq_u32_sdwa s[8:9], v10, v9 src0_sel:WORD_0 src1_sel:DWORD
	v_cndmask_b32_e64 v9, v11, v10, s[8:9]
; %bb.44:
	s_or_b64 exec, exec, s[22:23]
	s_mov_b32 s8, 0x7060302
	v_perm_b32 v10, v9, v8, s8
	v_mov_b32_e32 v11, 0xffff8000
	v_cmp_lt_i32_e64 s[8:9], -1, v8
	v_cndmask_b32_e64 v8, -1, v11, s[8:9]
	v_cmp_lt_i32_e64 s[8:9], -1, v9
	v_cndmask_b32_e64 v9, -1, v11, s[8:9]
	s_mov_b32 s8, 0x5040100
	v_perm_b32 v8, v9, v8, s8
	v_xor_b32_e32 v8, v8, v10
	v_cmp_gt_u16_sdwa s[22:23], v8, v8 src0_sel:DWORD src1_sel:WORD_1
	v_mov_b32_e32 v12, v53
	v_pk_mov_b32 v[30:31], v[14:15], v[14:15] op_sel:[0,1]
	s_and_saveexec_b64 s[8:9], s[22:23]
; %bb.45:
	v_mov_b32_e32 v12, v51
	v_mov_b32_e32 v51, v53
	v_pk_mov_b32 v[30:31], v[26:27], v[26:27] op_sel:[0,1]
	v_pk_mov_b32 v[26:27], v[14:15], v[14:15] op_sel:[0,1]
; %bb.46:
	s_or_b64 exec, exec, s[8:9]
	v_lshlrev_b32_e32 v8, 16, v49
	v_add_f32_e32 v9, 0, v8
	s_mov_b32 s8, 0x7f800000
	v_and_b32_e32 v8, 0x7f800000, v9
	v_cmp_ne_u32_e64 s[8:9], s8, v8
                                        ; implicit-def: $vgpr8
	s_and_saveexec_b64 s[22:23], s[8:9]
	s_xor_b64 s[8:9], exec, s[22:23]
; %bb.47:
	v_bfe_u32 v8, v9, 16, 1
	s_movk_i32 s22, 0x7fff
	v_add3_u32 v8, v9, v8, s22
                                        ; implicit-def: $vgpr9
; %bb.48:
	s_andn2_saveexec_b64 s[22:23], s[8:9]
; %bb.49:
	v_mov_b32_e32 v8, 0
	v_or_b32_e32 v10, 0x10000, v9
	v_cmp_eq_u32_sdwa s[8:9], v9, v8 src0_sel:WORD_0 src1_sel:DWORD
	v_cndmask_b32_e64 v8, v10, v9, s[8:9]
; %bb.50:
	s_or_b64 exec, exec, s[22:23]
	v_lshlrev_b32_e32 v9, 16, v48
	v_add_f32_e32 v10, 0, v9
	s_mov_b32 s8, 0x7f800000
	v_and_b32_e32 v9, 0x7f800000, v10
	v_cmp_ne_u32_e64 s[8:9], s8, v9
                                        ; implicit-def: $vgpr9
	s_and_saveexec_b64 s[22:23], s[8:9]
	s_xor_b64 s[8:9], exec, s[22:23]
; %bb.51:
	v_bfe_u32 v9, v10, 16, 1
	s_movk_i32 s22, 0x7fff
	v_add3_u32 v9, v10, v9, s22
                                        ; implicit-def: $vgpr10
; %bb.52:
	s_andn2_saveexec_b64 s[22:23], s[8:9]
; %bb.53:
	v_mov_b32_e32 v9, 0
	v_or_b32_e32 v11, 0x10000, v10
	v_cmp_eq_u32_sdwa s[8:9], v10, v9 src0_sel:WORD_0 src1_sel:DWORD
	v_cndmask_b32_e64 v9, v11, v10, s[8:9]
; %bb.54:
	s_or_b64 exec, exec, s[22:23]
	s_mov_b32 s8, 0x7060302
	v_perm_b32 v10, v9, v8, s8
	v_mov_b32_e32 v11, 0xffff8000
	v_cmp_lt_i32_e64 s[8:9], -1, v8
	v_cndmask_b32_e64 v8, -1, v11, s[8:9]
	v_cmp_lt_i32_e64 s[8:9], -1, v9
	v_cndmask_b32_e64 v9, -1, v11, s[8:9]
	s_mov_b32 s8, 0x5040100
	v_perm_b32 v8, v9, v8, s8
	v_xor_b32_e32 v8, v8, v10
	v_cmp_gt_u16_sdwa s[22:23], v8, v8 src0_sel:DWORD src1_sel:WORD_1
	v_pk_mov_b32 v[8:9], v[18:19], v[18:19] op_sel:[0,1]
	v_mov_b32_e32 v53, v49
	s_and_saveexec_b64 s[8:9], s[22:23]
; %bb.55:
	v_pk_mov_b32 v[8:9], v[28:29], v[28:29] op_sel:[0,1]
	v_pk_mov_b32 v[28:29], v[18:19], v[18:19] op_sel:[0,1]
	v_mov_b32_e32 v53, v48
	v_mov_b32_e32 v48, v49
; %bb.56:
	s_or_b64 exec, exec, s[8:9]
	v_lshlrev_b32_e32 v10, 16, v52
	v_add_f32_e32 v11, 0, v10
	s_mov_b32 s8, 0x7f800000
	v_and_b32_e32 v10, 0x7f800000, v11
	v_cmp_ne_u32_e64 s[8:9], s8, v10
                                        ; implicit-def: $vgpr10
	s_and_saveexec_b64 s[22:23], s[8:9]
	s_xor_b64 s[8:9], exec, s[22:23]
; %bb.57:
	v_bfe_u32 v10, v11, 16, 1
	s_movk_i32 s22, 0x7fff
	v_add3_u32 v10, v11, v10, s22
                                        ; implicit-def: $vgpr11
; %bb.58:
	s_andn2_saveexec_b64 s[22:23], s[8:9]
; %bb.59:
	v_mov_b32_e32 v10, 0
	v_or_b32_e32 v13, 0x10000, v11
	v_cmp_eq_u32_sdwa s[8:9], v11, v10 src0_sel:WORD_0 src1_sel:DWORD
	v_cndmask_b32_e64 v10, v13, v11, s[8:9]
; %bb.60:
	s_or_b64 exec, exec, s[22:23]
	v_lshlrev_b32_e32 v11, 16, v39
	v_add_f32_e32 v13, 0, v11
	s_mov_b32 s8, 0x7f800000
	v_and_b32_e32 v11, 0x7f800000, v13
	v_cmp_ne_u32_e64 s[8:9], s8, v11
                                        ; implicit-def: $vgpr11
	s_and_saveexec_b64 s[22:23], s[8:9]
	s_xor_b64 s[8:9], exec, s[22:23]
; %bb.61:
	v_bfe_u32 v11, v13, 16, 1
	s_movk_i32 s22, 0x7fff
	v_add3_u32 v11, v13, v11, s22
                                        ; implicit-def: $vgpr13
; %bb.62:
	s_andn2_saveexec_b64 s[22:23], s[8:9]
; %bb.63:
	v_mov_b32_e32 v11, 0
	v_or_b32_e32 v14, 0x10000, v13
	v_cmp_eq_u32_sdwa s[8:9], v13, v11 src0_sel:WORD_0 src1_sel:DWORD
	v_cndmask_b32_e64 v11, v14, v13, s[8:9]
; %bb.64:
	s_or_b64 exec, exec, s[22:23]
	s_mov_b32 s8, 0x7060302
	v_perm_b32 v13, v11, v10, s8
	v_mov_b32_e32 v14, 0xffff8000
	v_cmp_lt_i32_e64 s[8:9], -1, v10
	v_cndmask_b32_e64 v10, -1, v14, s[8:9]
	v_cmp_lt_i32_e64 s[8:9], -1, v11
	v_cndmask_b32_e64 v11, -1, v14, s[8:9]
	s_mov_b32 s8, 0x5040100
	v_perm_b32 v10, v11, v10, s8
	v_xor_b32_e32 v10, v10, v13
	v_cmp_gt_u16_sdwa s[22:23], v10, v10 src0_sel:DWORD src1_sel:WORD_1
	v_pk_mov_b32 v[10:11], v[22:23], v[22:23] op_sel:[0,1]
	v_mov_b32_e32 v50, v52
	s_and_saveexec_b64 s[8:9], s[22:23]
; %bb.65:
	v_pk_mov_b32 v[10:11], v[16:17], v[16:17] op_sel:[0,1]
	v_pk_mov_b32 v[16:17], v[22:23], v[22:23] op_sel:[0,1]
	v_mov_b32_e32 v50, v39
	v_mov_b32_e32 v39, v52
; %bb.66:
	s_or_b64 exec, exec, s[8:9]
	v_lshlrev_b32_e32 v13, 16, v33
	v_add_f32_e32 v14, 0, v13
	s_mov_b32 s8, 0x7f800000
	v_and_b32_e32 v13, 0x7f800000, v14
	v_cmp_ne_u32_e64 s[8:9], s8, v13
                                        ; implicit-def: $vgpr13
	s_and_saveexec_b64 s[22:23], s[8:9]
	s_xor_b64 s[8:9], exec, s[22:23]
; %bb.67:
	v_bfe_u32 v13, v14, 16, 1
	s_movk_i32 s22, 0x7fff
	v_add3_u32 v13, v14, v13, s22
                                        ; implicit-def: $vgpr14
; %bb.68:
	s_andn2_saveexec_b64 s[22:23], s[8:9]
; %bb.69:
	v_mov_b32_e32 v13, 0
	v_or_b32_e32 v15, 0x10000, v14
	v_cmp_eq_u32_sdwa s[8:9], v14, v13 src0_sel:WORD_0 src1_sel:DWORD
	v_cndmask_b32_e64 v13, v15, v14, s[8:9]
; %bb.70:
	s_or_b64 exec, exec, s[22:23]
	v_lshlrev_b32_e32 v14, 16, v51
	v_add_f32_e32 v15, 0, v14
	s_mov_b32 s8, 0x7f800000
	v_and_b32_e32 v14, 0x7f800000, v15
	v_cmp_ne_u32_e64 s[8:9], s8, v14
                                        ; implicit-def: $vgpr14
	s_and_saveexec_b64 s[22:23], s[8:9]
	s_xor_b64 s[8:9], exec, s[22:23]
; %bb.71:
	v_bfe_u32 v14, v15, 16, 1
	s_movk_i32 s22, 0x7fff
	v_add3_u32 v14, v15, v14, s22
                                        ; implicit-def: $vgpr15
; %bb.72:
	s_andn2_saveexec_b64 s[22:23], s[8:9]
; %bb.73:
	v_mov_b32_e32 v14, 0
	v_or_b32_e32 v18, 0x10000, v15
	v_cmp_eq_u32_sdwa s[8:9], v15, v14 src0_sel:WORD_0 src1_sel:DWORD
	v_cndmask_b32_e64 v14, v18, v15, s[8:9]
; %bb.74:
	s_or_b64 exec, exec, s[22:23]
	s_mov_b32 s8, 0x7060302
	v_perm_b32 v15, v14, v13, s8
	v_mov_b32_e32 v18, 0xffff8000
	v_cmp_lt_i32_e64 s[8:9], -1, v13
	v_cndmask_b32_e64 v13, -1, v18, s[8:9]
	v_cmp_lt_i32_e64 s[8:9], -1, v14
	v_cndmask_b32_e64 v14, -1, v18, s[8:9]
	s_mov_b32 s8, 0x5040100
	v_perm_b32 v13, v14, v13, s8
	v_xor_b32_e32 v13, v13, v15
	v_cmp_gt_u16_sdwa s[22:23], v13, v13 src0_sel:DWORD src1_sel:WORD_1
	v_mov_b32_e32 v49, v51
	v_pk_mov_b32 v[22:23], v[26:27], v[26:27] op_sel:[0,1]
	s_and_saveexec_b64 s[8:9], s[22:23]
; %bb.75:
	v_mov_b32_e32 v49, v33
	v_mov_b32_e32 v33, v51
	v_pk_mov_b32 v[22:23], v[20:21], v[20:21] op_sel:[0,1]
	v_pk_mov_b32 v[20:21], v[26:27], v[26:27] op_sel:[0,1]
; %bb.76:
	s_or_b64 exec, exec, s[8:9]
	v_lshlrev_b32_e32 v13, 16, v12
	v_add_f32_e32 v14, 0, v13
	s_mov_b32 s8, 0x7f800000
	v_and_b32_e32 v13, 0x7f800000, v14
	v_cmp_ne_u32_e64 s[8:9], s8, v13
                                        ; implicit-def: $vgpr13
	s_and_saveexec_b64 s[22:23], s[8:9]
	s_xor_b64 s[8:9], exec, s[22:23]
; %bb.77:
	v_bfe_u32 v13, v14, 16, 1
	s_movk_i32 s22, 0x7fff
	v_add3_u32 v13, v14, v13, s22
                                        ; implicit-def: $vgpr14
; %bb.78:
	s_andn2_saveexec_b64 s[22:23], s[8:9]
; %bb.79:
	v_mov_b32_e32 v13, 0
	v_or_b32_e32 v15, 0x10000, v14
	v_cmp_eq_u32_sdwa s[8:9], v14, v13 src0_sel:WORD_0 src1_sel:DWORD
	v_cndmask_b32_e64 v13, v15, v14, s[8:9]
; %bb.80:
	s_or_b64 exec, exec, s[22:23]
	v_lshlrev_b32_e32 v14, 16, v53
	v_add_f32_e32 v15, 0, v14
	s_mov_b32 s8, 0x7f800000
	v_and_b32_e32 v14, 0x7f800000, v15
	v_cmp_ne_u32_e64 s[8:9], s8, v14
                                        ; implicit-def: $vgpr14
	s_and_saveexec_b64 s[22:23], s[8:9]
	s_xor_b64 s[8:9], exec, s[22:23]
; %bb.81:
	v_bfe_u32 v14, v15, 16, 1
	s_movk_i32 s22, 0x7fff
	v_add3_u32 v14, v15, v14, s22
                                        ; implicit-def: $vgpr15
; %bb.82:
	s_andn2_saveexec_b64 s[22:23], s[8:9]
; %bb.83:
	v_mov_b32_e32 v14, 0
	v_or_b32_e32 v18, 0x10000, v15
	v_cmp_eq_u32_sdwa s[8:9], v15, v14 src0_sel:WORD_0 src1_sel:DWORD
	v_cndmask_b32_e64 v14, v18, v15, s[8:9]
; %bb.84:
	s_or_b64 exec, exec, s[22:23]
	s_mov_b32 s8, 0x7060302
	v_perm_b32 v15, v14, v13, s8
	v_mov_b32_e32 v18, 0xffff8000
	v_cmp_lt_i32_e64 s[8:9], -1, v13
	v_cndmask_b32_e64 v13, -1, v18, s[8:9]
	v_cmp_lt_i32_e64 s[8:9], -1, v14
	v_cndmask_b32_e64 v14, -1, v18, s[8:9]
	s_mov_b32 s8, 0x5040100
	v_perm_b32 v13, v14, v13, s8
	v_xor_b32_e32 v13, v13, v15
	v_cmp_gt_u16_sdwa s[22:23], v13, v13 src0_sel:DWORD src1_sel:WORD_1
	v_mov_b32_e32 v14, v12
	v_pk_mov_b32 v[18:19], v[28:29], v[28:29] op_sel:[0,1]
	s_and_saveexec_b64 s[8:9], s[22:23]
; %bb.85:
	v_mov_b32_e32 v14, v53
	v_pk_mov_b32 v[18:19], v[30:31], v[30:31] op_sel:[0,1]
	v_pk_mov_b32 v[30:31], v[28:29], v[28:29] op_sel:[0,1]
	v_mov_b32_e32 v53, v12
; %bb.86:
	s_or_b64 exec, exec, s[8:9]
	v_lshlrev_b32_e32 v12, 16, v48
	v_add_f32_e32 v13, 0, v12
	s_mov_b32 s8, 0x7f800000
	v_and_b32_e32 v12, 0x7f800000, v13
	v_cmp_ne_u32_e64 s[8:9], s8, v12
                                        ; implicit-def: $vgpr12
	s_and_saveexec_b64 s[22:23], s[8:9]
	s_xor_b64 s[8:9], exec, s[22:23]
; %bb.87:
	v_bfe_u32 v12, v13, 16, 1
	s_movk_i32 s22, 0x7fff
	v_add3_u32 v12, v13, v12, s22
                                        ; implicit-def: $vgpr13
; %bb.88:
	s_andn2_saveexec_b64 s[22:23], s[8:9]
; %bb.89:
	v_mov_b32_e32 v12, 0
	v_or_b32_e32 v15, 0x10000, v13
	v_cmp_eq_u32_sdwa s[8:9], v13, v12 src0_sel:WORD_0 src1_sel:DWORD
	v_cndmask_b32_e64 v12, v15, v13, s[8:9]
; %bb.90:
	s_or_b64 exec, exec, s[22:23]
	v_lshlrev_b32_e32 v13, 16, v50
	v_add_f32_e32 v15, 0, v13
	s_mov_b32 s8, 0x7f800000
	v_and_b32_e32 v13, 0x7f800000, v15
	v_cmp_ne_u32_e64 s[8:9], s8, v13
                                        ; implicit-def: $vgpr13
	s_and_saveexec_b64 s[22:23], s[8:9]
	s_xor_b64 s[8:9], exec, s[22:23]
; %bb.91:
	v_bfe_u32 v13, v15, 16, 1
	s_movk_i32 s22, 0x7fff
	v_add3_u32 v13, v15, v13, s22
                                        ; implicit-def: $vgpr15
; %bb.92:
	s_andn2_saveexec_b64 s[22:23], s[8:9]
; %bb.93:
	v_mov_b32_e32 v13, 0
	v_or_b32_e32 v26, 0x10000, v15
	v_cmp_eq_u32_sdwa s[8:9], v15, v13 src0_sel:WORD_0 src1_sel:DWORD
	v_cndmask_b32_e64 v13, v26, v15, s[8:9]
; %bb.94:
	s_or_b64 exec, exec, s[22:23]
	s_mov_b32 s8, 0x7060302
	v_perm_b32 v15, v13, v12, s8
	v_mov_b32_e32 v26, 0xffff8000
	v_cmp_lt_i32_e64 s[8:9], -1, v12
	v_cndmask_b32_e64 v12, -1, v26, s[8:9]
	v_cmp_lt_i32_e64 s[8:9], -1, v13
	v_cndmask_b32_e64 v13, -1, v26, s[8:9]
	s_mov_b32 s8, 0x5040100
	v_perm_b32 v12, v13, v12, s8
	v_xor_b32_e32 v12, v12, v15
	v_cmp_gt_u16_sdwa s[22:23], v12, v12 src0_sel:DWORD src1_sel:WORD_1
	v_pk_mov_b32 v[12:13], v[16:17], v[16:17] op_sel:[0,1]
	v_mov_b32_e32 v51, v48
	s_and_saveexec_b64 s[8:9], s[22:23]
; %bb.95:
	v_pk_mov_b32 v[12:13], v[8:9], v[8:9] op_sel:[0,1]
	v_pk_mov_b32 v[8:9], v[16:17], v[16:17] op_sel:[0,1]
	v_mov_b32_e32 v51, v50
	v_mov_b32_e32 v50, v48
; %bb.96:
	s_or_b64 exec, exec, s[8:9]
	v_lshlrev_b32_e32 v15, 16, v38
	v_add_f32_e32 v16, 0, v15
	s_mov_b32 s8, 0x7f800000
	v_and_b32_e32 v15, 0x7f800000, v16
	v_cmp_ne_u32_e64 s[8:9], s8, v15
                                        ; implicit-def: $vgpr15
	s_and_saveexec_b64 s[22:23], s[8:9]
	s_xor_b64 s[8:9], exec, s[22:23]
; %bb.97:
	v_bfe_u32 v15, v16, 16, 1
	s_movk_i32 s22, 0x7fff
	v_add3_u32 v15, v16, v15, s22
                                        ; implicit-def: $vgpr16
; %bb.98:
	s_andn2_saveexec_b64 s[22:23], s[8:9]
; %bb.99:
	v_mov_b32_e32 v15, 0
	v_or_b32_e32 v17, 0x10000, v16
	v_cmp_eq_u32_sdwa s[8:9], v16, v15 src0_sel:WORD_0 src1_sel:DWORD
	v_cndmask_b32_e64 v15, v17, v16, s[8:9]
; %bb.100:
	s_or_b64 exec, exec, s[22:23]
	v_lshlrev_b32_e32 v16, 16, v33
	v_add_f32_e32 v17, 0, v16
	s_mov_b32 s8, 0x7f800000
	v_and_b32_e32 v16, 0x7f800000, v17
	v_cmp_ne_u32_e64 s[8:9], s8, v16
                                        ; implicit-def: $vgpr16
	s_and_saveexec_b64 s[22:23], s[8:9]
	s_xor_b64 s[8:9], exec, s[22:23]
; %bb.101:
	v_bfe_u32 v16, v17, 16, 1
	s_movk_i32 s22, 0x7fff
	v_add3_u32 v16, v17, v16, s22
                                        ; implicit-def: $vgpr17
; %bb.102:
	s_andn2_saveexec_b64 s[22:23], s[8:9]
; %bb.103:
	v_mov_b32_e32 v16, 0
	v_or_b32_e32 v26, 0x10000, v17
	v_cmp_eq_u32_sdwa s[8:9], v17, v16 src0_sel:WORD_0 src1_sel:DWORD
	v_cndmask_b32_e64 v16, v26, v17, s[8:9]
; %bb.104:
	s_or_b64 exec, exec, s[22:23]
	s_mov_b32 s8, 0x7060302
	v_perm_b32 v17, v16, v15, s8
	v_mov_b32_e32 v26, 0xffff8000
	v_cmp_lt_i32_e64 s[8:9], -1, v15
	v_cndmask_b32_e64 v15, -1, v26, s[8:9]
	v_cmp_lt_i32_e64 s[8:9], -1, v16
	v_cndmask_b32_e64 v16, -1, v26, s[8:9]
	s_mov_b32 s8, 0x5040100
	v_perm_b32 v15, v16, v15, s8
	v_xor_b32_e32 v15, v15, v17
	v_cmp_gt_u16_sdwa s[22:23], v15, v15 src0_sel:DWORD src1_sel:WORD_1
	v_mov_b32_e32 v48, v33
	v_pk_mov_b32 v[26:27], v[20:21], v[20:21] op_sel:[0,1]
	s_and_saveexec_b64 s[8:9], s[22:23]
; %bb.105:
	v_mov_b32_e32 v48, v38
	v_mov_b32_e32 v38, v33
	v_pk_mov_b32 v[26:27], v[4:5], v[4:5] op_sel:[0,1]
	v_pk_mov_b32 v[4:5], v[20:21], v[20:21] op_sel:[0,1]
; %bb.106:
	s_or_b64 exec, exec, s[8:9]
	v_lshlrev_b32_e32 v15, 16, v49
	v_add_f32_e32 v16, 0, v15
	s_mov_b32 s8, 0x7f800000
	v_and_b32_e32 v15, 0x7f800000, v16
	v_cmp_ne_u32_e64 s[8:9], s8, v15
                                        ; implicit-def: $vgpr15
	s_and_saveexec_b64 s[22:23], s[8:9]
	s_xor_b64 s[8:9], exec, s[22:23]
; %bb.107:
	v_bfe_u32 v15, v16, 16, 1
	s_movk_i32 s22, 0x7fff
	v_add3_u32 v15, v16, v15, s22
                                        ; implicit-def: $vgpr16
; %bb.108:
	s_andn2_saveexec_b64 s[22:23], s[8:9]
; %bb.109:
	v_mov_b32_e32 v15, 0
	v_or_b32_e32 v17, 0x10000, v16
	v_cmp_eq_u32_sdwa s[8:9], v16, v15 src0_sel:WORD_0 src1_sel:DWORD
	v_cndmask_b32_e64 v15, v17, v16, s[8:9]
; %bb.110:
	s_or_b64 exec, exec, s[22:23]
	v_lshlrev_b32_e32 v16, 16, v14
	v_add_f32_e32 v17, 0, v16
	s_mov_b32 s8, 0x7f800000
	v_and_b32_e32 v16, 0x7f800000, v17
	v_cmp_ne_u32_e64 s[8:9], s8, v16
                                        ; implicit-def: $vgpr16
	s_and_saveexec_b64 s[22:23], s[8:9]
	s_xor_b64 s[8:9], exec, s[22:23]
; %bb.111:
	v_bfe_u32 v16, v17, 16, 1
	s_movk_i32 s22, 0x7fff
	v_add3_u32 v16, v17, v16, s22
                                        ; implicit-def: $vgpr17
; %bb.112:
	s_andn2_saveexec_b64 s[22:23], s[8:9]
; %bb.113:
	v_mov_b32_e32 v16, 0
	v_or_b32_e32 v20, 0x10000, v17
	v_cmp_eq_u32_sdwa s[8:9], v17, v16 src0_sel:WORD_0 src1_sel:DWORD
	v_cndmask_b32_e64 v16, v20, v17, s[8:9]
; %bb.114:
	s_or_b64 exec, exec, s[22:23]
	s_mov_b32 s8, 0x7060302
	v_perm_b32 v17, v16, v15, s8
	v_mov_b32_e32 v20, 0xffff8000
	v_cmp_lt_i32_e64 s[8:9], -1, v15
	v_cndmask_b32_e64 v15, -1, v20, s[8:9]
	v_cmp_lt_i32_e64 s[8:9], -1, v16
	v_cndmask_b32_e64 v16, -1, v20, s[8:9]
	s_mov_b32 s8, 0x5040100
	v_perm_b32 v15, v16, v15, s8
	v_xor_b32_e32 v15, v15, v17
	v_cmp_gt_u16_sdwa s[22:23], v15, v15 src0_sel:DWORD src1_sel:WORD_1
	v_mov_b32_e32 v54, v14
	v_pk_mov_b32 v[20:21], v[30:31], v[30:31] op_sel:[0,1]
	s_and_saveexec_b64 s[8:9], s[22:23]
; %bb.115:
	v_mov_b32_e32 v54, v49
	v_mov_b32_e32 v49, v14
	v_pk_mov_b32 v[20:21], v[22:23], v[22:23] op_sel:[0,1]
	v_pk_mov_b32 v[22:23], v[30:31], v[30:31] op_sel:[0,1]
; %bb.116:
	s_or_b64 exec, exec, s[8:9]
	v_lshlrev_b32_e32 v14, 16, v53
	v_add_f32_e32 v15, 0, v14
	s_mov_b32 s8, 0x7f800000
	v_and_b32_e32 v14, 0x7f800000, v15
	v_cmp_ne_u32_e64 s[8:9], s8, v14
                                        ; implicit-def: $vgpr14
	s_and_saveexec_b64 s[22:23], s[8:9]
	s_xor_b64 s[8:9], exec, s[22:23]
; %bb.117:
	v_bfe_u32 v14, v15, 16, 1
	s_movk_i32 s22, 0x7fff
	v_add3_u32 v14, v15, v14, s22
                                        ; implicit-def: $vgpr15
; %bb.118:
	s_andn2_saveexec_b64 s[22:23], s[8:9]
; %bb.119:
	v_mov_b32_e32 v14, 0
	v_or_b32_e32 v16, 0x10000, v15
	v_cmp_eq_u32_sdwa s[8:9], v15, v14 src0_sel:WORD_0 src1_sel:DWORD
	v_cndmask_b32_e64 v14, v16, v15, s[8:9]
; %bb.120:
	s_or_b64 exec, exec, s[22:23]
	v_lshlrev_b32_e32 v15, 16, v51
	v_add_f32_e32 v16, 0, v15
	s_mov_b32 s8, 0x7f800000
	v_and_b32_e32 v15, 0x7f800000, v16
	v_cmp_ne_u32_e64 s[8:9], s8, v15
                                        ; implicit-def: $vgpr15
	s_and_saveexec_b64 s[22:23], s[8:9]
	s_xor_b64 s[8:9], exec, s[22:23]
; %bb.121:
	v_bfe_u32 v15, v16, 16, 1
	s_movk_i32 s22, 0x7fff
	v_add3_u32 v15, v16, v15, s22
                                        ; implicit-def: $vgpr16
; %bb.122:
	s_andn2_saveexec_b64 s[22:23], s[8:9]
; %bb.123:
	v_mov_b32_e32 v15, 0
	v_or_b32_e32 v17, 0x10000, v16
	v_cmp_eq_u32_sdwa s[8:9], v16, v15 src0_sel:WORD_0 src1_sel:DWORD
	v_cndmask_b32_e64 v15, v17, v16, s[8:9]
; %bb.124:
	s_or_b64 exec, exec, s[22:23]
	s_mov_b32 s8, 0x7060302
	v_perm_b32 v16, v15, v14, s8
	v_mov_b32_e32 v17, 0xffff8000
	v_cmp_lt_i32_e64 s[8:9], -1, v14
	v_cndmask_b32_e64 v14, -1, v17, s[8:9]
	v_cmp_lt_i32_e64 s[8:9], -1, v15
	v_cndmask_b32_e64 v15, -1, v17, s[8:9]
	s_mov_b32 s8, 0x5040100
	v_perm_b32 v14, v15, v14, s8
	v_xor_b32_e32 v14, v14, v16
	v_cmp_gt_u16_sdwa s[22:23], v14, v14 src0_sel:DWORD src1_sel:WORD_1
	v_pk_mov_b32 v[14:15], v[8:9], v[8:9] op_sel:[0,1]
	v_mov_b32_e32 v52, v53
	s_and_saveexec_b64 s[8:9], s[22:23]
; %bb.125:
	v_pk_mov_b32 v[14:15], v[18:19], v[18:19] op_sel:[0,1]
	v_pk_mov_b32 v[18:19], v[8:9], v[8:9] op_sel:[0,1]
	v_mov_b32_e32 v52, v51
	v_mov_b32_e32 v51, v53
; %bb.126:
	s_or_b64 exec, exec, s[8:9]
	v_lshlrev_b32_e32 v8, 16, v50
	v_add_f32_e32 v9, 0, v8
	s_mov_b32 s8, 0x7f800000
	v_and_b32_e32 v8, 0x7f800000, v9
	v_cmp_ne_u32_e64 s[8:9], s8, v8
                                        ; implicit-def: $vgpr8
	s_and_saveexec_b64 s[22:23], s[8:9]
	s_xor_b64 s[8:9], exec, s[22:23]
; %bb.127:
	v_bfe_u32 v8, v9, 16, 1
	s_movk_i32 s22, 0x7fff
	v_add3_u32 v8, v9, v8, s22
                                        ; implicit-def: $vgpr9
; %bb.128:
	s_andn2_saveexec_b64 s[22:23], s[8:9]
; %bb.129:
	v_mov_b32_e32 v8, 0
	v_or_b32_e32 v16, 0x10000, v9
	v_cmp_eq_u32_sdwa s[8:9], v9, v8 src0_sel:WORD_0 src1_sel:DWORD
	v_cndmask_b32_e64 v8, v16, v9, s[8:9]
; %bb.130:
	s_or_b64 exec, exec, s[22:23]
	v_lshlrev_b32_e32 v9, 16, v39
	v_add_f32_e32 v16, 0, v9
	s_mov_b32 s8, 0x7f800000
	v_and_b32_e32 v9, 0x7f800000, v16
	v_cmp_ne_u32_e64 s[8:9], s8, v9
                                        ; implicit-def: $vgpr9
	s_and_saveexec_b64 s[22:23], s[8:9]
	s_xor_b64 s[8:9], exec, s[22:23]
; %bb.131:
	v_bfe_u32 v9, v16, 16, 1
	s_movk_i32 s22, 0x7fff
	v_add3_u32 v9, v16, v9, s22
                                        ; implicit-def: $vgpr16
; %bb.132:
	s_andn2_saveexec_b64 s[22:23], s[8:9]
; %bb.133:
	v_mov_b32_e32 v9, 0
	v_or_b32_e32 v17, 0x10000, v16
	v_cmp_eq_u32_sdwa s[8:9], v16, v9 src0_sel:WORD_0 src1_sel:DWORD
	v_cndmask_b32_e64 v9, v17, v16, s[8:9]
; %bb.134:
	s_or_b64 exec, exec, s[22:23]
	s_mov_b32 s8, 0x7060302
	v_perm_b32 v16, v9, v8, s8
	v_mov_b32_e32 v17, 0xffff8000
	v_cmp_lt_i32_e64 s[8:9], -1, v8
	v_cndmask_b32_e64 v8, -1, v17, s[8:9]
	v_cmp_lt_i32_e64 s[8:9], -1, v9
	v_cndmask_b32_e64 v9, -1, v17, s[8:9]
	s_mov_b32 s8, 0x5040100
	v_perm_b32 v8, v9, v8, s8
	v_xor_b32_e32 v8, v8, v16
	v_cmp_gt_u16_sdwa s[22:23], v8, v8 src0_sel:DWORD src1_sel:WORD_1
	v_pk_mov_b32 v[8:9], v[10:11], v[10:11] op_sel:[0,1]
	v_mov_b32_e32 v33, v50
	s_and_saveexec_b64 s[8:9], s[22:23]
; %bb.135:
	v_pk_mov_b32 v[8:9], v[12:13], v[12:13] op_sel:[0,1]
	v_pk_mov_b32 v[12:13], v[10:11], v[10:11] op_sel:[0,1]
	v_mov_b32_e32 v33, v39
	v_mov_b32_e32 v39, v50
; %bb.136:
	s_or_b64 exec, exec, s[8:9]
	v_lshlrev_b32_e32 v10, 16, v48
	v_add_f32_e32 v11, 0, v10
	s_mov_b32 s8, 0x7f800000
	v_and_b32_e32 v10, 0x7f800000, v11
	v_cmp_ne_u32_e64 s[8:9], s8, v10
                                        ; implicit-def: $vgpr10
	s_and_saveexec_b64 s[22:23], s[8:9]
	s_xor_b64 s[8:9], exec, s[22:23]
; %bb.137:
	v_bfe_u32 v10, v11, 16, 1
	s_movk_i32 s22, 0x7fff
	v_add3_u32 v10, v11, v10, s22
                                        ; implicit-def: $vgpr11
; %bb.138:
	s_andn2_saveexec_b64 s[22:23], s[8:9]
; %bb.139:
	v_mov_b32_e32 v10, 0
	v_or_b32_e32 v16, 0x10000, v11
	v_cmp_eq_u32_sdwa s[8:9], v11, v10 src0_sel:WORD_0 src1_sel:DWORD
	v_cndmask_b32_e64 v10, v16, v11, s[8:9]
; %bb.140:
	s_or_b64 exec, exec, s[22:23]
	v_lshlrev_b32_e32 v11, 16, v49
	v_add_f32_e32 v16, 0, v11
	s_mov_b32 s8, 0x7f800000
	v_and_b32_e32 v11, 0x7f800000, v16
	v_cmp_ne_u32_e64 s[8:9], s8, v11
                                        ; implicit-def: $vgpr11
	s_and_saveexec_b64 s[22:23], s[8:9]
	s_xor_b64 s[8:9], exec, s[22:23]
; %bb.141:
	v_bfe_u32 v11, v16, 16, 1
	s_movk_i32 s22, 0x7fff
	v_add3_u32 v11, v16, v11, s22
                                        ; implicit-def: $vgpr16
; %bb.142:
	s_andn2_saveexec_b64 s[22:23], s[8:9]
; %bb.143:
	v_mov_b32_e32 v11, 0
	v_or_b32_e32 v17, 0x10000, v16
	v_cmp_eq_u32_sdwa s[8:9], v16, v11 src0_sel:WORD_0 src1_sel:DWORD
	v_cndmask_b32_e64 v11, v17, v16, s[8:9]
; %bb.144:
	s_or_b64 exec, exec, s[22:23]
	s_mov_b32 s8, 0x7060302
	v_perm_b32 v16, v11, v10, s8
	v_mov_b32_e32 v17, 0xffff8000
	v_cmp_lt_i32_e64 s[8:9], -1, v10
	v_cndmask_b32_e64 v10, -1, v17, s[8:9]
	v_cmp_lt_i32_e64 s[8:9], -1, v11
	v_cndmask_b32_e64 v11, -1, v17, s[8:9]
	s_mov_b32 s8, 0x5040100
	v_perm_b32 v10, v11, v10, s8
	v_xor_b32_e32 v10, v10, v16
	v_cmp_gt_u16_sdwa s[22:23], v10, v10 src0_sel:DWORD src1_sel:WORD_1
	v_mov_b32_e32 v30, v49
	v_pk_mov_b32 v[28:29], v[22:23], v[22:23] op_sel:[0,1]
	s_and_saveexec_b64 s[8:9], s[22:23]
; %bb.145:
	v_mov_b32_e32 v30, v48
	v_mov_b32_e32 v48, v49
	v_pk_mov_b32 v[28:29], v[26:27], v[26:27] op_sel:[0,1]
	v_pk_mov_b32 v[26:27], v[22:23], v[22:23] op_sel:[0,1]
; %bb.146:
	s_or_b64 exec, exec, s[8:9]
	v_lshlrev_b32_e32 v10, 16, v54
	v_add_f32_e32 v11, 0, v10
	s_mov_b32 s8, 0x7f800000
	v_and_b32_e32 v10, 0x7f800000, v11
	v_cmp_ne_u32_e64 s[8:9], s8, v10
                                        ; implicit-def: $vgpr10
	s_and_saveexec_b64 s[22:23], s[8:9]
	s_xor_b64 s[8:9], exec, s[22:23]
; %bb.147:
	v_bfe_u32 v10, v11, 16, 1
	s_movk_i32 s22, 0x7fff
	v_add3_u32 v10, v11, v10, s22
                                        ; implicit-def: $vgpr11
; %bb.148:
	s_andn2_saveexec_b64 s[22:23], s[8:9]
; %bb.149:
	v_mov_b32_e32 v10, 0
	v_or_b32_e32 v16, 0x10000, v11
	v_cmp_eq_u32_sdwa s[8:9], v11, v10 src0_sel:WORD_0 src1_sel:DWORD
	v_cndmask_b32_e64 v10, v16, v11, s[8:9]
; %bb.150:
	s_or_b64 exec, exec, s[22:23]
	v_lshlrev_b32_e32 v11, 16, v52
	v_add_f32_e32 v16, 0, v11
	s_mov_b32 s8, 0x7f800000
	v_and_b32_e32 v11, 0x7f800000, v16
	v_cmp_ne_u32_e64 s[8:9], s8, v11
                                        ; implicit-def: $vgpr11
	s_and_saveexec_b64 s[22:23], s[8:9]
	s_xor_b64 s[8:9], exec, s[22:23]
; %bb.151:
	v_bfe_u32 v11, v16, 16, 1
	s_movk_i32 s22, 0x7fff
	v_add3_u32 v11, v16, v11, s22
                                        ; implicit-def: $vgpr16
; %bb.152:
	s_andn2_saveexec_b64 s[22:23], s[8:9]
; %bb.153:
	v_mov_b32_e32 v11, 0
	v_or_b32_e32 v17, 0x10000, v16
	v_cmp_eq_u32_sdwa s[8:9], v16, v11 src0_sel:WORD_0 src1_sel:DWORD
	v_cndmask_b32_e64 v11, v17, v16, s[8:9]
; %bb.154:
	s_or_b64 exec, exec, s[22:23]
	s_mov_b32 s8, 0x7060302
	v_perm_b32 v16, v11, v10, s8
	v_mov_b32_e32 v17, 0xffff8000
	v_cmp_lt_i32_e64 s[8:9], -1, v10
	v_cndmask_b32_e64 v10, -1, v17, s[8:9]
	v_cmp_lt_i32_e64 s[8:9], -1, v11
	v_cndmask_b32_e64 v11, -1, v17, s[8:9]
	s_mov_b32 s8, 0x5040100
	v_perm_b32 v10, v11, v10, s8
	v_xor_b32_e32 v10, v10, v16
	v_cmp_gt_u16_sdwa s[22:23], v10, v10 src0_sel:DWORD src1_sel:WORD_1
	v_mov_b32_e32 v50, v54
	v_pk_mov_b32 v[16:17], v[18:19], v[18:19] op_sel:[0,1]
	s_and_saveexec_b64 s[8:9], s[22:23]
; %bb.155:
	v_mov_b32_e32 v50, v52
	v_pk_mov_b32 v[16:17], v[20:21], v[20:21] op_sel:[0,1]
	v_pk_mov_b32 v[20:21], v[18:19], v[18:19] op_sel:[0,1]
	v_mov_b32_e32 v52, v54
; %bb.156:
	s_or_b64 exec, exec, s[8:9]
	v_lshlrev_b32_e32 v10, 16, v51
	v_add_f32_e32 v11, 0, v10
	s_mov_b32 s8, 0x7f800000
	v_and_b32_e32 v10, 0x7f800000, v11
	v_cmp_ne_u32_e64 s[8:9], s8, v10
                                        ; implicit-def: $vgpr10
	s_and_saveexec_b64 s[22:23], s[8:9]
	s_xor_b64 s[8:9], exec, s[22:23]
; %bb.157:
	v_bfe_u32 v10, v11, 16, 1
	s_movk_i32 s22, 0x7fff
	v_add3_u32 v10, v11, v10, s22
                                        ; implicit-def: $vgpr11
; %bb.158:
	s_andn2_saveexec_b64 s[22:23], s[8:9]
; %bb.159:
	v_mov_b32_e32 v10, 0
	v_or_b32_e32 v18, 0x10000, v11
	v_cmp_eq_u32_sdwa s[8:9], v11, v10 src0_sel:WORD_0 src1_sel:DWORD
	v_cndmask_b32_e64 v10, v18, v11, s[8:9]
; %bb.160:
	s_or_b64 exec, exec, s[22:23]
	v_lshlrev_b32_e32 v11, 16, v33
	v_add_f32_e32 v18, 0, v11
	s_mov_b32 s8, 0x7f800000
	v_and_b32_e32 v11, 0x7f800000, v18
	v_cmp_ne_u32_e64 s[8:9], s8, v11
                                        ; implicit-def: $vgpr11
	s_and_saveexec_b64 s[22:23], s[8:9]
	s_xor_b64 s[8:9], exec, s[22:23]
; %bb.161:
	v_bfe_u32 v11, v18, 16, 1
	s_movk_i32 s22, 0x7fff
	v_add3_u32 v11, v18, v11, s22
                                        ; implicit-def: $vgpr18
; %bb.162:
	s_andn2_saveexec_b64 s[22:23], s[8:9]
; %bb.163:
	v_mov_b32_e32 v11, 0
	v_or_b32_e32 v19, 0x10000, v18
	v_cmp_eq_u32_sdwa s[8:9], v18, v11 src0_sel:WORD_0 src1_sel:DWORD
	v_cndmask_b32_e64 v11, v19, v18, s[8:9]
; %bb.164:
	s_or_b64 exec, exec, s[22:23]
	s_mov_b32 s8, 0x7060302
	v_perm_b32 v18, v11, v10, s8
	v_mov_b32_e32 v19, 0xffff8000
	v_cmp_lt_i32_e64 s[8:9], -1, v10
	v_cndmask_b32_e64 v10, -1, v19, s[8:9]
	v_cmp_lt_i32_e64 s[8:9], -1, v11
	v_cndmask_b32_e64 v11, -1, v19, s[8:9]
	s_mov_b32 s8, 0x5040100
	v_perm_b32 v10, v11, v10, s8
	v_xor_b32_e32 v10, v10, v18
	v_cmp_gt_u16_sdwa s[22:23], v10, v10 src0_sel:DWORD src1_sel:WORD_1
	v_pk_mov_b32 v[10:11], v[12:13], v[12:13] op_sel:[0,1]
	v_mov_b32_e32 v49, v51
	s_and_saveexec_b64 s[8:9], s[22:23]
; %bb.165:
	v_pk_mov_b32 v[10:11], v[14:15], v[14:15] op_sel:[0,1]
	v_pk_mov_b32 v[14:15], v[12:13], v[12:13] op_sel:[0,1]
	v_mov_b32_e32 v49, v33
	v_mov_b32_e32 v33, v51
; %bb.166:
	s_or_b64 exec, exec, s[8:9]
	v_lshlrev_b32_e32 v12, 16, v38
	v_add_f32_e32 v13, 0, v12
	s_mov_b32 s8, 0x7f800000
	v_and_b32_e32 v12, 0x7f800000, v13
	v_cmp_ne_u32_e64 s[8:9], s8, v12
                                        ; implicit-def: $vgpr12
	s_and_saveexec_b64 s[22:23], s[8:9]
	s_xor_b64 s[8:9], exec, s[22:23]
; %bb.167:
	v_bfe_u32 v12, v13, 16, 1
	s_movk_i32 s22, 0x7fff
	v_add3_u32 v12, v13, v12, s22
                                        ; implicit-def: $vgpr13
; %bb.168:
	s_andn2_saveexec_b64 s[22:23], s[8:9]
; %bb.169:
	v_mov_b32_e32 v12, 0
	v_or_b32_e32 v18, 0x10000, v13
	v_cmp_eq_u32_sdwa s[8:9], v13, v12 src0_sel:WORD_0 src1_sel:DWORD
	v_cndmask_b32_e64 v12, v18, v13, s[8:9]
; %bb.170:
	s_or_b64 exec, exec, s[22:23]
	v_lshlrev_b32_e32 v13, 16, v48
	v_add_f32_e32 v18, 0, v13
	s_mov_b32 s8, 0x7f800000
	v_and_b32_e32 v13, 0x7f800000, v18
	v_cmp_ne_u32_e64 s[8:9], s8, v13
                                        ; implicit-def: $vgpr13
	s_and_saveexec_b64 s[22:23], s[8:9]
	s_xor_b64 s[8:9], exec, s[22:23]
; %bb.171:
	v_bfe_u32 v13, v18, 16, 1
	s_movk_i32 s22, 0x7fff
	v_add3_u32 v13, v18, v13, s22
                                        ; implicit-def: $vgpr18
; %bb.172:
	s_andn2_saveexec_b64 s[22:23], s[8:9]
; %bb.173:
	v_mov_b32_e32 v13, 0
	v_or_b32_e32 v19, 0x10000, v18
	v_cmp_eq_u32_sdwa s[8:9], v18, v13 src0_sel:WORD_0 src1_sel:DWORD
	v_cndmask_b32_e64 v13, v19, v18, s[8:9]
; %bb.174:
	s_or_b64 exec, exec, s[22:23]
	s_mov_b32 s8, 0x7060302
	v_perm_b32 v18, v13, v12, s8
	v_mov_b32_e32 v19, 0xffff8000
	v_cmp_lt_i32_e64 s[8:9], -1, v12
	v_cndmask_b32_e64 v12, -1, v19, s[8:9]
	v_cmp_lt_i32_e64 s[8:9], -1, v13
	v_cndmask_b32_e64 v13, -1, v19, s[8:9]
	s_mov_b32 s8, 0x5040100
	v_perm_b32 v12, v13, v12, s8
	v_xor_b32_e32 v12, v12, v18
	v_cmp_gt_u16_sdwa s[22:23], v12, v12 src0_sel:DWORD src1_sel:WORD_1
	v_mov_b32_e32 v31, v48
	v_pk_mov_b32 v[22:23], v[26:27], v[26:27] op_sel:[0,1]
	s_and_saveexec_b64 s[8:9], s[22:23]
; %bb.175:
	v_mov_b32_e32 v31, v38
	v_mov_b32_e32 v38, v48
	v_pk_mov_b32 v[22:23], v[4:5], v[4:5] op_sel:[0,1]
	v_pk_mov_b32 v[4:5], v[26:27], v[26:27] op_sel:[0,1]
; %bb.176:
	s_or_b64 exec, exec, s[8:9]
	v_lshlrev_b32_e32 v12, 16, v30
	v_add_f32_e32 v13, 0, v12
	s_mov_b32 s8, 0x7f800000
	v_and_b32_e32 v12, 0x7f800000, v13
	v_cmp_ne_u32_e64 s[8:9], s8, v12
                                        ; implicit-def: $vgpr12
	s_and_saveexec_b64 s[22:23], s[8:9]
	s_xor_b64 s[8:9], exec, s[22:23]
; %bb.177:
	v_bfe_u32 v12, v13, 16, 1
	s_movk_i32 s22, 0x7fff
	v_add3_u32 v12, v13, v12, s22
                                        ; implicit-def: $vgpr13
; %bb.178:
	s_andn2_saveexec_b64 s[22:23], s[8:9]
; %bb.179:
	v_mov_b32_e32 v12, 0
	v_or_b32_e32 v18, 0x10000, v13
	v_cmp_eq_u32_sdwa s[8:9], v13, v12 src0_sel:WORD_0 src1_sel:DWORD
	v_cndmask_b32_e64 v12, v18, v13, s[8:9]
; %bb.180:
	s_or_b64 exec, exec, s[22:23]
	v_lshlrev_b32_e32 v13, 16, v50
	v_add_f32_e32 v18, 0, v13
	s_mov_b32 s8, 0x7f800000
	v_and_b32_e32 v13, 0x7f800000, v18
	v_cmp_ne_u32_e64 s[8:9], s8, v13
                                        ; implicit-def: $vgpr13
	s_and_saveexec_b64 s[22:23], s[8:9]
	s_xor_b64 s[8:9], exec, s[22:23]
; %bb.181:
	v_bfe_u32 v13, v18, 16, 1
	s_movk_i32 s22, 0x7fff
	v_add3_u32 v13, v18, v13, s22
                                        ; implicit-def: $vgpr18
; %bb.182:
	s_andn2_saveexec_b64 s[22:23], s[8:9]
; %bb.183:
	v_mov_b32_e32 v13, 0
	v_or_b32_e32 v19, 0x10000, v18
	v_cmp_eq_u32_sdwa s[8:9], v18, v13 src0_sel:WORD_0 src1_sel:DWORD
	v_cndmask_b32_e64 v13, v19, v18, s[8:9]
; %bb.184:
	s_or_b64 exec, exec, s[22:23]
	s_mov_b32 s8, 0x7060302
	v_perm_b32 v18, v13, v12, s8
	v_mov_b32_e32 v19, 0xffff8000
	v_cmp_lt_i32_e64 s[8:9], -1, v12
	v_cndmask_b32_e64 v12, -1, v19, s[8:9]
	v_cmp_lt_i32_e64 s[8:9], -1, v13
	v_cndmask_b32_e64 v13, -1, v19, s[8:9]
	s_mov_b32 s8, 0x5040100
	v_perm_b32 v12, v13, v12, s8
	v_xor_b32_e32 v12, v12, v18
	v_cmp_gt_u16_sdwa s[22:23], v12, v12 src0_sel:DWORD src1_sel:WORD_1
	v_mov_b32_e32 v48, v50
	v_pk_mov_b32 v[26:27], v[20:21], v[20:21] op_sel:[0,1]
	s_and_saveexec_b64 s[8:9], s[22:23]
; %bb.185:
	v_mov_b32_e32 v48, v30
	v_mov_b32_e32 v30, v50
	v_pk_mov_b32 v[26:27], v[28:29], v[28:29] op_sel:[0,1]
	v_pk_mov_b32 v[28:29], v[20:21], v[20:21] op_sel:[0,1]
; %bb.186:
	s_or_b64 exec, exec, s[8:9]
	v_lshlrev_b32_e32 v12, 16, v52
	v_add_f32_e32 v13, 0, v12
	s_mov_b32 s8, 0x7f800000
	v_and_b32_e32 v12, 0x7f800000, v13
	v_cmp_ne_u32_e64 s[8:9], s8, v12
                                        ; implicit-def: $vgpr12
	s_and_saveexec_b64 s[22:23], s[8:9]
	s_xor_b64 s[8:9], exec, s[22:23]
; %bb.187:
	v_bfe_u32 v12, v13, 16, 1
	s_movk_i32 s22, 0x7fff
	v_add3_u32 v12, v13, v12, s22
                                        ; implicit-def: $vgpr13
; %bb.188:
	s_andn2_saveexec_b64 s[22:23], s[8:9]
; %bb.189:
	v_mov_b32_e32 v12, 0
	v_or_b32_e32 v18, 0x10000, v13
	v_cmp_eq_u32_sdwa s[8:9], v13, v12 src0_sel:WORD_0 src1_sel:DWORD
	v_cndmask_b32_e64 v12, v18, v13, s[8:9]
; %bb.190:
	s_or_b64 exec, exec, s[22:23]
	v_lshlrev_b32_e32 v13, 16, v49
	v_add_f32_e32 v18, 0, v13
	s_mov_b32 s8, 0x7f800000
	v_and_b32_e32 v13, 0x7f800000, v18
	v_cmp_ne_u32_e64 s[8:9], s8, v13
                                        ; implicit-def: $vgpr13
	s_and_saveexec_b64 s[22:23], s[8:9]
	s_xor_b64 s[8:9], exec, s[22:23]
; %bb.191:
	v_bfe_u32 v13, v18, 16, 1
	s_movk_i32 s22, 0x7fff
	v_add3_u32 v13, v18, v13, s22
                                        ; implicit-def: $vgpr18
; %bb.192:
	s_andn2_saveexec_b64 s[22:23], s[8:9]
; %bb.193:
	v_mov_b32_e32 v13, 0
	v_or_b32_e32 v19, 0x10000, v18
	v_cmp_eq_u32_sdwa s[8:9], v18, v13 src0_sel:WORD_0 src1_sel:DWORD
	v_cndmask_b32_e64 v13, v19, v18, s[8:9]
; %bb.194:
	s_or_b64 exec, exec, s[22:23]
	s_mov_b32 s8, 0x7060302
	v_perm_b32 v18, v13, v12, s8
	v_mov_b32_e32 v19, 0xffff8000
	v_cmp_lt_i32_e64 s[8:9], -1, v12
	v_cndmask_b32_e64 v12, -1, v19, s[8:9]
	v_cmp_lt_i32_e64 s[8:9], -1, v13
	v_cndmask_b32_e64 v13, -1, v19, s[8:9]
	s_mov_b32 s8, 0x5040100
	v_perm_b32 v12, v13, v12, s8
	v_xor_b32_e32 v12, v12, v18
	v_cmp_gt_u16_sdwa s[22:23], v12, v12 src0_sel:DWORD src1_sel:WORD_1
	v_pk_mov_b32 v[18:19], v[14:15], v[14:15] op_sel:[0,1]
	v_mov_b32_e32 v53, v52
	s_and_saveexec_b64 s[8:9], s[22:23]
; %bb.195:
	v_pk_mov_b32 v[18:19], v[16:17], v[16:17] op_sel:[0,1]
	v_pk_mov_b32 v[16:17], v[14:15], v[14:15] op_sel:[0,1]
	v_mov_b32_e32 v53, v49
	v_mov_b32_e32 v49, v52
; %bb.196:
	s_or_b64 exec, exec, s[8:9]
	v_lshlrev_b32_e32 v12, 16, v33
	v_add_f32_e32 v13, 0, v12
	s_mov_b32 s8, 0x7f800000
	v_and_b32_e32 v12, 0x7f800000, v13
	v_cmp_ne_u32_e64 s[8:9], s8, v12
                                        ; implicit-def: $vgpr12
	s_and_saveexec_b64 s[22:23], s[8:9]
	s_xor_b64 s[8:9], exec, s[22:23]
; %bb.197:
	v_bfe_u32 v12, v13, 16, 1
	s_movk_i32 s22, 0x7fff
	v_add3_u32 v12, v13, v12, s22
                                        ; implicit-def: $vgpr13
; %bb.198:
	s_andn2_saveexec_b64 s[22:23], s[8:9]
; %bb.199:
	v_mov_b32_e32 v12, 0
	v_or_b32_e32 v14, 0x10000, v13
	v_cmp_eq_u32_sdwa s[8:9], v13, v12 src0_sel:WORD_0 src1_sel:DWORD
	v_cndmask_b32_e64 v12, v14, v13, s[8:9]
; %bb.200:
	s_or_b64 exec, exec, s[22:23]
	v_lshlrev_b32_e32 v13, 16, v39
	v_add_f32_e32 v14, 0, v13
	s_mov_b32 s8, 0x7f800000
	v_and_b32_e32 v13, 0x7f800000, v14
	v_cmp_ne_u32_e64 s[8:9], s8, v13
                                        ; implicit-def: $vgpr13
	s_and_saveexec_b64 s[22:23], s[8:9]
	s_xor_b64 s[8:9], exec, s[22:23]
; %bb.201:
	v_bfe_u32 v13, v14, 16, 1
	s_movk_i32 s22, 0x7fff
	v_add3_u32 v13, v14, v13, s22
                                        ; implicit-def: $vgpr14
; %bb.202:
	s_andn2_saveexec_b64 s[22:23], s[8:9]
; %bb.203:
	v_mov_b32_e32 v13, 0
	v_or_b32_e32 v15, 0x10000, v14
	v_cmp_eq_u32_sdwa s[8:9], v14, v13 src0_sel:WORD_0 src1_sel:DWORD
	v_cndmask_b32_e64 v13, v15, v14, s[8:9]
; %bb.204:
	s_or_b64 exec, exec, s[22:23]
	s_mov_b32 s8, 0x7060302
	v_perm_b32 v14, v13, v12, s8
	v_mov_b32_e32 v15, 0xffff8000
	v_cmp_lt_i32_e64 s[8:9], -1, v12
	v_cndmask_b32_e64 v12, -1, v15, s[8:9]
	v_cmp_lt_i32_e64 s[8:9], -1, v13
	v_cndmask_b32_e64 v13, -1, v15, s[8:9]
	s_mov_b32 s8, 0x5040100
	v_perm_b32 v12, v13, v12, s8
	v_xor_b32_e32 v12, v12, v14
	v_cmp_gt_u16_sdwa s[22:23], v12, v12 src0_sel:DWORD src1_sel:WORD_1
	v_pk_mov_b32 v[12:13], v[8:9], v[8:9] op_sel:[0,1]
	v_mov_b32_e32 v51, v33
	s_and_saveexec_b64 s[8:9], s[22:23]
; %bb.205:
	v_pk_mov_b32 v[12:13], v[10:11], v[10:11] op_sel:[0,1]
	v_pk_mov_b32 v[10:11], v[8:9], v[8:9] op_sel:[0,1]
	v_mov_b32_e32 v51, v39
	v_mov_b32_e32 v39, v33
; %bb.206:
	s_or_b64 exec, exec, s[8:9]
	v_lshlrev_b32_e32 v8, 16, v31
	v_add_f32_e32 v9, 0, v8
	s_mov_b32 s8, 0x7f800000
	v_and_b32_e32 v8, 0x7f800000, v9
	v_cmp_ne_u32_e64 s[8:9], s8, v8
                                        ; implicit-def: $vgpr8
	s_and_saveexec_b64 s[22:23], s[8:9]
	s_xor_b64 s[8:9], exec, s[22:23]
; %bb.207:
	v_bfe_u32 v8, v9, 16, 1
	s_movk_i32 s22, 0x7fff
	v_add3_u32 v8, v9, v8, s22
                                        ; implicit-def: $vgpr9
; %bb.208:
	s_andn2_saveexec_b64 s[22:23], s[8:9]
; %bb.209:
	v_mov_b32_e32 v8, 0
	v_or_b32_e32 v14, 0x10000, v9
	v_cmp_eq_u32_sdwa s[8:9], v9, v8 src0_sel:WORD_0 src1_sel:DWORD
	v_cndmask_b32_e64 v8, v14, v9, s[8:9]
; %bb.210:
	s_or_b64 exec, exec, s[22:23]
	v_lshlrev_b32_e32 v9, 16, v30
	v_add_f32_e32 v14, 0, v9
	s_mov_b32 s8, 0x7f800000
	v_and_b32_e32 v9, 0x7f800000, v14
	v_cmp_ne_u32_e64 s[8:9], s8, v9
                                        ; implicit-def: $vgpr9
	s_and_saveexec_b64 s[22:23], s[8:9]
	s_xor_b64 s[8:9], exec, s[22:23]
; %bb.211:
	v_bfe_u32 v9, v14, 16, 1
	s_movk_i32 s22, 0x7fff
	v_add3_u32 v9, v14, v9, s22
                                        ; implicit-def: $vgpr14
; %bb.212:
	s_andn2_saveexec_b64 s[22:23], s[8:9]
; %bb.213:
	v_mov_b32_e32 v9, 0
	v_or_b32_e32 v15, 0x10000, v14
	v_cmp_eq_u32_sdwa s[8:9], v14, v9 src0_sel:WORD_0 src1_sel:DWORD
	v_cndmask_b32_e64 v9, v15, v14, s[8:9]
; %bb.214:
	s_or_b64 exec, exec, s[22:23]
	s_mov_b32 s8, 0x7060302
	v_perm_b32 v14, v9, v8, s8
	v_mov_b32_e32 v15, 0xffff8000
	v_cmp_lt_i32_e64 s[8:9], -1, v8
	v_cndmask_b32_e64 v8, -1, v15, s[8:9]
	v_cmp_lt_i32_e64 s[8:9], -1, v9
	v_cndmask_b32_e64 v9, -1, v15, s[8:9]
	s_mov_b32 s8, 0x5040100
	v_perm_b32 v8, v9, v8, s8
	v_xor_b32_e32 v8, v8, v14
	v_cmp_gt_u16_sdwa s[22:23], v8, v8 src0_sel:DWORD src1_sel:WORD_1
	v_mov_b32_e32 v33, v30
	v_pk_mov_b32 v[20:21], v[28:29], v[28:29] op_sel:[0,1]
	s_and_saveexec_b64 s[8:9], s[22:23]
; %bb.215:
	v_mov_b32_e32 v33, v31
	v_mov_b32_e32 v31, v30
	v_pk_mov_b32 v[20:21], v[22:23], v[22:23] op_sel:[0,1]
	v_pk_mov_b32 v[22:23], v[28:29], v[28:29] op_sel:[0,1]
; %bb.216:
	s_or_b64 exec, exec, s[8:9]
	v_lshlrev_b32_e32 v8, 16, v48
	v_add_f32_e32 v9, 0, v8
	s_mov_b32 s8, 0x7f800000
	v_and_b32_e32 v8, 0x7f800000, v9
	v_cmp_ne_u32_e64 s[8:9], s8, v8
                                        ; implicit-def: $vgpr8
	s_and_saveexec_b64 s[22:23], s[8:9]
	s_xor_b64 s[8:9], exec, s[22:23]
; %bb.217:
	v_bfe_u32 v8, v9, 16, 1
	s_movk_i32 s22, 0x7fff
	v_add3_u32 v8, v9, v8, s22
                                        ; implicit-def: $vgpr9
; %bb.218:
	s_andn2_saveexec_b64 s[22:23], s[8:9]
; %bb.219:
	v_mov_b32_e32 v8, 0
	v_or_b32_e32 v14, 0x10000, v9
	v_cmp_eq_u32_sdwa s[8:9], v9, v8 src0_sel:WORD_0 src1_sel:DWORD
	v_cndmask_b32_e64 v8, v14, v9, s[8:9]
; %bb.220:
	s_or_b64 exec, exec, s[22:23]
	v_lshlrev_b32_e32 v9, 16, v53
	v_add_f32_e32 v14, 0, v9
	s_mov_b32 s8, 0x7f800000
	v_and_b32_e32 v9, 0x7f800000, v14
	v_cmp_ne_u32_e64 s[8:9], s8, v9
                                        ; implicit-def: $vgpr9
	s_and_saveexec_b64 s[22:23], s[8:9]
	s_xor_b64 s[8:9], exec, s[22:23]
; %bb.221:
	v_bfe_u32 v9, v14, 16, 1
	s_movk_i32 s22, 0x7fff
	v_add3_u32 v9, v14, v9, s22
                                        ; implicit-def: $vgpr14
; %bb.222:
	s_andn2_saveexec_b64 s[22:23], s[8:9]
; %bb.223:
	v_mov_b32_e32 v9, 0
	v_or_b32_e32 v15, 0x10000, v14
	v_cmp_eq_u32_sdwa s[8:9], v14, v9 src0_sel:WORD_0 src1_sel:DWORD
	v_cndmask_b32_e64 v9, v15, v14, s[8:9]
; %bb.224:
	s_or_b64 exec, exec, s[22:23]
	s_mov_b32 s8, 0x7060302
	v_perm_b32 v14, v9, v8, s8
	v_mov_b32_e32 v15, 0xffff8000
	v_cmp_lt_i32_e64 s[8:9], -1, v8
	v_cndmask_b32_e64 v8, -1, v15, s[8:9]
	v_cmp_lt_i32_e64 s[8:9], -1, v9
	v_cndmask_b32_e64 v9, -1, v15, s[8:9]
	s_mov_b32 s8, 0x5040100
	v_perm_b32 v8, v9, v8, s8
	v_xor_b32_e32 v8, v8, v14
	v_cmp_gt_u16_sdwa s[22:23], v8, v8 src0_sel:DWORD src1_sel:WORD_1
	v_mov_b32_e32 v28, v48
	v_pk_mov_b32 v[8:9], v[16:17], v[16:17] op_sel:[0,1]
	s_and_saveexec_b64 s[8:9], s[22:23]
; %bb.225:
	v_mov_b32_e32 v28, v53
	v_pk_mov_b32 v[8:9], v[26:27], v[26:27] op_sel:[0,1]
	v_pk_mov_b32 v[26:27], v[16:17], v[16:17] op_sel:[0,1]
	v_mov_b32_e32 v53, v48
; %bb.226:
	s_or_b64 exec, exec, s[8:9]
	v_lshlrev_b32_e32 v14, 16, v49
	v_add_f32_e32 v15, 0, v14
	s_mov_b32 s8, 0x7f800000
	v_and_b32_e32 v14, 0x7f800000, v15
	v_cmp_ne_u32_e64 s[8:9], s8, v14
                                        ; implicit-def: $vgpr14
	s_and_saveexec_b64 s[22:23], s[8:9]
	s_xor_b64 s[8:9], exec, s[22:23]
; %bb.227:
	v_bfe_u32 v14, v15, 16, 1
	s_movk_i32 s22, 0x7fff
	v_add3_u32 v14, v15, v14, s22
                                        ; implicit-def: $vgpr15
; %bb.228:
	s_andn2_saveexec_b64 s[22:23], s[8:9]
; %bb.229:
	v_mov_b32_e32 v14, 0
	v_or_b32_e32 v16, 0x10000, v15
	v_cmp_eq_u32_sdwa s[8:9], v15, v14 src0_sel:WORD_0 src1_sel:DWORD
	v_cndmask_b32_e64 v14, v16, v15, s[8:9]
; %bb.230:
	s_or_b64 exec, exec, s[22:23]
	v_lshlrev_b32_e32 v15, 16, v51
	v_add_f32_e32 v16, 0, v15
	s_mov_b32 s8, 0x7f800000
	v_and_b32_e32 v15, 0x7f800000, v16
	v_cmp_ne_u32_e64 s[8:9], s8, v15
                                        ; implicit-def: $vgpr15
	s_and_saveexec_b64 s[22:23], s[8:9]
	s_xor_b64 s[8:9], exec, s[22:23]
; %bb.231:
	v_bfe_u32 v15, v16, 16, 1
	s_movk_i32 s22, 0x7fff
	v_add3_u32 v15, v16, v15, s22
                                        ; implicit-def: $vgpr16
; %bb.232:
	s_andn2_saveexec_b64 s[22:23], s[8:9]
; %bb.233:
	v_mov_b32_e32 v15, 0
	v_or_b32_e32 v17, 0x10000, v16
	v_cmp_eq_u32_sdwa s[8:9], v16, v15 src0_sel:WORD_0 src1_sel:DWORD
	v_cndmask_b32_e64 v15, v17, v16, s[8:9]
; %bb.234:
	s_or_b64 exec, exec, s[22:23]
	s_mov_b32 s8, 0x7060302
	v_perm_b32 v16, v15, v14, s8
	v_mov_b32_e32 v17, 0xffff8000
	v_cmp_lt_i32_e64 s[8:9], -1, v14
	v_cndmask_b32_e64 v14, -1, v17, s[8:9]
	v_cmp_lt_i32_e64 s[8:9], -1, v15
	v_cndmask_b32_e64 v15, -1, v17, s[8:9]
	s_mov_b32 s8, 0x5040100
	v_perm_b32 v14, v15, v14, s8
	v_xor_b32_e32 v14, v14, v16
	v_cmp_gt_u16_sdwa s[22:23], v14, v14 src0_sel:DWORD src1_sel:WORD_1
	v_pk_mov_b32 v[16:17], v[10:11], v[10:11] op_sel:[0,1]
	v_mov_b32_e32 v48, v49
	s_and_saveexec_b64 s[8:9], s[22:23]
; %bb.235:
	v_pk_mov_b32 v[16:17], v[18:19], v[18:19] op_sel:[0,1]
	v_pk_mov_b32 v[18:19], v[10:11], v[10:11] op_sel:[0,1]
	v_mov_b32_e32 v48, v51
	v_mov_b32_e32 v51, v49
; %bb.236:
	s_or_b64 exec, exec, s[8:9]
	v_lshlrev_b32_e32 v10, 16, v38
	v_add_f32_e32 v11, 0, v10
	s_mov_b32 s8, 0x7f800000
	v_and_b32_e32 v10, 0x7f800000, v11
	v_cmp_ne_u32_e64 s[8:9], s8, v10
                                        ; implicit-def: $vgpr10
	s_and_saveexec_b64 s[22:23], s[8:9]
	s_xor_b64 s[8:9], exec, s[22:23]
; %bb.237:
	v_bfe_u32 v10, v11, 16, 1
	s_movk_i32 s22, 0x7fff
	v_add3_u32 v10, v11, v10, s22
                                        ; implicit-def: $vgpr11
; %bb.238:
	s_andn2_saveexec_b64 s[22:23], s[8:9]
; %bb.239:
	v_mov_b32_e32 v10, 0
	v_or_b32_e32 v14, 0x10000, v11
	v_cmp_eq_u32_sdwa s[8:9], v11, v10 src0_sel:WORD_0 src1_sel:DWORD
	v_cndmask_b32_e64 v10, v14, v11, s[8:9]
; %bb.240:
	s_or_b64 exec, exec, s[22:23]
	v_lshlrev_b32_e32 v11, 16, v31
	v_add_f32_e32 v14, 0, v11
	s_mov_b32 s8, 0x7f800000
	v_and_b32_e32 v11, 0x7f800000, v14
	v_cmp_ne_u32_e64 s[8:9], s8, v11
                                        ; implicit-def: $vgpr11
	s_and_saveexec_b64 s[22:23], s[8:9]
	s_xor_b64 s[8:9], exec, s[22:23]
; %bb.241:
	v_bfe_u32 v11, v14, 16, 1
	s_movk_i32 s22, 0x7fff
	v_add3_u32 v11, v14, v11, s22
                                        ; implicit-def: $vgpr14
; %bb.242:
	s_andn2_saveexec_b64 s[22:23], s[8:9]
; %bb.243:
	v_mov_b32_e32 v11, 0
	v_or_b32_e32 v15, 0x10000, v14
	v_cmp_eq_u32_sdwa s[8:9], v14, v11 src0_sel:WORD_0 src1_sel:DWORD
	v_cndmask_b32_e64 v11, v15, v14, s[8:9]
; %bb.244:
	s_or_b64 exec, exec, s[22:23]
	s_mov_b32 s8, 0x7060302
	v_perm_b32 v14, v11, v10, s8
	v_mov_b32_e32 v15, 0xffff8000
	v_cmp_lt_i32_e64 s[8:9], -1, v10
	v_cndmask_b32_e64 v10, -1, v15, s[8:9]
	v_cmp_lt_i32_e64 s[8:9], -1, v11
	v_cndmask_b32_e64 v11, -1, v15, s[8:9]
	s_mov_b32 s8, 0x5040100
	v_perm_b32 v10, v11, v10, s8
	v_xor_b32_e32 v10, v10, v14
	v_cmp_gt_u16_sdwa s[22:23], v10, v10 src0_sel:DWORD src1_sel:WORD_1
	v_mov_b32_e32 v50, v31
	v_pk_mov_b32 v[10:11], v[22:23], v[22:23] op_sel:[0,1]
	s_and_saveexec_b64 s[8:9], s[22:23]
; %bb.245:
	v_mov_b32_e32 v50, v38
	v_mov_b32_e32 v38, v31
	v_pk_mov_b32 v[10:11], v[4:5], v[4:5] op_sel:[0,1]
	v_pk_mov_b32 v[4:5], v[22:23], v[22:23] op_sel:[0,1]
; %bb.246:
	s_or_b64 exec, exec, s[8:9]
	v_lshlrev_b32_e32 v14, 16, v33
	v_add_f32_e32 v15, 0, v14
	s_mov_b32 s8, 0x7f800000
	v_and_b32_e32 v14, 0x7f800000, v15
	v_cmp_ne_u32_e64 s[8:9], s8, v14
                                        ; implicit-def: $vgpr14
	s_and_saveexec_b64 s[22:23], s[8:9]
	s_xor_b64 s[8:9], exec, s[22:23]
; %bb.247:
	v_bfe_u32 v14, v15, 16, 1
	s_movk_i32 s22, 0x7fff
	v_add3_u32 v14, v15, v14, s22
                                        ; implicit-def: $vgpr15
; %bb.248:
	s_andn2_saveexec_b64 s[22:23], s[8:9]
; %bb.249:
	v_mov_b32_e32 v14, 0
	v_or_b32_e32 v22, 0x10000, v15
	v_cmp_eq_u32_sdwa s[8:9], v15, v14 src0_sel:WORD_0 src1_sel:DWORD
	v_cndmask_b32_e64 v14, v22, v15, s[8:9]
; %bb.250:
	s_or_b64 exec, exec, s[22:23]
	v_lshlrev_b32_e32 v15, 16, v28
	v_add_f32_e32 v22, 0, v15
	s_mov_b32 s8, 0x7f800000
	v_and_b32_e32 v15, 0x7f800000, v22
	v_cmp_ne_u32_e64 s[8:9], s8, v15
                                        ; implicit-def: $vgpr15
	s_and_saveexec_b64 s[22:23], s[8:9]
	s_xor_b64 s[8:9], exec, s[22:23]
; %bb.251:
	v_bfe_u32 v15, v22, 16, 1
	s_movk_i32 s22, 0x7fff
	v_add3_u32 v15, v22, v15, s22
                                        ; implicit-def: $vgpr22
; %bb.252:
	s_andn2_saveexec_b64 s[22:23], s[8:9]
; %bb.253:
	v_mov_b32_e32 v15, 0
	v_or_b32_e32 v23, 0x10000, v22
	v_cmp_eq_u32_sdwa s[8:9], v22, v15 src0_sel:WORD_0 src1_sel:DWORD
	v_cndmask_b32_e64 v15, v23, v22, s[8:9]
; %bb.254:
	s_or_b64 exec, exec, s[22:23]
	s_mov_b32 s8, 0x7060302
	v_perm_b32 v22, v15, v14, s8
	v_mov_b32_e32 v23, 0xffff8000
	v_cmp_lt_i32_e64 s[8:9], -1, v14
	v_cndmask_b32_e64 v14, -1, v23, s[8:9]
	v_cmp_lt_i32_e64 s[8:9], -1, v15
	v_cndmask_b32_e64 v15, -1, v23, s[8:9]
	s_mov_b32 s8, 0x5040100
	v_perm_b32 v14, v15, v14, s8
	v_xor_b32_e32 v14, v14, v22
	v_cmp_gt_u16_sdwa s[22:23], v14, v14 src0_sel:DWORD src1_sel:WORD_1
	v_mov_b32_e32 v52, v28
	v_pk_mov_b32 v[14:15], v[26:27], v[26:27] op_sel:[0,1]
	s_and_saveexec_b64 s[8:9], s[22:23]
; %bb.255:
	v_mov_b32_e32 v52, v33
	v_mov_b32_e32 v33, v28
	v_pk_mov_b32 v[14:15], v[20:21], v[20:21] op_sel:[0,1]
	v_pk_mov_b32 v[20:21], v[26:27], v[26:27] op_sel:[0,1]
; %bb.256:
	s_or_b64 exec, exec, s[8:9]
	v_lshlrev_b32_e32 v22, 16, v53
	v_add_f32_e32 v23, 0, v22
	s_mov_b32 s8, 0x7f800000
	v_and_b32_e32 v22, 0x7f800000, v23
	v_cmp_ne_u32_e64 s[8:9], s8, v22
                                        ; implicit-def: $vgpr22
	s_and_saveexec_b64 s[22:23], s[8:9]
	s_xor_b64 s[8:9], exec, s[22:23]
; %bb.257:
	v_bfe_u32 v22, v23, 16, 1
	s_movk_i32 s22, 0x7fff
	v_add3_u32 v22, v23, v22, s22
                                        ; implicit-def: $vgpr23
; %bb.258:
	s_andn2_saveexec_b64 s[22:23], s[8:9]
; %bb.259:
	v_mov_b32_e32 v22, 0
	v_or_b32_e32 v26, 0x10000, v23
	v_cmp_eq_u32_sdwa s[8:9], v23, v22 src0_sel:WORD_0 src1_sel:DWORD
	v_cndmask_b32_e64 v22, v26, v23, s[8:9]
; %bb.260:
	s_or_b64 exec, exec, s[22:23]
	v_lshlrev_b32_e32 v23, 16, v48
	v_add_f32_e32 v26, 0, v23
	s_mov_b32 s8, 0x7f800000
	v_and_b32_e32 v23, 0x7f800000, v26
	v_cmp_ne_u32_e64 s[8:9], s8, v23
                                        ; implicit-def: $vgpr23
	s_and_saveexec_b64 s[22:23], s[8:9]
	s_xor_b64 s[8:9], exec, s[22:23]
; %bb.261:
	v_bfe_u32 v23, v26, 16, 1
	s_movk_i32 s22, 0x7fff
	v_add3_u32 v23, v26, v23, s22
                                        ; implicit-def: $vgpr26
; %bb.262:
	s_andn2_saveexec_b64 s[22:23], s[8:9]
; %bb.263:
	v_mov_b32_e32 v23, 0
	v_or_b32_e32 v27, 0x10000, v26
	v_cmp_eq_u32_sdwa s[8:9], v26, v23 src0_sel:WORD_0 src1_sel:DWORD
	v_cndmask_b32_e64 v23, v27, v26, s[8:9]
; %bb.264:
	s_or_b64 exec, exec, s[22:23]
	s_mov_b32 s8, 0x7060302
	v_perm_b32 v26, v23, v22, s8
	v_mov_b32_e32 v27, 0xffff8000
	v_cmp_lt_i32_e64 s[8:9], -1, v22
	v_cndmask_b32_e64 v22, -1, v27, s[8:9]
	v_cmp_lt_i32_e64 s[8:9], -1, v23
	v_cndmask_b32_e64 v23, -1, v27, s[8:9]
	s_mov_b32 s8, 0x5040100
	v_perm_b32 v22, v23, v22, s8
	v_xor_b32_e32 v22, v22, v26
	v_cmp_gt_u16_sdwa s[22:23], v22, v22 src0_sel:DWORD src1_sel:WORD_1
	v_pk_mov_b32 v[30:31], v[18:19], v[18:19] op_sel:[0,1]
	v_mov_b32_e32 v49, v53
	s_and_saveexec_b64 s[8:9], s[22:23]
; %bb.265:
	v_pk_mov_b32 v[30:31], v[8:9], v[8:9] op_sel:[0,1]
	v_pk_mov_b32 v[8:9], v[18:19], v[18:19] op_sel:[0,1]
	v_mov_b32_e32 v49, v48
	v_mov_b32_e32 v48, v53
; %bb.266:
	s_or_b64 exec, exec, s[8:9]
	v_lshlrev_b32_e32 v18, 16, v51
	v_add_f32_e32 v19, 0, v18
	s_mov_b32 s8, 0x7f800000
	v_and_b32_e32 v18, 0x7f800000, v19
	v_cmp_ne_u32_e64 s[8:9], s8, v18
                                        ; implicit-def: $vgpr18
	s_and_saveexec_b64 s[22:23], s[8:9]
	s_xor_b64 s[8:9], exec, s[22:23]
; %bb.267:
	v_bfe_u32 v18, v19, 16, 1
	s_movk_i32 s22, 0x7fff
	v_add3_u32 v18, v19, v18, s22
                                        ; implicit-def: $vgpr19
; %bb.268:
	s_andn2_saveexec_b64 s[22:23], s[8:9]
; %bb.269:
	v_mov_b32_e32 v18, 0
	v_or_b32_e32 v22, 0x10000, v19
	v_cmp_eq_u32_sdwa s[8:9], v19, v18 src0_sel:WORD_0 src1_sel:DWORD
	v_cndmask_b32_e64 v18, v22, v19, s[8:9]
; %bb.270:
	s_or_b64 exec, exec, s[22:23]
	v_lshlrev_b32_e32 v19, 16, v39
	v_add_f32_e32 v22, 0, v19
	s_mov_b32 s8, 0x7f800000
	v_and_b32_e32 v19, 0x7f800000, v22
	v_cmp_ne_u32_e64 s[8:9], s8, v19
                                        ; implicit-def: $vgpr19
	s_and_saveexec_b64 s[22:23], s[8:9]
	s_xor_b64 s[8:9], exec, s[22:23]
; %bb.271:
	v_bfe_u32 v19, v22, 16, 1
	s_movk_i32 s22, 0x7fff
	v_add3_u32 v19, v22, v19, s22
                                        ; implicit-def: $vgpr22
; %bb.272:
	s_andn2_saveexec_b64 s[22:23], s[8:9]
; %bb.273:
	v_mov_b32_e32 v19, 0
	v_or_b32_e32 v23, 0x10000, v22
	v_cmp_eq_u32_sdwa s[8:9], v22, v19 src0_sel:WORD_0 src1_sel:DWORD
	v_cndmask_b32_e64 v19, v23, v22, s[8:9]
; %bb.274:
	s_or_b64 exec, exec, s[22:23]
	s_mov_b32 s8, 0x7060302
	v_perm_b32 v22, v19, v18, s8
	v_mov_b32_e32 v23, 0xffff8000
	v_cmp_lt_i32_e64 s[8:9], -1, v18
	v_cndmask_b32_e64 v18, -1, v23, s[8:9]
	v_cmp_lt_i32_e64 s[8:9], -1, v19
	v_cndmask_b32_e64 v19, -1, v23, s[8:9]
	s_mov_b32 s8, 0x5040100
	v_perm_b32 v18, v19, v18, s8
	v_xor_b32_e32 v18, v18, v22
	v_cmp_gt_u16_sdwa s[22:23], v18, v18 src0_sel:DWORD src1_sel:WORD_1
	v_pk_mov_b32 v[22:23], v[12:13], v[12:13] op_sel:[0,1]
	v_mov_b32_e32 v54, v51
	s_and_saveexec_b64 s[8:9], s[22:23]
; %bb.275:
	v_pk_mov_b32 v[22:23], v[16:17], v[16:17] op_sel:[0,1]
	v_pk_mov_b32 v[16:17], v[12:13], v[12:13] op_sel:[0,1]
	v_mov_b32_e32 v54, v39
	v_mov_b32_e32 v39, v51
; %bb.276:
	s_or_b64 exec, exec, s[8:9]
	v_lshlrev_b32_e32 v12, 16, v50
	v_add_f32_e32 v13, 0, v12
	s_mov_b32 s8, 0x7f800000
	v_and_b32_e32 v12, 0x7f800000, v13
	v_cmp_ne_u32_e64 s[8:9], s8, v12
                                        ; implicit-def: $vgpr12
	s_and_saveexec_b64 s[22:23], s[8:9]
	s_xor_b64 s[8:9], exec, s[22:23]
; %bb.277:
	v_bfe_u32 v12, v13, 16, 1
	s_movk_i32 s22, 0x7fff
	v_add3_u32 v12, v13, v12, s22
                                        ; implicit-def: $vgpr13
; %bb.278:
	s_andn2_saveexec_b64 s[22:23], s[8:9]
; %bb.279:
	v_mov_b32_e32 v12, 0
	v_or_b32_e32 v18, 0x10000, v13
	v_cmp_eq_u32_sdwa s[8:9], v13, v12 src0_sel:WORD_0 src1_sel:DWORD
	v_cndmask_b32_e64 v12, v18, v13, s[8:9]
; %bb.280:
	s_or_b64 exec, exec, s[22:23]
	v_lshlrev_b32_e32 v13, 16, v33
	v_add_f32_e32 v18, 0, v13
	s_mov_b32 s8, 0x7f800000
	v_and_b32_e32 v13, 0x7f800000, v18
	v_cmp_ne_u32_e64 s[8:9], s8, v13
                                        ; implicit-def: $vgpr13
	s_and_saveexec_b64 s[22:23], s[8:9]
	s_xor_b64 s[8:9], exec, s[22:23]
; %bb.281:
	v_bfe_u32 v13, v18, 16, 1
	s_movk_i32 s22, 0x7fff
	v_add3_u32 v13, v18, v13, s22
                                        ; implicit-def: $vgpr18
; %bb.282:
	s_andn2_saveexec_b64 s[22:23], s[8:9]
; %bb.283:
	v_mov_b32_e32 v13, 0
	v_or_b32_e32 v19, 0x10000, v18
	v_cmp_eq_u32_sdwa s[8:9], v18, v13 src0_sel:WORD_0 src1_sel:DWORD
	v_cndmask_b32_e64 v13, v19, v18, s[8:9]
; %bb.284:
	s_or_b64 exec, exec, s[22:23]
	s_mov_b32 s8, 0x7060302
	v_perm_b32 v18, v13, v12, s8
	v_mov_b32_e32 v19, 0xffff8000
	v_cmp_lt_i32_e64 s[8:9], -1, v12
	v_cndmask_b32_e64 v12, -1, v19, s[8:9]
	v_cmp_lt_i32_e64 s[8:9], -1, v13
	v_cndmask_b32_e64 v13, -1, v19, s[8:9]
	s_mov_b32 s8, 0x5040100
	v_perm_b32 v12, v13, v12, s8
	v_xor_b32_e32 v12, v12, v18
	v_cmp_gt_u16_sdwa s[22:23], v12, v12 src0_sel:DWORD src1_sel:WORD_1
	v_mov_b32_e32 v51, v33
	v_pk_mov_b32 v[26:27], v[20:21], v[20:21] op_sel:[0,1]
	s_and_saveexec_b64 s[8:9], s[22:23]
; %bb.285:
	v_mov_b32_e32 v51, v50
	v_mov_b32_e32 v50, v33
	v_pk_mov_b32 v[26:27], v[10:11], v[10:11] op_sel:[0,1]
	v_pk_mov_b32 v[10:11], v[20:21], v[20:21] op_sel:[0,1]
; %bb.286:
	s_or_b64 exec, exec, s[8:9]
	v_lshlrev_b32_e32 v12, 16, v52
	v_add_f32_e32 v13, 0, v12
	s_mov_b32 s8, 0x7f800000
	v_and_b32_e32 v12, 0x7f800000, v13
	v_cmp_ne_u32_e64 s[8:9], s8, v12
                                        ; implicit-def: $vgpr12
	s_and_saveexec_b64 s[22:23], s[8:9]
	s_xor_b64 s[8:9], exec, s[22:23]
; %bb.287:
	v_bfe_u32 v12, v13, 16, 1
	s_movk_i32 s22, 0x7fff
	v_add3_u32 v12, v13, v12, s22
                                        ; implicit-def: $vgpr13
; %bb.288:
	s_andn2_saveexec_b64 s[22:23], s[8:9]
; %bb.289:
	v_mov_b32_e32 v12, 0
	v_or_b32_e32 v18, 0x10000, v13
	v_cmp_eq_u32_sdwa s[8:9], v13, v12 src0_sel:WORD_0 src1_sel:DWORD
	v_cndmask_b32_e64 v12, v18, v13, s[8:9]
; %bb.290:
	s_or_b64 exec, exec, s[22:23]
	v_lshlrev_b32_e32 v13, 16, v49
	v_add_f32_e32 v18, 0, v13
	s_mov_b32 s8, 0x7f800000
	v_and_b32_e32 v13, 0x7f800000, v18
	v_cmp_ne_u32_e64 s[8:9], s8, v13
                                        ; implicit-def: $vgpr13
	s_and_saveexec_b64 s[22:23], s[8:9]
	s_xor_b64 s[8:9], exec, s[22:23]
; %bb.291:
	v_bfe_u32 v13, v18, 16, 1
	s_movk_i32 s22, 0x7fff
	v_add3_u32 v13, v18, v13, s22
                                        ; implicit-def: $vgpr18
; %bb.292:
	s_andn2_saveexec_b64 s[22:23], s[8:9]
; %bb.293:
	v_mov_b32_e32 v13, 0
	v_or_b32_e32 v19, 0x10000, v18
	v_cmp_eq_u32_sdwa s[8:9], v18, v13 src0_sel:WORD_0 src1_sel:DWORD
	v_cndmask_b32_e64 v13, v19, v18, s[8:9]
; %bb.294:
	s_or_b64 exec, exec, s[22:23]
	s_mov_b32 s8, 0x7060302
	v_perm_b32 v18, v13, v12, s8
	v_mov_b32_e32 v19, 0xffff8000
	v_cmp_lt_i32_e64 s[8:9], -1, v12
	v_cndmask_b32_e64 v12, -1, v19, s[8:9]
	v_cmp_lt_i32_e64 s[8:9], -1, v13
	v_cndmask_b32_e64 v13, -1, v19, s[8:9]
	s_mov_b32 s8, 0x5040100
	v_perm_b32 v12, v13, v12, s8
	v_xor_b32_e32 v12, v12, v18
	v_cmp_gt_u16_sdwa s[22:23], v12, v12 src0_sel:DWORD src1_sel:WORD_1
	v_mov_b32_e32 v53, v52
	v_pk_mov_b32 v[28:29], v[8:9], v[8:9] op_sel:[0,1]
	s_and_saveexec_b64 s[8:9], s[22:23]
; %bb.295:
	v_mov_b32_e32 v53, v49
	v_pk_mov_b32 v[28:29], v[14:15], v[14:15] op_sel:[0,1]
	v_pk_mov_b32 v[14:15], v[8:9], v[8:9] op_sel:[0,1]
	v_mov_b32_e32 v49, v52
; %bb.296:
	s_or_b64 exec, exec, s[8:9]
	v_lshlrev_b32_e32 v8, 16, v48
	v_add_f32_e32 v9, 0, v8
	s_mov_b32 s8, 0x7f800000
	v_and_b32_e32 v8, 0x7f800000, v9
	v_cmp_ne_u32_e64 s[8:9], s8, v8
                                        ; implicit-def: $vgpr8
	s_and_saveexec_b64 s[22:23], s[8:9]
	s_xor_b64 s[8:9], exec, s[22:23]
; %bb.297:
	v_bfe_u32 v8, v9, 16, 1
	s_movk_i32 s22, 0x7fff
	v_add3_u32 v8, v9, v8, s22
                                        ; implicit-def: $vgpr9
; %bb.298:
	s_andn2_saveexec_b64 s[22:23], s[8:9]
; %bb.299:
	v_mov_b32_e32 v8, 0
	v_or_b32_e32 v12, 0x10000, v9
	v_cmp_eq_u32_sdwa s[8:9], v9, v8 src0_sel:WORD_0 src1_sel:DWORD
	v_cndmask_b32_e64 v8, v12, v9, s[8:9]
; %bb.300:
	s_or_b64 exec, exec, s[22:23]
	v_lshlrev_b32_e32 v9, 16, v54
	v_add_f32_e32 v12, 0, v9
	s_mov_b32 s8, 0x7f800000
	v_and_b32_e32 v9, 0x7f800000, v12
	v_cmp_ne_u32_e64 s[8:9], s8, v9
                                        ; implicit-def: $vgpr9
	s_and_saveexec_b64 s[22:23], s[8:9]
	s_xor_b64 s[8:9], exec, s[22:23]
; %bb.301:
	v_bfe_u32 v9, v12, 16, 1
	s_movk_i32 s22, 0x7fff
	v_add3_u32 v9, v12, v9, s22
                                        ; implicit-def: $vgpr12
; %bb.302:
	s_andn2_saveexec_b64 s[22:23], s[8:9]
; %bb.303:
	v_mov_b32_e32 v9, 0
	v_or_b32_e32 v13, 0x10000, v12
	v_cmp_eq_u32_sdwa s[8:9], v12, v9 src0_sel:WORD_0 src1_sel:DWORD
	v_cndmask_b32_e64 v9, v13, v12, s[8:9]
; %bb.304:
	s_or_b64 exec, exec, s[22:23]
	s_mov_b32 s8, 0x7060302
	v_perm_b32 v12, v9, v8, s8
	v_mov_b32_e32 v13, 0xffff8000
	v_cmp_lt_i32_e64 s[8:9], -1, v8
	v_cndmask_b32_e64 v8, -1, v13, s[8:9]
	v_cmp_lt_i32_e64 s[8:9], -1, v9
	v_cndmask_b32_e64 v9, -1, v13, s[8:9]
	s_mov_b32 s8, 0x5040100
	v_perm_b32 v8, v9, v8, s8
	v_xor_b32_e32 v8, v8, v12
	v_cmp_gt_u16_sdwa s[22:23], v8, v8 src0_sel:DWORD src1_sel:WORD_1
	v_mov_b32_e32 v52, v54
	v_pk_mov_b32 v[18:19], v[30:31], v[30:31] op_sel:[0,1]
	s_and_saveexec_b64 s[8:9], s[22:23]
; %bb.305:
	v_mov_b32_e32 v52, v48
	v_mov_b32_e32 v48, v54
	v_pk_mov_b32 v[18:19], v[16:17], v[16:17] op_sel:[0,1]
	v_pk_mov_b32 v[16:17], v[30:31], v[30:31] op_sel:[0,1]
; %bb.306:
	s_or_b64 exec, exec, s[8:9]
.LBB2059_307:
	s_or_b64 exec, exec, s[12:13]
	v_and_b32_e32 v8, 0xfffffe00, v32
	s_movk_i32 s8, 0x800
	v_sub_u32_e64 v13, s8, v8 clamp
	v_lshlrev_b32_e32 v12, 1, v8
	v_mad_u64_u32 v[8:9], s[8:9], v8, 6, v[12:13]
	v_lshl_add_u32 v21, v37, 3, v8
	v_add_u32_e32 v30, 0x1010, v21
	ds_write2_b64 v30, v[26:27], v[14:15] offset1:1
	v_add_u32_e32 v30, 0x1020, v21
	s_mov_b32 s26, 0x5040100
	v_lshl_add_u32 v20, v37, 1, v12
	v_add_u32_e32 v9, 0x1000, v21
	ds_write2_b64 v30, v[28:29], v[18:19] offset1:1
	v_perm_b32 v31, v39, v52, s26
	v_perm_b32 v30, v48, v49, s26
	;; [unrolled: 1-line block ×4, first 2 shown]
	ds_write2_b64 v9, v[4:5], v[10:11] offset1:1
	v_add_u32_e32 v54, 0x1030, v21
	ds_write2_b64 v20, v[32:33], v[30:31] offset1:1
	ds_write2_b64 v54, v[16:17], v[22:23] offset1:1
	v_or_b32_e32 v30, 8, v37
	v_min_u32_e32 v30, v13, v30
	v_add_u32_e32 v31, 8, v30
	v_and_b32_e32 v32, 0x3f0, v37
	v_min_u32_e32 v31, v13, v31
	v_and_b32_e32 v33, 8, v37
	v_min_u32_e32 v55, v13, v33
	v_sub_u32_e32 v54, v30, v32
	v_sub_u32_e32 v64, v31, v30
	v_sub_u32_e64 v64, v55, v64 clamp
	v_min_u32_e32 v54, v55, v54
	v_lshl_add_u32 v33, v32, 1, v12
	v_cmp_lt_u32_e64 s[8:9], v64, v54
	; wave barrier
	s_and_saveexec_b64 s[12:13], s[8:9]
	s_cbranch_execz .LBB2059_326
; %bb.308:
	v_lshlrev_b32_e32 v65, 1, v30
	v_lshlrev_b32_e32 v66, 1, v55
	v_add3_u32 v65, v12, v65, v66
	s_mov_b64 s[22:23], 0
	s_mov_b32 s27, 0x7f800000
	s_movk_i32 s28, 0x7fff
	s_mov_b32 s29, 0x7060302
	v_mov_b32_e32 v66, 0
	v_mov_b32_e32 v67, 0xffff8000
	s_branch .LBB2059_310
.LBB2059_309:                           ;   in Loop: Header=BB2059_310 Depth=1
	s_or_b64 exec, exec, s[24:25]
	v_cmp_lt_i32_e64 s[8:9], -1, v69
	v_perm_b32 v71, v70, v69, s29
	v_cndmask_b32_e64 v69, -1, v67, s[8:9]
	v_cmp_lt_i32_e64 s[8:9], -1, v70
	v_cndmask_b32_e64 v70, -1, v67, s[8:9]
	v_perm_b32 v69, v70, v69, s26
	v_xor_b32_e32 v69, v69, v71
	v_add_u32_e32 v70, 1, v68
	v_cmp_gt_u16_sdwa s[8:9], v69, v69 src0_sel:DWORD src1_sel:WORD_1
	v_cndmask_b32_e64 v54, v54, v68, s[8:9]
	v_cndmask_b32_e64 v64, v70, v64, s[8:9]
	v_cmp_ge_u32_e64 s[8:9], v64, v54
	s_or_b64 s[22:23], s[8:9], s[22:23]
	s_andn2_b64 exec, exec, s[22:23]
	s_cbranch_execz .LBB2059_325
.LBB2059_310:                           ; =>This Inner Loop Header: Depth=1
	v_add_u32_e32 v68, v54, v64
	v_and_b32_e32 v69, -2, v68
	v_add_u32_e32 v69, v33, v69
	ds_read_u16 v69, v69
	v_lshrrev_b32_e32 v68, 1, v68
	v_not_b32_e32 v70, v68
	v_lshl_add_u32 v70, v70, 1, v65
	ds_read_u16 v70, v70
	s_waitcnt lgkmcnt(1)
	v_lshlrev_b32_e32 v69, 16, v69
	v_add_f32_e32 v71, 0, v69
	v_and_b32_e32 v69, 0x7f800000, v71
	v_cmp_ne_u32_e64 s[8:9], s27, v69
                                        ; implicit-def: $vgpr69
	s_and_saveexec_b64 s[24:25], s[8:9]
	s_xor_b64 s[8:9], exec, s[24:25]
; %bb.311:                              ;   in Loop: Header=BB2059_310 Depth=1
	v_bfe_u32 v69, v71, 16, 1
	v_add3_u32 v69, v71, v69, s28
                                        ; implicit-def: $vgpr71
; %bb.312:                              ;   in Loop: Header=BB2059_310 Depth=1
	s_andn2_saveexec_b64 s[24:25], s[8:9]
; %bb.313:                              ;   in Loop: Header=BB2059_310 Depth=1
	v_or_b32_e32 v69, 0x10000, v71
	v_cmp_eq_u32_sdwa s[8:9], v71, v66 src0_sel:WORD_0 src1_sel:DWORD
	v_cndmask_b32_e64 v69, v69, v71, s[8:9]
; %bb.314:                              ;   in Loop: Header=BB2059_310 Depth=1
	s_or_b64 exec, exec, s[24:25]
	s_waitcnt lgkmcnt(0)
	v_lshlrev_b32_e32 v70, 16, v70
	v_add_f32_e32 v71, 0, v70
	v_and_b32_e32 v70, 0x7f800000, v71
	v_cmp_ne_u32_e64 s[8:9], s27, v70
                                        ; implicit-def: $vgpr70
	s_and_saveexec_b64 s[24:25], s[8:9]
	s_xor_b64 s[8:9], exec, s[24:25]
; %bb.315:                              ;   in Loop: Header=BB2059_310 Depth=1
	v_bfe_u32 v70, v71, 16, 1
	v_add3_u32 v70, v71, v70, s28
                                        ; implicit-def: $vgpr71
; %bb.316:                              ;   in Loop: Header=BB2059_310 Depth=1
	s_andn2_saveexec_b64 s[24:25], s[8:9]
	s_cbranch_execz .LBB2059_309
; %bb.317:                              ;   in Loop: Header=BB2059_310 Depth=1
	v_or_b32_e32 v70, 0x10000, v71
	v_cmp_eq_u32_sdwa s[8:9], v71, v66 src0_sel:WORD_0 src1_sel:DWORD
	v_cndmask_b32_e64 v70, v70, v71, s[8:9]
	s_branch .LBB2059_309
.LBB2059_318:
	flat_load_dwordx2 v[4:5], v[32:33]
	s_or_b64 exec, exec, s[22:23]
	s_and_saveexec_b64 s[22:23], s[4:5]
                                        ; implicit-def: $vgpr8_vgpr9_vgpr10_vgpr11
	s_cbranch_execz .LBB2059_18
.LBB2059_319:
	flat_load_dwordx2 v[10:11], v[32:33] offset:8
	s_or_b64 exec, exec, s[22:23]
                                        ; implicit-def: $vgpr26_vgpr27
	s_and_saveexec_b64 s[22:23], s[6:7]
	s_cbranch_execz .LBB2059_19
.LBB2059_320:
	flat_load_dwordx2 v[26:27], v[32:33] offset:16
	s_or_b64 exec, exec, s[22:23]
	s_and_saveexec_b64 s[22:23], s[18:19]
                                        ; implicit-def: $vgpr12_vgpr13_vgpr14_vgpr15
	s_cbranch_execz .LBB2059_20
.LBB2059_321:
	flat_load_dwordx2 v[14:15], v[32:33] offset:24
	s_or_b64 exec, exec, s[22:23]
                                        ; implicit-def: $vgpr28_vgpr29
	s_and_saveexec_b64 s[22:23], s[10:11]
	s_cbranch_execz .LBB2059_21
.LBB2059_322:
	flat_load_dwordx2 v[28:29], v[32:33] offset:32
	s_or_b64 exec, exec, s[22:23]
	s_and_saveexec_b64 s[22:23], s[20:21]
                                        ; implicit-def: $vgpr16_vgpr17_vgpr18_vgpr19
	s_cbranch_execz .LBB2059_22
.LBB2059_323:
	flat_load_dwordx2 v[18:19], v[32:33] offset:40
	s_or_b64 exec, exec, s[22:23]
                                        ; implicit-def: $vgpr16_vgpr17
	s_and_saveexec_b64 s[22:23], s[14:15]
	s_cbranch_execz .LBB2059_23
.LBB2059_324:
	flat_load_dwordx2 v[16:17], v[32:33] offset:48
	s_or_b64 exec, exec, s[22:23]
	s_and_saveexec_b64 s[22:23], s[16:17]
                                        ; implicit-def: $vgpr20_vgpr21_vgpr22_vgpr23
	s_cbranch_execnz .LBB2059_24
	s_branch .LBB2059_25
.LBB2059_325:
	s_or_b64 exec, exec, s[22:23]
.LBB2059_326:
	s_or_b64 exec, exec, s[12:13]
	v_add_u32_e32 v54, v64, v32
	v_add_u32_e32 v32, v30, v55
	v_sub_u32_e32 v55, v32, v64
	v_cmp_le_u32_e64 s[8:9], v54, v30
	v_cmp_le_u32_e64 s[12:13], v55, v31
	s_or_b64 s[8:9], s[8:9], s[12:13]
	s_and_saveexec_b64 s[22:23], s[8:9]
	s_cbranch_execz .LBB2059_426
; %bb.327:
	v_cmp_ge_u32_e64 s[8:9], v54, v30
	v_cmp_lt_u32_e64 s[12:13], v54, v30
                                        ; implicit-def: $vgpr32
	s_and_saveexec_b64 s[24:25], s[12:13]
	s_cbranch_execz .LBB2059_329
; %bb.328:
	v_lshl_add_u32 v4, v64, 1, v33
	ds_read_u16 v32, v4
.LBB2059_329:
	s_or_b64 exec, exec, s[24:25]
	v_cmp_ge_u32_e64 s[24:25], v55, v31
	v_cmp_lt_u32_e64 s[12:13], v55, v31
                                        ; implicit-def: $vgpr33
	s_and_saveexec_b64 s[26:27], s[12:13]
	s_cbranch_execz .LBB2059_331
; %bb.330:
	v_lshl_add_u32 v4, v55, 1, v12
	ds_read_u16 v33, v4
.LBB2059_331:
	s_or_b64 exec, exec, s[26:27]
	s_or_b64 s[8:9], s[8:9], s[24:25]
	s_xor_b64 s[8:9], s[8:9], -1
	s_and_saveexec_b64 s[12:13], s[8:9]
	s_cbranch_execz .LBB2059_341
; %bb.332:
	s_waitcnt lgkmcnt(0)
	v_lshlrev_b32_e32 v4, 16, v32
	v_add_f32_e32 v5, 0, v4
	s_mov_b32 s8, 0x7f800000
	v_and_b32_e32 v4, 0x7f800000, v5
	v_cmp_ne_u32_e64 s[8:9], s8, v4
                                        ; implicit-def: $vgpr4
	s_and_saveexec_b64 s[26:27], s[8:9]
	s_xor_b64 s[8:9], exec, s[26:27]
; %bb.333:
	v_bfe_u32 v4, v5, 16, 1
	s_movk_i32 s26, 0x7fff
	v_add3_u32 v4, v5, v4, s26
                                        ; implicit-def: $vgpr5
; %bb.334:
	s_andn2_saveexec_b64 s[26:27], s[8:9]
; %bb.335:
	v_mov_b32_e32 v4, 0
	v_or_b32_e32 v10, 0x10000, v5
	v_cmp_eq_u32_sdwa s[8:9], v5, v4 src0_sel:WORD_0 src1_sel:DWORD
	v_cndmask_b32_e64 v4, v10, v5, s[8:9]
; %bb.336:
	s_or_b64 exec, exec, s[26:27]
	v_lshlrev_b32_e32 v5, 16, v33
	v_add_f32_e32 v10, 0, v5
	s_mov_b32 s8, 0x7f800000
	v_and_b32_e32 v5, 0x7f800000, v10
	v_cmp_ne_u32_e64 s[8:9], s8, v5
                                        ; implicit-def: $vgpr5
	s_and_saveexec_b64 s[26:27], s[8:9]
	s_xor_b64 s[8:9], exec, s[26:27]
; %bb.337:
	v_bfe_u32 v5, v10, 16, 1
	s_movk_i32 s26, 0x7fff
	v_add3_u32 v5, v10, v5, s26
                                        ; implicit-def: $vgpr10
; %bb.338:
	s_andn2_saveexec_b64 s[26:27], s[8:9]
; %bb.339:
	v_mov_b32_e32 v5, 0
	v_or_b32_e32 v11, 0x10000, v10
	v_cmp_eq_u32_sdwa s[8:9], v10, v5 src0_sel:WORD_0 src1_sel:DWORD
	v_cndmask_b32_e64 v5, v11, v10, s[8:9]
; %bb.340:
	s_or_b64 exec, exec, s[26:27]
	s_mov_b32 s8, 0x7060302
	v_perm_b32 v10, v5, v4, s8
	v_mov_b32_e32 v11, 0xffff8000
	v_cmp_lt_i32_e64 s[8:9], -1, v4
	v_cndmask_b32_e64 v4, -1, v11, s[8:9]
	v_cmp_lt_i32_e64 s[8:9], -1, v5
	v_cndmask_b32_e64 v5, -1, v11, s[8:9]
	s_mov_b32 s8, 0x5040100
	v_perm_b32 v4, v5, v4, s8
	v_xor_b32_e32 v4, v4, v10
	v_cmp_le_u16_sdwa s[8:9], v4, v4 src0_sel:DWORD src1_sel:WORD_1
	s_andn2_b64 s[24:25], s[24:25], exec
	s_and_b64 s[8:9], s[8:9], exec
	s_or_b64 s[24:25], s[24:25], s[8:9]
.LBB2059_341:
	s_or_b64 exec, exec, s[12:13]
	v_cndmask_b32_e64 v4, v55, v54, s[24:25]
	v_cndmask_b32_e64 v5, v31, v30, s[24:25]
	v_add_u32_e32 v10, 1, v4
	v_add_u32_e32 v5, -1, v5
	v_min_u32_e32 v5, v10, v5
	v_lshl_add_u32 v5, v5, 1, v12
	ds_read_u16 v11, v5
	v_lshl_add_u32 v4, v4, 3, v8
	ds_read_b64 v[4:5], v4 offset:4096
	v_cndmask_b32_e64 v14, v10, v55, s[24:25]
	v_cndmask_b32_e64 v15, v54, v10, s[24:25]
	s_waitcnt lgkmcnt(1)
	v_cndmask_b32_e64 v38, v11, v33, s[24:25]
	v_cndmask_b32_e64 v39, v32, v11, s[24:25]
	v_cmp_lt_u32_e64 s[8:9], v14, v31
	s_mov_b64 s[26:27], -1
	s_mov_b64 s[12:13], -1
	s_and_saveexec_b64 s[28:29], s[8:9]
	s_cbranch_execz .LBB2059_353
; %bb.342:
	v_cmp_lt_u32_e64 s[8:9], v15, v30
	s_mov_b64 s[30:31], 0
	s_and_saveexec_b64 s[12:13], s[8:9]
	s_cbranch_execz .LBB2059_352
; %bb.343:
	v_lshlrev_b32_e32 v10, 16, v39
	v_add_f32_e32 v11, 0, v10
	s_mov_b32 s8, 0x7f800000
	v_and_b32_e32 v10, 0x7f800000, v11
	v_cmp_ne_u32_e64 s[8:9], s8, v10
                                        ; implicit-def: $vgpr10
	s_and_saveexec_b64 s[30:31], s[8:9]
	s_xor_b64 s[8:9], exec, s[30:31]
; %bb.344:
	v_bfe_u32 v10, v11, 16, 1
	s_movk_i32 s30, 0x7fff
	v_add3_u32 v10, v11, v10, s30
                                        ; implicit-def: $vgpr11
; %bb.345:
	s_andn2_saveexec_b64 s[30:31], s[8:9]
; %bb.346:
	v_mov_b32_e32 v10, 0
	v_or_b32_e32 v16, 0x10000, v11
	v_cmp_eq_u32_sdwa s[8:9], v11, v10 src0_sel:WORD_0 src1_sel:DWORD
	v_cndmask_b32_e64 v10, v16, v11, s[8:9]
; %bb.347:
	s_or_b64 exec, exec, s[30:31]
	v_lshlrev_b32_e32 v11, 16, v38
	v_add_f32_e32 v16, 0, v11
	s_mov_b32 s8, 0x7f800000
	v_and_b32_e32 v11, 0x7f800000, v16
	v_cmp_ne_u32_e64 s[8:9], s8, v11
                                        ; implicit-def: $vgpr11
	s_and_saveexec_b64 s[30:31], s[8:9]
	s_xor_b64 s[8:9], exec, s[30:31]
; %bb.348:
	v_bfe_u32 v11, v16, 16, 1
	s_movk_i32 s30, 0x7fff
	v_add3_u32 v11, v16, v11, s30
                                        ; implicit-def: $vgpr16
; %bb.349:
	s_andn2_saveexec_b64 s[30:31], s[8:9]
; %bb.350:
	v_mov_b32_e32 v11, 0
	v_or_b32_e32 v17, 0x10000, v16
	v_cmp_eq_u32_sdwa s[8:9], v16, v11 src0_sel:WORD_0 src1_sel:DWORD
	v_cndmask_b32_e64 v11, v17, v16, s[8:9]
; %bb.351:
	s_or_b64 exec, exec, s[30:31]
	s_mov_b32 s8, 0x7060302
	v_perm_b32 v16, v11, v10, s8
	v_mov_b32_e32 v17, 0xffff8000
	v_cmp_lt_i32_e64 s[8:9], -1, v10
	v_cndmask_b32_e64 v10, -1, v17, s[8:9]
	v_cmp_lt_i32_e64 s[8:9], -1, v11
	v_cndmask_b32_e64 v11, -1, v17, s[8:9]
	s_mov_b32 s8, 0x5040100
	v_perm_b32 v10, v11, v10, s8
	v_xor_b32_e32 v10, v10, v16
	v_cmp_le_u16_sdwa s[8:9], v10, v10 src0_sel:DWORD src1_sel:WORD_1
	s_and_b64 s[30:31], s[8:9], exec
.LBB2059_352:
	s_or_b64 exec, exec, s[12:13]
	s_orn2_b64 s[12:13], s[30:31], exec
.LBB2059_353:
	s_or_b64 exec, exec, s[28:29]
	v_cndmask_b32_e64 v10, v14, v15, s[12:13]
	v_cndmask_b32_e64 v11, v31, v30, s[12:13]
	v_add_u32_e32 v16, 1, v10
	v_add_u32_e32 v11, -1, v11
	v_min_u32_e32 v11, v16, v11
	v_lshl_add_u32 v11, v11, 1, v12
	ds_read_u16 v17, v11
	v_lshl_add_u32 v10, v10, 3, v8
	ds_read_b64 v[10:11], v10 offset:4096
	v_cndmask_b32_e64 v14, v16, v14, s[12:13]
	v_cndmask_b32_e64 v15, v15, v16, s[12:13]
	s_waitcnt lgkmcnt(1)
	v_cndmask_b32_e64 v50, v17, v38, s[12:13]
	v_cndmask_b32_e64 v51, v39, v17, s[12:13]
	v_cmp_lt_u32_e64 s[8:9], v14, v31
	s_and_saveexec_b64 s[28:29], s[8:9]
	s_cbranch_execz .LBB2059_365
; %bb.354:
	v_cmp_lt_u32_e64 s[8:9], v15, v30
	s_mov_b64 s[30:31], 0
	s_and_saveexec_b64 s[26:27], s[8:9]
	s_cbranch_execz .LBB2059_364
; %bb.355:
	v_lshlrev_b32_e32 v16, 16, v51
	v_add_f32_e32 v17, 0, v16
	s_mov_b32 s8, 0x7f800000
	v_and_b32_e32 v16, 0x7f800000, v17
	v_cmp_ne_u32_e64 s[8:9], s8, v16
                                        ; implicit-def: $vgpr16
	s_and_saveexec_b64 s[30:31], s[8:9]
	s_xor_b64 s[8:9], exec, s[30:31]
; %bb.356:
	v_bfe_u32 v16, v17, 16, 1
	s_movk_i32 s30, 0x7fff
	v_add3_u32 v16, v17, v16, s30
                                        ; implicit-def: $vgpr17
; %bb.357:
	s_andn2_saveexec_b64 s[30:31], s[8:9]
; %bb.358:
	v_mov_b32_e32 v16, 0
	v_or_b32_e32 v18, 0x10000, v17
	v_cmp_eq_u32_sdwa s[8:9], v17, v16 src0_sel:WORD_0 src1_sel:DWORD
	v_cndmask_b32_e64 v16, v18, v17, s[8:9]
; %bb.359:
	s_or_b64 exec, exec, s[30:31]
	v_lshlrev_b32_e32 v17, 16, v50
	v_add_f32_e32 v18, 0, v17
	s_mov_b32 s8, 0x7f800000
	v_and_b32_e32 v17, 0x7f800000, v18
	v_cmp_ne_u32_e64 s[8:9], s8, v17
                                        ; implicit-def: $vgpr17
	s_and_saveexec_b64 s[30:31], s[8:9]
	s_xor_b64 s[8:9], exec, s[30:31]
; %bb.360:
	v_bfe_u32 v17, v18, 16, 1
	s_movk_i32 s30, 0x7fff
	v_add3_u32 v17, v18, v17, s30
                                        ; implicit-def: $vgpr18
; %bb.361:
	s_andn2_saveexec_b64 s[30:31], s[8:9]
; %bb.362:
	v_mov_b32_e32 v17, 0
	v_or_b32_e32 v19, 0x10000, v18
	v_cmp_eq_u32_sdwa s[8:9], v18, v17 src0_sel:WORD_0 src1_sel:DWORD
	v_cndmask_b32_e64 v17, v19, v18, s[8:9]
; %bb.363:
	s_or_b64 exec, exec, s[30:31]
	s_mov_b32 s8, 0x7060302
	v_perm_b32 v18, v17, v16, s8
	v_mov_b32_e32 v19, 0xffff8000
	v_cmp_lt_i32_e64 s[8:9], -1, v16
	v_cndmask_b32_e64 v16, -1, v19, s[8:9]
	v_cmp_lt_i32_e64 s[8:9], -1, v17
	v_cndmask_b32_e64 v17, -1, v19, s[8:9]
	s_mov_b32 s8, 0x5040100
	v_perm_b32 v16, v17, v16, s8
	v_xor_b32_e32 v16, v16, v18
	v_cmp_le_u16_sdwa s[8:9], v16, v16 src0_sel:DWORD src1_sel:WORD_1
	s_and_b64 s[30:31], s[8:9], exec
.LBB2059_364:
	s_or_b64 exec, exec, s[26:27]
	s_orn2_b64 s[26:27], s[30:31], exec
.LBB2059_365:
	s_or_b64 exec, exec, s[28:29]
	v_cndmask_b32_e64 v16, v14, v15, s[26:27]
	v_cndmask_b32_e64 v17, v31, v30, s[26:27]
	v_add_u32_e32 v18, 1, v16
	v_add_u32_e32 v17, -1, v17
	v_min_u32_e32 v17, v18, v17
	v_lshl_add_u32 v17, v17, 1, v12
	ds_read_u16 v17, v17
	v_lshl_add_u32 v16, v16, 3, v8
	ds_read_b64 v[26:27], v16 offset:4096
	v_cndmask_b32_e64 v16, v18, v14, s[26:27]
	v_cmp_lt_u32_e64 s[8:9], v16, v31
	s_waitcnt lgkmcnt(1)
	v_cndmask_b32_e64 v22, v17, v50, s[26:27]
	v_cndmask_b32_e64 v23, v51, v17, s[26:27]
	;; [unrolled: 1-line block ×3, first 2 shown]
	s_mov_b64 s[30:31], -1
	s_mov_b64 s[28:29], -1
	s_and_saveexec_b64 s[34:35], s[8:9]
	s_cbranch_execz .LBB2059_377
; %bb.366:
	v_cmp_lt_u32_e64 s[8:9], v17, v30
	s_mov_b64 s[36:37], 0
	s_and_saveexec_b64 s[28:29], s[8:9]
	s_cbranch_execz .LBB2059_376
; %bb.367:
	v_lshlrev_b32_e32 v14, 16, v23
	v_add_f32_e32 v15, 0, v14
	s_mov_b32 s8, 0x7f800000
	v_and_b32_e32 v14, 0x7f800000, v15
	v_cmp_ne_u32_e64 s[8:9], s8, v14
                                        ; implicit-def: $vgpr14
	s_and_saveexec_b64 s[36:37], s[8:9]
	s_xor_b64 s[8:9], exec, s[36:37]
; %bb.368:
	v_bfe_u32 v14, v15, 16, 1
	s_movk_i32 s36, 0x7fff
	v_add3_u32 v14, v15, v14, s36
                                        ; implicit-def: $vgpr15
; %bb.369:
	s_andn2_saveexec_b64 s[36:37], s[8:9]
; %bb.370:
	v_mov_b32_e32 v14, 0
	v_or_b32_e32 v18, 0x10000, v15
	v_cmp_eq_u32_sdwa s[8:9], v15, v14 src0_sel:WORD_0 src1_sel:DWORD
	v_cndmask_b32_e64 v14, v18, v15, s[8:9]
; %bb.371:
	s_or_b64 exec, exec, s[36:37]
	v_lshlrev_b32_e32 v15, 16, v22
	v_add_f32_e32 v18, 0, v15
	s_mov_b32 s8, 0x7f800000
	v_and_b32_e32 v15, 0x7f800000, v18
	v_cmp_ne_u32_e64 s[8:9], s8, v15
                                        ; implicit-def: $vgpr15
	s_and_saveexec_b64 s[36:37], s[8:9]
	s_xor_b64 s[8:9], exec, s[36:37]
; %bb.372:
	v_bfe_u32 v15, v18, 16, 1
	s_movk_i32 s36, 0x7fff
	v_add3_u32 v15, v18, v15, s36
                                        ; implicit-def: $vgpr18
; %bb.373:
	s_andn2_saveexec_b64 s[36:37], s[8:9]
; %bb.374:
	v_mov_b32_e32 v15, 0
	v_or_b32_e32 v19, 0x10000, v18
	v_cmp_eq_u32_sdwa s[8:9], v18, v15 src0_sel:WORD_0 src1_sel:DWORD
	v_cndmask_b32_e64 v15, v19, v18, s[8:9]
; %bb.375:
	s_or_b64 exec, exec, s[36:37]
	s_mov_b32 s8, 0x7060302
	v_perm_b32 v18, v15, v14, s8
	v_mov_b32_e32 v19, 0xffff8000
	v_cmp_lt_i32_e64 s[8:9], -1, v14
	v_cndmask_b32_e64 v14, -1, v19, s[8:9]
	v_cmp_lt_i32_e64 s[8:9], -1, v15
	v_cndmask_b32_e64 v15, -1, v19, s[8:9]
	s_mov_b32 s8, 0x5040100
	v_perm_b32 v14, v15, v14, s8
	v_xor_b32_e32 v14, v14, v18
	v_cmp_le_u16_sdwa s[8:9], v14, v14 src0_sel:DWORD src1_sel:WORD_1
	s_and_b64 s[36:37], s[8:9], exec
.LBB2059_376:
	s_or_b64 exec, exec, s[28:29]
	s_orn2_b64 s[28:29], s[36:37], exec
.LBB2059_377:
	s_or_b64 exec, exec, s[34:35]
	v_cndmask_b32_e64 v14, v16, v17, s[28:29]
	v_cndmask_b32_e64 v15, v31, v30, s[28:29]
	v_add_u32_e32 v18, 1, v14
	v_add_u32_e32 v15, -1, v15
	v_min_u32_e32 v15, v18, v15
	v_lshl_add_u32 v15, v15, 1, v12
	ds_read_u16 v19, v15
	v_lshl_add_u32 v14, v14, 3, v8
	ds_read_b64 v[14:15], v14 offset:4096
	v_cndmask_b32_e64 v16, v18, v16, s[28:29]
	v_cndmask_b32_e64 v17, v17, v18, s[28:29]
	s_waitcnt lgkmcnt(1)
	v_cndmask_b32_e64 v49, v19, v22, s[28:29]
	v_cndmask_b32_e64 v53, v23, v19, s[28:29]
	v_cmp_lt_u32_e64 s[8:9], v16, v31
	s_and_saveexec_b64 s[34:35], s[8:9]
	s_cbranch_execz .LBB2059_389
; %bb.378:
	v_cmp_lt_u32_e64 s[8:9], v17, v30
	s_mov_b64 s[36:37], 0
	s_and_saveexec_b64 s[30:31], s[8:9]
	s_cbranch_execz .LBB2059_388
; %bb.379:
	v_lshlrev_b32_e32 v18, 16, v53
	v_add_f32_e32 v19, 0, v18
	s_mov_b32 s8, 0x7f800000
	v_and_b32_e32 v18, 0x7f800000, v19
	v_cmp_ne_u32_e64 s[8:9], s8, v18
                                        ; implicit-def: $vgpr18
	s_and_saveexec_b64 s[36:37], s[8:9]
	s_xor_b64 s[8:9], exec, s[36:37]
; %bb.380:
	v_bfe_u32 v18, v19, 16, 1
	s_movk_i32 s36, 0x7fff
	v_add3_u32 v18, v19, v18, s36
                                        ; implicit-def: $vgpr19
; %bb.381:
	s_andn2_saveexec_b64 s[36:37], s[8:9]
; %bb.382:
	v_mov_b32_e32 v18, 0
	v_or_b32_e32 v28, 0x10000, v19
	v_cmp_eq_u32_sdwa s[8:9], v19, v18 src0_sel:WORD_0 src1_sel:DWORD
	v_cndmask_b32_e64 v18, v28, v19, s[8:9]
; %bb.383:
	s_or_b64 exec, exec, s[36:37]
	v_lshlrev_b32_e32 v19, 16, v49
	v_add_f32_e32 v28, 0, v19
	s_mov_b32 s8, 0x7f800000
	v_and_b32_e32 v19, 0x7f800000, v28
	v_cmp_ne_u32_e64 s[8:9], s8, v19
                                        ; implicit-def: $vgpr19
	s_and_saveexec_b64 s[36:37], s[8:9]
	s_xor_b64 s[8:9], exec, s[36:37]
; %bb.384:
	v_bfe_u32 v19, v28, 16, 1
	s_movk_i32 s36, 0x7fff
	v_add3_u32 v19, v28, v19, s36
                                        ; implicit-def: $vgpr28
; %bb.385:
	s_andn2_saveexec_b64 s[36:37], s[8:9]
; %bb.386:
	v_mov_b32_e32 v19, 0
	v_or_b32_e32 v29, 0x10000, v28
	v_cmp_eq_u32_sdwa s[8:9], v28, v19 src0_sel:WORD_0 src1_sel:DWORD
	v_cndmask_b32_e64 v19, v29, v28, s[8:9]
; %bb.387:
	s_or_b64 exec, exec, s[36:37]
	s_mov_b32 s8, 0x7060302
	v_perm_b32 v28, v19, v18, s8
	v_mov_b32_e32 v29, 0xffff8000
	v_cmp_lt_i32_e64 s[8:9], -1, v18
	v_cndmask_b32_e64 v18, -1, v29, s[8:9]
	v_cmp_lt_i32_e64 s[8:9], -1, v19
	v_cndmask_b32_e64 v19, -1, v29, s[8:9]
	s_mov_b32 s8, 0x5040100
	v_perm_b32 v18, v19, v18, s8
	v_xor_b32_e32 v18, v18, v28
	v_cmp_le_u16_sdwa s[8:9], v18, v18 src0_sel:DWORD src1_sel:WORD_1
	s_and_b64 s[36:37], s[8:9], exec
.LBB2059_388:
	s_or_b64 exec, exec, s[30:31]
	s_orn2_b64 s[30:31], s[36:37], exec
.LBB2059_389:
	s_or_b64 exec, exec, s[34:35]
	v_cndmask_b32_e64 v18, v16, v17, s[30:31]
	v_cndmask_b32_e64 v19, v31, v30, s[30:31]
	v_add_u32_e32 v52, 1, v18
	v_add_u32_e32 v19, -1, v19
	v_min_u32_e32 v19, v52, v19
	v_lshl_add_u32 v19, v19, 1, v12
	ds_read_u16 v19, v19
	v_lshl_add_u32 v18, v18, 3, v8
	ds_read_b64 v[28:29], v18 offset:4096
	v_cndmask_b32_e64 v16, v52, v16, s[30:31]
	v_cndmask_b32_e64 v17, v17, v52, s[30:31]
	s_waitcnt lgkmcnt(1)
	v_cndmask_b32_e64 v48, v19, v49, s[30:31]
	v_cndmask_b32_e64 v54, v53, v19, s[30:31]
	v_cmp_lt_u32_e64 s[8:9], v16, v31
	s_mov_b64 s[36:37], -1
	s_mov_b64 s[34:35], -1
	s_and_saveexec_b64 s[38:39], s[8:9]
	s_cbranch_execz .LBB2059_401
; %bb.390:
	v_cmp_lt_u32_e64 s[8:9], v17, v30
	s_mov_b64 s[40:41], 0
	s_and_saveexec_b64 s[34:35], s[8:9]
	s_cbranch_execz .LBB2059_400
; %bb.391:
	v_lshlrev_b32_e32 v18, 16, v54
	v_add_f32_e32 v19, 0, v18
	s_mov_b32 s8, 0x7f800000
	v_and_b32_e32 v18, 0x7f800000, v19
	v_cmp_ne_u32_e64 s[8:9], s8, v18
                                        ; implicit-def: $vgpr18
	s_and_saveexec_b64 s[40:41], s[8:9]
	s_xor_b64 s[8:9], exec, s[40:41]
; %bb.392:
	v_bfe_u32 v18, v19, 16, 1
	s_movk_i32 s40, 0x7fff
	v_add3_u32 v18, v19, v18, s40
                                        ; implicit-def: $vgpr19
; %bb.393:
	s_andn2_saveexec_b64 s[40:41], s[8:9]
; %bb.394:
	v_mov_b32_e32 v18, 0
	v_or_b32_e32 v52, 0x10000, v19
	v_cmp_eq_u32_sdwa s[8:9], v19, v18 src0_sel:WORD_0 src1_sel:DWORD
	v_cndmask_b32_e64 v18, v52, v19, s[8:9]
; %bb.395:
	s_or_b64 exec, exec, s[40:41]
	v_lshlrev_b32_e32 v19, 16, v48
	v_add_f32_e32 v52, 0, v19
	s_mov_b32 s8, 0x7f800000
	v_and_b32_e32 v19, 0x7f800000, v52
	v_cmp_ne_u32_e64 s[8:9], s8, v19
                                        ; implicit-def: $vgpr19
	s_and_saveexec_b64 s[40:41], s[8:9]
	s_xor_b64 s[8:9], exec, s[40:41]
; %bb.396:
	v_bfe_u32 v19, v52, 16, 1
	s_movk_i32 s40, 0x7fff
	v_add3_u32 v19, v52, v19, s40
                                        ; implicit-def: $vgpr52
; %bb.397:
	s_andn2_saveexec_b64 s[40:41], s[8:9]
; %bb.398:
	v_mov_b32_e32 v19, 0
	v_or_b32_e32 v55, 0x10000, v52
	v_cmp_eq_u32_sdwa s[8:9], v52, v19 src0_sel:WORD_0 src1_sel:DWORD
	v_cndmask_b32_e64 v19, v55, v52, s[8:9]
; %bb.399:
	s_or_b64 exec, exec, s[40:41]
	s_mov_b32 s8, 0x7060302
	v_perm_b32 v52, v19, v18, s8
	v_mov_b32_e32 v55, 0xffff8000
	v_cmp_lt_i32_e64 s[8:9], -1, v18
	v_cndmask_b32_e64 v18, -1, v55, s[8:9]
	v_cmp_lt_i32_e64 s[8:9], -1, v19
	v_cndmask_b32_e64 v19, -1, v55, s[8:9]
	s_mov_b32 s8, 0x5040100
	v_perm_b32 v18, v19, v18, s8
	v_xor_b32_e32 v18, v18, v52
	v_cmp_le_u16_sdwa s[8:9], v18, v18 src0_sel:DWORD src1_sel:WORD_1
	s_and_b64 s[40:41], s[8:9], exec
.LBB2059_400:
	s_or_b64 exec, exec, s[34:35]
	s_orn2_b64 s[34:35], s[40:41], exec
.LBB2059_401:
	s_or_b64 exec, exec, s[38:39]
	v_cndmask_b32_e64 v18, v16, v17, s[34:35]
	v_cndmask_b32_e64 v19, v31, v30, s[34:35]
	v_add_u32_e32 v64, 1, v18
	v_add_u32_e32 v19, -1, v19
	v_min_u32_e32 v19, v64, v19
	v_lshl_add_u32 v19, v19, 1, v12
	ds_read_u16 v55, v19
	v_lshl_add_u32 v18, v18, 3, v8
	ds_read_b64 v[18:19], v18 offset:4096
	v_cndmask_b32_e64 v66, v64, v16, s[34:35]
	v_cndmask_b32_e64 v67, v17, v64, s[34:35]
	s_waitcnt lgkmcnt(1)
	v_cndmask_b32_e64 v52, v55, v48, s[34:35]
	v_cndmask_b32_e64 v55, v54, v55, s[34:35]
	v_cmp_lt_u32_e64 s[8:9], v66, v31
	s_and_saveexec_b64 s[38:39], s[8:9]
	s_cbranch_execz .LBB2059_413
; %bb.402:
	v_cmp_lt_u32_e64 s[8:9], v67, v30
	s_mov_b64 s[40:41], 0
	s_and_saveexec_b64 s[36:37], s[8:9]
	s_cbranch_execz .LBB2059_412
; %bb.403:
	v_lshlrev_b32_e32 v16, 16, v55
	v_add_f32_e32 v17, 0, v16
	s_mov_b32 s8, 0x7f800000
	v_and_b32_e32 v16, 0x7f800000, v17
	v_cmp_ne_u32_e64 s[8:9], s8, v16
                                        ; implicit-def: $vgpr16
	s_and_saveexec_b64 s[40:41], s[8:9]
	s_xor_b64 s[8:9], exec, s[40:41]
; %bb.404:
	v_bfe_u32 v16, v17, 16, 1
	s_movk_i32 s40, 0x7fff
	v_add3_u32 v16, v17, v16, s40
                                        ; implicit-def: $vgpr17
; %bb.405:
	s_andn2_saveexec_b64 s[40:41], s[8:9]
; %bb.406:
	v_mov_b32_e32 v16, 0
	v_or_b32_e32 v64, 0x10000, v17
	v_cmp_eq_u32_sdwa s[8:9], v17, v16 src0_sel:WORD_0 src1_sel:DWORD
	v_cndmask_b32_e64 v16, v64, v17, s[8:9]
; %bb.407:
	s_or_b64 exec, exec, s[40:41]
	v_lshlrev_b32_e32 v17, 16, v52
	v_add_f32_e32 v64, 0, v17
	s_mov_b32 s8, 0x7f800000
	v_and_b32_e32 v17, 0x7f800000, v64
	v_cmp_ne_u32_e64 s[8:9], s8, v17
                                        ; implicit-def: $vgpr17
	s_and_saveexec_b64 s[40:41], s[8:9]
	s_xor_b64 s[8:9], exec, s[40:41]
; %bb.408:
	v_bfe_u32 v17, v64, 16, 1
	s_movk_i32 s40, 0x7fff
	v_add3_u32 v17, v64, v17, s40
                                        ; implicit-def: $vgpr64
; %bb.409:
	s_andn2_saveexec_b64 s[40:41], s[8:9]
; %bb.410:
	v_mov_b32_e32 v17, 0
	v_or_b32_e32 v65, 0x10000, v64
	v_cmp_eq_u32_sdwa s[8:9], v64, v17 src0_sel:WORD_0 src1_sel:DWORD
	v_cndmask_b32_e64 v17, v65, v64, s[8:9]
; %bb.411:
	s_or_b64 exec, exec, s[40:41]
	s_mov_b32 s8, 0x7060302
	v_perm_b32 v64, v17, v16, s8
	v_mov_b32_e32 v65, 0xffff8000
	v_cmp_lt_i32_e64 s[8:9], -1, v16
	v_cndmask_b32_e64 v16, -1, v65, s[8:9]
	v_cmp_lt_i32_e64 s[8:9], -1, v17
	v_cndmask_b32_e64 v17, -1, v65, s[8:9]
	s_mov_b32 s8, 0x5040100
	v_perm_b32 v16, v17, v16, s8
	v_xor_b32_e32 v16, v16, v64
	v_cmp_le_u16_sdwa s[8:9], v16, v16 src0_sel:DWORD src1_sel:WORD_1
	s_and_b64 s[40:41], s[8:9], exec
.LBB2059_412:
	s_or_b64 exec, exec, s[36:37]
	s_orn2_b64 s[36:37], s[40:41], exec
.LBB2059_413:
	s_or_b64 exec, exec, s[38:39]
	v_cndmask_b32_e64 v16, v66, v67, s[36:37]
	v_cndmask_b32_e64 v17, v31, v30, s[36:37]
	v_add_u32_e32 v68, 1, v16
	v_add_u32_e32 v17, -1, v17
	v_min_u32_e32 v17, v68, v17
	v_lshl_add_u32 v17, v17, 1, v12
	ds_read_u16 v65, v17
	v_lshl_add_u32 v16, v16, 3, v8
	ds_read_b64 v[16:17], v16 offset:4096
	v_cndmask_b32_e64 v66, v68, v66, s[36:37]
	v_cndmask_b32_e64 v67, v67, v68, s[36:37]
	s_waitcnt lgkmcnt(1)
	v_cndmask_b32_e64 v64, v65, v52, s[36:37]
	v_cndmask_b32_e64 v65, v55, v65, s[36:37]
	v_cmp_lt_u32_e64 s[8:9], v66, v31
	s_mov_b64 s[40:41], -1
	s_and_saveexec_b64 s[38:39], s[8:9]
	s_cbranch_execz .LBB2059_425
; %bb.414:
	v_cmp_lt_u32_e64 s[8:9], v67, v30
	s_mov_b64 s[42:43], 0
	s_and_saveexec_b64 s[40:41], s[8:9]
	s_cbranch_execz .LBB2059_424
; %bb.415:
	v_lshlrev_b32_e32 v30, 16, v65
	v_add_f32_e32 v31, 0, v30
	s_mov_b32 s8, 0x7f800000
	v_and_b32_e32 v30, 0x7f800000, v31
	v_cmp_ne_u32_e64 s[8:9], s8, v30
                                        ; implicit-def: $vgpr30
	s_and_saveexec_b64 s[42:43], s[8:9]
	s_xor_b64 s[8:9], exec, s[42:43]
; %bb.416:
	v_bfe_u32 v30, v31, 16, 1
	s_movk_i32 s42, 0x7fff
	v_add3_u32 v30, v31, v30, s42
                                        ; implicit-def: $vgpr31
; %bb.417:
	s_andn2_saveexec_b64 s[42:43], s[8:9]
; %bb.418:
	v_mov_b32_e32 v30, 0
	v_or_b32_e32 v68, 0x10000, v31
	v_cmp_eq_u32_sdwa s[8:9], v31, v30 src0_sel:WORD_0 src1_sel:DWORD
	v_cndmask_b32_e64 v30, v68, v31, s[8:9]
; %bb.419:
	s_or_b64 exec, exec, s[42:43]
	v_lshlrev_b32_e32 v31, 16, v64
	v_add_f32_e32 v68, 0, v31
	s_mov_b32 s8, 0x7f800000
	v_and_b32_e32 v31, 0x7f800000, v68
	v_cmp_ne_u32_e64 s[8:9], s8, v31
                                        ; implicit-def: $vgpr31
	s_and_saveexec_b64 s[42:43], s[8:9]
	s_xor_b64 s[8:9], exec, s[42:43]
; %bb.420:
	v_bfe_u32 v31, v68, 16, 1
	s_movk_i32 s42, 0x7fff
	v_add3_u32 v31, v68, v31, s42
                                        ; implicit-def: $vgpr68
; %bb.421:
	s_andn2_saveexec_b64 s[42:43], s[8:9]
; %bb.422:
	v_mov_b32_e32 v31, 0
	v_or_b32_e32 v69, 0x10000, v68
	v_cmp_eq_u32_sdwa s[8:9], v68, v31 src0_sel:WORD_0 src1_sel:DWORD
	v_cndmask_b32_e64 v31, v69, v68, s[8:9]
; %bb.423:
	s_or_b64 exec, exec, s[42:43]
	s_mov_b32 s8, 0x7060302
	v_perm_b32 v68, v31, v30, s8
	v_mov_b32_e32 v69, 0xffff8000
	v_cmp_lt_i32_e64 s[8:9], -1, v30
	v_cndmask_b32_e64 v30, -1, v69, s[8:9]
	v_cmp_lt_i32_e64 s[8:9], -1, v31
	v_cndmask_b32_e64 v31, -1, v69, s[8:9]
	s_mov_b32 s8, 0x5040100
	v_perm_b32 v30, v31, v30, s8
	v_xor_b32_e32 v30, v30, v68
	v_cmp_le_u16_sdwa s[8:9], v30, v30 src0_sel:DWORD src1_sel:WORD_1
	s_and_b64 s[42:43], s[8:9], exec
.LBB2059_424:
	s_or_b64 exec, exec, s[40:41]
	s_orn2_b64 s[40:41], s[42:43], exec
.LBB2059_425:
	s_or_b64 exec, exec, s[38:39]
	v_cndmask_b32_e64 v49, v49, v53, s[30:31]
	v_cndmask_b32_e64 v53, v22, v23, s[28:29]
	;; [unrolled: 1-line block ×3, first 2 shown]
	v_lshl_add_u32 v22, v22, 3, v8
	ds_read_b64 v[22:23], v22 offset:4096
	v_cndmask_b32_e64 v52, v52, v55, s[36:37]
	v_cndmask_b32_e64 v48, v48, v54, s[34:35]
	v_cndmask_b32_e64 v51, v50, v51, s[26:27]
	v_cndmask_b32_e64 v50, v38, v39, s[12:13]
	v_cndmask_b32_e64 v38, v33, v32, s[24:25]
	v_cndmask_b32_e64 v39, v64, v65, s[40:41]
.LBB2059_426:
	s_or_b64 exec, exec, s[22:23]
	v_add_u32_e32 v30, 0x1000, v21
	s_mov_b32 s26, 0x5040100
	; wave barrier
	ds_write2_b64 v30, v[4:5], v[10:11] offset1:1
	ds_write2_b64 v9, v[26:27], v[14:15] offset0:2 offset1:3
	ds_write2_b64 v9, v[28:29], v[18:19] offset0:4 offset1:5
	v_perm_b32 v31, v39, v52, s26
	v_perm_b32 v30, v48, v49, s26
	;; [unrolled: 1-line block ×4, first 2 shown]
	ds_write2_b64 v20, v[32:33], v[30:31] offset1:1
	s_waitcnt lgkmcnt(4)
	ds_write2_b64 v9, v[16:17], v[22:23] offset0:6 offset1:7
	v_and_b32_e32 v32, 0x3e0, v37
	v_or_b32_e32 v30, 16, v32
	v_min_u32_e32 v30, v13, v30
	v_add_u32_e32 v31, 16, v30
	v_min_u32_e32 v31, v13, v31
	v_and_b32_e32 v33, 24, v37
	v_min_u32_e32 v55, v13, v33
	v_sub_u32_e32 v54, v30, v32
	v_sub_u32_e32 v64, v31, v30
	v_sub_u32_e64 v64, v55, v64 clamp
	v_min_u32_e32 v54, v55, v54
	v_lshl_add_u32 v33, v32, 1, v12
	v_cmp_lt_u32_e64 s[8:9], v64, v54
	; wave barrier
	s_and_saveexec_b64 s[12:13], s[8:9]
	s_cbranch_execz .LBB2059_438
; %bb.427:
	v_lshlrev_b32_e32 v65, 1, v30
	v_lshlrev_b32_e32 v66, 1, v55
	v_add3_u32 v65, v12, v65, v66
	s_mov_b64 s[22:23], 0
	s_mov_b32 s27, 0x7f800000
	s_movk_i32 s28, 0x7fff
	s_mov_b32 s29, 0x7060302
	v_mov_b32_e32 v66, 0
	v_mov_b32_e32 v67, 0xffff8000
	s_branch .LBB2059_429
.LBB2059_428:                           ;   in Loop: Header=BB2059_429 Depth=1
	s_or_b64 exec, exec, s[24:25]
	v_cmp_lt_i32_e64 s[8:9], -1, v69
	v_perm_b32 v71, v70, v69, s29
	v_cndmask_b32_e64 v69, -1, v67, s[8:9]
	v_cmp_lt_i32_e64 s[8:9], -1, v70
	v_cndmask_b32_e64 v70, -1, v67, s[8:9]
	v_perm_b32 v69, v70, v69, s26
	v_xor_b32_e32 v69, v69, v71
	v_add_u32_e32 v70, 1, v68
	v_cmp_gt_u16_sdwa s[8:9], v69, v69 src0_sel:DWORD src1_sel:WORD_1
	v_cndmask_b32_e64 v54, v54, v68, s[8:9]
	v_cndmask_b32_e64 v64, v70, v64, s[8:9]
	v_cmp_ge_u32_e64 s[8:9], v64, v54
	s_or_b64 s[22:23], s[8:9], s[22:23]
	s_andn2_b64 exec, exec, s[22:23]
	s_cbranch_execz .LBB2059_437
.LBB2059_429:                           ; =>This Inner Loop Header: Depth=1
	v_add_u32_e32 v68, v54, v64
	v_and_b32_e32 v69, -2, v68
	v_add_u32_e32 v69, v33, v69
	ds_read_u16 v69, v69
	v_lshrrev_b32_e32 v68, 1, v68
	v_not_b32_e32 v70, v68
	v_lshl_add_u32 v70, v70, 1, v65
	ds_read_u16 v70, v70
	s_waitcnt lgkmcnt(1)
	v_lshlrev_b32_e32 v69, 16, v69
	v_add_f32_e32 v71, 0, v69
	v_and_b32_e32 v69, 0x7f800000, v71
	v_cmp_ne_u32_e64 s[8:9], s27, v69
                                        ; implicit-def: $vgpr69
	s_and_saveexec_b64 s[24:25], s[8:9]
	s_xor_b64 s[8:9], exec, s[24:25]
; %bb.430:                              ;   in Loop: Header=BB2059_429 Depth=1
	v_bfe_u32 v69, v71, 16, 1
	v_add3_u32 v69, v71, v69, s28
                                        ; implicit-def: $vgpr71
; %bb.431:                              ;   in Loop: Header=BB2059_429 Depth=1
	s_andn2_saveexec_b64 s[24:25], s[8:9]
; %bb.432:                              ;   in Loop: Header=BB2059_429 Depth=1
	v_or_b32_e32 v69, 0x10000, v71
	v_cmp_eq_u32_sdwa s[8:9], v71, v66 src0_sel:WORD_0 src1_sel:DWORD
	v_cndmask_b32_e64 v69, v69, v71, s[8:9]
; %bb.433:                              ;   in Loop: Header=BB2059_429 Depth=1
	s_or_b64 exec, exec, s[24:25]
	s_waitcnt lgkmcnt(0)
	v_lshlrev_b32_e32 v70, 16, v70
	v_add_f32_e32 v71, 0, v70
	v_and_b32_e32 v70, 0x7f800000, v71
	v_cmp_ne_u32_e64 s[8:9], s27, v70
                                        ; implicit-def: $vgpr70
	s_and_saveexec_b64 s[24:25], s[8:9]
	s_xor_b64 s[8:9], exec, s[24:25]
; %bb.434:                              ;   in Loop: Header=BB2059_429 Depth=1
	v_bfe_u32 v70, v71, 16, 1
	v_add3_u32 v70, v71, v70, s28
                                        ; implicit-def: $vgpr71
; %bb.435:                              ;   in Loop: Header=BB2059_429 Depth=1
	s_andn2_saveexec_b64 s[24:25], s[8:9]
	s_cbranch_execz .LBB2059_428
; %bb.436:                              ;   in Loop: Header=BB2059_429 Depth=1
	v_or_b32_e32 v70, 0x10000, v71
	v_cmp_eq_u32_sdwa s[8:9], v71, v66 src0_sel:WORD_0 src1_sel:DWORD
	v_cndmask_b32_e64 v70, v70, v71, s[8:9]
	s_branch .LBB2059_428
.LBB2059_437:
	s_or_b64 exec, exec, s[22:23]
.LBB2059_438:
	s_or_b64 exec, exec, s[12:13]
	v_add_u32_e32 v54, v64, v32
	v_add_u32_e32 v32, v30, v55
	v_sub_u32_e32 v55, v32, v64
	v_cmp_le_u32_e64 s[8:9], v54, v30
	v_cmp_le_u32_e64 s[12:13], v55, v31
	s_or_b64 s[8:9], s[8:9], s[12:13]
	s_and_saveexec_b64 s[22:23], s[8:9]
	s_cbranch_execz .LBB2059_538
; %bb.439:
	v_cmp_ge_u32_e64 s[8:9], v54, v30
	v_cmp_lt_u32_e64 s[12:13], v54, v30
                                        ; implicit-def: $vgpr32
	s_and_saveexec_b64 s[24:25], s[12:13]
	s_cbranch_execz .LBB2059_441
; %bb.440:
	v_lshl_add_u32 v4, v64, 1, v33
	ds_read_u16 v32, v4
.LBB2059_441:
	s_or_b64 exec, exec, s[24:25]
	v_cmp_ge_u32_e64 s[24:25], v55, v31
	v_cmp_lt_u32_e64 s[12:13], v55, v31
                                        ; implicit-def: $vgpr33
	s_and_saveexec_b64 s[26:27], s[12:13]
	s_cbranch_execz .LBB2059_443
; %bb.442:
	v_lshl_add_u32 v4, v55, 1, v12
	ds_read_u16 v33, v4
.LBB2059_443:
	s_or_b64 exec, exec, s[26:27]
	s_or_b64 s[8:9], s[8:9], s[24:25]
	s_xor_b64 s[8:9], s[8:9], -1
	s_and_saveexec_b64 s[12:13], s[8:9]
	s_cbranch_execz .LBB2059_453
; %bb.444:
	s_waitcnt lgkmcnt(0)
	v_lshlrev_b32_e32 v4, 16, v32
	v_add_f32_e32 v5, 0, v4
	s_mov_b32 s8, 0x7f800000
	v_and_b32_e32 v4, 0x7f800000, v5
	v_cmp_ne_u32_e64 s[8:9], s8, v4
                                        ; implicit-def: $vgpr4
	s_and_saveexec_b64 s[26:27], s[8:9]
	s_xor_b64 s[8:9], exec, s[26:27]
; %bb.445:
	v_bfe_u32 v4, v5, 16, 1
	s_movk_i32 s26, 0x7fff
	v_add3_u32 v4, v5, v4, s26
                                        ; implicit-def: $vgpr5
; %bb.446:
	s_andn2_saveexec_b64 s[26:27], s[8:9]
; %bb.447:
	v_mov_b32_e32 v4, 0
	v_or_b32_e32 v10, 0x10000, v5
	v_cmp_eq_u32_sdwa s[8:9], v5, v4 src0_sel:WORD_0 src1_sel:DWORD
	v_cndmask_b32_e64 v4, v10, v5, s[8:9]
; %bb.448:
	s_or_b64 exec, exec, s[26:27]
	v_lshlrev_b32_e32 v5, 16, v33
	v_add_f32_e32 v10, 0, v5
	s_mov_b32 s8, 0x7f800000
	v_and_b32_e32 v5, 0x7f800000, v10
	v_cmp_ne_u32_e64 s[8:9], s8, v5
                                        ; implicit-def: $vgpr5
	s_and_saveexec_b64 s[26:27], s[8:9]
	s_xor_b64 s[8:9], exec, s[26:27]
; %bb.449:
	v_bfe_u32 v5, v10, 16, 1
	s_movk_i32 s26, 0x7fff
	v_add3_u32 v5, v10, v5, s26
                                        ; implicit-def: $vgpr10
; %bb.450:
	s_andn2_saveexec_b64 s[26:27], s[8:9]
; %bb.451:
	v_mov_b32_e32 v5, 0
	v_or_b32_e32 v11, 0x10000, v10
	v_cmp_eq_u32_sdwa s[8:9], v10, v5 src0_sel:WORD_0 src1_sel:DWORD
	v_cndmask_b32_e64 v5, v11, v10, s[8:9]
; %bb.452:
	s_or_b64 exec, exec, s[26:27]
	s_mov_b32 s8, 0x7060302
	v_perm_b32 v10, v5, v4, s8
	v_mov_b32_e32 v11, 0xffff8000
	v_cmp_lt_i32_e64 s[8:9], -1, v4
	v_cndmask_b32_e64 v4, -1, v11, s[8:9]
	v_cmp_lt_i32_e64 s[8:9], -1, v5
	v_cndmask_b32_e64 v5, -1, v11, s[8:9]
	s_mov_b32 s8, 0x5040100
	v_perm_b32 v4, v5, v4, s8
	v_xor_b32_e32 v4, v4, v10
	v_cmp_le_u16_sdwa s[8:9], v4, v4 src0_sel:DWORD src1_sel:WORD_1
	s_andn2_b64 s[24:25], s[24:25], exec
	s_and_b64 s[8:9], s[8:9], exec
	s_or_b64 s[24:25], s[24:25], s[8:9]
.LBB2059_453:
	s_or_b64 exec, exec, s[12:13]
	v_cndmask_b32_e64 v4, v55, v54, s[24:25]
	v_cndmask_b32_e64 v5, v31, v30, s[24:25]
	v_add_u32_e32 v10, 1, v4
	v_add_u32_e32 v5, -1, v5
	v_min_u32_e32 v5, v10, v5
	v_lshl_add_u32 v5, v5, 1, v12
	ds_read_u16 v11, v5
	v_lshl_add_u32 v4, v4, 3, v8
	ds_read_b64 v[4:5], v4 offset:4096
	v_cndmask_b32_e64 v14, v10, v55, s[24:25]
	v_cndmask_b32_e64 v15, v54, v10, s[24:25]
	s_waitcnt lgkmcnt(1)
	v_cndmask_b32_e64 v38, v11, v33, s[24:25]
	v_cndmask_b32_e64 v39, v32, v11, s[24:25]
	v_cmp_lt_u32_e64 s[8:9], v14, v31
	s_mov_b64 s[26:27], -1
	s_mov_b64 s[12:13], -1
	s_and_saveexec_b64 s[28:29], s[8:9]
	s_cbranch_execz .LBB2059_465
; %bb.454:
	v_cmp_lt_u32_e64 s[8:9], v15, v30
	s_mov_b64 s[30:31], 0
	s_and_saveexec_b64 s[12:13], s[8:9]
	s_cbranch_execz .LBB2059_464
; %bb.455:
	v_lshlrev_b32_e32 v10, 16, v39
	v_add_f32_e32 v11, 0, v10
	s_mov_b32 s8, 0x7f800000
	v_and_b32_e32 v10, 0x7f800000, v11
	v_cmp_ne_u32_e64 s[8:9], s8, v10
                                        ; implicit-def: $vgpr10
	s_and_saveexec_b64 s[30:31], s[8:9]
	s_xor_b64 s[8:9], exec, s[30:31]
; %bb.456:
	v_bfe_u32 v10, v11, 16, 1
	s_movk_i32 s30, 0x7fff
	v_add3_u32 v10, v11, v10, s30
                                        ; implicit-def: $vgpr11
; %bb.457:
	s_andn2_saveexec_b64 s[30:31], s[8:9]
; %bb.458:
	v_mov_b32_e32 v10, 0
	v_or_b32_e32 v16, 0x10000, v11
	v_cmp_eq_u32_sdwa s[8:9], v11, v10 src0_sel:WORD_0 src1_sel:DWORD
	v_cndmask_b32_e64 v10, v16, v11, s[8:9]
; %bb.459:
	s_or_b64 exec, exec, s[30:31]
	v_lshlrev_b32_e32 v11, 16, v38
	v_add_f32_e32 v16, 0, v11
	s_mov_b32 s8, 0x7f800000
	v_and_b32_e32 v11, 0x7f800000, v16
	v_cmp_ne_u32_e64 s[8:9], s8, v11
                                        ; implicit-def: $vgpr11
	s_and_saveexec_b64 s[30:31], s[8:9]
	s_xor_b64 s[8:9], exec, s[30:31]
; %bb.460:
	v_bfe_u32 v11, v16, 16, 1
	s_movk_i32 s30, 0x7fff
	v_add3_u32 v11, v16, v11, s30
                                        ; implicit-def: $vgpr16
; %bb.461:
	s_andn2_saveexec_b64 s[30:31], s[8:9]
; %bb.462:
	v_mov_b32_e32 v11, 0
	v_or_b32_e32 v17, 0x10000, v16
	v_cmp_eq_u32_sdwa s[8:9], v16, v11 src0_sel:WORD_0 src1_sel:DWORD
	v_cndmask_b32_e64 v11, v17, v16, s[8:9]
; %bb.463:
	s_or_b64 exec, exec, s[30:31]
	s_mov_b32 s8, 0x7060302
	v_perm_b32 v16, v11, v10, s8
	v_mov_b32_e32 v17, 0xffff8000
	v_cmp_lt_i32_e64 s[8:9], -1, v10
	v_cndmask_b32_e64 v10, -1, v17, s[8:9]
	v_cmp_lt_i32_e64 s[8:9], -1, v11
	v_cndmask_b32_e64 v11, -1, v17, s[8:9]
	s_mov_b32 s8, 0x5040100
	v_perm_b32 v10, v11, v10, s8
	v_xor_b32_e32 v10, v10, v16
	v_cmp_le_u16_sdwa s[8:9], v10, v10 src0_sel:DWORD src1_sel:WORD_1
	s_and_b64 s[30:31], s[8:9], exec
.LBB2059_464:
	s_or_b64 exec, exec, s[12:13]
	s_orn2_b64 s[12:13], s[30:31], exec
.LBB2059_465:
	s_or_b64 exec, exec, s[28:29]
	v_cndmask_b32_e64 v10, v14, v15, s[12:13]
	v_cndmask_b32_e64 v11, v31, v30, s[12:13]
	v_add_u32_e32 v16, 1, v10
	v_add_u32_e32 v11, -1, v11
	v_min_u32_e32 v11, v16, v11
	v_lshl_add_u32 v11, v11, 1, v12
	ds_read_u16 v17, v11
	v_lshl_add_u32 v10, v10, 3, v8
	ds_read_b64 v[10:11], v10 offset:4096
	v_cndmask_b32_e64 v14, v16, v14, s[12:13]
	v_cndmask_b32_e64 v15, v15, v16, s[12:13]
	s_waitcnt lgkmcnt(1)
	v_cndmask_b32_e64 v50, v17, v38, s[12:13]
	v_cndmask_b32_e64 v51, v39, v17, s[12:13]
	v_cmp_lt_u32_e64 s[8:9], v14, v31
	s_and_saveexec_b64 s[28:29], s[8:9]
	s_cbranch_execz .LBB2059_477
; %bb.466:
	v_cmp_lt_u32_e64 s[8:9], v15, v30
	s_mov_b64 s[30:31], 0
	s_and_saveexec_b64 s[26:27], s[8:9]
	s_cbranch_execz .LBB2059_476
; %bb.467:
	v_lshlrev_b32_e32 v16, 16, v51
	v_add_f32_e32 v17, 0, v16
	s_mov_b32 s8, 0x7f800000
	v_and_b32_e32 v16, 0x7f800000, v17
	v_cmp_ne_u32_e64 s[8:9], s8, v16
                                        ; implicit-def: $vgpr16
	s_and_saveexec_b64 s[30:31], s[8:9]
	s_xor_b64 s[8:9], exec, s[30:31]
; %bb.468:
	v_bfe_u32 v16, v17, 16, 1
	s_movk_i32 s30, 0x7fff
	v_add3_u32 v16, v17, v16, s30
                                        ; implicit-def: $vgpr17
; %bb.469:
	s_andn2_saveexec_b64 s[30:31], s[8:9]
; %bb.470:
	v_mov_b32_e32 v16, 0
	v_or_b32_e32 v18, 0x10000, v17
	v_cmp_eq_u32_sdwa s[8:9], v17, v16 src0_sel:WORD_0 src1_sel:DWORD
	v_cndmask_b32_e64 v16, v18, v17, s[8:9]
; %bb.471:
	s_or_b64 exec, exec, s[30:31]
	v_lshlrev_b32_e32 v17, 16, v50
	v_add_f32_e32 v18, 0, v17
	s_mov_b32 s8, 0x7f800000
	v_and_b32_e32 v17, 0x7f800000, v18
	v_cmp_ne_u32_e64 s[8:9], s8, v17
                                        ; implicit-def: $vgpr17
	s_and_saveexec_b64 s[30:31], s[8:9]
	s_xor_b64 s[8:9], exec, s[30:31]
; %bb.472:
	v_bfe_u32 v17, v18, 16, 1
	s_movk_i32 s30, 0x7fff
	v_add3_u32 v17, v18, v17, s30
                                        ; implicit-def: $vgpr18
; %bb.473:
	s_andn2_saveexec_b64 s[30:31], s[8:9]
; %bb.474:
	v_mov_b32_e32 v17, 0
	v_or_b32_e32 v19, 0x10000, v18
	v_cmp_eq_u32_sdwa s[8:9], v18, v17 src0_sel:WORD_0 src1_sel:DWORD
	v_cndmask_b32_e64 v17, v19, v18, s[8:9]
; %bb.475:
	s_or_b64 exec, exec, s[30:31]
	s_mov_b32 s8, 0x7060302
	v_perm_b32 v18, v17, v16, s8
	v_mov_b32_e32 v19, 0xffff8000
	v_cmp_lt_i32_e64 s[8:9], -1, v16
	v_cndmask_b32_e64 v16, -1, v19, s[8:9]
	v_cmp_lt_i32_e64 s[8:9], -1, v17
	v_cndmask_b32_e64 v17, -1, v19, s[8:9]
	s_mov_b32 s8, 0x5040100
	v_perm_b32 v16, v17, v16, s8
	v_xor_b32_e32 v16, v16, v18
	v_cmp_le_u16_sdwa s[8:9], v16, v16 src0_sel:DWORD src1_sel:WORD_1
	s_and_b64 s[30:31], s[8:9], exec
.LBB2059_476:
	s_or_b64 exec, exec, s[26:27]
	s_orn2_b64 s[26:27], s[30:31], exec
.LBB2059_477:
	s_or_b64 exec, exec, s[28:29]
	v_cndmask_b32_e64 v16, v14, v15, s[26:27]
	v_cndmask_b32_e64 v17, v31, v30, s[26:27]
	v_add_u32_e32 v18, 1, v16
	v_add_u32_e32 v17, -1, v17
	v_min_u32_e32 v17, v18, v17
	v_lshl_add_u32 v17, v17, 1, v12
	ds_read_u16 v17, v17
	v_lshl_add_u32 v16, v16, 3, v8
	ds_read_b64 v[26:27], v16 offset:4096
	v_cndmask_b32_e64 v16, v18, v14, s[26:27]
	v_cmp_lt_u32_e64 s[8:9], v16, v31
	s_waitcnt lgkmcnt(1)
	v_cndmask_b32_e64 v22, v17, v50, s[26:27]
	v_cndmask_b32_e64 v23, v51, v17, s[26:27]
	v_cndmask_b32_e64 v17, v15, v18, s[26:27]
	s_mov_b64 s[30:31], -1
	s_mov_b64 s[28:29], -1
	s_and_saveexec_b64 s[34:35], s[8:9]
	s_cbranch_execz .LBB2059_489
; %bb.478:
	v_cmp_lt_u32_e64 s[8:9], v17, v30
	s_mov_b64 s[36:37], 0
	s_and_saveexec_b64 s[28:29], s[8:9]
	s_cbranch_execz .LBB2059_488
; %bb.479:
	v_lshlrev_b32_e32 v14, 16, v23
	v_add_f32_e32 v15, 0, v14
	s_mov_b32 s8, 0x7f800000
	v_and_b32_e32 v14, 0x7f800000, v15
	v_cmp_ne_u32_e64 s[8:9], s8, v14
                                        ; implicit-def: $vgpr14
	s_and_saveexec_b64 s[36:37], s[8:9]
	s_xor_b64 s[8:9], exec, s[36:37]
; %bb.480:
	v_bfe_u32 v14, v15, 16, 1
	s_movk_i32 s36, 0x7fff
	v_add3_u32 v14, v15, v14, s36
                                        ; implicit-def: $vgpr15
; %bb.481:
	s_andn2_saveexec_b64 s[36:37], s[8:9]
; %bb.482:
	v_mov_b32_e32 v14, 0
	v_or_b32_e32 v18, 0x10000, v15
	v_cmp_eq_u32_sdwa s[8:9], v15, v14 src0_sel:WORD_0 src1_sel:DWORD
	v_cndmask_b32_e64 v14, v18, v15, s[8:9]
; %bb.483:
	s_or_b64 exec, exec, s[36:37]
	v_lshlrev_b32_e32 v15, 16, v22
	v_add_f32_e32 v18, 0, v15
	s_mov_b32 s8, 0x7f800000
	v_and_b32_e32 v15, 0x7f800000, v18
	v_cmp_ne_u32_e64 s[8:9], s8, v15
                                        ; implicit-def: $vgpr15
	s_and_saveexec_b64 s[36:37], s[8:9]
	s_xor_b64 s[8:9], exec, s[36:37]
; %bb.484:
	v_bfe_u32 v15, v18, 16, 1
	s_movk_i32 s36, 0x7fff
	v_add3_u32 v15, v18, v15, s36
                                        ; implicit-def: $vgpr18
; %bb.485:
	s_andn2_saveexec_b64 s[36:37], s[8:9]
; %bb.486:
	v_mov_b32_e32 v15, 0
	v_or_b32_e32 v19, 0x10000, v18
	v_cmp_eq_u32_sdwa s[8:9], v18, v15 src0_sel:WORD_0 src1_sel:DWORD
	v_cndmask_b32_e64 v15, v19, v18, s[8:9]
; %bb.487:
	s_or_b64 exec, exec, s[36:37]
	s_mov_b32 s8, 0x7060302
	v_perm_b32 v18, v15, v14, s8
	v_mov_b32_e32 v19, 0xffff8000
	v_cmp_lt_i32_e64 s[8:9], -1, v14
	v_cndmask_b32_e64 v14, -1, v19, s[8:9]
	v_cmp_lt_i32_e64 s[8:9], -1, v15
	v_cndmask_b32_e64 v15, -1, v19, s[8:9]
	s_mov_b32 s8, 0x5040100
	v_perm_b32 v14, v15, v14, s8
	v_xor_b32_e32 v14, v14, v18
	v_cmp_le_u16_sdwa s[8:9], v14, v14 src0_sel:DWORD src1_sel:WORD_1
	s_and_b64 s[36:37], s[8:9], exec
.LBB2059_488:
	s_or_b64 exec, exec, s[28:29]
	s_orn2_b64 s[28:29], s[36:37], exec
.LBB2059_489:
	s_or_b64 exec, exec, s[34:35]
	v_cndmask_b32_e64 v14, v16, v17, s[28:29]
	v_cndmask_b32_e64 v15, v31, v30, s[28:29]
	v_add_u32_e32 v18, 1, v14
	v_add_u32_e32 v15, -1, v15
	v_min_u32_e32 v15, v18, v15
	v_lshl_add_u32 v15, v15, 1, v12
	ds_read_u16 v19, v15
	v_lshl_add_u32 v14, v14, 3, v8
	ds_read_b64 v[14:15], v14 offset:4096
	v_cndmask_b32_e64 v16, v18, v16, s[28:29]
	v_cndmask_b32_e64 v17, v17, v18, s[28:29]
	s_waitcnt lgkmcnt(1)
	v_cndmask_b32_e64 v49, v19, v22, s[28:29]
	v_cndmask_b32_e64 v53, v23, v19, s[28:29]
	v_cmp_lt_u32_e64 s[8:9], v16, v31
	s_and_saveexec_b64 s[34:35], s[8:9]
	s_cbranch_execz .LBB2059_501
; %bb.490:
	v_cmp_lt_u32_e64 s[8:9], v17, v30
	s_mov_b64 s[36:37], 0
	s_and_saveexec_b64 s[30:31], s[8:9]
	s_cbranch_execz .LBB2059_500
; %bb.491:
	v_lshlrev_b32_e32 v18, 16, v53
	v_add_f32_e32 v19, 0, v18
	s_mov_b32 s8, 0x7f800000
	v_and_b32_e32 v18, 0x7f800000, v19
	v_cmp_ne_u32_e64 s[8:9], s8, v18
                                        ; implicit-def: $vgpr18
	s_and_saveexec_b64 s[36:37], s[8:9]
	s_xor_b64 s[8:9], exec, s[36:37]
; %bb.492:
	v_bfe_u32 v18, v19, 16, 1
	s_movk_i32 s36, 0x7fff
	v_add3_u32 v18, v19, v18, s36
                                        ; implicit-def: $vgpr19
; %bb.493:
	s_andn2_saveexec_b64 s[36:37], s[8:9]
; %bb.494:
	v_mov_b32_e32 v18, 0
	v_or_b32_e32 v28, 0x10000, v19
	v_cmp_eq_u32_sdwa s[8:9], v19, v18 src0_sel:WORD_0 src1_sel:DWORD
	v_cndmask_b32_e64 v18, v28, v19, s[8:9]
; %bb.495:
	s_or_b64 exec, exec, s[36:37]
	v_lshlrev_b32_e32 v19, 16, v49
	v_add_f32_e32 v28, 0, v19
	s_mov_b32 s8, 0x7f800000
	v_and_b32_e32 v19, 0x7f800000, v28
	v_cmp_ne_u32_e64 s[8:9], s8, v19
                                        ; implicit-def: $vgpr19
	s_and_saveexec_b64 s[36:37], s[8:9]
	s_xor_b64 s[8:9], exec, s[36:37]
; %bb.496:
	v_bfe_u32 v19, v28, 16, 1
	s_movk_i32 s36, 0x7fff
	v_add3_u32 v19, v28, v19, s36
                                        ; implicit-def: $vgpr28
; %bb.497:
	s_andn2_saveexec_b64 s[36:37], s[8:9]
; %bb.498:
	v_mov_b32_e32 v19, 0
	v_or_b32_e32 v29, 0x10000, v28
	v_cmp_eq_u32_sdwa s[8:9], v28, v19 src0_sel:WORD_0 src1_sel:DWORD
	v_cndmask_b32_e64 v19, v29, v28, s[8:9]
; %bb.499:
	s_or_b64 exec, exec, s[36:37]
	s_mov_b32 s8, 0x7060302
	v_perm_b32 v28, v19, v18, s8
	v_mov_b32_e32 v29, 0xffff8000
	v_cmp_lt_i32_e64 s[8:9], -1, v18
	v_cndmask_b32_e64 v18, -1, v29, s[8:9]
	v_cmp_lt_i32_e64 s[8:9], -1, v19
	v_cndmask_b32_e64 v19, -1, v29, s[8:9]
	s_mov_b32 s8, 0x5040100
	v_perm_b32 v18, v19, v18, s8
	v_xor_b32_e32 v18, v18, v28
	v_cmp_le_u16_sdwa s[8:9], v18, v18 src0_sel:DWORD src1_sel:WORD_1
	s_and_b64 s[36:37], s[8:9], exec
.LBB2059_500:
	s_or_b64 exec, exec, s[30:31]
	s_orn2_b64 s[30:31], s[36:37], exec
.LBB2059_501:
	s_or_b64 exec, exec, s[34:35]
	v_cndmask_b32_e64 v18, v16, v17, s[30:31]
	v_cndmask_b32_e64 v19, v31, v30, s[30:31]
	v_add_u32_e32 v52, 1, v18
	v_add_u32_e32 v19, -1, v19
	v_min_u32_e32 v19, v52, v19
	v_lshl_add_u32 v19, v19, 1, v12
	ds_read_u16 v19, v19
	v_lshl_add_u32 v18, v18, 3, v8
	ds_read_b64 v[28:29], v18 offset:4096
	v_cndmask_b32_e64 v16, v52, v16, s[30:31]
	v_cndmask_b32_e64 v17, v17, v52, s[30:31]
	s_waitcnt lgkmcnt(1)
	v_cndmask_b32_e64 v48, v19, v49, s[30:31]
	v_cndmask_b32_e64 v54, v53, v19, s[30:31]
	v_cmp_lt_u32_e64 s[8:9], v16, v31
	s_mov_b64 s[36:37], -1
	s_mov_b64 s[34:35], -1
	s_and_saveexec_b64 s[38:39], s[8:9]
	s_cbranch_execz .LBB2059_513
; %bb.502:
	v_cmp_lt_u32_e64 s[8:9], v17, v30
	s_mov_b64 s[40:41], 0
	s_and_saveexec_b64 s[34:35], s[8:9]
	s_cbranch_execz .LBB2059_512
; %bb.503:
	v_lshlrev_b32_e32 v18, 16, v54
	v_add_f32_e32 v19, 0, v18
	s_mov_b32 s8, 0x7f800000
	v_and_b32_e32 v18, 0x7f800000, v19
	v_cmp_ne_u32_e64 s[8:9], s8, v18
                                        ; implicit-def: $vgpr18
	s_and_saveexec_b64 s[40:41], s[8:9]
	s_xor_b64 s[8:9], exec, s[40:41]
; %bb.504:
	v_bfe_u32 v18, v19, 16, 1
	s_movk_i32 s40, 0x7fff
	v_add3_u32 v18, v19, v18, s40
                                        ; implicit-def: $vgpr19
; %bb.505:
	s_andn2_saveexec_b64 s[40:41], s[8:9]
; %bb.506:
	v_mov_b32_e32 v18, 0
	v_or_b32_e32 v52, 0x10000, v19
	v_cmp_eq_u32_sdwa s[8:9], v19, v18 src0_sel:WORD_0 src1_sel:DWORD
	v_cndmask_b32_e64 v18, v52, v19, s[8:9]
; %bb.507:
	s_or_b64 exec, exec, s[40:41]
	v_lshlrev_b32_e32 v19, 16, v48
	v_add_f32_e32 v52, 0, v19
	s_mov_b32 s8, 0x7f800000
	v_and_b32_e32 v19, 0x7f800000, v52
	v_cmp_ne_u32_e64 s[8:9], s8, v19
                                        ; implicit-def: $vgpr19
	s_and_saveexec_b64 s[40:41], s[8:9]
	s_xor_b64 s[8:9], exec, s[40:41]
; %bb.508:
	v_bfe_u32 v19, v52, 16, 1
	s_movk_i32 s40, 0x7fff
	v_add3_u32 v19, v52, v19, s40
                                        ; implicit-def: $vgpr52
; %bb.509:
	s_andn2_saveexec_b64 s[40:41], s[8:9]
; %bb.510:
	v_mov_b32_e32 v19, 0
	v_or_b32_e32 v55, 0x10000, v52
	v_cmp_eq_u32_sdwa s[8:9], v52, v19 src0_sel:WORD_0 src1_sel:DWORD
	v_cndmask_b32_e64 v19, v55, v52, s[8:9]
; %bb.511:
	s_or_b64 exec, exec, s[40:41]
	s_mov_b32 s8, 0x7060302
	v_perm_b32 v52, v19, v18, s8
	v_mov_b32_e32 v55, 0xffff8000
	v_cmp_lt_i32_e64 s[8:9], -1, v18
	v_cndmask_b32_e64 v18, -1, v55, s[8:9]
	v_cmp_lt_i32_e64 s[8:9], -1, v19
	v_cndmask_b32_e64 v19, -1, v55, s[8:9]
	s_mov_b32 s8, 0x5040100
	v_perm_b32 v18, v19, v18, s8
	v_xor_b32_e32 v18, v18, v52
	v_cmp_le_u16_sdwa s[8:9], v18, v18 src0_sel:DWORD src1_sel:WORD_1
	s_and_b64 s[40:41], s[8:9], exec
.LBB2059_512:
	s_or_b64 exec, exec, s[34:35]
	s_orn2_b64 s[34:35], s[40:41], exec
.LBB2059_513:
	s_or_b64 exec, exec, s[38:39]
	v_cndmask_b32_e64 v18, v16, v17, s[34:35]
	v_cndmask_b32_e64 v19, v31, v30, s[34:35]
	v_add_u32_e32 v64, 1, v18
	v_add_u32_e32 v19, -1, v19
	v_min_u32_e32 v19, v64, v19
	v_lshl_add_u32 v19, v19, 1, v12
	ds_read_u16 v55, v19
	v_lshl_add_u32 v18, v18, 3, v8
	ds_read_b64 v[18:19], v18 offset:4096
	v_cndmask_b32_e64 v66, v64, v16, s[34:35]
	v_cndmask_b32_e64 v67, v17, v64, s[34:35]
	s_waitcnt lgkmcnt(1)
	v_cndmask_b32_e64 v52, v55, v48, s[34:35]
	v_cndmask_b32_e64 v55, v54, v55, s[34:35]
	v_cmp_lt_u32_e64 s[8:9], v66, v31
	s_and_saveexec_b64 s[38:39], s[8:9]
	s_cbranch_execz .LBB2059_525
; %bb.514:
	v_cmp_lt_u32_e64 s[8:9], v67, v30
	s_mov_b64 s[40:41], 0
	s_and_saveexec_b64 s[36:37], s[8:9]
	s_cbranch_execz .LBB2059_524
; %bb.515:
	v_lshlrev_b32_e32 v16, 16, v55
	v_add_f32_e32 v17, 0, v16
	s_mov_b32 s8, 0x7f800000
	v_and_b32_e32 v16, 0x7f800000, v17
	v_cmp_ne_u32_e64 s[8:9], s8, v16
                                        ; implicit-def: $vgpr16
	s_and_saveexec_b64 s[40:41], s[8:9]
	s_xor_b64 s[8:9], exec, s[40:41]
; %bb.516:
	v_bfe_u32 v16, v17, 16, 1
	s_movk_i32 s40, 0x7fff
	v_add3_u32 v16, v17, v16, s40
                                        ; implicit-def: $vgpr17
; %bb.517:
	s_andn2_saveexec_b64 s[40:41], s[8:9]
; %bb.518:
	v_mov_b32_e32 v16, 0
	v_or_b32_e32 v64, 0x10000, v17
	v_cmp_eq_u32_sdwa s[8:9], v17, v16 src0_sel:WORD_0 src1_sel:DWORD
	v_cndmask_b32_e64 v16, v64, v17, s[8:9]
; %bb.519:
	s_or_b64 exec, exec, s[40:41]
	v_lshlrev_b32_e32 v17, 16, v52
	v_add_f32_e32 v64, 0, v17
	s_mov_b32 s8, 0x7f800000
	v_and_b32_e32 v17, 0x7f800000, v64
	v_cmp_ne_u32_e64 s[8:9], s8, v17
                                        ; implicit-def: $vgpr17
	s_and_saveexec_b64 s[40:41], s[8:9]
	s_xor_b64 s[8:9], exec, s[40:41]
; %bb.520:
	v_bfe_u32 v17, v64, 16, 1
	s_movk_i32 s40, 0x7fff
	v_add3_u32 v17, v64, v17, s40
                                        ; implicit-def: $vgpr64
; %bb.521:
	s_andn2_saveexec_b64 s[40:41], s[8:9]
; %bb.522:
	v_mov_b32_e32 v17, 0
	v_or_b32_e32 v65, 0x10000, v64
	v_cmp_eq_u32_sdwa s[8:9], v64, v17 src0_sel:WORD_0 src1_sel:DWORD
	v_cndmask_b32_e64 v17, v65, v64, s[8:9]
; %bb.523:
	s_or_b64 exec, exec, s[40:41]
	s_mov_b32 s8, 0x7060302
	v_perm_b32 v64, v17, v16, s8
	v_mov_b32_e32 v65, 0xffff8000
	v_cmp_lt_i32_e64 s[8:9], -1, v16
	v_cndmask_b32_e64 v16, -1, v65, s[8:9]
	v_cmp_lt_i32_e64 s[8:9], -1, v17
	v_cndmask_b32_e64 v17, -1, v65, s[8:9]
	s_mov_b32 s8, 0x5040100
	v_perm_b32 v16, v17, v16, s8
	v_xor_b32_e32 v16, v16, v64
	v_cmp_le_u16_sdwa s[8:9], v16, v16 src0_sel:DWORD src1_sel:WORD_1
	s_and_b64 s[40:41], s[8:9], exec
.LBB2059_524:
	s_or_b64 exec, exec, s[36:37]
	s_orn2_b64 s[36:37], s[40:41], exec
.LBB2059_525:
	s_or_b64 exec, exec, s[38:39]
	v_cndmask_b32_e64 v16, v66, v67, s[36:37]
	v_cndmask_b32_e64 v17, v31, v30, s[36:37]
	v_add_u32_e32 v68, 1, v16
	v_add_u32_e32 v17, -1, v17
	v_min_u32_e32 v17, v68, v17
	v_lshl_add_u32 v17, v17, 1, v12
	ds_read_u16 v65, v17
	v_lshl_add_u32 v16, v16, 3, v8
	ds_read_b64 v[16:17], v16 offset:4096
	v_cndmask_b32_e64 v66, v68, v66, s[36:37]
	v_cndmask_b32_e64 v67, v67, v68, s[36:37]
	s_waitcnt lgkmcnt(1)
	v_cndmask_b32_e64 v64, v65, v52, s[36:37]
	v_cndmask_b32_e64 v65, v55, v65, s[36:37]
	v_cmp_lt_u32_e64 s[8:9], v66, v31
	s_mov_b64 s[40:41], -1
	s_and_saveexec_b64 s[38:39], s[8:9]
	s_cbranch_execz .LBB2059_537
; %bb.526:
	v_cmp_lt_u32_e64 s[8:9], v67, v30
	s_mov_b64 s[42:43], 0
	s_and_saveexec_b64 s[40:41], s[8:9]
	s_cbranch_execz .LBB2059_536
; %bb.527:
	v_lshlrev_b32_e32 v30, 16, v65
	v_add_f32_e32 v31, 0, v30
	s_mov_b32 s8, 0x7f800000
	v_and_b32_e32 v30, 0x7f800000, v31
	v_cmp_ne_u32_e64 s[8:9], s8, v30
                                        ; implicit-def: $vgpr30
	s_and_saveexec_b64 s[42:43], s[8:9]
	s_xor_b64 s[8:9], exec, s[42:43]
; %bb.528:
	v_bfe_u32 v30, v31, 16, 1
	s_movk_i32 s42, 0x7fff
	v_add3_u32 v30, v31, v30, s42
                                        ; implicit-def: $vgpr31
; %bb.529:
	s_andn2_saveexec_b64 s[42:43], s[8:9]
; %bb.530:
	v_mov_b32_e32 v30, 0
	v_or_b32_e32 v68, 0x10000, v31
	v_cmp_eq_u32_sdwa s[8:9], v31, v30 src0_sel:WORD_0 src1_sel:DWORD
	v_cndmask_b32_e64 v30, v68, v31, s[8:9]
; %bb.531:
	s_or_b64 exec, exec, s[42:43]
	v_lshlrev_b32_e32 v31, 16, v64
	v_add_f32_e32 v68, 0, v31
	s_mov_b32 s8, 0x7f800000
	v_and_b32_e32 v31, 0x7f800000, v68
	v_cmp_ne_u32_e64 s[8:9], s8, v31
                                        ; implicit-def: $vgpr31
	s_and_saveexec_b64 s[42:43], s[8:9]
	s_xor_b64 s[8:9], exec, s[42:43]
; %bb.532:
	v_bfe_u32 v31, v68, 16, 1
	s_movk_i32 s42, 0x7fff
	v_add3_u32 v31, v68, v31, s42
                                        ; implicit-def: $vgpr68
; %bb.533:
	s_andn2_saveexec_b64 s[42:43], s[8:9]
; %bb.534:
	v_mov_b32_e32 v31, 0
	v_or_b32_e32 v69, 0x10000, v68
	v_cmp_eq_u32_sdwa s[8:9], v68, v31 src0_sel:WORD_0 src1_sel:DWORD
	v_cndmask_b32_e64 v31, v69, v68, s[8:9]
; %bb.535:
	s_or_b64 exec, exec, s[42:43]
	s_mov_b32 s8, 0x7060302
	v_perm_b32 v68, v31, v30, s8
	v_mov_b32_e32 v69, 0xffff8000
	v_cmp_lt_i32_e64 s[8:9], -1, v30
	v_cndmask_b32_e64 v30, -1, v69, s[8:9]
	v_cmp_lt_i32_e64 s[8:9], -1, v31
	v_cndmask_b32_e64 v31, -1, v69, s[8:9]
	s_mov_b32 s8, 0x5040100
	v_perm_b32 v30, v31, v30, s8
	v_xor_b32_e32 v30, v30, v68
	v_cmp_le_u16_sdwa s[8:9], v30, v30 src0_sel:DWORD src1_sel:WORD_1
	s_and_b64 s[42:43], s[8:9], exec
.LBB2059_536:
	s_or_b64 exec, exec, s[40:41]
	s_orn2_b64 s[40:41], s[42:43], exec
.LBB2059_537:
	s_or_b64 exec, exec, s[38:39]
	v_cndmask_b32_e64 v49, v49, v53, s[30:31]
	v_cndmask_b32_e64 v53, v22, v23, s[28:29]
	;; [unrolled: 1-line block ×3, first 2 shown]
	v_lshl_add_u32 v22, v22, 3, v8
	ds_read_b64 v[22:23], v22 offset:4096
	v_cndmask_b32_e64 v52, v52, v55, s[36:37]
	v_cndmask_b32_e64 v48, v48, v54, s[34:35]
	v_cndmask_b32_e64 v51, v50, v51, s[26:27]
	v_cndmask_b32_e64 v50, v38, v39, s[12:13]
	v_cndmask_b32_e64 v38, v33, v32, s[24:25]
	v_cndmask_b32_e64 v39, v64, v65, s[40:41]
.LBB2059_538:
	s_or_b64 exec, exec, s[22:23]
	v_add_u32_e32 v30, 0x1000, v21
	s_mov_b32 s26, 0x5040100
	; wave barrier
	ds_write2_b64 v30, v[4:5], v[10:11] offset1:1
	ds_write2_b64 v9, v[26:27], v[14:15] offset0:2 offset1:3
	ds_write2_b64 v9, v[28:29], v[18:19] offset0:4 offset1:5
	v_perm_b32 v31, v39, v52, s26
	v_perm_b32 v30, v48, v49, s26
	;; [unrolled: 1-line block ×4, first 2 shown]
	ds_write2_b64 v20, v[32:33], v[30:31] offset1:1
	s_waitcnt lgkmcnt(4)
	ds_write2_b64 v9, v[16:17], v[22:23] offset0:6 offset1:7
	v_and_b32_e32 v32, 0x3c0, v37
	v_or_b32_e32 v30, 32, v32
	v_min_u32_e32 v30, v13, v30
	v_add_u32_e32 v31, 32, v30
	v_min_u32_e32 v31, v13, v31
	v_and_b32_e32 v33, 56, v37
	v_min_u32_e32 v55, v13, v33
	v_sub_u32_e32 v54, v30, v32
	v_sub_u32_e32 v64, v31, v30
	v_sub_u32_e64 v64, v55, v64 clamp
	v_min_u32_e32 v54, v55, v54
	v_lshl_add_u32 v33, v32, 1, v12
	v_cmp_lt_u32_e64 s[8:9], v64, v54
	; wave barrier
	s_and_saveexec_b64 s[12:13], s[8:9]
	s_cbranch_execz .LBB2059_550
; %bb.539:
	v_lshlrev_b32_e32 v65, 1, v30
	v_lshlrev_b32_e32 v66, 1, v55
	v_add3_u32 v65, v12, v65, v66
	s_mov_b64 s[22:23], 0
	s_mov_b32 s27, 0x7f800000
	s_movk_i32 s28, 0x7fff
	s_mov_b32 s29, 0x7060302
	v_mov_b32_e32 v66, 0
	v_mov_b32_e32 v67, 0xffff8000
	s_branch .LBB2059_541
.LBB2059_540:                           ;   in Loop: Header=BB2059_541 Depth=1
	s_or_b64 exec, exec, s[24:25]
	v_cmp_lt_i32_e64 s[8:9], -1, v69
	v_perm_b32 v71, v70, v69, s29
	v_cndmask_b32_e64 v69, -1, v67, s[8:9]
	v_cmp_lt_i32_e64 s[8:9], -1, v70
	v_cndmask_b32_e64 v70, -1, v67, s[8:9]
	v_perm_b32 v69, v70, v69, s26
	v_xor_b32_e32 v69, v69, v71
	v_add_u32_e32 v70, 1, v68
	v_cmp_gt_u16_sdwa s[8:9], v69, v69 src0_sel:DWORD src1_sel:WORD_1
	v_cndmask_b32_e64 v54, v54, v68, s[8:9]
	v_cndmask_b32_e64 v64, v70, v64, s[8:9]
	v_cmp_ge_u32_e64 s[8:9], v64, v54
	s_or_b64 s[22:23], s[8:9], s[22:23]
	s_andn2_b64 exec, exec, s[22:23]
	s_cbranch_execz .LBB2059_549
.LBB2059_541:                           ; =>This Inner Loop Header: Depth=1
	v_add_u32_e32 v68, v54, v64
	v_and_b32_e32 v69, -2, v68
	v_add_u32_e32 v69, v33, v69
	ds_read_u16 v69, v69
	v_lshrrev_b32_e32 v68, 1, v68
	v_not_b32_e32 v70, v68
	v_lshl_add_u32 v70, v70, 1, v65
	ds_read_u16 v70, v70
	s_waitcnt lgkmcnt(1)
	v_lshlrev_b32_e32 v69, 16, v69
	v_add_f32_e32 v71, 0, v69
	v_and_b32_e32 v69, 0x7f800000, v71
	v_cmp_ne_u32_e64 s[8:9], s27, v69
                                        ; implicit-def: $vgpr69
	s_and_saveexec_b64 s[24:25], s[8:9]
	s_xor_b64 s[8:9], exec, s[24:25]
; %bb.542:                              ;   in Loop: Header=BB2059_541 Depth=1
	v_bfe_u32 v69, v71, 16, 1
	v_add3_u32 v69, v71, v69, s28
                                        ; implicit-def: $vgpr71
; %bb.543:                              ;   in Loop: Header=BB2059_541 Depth=1
	s_andn2_saveexec_b64 s[24:25], s[8:9]
; %bb.544:                              ;   in Loop: Header=BB2059_541 Depth=1
	v_or_b32_e32 v69, 0x10000, v71
	v_cmp_eq_u32_sdwa s[8:9], v71, v66 src0_sel:WORD_0 src1_sel:DWORD
	v_cndmask_b32_e64 v69, v69, v71, s[8:9]
; %bb.545:                              ;   in Loop: Header=BB2059_541 Depth=1
	s_or_b64 exec, exec, s[24:25]
	s_waitcnt lgkmcnt(0)
	v_lshlrev_b32_e32 v70, 16, v70
	v_add_f32_e32 v71, 0, v70
	v_and_b32_e32 v70, 0x7f800000, v71
	v_cmp_ne_u32_e64 s[8:9], s27, v70
                                        ; implicit-def: $vgpr70
	s_and_saveexec_b64 s[24:25], s[8:9]
	s_xor_b64 s[8:9], exec, s[24:25]
; %bb.546:                              ;   in Loop: Header=BB2059_541 Depth=1
	v_bfe_u32 v70, v71, 16, 1
	v_add3_u32 v70, v71, v70, s28
                                        ; implicit-def: $vgpr71
; %bb.547:                              ;   in Loop: Header=BB2059_541 Depth=1
	s_andn2_saveexec_b64 s[24:25], s[8:9]
	s_cbranch_execz .LBB2059_540
; %bb.548:                              ;   in Loop: Header=BB2059_541 Depth=1
	v_or_b32_e32 v70, 0x10000, v71
	v_cmp_eq_u32_sdwa s[8:9], v71, v66 src0_sel:WORD_0 src1_sel:DWORD
	v_cndmask_b32_e64 v70, v70, v71, s[8:9]
	s_branch .LBB2059_540
.LBB2059_549:
	s_or_b64 exec, exec, s[22:23]
.LBB2059_550:
	s_or_b64 exec, exec, s[12:13]
	v_add_u32_e32 v54, v64, v32
	v_add_u32_e32 v32, v30, v55
	v_sub_u32_e32 v55, v32, v64
	v_cmp_le_u32_e64 s[8:9], v54, v30
	v_cmp_le_u32_e64 s[12:13], v55, v31
	s_or_b64 s[8:9], s[8:9], s[12:13]
	s_and_saveexec_b64 s[22:23], s[8:9]
	s_cbranch_execz .LBB2059_650
; %bb.551:
	v_cmp_ge_u32_e64 s[8:9], v54, v30
	v_cmp_lt_u32_e64 s[12:13], v54, v30
                                        ; implicit-def: $vgpr32
	s_and_saveexec_b64 s[24:25], s[12:13]
	s_cbranch_execz .LBB2059_553
; %bb.552:
	v_lshl_add_u32 v4, v64, 1, v33
	ds_read_u16 v32, v4
.LBB2059_553:
	s_or_b64 exec, exec, s[24:25]
	v_cmp_ge_u32_e64 s[24:25], v55, v31
	v_cmp_lt_u32_e64 s[12:13], v55, v31
                                        ; implicit-def: $vgpr33
	s_and_saveexec_b64 s[26:27], s[12:13]
	s_cbranch_execz .LBB2059_555
; %bb.554:
	v_lshl_add_u32 v4, v55, 1, v12
	ds_read_u16 v33, v4
.LBB2059_555:
	s_or_b64 exec, exec, s[26:27]
	s_or_b64 s[8:9], s[8:9], s[24:25]
	s_xor_b64 s[8:9], s[8:9], -1
	s_and_saveexec_b64 s[12:13], s[8:9]
	s_cbranch_execz .LBB2059_565
; %bb.556:
	s_waitcnt lgkmcnt(0)
	v_lshlrev_b32_e32 v4, 16, v32
	v_add_f32_e32 v5, 0, v4
	s_mov_b32 s8, 0x7f800000
	v_and_b32_e32 v4, 0x7f800000, v5
	v_cmp_ne_u32_e64 s[8:9], s8, v4
                                        ; implicit-def: $vgpr4
	s_and_saveexec_b64 s[26:27], s[8:9]
	s_xor_b64 s[8:9], exec, s[26:27]
; %bb.557:
	v_bfe_u32 v4, v5, 16, 1
	s_movk_i32 s26, 0x7fff
	v_add3_u32 v4, v5, v4, s26
                                        ; implicit-def: $vgpr5
; %bb.558:
	s_andn2_saveexec_b64 s[26:27], s[8:9]
; %bb.559:
	v_mov_b32_e32 v4, 0
	v_or_b32_e32 v10, 0x10000, v5
	v_cmp_eq_u32_sdwa s[8:9], v5, v4 src0_sel:WORD_0 src1_sel:DWORD
	v_cndmask_b32_e64 v4, v10, v5, s[8:9]
; %bb.560:
	s_or_b64 exec, exec, s[26:27]
	v_lshlrev_b32_e32 v5, 16, v33
	v_add_f32_e32 v10, 0, v5
	s_mov_b32 s8, 0x7f800000
	v_and_b32_e32 v5, 0x7f800000, v10
	v_cmp_ne_u32_e64 s[8:9], s8, v5
                                        ; implicit-def: $vgpr5
	s_and_saveexec_b64 s[26:27], s[8:9]
	s_xor_b64 s[8:9], exec, s[26:27]
; %bb.561:
	v_bfe_u32 v5, v10, 16, 1
	s_movk_i32 s26, 0x7fff
	v_add3_u32 v5, v10, v5, s26
                                        ; implicit-def: $vgpr10
; %bb.562:
	s_andn2_saveexec_b64 s[26:27], s[8:9]
; %bb.563:
	v_mov_b32_e32 v5, 0
	v_or_b32_e32 v11, 0x10000, v10
	v_cmp_eq_u32_sdwa s[8:9], v10, v5 src0_sel:WORD_0 src1_sel:DWORD
	v_cndmask_b32_e64 v5, v11, v10, s[8:9]
; %bb.564:
	s_or_b64 exec, exec, s[26:27]
	s_mov_b32 s8, 0x7060302
	v_perm_b32 v10, v5, v4, s8
	v_mov_b32_e32 v11, 0xffff8000
	v_cmp_lt_i32_e64 s[8:9], -1, v4
	v_cndmask_b32_e64 v4, -1, v11, s[8:9]
	v_cmp_lt_i32_e64 s[8:9], -1, v5
	v_cndmask_b32_e64 v5, -1, v11, s[8:9]
	s_mov_b32 s8, 0x5040100
	v_perm_b32 v4, v5, v4, s8
	v_xor_b32_e32 v4, v4, v10
	v_cmp_le_u16_sdwa s[8:9], v4, v4 src0_sel:DWORD src1_sel:WORD_1
	s_andn2_b64 s[24:25], s[24:25], exec
	s_and_b64 s[8:9], s[8:9], exec
	s_or_b64 s[24:25], s[24:25], s[8:9]
.LBB2059_565:
	s_or_b64 exec, exec, s[12:13]
	v_cndmask_b32_e64 v4, v55, v54, s[24:25]
	v_cndmask_b32_e64 v5, v31, v30, s[24:25]
	v_add_u32_e32 v10, 1, v4
	v_add_u32_e32 v5, -1, v5
	v_min_u32_e32 v5, v10, v5
	v_lshl_add_u32 v5, v5, 1, v12
	ds_read_u16 v11, v5
	v_lshl_add_u32 v4, v4, 3, v8
	ds_read_b64 v[4:5], v4 offset:4096
	v_cndmask_b32_e64 v14, v10, v55, s[24:25]
	v_cndmask_b32_e64 v15, v54, v10, s[24:25]
	s_waitcnt lgkmcnt(1)
	v_cndmask_b32_e64 v38, v11, v33, s[24:25]
	v_cndmask_b32_e64 v39, v32, v11, s[24:25]
	v_cmp_lt_u32_e64 s[8:9], v14, v31
	s_mov_b64 s[26:27], -1
	s_mov_b64 s[12:13], -1
	s_and_saveexec_b64 s[28:29], s[8:9]
	s_cbranch_execz .LBB2059_577
; %bb.566:
	v_cmp_lt_u32_e64 s[8:9], v15, v30
	s_mov_b64 s[30:31], 0
	s_and_saveexec_b64 s[12:13], s[8:9]
	s_cbranch_execz .LBB2059_576
; %bb.567:
	v_lshlrev_b32_e32 v10, 16, v39
	v_add_f32_e32 v11, 0, v10
	s_mov_b32 s8, 0x7f800000
	v_and_b32_e32 v10, 0x7f800000, v11
	v_cmp_ne_u32_e64 s[8:9], s8, v10
                                        ; implicit-def: $vgpr10
	s_and_saveexec_b64 s[30:31], s[8:9]
	s_xor_b64 s[8:9], exec, s[30:31]
; %bb.568:
	v_bfe_u32 v10, v11, 16, 1
	s_movk_i32 s30, 0x7fff
	v_add3_u32 v10, v11, v10, s30
                                        ; implicit-def: $vgpr11
; %bb.569:
	s_andn2_saveexec_b64 s[30:31], s[8:9]
; %bb.570:
	v_mov_b32_e32 v10, 0
	v_or_b32_e32 v16, 0x10000, v11
	v_cmp_eq_u32_sdwa s[8:9], v11, v10 src0_sel:WORD_0 src1_sel:DWORD
	v_cndmask_b32_e64 v10, v16, v11, s[8:9]
; %bb.571:
	s_or_b64 exec, exec, s[30:31]
	v_lshlrev_b32_e32 v11, 16, v38
	v_add_f32_e32 v16, 0, v11
	s_mov_b32 s8, 0x7f800000
	v_and_b32_e32 v11, 0x7f800000, v16
	v_cmp_ne_u32_e64 s[8:9], s8, v11
                                        ; implicit-def: $vgpr11
	s_and_saveexec_b64 s[30:31], s[8:9]
	s_xor_b64 s[8:9], exec, s[30:31]
; %bb.572:
	v_bfe_u32 v11, v16, 16, 1
	s_movk_i32 s30, 0x7fff
	v_add3_u32 v11, v16, v11, s30
                                        ; implicit-def: $vgpr16
; %bb.573:
	s_andn2_saveexec_b64 s[30:31], s[8:9]
; %bb.574:
	v_mov_b32_e32 v11, 0
	v_or_b32_e32 v17, 0x10000, v16
	v_cmp_eq_u32_sdwa s[8:9], v16, v11 src0_sel:WORD_0 src1_sel:DWORD
	v_cndmask_b32_e64 v11, v17, v16, s[8:9]
; %bb.575:
	s_or_b64 exec, exec, s[30:31]
	s_mov_b32 s8, 0x7060302
	v_perm_b32 v16, v11, v10, s8
	v_mov_b32_e32 v17, 0xffff8000
	v_cmp_lt_i32_e64 s[8:9], -1, v10
	v_cndmask_b32_e64 v10, -1, v17, s[8:9]
	v_cmp_lt_i32_e64 s[8:9], -1, v11
	v_cndmask_b32_e64 v11, -1, v17, s[8:9]
	s_mov_b32 s8, 0x5040100
	v_perm_b32 v10, v11, v10, s8
	v_xor_b32_e32 v10, v10, v16
	v_cmp_le_u16_sdwa s[8:9], v10, v10 src0_sel:DWORD src1_sel:WORD_1
	s_and_b64 s[30:31], s[8:9], exec
.LBB2059_576:
	s_or_b64 exec, exec, s[12:13]
	s_orn2_b64 s[12:13], s[30:31], exec
.LBB2059_577:
	s_or_b64 exec, exec, s[28:29]
	v_cndmask_b32_e64 v10, v14, v15, s[12:13]
	v_cndmask_b32_e64 v11, v31, v30, s[12:13]
	v_add_u32_e32 v16, 1, v10
	v_add_u32_e32 v11, -1, v11
	v_min_u32_e32 v11, v16, v11
	v_lshl_add_u32 v11, v11, 1, v12
	ds_read_u16 v17, v11
	v_lshl_add_u32 v10, v10, 3, v8
	ds_read_b64 v[10:11], v10 offset:4096
	v_cndmask_b32_e64 v14, v16, v14, s[12:13]
	v_cndmask_b32_e64 v15, v15, v16, s[12:13]
	s_waitcnt lgkmcnt(1)
	v_cndmask_b32_e64 v50, v17, v38, s[12:13]
	v_cndmask_b32_e64 v51, v39, v17, s[12:13]
	v_cmp_lt_u32_e64 s[8:9], v14, v31
	s_and_saveexec_b64 s[28:29], s[8:9]
	s_cbranch_execz .LBB2059_589
; %bb.578:
	v_cmp_lt_u32_e64 s[8:9], v15, v30
	s_mov_b64 s[30:31], 0
	s_and_saveexec_b64 s[26:27], s[8:9]
	s_cbranch_execz .LBB2059_588
; %bb.579:
	v_lshlrev_b32_e32 v16, 16, v51
	v_add_f32_e32 v17, 0, v16
	s_mov_b32 s8, 0x7f800000
	v_and_b32_e32 v16, 0x7f800000, v17
	v_cmp_ne_u32_e64 s[8:9], s8, v16
                                        ; implicit-def: $vgpr16
	s_and_saveexec_b64 s[30:31], s[8:9]
	s_xor_b64 s[8:9], exec, s[30:31]
; %bb.580:
	v_bfe_u32 v16, v17, 16, 1
	s_movk_i32 s30, 0x7fff
	v_add3_u32 v16, v17, v16, s30
                                        ; implicit-def: $vgpr17
; %bb.581:
	s_andn2_saveexec_b64 s[30:31], s[8:9]
; %bb.582:
	v_mov_b32_e32 v16, 0
	v_or_b32_e32 v18, 0x10000, v17
	v_cmp_eq_u32_sdwa s[8:9], v17, v16 src0_sel:WORD_0 src1_sel:DWORD
	v_cndmask_b32_e64 v16, v18, v17, s[8:9]
; %bb.583:
	s_or_b64 exec, exec, s[30:31]
	v_lshlrev_b32_e32 v17, 16, v50
	v_add_f32_e32 v18, 0, v17
	s_mov_b32 s8, 0x7f800000
	v_and_b32_e32 v17, 0x7f800000, v18
	v_cmp_ne_u32_e64 s[8:9], s8, v17
                                        ; implicit-def: $vgpr17
	s_and_saveexec_b64 s[30:31], s[8:9]
	s_xor_b64 s[8:9], exec, s[30:31]
; %bb.584:
	v_bfe_u32 v17, v18, 16, 1
	s_movk_i32 s30, 0x7fff
	v_add3_u32 v17, v18, v17, s30
                                        ; implicit-def: $vgpr18
; %bb.585:
	s_andn2_saveexec_b64 s[30:31], s[8:9]
; %bb.586:
	v_mov_b32_e32 v17, 0
	v_or_b32_e32 v19, 0x10000, v18
	v_cmp_eq_u32_sdwa s[8:9], v18, v17 src0_sel:WORD_0 src1_sel:DWORD
	v_cndmask_b32_e64 v17, v19, v18, s[8:9]
; %bb.587:
	s_or_b64 exec, exec, s[30:31]
	s_mov_b32 s8, 0x7060302
	v_perm_b32 v18, v17, v16, s8
	v_mov_b32_e32 v19, 0xffff8000
	v_cmp_lt_i32_e64 s[8:9], -1, v16
	v_cndmask_b32_e64 v16, -1, v19, s[8:9]
	v_cmp_lt_i32_e64 s[8:9], -1, v17
	v_cndmask_b32_e64 v17, -1, v19, s[8:9]
	s_mov_b32 s8, 0x5040100
	v_perm_b32 v16, v17, v16, s8
	v_xor_b32_e32 v16, v16, v18
	v_cmp_le_u16_sdwa s[8:9], v16, v16 src0_sel:DWORD src1_sel:WORD_1
	s_and_b64 s[30:31], s[8:9], exec
.LBB2059_588:
	s_or_b64 exec, exec, s[26:27]
	s_orn2_b64 s[26:27], s[30:31], exec
.LBB2059_589:
	s_or_b64 exec, exec, s[28:29]
	v_cndmask_b32_e64 v16, v14, v15, s[26:27]
	v_cndmask_b32_e64 v17, v31, v30, s[26:27]
	v_add_u32_e32 v18, 1, v16
	v_add_u32_e32 v17, -1, v17
	v_min_u32_e32 v17, v18, v17
	v_lshl_add_u32 v17, v17, 1, v12
	ds_read_u16 v17, v17
	v_lshl_add_u32 v16, v16, 3, v8
	ds_read_b64 v[26:27], v16 offset:4096
	v_cndmask_b32_e64 v16, v18, v14, s[26:27]
	v_cmp_lt_u32_e64 s[8:9], v16, v31
	s_waitcnt lgkmcnt(1)
	v_cndmask_b32_e64 v22, v17, v50, s[26:27]
	v_cndmask_b32_e64 v23, v51, v17, s[26:27]
	;; [unrolled: 1-line block ×3, first 2 shown]
	s_mov_b64 s[30:31], -1
	s_mov_b64 s[28:29], -1
	s_and_saveexec_b64 s[34:35], s[8:9]
	s_cbranch_execz .LBB2059_601
; %bb.590:
	v_cmp_lt_u32_e64 s[8:9], v17, v30
	s_mov_b64 s[36:37], 0
	s_and_saveexec_b64 s[28:29], s[8:9]
	s_cbranch_execz .LBB2059_600
; %bb.591:
	v_lshlrev_b32_e32 v14, 16, v23
	v_add_f32_e32 v15, 0, v14
	s_mov_b32 s8, 0x7f800000
	v_and_b32_e32 v14, 0x7f800000, v15
	v_cmp_ne_u32_e64 s[8:9], s8, v14
                                        ; implicit-def: $vgpr14
	s_and_saveexec_b64 s[36:37], s[8:9]
	s_xor_b64 s[8:9], exec, s[36:37]
; %bb.592:
	v_bfe_u32 v14, v15, 16, 1
	s_movk_i32 s36, 0x7fff
	v_add3_u32 v14, v15, v14, s36
                                        ; implicit-def: $vgpr15
; %bb.593:
	s_andn2_saveexec_b64 s[36:37], s[8:9]
; %bb.594:
	v_mov_b32_e32 v14, 0
	v_or_b32_e32 v18, 0x10000, v15
	v_cmp_eq_u32_sdwa s[8:9], v15, v14 src0_sel:WORD_0 src1_sel:DWORD
	v_cndmask_b32_e64 v14, v18, v15, s[8:9]
; %bb.595:
	s_or_b64 exec, exec, s[36:37]
	v_lshlrev_b32_e32 v15, 16, v22
	v_add_f32_e32 v18, 0, v15
	s_mov_b32 s8, 0x7f800000
	v_and_b32_e32 v15, 0x7f800000, v18
	v_cmp_ne_u32_e64 s[8:9], s8, v15
                                        ; implicit-def: $vgpr15
	s_and_saveexec_b64 s[36:37], s[8:9]
	s_xor_b64 s[8:9], exec, s[36:37]
; %bb.596:
	v_bfe_u32 v15, v18, 16, 1
	s_movk_i32 s36, 0x7fff
	v_add3_u32 v15, v18, v15, s36
                                        ; implicit-def: $vgpr18
; %bb.597:
	s_andn2_saveexec_b64 s[36:37], s[8:9]
; %bb.598:
	v_mov_b32_e32 v15, 0
	v_or_b32_e32 v19, 0x10000, v18
	v_cmp_eq_u32_sdwa s[8:9], v18, v15 src0_sel:WORD_0 src1_sel:DWORD
	v_cndmask_b32_e64 v15, v19, v18, s[8:9]
; %bb.599:
	s_or_b64 exec, exec, s[36:37]
	s_mov_b32 s8, 0x7060302
	v_perm_b32 v18, v15, v14, s8
	v_mov_b32_e32 v19, 0xffff8000
	v_cmp_lt_i32_e64 s[8:9], -1, v14
	v_cndmask_b32_e64 v14, -1, v19, s[8:9]
	v_cmp_lt_i32_e64 s[8:9], -1, v15
	v_cndmask_b32_e64 v15, -1, v19, s[8:9]
	s_mov_b32 s8, 0x5040100
	v_perm_b32 v14, v15, v14, s8
	v_xor_b32_e32 v14, v14, v18
	v_cmp_le_u16_sdwa s[8:9], v14, v14 src0_sel:DWORD src1_sel:WORD_1
	s_and_b64 s[36:37], s[8:9], exec
.LBB2059_600:
	s_or_b64 exec, exec, s[28:29]
	s_orn2_b64 s[28:29], s[36:37], exec
.LBB2059_601:
	s_or_b64 exec, exec, s[34:35]
	v_cndmask_b32_e64 v14, v16, v17, s[28:29]
	v_cndmask_b32_e64 v15, v31, v30, s[28:29]
	v_add_u32_e32 v18, 1, v14
	v_add_u32_e32 v15, -1, v15
	v_min_u32_e32 v15, v18, v15
	v_lshl_add_u32 v15, v15, 1, v12
	ds_read_u16 v19, v15
	v_lshl_add_u32 v14, v14, 3, v8
	ds_read_b64 v[14:15], v14 offset:4096
	v_cndmask_b32_e64 v16, v18, v16, s[28:29]
	v_cndmask_b32_e64 v17, v17, v18, s[28:29]
	s_waitcnt lgkmcnt(1)
	v_cndmask_b32_e64 v49, v19, v22, s[28:29]
	v_cndmask_b32_e64 v53, v23, v19, s[28:29]
	v_cmp_lt_u32_e64 s[8:9], v16, v31
	s_and_saveexec_b64 s[34:35], s[8:9]
	s_cbranch_execz .LBB2059_613
; %bb.602:
	v_cmp_lt_u32_e64 s[8:9], v17, v30
	s_mov_b64 s[36:37], 0
	s_and_saveexec_b64 s[30:31], s[8:9]
	s_cbranch_execz .LBB2059_612
; %bb.603:
	v_lshlrev_b32_e32 v18, 16, v53
	v_add_f32_e32 v19, 0, v18
	s_mov_b32 s8, 0x7f800000
	v_and_b32_e32 v18, 0x7f800000, v19
	v_cmp_ne_u32_e64 s[8:9], s8, v18
                                        ; implicit-def: $vgpr18
	s_and_saveexec_b64 s[36:37], s[8:9]
	s_xor_b64 s[8:9], exec, s[36:37]
; %bb.604:
	v_bfe_u32 v18, v19, 16, 1
	s_movk_i32 s36, 0x7fff
	v_add3_u32 v18, v19, v18, s36
                                        ; implicit-def: $vgpr19
; %bb.605:
	s_andn2_saveexec_b64 s[36:37], s[8:9]
; %bb.606:
	v_mov_b32_e32 v18, 0
	v_or_b32_e32 v28, 0x10000, v19
	v_cmp_eq_u32_sdwa s[8:9], v19, v18 src0_sel:WORD_0 src1_sel:DWORD
	v_cndmask_b32_e64 v18, v28, v19, s[8:9]
; %bb.607:
	s_or_b64 exec, exec, s[36:37]
	v_lshlrev_b32_e32 v19, 16, v49
	v_add_f32_e32 v28, 0, v19
	s_mov_b32 s8, 0x7f800000
	v_and_b32_e32 v19, 0x7f800000, v28
	v_cmp_ne_u32_e64 s[8:9], s8, v19
                                        ; implicit-def: $vgpr19
	s_and_saveexec_b64 s[36:37], s[8:9]
	s_xor_b64 s[8:9], exec, s[36:37]
; %bb.608:
	v_bfe_u32 v19, v28, 16, 1
	s_movk_i32 s36, 0x7fff
	v_add3_u32 v19, v28, v19, s36
                                        ; implicit-def: $vgpr28
; %bb.609:
	s_andn2_saveexec_b64 s[36:37], s[8:9]
; %bb.610:
	v_mov_b32_e32 v19, 0
	v_or_b32_e32 v29, 0x10000, v28
	v_cmp_eq_u32_sdwa s[8:9], v28, v19 src0_sel:WORD_0 src1_sel:DWORD
	v_cndmask_b32_e64 v19, v29, v28, s[8:9]
; %bb.611:
	s_or_b64 exec, exec, s[36:37]
	s_mov_b32 s8, 0x7060302
	v_perm_b32 v28, v19, v18, s8
	v_mov_b32_e32 v29, 0xffff8000
	v_cmp_lt_i32_e64 s[8:9], -1, v18
	v_cndmask_b32_e64 v18, -1, v29, s[8:9]
	v_cmp_lt_i32_e64 s[8:9], -1, v19
	v_cndmask_b32_e64 v19, -1, v29, s[8:9]
	s_mov_b32 s8, 0x5040100
	v_perm_b32 v18, v19, v18, s8
	v_xor_b32_e32 v18, v18, v28
	v_cmp_le_u16_sdwa s[8:9], v18, v18 src0_sel:DWORD src1_sel:WORD_1
	s_and_b64 s[36:37], s[8:9], exec
.LBB2059_612:
	s_or_b64 exec, exec, s[30:31]
	s_orn2_b64 s[30:31], s[36:37], exec
.LBB2059_613:
	s_or_b64 exec, exec, s[34:35]
	v_cndmask_b32_e64 v18, v16, v17, s[30:31]
	v_cndmask_b32_e64 v19, v31, v30, s[30:31]
	v_add_u32_e32 v52, 1, v18
	v_add_u32_e32 v19, -1, v19
	v_min_u32_e32 v19, v52, v19
	v_lshl_add_u32 v19, v19, 1, v12
	ds_read_u16 v19, v19
	v_lshl_add_u32 v18, v18, 3, v8
	ds_read_b64 v[28:29], v18 offset:4096
	v_cndmask_b32_e64 v16, v52, v16, s[30:31]
	v_cndmask_b32_e64 v17, v17, v52, s[30:31]
	s_waitcnt lgkmcnt(1)
	v_cndmask_b32_e64 v48, v19, v49, s[30:31]
	v_cndmask_b32_e64 v54, v53, v19, s[30:31]
	v_cmp_lt_u32_e64 s[8:9], v16, v31
	s_mov_b64 s[36:37], -1
	s_mov_b64 s[34:35], -1
	s_and_saveexec_b64 s[38:39], s[8:9]
	s_cbranch_execz .LBB2059_625
; %bb.614:
	v_cmp_lt_u32_e64 s[8:9], v17, v30
	s_mov_b64 s[40:41], 0
	s_and_saveexec_b64 s[34:35], s[8:9]
	s_cbranch_execz .LBB2059_624
; %bb.615:
	v_lshlrev_b32_e32 v18, 16, v54
	v_add_f32_e32 v19, 0, v18
	s_mov_b32 s8, 0x7f800000
	v_and_b32_e32 v18, 0x7f800000, v19
	v_cmp_ne_u32_e64 s[8:9], s8, v18
                                        ; implicit-def: $vgpr18
	s_and_saveexec_b64 s[40:41], s[8:9]
	s_xor_b64 s[8:9], exec, s[40:41]
; %bb.616:
	v_bfe_u32 v18, v19, 16, 1
	s_movk_i32 s40, 0x7fff
	v_add3_u32 v18, v19, v18, s40
                                        ; implicit-def: $vgpr19
; %bb.617:
	s_andn2_saveexec_b64 s[40:41], s[8:9]
; %bb.618:
	v_mov_b32_e32 v18, 0
	v_or_b32_e32 v52, 0x10000, v19
	v_cmp_eq_u32_sdwa s[8:9], v19, v18 src0_sel:WORD_0 src1_sel:DWORD
	v_cndmask_b32_e64 v18, v52, v19, s[8:9]
; %bb.619:
	s_or_b64 exec, exec, s[40:41]
	v_lshlrev_b32_e32 v19, 16, v48
	v_add_f32_e32 v52, 0, v19
	s_mov_b32 s8, 0x7f800000
	v_and_b32_e32 v19, 0x7f800000, v52
	v_cmp_ne_u32_e64 s[8:9], s8, v19
                                        ; implicit-def: $vgpr19
	s_and_saveexec_b64 s[40:41], s[8:9]
	s_xor_b64 s[8:9], exec, s[40:41]
; %bb.620:
	v_bfe_u32 v19, v52, 16, 1
	s_movk_i32 s40, 0x7fff
	v_add3_u32 v19, v52, v19, s40
                                        ; implicit-def: $vgpr52
; %bb.621:
	s_andn2_saveexec_b64 s[40:41], s[8:9]
; %bb.622:
	v_mov_b32_e32 v19, 0
	v_or_b32_e32 v55, 0x10000, v52
	v_cmp_eq_u32_sdwa s[8:9], v52, v19 src0_sel:WORD_0 src1_sel:DWORD
	v_cndmask_b32_e64 v19, v55, v52, s[8:9]
; %bb.623:
	s_or_b64 exec, exec, s[40:41]
	s_mov_b32 s8, 0x7060302
	v_perm_b32 v52, v19, v18, s8
	v_mov_b32_e32 v55, 0xffff8000
	v_cmp_lt_i32_e64 s[8:9], -1, v18
	v_cndmask_b32_e64 v18, -1, v55, s[8:9]
	v_cmp_lt_i32_e64 s[8:9], -1, v19
	v_cndmask_b32_e64 v19, -1, v55, s[8:9]
	s_mov_b32 s8, 0x5040100
	v_perm_b32 v18, v19, v18, s8
	v_xor_b32_e32 v18, v18, v52
	v_cmp_le_u16_sdwa s[8:9], v18, v18 src0_sel:DWORD src1_sel:WORD_1
	s_and_b64 s[40:41], s[8:9], exec
.LBB2059_624:
	s_or_b64 exec, exec, s[34:35]
	s_orn2_b64 s[34:35], s[40:41], exec
.LBB2059_625:
	s_or_b64 exec, exec, s[38:39]
	v_cndmask_b32_e64 v18, v16, v17, s[34:35]
	v_cndmask_b32_e64 v19, v31, v30, s[34:35]
	v_add_u32_e32 v64, 1, v18
	v_add_u32_e32 v19, -1, v19
	v_min_u32_e32 v19, v64, v19
	v_lshl_add_u32 v19, v19, 1, v12
	ds_read_u16 v55, v19
	v_lshl_add_u32 v18, v18, 3, v8
	ds_read_b64 v[18:19], v18 offset:4096
	v_cndmask_b32_e64 v66, v64, v16, s[34:35]
	v_cndmask_b32_e64 v67, v17, v64, s[34:35]
	s_waitcnt lgkmcnt(1)
	v_cndmask_b32_e64 v52, v55, v48, s[34:35]
	v_cndmask_b32_e64 v55, v54, v55, s[34:35]
	v_cmp_lt_u32_e64 s[8:9], v66, v31
	s_and_saveexec_b64 s[38:39], s[8:9]
	s_cbranch_execz .LBB2059_637
; %bb.626:
	v_cmp_lt_u32_e64 s[8:9], v67, v30
	s_mov_b64 s[40:41], 0
	s_and_saveexec_b64 s[36:37], s[8:9]
	s_cbranch_execz .LBB2059_636
; %bb.627:
	v_lshlrev_b32_e32 v16, 16, v55
	v_add_f32_e32 v17, 0, v16
	s_mov_b32 s8, 0x7f800000
	v_and_b32_e32 v16, 0x7f800000, v17
	v_cmp_ne_u32_e64 s[8:9], s8, v16
                                        ; implicit-def: $vgpr16
	s_and_saveexec_b64 s[40:41], s[8:9]
	s_xor_b64 s[8:9], exec, s[40:41]
; %bb.628:
	v_bfe_u32 v16, v17, 16, 1
	s_movk_i32 s40, 0x7fff
	v_add3_u32 v16, v17, v16, s40
                                        ; implicit-def: $vgpr17
; %bb.629:
	s_andn2_saveexec_b64 s[40:41], s[8:9]
; %bb.630:
	v_mov_b32_e32 v16, 0
	v_or_b32_e32 v64, 0x10000, v17
	v_cmp_eq_u32_sdwa s[8:9], v17, v16 src0_sel:WORD_0 src1_sel:DWORD
	v_cndmask_b32_e64 v16, v64, v17, s[8:9]
; %bb.631:
	s_or_b64 exec, exec, s[40:41]
	v_lshlrev_b32_e32 v17, 16, v52
	v_add_f32_e32 v64, 0, v17
	s_mov_b32 s8, 0x7f800000
	v_and_b32_e32 v17, 0x7f800000, v64
	v_cmp_ne_u32_e64 s[8:9], s8, v17
                                        ; implicit-def: $vgpr17
	s_and_saveexec_b64 s[40:41], s[8:9]
	s_xor_b64 s[8:9], exec, s[40:41]
; %bb.632:
	v_bfe_u32 v17, v64, 16, 1
	s_movk_i32 s40, 0x7fff
	v_add3_u32 v17, v64, v17, s40
                                        ; implicit-def: $vgpr64
; %bb.633:
	s_andn2_saveexec_b64 s[40:41], s[8:9]
; %bb.634:
	v_mov_b32_e32 v17, 0
	v_or_b32_e32 v65, 0x10000, v64
	v_cmp_eq_u32_sdwa s[8:9], v64, v17 src0_sel:WORD_0 src1_sel:DWORD
	v_cndmask_b32_e64 v17, v65, v64, s[8:9]
; %bb.635:
	s_or_b64 exec, exec, s[40:41]
	s_mov_b32 s8, 0x7060302
	v_perm_b32 v64, v17, v16, s8
	v_mov_b32_e32 v65, 0xffff8000
	v_cmp_lt_i32_e64 s[8:9], -1, v16
	v_cndmask_b32_e64 v16, -1, v65, s[8:9]
	v_cmp_lt_i32_e64 s[8:9], -1, v17
	v_cndmask_b32_e64 v17, -1, v65, s[8:9]
	s_mov_b32 s8, 0x5040100
	v_perm_b32 v16, v17, v16, s8
	v_xor_b32_e32 v16, v16, v64
	v_cmp_le_u16_sdwa s[8:9], v16, v16 src0_sel:DWORD src1_sel:WORD_1
	s_and_b64 s[40:41], s[8:9], exec
.LBB2059_636:
	s_or_b64 exec, exec, s[36:37]
	s_orn2_b64 s[36:37], s[40:41], exec
.LBB2059_637:
	s_or_b64 exec, exec, s[38:39]
	v_cndmask_b32_e64 v16, v66, v67, s[36:37]
	v_cndmask_b32_e64 v17, v31, v30, s[36:37]
	v_add_u32_e32 v68, 1, v16
	v_add_u32_e32 v17, -1, v17
	v_min_u32_e32 v17, v68, v17
	v_lshl_add_u32 v17, v17, 1, v12
	ds_read_u16 v65, v17
	v_lshl_add_u32 v16, v16, 3, v8
	ds_read_b64 v[16:17], v16 offset:4096
	v_cndmask_b32_e64 v66, v68, v66, s[36:37]
	v_cndmask_b32_e64 v67, v67, v68, s[36:37]
	s_waitcnt lgkmcnt(1)
	v_cndmask_b32_e64 v64, v65, v52, s[36:37]
	v_cndmask_b32_e64 v65, v55, v65, s[36:37]
	v_cmp_lt_u32_e64 s[8:9], v66, v31
	s_mov_b64 s[40:41], -1
	s_and_saveexec_b64 s[38:39], s[8:9]
	s_cbranch_execz .LBB2059_649
; %bb.638:
	v_cmp_lt_u32_e64 s[8:9], v67, v30
	s_mov_b64 s[42:43], 0
	s_and_saveexec_b64 s[40:41], s[8:9]
	s_cbranch_execz .LBB2059_648
; %bb.639:
	v_lshlrev_b32_e32 v30, 16, v65
	v_add_f32_e32 v31, 0, v30
	s_mov_b32 s8, 0x7f800000
	v_and_b32_e32 v30, 0x7f800000, v31
	v_cmp_ne_u32_e64 s[8:9], s8, v30
                                        ; implicit-def: $vgpr30
	s_and_saveexec_b64 s[42:43], s[8:9]
	s_xor_b64 s[8:9], exec, s[42:43]
; %bb.640:
	v_bfe_u32 v30, v31, 16, 1
	s_movk_i32 s42, 0x7fff
	v_add3_u32 v30, v31, v30, s42
                                        ; implicit-def: $vgpr31
; %bb.641:
	s_andn2_saveexec_b64 s[42:43], s[8:9]
; %bb.642:
	v_mov_b32_e32 v30, 0
	v_or_b32_e32 v68, 0x10000, v31
	v_cmp_eq_u32_sdwa s[8:9], v31, v30 src0_sel:WORD_0 src1_sel:DWORD
	v_cndmask_b32_e64 v30, v68, v31, s[8:9]
; %bb.643:
	s_or_b64 exec, exec, s[42:43]
	v_lshlrev_b32_e32 v31, 16, v64
	v_add_f32_e32 v68, 0, v31
	s_mov_b32 s8, 0x7f800000
	v_and_b32_e32 v31, 0x7f800000, v68
	v_cmp_ne_u32_e64 s[8:9], s8, v31
                                        ; implicit-def: $vgpr31
	s_and_saveexec_b64 s[42:43], s[8:9]
	s_xor_b64 s[8:9], exec, s[42:43]
; %bb.644:
	v_bfe_u32 v31, v68, 16, 1
	s_movk_i32 s42, 0x7fff
	v_add3_u32 v31, v68, v31, s42
                                        ; implicit-def: $vgpr68
; %bb.645:
	s_andn2_saveexec_b64 s[42:43], s[8:9]
; %bb.646:
	v_mov_b32_e32 v31, 0
	v_or_b32_e32 v69, 0x10000, v68
	v_cmp_eq_u32_sdwa s[8:9], v68, v31 src0_sel:WORD_0 src1_sel:DWORD
	v_cndmask_b32_e64 v31, v69, v68, s[8:9]
; %bb.647:
	s_or_b64 exec, exec, s[42:43]
	s_mov_b32 s8, 0x7060302
	v_perm_b32 v68, v31, v30, s8
	v_mov_b32_e32 v69, 0xffff8000
	v_cmp_lt_i32_e64 s[8:9], -1, v30
	v_cndmask_b32_e64 v30, -1, v69, s[8:9]
	v_cmp_lt_i32_e64 s[8:9], -1, v31
	v_cndmask_b32_e64 v31, -1, v69, s[8:9]
	s_mov_b32 s8, 0x5040100
	v_perm_b32 v30, v31, v30, s8
	v_xor_b32_e32 v30, v30, v68
	v_cmp_le_u16_sdwa s[8:9], v30, v30 src0_sel:DWORD src1_sel:WORD_1
	s_and_b64 s[42:43], s[8:9], exec
.LBB2059_648:
	s_or_b64 exec, exec, s[40:41]
	s_orn2_b64 s[40:41], s[42:43], exec
.LBB2059_649:
	s_or_b64 exec, exec, s[38:39]
	v_cndmask_b32_e64 v49, v49, v53, s[30:31]
	v_cndmask_b32_e64 v53, v22, v23, s[28:29]
	;; [unrolled: 1-line block ×3, first 2 shown]
	v_lshl_add_u32 v22, v22, 3, v8
	ds_read_b64 v[22:23], v22 offset:4096
	v_cndmask_b32_e64 v52, v52, v55, s[36:37]
	v_cndmask_b32_e64 v48, v48, v54, s[34:35]
	;; [unrolled: 1-line block ×6, first 2 shown]
.LBB2059_650:
	s_or_b64 exec, exec, s[22:23]
	s_mov_b32 s26, 0x5040100
	v_add_u32_e32 v21, 0x1000, v21
	v_perm_b32 v31, v39, v52, s26
	v_perm_b32 v30, v48, v49, s26
	;; [unrolled: 1-line block ×4, first 2 shown]
	; wave barrier
	ds_write2_b64 v21, v[4:5], v[10:11] offset1:1
	ds_write2_b64 v9, v[26:27], v[14:15] offset0:2 offset1:3
	ds_write2_b64 v9, v[28:29], v[18:19] offset0:4 offset1:5
	ds_write2_b64 v20, v[32:33], v[30:31] offset1:1
	s_waitcnt lgkmcnt(4)
	ds_write2_b64 v9, v[16:17], v[22:23] offset0:6 offset1:7
	v_and_b32_e32 v31, 0x380, v37
	v_or_b32_e32 v9, 64, v31
	v_min_u32_e32 v9, v13, v9
	v_add_u32_e32 v20, 64, v9
	v_min_u32_e32 v20, v13, v20
	v_min_u32_e32 v13, v13, v36
	v_sub_u32_e32 v32, v9, v31
	v_sub_u32_e32 v30, v20, v9
	v_sub_u32_e64 v30, v13, v30 clamp
	v_min_u32_e32 v32, v13, v32
	v_lshl_add_u32 v21, v31, 1, v12
	v_cmp_lt_u32_e64 s[8:9], v30, v32
	; wave barrier
	s_and_saveexec_b64 s[12:13], s[8:9]
	s_cbranch_execz .LBB2059_662
; %bb.651:
	v_lshlrev_b32_e32 v33, 1, v9
	v_lshlrev_b32_e32 v36, 1, v13
	v_add3_u32 v33, v12, v33, v36
	s_mov_b64 s[22:23], 0
	s_mov_b32 s27, 0x7f800000
	s_movk_i32 s28, 0x7fff
	s_mov_b32 s29, 0x7060302
	v_mov_b32_e32 v36, 0
	v_mov_b32_e32 v37, 0xffff8000
	s_branch .LBB2059_653
.LBB2059_652:                           ;   in Loop: Header=BB2059_653 Depth=1
	s_or_b64 exec, exec, s[24:25]
	v_cmp_lt_i32_e64 s[8:9], -1, v55
	v_perm_b32 v65, v64, v55, s29
	v_cndmask_b32_e64 v55, -1, v37, s[8:9]
	v_cmp_lt_i32_e64 s[8:9], -1, v64
	v_cndmask_b32_e64 v64, -1, v37, s[8:9]
	v_perm_b32 v55, v64, v55, s26
	v_xor_b32_e32 v55, v55, v65
	v_add_u32_e32 v64, 1, v54
	v_cmp_gt_u16_sdwa s[8:9], v55, v55 src0_sel:DWORD src1_sel:WORD_1
	v_cndmask_b32_e64 v32, v32, v54, s[8:9]
	v_cndmask_b32_e64 v30, v64, v30, s[8:9]
	v_cmp_ge_u32_e64 s[8:9], v30, v32
	s_or_b64 s[22:23], s[8:9], s[22:23]
	s_andn2_b64 exec, exec, s[22:23]
	s_cbranch_execz .LBB2059_661
.LBB2059_653:                           ; =>This Inner Loop Header: Depth=1
	v_add_u32_e32 v54, v32, v30
	v_and_b32_e32 v55, -2, v54
	v_add_u32_e32 v55, v21, v55
	ds_read_u16 v55, v55
	v_lshrrev_b32_e32 v54, 1, v54
	v_not_b32_e32 v64, v54
	v_lshl_add_u32 v64, v64, 1, v33
	ds_read_u16 v64, v64
	s_waitcnt lgkmcnt(1)
	v_lshlrev_b32_e32 v55, 16, v55
	v_add_f32_e32 v65, 0, v55
	v_and_b32_e32 v55, 0x7f800000, v65
	v_cmp_ne_u32_e64 s[8:9], s27, v55
                                        ; implicit-def: $vgpr55
	s_and_saveexec_b64 s[24:25], s[8:9]
	s_xor_b64 s[8:9], exec, s[24:25]
; %bb.654:                              ;   in Loop: Header=BB2059_653 Depth=1
	v_bfe_u32 v55, v65, 16, 1
	v_add3_u32 v55, v65, v55, s28
                                        ; implicit-def: $vgpr65
; %bb.655:                              ;   in Loop: Header=BB2059_653 Depth=1
	s_andn2_saveexec_b64 s[24:25], s[8:9]
; %bb.656:                              ;   in Loop: Header=BB2059_653 Depth=1
	v_or_b32_e32 v55, 0x10000, v65
	v_cmp_eq_u32_sdwa s[8:9], v65, v36 src0_sel:WORD_0 src1_sel:DWORD
	v_cndmask_b32_e64 v55, v55, v65, s[8:9]
; %bb.657:                              ;   in Loop: Header=BB2059_653 Depth=1
	s_or_b64 exec, exec, s[24:25]
	s_waitcnt lgkmcnt(0)
	v_lshlrev_b32_e32 v64, 16, v64
	v_add_f32_e32 v65, 0, v64
	v_and_b32_e32 v64, 0x7f800000, v65
	v_cmp_ne_u32_e64 s[8:9], s27, v64
                                        ; implicit-def: $vgpr64
	s_and_saveexec_b64 s[24:25], s[8:9]
	s_xor_b64 s[8:9], exec, s[24:25]
; %bb.658:                              ;   in Loop: Header=BB2059_653 Depth=1
	v_bfe_u32 v64, v65, 16, 1
	v_add3_u32 v64, v65, v64, s28
                                        ; implicit-def: $vgpr65
; %bb.659:                              ;   in Loop: Header=BB2059_653 Depth=1
	s_andn2_saveexec_b64 s[24:25], s[8:9]
	s_cbranch_execz .LBB2059_652
; %bb.660:                              ;   in Loop: Header=BB2059_653 Depth=1
	v_or_b32_e32 v64, 0x10000, v65
	v_cmp_eq_u32_sdwa s[8:9], v65, v36 src0_sel:WORD_0 src1_sel:DWORD
	v_cndmask_b32_e64 v64, v64, v65, s[8:9]
	s_branch .LBB2059_652
.LBB2059_661:
	s_or_b64 exec, exec, s[22:23]
.LBB2059_662:
	s_or_b64 exec, exec, s[12:13]
	v_add_u32_e32 v13, v9, v13
	v_add_u32_e32 v32, v30, v31
	v_sub_u32_e32 v33, v13, v30
	v_cmp_le_u32_e64 s[8:9], v32, v9
	v_cmp_le_u32_e64 s[12:13], v33, v20
	s_or_b64 s[8:9], s[8:9], s[12:13]
	s_and_saveexec_b64 s[22:23], s[8:9]
	s_cbranch_execz .LBB2059_762
; %bb.663:
	v_cmp_ge_u32_e64 s[8:9], v32, v9
	v_cmp_lt_u32_e64 s[12:13], v32, v9
                                        ; implicit-def: $vgpr13
	s_and_saveexec_b64 s[24:25], s[12:13]
	s_cbranch_execz .LBB2059_665
; %bb.664:
	v_lshl_add_u32 v4, v30, 1, v21
	ds_read_u16 v13, v4
.LBB2059_665:
	s_or_b64 exec, exec, s[24:25]
	v_cmp_ge_u32_e64 s[24:25], v33, v20
	v_cmp_lt_u32_e64 s[12:13], v33, v20
                                        ; implicit-def: $vgpr21
	s_and_saveexec_b64 s[26:27], s[12:13]
	s_cbranch_execz .LBB2059_667
; %bb.666:
	v_lshl_add_u32 v4, v33, 1, v12
	ds_read_u16 v21, v4
.LBB2059_667:
	s_or_b64 exec, exec, s[26:27]
	s_or_b64 s[8:9], s[8:9], s[24:25]
	s_xor_b64 s[8:9], s[8:9], -1
	s_and_saveexec_b64 s[12:13], s[8:9]
	s_cbranch_execz .LBB2059_677
; %bb.668:
	s_waitcnt lgkmcnt(0)
	v_lshlrev_b32_e32 v4, 16, v13
	v_add_f32_e32 v5, 0, v4
	s_mov_b32 s8, 0x7f800000
	v_and_b32_e32 v4, 0x7f800000, v5
	v_cmp_ne_u32_e64 s[8:9], s8, v4
                                        ; implicit-def: $vgpr4
	s_and_saveexec_b64 s[26:27], s[8:9]
	s_xor_b64 s[8:9], exec, s[26:27]
; %bb.669:
	v_bfe_u32 v4, v5, 16, 1
	s_movk_i32 s26, 0x7fff
	v_add3_u32 v4, v5, v4, s26
                                        ; implicit-def: $vgpr5
; %bb.670:
	s_andn2_saveexec_b64 s[26:27], s[8:9]
; %bb.671:
	v_mov_b32_e32 v4, 0
	v_or_b32_e32 v10, 0x10000, v5
	v_cmp_eq_u32_sdwa s[8:9], v5, v4 src0_sel:WORD_0 src1_sel:DWORD
	v_cndmask_b32_e64 v4, v10, v5, s[8:9]
; %bb.672:
	s_or_b64 exec, exec, s[26:27]
	v_lshlrev_b32_e32 v5, 16, v21
	v_add_f32_e32 v10, 0, v5
	s_mov_b32 s8, 0x7f800000
	v_and_b32_e32 v5, 0x7f800000, v10
	v_cmp_ne_u32_e64 s[8:9], s8, v5
                                        ; implicit-def: $vgpr5
	s_and_saveexec_b64 s[26:27], s[8:9]
	s_xor_b64 s[8:9], exec, s[26:27]
; %bb.673:
	v_bfe_u32 v5, v10, 16, 1
	s_movk_i32 s26, 0x7fff
	v_add3_u32 v5, v10, v5, s26
                                        ; implicit-def: $vgpr10
; %bb.674:
	s_andn2_saveexec_b64 s[26:27], s[8:9]
; %bb.675:
	v_mov_b32_e32 v5, 0
	v_or_b32_e32 v11, 0x10000, v10
	v_cmp_eq_u32_sdwa s[8:9], v10, v5 src0_sel:WORD_0 src1_sel:DWORD
	v_cndmask_b32_e64 v5, v11, v10, s[8:9]
; %bb.676:
	s_or_b64 exec, exec, s[26:27]
	s_mov_b32 s8, 0x7060302
	v_perm_b32 v10, v5, v4, s8
	v_mov_b32_e32 v11, 0xffff8000
	v_cmp_lt_i32_e64 s[8:9], -1, v4
	v_cndmask_b32_e64 v4, -1, v11, s[8:9]
	v_cmp_lt_i32_e64 s[8:9], -1, v5
	v_cndmask_b32_e64 v5, -1, v11, s[8:9]
	s_mov_b32 s8, 0x5040100
	v_perm_b32 v4, v5, v4, s8
	v_xor_b32_e32 v4, v4, v10
	v_cmp_le_u16_sdwa s[8:9], v4, v4 src0_sel:DWORD src1_sel:WORD_1
	s_andn2_b64 s[24:25], s[24:25], exec
	s_and_b64 s[8:9], s[8:9], exec
	s_or_b64 s[24:25], s[24:25], s[8:9]
.LBB2059_677:
	s_or_b64 exec, exec, s[12:13]
	v_cndmask_b32_e64 v4, v33, v32, s[24:25]
	v_cndmask_b32_e64 v5, v20, v9, s[24:25]
	v_add_u32_e32 v10, 1, v4
	v_add_u32_e32 v5, -1, v5
	v_min_u32_e32 v5, v10, v5
	v_lshl_add_u32 v5, v5, 1, v12
	ds_read_u16 v11, v5
	v_lshl_add_u32 v4, v4, 3, v8
	ds_read_b64 v[4:5], v4 offset:4096
	v_cndmask_b32_e64 v14, v10, v33, s[24:25]
	v_cndmask_b32_e64 v15, v32, v10, s[24:25]
	s_waitcnt lgkmcnt(1)
	v_cndmask_b32_e64 v30, v11, v21, s[24:25]
	v_cndmask_b32_e64 v31, v13, v11, s[24:25]
	v_cmp_lt_u32_e64 s[8:9], v14, v20
	s_mov_b64 s[26:27], -1
	s_mov_b64 s[12:13], -1
	s_and_saveexec_b64 s[28:29], s[8:9]
	s_cbranch_execz .LBB2059_689
; %bb.678:
	v_cmp_lt_u32_e64 s[8:9], v15, v9
	s_mov_b64 s[30:31], 0
	s_and_saveexec_b64 s[12:13], s[8:9]
	s_cbranch_execz .LBB2059_688
; %bb.679:
	v_lshlrev_b32_e32 v10, 16, v31
	v_add_f32_e32 v11, 0, v10
	s_mov_b32 s8, 0x7f800000
	v_and_b32_e32 v10, 0x7f800000, v11
	v_cmp_ne_u32_e64 s[8:9], s8, v10
                                        ; implicit-def: $vgpr10
	s_and_saveexec_b64 s[30:31], s[8:9]
	s_xor_b64 s[8:9], exec, s[30:31]
; %bb.680:
	v_bfe_u32 v10, v11, 16, 1
	s_movk_i32 s30, 0x7fff
	v_add3_u32 v10, v11, v10, s30
                                        ; implicit-def: $vgpr11
; %bb.681:
	s_andn2_saveexec_b64 s[30:31], s[8:9]
; %bb.682:
	v_mov_b32_e32 v10, 0
	v_or_b32_e32 v16, 0x10000, v11
	v_cmp_eq_u32_sdwa s[8:9], v11, v10 src0_sel:WORD_0 src1_sel:DWORD
	v_cndmask_b32_e64 v10, v16, v11, s[8:9]
; %bb.683:
	s_or_b64 exec, exec, s[30:31]
	v_lshlrev_b32_e32 v11, 16, v30
	v_add_f32_e32 v16, 0, v11
	s_mov_b32 s8, 0x7f800000
	v_and_b32_e32 v11, 0x7f800000, v16
	v_cmp_ne_u32_e64 s[8:9], s8, v11
                                        ; implicit-def: $vgpr11
	s_and_saveexec_b64 s[30:31], s[8:9]
	s_xor_b64 s[8:9], exec, s[30:31]
; %bb.684:
	v_bfe_u32 v11, v16, 16, 1
	s_movk_i32 s30, 0x7fff
	v_add3_u32 v11, v16, v11, s30
                                        ; implicit-def: $vgpr16
; %bb.685:
	s_andn2_saveexec_b64 s[30:31], s[8:9]
; %bb.686:
	v_mov_b32_e32 v11, 0
	v_or_b32_e32 v17, 0x10000, v16
	v_cmp_eq_u32_sdwa s[8:9], v16, v11 src0_sel:WORD_0 src1_sel:DWORD
	v_cndmask_b32_e64 v11, v17, v16, s[8:9]
; %bb.687:
	s_or_b64 exec, exec, s[30:31]
	s_mov_b32 s8, 0x7060302
	v_perm_b32 v16, v11, v10, s8
	v_mov_b32_e32 v17, 0xffff8000
	v_cmp_lt_i32_e64 s[8:9], -1, v10
	v_cndmask_b32_e64 v10, -1, v17, s[8:9]
	v_cmp_lt_i32_e64 s[8:9], -1, v11
	v_cndmask_b32_e64 v11, -1, v17, s[8:9]
	s_mov_b32 s8, 0x5040100
	v_perm_b32 v10, v11, v10, s8
	v_xor_b32_e32 v10, v10, v16
	v_cmp_le_u16_sdwa s[8:9], v10, v10 src0_sel:DWORD src1_sel:WORD_1
	s_and_b64 s[30:31], s[8:9], exec
.LBB2059_688:
	s_or_b64 exec, exec, s[12:13]
	s_orn2_b64 s[12:13], s[30:31], exec
.LBB2059_689:
	s_or_b64 exec, exec, s[28:29]
	v_cndmask_b32_e64 v10, v14, v15, s[12:13]
	v_cndmask_b32_e64 v11, v20, v9, s[12:13]
	v_add_u32_e32 v16, 1, v10
	v_add_u32_e32 v11, -1, v11
	v_min_u32_e32 v11, v16, v11
	v_lshl_add_u32 v11, v11, 1, v12
	ds_read_u16 v17, v11
	v_lshl_add_u32 v10, v10, 3, v8
	ds_read_b64 v[10:11], v10 offset:4096
	v_cndmask_b32_e64 v14, v16, v14, s[12:13]
	v_cndmask_b32_e64 v15, v15, v16, s[12:13]
	s_waitcnt lgkmcnt(1)
	v_cndmask_b32_e64 v32, v17, v30, s[12:13]
	v_cndmask_b32_e64 v33, v31, v17, s[12:13]
	v_cmp_lt_u32_e64 s[8:9], v14, v20
	s_and_saveexec_b64 s[28:29], s[8:9]
	s_cbranch_execz .LBB2059_701
; %bb.690:
	v_cmp_lt_u32_e64 s[8:9], v15, v9
	s_mov_b64 s[30:31], 0
	s_and_saveexec_b64 s[26:27], s[8:9]
	s_cbranch_execz .LBB2059_700
; %bb.691:
	v_lshlrev_b32_e32 v16, 16, v33
	v_add_f32_e32 v17, 0, v16
	s_mov_b32 s8, 0x7f800000
	v_and_b32_e32 v16, 0x7f800000, v17
	v_cmp_ne_u32_e64 s[8:9], s8, v16
                                        ; implicit-def: $vgpr16
	s_and_saveexec_b64 s[30:31], s[8:9]
	s_xor_b64 s[8:9], exec, s[30:31]
; %bb.692:
	v_bfe_u32 v16, v17, 16, 1
	s_movk_i32 s30, 0x7fff
	v_add3_u32 v16, v17, v16, s30
                                        ; implicit-def: $vgpr17
; %bb.693:
	s_andn2_saveexec_b64 s[30:31], s[8:9]
; %bb.694:
	v_mov_b32_e32 v16, 0
	v_or_b32_e32 v18, 0x10000, v17
	v_cmp_eq_u32_sdwa s[8:9], v17, v16 src0_sel:WORD_0 src1_sel:DWORD
	v_cndmask_b32_e64 v16, v18, v17, s[8:9]
; %bb.695:
	s_or_b64 exec, exec, s[30:31]
	v_lshlrev_b32_e32 v17, 16, v32
	v_add_f32_e32 v18, 0, v17
	s_mov_b32 s8, 0x7f800000
	v_and_b32_e32 v17, 0x7f800000, v18
	v_cmp_ne_u32_e64 s[8:9], s8, v17
                                        ; implicit-def: $vgpr17
	s_and_saveexec_b64 s[30:31], s[8:9]
	s_xor_b64 s[8:9], exec, s[30:31]
; %bb.696:
	v_bfe_u32 v17, v18, 16, 1
	s_movk_i32 s30, 0x7fff
	v_add3_u32 v17, v18, v17, s30
                                        ; implicit-def: $vgpr18
; %bb.697:
	s_andn2_saveexec_b64 s[30:31], s[8:9]
; %bb.698:
	v_mov_b32_e32 v17, 0
	v_or_b32_e32 v19, 0x10000, v18
	v_cmp_eq_u32_sdwa s[8:9], v18, v17 src0_sel:WORD_0 src1_sel:DWORD
	v_cndmask_b32_e64 v17, v19, v18, s[8:9]
; %bb.699:
	s_or_b64 exec, exec, s[30:31]
	s_mov_b32 s8, 0x7060302
	v_perm_b32 v18, v17, v16, s8
	v_mov_b32_e32 v19, 0xffff8000
	v_cmp_lt_i32_e64 s[8:9], -1, v16
	v_cndmask_b32_e64 v16, -1, v19, s[8:9]
	v_cmp_lt_i32_e64 s[8:9], -1, v17
	v_cndmask_b32_e64 v17, -1, v19, s[8:9]
	s_mov_b32 s8, 0x5040100
	v_perm_b32 v16, v17, v16, s8
	v_xor_b32_e32 v16, v16, v18
	v_cmp_le_u16_sdwa s[8:9], v16, v16 src0_sel:DWORD src1_sel:WORD_1
	s_and_b64 s[30:31], s[8:9], exec
.LBB2059_700:
	s_or_b64 exec, exec, s[26:27]
	s_orn2_b64 s[26:27], s[30:31], exec
.LBB2059_701:
	s_or_b64 exec, exec, s[28:29]
	v_cndmask_b32_e64 v16, v14, v15, s[26:27]
	v_cndmask_b32_e64 v17, v20, v9, s[26:27]
	v_add_u32_e32 v18, 1, v16
	v_add_u32_e32 v17, -1, v17
	v_min_u32_e32 v17, v18, v17
	v_lshl_add_u32 v17, v17, 1, v12
	ds_read_u16 v17, v17
	v_lshl_add_u32 v16, v16, 3, v8
	ds_read_b64 v[26:27], v16 offset:4096
	v_cndmask_b32_e64 v16, v18, v14, s[26:27]
	v_cmp_lt_u32_e64 s[8:9], v16, v20
	s_waitcnt lgkmcnt(1)
	v_cndmask_b32_e64 v22, v17, v32, s[26:27]
	v_cndmask_b32_e64 v23, v33, v17, s[26:27]
	;; [unrolled: 1-line block ×3, first 2 shown]
	s_mov_b64 s[30:31], -1
	s_mov_b64 s[28:29], -1
	s_and_saveexec_b64 s[34:35], s[8:9]
	s_cbranch_execz .LBB2059_713
; %bb.702:
	v_cmp_lt_u32_e64 s[8:9], v17, v9
	s_mov_b64 s[36:37], 0
	s_and_saveexec_b64 s[28:29], s[8:9]
	s_cbranch_execz .LBB2059_712
; %bb.703:
	v_lshlrev_b32_e32 v14, 16, v23
	v_add_f32_e32 v15, 0, v14
	s_mov_b32 s8, 0x7f800000
	v_and_b32_e32 v14, 0x7f800000, v15
	v_cmp_ne_u32_e64 s[8:9], s8, v14
                                        ; implicit-def: $vgpr14
	s_and_saveexec_b64 s[36:37], s[8:9]
	s_xor_b64 s[8:9], exec, s[36:37]
; %bb.704:
	v_bfe_u32 v14, v15, 16, 1
	s_movk_i32 s36, 0x7fff
	v_add3_u32 v14, v15, v14, s36
                                        ; implicit-def: $vgpr15
; %bb.705:
	s_andn2_saveexec_b64 s[36:37], s[8:9]
; %bb.706:
	v_mov_b32_e32 v14, 0
	v_or_b32_e32 v18, 0x10000, v15
	v_cmp_eq_u32_sdwa s[8:9], v15, v14 src0_sel:WORD_0 src1_sel:DWORD
	v_cndmask_b32_e64 v14, v18, v15, s[8:9]
; %bb.707:
	s_or_b64 exec, exec, s[36:37]
	v_lshlrev_b32_e32 v15, 16, v22
	v_add_f32_e32 v18, 0, v15
	s_mov_b32 s8, 0x7f800000
	v_and_b32_e32 v15, 0x7f800000, v18
	v_cmp_ne_u32_e64 s[8:9], s8, v15
                                        ; implicit-def: $vgpr15
	s_and_saveexec_b64 s[36:37], s[8:9]
	s_xor_b64 s[8:9], exec, s[36:37]
; %bb.708:
	v_bfe_u32 v15, v18, 16, 1
	s_movk_i32 s36, 0x7fff
	v_add3_u32 v15, v18, v15, s36
                                        ; implicit-def: $vgpr18
; %bb.709:
	s_andn2_saveexec_b64 s[36:37], s[8:9]
; %bb.710:
	v_mov_b32_e32 v15, 0
	v_or_b32_e32 v19, 0x10000, v18
	v_cmp_eq_u32_sdwa s[8:9], v18, v15 src0_sel:WORD_0 src1_sel:DWORD
	v_cndmask_b32_e64 v15, v19, v18, s[8:9]
; %bb.711:
	s_or_b64 exec, exec, s[36:37]
	s_mov_b32 s8, 0x7060302
	v_perm_b32 v18, v15, v14, s8
	v_mov_b32_e32 v19, 0xffff8000
	v_cmp_lt_i32_e64 s[8:9], -1, v14
	v_cndmask_b32_e64 v14, -1, v19, s[8:9]
	v_cmp_lt_i32_e64 s[8:9], -1, v15
	v_cndmask_b32_e64 v15, -1, v19, s[8:9]
	s_mov_b32 s8, 0x5040100
	v_perm_b32 v14, v15, v14, s8
	v_xor_b32_e32 v14, v14, v18
	v_cmp_le_u16_sdwa s[8:9], v14, v14 src0_sel:DWORD src1_sel:WORD_1
	s_and_b64 s[36:37], s[8:9], exec
.LBB2059_712:
	s_or_b64 exec, exec, s[28:29]
	s_orn2_b64 s[28:29], s[36:37], exec
.LBB2059_713:
	s_or_b64 exec, exec, s[34:35]
	v_cndmask_b32_e64 v14, v16, v17, s[28:29]
	v_cndmask_b32_e64 v15, v20, v9, s[28:29]
	v_add_u32_e32 v18, 1, v14
	v_add_u32_e32 v15, -1, v15
	v_min_u32_e32 v15, v18, v15
	v_lshl_add_u32 v15, v15, 1, v12
	ds_read_u16 v19, v15
	v_lshl_add_u32 v14, v14, 3, v8
	ds_read_b64 v[14:15], v14 offset:4096
	v_cndmask_b32_e64 v16, v18, v16, s[28:29]
	v_cndmask_b32_e64 v17, v17, v18, s[28:29]
	s_waitcnt lgkmcnt(1)
	v_cndmask_b32_e64 v36, v19, v22, s[28:29]
	v_cndmask_b32_e64 v37, v23, v19, s[28:29]
	v_cmp_lt_u32_e64 s[8:9], v16, v20
	s_and_saveexec_b64 s[34:35], s[8:9]
	s_cbranch_execz .LBB2059_725
; %bb.714:
	v_cmp_lt_u32_e64 s[8:9], v17, v9
	s_mov_b64 s[36:37], 0
	s_and_saveexec_b64 s[30:31], s[8:9]
	s_cbranch_execz .LBB2059_724
; %bb.715:
	v_lshlrev_b32_e32 v18, 16, v37
	v_add_f32_e32 v19, 0, v18
	s_mov_b32 s8, 0x7f800000
	v_and_b32_e32 v18, 0x7f800000, v19
	v_cmp_ne_u32_e64 s[8:9], s8, v18
                                        ; implicit-def: $vgpr18
	s_and_saveexec_b64 s[36:37], s[8:9]
	s_xor_b64 s[8:9], exec, s[36:37]
; %bb.716:
	v_bfe_u32 v18, v19, 16, 1
	s_movk_i32 s36, 0x7fff
	v_add3_u32 v18, v19, v18, s36
                                        ; implicit-def: $vgpr19
; %bb.717:
	s_andn2_saveexec_b64 s[36:37], s[8:9]
; %bb.718:
	v_mov_b32_e32 v18, 0
	v_or_b32_e32 v28, 0x10000, v19
	v_cmp_eq_u32_sdwa s[8:9], v19, v18 src0_sel:WORD_0 src1_sel:DWORD
	v_cndmask_b32_e64 v18, v28, v19, s[8:9]
; %bb.719:
	s_or_b64 exec, exec, s[36:37]
	v_lshlrev_b32_e32 v19, 16, v36
	v_add_f32_e32 v28, 0, v19
	s_mov_b32 s8, 0x7f800000
	v_and_b32_e32 v19, 0x7f800000, v28
	v_cmp_ne_u32_e64 s[8:9], s8, v19
                                        ; implicit-def: $vgpr19
	s_and_saveexec_b64 s[36:37], s[8:9]
	s_xor_b64 s[8:9], exec, s[36:37]
; %bb.720:
	v_bfe_u32 v19, v28, 16, 1
	s_movk_i32 s36, 0x7fff
	v_add3_u32 v19, v28, v19, s36
                                        ; implicit-def: $vgpr28
; %bb.721:
	s_andn2_saveexec_b64 s[36:37], s[8:9]
; %bb.722:
	v_mov_b32_e32 v19, 0
	v_or_b32_e32 v29, 0x10000, v28
	v_cmp_eq_u32_sdwa s[8:9], v28, v19 src0_sel:WORD_0 src1_sel:DWORD
	v_cndmask_b32_e64 v19, v29, v28, s[8:9]
; %bb.723:
	s_or_b64 exec, exec, s[36:37]
	s_mov_b32 s8, 0x7060302
	v_perm_b32 v28, v19, v18, s8
	v_mov_b32_e32 v29, 0xffff8000
	v_cmp_lt_i32_e64 s[8:9], -1, v18
	v_cndmask_b32_e64 v18, -1, v29, s[8:9]
	v_cmp_lt_i32_e64 s[8:9], -1, v19
	v_cndmask_b32_e64 v19, -1, v29, s[8:9]
	s_mov_b32 s8, 0x5040100
	v_perm_b32 v18, v19, v18, s8
	v_xor_b32_e32 v18, v18, v28
	v_cmp_le_u16_sdwa s[8:9], v18, v18 src0_sel:DWORD src1_sel:WORD_1
	s_and_b64 s[36:37], s[8:9], exec
.LBB2059_724:
	s_or_b64 exec, exec, s[30:31]
	s_orn2_b64 s[30:31], s[36:37], exec
.LBB2059_725:
	s_or_b64 exec, exec, s[34:35]
	v_cndmask_b32_e64 v18, v16, v17, s[30:31]
	v_cndmask_b32_e64 v19, v20, v9, s[30:31]
	v_add_u32_e32 v48, 1, v18
	v_add_u32_e32 v19, -1, v19
	v_min_u32_e32 v19, v48, v19
	v_lshl_add_u32 v19, v19, 1, v12
	ds_read_u16 v19, v19
	v_lshl_add_u32 v18, v18, 3, v8
	ds_read_b64 v[28:29], v18 offset:4096
	v_cndmask_b32_e64 v16, v48, v16, s[30:31]
	v_cndmask_b32_e64 v17, v17, v48, s[30:31]
	s_waitcnt lgkmcnt(1)
	v_cndmask_b32_e64 v38, v19, v36, s[30:31]
	v_cndmask_b32_e64 v39, v37, v19, s[30:31]
	v_cmp_lt_u32_e64 s[8:9], v16, v20
	s_mov_b64 s[36:37], -1
	s_mov_b64 s[34:35], -1
	s_and_saveexec_b64 s[38:39], s[8:9]
	s_cbranch_execz .LBB2059_737
; %bb.726:
	v_cmp_lt_u32_e64 s[8:9], v17, v9
	s_mov_b64 s[40:41], 0
	s_and_saveexec_b64 s[34:35], s[8:9]
	s_cbranch_execz .LBB2059_736
; %bb.727:
	v_lshlrev_b32_e32 v18, 16, v39
	v_add_f32_e32 v19, 0, v18
	s_mov_b32 s8, 0x7f800000
	v_and_b32_e32 v18, 0x7f800000, v19
	v_cmp_ne_u32_e64 s[8:9], s8, v18
                                        ; implicit-def: $vgpr18
	s_and_saveexec_b64 s[40:41], s[8:9]
	s_xor_b64 s[8:9], exec, s[40:41]
; %bb.728:
	v_bfe_u32 v18, v19, 16, 1
	s_movk_i32 s40, 0x7fff
	v_add3_u32 v18, v19, v18, s40
                                        ; implicit-def: $vgpr19
; %bb.729:
	s_andn2_saveexec_b64 s[40:41], s[8:9]
; %bb.730:
	v_mov_b32_e32 v18, 0
	v_or_b32_e32 v48, 0x10000, v19
	v_cmp_eq_u32_sdwa s[8:9], v19, v18 src0_sel:WORD_0 src1_sel:DWORD
	v_cndmask_b32_e64 v18, v48, v19, s[8:9]
; %bb.731:
	s_or_b64 exec, exec, s[40:41]
	v_lshlrev_b32_e32 v19, 16, v38
	v_add_f32_e32 v48, 0, v19
	s_mov_b32 s8, 0x7f800000
	v_and_b32_e32 v19, 0x7f800000, v48
	v_cmp_ne_u32_e64 s[8:9], s8, v19
                                        ; implicit-def: $vgpr19
	s_and_saveexec_b64 s[40:41], s[8:9]
	s_xor_b64 s[8:9], exec, s[40:41]
; %bb.732:
	v_bfe_u32 v19, v48, 16, 1
	s_movk_i32 s40, 0x7fff
	v_add3_u32 v19, v48, v19, s40
                                        ; implicit-def: $vgpr48
; %bb.733:
	s_andn2_saveexec_b64 s[40:41], s[8:9]
; %bb.734:
	v_mov_b32_e32 v19, 0
	v_or_b32_e32 v49, 0x10000, v48
	v_cmp_eq_u32_sdwa s[8:9], v48, v19 src0_sel:WORD_0 src1_sel:DWORD
	v_cndmask_b32_e64 v19, v49, v48, s[8:9]
; %bb.735:
	s_or_b64 exec, exec, s[40:41]
	s_mov_b32 s8, 0x7060302
	v_perm_b32 v48, v19, v18, s8
	v_mov_b32_e32 v49, 0xffff8000
	v_cmp_lt_i32_e64 s[8:9], -1, v18
	v_cndmask_b32_e64 v18, -1, v49, s[8:9]
	v_cmp_lt_i32_e64 s[8:9], -1, v19
	v_cndmask_b32_e64 v19, -1, v49, s[8:9]
	s_mov_b32 s8, 0x5040100
	v_perm_b32 v18, v19, v18, s8
	v_xor_b32_e32 v18, v18, v48
	v_cmp_le_u16_sdwa s[8:9], v18, v18 src0_sel:DWORD src1_sel:WORD_1
	s_and_b64 s[40:41], s[8:9], exec
.LBB2059_736:
	s_or_b64 exec, exec, s[34:35]
	s_orn2_b64 s[34:35], s[40:41], exec
.LBB2059_737:
	s_or_b64 exec, exec, s[38:39]
	v_cndmask_b32_e64 v18, v16, v17, s[34:35]
	v_cndmask_b32_e64 v19, v20, v9, s[34:35]
	v_add_u32_e32 v51, 1, v18
	v_add_u32_e32 v19, -1, v19
	v_min_u32_e32 v19, v51, v19
	v_lshl_add_u32 v19, v19, 1, v12
	ds_read_u16 v49, v19
	v_lshl_add_u32 v18, v18, 3, v8
	ds_read_b64 v[18:19], v18 offset:4096
	v_cndmask_b32_e64 v50, v51, v16, s[34:35]
	v_cndmask_b32_e64 v51, v17, v51, s[34:35]
	s_waitcnt lgkmcnt(1)
	v_cndmask_b32_e64 v48, v49, v38, s[34:35]
	v_cndmask_b32_e64 v49, v39, v49, s[34:35]
	v_cmp_lt_u32_e64 s[8:9], v50, v20
	s_and_saveexec_b64 s[38:39], s[8:9]
	s_cbranch_execz .LBB2059_749
; %bb.738:
	v_cmp_lt_u32_e64 s[8:9], v51, v9
	s_mov_b64 s[40:41], 0
	s_and_saveexec_b64 s[36:37], s[8:9]
	s_cbranch_execz .LBB2059_748
; %bb.739:
	v_lshlrev_b32_e32 v16, 16, v49
	v_add_f32_e32 v17, 0, v16
	s_mov_b32 s8, 0x7f800000
	v_and_b32_e32 v16, 0x7f800000, v17
	v_cmp_ne_u32_e64 s[8:9], s8, v16
                                        ; implicit-def: $vgpr16
	s_and_saveexec_b64 s[40:41], s[8:9]
	s_xor_b64 s[8:9], exec, s[40:41]
; %bb.740:
	v_bfe_u32 v16, v17, 16, 1
	s_movk_i32 s40, 0x7fff
	v_add3_u32 v16, v17, v16, s40
                                        ; implicit-def: $vgpr17
; %bb.741:
	s_andn2_saveexec_b64 s[40:41], s[8:9]
; %bb.742:
	v_mov_b32_e32 v16, 0
	v_or_b32_e32 v52, 0x10000, v17
	v_cmp_eq_u32_sdwa s[8:9], v17, v16 src0_sel:WORD_0 src1_sel:DWORD
	v_cndmask_b32_e64 v16, v52, v17, s[8:9]
; %bb.743:
	s_or_b64 exec, exec, s[40:41]
	v_lshlrev_b32_e32 v17, 16, v48
	v_add_f32_e32 v52, 0, v17
	s_mov_b32 s8, 0x7f800000
	v_and_b32_e32 v17, 0x7f800000, v52
	v_cmp_ne_u32_e64 s[8:9], s8, v17
                                        ; implicit-def: $vgpr17
	s_and_saveexec_b64 s[40:41], s[8:9]
	s_xor_b64 s[8:9], exec, s[40:41]
; %bb.744:
	v_bfe_u32 v17, v52, 16, 1
	s_movk_i32 s40, 0x7fff
	v_add3_u32 v17, v52, v17, s40
                                        ; implicit-def: $vgpr52
; %bb.745:
	s_andn2_saveexec_b64 s[40:41], s[8:9]
; %bb.746:
	v_mov_b32_e32 v17, 0
	v_or_b32_e32 v53, 0x10000, v52
	v_cmp_eq_u32_sdwa s[8:9], v52, v17 src0_sel:WORD_0 src1_sel:DWORD
	v_cndmask_b32_e64 v17, v53, v52, s[8:9]
; %bb.747:
	s_or_b64 exec, exec, s[40:41]
	s_mov_b32 s8, 0x7060302
	v_perm_b32 v52, v17, v16, s8
	v_mov_b32_e32 v53, 0xffff8000
	v_cmp_lt_i32_e64 s[8:9], -1, v16
	v_cndmask_b32_e64 v16, -1, v53, s[8:9]
	v_cmp_lt_i32_e64 s[8:9], -1, v17
	v_cndmask_b32_e64 v17, -1, v53, s[8:9]
	s_mov_b32 s8, 0x5040100
	v_perm_b32 v16, v17, v16, s8
	v_xor_b32_e32 v16, v16, v52
	v_cmp_le_u16_sdwa s[8:9], v16, v16 src0_sel:DWORD src1_sel:WORD_1
	s_and_b64 s[40:41], s[8:9], exec
.LBB2059_748:
	s_or_b64 exec, exec, s[36:37]
	s_orn2_b64 s[36:37], s[40:41], exec
.LBB2059_749:
	s_or_b64 exec, exec, s[38:39]
	v_cndmask_b32_e64 v16, v50, v51, s[36:37]
	v_cndmask_b32_e64 v17, v20, v9, s[36:37]
	v_add_u32_e32 v52, 1, v16
	v_add_u32_e32 v17, -1, v17
	v_min_u32_e32 v17, v52, v17
	v_lshl_add_u32 v12, v17, 1, v12
	ds_read_u16 v53, v12
	v_lshl_add_u32 v12, v16, 3, v8
	ds_read_b64 v[16:17], v12 offset:4096
	v_cndmask_b32_e64 v50, v52, v50, s[36:37]
	v_cndmask_b32_e64 v51, v51, v52, s[36:37]
	s_waitcnt lgkmcnt(1)
	v_cndmask_b32_e64 v12, v53, v48, s[36:37]
	v_cndmask_b32_e64 v54, v49, v53, s[36:37]
	v_cmp_lt_u32_e64 s[8:9], v50, v20
	s_mov_b64 s[40:41], -1
	s_and_saveexec_b64 s[38:39], s[8:9]
	s_cbranch_execz .LBB2059_761
; %bb.750:
	v_cmp_lt_u32_e64 s[8:9], v51, v9
	s_mov_b64 s[42:43], 0
	s_and_saveexec_b64 s[40:41], s[8:9]
	s_cbranch_execz .LBB2059_760
; %bb.751:
	v_lshlrev_b32_e32 v9, 16, v54
	v_add_f32_e32 v20, 0, v9
	s_mov_b32 s8, 0x7f800000
	v_and_b32_e32 v9, 0x7f800000, v20
	v_cmp_ne_u32_e64 s[8:9], s8, v9
                                        ; implicit-def: $vgpr9
	s_and_saveexec_b64 s[42:43], s[8:9]
	s_xor_b64 s[8:9], exec, s[42:43]
; %bb.752:
	v_bfe_u32 v9, v20, 16, 1
	s_movk_i32 s42, 0x7fff
	v_add3_u32 v9, v20, v9, s42
                                        ; implicit-def: $vgpr20
; %bb.753:
	s_andn2_saveexec_b64 s[42:43], s[8:9]
; %bb.754:
	v_mov_b32_e32 v9, 0
	v_or_b32_e32 v52, 0x10000, v20
	v_cmp_eq_u32_sdwa s[8:9], v20, v9 src0_sel:WORD_0 src1_sel:DWORD
	v_cndmask_b32_e64 v9, v52, v20, s[8:9]
; %bb.755:
	s_or_b64 exec, exec, s[42:43]
	v_lshlrev_b32_e32 v20, 16, v12
	v_add_f32_e32 v52, 0, v20
	s_mov_b32 s8, 0x7f800000
	v_and_b32_e32 v20, 0x7f800000, v52
	v_cmp_ne_u32_e64 s[8:9], s8, v20
                                        ; implicit-def: $vgpr20
	s_and_saveexec_b64 s[42:43], s[8:9]
	s_xor_b64 s[8:9], exec, s[42:43]
; %bb.756:
	v_bfe_u32 v20, v52, 16, 1
	s_movk_i32 s42, 0x7fff
	v_add3_u32 v20, v52, v20, s42
                                        ; implicit-def: $vgpr52
; %bb.757:
	s_andn2_saveexec_b64 s[42:43], s[8:9]
; %bb.758:
	v_mov_b32_e32 v20, 0
	v_or_b32_e32 v53, 0x10000, v52
	v_cmp_eq_u32_sdwa s[8:9], v52, v20 src0_sel:WORD_0 src1_sel:DWORD
	v_cndmask_b32_e64 v20, v53, v52, s[8:9]
; %bb.759:
	s_or_b64 exec, exec, s[42:43]
	s_mov_b32 s8, 0x7060302
	v_perm_b32 v52, v20, v9, s8
	v_mov_b32_e32 v53, 0xffff8000
	v_cmp_lt_i32_e64 s[8:9], -1, v9
	v_cndmask_b32_e64 v9, -1, v53, s[8:9]
	v_cmp_lt_i32_e64 s[8:9], -1, v20
	v_cndmask_b32_e64 v20, -1, v53, s[8:9]
	s_mov_b32 s8, 0x5040100
	v_perm_b32 v9, v20, v9, s8
	v_xor_b32_e32 v9, v9, v52
	v_cmp_le_u16_sdwa s[8:9], v9, v9 src0_sel:DWORD src1_sel:WORD_1
	s_and_b64 s[42:43], s[8:9], exec
.LBB2059_760:
	s_or_b64 exec, exec, s[40:41]
	s_orn2_b64 s[40:41], s[42:43], exec
.LBB2059_761:
	s_or_b64 exec, exec, s[38:39]
	v_cndmask_b32_e64 v9, v50, v51, s[40:41]
	v_lshl_add_u32 v8, v9, 3, v8
	v_cndmask_b32_e64 v53, v22, v23, s[28:29]
	ds_read_b64 v[22:23], v8 offset:4096
	v_cndmask_b32_e64 v52, v48, v49, s[36:37]
	v_cndmask_b32_e64 v48, v38, v39, s[34:35]
	;; [unrolled: 1-line block ×7, first 2 shown]
.LBB2059_762:
	s_or_b64 exec, exec, s[22:23]
	v_add_co_u32_e64 v2, s[8:9], v2, v24
	v_addc_co_u32_e64 v3, s[8:9], v3, v25, s[8:9]
	v_add_co_u32_e64 v2, s[8:9], v2, v34
	v_addc_co_u32_e64 v3, s[8:9], 0, v3, s[8:9]
	; wave barrier
	s_waitcnt lgkmcnt(0)
	s_barrier
	s_waitcnt lgkmcnt(0)
	; wave barrier
	s_and_saveexec_b64 s[8:9], vcc
	s_cbranch_execnz .LBB2059_781
; %bb.763:
	s_or_b64 exec, exec, s[8:9]
	s_and_saveexec_b64 s[8:9], s[4:5]
	s_cbranch_execnz .LBB2059_782
.LBB2059_764:
	s_or_b64 exec, exec, s[8:9]
	s_and_saveexec_b64 s[8:9], s[6:7]
	s_cbranch_execnz .LBB2059_783
.LBB2059_765:
	s_or_b64 exec, exec, s[8:9]
	s_and_saveexec_b64 s[8:9], s[18:19]
	s_cbranch_execnz .LBB2059_784
.LBB2059_766:
	s_or_b64 exec, exec, s[8:9]
	s_and_saveexec_b64 s[8:9], s[10:11]
	s_cbranch_execnz .LBB2059_785
.LBB2059_767:
	s_or_b64 exec, exec, s[8:9]
	s_and_saveexec_b64 s[8:9], s[20:21]
	s_cbranch_execnz .LBB2059_786
.LBB2059_768:
	s_or_b64 exec, exec, s[8:9]
	s_and_saveexec_b64 s[8:9], s[14:15]
	s_cbranch_execnz .LBB2059_787
.LBB2059_769:
	s_or_b64 exec, exec, s[8:9]
	s_and_saveexec_b64 s[8:9], s[16:17]
	s_cbranch_execz .LBB2059_771
.LBB2059_770:
	flat_store_short v[2:3], v39 offset:14
.LBB2059_771:
	s_or_b64 exec, exec, s[8:9]
	v_add_co_u32_e64 v0, s[8:9], v6, v0
	v_addc_co_u32_e64 v1, s[8:9], v7, v1, s[8:9]
	v_add_co_u32_e64 v0, s[8:9], v0, v35
	v_addc_co_u32_e64 v1, s[8:9], 0, v1, s[8:9]
	; wave barrier
	s_and_saveexec_b64 s[8:9], vcc
	s_cbranch_execnz .LBB2059_788
; %bb.772:
	s_or_b64 exec, exec, s[8:9]
	s_and_saveexec_b64 s[8:9], s[4:5]
	s_cbranch_execnz .LBB2059_789
.LBB2059_773:
	s_or_b64 exec, exec, s[8:9]
	s_and_saveexec_b64 s[4:5], s[6:7]
	s_cbranch_execnz .LBB2059_790
.LBB2059_774:
	s_or_b64 exec, exec, s[4:5]
	s_and_saveexec_b64 s[4:5], s[18:19]
	s_cbranch_execnz .LBB2059_791
.LBB2059_775:
	s_or_b64 exec, exec, s[4:5]
	s_and_saveexec_b64 s[4:5], s[10:11]
	s_cbranch_execnz .LBB2059_792
.LBB2059_776:
	s_or_b64 exec, exec, s[4:5]
	s_and_saveexec_b64 s[4:5], s[20:21]
	s_cbranch_execnz .LBB2059_793
.LBB2059_777:
	s_or_b64 exec, exec, s[4:5]
	s_and_saveexec_b64 s[4:5], s[14:15]
	s_cbranch_execnz .LBB2059_794
.LBB2059_778:
	s_or_b64 exec, exec, s[4:5]
	s_and_saveexec_b64 s[4:5], s[16:17]
	s_cbranch_execz .LBB2059_780
.LBB2059_779:
	flat_store_dwordx2 v[0:1], v[22:23] offset:56
.LBB2059_780:
	s_or_b64 exec, exec, s[4:5]
	v_readlane_b32 s30, v40, 12
	v_readlane_b32 s31, v40, 13
	;; [unrolled: 1-line block ×14, first 2 shown]
	s_or_saveexec_b64 s[4:5], -1
	buffer_load_dword v40, off, s[0:3], s32 ; 4-byte Folded Reload
	s_mov_b64 exec, s[4:5]
	s_waitcnt vmcnt(0) lgkmcnt(0)
	s_setpc_b64 s[30:31]
.LBB2059_781:
	flat_store_short v[2:3], v38
	s_or_b64 exec, exec, s[8:9]
	s_and_saveexec_b64 s[8:9], s[4:5]
	s_cbranch_execz .LBB2059_764
.LBB2059_782:
	flat_store_short v[2:3], v50 offset:2
	s_or_b64 exec, exec, s[8:9]
	s_and_saveexec_b64 s[8:9], s[6:7]
	s_cbranch_execz .LBB2059_765
.LBB2059_783:
	flat_store_short v[2:3], v51 offset:4
	s_or_b64 exec, exec, s[8:9]
	s_and_saveexec_b64 s[8:9], s[18:19]
	s_cbranch_execz .LBB2059_766
.LBB2059_784:
	flat_store_short v[2:3], v53 offset:6
	s_or_b64 exec, exec, s[8:9]
	s_and_saveexec_b64 s[8:9], s[10:11]
	s_cbranch_execz .LBB2059_767
.LBB2059_785:
	flat_store_short v[2:3], v49 offset:8
	s_or_b64 exec, exec, s[8:9]
	s_and_saveexec_b64 s[8:9], s[20:21]
	s_cbranch_execz .LBB2059_768
.LBB2059_786:
	flat_store_short v[2:3], v48 offset:10
	s_or_b64 exec, exec, s[8:9]
	s_and_saveexec_b64 s[8:9], s[14:15]
	s_cbranch_execz .LBB2059_769
.LBB2059_787:
	flat_store_short v[2:3], v52 offset:12
	s_or_b64 exec, exec, s[8:9]
	s_and_saveexec_b64 s[8:9], s[16:17]
	s_cbranch_execnz .LBB2059_770
	s_branch .LBB2059_771
.LBB2059_788:
	flat_store_dwordx2 v[0:1], v[4:5]
	s_or_b64 exec, exec, s[8:9]
	s_and_saveexec_b64 s[8:9], s[4:5]
	s_cbranch_execz .LBB2059_773
.LBB2059_789:
	flat_store_dwordx2 v[0:1], v[10:11] offset:8
	s_or_b64 exec, exec, s[8:9]
	s_and_saveexec_b64 s[4:5], s[6:7]
	s_cbranch_execz .LBB2059_774
.LBB2059_790:
	flat_store_dwordx2 v[0:1], v[26:27] offset:16
	s_or_b64 exec, exec, s[4:5]
	s_and_saveexec_b64 s[4:5], s[18:19]
	s_cbranch_execz .LBB2059_775
.LBB2059_791:
	flat_store_dwordx2 v[0:1], v[14:15] offset:24
	s_or_b64 exec, exec, s[4:5]
	s_and_saveexec_b64 s[4:5], s[10:11]
	s_cbranch_execz .LBB2059_776
.LBB2059_792:
	flat_store_dwordx2 v[0:1], v[28:29] offset:32
	s_or_b64 exec, exec, s[4:5]
	s_and_saveexec_b64 s[4:5], s[20:21]
	s_cbranch_execz .LBB2059_777
.LBB2059_793:
	flat_store_dwordx2 v[0:1], v[18:19] offset:40
	s_or_b64 exec, exec, s[4:5]
	s_and_saveexec_b64 s[4:5], s[14:15]
	s_cbranch_execz .LBB2059_778
.LBB2059_794:
	flat_store_dwordx2 v[0:1], v[16:17] offset:48
	s_or_b64 exec, exec, s[4:5]
	s_and_saveexec_b64 s[4:5], s[16:17]
	s_cbranch_execnz .LBB2059_779
	s_branch .LBB2059_780
.Lfunc_end2059:
	.size	_ZN7rocprim17ROCPRIM_400000_NS6detail26segmented_warp_sort_helperINS1_20WarpSortHelperConfigILj16ELj8ELj256EEE12hip_bfloat16lLi256ELb0EvE4sortIPKS5_PS5_PKlPlEEvT_T0_T1_T2_jjjjRNS6_12storage_typeE, .Lfunc_end2059-_ZN7rocprim17ROCPRIM_400000_NS6detail26segmented_warp_sort_helperINS1_20WarpSortHelperConfigILj16ELj8ELj256EEE12hip_bfloat16lLi256ELb0EvE4sortIPKS5_PS5_PKlPlEEvT_T0_T1_T2_jjjjRNS6_12storage_typeE
                                        ; -- End function
	.section	.AMDGPU.csdata,"",@progbits
; Function info:
; codeLenInByte = 26992
; NumSgprs: 50
; NumVgprs: 72
; NumAgprs: 0
; TotalNumVgprs: 72
; ScratchSize: 8
; MemoryBound: 0
	.section	.text._ZN7rocprim17ROCPRIM_400000_NS6detail17trampoline_kernelINS0_14default_configENS1_36segmented_radix_sort_config_selectorI12hip_bfloat16lEEZNS1_25segmented_radix_sort_implIS3_Lb0EPKS5_PS5_PKlPlN2at6native12_GLOBAL__N_18offset_tEEE10hipError_tPvRmT1_PNSt15iterator_traitsISL_E10value_typeET2_T3_PNSM_ISR_E10value_typeET4_jRbjT5_SX_jjP12ihipStream_tbEUlT_E0_NS1_11comp_targetILNS1_3genE4ELNS1_11target_archE910ELNS1_3gpuE8ELNS1_3repE0EEENS1_60segmented_radix_sort_warp_sort_medium_config_static_selectorELNS0_4arch9wavefront6targetE1EEEvSL_,"axG",@progbits,_ZN7rocprim17ROCPRIM_400000_NS6detail17trampoline_kernelINS0_14default_configENS1_36segmented_radix_sort_config_selectorI12hip_bfloat16lEEZNS1_25segmented_radix_sort_implIS3_Lb0EPKS5_PS5_PKlPlN2at6native12_GLOBAL__N_18offset_tEEE10hipError_tPvRmT1_PNSt15iterator_traitsISL_E10value_typeET2_T3_PNSM_ISR_E10value_typeET4_jRbjT5_SX_jjP12ihipStream_tbEUlT_E0_NS1_11comp_targetILNS1_3genE4ELNS1_11target_archE910ELNS1_3gpuE8ELNS1_3repE0EEENS1_60segmented_radix_sort_warp_sort_medium_config_static_selectorELNS0_4arch9wavefront6targetE1EEEvSL_,comdat
	.globl	_ZN7rocprim17ROCPRIM_400000_NS6detail17trampoline_kernelINS0_14default_configENS1_36segmented_radix_sort_config_selectorI12hip_bfloat16lEEZNS1_25segmented_radix_sort_implIS3_Lb0EPKS5_PS5_PKlPlN2at6native12_GLOBAL__N_18offset_tEEE10hipError_tPvRmT1_PNSt15iterator_traitsISL_E10value_typeET2_T3_PNSM_ISR_E10value_typeET4_jRbjT5_SX_jjP12ihipStream_tbEUlT_E0_NS1_11comp_targetILNS1_3genE4ELNS1_11target_archE910ELNS1_3gpuE8ELNS1_3repE0EEENS1_60segmented_radix_sort_warp_sort_medium_config_static_selectorELNS0_4arch9wavefront6targetE1EEEvSL_ ; -- Begin function _ZN7rocprim17ROCPRIM_400000_NS6detail17trampoline_kernelINS0_14default_configENS1_36segmented_radix_sort_config_selectorI12hip_bfloat16lEEZNS1_25segmented_radix_sort_implIS3_Lb0EPKS5_PS5_PKlPlN2at6native12_GLOBAL__N_18offset_tEEE10hipError_tPvRmT1_PNSt15iterator_traitsISL_E10value_typeET2_T3_PNSM_ISR_E10value_typeET4_jRbjT5_SX_jjP12ihipStream_tbEUlT_E0_NS1_11comp_targetILNS1_3genE4ELNS1_11target_archE910ELNS1_3gpuE8ELNS1_3repE0EEENS1_60segmented_radix_sort_warp_sort_medium_config_static_selectorELNS0_4arch9wavefront6targetE1EEEvSL_
	.p2align	8
	.type	_ZN7rocprim17ROCPRIM_400000_NS6detail17trampoline_kernelINS0_14default_configENS1_36segmented_radix_sort_config_selectorI12hip_bfloat16lEEZNS1_25segmented_radix_sort_implIS3_Lb0EPKS5_PS5_PKlPlN2at6native12_GLOBAL__N_18offset_tEEE10hipError_tPvRmT1_PNSt15iterator_traitsISL_E10value_typeET2_T3_PNSM_ISR_E10value_typeET4_jRbjT5_SX_jjP12ihipStream_tbEUlT_E0_NS1_11comp_targetILNS1_3genE4ELNS1_11target_archE910ELNS1_3gpuE8ELNS1_3repE0EEENS1_60segmented_radix_sort_warp_sort_medium_config_static_selectorELNS0_4arch9wavefront6targetE1EEEvSL_,@function
_ZN7rocprim17ROCPRIM_400000_NS6detail17trampoline_kernelINS0_14default_configENS1_36segmented_radix_sort_config_selectorI12hip_bfloat16lEEZNS1_25segmented_radix_sort_implIS3_Lb0EPKS5_PS5_PKlPlN2at6native12_GLOBAL__N_18offset_tEEE10hipError_tPvRmT1_PNSt15iterator_traitsISL_E10value_typeET2_T3_PNSM_ISR_E10value_typeET4_jRbjT5_SX_jjP12ihipStream_tbEUlT_E0_NS1_11comp_targetILNS1_3genE4ELNS1_11target_archE910ELNS1_3gpuE8ELNS1_3repE0EEENS1_60segmented_radix_sort_warp_sort_medium_config_static_selectorELNS0_4arch9wavefront6targetE1EEEvSL_: ; @_ZN7rocprim17ROCPRIM_400000_NS6detail17trampoline_kernelINS0_14default_configENS1_36segmented_radix_sort_config_selectorI12hip_bfloat16lEEZNS1_25segmented_radix_sort_implIS3_Lb0EPKS5_PS5_PKlPlN2at6native12_GLOBAL__N_18offset_tEEE10hipError_tPvRmT1_PNSt15iterator_traitsISL_E10value_typeET2_T3_PNSM_ISR_E10value_typeET4_jRbjT5_SX_jjP12ihipStream_tbEUlT_E0_NS1_11comp_targetILNS1_3genE4ELNS1_11target_archE910ELNS1_3gpuE8ELNS1_3repE0EEENS1_60segmented_radix_sort_warp_sort_medium_config_static_selectorELNS0_4arch9wavefront6targetE1EEEvSL_
; %bb.0:
	s_add_u32 flat_scratch_lo, s6, s10
	s_addc_u32 flat_scratch_hi, s7, 0
	s_add_u32 s0, s0, s10
	s_load_dword s6, s[4:5], 0x64
	s_load_dword s10, s[4:5], 0x34
	s_addc_u32 s1, s1, 0
	v_bfe_u32 v1, v0, 10, 10
	v_bfe_u32 v2, v0, 20, 10
	s_waitcnt lgkmcnt(0)
	s_lshr_b32 s7, s6, 16
	s_and_b32 s6, s6, 0xffff
	v_mad_u32_u24 v1, v2, s7, v1
	v_and_b32_e32 v2, 0x3ff, v0
	v_mad_u64_u32 v[2:3], s[6:7], v1, s6, v[2:3]
	v_lshrrev_b32_e32 v1, 4, v2
	v_lshl_add_u32 v2, s8, 4, v1
	v_cmp_gt_u32_e32 vcc, s10, v2
	s_mov_b32 s32, 0
	s_and_saveexec_b64 s[6:7], vcc
	s_cbranch_execz .LBB2060_6
; %bb.1:
	s_load_dwordx2 s[6:7], s[4:5], 0x38
	s_load_dwordx4 s[12:15], s[4:5], 0x40
	v_mov_b32_e32 v3, 0
	v_lshlrev_b64 v[2:3], 2, v[2:3]
	s_waitcnt lgkmcnt(0)
	v_mov_b32_e32 v1, s7
	v_add_co_u32_e32 v2, vcc, s6, v2
	v_addc_co_u32_e32 v3, vcc, v1, v3, vcc
	global_load_dword v1, v[2:3], off
	s_waitcnt vmcnt(0)
	v_add_u32_e32 v2, s13, v1
	v_add_u32_e32 v1, s15, v1
	v_mul_lo_u32 v41, v2, s12
	v_mul_lo_u32 v42, v1, s14
	v_cmp_gt_u32_e32 vcc, v42, v41
	s_and_b64 exec, exec, vcc
	s_cbranch_execz .LBB2060_6
; %bb.2:
	s_load_dword s6, s[4:5], 0x30
	s_load_dwordx4 s[56:59], s[4:5], 0x20
	s_load_dwordx8 s[48:55], s[4:5], 0x0
	s_mov_b32 s46, s8
	s_mov_b32 s33, s9
	s_waitcnt lgkmcnt(0)
	s_bitcmp0_b32 s6, 0
	s_mov_b64 s[6:7], -1
	s_cbranch_scc0 .LBB2060_4
; %bb.3:
	s_add_u32 s8, s4, 0x58
	s_addc_u32 s9, s5, 0
	s_mov_b32 s12, s46
	s_mov_b32 s13, s33
	v_mov_b32_e32 v31, v0
	v_mov_b32_e32 v43, v0
	;; [unrolled: 1-line block ×12, first 2 shown]
	s_getpc_b64 s[6:7]
	s_add_u32 s6, s6, _ZN7rocprim17ROCPRIM_400000_NS6detail26segmented_warp_sort_helperINS1_20WarpSortHelperConfigILj16ELj8ELj256EEE12hip_bfloat16lLi256ELb0EvE4sortIPKS5_PS5_PKlPlEEvT_T0_T1_T2_jjjjRNS6_12storage_typeE@rel32@lo+4
	s_addc_u32 s7, s7, _ZN7rocprim17ROCPRIM_400000_NS6detail26segmented_warp_sort_helperINS1_20WarpSortHelperConfigILj16ELj8ELj256EEE12hip_bfloat16lLi256ELb0EvE4sortIPKS5_PS5_PKlPlEEvT_T0_T1_T2_jjjjRNS6_12storage_typeE@rel32@hi+12
	s_mov_b64 s[50:51], s[4:5]
	s_swappc_b64 s[30:31], s[6:7]
	v_mov_b32_e32 v0, v43
	s_mov_b64 s[4:5], s[50:51]
	s_mov_b64 s[6:7], 0
.LBB2060_4:
	s_andn2_b64 vcc, exec, s[6:7]
	s_cbranch_vccnz .LBB2060_6
; %bb.5:
	s_add_u32 s8, s4, 0x58
	s_addc_u32 s9, s5, 0
	s_mov_b32 s12, s46
	s_mov_b32 s13, s33
	v_mov_b32_e32 v31, v0
	v_mov_b32_e32 v0, s48
	;; [unrolled: 1-line block ×11, first 2 shown]
	s_getpc_b64 s[4:5]
	s_add_u32 s4, s4, _ZN7rocprim17ROCPRIM_400000_NS6detail26segmented_warp_sort_helperINS1_20WarpSortHelperConfigILj16ELj8ELj256EEE12hip_bfloat16lLi256ELb0EvE4sortIPKS5_PS5_PKlPlEEvT_T0_T1_T2_jjjjRNS6_12storage_typeE@rel32@lo+4
	s_addc_u32 s5, s5, _ZN7rocprim17ROCPRIM_400000_NS6detail26segmented_warp_sort_helperINS1_20WarpSortHelperConfigILj16ELj8ELj256EEE12hip_bfloat16lLi256ELb0EvE4sortIPKS5_PS5_PKlPlEEvT_T0_T1_T2_jjjjRNS6_12storage_typeE@rel32@hi+12
	s_swappc_b64 s[30:31], s[4:5]
.LBB2060_6:
	s_endpgm
	.section	.rodata,"a",@progbits
	.p2align	6, 0x0
	.amdhsa_kernel _ZN7rocprim17ROCPRIM_400000_NS6detail17trampoline_kernelINS0_14default_configENS1_36segmented_radix_sort_config_selectorI12hip_bfloat16lEEZNS1_25segmented_radix_sort_implIS3_Lb0EPKS5_PS5_PKlPlN2at6native12_GLOBAL__N_18offset_tEEE10hipError_tPvRmT1_PNSt15iterator_traitsISL_E10value_typeET2_T3_PNSM_ISR_E10value_typeET4_jRbjT5_SX_jjP12ihipStream_tbEUlT_E0_NS1_11comp_targetILNS1_3genE4ELNS1_11target_archE910ELNS1_3gpuE8ELNS1_3repE0EEENS1_60segmented_radix_sort_warp_sort_medium_config_static_selectorELNS0_4arch9wavefront6targetE1EEEvSL_
		.amdhsa_group_segment_fixed_size 20480
		.amdhsa_private_segment_fixed_size 8
		.amdhsa_kernarg_size 344
		.amdhsa_user_sgpr_count 8
		.amdhsa_user_sgpr_private_segment_buffer 1
		.amdhsa_user_sgpr_dispatch_ptr 0
		.amdhsa_user_sgpr_queue_ptr 0
		.amdhsa_user_sgpr_kernarg_segment_ptr 1
		.amdhsa_user_sgpr_dispatch_id 0
		.amdhsa_user_sgpr_flat_scratch_init 1
		.amdhsa_user_sgpr_kernarg_preload_length 0
		.amdhsa_user_sgpr_kernarg_preload_offset 0
		.amdhsa_user_sgpr_private_segment_size 0
		.amdhsa_uses_dynamic_stack 0
		.amdhsa_system_sgpr_private_segment_wavefront_offset 1
		.amdhsa_system_sgpr_workgroup_id_x 1
		.amdhsa_system_sgpr_workgroup_id_y 1
		.amdhsa_system_sgpr_workgroup_id_z 0
		.amdhsa_system_sgpr_workgroup_info 0
		.amdhsa_system_vgpr_workitem_id 2
		.amdhsa_next_free_vgpr 72
		.amdhsa_next_free_sgpr 60
		.amdhsa_accum_offset 72
		.amdhsa_reserve_vcc 1
		.amdhsa_reserve_flat_scratch 1
		.amdhsa_float_round_mode_32 0
		.amdhsa_float_round_mode_16_64 0
		.amdhsa_float_denorm_mode_32 3
		.amdhsa_float_denorm_mode_16_64 3
		.amdhsa_dx10_clamp 1
		.amdhsa_ieee_mode 1
		.amdhsa_fp16_overflow 0
		.amdhsa_tg_split 0
		.amdhsa_exception_fp_ieee_invalid_op 0
		.amdhsa_exception_fp_denorm_src 0
		.amdhsa_exception_fp_ieee_div_zero 0
		.amdhsa_exception_fp_ieee_overflow 0
		.amdhsa_exception_fp_ieee_underflow 0
		.amdhsa_exception_fp_ieee_inexact 0
		.amdhsa_exception_int_div_zero 0
	.end_amdhsa_kernel
	.section	.text._ZN7rocprim17ROCPRIM_400000_NS6detail17trampoline_kernelINS0_14default_configENS1_36segmented_radix_sort_config_selectorI12hip_bfloat16lEEZNS1_25segmented_radix_sort_implIS3_Lb0EPKS5_PS5_PKlPlN2at6native12_GLOBAL__N_18offset_tEEE10hipError_tPvRmT1_PNSt15iterator_traitsISL_E10value_typeET2_T3_PNSM_ISR_E10value_typeET4_jRbjT5_SX_jjP12ihipStream_tbEUlT_E0_NS1_11comp_targetILNS1_3genE4ELNS1_11target_archE910ELNS1_3gpuE8ELNS1_3repE0EEENS1_60segmented_radix_sort_warp_sort_medium_config_static_selectorELNS0_4arch9wavefront6targetE1EEEvSL_,"axG",@progbits,_ZN7rocprim17ROCPRIM_400000_NS6detail17trampoline_kernelINS0_14default_configENS1_36segmented_radix_sort_config_selectorI12hip_bfloat16lEEZNS1_25segmented_radix_sort_implIS3_Lb0EPKS5_PS5_PKlPlN2at6native12_GLOBAL__N_18offset_tEEE10hipError_tPvRmT1_PNSt15iterator_traitsISL_E10value_typeET2_T3_PNSM_ISR_E10value_typeET4_jRbjT5_SX_jjP12ihipStream_tbEUlT_E0_NS1_11comp_targetILNS1_3genE4ELNS1_11target_archE910ELNS1_3gpuE8ELNS1_3repE0EEENS1_60segmented_radix_sort_warp_sort_medium_config_static_selectorELNS0_4arch9wavefront6targetE1EEEvSL_,comdat
.Lfunc_end2060:
	.size	_ZN7rocprim17ROCPRIM_400000_NS6detail17trampoline_kernelINS0_14default_configENS1_36segmented_radix_sort_config_selectorI12hip_bfloat16lEEZNS1_25segmented_radix_sort_implIS3_Lb0EPKS5_PS5_PKlPlN2at6native12_GLOBAL__N_18offset_tEEE10hipError_tPvRmT1_PNSt15iterator_traitsISL_E10value_typeET2_T3_PNSM_ISR_E10value_typeET4_jRbjT5_SX_jjP12ihipStream_tbEUlT_E0_NS1_11comp_targetILNS1_3genE4ELNS1_11target_archE910ELNS1_3gpuE8ELNS1_3repE0EEENS1_60segmented_radix_sort_warp_sort_medium_config_static_selectorELNS0_4arch9wavefront6targetE1EEEvSL_, .Lfunc_end2060-_ZN7rocprim17ROCPRIM_400000_NS6detail17trampoline_kernelINS0_14default_configENS1_36segmented_radix_sort_config_selectorI12hip_bfloat16lEEZNS1_25segmented_radix_sort_implIS3_Lb0EPKS5_PS5_PKlPlN2at6native12_GLOBAL__N_18offset_tEEE10hipError_tPvRmT1_PNSt15iterator_traitsISL_E10value_typeET2_T3_PNSM_ISR_E10value_typeET4_jRbjT5_SX_jjP12ihipStream_tbEUlT_E0_NS1_11comp_targetILNS1_3genE4ELNS1_11target_archE910ELNS1_3gpuE8ELNS1_3repE0EEENS1_60segmented_radix_sort_warp_sort_medium_config_static_selectorELNS0_4arch9wavefront6targetE1EEEvSL_
                                        ; -- End function
	.section	.AMDGPU.csdata,"",@progbits
; Kernel info:
; codeLenInByte = 464
; NumSgprs: 66
; NumVgprs: 72
; NumAgprs: 0
; TotalNumVgprs: 72
; ScratchSize: 8
; MemoryBound: 0
; FloatMode: 240
; IeeeMode: 1
; LDSByteSize: 20480 bytes/workgroup (compile time only)
; SGPRBlocks: 8
; VGPRBlocks: 8
; NumSGPRsForWavesPerEU: 66
; NumVGPRsForWavesPerEU: 72
; AccumOffset: 72
; Occupancy: 3
; WaveLimiterHint : 0
; COMPUTE_PGM_RSRC2:SCRATCH_EN: 1
; COMPUTE_PGM_RSRC2:USER_SGPR: 8
; COMPUTE_PGM_RSRC2:TRAP_HANDLER: 0
; COMPUTE_PGM_RSRC2:TGID_X_EN: 1
; COMPUTE_PGM_RSRC2:TGID_Y_EN: 1
; COMPUTE_PGM_RSRC2:TGID_Z_EN: 0
; COMPUTE_PGM_RSRC2:TIDIG_COMP_CNT: 2
; COMPUTE_PGM_RSRC3_GFX90A:ACCUM_OFFSET: 17
; COMPUTE_PGM_RSRC3_GFX90A:TG_SPLIT: 0
	.section	.text._ZN7rocprim17ROCPRIM_400000_NS6detail17trampoline_kernelINS0_14default_configENS1_36segmented_radix_sort_config_selectorI12hip_bfloat16lEEZNS1_25segmented_radix_sort_implIS3_Lb0EPKS5_PS5_PKlPlN2at6native12_GLOBAL__N_18offset_tEEE10hipError_tPvRmT1_PNSt15iterator_traitsISL_E10value_typeET2_T3_PNSM_ISR_E10value_typeET4_jRbjT5_SX_jjP12ihipStream_tbEUlT_E0_NS1_11comp_targetILNS1_3genE3ELNS1_11target_archE908ELNS1_3gpuE7ELNS1_3repE0EEENS1_60segmented_radix_sort_warp_sort_medium_config_static_selectorELNS0_4arch9wavefront6targetE1EEEvSL_,"axG",@progbits,_ZN7rocprim17ROCPRIM_400000_NS6detail17trampoline_kernelINS0_14default_configENS1_36segmented_radix_sort_config_selectorI12hip_bfloat16lEEZNS1_25segmented_radix_sort_implIS3_Lb0EPKS5_PS5_PKlPlN2at6native12_GLOBAL__N_18offset_tEEE10hipError_tPvRmT1_PNSt15iterator_traitsISL_E10value_typeET2_T3_PNSM_ISR_E10value_typeET4_jRbjT5_SX_jjP12ihipStream_tbEUlT_E0_NS1_11comp_targetILNS1_3genE3ELNS1_11target_archE908ELNS1_3gpuE7ELNS1_3repE0EEENS1_60segmented_radix_sort_warp_sort_medium_config_static_selectorELNS0_4arch9wavefront6targetE1EEEvSL_,comdat
	.globl	_ZN7rocprim17ROCPRIM_400000_NS6detail17trampoline_kernelINS0_14default_configENS1_36segmented_radix_sort_config_selectorI12hip_bfloat16lEEZNS1_25segmented_radix_sort_implIS3_Lb0EPKS5_PS5_PKlPlN2at6native12_GLOBAL__N_18offset_tEEE10hipError_tPvRmT1_PNSt15iterator_traitsISL_E10value_typeET2_T3_PNSM_ISR_E10value_typeET4_jRbjT5_SX_jjP12ihipStream_tbEUlT_E0_NS1_11comp_targetILNS1_3genE3ELNS1_11target_archE908ELNS1_3gpuE7ELNS1_3repE0EEENS1_60segmented_radix_sort_warp_sort_medium_config_static_selectorELNS0_4arch9wavefront6targetE1EEEvSL_ ; -- Begin function _ZN7rocprim17ROCPRIM_400000_NS6detail17trampoline_kernelINS0_14default_configENS1_36segmented_radix_sort_config_selectorI12hip_bfloat16lEEZNS1_25segmented_radix_sort_implIS3_Lb0EPKS5_PS5_PKlPlN2at6native12_GLOBAL__N_18offset_tEEE10hipError_tPvRmT1_PNSt15iterator_traitsISL_E10value_typeET2_T3_PNSM_ISR_E10value_typeET4_jRbjT5_SX_jjP12ihipStream_tbEUlT_E0_NS1_11comp_targetILNS1_3genE3ELNS1_11target_archE908ELNS1_3gpuE7ELNS1_3repE0EEENS1_60segmented_radix_sort_warp_sort_medium_config_static_selectorELNS0_4arch9wavefront6targetE1EEEvSL_
	.p2align	8
	.type	_ZN7rocprim17ROCPRIM_400000_NS6detail17trampoline_kernelINS0_14default_configENS1_36segmented_radix_sort_config_selectorI12hip_bfloat16lEEZNS1_25segmented_radix_sort_implIS3_Lb0EPKS5_PS5_PKlPlN2at6native12_GLOBAL__N_18offset_tEEE10hipError_tPvRmT1_PNSt15iterator_traitsISL_E10value_typeET2_T3_PNSM_ISR_E10value_typeET4_jRbjT5_SX_jjP12ihipStream_tbEUlT_E0_NS1_11comp_targetILNS1_3genE3ELNS1_11target_archE908ELNS1_3gpuE7ELNS1_3repE0EEENS1_60segmented_radix_sort_warp_sort_medium_config_static_selectorELNS0_4arch9wavefront6targetE1EEEvSL_,@function
_ZN7rocprim17ROCPRIM_400000_NS6detail17trampoline_kernelINS0_14default_configENS1_36segmented_radix_sort_config_selectorI12hip_bfloat16lEEZNS1_25segmented_radix_sort_implIS3_Lb0EPKS5_PS5_PKlPlN2at6native12_GLOBAL__N_18offset_tEEE10hipError_tPvRmT1_PNSt15iterator_traitsISL_E10value_typeET2_T3_PNSM_ISR_E10value_typeET4_jRbjT5_SX_jjP12ihipStream_tbEUlT_E0_NS1_11comp_targetILNS1_3genE3ELNS1_11target_archE908ELNS1_3gpuE7ELNS1_3repE0EEENS1_60segmented_radix_sort_warp_sort_medium_config_static_selectorELNS0_4arch9wavefront6targetE1EEEvSL_: ; @_ZN7rocprim17ROCPRIM_400000_NS6detail17trampoline_kernelINS0_14default_configENS1_36segmented_radix_sort_config_selectorI12hip_bfloat16lEEZNS1_25segmented_radix_sort_implIS3_Lb0EPKS5_PS5_PKlPlN2at6native12_GLOBAL__N_18offset_tEEE10hipError_tPvRmT1_PNSt15iterator_traitsISL_E10value_typeET2_T3_PNSM_ISR_E10value_typeET4_jRbjT5_SX_jjP12ihipStream_tbEUlT_E0_NS1_11comp_targetILNS1_3genE3ELNS1_11target_archE908ELNS1_3gpuE7ELNS1_3repE0EEENS1_60segmented_radix_sort_warp_sort_medium_config_static_selectorELNS0_4arch9wavefront6targetE1EEEvSL_
; %bb.0:
	.section	.rodata,"a",@progbits
	.p2align	6, 0x0
	.amdhsa_kernel _ZN7rocprim17ROCPRIM_400000_NS6detail17trampoline_kernelINS0_14default_configENS1_36segmented_radix_sort_config_selectorI12hip_bfloat16lEEZNS1_25segmented_radix_sort_implIS3_Lb0EPKS5_PS5_PKlPlN2at6native12_GLOBAL__N_18offset_tEEE10hipError_tPvRmT1_PNSt15iterator_traitsISL_E10value_typeET2_T3_PNSM_ISR_E10value_typeET4_jRbjT5_SX_jjP12ihipStream_tbEUlT_E0_NS1_11comp_targetILNS1_3genE3ELNS1_11target_archE908ELNS1_3gpuE7ELNS1_3repE0EEENS1_60segmented_radix_sort_warp_sort_medium_config_static_selectorELNS0_4arch9wavefront6targetE1EEEvSL_
		.amdhsa_group_segment_fixed_size 0
		.amdhsa_private_segment_fixed_size 0
		.amdhsa_kernarg_size 88
		.amdhsa_user_sgpr_count 6
		.amdhsa_user_sgpr_private_segment_buffer 1
		.amdhsa_user_sgpr_dispatch_ptr 0
		.amdhsa_user_sgpr_queue_ptr 0
		.amdhsa_user_sgpr_kernarg_segment_ptr 1
		.amdhsa_user_sgpr_dispatch_id 0
		.amdhsa_user_sgpr_flat_scratch_init 0
		.amdhsa_user_sgpr_kernarg_preload_length 0
		.amdhsa_user_sgpr_kernarg_preload_offset 0
		.amdhsa_user_sgpr_private_segment_size 0
		.amdhsa_uses_dynamic_stack 0
		.amdhsa_system_sgpr_private_segment_wavefront_offset 0
		.amdhsa_system_sgpr_workgroup_id_x 1
		.amdhsa_system_sgpr_workgroup_id_y 0
		.amdhsa_system_sgpr_workgroup_id_z 0
		.amdhsa_system_sgpr_workgroup_info 0
		.amdhsa_system_vgpr_workitem_id 0
		.amdhsa_next_free_vgpr 1
		.amdhsa_next_free_sgpr 0
		.amdhsa_accum_offset 4
		.amdhsa_reserve_vcc 0
		.amdhsa_reserve_flat_scratch 0
		.amdhsa_float_round_mode_32 0
		.amdhsa_float_round_mode_16_64 0
		.amdhsa_float_denorm_mode_32 3
		.amdhsa_float_denorm_mode_16_64 3
		.amdhsa_dx10_clamp 1
		.amdhsa_ieee_mode 1
		.amdhsa_fp16_overflow 0
		.amdhsa_tg_split 0
		.amdhsa_exception_fp_ieee_invalid_op 0
		.amdhsa_exception_fp_denorm_src 0
		.amdhsa_exception_fp_ieee_div_zero 0
		.amdhsa_exception_fp_ieee_overflow 0
		.amdhsa_exception_fp_ieee_underflow 0
		.amdhsa_exception_fp_ieee_inexact 0
		.amdhsa_exception_int_div_zero 0
	.end_amdhsa_kernel
	.section	.text._ZN7rocprim17ROCPRIM_400000_NS6detail17trampoline_kernelINS0_14default_configENS1_36segmented_radix_sort_config_selectorI12hip_bfloat16lEEZNS1_25segmented_radix_sort_implIS3_Lb0EPKS5_PS5_PKlPlN2at6native12_GLOBAL__N_18offset_tEEE10hipError_tPvRmT1_PNSt15iterator_traitsISL_E10value_typeET2_T3_PNSM_ISR_E10value_typeET4_jRbjT5_SX_jjP12ihipStream_tbEUlT_E0_NS1_11comp_targetILNS1_3genE3ELNS1_11target_archE908ELNS1_3gpuE7ELNS1_3repE0EEENS1_60segmented_radix_sort_warp_sort_medium_config_static_selectorELNS0_4arch9wavefront6targetE1EEEvSL_,"axG",@progbits,_ZN7rocprim17ROCPRIM_400000_NS6detail17trampoline_kernelINS0_14default_configENS1_36segmented_radix_sort_config_selectorI12hip_bfloat16lEEZNS1_25segmented_radix_sort_implIS3_Lb0EPKS5_PS5_PKlPlN2at6native12_GLOBAL__N_18offset_tEEE10hipError_tPvRmT1_PNSt15iterator_traitsISL_E10value_typeET2_T3_PNSM_ISR_E10value_typeET4_jRbjT5_SX_jjP12ihipStream_tbEUlT_E0_NS1_11comp_targetILNS1_3genE3ELNS1_11target_archE908ELNS1_3gpuE7ELNS1_3repE0EEENS1_60segmented_radix_sort_warp_sort_medium_config_static_selectorELNS0_4arch9wavefront6targetE1EEEvSL_,comdat
.Lfunc_end2061:
	.size	_ZN7rocprim17ROCPRIM_400000_NS6detail17trampoline_kernelINS0_14default_configENS1_36segmented_radix_sort_config_selectorI12hip_bfloat16lEEZNS1_25segmented_radix_sort_implIS3_Lb0EPKS5_PS5_PKlPlN2at6native12_GLOBAL__N_18offset_tEEE10hipError_tPvRmT1_PNSt15iterator_traitsISL_E10value_typeET2_T3_PNSM_ISR_E10value_typeET4_jRbjT5_SX_jjP12ihipStream_tbEUlT_E0_NS1_11comp_targetILNS1_3genE3ELNS1_11target_archE908ELNS1_3gpuE7ELNS1_3repE0EEENS1_60segmented_radix_sort_warp_sort_medium_config_static_selectorELNS0_4arch9wavefront6targetE1EEEvSL_, .Lfunc_end2061-_ZN7rocprim17ROCPRIM_400000_NS6detail17trampoline_kernelINS0_14default_configENS1_36segmented_radix_sort_config_selectorI12hip_bfloat16lEEZNS1_25segmented_radix_sort_implIS3_Lb0EPKS5_PS5_PKlPlN2at6native12_GLOBAL__N_18offset_tEEE10hipError_tPvRmT1_PNSt15iterator_traitsISL_E10value_typeET2_T3_PNSM_ISR_E10value_typeET4_jRbjT5_SX_jjP12ihipStream_tbEUlT_E0_NS1_11comp_targetILNS1_3genE3ELNS1_11target_archE908ELNS1_3gpuE7ELNS1_3repE0EEENS1_60segmented_radix_sort_warp_sort_medium_config_static_selectorELNS0_4arch9wavefront6targetE1EEEvSL_
                                        ; -- End function
	.section	.AMDGPU.csdata,"",@progbits
; Kernel info:
; codeLenInByte = 0
; NumSgprs: 4
; NumVgprs: 0
; NumAgprs: 0
; TotalNumVgprs: 0
; ScratchSize: 0
; MemoryBound: 0
; FloatMode: 240
; IeeeMode: 1
; LDSByteSize: 0 bytes/workgroup (compile time only)
; SGPRBlocks: 0
; VGPRBlocks: 0
; NumSGPRsForWavesPerEU: 4
; NumVGPRsForWavesPerEU: 1
; AccumOffset: 4
; Occupancy: 8
; WaveLimiterHint : 0
; COMPUTE_PGM_RSRC2:SCRATCH_EN: 0
; COMPUTE_PGM_RSRC2:USER_SGPR: 6
; COMPUTE_PGM_RSRC2:TRAP_HANDLER: 0
; COMPUTE_PGM_RSRC2:TGID_X_EN: 1
; COMPUTE_PGM_RSRC2:TGID_Y_EN: 0
; COMPUTE_PGM_RSRC2:TGID_Z_EN: 0
; COMPUTE_PGM_RSRC2:TIDIG_COMP_CNT: 0
; COMPUTE_PGM_RSRC3_GFX90A:ACCUM_OFFSET: 0
; COMPUTE_PGM_RSRC3_GFX90A:TG_SPLIT: 0
	.section	.text._ZN7rocprim17ROCPRIM_400000_NS6detail17trampoline_kernelINS0_14default_configENS1_36segmented_radix_sort_config_selectorI12hip_bfloat16lEEZNS1_25segmented_radix_sort_implIS3_Lb0EPKS5_PS5_PKlPlN2at6native12_GLOBAL__N_18offset_tEEE10hipError_tPvRmT1_PNSt15iterator_traitsISL_E10value_typeET2_T3_PNSM_ISR_E10value_typeET4_jRbjT5_SX_jjP12ihipStream_tbEUlT_E0_NS1_11comp_targetILNS1_3genE2ELNS1_11target_archE906ELNS1_3gpuE6ELNS1_3repE0EEENS1_60segmented_radix_sort_warp_sort_medium_config_static_selectorELNS0_4arch9wavefront6targetE1EEEvSL_,"axG",@progbits,_ZN7rocprim17ROCPRIM_400000_NS6detail17trampoline_kernelINS0_14default_configENS1_36segmented_radix_sort_config_selectorI12hip_bfloat16lEEZNS1_25segmented_radix_sort_implIS3_Lb0EPKS5_PS5_PKlPlN2at6native12_GLOBAL__N_18offset_tEEE10hipError_tPvRmT1_PNSt15iterator_traitsISL_E10value_typeET2_T3_PNSM_ISR_E10value_typeET4_jRbjT5_SX_jjP12ihipStream_tbEUlT_E0_NS1_11comp_targetILNS1_3genE2ELNS1_11target_archE906ELNS1_3gpuE6ELNS1_3repE0EEENS1_60segmented_radix_sort_warp_sort_medium_config_static_selectorELNS0_4arch9wavefront6targetE1EEEvSL_,comdat
	.globl	_ZN7rocprim17ROCPRIM_400000_NS6detail17trampoline_kernelINS0_14default_configENS1_36segmented_radix_sort_config_selectorI12hip_bfloat16lEEZNS1_25segmented_radix_sort_implIS3_Lb0EPKS5_PS5_PKlPlN2at6native12_GLOBAL__N_18offset_tEEE10hipError_tPvRmT1_PNSt15iterator_traitsISL_E10value_typeET2_T3_PNSM_ISR_E10value_typeET4_jRbjT5_SX_jjP12ihipStream_tbEUlT_E0_NS1_11comp_targetILNS1_3genE2ELNS1_11target_archE906ELNS1_3gpuE6ELNS1_3repE0EEENS1_60segmented_radix_sort_warp_sort_medium_config_static_selectorELNS0_4arch9wavefront6targetE1EEEvSL_ ; -- Begin function _ZN7rocprim17ROCPRIM_400000_NS6detail17trampoline_kernelINS0_14default_configENS1_36segmented_radix_sort_config_selectorI12hip_bfloat16lEEZNS1_25segmented_radix_sort_implIS3_Lb0EPKS5_PS5_PKlPlN2at6native12_GLOBAL__N_18offset_tEEE10hipError_tPvRmT1_PNSt15iterator_traitsISL_E10value_typeET2_T3_PNSM_ISR_E10value_typeET4_jRbjT5_SX_jjP12ihipStream_tbEUlT_E0_NS1_11comp_targetILNS1_3genE2ELNS1_11target_archE906ELNS1_3gpuE6ELNS1_3repE0EEENS1_60segmented_radix_sort_warp_sort_medium_config_static_selectorELNS0_4arch9wavefront6targetE1EEEvSL_
	.p2align	8
	.type	_ZN7rocprim17ROCPRIM_400000_NS6detail17trampoline_kernelINS0_14default_configENS1_36segmented_radix_sort_config_selectorI12hip_bfloat16lEEZNS1_25segmented_radix_sort_implIS3_Lb0EPKS5_PS5_PKlPlN2at6native12_GLOBAL__N_18offset_tEEE10hipError_tPvRmT1_PNSt15iterator_traitsISL_E10value_typeET2_T3_PNSM_ISR_E10value_typeET4_jRbjT5_SX_jjP12ihipStream_tbEUlT_E0_NS1_11comp_targetILNS1_3genE2ELNS1_11target_archE906ELNS1_3gpuE6ELNS1_3repE0EEENS1_60segmented_radix_sort_warp_sort_medium_config_static_selectorELNS0_4arch9wavefront6targetE1EEEvSL_,@function
_ZN7rocprim17ROCPRIM_400000_NS6detail17trampoline_kernelINS0_14default_configENS1_36segmented_radix_sort_config_selectorI12hip_bfloat16lEEZNS1_25segmented_radix_sort_implIS3_Lb0EPKS5_PS5_PKlPlN2at6native12_GLOBAL__N_18offset_tEEE10hipError_tPvRmT1_PNSt15iterator_traitsISL_E10value_typeET2_T3_PNSM_ISR_E10value_typeET4_jRbjT5_SX_jjP12ihipStream_tbEUlT_E0_NS1_11comp_targetILNS1_3genE2ELNS1_11target_archE906ELNS1_3gpuE6ELNS1_3repE0EEENS1_60segmented_radix_sort_warp_sort_medium_config_static_selectorELNS0_4arch9wavefront6targetE1EEEvSL_: ; @_ZN7rocprim17ROCPRIM_400000_NS6detail17trampoline_kernelINS0_14default_configENS1_36segmented_radix_sort_config_selectorI12hip_bfloat16lEEZNS1_25segmented_radix_sort_implIS3_Lb0EPKS5_PS5_PKlPlN2at6native12_GLOBAL__N_18offset_tEEE10hipError_tPvRmT1_PNSt15iterator_traitsISL_E10value_typeET2_T3_PNSM_ISR_E10value_typeET4_jRbjT5_SX_jjP12ihipStream_tbEUlT_E0_NS1_11comp_targetILNS1_3genE2ELNS1_11target_archE906ELNS1_3gpuE6ELNS1_3repE0EEENS1_60segmented_radix_sort_warp_sort_medium_config_static_selectorELNS0_4arch9wavefront6targetE1EEEvSL_
; %bb.0:
	.section	.rodata,"a",@progbits
	.p2align	6, 0x0
	.amdhsa_kernel _ZN7rocprim17ROCPRIM_400000_NS6detail17trampoline_kernelINS0_14default_configENS1_36segmented_radix_sort_config_selectorI12hip_bfloat16lEEZNS1_25segmented_radix_sort_implIS3_Lb0EPKS5_PS5_PKlPlN2at6native12_GLOBAL__N_18offset_tEEE10hipError_tPvRmT1_PNSt15iterator_traitsISL_E10value_typeET2_T3_PNSM_ISR_E10value_typeET4_jRbjT5_SX_jjP12ihipStream_tbEUlT_E0_NS1_11comp_targetILNS1_3genE2ELNS1_11target_archE906ELNS1_3gpuE6ELNS1_3repE0EEENS1_60segmented_radix_sort_warp_sort_medium_config_static_selectorELNS0_4arch9wavefront6targetE1EEEvSL_
		.amdhsa_group_segment_fixed_size 0
		.amdhsa_private_segment_fixed_size 0
		.amdhsa_kernarg_size 88
		.amdhsa_user_sgpr_count 6
		.amdhsa_user_sgpr_private_segment_buffer 1
		.amdhsa_user_sgpr_dispatch_ptr 0
		.amdhsa_user_sgpr_queue_ptr 0
		.amdhsa_user_sgpr_kernarg_segment_ptr 1
		.amdhsa_user_sgpr_dispatch_id 0
		.amdhsa_user_sgpr_flat_scratch_init 0
		.amdhsa_user_sgpr_kernarg_preload_length 0
		.amdhsa_user_sgpr_kernarg_preload_offset 0
		.amdhsa_user_sgpr_private_segment_size 0
		.amdhsa_uses_dynamic_stack 0
		.amdhsa_system_sgpr_private_segment_wavefront_offset 0
		.amdhsa_system_sgpr_workgroup_id_x 1
		.amdhsa_system_sgpr_workgroup_id_y 0
		.amdhsa_system_sgpr_workgroup_id_z 0
		.amdhsa_system_sgpr_workgroup_info 0
		.amdhsa_system_vgpr_workitem_id 0
		.amdhsa_next_free_vgpr 1
		.amdhsa_next_free_sgpr 0
		.amdhsa_accum_offset 4
		.amdhsa_reserve_vcc 0
		.amdhsa_reserve_flat_scratch 0
		.amdhsa_float_round_mode_32 0
		.amdhsa_float_round_mode_16_64 0
		.amdhsa_float_denorm_mode_32 3
		.amdhsa_float_denorm_mode_16_64 3
		.amdhsa_dx10_clamp 1
		.amdhsa_ieee_mode 1
		.amdhsa_fp16_overflow 0
		.amdhsa_tg_split 0
		.amdhsa_exception_fp_ieee_invalid_op 0
		.amdhsa_exception_fp_denorm_src 0
		.amdhsa_exception_fp_ieee_div_zero 0
		.amdhsa_exception_fp_ieee_overflow 0
		.amdhsa_exception_fp_ieee_underflow 0
		.amdhsa_exception_fp_ieee_inexact 0
		.amdhsa_exception_int_div_zero 0
	.end_amdhsa_kernel
	.section	.text._ZN7rocprim17ROCPRIM_400000_NS6detail17trampoline_kernelINS0_14default_configENS1_36segmented_radix_sort_config_selectorI12hip_bfloat16lEEZNS1_25segmented_radix_sort_implIS3_Lb0EPKS5_PS5_PKlPlN2at6native12_GLOBAL__N_18offset_tEEE10hipError_tPvRmT1_PNSt15iterator_traitsISL_E10value_typeET2_T3_PNSM_ISR_E10value_typeET4_jRbjT5_SX_jjP12ihipStream_tbEUlT_E0_NS1_11comp_targetILNS1_3genE2ELNS1_11target_archE906ELNS1_3gpuE6ELNS1_3repE0EEENS1_60segmented_radix_sort_warp_sort_medium_config_static_selectorELNS0_4arch9wavefront6targetE1EEEvSL_,"axG",@progbits,_ZN7rocprim17ROCPRIM_400000_NS6detail17trampoline_kernelINS0_14default_configENS1_36segmented_radix_sort_config_selectorI12hip_bfloat16lEEZNS1_25segmented_radix_sort_implIS3_Lb0EPKS5_PS5_PKlPlN2at6native12_GLOBAL__N_18offset_tEEE10hipError_tPvRmT1_PNSt15iterator_traitsISL_E10value_typeET2_T3_PNSM_ISR_E10value_typeET4_jRbjT5_SX_jjP12ihipStream_tbEUlT_E0_NS1_11comp_targetILNS1_3genE2ELNS1_11target_archE906ELNS1_3gpuE6ELNS1_3repE0EEENS1_60segmented_radix_sort_warp_sort_medium_config_static_selectorELNS0_4arch9wavefront6targetE1EEEvSL_,comdat
.Lfunc_end2062:
	.size	_ZN7rocprim17ROCPRIM_400000_NS6detail17trampoline_kernelINS0_14default_configENS1_36segmented_radix_sort_config_selectorI12hip_bfloat16lEEZNS1_25segmented_radix_sort_implIS3_Lb0EPKS5_PS5_PKlPlN2at6native12_GLOBAL__N_18offset_tEEE10hipError_tPvRmT1_PNSt15iterator_traitsISL_E10value_typeET2_T3_PNSM_ISR_E10value_typeET4_jRbjT5_SX_jjP12ihipStream_tbEUlT_E0_NS1_11comp_targetILNS1_3genE2ELNS1_11target_archE906ELNS1_3gpuE6ELNS1_3repE0EEENS1_60segmented_radix_sort_warp_sort_medium_config_static_selectorELNS0_4arch9wavefront6targetE1EEEvSL_, .Lfunc_end2062-_ZN7rocprim17ROCPRIM_400000_NS6detail17trampoline_kernelINS0_14default_configENS1_36segmented_radix_sort_config_selectorI12hip_bfloat16lEEZNS1_25segmented_radix_sort_implIS3_Lb0EPKS5_PS5_PKlPlN2at6native12_GLOBAL__N_18offset_tEEE10hipError_tPvRmT1_PNSt15iterator_traitsISL_E10value_typeET2_T3_PNSM_ISR_E10value_typeET4_jRbjT5_SX_jjP12ihipStream_tbEUlT_E0_NS1_11comp_targetILNS1_3genE2ELNS1_11target_archE906ELNS1_3gpuE6ELNS1_3repE0EEENS1_60segmented_radix_sort_warp_sort_medium_config_static_selectorELNS0_4arch9wavefront6targetE1EEEvSL_
                                        ; -- End function
	.section	.AMDGPU.csdata,"",@progbits
; Kernel info:
; codeLenInByte = 0
; NumSgprs: 4
; NumVgprs: 0
; NumAgprs: 0
; TotalNumVgprs: 0
; ScratchSize: 0
; MemoryBound: 0
; FloatMode: 240
; IeeeMode: 1
; LDSByteSize: 0 bytes/workgroup (compile time only)
; SGPRBlocks: 0
; VGPRBlocks: 0
; NumSGPRsForWavesPerEU: 4
; NumVGPRsForWavesPerEU: 1
; AccumOffset: 4
; Occupancy: 8
; WaveLimiterHint : 0
; COMPUTE_PGM_RSRC2:SCRATCH_EN: 0
; COMPUTE_PGM_RSRC2:USER_SGPR: 6
; COMPUTE_PGM_RSRC2:TRAP_HANDLER: 0
; COMPUTE_PGM_RSRC2:TGID_X_EN: 1
; COMPUTE_PGM_RSRC2:TGID_Y_EN: 0
; COMPUTE_PGM_RSRC2:TGID_Z_EN: 0
; COMPUTE_PGM_RSRC2:TIDIG_COMP_CNT: 0
; COMPUTE_PGM_RSRC3_GFX90A:ACCUM_OFFSET: 0
; COMPUTE_PGM_RSRC3_GFX90A:TG_SPLIT: 0
	.section	.text._ZN7rocprim17ROCPRIM_400000_NS6detail17trampoline_kernelINS0_14default_configENS1_36segmented_radix_sort_config_selectorI12hip_bfloat16lEEZNS1_25segmented_radix_sort_implIS3_Lb0EPKS5_PS5_PKlPlN2at6native12_GLOBAL__N_18offset_tEEE10hipError_tPvRmT1_PNSt15iterator_traitsISL_E10value_typeET2_T3_PNSM_ISR_E10value_typeET4_jRbjT5_SX_jjP12ihipStream_tbEUlT_E0_NS1_11comp_targetILNS1_3genE10ELNS1_11target_archE1201ELNS1_3gpuE5ELNS1_3repE0EEENS1_60segmented_radix_sort_warp_sort_medium_config_static_selectorELNS0_4arch9wavefront6targetE1EEEvSL_,"axG",@progbits,_ZN7rocprim17ROCPRIM_400000_NS6detail17trampoline_kernelINS0_14default_configENS1_36segmented_radix_sort_config_selectorI12hip_bfloat16lEEZNS1_25segmented_radix_sort_implIS3_Lb0EPKS5_PS5_PKlPlN2at6native12_GLOBAL__N_18offset_tEEE10hipError_tPvRmT1_PNSt15iterator_traitsISL_E10value_typeET2_T3_PNSM_ISR_E10value_typeET4_jRbjT5_SX_jjP12ihipStream_tbEUlT_E0_NS1_11comp_targetILNS1_3genE10ELNS1_11target_archE1201ELNS1_3gpuE5ELNS1_3repE0EEENS1_60segmented_radix_sort_warp_sort_medium_config_static_selectorELNS0_4arch9wavefront6targetE1EEEvSL_,comdat
	.globl	_ZN7rocprim17ROCPRIM_400000_NS6detail17trampoline_kernelINS0_14default_configENS1_36segmented_radix_sort_config_selectorI12hip_bfloat16lEEZNS1_25segmented_radix_sort_implIS3_Lb0EPKS5_PS5_PKlPlN2at6native12_GLOBAL__N_18offset_tEEE10hipError_tPvRmT1_PNSt15iterator_traitsISL_E10value_typeET2_T3_PNSM_ISR_E10value_typeET4_jRbjT5_SX_jjP12ihipStream_tbEUlT_E0_NS1_11comp_targetILNS1_3genE10ELNS1_11target_archE1201ELNS1_3gpuE5ELNS1_3repE0EEENS1_60segmented_radix_sort_warp_sort_medium_config_static_selectorELNS0_4arch9wavefront6targetE1EEEvSL_ ; -- Begin function _ZN7rocprim17ROCPRIM_400000_NS6detail17trampoline_kernelINS0_14default_configENS1_36segmented_radix_sort_config_selectorI12hip_bfloat16lEEZNS1_25segmented_radix_sort_implIS3_Lb0EPKS5_PS5_PKlPlN2at6native12_GLOBAL__N_18offset_tEEE10hipError_tPvRmT1_PNSt15iterator_traitsISL_E10value_typeET2_T3_PNSM_ISR_E10value_typeET4_jRbjT5_SX_jjP12ihipStream_tbEUlT_E0_NS1_11comp_targetILNS1_3genE10ELNS1_11target_archE1201ELNS1_3gpuE5ELNS1_3repE0EEENS1_60segmented_radix_sort_warp_sort_medium_config_static_selectorELNS0_4arch9wavefront6targetE1EEEvSL_
	.p2align	8
	.type	_ZN7rocprim17ROCPRIM_400000_NS6detail17trampoline_kernelINS0_14default_configENS1_36segmented_radix_sort_config_selectorI12hip_bfloat16lEEZNS1_25segmented_radix_sort_implIS3_Lb0EPKS5_PS5_PKlPlN2at6native12_GLOBAL__N_18offset_tEEE10hipError_tPvRmT1_PNSt15iterator_traitsISL_E10value_typeET2_T3_PNSM_ISR_E10value_typeET4_jRbjT5_SX_jjP12ihipStream_tbEUlT_E0_NS1_11comp_targetILNS1_3genE10ELNS1_11target_archE1201ELNS1_3gpuE5ELNS1_3repE0EEENS1_60segmented_radix_sort_warp_sort_medium_config_static_selectorELNS0_4arch9wavefront6targetE1EEEvSL_,@function
_ZN7rocprim17ROCPRIM_400000_NS6detail17trampoline_kernelINS0_14default_configENS1_36segmented_radix_sort_config_selectorI12hip_bfloat16lEEZNS1_25segmented_radix_sort_implIS3_Lb0EPKS5_PS5_PKlPlN2at6native12_GLOBAL__N_18offset_tEEE10hipError_tPvRmT1_PNSt15iterator_traitsISL_E10value_typeET2_T3_PNSM_ISR_E10value_typeET4_jRbjT5_SX_jjP12ihipStream_tbEUlT_E0_NS1_11comp_targetILNS1_3genE10ELNS1_11target_archE1201ELNS1_3gpuE5ELNS1_3repE0EEENS1_60segmented_radix_sort_warp_sort_medium_config_static_selectorELNS0_4arch9wavefront6targetE1EEEvSL_: ; @_ZN7rocprim17ROCPRIM_400000_NS6detail17trampoline_kernelINS0_14default_configENS1_36segmented_radix_sort_config_selectorI12hip_bfloat16lEEZNS1_25segmented_radix_sort_implIS3_Lb0EPKS5_PS5_PKlPlN2at6native12_GLOBAL__N_18offset_tEEE10hipError_tPvRmT1_PNSt15iterator_traitsISL_E10value_typeET2_T3_PNSM_ISR_E10value_typeET4_jRbjT5_SX_jjP12ihipStream_tbEUlT_E0_NS1_11comp_targetILNS1_3genE10ELNS1_11target_archE1201ELNS1_3gpuE5ELNS1_3repE0EEENS1_60segmented_radix_sort_warp_sort_medium_config_static_selectorELNS0_4arch9wavefront6targetE1EEEvSL_
; %bb.0:
	.section	.rodata,"a",@progbits
	.p2align	6, 0x0
	.amdhsa_kernel _ZN7rocprim17ROCPRIM_400000_NS6detail17trampoline_kernelINS0_14default_configENS1_36segmented_radix_sort_config_selectorI12hip_bfloat16lEEZNS1_25segmented_radix_sort_implIS3_Lb0EPKS5_PS5_PKlPlN2at6native12_GLOBAL__N_18offset_tEEE10hipError_tPvRmT1_PNSt15iterator_traitsISL_E10value_typeET2_T3_PNSM_ISR_E10value_typeET4_jRbjT5_SX_jjP12ihipStream_tbEUlT_E0_NS1_11comp_targetILNS1_3genE10ELNS1_11target_archE1201ELNS1_3gpuE5ELNS1_3repE0EEENS1_60segmented_radix_sort_warp_sort_medium_config_static_selectorELNS0_4arch9wavefront6targetE1EEEvSL_
		.amdhsa_group_segment_fixed_size 0
		.amdhsa_private_segment_fixed_size 0
		.amdhsa_kernarg_size 88
		.amdhsa_user_sgpr_count 6
		.amdhsa_user_sgpr_private_segment_buffer 1
		.amdhsa_user_sgpr_dispatch_ptr 0
		.amdhsa_user_sgpr_queue_ptr 0
		.amdhsa_user_sgpr_kernarg_segment_ptr 1
		.amdhsa_user_sgpr_dispatch_id 0
		.amdhsa_user_sgpr_flat_scratch_init 0
		.amdhsa_user_sgpr_kernarg_preload_length 0
		.amdhsa_user_sgpr_kernarg_preload_offset 0
		.amdhsa_user_sgpr_private_segment_size 0
		.amdhsa_uses_dynamic_stack 0
		.amdhsa_system_sgpr_private_segment_wavefront_offset 0
		.amdhsa_system_sgpr_workgroup_id_x 1
		.amdhsa_system_sgpr_workgroup_id_y 0
		.amdhsa_system_sgpr_workgroup_id_z 0
		.amdhsa_system_sgpr_workgroup_info 0
		.amdhsa_system_vgpr_workitem_id 0
		.amdhsa_next_free_vgpr 1
		.amdhsa_next_free_sgpr 0
		.amdhsa_accum_offset 4
		.amdhsa_reserve_vcc 0
		.amdhsa_reserve_flat_scratch 0
		.amdhsa_float_round_mode_32 0
		.amdhsa_float_round_mode_16_64 0
		.amdhsa_float_denorm_mode_32 3
		.amdhsa_float_denorm_mode_16_64 3
		.amdhsa_dx10_clamp 1
		.amdhsa_ieee_mode 1
		.amdhsa_fp16_overflow 0
		.amdhsa_tg_split 0
		.amdhsa_exception_fp_ieee_invalid_op 0
		.amdhsa_exception_fp_denorm_src 0
		.amdhsa_exception_fp_ieee_div_zero 0
		.amdhsa_exception_fp_ieee_overflow 0
		.amdhsa_exception_fp_ieee_underflow 0
		.amdhsa_exception_fp_ieee_inexact 0
		.amdhsa_exception_int_div_zero 0
	.end_amdhsa_kernel
	.section	.text._ZN7rocprim17ROCPRIM_400000_NS6detail17trampoline_kernelINS0_14default_configENS1_36segmented_radix_sort_config_selectorI12hip_bfloat16lEEZNS1_25segmented_radix_sort_implIS3_Lb0EPKS5_PS5_PKlPlN2at6native12_GLOBAL__N_18offset_tEEE10hipError_tPvRmT1_PNSt15iterator_traitsISL_E10value_typeET2_T3_PNSM_ISR_E10value_typeET4_jRbjT5_SX_jjP12ihipStream_tbEUlT_E0_NS1_11comp_targetILNS1_3genE10ELNS1_11target_archE1201ELNS1_3gpuE5ELNS1_3repE0EEENS1_60segmented_radix_sort_warp_sort_medium_config_static_selectorELNS0_4arch9wavefront6targetE1EEEvSL_,"axG",@progbits,_ZN7rocprim17ROCPRIM_400000_NS6detail17trampoline_kernelINS0_14default_configENS1_36segmented_radix_sort_config_selectorI12hip_bfloat16lEEZNS1_25segmented_radix_sort_implIS3_Lb0EPKS5_PS5_PKlPlN2at6native12_GLOBAL__N_18offset_tEEE10hipError_tPvRmT1_PNSt15iterator_traitsISL_E10value_typeET2_T3_PNSM_ISR_E10value_typeET4_jRbjT5_SX_jjP12ihipStream_tbEUlT_E0_NS1_11comp_targetILNS1_3genE10ELNS1_11target_archE1201ELNS1_3gpuE5ELNS1_3repE0EEENS1_60segmented_radix_sort_warp_sort_medium_config_static_selectorELNS0_4arch9wavefront6targetE1EEEvSL_,comdat
.Lfunc_end2063:
	.size	_ZN7rocprim17ROCPRIM_400000_NS6detail17trampoline_kernelINS0_14default_configENS1_36segmented_radix_sort_config_selectorI12hip_bfloat16lEEZNS1_25segmented_radix_sort_implIS3_Lb0EPKS5_PS5_PKlPlN2at6native12_GLOBAL__N_18offset_tEEE10hipError_tPvRmT1_PNSt15iterator_traitsISL_E10value_typeET2_T3_PNSM_ISR_E10value_typeET4_jRbjT5_SX_jjP12ihipStream_tbEUlT_E0_NS1_11comp_targetILNS1_3genE10ELNS1_11target_archE1201ELNS1_3gpuE5ELNS1_3repE0EEENS1_60segmented_radix_sort_warp_sort_medium_config_static_selectorELNS0_4arch9wavefront6targetE1EEEvSL_, .Lfunc_end2063-_ZN7rocprim17ROCPRIM_400000_NS6detail17trampoline_kernelINS0_14default_configENS1_36segmented_radix_sort_config_selectorI12hip_bfloat16lEEZNS1_25segmented_radix_sort_implIS3_Lb0EPKS5_PS5_PKlPlN2at6native12_GLOBAL__N_18offset_tEEE10hipError_tPvRmT1_PNSt15iterator_traitsISL_E10value_typeET2_T3_PNSM_ISR_E10value_typeET4_jRbjT5_SX_jjP12ihipStream_tbEUlT_E0_NS1_11comp_targetILNS1_3genE10ELNS1_11target_archE1201ELNS1_3gpuE5ELNS1_3repE0EEENS1_60segmented_radix_sort_warp_sort_medium_config_static_selectorELNS0_4arch9wavefront6targetE1EEEvSL_
                                        ; -- End function
	.section	.AMDGPU.csdata,"",@progbits
; Kernel info:
; codeLenInByte = 0
; NumSgprs: 4
; NumVgprs: 0
; NumAgprs: 0
; TotalNumVgprs: 0
; ScratchSize: 0
; MemoryBound: 0
; FloatMode: 240
; IeeeMode: 1
; LDSByteSize: 0 bytes/workgroup (compile time only)
; SGPRBlocks: 0
; VGPRBlocks: 0
; NumSGPRsForWavesPerEU: 4
; NumVGPRsForWavesPerEU: 1
; AccumOffset: 4
; Occupancy: 8
; WaveLimiterHint : 0
; COMPUTE_PGM_RSRC2:SCRATCH_EN: 0
; COMPUTE_PGM_RSRC2:USER_SGPR: 6
; COMPUTE_PGM_RSRC2:TRAP_HANDLER: 0
; COMPUTE_PGM_RSRC2:TGID_X_EN: 1
; COMPUTE_PGM_RSRC2:TGID_Y_EN: 0
; COMPUTE_PGM_RSRC2:TGID_Z_EN: 0
; COMPUTE_PGM_RSRC2:TIDIG_COMP_CNT: 0
; COMPUTE_PGM_RSRC3_GFX90A:ACCUM_OFFSET: 0
; COMPUTE_PGM_RSRC3_GFX90A:TG_SPLIT: 0
	.section	.text._ZN7rocprim17ROCPRIM_400000_NS6detail17trampoline_kernelINS0_14default_configENS1_36segmented_radix_sort_config_selectorI12hip_bfloat16lEEZNS1_25segmented_radix_sort_implIS3_Lb0EPKS5_PS5_PKlPlN2at6native12_GLOBAL__N_18offset_tEEE10hipError_tPvRmT1_PNSt15iterator_traitsISL_E10value_typeET2_T3_PNSM_ISR_E10value_typeET4_jRbjT5_SX_jjP12ihipStream_tbEUlT_E0_NS1_11comp_targetILNS1_3genE10ELNS1_11target_archE1200ELNS1_3gpuE4ELNS1_3repE0EEENS1_60segmented_radix_sort_warp_sort_medium_config_static_selectorELNS0_4arch9wavefront6targetE1EEEvSL_,"axG",@progbits,_ZN7rocprim17ROCPRIM_400000_NS6detail17trampoline_kernelINS0_14default_configENS1_36segmented_radix_sort_config_selectorI12hip_bfloat16lEEZNS1_25segmented_radix_sort_implIS3_Lb0EPKS5_PS5_PKlPlN2at6native12_GLOBAL__N_18offset_tEEE10hipError_tPvRmT1_PNSt15iterator_traitsISL_E10value_typeET2_T3_PNSM_ISR_E10value_typeET4_jRbjT5_SX_jjP12ihipStream_tbEUlT_E0_NS1_11comp_targetILNS1_3genE10ELNS1_11target_archE1200ELNS1_3gpuE4ELNS1_3repE0EEENS1_60segmented_radix_sort_warp_sort_medium_config_static_selectorELNS0_4arch9wavefront6targetE1EEEvSL_,comdat
	.globl	_ZN7rocprim17ROCPRIM_400000_NS6detail17trampoline_kernelINS0_14default_configENS1_36segmented_radix_sort_config_selectorI12hip_bfloat16lEEZNS1_25segmented_radix_sort_implIS3_Lb0EPKS5_PS5_PKlPlN2at6native12_GLOBAL__N_18offset_tEEE10hipError_tPvRmT1_PNSt15iterator_traitsISL_E10value_typeET2_T3_PNSM_ISR_E10value_typeET4_jRbjT5_SX_jjP12ihipStream_tbEUlT_E0_NS1_11comp_targetILNS1_3genE10ELNS1_11target_archE1200ELNS1_3gpuE4ELNS1_3repE0EEENS1_60segmented_radix_sort_warp_sort_medium_config_static_selectorELNS0_4arch9wavefront6targetE1EEEvSL_ ; -- Begin function _ZN7rocprim17ROCPRIM_400000_NS6detail17trampoline_kernelINS0_14default_configENS1_36segmented_radix_sort_config_selectorI12hip_bfloat16lEEZNS1_25segmented_radix_sort_implIS3_Lb0EPKS5_PS5_PKlPlN2at6native12_GLOBAL__N_18offset_tEEE10hipError_tPvRmT1_PNSt15iterator_traitsISL_E10value_typeET2_T3_PNSM_ISR_E10value_typeET4_jRbjT5_SX_jjP12ihipStream_tbEUlT_E0_NS1_11comp_targetILNS1_3genE10ELNS1_11target_archE1200ELNS1_3gpuE4ELNS1_3repE0EEENS1_60segmented_radix_sort_warp_sort_medium_config_static_selectorELNS0_4arch9wavefront6targetE1EEEvSL_
	.p2align	8
	.type	_ZN7rocprim17ROCPRIM_400000_NS6detail17trampoline_kernelINS0_14default_configENS1_36segmented_radix_sort_config_selectorI12hip_bfloat16lEEZNS1_25segmented_radix_sort_implIS3_Lb0EPKS5_PS5_PKlPlN2at6native12_GLOBAL__N_18offset_tEEE10hipError_tPvRmT1_PNSt15iterator_traitsISL_E10value_typeET2_T3_PNSM_ISR_E10value_typeET4_jRbjT5_SX_jjP12ihipStream_tbEUlT_E0_NS1_11comp_targetILNS1_3genE10ELNS1_11target_archE1200ELNS1_3gpuE4ELNS1_3repE0EEENS1_60segmented_radix_sort_warp_sort_medium_config_static_selectorELNS0_4arch9wavefront6targetE1EEEvSL_,@function
_ZN7rocprim17ROCPRIM_400000_NS6detail17trampoline_kernelINS0_14default_configENS1_36segmented_radix_sort_config_selectorI12hip_bfloat16lEEZNS1_25segmented_radix_sort_implIS3_Lb0EPKS5_PS5_PKlPlN2at6native12_GLOBAL__N_18offset_tEEE10hipError_tPvRmT1_PNSt15iterator_traitsISL_E10value_typeET2_T3_PNSM_ISR_E10value_typeET4_jRbjT5_SX_jjP12ihipStream_tbEUlT_E0_NS1_11comp_targetILNS1_3genE10ELNS1_11target_archE1200ELNS1_3gpuE4ELNS1_3repE0EEENS1_60segmented_radix_sort_warp_sort_medium_config_static_selectorELNS0_4arch9wavefront6targetE1EEEvSL_: ; @_ZN7rocprim17ROCPRIM_400000_NS6detail17trampoline_kernelINS0_14default_configENS1_36segmented_radix_sort_config_selectorI12hip_bfloat16lEEZNS1_25segmented_radix_sort_implIS3_Lb0EPKS5_PS5_PKlPlN2at6native12_GLOBAL__N_18offset_tEEE10hipError_tPvRmT1_PNSt15iterator_traitsISL_E10value_typeET2_T3_PNSM_ISR_E10value_typeET4_jRbjT5_SX_jjP12ihipStream_tbEUlT_E0_NS1_11comp_targetILNS1_3genE10ELNS1_11target_archE1200ELNS1_3gpuE4ELNS1_3repE0EEENS1_60segmented_radix_sort_warp_sort_medium_config_static_selectorELNS0_4arch9wavefront6targetE1EEEvSL_
; %bb.0:
	.section	.rodata,"a",@progbits
	.p2align	6, 0x0
	.amdhsa_kernel _ZN7rocprim17ROCPRIM_400000_NS6detail17trampoline_kernelINS0_14default_configENS1_36segmented_radix_sort_config_selectorI12hip_bfloat16lEEZNS1_25segmented_radix_sort_implIS3_Lb0EPKS5_PS5_PKlPlN2at6native12_GLOBAL__N_18offset_tEEE10hipError_tPvRmT1_PNSt15iterator_traitsISL_E10value_typeET2_T3_PNSM_ISR_E10value_typeET4_jRbjT5_SX_jjP12ihipStream_tbEUlT_E0_NS1_11comp_targetILNS1_3genE10ELNS1_11target_archE1200ELNS1_3gpuE4ELNS1_3repE0EEENS1_60segmented_radix_sort_warp_sort_medium_config_static_selectorELNS0_4arch9wavefront6targetE1EEEvSL_
		.amdhsa_group_segment_fixed_size 0
		.amdhsa_private_segment_fixed_size 0
		.amdhsa_kernarg_size 88
		.amdhsa_user_sgpr_count 6
		.amdhsa_user_sgpr_private_segment_buffer 1
		.amdhsa_user_sgpr_dispatch_ptr 0
		.amdhsa_user_sgpr_queue_ptr 0
		.amdhsa_user_sgpr_kernarg_segment_ptr 1
		.amdhsa_user_sgpr_dispatch_id 0
		.amdhsa_user_sgpr_flat_scratch_init 0
		.amdhsa_user_sgpr_kernarg_preload_length 0
		.amdhsa_user_sgpr_kernarg_preload_offset 0
		.amdhsa_user_sgpr_private_segment_size 0
		.amdhsa_uses_dynamic_stack 0
		.amdhsa_system_sgpr_private_segment_wavefront_offset 0
		.amdhsa_system_sgpr_workgroup_id_x 1
		.amdhsa_system_sgpr_workgroup_id_y 0
		.amdhsa_system_sgpr_workgroup_id_z 0
		.amdhsa_system_sgpr_workgroup_info 0
		.amdhsa_system_vgpr_workitem_id 0
		.amdhsa_next_free_vgpr 1
		.amdhsa_next_free_sgpr 0
		.amdhsa_accum_offset 4
		.amdhsa_reserve_vcc 0
		.amdhsa_reserve_flat_scratch 0
		.amdhsa_float_round_mode_32 0
		.amdhsa_float_round_mode_16_64 0
		.amdhsa_float_denorm_mode_32 3
		.amdhsa_float_denorm_mode_16_64 3
		.amdhsa_dx10_clamp 1
		.amdhsa_ieee_mode 1
		.amdhsa_fp16_overflow 0
		.amdhsa_tg_split 0
		.amdhsa_exception_fp_ieee_invalid_op 0
		.amdhsa_exception_fp_denorm_src 0
		.amdhsa_exception_fp_ieee_div_zero 0
		.amdhsa_exception_fp_ieee_overflow 0
		.amdhsa_exception_fp_ieee_underflow 0
		.amdhsa_exception_fp_ieee_inexact 0
		.amdhsa_exception_int_div_zero 0
	.end_amdhsa_kernel
	.section	.text._ZN7rocprim17ROCPRIM_400000_NS6detail17trampoline_kernelINS0_14default_configENS1_36segmented_radix_sort_config_selectorI12hip_bfloat16lEEZNS1_25segmented_radix_sort_implIS3_Lb0EPKS5_PS5_PKlPlN2at6native12_GLOBAL__N_18offset_tEEE10hipError_tPvRmT1_PNSt15iterator_traitsISL_E10value_typeET2_T3_PNSM_ISR_E10value_typeET4_jRbjT5_SX_jjP12ihipStream_tbEUlT_E0_NS1_11comp_targetILNS1_3genE10ELNS1_11target_archE1200ELNS1_3gpuE4ELNS1_3repE0EEENS1_60segmented_radix_sort_warp_sort_medium_config_static_selectorELNS0_4arch9wavefront6targetE1EEEvSL_,"axG",@progbits,_ZN7rocprim17ROCPRIM_400000_NS6detail17trampoline_kernelINS0_14default_configENS1_36segmented_radix_sort_config_selectorI12hip_bfloat16lEEZNS1_25segmented_radix_sort_implIS3_Lb0EPKS5_PS5_PKlPlN2at6native12_GLOBAL__N_18offset_tEEE10hipError_tPvRmT1_PNSt15iterator_traitsISL_E10value_typeET2_T3_PNSM_ISR_E10value_typeET4_jRbjT5_SX_jjP12ihipStream_tbEUlT_E0_NS1_11comp_targetILNS1_3genE10ELNS1_11target_archE1200ELNS1_3gpuE4ELNS1_3repE0EEENS1_60segmented_radix_sort_warp_sort_medium_config_static_selectorELNS0_4arch9wavefront6targetE1EEEvSL_,comdat
.Lfunc_end2064:
	.size	_ZN7rocprim17ROCPRIM_400000_NS6detail17trampoline_kernelINS0_14default_configENS1_36segmented_radix_sort_config_selectorI12hip_bfloat16lEEZNS1_25segmented_radix_sort_implIS3_Lb0EPKS5_PS5_PKlPlN2at6native12_GLOBAL__N_18offset_tEEE10hipError_tPvRmT1_PNSt15iterator_traitsISL_E10value_typeET2_T3_PNSM_ISR_E10value_typeET4_jRbjT5_SX_jjP12ihipStream_tbEUlT_E0_NS1_11comp_targetILNS1_3genE10ELNS1_11target_archE1200ELNS1_3gpuE4ELNS1_3repE0EEENS1_60segmented_radix_sort_warp_sort_medium_config_static_selectorELNS0_4arch9wavefront6targetE1EEEvSL_, .Lfunc_end2064-_ZN7rocprim17ROCPRIM_400000_NS6detail17trampoline_kernelINS0_14default_configENS1_36segmented_radix_sort_config_selectorI12hip_bfloat16lEEZNS1_25segmented_radix_sort_implIS3_Lb0EPKS5_PS5_PKlPlN2at6native12_GLOBAL__N_18offset_tEEE10hipError_tPvRmT1_PNSt15iterator_traitsISL_E10value_typeET2_T3_PNSM_ISR_E10value_typeET4_jRbjT5_SX_jjP12ihipStream_tbEUlT_E0_NS1_11comp_targetILNS1_3genE10ELNS1_11target_archE1200ELNS1_3gpuE4ELNS1_3repE0EEENS1_60segmented_radix_sort_warp_sort_medium_config_static_selectorELNS0_4arch9wavefront6targetE1EEEvSL_
                                        ; -- End function
	.section	.AMDGPU.csdata,"",@progbits
; Kernel info:
; codeLenInByte = 0
; NumSgprs: 4
; NumVgprs: 0
; NumAgprs: 0
; TotalNumVgprs: 0
; ScratchSize: 0
; MemoryBound: 0
; FloatMode: 240
; IeeeMode: 1
; LDSByteSize: 0 bytes/workgroup (compile time only)
; SGPRBlocks: 0
; VGPRBlocks: 0
; NumSGPRsForWavesPerEU: 4
; NumVGPRsForWavesPerEU: 1
; AccumOffset: 4
; Occupancy: 8
; WaveLimiterHint : 0
; COMPUTE_PGM_RSRC2:SCRATCH_EN: 0
; COMPUTE_PGM_RSRC2:USER_SGPR: 6
; COMPUTE_PGM_RSRC2:TRAP_HANDLER: 0
; COMPUTE_PGM_RSRC2:TGID_X_EN: 1
; COMPUTE_PGM_RSRC2:TGID_Y_EN: 0
; COMPUTE_PGM_RSRC2:TGID_Z_EN: 0
; COMPUTE_PGM_RSRC2:TIDIG_COMP_CNT: 0
; COMPUTE_PGM_RSRC3_GFX90A:ACCUM_OFFSET: 0
; COMPUTE_PGM_RSRC3_GFX90A:TG_SPLIT: 0
	.section	.text._ZN7rocprim17ROCPRIM_400000_NS6detail17trampoline_kernelINS0_14default_configENS1_36segmented_radix_sort_config_selectorI12hip_bfloat16lEEZNS1_25segmented_radix_sort_implIS3_Lb0EPKS5_PS5_PKlPlN2at6native12_GLOBAL__N_18offset_tEEE10hipError_tPvRmT1_PNSt15iterator_traitsISL_E10value_typeET2_T3_PNSM_ISR_E10value_typeET4_jRbjT5_SX_jjP12ihipStream_tbEUlT_E0_NS1_11comp_targetILNS1_3genE9ELNS1_11target_archE1100ELNS1_3gpuE3ELNS1_3repE0EEENS1_60segmented_radix_sort_warp_sort_medium_config_static_selectorELNS0_4arch9wavefront6targetE1EEEvSL_,"axG",@progbits,_ZN7rocprim17ROCPRIM_400000_NS6detail17trampoline_kernelINS0_14default_configENS1_36segmented_radix_sort_config_selectorI12hip_bfloat16lEEZNS1_25segmented_radix_sort_implIS3_Lb0EPKS5_PS5_PKlPlN2at6native12_GLOBAL__N_18offset_tEEE10hipError_tPvRmT1_PNSt15iterator_traitsISL_E10value_typeET2_T3_PNSM_ISR_E10value_typeET4_jRbjT5_SX_jjP12ihipStream_tbEUlT_E0_NS1_11comp_targetILNS1_3genE9ELNS1_11target_archE1100ELNS1_3gpuE3ELNS1_3repE0EEENS1_60segmented_radix_sort_warp_sort_medium_config_static_selectorELNS0_4arch9wavefront6targetE1EEEvSL_,comdat
	.globl	_ZN7rocprim17ROCPRIM_400000_NS6detail17trampoline_kernelINS0_14default_configENS1_36segmented_radix_sort_config_selectorI12hip_bfloat16lEEZNS1_25segmented_radix_sort_implIS3_Lb0EPKS5_PS5_PKlPlN2at6native12_GLOBAL__N_18offset_tEEE10hipError_tPvRmT1_PNSt15iterator_traitsISL_E10value_typeET2_T3_PNSM_ISR_E10value_typeET4_jRbjT5_SX_jjP12ihipStream_tbEUlT_E0_NS1_11comp_targetILNS1_3genE9ELNS1_11target_archE1100ELNS1_3gpuE3ELNS1_3repE0EEENS1_60segmented_radix_sort_warp_sort_medium_config_static_selectorELNS0_4arch9wavefront6targetE1EEEvSL_ ; -- Begin function _ZN7rocprim17ROCPRIM_400000_NS6detail17trampoline_kernelINS0_14default_configENS1_36segmented_radix_sort_config_selectorI12hip_bfloat16lEEZNS1_25segmented_radix_sort_implIS3_Lb0EPKS5_PS5_PKlPlN2at6native12_GLOBAL__N_18offset_tEEE10hipError_tPvRmT1_PNSt15iterator_traitsISL_E10value_typeET2_T3_PNSM_ISR_E10value_typeET4_jRbjT5_SX_jjP12ihipStream_tbEUlT_E0_NS1_11comp_targetILNS1_3genE9ELNS1_11target_archE1100ELNS1_3gpuE3ELNS1_3repE0EEENS1_60segmented_radix_sort_warp_sort_medium_config_static_selectorELNS0_4arch9wavefront6targetE1EEEvSL_
	.p2align	8
	.type	_ZN7rocprim17ROCPRIM_400000_NS6detail17trampoline_kernelINS0_14default_configENS1_36segmented_radix_sort_config_selectorI12hip_bfloat16lEEZNS1_25segmented_radix_sort_implIS3_Lb0EPKS5_PS5_PKlPlN2at6native12_GLOBAL__N_18offset_tEEE10hipError_tPvRmT1_PNSt15iterator_traitsISL_E10value_typeET2_T3_PNSM_ISR_E10value_typeET4_jRbjT5_SX_jjP12ihipStream_tbEUlT_E0_NS1_11comp_targetILNS1_3genE9ELNS1_11target_archE1100ELNS1_3gpuE3ELNS1_3repE0EEENS1_60segmented_radix_sort_warp_sort_medium_config_static_selectorELNS0_4arch9wavefront6targetE1EEEvSL_,@function
_ZN7rocprim17ROCPRIM_400000_NS6detail17trampoline_kernelINS0_14default_configENS1_36segmented_radix_sort_config_selectorI12hip_bfloat16lEEZNS1_25segmented_radix_sort_implIS3_Lb0EPKS5_PS5_PKlPlN2at6native12_GLOBAL__N_18offset_tEEE10hipError_tPvRmT1_PNSt15iterator_traitsISL_E10value_typeET2_T3_PNSM_ISR_E10value_typeET4_jRbjT5_SX_jjP12ihipStream_tbEUlT_E0_NS1_11comp_targetILNS1_3genE9ELNS1_11target_archE1100ELNS1_3gpuE3ELNS1_3repE0EEENS1_60segmented_radix_sort_warp_sort_medium_config_static_selectorELNS0_4arch9wavefront6targetE1EEEvSL_: ; @_ZN7rocprim17ROCPRIM_400000_NS6detail17trampoline_kernelINS0_14default_configENS1_36segmented_radix_sort_config_selectorI12hip_bfloat16lEEZNS1_25segmented_radix_sort_implIS3_Lb0EPKS5_PS5_PKlPlN2at6native12_GLOBAL__N_18offset_tEEE10hipError_tPvRmT1_PNSt15iterator_traitsISL_E10value_typeET2_T3_PNSM_ISR_E10value_typeET4_jRbjT5_SX_jjP12ihipStream_tbEUlT_E0_NS1_11comp_targetILNS1_3genE9ELNS1_11target_archE1100ELNS1_3gpuE3ELNS1_3repE0EEENS1_60segmented_radix_sort_warp_sort_medium_config_static_selectorELNS0_4arch9wavefront6targetE1EEEvSL_
; %bb.0:
	.section	.rodata,"a",@progbits
	.p2align	6, 0x0
	.amdhsa_kernel _ZN7rocprim17ROCPRIM_400000_NS6detail17trampoline_kernelINS0_14default_configENS1_36segmented_radix_sort_config_selectorI12hip_bfloat16lEEZNS1_25segmented_radix_sort_implIS3_Lb0EPKS5_PS5_PKlPlN2at6native12_GLOBAL__N_18offset_tEEE10hipError_tPvRmT1_PNSt15iterator_traitsISL_E10value_typeET2_T3_PNSM_ISR_E10value_typeET4_jRbjT5_SX_jjP12ihipStream_tbEUlT_E0_NS1_11comp_targetILNS1_3genE9ELNS1_11target_archE1100ELNS1_3gpuE3ELNS1_3repE0EEENS1_60segmented_radix_sort_warp_sort_medium_config_static_selectorELNS0_4arch9wavefront6targetE1EEEvSL_
		.amdhsa_group_segment_fixed_size 0
		.amdhsa_private_segment_fixed_size 0
		.amdhsa_kernarg_size 88
		.amdhsa_user_sgpr_count 6
		.amdhsa_user_sgpr_private_segment_buffer 1
		.amdhsa_user_sgpr_dispatch_ptr 0
		.amdhsa_user_sgpr_queue_ptr 0
		.amdhsa_user_sgpr_kernarg_segment_ptr 1
		.amdhsa_user_sgpr_dispatch_id 0
		.amdhsa_user_sgpr_flat_scratch_init 0
		.amdhsa_user_sgpr_kernarg_preload_length 0
		.amdhsa_user_sgpr_kernarg_preload_offset 0
		.amdhsa_user_sgpr_private_segment_size 0
		.amdhsa_uses_dynamic_stack 0
		.amdhsa_system_sgpr_private_segment_wavefront_offset 0
		.amdhsa_system_sgpr_workgroup_id_x 1
		.amdhsa_system_sgpr_workgroup_id_y 0
		.amdhsa_system_sgpr_workgroup_id_z 0
		.amdhsa_system_sgpr_workgroup_info 0
		.amdhsa_system_vgpr_workitem_id 0
		.amdhsa_next_free_vgpr 1
		.amdhsa_next_free_sgpr 0
		.amdhsa_accum_offset 4
		.amdhsa_reserve_vcc 0
		.amdhsa_reserve_flat_scratch 0
		.amdhsa_float_round_mode_32 0
		.amdhsa_float_round_mode_16_64 0
		.amdhsa_float_denorm_mode_32 3
		.amdhsa_float_denorm_mode_16_64 3
		.amdhsa_dx10_clamp 1
		.amdhsa_ieee_mode 1
		.amdhsa_fp16_overflow 0
		.amdhsa_tg_split 0
		.amdhsa_exception_fp_ieee_invalid_op 0
		.amdhsa_exception_fp_denorm_src 0
		.amdhsa_exception_fp_ieee_div_zero 0
		.amdhsa_exception_fp_ieee_overflow 0
		.amdhsa_exception_fp_ieee_underflow 0
		.amdhsa_exception_fp_ieee_inexact 0
		.amdhsa_exception_int_div_zero 0
	.end_amdhsa_kernel
	.section	.text._ZN7rocprim17ROCPRIM_400000_NS6detail17trampoline_kernelINS0_14default_configENS1_36segmented_radix_sort_config_selectorI12hip_bfloat16lEEZNS1_25segmented_radix_sort_implIS3_Lb0EPKS5_PS5_PKlPlN2at6native12_GLOBAL__N_18offset_tEEE10hipError_tPvRmT1_PNSt15iterator_traitsISL_E10value_typeET2_T3_PNSM_ISR_E10value_typeET4_jRbjT5_SX_jjP12ihipStream_tbEUlT_E0_NS1_11comp_targetILNS1_3genE9ELNS1_11target_archE1100ELNS1_3gpuE3ELNS1_3repE0EEENS1_60segmented_radix_sort_warp_sort_medium_config_static_selectorELNS0_4arch9wavefront6targetE1EEEvSL_,"axG",@progbits,_ZN7rocprim17ROCPRIM_400000_NS6detail17trampoline_kernelINS0_14default_configENS1_36segmented_radix_sort_config_selectorI12hip_bfloat16lEEZNS1_25segmented_radix_sort_implIS3_Lb0EPKS5_PS5_PKlPlN2at6native12_GLOBAL__N_18offset_tEEE10hipError_tPvRmT1_PNSt15iterator_traitsISL_E10value_typeET2_T3_PNSM_ISR_E10value_typeET4_jRbjT5_SX_jjP12ihipStream_tbEUlT_E0_NS1_11comp_targetILNS1_3genE9ELNS1_11target_archE1100ELNS1_3gpuE3ELNS1_3repE0EEENS1_60segmented_radix_sort_warp_sort_medium_config_static_selectorELNS0_4arch9wavefront6targetE1EEEvSL_,comdat
.Lfunc_end2065:
	.size	_ZN7rocprim17ROCPRIM_400000_NS6detail17trampoline_kernelINS0_14default_configENS1_36segmented_radix_sort_config_selectorI12hip_bfloat16lEEZNS1_25segmented_radix_sort_implIS3_Lb0EPKS5_PS5_PKlPlN2at6native12_GLOBAL__N_18offset_tEEE10hipError_tPvRmT1_PNSt15iterator_traitsISL_E10value_typeET2_T3_PNSM_ISR_E10value_typeET4_jRbjT5_SX_jjP12ihipStream_tbEUlT_E0_NS1_11comp_targetILNS1_3genE9ELNS1_11target_archE1100ELNS1_3gpuE3ELNS1_3repE0EEENS1_60segmented_radix_sort_warp_sort_medium_config_static_selectorELNS0_4arch9wavefront6targetE1EEEvSL_, .Lfunc_end2065-_ZN7rocprim17ROCPRIM_400000_NS6detail17trampoline_kernelINS0_14default_configENS1_36segmented_radix_sort_config_selectorI12hip_bfloat16lEEZNS1_25segmented_radix_sort_implIS3_Lb0EPKS5_PS5_PKlPlN2at6native12_GLOBAL__N_18offset_tEEE10hipError_tPvRmT1_PNSt15iterator_traitsISL_E10value_typeET2_T3_PNSM_ISR_E10value_typeET4_jRbjT5_SX_jjP12ihipStream_tbEUlT_E0_NS1_11comp_targetILNS1_3genE9ELNS1_11target_archE1100ELNS1_3gpuE3ELNS1_3repE0EEENS1_60segmented_radix_sort_warp_sort_medium_config_static_selectorELNS0_4arch9wavefront6targetE1EEEvSL_
                                        ; -- End function
	.section	.AMDGPU.csdata,"",@progbits
; Kernel info:
; codeLenInByte = 0
; NumSgprs: 4
; NumVgprs: 0
; NumAgprs: 0
; TotalNumVgprs: 0
; ScratchSize: 0
; MemoryBound: 0
; FloatMode: 240
; IeeeMode: 1
; LDSByteSize: 0 bytes/workgroup (compile time only)
; SGPRBlocks: 0
; VGPRBlocks: 0
; NumSGPRsForWavesPerEU: 4
; NumVGPRsForWavesPerEU: 1
; AccumOffset: 4
; Occupancy: 8
; WaveLimiterHint : 0
; COMPUTE_PGM_RSRC2:SCRATCH_EN: 0
; COMPUTE_PGM_RSRC2:USER_SGPR: 6
; COMPUTE_PGM_RSRC2:TRAP_HANDLER: 0
; COMPUTE_PGM_RSRC2:TGID_X_EN: 1
; COMPUTE_PGM_RSRC2:TGID_Y_EN: 0
; COMPUTE_PGM_RSRC2:TGID_Z_EN: 0
; COMPUTE_PGM_RSRC2:TIDIG_COMP_CNT: 0
; COMPUTE_PGM_RSRC3_GFX90A:ACCUM_OFFSET: 0
; COMPUTE_PGM_RSRC3_GFX90A:TG_SPLIT: 0
	.section	.text._ZN7rocprim17ROCPRIM_400000_NS6detail17trampoline_kernelINS0_14default_configENS1_36segmented_radix_sort_config_selectorI12hip_bfloat16lEEZNS1_25segmented_radix_sort_implIS3_Lb0EPKS5_PS5_PKlPlN2at6native12_GLOBAL__N_18offset_tEEE10hipError_tPvRmT1_PNSt15iterator_traitsISL_E10value_typeET2_T3_PNSM_ISR_E10value_typeET4_jRbjT5_SX_jjP12ihipStream_tbEUlT_E0_NS1_11comp_targetILNS1_3genE8ELNS1_11target_archE1030ELNS1_3gpuE2ELNS1_3repE0EEENS1_60segmented_radix_sort_warp_sort_medium_config_static_selectorELNS0_4arch9wavefront6targetE1EEEvSL_,"axG",@progbits,_ZN7rocprim17ROCPRIM_400000_NS6detail17trampoline_kernelINS0_14default_configENS1_36segmented_radix_sort_config_selectorI12hip_bfloat16lEEZNS1_25segmented_radix_sort_implIS3_Lb0EPKS5_PS5_PKlPlN2at6native12_GLOBAL__N_18offset_tEEE10hipError_tPvRmT1_PNSt15iterator_traitsISL_E10value_typeET2_T3_PNSM_ISR_E10value_typeET4_jRbjT5_SX_jjP12ihipStream_tbEUlT_E0_NS1_11comp_targetILNS1_3genE8ELNS1_11target_archE1030ELNS1_3gpuE2ELNS1_3repE0EEENS1_60segmented_radix_sort_warp_sort_medium_config_static_selectorELNS0_4arch9wavefront6targetE1EEEvSL_,comdat
	.globl	_ZN7rocprim17ROCPRIM_400000_NS6detail17trampoline_kernelINS0_14default_configENS1_36segmented_radix_sort_config_selectorI12hip_bfloat16lEEZNS1_25segmented_radix_sort_implIS3_Lb0EPKS5_PS5_PKlPlN2at6native12_GLOBAL__N_18offset_tEEE10hipError_tPvRmT1_PNSt15iterator_traitsISL_E10value_typeET2_T3_PNSM_ISR_E10value_typeET4_jRbjT5_SX_jjP12ihipStream_tbEUlT_E0_NS1_11comp_targetILNS1_3genE8ELNS1_11target_archE1030ELNS1_3gpuE2ELNS1_3repE0EEENS1_60segmented_radix_sort_warp_sort_medium_config_static_selectorELNS0_4arch9wavefront6targetE1EEEvSL_ ; -- Begin function _ZN7rocprim17ROCPRIM_400000_NS6detail17trampoline_kernelINS0_14default_configENS1_36segmented_radix_sort_config_selectorI12hip_bfloat16lEEZNS1_25segmented_radix_sort_implIS3_Lb0EPKS5_PS5_PKlPlN2at6native12_GLOBAL__N_18offset_tEEE10hipError_tPvRmT1_PNSt15iterator_traitsISL_E10value_typeET2_T3_PNSM_ISR_E10value_typeET4_jRbjT5_SX_jjP12ihipStream_tbEUlT_E0_NS1_11comp_targetILNS1_3genE8ELNS1_11target_archE1030ELNS1_3gpuE2ELNS1_3repE0EEENS1_60segmented_radix_sort_warp_sort_medium_config_static_selectorELNS0_4arch9wavefront6targetE1EEEvSL_
	.p2align	8
	.type	_ZN7rocprim17ROCPRIM_400000_NS6detail17trampoline_kernelINS0_14default_configENS1_36segmented_radix_sort_config_selectorI12hip_bfloat16lEEZNS1_25segmented_radix_sort_implIS3_Lb0EPKS5_PS5_PKlPlN2at6native12_GLOBAL__N_18offset_tEEE10hipError_tPvRmT1_PNSt15iterator_traitsISL_E10value_typeET2_T3_PNSM_ISR_E10value_typeET4_jRbjT5_SX_jjP12ihipStream_tbEUlT_E0_NS1_11comp_targetILNS1_3genE8ELNS1_11target_archE1030ELNS1_3gpuE2ELNS1_3repE0EEENS1_60segmented_radix_sort_warp_sort_medium_config_static_selectorELNS0_4arch9wavefront6targetE1EEEvSL_,@function
_ZN7rocprim17ROCPRIM_400000_NS6detail17trampoline_kernelINS0_14default_configENS1_36segmented_radix_sort_config_selectorI12hip_bfloat16lEEZNS1_25segmented_radix_sort_implIS3_Lb0EPKS5_PS5_PKlPlN2at6native12_GLOBAL__N_18offset_tEEE10hipError_tPvRmT1_PNSt15iterator_traitsISL_E10value_typeET2_T3_PNSM_ISR_E10value_typeET4_jRbjT5_SX_jjP12ihipStream_tbEUlT_E0_NS1_11comp_targetILNS1_3genE8ELNS1_11target_archE1030ELNS1_3gpuE2ELNS1_3repE0EEENS1_60segmented_radix_sort_warp_sort_medium_config_static_selectorELNS0_4arch9wavefront6targetE1EEEvSL_: ; @_ZN7rocprim17ROCPRIM_400000_NS6detail17trampoline_kernelINS0_14default_configENS1_36segmented_radix_sort_config_selectorI12hip_bfloat16lEEZNS1_25segmented_radix_sort_implIS3_Lb0EPKS5_PS5_PKlPlN2at6native12_GLOBAL__N_18offset_tEEE10hipError_tPvRmT1_PNSt15iterator_traitsISL_E10value_typeET2_T3_PNSM_ISR_E10value_typeET4_jRbjT5_SX_jjP12ihipStream_tbEUlT_E0_NS1_11comp_targetILNS1_3genE8ELNS1_11target_archE1030ELNS1_3gpuE2ELNS1_3repE0EEENS1_60segmented_radix_sort_warp_sort_medium_config_static_selectorELNS0_4arch9wavefront6targetE1EEEvSL_
; %bb.0:
	.section	.rodata,"a",@progbits
	.p2align	6, 0x0
	.amdhsa_kernel _ZN7rocprim17ROCPRIM_400000_NS6detail17trampoline_kernelINS0_14default_configENS1_36segmented_radix_sort_config_selectorI12hip_bfloat16lEEZNS1_25segmented_radix_sort_implIS3_Lb0EPKS5_PS5_PKlPlN2at6native12_GLOBAL__N_18offset_tEEE10hipError_tPvRmT1_PNSt15iterator_traitsISL_E10value_typeET2_T3_PNSM_ISR_E10value_typeET4_jRbjT5_SX_jjP12ihipStream_tbEUlT_E0_NS1_11comp_targetILNS1_3genE8ELNS1_11target_archE1030ELNS1_3gpuE2ELNS1_3repE0EEENS1_60segmented_radix_sort_warp_sort_medium_config_static_selectorELNS0_4arch9wavefront6targetE1EEEvSL_
		.amdhsa_group_segment_fixed_size 0
		.amdhsa_private_segment_fixed_size 0
		.amdhsa_kernarg_size 88
		.amdhsa_user_sgpr_count 6
		.amdhsa_user_sgpr_private_segment_buffer 1
		.amdhsa_user_sgpr_dispatch_ptr 0
		.amdhsa_user_sgpr_queue_ptr 0
		.amdhsa_user_sgpr_kernarg_segment_ptr 1
		.amdhsa_user_sgpr_dispatch_id 0
		.amdhsa_user_sgpr_flat_scratch_init 0
		.amdhsa_user_sgpr_kernarg_preload_length 0
		.amdhsa_user_sgpr_kernarg_preload_offset 0
		.amdhsa_user_sgpr_private_segment_size 0
		.amdhsa_uses_dynamic_stack 0
		.amdhsa_system_sgpr_private_segment_wavefront_offset 0
		.amdhsa_system_sgpr_workgroup_id_x 1
		.amdhsa_system_sgpr_workgroup_id_y 0
		.amdhsa_system_sgpr_workgroup_id_z 0
		.amdhsa_system_sgpr_workgroup_info 0
		.amdhsa_system_vgpr_workitem_id 0
		.amdhsa_next_free_vgpr 1
		.amdhsa_next_free_sgpr 0
		.amdhsa_accum_offset 4
		.amdhsa_reserve_vcc 0
		.amdhsa_reserve_flat_scratch 0
		.amdhsa_float_round_mode_32 0
		.amdhsa_float_round_mode_16_64 0
		.amdhsa_float_denorm_mode_32 3
		.amdhsa_float_denorm_mode_16_64 3
		.amdhsa_dx10_clamp 1
		.amdhsa_ieee_mode 1
		.amdhsa_fp16_overflow 0
		.amdhsa_tg_split 0
		.amdhsa_exception_fp_ieee_invalid_op 0
		.amdhsa_exception_fp_denorm_src 0
		.amdhsa_exception_fp_ieee_div_zero 0
		.amdhsa_exception_fp_ieee_overflow 0
		.amdhsa_exception_fp_ieee_underflow 0
		.amdhsa_exception_fp_ieee_inexact 0
		.amdhsa_exception_int_div_zero 0
	.end_amdhsa_kernel
	.section	.text._ZN7rocprim17ROCPRIM_400000_NS6detail17trampoline_kernelINS0_14default_configENS1_36segmented_radix_sort_config_selectorI12hip_bfloat16lEEZNS1_25segmented_radix_sort_implIS3_Lb0EPKS5_PS5_PKlPlN2at6native12_GLOBAL__N_18offset_tEEE10hipError_tPvRmT1_PNSt15iterator_traitsISL_E10value_typeET2_T3_PNSM_ISR_E10value_typeET4_jRbjT5_SX_jjP12ihipStream_tbEUlT_E0_NS1_11comp_targetILNS1_3genE8ELNS1_11target_archE1030ELNS1_3gpuE2ELNS1_3repE0EEENS1_60segmented_radix_sort_warp_sort_medium_config_static_selectorELNS0_4arch9wavefront6targetE1EEEvSL_,"axG",@progbits,_ZN7rocprim17ROCPRIM_400000_NS6detail17trampoline_kernelINS0_14default_configENS1_36segmented_radix_sort_config_selectorI12hip_bfloat16lEEZNS1_25segmented_radix_sort_implIS3_Lb0EPKS5_PS5_PKlPlN2at6native12_GLOBAL__N_18offset_tEEE10hipError_tPvRmT1_PNSt15iterator_traitsISL_E10value_typeET2_T3_PNSM_ISR_E10value_typeET4_jRbjT5_SX_jjP12ihipStream_tbEUlT_E0_NS1_11comp_targetILNS1_3genE8ELNS1_11target_archE1030ELNS1_3gpuE2ELNS1_3repE0EEENS1_60segmented_radix_sort_warp_sort_medium_config_static_selectorELNS0_4arch9wavefront6targetE1EEEvSL_,comdat
.Lfunc_end2066:
	.size	_ZN7rocprim17ROCPRIM_400000_NS6detail17trampoline_kernelINS0_14default_configENS1_36segmented_radix_sort_config_selectorI12hip_bfloat16lEEZNS1_25segmented_radix_sort_implIS3_Lb0EPKS5_PS5_PKlPlN2at6native12_GLOBAL__N_18offset_tEEE10hipError_tPvRmT1_PNSt15iterator_traitsISL_E10value_typeET2_T3_PNSM_ISR_E10value_typeET4_jRbjT5_SX_jjP12ihipStream_tbEUlT_E0_NS1_11comp_targetILNS1_3genE8ELNS1_11target_archE1030ELNS1_3gpuE2ELNS1_3repE0EEENS1_60segmented_radix_sort_warp_sort_medium_config_static_selectorELNS0_4arch9wavefront6targetE1EEEvSL_, .Lfunc_end2066-_ZN7rocprim17ROCPRIM_400000_NS6detail17trampoline_kernelINS0_14default_configENS1_36segmented_radix_sort_config_selectorI12hip_bfloat16lEEZNS1_25segmented_radix_sort_implIS3_Lb0EPKS5_PS5_PKlPlN2at6native12_GLOBAL__N_18offset_tEEE10hipError_tPvRmT1_PNSt15iterator_traitsISL_E10value_typeET2_T3_PNSM_ISR_E10value_typeET4_jRbjT5_SX_jjP12ihipStream_tbEUlT_E0_NS1_11comp_targetILNS1_3genE8ELNS1_11target_archE1030ELNS1_3gpuE2ELNS1_3repE0EEENS1_60segmented_radix_sort_warp_sort_medium_config_static_selectorELNS0_4arch9wavefront6targetE1EEEvSL_
                                        ; -- End function
	.section	.AMDGPU.csdata,"",@progbits
; Kernel info:
; codeLenInByte = 0
; NumSgprs: 4
; NumVgprs: 0
; NumAgprs: 0
; TotalNumVgprs: 0
; ScratchSize: 0
; MemoryBound: 0
; FloatMode: 240
; IeeeMode: 1
; LDSByteSize: 0 bytes/workgroup (compile time only)
; SGPRBlocks: 0
; VGPRBlocks: 0
; NumSGPRsForWavesPerEU: 4
; NumVGPRsForWavesPerEU: 1
; AccumOffset: 4
; Occupancy: 8
; WaveLimiterHint : 0
; COMPUTE_PGM_RSRC2:SCRATCH_EN: 0
; COMPUTE_PGM_RSRC2:USER_SGPR: 6
; COMPUTE_PGM_RSRC2:TRAP_HANDLER: 0
; COMPUTE_PGM_RSRC2:TGID_X_EN: 1
; COMPUTE_PGM_RSRC2:TGID_Y_EN: 0
; COMPUTE_PGM_RSRC2:TGID_Z_EN: 0
; COMPUTE_PGM_RSRC2:TIDIG_COMP_CNT: 0
; COMPUTE_PGM_RSRC3_GFX90A:ACCUM_OFFSET: 0
; COMPUTE_PGM_RSRC3_GFX90A:TG_SPLIT: 0
	.section	.text._ZN7rocprim17ROCPRIM_400000_NS6detail17trampoline_kernelINS0_14default_configENS1_36segmented_radix_sort_config_selectorI12hip_bfloat16lEEZNS1_25segmented_radix_sort_implIS3_Lb0EPKS5_PS5_PKlPlN2at6native12_GLOBAL__N_18offset_tEEE10hipError_tPvRmT1_PNSt15iterator_traitsISL_E10value_typeET2_T3_PNSM_ISR_E10value_typeET4_jRbjT5_SX_jjP12ihipStream_tbEUlT_E1_NS1_11comp_targetILNS1_3genE0ELNS1_11target_archE4294967295ELNS1_3gpuE0ELNS1_3repE0EEENS1_59segmented_radix_sort_warp_sort_small_config_static_selectorELNS0_4arch9wavefront6targetE1EEEvSL_,"axG",@progbits,_ZN7rocprim17ROCPRIM_400000_NS6detail17trampoline_kernelINS0_14default_configENS1_36segmented_radix_sort_config_selectorI12hip_bfloat16lEEZNS1_25segmented_radix_sort_implIS3_Lb0EPKS5_PS5_PKlPlN2at6native12_GLOBAL__N_18offset_tEEE10hipError_tPvRmT1_PNSt15iterator_traitsISL_E10value_typeET2_T3_PNSM_ISR_E10value_typeET4_jRbjT5_SX_jjP12ihipStream_tbEUlT_E1_NS1_11comp_targetILNS1_3genE0ELNS1_11target_archE4294967295ELNS1_3gpuE0ELNS1_3repE0EEENS1_59segmented_radix_sort_warp_sort_small_config_static_selectorELNS0_4arch9wavefront6targetE1EEEvSL_,comdat
	.globl	_ZN7rocprim17ROCPRIM_400000_NS6detail17trampoline_kernelINS0_14default_configENS1_36segmented_radix_sort_config_selectorI12hip_bfloat16lEEZNS1_25segmented_radix_sort_implIS3_Lb0EPKS5_PS5_PKlPlN2at6native12_GLOBAL__N_18offset_tEEE10hipError_tPvRmT1_PNSt15iterator_traitsISL_E10value_typeET2_T3_PNSM_ISR_E10value_typeET4_jRbjT5_SX_jjP12ihipStream_tbEUlT_E1_NS1_11comp_targetILNS1_3genE0ELNS1_11target_archE4294967295ELNS1_3gpuE0ELNS1_3repE0EEENS1_59segmented_radix_sort_warp_sort_small_config_static_selectorELNS0_4arch9wavefront6targetE1EEEvSL_ ; -- Begin function _ZN7rocprim17ROCPRIM_400000_NS6detail17trampoline_kernelINS0_14default_configENS1_36segmented_radix_sort_config_selectorI12hip_bfloat16lEEZNS1_25segmented_radix_sort_implIS3_Lb0EPKS5_PS5_PKlPlN2at6native12_GLOBAL__N_18offset_tEEE10hipError_tPvRmT1_PNSt15iterator_traitsISL_E10value_typeET2_T3_PNSM_ISR_E10value_typeET4_jRbjT5_SX_jjP12ihipStream_tbEUlT_E1_NS1_11comp_targetILNS1_3genE0ELNS1_11target_archE4294967295ELNS1_3gpuE0ELNS1_3repE0EEENS1_59segmented_radix_sort_warp_sort_small_config_static_selectorELNS0_4arch9wavefront6targetE1EEEvSL_
	.p2align	8
	.type	_ZN7rocprim17ROCPRIM_400000_NS6detail17trampoline_kernelINS0_14default_configENS1_36segmented_radix_sort_config_selectorI12hip_bfloat16lEEZNS1_25segmented_radix_sort_implIS3_Lb0EPKS5_PS5_PKlPlN2at6native12_GLOBAL__N_18offset_tEEE10hipError_tPvRmT1_PNSt15iterator_traitsISL_E10value_typeET2_T3_PNSM_ISR_E10value_typeET4_jRbjT5_SX_jjP12ihipStream_tbEUlT_E1_NS1_11comp_targetILNS1_3genE0ELNS1_11target_archE4294967295ELNS1_3gpuE0ELNS1_3repE0EEENS1_59segmented_radix_sort_warp_sort_small_config_static_selectorELNS0_4arch9wavefront6targetE1EEEvSL_,@function
_ZN7rocprim17ROCPRIM_400000_NS6detail17trampoline_kernelINS0_14default_configENS1_36segmented_radix_sort_config_selectorI12hip_bfloat16lEEZNS1_25segmented_radix_sort_implIS3_Lb0EPKS5_PS5_PKlPlN2at6native12_GLOBAL__N_18offset_tEEE10hipError_tPvRmT1_PNSt15iterator_traitsISL_E10value_typeET2_T3_PNSM_ISR_E10value_typeET4_jRbjT5_SX_jjP12ihipStream_tbEUlT_E1_NS1_11comp_targetILNS1_3genE0ELNS1_11target_archE4294967295ELNS1_3gpuE0ELNS1_3repE0EEENS1_59segmented_radix_sort_warp_sort_small_config_static_selectorELNS0_4arch9wavefront6targetE1EEEvSL_: ; @_ZN7rocprim17ROCPRIM_400000_NS6detail17trampoline_kernelINS0_14default_configENS1_36segmented_radix_sort_config_selectorI12hip_bfloat16lEEZNS1_25segmented_radix_sort_implIS3_Lb0EPKS5_PS5_PKlPlN2at6native12_GLOBAL__N_18offset_tEEE10hipError_tPvRmT1_PNSt15iterator_traitsISL_E10value_typeET2_T3_PNSM_ISR_E10value_typeET4_jRbjT5_SX_jjP12ihipStream_tbEUlT_E1_NS1_11comp_targetILNS1_3genE0ELNS1_11target_archE4294967295ELNS1_3gpuE0ELNS1_3repE0EEENS1_59segmented_radix_sort_warp_sort_small_config_static_selectorELNS0_4arch9wavefront6targetE1EEEvSL_
; %bb.0:
	.section	.rodata,"a",@progbits
	.p2align	6, 0x0
	.amdhsa_kernel _ZN7rocprim17ROCPRIM_400000_NS6detail17trampoline_kernelINS0_14default_configENS1_36segmented_radix_sort_config_selectorI12hip_bfloat16lEEZNS1_25segmented_radix_sort_implIS3_Lb0EPKS5_PS5_PKlPlN2at6native12_GLOBAL__N_18offset_tEEE10hipError_tPvRmT1_PNSt15iterator_traitsISL_E10value_typeET2_T3_PNSM_ISR_E10value_typeET4_jRbjT5_SX_jjP12ihipStream_tbEUlT_E1_NS1_11comp_targetILNS1_3genE0ELNS1_11target_archE4294967295ELNS1_3gpuE0ELNS1_3repE0EEENS1_59segmented_radix_sort_warp_sort_small_config_static_selectorELNS0_4arch9wavefront6targetE1EEEvSL_
		.amdhsa_group_segment_fixed_size 0
		.amdhsa_private_segment_fixed_size 0
		.amdhsa_kernarg_size 88
		.amdhsa_user_sgpr_count 6
		.amdhsa_user_sgpr_private_segment_buffer 1
		.amdhsa_user_sgpr_dispatch_ptr 0
		.amdhsa_user_sgpr_queue_ptr 0
		.amdhsa_user_sgpr_kernarg_segment_ptr 1
		.amdhsa_user_sgpr_dispatch_id 0
		.amdhsa_user_sgpr_flat_scratch_init 0
		.amdhsa_user_sgpr_kernarg_preload_length 0
		.amdhsa_user_sgpr_kernarg_preload_offset 0
		.amdhsa_user_sgpr_private_segment_size 0
		.amdhsa_uses_dynamic_stack 0
		.amdhsa_system_sgpr_private_segment_wavefront_offset 0
		.amdhsa_system_sgpr_workgroup_id_x 1
		.amdhsa_system_sgpr_workgroup_id_y 0
		.amdhsa_system_sgpr_workgroup_id_z 0
		.amdhsa_system_sgpr_workgroup_info 0
		.amdhsa_system_vgpr_workitem_id 0
		.amdhsa_next_free_vgpr 1
		.amdhsa_next_free_sgpr 0
		.amdhsa_accum_offset 4
		.amdhsa_reserve_vcc 0
		.amdhsa_reserve_flat_scratch 0
		.amdhsa_float_round_mode_32 0
		.amdhsa_float_round_mode_16_64 0
		.amdhsa_float_denorm_mode_32 3
		.amdhsa_float_denorm_mode_16_64 3
		.amdhsa_dx10_clamp 1
		.amdhsa_ieee_mode 1
		.amdhsa_fp16_overflow 0
		.amdhsa_tg_split 0
		.amdhsa_exception_fp_ieee_invalid_op 0
		.amdhsa_exception_fp_denorm_src 0
		.amdhsa_exception_fp_ieee_div_zero 0
		.amdhsa_exception_fp_ieee_overflow 0
		.amdhsa_exception_fp_ieee_underflow 0
		.amdhsa_exception_fp_ieee_inexact 0
		.amdhsa_exception_int_div_zero 0
	.end_amdhsa_kernel
	.section	.text._ZN7rocprim17ROCPRIM_400000_NS6detail17trampoline_kernelINS0_14default_configENS1_36segmented_radix_sort_config_selectorI12hip_bfloat16lEEZNS1_25segmented_radix_sort_implIS3_Lb0EPKS5_PS5_PKlPlN2at6native12_GLOBAL__N_18offset_tEEE10hipError_tPvRmT1_PNSt15iterator_traitsISL_E10value_typeET2_T3_PNSM_ISR_E10value_typeET4_jRbjT5_SX_jjP12ihipStream_tbEUlT_E1_NS1_11comp_targetILNS1_3genE0ELNS1_11target_archE4294967295ELNS1_3gpuE0ELNS1_3repE0EEENS1_59segmented_radix_sort_warp_sort_small_config_static_selectorELNS0_4arch9wavefront6targetE1EEEvSL_,"axG",@progbits,_ZN7rocprim17ROCPRIM_400000_NS6detail17trampoline_kernelINS0_14default_configENS1_36segmented_radix_sort_config_selectorI12hip_bfloat16lEEZNS1_25segmented_radix_sort_implIS3_Lb0EPKS5_PS5_PKlPlN2at6native12_GLOBAL__N_18offset_tEEE10hipError_tPvRmT1_PNSt15iterator_traitsISL_E10value_typeET2_T3_PNSM_ISR_E10value_typeET4_jRbjT5_SX_jjP12ihipStream_tbEUlT_E1_NS1_11comp_targetILNS1_3genE0ELNS1_11target_archE4294967295ELNS1_3gpuE0ELNS1_3repE0EEENS1_59segmented_radix_sort_warp_sort_small_config_static_selectorELNS0_4arch9wavefront6targetE1EEEvSL_,comdat
.Lfunc_end2067:
	.size	_ZN7rocprim17ROCPRIM_400000_NS6detail17trampoline_kernelINS0_14default_configENS1_36segmented_radix_sort_config_selectorI12hip_bfloat16lEEZNS1_25segmented_radix_sort_implIS3_Lb0EPKS5_PS5_PKlPlN2at6native12_GLOBAL__N_18offset_tEEE10hipError_tPvRmT1_PNSt15iterator_traitsISL_E10value_typeET2_T3_PNSM_ISR_E10value_typeET4_jRbjT5_SX_jjP12ihipStream_tbEUlT_E1_NS1_11comp_targetILNS1_3genE0ELNS1_11target_archE4294967295ELNS1_3gpuE0ELNS1_3repE0EEENS1_59segmented_radix_sort_warp_sort_small_config_static_selectorELNS0_4arch9wavefront6targetE1EEEvSL_, .Lfunc_end2067-_ZN7rocprim17ROCPRIM_400000_NS6detail17trampoline_kernelINS0_14default_configENS1_36segmented_radix_sort_config_selectorI12hip_bfloat16lEEZNS1_25segmented_radix_sort_implIS3_Lb0EPKS5_PS5_PKlPlN2at6native12_GLOBAL__N_18offset_tEEE10hipError_tPvRmT1_PNSt15iterator_traitsISL_E10value_typeET2_T3_PNSM_ISR_E10value_typeET4_jRbjT5_SX_jjP12ihipStream_tbEUlT_E1_NS1_11comp_targetILNS1_3genE0ELNS1_11target_archE4294967295ELNS1_3gpuE0ELNS1_3repE0EEENS1_59segmented_radix_sort_warp_sort_small_config_static_selectorELNS0_4arch9wavefront6targetE1EEEvSL_
                                        ; -- End function
	.section	.AMDGPU.csdata,"",@progbits
; Kernel info:
; codeLenInByte = 0
; NumSgprs: 4
; NumVgprs: 0
; NumAgprs: 0
; TotalNumVgprs: 0
; ScratchSize: 0
; MemoryBound: 0
; FloatMode: 240
; IeeeMode: 1
; LDSByteSize: 0 bytes/workgroup (compile time only)
; SGPRBlocks: 0
; VGPRBlocks: 0
; NumSGPRsForWavesPerEU: 4
; NumVGPRsForWavesPerEU: 1
; AccumOffset: 4
; Occupancy: 8
; WaveLimiterHint : 0
; COMPUTE_PGM_RSRC2:SCRATCH_EN: 0
; COMPUTE_PGM_RSRC2:USER_SGPR: 6
; COMPUTE_PGM_RSRC2:TRAP_HANDLER: 0
; COMPUTE_PGM_RSRC2:TGID_X_EN: 1
; COMPUTE_PGM_RSRC2:TGID_Y_EN: 0
; COMPUTE_PGM_RSRC2:TGID_Z_EN: 0
; COMPUTE_PGM_RSRC2:TIDIG_COMP_CNT: 0
; COMPUTE_PGM_RSRC3_GFX90A:ACCUM_OFFSET: 0
; COMPUTE_PGM_RSRC3_GFX90A:TG_SPLIT: 0
	.section	.text._ZN7rocprim17ROCPRIM_400000_NS6detail17trampoline_kernelINS0_14default_configENS1_36segmented_radix_sort_config_selectorI12hip_bfloat16lEEZNS1_25segmented_radix_sort_implIS3_Lb0EPKS5_PS5_PKlPlN2at6native12_GLOBAL__N_18offset_tEEE10hipError_tPvRmT1_PNSt15iterator_traitsISL_E10value_typeET2_T3_PNSM_ISR_E10value_typeET4_jRbjT5_SX_jjP12ihipStream_tbEUlT_E1_NS1_11comp_targetILNS1_3genE5ELNS1_11target_archE942ELNS1_3gpuE9ELNS1_3repE0EEENS1_59segmented_radix_sort_warp_sort_small_config_static_selectorELNS0_4arch9wavefront6targetE1EEEvSL_,"axG",@progbits,_ZN7rocprim17ROCPRIM_400000_NS6detail17trampoline_kernelINS0_14default_configENS1_36segmented_radix_sort_config_selectorI12hip_bfloat16lEEZNS1_25segmented_radix_sort_implIS3_Lb0EPKS5_PS5_PKlPlN2at6native12_GLOBAL__N_18offset_tEEE10hipError_tPvRmT1_PNSt15iterator_traitsISL_E10value_typeET2_T3_PNSM_ISR_E10value_typeET4_jRbjT5_SX_jjP12ihipStream_tbEUlT_E1_NS1_11comp_targetILNS1_3genE5ELNS1_11target_archE942ELNS1_3gpuE9ELNS1_3repE0EEENS1_59segmented_radix_sort_warp_sort_small_config_static_selectorELNS0_4arch9wavefront6targetE1EEEvSL_,comdat
	.globl	_ZN7rocprim17ROCPRIM_400000_NS6detail17trampoline_kernelINS0_14default_configENS1_36segmented_radix_sort_config_selectorI12hip_bfloat16lEEZNS1_25segmented_radix_sort_implIS3_Lb0EPKS5_PS5_PKlPlN2at6native12_GLOBAL__N_18offset_tEEE10hipError_tPvRmT1_PNSt15iterator_traitsISL_E10value_typeET2_T3_PNSM_ISR_E10value_typeET4_jRbjT5_SX_jjP12ihipStream_tbEUlT_E1_NS1_11comp_targetILNS1_3genE5ELNS1_11target_archE942ELNS1_3gpuE9ELNS1_3repE0EEENS1_59segmented_radix_sort_warp_sort_small_config_static_selectorELNS0_4arch9wavefront6targetE1EEEvSL_ ; -- Begin function _ZN7rocprim17ROCPRIM_400000_NS6detail17trampoline_kernelINS0_14default_configENS1_36segmented_radix_sort_config_selectorI12hip_bfloat16lEEZNS1_25segmented_radix_sort_implIS3_Lb0EPKS5_PS5_PKlPlN2at6native12_GLOBAL__N_18offset_tEEE10hipError_tPvRmT1_PNSt15iterator_traitsISL_E10value_typeET2_T3_PNSM_ISR_E10value_typeET4_jRbjT5_SX_jjP12ihipStream_tbEUlT_E1_NS1_11comp_targetILNS1_3genE5ELNS1_11target_archE942ELNS1_3gpuE9ELNS1_3repE0EEENS1_59segmented_radix_sort_warp_sort_small_config_static_selectorELNS0_4arch9wavefront6targetE1EEEvSL_
	.p2align	8
	.type	_ZN7rocprim17ROCPRIM_400000_NS6detail17trampoline_kernelINS0_14default_configENS1_36segmented_radix_sort_config_selectorI12hip_bfloat16lEEZNS1_25segmented_radix_sort_implIS3_Lb0EPKS5_PS5_PKlPlN2at6native12_GLOBAL__N_18offset_tEEE10hipError_tPvRmT1_PNSt15iterator_traitsISL_E10value_typeET2_T3_PNSM_ISR_E10value_typeET4_jRbjT5_SX_jjP12ihipStream_tbEUlT_E1_NS1_11comp_targetILNS1_3genE5ELNS1_11target_archE942ELNS1_3gpuE9ELNS1_3repE0EEENS1_59segmented_radix_sort_warp_sort_small_config_static_selectorELNS0_4arch9wavefront6targetE1EEEvSL_,@function
_ZN7rocprim17ROCPRIM_400000_NS6detail17trampoline_kernelINS0_14default_configENS1_36segmented_radix_sort_config_selectorI12hip_bfloat16lEEZNS1_25segmented_radix_sort_implIS3_Lb0EPKS5_PS5_PKlPlN2at6native12_GLOBAL__N_18offset_tEEE10hipError_tPvRmT1_PNSt15iterator_traitsISL_E10value_typeET2_T3_PNSM_ISR_E10value_typeET4_jRbjT5_SX_jjP12ihipStream_tbEUlT_E1_NS1_11comp_targetILNS1_3genE5ELNS1_11target_archE942ELNS1_3gpuE9ELNS1_3repE0EEENS1_59segmented_radix_sort_warp_sort_small_config_static_selectorELNS0_4arch9wavefront6targetE1EEEvSL_: ; @_ZN7rocprim17ROCPRIM_400000_NS6detail17trampoline_kernelINS0_14default_configENS1_36segmented_radix_sort_config_selectorI12hip_bfloat16lEEZNS1_25segmented_radix_sort_implIS3_Lb0EPKS5_PS5_PKlPlN2at6native12_GLOBAL__N_18offset_tEEE10hipError_tPvRmT1_PNSt15iterator_traitsISL_E10value_typeET2_T3_PNSM_ISR_E10value_typeET4_jRbjT5_SX_jjP12ihipStream_tbEUlT_E1_NS1_11comp_targetILNS1_3genE5ELNS1_11target_archE942ELNS1_3gpuE9ELNS1_3repE0EEENS1_59segmented_radix_sort_warp_sort_small_config_static_selectorELNS0_4arch9wavefront6targetE1EEEvSL_
; %bb.0:
	.section	.rodata,"a",@progbits
	.p2align	6, 0x0
	.amdhsa_kernel _ZN7rocprim17ROCPRIM_400000_NS6detail17trampoline_kernelINS0_14default_configENS1_36segmented_radix_sort_config_selectorI12hip_bfloat16lEEZNS1_25segmented_radix_sort_implIS3_Lb0EPKS5_PS5_PKlPlN2at6native12_GLOBAL__N_18offset_tEEE10hipError_tPvRmT1_PNSt15iterator_traitsISL_E10value_typeET2_T3_PNSM_ISR_E10value_typeET4_jRbjT5_SX_jjP12ihipStream_tbEUlT_E1_NS1_11comp_targetILNS1_3genE5ELNS1_11target_archE942ELNS1_3gpuE9ELNS1_3repE0EEENS1_59segmented_radix_sort_warp_sort_small_config_static_selectorELNS0_4arch9wavefront6targetE1EEEvSL_
		.amdhsa_group_segment_fixed_size 0
		.amdhsa_private_segment_fixed_size 0
		.amdhsa_kernarg_size 88
		.amdhsa_user_sgpr_count 6
		.amdhsa_user_sgpr_private_segment_buffer 1
		.amdhsa_user_sgpr_dispatch_ptr 0
		.amdhsa_user_sgpr_queue_ptr 0
		.amdhsa_user_sgpr_kernarg_segment_ptr 1
		.amdhsa_user_sgpr_dispatch_id 0
		.amdhsa_user_sgpr_flat_scratch_init 0
		.amdhsa_user_sgpr_kernarg_preload_length 0
		.amdhsa_user_sgpr_kernarg_preload_offset 0
		.amdhsa_user_sgpr_private_segment_size 0
		.amdhsa_uses_dynamic_stack 0
		.amdhsa_system_sgpr_private_segment_wavefront_offset 0
		.amdhsa_system_sgpr_workgroup_id_x 1
		.amdhsa_system_sgpr_workgroup_id_y 0
		.amdhsa_system_sgpr_workgroup_id_z 0
		.amdhsa_system_sgpr_workgroup_info 0
		.amdhsa_system_vgpr_workitem_id 0
		.amdhsa_next_free_vgpr 1
		.amdhsa_next_free_sgpr 0
		.amdhsa_accum_offset 4
		.amdhsa_reserve_vcc 0
		.amdhsa_reserve_flat_scratch 0
		.amdhsa_float_round_mode_32 0
		.amdhsa_float_round_mode_16_64 0
		.amdhsa_float_denorm_mode_32 3
		.amdhsa_float_denorm_mode_16_64 3
		.amdhsa_dx10_clamp 1
		.amdhsa_ieee_mode 1
		.amdhsa_fp16_overflow 0
		.amdhsa_tg_split 0
		.amdhsa_exception_fp_ieee_invalid_op 0
		.amdhsa_exception_fp_denorm_src 0
		.amdhsa_exception_fp_ieee_div_zero 0
		.amdhsa_exception_fp_ieee_overflow 0
		.amdhsa_exception_fp_ieee_underflow 0
		.amdhsa_exception_fp_ieee_inexact 0
		.amdhsa_exception_int_div_zero 0
	.end_amdhsa_kernel
	.section	.text._ZN7rocprim17ROCPRIM_400000_NS6detail17trampoline_kernelINS0_14default_configENS1_36segmented_radix_sort_config_selectorI12hip_bfloat16lEEZNS1_25segmented_radix_sort_implIS3_Lb0EPKS5_PS5_PKlPlN2at6native12_GLOBAL__N_18offset_tEEE10hipError_tPvRmT1_PNSt15iterator_traitsISL_E10value_typeET2_T3_PNSM_ISR_E10value_typeET4_jRbjT5_SX_jjP12ihipStream_tbEUlT_E1_NS1_11comp_targetILNS1_3genE5ELNS1_11target_archE942ELNS1_3gpuE9ELNS1_3repE0EEENS1_59segmented_radix_sort_warp_sort_small_config_static_selectorELNS0_4arch9wavefront6targetE1EEEvSL_,"axG",@progbits,_ZN7rocprim17ROCPRIM_400000_NS6detail17trampoline_kernelINS0_14default_configENS1_36segmented_radix_sort_config_selectorI12hip_bfloat16lEEZNS1_25segmented_radix_sort_implIS3_Lb0EPKS5_PS5_PKlPlN2at6native12_GLOBAL__N_18offset_tEEE10hipError_tPvRmT1_PNSt15iterator_traitsISL_E10value_typeET2_T3_PNSM_ISR_E10value_typeET4_jRbjT5_SX_jjP12ihipStream_tbEUlT_E1_NS1_11comp_targetILNS1_3genE5ELNS1_11target_archE942ELNS1_3gpuE9ELNS1_3repE0EEENS1_59segmented_radix_sort_warp_sort_small_config_static_selectorELNS0_4arch9wavefront6targetE1EEEvSL_,comdat
.Lfunc_end2068:
	.size	_ZN7rocprim17ROCPRIM_400000_NS6detail17trampoline_kernelINS0_14default_configENS1_36segmented_radix_sort_config_selectorI12hip_bfloat16lEEZNS1_25segmented_radix_sort_implIS3_Lb0EPKS5_PS5_PKlPlN2at6native12_GLOBAL__N_18offset_tEEE10hipError_tPvRmT1_PNSt15iterator_traitsISL_E10value_typeET2_T3_PNSM_ISR_E10value_typeET4_jRbjT5_SX_jjP12ihipStream_tbEUlT_E1_NS1_11comp_targetILNS1_3genE5ELNS1_11target_archE942ELNS1_3gpuE9ELNS1_3repE0EEENS1_59segmented_radix_sort_warp_sort_small_config_static_selectorELNS0_4arch9wavefront6targetE1EEEvSL_, .Lfunc_end2068-_ZN7rocprim17ROCPRIM_400000_NS6detail17trampoline_kernelINS0_14default_configENS1_36segmented_radix_sort_config_selectorI12hip_bfloat16lEEZNS1_25segmented_radix_sort_implIS3_Lb0EPKS5_PS5_PKlPlN2at6native12_GLOBAL__N_18offset_tEEE10hipError_tPvRmT1_PNSt15iterator_traitsISL_E10value_typeET2_T3_PNSM_ISR_E10value_typeET4_jRbjT5_SX_jjP12ihipStream_tbEUlT_E1_NS1_11comp_targetILNS1_3genE5ELNS1_11target_archE942ELNS1_3gpuE9ELNS1_3repE0EEENS1_59segmented_radix_sort_warp_sort_small_config_static_selectorELNS0_4arch9wavefront6targetE1EEEvSL_
                                        ; -- End function
	.section	.AMDGPU.csdata,"",@progbits
; Kernel info:
; codeLenInByte = 0
; NumSgprs: 4
; NumVgprs: 0
; NumAgprs: 0
; TotalNumVgprs: 0
; ScratchSize: 0
; MemoryBound: 0
; FloatMode: 240
; IeeeMode: 1
; LDSByteSize: 0 bytes/workgroup (compile time only)
; SGPRBlocks: 0
; VGPRBlocks: 0
; NumSGPRsForWavesPerEU: 4
; NumVGPRsForWavesPerEU: 1
; AccumOffset: 4
; Occupancy: 8
; WaveLimiterHint : 0
; COMPUTE_PGM_RSRC2:SCRATCH_EN: 0
; COMPUTE_PGM_RSRC2:USER_SGPR: 6
; COMPUTE_PGM_RSRC2:TRAP_HANDLER: 0
; COMPUTE_PGM_RSRC2:TGID_X_EN: 1
; COMPUTE_PGM_RSRC2:TGID_Y_EN: 0
; COMPUTE_PGM_RSRC2:TGID_Z_EN: 0
; COMPUTE_PGM_RSRC2:TIDIG_COMP_CNT: 0
; COMPUTE_PGM_RSRC3_GFX90A:ACCUM_OFFSET: 0
; COMPUTE_PGM_RSRC3_GFX90A:TG_SPLIT: 0
	.text
	.p2align	2                               ; -- Begin function _ZN7rocprim17ROCPRIM_400000_NS6detail26segmented_warp_sort_helperINS1_20WarpSortHelperConfigILj8ELj4ELj256EEE12hip_bfloat16lLi256ELb0EvE4sortIPKS5_PS5_PKlPlEEvT_T0_T1_T2_jjjjRNS6_12storage_typeE
	.type	_ZN7rocprim17ROCPRIM_400000_NS6detail26segmented_warp_sort_helperINS1_20WarpSortHelperConfigILj8ELj4ELj256EEE12hip_bfloat16lLi256ELb0EvE4sortIPKS5_PS5_PKlPlEEvT_T0_T1_T2_jjjjRNS6_12storage_typeE,@function
_ZN7rocprim17ROCPRIM_400000_NS6detail26segmented_warp_sort_helperINS1_20WarpSortHelperConfigILj8ELj4ELj256EEE12hip_bfloat16lLi256ELb0EvE4sortIPKS5_PS5_PKlPlEEvT_T0_T1_T2_jjjjRNS6_12storage_typeE: ; @_ZN7rocprim17ROCPRIM_400000_NS6detail26segmented_warp_sort_helperINS1_20WarpSortHelperConfigILj8ELj4ELj256EEE12hip_bfloat16lLi256ELb0EvE4sortIPKS5_PS5_PKlPlEEvT_T0_T1_T2_jjjjRNS6_12storage_typeE
; %bb.0:
	s_waitcnt vmcnt(0) expcnt(0) lgkmcnt(0)
	v_mbcnt_lo_u32_b32 v13, -1, 0
	v_sub_u32_e32 v12, v9, v8
	v_mov_b32_e32 v9, 0
	v_mbcnt_hi_u32_b32 v13, -1, v13
	v_lshlrev_b64 v[20:21], 1, v[8:9]
	v_lshlrev_b32_e32 v34, 2, v13
	v_add_co_u32_e32 v0, vcc, v0, v20
	v_and_b32_e32 v33, 28, v34
	v_addc_co_u32_e32 v1, vcc, v1, v21, vcc
	v_lshlrev_b32_e32 v30, 1, v33
	v_add_co_u32_e32 v0, vcc, v0, v30
	v_addc_co_u32_e32 v1, vcc, 0, v1, vcc
	v_cmp_lt_u32_e32 vcc, v33, v12
	v_mov_b32_e32 v29, 0x7fff
	v_mov_b32_e32 v37, 0x7fff
	s_and_saveexec_b64 s[4:5], vcc
	s_cbranch_execz .LBB2069_2
; %bb.1:
	flat_load_ushort v37, v[0:1]
.LBB2069_2:
	s_or_b64 exec, exec, s[4:5]
	v_or_b32_e32 v13, 1, v33
	v_cmp_lt_u32_e64 s[4:5], v13, v12
	s_and_saveexec_b64 s[6:7], s[4:5]
	s_cbranch_execz .LBB2069_4
; %bb.3:
	flat_load_ushort v29, v[0:1] offset:2
.LBB2069_4:
	s_or_b64 exec, exec, s[6:7]
	v_or_b32_e32 v13, 2, v33
	v_cmp_lt_u32_e64 s[6:7], v13, v12
	v_mov_b32_e32 v36, 0x7fff
	v_mov_b32_e32 v35, 0x7fff
	s_and_saveexec_b64 s[10:11], s[6:7]
	s_cbranch_execz .LBB2069_6
; %bb.5:
	flat_load_ushort v35, v[0:1] offset:4
.LBB2069_6:
	s_or_b64 exec, exec, s[10:11]
	v_or_b32_e32 v13, 3, v33
	v_cmp_lt_u32_e64 s[16:17], v13, v12
	s_and_saveexec_b64 s[10:11], s[16:17]
	s_cbranch_execz .LBB2069_8
; %bb.7:
	flat_load_ushort v36, v[0:1] offset:6
.LBB2069_8:
	s_or_b64 exec, exec, s[10:11]
	v_lshlrev_b64 v[0:1], 3, v[8:9]
	v_add_co_u32_e64 v4, s[10:11], v4, v0
	v_addc_co_u32_e64 v5, s[10:11], v5, v1, s[10:11]
	v_lshlrev_b32_e32 v32, 3, v33
	v_add_co_u32_e64 v4, s[10:11], v4, v32
	v_addc_co_u32_e64 v5, s[10:11], 0, v5, s[10:11]
	; wave barrier
                                        ; implicit-def: $vgpr12_vgpr13_vgpr14_vgpr15_vgpr16_vgpr17_vgpr18_vgpr19
	s_and_saveexec_b64 s[10:11], vcc
	s_cbranch_execnz .LBB2069_76
; %bb.9:
	s_or_b64 exec, exec, s[10:11]
	s_and_saveexec_b64 s[10:11], s[4:5]
	s_cbranch_execnz .LBB2069_77
.LBB2069_10:
	s_or_b64 exec, exec, s[10:11]
	s_and_saveexec_b64 s[10:11], s[6:7]
	s_cbranch_execnz .LBB2069_78
.LBB2069_11:
	s_or_b64 exec, exec, s[10:11]
	s_and_saveexec_b64 s[10:11], s[16:17]
	s_cbranch_execz .LBB2069_13
.LBB2069_12:
	flat_load_dwordx2 v[18:19], v[4:5] offset:24
.LBB2069_13:
	s_or_b64 exec, exec, s[10:11]
	; wave barrier
	s_load_dwordx2 s[10:11], s[8:9], 0x0
	v_mov_b32_e32 v4, 0
	v_bfe_u32 v9, v31, 20, 10
	v_and_b32_e32 v22, 0x3ff, v31
	s_waitcnt lgkmcnt(0)
	s_cmp_lt_u32 s12, s10
	s_cselect_b32 s12, 12, 18
	s_cmp_lt_u32 s13, s11
	s_cselect_b32 s10, 14, 20
	s_add_u32 s10, s8, s10
	s_addc_u32 s11, s9, 0
	s_add_u32 s8, s8, s12
	s_addc_u32 s9, s9, 0
	global_load_ushort v5, v4, s[10:11]
	global_load_ushort v8, v4, s[8:9]
	v_bfe_u32 v4, v31, 10, 10
	s_movk_i32 s8, 0x400
	s_waitcnt vmcnt(0)
	v_mad_u32_u24 v4, v9, v5, v4
	v_mul_lo_u32 v4, v4, v8
	v_add_lshl_u32 v4, v4, v22, 2
	v_cmp_gt_u32_e64 s[8:9], s8, v4
	s_and_saveexec_b64 s[22:23], s[8:9]
	s_cbranch_execz .LBB2069_65
; %bb.14:
	v_lshlrev_b32_e32 v5, 16, v37
	v_add_f32_e32 v8, 0, v5
	s_mov_b32 s8, 0x7f800000
	v_and_b32_e32 v5, 0x7f800000, v8
	v_cmp_ne_u32_e64 s[8:9], s8, v5
                                        ; implicit-def: $vgpr5
	s_and_saveexec_b64 s[10:11], s[8:9]
	s_xor_b64 s[8:9], exec, s[10:11]
; %bb.15:
	v_bfe_u32 v5, v8, 16, 1
	s_movk_i32 s10, 0x7fff
	v_add3_u32 v5, v8, v5, s10
                                        ; implicit-def: $vgpr8
; %bb.16:
	s_andn2_saveexec_b64 s[10:11], s[8:9]
; %bb.17:
	v_mov_b32_e32 v5, 0
	v_or_b32_e32 v9, 0x10000, v8
	v_cmp_eq_u32_sdwa s[8:9], v8, v5 src0_sel:WORD_0 src1_sel:DWORD
	v_cndmask_b32_e64 v5, v9, v8, s[8:9]
; %bb.18:
	s_or_b64 exec, exec, s[10:11]
	v_lshlrev_b32_e32 v8, 16, v29
	v_add_f32_e32 v9, 0, v8
	s_mov_b32 s8, 0x7f800000
	v_and_b32_e32 v8, 0x7f800000, v9
	v_cmp_ne_u32_e64 s[8:9], s8, v8
                                        ; implicit-def: $vgpr8
	s_and_saveexec_b64 s[10:11], s[8:9]
	s_xor_b64 s[8:9], exec, s[10:11]
; %bb.19:
	v_bfe_u32 v8, v9, 16, 1
	s_movk_i32 s10, 0x7fff
	v_add3_u32 v8, v9, v8, s10
                                        ; implicit-def: $vgpr9
; %bb.20:
	s_andn2_saveexec_b64 s[10:11], s[8:9]
; %bb.21:
	v_mov_b32_e32 v8, 0
	v_or_b32_e32 v22, 0x10000, v9
	v_cmp_eq_u32_sdwa s[8:9], v9, v8 src0_sel:WORD_0 src1_sel:DWORD
	v_cndmask_b32_e64 v8, v22, v9, s[8:9]
; %bb.22:
	s_or_b64 exec, exec, s[10:11]
	v_lshlrev_b32_e32 v9, 16, v35
	v_add_f32_e32 v9, 0, v9
	s_mov_b32 s8, 0x7f800000
	v_and_b32_e32 v22, 0x7f800000, v9
	v_cmp_ne_u32_e64 s[8:9], s8, v22
                                        ; implicit-def: $vgpr22
	s_and_saveexec_b64 s[10:11], s[8:9]
	s_xor_b64 s[8:9], exec, s[10:11]
; %bb.23:
	v_bfe_u32 v22, v9, 16, 1
	s_movk_i32 s10, 0x7fff
	v_add3_u32 v22, v9, v22, s10
                                        ; implicit-def: $vgpr9
; %bb.24:
	s_andn2_saveexec_b64 s[10:11], s[8:9]
; %bb.25:
	v_mov_b32_e32 v22, 0
	v_or_b32_e32 v23, 0x10000, v9
	v_cmp_eq_u32_sdwa s[8:9], v9, v22 src0_sel:WORD_0 src1_sel:DWORD
	v_cndmask_b32_e64 v22, v23, v9, s[8:9]
; %bb.26:
	s_or_b64 exec, exec, s[10:11]
	v_lshlrev_b32_e32 v9, 16, v36
	v_add_f32_e32 v9, 0, v9
	s_mov_b32 s8, 0x7f800000
	v_and_b32_e32 v23, 0x7f800000, v9
	v_cmp_ne_u32_e64 s[8:9], s8, v23
                                        ; implicit-def: $vgpr23
	s_and_saveexec_b64 s[10:11], s[8:9]
	s_xor_b64 s[8:9], exec, s[10:11]
; %bb.27:
	v_bfe_u32 v23, v9, 16, 1
	s_movk_i32 s10, 0x7fff
	v_add3_u32 v23, v9, v23, s10
                                        ; implicit-def: $vgpr9
; %bb.28:
	s_andn2_saveexec_b64 s[10:11], s[8:9]
; %bb.29:
	v_mov_b32_e32 v23, 0
	v_or_b32_e32 v24, 0x10000, v9
	v_cmp_eq_u32_sdwa s[8:9], v9, v23 src0_sel:WORD_0 src1_sel:DWORD
	v_cndmask_b32_e64 v23, v24, v9, s[8:9]
; %bb.30:
	s_or_b64 exec, exec, s[10:11]
	s_mov_b32 s8, 0x7060302
	v_perm_b32 v9, v8, v5, s8
	v_mov_b32_e32 v24, 0xffff8000
	v_cmp_lt_i32_e64 s[8:9], -1, v5
	v_cndmask_b32_e64 v5, -1, v24, s[8:9]
	v_cmp_lt_i32_e64 s[8:9], -1, v8
	v_cndmask_b32_e64 v8, -1, v24, s[8:9]
	s_mov_b32 s8, 0x5040100
	v_perm_b32 v5, v8, v5, s8
	v_xor_b32_e32 v5, v5, v9
	v_cmp_gt_u16_sdwa s[10:11], v5, v5 src0_sel:DWORD src1_sel:WORD_1
	v_cndmask_b32_e64 v9, v29, v37, s[10:11]
	v_lshlrev_b32_e32 v5, 16, v9
	v_add_f32_e32 v5, 0, v5
	s_mov_b32 s8, 0x7f800000
	v_and_b32_e32 v8, 0x7f800000, v5
	v_cmp_ne_u32_e64 s[8:9], s8, v8
                                        ; implicit-def: $vgpr8
	s_and_saveexec_b64 s[12:13], s[8:9]
	s_xor_b64 s[8:9], exec, s[12:13]
; %bb.31:
	v_bfe_u32 v8, v5, 16, 1
	s_movk_i32 s12, 0x7fff
	v_add3_u32 v8, v5, v8, s12
                                        ; implicit-def: $vgpr5
; %bb.32:
	s_andn2_saveexec_b64 s[12:13], s[8:9]
; %bb.33:
	v_mov_b32_e32 v8, 0
	v_or_b32_e32 v24, 0x10000, v5
	v_cmp_eq_u32_sdwa s[8:9], v5, v8 src0_sel:WORD_0 src1_sel:DWORD
	v_cndmask_b32_e64 v8, v24, v5, s[8:9]
; %bb.34:
	s_or_b64 exec, exec, s[12:13]
	s_mov_b32 s8, 0x7060302
	v_perm_b32 v5, v23, v22, s8
	v_mov_b32_e32 v24, 0xffff8000
	v_cmp_lt_i32_e64 s[8:9], -1, v22
	v_cndmask_b32_e64 v22, -1, v24, s[8:9]
	v_cmp_lt_i32_e64 s[8:9], -1, v23
	v_cndmask_b32_e64 v23, -1, v24, s[8:9]
	s_mov_b32 s8, 0x5040100
	v_perm_b32 v22, v23, v22, s8
	v_xor_b32_e32 v5, v22, v5
	v_cmp_gt_u16_sdwa s[12:13], v5, v5 src0_sel:DWORD src1_sel:WORD_1
	v_cndmask_b32_e64 v22, v35, v36, s[12:13]
	v_lshlrev_b32_e32 v5, 16, v22
	v_add_f32_e32 v5, 0, v5
	s_mov_b32 s8, 0x7f800000
	v_and_b32_e32 v23, 0x7f800000, v5
	v_cmp_ne_u32_e64 s[8:9], s8, v23
                                        ; implicit-def: $vgpr24
	s_and_saveexec_b64 s[14:15], s[8:9]
	s_xor_b64 s[8:9], exec, s[14:15]
; %bb.35:
	v_bfe_u32 v23, v5, 16, 1
	s_movk_i32 s14, 0x7fff
	v_add3_u32 v24, v5, v23, s14
                                        ; implicit-def: $vgpr5
; %bb.36:
	s_andn2_saveexec_b64 s[14:15], s[8:9]
; %bb.37:
	v_mov_b32_e32 v23, 0
	v_or_b32_e32 v24, 0x10000, v5
	v_cmp_eq_u32_sdwa s[8:9], v5, v23 src0_sel:WORD_0 src1_sel:DWORD
	v_cndmask_b32_e64 v24, v24, v5, s[8:9]
; %bb.38:
	s_or_b64 exec, exec, s[14:15]
	v_cndmask_b32_e64 v5, v37, v29, s[10:11]
	v_lshlrev_b32_e32 v23, 16, v5
	v_add_f32_e32 v25, 0, v23
	s_mov_b32 s8, 0x7f800000
	v_and_b32_e32 v23, 0x7f800000, v25
	v_cmp_ne_u32_e64 s[8:9], s8, v23
                                        ; implicit-def: $vgpr23
	s_and_saveexec_b64 s[14:15], s[8:9]
	s_xor_b64 s[8:9], exec, s[14:15]
; %bb.39:
	v_bfe_u32 v23, v25, 16, 1
	s_movk_i32 s14, 0x7fff
	v_add3_u32 v23, v25, v23, s14
                                        ; implicit-def: $vgpr25
; %bb.40:
	s_andn2_saveexec_b64 s[14:15], s[8:9]
; %bb.41:
	v_mov_b32_e32 v23, 0
	v_or_b32_e32 v26, 0x10000, v25
	v_cmp_eq_u32_sdwa s[8:9], v25, v23 src0_sel:WORD_0 src1_sel:DWORD
	v_cndmask_b32_e64 v23, v26, v25, s[8:9]
; %bb.42:
	s_or_b64 exec, exec, s[14:15]
	s_mov_b32 s8, 0x7060302
	v_perm_b32 v25, v24, v8, s8
	v_mov_b32_e32 v26, 0xffff8000
	v_cmp_lt_i32_e64 s[8:9], -1, v8
	v_cndmask_b32_e64 v8, -1, v26, s[8:9]
	v_cmp_lt_i32_e64 s[8:9], -1, v24
	v_cndmask_b32_e64 v24, -1, v26, s[8:9]
	s_mov_b32 s8, 0x5040100
	v_perm_b32 v8, v24, v8, s8
	v_xor_b32_e32 v8, v8, v25
	v_cmp_gt_u16_sdwa s[14:15], v8, v8 src0_sel:DWORD src1_sel:WORD_1
	v_cndmask_b32_e64 v8, v9, v22, s[14:15]
	v_lshlrev_b32_e32 v24, 16, v8
	v_add_f32_e32 v24, 0, v24
	s_mov_b32 s8, 0x7f800000
	v_and_b32_e32 v25, 0x7f800000, v24
	v_cmp_ne_u32_e64 s[8:9], s8, v25
                                        ; implicit-def: $vgpr25
	s_and_saveexec_b64 s[18:19], s[8:9]
	s_xor_b64 s[8:9], exec, s[18:19]
; %bb.43:
	v_bfe_u32 v25, v24, 16, 1
	s_movk_i32 s18, 0x7fff
	v_add3_u32 v25, v24, v25, s18
                                        ; implicit-def: $vgpr24
; %bb.44:
	s_andn2_saveexec_b64 s[18:19], s[8:9]
; %bb.45:
	v_mov_b32_e32 v25, 0
	v_or_b32_e32 v26, 0x10000, v24
	v_cmp_eq_u32_sdwa s[8:9], v24, v25 src0_sel:WORD_0 src1_sel:DWORD
	v_cndmask_b32_e64 v25, v26, v24, s[8:9]
; %bb.46:
	s_or_b64 exec, exec, s[18:19]
	v_cndmask_b32_e64 v9, v22, v9, s[14:15]
	v_lshlrev_b32_e32 v22, 16, v9
	v_add_f32_e32 v22, 0, v22
	s_mov_b32 s8, 0x7f800000
	v_and_b32_e32 v24, 0x7f800000, v22
	v_cmp_ne_u32_e64 s[8:9], s8, v24
                                        ; implicit-def: $vgpr24
	s_and_saveexec_b64 s[18:19], s[8:9]
	s_xor_b64 s[8:9], exec, s[18:19]
; %bb.47:
	v_bfe_u32 v24, v22, 16, 1
	s_movk_i32 s18, 0x7fff
	v_add3_u32 v24, v22, v24, s18
                                        ; implicit-def: $vgpr22
; %bb.48:
	s_andn2_saveexec_b64 s[18:19], s[8:9]
; %bb.49:
	v_mov_b32_e32 v24, 0
	v_or_b32_e32 v26, 0x10000, v22
	v_cmp_eq_u32_sdwa s[8:9], v22, v24 src0_sel:WORD_0 src1_sel:DWORD
	v_cndmask_b32_e64 v24, v26, v22, s[8:9]
; %bb.50:
	s_or_b64 exec, exec, s[18:19]
	v_cndmask_b32_e64 v22, v36, v35, s[12:13]
	v_lshlrev_b32_e32 v26, 16, v22
	v_add_f32_e32 v27, 0, v26
	s_mov_b32 s8, 0x7f800000
	v_and_b32_e32 v26, 0x7f800000, v27
	v_cmp_ne_u32_e64 s[8:9], s8, v26
                                        ; implicit-def: $vgpr26
	s_and_saveexec_b64 s[18:19], s[8:9]
	s_xor_b64 s[8:9], exec, s[18:19]
; %bb.51:
	v_bfe_u32 v26, v27, 16, 1
	s_movk_i32 s18, 0x7fff
	v_add3_u32 v26, v27, v26, s18
                                        ; implicit-def: $vgpr27
; %bb.52:
	s_andn2_saveexec_b64 s[18:19], s[8:9]
; %bb.53:
	v_mov_b32_e32 v26, 0
	v_or_b32_e32 v28, 0x10000, v27
	v_cmp_eq_u32_sdwa s[8:9], v27, v26 src0_sel:WORD_0 src1_sel:DWORD
	v_cndmask_b32_e64 v26, v28, v27, s[8:9]
; %bb.54:
	s_or_b64 exec, exec, s[18:19]
	s_mov_b32 s8, 0x7060302
	v_perm_b32 v27, v25, v23, s8
	v_mov_b32_e32 v28, 0xffff8000
	v_cmp_lt_i32_e64 s[8:9], -1, v23
	v_cndmask_b32_e64 v23, -1, v28, s[8:9]
	v_cmp_lt_i32_e64 s[8:9], -1, v25
	v_cndmask_b32_e64 v25, -1, v28, s[8:9]
	s_mov_b32 s8, 0x5040100
	v_perm_b32 v23, v25, v23, s8
	v_xor_b32_e32 v23, v23, v27
	v_cmp_gt_u16_sdwa s[8:9], v23, v23 src0_sel:DWORD src1_sel:WORD_1
	v_cndmask_b32_e64 v29, v8, v5, s[8:9]
	v_lshlrev_b32_e32 v23, 16, v29
	v_add_f32_e32 v25, 0, v23
	s_mov_b32 s18, 0x7f800000
	v_and_b32_e32 v23, 0x7f800000, v25
	v_cmp_ne_u32_e64 s[18:19], s18, v23
                                        ; implicit-def: $vgpr23
	s_and_saveexec_b64 s[20:21], s[18:19]
	s_xor_b64 s[18:19], exec, s[20:21]
; %bb.55:
	v_bfe_u32 v23, v25, 16, 1
	s_movk_i32 s20, 0x7fff
	v_add3_u32 v23, v25, v23, s20
                                        ; implicit-def: $vgpr25
; %bb.56:
	s_andn2_saveexec_b64 s[20:21], s[18:19]
; %bb.57:
	v_mov_b32_e32 v23, 0
	v_or_b32_e32 v27, 0x10000, v25
	v_cmp_eq_u32_sdwa s[18:19], v25, v23 src0_sel:WORD_0 src1_sel:DWORD
	v_cndmask_b32_e64 v23, v27, v25, s[18:19]
; %bb.58:
	s_or_b64 exec, exec, s[20:21]
	s_mov_b32 s18, 0x7060302
	v_perm_b32 v25, v26, v24, s18
	v_mov_b32_e32 v27, 0xffff8000
	v_cmp_lt_i32_e64 s[18:19], -1, v24
	v_cndmask_b32_e64 v24, -1, v27, s[18:19]
	v_cmp_lt_i32_e64 s[18:19], -1, v26
	v_cndmask_b32_e64 v26, -1, v27, s[18:19]
	s_mov_b32 s18, 0x5040100
	v_perm_b32 v24, v26, v24, s18
	v_xor_b32_e32 v24, v24, v25
	v_cmp_gt_u16_sdwa s[18:19], v24, v24 src0_sel:DWORD src1_sel:WORD_1
	v_cndmask_b32_e64 v24, v9, v22, s[18:19]
	v_lshlrev_b32_e32 v25, 16, v24
	v_add_f32_e32 v26, 0, v25
	s_mov_b32 s20, 0x7f800000
	v_and_b32_e32 v25, 0x7f800000, v26
	v_cmp_ne_u32_e64 s[20:21], s20, v25
                                        ; implicit-def: $vgpr25
	s_and_saveexec_b64 s[24:25], s[20:21]
	s_xor_b64 s[20:21], exec, s[24:25]
; %bb.59:
	v_bfe_u32 v25, v26, 16, 1
	s_movk_i32 s24, 0x7fff
	v_add3_u32 v25, v26, v25, s24
                                        ; implicit-def: $vgpr26
; %bb.60:
	s_andn2_saveexec_b64 s[24:25], s[20:21]
; %bb.61:
	v_mov_b32_e32 v25, 0
	v_or_b32_e32 v27, 0x10000, v26
	v_cmp_eq_u32_sdwa s[20:21], v26, v25 src0_sel:WORD_0 src1_sel:DWORD
	v_cndmask_b32_e64 v25, v27, v26, s[20:21]
; %bb.62:
	s_or_b64 exec, exec, s[24:25]
	v_cndmask_b32_e64 v26, v12, v14, s[10:11]
	v_cndmask_b32_e64 v27, v13, v15, s[10:11]
	;; [unrolled: 1-line block ×12, first 2 shown]
	s_mov_b32 s10, 0x7060302
	v_cndmask_b32_e64 v15, v13, v27, s[8:9]
	v_cndmask_b32_e64 v14, v12, v26, s[8:9]
	;; [unrolled: 1-line block ×4, first 2 shown]
	v_perm_b32 v26, v25, v23, s10
	v_mov_b32_e32 v27, 0xffff8000
	v_cmp_lt_i32_e64 s[10:11], -1, v23
	v_cndmask_b32_e64 v23, -1, v27, s[10:11]
	v_cmp_lt_i32_e64 s[10:11], -1, v25
	v_cndmask_b32_e64 v25, -1, v27, s[10:11]
	s_mov_b32 s10, 0x5040100
	v_perm_b32 v23, v25, v23, s10
	v_xor_b32_e32 v23, v23, v26
	v_cndmask_b32_e64 v19, v31, v17, s[18:19]
	v_cndmask_b32_e64 v18, v28, v16, s[18:19]
	;; [unrolled: 1-line block ×4, first 2 shown]
	v_cmp_gt_u16_sdwa s[12:13], v23, v23 src0_sel:DWORD src1_sel:WORD_1
	v_mov_b32_e32 v35, v24
	s_and_saveexec_b64 s[10:11], s[12:13]
	s_cbranch_execz .LBB2069_64
; %bb.63:
	v_mov_b32_e32 v48, v12
	v_mov_b32_e32 v49, v13
	;; [unrolled: 1-line block ×8, first 2 shown]
	v_pk_mov_b32 v[12:13], v[48:49], v[48:49] op_sel:[0,1]
	v_pk_mov_b32 v[14:15], v[50:51], v[50:51] op_sel:[0,1]
	;; [unrolled: 1-line block ×4, first 2 shown]
	v_mov_b32_e32 v35, v29
	v_mov_b32_e32 v29, v24
.LBB2069_64:
	s_or_b64 exec, exec, s[10:11]
	v_cndmask_b32_e64 v36, v22, v9, s[18:19]
	v_cndmask_b32_e64 v37, v5, v8, s[8:9]
.LBB2069_65:
	s_or_b64 exec, exec, s[22:23]
	v_and_b32_e32 v26, 0xffffff00, v4
	v_mov_b32_e32 v27, 0
	s_movk_i32 s8, 0x400
	v_lshlrev_b64 v[4:5], 1, v[26:27]
	v_sub_u32_e64 v31, s8, v26 clamp
	v_add_co_u32_e64 v8, s[8:9], v10, v4
	v_addc_co_u32_e64 v9, s[8:9], v11, v5, s[8:9]
	v_mad_u64_u32 v[4:5], s[8:9], v26, 6, v[8:9]
	v_lshlrev_b32_e32 v10, 1, v34
	v_add_co_u32_e64 v10, s[8:9], v8, v10
	v_addc_co_u32_e64 v11, s[8:9], 0, v9, s[8:9]
	v_lshlrev_b32_e32 v22, 3, v34
	v_add_co_u32_e64 v24, s[8:9], v4, v22
	s_mov_b32 s18, 0x5040100
	v_addc_co_u32_e64 v25, s[8:9], 0, v5, s[8:9]
	v_perm_b32 v39, v36, v35, s18
	v_perm_b32 v38, v29, v37, s18
	v_or_b32_e32 v26, 4, v34
	flat_store_dwordx4 v[24:25], v[12:15] offset:2048
	flat_store_dwordx2 v[10:11], v[38:39]
	flat_store_dwordx4 v[24:25], v[16:19] offset:2064
	v_min_u32_e32 v38, v31, v26
	v_add_u32_e32 v26, 4, v38
	s_movk_i32 s8, 0x800
	v_and_b32_e32 v28, 0x1f8, v34
	v_min_u32_e32 v39, v31, v26
	v_and_b32_e32 v26, 4, v34
	v_add_co_u32_e64 v22, s[8:9], s8, v24
	v_min_u32_e32 v48, v31, v26
	v_sub_u32_e32 v26, v38, v28
	v_sub_u32_e32 v49, v39, v38
	v_addc_co_u32_e64 v23, s[8:9], 0, v25, s[8:9]
	v_sub_u32_e64 v49, v48, v49 clamp
	v_min_u32_e32 v50, v48, v26
	v_cmp_lt_u32_e64 s[8:9], v49, v50
	; wave barrier
	s_and_saveexec_b64 s[10:11], s[8:9]
	s_cbranch_execz .LBB2069_80
; %bb.66:
	v_lshlrev_b32_e32 v26, 1, v28
	v_add_co_u32_e64 v51, s[8:9], v8, v26
	v_addc_co_u32_e64 v52, s[8:9], 0, v9, s[8:9]
	v_lshlrev_b32_e32 v26, 1, v38
	v_add_co_u32_e64 v53, s[8:9], v8, v26
	v_addc_co_u32_e64 v54, s[8:9], 0, v9, s[8:9]
	s_mov_b64 s[12:13], 0
	s_mov_b32 s19, 0x7f800000
	s_movk_i32 s20, 0x7fff
	s_mov_b32 s21, 0x7060302
	v_mov_b32_e32 v55, 0xffff8000
	s_branch .LBB2069_68
.LBB2069_67:                            ;   in Loop: Header=BB2069_68 Depth=1
	s_or_b64 exec, exec, s[14:15]
	v_cmp_lt_i32_e64 s[8:9], -1, v26
	v_perm_b32 v66, v65, v26, s21
	v_cndmask_b32_e64 v26, -1, v55, s[8:9]
	v_cmp_lt_i32_e64 s[8:9], -1, v65
	v_cndmask_b32_e64 v65, -1, v55, s[8:9]
	v_perm_b32 v26, v65, v26, s18
	v_xor_b32_e32 v26, v26, v66
	v_add_u32_e32 v65, 1, v64
	v_cmp_gt_u16_sdwa s[8:9], v26, v26 src0_sel:DWORD src1_sel:WORD_1
	v_cndmask_b32_e64 v50, v50, v64, s[8:9]
	v_cndmask_b32_e64 v49, v65, v49, s[8:9]
	v_cmp_ge_u32_e64 s[8:9], v49, v50
	s_or_b64 s[12:13], s[8:9], s[12:13]
	s_andn2_b64 exec, exec, s[12:13]
	s_cbranch_execz .LBB2069_79
.LBB2069_68:                            ; =>This Inner Loop Header: Depth=1
	v_add_u32_e32 v65, v50, v49
	v_lshrrev_b32_e32 v64, 1, v65
	v_and_b32_e32 v65, -2, v65
	v_add_co_u32_e64 v66, s[8:9], v51, v65
	v_xad_u32 v26, v64, -1, v48
	v_addc_co_u32_e64 v67, s[8:9], 0, v52, s[8:9]
	v_lshlrev_b64 v[68:69], 1, v[26:27]
	flat_load_ushort v26, v[66:67]
	v_add_co_u32_e64 v66, s[8:9], v53, v68
	v_addc_co_u32_e64 v67, s[8:9], v54, v69, s[8:9]
	flat_load_ushort v65, v[66:67]
	s_waitcnt vmcnt(0) lgkmcnt(0)
	v_lshlrev_b32_e32 v26, 16, v26
	v_add_f32_e32 v66, 0, v26
	v_and_b32_e32 v26, 0x7f800000, v66
	v_cmp_ne_u32_e64 s[8:9], s19, v26
                                        ; implicit-def: $vgpr26
	s_and_saveexec_b64 s[14:15], s[8:9]
	s_xor_b64 s[8:9], exec, s[14:15]
; %bb.69:                               ;   in Loop: Header=BB2069_68 Depth=1
	v_bfe_u32 v26, v66, 16, 1
	v_add3_u32 v26, v66, v26, s20
                                        ; implicit-def: $vgpr66
; %bb.70:                               ;   in Loop: Header=BB2069_68 Depth=1
	s_andn2_saveexec_b64 s[14:15], s[8:9]
; %bb.71:                               ;   in Loop: Header=BB2069_68 Depth=1
	v_or_b32_e32 v26, 0x10000, v66
	v_cmp_eq_u32_sdwa s[8:9], v66, v27 src0_sel:WORD_0 src1_sel:DWORD
	v_cndmask_b32_e64 v26, v26, v66, s[8:9]
; %bb.72:                               ;   in Loop: Header=BB2069_68 Depth=1
	s_or_b64 exec, exec, s[14:15]
	v_lshlrev_b32_e32 v65, 16, v65
	v_add_f32_e32 v66, 0, v65
	v_and_b32_e32 v65, 0x7f800000, v66
	v_cmp_ne_u32_e64 s[8:9], s19, v65
                                        ; implicit-def: $vgpr65
	s_and_saveexec_b64 s[14:15], s[8:9]
	s_xor_b64 s[8:9], exec, s[14:15]
; %bb.73:                               ;   in Loop: Header=BB2069_68 Depth=1
	v_bfe_u32 v65, v66, 16, 1
	v_add3_u32 v65, v66, v65, s20
                                        ; implicit-def: $vgpr66
; %bb.74:                               ;   in Loop: Header=BB2069_68 Depth=1
	s_andn2_saveexec_b64 s[14:15], s[8:9]
	s_cbranch_execz .LBB2069_67
; %bb.75:                               ;   in Loop: Header=BB2069_68 Depth=1
	v_or_b32_e32 v65, 0x10000, v66
	v_cmp_eq_u32_sdwa s[8:9], v66, v27 src0_sel:WORD_0 src1_sel:DWORD
	v_cndmask_b32_e64 v65, v65, v66, s[8:9]
	s_branch .LBB2069_67
.LBB2069_76:
	flat_load_dwordx2 v[12:13], v[4:5]
	s_or_b64 exec, exec, s[10:11]
	s_and_saveexec_b64 s[10:11], s[4:5]
	s_cbranch_execz .LBB2069_10
.LBB2069_77:
	flat_load_dwordx2 v[14:15], v[4:5] offset:8
	s_or_b64 exec, exec, s[10:11]
	s_and_saveexec_b64 s[10:11], s[6:7]
	s_cbranch_execz .LBB2069_11
.LBB2069_78:
	flat_load_dwordx2 v[16:17], v[4:5] offset:16
	s_or_b64 exec, exec, s[10:11]
	s_and_saveexec_b64 s[10:11], s[16:17]
	s_cbranch_execnz .LBB2069_12
	s_branch .LBB2069_13
.LBB2069_79:
	s_or_b64 exec, exec, s[12:13]
.LBB2069_80:
	s_or_b64 exec, exec, s[10:11]
	v_add_u32_e32 v27, v38, v48
	v_add_u32_e32 v26, v49, v28
	v_sub_u32_e32 v28, v27, v49
	v_cmp_le_u32_e64 s[8:9], v26, v38
	v_cmp_le_u32_e64 s[10:11], v28, v39
	s_or_b64 s[8:9], s[8:9], s[10:11]
	s_and_saveexec_b64 s[12:13], s[8:9]
	s_cbranch_execz .LBB2069_132
; %bb.81:
	v_cmp_ge_u32_e64 s[8:9], v26, v38
	v_cmp_lt_u32_e64 s[10:11], v26, v38
                                        ; implicit-def: $vgpr27
	s_and_saveexec_b64 s[14:15], s[10:11]
	s_cbranch_execz .LBB2069_83
; %bb.82:
	v_mov_b32_e32 v27, 0
	v_lshlrev_b64 v[12:13], 1, v[26:27]
	v_add_co_u32_e64 v12, s[10:11], v8, v12
	v_addc_co_u32_e64 v13, s[10:11], v9, v13, s[10:11]
	flat_load_ushort v27, v[12:13]
.LBB2069_83:
	s_or_b64 exec, exec, s[14:15]
	v_cmp_ge_u32_e64 s[14:15], v28, v39
	v_cmp_lt_u32_e64 s[10:11], v28, v39
                                        ; implicit-def: $vgpr36
	s_and_saveexec_b64 s[18:19], s[10:11]
	s_cbranch_execz .LBB2069_85
; %bb.84:
	v_mov_b32_e32 v29, 0
	v_lshlrev_b64 v[12:13], 1, v[28:29]
	v_add_co_u32_e64 v12, s[10:11], v8, v12
	v_addc_co_u32_e64 v13, s[10:11], v9, v13, s[10:11]
	flat_load_ushort v36, v[12:13]
.LBB2069_85:
	s_or_b64 exec, exec, s[18:19]
	s_or_b64 s[8:9], s[8:9], s[14:15]
	s_xor_b64 s[8:9], s[8:9], -1
	s_and_saveexec_b64 s[10:11], s[8:9]
	s_cbranch_execz .LBB2069_95
; %bb.86:
	s_waitcnt vmcnt(0) lgkmcnt(0)
	v_lshlrev_b32_e32 v12, 16, v27
	v_add_f32_e32 v13, 0, v12
	s_mov_b32 s8, 0x7f800000
	v_and_b32_e32 v12, 0x7f800000, v13
	v_cmp_ne_u32_e64 s[8:9], s8, v12
                                        ; implicit-def: $vgpr12
	s_and_saveexec_b64 s[18:19], s[8:9]
	s_xor_b64 s[8:9], exec, s[18:19]
; %bb.87:
	v_bfe_u32 v12, v13, 16, 1
	s_movk_i32 s18, 0x7fff
	v_add3_u32 v12, v13, v12, s18
                                        ; implicit-def: $vgpr13
; %bb.88:
	s_andn2_saveexec_b64 s[18:19], s[8:9]
; %bb.89:
	v_mov_b32_e32 v12, 0
	v_or_b32_e32 v14, 0x10000, v13
	v_cmp_eq_u32_sdwa s[8:9], v13, v12 src0_sel:WORD_0 src1_sel:DWORD
	v_cndmask_b32_e64 v12, v14, v13, s[8:9]
; %bb.90:
	s_or_b64 exec, exec, s[18:19]
	v_lshlrev_b32_e32 v13, 16, v36
	v_add_f32_e32 v14, 0, v13
	s_mov_b32 s8, 0x7f800000
	v_and_b32_e32 v13, 0x7f800000, v14
	v_cmp_ne_u32_e64 s[8:9], s8, v13
                                        ; implicit-def: $vgpr13
	s_and_saveexec_b64 s[18:19], s[8:9]
	s_xor_b64 s[8:9], exec, s[18:19]
; %bb.91:
	v_bfe_u32 v13, v14, 16, 1
	s_movk_i32 s18, 0x7fff
	v_add3_u32 v13, v14, v13, s18
                                        ; implicit-def: $vgpr14
; %bb.92:
	s_andn2_saveexec_b64 s[18:19], s[8:9]
; %bb.93:
	v_mov_b32_e32 v13, 0
	v_or_b32_e32 v15, 0x10000, v14
	v_cmp_eq_u32_sdwa s[8:9], v14, v13 src0_sel:WORD_0 src1_sel:DWORD
	v_cndmask_b32_e64 v13, v15, v14, s[8:9]
; %bb.94:
	s_or_b64 exec, exec, s[18:19]
	s_mov_b32 s8, 0x7060302
	v_perm_b32 v14, v13, v12, s8
	v_mov_b32_e32 v15, 0xffff8000
	v_cmp_lt_i32_e64 s[8:9], -1, v12
	v_cndmask_b32_e64 v12, -1, v15, s[8:9]
	v_cmp_lt_i32_e64 s[8:9], -1, v13
	v_cndmask_b32_e64 v13, -1, v15, s[8:9]
	s_mov_b32 s8, 0x5040100
	v_perm_b32 v12, v13, v12, s8
	v_xor_b32_e32 v12, v12, v14
	v_cmp_le_u16_sdwa s[8:9], v12, v12 src0_sel:DWORD src1_sel:WORD_1
	s_andn2_b64 s[14:15], s[14:15], exec
	s_and_b64 s[8:9], s[8:9], exec
	s_or_b64 s[14:15], s[14:15], s[8:9]
.LBB2069_95:
	s_or_b64 exec, exec, s[10:11]
	v_cndmask_b32_e64 v14, v28, v26, s[14:15]
	v_cndmask_b32_e64 v16, v39, v38, s[14:15]
	v_mov_b32_e32 v15, 0
	v_lshlrev_b64 v[12:13], 3, v[14:15]
	v_add_u32_e32 v18, 1, v14
	v_add_u32_e32 v14, -1, v16
	v_min_u32_e32 v14, v18, v14
	v_lshlrev_b64 v[16:17], 1, v[14:15]
	v_add_co_u32_e64 v16, s[8:9], v8, v16
	v_addc_co_u32_e64 v17, s[8:9], v9, v17, s[8:9]
	v_add_co_u32_e64 v12, s[8:9], v4, v12
	flat_load_ushort v14, v[16:17]
	v_addc_co_u32_e64 v13, s[8:9], v5, v13, s[8:9]
	flat_load_dwordx2 v[12:13], v[12:13] offset:2048
	v_cndmask_b32_e64 v16, v18, v28, s[14:15]
	s_mov_b64 s[10:11], -1
	v_cndmask_b32_e64 v17, v26, v18, s[14:15]
	v_cmp_lt_u32_e64 s[8:9], v16, v39
	s_mov_b64 s[18:19], -1
	s_waitcnt vmcnt(0) lgkmcnt(0)
	v_cndmask_b32_e64 v26, v14, v36, s[14:15]
	v_cndmask_b32_e64 v28, v27, v14, s[14:15]
	s_and_saveexec_b64 s[20:21], s[8:9]
	s_cbranch_execz .LBB2069_107
; %bb.96:
	v_cmp_lt_u32_e64 s[8:9], v17, v38
	s_mov_b64 s[22:23], 0
	s_and_saveexec_b64 s[18:19], s[8:9]
	s_cbranch_execz .LBB2069_106
; %bb.97:
	v_lshlrev_b32_e32 v14, 16, v28
	v_add_f32_e32 v18, 0, v14
	s_mov_b32 s8, 0x7f800000
	v_and_b32_e32 v14, 0x7f800000, v18
	v_cmp_ne_u32_e64 s[8:9], s8, v14
                                        ; implicit-def: $vgpr14
	s_and_saveexec_b64 s[22:23], s[8:9]
	s_xor_b64 s[8:9], exec, s[22:23]
; %bb.98:
	v_bfe_u32 v14, v18, 16, 1
	s_movk_i32 s22, 0x7fff
	v_add3_u32 v14, v18, v14, s22
                                        ; implicit-def: $vgpr18
; %bb.99:
	s_andn2_saveexec_b64 s[22:23], s[8:9]
; %bb.100:
	v_mov_b32_e32 v14, 0
	v_or_b32_e32 v19, 0x10000, v18
	v_cmp_eq_u32_sdwa s[8:9], v18, v14 src0_sel:WORD_0 src1_sel:DWORD
	v_cndmask_b32_e64 v14, v19, v18, s[8:9]
; %bb.101:
	s_or_b64 exec, exec, s[22:23]
	v_lshlrev_b32_e32 v18, 16, v26
	v_add_f32_e32 v19, 0, v18
	s_mov_b32 s8, 0x7f800000
	v_and_b32_e32 v18, 0x7f800000, v19
	v_cmp_ne_u32_e64 s[8:9], s8, v18
                                        ; implicit-def: $vgpr18
	s_and_saveexec_b64 s[22:23], s[8:9]
	s_xor_b64 s[8:9], exec, s[22:23]
; %bb.102:
	v_bfe_u32 v18, v19, 16, 1
	s_movk_i32 s22, 0x7fff
	v_add3_u32 v18, v19, v18, s22
                                        ; implicit-def: $vgpr19
; %bb.103:
	s_andn2_saveexec_b64 s[22:23], s[8:9]
; %bb.104:
	v_mov_b32_e32 v18, 0
	v_or_b32_e32 v29, 0x10000, v19
	v_cmp_eq_u32_sdwa s[8:9], v19, v18 src0_sel:WORD_0 src1_sel:DWORD
	v_cndmask_b32_e64 v18, v29, v19, s[8:9]
; %bb.105:
	s_or_b64 exec, exec, s[22:23]
	s_mov_b32 s8, 0x7060302
	v_perm_b32 v19, v18, v14, s8
	v_mov_b32_e32 v29, 0xffff8000
	v_cmp_lt_i32_e64 s[8:9], -1, v14
	v_cndmask_b32_e64 v14, -1, v29, s[8:9]
	v_cmp_lt_i32_e64 s[8:9], -1, v18
	v_cndmask_b32_e64 v18, -1, v29, s[8:9]
	s_mov_b32 s8, 0x5040100
	v_perm_b32 v14, v18, v14, s8
	v_xor_b32_e32 v14, v14, v19
	v_cmp_le_u16_sdwa s[8:9], v14, v14 src0_sel:DWORD src1_sel:WORD_1
	s_and_b64 s[22:23], s[8:9], exec
.LBB2069_106:
	s_or_b64 exec, exec, s[18:19]
	s_orn2_b64 s[18:19], s[22:23], exec
.LBB2069_107:
	s_or_b64 exec, exec, s[20:21]
	v_cndmask_b32_e64 v14, v16, v17, s[18:19]
	v_cndmask_b32_e64 v29, v39, v38, s[18:19]
	v_lshlrev_b64 v[18:19], 3, v[14:15]
	v_add_u32_e32 v35, 1, v14
	v_add_u32_e32 v14, -1, v29
	v_min_u32_e32 v14, v35, v14
	v_lshlrev_b64 v[14:15], 1, v[14:15]
	v_add_co_u32_e64 v14, s[8:9], v8, v14
	v_addc_co_u32_e64 v15, s[8:9], v9, v15, s[8:9]
	flat_load_ushort v49, v[14:15]
	v_add_co_u32_e64 v14, s[8:9], v4, v18
	v_addc_co_u32_e64 v15, s[8:9], v5, v19, s[8:9]
	flat_load_dwordx2 v[14:15], v[14:15] offset:2048
	v_cndmask_b32_e64 v37, v35, v16, s[18:19]
	v_cndmask_b32_e64 v48, v17, v35, s[18:19]
	v_cmp_lt_u32_e64 s[8:9], v37, v39
	s_waitcnt vmcnt(0) lgkmcnt(0)
	v_cndmask_b32_e64 v29, v49, v26, s[18:19]
	v_cndmask_b32_e64 v35, v28, v49, s[18:19]
	s_and_saveexec_b64 s[20:21], s[8:9]
	s_cbranch_execz .LBB2069_119
; %bb.108:
	v_cmp_lt_u32_e64 s[8:9], v48, v38
	s_mov_b64 s[22:23], 0
	s_and_saveexec_b64 s[10:11], s[8:9]
	s_cbranch_execz .LBB2069_118
; %bb.109:
	v_lshlrev_b32_e32 v16, 16, v35
	v_add_f32_e32 v17, 0, v16
	s_mov_b32 s8, 0x7f800000
	v_and_b32_e32 v16, 0x7f800000, v17
	v_cmp_ne_u32_e64 s[8:9], s8, v16
                                        ; implicit-def: $vgpr16
	s_and_saveexec_b64 s[22:23], s[8:9]
	s_xor_b64 s[8:9], exec, s[22:23]
; %bb.110:
	v_bfe_u32 v16, v17, 16, 1
	s_movk_i32 s22, 0x7fff
	v_add3_u32 v16, v17, v16, s22
                                        ; implicit-def: $vgpr17
; %bb.111:
	s_andn2_saveexec_b64 s[22:23], s[8:9]
; %bb.112:
	v_mov_b32_e32 v16, 0
	v_or_b32_e32 v18, 0x10000, v17
	v_cmp_eq_u32_sdwa s[8:9], v17, v16 src0_sel:WORD_0 src1_sel:DWORD
	v_cndmask_b32_e64 v16, v18, v17, s[8:9]
; %bb.113:
	s_or_b64 exec, exec, s[22:23]
	v_lshlrev_b32_e32 v17, 16, v29
	v_add_f32_e32 v18, 0, v17
	s_mov_b32 s8, 0x7f800000
	v_and_b32_e32 v17, 0x7f800000, v18
	v_cmp_ne_u32_e64 s[8:9], s8, v17
                                        ; implicit-def: $vgpr17
	s_and_saveexec_b64 s[22:23], s[8:9]
	s_xor_b64 s[8:9], exec, s[22:23]
; %bb.114:
	v_bfe_u32 v17, v18, 16, 1
	s_movk_i32 s22, 0x7fff
	v_add3_u32 v17, v18, v17, s22
                                        ; implicit-def: $vgpr18
; %bb.115:
	s_andn2_saveexec_b64 s[22:23], s[8:9]
; %bb.116:
	v_mov_b32_e32 v17, 0
	v_or_b32_e32 v19, 0x10000, v18
	v_cmp_eq_u32_sdwa s[8:9], v18, v17 src0_sel:WORD_0 src1_sel:DWORD
	v_cndmask_b32_e64 v17, v19, v18, s[8:9]
; %bb.117:
	s_or_b64 exec, exec, s[22:23]
	s_mov_b32 s8, 0x7060302
	v_perm_b32 v18, v17, v16, s8
	v_mov_b32_e32 v19, 0xffff8000
	v_cmp_lt_i32_e64 s[8:9], -1, v16
	v_cndmask_b32_e64 v16, -1, v19, s[8:9]
	v_cmp_lt_i32_e64 s[8:9], -1, v17
	v_cndmask_b32_e64 v17, -1, v19, s[8:9]
	s_mov_b32 s8, 0x5040100
	v_perm_b32 v16, v17, v16, s8
	v_xor_b32_e32 v16, v16, v18
	v_cmp_le_u16_sdwa s[8:9], v16, v16 src0_sel:DWORD src1_sel:WORD_1
	s_and_b64 s[22:23], s[8:9], exec
.LBB2069_118:
	s_or_b64 exec, exec, s[10:11]
	s_orn2_b64 s[10:11], s[22:23], exec
.LBB2069_119:
	s_or_b64 exec, exec, s[20:21]
	v_cndmask_b32_e64 v18, v37, v48, s[10:11]
	v_cndmask_b32_e64 v49, v39, v38, s[10:11]
	v_mov_b32_e32 v19, 0
	v_lshlrev_b64 v[16:17], 3, v[18:19]
	v_add_u32_e32 v52, 1, v18
	v_add_u32_e32 v18, -1, v49
	v_min_u32_e32 v18, v52, v18
	v_lshlrev_b64 v[50:51], 1, v[18:19]
	v_add_co_u32_e64 v50, s[8:9], v8, v50
	v_addc_co_u32_e64 v51, s[8:9], v9, v51, s[8:9]
	v_add_co_u32_e64 v16, s[8:9], v4, v16
	flat_load_ushort v49, v[50:51]
	v_addc_co_u32_e64 v17, s[8:9], v5, v17, s[8:9]
	flat_load_dwordx2 v[16:17], v[16:17] offset:2048
	v_cndmask_b32_e64 v18, v52, v37, s[10:11]
	v_cndmask_b32_e64 v37, v48, v52, s[10:11]
	v_cmp_lt_u32_e64 s[8:9], v18, v39
	s_mov_b64 s[22:23], -1
	s_waitcnt vmcnt(0) lgkmcnt(0)
	v_cndmask_b32_e64 v39, v49, v29, s[10:11]
	v_cndmask_b32_e64 v48, v35, v49, s[10:11]
	s_and_saveexec_b64 s[20:21], s[8:9]
	s_cbranch_execz .LBB2069_131
; %bb.120:
	v_cmp_lt_u32_e64 s[8:9], v37, v38
	s_mov_b64 s[24:25], 0
	s_and_saveexec_b64 s[22:23], s[8:9]
	s_cbranch_execz .LBB2069_130
; %bb.121:
	v_lshlrev_b32_e32 v38, 16, v48
	v_add_f32_e32 v49, 0, v38
	s_mov_b32 s8, 0x7f800000
	v_and_b32_e32 v38, 0x7f800000, v49
	v_cmp_ne_u32_e64 s[8:9], s8, v38
                                        ; implicit-def: $vgpr38
	s_and_saveexec_b64 s[24:25], s[8:9]
	s_xor_b64 s[8:9], exec, s[24:25]
; %bb.122:
	v_bfe_u32 v38, v49, 16, 1
	s_movk_i32 s24, 0x7fff
	v_add3_u32 v38, v49, v38, s24
                                        ; implicit-def: $vgpr49
; %bb.123:
	s_andn2_saveexec_b64 s[24:25], s[8:9]
; %bb.124:
	v_mov_b32_e32 v38, 0
	v_or_b32_e32 v50, 0x10000, v49
	v_cmp_eq_u32_sdwa s[8:9], v49, v38 src0_sel:WORD_0 src1_sel:DWORD
	v_cndmask_b32_e64 v38, v50, v49, s[8:9]
; %bb.125:
	s_or_b64 exec, exec, s[24:25]
	v_lshlrev_b32_e32 v49, 16, v39
	v_add_f32_e32 v50, 0, v49
	s_mov_b32 s8, 0x7f800000
	v_and_b32_e32 v49, 0x7f800000, v50
	v_cmp_ne_u32_e64 s[8:9], s8, v49
                                        ; implicit-def: $vgpr49
	s_and_saveexec_b64 s[24:25], s[8:9]
	s_xor_b64 s[8:9], exec, s[24:25]
; %bb.126:
	v_bfe_u32 v49, v50, 16, 1
	s_movk_i32 s24, 0x7fff
	v_add3_u32 v49, v50, v49, s24
                                        ; implicit-def: $vgpr50
; %bb.127:
	s_andn2_saveexec_b64 s[24:25], s[8:9]
; %bb.128:
	v_mov_b32_e32 v49, 0
	v_or_b32_e32 v51, 0x10000, v50
	v_cmp_eq_u32_sdwa s[8:9], v50, v49 src0_sel:WORD_0 src1_sel:DWORD
	v_cndmask_b32_e64 v49, v51, v50, s[8:9]
; %bb.129:
	s_or_b64 exec, exec, s[24:25]
	s_mov_b32 s8, 0x7060302
	v_perm_b32 v50, v49, v38, s8
	v_mov_b32_e32 v51, 0xffff8000
	v_cmp_lt_i32_e64 s[8:9], -1, v38
	v_cndmask_b32_e64 v38, -1, v51, s[8:9]
	v_cmp_lt_i32_e64 s[8:9], -1, v49
	v_cndmask_b32_e64 v49, -1, v51, s[8:9]
	s_mov_b32 s8, 0x5040100
	v_perm_b32 v38, v49, v38, s8
	v_xor_b32_e32 v38, v38, v50
	v_cmp_le_u16_sdwa s[8:9], v38, v38 src0_sel:DWORD src1_sel:WORD_1
	s_and_b64 s[24:25], s[8:9], exec
.LBB2069_130:
	s_or_b64 exec, exec, s[22:23]
	s_orn2_b64 s[22:23], s[24:25], exec
.LBB2069_131:
	s_or_b64 exec, exec, s[20:21]
	v_cndmask_b32_e64 v18, v18, v37, s[22:23]
	v_lshlrev_b64 v[18:19], 3, v[18:19]
	v_add_co_u32_e64 v18, s[8:9], v4, v18
	v_addc_co_u32_e64 v19, s[8:9], v5, v19, s[8:9]
	flat_load_dwordx2 v[18:19], v[18:19] offset:2048
	v_cndmask_b32_e64 v35, v29, v35, s[10:11]
	v_cndmask_b32_e64 v29, v26, v28, s[18:19]
	;; [unrolled: 1-line block ×4, first 2 shown]
.LBB2069_132:
	s_or_b64 exec, exec, s[12:13]
	s_mov_b32 s18, 0x5040100
	v_perm_b32 v27, v36, v35, s18
	v_perm_b32 v26, v29, v37, s18
	v_and_b32_e32 v28, 0x1f0, v34
	; wave barrier
	flat_store_dwordx4 v[24:25], v[12:15] offset:2048
	flat_store_dwordx2 v[10:11], v[26:27]
	s_waitcnt vmcnt(0) lgkmcnt(0)
	flat_store_dwordx4 v[22:23], v[16:19] offset:16
	v_or_b32_e32 v26, 8, v28
	v_min_u32_e32 v38, v31, v26
	v_add_u32_e32 v26, 8, v38
	v_min_u32_e32 v39, v31, v26
	v_and_b32_e32 v26, 12, v34
	v_min_u32_e32 v48, v31, v26
	v_sub_u32_e32 v26, v38, v28
	v_sub_u32_e32 v27, v39, v38
	v_sub_u32_e64 v49, v48, v27 clamp
	v_min_u32_e32 v50, v48, v26
	v_cmp_lt_u32_e64 s[8:9], v49, v50
	; wave barrier
	s_and_saveexec_b64 s[10:11], s[8:9]
	s_cbranch_execz .LBB2069_144
; %bb.133:
	v_lshlrev_b32_e32 v26, 1, v28
	v_add_co_u32_e64 v51, s[8:9], v8, v26
	v_addc_co_u32_e64 v52, s[8:9], 0, v9, s[8:9]
	v_lshlrev_b32_e32 v26, 1, v38
	v_add_co_u32_e64 v53, s[8:9], v8, v26
	v_addc_co_u32_e64 v54, s[8:9], 0, v9, s[8:9]
	s_mov_b64 s[12:13], 0
	s_mov_b32 s19, 0x7f800000
	s_movk_i32 s20, 0x7fff
	s_mov_b32 s21, 0x7060302
	v_mov_b32_e32 v27, 0
	v_mov_b32_e32 v55, 0xffff8000
	s_branch .LBB2069_135
.LBB2069_134:                           ;   in Loop: Header=BB2069_135 Depth=1
	s_or_b64 exec, exec, s[14:15]
	v_cmp_lt_i32_e64 s[8:9], -1, v26
	v_perm_b32 v66, v65, v26, s21
	v_cndmask_b32_e64 v26, -1, v55, s[8:9]
	v_cmp_lt_i32_e64 s[8:9], -1, v65
	v_cndmask_b32_e64 v65, -1, v55, s[8:9]
	v_perm_b32 v26, v65, v26, s18
	v_xor_b32_e32 v26, v26, v66
	v_add_u32_e32 v65, 1, v64
	v_cmp_gt_u16_sdwa s[8:9], v26, v26 src0_sel:DWORD src1_sel:WORD_1
	v_cndmask_b32_e64 v50, v50, v64, s[8:9]
	v_cndmask_b32_e64 v49, v65, v49, s[8:9]
	v_cmp_ge_u32_e64 s[8:9], v49, v50
	s_or_b64 s[12:13], s[8:9], s[12:13]
	s_andn2_b64 exec, exec, s[12:13]
	s_cbranch_execz .LBB2069_143
.LBB2069_135:                           ; =>This Inner Loop Header: Depth=1
	v_add_u32_e32 v65, v50, v49
	v_lshrrev_b32_e32 v64, 1, v65
	v_and_b32_e32 v65, -2, v65
	v_add_co_u32_e64 v66, s[8:9], v51, v65
	v_xad_u32 v26, v64, -1, v48
	v_addc_co_u32_e64 v67, s[8:9], 0, v52, s[8:9]
	v_lshlrev_b64 v[68:69], 1, v[26:27]
	flat_load_ushort v26, v[66:67]
	v_add_co_u32_e64 v66, s[8:9], v53, v68
	v_addc_co_u32_e64 v67, s[8:9], v54, v69, s[8:9]
	flat_load_ushort v65, v[66:67]
	s_waitcnt vmcnt(0) lgkmcnt(0)
	v_lshlrev_b32_e32 v26, 16, v26
	v_add_f32_e32 v66, 0, v26
	v_and_b32_e32 v26, 0x7f800000, v66
	v_cmp_ne_u32_e64 s[8:9], s19, v26
                                        ; implicit-def: $vgpr26
	s_and_saveexec_b64 s[14:15], s[8:9]
	s_xor_b64 s[8:9], exec, s[14:15]
; %bb.136:                              ;   in Loop: Header=BB2069_135 Depth=1
	v_bfe_u32 v26, v66, 16, 1
	v_add3_u32 v26, v66, v26, s20
                                        ; implicit-def: $vgpr66
; %bb.137:                              ;   in Loop: Header=BB2069_135 Depth=1
	s_andn2_saveexec_b64 s[14:15], s[8:9]
; %bb.138:                              ;   in Loop: Header=BB2069_135 Depth=1
	v_or_b32_e32 v26, 0x10000, v66
	v_cmp_eq_u32_sdwa s[8:9], v66, v27 src0_sel:WORD_0 src1_sel:DWORD
	v_cndmask_b32_e64 v26, v26, v66, s[8:9]
; %bb.139:                              ;   in Loop: Header=BB2069_135 Depth=1
	s_or_b64 exec, exec, s[14:15]
	v_lshlrev_b32_e32 v65, 16, v65
	v_add_f32_e32 v66, 0, v65
	v_and_b32_e32 v65, 0x7f800000, v66
	v_cmp_ne_u32_e64 s[8:9], s19, v65
                                        ; implicit-def: $vgpr65
	s_and_saveexec_b64 s[14:15], s[8:9]
	s_xor_b64 s[8:9], exec, s[14:15]
; %bb.140:                              ;   in Loop: Header=BB2069_135 Depth=1
	v_bfe_u32 v65, v66, 16, 1
	v_add3_u32 v65, v66, v65, s20
                                        ; implicit-def: $vgpr66
; %bb.141:                              ;   in Loop: Header=BB2069_135 Depth=1
	s_andn2_saveexec_b64 s[14:15], s[8:9]
	s_cbranch_execz .LBB2069_134
; %bb.142:                              ;   in Loop: Header=BB2069_135 Depth=1
	v_or_b32_e32 v65, 0x10000, v66
	v_cmp_eq_u32_sdwa s[8:9], v66, v27 src0_sel:WORD_0 src1_sel:DWORD
	v_cndmask_b32_e64 v65, v65, v66, s[8:9]
	s_branch .LBB2069_134
.LBB2069_143:
	s_or_b64 exec, exec, s[12:13]
.LBB2069_144:
	s_or_b64 exec, exec, s[10:11]
	v_add_u32_e32 v27, v38, v48
	v_add_u32_e32 v26, v49, v28
	v_sub_u32_e32 v28, v27, v49
	v_cmp_le_u32_e64 s[8:9], v26, v38
	v_cmp_le_u32_e64 s[10:11], v28, v39
	s_or_b64 s[8:9], s[8:9], s[10:11]
	s_and_saveexec_b64 s[12:13], s[8:9]
	s_cbranch_execz .LBB2069_196
; %bb.145:
	v_cmp_ge_u32_e64 s[8:9], v26, v38
	v_cmp_lt_u32_e64 s[10:11], v26, v38
                                        ; implicit-def: $vgpr27
	s_and_saveexec_b64 s[14:15], s[10:11]
	s_cbranch_execz .LBB2069_147
; %bb.146:
	v_mov_b32_e32 v27, 0
	v_lshlrev_b64 v[12:13], 1, v[26:27]
	v_add_co_u32_e64 v12, s[10:11], v8, v12
	v_addc_co_u32_e64 v13, s[10:11], v9, v13, s[10:11]
	flat_load_ushort v27, v[12:13]
.LBB2069_147:
	s_or_b64 exec, exec, s[14:15]
	v_cmp_ge_u32_e64 s[14:15], v28, v39
	v_cmp_lt_u32_e64 s[10:11], v28, v39
                                        ; implicit-def: $vgpr36
	s_and_saveexec_b64 s[18:19], s[10:11]
	s_cbranch_execz .LBB2069_149
; %bb.148:
	v_mov_b32_e32 v29, 0
	v_lshlrev_b64 v[12:13], 1, v[28:29]
	v_add_co_u32_e64 v12, s[10:11], v8, v12
	v_addc_co_u32_e64 v13, s[10:11], v9, v13, s[10:11]
	flat_load_ushort v36, v[12:13]
.LBB2069_149:
	s_or_b64 exec, exec, s[18:19]
	s_or_b64 s[8:9], s[8:9], s[14:15]
	s_xor_b64 s[8:9], s[8:9], -1
	s_and_saveexec_b64 s[10:11], s[8:9]
	s_cbranch_execz .LBB2069_159
; %bb.150:
	s_waitcnt vmcnt(0) lgkmcnt(0)
	v_lshlrev_b32_e32 v12, 16, v27
	v_add_f32_e32 v13, 0, v12
	s_mov_b32 s8, 0x7f800000
	v_and_b32_e32 v12, 0x7f800000, v13
	v_cmp_ne_u32_e64 s[8:9], s8, v12
                                        ; implicit-def: $vgpr12
	s_and_saveexec_b64 s[18:19], s[8:9]
	s_xor_b64 s[8:9], exec, s[18:19]
; %bb.151:
	v_bfe_u32 v12, v13, 16, 1
	s_movk_i32 s18, 0x7fff
	v_add3_u32 v12, v13, v12, s18
                                        ; implicit-def: $vgpr13
; %bb.152:
	s_andn2_saveexec_b64 s[18:19], s[8:9]
; %bb.153:
	v_mov_b32_e32 v12, 0
	v_or_b32_e32 v14, 0x10000, v13
	v_cmp_eq_u32_sdwa s[8:9], v13, v12 src0_sel:WORD_0 src1_sel:DWORD
	v_cndmask_b32_e64 v12, v14, v13, s[8:9]
; %bb.154:
	s_or_b64 exec, exec, s[18:19]
	v_lshlrev_b32_e32 v13, 16, v36
	v_add_f32_e32 v14, 0, v13
	s_mov_b32 s8, 0x7f800000
	v_and_b32_e32 v13, 0x7f800000, v14
	v_cmp_ne_u32_e64 s[8:9], s8, v13
                                        ; implicit-def: $vgpr13
	s_and_saveexec_b64 s[18:19], s[8:9]
	s_xor_b64 s[8:9], exec, s[18:19]
; %bb.155:
	v_bfe_u32 v13, v14, 16, 1
	s_movk_i32 s18, 0x7fff
	v_add3_u32 v13, v14, v13, s18
                                        ; implicit-def: $vgpr14
; %bb.156:
	s_andn2_saveexec_b64 s[18:19], s[8:9]
; %bb.157:
	v_mov_b32_e32 v13, 0
	v_or_b32_e32 v15, 0x10000, v14
	v_cmp_eq_u32_sdwa s[8:9], v14, v13 src0_sel:WORD_0 src1_sel:DWORD
	v_cndmask_b32_e64 v13, v15, v14, s[8:9]
; %bb.158:
	s_or_b64 exec, exec, s[18:19]
	s_mov_b32 s8, 0x7060302
	v_perm_b32 v14, v13, v12, s8
	v_mov_b32_e32 v15, 0xffff8000
	v_cmp_lt_i32_e64 s[8:9], -1, v12
	v_cndmask_b32_e64 v12, -1, v15, s[8:9]
	v_cmp_lt_i32_e64 s[8:9], -1, v13
	v_cndmask_b32_e64 v13, -1, v15, s[8:9]
	s_mov_b32 s8, 0x5040100
	v_perm_b32 v12, v13, v12, s8
	v_xor_b32_e32 v12, v12, v14
	v_cmp_le_u16_sdwa s[8:9], v12, v12 src0_sel:DWORD src1_sel:WORD_1
	s_andn2_b64 s[14:15], s[14:15], exec
	s_and_b64 s[8:9], s[8:9], exec
	s_or_b64 s[14:15], s[14:15], s[8:9]
.LBB2069_159:
	s_or_b64 exec, exec, s[10:11]
	v_cndmask_b32_e64 v14, v28, v26, s[14:15]
	v_cndmask_b32_e64 v16, v39, v38, s[14:15]
	v_mov_b32_e32 v15, 0
	v_lshlrev_b64 v[12:13], 3, v[14:15]
	v_add_u32_e32 v18, 1, v14
	v_add_u32_e32 v14, -1, v16
	v_min_u32_e32 v14, v18, v14
	v_lshlrev_b64 v[16:17], 1, v[14:15]
	v_add_co_u32_e64 v16, s[8:9], v8, v16
	v_addc_co_u32_e64 v17, s[8:9], v9, v17, s[8:9]
	v_add_co_u32_e64 v12, s[8:9], v4, v12
	flat_load_ushort v14, v[16:17]
	v_addc_co_u32_e64 v13, s[8:9], v5, v13, s[8:9]
	flat_load_dwordx2 v[12:13], v[12:13] offset:2048
	v_cndmask_b32_e64 v16, v18, v28, s[14:15]
	s_mov_b64 s[10:11], -1
	v_cndmask_b32_e64 v17, v26, v18, s[14:15]
	v_cmp_lt_u32_e64 s[8:9], v16, v39
	s_mov_b64 s[18:19], -1
	s_waitcnt vmcnt(0) lgkmcnt(0)
	v_cndmask_b32_e64 v26, v14, v36, s[14:15]
	v_cndmask_b32_e64 v28, v27, v14, s[14:15]
	s_and_saveexec_b64 s[20:21], s[8:9]
	s_cbranch_execz .LBB2069_171
; %bb.160:
	v_cmp_lt_u32_e64 s[8:9], v17, v38
	s_mov_b64 s[22:23], 0
	s_and_saveexec_b64 s[18:19], s[8:9]
	s_cbranch_execz .LBB2069_170
; %bb.161:
	v_lshlrev_b32_e32 v14, 16, v28
	v_add_f32_e32 v18, 0, v14
	s_mov_b32 s8, 0x7f800000
	v_and_b32_e32 v14, 0x7f800000, v18
	v_cmp_ne_u32_e64 s[8:9], s8, v14
                                        ; implicit-def: $vgpr14
	s_and_saveexec_b64 s[22:23], s[8:9]
	s_xor_b64 s[8:9], exec, s[22:23]
; %bb.162:
	v_bfe_u32 v14, v18, 16, 1
	s_movk_i32 s22, 0x7fff
	v_add3_u32 v14, v18, v14, s22
                                        ; implicit-def: $vgpr18
; %bb.163:
	s_andn2_saveexec_b64 s[22:23], s[8:9]
; %bb.164:
	v_mov_b32_e32 v14, 0
	v_or_b32_e32 v19, 0x10000, v18
	v_cmp_eq_u32_sdwa s[8:9], v18, v14 src0_sel:WORD_0 src1_sel:DWORD
	v_cndmask_b32_e64 v14, v19, v18, s[8:9]
; %bb.165:
	s_or_b64 exec, exec, s[22:23]
	v_lshlrev_b32_e32 v18, 16, v26
	v_add_f32_e32 v19, 0, v18
	s_mov_b32 s8, 0x7f800000
	v_and_b32_e32 v18, 0x7f800000, v19
	v_cmp_ne_u32_e64 s[8:9], s8, v18
                                        ; implicit-def: $vgpr18
	s_and_saveexec_b64 s[22:23], s[8:9]
	s_xor_b64 s[8:9], exec, s[22:23]
; %bb.166:
	v_bfe_u32 v18, v19, 16, 1
	s_movk_i32 s22, 0x7fff
	v_add3_u32 v18, v19, v18, s22
                                        ; implicit-def: $vgpr19
; %bb.167:
	s_andn2_saveexec_b64 s[22:23], s[8:9]
; %bb.168:
	v_mov_b32_e32 v18, 0
	v_or_b32_e32 v29, 0x10000, v19
	v_cmp_eq_u32_sdwa s[8:9], v19, v18 src0_sel:WORD_0 src1_sel:DWORD
	v_cndmask_b32_e64 v18, v29, v19, s[8:9]
; %bb.169:
	s_or_b64 exec, exec, s[22:23]
	s_mov_b32 s8, 0x7060302
	v_perm_b32 v19, v18, v14, s8
	v_mov_b32_e32 v29, 0xffff8000
	v_cmp_lt_i32_e64 s[8:9], -1, v14
	v_cndmask_b32_e64 v14, -1, v29, s[8:9]
	v_cmp_lt_i32_e64 s[8:9], -1, v18
	v_cndmask_b32_e64 v18, -1, v29, s[8:9]
	s_mov_b32 s8, 0x5040100
	v_perm_b32 v14, v18, v14, s8
	v_xor_b32_e32 v14, v14, v19
	v_cmp_le_u16_sdwa s[8:9], v14, v14 src0_sel:DWORD src1_sel:WORD_1
	s_and_b64 s[22:23], s[8:9], exec
.LBB2069_170:
	s_or_b64 exec, exec, s[18:19]
	s_orn2_b64 s[18:19], s[22:23], exec
.LBB2069_171:
	s_or_b64 exec, exec, s[20:21]
	v_cndmask_b32_e64 v14, v16, v17, s[18:19]
	v_cndmask_b32_e64 v29, v39, v38, s[18:19]
	v_lshlrev_b64 v[18:19], 3, v[14:15]
	v_add_u32_e32 v35, 1, v14
	v_add_u32_e32 v14, -1, v29
	v_min_u32_e32 v14, v35, v14
	v_lshlrev_b64 v[14:15], 1, v[14:15]
	v_add_co_u32_e64 v14, s[8:9], v8, v14
	v_addc_co_u32_e64 v15, s[8:9], v9, v15, s[8:9]
	flat_load_ushort v49, v[14:15]
	v_add_co_u32_e64 v14, s[8:9], v4, v18
	v_addc_co_u32_e64 v15, s[8:9], v5, v19, s[8:9]
	flat_load_dwordx2 v[14:15], v[14:15] offset:2048
	v_cndmask_b32_e64 v37, v35, v16, s[18:19]
	v_cndmask_b32_e64 v48, v17, v35, s[18:19]
	v_cmp_lt_u32_e64 s[8:9], v37, v39
	s_waitcnt vmcnt(0) lgkmcnt(0)
	v_cndmask_b32_e64 v29, v49, v26, s[18:19]
	v_cndmask_b32_e64 v35, v28, v49, s[18:19]
	s_and_saveexec_b64 s[20:21], s[8:9]
	s_cbranch_execz .LBB2069_183
; %bb.172:
	v_cmp_lt_u32_e64 s[8:9], v48, v38
	s_mov_b64 s[22:23], 0
	s_and_saveexec_b64 s[10:11], s[8:9]
	s_cbranch_execz .LBB2069_182
; %bb.173:
	v_lshlrev_b32_e32 v16, 16, v35
	v_add_f32_e32 v17, 0, v16
	s_mov_b32 s8, 0x7f800000
	v_and_b32_e32 v16, 0x7f800000, v17
	v_cmp_ne_u32_e64 s[8:9], s8, v16
                                        ; implicit-def: $vgpr16
	s_and_saveexec_b64 s[22:23], s[8:9]
	s_xor_b64 s[8:9], exec, s[22:23]
; %bb.174:
	v_bfe_u32 v16, v17, 16, 1
	s_movk_i32 s22, 0x7fff
	v_add3_u32 v16, v17, v16, s22
                                        ; implicit-def: $vgpr17
; %bb.175:
	s_andn2_saveexec_b64 s[22:23], s[8:9]
; %bb.176:
	v_mov_b32_e32 v16, 0
	v_or_b32_e32 v18, 0x10000, v17
	v_cmp_eq_u32_sdwa s[8:9], v17, v16 src0_sel:WORD_0 src1_sel:DWORD
	v_cndmask_b32_e64 v16, v18, v17, s[8:9]
; %bb.177:
	s_or_b64 exec, exec, s[22:23]
	v_lshlrev_b32_e32 v17, 16, v29
	v_add_f32_e32 v18, 0, v17
	s_mov_b32 s8, 0x7f800000
	v_and_b32_e32 v17, 0x7f800000, v18
	v_cmp_ne_u32_e64 s[8:9], s8, v17
                                        ; implicit-def: $vgpr17
	s_and_saveexec_b64 s[22:23], s[8:9]
	s_xor_b64 s[8:9], exec, s[22:23]
; %bb.178:
	v_bfe_u32 v17, v18, 16, 1
	s_movk_i32 s22, 0x7fff
	v_add3_u32 v17, v18, v17, s22
                                        ; implicit-def: $vgpr18
; %bb.179:
	s_andn2_saveexec_b64 s[22:23], s[8:9]
; %bb.180:
	v_mov_b32_e32 v17, 0
	v_or_b32_e32 v19, 0x10000, v18
	v_cmp_eq_u32_sdwa s[8:9], v18, v17 src0_sel:WORD_0 src1_sel:DWORD
	v_cndmask_b32_e64 v17, v19, v18, s[8:9]
; %bb.181:
	s_or_b64 exec, exec, s[22:23]
	s_mov_b32 s8, 0x7060302
	v_perm_b32 v18, v17, v16, s8
	v_mov_b32_e32 v19, 0xffff8000
	v_cmp_lt_i32_e64 s[8:9], -1, v16
	v_cndmask_b32_e64 v16, -1, v19, s[8:9]
	v_cmp_lt_i32_e64 s[8:9], -1, v17
	v_cndmask_b32_e64 v17, -1, v19, s[8:9]
	s_mov_b32 s8, 0x5040100
	v_perm_b32 v16, v17, v16, s8
	v_xor_b32_e32 v16, v16, v18
	v_cmp_le_u16_sdwa s[8:9], v16, v16 src0_sel:DWORD src1_sel:WORD_1
	s_and_b64 s[22:23], s[8:9], exec
.LBB2069_182:
	s_or_b64 exec, exec, s[10:11]
	s_orn2_b64 s[10:11], s[22:23], exec
.LBB2069_183:
	s_or_b64 exec, exec, s[20:21]
	v_cndmask_b32_e64 v18, v37, v48, s[10:11]
	v_cndmask_b32_e64 v49, v39, v38, s[10:11]
	v_mov_b32_e32 v19, 0
	v_lshlrev_b64 v[16:17], 3, v[18:19]
	v_add_u32_e32 v52, 1, v18
	v_add_u32_e32 v18, -1, v49
	v_min_u32_e32 v18, v52, v18
	v_lshlrev_b64 v[50:51], 1, v[18:19]
	v_add_co_u32_e64 v50, s[8:9], v8, v50
	v_addc_co_u32_e64 v51, s[8:9], v9, v51, s[8:9]
	v_add_co_u32_e64 v16, s[8:9], v4, v16
	flat_load_ushort v49, v[50:51]
	v_addc_co_u32_e64 v17, s[8:9], v5, v17, s[8:9]
	flat_load_dwordx2 v[16:17], v[16:17] offset:2048
	v_cndmask_b32_e64 v18, v52, v37, s[10:11]
	v_cndmask_b32_e64 v37, v48, v52, s[10:11]
	v_cmp_lt_u32_e64 s[8:9], v18, v39
	s_mov_b64 s[22:23], -1
	s_waitcnt vmcnt(0) lgkmcnt(0)
	v_cndmask_b32_e64 v39, v49, v29, s[10:11]
	v_cndmask_b32_e64 v48, v35, v49, s[10:11]
	s_and_saveexec_b64 s[20:21], s[8:9]
	s_cbranch_execz .LBB2069_195
; %bb.184:
	v_cmp_lt_u32_e64 s[8:9], v37, v38
	s_mov_b64 s[24:25], 0
	s_and_saveexec_b64 s[22:23], s[8:9]
	s_cbranch_execz .LBB2069_194
; %bb.185:
	v_lshlrev_b32_e32 v38, 16, v48
	v_add_f32_e32 v49, 0, v38
	s_mov_b32 s8, 0x7f800000
	v_and_b32_e32 v38, 0x7f800000, v49
	v_cmp_ne_u32_e64 s[8:9], s8, v38
                                        ; implicit-def: $vgpr38
	s_and_saveexec_b64 s[24:25], s[8:9]
	s_xor_b64 s[8:9], exec, s[24:25]
; %bb.186:
	v_bfe_u32 v38, v49, 16, 1
	s_movk_i32 s24, 0x7fff
	v_add3_u32 v38, v49, v38, s24
                                        ; implicit-def: $vgpr49
; %bb.187:
	s_andn2_saveexec_b64 s[24:25], s[8:9]
; %bb.188:
	v_mov_b32_e32 v38, 0
	v_or_b32_e32 v50, 0x10000, v49
	v_cmp_eq_u32_sdwa s[8:9], v49, v38 src0_sel:WORD_0 src1_sel:DWORD
	v_cndmask_b32_e64 v38, v50, v49, s[8:9]
; %bb.189:
	s_or_b64 exec, exec, s[24:25]
	v_lshlrev_b32_e32 v49, 16, v39
	v_add_f32_e32 v50, 0, v49
	s_mov_b32 s8, 0x7f800000
	v_and_b32_e32 v49, 0x7f800000, v50
	v_cmp_ne_u32_e64 s[8:9], s8, v49
                                        ; implicit-def: $vgpr49
	s_and_saveexec_b64 s[24:25], s[8:9]
	s_xor_b64 s[8:9], exec, s[24:25]
; %bb.190:
	v_bfe_u32 v49, v50, 16, 1
	s_movk_i32 s24, 0x7fff
	v_add3_u32 v49, v50, v49, s24
                                        ; implicit-def: $vgpr50
; %bb.191:
	s_andn2_saveexec_b64 s[24:25], s[8:9]
; %bb.192:
	v_mov_b32_e32 v49, 0
	v_or_b32_e32 v51, 0x10000, v50
	v_cmp_eq_u32_sdwa s[8:9], v50, v49 src0_sel:WORD_0 src1_sel:DWORD
	v_cndmask_b32_e64 v49, v51, v50, s[8:9]
; %bb.193:
	s_or_b64 exec, exec, s[24:25]
	s_mov_b32 s8, 0x7060302
	v_perm_b32 v50, v49, v38, s8
	v_mov_b32_e32 v51, 0xffff8000
	v_cmp_lt_i32_e64 s[8:9], -1, v38
	v_cndmask_b32_e64 v38, -1, v51, s[8:9]
	v_cmp_lt_i32_e64 s[8:9], -1, v49
	v_cndmask_b32_e64 v49, -1, v51, s[8:9]
	s_mov_b32 s8, 0x5040100
	v_perm_b32 v38, v49, v38, s8
	v_xor_b32_e32 v38, v38, v50
	v_cmp_le_u16_sdwa s[8:9], v38, v38 src0_sel:DWORD src1_sel:WORD_1
	s_and_b64 s[24:25], s[8:9], exec
.LBB2069_194:
	s_or_b64 exec, exec, s[22:23]
	s_orn2_b64 s[22:23], s[24:25], exec
.LBB2069_195:
	s_or_b64 exec, exec, s[20:21]
	v_cndmask_b32_e64 v18, v18, v37, s[22:23]
	v_lshlrev_b64 v[18:19], 3, v[18:19]
	v_add_co_u32_e64 v18, s[8:9], v4, v18
	v_addc_co_u32_e64 v19, s[8:9], v5, v19, s[8:9]
	flat_load_dwordx2 v[18:19], v[18:19] offset:2048
	v_cndmask_b32_e64 v35, v29, v35, s[10:11]
	v_cndmask_b32_e64 v29, v26, v28, s[18:19]
	;; [unrolled: 1-line block ×4, first 2 shown]
.LBB2069_196:
	s_or_b64 exec, exec, s[12:13]
	s_mov_b32 s18, 0x5040100
	; wave barrier
	flat_store_dwordx4 v[24:25], v[12:15] offset:2048
	v_perm_b32 v25, v36, v35, s18
	v_perm_b32 v24, v29, v37, s18
	flat_store_dwordx2 v[10:11], v[24:25]
	s_waitcnt vmcnt(0) lgkmcnt(0)
	flat_store_dwordx4 v[22:23], v[16:19] offset:16
	v_and_b32_e32 v22, 0x1e0, v34
	v_or_b32_e32 v10, 16, v22
	v_min_u32_e32 v24, v31, v10
	v_add_u32_e32 v10, 16, v24
	v_min_u32_e32 v25, v31, v10
	v_min_u32_e32 v23, v31, v33
	v_sub_u32_e32 v10, v24, v22
	v_sub_u32_e32 v11, v25, v24
	v_sub_u32_e64 v26, v23, v11 clamp
	v_min_u32_e32 v27, v23, v10
	v_cmp_lt_u32_e64 s[8:9], v26, v27
	; wave barrier
	s_and_saveexec_b64 s[10:11], s[8:9]
	s_cbranch_execz .LBB2069_208
; %bb.197:
	v_lshlrev_b32_e32 v10, 1, v22
	v_add_co_u32_e64 v28, s[8:9], v8, v10
	v_addc_co_u32_e64 v31, s[8:9], 0, v9, s[8:9]
	v_lshlrev_b32_e32 v10, 1, v24
	v_add_co_u32_e64 v33, s[8:9], v8, v10
	v_addc_co_u32_e64 v34, s[8:9], 0, v9, s[8:9]
	s_mov_b64 s[12:13], 0
	s_mov_b32 s19, 0x7f800000
	s_movk_i32 s20, 0x7fff
	s_mov_b32 s21, 0x7060302
	v_mov_b32_e32 v11, 0
	v_mov_b32_e32 v38, 0xffff8000
	s_branch .LBB2069_199
.LBB2069_198:                           ;   in Loop: Header=BB2069_199 Depth=1
	s_or_b64 exec, exec, s[14:15]
	v_cmp_lt_i32_e64 s[8:9], -1, v10
	v_perm_b32 v49, v48, v10, s21
	v_cndmask_b32_e64 v10, -1, v38, s[8:9]
	v_cmp_lt_i32_e64 s[8:9], -1, v48
	v_cndmask_b32_e64 v48, -1, v38, s[8:9]
	v_perm_b32 v10, v48, v10, s18
	v_xor_b32_e32 v10, v10, v49
	v_add_u32_e32 v48, 1, v39
	v_cmp_gt_u16_sdwa s[8:9], v10, v10 src0_sel:DWORD src1_sel:WORD_1
	v_cndmask_b32_e64 v27, v27, v39, s[8:9]
	v_cndmask_b32_e64 v26, v48, v26, s[8:9]
	v_cmp_ge_u32_e64 s[8:9], v26, v27
	s_or_b64 s[12:13], s[8:9], s[12:13]
	s_andn2_b64 exec, exec, s[12:13]
	s_cbranch_execz .LBB2069_207
.LBB2069_199:                           ; =>This Inner Loop Header: Depth=1
	v_add_u32_e32 v48, v27, v26
	v_lshrrev_b32_e32 v39, 1, v48
	v_and_b32_e32 v48, -2, v48
	v_add_co_u32_e64 v48, s[8:9], v28, v48
	v_xad_u32 v10, v39, -1, v23
	v_addc_co_u32_e64 v49, s[8:9], 0, v31, s[8:9]
	v_lshlrev_b64 v[50:51], 1, v[10:11]
	flat_load_ushort v10, v[48:49]
	v_add_co_u32_e64 v48, s[8:9], v33, v50
	v_addc_co_u32_e64 v49, s[8:9], v34, v51, s[8:9]
	flat_load_ushort v48, v[48:49]
	s_waitcnt vmcnt(0) lgkmcnt(0)
	v_lshlrev_b32_e32 v10, 16, v10
	v_add_f32_e32 v49, 0, v10
	v_and_b32_e32 v10, 0x7f800000, v49
	v_cmp_ne_u32_e64 s[8:9], s19, v10
                                        ; implicit-def: $vgpr10
	s_and_saveexec_b64 s[14:15], s[8:9]
	s_xor_b64 s[8:9], exec, s[14:15]
; %bb.200:                              ;   in Loop: Header=BB2069_199 Depth=1
	v_bfe_u32 v10, v49, 16, 1
	v_add3_u32 v10, v49, v10, s20
                                        ; implicit-def: $vgpr49
; %bb.201:                              ;   in Loop: Header=BB2069_199 Depth=1
	s_andn2_saveexec_b64 s[14:15], s[8:9]
; %bb.202:                              ;   in Loop: Header=BB2069_199 Depth=1
	v_or_b32_e32 v10, 0x10000, v49
	v_cmp_eq_u32_sdwa s[8:9], v49, v11 src0_sel:WORD_0 src1_sel:DWORD
	v_cndmask_b32_e64 v10, v10, v49, s[8:9]
; %bb.203:                              ;   in Loop: Header=BB2069_199 Depth=1
	s_or_b64 exec, exec, s[14:15]
	v_lshlrev_b32_e32 v48, 16, v48
	v_add_f32_e32 v49, 0, v48
	v_and_b32_e32 v48, 0x7f800000, v49
	v_cmp_ne_u32_e64 s[8:9], s19, v48
                                        ; implicit-def: $vgpr48
	s_and_saveexec_b64 s[14:15], s[8:9]
	s_xor_b64 s[8:9], exec, s[14:15]
; %bb.204:                              ;   in Loop: Header=BB2069_199 Depth=1
	v_bfe_u32 v48, v49, 16, 1
	v_add3_u32 v48, v49, v48, s20
                                        ; implicit-def: $vgpr49
; %bb.205:                              ;   in Loop: Header=BB2069_199 Depth=1
	s_andn2_saveexec_b64 s[14:15], s[8:9]
	s_cbranch_execz .LBB2069_198
; %bb.206:                              ;   in Loop: Header=BB2069_199 Depth=1
	v_or_b32_e32 v48, 0x10000, v49
	v_cmp_eq_u32_sdwa s[8:9], v49, v11 src0_sel:WORD_0 src1_sel:DWORD
	v_cndmask_b32_e64 v48, v48, v49, s[8:9]
	s_branch .LBB2069_198
.LBB2069_207:
	s_or_b64 exec, exec, s[12:13]
.LBB2069_208:
	s_or_b64 exec, exec, s[10:11]
	v_add_u32_e32 v11, v24, v23
	v_add_u32_e32 v10, v26, v22
	v_sub_u32_e32 v22, v11, v26
	v_cmp_le_u32_e64 s[8:9], v10, v24
	v_cmp_le_u32_e64 s[10:11], v22, v25
	s_or_b64 s[8:9], s[8:9], s[10:11]
	s_and_saveexec_b64 s[12:13], s[8:9]
	s_cbranch_execz .LBB2069_260
; %bb.209:
	v_cmp_ge_u32_e64 s[8:9], v10, v24
	v_cmp_lt_u32_e64 s[10:11], v10, v24
                                        ; implicit-def: $vgpr26
	s_and_saveexec_b64 s[14:15], s[10:11]
	s_cbranch_execz .LBB2069_211
; %bb.210:
	v_mov_b32_e32 v11, 0
	v_lshlrev_b64 v[12:13], 1, v[10:11]
	v_add_co_u32_e64 v12, s[10:11], v8, v12
	v_addc_co_u32_e64 v13, s[10:11], v9, v13, s[10:11]
	flat_load_ushort v26, v[12:13]
.LBB2069_211:
	s_or_b64 exec, exec, s[14:15]
	v_cmp_ge_u32_e64 s[14:15], v22, v25
	v_cmp_lt_u32_e64 s[10:11], v22, v25
                                        ; implicit-def: $vgpr23
	s_and_saveexec_b64 s[18:19], s[10:11]
	s_cbranch_execz .LBB2069_213
; %bb.212:
	v_mov_b32_e32 v23, 0
	v_lshlrev_b64 v[12:13], 1, v[22:23]
	v_add_co_u32_e64 v12, s[10:11], v8, v12
	v_addc_co_u32_e64 v13, s[10:11], v9, v13, s[10:11]
	flat_load_ushort v23, v[12:13]
.LBB2069_213:
	s_or_b64 exec, exec, s[18:19]
	s_or_b64 s[8:9], s[8:9], s[14:15]
	s_xor_b64 s[8:9], s[8:9], -1
	s_and_saveexec_b64 s[10:11], s[8:9]
	s_cbranch_execz .LBB2069_223
; %bb.214:
	s_waitcnt vmcnt(0) lgkmcnt(0)
	v_lshlrev_b32_e32 v11, 16, v26
	v_add_f32_e32 v12, 0, v11
	s_mov_b32 s8, 0x7f800000
	v_and_b32_e32 v11, 0x7f800000, v12
	v_cmp_ne_u32_e64 s[8:9], s8, v11
                                        ; implicit-def: $vgpr11
	s_and_saveexec_b64 s[18:19], s[8:9]
	s_xor_b64 s[8:9], exec, s[18:19]
; %bb.215:
	v_bfe_u32 v11, v12, 16, 1
	s_movk_i32 s18, 0x7fff
	v_add3_u32 v11, v12, v11, s18
                                        ; implicit-def: $vgpr12
; %bb.216:
	s_andn2_saveexec_b64 s[18:19], s[8:9]
; %bb.217:
	v_mov_b32_e32 v11, 0
	v_or_b32_e32 v13, 0x10000, v12
	v_cmp_eq_u32_sdwa s[8:9], v12, v11 src0_sel:WORD_0 src1_sel:DWORD
	v_cndmask_b32_e64 v11, v13, v12, s[8:9]
; %bb.218:
	s_or_b64 exec, exec, s[18:19]
	v_lshlrev_b32_e32 v12, 16, v23
	v_add_f32_e32 v13, 0, v12
	s_mov_b32 s8, 0x7f800000
	v_and_b32_e32 v12, 0x7f800000, v13
	v_cmp_ne_u32_e64 s[8:9], s8, v12
                                        ; implicit-def: $vgpr12
	s_and_saveexec_b64 s[18:19], s[8:9]
	s_xor_b64 s[8:9], exec, s[18:19]
; %bb.219:
	v_bfe_u32 v12, v13, 16, 1
	s_movk_i32 s18, 0x7fff
	v_add3_u32 v12, v13, v12, s18
                                        ; implicit-def: $vgpr13
; %bb.220:
	s_andn2_saveexec_b64 s[18:19], s[8:9]
; %bb.221:
	v_mov_b32_e32 v12, 0
	v_or_b32_e32 v14, 0x10000, v13
	v_cmp_eq_u32_sdwa s[8:9], v13, v12 src0_sel:WORD_0 src1_sel:DWORD
	v_cndmask_b32_e64 v12, v14, v13, s[8:9]
; %bb.222:
	s_or_b64 exec, exec, s[18:19]
	s_mov_b32 s8, 0x7060302
	v_perm_b32 v13, v12, v11, s8
	v_mov_b32_e32 v14, 0xffff8000
	v_cmp_lt_i32_e64 s[8:9], -1, v11
	v_cndmask_b32_e64 v11, -1, v14, s[8:9]
	v_cmp_lt_i32_e64 s[8:9], -1, v12
	v_cndmask_b32_e64 v12, -1, v14, s[8:9]
	s_mov_b32 s8, 0x5040100
	v_perm_b32 v11, v12, v11, s8
	v_xor_b32_e32 v11, v11, v13
	v_cmp_le_u16_sdwa s[8:9], v11, v11 src0_sel:DWORD src1_sel:WORD_1
	s_andn2_b64 s[14:15], s[14:15], exec
	s_and_b64 s[8:9], s[8:9], exec
	s_or_b64 s[14:15], s[14:15], s[8:9]
.LBB2069_223:
	s_or_b64 exec, exec, s[10:11]
	v_cndmask_b32_e64 v14, v22, v10, s[14:15]
	v_cndmask_b32_e64 v11, v25, v24, s[14:15]
	v_mov_b32_e32 v15, 0
	v_add_u32_e32 v18, 1, v14
	v_add_u32_e32 v11, -1, v11
	v_lshlrev_b64 v[12:13], 3, v[14:15]
	v_min_u32_e32 v14, v18, v11
	v_lshlrev_b64 v[16:17], 1, v[14:15]
	v_add_co_u32_e64 v16, s[8:9], v8, v16
	v_addc_co_u32_e64 v17, s[8:9], v9, v17, s[8:9]
	v_add_co_u32_e64 v12, s[8:9], v4, v12
	flat_load_ushort v14, v[16:17]
	v_addc_co_u32_e64 v13, s[8:9], v5, v13, s[8:9]
	flat_load_dwordx2 v[12:13], v[12:13] offset:2048
	v_cndmask_b32_e64 v11, v18, v22, s[14:15]
	s_mov_b64 s[10:11], -1
	v_cndmask_b32_e64 v10, v10, v18, s[14:15]
	v_cmp_lt_u32_e64 s[8:9], v11, v25
	s_mov_b64 s[18:19], -1
	s_waitcnt vmcnt(0) lgkmcnt(0)
	v_cndmask_b32_e64 v22, v14, v23, s[14:15]
	v_cndmask_b32_e64 v27, v26, v14, s[14:15]
	s_and_saveexec_b64 s[20:21], s[8:9]
	s_cbranch_execz .LBB2069_235
; %bb.224:
	v_cmp_lt_u32_e64 s[8:9], v10, v24
	s_mov_b64 s[22:23], 0
	s_and_saveexec_b64 s[18:19], s[8:9]
	s_cbranch_execz .LBB2069_234
; %bb.225:
	v_lshlrev_b32_e32 v14, 16, v27
	v_add_f32_e32 v16, 0, v14
	s_mov_b32 s8, 0x7f800000
	v_and_b32_e32 v14, 0x7f800000, v16
	v_cmp_ne_u32_e64 s[8:9], s8, v14
                                        ; implicit-def: $vgpr14
	s_and_saveexec_b64 s[22:23], s[8:9]
	s_xor_b64 s[8:9], exec, s[22:23]
; %bb.226:
	v_bfe_u32 v14, v16, 16, 1
	s_movk_i32 s22, 0x7fff
	v_add3_u32 v14, v16, v14, s22
                                        ; implicit-def: $vgpr16
; %bb.227:
	s_andn2_saveexec_b64 s[22:23], s[8:9]
; %bb.228:
	v_mov_b32_e32 v14, 0
	v_or_b32_e32 v17, 0x10000, v16
	v_cmp_eq_u32_sdwa s[8:9], v16, v14 src0_sel:WORD_0 src1_sel:DWORD
	v_cndmask_b32_e64 v14, v17, v16, s[8:9]
; %bb.229:
	s_or_b64 exec, exec, s[22:23]
	v_lshlrev_b32_e32 v16, 16, v22
	v_add_f32_e32 v17, 0, v16
	s_mov_b32 s8, 0x7f800000
	v_and_b32_e32 v16, 0x7f800000, v17
	v_cmp_ne_u32_e64 s[8:9], s8, v16
                                        ; implicit-def: $vgpr16
	s_and_saveexec_b64 s[22:23], s[8:9]
	s_xor_b64 s[8:9], exec, s[22:23]
; %bb.230:
	v_bfe_u32 v16, v17, 16, 1
	s_movk_i32 s22, 0x7fff
	v_add3_u32 v16, v17, v16, s22
                                        ; implicit-def: $vgpr17
; %bb.231:
	s_andn2_saveexec_b64 s[22:23], s[8:9]
; %bb.232:
	v_mov_b32_e32 v16, 0
	v_or_b32_e32 v18, 0x10000, v17
	v_cmp_eq_u32_sdwa s[8:9], v17, v16 src0_sel:WORD_0 src1_sel:DWORD
	v_cndmask_b32_e64 v16, v18, v17, s[8:9]
; %bb.233:
	s_or_b64 exec, exec, s[22:23]
	s_mov_b32 s8, 0x7060302
	v_perm_b32 v17, v16, v14, s8
	v_mov_b32_e32 v18, 0xffff8000
	v_cmp_lt_i32_e64 s[8:9], -1, v14
	v_cndmask_b32_e64 v14, -1, v18, s[8:9]
	v_cmp_lt_i32_e64 s[8:9], -1, v16
	v_cndmask_b32_e64 v16, -1, v18, s[8:9]
	s_mov_b32 s8, 0x5040100
	v_perm_b32 v14, v16, v14, s8
	v_xor_b32_e32 v14, v14, v17
	v_cmp_le_u16_sdwa s[8:9], v14, v14 src0_sel:DWORD src1_sel:WORD_1
	s_and_b64 s[22:23], s[8:9], exec
.LBB2069_234:
	s_or_b64 exec, exec, s[18:19]
	s_orn2_b64 s[18:19], s[22:23], exec
.LBB2069_235:
	s_or_b64 exec, exec, s[20:21]
	v_cndmask_b32_e64 v14, v11, v10, s[18:19]
	v_cndmask_b32_e64 v18, v25, v24, s[18:19]
	v_lshlrev_b64 v[16:17], 3, v[14:15]
	v_add_u32_e32 v19, 1, v14
	v_add_u32_e32 v14, -1, v18
	v_min_u32_e32 v14, v19, v14
	v_lshlrev_b64 v[14:15], 1, v[14:15]
	v_add_co_u32_e64 v14, s[8:9], v8, v14
	v_addc_co_u32_e64 v15, s[8:9], v9, v15, s[8:9]
	flat_load_ushort v29, v[14:15]
	v_add_co_u32_e64 v14, s[8:9], v4, v16
	v_addc_co_u32_e64 v15, s[8:9], v5, v17, s[8:9]
	flat_load_dwordx2 v[14:15], v[14:15] offset:2048
	v_cndmask_b32_e64 v18, v19, v11, s[18:19]
	v_cndmask_b32_e64 v19, v10, v19, s[18:19]
	v_cmp_lt_u32_e64 s[8:9], v18, v25
	s_waitcnt vmcnt(0) lgkmcnt(0)
	v_cndmask_b32_e64 v28, v29, v22, s[18:19]
	v_cndmask_b32_e64 v29, v27, v29, s[18:19]
	s_and_saveexec_b64 s[20:21], s[8:9]
	s_cbranch_execz .LBB2069_247
; %bb.236:
	v_cmp_lt_u32_e64 s[8:9], v19, v24
	s_mov_b64 s[22:23], 0
	s_and_saveexec_b64 s[10:11], s[8:9]
	s_cbranch_execz .LBB2069_246
; %bb.237:
	v_lshlrev_b32_e32 v10, 16, v29
	v_add_f32_e32 v11, 0, v10
	s_mov_b32 s8, 0x7f800000
	v_and_b32_e32 v10, 0x7f800000, v11
	v_cmp_ne_u32_e64 s[8:9], s8, v10
                                        ; implicit-def: $vgpr10
	s_and_saveexec_b64 s[22:23], s[8:9]
	s_xor_b64 s[8:9], exec, s[22:23]
; %bb.238:
	v_bfe_u32 v10, v11, 16, 1
	s_movk_i32 s22, 0x7fff
	v_add3_u32 v10, v11, v10, s22
                                        ; implicit-def: $vgpr11
; %bb.239:
	s_andn2_saveexec_b64 s[22:23], s[8:9]
; %bb.240:
	v_mov_b32_e32 v10, 0
	v_or_b32_e32 v16, 0x10000, v11
	v_cmp_eq_u32_sdwa s[8:9], v11, v10 src0_sel:WORD_0 src1_sel:DWORD
	v_cndmask_b32_e64 v10, v16, v11, s[8:9]
; %bb.241:
	s_or_b64 exec, exec, s[22:23]
	v_lshlrev_b32_e32 v11, 16, v28
	v_add_f32_e32 v16, 0, v11
	s_mov_b32 s8, 0x7f800000
	v_and_b32_e32 v11, 0x7f800000, v16
	v_cmp_ne_u32_e64 s[8:9], s8, v11
                                        ; implicit-def: $vgpr11
	s_and_saveexec_b64 s[22:23], s[8:9]
	s_xor_b64 s[8:9], exec, s[22:23]
; %bb.242:
	v_bfe_u32 v11, v16, 16, 1
	s_movk_i32 s22, 0x7fff
	v_add3_u32 v11, v16, v11, s22
                                        ; implicit-def: $vgpr16
; %bb.243:
	s_andn2_saveexec_b64 s[22:23], s[8:9]
; %bb.244:
	v_mov_b32_e32 v11, 0
	v_or_b32_e32 v17, 0x10000, v16
	v_cmp_eq_u32_sdwa s[8:9], v16, v11 src0_sel:WORD_0 src1_sel:DWORD
	v_cndmask_b32_e64 v11, v17, v16, s[8:9]
; %bb.245:
	s_or_b64 exec, exec, s[22:23]
	s_mov_b32 s8, 0x7060302
	v_perm_b32 v16, v11, v10, s8
	v_mov_b32_e32 v17, 0xffff8000
	v_cmp_lt_i32_e64 s[8:9], -1, v10
	v_cndmask_b32_e64 v10, -1, v17, s[8:9]
	v_cmp_lt_i32_e64 s[8:9], -1, v11
	v_cndmask_b32_e64 v11, -1, v17, s[8:9]
	s_mov_b32 s8, 0x5040100
	v_perm_b32 v10, v11, v10, s8
	v_xor_b32_e32 v10, v10, v16
	v_cmp_le_u16_sdwa s[8:9], v10, v10 src0_sel:DWORD src1_sel:WORD_1
	s_and_b64 s[22:23], s[8:9], exec
.LBB2069_246:
	s_or_b64 exec, exec, s[10:11]
	s_orn2_b64 s[10:11], s[22:23], exec
.LBB2069_247:
	s_or_b64 exec, exec, s[20:21]
	v_cndmask_b32_e64 v10, v18, v19, s[10:11]
	v_cndmask_b32_e64 v31, v25, v24, s[10:11]
	v_mov_b32_e32 v11, 0
	v_lshlrev_b64 v[16:17], 3, v[10:11]
	v_add_u32_e32 v33, 1, v10
	v_add_u32_e32 v10, -1, v31
	v_min_u32_e32 v10, v33, v10
	v_lshlrev_b64 v[34:35], 1, v[10:11]
	v_add_co_u32_e64 v8, s[8:9], v8, v34
	v_addc_co_u32_e64 v9, s[8:9], v9, v35, s[8:9]
	flat_load_ushort v31, v[8:9]
	v_add_co_u32_e64 v8, s[8:9], v4, v16
	v_addc_co_u32_e64 v9, s[8:9], v5, v17, s[8:9]
	flat_load_dwordx2 v[16:17], v[8:9] offset:2048
	v_cndmask_b32_e64 v10, v33, v18, s[10:11]
	v_cndmask_b32_e64 v18, v19, v33, s[10:11]
	v_cmp_lt_u32_e64 s[8:9], v10, v25
	s_mov_b64 s[22:23], -1
	s_waitcnt vmcnt(0) lgkmcnt(0)
	v_cndmask_b32_e64 v8, v31, v28, s[10:11]
	v_cndmask_b32_e64 v9, v29, v31, s[10:11]
	s_and_saveexec_b64 s[20:21], s[8:9]
	s_cbranch_execz .LBB2069_259
; %bb.248:
	v_cmp_lt_u32_e64 s[8:9], v18, v24
	s_mov_b64 s[24:25], 0
	s_and_saveexec_b64 s[22:23], s[8:9]
	s_cbranch_execz .LBB2069_258
; %bb.249:
	v_lshlrev_b32_e32 v19, 16, v9
	v_add_f32_e32 v24, 0, v19
	s_mov_b32 s8, 0x7f800000
	v_and_b32_e32 v19, 0x7f800000, v24
	v_cmp_ne_u32_e64 s[8:9], s8, v19
                                        ; implicit-def: $vgpr19
	s_and_saveexec_b64 s[24:25], s[8:9]
	s_xor_b64 s[8:9], exec, s[24:25]
; %bb.250:
	v_bfe_u32 v19, v24, 16, 1
	s_movk_i32 s24, 0x7fff
	v_add3_u32 v19, v24, v19, s24
                                        ; implicit-def: $vgpr24
; %bb.251:
	s_andn2_saveexec_b64 s[24:25], s[8:9]
; %bb.252:
	v_mov_b32_e32 v19, 0
	v_or_b32_e32 v25, 0x10000, v24
	v_cmp_eq_u32_sdwa s[8:9], v24, v19 src0_sel:WORD_0 src1_sel:DWORD
	v_cndmask_b32_e64 v19, v25, v24, s[8:9]
; %bb.253:
	s_or_b64 exec, exec, s[24:25]
	v_lshlrev_b32_e32 v24, 16, v8
	v_add_f32_e32 v25, 0, v24
	s_mov_b32 s8, 0x7f800000
	v_and_b32_e32 v24, 0x7f800000, v25
	v_cmp_ne_u32_e64 s[8:9], s8, v24
                                        ; implicit-def: $vgpr24
	s_and_saveexec_b64 s[24:25], s[8:9]
	s_xor_b64 s[8:9], exec, s[24:25]
; %bb.254:
	v_bfe_u32 v24, v25, 16, 1
	s_movk_i32 s24, 0x7fff
	v_add3_u32 v24, v25, v24, s24
                                        ; implicit-def: $vgpr25
; %bb.255:
	s_andn2_saveexec_b64 s[24:25], s[8:9]
; %bb.256:
	v_mov_b32_e32 v24, 0
	v_or_b32_e32 v31, 0x10000, v25
	v_cmp_eq_u32_sdwa s[8:9], v25, v24 src0_sel:WORD_0 src1_sel:DWORD
	v_cndmask_b32_e64 v24, v31, v25, s[8:9]
; %bb.257:
	s_or_b64 exec, exec, s[24:25]
	s_mov_b32 s8, 0x7060302
	v_perm_b32 v25, v24, v19, s8
	v_mov_b32_e32 v31, 0xffff8000
	v_cmp_lt_i32_e64 s[8:9], -1, v19
	v_cndmask_b32_e64 v19, -1, v31, s[8:9]
	v_cmp_lt_i32_e64 s[8:9], -1, v24
	v_cndmask_b32_e64 v24, -1, v31, s[8:9]
	s_mov_b32 s8, 0x5040100
	v_perm_b32 v19, v24, v19, s8
	v_xor_b32_e32 v19, v19, v25
	v_cmp_le_u16_sdwa s[8:9], v19, v19 src0_sel:DWORD src1_sel:WORD_1
	s_and_b64 s[24:25], s[8:9], exec
.LBB2069_258:
	s_or_b64 exec, exec, s[22:23]
	s_orn2_b64 s[22:23], s[24:25], exec
.LBB2069_259:
	s_or_b64 exec, exec, s[20:21]
	v_cndmask_b32_e64 v10, v10, v18, s[22:23]
	v_lshlrev_b64 v[10:11], 3, v[10:11]
	v_add_co_u32_e64 v4, s[8:9], v4, v10
	v_addc_co_u32_e64 v5, s[8:9], v5, v11, s[8:9]
	flat_load_dwordx2 v[18:19], v[4:5] offset:2048
	v_cndmask_b32_e64 v35, v28, v29, s[10:11]
	v_cndmask_b32_e64 v29, v22, v27, s[18:19]
	;; [unrolled: 1-line block ×4, first 2 shown]
.LBB2069_260:
	s_or_b64 exec, exec, s[12:13]
	v_add_co_u32_e64 v2, s[8:9], v2, v20
	v_addc_co_u32_e64 v3, s[8:9], v3, v21, s[8:9]
	v_add_co_u32_e64 v2, s[8:9], v2, v30
	v_addc_co_u32_e64 v3, s[8:9], 0, v3, s[8:9]
	; wave barrier
	s_waitcnt lgkmcnt(0)
	s_barrier
	s_waitcnt lgkmcnt(0)
	; wave barrier
	s_and_saveexec_b64 s[8:9], vcc
	s_cbranch_execnz .LBB2069_270
; %bb.261:
	s_or_b64 exec, exec, s[8:9]
	s_and_saveexec_b64 s[8:9], s[4:5]
	s_cbranch_execnz .LBB2069_271
.LBB2069_262:
	s_or_b64 exec, exec, s[8:9]
	s_and_saveexec_b64 s[8:9], s[6:7]
	s_cbranch_execnz .LBB2069_272
.LBB2069_263:
	s_or_b64 exec, exec, s[8:9]
	s_and_saveexec_b64 s[8:9], s[16:17]
	s_cbranch_execz .LBB2069_265
.LBB2069_264:
	flat_store_short v[2:3], v36 offset:6
.LBB2069_265:
	s_or_b64 exec, exec, s[8:9]
	v_add_co_u32_e64 v0, s[8:9], v6, v0
	v_addc_co_u32_e64 v1, s[8:9], v7, v1, s[8:9]
	v_add_co_u32_e64 v0, s[8:9], v0, v32
	v_addc_co_u32_e64 v1, s[8:9], 0, v1, s[8:9]
	; wave barrier
	s_and_saveexec_b64 s[8:9], vcc
	s_cbranch_execnz .LBB2069_273
; %bb.266:
	s_or_b64 exec, exec, s[8:9]
	s_and_saveexec_b64 s[8:9], s[4:5]
	s_cbranch_execnz .LBB2069_274
.LBB2069_267:
	s_or_b64 exec, exec, s[8:9]
	s_and_saveexec_b64 s[4:5], s[6:7]
	s_cbranch_execnz .LBB2069_275
.LBB2069_268:
	s_or_b64 exec, exec, s[4:5]
	s_and_saveexec_b64 s[4:5], s[16:17]
	s_cbranch_execnz .LBB2069_276
.LBB2069_269:
	s_or_b64 exec, exec, s[4:5]
	s_waitcnt vmcnt(0) lgkmcnt(0)
	s_setpc_b64 s[30:31]
.LBB2069_270:
	flat_store_short v[2:3], v37
	s_or_b64 exec, exec, s[8:9]
	s_and_saveexec_b64 s[8:9], s[4:5]
	s_cbranch_execz .LBB2069_262
.LBB2069_271:
	flat_store_short v[2:3], v29 offset:2
	s_or_b64 exec, exec, s[8:9]
	s_and_saveexec_b64 s[8:9], s[6:7]
	s_cbranch_execz .LBB2069_263
.LBB2069_272:
	flat_store_short v[2:3], v35 offset:4
	s_or_b64 exec, exec, s[8:9]
	s_and_saveexec_b64 s[8:9], s[16:17]
	s_cbranch_execnz .LBB2069_264
	s_branch .LBB2069_265
.LBB2069_273:
	flat_store_dwordx2 v[0:1], v[12:13]
	s_or_b64 exec, exec, s[8:9]
	s_and_saveexec_b64 s[8:9], s[4:5]
	s_cbranch_execz .LBB2069_267
.LBB2069_274:
	flat_store_dwordx2 v[0:1], v[14:15] offset:8
	s_or_b64 exec, exec, s[8:9]
	s_and_saveexec_b64 s[4:5], s[6:7]
	s_cbranch_execz .LBB2069_268
.LBB2069_275:
	flat_store_dwordx2 v[0:1], v[16:17] offset:16
	s_or_b64 exec, exec, s[4:5]
	s_and_saveexec_b64 s[4:5], s[16:17]
	s_cbranch_execz .LBB2069_269
.LBB2069_276:
	s_waitcnt vmcnt(0)
	flat_store_dwordx2 v[0:1], v[18:19] offset:24
	s_or_b64 exec, exec, s[4:5]
	s_waitcnt vmcnt(0) lgkmcnt(0)
	s_setpc_b64 s[30:31]
.Lfunc_end2069:
	.size	_ZN7rocprim17ROCPRIM_400000_NS6detail26segmented_warp_sort_helperINS1_20WarpSortHelperConfigILj8ELj4ELj256EEE12hip_bfloat16lLi256ELb0EvE4sortIPKS5_PS5_PKlPlEEvT_T0_T1_T2_jjjjRNS6_12storage_typeE, .Lfunc_end2069-_ZN7rocprim17ROCPRIM_400000_NS6detail26segmented_warp_sort_helperINS1_20WarpSortHelperConfigILj8ELj4ELj256EEE12hip_bfloat16lLi256ELb0EvE4sortIPKS5_PS5_PKlPlEEvT_T0_T1_T2_jjjjRNS6_12storage_typeE
                                        ; -- End function
	.section	.AMDGPU.csdata,"",@progbits
; Function info:
; codeLenInByte = 10444
; NumSgprs: 36
; NumVgprs: 70
; NumAgprs: 0
; TotalNumVgprs: 70
; ScratchSize: 0
; MemoryBound: 1
	.section	.text._ZN7rocprim17ROCPRIM_400000_NS6detail17trampoline_kernelINS0_14default_configENS1_36segmented_radix_sort_config_selectorI12hip_bfloat16lEEZNS1_25segmented_radix_sort_implIS3_Lb0EPKS5_PS5_PKlPlN2at6native12_GLOBAL__N_18offset_tEEE10hipError_tPvRmT1_PNSt15iterator_traitsISL_E10value_typeET2_T3_PNSM_ISR_E10value_typeET4_jRbjT5_SX_jjP12ihipStream_tbEUlT_E1_NS1_11comp_targetILNS1_3genE4ELNS1_11target_archE910ELNS1_3gpuE8ELNS1_3repE0EEENS1_59segmented_radix_sort_warp_sort_small_config_static_selectorELNS0_4arch9wavefront6targetE1EEEvSL_,"axG",@progbits,_ZN7rocprim17ROCPRIM_400000_NS6detail17trampoline_kernelINS0_14default_configENS1_36segmented_radix_sort_config_selectorI12hip_bfloat16lEEZNS1_25segmented_radix_sort_implIS3_Lb0EPKS5_PS5_PKlPlN2at6native12_GLOBAL__N_18offset_tEEE10hipError_tPvRmT1_PNSt15iterator_traitsISL_E10value_typeET2_T3_PNSM_ISR_E10value_typeET4_jRbjT5_SX_jjP12ihipStream_tbEUlT_E1_NS1_11comp_targetILNS1_3genE4ELNS1_11target_archE910ELNS1_3gpuE8ELNS1_3repE0EEENS1_59segmented_radix_sort_warp_sort_small_config_static_selectorELNS0_4arch9wavefront6targetE1EEEvSL_,comdat
	.globl	_ZN7rocprim17ROCPRIM_400000_NS6detail17trampoline_kernelINS0_14default_configENS1_36segmented_radix_sort_config_selectorI12hip_bfloat16lEEZNS1_25segmented_radix_sort_implIS3_Lb0EPKS5_PS5_PKlPlN2at6native12_GLOBAL__N_18offset_tEEE10hipError_tPvRmT1_PNSt15iterator_traitsISL_E10value_typeET2_T3_PNSM_ISR_E10value_typeET4_jRbjT5_SX_jjP12ihipStream_tbEUlT_E1_NS1_11comp_targetILNS1_3genE4ELNS1_11target_archE910ELNS1_3gpuE8ELNS1_3repE0EEENS1_59segmented_radix_sort_warp_sort_small_config_static_selectorELNS0_4arch9wavefront6targetE1EEEvSL_ ; -- Begin function _ZN7rocprim17ROCPRIM_400000_NS6detail17trampoline_kernelINS0_14default_configENS1_36segmented_radix_sort_config_selectorI12hip_bfloat16lEEZNS1_25segmented_radix_sort_implIS3_Lb0EPKS5_PS5_PKlPlN2at6native12_GLOBAL__N_18offset_tEEE10hipError_tPvRmT1_PNSt15iterator_traitsISL_E10value_typeET2_T3_PNSM_ISR_E10value_typeET4_jRbjT5_SX_jjP12ihipStream_tbEUlT_E1_NS1_11comp_targetILNS1_3genE4ELNS1_11target_archE910ELNS1_3gpuE8ELNS1_3repE0EEENS1_59segmented_radix_sort_warp_sort_small_config_static_selectorELNS0_4arch9wavefront6targetE1EEEvSL_
	.p2align	8
	.type	_ZN7rocprim17ROCPRIM_400000_NS6detail17trampoline_kernelINS0_14default_configENS1_36segmented_radix_sort_config_selectorI12hip_bfloat16lEEZNS1_25segmented_radix_sort_implIS3_Lb0EPKS5_PS5_PKlPlN2at6native12_GLOBAL__N_18offset_tEEE10hipError_tPvRmT1_PNSt15iterator_traitsISL_E10value_typeET2_T3_PNSM_ISR_E10value_typeET4_jRbjT5_SX_jjP12ihipStream_tbEUlT_E1_NS1_11comp_targetILNS1_3genE4ELNS1_11target_archE910ELNS1_3gpuE8ELNS1_3repE0EEENS1_59segmented_radix_sort_warp_sort_small_config_static_selectorELNS0_4arch9wavefront6targetE1EEEvSL_,@function
_ZN7rocprim17ROCPRIM_400000_NS6detail17trampoline_kernelINS0_14default_configENS1_36segmented_radix_sort_config_selectorI12hip_bfloat16lEEZNS1_25segmented_radix_sort_implIS3_Lb0EPKS5_PS5_PKlPlN2at6native12_GLOBAL__N_18offset_tEEE10hipError_tPvRmT1_PNSt15iterator_traitsISL_E10value_typeET2_T3_PNSM_ISR_E10value_typeET4_jRbjT5_SX_jjP12ihipStream_tbEUlT_E1_NS1_11comp_targetILNS1_3genE4ELNS1_11target_archE910ELNS1_3gpuE8ELNS1_3repE0EEENS1_59segmented_radix_sort_warp_sort_small_config_static_selectorELNS0_4arch9wavefront6targetE1EEEvSL_: ; @_ZN7rocprim17ROCPRIM_400000_NS6detail17trampoline_kernelINS0_14default_configENS1_36segmented_radix_sort_config_selectorI12hip_bfloat16lEEZNS1_25segmented_radix_sort_implIS3_Lb0EPKS5_PS5_PKlPlN2at6native12_GLOBAL__N_18offset_tEEE10hipError_tPvRmT1_PNSt15iterator_traitsISL_E10value_typeET2_T3_PNSM_ISR_E10value_typeET4_jRbjT5_SX_jjP12ihipStream_tbEUlT_E1_NS1_11comp_targetILNS1_3genE4ELNS1_11target_archE910ELNS1_3gpuE8ELNS1_3repE0EEENS1_59segmented_radix_sort_warp_sort_small_config_static_selectorELNS0_4arch9wavefront6targetE1EEEvSL_
; %bb.0:
	s_add_u32 flat_scratch_lo, s6, s10
	s_addc_u32 flat_scratch_hi, s7, 0
	s_add_u32 s0, s0, s10
	s_load_dword s6, s[4:5], 0x64
	s_load_dword s10, s[4:5], 0x34
	s_addc_u32 s1, s1, 0
	v_bfe_u32 v1, v0, 10, 10
	v_bfe_u32 v2, v0, 20, 10
	s_waitcnt lgkmcnt(0)
	s_lshr_b32 s7, s6, 16
	s_and_b32 s6, s6, 0xffff
	v_mad_u32_u24 v1, v2, s7, v1
	v_and_b32_e32 v2, 0x3ff, v0
	v_mad_u64_u32 v[2:3], s[6:7], v1, s6, v[2:3]
	v_lshrrev_b32_e32 v1, 3, v2
	v_lshl_add_u32 v2, s8, 5, v1
	v_cmp_gt_u32_e32 vcc, s10, v2
	s_mov_b32 s32, 0
	s_and_saveexec_b64 s[6:7], vcc
	s_cbranch_execz .LBB2070_6
; %bb.1:
	s_load_dwordx2 s[6:7], s[4:5], 0x38
	s_load_dwordx4 s[12:15], s[4:5], 0x40
	v_mov_b32_e32 v3, 0
	v_lshlrev_b64 v[2:3], 2, v[2:3]
	s_waitcnt lgkmcnt(0)
	v_mov_b32_e32 v1, s7
	v_sub_co_u32_e32 v2, vcc, s6, v2
	v_subb_co_u32_e32 v3, vcc, v1, v3, vcc
	global_load_dword v1, v[2:3], off offset:-4
	s_waitcnt vmcnt(0)
	v_add_u32_e32 v2, s13, v1
	v_add_u32_e32 v1, s15, v1
	v_mul_lo_u32 v40, v2, s12
	v_mul_lo_u32 v41, v1, s14
	v_cmp_gt_u32_e32 vcc, v41, v40
	s_and_b64 exec, exec, vcc
	s_cbranch_execz .LBB2070_6
; %bb.2:
	s_load_dword s6, s[4:5], 0x30
	s_load_dwordx4 s[44:47], s[4:5], 0x20
	s_load_dwordx8 s[36:43], s[4:5], 0x0
	s_mov_b32 s27, s8
	s_mov_b32 s26, s9
	s_waitcnt lgkmcnt(0)
	s_bitcmp0_b32 s6, 0
	s_mov_b64 s[6:7], -1
	s_cbranch_scc0 .LBB2070_4
; %bb.3:
	s_add_u32 s8, s4, 0x58
	s_mov_b64 s[6:7], src_shared_base
	s_addc_u32 s9, s5, 0
	s_mov_b32 s12, s27
	s_mov_b32 s13, s26
	v_mov_b32_e32 v31, v0
	v_mov_b32_e32 v42, v0
	;; [unrolled: 1-line block ×14, first 2 shown]
	s_getpc_b64 s[10:11]
	s_add_u32 s10, s10, _ZN7rocprim17ROCPRIM_400000_NS6detail26segmented_warp_sort_helperINS1_20WarpSortHelperConfigILj8ELj4ELj256EEE12hip_bfloat16lLi256ELb0EvE4sortIPKS5_PS5_PKlPlEEvT_T0_T1_T2_jjjjRNS6_12storage_typeE@rel32@lo+4
	s_addc_u32 s11, s11, _ZN7rocprim17ROCPRIM_400000_NS6detail26segmented_warp_sort_helperINS1_20WarpSortHelperConfigILj8ELj4ELj256EEE12hip_bfloat16lLi256ELb0EvE4sortIPKS5_PS5_PKlPlEEvT_T0_T1_T2_jjjjRNS6_12storage_typeE@rel32@hi+12
	s_mov_b64 s[28:29], s[4:5]
	s_swappc_b64 s[30:31], s[10:11]
	v_mov_b32_e32 v0, v42
	s_mov_b64 s[4:5], s[28:29]
	s_mov_b64 s[6:7], 0
.LBB2070_4:
	s_andn2_b64 vcc, exec, s[6:7]
	s_cbranch_vccnz .LBB2070_6
; %bb.5:
	s_add_u32 s8, s4, 0x58
	s_addc_u32 s9, s5, 0
	s_mov_b64 s[4:5], src_shared_base
	s_mov_b32 s12, s27
	s_mov_b32 s13, s26
	v_mov_b32_e32 v31, v0
	v_mov_b32_e32 v0, s36
	;; [unrolled: 1-line block ×13, first 2 shown]
	s_getpc_b64 s[6:7]
	s_add_u32 s6, s6, _ZN7rocprim17ROCPRIM_400000_NS6detail26segmented_warp_sort_helperINS1_20WarpSortHelperConfigILj8ELj4ELj256EEE12hip_bfloat16lLi256ELb0EvE4sortIPKS5_PS5_PKlPlEEvT_T0_T1_T2_jjjjRNS6_12storage_typeE@rel32@lo+4
	s_addc_u32 s7, s7, _ZN7rocprim17ROCPRIM_400000_NS6detail26segmented_warp_sort_helperINS1_20WarpSortHelperConfigILj8ELj4ELj256EEE12hip_bfloat16lLi256ELb0EvE4sortIPKS5_PS5_PKlPlEEvT_T0_T1_T2_jjjjRNS6_12storage_typeE@rel32@hi+12
	s_swappc_b64 s[30:31], s[6:7]
.LBB2070_6:
	s_endpgm
	.section	.rodata,"a",@progbits
	.p2align	6, 0x0
	.amdhsa_kernel _ZN7rocprim17ROCPRIM_400000_NS6detail17trampoline_kernelINS0_14default_configENS1_36segmented_radix_sort_config_selectorI12hip_bfloat16lEEZNS1_25segmented_radix_sort_implIS3_Lb0EPKS5_PS5_PKlPlN2at6native12_GLOBAL__N_18offset_tEEE10hipError_tPvRmT1_PNSt15iterator_traitsISL_E10value_typeET2_T3_PNSM_ISR_E10value_typeET4_jRbjT5_SX_jjP12ihipStream_tbEUlT_E1_NS1_11comp_targetILNS1_3genE4ELNS1_11target_archE910ELNS1_3gpuE8ELNS1_3repE0EEENS1_59segmented_radix_sort_warp_sort_small_config_static_selectorELNS0_4arch9wavefront6targetE1EEEvSL_
		.amdhsa_group_segment_fixed_size 10240
		.amdhsa_private_segment_fixed_size 0
		.amdhsa_kernarg_size 344
		.amdhsa_user_sgpr_count 8
		.amdhsa_user_sgpr_private_segment_buffer 1
		.amdhsa_user_sgpr_dispatch_ptr 0
		.amdhsa_user_sgpr_queue_ptr 0
		.amdhsa_user_sgpr_kernarg_segment_ptr 1
		.amdhsa_user_sgpr_dispatch_id 0
		.amdhsa_user_sgpr_flat_scratch_init 1
		.amdhsa_user_sgpr_kernarg_preload_length 0
		.amdhsa_user_sgpr_kernarg_preload_offset 0
		.amdhsa_user_sgpr_private_segment_size 0
		.amdhsa_uses_dynamic_stack 0
		.amdhsa_system_sgpr_private_segment_wavefront_offset 0
		.amdhsa_system_sgpr_workgroup_id_x 1
		.amdhsa_system_sgpr_workgroup_id_y 1
		.amdhsa_system_sgpr_workgroup_id_z 0
		.amdhsa_system_sgpr_workgroup_info 0
		.amdhsa_system_vgpr_workitem_id 2
		.amdhsa_next_free_vgpr 70
		.amdhsa_next_free_sgpr 48
		.amdhsa_accum_offset 72
		.amdhsa_reserve_vcc 1
		.amdhsa_reserve_flat_scratch 1
		.amdhsa_float_round_mode_32 0
		.amdhsa_float_round_mode_16_64 0
		.amdhsa_float_denorm_mode_32 3
		.amdhsa_float_denorm_mode_16_64 3
		.amdhsa_dx10_clamp 1
		.amdhsa_ieee_mode 1
		.amdhsa_fp16_overflow 0
		.amdhsa_tg_split 0
		.amdhsa_exception_fp_ieee_invalid_op 0
		.amdhsa_exception_fp_denorm_src 0
		.amdhsa_exception_fp_ieee_div_zero 0
		.amdhsa_exception_fp_ieee_overflow 0
		.amdhsa_exception_fp_ieee_underflow 0
		.amdhsa_exception_fp_ieee_inexact 0
		.amdhsa_exception_int_div_zero 0
	.end_amdhsa_kernel
	.section	.text._ZN7rocprim17ROCPRIM_400000_NS6detail17trampoline_kernelINS0_14default_configENS1_36segmented_radix_sort_config_selectorI12hip_bfloat16lEEZNS1_25segmented_radix_sort_implIS3_Lb0EPKS5_PS5_PKlPlN2at6native12_GLOBAL__N_18offset_tEEE10hipError_tPvRmT1_PNSt15iterator_traitsISL_E10value_typeET2_T3_PNSM_ISR_E10value_typeET4_jRbjT5_SX_jjP12ihipStream_tbEUlT_E1_NS1_11comp_targetILNS1_3genE4ELNS1_11target_archE910ELNS1_3gpuE8ELNS1_3repE0EEENS1_59segmented_radix_sort_warp_sort_small_config_static_selectorELNS0_4arch9wavefront6targetE1EEEvSL_,"axG",@progbits,_ZN7rocprim17ROCPRIM_400000_NS6detail17trampoline_kernelINS0_14default_configENS1_36segmented_radix_sort_config_selectorI12hip_bfloat16lEEZNS1_25segmented_radix_sort_implIS3_Lb0EPKS5_PS5_PKlPlN2at6native12_GLOBAL__N_18offset_tEEE10hipError_tPvRmT1_PNSt15iterator_traitsISL_E10value_typeET2_T3_PNSM_ISR_E10value_typeET4_jRbjT5_SX_jjP12ihipStream_tbEUlT_E1_NS1_11comp_targetILNS1_3genE4ELNS1_11target_archE910ELNS1_3gpuE8ELNS1_3repE0EEENS1_59segmented_radix_sort_warp_sort_small_config_static_selectorELNS0_4arch9wavefront6targetE1EEEvSL_,comdat
.Lfunc_end2070:
	.size	_ZN7rocprim17ROCPRIM_400000_NS6detail17trampoline_kernelINS0_14default_configENS1_36segmented_radix_sort_config_selectorI12hip_bfloat16lEEZNS1_25segmented_radix_sort_implIS3_Lb0EPKS5_PS5_PKlPlN2at6native12_GLOBAL__N_18offset_tEEE10hipError_tPvRmT1_PNSt15iterator_traitsISL_E10value_typeET2_T3_PNSM_ISR_E10value_typeET4_jRbjT5_SX_jjP12ihipStream_tbEUlT_E1_NS1_11comp_targetILNS1_3genE4ELNS1_11target_archE910ELNS1_3gpuE8ELNS1_3repE0EEENS1_59segmented_radix_sort_warp_sort_small_config_static_selectorELNS0_4arch9wavefront6targetE1EEEvSL_, .Lfunc_end2070-_ZN7rocprim17ROCPRIM_400000_NS6detail17trampoline_kernelINS0_14default_configENS1_36segmented_radix_sort_config_selectorI12hip_bfloat16lEEZNS1_25segmented_radix_sort_implIS3_Lb0EPKS5_PS5_PKlPlN2at6native12_GLOBAL__N_18offset_tEEE10hipError_tPvRmT1_PNSt15iterator_traitsISL_E10value_typeET2_T3_PNSM_ISR_E10value_typeET4_jRbjT5_SX_jjP12ihipStream_tbEUlT_E1_NS1_11comp_targetILNS1_3genE4ELNS1_11target_archE910ELNS1_3gpuE8ELNS1_3repE0EEENS1_59segmented_radix_sort_warp_sort_small_config_static_selectorELNS0_4arch9wavefront6targetE1EEEvSL_
                                        ; -- End function
	.section	.AMDGPU.csdata,"",@progbits
; Kernel info:
; codeLenInByte = 488
; NumSgprs: 54
; NumVgprs: 70
; NumAgprs: 0
; TotalNumVgprs: 70
; ScratchSize: 0
; MemoryBound: 0
; FloatMode: 240
; IeeeMode: 1
; LDSByteSize: 10240 bytes/workgroup (compile time only)
; SGPRBlocks: 6
; VGPRBlocks: 8
; NumSGPRsForWavesPerEU: 54
; NumVGPRsForWavesPerEU: 70
; AccumOffset: 72
; Occupancy: 6
; WaveLimiterHint : 0
; COMPUTE_PGM_RSRC2:SCRATCH_EN: 0
; COMPUTE_PGM_RSRC2:USER_SGPR: 8
; COMPUTE_PGM_RSRC2:TRAP_HANDLER: 0
; COMPUTE_PGM_RSRC2:TGID_X_EN: 1
; COMPUTE_PGM_RSRC2:TGID_Y_EN: 1
; COMPUTE_PGM_RSRC2:TGID_Z_EN: 0
; COMPUTE_PGM_RSRC2:TIDIG_COMP_CNT: 2
; COMPUTE_PGM_RSRC3_GFX90A:ACCUM_OFFSET: 17
; COMPUTE_PGM_RSRC3_GFX90A:TG_SPLIT: 0
	.section	.text._ZN7rocprim17ROCPRIM_400000_NS6detail17trampoline_kernelINS0_14default_configENS1_36segmented_radix_sort_config_selectorI12hip_bfloat16lEEZNS1_25segmented_radix_sort_implIS3_Lb0EPKS5_PS5_PKlPlN2at6native12_GLOBAL__N_18offset_tEEE10hipError_tPvRmT1_PNSt15iterator_traitsISL_E10value_typeET2_T3_PNSM_ISR_E10value_typeET4_jRbjT5_SX_jjP12ihipStream_tbEUlT_E1_NS1_11comp_targetILNS1_3genE3ELNS1_11target_archE908ELNS1_3gpuE7ELNS1_3repE0EEENS1_59segmented_radix_sort_warp_sort_small_config_static_selectorELNS0_4arch9wavefront6targetE1EEEvSL_,"axG",@progbits,_ZN7rocprim17ROCPRIM_400000_NS6detail17trampoline_kernelINS0_14default_configENS1_36segmented_radix_sort_config_selectorI12hip_bfloat16lEEZNS1_25segmented_radix_sort_implIS3_Lb0EPKS5_PS5_PKlPlN2at6native12_GLOBAL__N_18offset_tEEE10hipError_tPvRmT1_PNSt15iterator_traitsISL_E10value_typeET2_T3_PNSM_ISR_E10value_typeET4_jRbjT5_SX_jjP12ihipStream_tbEUlT_E1_NS1_11comp_targetILNS1_3genE3ELNS1_11target_archE908ELNS1_3gpuE7ELNS1_3repE0EEENS1_59segmented_radix_sort_warp_sort_small_config_static_selectorELNS0_4arch9wavefront6targetE1EEEvSL_,comdat
	.globl	_ZN7rocprim17ROCPRIM_400000_NS6detail17trampoline_kernelINS0_14default_configENS1_36segmented_radix_sort_config_selectorI12hip_bfloat16lEEZNS1_25segmented_radix_sort_implIS3_Lb0EPKS5_PS5_PKlPlN2at6native12_GLOBAL__N_18offset_tEEE10hipError_tPvRmT1_PNSt15iterator_traitsISL_E10value_typeET2_T3_PNSM_ISR_E10value_typeET4_jRbjT5_SX_jjP12ihipStream_tbEUlT_E1_NS1_11comp_targetILNS1_3genE3ELNS1_11target_archE908ELNS1_3gpuE7ELNS1_3repE0EEENS1_59segmented_radix_sort_warp_sort_small_config_static_selectorELNS0_4arch9wavefront6targetE1EEEvSL_ ; -- Begin function _ZN7rocprim17ROCPRIM_400000_NS6detail17trampoline_kernelINS0_14default_configENS1_36segmented_radix_sort_config_selectorI12hip_bfloat16lEEZNS1_25segmented_radix_sort_implIS3_Lb0EPKS5_PS5_PKlPlN2at6native12_GLOBAL__N_18offset_tEEE10hipError_tPvRmT1_PNSt15iterator_traitsISL_E10value_typeET2_T3_PNSM_ISR_E10value_typeET4_jRbjT5_SX_jjP12ihipStream_tbEUlT_E1_NS1_11comp_targetILNS1_3genE3ELNS1_11target_archE908ELNS1_3gpuE7ELNS1_3repE0EEENS1_59segmented_radix_sort_warp_sort_small_config_static_selectorELNS0_4arch9wavefront6targetE1EEEvSL_
	.p2align	8
	.type	_ZN7rocprim17ROCPRIM_400000_NS6detail17trampoline_kernelINS0_14default_configENS1_36segmented_radix_sort_config_selectorI12hip_bfloat16lEEZNS1_25segmented_radix_sort_implIS3_Lb0EPKS5_PS5_PKlPlN2at6native12_GLOBAL__N_18offset_tEEE10hipError_tPvRmT1_PNSt15iterator_traitsISL_E10value_typeET2_T3_PNSM_ISR_E10value_typeET4_jRbjT5_SX_jjP12ihipStream_tbEUlT_E1_NS1_11comp_targetILNS1_3genE3ELNS1_11target_archE908ELNS1_3gpuE7ELNS1_3repE0EEENS1_59segmented_radix_sort_warp_sort_small_config_static_selectorELNS0_4arch9wavefront6targetE1EEEvSL_,@function
_ZN7rocprim17ROCPRIM_400000_NS6detail17trampoline_kernelINS0_14default_configENS1_36segmented_radix_sort_config_selectorI12hip_bfloat16lEEZNS1_25segmented_radix_sort_implIS3_Lb0EPKS5_PS5_PKlPlN2at6native12_GLOBAL__N_18offset_tEEE10hipError_tPvRmT1_PNSt15iterator_traitsISL_E10value_typeET2_T3_PNSM_ISR_E10value_typeET4_jRbjT5_SX_jjP12ihipStream_tbEUlT_E1_NS1_11comp_targetILNS1_3genE3ELNS1_11target_archE908ELNS1_3gpuE7ELNS1_3repE0EEENS1_59segmented_radix_sort_warp_sort_small_config_static_selectorELNS0_4arch9wavefront6targetE1EEEvSL_: ; @_ZN7rocprim17ROCPRIM_400000_NS6detail17trampoline_kernelINS0_14default_configENS1_36segmented_radix_sort_config_selectorI12hip_bfloat16lEEZNS1_25segmented_radix_sort_implIS3_Lb0EPKS5_PS5_PKlPlN2at6native12_GLOBAL__N_18offset_tEEE10hipError_tPvRmT1_PNSt15iterator_traitsISL_E10value_typeET2_T3_PNSM_ISR_E10value_typeET4_jRbjT5_SX_jjP12ihipStream_tbEUlT_E1_NS1_11comp_targetILNS1_3genE3ELNS1_11target_archE908ELNS1_3gpuE7ELNS1_3repE0EEENS1_59segmented_radix_sort_warp_sort_small_config_static_selectorELNS0_4arch9wavefront6targetE1EEEvSL_
; %bb.0:
	.section	.rodata,"a",@progbits
	.p2align	6, 0x0
	.amdhsa_kernel _ZN7rocprim17ROCPRIM_400000_NS6detail17trampoline_kernelINS0_14default_configENS1_36segmented_radix_sort_config_selectorI12hip_bfloat16lEEZNS1_25segmented_radix_sort_implIS3_Lb0EPKS5_PS5_PKlPlN2at6native12_GLOBAL__N_18offset_tEEE10hipError_tPvRmT1_PNSt15iterator_traitsISL_E10value_typeET2_T3_PNSM_ISR_E10value_typeET4_jRbjT5_SX_jjP12ihipStream_tbEUlT_E1_NS1_11comp_targetILNS1_3genE3ELNS1_11target_archE908ELNS1_3gpuE7ELNS1_3repE0EEENS1_59segmented_radix_sort_warp_sort_small_config_static_selectorELNS0_4arch9wavefront6targetE1EEEvSL_
		.amdhsa_group_segment_fixed_size 0
		.amdhsa_private_segment_fixed_size 0
		.amdhsa_kernarg_size 88
		.amdhsa_user_sgpr_count 6
		.amdhsa_user_sgpr_private_segment_buffer 1
		.amdhsa_user_sgpr_dispatch_ptr 0
		.amdhsa_user_sgpr_queue_ptr 0
		.amdhsa_user_sgpr_kernarg_segment_ptr 1
		.amdhsa_user_sgpr_dispatch_id 0
		.amdhsa_user_sgpr_flat_scratch_init 0
		.amdhsa_user_sgpr_kernarg_preload_length 0
		.amdhsa_user_sgpr_kernarg_preload_offset 0
		.amdhsa_user_sgpr_private_segment_size 0
		.amdhsa_uses_dynamic_stack 0
		.amdhsa_system_sgpr_private_segment_wavefront_offset 0
		.amdhsa_system_sgpr_workgroup_id_x 1
		.amdhsa_system_sgpr_workgroup_id_y 0
		.amdhsa_system_sgpr_workgroup_id_z 0
		.amdhsa_system_sgpr_workgroup_info 0
		.amdhsa_system_vgpr_workitem_id 0
		.amdhsa_next_free_vgpr 1
		.amdhsa_next_free_sgpr 0
		.amdhsa_accum_offset 4
		.amdhsa_reserve_vcc 0
		.amdhsa_reserve_flat_scratch 0
		.amdhsa_float_round_mode_32 0
		.amdhsa_float_round_mode_16_64 0
		.amdhsa_float_denorm_mode_32 3
		.amdhsa_float_denorm_mode_16_64 3
		.amdhsa_dx10_clamp 1
		.amdhsa_ieee_mode 1
		.amdhsa_fp16_overflow 0
		.amdhsa_tg_split 0
		.amdhsa_exception_fp_ieee_invalid_op 0
		.amdhsa_exception_fp_denorm_src 0
		.amdhsa_exception_fp_ieee_div_zero 0
		.amdhsa_exception_fp_ieee_overflow 0
		.amdhsa_exception_fp_ieee_underflow 0
		.amdhsa_exception_fp_ieee_inexact 0
		.amdhsa_exception_int_div_zero 0
	.end_amdhsa_kernel
	.section	.text._ZN7rocprim17ROCPRIM_400000_NS6detail17trampoline_kernelINS0_14default_configENS1_36segmented_radix_sort_config_selectorI12hip_bfloat16lEEZNS1_25segmented_radix_sort_implIS3_Lb0EPKS5_PS5_PKlPlN2at6native12_GLOBAL__N_18offset_tEEE10hipError_tPvRmT1_PNSt15iterator_traitsISL_E10value_typeET2_T3_PNSM_ISR_E10value_typeET4_jRbjT5_SX_jjP12ihipStream_tbEUlT_E1_NS1_11comp_targetILNS1_3genE3ELNS1_11target_archE908ELNS1_3gpuE7ELNS1_3repE0EEENS1_59segmented_radix_sort_warp_sort_small_config_static_selectorELNS0_4arch9wavefront6targetE1EEEvSL_,"axG",@progbits,_ZN7rocprim17ROCPRIM_400000_NS6detail17trampoline_kernelINS0_14default_configENS1_36segmented_radix_sort_config_selectorI12hip_bfloat16lEEZNS1_25segmented_radix_sort_implIS3_Lb0EPKS5_PS5_PKlPlN2at6native12_GLOBAL__N_18offset_tEEE10hipError_tPvRmT1_PNSt15iterator_traitsISL_E10value_typeET2_T3_PNSM_ISR_E10value_typeET4_jRbjT5_SX_jjP12ihipStream_tbEUlT_E1_NS1_11comp_targetILNS1_3genE3ELNS1_11target_archE908ELNS1_3gpuE7ELNS1_3repE0EEENS1_59segmented_radix_sort_warp_sort_small_config_static_selectorELNS0_4arch9wavefront6targetE1EEEvSL_,comdat
.Lfunc_end2071:
	.size	_ZN7rocprim17ROCPRIM_400000_NS6detail17trampoline_kernelINS0_14default_configENS1_36segmented_radix_sort_config_selectorI12hip_bfloat16lEEZNS1_25segmented_radix_sort_implIS3_Lb0EPKS5_PS5_PKlPlN2at6native12_GLOBAL__N_18offset_tEEE10hipError_tPvRmT1_PNSt15iterator_traitsISL_E10value_typeET2_T3_PNSM_ISR_E10value_typeET4_jRbjT5_SX_jjP12ihipStream_tbEUlT_E1_NS1_11comp_targetILNS1_3genE3ELNS1_11target_archE908ELNS1_3gpuE7ELNS1_3repE0EEENS1_59segmented_radix_sort_warp_sort_small_config_static_selectorELNS0_4arch9wavefront6targetE1EEEvSL_, .Lfunc_end2071-_ZN7rocprim17ROCPRIM_400000_NS6detail17trampoline_kernelINS0_14default_configENS1_36segmented_radix_sort_config_selectorI12hip_bfloat16lEEZNS1_25segmented_radix_sort_implIS3_Lb0EPKS5_PS5_PKlPlN2at6native12_GLOBAL__N_18offset_tEEE10hipError_tPvRmT1_PNSt15iterator_traitsISL_E10value_typeET2_T3_PNSM_ISR_E10value_typeET4_jRbjT5_SX_jjP12ihipStream_tbEUlT_E1_NS1_11comp_targetILNS1_3genE3ELNS1_11target_archE908ELNS1_3gpuE7ELNS1_3repE0EEENS1_59segmented_radix_sort_warp_sort_small_config_static_selectorELNS0_4arch9wavefront6targetE1EEEvSL_
                                        ; -- End function
	.section	.AMDGPU.csdata,"",@progbits
; Kernel info:
; codeLenInByte = 0
; NumSgprs: 4
; NumVgprs: 0
; NumAgprs: 0
; TotalNumVgprs: 0
; ScratchSize: 0
; MemoryBound: 0
; FloatMode: 240
; IeeeMode: 1
; LDSByteSize: 0 bytes/workgroup (compile time only)
; SGPRBlocks: 0
; VGPRBlocks: 0
; NumSGPRsForWavesPerEU: 4
; NumVGPRsForWavesPerEU: 1
; AccumOffset: 4
; Occupancy: 8
; WaveLimiterHint : 0
; COMPUTE_PGM_RSRC2:SCRATCH_EN: 0
; COMPUTE_PGM_RSRC2:USER_SGPR: 6
; COMPUTE_PGM_RSRC2:TRAP_HANDLER: 0
; COMPUTE_PGM_RSRC2:TGID_X_EN: 1
; COMPUTE_PGM_RSRC2:TGID_Y_EN: 0
; COMPUTE_PGM_RSRC2:TGID_Z_EN: 0
; COMPUTE_PGM_RSRC2:TIDIG_COMP_CNT: 0
; COMPUTE_PGM_RSRC3_GFX90A:ACCUM_OFFSET: 0
; COMPUTE_PGM_RSRC3_GFX90A:TG_SPLIT: 0
	.section	.text._ZN7rocprim17ROCPRIM_400000_NS6detail17trampoline_kernelINS0_14default_configENS1_36segmented_radix_sort_config_selectorI12hip_bfloat16lEEZNS1_25segmented_radix_sort_implIS3_Lb0EPKS5_PS5_PKlPlN2at6native12_GLOBAL__N_18offset_tEEE10hipError_tPvRmT1_PNSt15iterator_traitsISL_E10value_typeET2_T3_PNSM_ISR_E10value_typeET4_jRbjT5_SX_jjP12ihipStream_tbEUlT_E1_NS1_11comp_targetILNS1_3genE2ELNS1_11target_archE906ELNS1_3gpuE6ELNS1_3repE0EEENS1_59segmented_radix_sort_warp_sort_small_config_static_selectorELNS0_4arch9wavefront6targetE1EEEvSL_,"axG",@progbits,_ZN7rocprim17ROCPRIM_400000_NS6detail17trampoline_kernelINS0_14default_configENS1_36segmented_radix_sort_config_selectorI12hip_bfloat16lEEZNS1_25segmented_radix_sort_implIS3_Lb0EPKS5_PS5_PKlPlN2at6native12_GLOBAL__N_18offset_tEEE10hipError_tPvRmT1_PNSt15iterator_traitsISL_E10value_typeET2_T3_PNSM_ISR_E10value_typeET4_jRbjT5_SX_jjP12ihipStream_tbEUlT_E1_NS1_11comp_targetILNS1_3genE2ELNS1_11target_archE906ELNS1_3gpuE6ELNS1_3repE0EEENS1_59segmented_radix_sort_warp_sort_small_config_static_selectorELNS0_4arch9wavefront6targetE1EEEvSL_,comdat
	.globl	_ZN7rocprim17ROCPRIM_400000_NS6detail17trampoline_kernelINS0_14default_configENS1_36segmented_radix_sort_config_selectorI12hip_bfloat16lEEZNS1_25segmented_radix_sort_implIS3_Lb0EPKS5_PS5_PKlPlN2at6native12_GLOBAL__N_18offset_tEEE10hipError_tPvRmT1_PNSt15iterator_traitsISL_E10value_typeET2_T3_PNSM_ISR_E10value_typeET4_jRbjT5_SX_jjP12ihipStream_tbEUlT_E1_NS1_11comp_targetILNS1_3genE2ELNS1_11target_archE906ELNS1_3gpuE6ELNS1_3repE0EEENS1_59segmented_radix_sort_warp_sort_small_config_static_selectorELNS0_4arch9wavefront6targetE1EEEvSL_ ; -- Begin function _ZN7rocprim17ROCPRIM_400000_NS6detail17trampoline_kernelINS0_14default_configENS1_36segmented_radix_sort_config_selectorI12hip_bfloat16lEEZNS1_25segmented_radix_sort_implIS3_Lb0EPKS5_PS5_PKlPlN2at6native12_GLOBAL__N_18offset_tEEE10hipError_tPvRmT1_PNSt15iterator_traitsISL_E10value_typeET2_T3_PNSM_ISR_E10value_typeET4_jRbjT5_SX_jjP12ihipStream_tbEUlT_E1_NS1_11comp_targetILNS1_3genE2ELNS1_11target_archE906ELNS1_3gpuE6ELNS1_3repE0EEENS1_59segmented_radix_sort_warp_sort_small_config_static_selectorELNS0_4arch9wavefront6targetE1EEEvSL_
	.p2align	8
	.type	_ZN7rocprim17ROCPRIM_400000_NS6detail17trampoline_kernelINS0_14default_configENS1_36segmented_radix_sort_config_selectorI12hip_bfloat16lEEZNS1_25segmented_radix_sort_implIS3_Lb0EPKS5_PS5_PKlPlN2at6native12_GLOBAL__N_18offset_tEEE10hipError_tPvRmT1_PNSt15iterator_traitsISL_E10value_typeET2_T3_PNSM_ISR_E10value_typeET4_jRbjT5_SX_jjP12ihipStream_tbEUlT_E1_NS1_11comp_targetILNS1_3genE2ELNS1_11target_archE906ELNS1_3gpuE6ELNS1_3repE0EEENS1_59segmented_radix_sort_warp_sort_small_config_static_selectorELNS0_4arch9wavefront6targetE1EEEvSL_,@function
_ZN7rocprim17ROCPRIM_400000_NS6detail17trampoline_kernelINS0_14default_configENS1_36segmented_radix_sort_config_selectorI12hip_bfloat16lEEZNS1_25segmented_radix_sort_implIS3_Lb0EPKS5_PS5_PKlPlN2at6native12_GLOBAL__N_18offset_tEEE10hipError_tPvRmT1_PNSt15iterator_traitsISL_E10value_typeET2_T3_PNSM_ISR_E10value_typeET4_jRbjT5_SX_jjP12ihipStream_tbEUlT_E1_NS1_11comp_targetILNS1_3genE2ELNS1_11target_archE906ELNS1_3gpuE6ELNS1_3repE0EEENS1_59segmented_radix_sort_warp_sort_small_config_static_selectorELNS0_4arch9wavefront6targetE1EEEvSL_: ; @_ZN7rocprim17ROCPRIM_400000_NS6detail17trampoline_kernelINS0_14default_configENS1_36segmented_radix_sort_config_selectorI12hip_bfloat16lEEZNS1_25segmented_radix_sort_implIS3_Lb0EPKS5_PS5_PKlPlN2at6native12_GLOBAL__N_18offset_tEEE10hipError_tPvRmT1_PNSt15iterator_traitsISL_E10value_typeET2_T3_PNSM_ISR_E10value_typeET4_jRbjT5_SX_jjP12ihipStream_tbEUlT_E1_NS1_11comp_targetILNS1_3genE2ELNS1_11target_archE906ELNS1_3gpuE6ELNS1_3repE0EEENS1_59segmented_radix_sort_warp_sort_small_config_static_selectorELNS0_4arch9wavefront6targetE1EEEvSL_
; %bb.0:
	.section	.rodata,"a",@progbits
	.p2align	6, 0x0
	.amdhsa_kernel _ZN7rocprim17ROCPRIM_400000_NS6detail17trampoline_kernelINS0_14default_configENS1_36segmented_radix_sort_config_selectorI12hip_bfloat16lEEZNS1_25segmented_radix_sort_implIS3_Lb0EPKS5_PS5_PKlPlN2at6native12_GLOBAL__N_18offset_tEEE10hipError_tPvRmT1_PNSt15iterator_traitsISL_E10value_typeET2_T3_PNSM_ISR_E10value_typeET4_jRbjT5_SX_jjP12ihipStream_tbEUlT_E1_NS1_11comp_targetILNS1_3genE2ELNS1_11target_archE906ELNS1_3gpuE6ELNS1_3repE0EEENS1_59segmented_radix_sort_warp_sort_small_config_static_selectorELNS0_4arch9wavefront6targetE1EEEvSL_
		.amdhsa_group_segment_fixed_size 0
		.amdhsa_private_segment_fixed_size 0
		.amdhsa_kernarg_size 88
		.amdhsa_user_sgpr_count 6
		.amdhsa_user_sgpr_private_segment_buffer 1
		.amdhsa_user_sgpr_dispatch_ptr 0
		.amdhsa_user_sgpr_queue_ptr 0
		.amdhsa_user_sgpr_kernarg_segment_ptr 1
		.amdhsa_user_sgpr_dispatch_id 0
		.amdhsa_user_sgpr_flat_scratch_init 0
		.amdhsa_user_sgpr_kernarg_preload_length 0
		.amdhsa_user_sgpr_kernarg_preload_offset 0
		.amdhsa_user_sgpr_private_segment_size 0
		.amdhsa_uses_dynamic_stack 0
		.amdhsa_system_sgpr_private_segment_wavefront_offset 0
		.amdhsa_system_sgpr_workgroup_id_x 1
		.amdhsa_system_sgpr_workgroup_id_y 0
		.amdhsa_system_sgpr_workgroup_id_z 0
		.amdhsa_system_sgpr_workgroup_info 0
		.amdhsa_system_vgpr_workitem_id 0
		.amdhsa_next_free_vgpr 1
		.amdhsa_next_free_sgpr 0
		.amdhsa_accum_offset 4
		.amdhsa_reserve_vcc 0
		.amdhsa_reserve_flat_scratch 0
		.amdhsa_float_round_mode_32 0
		.amdhsa_float_round_mode_16_64 0
		.amdhsa_float_denorm_mode_32 3
		.amdhsa_float_denorm_mode_16_64 3
		.amdhsa_dx10_clamp 1
		.amdhsa_ieee_mode 1
		.amdhsa_fp16_overflow 0
		.amdhsa_tg_split 0
		.amdhsa_exception_fp_ieee_invalid_op 0
		.amdhsa_exception_fp_denorm_src 0
		.amdhsa_exception_fp_ieee_div_zero 0
		.amdhsa_exception_fp_ieee_overflow 0
		.amdhsa_exception_fp_ieee_underflow 0
		.amdhsa_exception_fp_ieee_inexact 0
		.amdhsa_exception_int_div_zero 0
	.end_amdhsa_kernel
	.section	.text._ZN7rocprim17ROCPRIM_400000_NS6detail17trampoline_kernelINS0_14default_configENS1_36segmented_radix_sort_config_selectorI12hip_bfloat16lEEZNS1_25segmented_radix_sort_implIS3_Lb0EPKS5_PS5_PKlPlN2at6native12_GLOBAL__N_18offset_tEEE10hipError_tPvRmT1_PNSt15iterator_traitsISL_E10value_typeET2_T3_PNSM_ISR_E10value_typeET4_jRbjT5_SX_jjP12ihipStream_tbEUlT_E1_NS1_11comp_targetILNS1_3genE2ELNS1_11target_archE906ELNS1_3gpuE6ELNS1_3repE0EEENS1_59segmented_radix_sort_warp_sort_small_config_static_selectorELNS0_4arch9wavefront6targetE1EEEvSL_,"axG",@progbits,_ZN7rocprim17ROCPRIM_400000_NS6detail17trampoline_kernelINS0_14default_configENS1_36segmented_radix_sort_config_selectorI12hip_bfloat16lEEZNS1_25segmented_radix_sort_implIS3_Lb0EPKS5_PS5_PKlPlN2at6native12_GLOBAL__N_18offset_tEEE10hipError_tPvRmT1_PNSt15iterator_traitsISL_E10value_typeET2_T3_PNSM_ISR_E10value_typeET4_jRbjT5_SX_jjP12ihipStream_tbEUlT_E1_NS1_11comp_targetILNS1_3genE2ELNS1_11target_archE906ELNS1_3gpuE6ELNS1_3repE0EEENS1_59segmented_radix_sort_warp_sort_small_config_static_selectorELNS0_4arch9wavefront6targetE1EEEvSL_,comdat
.Lfunc_end2072:
	.size	_ZN7rocprim17ROCPRIM_400000_NS6detail17trampoline_kernelINS0_14default_configENS1_36segmented_radix_sort_config_selectorI12hip_bfloat16lEEZNS1_25segmented_radix_sort_implIS3_Lb0EPKS5_PS5_PKlPlN2at6native12_GLOBAL__N_18offset_tEEE10hipError_tPvRmT1_PNSt15iterator_traitsISL_E10value_typeET2_T3_PNSM_ISR_E10value_typeET4_jRbjT5_SX_jjP12ihipStream_tbEUlT_E1_NS1_11comp_targetILNS1_3genE2ELNS1_11target_archE906ELNS1_3gpuE6ELNS1_3repE0EEENS1_59segmented_radix_sort_warp_sort_small_config_static_selectorELNS0_4arch9wavefront6targetE1EEEvSL_, .Lfunc_end2072-_ZN7rocprim17ROCPRIM_400000_NS6detail17trampoline_kernelINS0_14default_configENS1_36segmented_radix_sort_config_selectorI12hip_bfloat16lEEZNS1_25segmented_radix_sort_implIS3_Lb0EPKS5_PS5_PKlPlN2at6native12_GLOBAL__N_18offset_tEEE10hipError_tPvRmT1_PNSt15iterator_traitsISL_E10value_typeET2_T3_PNSM_ISR_E10value_typeET4_jRbjT5_SX_jjP12ihipStream_tbEUlT_E1_NS1_11comp_targetILNS1_3genE2ELNS1_11target_archE906ELNS1_3gpuE6ELNS1_3repE0EEENS1_59segmented_radix_sort_warp_sort_small_config_static_selectorELNS0_4arch9wavefront6targetE1EEEvSL_
                                        ; -- End function
	.section	.AMDGPU.csdata,"",@progbits
; Kernel info:
; codeLenInByte = 0
; NumSgprs: 4
; NumVgprs: 0
; NumAgprs: 0
; TotalNumVgprs: 0
; ScratchSize: 0
; MemoryBound: 0
; FloatMode: 240
; IeeeMode: 1
; LDSByteSize: 0 bytes/workgroup (compile time only)
; SGPRBlocks: 0
; VGPRBlocks: 0
; NumSGPRsForWavesPerEU: 4
; NumVGPRsForWavesPerEU: 1
; AccumOffset: 4
; Occupancy: 8
; WaveLimiterHint : 0
; COMPUTE_PGM_RSRC2:SCRATCH_EN: 0
; COMPUTE_PGM_RSRC2:USER_SGPR: 6
; COMPUTE_PGM_RSRC2:TRAP_HANDLER: 0
; COMPUTE_PGM_RSRC2:TGID_X_EN: 1
; COMPUTE_PGM_RSRC2:TGID_Y_EN: 0
; COMPUTE_PGM_RSRC2:TGID_Z_EN: 0
; COMPUTE_PGM_RSRC2:TIDIG_COMP_CNT: 0
; COMPUTE_PGM_RSRC3_GFX90A:ACCUM_OFFSET: 0
; COMPUTE_PGM_RSRC3_GFX90A:TG_SPLIT: 0
	.section	.text._ZN7rocprim17ROCPRIM_400000_NS6detail17trampoline_kernelINS0_14default_configENS1_36segmented_radix_sort_config_selectorI12hip_bfloat16lEEZNS1_25segmented_radix_sort_implIS3_Lb0EPKS5_PS5_PKlPlN2at6native12_GLOBAL__N_18offset_tEEE10hipError_tPvRmT1_PNSt15iterator_traitsISL_E10value_typeET2_T3_PNSM_ISR_E10value_typeET4_jRbjT5_SX_jjP12ihipStream_tbEUlT_E1_NS1_11comp_targetILNS1_3genE10ELNS1_11target_archE1201ELNS1_3gpuE5ELNS1_3repE0EEENS1_59segmented_radix_sort_warp_sort_small_config_static_selectorELNS0_4arch9wavefront6targetE1EEEvSL_,"axG",@progbits,_ZN7rocprim17ROCPRIM_400000_NS6detail17trampoline_kernelINS0_14default_configENS1_36segmented_radix_sort_config_selectorI12hip_bfloat16lEEZNS1_25segmented_radix_sort_implIS3_Lb0EPKS5_PS5_PKlPlN2at6native12_GLOBAL__N_18offset_tEEE10hipError_tPvRmT1_PNSt15iterator_traitsISL_E10value_typeET2_T3_PNSM_ISR_E10value_typeET4_jRbjT5_SX_jjP12ihipStream_tbEUlT_E1_NS1_11comp_targetILNS1_3genE10ELNS1_11target_archE1201ELNS1_3gpuE5ELNS1_3repE0EEENS1_59segmented_radix_sort_warp_sort_small_config_static_selectorELNS0_4arch9wavefront6targetE1EEEvSL_,comdat
	.globl	_ZN7rocprim17ROCPRIM_400000_NS6detail17trampoline_kernelINS0_14default_configENS1_36segmented_radix_sort_config_selectorI12hip_bfloat16lEEZNS1_25segmented_radix_sort_implIS3_Lb0EPKS5_PS5_PKlPlN2at6native12_GLOBAL__N_18offset_tEEE10hipError_tPvRmT1_PNSt15iterator_traitsISL_E10value_typeET2_T3_PNSM_ISR_E10value_typeET4_jRbjT5_SX_jjP12ihipStream_tbEUlT_E1_NS1_11comp_targetILNS1_3genE10ELNS1_11target_archE1201ELNS1_3gpuE5ELNS1_3repE0EEENS1_59segmented_radix_sort_warp_sort_small_config_static_selectorELNS0_4arch9wavefront6targetE1EEEvSL_ ; -- Begin function _ZN7rocprim17ROCPRIM_400000_NS6detail17trampoline_kernelINS0_14default_configENS1_36segmented_radix_sort_config_selectorI12hip_bfloat16lEEZNS1_25segmented_radix_sort_implIS3_Lb0EPKS5_PS5_PKlPlN2at6native12_GLOBAL__N_18offset_tEEE10hipError_tPvRmT1_PNSt15iterator_traitsISL_E10value_typeET2_T3_PNSM_ISR_E10value_typeET4_jRbjT5_SX_jjP12ihipStream_tbEUlT_E1_NS1_11comp_targetILNS1_3genE10ELNS1_11target_archE1201ELNS1_3gpuE5ELNS1_3repE0EEENS1_59segmented_radix_sort_warp_sort_small_config_static_selectorELNS0_4arch9wavefront6targetE1EEEvSL_
	.p2align	8
	.type	_ZN7rocprim17ROCPRIM_400000_NS6detail17trampoline_kernelINS0_14default_configENS1_36segmented_radix_sort_config_selectorI12hip_bfloat16lEEZNS1_25segmented_radix_sort_implIS3_Lb0EPKS5_PS5_PKlPlN2at6native12_GLOBAL__N_18offset_tEEE10hipError_tPvRmT1_PNSt15iterator_traitsISL_E10value_typeET2_T3_PNSM_ISR_E10value_typeET4_jRbjT5_SX_jjP12ihipStream_tbEUlT_E1_NS1_11comp_targetILNS1_3genE10ELNS1_11target_archE1201ELNS1_3gpuE5ELNS1_3repE0EEENS1_59segmented_radix_sort_warp_sort_small_config_static_selectorELNS0_4arch9wavefront6targetE1EEEvSL_,@function
_ZN7rocprim17ROCPRIM_400000_NS6detail17trampoline_kernelINS0_14default_configENS1_36segmented_radix_sort_config_selectorI12hip_bfloat16lEEZNS1_25segmented_radix_sort_implIS3_Lb0EPKS5_PS5_PKlPlN2at6native12_GLOBAL__N_18offset_tEEE10hipError_tPvRmT1_PNSt15iterator_traitsISL_E10value_typeET2_T3_PNSM_ISR_E10value_typeET4_jRbjT5_SX_jjP12ihipStream_tbEUlT_E1_NS1_11comp_targetILNS1_3genE10ELNS1_11target_archE1201ELNS1_3gpuE5ELNS1_3repE0EEENS1_59segmented_radix_sort_warp_sort_small_config_static_selectorELNS0_4arch9wavefront6targetE1EEEvSL_: ; @_ZN7rocprim17ROCPRIM_400000_NS6detail17trampoline_kernelINS0_14default_configENS1_36segmented_radix_sort_config_selectorI12hip_bfloat16lEEZNS1_25segmented_radix_sort_implIS3_Lb0EPKS5_PS5_PKlPlN2at6native12_GLOBAL__N_18offset_tEEE10hipError_tPvRmT1_PNSt15iterator_traitsISL_E10value_typeET2_T3_PNSM_ISR_E10value_typeET4_jRbjT5_SX_jjP12ihipStream_tbEUlT_E1_NS1_11comp_targetILNS1_3genE10ELNS1_11target_archE1201ELNS1_3gpuE5ELNS1_3repE0EEENS1_59segmented_radix_sort_warp_sort_small_config_static_selectorELNS0_4arch9wavefront6targetE1EEEvSL_
; %bb.0:
	.section	.rodata,"a",@progbits
	.p2align	6, 0x0
	.amdhsa_kernel _ZN7rocprim17ROCPRIM_400000_NS6detail17trampoline_kernelINS0_14default_configENS1_36segmented_radix_sort_config_selectorI12hip_bfloat16lEEZNS1_25segmented_radix_sort_implIS3_Lb0EPKS5_PS5_PKlPlN2at6native12_GLOBAL__N_18offset_tEEE10hipError_tPvRmT1_PNSt15iterator_traitsISL_E10value_typeET2_T3_PNSM_ISR_E10value_typeET4_jRbjT5_SX_jjP12ihipStream_tbEUlT_E1_NS1_11comp_targetILNS1_3genE10ELNS1_11target_archE1201ELNS1_3gpuE5ELNS1_3repE0EEENS1_59segmented_radix_sort_warp_sort_small_config_static_selectorELNS0_4arch9wavefront6targetE1EEEvSL_
		.amdhsa_group_segment_fixed_size 0
		.amdhsa_private_segment_fixed_size 0
		.amdhsa_kernarg_size 88
		.amdhsa_user_sgpr_count 6
		.amdhsa_user_sgpr_private_segment_buffer 1
		.amdhsa_user_sgpr_dispatch_ptr 0
		.amdhsa_user_sgpr_queue_ptr 0
		.amdhsa_user_sgpr_kernarg_segment_ptr 1
		.amdhsa_user_sgpr_dispatch_id 0
		.amdhsa_user_sgpr_flat_scratch_init 0
		.amdhsa_user_sgpr_kernarg_preload_length 0
		.amdhsa_user_sgpr_kernarg_preload_offset 0
		.amdhsa_user_sgpr_private_segment_size 0
		.amdhsa_uses_dynamic_stack 0
		.amdhsa_system_sgpr_private_segment_wavefront_offset 0
		.amdhsa_system_sgpr_workgroup_id_x 1
		.amdhsa_system_sgpr_workgroup_id_y 0
		.amdhsa_system_sgpr_workgroup_id_z 0
		.amdhsa_system_sgpr_workgroup_info 0
		.amdhsa_system_vgpr_workitem_id 0
		.amdhsa_next_free_vgpr 1
		.amdhsa_next_free_sgpr 0
		.amdhsa_accum_offset 4
		.amdhsa_reserve_vcc 0
		.amdhsa_reserve_flat_scratch 0
		.amdhsa_float_round_mode_32 0
		.amdhsa_float_round_mode_16_64 0
		.amdhsa_float_denorm_mode_32 3
		.amdhsa_float_denorm_mode_16_64 3
		.amdhsa_dx10_clamp 1
		.amdhsa_ieee_mode 1
		.amdhsa_fp16_overflow 0
		.amdhsa_tg_split 0
		.amdhsa_exception_fp_ieee_invalid_op 0
		.amdhsa_exception_fp_denorm_src 0
		.amdhsa_exception_fp_ieee_div_zero 0
		.amdhsa_exception_fp_ieee_overflow 0
		.amdhsa_exception_fp_ieee_underflow 0
		.amdhsa_exception_fp_ieee_inexact 0
		.amdhsa_exception_int_div_zero 0
	.end_amdhsa_kernel
	.section	.text._ZN7rocprim17ROCPRIM_400000_NS6detail17trampoline_kernelINS0_14default_configENS1_36segmented_radix_sort_config_selectorI12hip_bfloat16lEEZNS1_25segmented_radix_sort_implIS3_Lb0EPKS5_PS5_PKlPlN2at6native12_GLOBAL__N_18offset_tEEE10hipError_tPvRmT1_PNSt15iterator_traitsISL_E10value_typeET2_T3_PNSM_ISR_E10value_typeET4_jRbjT5_SX_jjP12ihipStream_tbEUlT_E1_NS1_11comp_targetILNS1_3genE10ELNS1_11target_archE1201ELNS1_3gpuE5ELNS1_3repE0EEENS1_59segmented_radix_sort_warp_sort_small_config_static_selectorELNS0_4arch9wavefront6targetE1EEEvSL_,"axG",@progbits,_ZN7rocprim17ROCPRIM_400000_NS6detail17trampoline_kernelINS0_14default_configENS1_36segmented_radix_sort_config_selectorI12hip_bfloat16lEEZNS1_25segmented_radix_sort_implIS3_Lb0EPKS5_PS5_PKlPlN2at6native12_GLOBAL__N_18offset_tEEE10hipError_tPvRmT1_PNSt15iterator_traitsISL_E10value_typeET2_T3_PNSM_ISR_E10value_typeET4_jRbjT5_SX_jjP12ihipStream_tbEUlT_E1_NS1_11comp_targetILNS1_3genE10ELNS1_11target_archE1201ELNS1_3gpuE5ELNS1_3repE0EEENS1_59segmented_radix_sort_warp_sort_small_config_static_selectorELNS0_4arch9wavefront6targetE1EEEvSL_,comdat
.Lfunc_end2073:
	.size	_ZN7rocprim17ROCPRIM_400000_NS6detail17trampoline_kernelINS0_14default_configENS1_36segmented_radix_sort_config_selectorI12hip_bfloat16lEEZNS1_25segmented_radix_sort_implIS3_Lb0EPKS5_PS5_PKlPlN2at6native12_GLOBAL__N_18offset_tEEE10hipError_tPvRmT1_PNSt15iterator_traitsISL_E10value_typeET2_T3_PNSM_ISR_E10value_typeET4_jRbjT5_SX_jjP12ihipStream_tbEUlT_E1_NS1_11comp_targetILNS1_3genE10ELNS1_11target_archE1201ELNS1_3gpuE5ELNS1_3repE0EEENS1_59segmented_radix_sort_warp_sort_small_config_static_selectorELNS0_4arch9wavefront6targetE1EEEvSL_, .Lfunc_end2073-_ZN7rocprim17ROCPRIM_400000_NS6detail17trampoline_kernelINS0_14default_configENS1_36segmented_radix_sort_config_selectorI12hip_bfloat16lEEZNS1_25segmented_radix_sort_implIS3_Lb0EPKS5_PS5_PKlPlN2at6native12_GLOBAL__N_18offset_tEEE10hipError_tPvRmT1_PNSt15iterator_traitsISL_E10value_typeET2_T3_PNSM_ISR_E10value_typeET4_jRbjT5_SX_jjP12ihipStream_tbEUlT_E1_NS1_11comp_targetILNS1_3genE10ELNS1_11target_archE1201ELNS1_3gpuE5ELNS1_3repE0EEENS1_59segmented_radix_sort_warp_sort_small_config_static_selectorELNS0_4arch9wavefront6targetE1EEEvSL_
                                        ; -- End function
	.section	.AMDGPU.csdata,"",@progbits
; Kernel info:
; codeLenInByte = 0
; NumSgprs: 4
; NumVgprs: 0
; NumAgprs: 0
; TotalNumVgprs: 0
; ScratchSize: 0
; MemoryBound: 0
; FloatMode: 240
; IeeeMode: 1
; LDSByteSize: 0 bytes/workgroup (compile time only)
; SGPRBlocks: 0
; VGPRBlocks: 0
; NumSGPRsForWavesPerEU: 4
; NumVGPRsForWavesPerEU: 1
; AccumOffset: 4
; Occupancy: 8
; WaveLimiterHint : 0
; COMPUTE_PGM_RSRC2:SCRATCH_EN: 0
; COMPUTE_PGM_RSRC2:USER_SGPR: 6
; COMPUTE_PGM_RSRC2:TRAP_HANDLER: 0
; COMPUTE_PGM_RSRC2:TGID_X_EN: 1
; COMPUTE_PGM_RSRC2:TGID_Y_EN: 0
; COMPUTE_PGM_RSRC2:TGID_Z_EN: 0
; COMPUTE_PGM_RSRC2:TIDIG_COMP_CNT: 0
; COMPUTE_PGM_RSRC3_GFX90A:ACCUM_OFFSET: 0
; COMPUTE_PGM_RSRC3_GFX90A:TG_SPLIT: 0
	.section	.text._ZN7rocprim17ROCPRIM_400000_NS6detail17trampoline_kernelINS0_14default_configENS1_36segmented_radix_sort_config_selectorI12hip_bfloat16lEEZNS1_25segmented_radix_sort_implIS3_Lb0EPKS5_PS5_PKlPlN2at6native12_GLOBAL__N_18offset_tEEE10hipError_tPvRmT1_PNSt15iterator_traitsISL_E10value_typeET2_T3_PNSM_ISR_E10value_typeET4_jRbjT5_SX_jjP12ihipStream_tbEUlT_E1_NS1_11comp_targetILNS1_3genE10ELNS1_11target_archE1200ELNS1_3gpuE4ELNS1_3repE0EEENS1_59segmented_radix_sort_warp_sort_small_config_static_selectorELNS0_4arch9wavefront6targetE1EEEvSL_,"axG",@progbits,_ZN7rocprim17ROCPRIM_400000_NS6detail17trampoline_kernelINS0_14default_configENS1_36segmented_radix_sort_config_selectorI12hip_bfloat16lEEZNS1_25segmented_radix_sort_implIS3_Lb0EPKS5_PS5_PKlPlN2at6native12_GLOBAL__N_18offset_tEEE10hipError_tPvRmT1_PNSt15iterator_traitsISL_E10value_typeET2_T3_PNSM_ISR_E10value_typeET4_jRbjT5_SX_jjP12ihipStream_tbEUlT_E1_NS1_11comp_targetILNS1_3genE10ELNS1_11target_archE1200ELNS1_3gpuE4ELNS1_3repE0EEENS1_59segmented_radix_sort_warp_sort_small_config_static_selectorELNS0_4arch9wavefront6targetE1EEEvSL_,comdat
	.globl	_ZN7rocprim17ROCPRIM_400000_NS6detail17trampoline_kernelINS0_14default_configENS1_36segmented_radix_sort_config_selectorI12hip_bfloat16lEEZNS1_25segmented_radix_sort_implIS3_Lb0EPKS5_PS5_PKlPlN2at6native12_GLOBAL__N_18offset_tEEE10hipError_tPvRmT1_PNSt15iterator_traitsISL_E10value_typeET2_T3_PNSM_ISR_E10value_typeET4_jRbjT5_SX_jjP12ihipStream_tbEUlT_E1_NS1_11comp_targetILNS1_3genE10ELNS1_11target_archE1200ELNS1_3gpuE4ELNS1_3repE0EEENS1_59segmented_radix_sort_warp_sort_small_config_static_selectorELNS0_4arch9wavefront6targetE1EEEvSL_ ; -- Begin function _ZN7rocprim17ROCPRIM_400000_NS6detail17trampoline_kernelINS0_14default_configENS1_36segmented_radix_sort_config_selectorI12hip_bfloat16lEEZNS1_25segmented_radix_sort_implIS3_Lb0EPKS5_PS5_PKlPlN2at6native12_GLOBAL__N_18offset_tEEE10hipError_tPvRmT1_PNSt15iterator_traitsISL_E10value_typeET2_T3_PNSM_ISR_E10value_typeET4_jRbjT5_SX_jjP12ihipStream_tbEUlT_E1_NS1_11comp_targetILNS1_3genE10ELNS1_11target_archE1200ELNS1_3gpuE4ELNS1_3repE0EEENS1_59segmented_radix_sort_warp_sort_small_config_static_selectorELNS0_4arch9wavefront6targetE1EEEvSL_
	.p2align	8
	.type	_ZN7rocprim17ROCPRIM_400000_NS6detail17trampoline_kernelINS0_14default_configENS1_36segmented_radix_sort_config_selectorI12hip_bfloat16lEEZNS1_25segmented_radix_sort_implIS3_Lb0EPKS5_PS5_PKlPlN2at6native12_GLOBAL__N_18offset_tEEE10hipError_tPvRmT1_PNSt15iterator_traitsISL_E10value_typeET2_T3_PNSM_ISR_E10value_typeET4_jRbjT5_SX_jjP12ihipStream_tbEUlT_E1_NS1_11comp_targetILNS1_3genE10ELNS1_11target_archE1200ELNS1_3gpuE4ELNS1_3repE0EEENS1_59segmented_radix_sort_warp_sort_small_config_static_selectorELNS0_4arch9wavefront6targetE1EEEvSL_,@function
_ZN7rocprim17ROCPRIM_400000_NS6detail17trampoline_kernelINS0_14default_configENS1_36segmented_radix_sort_config_selectorI12hip_bfloat16lEEZNS1_25segmented_radix_sort_implIS3_Lb0EPKS5_PS5_PKlPlN2at6native12_GLOBAL__N_18offset_tEEE10hipError_tPvRmT1_PNSt15iterator_traitsISL_E10value_typeET2_T3_PNSM_ISR_E10value_typeET4_jRbjT5_SX_jjP12ihipStream_tbEUlT_E1_NS1_11comp_targetILNS1_3genE10ELNS1_11target_archE1200ELNS1_3gpuE4ELNS1_3repE0EEENS1_59segmented_radix_sort_warp_sort_small_config_static_selectorELNS0_4arch9wavefront6targetE1EEEvSL_: ; @_ZN7rocprim17ROCPRIM_400000_NS6detail17trampoline_kernelINS0_14default_configENS1_36segmented_radix_sort_config_selectorI12hip_bfloat16lEEZNS1_25segmented_radix_sort_implIS3_Lb0EPKS5_PS5_PKlPlN2at6native12_GLOBAL__N_18offset_tEEE10hipError_tPvRmT1_PNSt15iterator_traitsISL_E10value_typeET2_T3_PNSM_ISR_E10value_typeET4_jRbjT5_SX_jjP12ihipStream_tbEUlT_E1_NS1_11comp_targetILNS1_3genE10ELNS1_11target_archE1200ELNS1_3gpuE4ELNS1_3repE0EEENS1_59segmented_radix_sort_warp_sort_small_config_static_selectorELNS0_4arch9wavefront6targetE1EEEvSL_
; %bb.0:
	.section	.rodata,"a",@progbits
	.p2align	6, 0x0
	.amdhsa_kernel _ZN7rocprim17ROCPRIM_400000_NS6detail17trampoline_kernelINS0_14default_configENS1_36segmented_radix_sort_config_selectorI12hip_bfloat16lEEZNS1_25segmented_radix_sort_implIS3_Lb0EPKS5_PS5_PKlPlN2at6native12_GLOBAL__N_18offset_tEEE10hipError_tPvRmT1_PNSt15iterator_traitsISL_E10value_typeET2_T3_PNSM_ISR_E10value_typeET4_jRbjT5_SX_jjP12ihipStream_tbEUlT_E1_NS1_11comp_targetILNS1_3genE10ELNS1_11target_archE1200ELNS1_3gpuE4ELNS1_3repE0EEENS1_59segmented_radix_sort_warp_sort_small_config_static_selectorELNS0_4arch9wavefront6targetE1EEEvSL_
		.amdhsa_group_segment_fixed_size 0
		.amdhsa_private_segment_fixed_size 0
		.amdhsa_kernarg_size 88
		.amdhsa_user_sgpr_count 6
		.amdhsa_user_sgpr_private_segment_buffer 1
		.amdhsa_user_sgpr_dispatch_ptr 0
		.amdhsa_user_sgpr_queue_ptr 0
		.amdhsa_user_sgpr_kernarg_segment_ptr 1
		.amdhsa_user_sgpr_dispatch_id 0
		.amdhsa_user_sgpr_flat_scratch_init 0
		.amdhsa_user_sgpr_kernarg_preload_length 0
		.amdhsa_user_sgpr_kernarg_preload_offset 0
		.amdhsa_user_sgpr_private_segment_size 0
		.amdhsa_uses_dynamic_stack 0
		.amdhsa_system_sgpr_private_segment_wavefront_offset 0
		.amdhsa_system_sgpr_workgroup_id_x 1
		.amdhsa_system_sgpr_workgroup_id_y 0
		.amdhsa_system_sgpr_workgroup_id_z 0
		.amdhsa_system_sgpr_workgroup_info 0
		.amdhsa_system_vgpr_workitem_id 0
		.amdhsa_next_free_vgpr 1
		.amdhsa_next_free_sgpr 0
		.amdhsa_accum_offset 4
		.amdhsa_reserve_vcc 0
		.amdhsa_reserve_flat_scratch 0
		.amdhsa_float_round_mode_32 0
		.amdhsa_float_round_mode_16_64 0
		.amdhsa_float_denorm_mode_32 3
		.amdhsa_float_denorm_mode_16_64 3
		.amdhsa_dx10_clamp 1
		.amdhsa_ieee_mode 1
		.amdhsa_fp16_overflow 0
		.amdhsa_tg_split 0
		.amdhsa_exception_fp_ieee_invalid_op 0
		.amdhsa_exception_fp_denorm_src 0
		.amdhsa_exception_fp_ieee_div_zero 0
		.amdhsa_exception_fp_ieee_overflow 0
		.amdhsa_exception_fp_ieee_underflow 0
		.amdhsa_exception_fp_ieee_inexact 0
		.amdhsa_exception_int_div_zero 0
	.end_amdhsa_kernel
	.section	.text._ZN7rocprim17ROCPRIM_400000_NS6detail17trampoline_kernelINS0_14default_configENS1_36segmented_radix_sort_config_selectorI12hip_bfloat16lEEZNS1_25segmented_radix_sort_implIS3_Lb0EPKS5_PS5_PKlPlN2at6native12_GLOBAL__N_18offset_tEEE10hipError_tPvRmT1_PNSt15iterator_traitsISL_E10value_typeET2_T3_PNSM_ISR_E10value_typeET4_jRbjT5_SX_jjP12ihipStream_tbEUlT_E1_NS1_11comp_targetILNS1_3genE10ELNS1_11target_archE1200ELNS1_3gpuE4ELNS1_3repE0EEENS1_59segmented_radix_sort_warp_sort_small_config_static_selectorELNS0_4arch9wavefront6targetE1EEEvSL_,"axG",@progbits,_ZN7rocprim17ROCPRIM_400000_NS6detail17trampoline_kernelINS0_14default_configENS1_36segmented_radix_sort_config_selectorI12hip_bfloat16lEEZNS1_25segmented_radix_sort_implIS3_Lb0EPKS5_PS5_PKlPlN2at6native12_GLOBAL__N_18offset_tEEE10hipError_tPvRmT1_PNSt15iterator_traitsISL_E10value_typeET2_T3_PNSM_ISR_E10value_typeET4_jRbjT5_SX_jjP12ihipStream_tbEUlT_E1_NS1_11comp_targetILNS1_3genE10ELNS1_11target_archE1200ELNS1_3gpuE4ELNS1_3repE0EEENS1_59segmented_radix_sort_warp_sort_small_config_static_selectorELNS0_4arch9wavefront6targetE1EEEvSL_,comdat
.Lfunc_end2074:
	.size	_ZN7rocprim17ROCPRIM_400000_NS6detail17trampoline_kernelINS0_14default_configENS1_36segmented_radix_sort_config_selectorI12hip_bfloat16lEEZNS1_25segmented_radix_sort_implIS3_Lb0EPKS5_PS5_PKlPlN2at6native12_GLOBAL__N_18offset_tEEE10hipError_tPvRmT1_PNSt15iterator_traitsISL_E10value_typeET2_T3_PNSM_ISR_E10value_typeET4_jRbjT5_SX_jjP12ihipStream_tbEUlT_E1_NS1_11comp_targetILNS1_3genE10ELNS1_11target_archE1200ELNS1_3gpuE4ELNS1_3repE0EEENS1_59segmented_radix_sort_warp_sort_small_config_static_selectorELNS0_4arch9wavefront6targetE1EEEvSL_, .Lfunc_end2074-_ZN7rocprim17ROCPRIM_400000_NS6detail17trampoline_kernelINS0_14default_configENS1_36segmented_radix_sort_config_selectorI12hip_bfloat16lEEZNS1_25segmented_radix_sort_implIS3_Lb0EPKS5_PS5_PKlPlN2at6native12_GLOBAL__N_18offset_tEEE10hipError_tPvRmT1_PNSt15iterator_traitsISL_E10value_typeET2_T3_PNSM_ISR_E10value_typeET4_jRbjT5_SX_jjP12ihipStream_tbEUlT_E1_NS1_11comp_targetILNS1_3genE10ELNS1_11target_archE1200ELNS1_3gpuE4ELNS1_3repE0EEENS1_59segmented_radix_sort_warp_sort_small_config_static_selectorELNS0_4arch9wavefront6targetE1EEEvSL_
                                        ; -- End function
	.section	.AMDGPU.csdata,"",@progbits
; Kernel info:
; codeLenInByte = 0
; NumSgprs: 4
; NumVgprs: 0
; NumAgprs: 0
; TotalNumVgprs: 0
; ScratchSize: 0
; MemoryBound: 0
; FloatMode: 240
; IeeeMode: 1
; LDSByteSize: 0 bytes/workgroup (compile time only)
; SGPRBlocks: 0
; VGPRBlocks: 0
; NumSGPRsForWavesPerEU: 4
; NumVGPRsForWavesPerEU: 1
; AccumOffset: 4
; Occupancy: 8
; WaveLimiterHint : 0
; COMPUTE_PGM_RSRC2:SCRATCH_EN: 0
; COMPUTE_PGM_RSRC2:USER_SGPR: 6
; COMPUTE_PGM_RSRC2:TRAP_HANDLER: 0
; COMPUTE_PGM_RSRC2:TGID_X_EN: 1
; COMPUTE_PGM_RSRC2:TGID_Y_EN: 0
; COMPUTE_PGM_RSRC2:TGID_Z_EN: 0
; COMPUTE_PGM_RSRC2:TIDIG_COMP_CNT: 0
; COMPUTE_PGM_RSRC3_GFX90A:ACCUM_OFFSET: 0
; COMPUTE_PGM_RSRC3_GFX90A:TG_SPLIT: 0
	.section	.text._ZN7rocprim17ROCPRIM_400000_NS6detail17trampoline_kernelINS0_14default_configENS1_36segmented_radix_sort_config_selectorI12hip_bfloat16lEEZNS1_25segmented_radix_sort_implIS3_Lb0EPKS5_PS5_PKlPlN2at6native12_GLOBAL__N_18offset_tEEE10hipError_tPvRmT1_PNSt15iterator_traitsISL_E10value_typeET2_T3_PNSM_ISR_E10value_typeET4_jRbjT5_SX_jjP12ihipStream_tbEUlT_E1_NS1_11comp_targetILNS1_3genE9ELNS1_11target_archE1100ELNS1_3gpuE3ELNS1_3repE0EEENS1_59segmented_radix_sort_warp_sort_small_config_static_selectorELNS0_4arch9wavefront6targetE1EEEvSL_,"axG",@progbits,_ZN7rocprim17ROCPRIM_400000_NS6detail17trampoline_kernelINS0_14default_configENS1_36segmented_radix_sort_config_selectorI12hip_bfloat16lEEZNS1_25segmented_radix_sort_implIS3_Lb0EPKS5_PS5_PKlPlN2at6native12_GLOBAL__N_18offset_tEEE10hipError_tPvRmT1_PNSt15iterator_traitsISL_E10value_typeET2_T3_PNSM_ISR_E10value_typeET4_jRbjT5_SX_jjP12ihipStream_tbEUlT_E1_NS1_11comp_targetILNS1_3genE9ELNS1_11target_archE1100ELNS1_3gpuE3ELNS1_3repE0EEENS1_59segmented_radix_sort_warp_sort_small_config_static_selectorELNS0_4arch9wavefront6targetE1EEEvSL_,comdat
	.globl	_ZN7rocprim17ROCPRIM_400000_NS6detail17trampoline_kernelINS0_14default_configENS1_36segmented_radix_sort_config_selectorI12hip_bfloat16lEEZNS1_25segmented_radix_sort_implIS3_Lb0EPKS5_PS5_PKlPlN2at6native12_GLOBAL__N_18offset_tEEE10hipError_tPvRmT1_PNSt15iterator_traitsISL_E10value_typeET2_T3_PNSM_ISR_E10value_typeET4_jRbjT5_SX_jjP12ihipStream_tbEUlT_E1_NS1_11comp_targetILNS1_3genE9ELNS1_11target_archE1100ELNS1_3gpuE3ELNS1_3repE0EEENS1_59segmented_radix_sort_warp_sort_small_config_static_selectorELNS0_4arch9wavefront6targetE1EEEvSL_ ; -- Begin function _ZN7rocprim17ROCPRIM_400000_NS6detail17trampoline_kernelINS0_14default_configENS1_36segmented_radix_sort_config_selectorI12hip_bfloat16lEEZNS1_25segmented_radix_sort_implIS3_Lb0EPKS5_PS5_PKlPlN2at6native12_GLOBAL__N_18offset_tEEE10hipError_tPvRmT1_PNSt15iterator_traitsISL_E10value_typeET2_T3_PNSM_ISR_E10value_typeET4_jRbjT5_SX_jjP12ihipStream_tbEUlT_E1_NS1_11comp_targetILNS1_3genE9ELNS1_11target_archE1100ELNS1_3gpuE3ELNS1_3repE0EEENS1_59segmented_radix_sort_warp_sort_small_config_static_selectorELNS0_4arch9wavefront6targetE1EEEvSL_
	.p2align	8
	.type	_ZN7rocprim17ROCPRIM_400000_NS6detail17trampoline_kernelINS0_14default_configENS1_36segmented_radix_sort_config_selectorI12hip_bfloat16lEEZNS1_25segmented_radix_sort_implIS3_Lb0EPKS5_PS5_PKlPlN2at6native12_GLOBAL__N_18offset_tEEE10hipError_tPvRmT1_PNSt15iterator_traitsISL_E10value_typeET2_T3_PNSM_ISR_E10value_typeET4_jRbjT5_SX_jjP12ihipStream_tbEUlT_E1_NS1_11comp_targetILNS1_3genE9ELNS1_11target_archE1100ELNS1_3gpuE3ELNS1_3repE0EEENS1_59segmented_radix_sort_warp_sort_small_config_static_selectorELNS0_4arch9wavefront6targetE1EEEvSL_,@function
_ZN7rocprim17ROCPRIM_400000_NS6detail17trampoline_kernelINS0_14default_configENS1_36segmented_radix_sort_config_selectorI12hip_bfloat16lEEZNS1_25segmented_radix_sort_implIS3_Lb0EPKS5_PS5_PKlPlN2at6native12_GLOBAL__N_18offset_tEEE10hipError_tPvRmT1_PNSt15iterator_traitsISL_E10value_typeET2_T3_PNSM_ISR_E10value_typeET4_jRbjT5_SX_jjP12ihipStream_tbEUlT_E1_NS1_11comp_targetILNS1_3genE9ELNS1_11target_archE1100ELNS1_3gpuE3ELNS1_3repE0EEENS1_59segmented_radix_sort_warp_sort_small_config_static_selectorELNS0_4arch9wavefront6targetE1EEEvSL_: ; @_ZN7rocprim17ROCPRIM_400000_NS6detail17trampoline_kernelINS0_14default_configENS1_36segmented_radix_sort_config_selectorI12hip_bfloat16lEEZNS1_25segmented_radix_sort_implIS3_Lb0EPKS5_PS5_PKlPlN2at6native12_GLOBAL__N_18offset_tEEE10hipError_tPvRmT1_PNSt15iterator_traitsISL_E10value_typeET2_T3_PNSM_ISR_E10value_typeET4_jRbjT5_SX_jjP12ihipStream_tbEUlT_E1_NS1_11comp_targetILNS1_3genE9ELNS1_11target_archE1100ELNS1_3gpuE3ELNS1_3repE0EEENS1_59segmented_radix_sort_warp_sort_small_config_static_selectorELNS0_4arch9wavefront6targetE1EEEvSL_
; %bb.0:
	.section	.rodata,"a",@progbits
	.p2align	6, 0x0
	.amdhsa_kernel _ZN7rocprim17ROCPRIM_400000_NS6detail17trampoline_kernelINS0_14default_configENS1_36segmented_radix_sort_config_selectorI12hip_bfloat16lEEZNS1_25segmented_radix_sort_implIS3_Lb0EPKS5_PS5_PKlPlN2at6native12_GLOBAL__N_18offset_tEEE10hipError_tPvRmT1_PNSt15iterator_traitsISL_E10value_typeET2_T3_PNSM_ISR_E10value_typeET4_jRbjT5_SX_jjP12ihipStream_tbEUlT_E1_NS1_11comp_targetILNS1_3genE9ELNS1_11target_archE1100ELNS1_3gpuE3ELNS1_3repE0EEENS1_59segmented_radix_sort_warp_sort_small_config_static_selectorELNS0_4arch9wavefront6targetE1EEEvSL_
		.amdhsa_group_segment_fixed_size 0
		.amdhsa_private_segment_fixed_size 0
		.amdhsa_kernarg_size 88
		.amdhsa_user_sgpr_count 6
		.amdhsa_user_sgpr_private_segment_buffer 1
		.amdhsa_user_sgpr_dispatch_ptr 0
		.amdhsa_user_sgpr_queue_ptr 0
		.amdhsa_user_sgpr_kernarg_segment_ptr 1
		.amdhsa_user_sgpr_dispatch_id 0
		.amdhsa_user_sgpr_flat_scratch_init 0
		.amdhsa_user_sgpr_kernarg_preload_length 0
		.amdhsa_user_sgpr_kernarg_preload_offset 0
		.amdhsa_user_sgpr_private_segment_size 0
		.amdhsa_uses_dynamic_stack 0
		.amdhsa_system_sgpr_private_segment_wavefront_offset 0
		.amdhsa_system_sgpr_workgroup_id_x 1
		.amdhsa_system_sgpr_workgroup_id_y 0
		.amdhsa_system_sgpr_workgroup_id_z 0
		.amdhsa_system_sgpr_workgroup_info 0
		.amdhsa_system_vgpr_workitem_id 0
		.amdhsa_next_free_vgpr 1
		.amdhsa_next_free_sgpr 0
		.amdhsa_accum_offset 4
		.amdhsa_reserve_vcc 0
		.amdhsa_reserve_flat_scratch 0
		.amdhsa_float_round_mode_32 0
		.amdhsa_float_round_mode_16_64 0
		.amdhsa_float_denorm_mode_32 3
		.amdhsa_float_denorm_mode_16_64 3
		.amdhsa_dx10_clamp 1
		.amdhsa_ieee_mode 1
		.amdhsa_fp16_overflow 0
		.amdhsa_tg_split 0
		.amdhsa_exception_fp_ieee_invalid_op 0
		.amdhsa_exception_fp_denorm_src 0
		.amdhsa_exception_fp_ieee_div_zero 0
		.amdhsa_exception_fp_ieee_overflow 0
		.amdhsa_exception_fp_ieee_underflow 0
		.amdhsa_exception_fp_ieee_inexact 0
		.amdhsa_exception_int_div_zero 0
	.end_amdhsa_kernel
	.section	.text._ZN7rocprim17ROCPRIM_400000_NS6detail17trampoline_kernelINS0_14default_configENS1_36segmented_radix_sort_config_selectorI12hip_bfloat16lEEZNS1_25segmented_radix_sort_implIS3_Lb0EPKS5_PS5_PKlPlN2at6native12_GLOBAL__N_18offset_tEEE10hipError_tPvRmT1_PNSt15iterator_traitsISL_E10value_typeET2_T3_PNSM_ISR_E10value_typeET4_jRbjT5_SX_jjP12ihipStream_tbEUlT_E1_NS1_11comp_targetILNS1_3genE9ELNS1_11target_archE1100ELNS1_3gpuE3ELNS1_3repE0EEENS1_59segmented_radix_sort_warp_sort_small_config_static_selectorELNS0_4arch9wavefront6targetE1EEEvSL_,"axG",@progbits,_ZN7rocprim17ROCPRIM_400000_NS6detail17trampoline_kernelINS0_14default_configENS1_36segmented_radix_sort_config_selectorI12hip_bfloat16lEEZNS1_25segmented_radix_sort_implIS3_Lb0EPKS5_PS5_PKlPlN2at6native12_GLOBAL__N_18offset_tEEE10hipError_tPvRmT1_PNSt15iterator_traitsISL_E10value_typeET2_T3_PNSM_ISR_E10value_typeET4_jRbjT5_SX_jjP12ihipStream_tbEUlT_E1_NS1_11comp_targetILNS1_3genE9ELNS1_11target_archE1100ELNS1_3gpuE3ELNS1_3repE0EEENS1_59segmented_radix_sort_warp_sort_small_config_static_selectorELNS0_4arch9wavefront6targetE1EEEvSL_,comdat
.Lfunc_end2075:
	.size	_ZN7rocprim17ROCPRIM_400000_NS6detail17trampoline_kernelINS0_14default_configENS1_36segmented_radix_sort_config_selectorI12hip_bfloat16lEEZNS1_25segmented_radix_sort_implIS3_Lb0EPKS5_PS5_PKlPlN2at6native12_GLOBAL__N_18offset_tEEE10hipError_tPvRmT1_PNSt15iterator_traitsISL_E10value_typeET2_T3_PNSM_ISR_E10value_typeET4_jRbjT5_SX_jjP12ihipStream_tbEUlT_E1_NS1_11comp_targetILNS1_3genE9ELNS1_11target_archE1100ELNS1_3gpuE3ELNS1_3repE0EEENS1_59segmented_radix_sort_warp_sort_small_config_static_selectorELNS0_4arch9wavefront6targetE1EEEvSL_, .Lfunc_end2075-_ZN7rocprim17ROCPRIM_400000_NS6detail17trampoline_kernelINS0_14default_configENS1_36segmented_radix_sort_config_selectorI12hip_bfloat16lEEZNS1_25segmented_radix_sort_implIS3_Lb0EPKS5_PS5_PKlPlN2at6native12_GLOBAL__N_18offset_tEEE10hipError_tPvRmT1_PNSt15iterator_traitsISL_E10value_typeET2_T3_PNSM_ISR_E10value_typeET4_jRbjT5_SX_jjP12ihipStream_tbEUlT_E1_NS1_11comp_targetILNS1_3genE9ELNS1_11target_archE1100ELNS1_3gpuE3ELNS1_3repE0EEENS1_59segmented_radix_sort_warp_sort_small_config_static_selectorELNS0_4arch9wavefront6targetE1EEEvSL_
                                        ; -- End function
	.section	.AMDGPU.csdata,"",@progbits
; Kernel info:
; codeLenInByte = 0
; NumSgprs: 4
; NumVgprs: 0
; NumAgprs: 0
; TotalNumVgprs: 0
; ScratchSize: 0
; MemoryBound: 0
; FloatMode: 240
; IeeeMode: 1
; LDSByteSize: 0 bytes/workgroup (compile time only)
; SGPRBlocks: 0
; VGPRBlocks: 0
; NumSGPRsForWavesPerEU: 4
; NumVGPRsForWavesPerEU: 1
; AccumOffset: 4
; Occupancy: 8
; WaveLimiterHint : 0
; COMPUTE_PGM_RSRC2:SCRATCH_EN: 0
; COMPUTE_PGM_RSRC2:USER_SGPR: 6
; COMPUTE_PGM_RSRC2:TRAP_HANDLER: 0
; COMPUTE_PGM_RSRC2:TGID_X_EN: 1
; COMPUTE_PGM_RSRC2:TGID_Y_EN: 0
; COMPUTE_PGM_RSRC2:TGID_Z_EN: 0
; COMPUTE_PGM_RSRC2:TIDIG_COMP_CNT: 0
; COMPUTE_PGM_RSRC3_GFX90A:ACCUM_OFFSET: 0
; COMPUTE_PGM_RSRC3_GFX90A:TG_SPLIT: 0
	.section	.text._ZN7rocprim17ROCPRIM_400000_NS6detail17trampoline_kernelINS0_14default_configENS1_36segmented_radix_sort_config_selectorI12hip_bfloat16lEEZNS1_25segmented_radix_sort_implIS3_Lb0EPKS5_PS5_PKlPlN2at6native12_GLOBAL__N_18offset_tEEE10hipError_tPvRmT1_PNSt15iterator_traitsISL_E10value_typeET2_T3_PNSM_ISR_E10value_typeET4_jRbjT5_SX_jjP12ihipStream_tbEUlT_E1_NS1_11comp_targetILNS1_3genE8ELNS1_11target_archE1030ELNS1_3gpuE2ELNS1_3repE0EEENS1_59segmented_radix_sort_warp_sort_small_config_static_selectorELNS0_4arch9wavefront6targetE1EEEvSL_,"axG",@progbits,_ZN7rocprim17ROCPRIM_400000_NS6detail17trampoline_kernelINS0_14default_configENS1_36segmented_radix_sort_config_selectorI12hip_bfloat16lEEZNS1_25segmented_radix_sort_implIS3_Lb0EPKS5_PS5_PKlPlN2at6native12_GLOBAL__N_18offset_tEEE10hipError_tPvRmT1_PNSt15iterator_traitsISL_E10value_typeET2_T3_PNSM_ISR_E10value_typeET4_jRbjT5_SX_jjP12ihipStream_tbEUlT_E1_NS1_11comp_targetILNS1_3genE8ELNS1_11target_archE1030ELNS1_3gpuE2ELNS1_3repE0EEENS1_59segmented_radix_sort_warp_sort_small_config_static_selectorELNS0_4arch9wavefront6targetE1EEEvSL_,comdat
	.globl	_ZN7rocprim17ROCPRIM_400000_NS6detail17trampoline_kernelINS0_14default_configENS1_36segmented_radix_sort_config_selectorI12hip_bfloat16lEEZNS1_25segmented_radix_sort_implIS3_Lb0EPKS5_PS5_PKlPlN2at6native12_GLOBAL__N_18offset_tEEE10hipError_tPvRmT1_PNSt15iterator_traitsISL_E10value_typeET2_T3_PNSM_ISR_E10value_typeET4_jRbjT5_SX_jjP12ihipStream_tbEUlT_E1_NS1_11comp_targetILNS1_3genE8ELNS1_11target_archE1030ELNS1_3gpuE2ELNS1_3repE0EEENS1_59segmented_radix_sort_warp_sort_small_config_static_selectorELNS0_4arch9wavefront6targetE1EEEvSL_ ; -- Begin function _ZN7rocprim17ROCPRIM_400000_NS6detail17trampoline_kernelINS0_14default_configENS1_36segmented_radix_sort_config_selectorI12hip_bfloat16lEEZNS1_25segmented_radix_sort_implIS3_Lb0EPKS5_PS5_PKlPlN2at6native12_GLOBAL__N_18offset_tEEE10hipError_tPvRmT1_PNSt15iterator_traitsISL_E10value_typeET2_T3_PNSM_ISR_E10value_typeET4_jRbjT5_SX_jjP12ihipStream_tbEUlT_E1_NS1_11comp_targetILNS1_3genE8ELNS1_11target_archE1030ELNS1_3gpuE2ELNS1_3repE0EEENS1_59segmented_radix_sort_warp_sort_small_config_static_selectorELNS0_4arch9wavefront6targetE1EEEvSL_
	.p2align	8
	.type	_ZN7rocprim17ROCPRIM_400000_NS6detail17trampoline_kernelINS0_14default_configENS1_36segmented_radix_sort_config_selectorI12hip_bfloat16lEEZNS1_25segmented_radix_sort_implIS3_Lb0EPKS5_PS5_PKlPlN2at6native12_GLOBAL__N_18offset_tEEE10hipError_tPvRmT1_PNSt15iterator_traitsISL_E10value_typeET2_T3_PNSM_ISR_E10value_typeET4_jRbjT5_SX_jjP12ihipStream_tbEUlT_E1_NS1_11comp_targetILNS1_3genE8ELNS1_11target_archE1030ELNS1_3gpuE2ELNS1_3repE0EEENS1_59segmented_radix_sort_warp_sort_small_config_static_selectorELNS0_4arch9wavefront6targetE1EEEvSL_,@function
_ZN7rocprim17ROCPRIM_400000_NS6detail17trampoline_kernelINS0_14default_configENS1_36segmented_radix_sort_config_selectorI12hip_bfloat16lEEZNS1_25segmented_radix_sort_implIS3_Lb0EPKS5_PS5_PKlPlN2at6native12_GLOBAL__N_18offset_tEEE10hipError_tPvRmT1_PNSt15iterator_traitsISL_E10value_typeET2_T3_PNSM_ISR_E10value_typeET4_jRbjT5_SX_jjP12ihipStream_tbEUlT_E1_NS1_11comp_targetILNS1_3genE8ELNS1_11target_archE1030ELNS1_3gpuE2ELNS1_3repE0EEENS1_59segmented_radix_sort_warp_sort_small_config_static_selectorELNS0_4arch9wavefront6targetE1EEEvSL_: ; @_ZN7rocprim17ROCPRIM_400000_NS6detail17trampoline_kernelINS0_14default_configENS1_36segmented_radix_sort_config_selectorI12hip_bfloat16lEEZNS1_25segmented_radix_sort_implIS3_Lb0EPKS5_PS5_PKlPlN2at6native12_GLOBAL__N_18offset_tEEE10hipError_tPvRmT1_PNSt15iterator_traitsISL_E10value_typeET2_T3_PNSM_ISR_E10value_typeET4_jRbjT5_SX_jjP12ihipStream_tbEUlT_E1_NS1_11comp_targetILNS1_3genE8ELNS1_11target_archE1030ELNS1_3gpuE2ELNS1_3repE0EEENS1_59segmented_radix_sort_warp_sort_small_config_static_selectorELNS0_4arch9wavefront6targetE1EEEvSL_
; %bb.0:
	.section	.rodata,"a",@progbits
	.p2align	6, 0x0
	.amdhsa_kernel _ZN7rocprim17ROCPRIM_400000_NS6detail17trampoline_kernelINS0_14default_configENS1_36segmented_radix_sort_config_selectorI12hip_bfloat16lEEZNS1_25segmented_radix_sort_implIS3_Lb0EPKS5_PS5_PKlPlN2at6native12_GLOBAL__N_18offset_tEEE10hipError_tPvRmT1_PNSt15iterator_traitsISL_E10value_typeET2_T3_PNSM_ISR_E10value_typeET4_jRbjT5_SX_jjP12ihipStream_tbEUlT_E1_NS1_11comp_targetILNS1_3genE8ELNS1_11target_archE1030ELNS1_3gpuE2ELNS1_3repE0EEENS1_59segmented_radix_sort_warp_sort_small_config_static_selectorELNS0_4arch9wavefront6targetE1EEEvSL_
		.amdhsa_group_segment_fixed_size 0
		.amdhsa_private_segment_fixed_size 0
		.amdhsa_kernarg_size 88
		.amdhsa_user_sgpr_count 6
		.amdhsa_user_sgpr_private_segment_buffer 1
		.amdhsa_user_sgpr_dispatch_ptr 0
		.amdhsa_user_sgpr_queue_ptr 0
		.amdhsa_user_sgpr_kernarg_segment_ptr 1
		.amdhsa_user_sgpr_dispatch_id 0
		.amdhsa_user_sgpr_flat_scratch_init 0
		.amdhsa_user_sgpr_kernarg_preload_length 0
		.amdhsa_user_sgpr_kernarg_preload_offset 0
		.amdhsa_user_sgpr_private_segment_size 0
		.amdhsa_uses_dynamic_stack 0
		.amdhsa_system_sgpr_private_segment_wavefront_offset 0
		.amdhsa_system_sgpr_workgroup_id_x 1
		.amdhsa_system_sgpr_workgroup_id_y 0
		.amdhsa_system_sgpr_workgroup_id_z 0
		.amdhsa_system_sgpr_workgroup_info 0
		.amdhsa_system_vgpr_workitem_id 0
		.amdhsa_next_free_vgpr 1
		.amdhsa_next_free_sgpr 0
		.amdhsa_accum_offset 4
		.amdhsa_reserve_vcc 0
		.amdhsa_reserve_flat_scratch 0
		.amdhsa_float_round_mode_32 0
		.amdhsa_float_round_mode_16_64 0
		.amdhsa_float_denorm_mode_32 3
		.amdhsa_float_denorm_mode_16_64 3
		.amdhsa_dx10_clamp 1
		.amdhsa_ieee_mode 1
		.amdhsa_fp16_overflow 0
		.amdhsa_tg_split 0
		.amdhsa_exception_fp_ieee_invalid_op 0
		.amdhsa_exception_fp_denorm_src 0
		.amdhsa_exception_fp_ieee_div_zero 0
		.amdhsa_exception_fp_ieee_overflow 0
		.amdhsa_exception_fp_ieee_underflow 0
		.amdhsa_exception_fp_ieee_inexact 0
		.amdhsa_exception_int_div_zero 0
	.end_amdhsa_kernel
	.section	.text._ZN7rocprim17ROCPRIM_400000_NS6detail17trampoline_kernelINS0_14default_configENS1_36segmented_radix_sort_config_selectorI12hip_bfloat16lEEZNS1_25segmented_radix_sort_implIS3_Lb0EPKS5_PS5_PKlPlN2at6native12_GLOBAL__N_18offset_tEEE10hipError_tPvRmT1_PNSt15iterator_traitsISL_E10value_typeET2_T3_PNSM_ISR_E10value_typeET4_jRbjT5_SX_jjP12ihipStream_tbEUlT_E1_NS1_11comp_targetILNS1_3genE8ELNS1_11target_archE1030ELNS1_3gpuE2ELNS1_3repE0EEENS1_59segmented_radix_sort_warp_sort_small_config_static_selectorELNS0_4arch9wavefront6targetE1EEEvSL_,"axG",@progbits,_ZN7rocprim17ROCPRIM_400000_NS6detail17trampoline_kernelINS0_14default_configENS1_36segmented_radix_sort_config_selectorI12hip_bfloat16lEEZNS1_25segmented_radix_sort_implIS3_Lb0EPKS5_PS5_PKlPlN2at6native12_GLOBAL__N_18offset_tEEE10hipError_tPvRmT1_PNSt15iterator_traitsISL_E10value_typeET2_T3_PNSM_ISR_E10value_typeET4_jRbjT5_SX_jjP12ihipStream_tbEUlT_E1_NS1_11comp_targetILNS1_3genE8ELNS1_11target_archE1030ELNS1_3gpuE2ELNS1_3repE0EEENS1_59segmented_radix_sort_warp_sort_small_config_static_selectorELNS0_4arch9wavefront6targetE1EEEvSL_,comdat
.Lfunc_end2076:
	.size	_ZN7rocprim17ROCPRIM_400000_NS6detail17trampoline_kernelINS0_14default_configENS1_36segmented_radix_sort_config_selectorI12hip_bfloat16lEEZNS1_25segmented_radix_sort_implIS3_Lb0EPKS5_PS5_PKlPlN2at6native12_GLOBAL__N_18offset_tEEE10hipError_tPvRmT1_PNSt15iterator_traitsISL_E10value_typeET2_T3_PNSM_ISR_E10value_typeET4_jRbjT5_SX_jjP12ihipStream_tbEUlT_E1_NS1_11comp_targetILNS1_3genE8ELNS1_11target_archE1030ELNS1_3gpuE2ELNS1_3repE0EEENS1_59segmented_radix_sort_warp_sort_small_config_static_selectorELNS0_4arch9wavefront6targetE1EEEvSL_, .Lfunc_end2076-_ZN7rocprim17ROCPRIM_400000_NS6detail17trampoline_kernelINS0_14default_configENS1_36segmented_radix_sort_config_selectorI12hip_bfloat16lEEZNS1_25segmented_radix_sort_implIS3_Lb0EPKS5_PS5_PKlPlN2at6native12_GLOBAL__N_18offset_tEEE10hipError_tPvRmT1_PNSt15iterator_traitsISL_E10value_typeET2_T3_PNSM_ISR_E10value_typeET4_jRbjT5_SX_jjP12ihipStream_tbEUlT_E1_NS1_11comp_targetILNS1_3genE8ELNS1_11target_archE1030ELNS1_3gpuE2ELNS1_3repE0EEENS1_59segmented_radix_sort_warp_sort_small_config_static_selectorELNS0_4arch9wavefront6targetE1EEEvSL_
                                        ; -- End function
	.section	.AMDGPU.csdata,"",@progbits
; Kernel info:
; codeLenInByte = 0
; NumSgprs: 4
; NumVgprs: 0
; NumAgprs: 0
; TotalNumVgprs: 0
; ScratchSize: 0
; MemoryBound: 0
; FloatMode: 240
; IeeeMode: 1
; LDSByteSize: 0 bytes/workgroup (compile time only)
; SGPRBlocks: 0
; VGPRBlocks: 0
; NumSGPRsForWavesPerEU: 4
; NumVGPRsForWavesPerEU: 1
; AccumOffset: 4
; Occupancy: 8
; WaveLimiterHint : 0
; COMPUTE_PGM_RSRC2:SCRATCH_EN: 0
; COMPUTE_PGM_RSRC2:USER_SGPR: 6
; COMPUTE_PGM_RSRC2:TRAP_HANDLER: 0
; COMPUTE_PGM_RSRC2:TGID_X_EN: 1
; COMPUTE_PGM_RSRC2:TGID_Y_EN: 0
; COMPUTE_PGM_RSRC2:TGID_Z_EN: 0
; COMPUTE_PGM_RSRC2:TIDIG_COMP_CNT: 0
; COMPUTE_PGM_RSRC3_GFX90A:ACCUM_OFFSET: 0
; COMPUTE_PGM_RSRC3_GFX90A:TG_SPLIT: 0
	.section	.text._ZN7rocprim17ROCPRIM_400000_NS6detail17trampoline_kernelINS0_14default_configENS1_36segmented_radix_sort_config_selectorI12hip_bfloat16lEEZNS1_25segmented_radix_sort_implIS3_Lb0EPKS5_PS5_PKlPlN2at6native12_GLOBAL__N_18offset_tEEE10hipError_tPvRmT1_PNSt15iterator_traitsISL_E10value_typeET2_T3_PNSM_ISR_E10value_typeET4_jRbjT5_SX_jjP12ihipStream_tbEUlT_E2_NS1_11comp_targetILNS1_3genE0ELNS1_11target_archE4294967295ELNS1_3gpuE0ELNS1_3repE0EEENS1_30default_config_static_selectorELNS0_4arch9wavefront6targetE1EEEvSL_,"axG",@progbits,_ZN7rocprim17ROCPRIM_400000_NS6detail17trampoline_kernelINS0_14default_configENS1_36segmented_radix_sort_config_selectorI12hip_bfloat16lEEZNS1_25segmented_radix_sort_implIS3_Lb0EPKS5_PS5_PKlPlN2at6native12_GLOBAL__N_18offset_tEEE10hipError_tPvRmT1_PNSt15iterator_traitsISL_E10value_typeET2_T3_PNSM_ISR_E10value_typeET4_jRbjT5_SX_jjP12ihipStream_tbEUlT_E2_NS1_11comp_targetILNS1_3genE0ELNS1_11target_archE4294967295ELNS1_3gpuE0ELNS1_3repE0EEENS1_30default_config_static_selectorELNS0_4arch9wavefront6targetE1EEEvSL_,comdat
	.globl	_ZN7rocprim17ROCPRIM_400000_NS6detail17trampoline_kernelINS0_14default_configENS1_36segmented_radix_sort_config_selectorI12hip_bfloat16lEEZNS1_25segmented_radix_sort_implIS3_Lb0EPKS5_PS5_PKlPlN2at6native12_GLOBAL__N_18offset_tEEE10hipError_tPvRmT1_PNSt15iterator_traitsISL_E10value_typeET2_T3_PNSM_ISR_E10value_typeET4_jRbjT5_SX_jjP12ihipStream_tbEUlT_E2_NS1_11comp_targetILNS1_3genE0ELNS1_11target_archE4294967295ELNS1_3gpuE0ELNS1_3repE0EEENS1_30default_config_static_selectorELNS0_4arch9wavefront6targetE1EEEvSL_ ; -- Begin function _ZN7rocprim17ROCPRIM_400000_NS6detail17trampoline_kernelINS0_14default_configENS1_36segmented_radix_sort_config_selectorI12hip_bfloat16lEEZNS1_25segmented_radix_sort_implIS3_Lb0EPKS5_PS5_PKlPlN2at6native12_GLOBAL__N_18offset_tEEE10hipError_tPvRmT1_PNSt15iterator_traitsISL_E10value_typeET2_T3_PNSM_ISR_E10value_typeET4_jRbjT5_SX_jjP12ihipStream_tbEUlT_E2_NS1_11comp_targetILNS1_3genE0ELNS1_11target_archE4294967295ELNS1_3gpuE0ELNS1_3repE0EEENS1_30default_config_static_selectorELNS0_4arch9wavefront6targetE1EEEvSL_
	.p2align	8
	.type	_ZN7rocprim17ROCPRIM_400000_NS6detail17trampoline_kernelINS0_14default_configENS1_36segmented_radix_sort_config_selectorI12hip_bfloat16lEEZNS1_25segmented_radix_sort_implIS3_Lb0EPKS5_PS5_PKlPlN2at6native12_GLOBAL__N_18offset_tEEE10hipError_tPvRmT1_PNSt15iterator_traitsISL_E10value_typeET2_T3_PNSM_ISR_E10value_typeET4_jRbjT5_SX_jjP12ihipStream_tbEUlT_E2_NS1_11comp_targetILNS1_3genE0ELNS1_11target_archE4294967295ELNS1_3gpuE0ELNS1_3repE0EEENS1_30default_config_static_selectorELNS0_4arch9wavefront6targetE1EEEvSL_,@function
_ZN7rocprim17ROCPRIM_400000_NS6detail17trampoline_kernelINS0_14default_configENS1_36segmented_radix_sort_config_selectorI12hip_bfloat16lEEZNS1_25segmented_radix_sort_implIS3_Lb0EPKS5_PS5_PKlPlN2at6native12_GLOBAL__N_18offset_tEEE10hipError_tPvRmT1_PNSt15iterator_traitsISL_E10value_typeET2_T3_PNSM_ISR_E10value_typeET4_jRbjT5_SX_jjP12ihipStream_tbEUlT_E2_NS1_11comp_targetILNS1_3genE0ELNS1_11target_archE4294967295ELNS1_3gpuE0ELNS1_3repE0EEENS1_30default_config_static_selectorELNS0_4arch9wavefront6targetE1EEEvSL_: ; @_ZN7rocprim17ROCPRIM_400000_NS6detail17trampoline_kernelINS0_14default_configENS1_36segmented_radix_sort_config_selectorI12hip_bfloat16lEEZNS1_25segmented_radix_sort_implIS3_Lb0EPKS5_PS5_PKlPlN2at6native12_GLOBAL__N_18offset_tEEE10hipError_tPvRmT1_PNSt15iterator_traitsISL_E10value_typeET2_T3_PNSM_ISR_E10value_typeET4_jRbjT5_SX_jjP12ihipStream_tbEUlT_E2_NS1_11comp_targetILNS1_3genE0ELNS1_11target_archE4294967295ELNS1_3gpuE0ELNS1_3repE0EEENS1_30default_config_static_selectorELNS0_4arch9wavefront6targetE1EEEvSL_
; %bb.0:
	.section	.rodata,"a",@progbits
	.p2align	6, 0x0
	.amdhsa_kernel _ZN7rocprim17ROCPRIM_400000_NS6detail17trampoline_kernelINS0_14default_configENS1_36segmented_radix_sort_config_selectorI12hip_bfloat16lEEZNS1_25segmented_radix_sort_implIS3_Lb0EPKS5_PS5_PKlPlN2at6native12_GLOBAL__N_18offset_tEEE10hipError_tPvRmT1_PNSt15iterator_traitsISL_E10value_typeET2_T3_PNSM_ISR_E10value_typeET4_jRbjT5_SX_jjP12ihipStream_tbEUlT_E2_NS1_11comp_targetILNS1_3genE0ELNS1_11target_archE4294967295ELNS1_3gpuE0ELNS1_3repE0EEENS1_30default_config_static_selectorELNS0_4arch9wavefront6targetE1EEEvSL_
		.amdhsa_group_segment_fixed_size 0
		.amdhsa_private_segment_fixed_size 0
		.amdhsa_kernarg_size 80
		.amdhsa_user_sgpr_count 6
		.amdhsa_user_sgpr_private_segment_buffer 1
		.amdhsa_user_sgpr_dispatch_ptr 0
		.amdhsa_user_sgpr_queue_ptr 0
		.amdhsa_user_sgpr_kernarg_segment_ptr 1
		.amdhsa_user_sgpr_dispatch_id 0
		.amdhsa_user_sgpr_flat_scratch_init 0
		.amdhsa_user_sgpr_kernarg_preload_length 0
		.amdhsa_user_sgpr_kernarg_preload_offset 0
		.amdhsa_user_sgpr_private_segment_size 0
		.amdhsa_uses_dynamic_stack 0
		.amdhsa_system_sgpr_private_segment_wavefront_offset 0
		.amdhsa_system_sgpr_workgroup_id_x 1
		.amdhsa_system_sgpr_workgroup_id_y 0
		.amdhsa_system_sgpr_workgroup_id_z 0
		.amdhsa_system_sgpr_workgroup_info 0
		.amdhsa_system_vgpr_workitem_id 0
		.amdhsa_next_free_vgpr 1
		.amdhsa_next_free_sgpr 0
		.amdhsa_accum_offset 4
		.amdhsa_reserve_vcc 0
		.amdhsa_reserve_flat_scratch 0
		.amdhsa_float_round_mode_32 0
		.amdhsa_float_round_mode_16_64 0
		.amdhsa_float_denorm_mode_32 3
		.amdhsa_float_denorm_mode_16_64 3
		.amdhsa_dx10_clamp 1
		.amdhsa_ieee_mode 1
		.amdhsa_fp16_overflow 0
		.amdhsa_tg_split 0
		.amdhsa_exception_fp_ieee_invalid_op 0
		.amdhsa_exception_fp_denorm_src 0
		.amdhsa_exception_fp_ieee_div_zero 0
		.amdhsa_exception_fp_ieee_overflow 0
		.amdhsa_exception_fp_ieee_underflow 0
		.amdhsa_exception_fp_ieee_inexact 0
		.amdhsa_exception_int_div_zero 0
	.end_amdhsa_kernel
	.section	.text._ZN7rocprim17ROCPRIM_400000_NS6detail17trampoline_kernelINS0_14default_configENS1_36segmented_radix_sort_config_selectorI12hip_bfloat16lEEZNS1_25segmented_radix_sort_implIS3_Lb0EPKS5_PS5_PKlPlN2at6native12_GLOBAL__N_18offset_tEEE10hipError_tPvRmT1_PNSt15iterator_traitsISL_E10value_typeET2_T3_PNSM_ISR_E10value_typeET4_jRbjT5_SX_jjP12ihipStream_tbEUlT_E2_NS1_11comp_targetILNS1_3genE0ELNS1_11target_archE4294967295ELNS1_3gpuE0ELNS1_3repE0EEENS1_30default_config_static_selectorELNS0_4arch9wavefront6targetE1EEEvSL_,"axG",@progbits,_ZN7rocprim17ROCPRIM_400000_NS6detail17trampoline_kernelINS0_14default_configENS1_36segmented_radix_sort_config_selectorI12hip_bfloat16lEEZNS1_25segmented_radix_sort_implIS3_Lb0EPKS5_PS5_PKlPlN2at6native12_GLOBAL__N_18offset_tEEE10hipError_tPvRmT1_PNSt15iterator_traitsISL_E10value_typeET2_T3_PNSM_ISR_E10value_typeET4_jRbjT5_SX_jjP12ihipStream_tbEUlT_E2_NS1_11comp_targetILNS1_3genE0ELNS1_11target_archE4294967295ELNS1_3gpuE0ELNS1_3repE0EEENS1_30default_config_static_selectorELNS0_4arch9wavefront6targetE1EEEvSL_,comdat
.Lfunc_end2077:
	.size	_ZN7rocprim17ROCPRIM_400000_NS6detail17trampoline_kernelINS0_14default_configENS1_36segmented_radix_sort_config_selectorI12hip_bfloat16lEEZNS1_25segmented_radix_sort_implIS3_Lb0EPKS5_PS5_PKlPlN2at6native12_GLOBAL__N_18offset_tEEE10hipError_tPvRmT1_PNSt15iterator_traitsISL_E10value_typeET2_T3_PNSM_ISR_E10value_typeET4_jRbjT5_SX_jjP12ihipStream_tbEUlT_E2_NS1_11comp_targetILNS1_3genE0ELNS1_11target_archE4294967295ELNS1_3gpuE0ELNS1_3repE0EEENS1_30default_config_static_selectorELNS0_4arch9wavefront6targetE1EEEvSL_, .Lfunc_end2077-_ZN7rocprim17ROCPRIM_400000_NS6detail17trampoline_kernelINS0_14default_configENS1_36segmented_radix_sort_config_selectorI12hip_bfloat16lEEZNS1_25segmented_radix_sort_implIS3_Lb0EPKS5_PS5_PKlPlN2at6native12_GLOBAL__N_18offset_tEEE10hipError_tPvRmT1_PNSt15iterator_traitsISL_E10value_typeET2_T3_PNSM_ISR_E10value_typeET4_jRbjT5_SX_jjP12ihipStream_tbEUlT_E2_NS1_11comp_targetILNS1_3genE0ELNS1_11target_archE4294967295ELNS1_3gpuE0ELNS1_3repE0EEENS1_30default_config_static_selectorELNS0_4arch9wavefront6targetE1EEEvSL_
                                        ; -- End function
	.section	.AMDGPU.csdata,"",@progbits
; Kernel info:
; codeLenInByte = 0
; NumSgprs: 4
; NumVgprs: 0
; NumAgprs: 0
; TotalNumVgprs: 0
; ScratchSize: 0
; MemoryBound: 0
; FloatMode: 240
; IeeeMode: 1
; LDSByteSize: 0 bytes/workgroup (compile time only)
; SGPRBlocks: 0
; VGPRBlocks: 0
; NumSGPRsForWavesPerEU: 4
; NumVGPRsForWavesPerEU: 1
; AccumOffset: 4
; Occupancy: 8
; WaveLimiterHint : 0
; COMPUTE_PGM_RSRC2:SCRATCH_EN: 0
; COMPUTE_PGM_RSRC2:USER_SGPR: 6
; COMPUTE_PGM_RSRC2:TRAP_HANDLER: 0
; COMPUTE_PGM_RSRC2:TGID_X_EN: 1
; COMPUTE_PGM_RSRC2:TGID_Y_EN: 0
; COMPUTE_PGM_RSRC2:TGID_Z_EN: 0
; COMPUTE_PGM_RSRC2:TIDIG_COMP_CNT: 0
; COMPUTE_PGM_RSRC3_GFX90A:ACCUM_OFFSET: 0
; COMPUTE_PGM_RSRC3_GFX90A:TG_SPLIT: 0
	.section	.text._ZN7rocprim17ROCPRIM_400000_NS6detail17trampoline_kernelINS0_14default_configENS1_36segmented_radix_sort_config_selectorI12hip_bfloat16lEEZNS1_25segmented_radix_sort_implIS3_Lb0EPKS5_PS5_PKlPlN2at6native12_GLOBAL__N_18offset_tEEE10hipError_tPvRmT1_PNSt15iterator_traitsISL_E10value_typeET2_T3_PNSM_ISR_E10value_typeET4_jRbjT5_SX_jjP12ihipStream_tbEUlT_E2_NS1_11comp_targetILNS1_3genE5ELNS1_11target_archE942ELNS1_3gpuE9ELNS1_3repE0EEENS1_30default_config_static_selectorELNS0_4arch9wavefront6targetE1EEEvSL_,"axG",@progbits,_ZN7rocprim17ROCPRIM_400000_NS6detail17trampoline_kernelINS0_14default_configENS1_36segmented_radix_sort_config_selectorI12hip_bfloat16lEEZNS1_25segmented_radix_sort_implIS3_Lb0EPKS5_PS5_PKlPlN2at6native12_GLOBAL__N_18offset_tEEE10hipError_tPvRmT1_PNSt15iterator_traitsISL_E10value_typeET2_T3_PNSM_ISR_E10value_typeET4_jRbjT5_SX_jjP12ihipStream_tbEUlT_E2_NS1_11comp_targetILNS1_3genE5ELNS1_11target_archE942ELNS1_3gpuE9ELNS1_3repE0EEENS1_30default_config_static_selectorELNS0_4arch9wavefront6targetE1EEEvSL_,comdat
	.globl	_ZN7rocprim17ROCPRIM_400000_NS6detail17trampoline_kernelINS0_14default_configENS1_36segmented_radix_sort_config_selectorI12hip_bfloat16lEEZNS1_25segmented_radix_sort_implIS3_Lb0EPKS5_PS5_PKlPlN2at6native12_GLOBAL__N_18offset_tEEE10hipError_tPvRmT1_PNSt15iterator_traitsISL_E10value_typeET2_T3_PNSM_ISR_E10value_typeET4_jRbjT5_SX_jjP12ihipStream_tbEUlT_E2_NS1_11comp_targetILNS1_3genE5ELNS1_11target_archE942ELNS1_3gpuE9ELNS1_3repE0EEENS1_30default_config_static_selectorELNS0_4arch9wavefront6targetE1EEEvSL_ ; -- Begin function _ZN7rocprim17ROCPRIM_400000_NS6detail17trampoline_kernelINS0_14default_configENS1_36segmented_radix_sort_config_selectorI12hip_bfloat16lEEZNS1_25segmented_radix_sort_implIS3_Lb0EPKS5_PS5_PKlPlN2at6native12_GLOBAL__N_18offset_tEEE10hipError_tPvRmT1_PNSt15iterator_traitsISL_E10value_typeET2_T3_PNSM_ISR_E10value_typeET4_jRbjT5_SX_jjP12ihipStream_tbEUlT_E2_NS1_11comp_targetILNS1_3genE5ELNS1_11target_archE942ELNS1_3gpuE9ELNS1_3repE0EEENS1_30default_config_static_selectorELNS0_4arch9wavefront6targetE1EEEvSL_
	.p2align	8
	.type	_ZN7rocprim17ROCPRIM_400000_NS6detail17trampoline_kernelINS0_14default_configENS1_36segmented_radix_sort_config_selectorI12hip_bfloat16lEEZNS1_25segmented_radix_sort_implIS3_Lb0EPKS5_PS5_PKlPlN2at6native12_GLOBAL__N_18offset_tEEE10hipError_tPvRmT1_PNSt15iterator_traitsISL_E10value_typeET2_T3_PNSM_ISR_E10value_typeET4_jRbjT5_SX_jjP12ihipStream_tbEUlT_E2_NS1_11comp_targetILNS1_3genE5ELNS1_11target_archE942ELNS1_3gpuE9ELNS1_3repE0EEENS1_30default_config_static_selectorELNS0_4arch9wavefront6targetE1EEEvSL_,@function
_ZN7rocprim17ROCPRIM_400000_NS6detail17trampoline_kernelINS0_14default_configENS1_36segmented_radix_sort_config_selectorI12hip_bfloat16lEEZNS1_25segmented_radix_sort_implIS3_Lb0EPKS5_PS5_PKlPlN2at6native12_GLOBAL__N_18offset_tEEE10hipError_tPvRmT1_PNSt15iterator_traitsISL_E10value_typeET2_T3_PNSM_ISR_E10value_typeET4_jRbjT5_SX_jjP12ihipStream_tbEUlT_E2_NS1_11comp_targetILNS1_3genE5ELNS1_11target_archE942ELNS1_3gpuE9ELNS1_3repE0EEENS1_30default_config_static_selectorELNS0_4arch9wavefront6targetE1EEEvSL_: ; @_ZN7rocprim17ROCPRIM_400000_NS6detail17trampoline_kernelINS0_14default_configENS1_36segmented_radix_sort_config_selectorI12hip_bfloat16lEEZNS1_25segmented_radix_sort_implIS3_Lb0EPKS5_PS5_PKlPlN2at6native12_GLOBAL__N_18offset_tEEE10hipError_tPvRmT1_PNSt15iterator_traitsISL_E10value_typeET2_T3_PNSM_ISR_E10value_typeET4_jRbjT5_SX_jjP12ihipStream_tbEUlT_E2_NS1_11comp_targetILNS1_3genE5ELNS1_11target_archE942ELNS1_3gpuE9ELNS1_3repE0EEENS1_30default_config_static_selectorELNS0_4arch9wavefront6targetE1EEEvSL_
; %bb.0:
	.section	.rodata,"a",@progbits
	.p2align	6, 0x0
	.amdhsa_kernel _ZN7rocprim17ROCPRIM_400000_NS6detail17trampoline_kernelINS0_14default_configENS1_36segmented_radix_sort_config_selectorI12hip_bfloat16lEEZNS1_25segmented_radix_sort_implIS3_Lb0EPKS5_PS5_PKlPlN2at6native12_GLOBAL__N_18offset_tEEE10hipError_tPvRmT1_PNSt15iterator_traitsISL_E10value_typeET2_T3_PNSM_ISR_E10value_typeET4_jRbjT5_SX_jjP12ihipStream_tbEUlT_E2_NS1_11comp_targetILNS1_3genE5ELNS1_11target_archE942ELNS1_3gpuE9ELNS1_3repE0EEENS1_30default_config_static_selectorELNS0_4arch9wavefront6targetE1EEEvSL_
		.amdhsa_group_segment_fixed_size 0
		.amdhsa_private_segment_fixed_size 0
		.amdhsa_kernarg_size 80
		.amdhsa_user_sgpr_count 6
		.amdhsa_user_sgpr_private_segment_buffer 1
		.amdhsa_user_sgpr_dispatch_ptr 0
		.amdhsa_user_sgpr_queue_ptr 0
		.amdhsa_user_sgpr_kernarg_segment_ptr 1
		.amdhsa_user_sgpr_dispatch_id 0
		.amdhsa_user_sgpr_flat_scratch_init 0
		.amdhsa_user_sgpr_kernarg_preload_length 0
		.amdhsa_user_sgpr_kernarg_preload_offset 0
		.amdhsa_user_sgpr_private_segment_size 0
		.amdhsa_uses_dynamic_stack 0
		.amdhsa_system_sgpr_private_segment_wavefront_offset 0
		.amdhsa_system_sgpr_workgroup_id_x 1
		.amdhsa_system_sgpr_workgroup_id_y 0
		.amdhsa_system_sgpr_workgroup_id_z 0
		.amdhsa_system_sgpr_workgroup_info 0
		.amdhsa_system_vgpr_workitem_id 0
		.amdhsa_next_free_vgpr 1
		.amdhsa_next_free_sgpr 0
		.amdhsa_accum_offset 4
		.amdhsa_reserve_vcc 0
		.amdhsa_reserve_flat_scratch 0
		.amdhsa_float_round_mode_32 0
		.amdhsa_float_round_mode_16_64 0
		.amdhsa_float_denorm_mode_32 3
		.amdhsa_float_denorm_mode_16_64 3
		.amdhsa_dx10_clamp 1
		.amdhsa_ieee_mode 1
		.amdhsa_fp16_overflow 0
		.amdhsa_tg_split 0
		.amdhsa_exception_fp_ieee_invalid_op 0
		.amdhsa_exception_fp_denorm_src 0
		.amdhsa_exception_fp_ieee_div_zero 0
		.amdhsa_exception_fp_ieee_overflow 0
		.amdhsa_exception_fp_ieee_underflow 0
		.amdhsa_exception_fp_ieee_inexact 0
		.amdhsa_exception_int_div_zero 0
	.end_amdhsa_kernel
	.section	.text._ZN7rocprim17ROCPRIM_400000_NS6detail17trampoline_kernelINS0_14default_configENS1_36segmented_radix_sort_config_selectorI12hip_bfloat16lEEZNS1_25segmented_radix_sort_implIS3_Lb0EPKS5_PS5_PKlPlN2at6native12_GLOBAL__N_18offset_tEEE10hipError_tPvRmT1_PNSt15iterator_traitsISL_E10value_typeET2_T3_PNSM_ISR_E10value_typeET4_jRbjT5_SX_jjP12ihipStream_tbEUlT_E2_NS1_11comp_targetILNS1_3genE5ELNS1_11target_archE942ELNS1_3gpuE9ELNS1_3repE0EEENS1_30default_config_static_selectorELNS0_4arch9wavefront6targetE1EEEvSL_,"axG",@progbits,_ZN7rocprim17ROCPRIM_400000_NS6detail17trampoline_kernelINS0_14default_configENS1_36segmented_radix_sort_config_selectorI12hip_bfloat16lEEZNS1_25segmented_radix_sort_implIS3_Lb0EPKS5_PS5_PKlPlN2at6native12_GLOBAL__N_18offset_tEEE10hipError_tPvRmT1_PNSt15iterator_traitsISL_E10value_typeET2_T3_PNSM_ISR_E10value_typeET4_jRbjT5_SX_jjP12ihipStream_tbEUlT_E2_NS1_11comp_targetILNS1_3genE5ELNS1_11target_archE942ELNS1_3gpuE9ELNS1_3repE0EEENS1_30default_config_static_selectorELNS0_4arch9wavefront6targetE1EEEvSL_,comdat
.Lfunc_end2078:
	.size	_ZN7rocprim17ROCPRIM_400000_NS6detail17trampoline_kernelINS0_14default_configENS1_36segmented_radix_sort_config_selectorI12hip_bfloat16lEEZNS1_25segmented_radix_sort_implIS3_Lb0EPKS5_PS5_PKlPlN2at6native12_GLOBAL__N_18offset_tEEE10hipError_tPvRmT1_PNSt15iterator_traitsISL_E10value_typeET2_T3_PNSM_ISR_E10value_typeET4_jRbjT5_SX_jjP12ihipStream_tbEUlT_E2_NS1_11comp_targetILNS1_3genE5ELNS1_11target_archE942ELNS1_3gpuE9ELNS1_3repE0EEENS1_30default_config_static_selectorELNS0_4arch9wavefront6targetE1EEEvSL_, .Lfunc_end2078-_ZN7rocprim17ROCPRIM_400000_NS6detail17trampoline_kernelINS0_14default_configENS1_36segmented_radix_sort_config_selectorI12hip_bfloat16lEEZNS1_25segmented_radix_sort_implIS3_Lb0EPKS5_PS5_PKlPlN2at6native12_GLOBAL__N_18offset_tEEE10hipError_tPvRmT1_PNSt15iterator_traitsISL_E10value_typeET2_T3_PNSM_ISR_E10value_typeET4_jRbjT5_SX_jjP12ihipStream_tbEUlT_E2_NS1_11comp_targetILNS1_3genE5ELNS1_11target_archE942ELNS1_3gpuE9ELNS1_3repE0EEENS1_30default_config_static_selectorELNS0_4arch9wavefront6targetE1EEEvSL_
                                        ; -- End function
	.section	.AMDGPU.csdata,"",@progbits
; Kernel info:
; codeLenInByte = 0
; NumSgprs: 4
; NumVgprs: 0
; NumAgprs: 0
; TotalNumVgprs: 0
; ScratchSize: 0
; MemoryBound: 0
; FloatMode: 240
; IeeeMode: 1
; LDSByteSize: 0 bytes/workgroup (compile time only)
; SGPRBlocks: 0
; VGPRBlocks: 0
; NumSGPRsForWavesPerEU: 4
; NumVGPRsForWavesPerEU: 1
; AccumOffset: 4
; Occupancy: 8
; WaveLimiterHint : 0
; COMPUTE_PGM_RSRC2:SCRATCH_EN: 0
; COMPUTE_PGM_RSRC2:USER_SGPR: 6
; COMPUTE_PGM_RSRC2:TRAP_HANDLER: 0
; COMPUTE_PGM_RSRC2:TGID_X_EN: 1
; COMPUTE_PGM_RSRC2:TGID_Y_EN: 0
; COMPUTE_PGM_RSRC2:TGID_Z_EN: 0
; COMPUTE_PGM_RSRC2:TIDIG_COMP_CNT: 0
; COMPUTE_PGM_RSRC3_GFX90A:ACCUM_OFFSET: 0
; COMPUTE_PGM_RSRC3_GFX90A:TG_SPLIT: 0
	.section	.text._ZN7rocprim17ROCPRIM_400000_NS6detail17trampoline_kernelINS0_14default_configENS1_36segmented_radix_sort_config_selectorI12hip_bfloat16lEEZNS1_25segmented_radix_sort_implIS3_Lb0EPKS5_PS5_PKlPlN2at6native12_GLOBAL__N_18offset_tEEE10hipError_tPvRmT1_PNSt15iterator_traitsISL_E10value_typeET2_T3_PNSM_ISR_E10value_typeET4_jRbjT5_SX_jjP12ihipStream_tbEUlT_E2_NS1_11comp_targetILNS1_3genE4ELNS1_11target_archE910ELNS1_3gpuE8ELNS1_3repE0EEENS1_30default_config_static_selectorELNS0_4arch9wavefront6targetE1EEEvSL_,"axG",@progbits,_ZN7rocprim17ROCPRIM_400000_NS6detail17trampoline_kernelINS0_14default_configENS1_36segmented_radix_sort_config_selectorI12hip_bfloat16lEEZNS1_25segmented_radix_sort_implIS3_Lb0EPKS5_PS5_PKlPlN2at6native12_GLOBAL__N_18offset_tEEE10hipError_tPvRmT1_PNSt15iterator_traitsISL_E10value_typeET2_T3_PNSM_ISR_E10value_typeET4_jRbjT5_SX_jjP12ihipStream_tbEUlT_E2_NS1_11comp_targetILNS1_3genE4ELNS1_11target_archE910ELNS1_3gpuE8ELNS1_3repE0EEENS1_30default_config_static_selectorELNS0_4arch9wavefront6targetE1EEEvSL_,comdat
	.globl	_ZN7rocprim17ROCPRIM_400000_NS6detail17trampoline_kernelINS0_14default_configENS1_36segmented_radix_sort_config_selectorI12hip_bfloat16lEEZNS1_25segmented_radix_sort_implIS3_Lb0EPKS5_PS5_PKlPlN2at6native12_GLOBAL__N_18offset_tEEE10hipError_tPvRmT1_PNSt15iterator_traitsISL_E10value_typeET2_T3_PNSM_ISR_E10value_typeET4_jRbjT5_SX_jjP12ihipStream_tbEUlT_E2_NS1_11comp_targetILNS1_3genE4ELNS1_11target_archE910ELNS1_3gpuE8ELNS1_3repE0EEENS1_30default_config_static_selectorELNS0_4arch9wavefront6targetE1EEEvSL_ ; -- Begin function _ZN7rocprim17ROCPRIM_400000_NS6detail17trampoline_kernelINS0_14default_configENS1_36segmented_radix_sort_config_selectorI12hip_bfloat16lEEZNS1_25segmented_radix_sort_implIS3_Lb0EPKS5_PS5_PKlPlN2at6native12_GLOBAL__N_18offset_tEEE10hipError_tPvRmT1_PNSt15iterator_traitsISL_E10value_typeET2_T3_PNSM_ISR_E10value_typeET4_jRbjT5_SX_jjP12ihipStream_tbEUlT_E2_NS1_11comp_targetILNS1_3genE4ELNS1_11target_archE910ELNS1_3gpuE8ELNS1_3repE0EEENS1_30default_config_static_selectorELNS0_4arch9wavefront6targetE1EEEvSL_
	.p2align	8
	.type	_ZN7rocprim17ROCPRIM_400000_NS6detail17trampoline_kernelINS0_14default_configENS1_36segmented_radix_sort_config_selectorI12hip_bfloat16lEEZNS1_25segmented_radix_sort_implIS3_Lb0EPKS5_PS5_PKlPlN2at6native12_GLOBAL__N_18offset_tEEE10hipError_tPvRmT1_PNSt15iterator_traitsISL_E10value_typeET2_T3_PNSM_ISR_E10value_typeET4_jRbjT5_SX_jjP12ihipStream_tbEUlT_E2_NS1_11comp_targetILNS1_3genE4ELNS1_11target_archE910ELNS1_3gpuE8ELNS1_3repE0EEENS1_30default_config_static_selectorELNS0_4arch9wavefront6targetE1EEEvSL_,@function
_ZN7rocprim17ROCPRIM_400000_NS6detail17trampoline_kernelINS0_14default_configENS1_36segmented_radix_sort_config_selectorI12hip_bfloat16lEEZNS1_25segmented_radix_sort_implIS3_Lb0EPKS5_PS5_PKlPlN2at6native12_GLOBAL__N_18offset_tEEE10hipError_tPvRmT1_PNSt15iterator_traitsISL_E10value_typeET2_T3_PNSM_ISR_E10value_typeET4_jRbjT5_SX_jjP12ihipStream_tbEUlT_E2_NS1_11comp_targetILNS1_3genE4ELNS1_11target_archE910ELNS1_3gpuE8ELNS1_3repE0EEENS1_30default_config_static_selectorELNS0_4arch9wavefront6targetE1EEEvSL_: ; @_ZN7rocprim17ROCPRIM_400000_NS6detail17trampoline_kernelINS0_14default_configENS1_36segmented_radix_sort_config_selectorI12hip_bfloat16lEEZNS1_25segmented_radix_sort_implIS3_Lb0EPKS5_PS5_PKlPlN2at6native12_GLOBAL__N_18offset_tEEE10hipError_tPvRmT1_PNSt15iterator_traitsISL_E10value_typeET2_T3_PNSM_ISR_E10value_typeET4_jRbjT5_SX_jjP12ihipStream_tbEUlT_E2_NS1_11comp_targetILNS1_3genE4ELNS1_11target_archE910ELNS1_3gpuE8ELNS1_3repE0EEENS1_30default_config_static_selectorELNS0_4arch9wavefront6targetE1EEEvSL_
; %bb.0:
	s_add_u32 flat_scratch_lo, s6, s10
	s_addc_u32 flat_scratch_hi, s7, 0
	s_add_u32 s0, s0, s10
	s_mov_b32 s33, s9
	s_mov_b32 s50, s8
	s_load_dwordx4 s[8:11], s[4:5], 0x34
	s_addc_u32 s1, s1, 0
	s_mov_b32 s32, 0
	s_waitcnt lgkmcnt(0)
	s_add_i32 s51, s9, s50
	s_add_i32 s76, s11, s50
	s_mul_i32 s51, s51, s8
	s_mul_i32 s76, s76, s10
	s_cmp_le_u32 s76, s51
	s_cbranch_scc1 .LBB2079_686
; %bb.1:
	s_load_dword s6, s[4:5], 0x30
	s_load_dwordx4 s[64:67], s[4:5], 0x20
	s_load_dwordx4 s[68:71], s[4:5], 0x44
	s_load_dwordx8 s[56:63], s[4:5], 0x0
	s_waitcnt lgkmcnt(0)
	s_bitcmp1_b32 s6, 0
	s_cselect_b64 s[54:55], -1, 0
	s_sub_i32 s71, s76, s51
	s_cmpk_lt_u32 s71, 0x801
	s_mov_b64 s[6:7], -1
	s_cbranch_scc0 .LBB2079_15
; %bb.2:
	s_cmp_lt_u32 s71, 33
	s_cbranch_scc0 .LBB2079_9
; %bb.3:
	s_load_dword s6, s[4:5], 0x5c
	v_bfe_u32 v1, v0, 10, 10
	v_bfe_u32 v3, v0, 20, 10
	v_and_b32_e32 v2, 0x3ff, v0
	s_waitcnt lgkmcnt(0)
	s_lshr_b32 s7, s6, 16
	s_and_b32 s6, s6, 0xffff
	v_mad_u32_u24 v1, v3, s7, v1
	v_mad_u64_u32 v[2:3], s[6:7], v1, s6, v[2:3]
	v_cmp_gt_u32_e32 vcc, 8, v2
	s_and_saveexec_b64 s[26:27], vcc
	s_cbranch_execz .LBB2079_8
; %bb.4:
	s_and_b32 s6, s68, 1
	v_cndmask_b32_e64 v1, 0, 1, s[54:55]
	v_cmp_ne_u32_e32 vcc, s6, v1
	s_mov_b64 s[6:7], -1
	s_cbranch_vccnz .LBB2079_6
; %bb.5:
	s_add_u32 s8, s4, 0x50
	s_mov_b64 s[6:7], src_shared_base
	s_addc_u32 s9, s5, 0
	s_mov_b32 s12, s50
	s_mov_b32 s13, s33
	v_mov_b32_e32 v31, v0
	v_mov_b32_e32 v40, v0
	;; [unrolled: 1-line block ×14, first 2 shown]
	s_getpc_b64 s[10:11]
	s_add_u32 s10, s10, _ZN7rocprim17ROCPRIM_400000_NS6detail26segmented_warp_sort_helperINS1_20WarpSortHelperConfigILj8ELj4ELj256EEE12hip_bfloat16lLi256ELb0EvE4sortIPKS5_PS5_PKlPlEEvT_T0_T1_T2_jjjjRNS6_12storage_typeE@rel32@lo+4
	s_addc_u32 s11, s11, _ZN7rocprim17ROCPRIM_400000_NS6detail26segmented_warp_sort_helperINS1_20WarpSortHelperConfigILj8ELj4ELj256EEE12hip_bfloat16lLi256ELb0EvE4sortIPKS5_PS5_PKlPlEEvT_T0_T1_T2_jjjjRNS6_12storage_typeE@rel32@hi+12
	s_mov_b64 s[28:29], s[4:5]
	s_swappc_b64 s[30:31], s[10:11]
	v_mov_b32_e32 v0, v40
	s_mov_b64 s[4:5], s[28:29]
	s_mov_b64 s[6:7], 0
.LBB2079_6:
	s_andn2_b64 vcc, exec, s[6:7]
	s_cbranch_vccnz .LBB2079_8
; %bb.7:
	s_add_u32 s8, s4, 0x50
	s_mov_b64 s[6:7], src_shared_base
	s_addc_u32 s9, s5, 0
	s_mov_b32 s12, s50
	s_mov_b32 s13, s33
	v_mov_b32_e32 v31, v0
	v_mov_b32_e32 v40, v0
	;; [unrolled: 1-line block ×14, first 2 shown]
	s_getpc_b64 s[10:11]
	s_add_u32 s10, s10, _ZN7rocprim17ROCPRIM_400000_NS6detail26segmented_warp_sort_helperINS1_20WarpSortHelperConfigILj8ELj4ELj256EEE12hip_bfloat16lLi256ELb0EvE4sortIPKS5_PS5_PKlPlEEvT_T0_T1_T2_jjjjRNS6_12storage_typeE@rel32@lo+4
	s_addc_u32 s11, s11, _ZN7rocprim17ROCPRIM_400000_NS6detail26segmented_warp_sort_helperINS1_20WarpSortHelperConfigILj8ELj4ELj256EEE12hip_bfloat16lLi256ELb0EvE4sortIPKS5_PS5_PKlPlEEvT_T0_T1_T2_jjjjRNS6_12storage_typeE@rel32@hi+12
	s_mov_b64 s[28:29], s[4:5]
	s_swappc_b64 s[30:31], s[10:11]
	v_mov_b32_e32 v0, v40
	s_mov_b64 s[4:5], s[28:29]
.LBB2079_8:
	s_or_b64 exec, exec, s[26:27]
	s_mov_b64 s[6:7], 0
.LBB2079_9:
	s_andn2_b64 vcc, exec, s[6:7]
	s_cbranch_vccnz .LBB2079_14
; %bb.10:
	s_and_b32 s6, s68, 1
	v_cndmask_b32_e64 v1, 0, 1, s[54:55]
	v_cmp_ne_u32_e32 vcc, s6, v1
	s_mov_b64 s[6:7], -1
	s_cbranch_vccnz .LBB2079_12
; %bb.11:
	s_add_u32 s8, s4, 0x50
	s_mov_b64 s[6:7], src_shared_base
	s_addc_u32 s9, s5, 0
	s_mov_b32 s12, s50
	s_mov_b32 s13, s33
	v_mov_b32_e32 v31, v0
	v_mov_b32_e32 v41, v0
	v_mov_b32_e32 v0, s56
	v_mov_b32_e32 v1, s57
	v_mov_b32_e32 v2, s60
	v_mov_b32_e32 v3, s61
	v_mov_b32_e32 v4, s62
	v_mov_b32_e32 v5, s63
	v_mov_b32_e32 v6, s66
	v_mov_b32_e32 v7, s67
	v_mov_b32_e32 v8, s51
	v_mov_b32_e32 v9, s76
	v_mov_b32_e32 v10, s69
	v_mov_b32_e32 v11, s70
	v_mov_b32_e32 v12, 0
	v_mov_b32_e32 v13, s7
	s_getpc_b64 s[10:11]
	s_add_u32 s10, s10, _ZN7rocprim17ROCPRIM_400000_NS6detail40segmented_radix_sort_single_block_helperI12hip_bfloat16lLj256ELj8ELb0EE4sortIPKS3_PS3_PKlPlEEbT_T0_T1_T2_jjjjRNS4_12storage_typeE@rel32@lo+4
	s_addc_u32 s11, s11, _ZN7rocprim17ROCPRIM_400000_NS6detail40segmented_radix_sort_single_block_helperI12hip_bfloat16lLj256ELj8ELb0EE4sortIPKS3_PS3_PKlPlEEbT_T0_T1_T2_jjjjRNS4_12storage_typeE@rel32@hi+12
	s_mov_b64 s[48:49], s[4:5]
	s_swappc_b64 s[30:31], s[10:11]
	v_mov_b32_e32 v0, v41
	s_mov_b64 s[4:5], s[48:49]
	s_mov_b64 s[6:7], 0
.LBB2079_12:
	s_andn2_b64 vcc, exec, s[6:7]
	s_cbranch_vccnz .LBB2079_14
; %bb.13:
	s_add_u32 s8, s4, 0x50
	s_mov_b64 s[6:7], src_shared_base
	s_addc_u32 s9, s5, 0
	s_mov_b32 s12, s50
	s_mov_b32 s13, s33
	v_mov_b32_e32 v31, v0
	v_mov_b32_e32 v41, v0
	;; [unrolled: 1-line block ×16, first 2 shown]
	s_getpc_b64 s[10:11]
	s_add_u32 s10, s10, _ZN7rocprim17ROCPRIM_400000_NS6detail40segmented_radix_sort_single_block_helperI12hip_bfloat16lLj256ELj8ELb0EE4sortIPKS3_PS3_PKlPlEEbT_T0_T1_T2_jjjjRNS4_12storage_typeE@rel32@lo+4
	s_addc_u32 s11, s11, _ZN7rocprim17ROCPRIM_400000_NS6detail40segmented_radix_sort_single_block_helperI12hip_bfloat16lLj256ELj8ELb0EE4sortIPKS3_PS3_PKlPlEEbT_T0_T1_T2_jjjjRNS4_12storage_typeE@rel32@hi+12
	s_mov_b64 s[48:49], s[4:5]
	s_swappc_b64 s[30:31], s[10:11]
	v_mov_b32_e32 v0, v41
	s_mov_b64 s[4:5], s[48:49]
.LBB2079_14:
	s_mov_b64 s[6:7], 0
.LBB2079_15:
	s_andn2_b64 vcc, exec, s[6:7]
	s_cbranch_vccnz .LBB2079_686
; %bb.16:
	s_cmp_ge_u32 s69, s70
	s_cbranch_scc1 .LBB2079_686
; %bb.17:
	v_and_b32_e32 v2, 0x3ff, v0
	v_lshlrev_b32_e32 v5, 1, v2
	v_mov_b32_e32 v6, s61
	v_add_co_u32_e32 v27, vcc, s60, v5
	s_movk_i32 s6, 0x100
	v_addc_co_u32_e32 v28, vcc, 0, v6, vcc
	v_or_b32_e32 v6, 63, v2
	v_lshlrev_b32_e32 v3, 2, v2
	s_mov_b64 s[12:13], s[4:5]
	v_cmp_gt_u32_e64 s[4:5], s6, v2
	v_cmp_eq_u32_e64 s[6:7], v6, v2
	v_lshrrev_b32_e32 v6, 4, v2
	v_mad_u32_u24 v33, v2, 12, v3
	v_and_b32_e32 v34, 12, v6
	v_lshlrev_b32_e32 v6, 3, v2
	v_bfe_u32 v39, v0, 20, 10
	v_bfe_u32 v40, v0, 10, 10
	v_mul_u32_u24_e32 v0, 5, v2
	v_mov_b32_e32 v42, 0x410
	v_and_b32_e32 v38, 0x600, v6
	v_add_u32_e32 v41, v33, v3
	v_lshl_add_u32 v43, v0, 2, v42
	v_lshlrev_b32_e32 v0, 4, v2
	v_sub_u32_e32 v44, v41, v0
	v_lshlrev_b32_e32 v0, 3, v38
	v_mov_b32_e32 v6, s67
	v_add_co_u32_e32 v45, vcc, s66, v0
	v_addc_co_u32_e32 v46, vcc, 0, v6, vcc
	v_lshlrev_b32_e32 v6, 1, v38
	v_mov_b32_e32 v7, s61
	v_add_co_u32_e32 v47, vcc, s60, v6
	v_addc_co_u32_e32 v48, vcc, 0, v7, vcc
	v_mov_b32_e32 v7, s59
	v_add_co_u32_e32 v52, vcc, s58, v5
	v_addc_co_u32_e32 v53, vcc, 0, v7, vcc
	;; [unrolled: 3-line block ×5, first 2 shown]
	v_sub_u32_e32 v49, v44, v5
	v_add_u32_e32 v50, 0x400, v5
	v_mov_b32_e32 v5, s63
	v_add_co_u32_e32 v60, vcc, s62, v0
	v_addc_co_u32_e32 v61, vcc, 0, v5, vcc
	v_mov_b32_e32 v0, s57
	v_add_co_u32_e32 v62, vcc, s56, v6
	v_and_b32_e32 v1, 3, v2
	s_add_u32 s74, s12, 0x50
	s_movk_i32 s14, 0xff
	v_addc_co_u32_e32 v63, vcc, 0, v0, vcc
	v_mbcnt_lo_u32_b32 v0, -1, 0
	s_mov_b32 s73, 0
	v_mov_b32_e32 v4, 0
	v_or_b32_e32 v24, 0x100, v2
	v_or_b32_e32 v25, 0x200, v2
	;; [unrolled: 1-line block ×8, first 2 shown]
	v_cmp_gt_u32_e64 s[8:9], 4, v2
	v_add_u32_e32 v36, 0x4400, v3
	v_cmp_lt_u32_e64 s[10:11], 63, v2
	v_add_u32_e32 v37, 0x43fc, v34
	s_addc_u32 s75, s13, 0
	v_cmp_eq_u32_e64 s[12:13], 0, v2
	v_cmp_ne_u32_e64 s[14:15], s14, v2
	v_mul_u32_u24_e32 v51, 6, v2
	s_movk_i32 s68, 0x7fff
	v_mov_b32_e32 v64, 1
	v_lshlrev_b32_e32 v65, 1, v2
	v_mov_b32_e32 v66, 0xffff8000
	v_lshlrev_b32_e32 v67, 2, v1
	v_mbcnt_hi_u32_b32 v68, -1, v0
	s_mov_b32 s77, s69
	s_branch .LBB2079_20
.LBB2079_18:                            ;   in Loop: Header=BB2079_20 Depth=1
	s_waitcnt lgkmcnt(0)
	s_barrier
.LBB2079_19:                            ;   in Loop: Header=BB2079_20 Depth=1
	s_add_i32 s77, s77, 8
	s_cmp_ge_u32 s77, s70
	s_cbranch_scc1 .LBB2079_686
.LBB2079_20:                            ; =>This Loop Header: Depth=1
                                        ;     Child Loop BB2079_24 Depth 2
                                        ;     Child Loop BB2079_74 Depth 2
	;; [unrolled: 1-line block ×8, first 2 shown]
	s_sub_i32 s16, s70, s77
	s_min_u32 s16, s16, 8
	s_lshl_b32 s16, -1, s16
	s_xor_b64 s[54:55], s[54:55], -1
	s_not_b32 s78, s16
	s_cmp_lg_u32 s77, s69
	s_mov_b64 s[16:17], -1
	ds_write2st64_b32 v3, v4, v4 offset1:4
	ds_write2st64_b32 v3, v4, v4 offset0:8 offset1:12
	s_waitcnt lgkmcnt(0)
	s_cbranch_scc0 .LBB2079_354
; %bb.21:                               ;   in Loop: Header=BB2079_20 Depth=1
	s_and_b64 vcc, exec, s[54:55]
	s_cbranch_vccz .LBB2079_187
; %bb.22:                               ;   in Loop: Header=BB2079_20 Depth=1
	s_mov_b32 s22, s71
	s_mov_b32 s72, s51
	s_barrier
	s_waitcnt lgkmcnt(0)
                                        ; implicit-def: $vgpr12
                                        ; implicit-def: $vgpr5
                                        ; implicit-def: $vgpr6
                                        ; implicit-def: $vgpr7
                                        ; implicit-def: $vgpr8
                                        ; implicit-def: $vgpr9
                                        ; implicit-def: $vgpr10
                                        ; implicit-def: $vgpr11
	s_branch .LBB2079_24
.LBB2079_23:                            ;   in Loop: Header=BB2079_24 Depth=2
	s_or_b64 exec, exec, s[16:17]
	s_addk_i32 s22, 0xf800
	s_cmp_ge_u32 s23, s76
	s_mov_b32 s72, s23
	s_cbranch_scc1 .LBB2079_62
.LBB2079_24:                            ;   Parent Loop BB2079_20 Depth=1
                                        ; =>  This Inner Loop Header: Depth=2
	s_add_i32 s23, s72, 0x800
	s_cmp_gt_u32 s23, s76
	s_cbranch_scc1 .LBB2079_27
; %bb.25:                               ;   in Loop: Header=BB2079_24 Depth=2
	s_lshl_b64 s[16:17], s[72:73], 1
	v_mov_b32_e32 v1, s17
	v_add_co_u32_e32 v0, vcc, s16, v27
	v_addc_co_u32_e32 v1, vcc, v28, v1, vcc
	global_load_ushort v14, v[0:1], off
	global_load_ushort v15, v[0:1], off offset:512
	global_load_ushort v16, v[0:1], off offset:1024
	;; [unrolled: 1-line block ×6, first 2 shown]
	v_add_co_u32_e32 v0, vcc, 0xe00, v0
	v_addc_co_u32_e32 v1, vcc, 0, v1, vcc
	s_mov_b64 s[16:17], -1
	s_movk_i32 s24, 0x800
	s_cbranch_execz .LBB2079_28
; %bb.26:                               ;   in Loop: Header=BB2079_24 Depth=2
                                        ; implicit-def: $vgpr11
                                        ; implicit-def: $vgpr10
                                        ; implicit-def: $vgpr9
                                        ; implicit-def: $vgpr8
                                        ; implicit-def: $vgpr7
                                        ; implicit-def: $vgpr6
                                        ; implicit-def: $vgpr5
                                        ; implicit-def: $vgpr12
	v_mov_b32_e32 v13, s22
	s_and_saveexec_b64 s[18:19], s[16:17]
	s_cbranch_execnz .LBB2079_39
	s_branch .LBB2079_40
.LBB2079_27:                            ;   in Loop: Header=BB2079_24 Depth=2
	s_mov_b64 s[16:17], 0
                                        ; implicit-def: $sgpr24
                                        ; implicit-def: $vgpr14
                                        ; implicit-def: $vgpr15
                                        ; implicit-def: $vgpr16
                                        ; implicit-def: $vgpr17
                                        ; implicit-def: $vgpr18
                                        ; implicit-def: $vgpr19
                                        ; implicit-def: $vgpr20
                                        ; implicit-def: $vgpr0_vgpr1
.LBB2079_28:                            ;   in Loop: Header=BB2079_24 Depth=2
	s_lshl_b64 s[18:19], s[72:73], 1
	s_add_u32 s18, s60, s18
	s_addc_u32 s19, s61, s19
	v_cmp_gt_u32_e32 vcc, s22, v2
	s_and_saveexec_b64 s[20:21], vcc
	s_cbranch_execz .LBB2079_56
; %bb.29:                               ;   in Loop: Header=BB2079_24 Depth=2
	global_load_ushort v11, v65, s[18:19]
	s_or_b64 exec, exec, s[20:21]
	v_cmp_gt_u32_e32 vcc, s22, v24
	s_and_saveexec_b64 s[20:21], vcc
	s_cbranch_execnz .LBB2079_57
.LBB2079_30:                            ;   in Loop: Header=BB2079_24 Depth=2
	s_or_b64 exec, exec, s[20:21]
	v_cmp_gt_u32_e32 vcc, s22, v25
	s_and_saveexec_b64 s[20:21], vcc
	s_cbranch_execz .LBB2079_58
.LBB2079_31:                            ;   in Loop: Header=BB2079_24 Depth=2
	global_load_ushort v9, v65, s[18:19] offset:1024
	s_or_b64 exec, exec, s[20:21]
	v_cmp_gt_u32_e32 vcc, s22, v26
	s_and_saveexec_b64 s[20:21], vcc
	s_cbranch_execnz .LBB2079_59
.LBB2079_32:                            ;   in Loop: Header=BB2079_24 Depth=2
	s_or_b64 exec, exec, s[20:21]
	v_cmp_gt_u32_e32 vcc, s22, v29
	s_and_saveexec_b64 s[20:21], vcc
	s_cbranch_execz .LBB2079_60
.LBB2079_33:                            ;   in Loop: Header=BB2079_24 Depth=2
	global_load_ushort v7, v65, s[18:19] offset:2048
	s_or_b64 exec, exec, s[20:21]
	v_cmp_gt_u32_e32 vcc, s22, v30
	s_and_saveexec_b64 s[20:21], vcc
	s_cbranch_execnz .LBB2079_61
.LBB2079_34:                            ;   in Loop: Header=BB2079_24 Depth=2
	s_or_b64 exec, exec, s[20:21]
	v_cmp_gt_u32_e32 vcc, s22, v31
	s_and_saveexec_b64 s[20:21], vcc
	s_cbranch_execz .LBB2079_36
.LBB2079_35:                            ;   in Loop: Header=BB2079_24 Depth=2
	global_load_ushort v5, v65, s[18:19] offset:3072
.LBB2079_36:                            ;   in Loop: Header=BB2079_24 Depth=2
	s_or_b64 exec, exec, s[20:21]
	v_cmp_gt_u32_e32 vcc, s22, v32
                                        ; implicit-def: $sgpr24
                                        ; implicit-def: $vgpr0_vgpr1
	s_and_saveexec_b64 s[20:21], vcc
	s_cbranch_execz .LBB2079_38
; %bb.37:                               ;   in Loop: Header=BB2079_24 Depth=2
	v_mov_b32_e32 v0, s19
	v_add_co_u32_e32 v1, vcc, s18, v65
	s_waitcnt vmcnt(0)
	v_addc_co_u32_e32 v12, vcc, 0, v0, vcc
	v_add_co_u32_e32 v0, vcc, 0xe00, v1
	s_sub_i32 s24, s76, s72
	v_addc_co_u32_e32 v1, vcc, 0, v12, vcc
	s_or_b64 s[16:17], s[16:17], exec
                                        ; implicit-def: $vgpr12
.LBB2079_38:                            ;   in Loop: Header=BB2079_24 Depth=2
	s_or_b64 exec, exec, s[20:21]
	s_waitcnt vmcnt(0)
	v_mov_b32_e32 v14, v11
	v_mov_b32_e32 v15, v10
	v_mov_b32_e32 v16, v9
	v_mov_b32_e32 v17, v8
	v_mov_b32_e32 v18, v7
	v_mov_b32_e32 v19, v6
	v_mov_b32_e32 v20, v5
	v_mov_b32_e32 v13, s22
	s_and_saveexec_b64 s[18:19], s[16:17]
	s_cbranch_execz .LBB2079_40
.LBB2079_39:                            ;   in Loop: Header=BB2079_24 Depth=2
	global_load_ushort v12, v[0:1], off
	v_mov_b32_e32 v13, s24
	s_waitcnt vmcnt(1)
	v_mov_b32_e32 v5, v20
	v_mov_b32_e32 v6, v19
	v_mov_b32_e32 v7, v18
	v_mov_b32_e32 v8, v17
	v_mov_b32_e32 v9, v16
	v_mov_b32_e32 v10, v15
	v_mov_b32_e32 v11, v14
.LBB2079_40:                            ;   in Loop: Header=BB2079_24 Depth=2
	s_or_b64 exec, exec, s[18:19]
	v_cmp_lt_u32_e32 vcc, v2, v13
	s_and_saveexec_b64 s[16:17], vcc
	s_cbranch_execz .LBB2079_48
; %bb.41:                               ;   in Loop: Header=BB2079_24 Depth=2
	v_cmp_lt_i16_e32 vcc, -1, v11
	v_cndmask_b32_e32 v0, -1, v66, vcc
	v_xor_b32_e32 v0, v0, v11
	v_cmp_ne_u16_e32 vcc, s68, v0
	v_cndmask_b32_e32 v0, v66, v0, vcc
	v_lshrrev_b32_sdwa v0, s77, v0 dst_sel:DWORD dst_unused:UNUSED_PAD src0_sel:DWORD src1_sel:WORD_0
	v_and_b32_e32 v0, s78, v0
	v_lshl_or_b32 v0, v0, 4, v67
	ds_add_u32 v0, v64
	s_or_b64 exec, exec, s[16:17]
	v_cmp_lt_u32_e32 vcc, v24, v13
	s_and_saveexec_b64 s[16:17], vcc
	s_cbranch_execnz .LBB2079_49
.LBB2079_42:                            ;   in Loop: Header=BB2079_24 Depth=2
	s_or_b64 exec, exec, s[16:17]
	v_cmp_lt_u32_e32 vcc, v25, v13
	s_and_saveexec_b64 s[16:17], vcc
	s_cbranch_execz .LBB2079_50
.LBB2079_43:                            ;   in Loop: Header=BB2079_24 Depth=2
	v_cmp_lt_i16_e32 vcc, -1, v9
	v_cndmask_b32_e32 v0, -1, v66, vcc
	v_xor_b32_e32 v0, v0, v9
	v_cmp_ne_u16_e32 vcc, s68, v0
	v_cndmask_b32_e32 v0, v66, v0, vcc
	v_lshrrev_b32_sdwa v0, s77, v0 dst_sel:DWORD dst_unused:UNUSED_PAD src0_sel:DWORD src1_sel:WORD_0
	v_and_b32_e32 v0, s78, v0
	v_lshl_or_b32 v0, v0, 4, v67
	ds_add_u32 v0, v64
	s_or_b64 exec, exec, s[16:17]
	v_cmp_lt_u32_e32 vcc, v26, v13
	s_and_saveexec_b64 s[16:17], vcc
	s_cbranch_execnz .LBB2079_51
.LBB2079_44:                            ;   in Loop: Header=BB2079_24 Depth=2
	s_or_b64 exec, exec, s[16:17]
	v_cmp_lt_u32_e32 vcc, v29, v13
	s_and_saveexec_b64 s[16:17], vcc
	s_cbranch_execz .LBB2079_52
.LBB2079_45:                            ;   in Loop: Header=BB2079_24 Depth=2
	v_cmp_lt_i16_e32 vcc, -1, v7
	v_cndmask_b32_e32 v0, -1, v66, vcc
	v_xor_b32_e32 v0, v0, v7
	v_cmp_ne_u16_e32 vcc, s68, v0
	v_cndmask_b32_e32 v0, v66, v0, vcc
	v_lshrrev_b32_sdwa v0, s77, v0 dst_sel:DWORD dst_unused:UNUSED_PAD src0_sel:DWORD src1_sel:WORD_0
	v_and_b32_e32 v0, s78, v0
	v_lshl_or_b32 v0, v0, 4, v67
	ds_add_u32 v0, v64
	s_or_b64 exec, exec, s[16:17]
	v_cmp_lt_u32_e32 vcc, v30, v13
	s_and_saveexec_b64 s[16:17], vcc
	s_cbranch_execnz .LBB2079_53
.LBB2079_46:                            ;   in Loop: Header=BB2079_24 Depth=2
	s_or_b64 exec, exec, s[16:17]
	v_cmp_lt_u32_e32 vcc, v31, v13
	s_and_saveexec_b64 s[16:17], vcc
	s_cbranch_execz .LBB2079_54
.LBB2079_47:                            ;   in Loop: Header=BB2079_24 Depth=2
	v_cmp_lt_i16_e32 vcc, -1, v5
	v_cndmask_b32_e32 v0, -1, v66, vcc
	v_xor_b32_e32 v0, v0, v5
	v_cmp_ne_u16_e32 vcc, s68, v0
	v_cndmask_b32_e32 v0, v66, v0, vcc
	v_lshrrev_b32_sdwa v0, s77, v0 dst_sel:DWORD dst_unused:UNUSED_PAD src0_sel:DWORD src1_sel:WORD_0
	v_and_b32_e32 v0, s78, v0
	v_lshl_or_b32 v0, v0, 4, v67
	ds_add_u32 v0, v64
	s_or_b64 exec, exec, s[16:17]
	v_cmp_lt_u32_e32 vcc, v32, v13
	s_and_saveexec_b64 s[16:17], vcc
	s_cbranch_execz .LBB2079_23
	s_branch .LBB2079_55
.LBB2079_48:                            ;   in Loop: Header=BB2079_24 Depth=2
	s_or_b64 exec, exec, s[16:17]
	v_cmp_lt_u32_e32 vcc, v24, v13
	s_and_saveexec_b64 s[16:17], vcc
	s_cbranch_execz .LBB2079_42
.LBB2079_49:                            ;   in Loop: Header=BB2079_24 Depth=2
	v_cmp_lt_i16_e32 vcc, -1, v10
	v_cndmask_b32_e32 v0, -1, v66, vcc
	v_xor_b32_e32 v0, v0, v10
	v_cmp_ne_u16_e32 vcc, s68, v0
	v_cndmask_b32_e32 v0, v66, v0, vcc
	v_lshrrev_b32_sdwa v0, s77, v0 dst_sel:DWORD dst_unused:UNUSED_PAD src0_sel:DWORD src1_sel:WORD_0
	v_and_b32_e32 v0, s78, v0
	v_lshl_or_b32 v0, v0, 4, v67
	ds_add_u32 v0, v64
	s_or_b64 exec, exec, s[16:17]
	v_cmp_lt_u32_e32 vcc, v25, v13
	s_and_saveexec_b64 s[16:17], vcc
	s_cbranch_execnz .LBB2079_43
.LBB2079_50:                            ;   in Loop: Header=BB2079_24 Depth=2
	s_or_b64 exec, exec, s[16:17]
	v_cmp_lt_u32_e32 vcc, v26, v13
	s_and_saveexec_b64 s[16:17], vcc
	s_cbranch_execz .LBB2079_44
.LBB2079_51:                            ;   in Loop: Header=BB2079_24 Depth=2
	v_cmp_lt_i16_e32 vcc, -1, v8
	v_cndmask_b32_e32 v0, -1, v66, vcc
	v_xor_b32_e32 v0, v0, v8
	v_cmp_ne_u16_e32 vcc, s68, v0
	v_cndmask_b32_e32 v0, v66, v0, vcc
	v_lshrrev_b32_sdwa v0, s77, v0 dst_sel:DWORD dst_unused:UNUSED_PAD src0_sel:DWORD src1_sel:WORD_0
	v_and_b32_e32 v0, s78, v0
	v_lshl_or_b32 v0, v0, 4, v67
	ds_add_u32 v0, v64
	s_or_b64 exec, exec, s[16:17]
	v_cmp_lt_u32_e32 vcc, v29, v13
	s_and_saveexec_b64 s[16:17], vcc
	s_cbranch_execnz .LBB2079_45
.LBB2079_52:                            ;   in Loop: Header=BB2079_24 Depth=2
	s_or_b64 exec, exec, s[16:17]
	v_cmp_lt_u32_e32 vcc, v30, v13
	s_and_saveexec_b64 s[16:17], vcc
	s_cbranch_execz .LBB2079_46
.LBB2079_53:                            ;   in Loop: Header=BB2079_24 Depth=2
	v_cmp_lt_i16_e32 vcc, -1, v6
	v_cndmask_b32_e32 v0, -1, v66, vcc
	v_xor_b32_e32 v0, v0, v6
	v_cmp_ne_u16_e32 vcc, s68, v0
	v_cndmask_b32_e32 v0, v66, v0, vcc
	v_lshrrev_b32_sdwa v0, s77, v0 dst_sel:DWORD dst_unused:UNUSED_PAD src0_sel:DWORD src1_sel:WORD_0
	v_and_b32_e32 v0, s78, v0
	v_lshl_or_b32 v0, v0, 4, v67
	ds_add_u32 v0, v64
	s_or_b64 exec, exec, s[16:17]
	v_cmp_lt_u32_e32 vcc, v31, v13
	s_and_saveexec_b64 s[16:17], vcc
	s_cbranch_execnz .LBB2079_47
.LBB2079_54:                            ;   in Loop: Header=BB2079_24 Depth=2
	s_or_b64 exec, exec, s[16:17]
	v_cmp_lt_u32_e32 vcc, v32, v13
	s_and_saveexec_b64 s[16:17], vcc
	s_cbranch_execz .LBB2079_23
.LBB2079_55:                            ;   in Loop: Header=BB2079_24 Depth=2
	s_waitcnt vmcnt(0)
	v_cmp_lt_i16_e32 vcc, -1, v12
	v_cndmask_b32_e32 v0, -1, v66, vcc
	v_xor_b32_e32 v0, v0, v12
	v_cmp_ne_u16_e32 vcc, s68, v0
	v_cndmask_b32_e32 v0, v66, v0, vcc
	v_lshrrev_b32_sdwa v0, s77, v0 dst_sel:DWORD dst_unused:UNUSED_PAD src0_sel:DWORD src1_sel:WORD_0
	v_and_b32_e32 v0, s78, v0
	v_lshl_or_b32 v0, v0, 4, v67
	ds_add_u32 v0, v64
	s_branch .LBB2079_23
.LBB2079_56:                            ;   in Loop: Header=BB2079_24 Depth=2
	s_or_b64 exec, exec, s[20:21]
	v_cmp_gt_u32_e32 vcc, s22, v24
	s_and_saveexec_b64 s[20:21], vcc
	s_cbranch_execz .LBB2079_30
.LBB2079_57:                            ;   in Loop: Header=BB2079_24 Depth=2
	global_load_ushort v10, v65, s[18:19] offset:512
	s_or_b64 exec, exec, s[20:21]
	v_cmp_gt_u32_e32 vcc, s22, v25
	s_and_saveexec_b64 s[20:21], vcc
	s_cbranch_execnz .LBB2079_31
.LBB2079_58:                            ;   in Loop: Header=BB2079_24 Depth=2
	s_or_b64 exec, exec, s[20:21]
	v_cmp_gt_u32_e32 vcc, s22, v26
	s_and_saveexec_b64 s[20:21], vcc
	s_cbranch_execz .LBB2079_32
.LBB2079_59:                            ;   in Loop: Header=BB2079_24 Depth=2
	global_load_ushort v8, v65, s[18:19] offset:1536
	s_or_b64 exec, exec, s[20:21]
	v_cmp_gt_u32_e32 vcc, s22, v29
	s_and_saveexec_b64 s[20:21], vcc
	s_cbranch_execnz .LBB2079_33
.LBB2079_60:                            ;   in Loop: Header=BB2079_24 Depth=2
	s_or_b64 exec, exec, s[20:21]
	v_cmp_gt_u32_e32 vcc, s22, v30
	s_and_saveexec_b64 s[20:21], vcc
	s_cbranch_execz .LBB2079_34
.LBB2079_61:                            ;   in Loop: Header=BB2079_24 Depth=2
	global_load_ushort v6, v65, s[18:19] offset:2560
	s_or_b64 exec, exec, s[20:21]
	v_cmp_gt_u32_e32 vcc, s22, v31
	s_and_saveexec_b64 s[20:21], vcc
	s_cbranch_execz .LBB2079_36
	s_branch .LBB2079_35
.LBB2079_62:                            ;   in Loop: Header=BB2079_20 Depth=1
	v_mov_b32_e32 v0, 0
	s_waitcnt lgkmcnt(0)
	s_barrier
	s_and_saveexec_b64 s[16:17], s[4:5]
	s_cbranch_execz .LBB2079_64
; %bb.63:                               ;   in Loop: Header=BB2079_20 Depth=1
	ds_read2_b64 v[6:9], v33 offset1:1
	s_waitcnt lgkmcnt(0)
	v_add_u32_e32 v0, v7, v6
	v_add3_u32 v0, v0, v8, v9
.LBB2079_64:                            ;   in Loop: Header=BB2079_20 Depth=1
	s_or_b64 exec, exec, s[16:17]
	v_and_b32_e32 v1, 15, v68
	v_mov_b32_dpp v5, v0 row_shr:1 row_mask:0xf bank_mask:0xf
	v_cmp_eq_u32_e64 s[16:17], 0, v1
	v_cndmask_b32_e64 v5, v5, 0, s[16:17]
	v_add_u32_e32 v0, v5, v0
	v_cmp_lt_u32_e64 s[18:19], 1, v1
	v_cmp_lt_u32_e64 s[20:21], 3, v1
	v_mov_b32_dpp v5, v0 row_shr:2 row_mask:0xf bank_mask:0xf
	v_cndmask_b32_e64 v5, 0, v5, s[18:19]
	v_add_u32_e32 v0, v0, v5
	v_cmp_lt_u32_e64 s[22:23], 7, v1
	v_cmp_lt_u32_e64 s[26:27], 31, v68
	v_mov_b32_dpp v5, v0 row_shr:4 row_mask:0xf bank_mask:0xf
	v_cndmask_b32_e64 v5, 0, v5, s[20:21]
	v_add_u32_e32 v0, v0, v5
	v_and_b32_e32 v6, 16, v68
	v_cmp_eq_u32_e64 s[24:25], 0, v6
	v_mov_b32_dpp v5, v0 row_shr:8 row_mask:0xf bank_mask:0xf
	v_cndmask_b32_e64 v1, 0, v5, s[22:23]
	v_add_u32_e32 v0, v0, v1
	v_bfe_i32 v5, v68, 4, 1
	s_nop 0
	v_mov_b32_dpp v1, v0 row_bcast:15 row_mask:0xf bank_mask:0xf
	v_and_b32_e32 v1, v5, v1
	v_add_u32_e32 v0, v0, v1
	s_nop 1
	v_mov_b32_dpp v1, v0 row_bcast:31 row_mask:0xf bank_mask:0xf
	v_cndmask_b32_e64 v1, 0, v1, s[26:27]
	v_add_u32_e32 v1, v0, v1
	s_and_saveexec_b64 s[28:29], s[6:7]
	s_cbranch_execz .LBB2079_66
; %bb.65:                               ;   in Loop: Header=BB2079_20 Depth=1
	ds_write_b32 v35, v1
.LBB2079_66:                            ;   in Loop: Header=BB2079_20 Depth=1
	s_or_b64 exec, exec, s[28:29]
	v_and_b32_e32 v0, 3, v68
	s_waitcnt lgkmcnt(0)
	s_barrier
	s_and_saveexec_b64 s[28:29], s[8:9]
	s_cbranch_execz .LBB2079_68
; %bb.67:                               ;   in Loop: Header=BB2079_20 Depth=1
	ds_read_b32 v5, v36
	v_cmp_ne_u32_e32 vcc, 0, v0
	s_waitcnt lgkmcnt(0)
	v_mov_b32_dpp v6, v5 row_shr:1 row_mask:0xf bank_mask:0xf
	v_cndmask_b32_e32 v6, 0, v6, vcc
	v_add_u32_e32 v5, v6, v5
	v_cmp_lt_u32_e32 vcc, 1, v0
	s_nop 0
	v_mov_b32_dpp v6, v5 row_shr:2 row_mask:0xf bank_mask:0xf
	v_cndmask_b32_e32 v6, 0, v6, vcc
	v_add_u32_e32 v5, v5, v6
	ds_write_b32 v36, v5
.LBB2079_68:                            ;   in Loop: Header=BB2079_20 Depth=1
	s_or_b64 exec, exec, s[28:29]
	v_mov_b32_e32 v5, 0
	s_waitcnt lgkmcnt(0)
	s_barrier
	s_and_saveexec_b64 s[28:29], s[10:11]
	s_cbranch_execz .LBB2079_70
; %bb.69:                               ;   in Loop: Header=BB2079_20 Depth=1
	ds_read_b32 v5, v37
.LBB2079_70:                            ;   in Loop: Header=BB2079_20 Depth=1
	s_or_b64 exec, exec, s[28:29]
	v_add_u32_e32 v6, -1, v68
	v_and_b32_e32 v7, 64, v68
	v_cmp_lt_i32_e32 vcc, v6, v7
	v_cndmask_b32_e32 v6, v6, v68, vcc
	s_waitcnt lgkmcnt(0)
	v_add_u32_e32 v1, v5, v1
	v_lshlrev_b32_e32 v69, 2, v6
	ds_bpermute_b32 v1, v69, v1
	v_cmp_eq_u32_e64 s[28:29], 0, v68
	s_waitcnt lgkmcnt(0)
	s_barrier
	s_and_saveexec_b64 s[30:31], s[4:5]
	s_cbranch_execz .LBB2079_72
; %bb.71:                               ;   in Loop: Header=BB2079_20 Depth=1
	v_cndmask_b32_e64 v1, v1, v5, s[28:29]
	v_add_u32_e32 v1, s51, v1
	ds_write_b32 v3, v1
.LBB2079_72:                            ;   in Loop: Header=BB2079_20 Depth=1
	s_or_b64 exec, exec, s[30:31]
	s_load_dword s30, s[74:75], 0x4
	s_load_dword s36, s[74:75], 0xc
	s_waitcnt vmcnt(0)
	v_and_b32_e32 v20, 63, v68
	v_lshlrev_b32_e32 v21, 3, v20
	v_add_co_u32_e32 v77, vcc, v45, v21
	s_waitcnt lgkmcnt(0)
	s_cmp_lt_u32 s33, s30
	s_cselect_b32 s30, 14, 20
	s_add_u32 s30, s74, s30
	s_addc_u32 s31, s75, 0
	global_load_ushort v5, v4, s[30:31]
	v_or_b32_e32 v74, v20, v38
	v_lshlrev_b32_e32 v20, 1, v20
	v_addc_co_u32_e32 v79, vcc, 0, v46, vcc
	v_add_co_u32_e32 v88, vcc, v47, v20
	v_addc_co_u32_e32 v89, vcc, 0, v48, vcc
	s_and_b32 s36, s36, 0xffff
	v_add_co_u32_e32 v90, vcc, 0x380, v88
	v_cmp_eq_u32_e64 s[30:31], 0, v0
	v_cmp_lt_u32_e64 s[34:35], 1, v0
	s_mov_b32 s79, s71
	v_or_b32_e32 v81, 64, v74
	v_or_b32_e32 v82, 0x80, v74
	;; [unrolled: 1-line block ×7, first 2 shown]
	v_addc_co_u32_e32 v91, vcc, 0, v89, vcc
	s_mov_b32 s72, s51
                                        ; implicit-def: $vgpr0_vgpr1
                                        ; implicit-def: $vgpr6_vgpr7
                                        ; implicit-def: $vgpr8_vgpr9
                                        ; implicit-def: $vgpr10_vgpr11
                                        ; implicit-def: $vgpr12_vgpr13
                                        ; implicit-def: $vgpr14_vgpr15
                                        ; implicit-def: $vgpr16_vgpr17
                                        ; implicit-def: $vgpr18_vgpr19
                                        ; implicit-def: $vgpr70
                                        ; implicit-def: $vgpr71
                                        ; implicit-def: $vgpr72
                                        ; implicit-def: $vgpr73
                                        ; implicit-def: $vgpr75
                                        ; implicit-def: $vgpr76
                                        ; implicit-def: $vgpr78
                                        ; implicit-def: $vgpr80
	s_waitcnt vmcnt(0)
	v_mad_u32_u24 v5, v39, v5, v40
	v_mad_u64_u32 v[20:21], s[36:37], v5, s36, v[2:3]
	v_lshrrev_b32_e32 v92, 6, v20
	s_branch .LBB2079_74
.LBB2079_73:                            ;   in Loop: Header=BB2079_74 Depth=2
	s_or_b64 exec, exec, s[36:37]
	s_addk_i32 s79, 0xf800
	s_cmp_lt_u32 s80, s76
	s_mov_b32 s72, s80
	s_cbranch_scc0 .LBB2079_186
.LBB2079_74:                            ;   Parent Loop BB2079_20 Depth=1
                                        ; =>  This Inner Loop Header: Depth=2
	s_add_i32 s80, s72, 0x800
	s_cmp_gt_u32 s80, s76
	s_cbranch_scc1 .LBB2079_77
; %bb.75:                               ;   in Loop: Header=BB2079_74 Depth=2
	s_lshl_b64 s[36:37], s[72:73], 1
	v_mov_b32_e32 v5, s37
	v_add_co_u32_e32 v20, vcc, s36, v88
	v_addc_co_u32_e32 v21, vcc, v89, v5, vcc
	global_load_ushort v5, v[20:21], off
	global_load_ushort v97, v[20:21], off offset:128
	global_load_ushort v101, v[20:21], off offset:256
	;; [unrolled: 1-line block ×6, first 2 shown]
	s_mov_b64 s[36:37], -1
	s_movk_i32 s40, 0x800
	s_cbranch_execz .LBB2079_78
; %bb.76:                               ;   in Loop: Header=BB2079_74 Depth=2
                                        ; implicit-def: $sgpr38
	v_mov_b32_e32 v23, s38
	v_mov_b32_e32 v93, s79
	s_and_saveexec_b64 s[38:39], s[36:37]
	s_cbranch_execnz .LBB2079_93
	s_branch .LBB2079_94
.LBB2079_77:                            ;   in Loop: Header=BB2079_74 Depth=2
	s_mov_b64 s[36:37], 0
                                        ; implicit-def: $sgpr40
                                        ; implicit-def: $vgpr5
                                        ; implicit-def: $vgpr97
                                        ; implicit-def: $vgpr101
                                        ; implicit-def: $vgpr106
                                        ; implicit-def: $vgpr109
                                        ; implicit-def: $vgpr104
                                        ; implicit-def: $vgpr22
.LBB2079_78:                            ;   in Loop: Header=BB2079_74 Depth=2
	s_lshl_b64 s[36:37], s[72:73], 1
	s_waitcnt vmcnt(6)
	v_mov_b32_e32 v5, s37
	v_add_co_u32_e32 v20, vcc, s36, v88
	v_addc_co_u32_e32 v21, vcc, v89, v5, vcc
	v_cmp_gt_u32_e32 vcc, s79, v74
	s_waitcnt vmcnt(5)
	v_mov_b32_e32 v97, 0x7fff
	v_mov_b32_e32 v5, 0x7fff
	s_and_saveexec_b64 s[36:37], vcc
	s_cbranch_execz .LBB2079_80
; %bb.79:                               ;   in Loop: Header=BB2079_74 Depth=2
	global_load_ushort v5, v[20:21], off
.LBB2079_80:                            ;   in Loop: Header=BB2079_74 Depth=2
	s_or_b64 exec, exec, s[36:37]
	v_cmp_gt_u32_e32 vcc, s79, v81
	s_and_saveexec_b64 s[36:37], vcc
	s_cbranch_execz .LBB2079_82
; %bb.81:                               ;   in Loop: Header=BB2079_74 Depth=2
	global_load_ushort v97, v[20:21], off offset:128
.LBB2079_82:                            ;   in Loop: Header=BB2079_74 Depth=2
	s_or_b64 exec, exec, s[36:37]
	v_cmp_gt_u32_e32 vcc, s79, v82
	s_waitcnt vmcnt(3)
	v_mov_b32_e32 v106, 0x7fff
	v_mov_b32_e32 v101, 0x7fff
	s_and_saveexec_b64 s[36:37], vcc
	s_cbranch_execz .LBB2079_84
; %bb.83:                               ;   in Loop: Header=BB2079_74 Depth=2
	global_load_ushort v101, v[20:21], off offset:256
.LBB2079_84:                            ;   in Loop: Header=BB2079_74 Depth=2
	s_or_b64 exec, exec, s[36:37]
	v_cmp_gt_u32_e32 vcc, s79, v83
	s_and_saveexec_b64 s[36:37], vcc
	s_cbranch_execz .LBB2079_86
; %bb.85:                               ;   in Loop: Header=BB2079_74 Depth=2
	global_load_ushort v106, v[20:21], off offset:384
.LBB2079_86:                            ;   in Loop: Header=BB2079_74 Depth=2
	s_or_b64 exec, exec, s[36:37]
	v_cmp_gt_u32_e32 vcc, s79, v84
	s_waitcnt vmcnt(1)
	v_mov_b32_e32 v104, 0x7fff
	v_mov_b32_e32 v109, 0x7fff
	s_and_saveexec_b64 s[36:37], vcc
	s_cbranch_execz .LBB2079_88
; %bb.87:                               ;   in Loop: Header=BB2079_74 Depth=2
	global_load_ushort v109, v[20:21], off offset:512
.LBB2079_88:                            ;   in Loop: Header=BB2079_74 Depth=2
	s_or_b64 exec, exec, s[36:37]
	v_cmp_gt_u32_e32 vcc, s79, v85
	s_and_saveexec_b64 s[36:37], vcc
	s_cbranch_execz .LBB2079_90
; %bb.89:                               ;   in Loop: Header=BB2079_74 Depth=2
	global_load_ushort v104, v[20:21], off offset:640
.LBB2079_90:                            ;   in Loop: Header=BB2079_74 Depth=2
	s_or_b64 exec, exec, s[36:37]
	v_cmp_gt_u32_e32 vcc, s79, v86
	s_waitcnt vmcnt(0)
	v_mov_b32_e32 v22, 0x7fff
	s_and_saveexec_b64 s[36:37], vcc
	s_cbranch_execz .LBB2079_92
; %bb.91:                               ;   in Loop: Header=BB2079_74 Depth=2
	global_load_ushort v22, v[20:21], off offset:768
.LBB2079_92:                            ;   in Loop: Header=BB2079_74 Depth=2
	s_or_b64 exec, exec, s[36:37]
	s_sub_i32 s40, s76, s72
	v_cmp_gt_u32_e64 s[36:37], s79, v87
	s_movk_i32 s38, 0x7fff
	v_mov_b32_e32 v23, s38
	v_mov_b32_e32 v93, s79
	s_and_saveexec_b64 s[38:39], s[36:37]
	s_cbranch_execz .LBB2079_94
.LBB2079_93:                            ;   in Loop: Header=BB2079_74 Depth=2
	s_lshl_b64 s[36:37], s[72:73], 1
	v_mov_b32_e32 v21, s37
	v_add_co_u32_e32 v20, vcc, s36, v90
	v_addc_co_u32_e32 v21, vcc, v91, v21, vcc
	global_load_ushort v23, v[20:21], off
	v_mov_b32_e32 v93, s40
.LBB2079_94:                            ;   in Loop: Header=BB2079_74 Depth=2
	s_or_b64 exec, exec, s[38:39]
	s_waitcnt vmcnt(6)
	v_cmp_lt_i16_e32 vcc, -1, v5
	v_cndmask_b32_e32 v20, -1, v66, vcc
	v_xor_b32_e32 v94, v20, v5
	v_add_u32_e32 v5, 0x410, v41
	v_cmp_ne_u16_e32 vcc, s68, v94
	ds_write2_b32 v5, v4, v4 offset1:1
	ds_write2_b32 v43, v4, v4 offset0:2 offset1:3
	ds_write_b32 v43, v4 offset:16
	v_cndmask_b32_e32 v5, v66, v94, vcc
	v_lshrrev_b32_sdwa v5, s77, v5 dst_sel:DWORD dst_unused:UNUSED_PAD src0_sel:DWORD src1_sel:WORD_0
	v_and_b32_e32 v20, s78, v5
	v_mad_u32_u24 v5, v20, 5, v92
	v_lshl_add_u32 v95, v5, 2, v42
	v_and_b32_e32 v5, 1, v20
	v_add_co_u32_e32 v21, vcc, -1, v5
	v_addc_co_u32_e64 v96, s[36:37], 0, -1, vcc
	v_cmp_ne_u32_e32 vcc, 0, v5
	v_xor_b32_e32 v5, vcc_hi, v96
	v_and_b32_e32 v96, exec_hi, v5
	v_lshlrev_b32_e32 v5, 30, v20
	v_xor_b32_e32 v21, vcc_lo, v21
	v_cmp_gt_i64_e32 vcc, 0, v[4:5]
	v_not_b32_e32 v5, v5
	v_ashrrev_i32_e32 v5, 31, v5
	v_and_b32_e32 v21, exec_lo, v21
	v_xor_b32_e32 v98, vcc_hi, v5
	v_xor_b32_e32 v5, vcc_lo, v5
	v_and_b32_e32 v21, v21, v5
	v_lshlrev_b32_e32 v5, 29, v20
	v_cmp_gt_i64_e32 vcc, 0, v[4:5]
	v_not_b32_e32 v5, v5
	v_ashrrev_i32_e32 v5, 31, v5
	v_and_b32_e32 v96, v96, v98
	v_xor_b32_e32 v98, vcc_hi, v5
	v_xor_b32_e32 v5, vcc_lo, v5
	v_and_b32_e32 v21, v21, v5
	v_lshlrev_b32_e32 v5, 28, v20
	v_cmp_gt_i64_e32 vcc, 0, v[4:5]
	v_not_b32_e32 v5, v5
	v_ashrrev_i32_e32 v5, 31, v5
	v_and_b32_e32 v96, v96, v98
	;; [unrolled: 8-line block ×5, first 2 shown]
	v_xor_b32_e32 v98, vcc_hi, v5
	v_xor_b32_e32 v5, vcc_lo, v5
	v_and_b32_e32 v96, v96, v98
	v_and_b32_e32 v98, v21, v5
	v_lshlrev_b32_e32 v5, 24, v20
	v_cmp_gt_i64_e32 vcc, 0, v[4:5]
	v_not_b32_e32 v5, v5
	v_ashrrev_i32_e32 v5, 31, v5
	v_xor_b32_e32 v20, vcc_hi, v5
	v_xor_b32_e32 v5, vcc_lo, v5
	v_and_b32_e32 v21, v96, v20
	v_and_b32_e32 v20, v98, v5
	v_mbcnt_lo_u32_b32 v5, v20, 0
	v_mbcnt_hi_u32_b32 v96, v21, v5
	v_cmp_eq_u32_e32 vcc, 0, v96
	v_cmp_ne_u64_e64 s[36:37], 0, v[20:21]
	s_and_b64 s[38:39], s[36:37], vcc
	s_waitcnt lgkmcnt(0)
	s_barrier
	s_waitcnt lgkmcnt(0)
	; wave barrier
	s_and_saveexec_b64 s[36:37], s[38:39]
	s_cbranch_execz .LBB2079_96
; %bb.95:                               ;   in Loop: Header=BB2079_74 Depth=2
	v_bcnt_u32_b32 v5, v20, 0
	v_bcnt_u32_b32 v5, v21, v5
	ds_write_b32 v95, v5
.LBB2079_96:                            ;   in Loop: Header=BB2079_74 Depth=2
	s_or_b64 exec, exec, s[36:37]
	s_waitcnt vmcnt(5)
	v_cmp_lt_i16_e32 vcc, -1, v97
	v_cndmask_b32_e32 v5, -1, v66, vcc
	v_xor_b32_e32 v97, v5, v97
	v_cmp_ne_u16_e32 vcc, s68, v97
	v_cndmask_b32_e32 v5, v66, v97, vcc
	v_lshrrev_b32_sdwa v5, s77, v5 dst_sel:DWORD dst_unused:UNUSED_PAD src0_sel:DWORD src1_sel:WORD_0
	v_and_b32_e32 v20, s78, v5
	v_mul_u32_u24_e32 v5, 5, v20
	v_add_lshl_u32 v5, v5, v92, 2
	; wave barrier
	v_add_u32_e32 v99, 0x410, v5
	ds_read_b32 v98, v5 offset:1040
	v_and_b32_e32 v5, 1, v20
	v_add_co_u32_e32 v21, vcc, -1, v5
	v_addc_co_u32_e64 v100, s[36:37], 0, -1, vcc
	v_cmp_ne_u32_e32 vcc, 0, v5
	v_xor_b32_e32 v5, vcc_hi, v100
	v_and_b32_e32 v100, exec_hi, v5
	v_lshlrev_b32_e32 v5, 30, v20
	v_xor_b32_e32 v21, vcc_lo, v21
	v_cmp_gt_i64_e32 vcc, 0, v[4:5]
	v_not_b32_e32 v5, v5
	v_ashrrev_i32_e32 v5, 31, v5
	v_and_b32_e32 v21, exec_lo, v21
	v_xor_b32_e32 v102, vcc_hi, v5
	v_xor_b32_e32 v5, vcc_lo, v5
	v_and_b32_e32 v21, v21, v5
	v_lshlrev_b32_e32 v5, 29, v20
	v_cmp_gt_i64_e32 vcc, 0, v[4:5]
	v_not_b32_e32 v5, v5
	v_ashrrev_i32_e32 v5, 31, v5
	v_and_b32_e32 v100, v100, v102
	v_xor_b32_e32 v102, vcc_hi, v5
	v_xor_b32_e32 v5, vcc_lo, v5
	v_and_b32_e32 v21, v21, v5
	v_lshlrev_b32_e32 v5, 28, v20
	v_cmp_gt_i64_e32 vcc, 0, v[4:5]
	v_not_b32_e32 v5, v5
	v_ashrrev_i32_e32 v5, 31, v5
	v_and_b32_e32 v100, v100, v102
	;; [unrolled: 8-line block ×5, first 2 shown]
	v_xor_b32_e32 v102, vcc_hi, v5
	v_xor_b32_e32 v5, vcc_lo, v5
	v_and_b32_e32 v100, v100, v102
	v_and_b32_e32 v102, v21, v5
	v_lshlrev_b32_e32 v5, 24, v20
	v_cmp_gt_i64_e32 vcc, 0, v[4:5]
	v_not_b32_e32 v5, v5
	v_ashrrev_i32_e32 v5, 31, v5
	v_xor_b32_e32 v20, vcc_hi, v5
	v_xor_b32_e32 v5, vcc_lo, v5
	v_and_b32_e32 v21, v100, v20
	v_and_b32_e32 v20, v102, v5
	v_mbcnt_lo_u32_b32 v5, v20, 0
	v_mbcnt_hi_u32_b32 v100, v21, v5
	v_cmp_eq_u32_e32 vcc, 0, v100
	v_cmp_ne_u64_e64 s[36:37], 0, v[20:21]
	s_and_b64 s[38:39], s[36:37], vcc
	; wave barrier
	s_and_saveexec_b64 s[36:37], s[38:39]
	s_cbranch_execz .LBB2079_98
; %bb.97:                               ;   in Loop: Header=BB2079_74 Depth=2
	v_bcnt_u32_b32 v5, v20, 0
	v_bcnt_u32_b32 v5, v21, v5
	s_waitcnt lgkmcnt(0)
	v_add_u32_e32 v5, v98, v5
	ds_write_b32 v99, v5
.LBB2079_98:                            ;   in Loop: Header=BB2079_74 Depth=2
	s_or_b64 exec, exec, s[36:37]
	s_waitcnt vmcnt(4)
	v_cmp_lt_i16_e32 vcc, -1, v101
	v_cndmask_b32_e32 v5, -1, v66, vcc
	v_xor_b32_e32 v101, v5, v101
	v_cmp_ne_u16_e32 vcc, s68, v101
	v_cndmask_b32_e32 v5, v66, v101, vcc
	v_lshrrev_b32_sdwa v5, s77, v5 dst_sel:DWORD dst_unused:UNUSED_PAD src0_sel:DWORD src1_sel:WORD_0
	v_and_b32_e32 v20, s78, v5
	v_mul_u32_u24_e32 v5, 5, v20
	v_add_lshl_u32 v5, v5, v92, 2
	; wave barrier
	v_add_u32_e32 v103, 0x410, v5
	ds_read_b32 v102, v5 offset:1040
	v_and_b32_e32 v5, 1, v20
	v_add_co_u32_e32 v21, vcc, -1, v5
	v_addc_co_u32_e64 v105, s[36:37], 0, -1, vcc
	v_cmp_ne_u32_e32 vcc, 0, v5
	v_xor_b32_e32 v5, vcc_hi, v105
	v_and_b32_e32 v105, exec_hi, v5
	v_lshlrev_b32_e32 v5, 30, v20
	v_xor_b32_e32 v21, vcc_lo, v21
	v_cmp_gt_i64_e32 vcc, 0, v[4:5]
	v_not_b32_e32 v5, v5
	v_ashrrev_i32_e32 v5, 31, v5
	v_and_b32_e32 v21, exec_lo, v21
	v_xor_b32_e32 v107, vcc_hi, v5
	v_xor_b32_e32 v5, vcc_lo, v5
	v_and_b32_e32 v21, v21, v5
	v_lshlrev_b32_e32 v5, 29, v20
	v_cmp_gt_i64_e32 vcc, 0, v[4:5]
	v_not_b32_e32 v5, v5
	v_ashrrev_i32_e32 v5, 31, v5
	v_and_b32_e32 v105, v105, v107
	v_xor_b32_e32 v107, vcc_hi, v5
	v_xor_b32_e32 v5, vcc_lo, v5
	v_and_b32_e32 v21, v21, v5
	v_lshlrev_b32_e32 v5, 28, v20
	v_cmp_gt_i64_e32 vcc, 0, v[4:5]
	v_not_b32_e32 v5, v5
	v_ashrrev_i32_e32 v5, 31, v5
	v_and_b32_e32 v105, v105, v107
	;; [unrolled: 8-line block ×5, first 2 shown]
	v_xor_b32_e32 v107, vcc_hi, v5
	v_xor_b32_e32 v5, vcc_lo, v5
	v_and_b32_e32 v105, v105, v107
	v_and_b32_e32 v107, v21, v5
	v_lshlrev_b32_e32 v5, 24, v20
	v_cmp_gt_i64_e32 vcc, 0, v[4:5]
	v_not_b32_e32 v5, v5
	v_ashrrev_i32_e32 v5, 31, v5
	v_xor_b32_e32 v20, vcc_hi, v5
	v_xor_b32_e32 v5, vcc_lo, v5
	v_and_b32_e32 v21, v105, v20
	v_and_b32_e32 v20, v107, v5
	v_mbcnt_lo_u32_b32 v5, v20, 0
	v_mbcnt_hi_u32_b32 v105, v21, v5
	v_cmp_eq_u32_e32 vcc, 0, v105
	v_cmp_ne_u64_e64 s[36:37], 0, v[20:21]
	s_and_b64 s[38:39], s[36:37], vcc
	; wave barrier
	s_and_saveexec_b64 s[36:37], s[38:39]
	s_cbranch_execz .LBB2079_100
; %bb.99:                               ;   in Loop: Header=BB2079_74 Depth=2
	v_bcnt_u32_b32 v5, v20, 0
	v_bcnt_u32_b32 v5, v21, v5
	s_waitcnt lgkmcnt(0)
	v_add_u32_e32 v5, v102, v5
	ds_write_b32 v103, v5
.LBB2079_100:                           ;   in Loop: Header=BB2079_74 Depth=2
	s_or_b64 exec, exec, s[36:37]
	s_waitcnt vmcnt(3)
	v_cmp_lt_i16_e32 vcc, -1, v106
	v_cndmask_b32_e32 v5, -1, v66, vcc
	v_xor_b32_e32 v106, v5, v106
	v_cmp_ne_u16_e32 vcc, s68, v106
	v_cndmask_b32_e32 v5, v66, v106, vcc
	v_lshrrev_b32_sdwa v5, s77, v5 dst_sel:DWORD dst_unused:UNUSED_PAD src0_sel:DWORD src1_sel:WORD_0
	v_and_b32_e32 v20, s78, v5
	v_mul_u32_u24_e32 v5, 5, v20
	v_add_lshl_u32 v5, v5, v92, 2
	; wave barrier
	v_add_u32_e32 v108, 0x410, v5
	ds_read_b32 v107, v5 offset:1040
	v_and_b32_e32 v5, 1, v20
	v_add_co_u32_e32 v21, vcc, -1, v5
	v_addc_co_u32_e64 v110, s[36:37], 0, -1, vcc
	v_cmp_ne_u32_e32 vcc, 0, v5
	v_xor_b32_e32 v5, vcc_hi, v110
	v_and_b32_e32 v110, exec_hi, v5
	v_lshlrev_b32_e32 v5, 30, v20
	v_xor_b32_e32 v21, vcc_lo, v21
	v_cmp_gt_i64_e32 vcc, 0, v[4:5]
	v_not_b32_e32 v5, v5
	v_ashrrev_i32_e32 v5, 31, v5
	v_and_b32_e32 v21, exec_lo, v21
	v_xor_b32_e32 v111, vcc_hi, v5
	v_xor_b32_e32 v5, vcc_lo, v5
	v_and_b32_e32 v21, v21, v5
	v_lshlrev_b32_e32 v5, 29, v20
	v_cmp_gt_i64_e32 vcc, 0, v[4:5]
	v_not_b32_e32 v5, v5
	v_ashrrev_i32_e32 v5, 31, v5
	v_and_b32_e32 v110, v110, v111
	v_xor_b32_e32 v111, vcc_hi, v5
	v_xor_b32_e32 v5, vcc_lo, v5
	v_and_b32_e32 v21, v21, v5
	v_lshlrev_b32_e32 v5, 28, v20
	v_cmp_gt_i64_e32 vcc, 0, v[4:5]
	v_not_b32_e32 v5, v5
	v_ashrrev_i32_e32 v5, 31, v5
	v_and_b32_e32 v110, v110, v111
	;; [unrolled: 8-line block ×5, first 2 shown]
	v_xor_b32_e32 v111, vcc_hi, v5
	v_xor_b32_e32 v5, vcc_lo, v5
	v_and_b32_e32 v110, v110, v111
	v_and_b32_e32 v111, v21, v5
	v_lshlrev_b32_e32 v5, 24, v20
	v_cmp_gt_i64_e32 vcc, 0, v[4:5]
	v_not_b32_e32 v5, v5
	v_ashrrev_i32_e32 v5, 31, v5
	v_xor_b32_e32 v20, vcc_hi, v5
	v_xor_b32_e32 v5, vcc_lo, v5
	v_and_b32_e32 v21, v110, v20
	v_and_b32_e32 v20, v111, v5
	v_mbcnt_lo_u32_b32 v5, v20, 0
	v_mbcnt_hi_u32_b32 v110, v21, v5
	v_cmp_eq_u32_e32 vcc, 0, v110
	v_cmp_ne_u64_e64 s[36:37], 0, v[20:21]
	s_and_b64 s[38:39], s[36:37], vcc
	; wave barrier
	s_and_saveexec_b64 s[36:37], s[38:39]
	s_cbranch_execz .LBB2079_102
; %bb.101:                              ;   in Loop: Header=BB2079_74 Depth=2
	v_bcnt_u32_b32 v5, v20, 0
	v_bcnt_u32_b32 v5, v21, v5
	s_waitcnt lgkmcnt(0)
	v_add_u32_e32 v5, v107, v5
	ds_write_b32 v108, v5
.LBB2079_102:                           ;   in Loop: Header=BB2079_74 Depth=2
	s_or_b64 exec, exec, s[36:37]
	s_waitcnt vmcnt(2)
	v_cmp_lt_i16_e32 vcc, -1, v109
	v_cndmask_b32_e32 v5, -1, v66, vcc
	v_xor_b32_e32 v109, v5, v109
	v_cmp_ne_u16_e32 vcc, s68, v109
	v_cndmask_b32_e32 v5, v66, v109, vcc
	v_lshrrev_b32_sdwa v5, s77, v5 dst_sel:DWORD dst_unused:UNUSED_PAD src0_sel:DWORD src1_sel:WORD_0
	v_and_b32_e32 v20, s78, v5
	v_mul_u32_u24_e32 v5, 5, v20
	v_add_lshl_u32 v5, v5, v92, 2
	; wave barrier
	v_add_u32_e32 v112, 0x410, v5
	ds_read_b32 v111, v5 offset:1040
	v_and_b32_e32 v5, 1, v20
	v_add_co_u32_e32 v21, vcc, -1, v5
	v_addc_co_u32_e64 v113, s[36:37], 0, -1, vcc
	v_cmp_ne_u32_e32 vcc, 0, v5
	v_xor_b32_e32 v5, vcc_hi, v113
	v_and_b32_e32 v113, exec_hi, v5
	v_lshlrev_b32_e32 v5, 30, v20
	v_xor_b32_e32 v21, vcc_lo, v21
	v_cmp_gt_i64_e32 vcc, 0, v[4:5]
	v_not_b32_e32 v5, v5
	v_ashrrev_i32_e32 v5, 31, v5
	v_and_b32_e32 v21, exec_lo, v21
	v_xor_b32_e32 v114, vcc_hi, v5
	v_xor_b32_e32 v5, vcc_lo, v5
	v_and_b32_e32 v21, v21, v5
	v_lshlrev_b32_e32 v5, 29, v20
	v_cmp_gt_i64_e32 vcc, 0, v[4:5]
	v_not_b32_e32 v5, v5
	v_ashrrev_i32_e32 v5, 31, v5
	v_and_b32_e32 v113, v113, v114
	v_xor_b32_e32 v114, vcc_hi, v5
	v_xor_b32_e32 v5, vcc_lo, v5
	v_and_b32_e32 v21, v21, v5
	v_lshlrev_b32_e32 v5, 28, v20
	v_cmp_gt_i64_e32 vcc, 0, v[4:5]
	v_not_b32_e32 v5, v5
	v_ashrrev_i32_e32 v5, 31, v5
	v_and_b32_e32 v113, v113, v114
	;; [unrolled: 8-line block ×5, first 2 shown]
	v_xor_b32_e32 v114, vcc_hi, v5
	v_xor_b32_e32 v5, vcc_lo, v5
	v_and_b32_e32 v113, v113, v114
	v_and_b32_e32 v114, v21, v5
	v_lshlrev_b32_e32 v5, 24, v20
	v_cmp_gt_i64_e32 vcc, 0, v[4:5]
	v_not_b32_e32 v5, v5
	v_ashrrev_i32_e32 v5, 31, v5
	v_xor_b32_e32 v20, vcc_hi, v5
	v_xor_b32_e32 v5, vcc_lo, v5
	v_and_b32_e32 v21, v113, v20
	v_and_b32_e32 v20, v114, v5
	v_mbcnt_lo_u32_b32 v5, v20, 0
	v_mbcnt_hi_u32_b32 v113, v21, v5
	v_cmp_eq_u32_e32 vcc, 0, v113
	v_cmp_ne_u64_e64 s[36:37], 0, v[20:21]
	s_and_b64 s[38:39], s[36:37], vcc
	; wave barrier
	s_and_saveexec_b64 s[36:37], s[38:39]
	s_cbranch_execz .LBB2079_104
; %bb.103:                              ;   in Loop: Header=BB2079_74 Depth=2
	v_bcnt_u32_b32 v5, v20, 0
	v_bcnt_u32_b32 v5, v21, v5
	s_waitcnt lgkmcnt(0)
	v_add_u32_e32 v5, v111, v5
	ds_write_b32 v112, v5
.LBB2079_104:                           ;   in Loop: Header=BB2079_74 Depth=2
	s_or_b64 exec, exec, s[36:37]
	s_waitcnt vmcnt(1)
	v_cmp_lt_i16_e32 vcc, -1, v104
	v_cndmask_b32_e32 v5, -1, v66, vcc
	v_xor_b32_e32 v104, v5, v104
	v_cmp_ne_u16_e32 vcc, s68, v104
	v_cndmask_b32_e32 v5, v66, v104, vcc
	v_lshrrev_b32_sdwa v5, s77, v5 dst_sel:DWORD dst_unused:UNUSED_PAD src0_sel:DWORD src1_sel:WORD_0
	v_and_b32_e32 v20, s78, v5
	v_mul_u32_u24_e32 v5, 5, v20
	v_add_lshl_u32 v5, v5, v92, 2
	; wave barrier
	v_add_u32_e32 v115, 0x410, v5
	ds_read_b32 v114, v5 offset:1040
	v_and_b32_e32 v5, 1, v20
	v_add_co_u32_e32 v21, vcc, -1, v5
	v_addc_co_u32_e64 v116, s[36:37], 0, -1, vcc
	v_cmp_ne_u32_e32 vcc, 0, v5
	v_xor_b32_e32 v5, vcc_hi, v116
	v_and_b32_e32 v116, exec_hi, v5
	v_lshlrev_b32_e32 v5, 30, v20
	v_xor_b32_e32 v21, vcc_lo, v21
	v_cmp_gt_i64_e32 vcc, 0, v[4:5]
	v_not_b32_e32 v5, v5
	v_ashrrev_i32_e32 v5, 31, v5
	v_and_b32_e32 v21, exec_lo, v21
	v_xor_b32_e32 v117, vcc_hi, v5
	v_xor_b32_e32 v5, vcc_lo, v5
	v_and_b32_e32 v21, v21, v5
	v_lshlrev_b32_e32 v5, 29, v20
	v_cmp_gt_i64_e32 vcc, 0, v[4:5]
	v_not_b32_e32 v5, v5
	v_ashrrev_i32_e32 v5, 31, v5
	v_and_b32_e32 v116, v116, v117
	v_xor_b32_e32 v117, vcc_hi, v5
	v_xor_b32_e32 v5, vcc_lo, v5
	v_and_b32_e32 v21, v21, v5
	v_lshlrev_b32_e32 v5, 28, v20
	v_cmp_gt_i64_e32 vcc, 0, v[4:5]
	v_not_b32_e32 v5, v5
	v_ashrrev_i32_e32 v5, 31, v5
	v_and_b32_e32 v116, v116, v117
	;; [unrolled: 8-line block ×5, first 2 shown]
	v_xor_b32_e32 v117, vcc_hi, v5
	v_xor_b32_e32 v5, vcc_lo, v5
	v_and_b32_e32 v116, v116, v117
	v_and_b32_e32 v117, v21, v5
	v_lshlrev_b32_e32 v5, 24, v20
	v_cmp_gt_i64_e32 vcc, 0, v[4:5]
	v_not_b32_e32 v5, v5
	v_ashrrev_i32_e32 v5, 31, v5
	v_xor_b32_e32 v20, vcc_hi, v5
	v_xor_b32_e32 v5, vcc_lo, v5
	v_and_b32_e32 v21, v116, v20
	v_and_b32_e32 v20, v117, v5
	v_mbcnt_lo_u32_b32 v5, v20, 0
	v_mbcnt_hi_u32_b32 v116, v21, v5
	v_cmp_eq_u32_e32 vcc, 0, v116
	v_cmp_ne_u64_e64 s[36:37], 0, v[20:21]
	s_and_b64 s[38:39], s[36:37], vcc
	; wave barrier
	s_and_saveexec_b64 s[36:37], s[38:39]
	s_cbranch_execz .LBB2079_106
; %bb.105:                              ;   in Loop: Header=BB2079_74 Depth=2
	v_bcnt_u32_b32 v5, v20, 0
	v_bcnt_u32_b32 v5, v21, v5
	s_waitcnt lgkmcnt(0)
	v_add_u32_e32 v5, v114, v5
	ds_write_b32 v115, v5
.LBB2079_106:                           ;   in Loop: Header=BB2079_74 Depth=2
	s_or_b64 exec, exec, s[36:37]
	s_waitcnt vmcnt(0)
	v_cmp_lt_i16_e32 vcc, -1, v22
	v_cndmask_b32_e32 v5, -1, v66, vcc
	v_xor_b32_e32 v117, v5, v22
	v_cmp_ne_u16_e32 vcc, s68, v117
	v_cndmask_b32_e32 v5, v66, v117, vcc
	v_lshrrev_b32_sdwa v5, s77, v5 dst_sel:DWORD dst_unused:UNUSED_PAD src0_sel:DWORD src1_sel:WORD_0
	v_and_b32_e32 v20, s78, v5
	v_mul_u32_u24_e32 v5, 5, v20
	v_add_lshl_u32 v5, v5, v92, 2
	; wave barrier
	v_add_u32_e32 v119, 0x410, v5
	ds_read_b32 v118, v5 offset:1040
	v_and_b32_e32 v5, 1, v20
	v_add_co_u32_e32 v21, vcc, -1, v5
	v_addc_co_u32_e64 v22, s[36:37], 0, -1, vcc
	v_cmp_ne_u32_e32 vcc, 0, v5
	v_xor_b32_e32 v5, vcc_hi, v22
	v_and_b32_e32 v22, exec_hi, v5
	v_lshlrev_b32_e32 v5, 30, v20
	v_xor_b32_e32 v21, vcc_lo, v21
	v_cmp_gt_i64_e32 vcc, 0, v[4:5]
	v_not_b32_e32 v5, v5
	v_ashrrev_i32_e32 v5, 31, v5
	v_and_b32_e32 v21, exec_lo, v21
	v_xor_b32_e32 v120, vcc_hi, v5
	v_xor_b32_e32 v5, vcc_lo, v5
	v_and_b32_e32 v21, v21, v5
	v_lshlrev_b32_e32 v5, 29, v20
	v_cmp_gt_i64_e32 vcc, 0, v[4:5]
	v_not_b32_e32 v5, v5
	v_ashrrev_i32_e32 v5, 31, v5
	v_and_b32_e32 v22, v22, v120
	v_xor_b32_e32 v120, vcc_hi, v5
	v_xor_b32_e32 v5, vcc_lo, v5
	v_and_b32_e32 v21, v21, v5
	v_lshlrev_b32_e32 v5, 28, v20
	v_cmp_gt_i64_e32 vcc, 0, v[4:5]
	v_not_b32_e32 v5, v5
	v_ashrrev_i32_e32 v5, 31, v5
	v_and_b32_e32 v22, v22, v120
	;; [unrolled: 8-line block ×5, first 2 shown]
	v_xor_b32_e32 v120, vcc_hi, v5
	v_xor_b32_e32 v5, vcc_lo, v5
	v_and_b32_e32 v22, v22, v120
	v_and_b32_e32 v120, v21, v5
	v_lshlrev_b32_e32 v5, 24, v20
	v_cmp_gt_i64_e32 vcc, 0, v[4:5]
	v_not_b32_e32 v5, v5
	v_ashrrev_i32_e32 v5, 31, v5
	v_xor_b32_e32 v20, vcc_hi, v5
	v_xor_b32_e32 v5, vcc_lo, v5
	v_and_b32_e32 v21, v22, v20
	v_and_b32_e32 v20, v120, v5
	v_mbcnt_lo_u32_b32 v5, v20, 0
	v_mbcnt_hi_u32_b32 v120, v21, v5
	v_cmp_eq_u32_e32 vcc, 0, v120
	v_cmp_ne_u64_e64 s[36:37], 0, v[20:21]
	s_and_b64 s[38:39], s[36:37], vcc
	; wave barrier
	s_and_saveexec_b64 s[36:37], s[38:39]
	s_cbranch_execz .LBB2079_108
; %bb.107:                              ;   in Loop: Header=BB2079_74 Depth=2
	v_bcnt_u32_b32 v5, v20, 0
	v_bcnt_u32_b32 v5, v21, v5
	s_waitcnt lgkmcnt(0)
	v_add_u32_e32 v5, v118, v5
	ds_write_b32 v119, v5
.LBB2079_108:                           ;   in Loop: Header=BB2079_74 Depth=2
	s_or_b64 exec, exec, s[36:37]
	v_cmp_lt_i16_e32 vcc, -1, v23
	v_cndmask_b32_e32 v5, -1, v66, vcc
	v_xor_b32_e32 v121, v5, v23
	v_cmp_ne_u16_e32 vcc, s68, v121
	v_cndmask_b32_e32 v5, v66, v121, vcc
	v_lshrrev_b32_sdwa v5, s77, v5 dst_sel:DWORD dst_unused:UNUSED_PAD src0_sel:DWORD src1_sel:WORD_0
	v_and_b32_e32 v20, s78, v5
	v_mul_u32_u24_e32 v5, 5, v20
	v_add_lshl_u32 v5, v5, v92, 2
	; wave barrier
	v_add_u32_e32 v123, 0x410, v5
	ds_read_b32 v122, v5 offset:1040
	v_and_b32_e32 v5, 1, v20
	v_add_co_u32_e32 v21, vcc, -1, v5
	v_addc_co_u32_e64 v22, s[36:37], 0, -1, vcc
	v_cmp_ne_u32_e32 vcc, 0, v5
	v_xor_b32_e32 v5, vcc_hi, v22
	v_and_b32_e32 v22, exec_hi, v5
	v_lshlrev_b32_e32 v5, 30, v20
	v_xor_b32_e32 v21, vcc_lo, v21
	v_cmp_gt_i64_e32 vcc, 0, v[4:5]
	v_not_b32_e32 v5, v5
	v_ashrrev_i32_e32 v5, 31, v5
	v_and_b32_e32 v21, exec_lo, v21
	v_xor_b32_e32 v23, vcc_hi, v5
	v_xor_b32_e32 v5, vcc_lo, v5
	v_and_b32_e32 v21, v21, v5
	v_lshlrev_b32_e32 v5, 29, v20
	v_cmp_gt_i64_e32 vcc, 0, v[4:5]
	v_not_b32_e32 v5, v5
	v_ashrrev_i32_e32 v5, 31, v5
	v_and_b32_e32 v22, v22, v23
	v_xor_b32_e32 v23, vcc_hi, v5
	v_xor_b32_e32 v5, vcc_lo, v5
	v_and_b32_e32 v21, v21, v5
	v_lshlrev_b32_e32 v5, 28, v20
	v_cmp_gt_i64_e32 vcc, 0, v[4:5]
	v_not_b32_e32 v5, v5
	v_ashrrev_i32_e32 v5, 31, v5
	v_and_b32_e32 v22, v22, v23
	;; [unrolled: 8-line block ×5, first 2 shown]
	v_xor_b32_e32 v23, vcc_hi, v5
	v_xor_b32_e32 v5, vcc_lo, v5
	v_and_b32_e32 v22, v22, v23
	v_and_b32_e32 v23, v21, v5
	v_lshlrev_b32_e32 v5, 24, v20
	v_cmp_gt_i64_e32 vcc, 0, v[4:5]
	v_not_b32_e32 v5, v5
	v_ashrrev_i32_e32 v5, 31, v5
	v_xor_b32_e32 v20, vcc_hi, v5
	v_xor_b32_e32 v5, vcc_lo, v5
	v_and_b32_e32 v21, v22, v20
	v_and_b32_e32 v20, v23, v5
	v_mbcnt_lo_u32_b32 v5, v20, 0
	v_mbcnt_hi_u32_b32 v124, v21, v5
	v_cmp_eq_u32_e32 vcc, 0, v124
	v_cmp_ne_u64_e64 s[36:37], 0, v[20:21]
	s_and_b64 s[38:39], s[36:37], vcc
	; wave barrier
	s_and_saveexec_b64 s[36:37], s[38:39]
	s_cbranch_execz .LBB2079_110
; %bb.109:                              ;   in Loop: Header=BB2079_74 Depth=2
	v_bcnt_u32_b32 v5, v20, 0
	v_bcnt_u32_b32 v5, v21, v5
	s_waitcnt lgkmcnt(0)
	v_add_u32_e32 v5, v122, v5
	ds_write_b32 v123, v5
.LBB2079_110:                           ;   in Loop: Header=BB2079_74 Depth=2
	s_or_b64 exec, exec, s[36:37]
	; wave barrier
	s_waitcnt lgkmcnt(0)
	s_barrier
	ds_read_b32 v5, v41 offset:1040
	ds_read2_b32 v[22:23], v43 offset0:1 offset1:2
	ds_read2_b32 v[20:21], v43 offset0:3 offset1:4
	s_waitcnt lgkmcnt(1)
	v_add3_u32 v125, v22, v5, v23
	s_waitcnt lgkmcnt(0)
	v_add3_u32 v21, v125, v20, v21
	s_nop 1
	v_mov_b32_dpp v125, v21 row_shr:1 row_mask:0xf bank_mask:0xf
	v_cndmask_b32_e64 v125, v125, 0, s[16:17]
	v_add_u32_e32 v21, v125, v21
	s_nop 1
	v_mov_b32_dpp v125, v21 row_shr:2 row_mask:0xf bank_mask:0xf
	v_cndmask_b32_e64 v125, 0, v125, s[18:19]
	v_add_u32_e32 v21, v21, v125
	;; [unrolled: 4-line block ×4, first 2 shown]
	s_nop 1
	v_mov_b32_dpp v125, v21 row_bcast:15 row_mask:0xf bank_mask:0xf
	v_cndmask_b32_e64 v125, v125, 0, s[24:25]
	v_add_u32_e32 v21, v21, v125
	s_nop 1
	v_mov_b32_dpp v125, v21 row_bcast:31 row_mask:0xf bank_mask:0xf
	v_cndmask_b32_e64 v125, 0, v125, s[26:27]
	v_add_u32_e32 v21, v21, v125
	s_and_saveexec_b64 s[36:37], s[6:7]
	s_cbranch_execz .LBB2079_112
; %bb.111:                              ;   in Loop: Header=BB2079_74 Depth=2
	ds_write_b32 v34, v21 offset:1024
.LBB2079_112:                           ;   in Loop: Header=BB2079_74 Depth=2
	s_or_b64 exec, exec, s[36:37]
	s_waitcnt lgkmcnt(0)
	s_barrier
	s_and_saveexec_b64 s[36:37], s[8:9]
	s_cbranch_execz .LBB2079_114
; %bb.113:                              ;   in Loop: Header=BB2079_74 Depth=2
	ds_read_b32 v125, v44 offset:1024
	s_waitcnt lgkmcnt(0)
	s_nop 0
	v_mov_b32_dpp v126, v125 row_shr:1 row_mask:0xf bank_mask:0xf
	v_cndmask_b32_e64 v126, v126, 0, s[30:31]
	v_add_u32_e32 v125, v126, v125
	s_nop 1
	v_mov_b32_dpp v126, v125 row_shr:2 row_mask:0xf bank_mask:0xf
	v_cndmask_b32_e64 v126, 0, v126, s[34:35]
	v_add_u32_e32 v125, v125, v126
	ds_write_b32 v44, v125 offset:1024
.LBB2079_114:                           ;   in Loop: Header=BB2079_74 Depth=2
	s_or_b64 exec, exec, s[36:37]
	v_mov_b32_e32 v125, 0
	s_waitcnt lgkmcnt(0)
	s_barrier
	s_and_saveexec_b64 s[36:37], s[10:11]
	s_cbranch_execz .LBB2079_116
; %bb.115:                              ;   in Loop: Header=BB2079_74 Depth=2
	ds_read_b32 v125, v34 offset:1020
.LBB2079_116:                           ;   in Loop: Header=BB2079_74 Depth=2
	s_or_b64 exec, exec, s[36:37]
	s_waitcnt lgkmcnt(0)
	v_add_u32_e32 v21, v125, v21
	ds_bpermute_b32 v21, v69, v21
	s_waitcnt lgkmcnt(0)
	v_cndmask_b32_e64 v21, v21, v125, s[28:29]
	v_cndmask_b32_e64 v21, v21, 0, s[12:13]
	v_add_u32_e32 v5, v21, v5
	ds_write_b32 v41, v21 offset:1040
	v_add_u32_e32 v21, v5, v22
	v_add_u32_e32 v22, v21, v23
	ds_write2_b32 v43, v5, v21 offset0:1 offset1:2
	v_add_u32_e32 v5, v22, v20
	ds_write2_b32 v43, v22, v5 offset0:3 offset1:4
	s_waitcnt lgkmcnt(0)
	s_barrier
	ds_read_b32 v20, v99
	ds_read_b32 v21, v103
	;; [unrolled: 1-line block ×8, first 2 shown]
	ds_read_b32 v99, v41 offset:1040
	v_mov_b32_e32 v5, 0x800
	s_and_saveexec_b64 s[36:37], s[14:15]
	s_cbranch_execz .LBB2079_118
; %bb.117:                              ;   in Loop: Header=BB2079_74 Depth=2
	ds_read_b32 v5, v41 offset:1060
.LBB2079_118:                           ;   in Loop: Header=BB2079_74 Depth=2
	s_or_b64 exec, exec, s[36:37]
	s_waitcnt lgkmcnt(0)
	s_barrier
	s_and_saveexec_b64 s[36:37], s[4:5]
	s_cbranch_execz .LBB2079_120
; %bb.119:                              ;   in Loop: Header=BB2079_74 Depth=2
	ds_read_b32 v103, v3
	s_waitcnt lgkmcnt(0)
	v_sub_u32_e32 v99, v103, v99
	ds_write_b32 v3, v99
.LBB2079_120:                           ;   in Loop: Header=BB2079_74 Depth=2
	s_or_b64 exec, exec, s[36:37]
	v_add_u32_e32 v103, v95, v96
	v_add3_u32 v100, v100, v98, v20
	v_lshlrev_b32_e32 v20, 1, v103
	v_add3_u32 v99, v105, v102, v21
	ds_write_b16 v20, v94 offset:1024
	v_lshlrev_b32_e32 v20, 1, v100
	v_add3_u32 v98, v110, v107, v22
	ds_write_b16 v20, v97 offset:1024
	;; [unrolled: 3-line block ×6, first 2 shown]
	v_lshlrev_b32_e32 v20, 1, v23
	ds_write_b16 v20, v117 offset:1024
	v_lshlrev_b32_e32 v20, 1, v22
	v_cmp_lt_u32_e32 vcc, v2, v93
	ds_write_b16 v20, v121 offset:1024
	s_waitcnt lgkmcnt(0)
	s_barrier
	s_and_saveexec_b64 s[38:39], vcc
	s_cbranch_execz .LBB2079_128
; %bb.121:                              ;   in Loop: Header=BB2079_74 Depth=2
	ds_read_u16 v20, v49 offset:1024
	v_mov_b32_e32 v21, v4
	v_mov_b32_e32 v97, s59
	s_waitcnt lgkmcnt(0)
	v_cmp_ne_u16_e64 s[36:37], s68, v20
	v_cndmask_b32_e64 v94, v66, v20, s[36:37]
	v_lshrrev_b32_sdwa v94, s77, v94 dst_sel:DWORD dst_unused:UNUSED_PAD src0_sel:DWORD src1_sel:WORD_0
	v_and_b32_e32 v94, s78, v94
	v_lshlrev_b32_e32 v94, 2, v94
	ds_read_b32 v94, v94
	v_cmp_lt_i16_e64 s[36:37], -1, v20
	v_cndmask_b32_e64 v101, v66, -1, s[36:37]
	v_xor_b32_e32 v101, v101, v20
	s_waitcnt lgkmcnt(0)
	v_add_u32_e32 v20, v94, v2
	v_lshlrev_b64 v[20:21], 1, v[20:21]
	v_add_co_u32_e64 v20, s[36:37], s58, v20
	v_addc_co_u32_e64 v21, s[36:37], v97, v21, s[36:37]
	global_store_short v[20:21], v101, off
	s_or_b64 exec, exec, s[38:39]
	v_cmp_lt_u32_e64 s[36:37], v24, v93
	s_and_saveexec_b64 s[40:41], s[36:37]
	s_cbranch_execnz .LBB2079_129
.LBB2079_122:                           ;   in Loop: Header=BB2079_74 Depth=2
	s_or_b64 exec, exec, s[40:41]
	v_cmp_lt_u32_e64 s[38:39], v25, v93
	s_and_saveexec_b64 s[42:43], s[38:39]
	s_cbranch_execz .LBB2079_130
.LBB2079_123:                           ;   in Loop: Header=BB2079_74 Depth=2
	ds_read_u16 v20, v50 offset:1024
	v_mov_b32_e32 v21, v4
	v_mov_b32_e32 v97, s59
	s_waitcnt lgkmcnt(0)
	v_cmp_ne_u16_e64 s[40:41], s68, v20
	v_cndmask_b32_e64 v94, v66, v20, s[40:41]
	v_lshrrev_b32_sdwa v94, s77, v94 dst_sel:DWORD dst_unused:UNUSED_PAD src0_sel:DWORD src1_sel:WORD_0
	v_and_b32_e32 v94, s78, v94
	v_lshlrev_b32_e32 v94, 2, v94
	ds_read_b32 v94, v94
	v_cmp_lt_i16_e64 s[40:41], -1, v20
	v_cndmask_b32_e64 v101, v66, -1, s[40:41]
	v_xor_b32_e32 v101, v101, v20
	s_waitcnt lgkmcnt(0)
	v_add_u32_e32 v20, v94, v25
	v_lshlrev_b64 v[20:21], 1, v[20:21]
	v_add_co_u32_e64 v20, s[40:41], s58, v20
	v_addc_co_u32_e64 v21, s[40:41], v97, v21, s[40:41]
	global_store_short v[20:21], v101, off
	s_or_b64 exec, exec, s[42:43]
	v_cmp_lt_u32_e64 s[40:41], v26, v93
	s_and_saveexec_b64 s[44:45], s[40:41]
	s_cbranch_execnz .LBB2079_131
.LBB2079_124:                           ;   in Loop: Header=BB2079_74 Depth=2
	s_or_b64 exec, exec, s[44:45]
	v_cmp_lt_u32_e64 s[42:43], v29, v93
	s_and_saveexec_b64 s[46:47], s[42:43]
	s_cbranch_execz .LBB2079_132
.LBB2079_125:                           ;   in Loop: Header=BB2079_74 Depth=2
	ds_read_u16 v20, v50 offset:2048
	v_mov_b32_e32 v21, v4
	v_mov_b32_e32 v97, s59
	s_waitcnt lgkmcnt(0)
	v_cmp_ne_u16_e64 s[44:45], s68, v20
	v_cndmask_b32_e64 v94, v66, v20, s[44:45]
	v_lshrrev_b32_sdwa v94, s77, v94 dst_sel:DWORD dst_unused:UNUSED_PAD src0_sel:DWORD src1_sel:WORD_0
	v_and_b32_e32 v94, s78, v94
	v_lshlrev_b32_e32 v94, 2, v94
	ds_read_b32 v94, v94
	v_cmp_lt_i16_e64 s[44:45], -1, v20
	v_cndmask_b32_e64 v101, v66, -1, s[44:45]
	v_xor_b32_e32 v101, v101, v20
	s_waitcnt lgkmcnt(0)
	v_add_u32_e32 v20, v94, v29
	v_lshlrev_b64 v[20:21], 1, v[20:21]
	v_add_co_u32_e64 v20, s[44:45], s58, v20
	v_addc_co_u32_e64 v21, s[44:45], v97, v21, s[44:45]
	global_store_short v[20:21], v101, off
	s_or_b64 exec, exec, s[46:47]
	v_cmp_lt_u32_e64 s[44:45], v30, v93
	s_and_saveexec_b64 s[48:49], s[44:45]
	s_cbranch_execnz .LBB2079_133
.LBB2079_126:                           ;   in Loop: Header=BB2079_74 Depth=2
	s_or_b64 exec, exec, s[48:49]
	v_cmp_lt_u32_e64 s[46:47], v31, v93
	s_and_saveexec_b64 s[52:53], s[46:47]
	s_cbranch_execz .LBB2079_134
.LBB2079_127:                           ;   in Loop: Header=BB2079_74 Depth=2
	ds_read_u16 v20, v50 offset:3072
	v_mov_b32_e32 v21, v4
	v_mov_b32_e32 v97, s59
	s_waitcnt lgkmcnt(0)
	v_cmp_ne_u16_e64 s[48:49], s68, v20
	v_cndmask_b32_e64 v94, v66, v20, s[48:49]
	v_lshrrev_b32_sdwa v94, s77, v94 dst_sel:DWORD dst_unused:UNUSED_PAD src0_sel:DWORD src1_sel:WORD_0
	v_and_b32_e32 v94, s78, v94
	v_lshlrev_b32_e32 v94, 2, v94
	ds_read_b32 v94, v94
	v_cmp_lt_i16_e64 s[48:49], -1, v20
	v_cndmask_b32_e64 v101, v66, -1, s[48:49]
	v_xor_b32_e32 v101, v101, v20
	s_waitcnt lgkmcnt(0)
	v_add_u32_e32 v20, v94, v31
	v_lshlrev_b64 v[20:21], 1, v[20:21]
	v_add_co_u32_e64 v20, s[48:49], s58, v20
	v_addc_co_u32_e64 v21, s[48:49], v97, v21, s[48:49]
	global_store_short v[20:21], v101, off
	s_or_b64 exec, exec, s[52:53]
	v_cmp_lt_u32_e64 s[48:49], v32, v93
	s_and_saveexec_b64 s[62:63], s[48:49]
	s_cbranch_execnz .LBB2079_135
	s_branch .LBB2079_136
.LBB2079_128:                           ;   in Loop: Header=BB2079_74 Depth=2
	s_or_b64 exec, exec, s[38:39]
	v_cmp_lt_u32_e64 s[36:37], v24, v93
	s_and_saveexec_b64 s[40:41], s[36:37]
	s_cbranch_execz .LBB2079_122
.LBB2079_129:                           ;   in Loop: Header=BB2079_74 Depth=2
	ds_read_u16 v20, v50 offset:512
	v_mov_b32_e32 v21, v4
	v_mov_b32_e32 v97, s59
	s_waitcnt lgkmcnt(0)
	v_cmp_ne_u16_e64 s[38:39], s68, v20
	v_cndmask_b32_e64 v94, v66, v20, s[38:39]
	v_lshrrev_b32_sdwa v94, s77, v94 dst_sel:DWORD dst_unused:UNUSED_PAD src0_sel:DWORD src1_sel:WORD_0
	v_and_b32_e32 v94, s78, v94
	v_lshlrev_b32_e32 v94, 2, v94
	ds_read_b32 v94, v94
	v_cmp_lt_i16_e64 s[38:39], -1, v20
	v_cndmask_b32_e64 v101, v66, -1, s[38:39]
	v_xor_b32_e32 v101, v101, v20
	s_waitcnt lgkmcnt(0)
	v_add_u32_e32 v20, v94, v24
	v_lshlrev_b64 v[20:21], 1, v[20:21]
	v_add_co_u32_e64 v20, s[38:39], s58, v20
	v_addc_co_u32_e64 v21, s[38:39], v97, v21, s[38:39]
	global_store_short v[20:21], v101, off
	s_or_b64 exec, exec, s[40:41]
	v_cmp_lt_u32_e64 s[38:39], v25, v93
	s_and_saveexec_b64 s[42:43], s[38:39]
	s_cbranch_execnz .LBB2079_123
.LBB2079_130:                           ;   in Loop: Header=BB2079_74 Depth=2
	s_or_b64 exec, exec, s[42:43]
	v_cmp_lt_u32_e64 s[40:41], v26, v93
	s_and_saveexec_b64 s[44:45], s[40:41]
	s_cbranch_execz .LBB2079_124
.LBB2079_131:                           ;   in Loop: Header=BB2079_74 Depth=2
	ds_read_u16 v20, v50 offset:1536
	v_mov_b32_e32 v21, v4
	v_mov_b32_e32 v97, s59
	s_waitcnt lgkmcnt(0)
	v_cmp_ne_u16_e64 s[42:43], s68, v20
	v_cndmask_b32_e64 v94, v66, v20, s[42:43]
	v_lshrrev_b32_sdwa v94, s77, v94 dst_sel:DWORD dst_unused:UNUSED_PAD src0_sel:DWORD src1_sel:WORD_0
	v_and_b32_e32 v94, s78, v94
	v_lshlrev_b32_e32 v94, 2, v94
	ds_read_b32 v94, v94
	v_cmp_lt_i16_e64 s[42:43], -1, v20
	v_cndmask_b32_e64 v101, v66, -1, s[42:43]
	v_xor_b32_e32 v101, v101, v20
	s_waitcnt lgkmcnt(0)
	v_add_u32_e32 v20, v94, v26
	v_lshlrev_b64 v[20:21], 1, v[20:21]
	v_add_co_u32_e64 v20, s[42:43], s58, v20
	v_addc_co_u32_e64 v21, s[42:43], v97, v21, s[42:43]
	global_store_short v[20:21], v101, off
	s_or_b64 exec, exec, s[44:45]
	v_cmp_lt_u32_e64 s[42:43], v29, v93
	s_and_saveexec_b64 s[46:47], s[42:43]
	s_cbranch_execnz .LBB2079_125
.LBB2079_132:                           ;   in Loop: Header=BB2079_74 Depth=2
	s_or_b64 exec, exec, s[46:47]
	v_cmp_lt_u32_e64 s[44:45], v30, v93
	s_and_saveexec_b64 s[48:49], s[44:45]
	s_cbranch_execz .LBB2079_126
.LBB2079_133:                           ;   in Loop: Header=BB2079_74 Depth=2
	ds_read_u16 v20, v50 offset:2560
	v_mov_b32_e32 v21, v4
	v_mov_b32_e32 v97, s59
	s_waitcnt lgkmcnt(0)
	v_cmp_ne_u16_e64 s[46:47], s68, v20
	v_cndmask_b32_e64 v94, v66, v20, s[46:47]
	v_lshrrev_b32_sdwa v94, s77, v94 dst_sel:DWORD dst_unused:UNUSED_PAD src0_sel:DWORD src1_sel:WORD_0
	v_and_b32_e32 v94, s78, v94
	v_lshlrev_b32_e32 v94, 2, v94
	ds_read_b32 v94, v94
	v_cmp_lt_i16_e64 s[46:47], -1, v20
	v_cndmask_b32_e64 v101, v66, -1, s[46:47]
	v_xor_b32_e32 v101, v101, v20
	s_waitcnt lgkmcnt(0)
	v_add_u32_e32 v20, v94, v30
	v_lshlrev_b64 v[20:21], 1, v[20:21]
	v_add_co_u32_e64 v20, s[46:47], s58, v20
	v_addc_co_u32_e64 v21, s[46:47], v97, v21, s[46:47]
	global_store_short v[20:21], v101, off
	s_or_b64 exec, exec, s[48:49]
	v_cmp_lt_u32_e64 s[46:47], v31, v93
	s_and_saveexec_b64 s[52:53], s[46:47]
	s_cbranch_execnz .LBB2079_127
.LBB2079_134:                           ;   in Loop: Header=BB2079_74 Depth=2
	s_or_b64 exec, exec, s[52:53]
	v_cmp_lt_u32_e64 s[48:49], v32, v93
	s_and_saveexec_b64 s[62:63], s[48:49]
	s_cbranch_execz .LBB2079_136
.LBB2079_135:                           ;   in Loop: Header=BB2079_74 Depth=2
	ds_read_u16 v20, v50 offset:3584
	v_mov_b32_e32 v21, v4
	v_mov_b32_e32 v97, s59
	s_waitcnt lgkmcnt(0)
	v_cmp_ne_u16_e64 s[52:53], s68, v20
	v_cndmask_b32_e64 v94, v66, v20, s[52:53]
	v_lshrrev_b32_sdwa v94, s77, v94 dst_sel:DWORD dst_unused:UNUSED_PAD src0_sel:DWORD src1_sel:WORD_0
	v_and_b32_e32 v94, s78, v94
	v_lshlrev_b32_e32 v94, 2, v94
	ds_read_b32 v94, v94
	v_cmp_lt_i16_e64 s[52:53], -1, v20
	v_cndmask_b32_e64 v101, v66, -1, s[52:53]
	v_xor_b32_e32 v101, v101, v20
	s_waitcnt lgkmcnt(0)
	v_add_u32_e32 v20, v94, v32
	v_lshlrev_b64 v[20:21], 1, v[20:21]
	v_add_co_u32_e64 v20, s[52:53], s58, v20
	v_addc_co_u32_e64 v21, s[52:53], v97, v21, s[52:53]
	global_store_short v[20:21], v101, off
.LBB2079_136:                           ;   in Loop: Header=BB2079_74 Depth=2
	s_or_b64 exec, exec, s[62:63]
	s_lshl_b64 s[52:53], s[72:73], 3
	v_mov_b32_e32 v21, s53
	v_add_co_u32_e64 v20, s[52:53], s52, v77
	v_addc_co_u32_e64 v21, s[52:53], v79, v21, s[52:53]
	v_cmp_lt_u32_e64 s[52:53], v74, v93
	s_and_saveexec_b64 s[62:63], s[52:53]
	s_xor_b64 s[52:53], exec, s[62:63]
	s_cbranch_execz .LBB2079_152
; %bb.137:                              ;   in Loop: Header=BB2079_74 Depth=2
	global_load_dwordx2 v[18:19], v[20:21], off
	s_or_b64 exec, exec, s[52:53]
	v_cmp_lt_u32_e64 s[52:53], v81, v93
	s_and_saveexec_b64 s[62:63], s[52:53]
	s_cbranch_execnz .LBB2079_153
.LBB2079_138:                           ;   in Loop: Header=BB2079_74 Depth=2
	s_or_b64 exec, exec, s[62:63]
	v_cmp_lt_u32_e64 s[52:53], v82, v93
	s_and_saveexec_b64 s[62:63], s[52:53]
	s_cbranch_execz .LBB2079_154
.LBB2079_139:                           ;   in Loop: Header=BB2079_74 Depth=2
	global_load_dwordx2 v[14:15], v[20:21], off offset:1024
	s_or_b64 exec, exec, s[62:63]
	v_cmp_lt_u32_e64 s[52:53], v83, v93
	s_and_saveexec_b64 s[62:63], s[52:53]
	s_cbranch_execnz .LBB2079_155
.LBB2079_140:                           ;   in Loop: Header=BB2079_74 Depth=2
	s_or_b64 exec, exec, s[62:63]
	v_cmp_lt_u32_e64 s[52:53], v84, v93
	s_and_saveexec_b64 s[62:63], s[52:53]
	s_cbranch_execz .LBB2079_156
.LBB2079_141:                           ;   in Loop: Header=BB2079_74 Depth=2
	global_load_dwordx2 v[10:11], v[20:21], off offset:2048
	s_or_b64 exec, exec, s[62:63]
	v_cmp_lt_u32_e64 s[52:53], v85, v93
	s_and_saveexec_b64 s[62:63], s[52:53]
	s_cbranch_execnz .LBB2079_157
.LBB2079_142:                           ;   in Loop: Header=BB2079_74 Depth=2
	s_or_b64 exec, exec, s[62:63]
	v_cmp_lt_u32_e64 s[52:53], v86, v93
	s_and_saveexec_b64 s[62:63], s[52:53]
	s_cbranch_execz .LBB2079_158
.LBB2079_143:                           ;   in Loop: Header=BB2079_74 Depth=2
	global_load_dwordx2 v[6:7], v[20:21], off offset:3072
	s_or_b64 exec, exec, s[62:63]
	v_cmp_lt_u32_e64 s[52:53], v87, v93
	s_and_saveexec_b64 s[62:63], s[52:53]
	s_cbranch_execnz .LBB2079_159
.LBB2079_144:                           ;   in Loop: Header=BB2079_74 Depth=2
	s_or_b64 exec, exec, s[62:63]
	s_and_saveexec_b64 s[62:63], vcc
	s_cbranch_execz .LBB2079_160
.LBB2079_145:                           ;   in Loop: Header=BB2079_74 Depth=2
	ds_read_u16 v20, v49 offset:1024
	s_waitcnt lgkmcnt(0)
	v_cmp_ne_u16_e64 s[52:53], s68, v20
	v_cndmask_b32_e64 v20, v66, v20, s[52:53]
	v_lshrrev_b32_sdwa v20, s77, v20 dst_sel:DWORD dst_unused:UNUSED_PAD src0_sel:DWORD src1_sel:WORD_0
	v_and_b32_e32 v80, s78, v20
	s_or_b64 exec, exec, s[62:63]
	s_and_saveexec_b64 s[62:63], s[36:37]
	s_cbranch_execnz .LBB2079_161
.LBB2079_146:                           ;   in Loop: Header=BB2079_74 Depth=2
	s_or_b64 exec, exec, s[62:63]
	s_and_saveexec_b64 s[62:63], s[38:39]
	s_cbranch_execz .LBB2079_162
.LBB2079_147:                           ;   in Loop: Header=BB2079_74 Depth=2
	ds_read_u16 v20, v50 offset:1024
	s_waitcnt lgkmcnt(0)
	v_cmp_ne_u16_e64 s[52:53], s68, v20
	v_cndmask_b32_e64 v20, v66, v20, s[52:53]
	v_lshrrev_b32_sdwa v20, s77, v20 dst_sel:DWORD dst_unused:UNUSED_PAD src0_sel:DWORD src1_sel:WORD_0
	v_and_b32_e32 v76, s78, v20
	s_or_b64 exec, exec, s[62:63]
	s_and_saveexec_b64 s[62:63], s[40:41]
	s_cbranch_execnz .LBB2079_163
.LBB2079_148:                           ;   in Loop: Header=BB2079_74 Depth=2
	s_or_b64 exec, exec, s[62:63]
	s_and_saveexec_b64 s[62:63], s[42:43]
	s_cbranch_execz .LBB2079_164
.LBB2079_149:                           ;   in Loop: Header=BB2079_74 Depth=2
	ds_read_u16 v20, v50 offset:2048
	s_waitcnt lgkmcnt(0)
	v_cmp_ne_u16_e64 s[52:53], s68, v20
	v_cndmask_b32_e64 v20, v66, v20, s[52:53]
	v_lshrrev_b32_sdwa v20, s77, v20 dst_sel:DWORD dst_unused:UNUSED_PAD src0_sel:DWORD src1_sel:WORD_0
	v_and_b32_e32 v73, s78, v20
	s_or_b64 exec, exec, s[62:63]
	s_and_saveexec_b64 s[62:63], s[44:45]
	s_cbranch_execnz .LBB2079_165
.LBB2079_150:                           ;   in Loop: Header=BB2079_74 Depth=2
	s_or_b64 exec, exec, s[62:63]
	s_and_saveexec_b64 s[62:63], s[46:47]
	s_cbranch_execz .LBB2079_166
.LBB2079_151:                           ;   in Loop: Header=BB2079_74 Depth=2
	ds_read_u16 v20, v50 offset:3072
	s_waitcnt lgkmcnt(0)
	v_cmp_ne_u16_e64 s[52:53], s68, v20
	v_cndmask_b32_e64 v20, v66, v20, s[52:53]
	v_lshrrev_b32_sdwa v20, s77, v20 dst_sel:DWORD dst_unused:UNUSED_PAD src0_sel:DWORD src1_sel:WORD_0
	v_and_b32_e32 v71, s78, v20
	s_or_b64 exec, exec, s[62:63]
	s_and_saveexec_b64 s[62:63], s[48:49]
	s_cbranch_execnz .LBB2079_167
	s_branch .LBB2079_168
.LBB2079_152:                           ;   in Loop: Header=BB2079_74 Depth=2
	s_or_b64 exec, exec, s[52:53]
	v_cmp_lt_u32_e64 s[52:53], v81, v93
	s_and_saveexec_b64 s[62:63], s[52:53]
	s_cbranch_execz .LBB2079_138
.LBB2079_153:                           ;   in Loop: Header=BB2079_74 Depth=2
	global_load_dwordx2 v[16:17], v[20:21], off offset:512
	s_or_b64 exec, exec, s[62:63]
	v_cmp_lt_u32_e64 s[52:53], v82, v93
	s_and_saveexec_b64 s[62:63], s[52:53]
	s_cbranch_execnz .LBB2079_139
.LBB2079_154:                           ;   in Loop: Header=BB2079_74 Depth=2
	s_or_b64 exec, exec, s[62:63]
	v_cmp_lt_u32_e64 s[52:53], v83, v93
	s_and_saveexec_b64 s[62:63], s[52:53]
	s_cbranch_execz .LBB2079_140
.LBB2079_155:                           ;   in Loop: Header=BB2079_74 Depth=2
	global_load_dwordx2 v[12:13], v[20:21], off offset:1536
	s_or_b64 exec, exec, s[62:63]
	v_cmp_lt_u32_e64 s[52:53], v84, v93
	s_and_saveexec_b64 s[62:63], s[52:53]
	s_cbranch_execnz .LBB2079_141
.LBB2079_156:                           ;   in Loop: Header=BB2079_74 Depth=2
	s_or_b64 exec, exec, s[62:63]
	v_cmp_lt_u32_e64 s[52:53], v85, v93
	s_and_saveexec_b64 s[62:63], s[52:53]
	s_cbranch_execz .LBB2079_142
.LBB2079_157:                           ;   in Loop: Header=BB2079_74 Depth=2
	global_load_dwordx2 v[8:9], v[20:21], off offset:2560
	s_or_b64 exec, exec, s[62:63]
	v_cmp_lt_u32_e64 s[52:53], v86, v93
	s_and_saveexec_b64 s[62:63], s[52:53]
	s_cbranch_execnz .LBB2079_143
.LBB2079_158:                           ;   in Loop: Header=BB2079_74 Depth=2
	s_or_b64 exec, exec, s[62:63]
	v_cmp_lt_u32_e64 s[52:53], v87, v93
	s_and_saveexec_b64 s[62:63], s[52:53]
	s_cbranch_execz .LBB2079_144
.LBB2079_159:                           ;   in Loop: Header=BB2079_74 Depth=2
	global_load_dwordx2 v[0:1], v[20:21], off offset:3584
	s_or_b64 exec, exec, s[62:63]
	s_and_saveexec_b64 s[62:63], vcc
	s_cbranch_execnz .LBB2079_145
.LBB2079_160:                           ;   in Loop: Header=BB2079_74 Depth=2
	s_or_b64 exec, exec, s[62:63]
	s_and_saveexec_b64 s[62:63], s[36:37]
	s_cbranch_execz .LBB2079_146
.LBB2079_161:                           ;   in Loop: Header=BB2079_74 Depth=2
	ds_read_u16 v20, v50 offset:512
	s_waitcnt lgkmcnt(0)
	v_cmp_ne_u16_e64 s[52:53], s68, v20
	v_cndmask_b32_e64 v20, v66, v20, s[52:53]
	v_lshrrev_b32_sdwa v20, s77, v20 dst_sel:DWORD dst_unused:UNUSED_PAD src0_sel:DWORD src1_sel:WORD_0
	v_and_b32_e32 v78, s78, v20
	s_or_b64 exec, exec, s[62:63]
	s_and_saveexec_b64 s[62:63], s[38:39]
	s_cbranch_execnz .LBB2079_147
.LBB2079_162:                           ;   in Loop: Header=BB2079_74 Depth=2
	s_or_b64 exec, exec, s[62:63]
	s_and_saveexec_b64 s[62:63], s[40:41]
	s_cbranch_execz .LBB2079_148
.LBB2079_163:                           ;   in Loop: Header=BB2079_74 Depth=2
	ds_read_u16 v20, v50 offset:1536
	s_waitcnt lgkmcnt(0)
	v_cmp_ne_u16_e64 s[52:53], s68, v20
	v_cndmask_b32_e64 v20, v66, v20, s[52:53]
	v_lshrrev_b32_sdwa v20, s77, v20 dst_sel:DWORD dst_unused:UNUSED_PAD src0_sel:DWORD src1_sel:WORD_0
	v_and_b32_e32 v75, s78, v20
	s_or_b64 exec, exec, s[62:63]
	s_and_saveexec_b64 s[62:63], s[42:43]
	s_cbranch_execnz .LBB2079_149
.LBB2079_164:                           ;   in Loop: Header=BB2079_74 Depth=2
	s_or_b64 exec, exec, s[62:63]
	s_and_saveexec_b64 s[62:63], s[44:45]
	s_cbranch_execz .LBB2079_150
.LBB2079_165:                           ;   in Loop: Header=BB2079_74 Depth=2
	ds_read_u16 v20, v50 offset:2560
	s_waitcnt lgkmcnt(0)
	v_cmp_ne_u16_e64 s[52:53], s68, v20
	v_cndmask_b32_e64 v20, v66, v20, s[52:53]
	v_lshrrev_b32_sdwa v20, s77, v20 dst_sel:DWORD dst_unused:UNUSED_PAD src0_sel:DWORD src1_sel:WORD_0
	v_and_b32_e32 v72, s78, v20
	s_or_b64 exec, exec, s[62:63]
	s_and_saveexec_b64 s[62:63], s[46:47]
	s_cbranch_execnz .LBB2079_151
.LBB2079_166:                           ;   in Loop: Header=BB2079_74 Depth=2
	s_or_b64 exec, exec, s[62:63]
	s_and_saveexec_b64 s[62:63], s[48:49]
	s_cbranch_execz .LBB2079_168
.LBB2079_167:                           ;   in Loop: Header=BB2079_74 Depth=2
	ds_read_u16 v20, v50 offset:3584
	s_waitcnt lgkmcnt(0)
	v_cmp_ne_u16_e64 s[52:53], s68, v20
	v_cndmask_b32_e64 v20, v66, v20, s[52:53]
	v_lshrrev_b32_sdwa v20, s77, v20 dst_sel:DWORD dst_unused:UNUSED_PAD src0_sel:DWORD src1_sel:WORD_0
	v_and_b32_e32 v70, s78, v20
.LBB2079_168:                           ;   in Loop: Header=BB2079_74 Depth=2
	s_or_b64 exec, exec, s[62:63]
	v_lshlrev_b32_e32 v20, 3, v103
	s_barrier
	s_waitcnt vmcnt(0)
	ds_write_b64 v20, v[18:19] offset:1024
	v_lshlrev_b32_e32 v20, 3, v100
	ds_write_b64 v20, v[16:17] offset:1024
	v_lshlrev_b32_e32 v20, 3, v99
	;; [unrolled: 2-line block ×7, first 2 shown]
	ds_write_b64 v20, v[0:1] offset:1024
	s_waitcnt lgkmcnt(0)
	s_barrier
	s_and_saveexec_b64 s[52:53], vcc
	s_cbranch_execz .LBB2079_176
; %bb.169:                              ;   in Loop: Header=BB2079_74 Depth=2
	v_lshlrev_b32_e32 v20, 2, v80
	ds_read_b32 v20, v20
	v_add_u32_e32 v22, v49, v51
	ds_read_b64 v[22:23], v22 offset:1024
	v_mov_b32_e32 v21, v4
	v_mov_b32_e32 v93, s65
	s_waitcnt lgkmcnt(1)
	v_add_u32_e32 v20, v20, v2
	v_lshlrev_b64 v[20:21], 3, v[20:21]
	v_add_co_u32_e32 v20, vcc, s64, v20
	v_addc_co_u32_e32 v21, vcc, v93, v21, vcc
	s_waitcnt lgkmcnt(0)
	global_store_dwordx2 v[20:21], v[22:23], off
	s_or_b64 exec, exec, s[52:53]
	s_and_saveexec_b64 s[52:53], s[36:37]
	s_cbranch_execnz .LBB2079_177
.LBB2079_170:                           ;   in Loop: Header=BB2079_74 Depth=2
	s_or_b64 exec, exec, s[52:53]
	s_and_saveexec_b64 s[36:37], s[38:39]
	s_cbranch_execz .LBB2079_178
.LBB2079_171:                           ;   in Loop: Header=BB2079_74 Depth=2
	v_lshlrev_b32_e32 v20, 2, v76
	ds_read_b32 v22, v20
	v_add_u32_e32 v20, v50, v51
	ds_read_b64 v[20:21], v20 offset:4096
	v_mov_b32_e32 v23, v4
	v_mov_b32_e32 v93, s65
	s_waitcnt lgkmcnt(1)
	v_add_u32_e32 v22, v22, v25
	v_lshlrev_b64 v[22:23], 3, v[22:23]
	v_add_co_u32_e32 v22, vcc, s64, v22
	v_addc_co_u32_e32 v23, vcc, v93, v23, vcc
	s_waitcnt lgkmcnt(0)
	global_store_dwordx2 v[22:23], v[20:21], off
	s_or_b64 exec, exec, s[36:37]
	s_and_saveexec_b64 s[36:37], s[40:41]
	s_cbranch_execnz .LBB2079_179
.LBB2079_172:                           ;   in Loop: Header=BB2079_74 Depth=2
	s_or_b64 exec, exec, s[36:37]
	s_and_saveexec_b64 s[36:37], s[42:43]
	s_cbranch_execz .LBB2079_180
.LBB2079_173:                           ;   in Loop: Header=BB2079_74 Depth=2
	v_lshlrev_b32_e32 v20, 2, v73
	ds_read_b32 v22, v20
	v_add_u32_e32 v20, v50, v51
	ds_read_b64 v[20:21], v20 offset:8192
	v_mov_b32_e32 v23, v4
	v_mov_b32_e32 v93, s65
	s_waitcnt lgkmcnt(1)
	v_add_u32_e32 v22, v22, v29
	v_lshlrev_b64 v[22:23], 3, v[22:23]
	v_add_co_u32_e32 v22, vcc, s64, v22
	v_addc_co_u32_e32 v23, vcc, v93, v23, vcc
	s_waitcnt lgkmcnt(0)
	global_store_dwordx2 v[22:23], v[20:21], off
	s_or_b64 exec, exec, s[36:37]
	s_and_saveexec_b64 s[36:37], s[44:45]
	s_cbranch_execnz .LBB2079_181
.LBB2079_174:                           ;   in Loop: Header=BB2079_74 Depth=2
	s_or_b64 exec, exec, s[36:37]
	s_and_saveexec_b64 s[36:37], s[46:47]
	s_cbranch_execz .LBB2079_182
.LBB2079_175:                           ;   in Loop: Header=BB2079_74 Depth=2
	v_lshlrev_b32_e32 v20, 2, v71
	ds_read_b32 v22, v20
	v_add_u32_e32 v20, v50, v51
	ds_read_b64 v[20:21], v20 offset:12288
	v_mov_b32_e32 v23, v4
	v_mov_b32_e32 v93, s65
	s_waitcnt lgkmcnt(1)
	v_add_u32_e32 v22, v22, v31
	v_lshlrev_b64 v[22:23], 3, v[22:23]
	v_add_co_u32_e32 v22, vcc, s64, v22
	v_addc_co_u32_e32 v23, vcc, v93, v23, vcc
	s_waitcnt lgkmcnt(0)
	global_store_dwordx2 v[22:23], v[20:21], off
	s_or_b64 exec, exec, s[36:37]
	s_and_saveexec_b64 s[36:37], s[48:49]
	s_cbranch_execnz .LBB2079_183
	s_branch .LBB2079_184
.LBB2079_176:                           ;   in Loop: Header=BB2079_74 Depth=2
	s_or_b64 exec, exec, s[52:53]
	s_and_saveexec_b64 s[52:53], s[36:37]
	s_cbranch_execz .LBB2079_170
.LBB2079_177:                           ;   in Loop: Header=BB2079_74 Depth=2
	v_lshlrev_b32_e32 v20, 2, v78
	ds_read_b32 v22, v20
	v_add_u32_e32 v20, v50, v51
	ds_read_b64 v[20:21], v20 offset:2048
	v_mov_b32_e32 v23, v4
	v_mov_b32_e32 v93, s65
	s_waitcnt lgkmcnt(1)
	v_add_u32_e32 v22, v22, v24
	v_lshlrev_b64 v[22:23], 3, v[22:23]
	v_add_co_u32_e32 v22, vcc, s64, v22
	v_addc_co_u32_e32 v23, vcc, v93, v23, vcc
	s_waitcnt lgkmcnt(0)
	global_store_dwordx2 v[22:23], v[20:21], off
	s_or_b64 exec, exec, s[52:53]
	s_and_saveexec_b64 s[36:37], s[38:39]
	s_cbranch_execnz .LBB2079_171
.LBB2079_178:                           ;   in Loop: Header=BB2079_74 Depth=2
	s_or_b64 exec, exec, s[36:37]
	s_and_saveexec_b64 s[36:37], s[40:41]
	s_cbranch_execz .LBB2079_172
.LBB2079_179:                           ;   in Loop: Header=BB2079_74 Depth=2
	v_lshlrev_b32_e32 v20, 2, v75
	ds_read_b32 v22, v20
	v_add_u32_e32 v20, v50, v51
	ds_read_b64 v[20:21], v20 offset:6144
	v_mov_b32_e32 v23, v4
	v_mov_b32_e32 v93, s65
	s_waitcnt lgkmcnt(1)
	v_add_u32_e32 v22, v22, v26
	v_lshlrev_b64 v[22:23], 3, v[22:23]
	v_add_co_u32_e32 v22, vcc, s64, v22
	v_addc_co_u32_e32 v23, vcc, v93, v23, vcc
	s_waitcnt lgkmcnt(0)
	global_store_dwordx2 v[22:23], v[20:21], off
	s_or_b64 exec, exec, s[36:37]
	s_and_saveexec_b64 s[36:37], s[42:43]
	s_cbranch_execnz .LBB2079_173
.LBB2079_180:                           ;   in Loop: Header=BB2079_74 Depth=2
	s_or_b64 exec, exec, s[36:37]
	s_and_saveexec_b64 s[36:37], s[44:45]
	s_cbranch_execz .LBB2079_174
.LBB2079_181:                           ;   in Loop: Header=BB2079_74 Depth=2
	v_lshlrev_b32_e32 v20, 2, v72
	ds_read_b32 v22, v20
	v_add_u32_e32 v20, v50, v51
	ds_read_b64 v[20:21], v20 offset:10240
	v_mov_b32_e32 v23, v4
	v_mov_b32_e32 v93, s65
	s_waitcnt lgkmcnt(1)
	v_add_u32_e32 v22, v22, v30
	v_lshlrev_b64 v[22:23], 3, v[22:23]
	v_add_co_u32_e32 v22, vcc, s64, v22
	v_addc_co_u32_e32 v23, vcc, v93, v23, vcc
	s_waitcnt lgkmcnt(0)
	global_store_dwordx2 v[22:23], v[20:21], off
	s_or_b64 exec, exec, s[36:37]
	s_and_saveexec_b64 s[36:37], s[46:47]
	s_cbranch_execnz .LBB2079_175
.LBB2079_182:                           ;   in Loop: Header=BB2079_74 Depth=2
	s_or_b64 exec, exec, s[36:37]
	s_and_saveexec_b64 s[36:37], s[48:49]
	s_cbranch_execz .LBB2079_184
.LBB2079_183:                           ;   in Loop: Header=BB2079_74 Depth=2
	v_lshlrev_b32_e32 v20, 2, v70
	ds_read_b32 v22, v20
	v_add_u32_e32 v20, v50, v51
	ds_read_b64 v[20:21], v20 offset:14336
	v_mov_b32_e32 v23, v4
	v_mov_b32_e32 v93, s65
	s_waitcnt lgkmcnt(1)
	v_add_u32_e32 v22, v22, v32
	v_lshlrev_b64 v[22:23], 3, v[22:23]
	v_add_co_u32_e32 v22, vcc, s64, v22
	v_addc_co_u32_e32 v23, vcc, v93, v23, vcc
	s_waitcnt lgkmcnt(0)
	global_store_dwordx2 v[22:23], v[20:21], off
.LBB2079_184:                           ;   in Loop: Header=BB2079_74 Depth=2
	s_or_b64 exec, exec, s[36:37]
	s_barrier
	s_and_saveexec_b64 s[36:37], s[4:5]
	s_cbranch_execz .LBB2079_73
; %bb.185:                              ;   in Loop: Header=BB2079_74 Depth=2
	ds_read_b32 v20, v3
	s_waitcnt lgkmcnt(0)
	v_add_u32_e32 v5, v20, v5
	ds_write_b32 v3, v5
	s_branch .LBB2079_73
.LBB2079_186:                           ;   in Loop: Header=BB2079_20 Depth=1
	s_waitcnt lgkmcnt(0)
	s_barrier
	s_mov_b64 s[16:17], 0
.LBB2079_187:                           ;   in Loop: Header=BB2079_20 Depth=1
	s_and_b64 vcc, exec, s[16:17]
	s_cbranch_vccz .LBB2079_353
; %bb.188:                              ;   in Loop: Header=BB2079_20 Depth=1
	s_mov_b32 s22, s71
	s_mov_b32 s72, s51
	s_barrier
	s_waitcnt lgkmcnt(0)
                                        ; implicit-def: $vgpr12
                                        ; implicit-def: $vgpr5
                                        ; implicit-def: $vgpr6
                                        ; implicit-def: $vgpr7
                                        ; implicit-def: $vgpr8
                                        ; implicit-def: $vgpr9
                                        ; implicit-def: $vgpr10
                                        ; implicit-def: $vgpr11
	s_branch .LBB2079_190
.LBB2079_189:                           ;   in Loop: Header=BB2079_190 Depth=2
	s_or_b64 exec, exec, s[16:17]
	s_addk_i32 s22, 0xf800
	s_cmp_ge_u32 s23, s76
	s_mov_b32 s72, s23
	s_cbranch_scc1 .LBB2079_228
.LBB2079_190:                           ;   Parent Loop BB2079_20 Depth=1
                                        ; =>  This Inner Loop Header: Depth=2
	s_add_i32 s23, s72, 0x800
	s_cmp_gt_u32 s23, s76
	s_cbranch_scc1 .LBB2079_193
; %bb.191:                              ;   in Loop: Header=BB2079_190 Depth=2
	s_lshl_b64 s[16:17], s[72:73], 1
	v_mov_b32_e32 v1, s17
	v_add_co_u32_e32 v0, vcc, s16, v52
	v_addc_co_u32_e32 v1, vcc, v53, v1, vcc
	global_load_ushort v14, v[0:1], off
	global_load_ushort v15, v[0:1], off offset:512
	global_load_ushort v16, v[0:1], off offset:1024
	global_load_ushort v17, v[0:1], off offset:1536
	global_load_ushort v18, v[0:1], off offset:2048
	global_load_ushort v19, v[0:1], off offset:2560
	global_load_ushort v20, v[0:1], off offset:3072
	v_add_co_u32_e32 v0, vcc, 0xe00, v0
	v_addc_co_u32_e32 v1, vcc, 0, v1, vcc
	s_mov_b64 s[16:17], -1
	s_movk_i32 s24, 0x800
	s_cbranch_execz .LBB2079_194
; %bb.192:                              ;   in Loop: Header=BB2079_190 Depth=2
                                        ; implicit-def: $vgpr11
                                        ; implicit-def: $vgpr10
                                        ; implicit-def: $vgpr9
                                        ; implicit-def: $vgpr8
                                        ; implicit-def: $vgpr7
                                        ; implicit-def: $vgpr6
                                        ; implicit-def: $vgpr5
                                        ; implicit-def: $vgpr12
	v_mov_b32_e32 v13, s22
	s_and_saveexec_b64 s[18:19], s[16:17]
	s_cbranch_execnz .LBB2079_205
	s_branch .LBB2079_206
.LBB2079_193:                           ;   in Loop: Header=BB2079_190 Depth=2
	s_mov_b64 s[16:17], 0
                                        ; implicit-def: $sgpr24
                                        ; implicit-def: $vgpr14
                                        ; implicit-def: $vgpr15
                                        ; implicit-def: $vgpr16
                                        ; implicit-def: $vgpr17
                                        ; implicit-def: $vgpr18
                                        ; implicit-def: $vgpr19
                                        ; implicit-def: $vgpr20
                                        ; implicit-def: $vgpr0_vgpr1
.LBB2079_194:                           ;   in Loop: Header=BB2079_190 Depth=2
	s_lshl_b64 s[18:19], s[72:73], 1
	s_add_u32 s18, s58, s18
	s_addc_u32 s19, s59, s19
	v_cmp_gt_u32_e32 vcc, s22, v2
	s_and_saveexec_b64 s[20:21], vcc
	s_cbranch_execz .LBB2079_222
; %bb.195:                              ;   in Loop: Header=BB2079_190 Depth=2
	global_load_ushort v11, v65, s[18:19]
	s_or_b64 exec, exec, s[20:21]
	v_cmp_gt_u32_e32 vcc, s22, v24
	s_and_saveexec_b64 s[20:21], vcc
	s_cbranch_execnz .LBB2079_223
.LBB2079_196:                           ;   in Loop: Header=BB2079_190 Depth=2
	s_or_b64 exec, exec, s[20:21]
	v_cmp_gt_u32_e32 vcc, s22, v25
	s_and_saveexec_b64 s[20:21], vcc
	s_cbranch_execz .LBB2079_224
.LBB2079_197:                           ;   in Loop: Header=BB2079_190 Depth=2
	global_load_ushort v9, v65, s[18:19] offset:1024
	s_or_b64 exec, exec, s[20:21]
	v_cmp_gt_u32_e32 vcc, s22, v26
	s_and_saveexec_b64 s[20:21], vcc
	s_cbranch_execnz .LBB2079_225
.LBB2079_198:                           ;   in Loop: Header=BB2079_190 Depth=2
	s_or_b64 exec, exec, s[20:21]
	v_cmp_gt_u32_e32 vcc, s22, v29
	s_and_saveexec_b64 s[20:21], vcc
	s_cbranch_execz .LBB2079_226
.LBB2079_199:                           ;   in Loop: Header=BB2079_190 Depth=2
	global_load_ushort v7, v65, s[18:19] offset:2048
	s_or_b64 exec, exec, s[20:21]
	v_cmp_gt_u32_e32 vcc, s22, v30
	s_and_saveexec_b64 s[20:21], vcc
	s_cbranch_execnz .LBB2079_227
.LBB2079_200:                           ;   in Loop: Header=BB2079_190 Depth=2
	s_or_b64 exec, exec, s[20:21]
	v_cmp_gt_u32_e32 vcc, s22, v31
	s_and_saveexec_b64 s[20:21], vcc
	s_cbranch_execz .LBB2079_202
.LBB2079_201:                           ;   in Loop: Header=BB2079_190 Depth=2
	global_load_ushort v5, v65, s[18:19] offset:3072
.LBB2079_202:                           ;   in Loop: Header=BB2079_190 Depth=2
	s_or_b64 exec, exec, s[20:21]
	v_cmp_gt_u32_e32 vcc, s22, v32
                                        ; implicit-def: $sgpr24
                                        ; implicit-def: $vgpr0_vgpr1
	s_and_saveexec_b64 s[20:21], vcc
	s_cbranch_execz .LBB2079_204
; %bb.203:                              ;   in Loop: Header=BB2079_190 Depth=2
	v_mov_b32_e32 v0, s19
	v_add_co_u32_e32 v1, vcc, s18, v65
	s_waitcnt vmcnt(0)
	v_addc_co_u32_e32 v12, vcc, 0, v0, vcc
	v_add_co_u32_e32 v0, vcc, 0xe00, v1
	s_sub_i32 s24, s76, s72
	v_addc_co_u32_e32 v1, vcc, 0, v12, vcc
	s_or_b64 s[16:17], s[16:17], exec
                                        ; implicit-def: $vgpr12
.LBB2079_204:                           ;   in Loop: Header=BB2079_190 Depth=2
	s_or_b64 exec, exec, s[20:21]
	s_waitcnt vmcnt(0)
	v_mov_b32_e32 v14, v11
	v_mov_b32_e32 v15, v10
	;; [unrolled: 1-line block ×8, first 2 shown]
	s_and_saveexec_b64 s[18:19], s[16:17]
	s_cbranch_execz .LBB2079_206
.LBB2079_205:                           ;   in Loop: Header=BB2079_190 Depth=2
	global_load_ushort v12, v[0:1], off
	v_mov_b32_e32 v13, s24
	s_waitcnt vmcnt(1)
	v_mov_b32_e32 v5, v20
	v_mov_b32_e32 v6, v19
	;; [unrolled: 1-line block ×7, first 2 shown]
.LBB2079_206:                           ;   in Loop: Header=BB2079_190 Depth=2
	s_or_b64 exec, exec, s[18:19]
	v_cmp_lt_u32_e32 vcc, v2, v13
	s_and_saveexec_b64 s[16:17], vcc
	s_cbranch_execz .LBB2079_214
; %bb.207:                              ;   in Loop: Header=BB2079_190 Depth=2
	v_cmp_lt_i16_e32 vcc, -1, v11
	v_cndmask_b32_e32 v0, -1, v66, vcc
	v_xor_b32_e32 v0, v0, v11
	v_cmp_ne_u16_e32 vcc, s68, v0
	v_cndmask_b32_e32 v0, v66, v0, vcc
	v_lshrrev_b32_sdwa v0, s77, v0 dst_sel:DWORD dst_unused:UNUSED_PAD src0_sel:DWORD src1_sel:WORD_0
	v_and_b32_e32 v0, s78, v0
	v_lshl_or_b32 v0, v0, 4, v67
	ds_add_u32 v0, v64
	s_or_b64 exec, exec, s[16:17]
	v_cmp_lt_u32_e32 vcc, v24, v13
	s_and_saveexec_b64 s[16:17], vcc
	s_cbranch_execnz .LBB2079_215
.LBB2079_208:                           ;   in Loop: Header=BB2079_190 Depth=2
	s_or_b64 exec, exec, s[16:17]
	v_cmp_lt_u32_e32 vcc, v25, v13
	s_and_saveexec_b64 s[16:17], vcc
	s_cbranch_execz .LBB2079_216
.LBB2079_209:                           ;   in Loop: Header=BB2079_190 Depth=2
	v_cmp_lt_i16_e32 vcc, -1, v9
	v_cndmask_b32_e32 v0, -1, v66, vcc
	v_xor_b32_e32 v0, v0, v9
	v_cmp_ne_u16_e32 vcc, s68, v0
	v_cndmask_b32_e32 v0, v66, v0, vcc
	v_lshrrev_b32_sdwa v0, s77, v0 dst_sel:DWORD dst_unused:UNUSED_PAD src0_sel:DWORD src1_sel:WORD_0
	v_and_b32_e32 v0, s78, v0
	v_lshl_or_b32 v0, v0, 4, v67
	ds_add_u32 v0, v64
	s_or_b64 exec, exec, s[16:17]
	v_cmp_lt_u32_e32 vcc, v26, v13
	s_and_saveexec_b64 s[16:17], vcc
	s_cbranch_execnz .LBB2079_217
.LBB2079_210:                           ;   in Loop: Header=BB2079_190 Depth=2
	s_or_b64 exec, exec, s[16:17]
	v_cmp_lt_u32_e32 vcc, v29, v13
	s_and_saveexec_b64 s[16:17], vcc
	s_cbranch_execz .LBB2079_218
.LBB2079_211:                           ;   in Loop: Header=BB2079_190 Depth=2
	v_cmp_lt_i16_e32 vcc, -1, v7
	v_cndmask_b32_e32 v0, -1, v66, vcc
	v_xor_b32_e32 v0, v0, v7
	v_cmp_ne_u16_e32 vcc, s68, v0
	v_cndmask_b32_e32 v0, v66, v0, vcc
	v_lshrrev_b32_sdwa v0, s77, v0 dst_sel:DWORD dst_unused:UNUSED_PAD src0_sel:DWORD src1_sel:WORD_0
	v_and_b32_e32 v0, s78, v0
	v_lshl_or_b32 v0, v0, 4, v67
	ds_add_u32 v0, v64
	s_or_b64 exec, exec, s[16:17]
	v_cmp_lt_u32_e32 vcc, v30, v13
	s_and_saveexec_b64 s[16:17], vcc
	s_cbranch_execnz .LBB2079_219
.LBB2079_212:                           ;   in Loop: Header=BB2079_190 Depth=2
	s_or_b64 exec, exec, s[16:17]
	v_cmp_lt_u32_e32 vcc, v31, v13
	s_and_saveexec_b64 s[16:17], vcc
	s_cbranch_execz .LBB2079_220
.LBB2079_213:                           ;   in Loop: Header=BB2079_190 Depth=2
	v_cmp_lt_i16_e32 vcc, -1, v5
	v_cndmask_b32_e32 v0, -1, v66, vcc
	v_xor_b32_e32 v0, v0, v5
	v_cmp_ne_u16_e32 vcc, s68, v0
	v_cndmask_b32_e32 v0, v66, v0, vcc
	v_lshrrev_b32_sdwa v0, s77, v0 dst_sel:DWORD dst_unused:UNUSED_PAD src0_sel:DWORD src1_sel:WORD_0
	v_and_b32_e32 v0, s78, v0
	v_lshl_or_b32 v0, v0, 4, v67
	ds_add_u32 v0, v64
	s_or_b64 exec, exec, s[16:17]
	v_cmp_lt_u32_e32 vcc, v32, v13
	s_and_saveexec_b64 s[16:17], vcc
	s_cbranch_execz .LBB2079_189
	s_branch .LBB2079_221
.LBB2079_214:                           ;   in Loop: Header=BB2079_190 Depth=2
	s_or_b64 exec, exec, s[16:17]
	v_cmp_lt_u32_e32 vcc, v24, v13
	s_and_saveexec_b64 s[16:17], vcc
	s_cbranch_execz .LBB2079_208
.LBB2079_215:                           ;   in Loop: Header=BB2079_190 Depth=2
	v_cmp_lt_i16_e32 vcc, -1, v10
	v_cndmask_b32_e32 v0, -1, v66, vcc
	v_xor_b32_e32 v0, v0, v10
	v_cmp_ne_u16_e32 vcc, s68, v0
	v_cndmask_b32_e32 v0, v66, v0, vcc
	v_lshrrev_b32_sdwa v0, s77, v0 dst_sel:DWORD dst_unused:UNUSED_PAD src0_sel:DWORD src1_sel:WORD_0
	v_and_b32_e32 v0, s78, v0
	v_lshl_or_b32 v0, v0, 4, v67
	ds_add_u32 v0, v64
	s_or_b64 exec, exec, s[16:17]
	v_cmp_lt_u32_e32 vcc, v25, v13
	s_and_saveexec_b64 s[16:17], vcc
	s_cbranch_execnz .LBB2079_209
.LBB2079_216:                           ;   in Loop: Header=BB2079_190 Depth=2
	s_or_b64 exec, exec, s[16:17]
	v_cmp_lt_u32_e32 vcc, v26, v13
	s_and_saveexec_b64 s[16:17], vcc
	s_cbranch_execz .LBB2079_210
.LBB2079_217:                           ;   in Loop: Header=BB2079_190 Depth=2
	v_cmp_lt_i16_e32 vcc, -1, v8
	v_cndmask_b32_e32 v0, -1, v66, vcc
	v_xor_b32_e32 v0, v0, v8
	v_cmp_ne_u16_e32 vcc, s68, v0
	v_cndmask_b32_e32 v0, v66, v0, vcc
	v_lshrrev_b32_sdwa v0, s77, v0 dst_sel:DWORD dst_unused:UNUSED_PAD src0_sel:DWORD src1_sel:WORD_0
	v_and_b32_e32 v0, s78, v0
	v_lshl_or_b32 v0, v0, 4, v67
	ds_add_u32 v0, v64
	s_or_b64 exec, exec, s[16:17]
	v_cmp_lt_u32_e32 vcc, v29, v13
	s_and_saveexec_b64 s[16:17], vcc
	s_cbranch_execnz .LBB2079_211
.LBB2079_218:                           ;   in Loop: Header=BB2079_190 Depth=2
	s_or_b64 exec, exec, s[16:17]
	v_cmp_lt_u32_e32 vcc, v30, v13
	s_and_saveexec_b64 s[16:17], vcc
	s_cbranch_execz .LBB2079_212
.LBB2079_219:                           ;   in Loop: Header=BB2079_190 Depth=2
	v_cmp_lt_i16_e32 vcc, -1, v6
	v_cndmask_b32_e32 v0, -1, v66, vcc
	v_xor_b32_e32 v0, v0, v6
	v_cmp_ne_u16_e32 vcc, s68, v0
	v_cndmask_b32_e32 v0, v66, v0, vcc
	v_lshrrev_b32_sdwa v0, s77, v0 dst_sel:DWORD dst_unused:UNUSED_PAD src0_sel:DWORD src1_sel:WORD_0
	v_and_b32_e32 v0, s78, v0
	v_lshl_or_b32 v0, v0, 4, v67
	ds_add_u32 v0, v64
	s_or_b64 exec, exec, s[16:17]
	v_cmp_lt_u32_e32 vcc, v31, v13
	s_and_saveexec_b64 s[16:17], vcc
	s_cbranch_execnz .LBB2079_213
.LBB2079_220:                           ;   in Loop: Header=BB2079_190 Depth=2
	s_or_b64 exec, exec, s[16:17]
	v_cmp_lt_u32_e32 vcc, v32, v13
	s_and_saveexec_b64 s[16:17], vcc
	s_cbranch_execz .LBB2079_189
.LBB2079_221:                           ;   in Loop: Header=BB2079_190 Depth=2
	s_waitcnt vmcnt(0)
	v_cmp_lt_i16_e32 vcc, -1, v12
	v_cndmask_b32_e32 v0, -1, v66, vcc
	v_xor_b32_e32 v0, v0, v12
	v_cmp_ne_u16_e32 vcc, s68, v0
	v_cndmask_b32_e32 v0, v66, v0, vcc
	v_lshrrev_b32_sdwa v0, s77, v0 dst_sel:DWORD dst_unused:UNUSED_PAD src0_sel:DWORD src1_sel:WORD_0
	v_and_b32_e32 v0, s78, v0
	v_lshl_or_b32 v0, v0, 4, v67
	ds_add_u32 v0, v64
	s_branch .LBB2079_189
.LBB2079_222:                           ;   in Loop: Header=BB2079_190 Depth=2
	s_or_b64 exec, exec, s[20:21]
	v_cmp_gt_u32_e32 vcc, s22, v24
	s_and_saveexec_b64 s[20:21], vcc
	s_cbranch_execz .LBB2079_196
.LBB2079_223:                           ;   in Loop: Header=BB2079_190 Depth=2
	global_load_ushort v10, v65, s[18:19] offset:512
	s_or_b64 exec, exec, s[20:21]
	v_cmp_gt_u32_e32 vcc, s22, v25
	s_and_saveexec_b64 s[20:21], vcc
	s_cbranch_execnz .LBB2079_197
.LBB2079_224:                           ;   in Loop: Header=BB2079_190 Depth=2
	s_or_b64 exec, exec, s[20:21]
	v_cmp_gt_u32_e32 vcc, s22, v26
	s_and_saveexec_b64 s[20:21], vcc
	s_cbranch_execz .LBB2079_198
.LBB2079_225:                           ;   in Loop: Header=BB2079_190 Depth=2
	global_load_ushort v8, v65, s[18:19] offset:1536
	s_or_b64 exec, exec, s[20:21]
	v_cmp_gt_u32_e32 vcc, s22, v29
	s_and_saveexec_b64 s[20:21], vcc
	s_cbranch_execnz .LBB2079_199
.LBB2079_226:                           ;   in Loop: Header=BB2079_190 Depth=2
	s_or_b64 exec, exec, s[20:21]
	v_cmp_gt_u32_e32 vcc, s22, v30
	s_and_saveexec_b64 s[20:21], vcc
	s_cbranch_execz .LBB2079_200
.LBB2079_227:                           ;   in Loop: Header=BB2079_190 Depth=2
	global_load_ushort v6, v65, s[18:19] offset:2560
	s_or_b64 exec, exec, s[20:21]
	v_cmp_gt_u32_e32 vcc, s22, v31
	s_and_saveexec_b64 s[20:21], vcc
	s_cbranch_execz .LBB2079_202
	s_branch .LBB2079_201
.LBB2079_228:                           ;   in Loop: Header=BB2079_20 Depth=1
	v_mov_b32_e32 v0, 0
	s_waitcnt lgkmcnt(0)
	s_barrier
	s_and_saveexec_b64 s[16:17], s[4:5]
	s_cbranch_execz .LBB2079_230
; %bb.229:                              ;   in Loop: Header=BB2079_20 Depth=1
	ds_read2_b64 v[6:9], v33 offset1:1
	s_waitcnt lgkmcnt(0)
	v_add_u32_e32 v0, v7, v6
	v_add3_u32 v0, v0, v8, v9
.LBB2079_230:                           ;   in Loop: Header=BB2079_20 Depth=1
	s_or_b64 exec, exec, s[16:17]
	v_and_b32_e32 v1, 15, v68
	v_mov_b32_dpp v5, v0 row_shr:1 row_mask:0xf bank_mask:0xf
	v_cmp_eq_u32_e64 s[16:17], 0, v1
	v_cndmask_b32_e64 v5, v5, 0, s[16:17]
	v_add_u32_e32 v0, v5, v0
	v_cmp_lt_u32_e64 s[18:19], 1, v1
	v_cmp_lt_u32_e64 s[20:21], 3, v1
	v_mov_b32_dpp v5, v0 row_shr:2 row_mask:0xf bank_mask:0xf
	v_cndmask_b32_e64 v5, 0, v5, s[18:19]
	v_add_u32_e32 v0, v0, v5
	v_cmp_lt_u32_e64 s[22:23], 7, v1
	v_cmp_lt_u32_e64 s[26:27], 31, v68
	v_mov_b32_dpp v5, v0 row_shr:4 row_mask:0xf bank_mask:0xf
	v_cndmask_b32_e64 v5, 0, v5, s[20:21]
	v_add_u32_e32 v0, v0, v5
	v_and_b32_e32 v6, 16, v68
	v_cmp_eq_u32_e64 s[24:25], 0, v6
	v_mov_b32_dpp v5, v0 row_shr:8 row_mask:0xf bank_mask:0xf
	v_cndmask_b32_e64 v1, 0, v5, s[22:23]
	v_add_u32_e32 v0, v0, v1
	v_bfe_i32 v5, v68, 4, 1
	s_nop 0
	v_mov_b32_dpp v1, v0 row_bcast:15 row_mask:0xf bank_mask:0xf
	v_and_b32_e32 v1, v5, v1
	v_add_u32_e32 v0, v0, v1
	s_nop 1
	v_mov_b32_dpp v1, v0 row_bcast:31 row_mask:0xf bank_mask:0xf
	v_cndmask_b32_e64 v1, 0, v1, s[26:27]
	v_add_u32_e32 v1, v0, v1
	s_and_saveexec_b64 s[28:29], s[6:7]
	s_cbranch_execz .LBB2079_232
; %bb.231:                              ;   in Loop: Header=BB2079_20 Depth=1
	ds_write_b32 v35, v1
.LBB2079_232:                           ;   in Loop: Header=BB2079_20 Depth=1
	s_or_b64 exec, exec, s[28:29]
	v_and_b32_e32 v0, 3, v68
	s_waitcnt lgkmcnt(0)
	s_barrier
	s_and_saveexec_b64 s[28:29], s[8:9]
	s_cbranch_execz .LBB2079_234
; %bb.233:                              ;   in Loop: Header=BB2079_20 Depth=1
	ds_read_b32 v5, v36
	v_cmp_ne_u32_e32 vcc, 0, v0
	s_waitcnt lgkmcnt(0)
	v_mov_b32_dpp v6, v5 row_shr:1 row_mask:0xf bank_mask:0xf
	v_cndmask_b32_e32 v6, 0, v6, vcc
	v_add_u32_e32 v5, v6, v5
	v_cmp_lt_u32_e32 vcc, 1, v0
	s_nop 0
	v_mov_b32_dpp v6, v5 row_shr:2 row_mask:0xf bank_mask:0xf
	v_cndmask_b32_e32 v6, 0, v6, vcc
	v_add_u32_e32 v5, v5, v6
	ds_write_b32 v36, v5
.LBB2079_234:                           ;   in Loop: Header=BB2079_20 Depth=1
	s_or_b64 exec, exec, s[28:29]
	v_mov_b32_e32 v5, 0
	s_waitcnt lgkmcnt(0)
	s_barrier
	s_and_saveexec_b64 s[28:29], s[10:11]
	s_cbranch_execz .LBB2079_236
; %bb.235:                              ;   in Loop: Header=BB2079_20 Depth=1
	ds_read_b32 v5, v37
.LBB2079_236:                           ;   in Loop: Header=BB2079_20 Depth=1
	s_or_b64 exec, exec, s[28:29]
	v_add_u32_e32 v6, -1, v68
	v_and_b32_e32 v7, 64, v68
	v_cmp_lt_i32_e32 vcc, v6, v7
	v_cndmask_b32_e32 v6, v6, v68, vcc
	s_waitcnt lgkmcnt(0)
	v_add_u32_e32 v1, v5, v1
	v_lshlrev_b32_e32 v69, 2, v6
	ds_bpermute_b32 v1, v69, v1
	v_cmp_eq_u32_e64 s[28:29], 0, v68
	s_waitcnt lgkmcnt(0)
	s_barrier
	s_and_saveexec_b64 s[30:31], s[4:5]
	s_cbranch_execz .LBB2079_238
; %bb.237:                              ;   in Loop: Header=BB2079_20 Depth=1
	v_cndmask_b32_e64 v1, v1, v5, s[28:29]
	v_add_u32_e32 v1, s51, v1
	ds_write_b32 v3, v1
.LBB2079_238:                           ;   in Loop: Header=BB2079_20 Depth=1
	s_or_b64 exec, exec, s[30:31]
	s_load_dwordx2 s[30:31], s[74:75], 0x0
	v_and_b32_e32 v21, 63, v68
	v_lshlrev_b32_e32 v22, 3, v21
	v_add_co_u32_e32 v77, vcc, v54, v22
	s_waitcnt lgkmcnt(0)
	s_cmp_lt_u32 s50, s30
	s_cselect_b32 s34, 12, 18
	s_cmp_lt_u32 s33, s31
	s_cselect_b32 s30, 14, 20
	s_add_u32 s30, s74, s30
	s_addc_u32 s31, s75, 0
	s_add_u32 s34, s74, s34
	global_load_ushort v5, v4, s[30:31]
	s_addc_u32 s35, s75, 0
	global_load_ushort v20, v4, s[34:35]
	v_or_b32_e32 v74, v21, v38
	v_lshlrev_b32_e32 v21, 1, v21
	v_addc_co_u32_e32 v79, vcc, 0, v55, vcc
	v_add_co_u32_e32 v88, vcc, v56, v21
	v_addc_co_u32_e32 v89, vcc, 0, v57, vcc
	v_add_co_u32_e32 v90, vcc, 0x380, v88
	v_cmp_eq_u32_e64 s[30:31], 0, v0
	v_cmp_lt_u32_e64 s[34:35], 1, v0
	s_mov_b32 s79, s71
	v_or_b32_e32 v81, 64, v74
	v_or_b32_e32 v82, 0x80, v74
	;; [unrolled: 1-line block ×7, first 2 shown]
	v_addc_co_u32_e32 v91, vcc, 0, v89, vcc
	s_mov_b32 s72, s51
                                        ; implicit-def: $vgpr0_vgpr1
                                        ; implicit-def: $vgpr6_vgpr7
                                        ; implicit-def: $vgpr8_vgpr9
                                        ; implicit-def: $vgpr10_vgpr11
                                        ; implicit-def: $vgpr12_vgpr13
                                        ; implicit-def: $vgpr14_vgpr15
                                        ; implicit-def: $vgpr16_vgpr17
                                        ; implicit-def: $vgpr18_vgpr19
                                        ; implicit-def: $vgpr70
                                        ; implicit-def: $vgpr71
                                        ; implicit-def: $vgpr72
                                        ; implicit-def: $vgpr73
                                        ; implicit-def: $vgpr75
                                        ; implicit-def: $vgpr76
                                        ; implicit-def: $vgpr78
                                        ; implicit-def: $vgpr80
	s_waitcnt vmcnt(1)
	v_mad_u32_u24 v5, v39, v5, v40
	s_waitcnt vmcnt(0)
	v_mad_u64_u32 v[20:21], s[36:37], v5, v20, v[2:3]
	v_lshrrev_b32_e32 v92, 6, v20
	s_branch .LBB2079_240
.LBB2079_239:                           ;   in Loop: Header=BB2079_240 Depth=2
	s_or_b64 exec, exec, s[36:37]
	s_addk_i32 s79, 0xf800
	s_cmp_lt_u32 s80, s76
	s_mov_b32 s72, s80
	s_cbranch_scc0 .LBB2079_352
.LBB2079_240:                           ;   Parent Loop BB2079_20 Depth=1
                                        ; =>  This Inner Loop Header: Depth=2
	s_add_i32 s80, s72, 0x800
	s_cmp_gt_u32 s80, s76
	s_cbranch_scc1 .LBB2079_243
; %bb.241:                              ;   in Loop: Header=BB2079_240 Depth=2
	s_lshl_b64 s[36:37], s[72:73], 1
	v_mov_b32_e32 v5, s37
	v_add_co_u32_e32 v20, vcc, s36, v88
	v_addc_co_u32_e32 v21, vcc, v89, v5, vcc
	global_load_ushort v5, v[20:21], off
	global_load_ushort v97, v[20:21], off offset:128
	global_load_ushort v101, v[20:21], off offset:256
	;; [unrolled: 1-line block ×6, first 2 shown]
	s_mov_b64 s[36:37], -1
	s_movk_i32 s40, 0x800
	s_cbranch_execz .LBB2079_244
; %bb.242:                              ;   in Loop: Header=BB2079_240 Depth=2
                                        ; implicit-def: $sgpr38
	v_mov_b32_e32 v23, s38
	v_mov_b32_e32 v93, s79
	s_and_saveexec_b64 s[38:39], s[36:37]
	s_cbranch_execnz .LBB2079_259
	s_branch .LBB2079_260
.LBB2079_243:                           ;   in Loop: Header=BB2079_240 Depth=2
	s_mov_b64 s[36:37], 0
                                        ; implicit-def: $sgpr40
                                        ; implicit-def: $vgpr5
                                        ; implicit-def: $vgpr97
                                        ; implicit-def: $vgpr101
                                        ; implicit-def: $vgpr106
                                        ; implicit-def: $vgpr109
                                        ; implicit-def: $vgpr104
                                        ; implicit-def: $vgpr22
.LBB2079_244:                           ;   in Loop: Header=BB2079_240 Depth=2
	s_lshl_b64 s[36:37], s[72:73], 1
	s_waitcnt vmcnt(6)
	v_mov_b32_e32 v5, s37
	v_add_co_u32_e32 v20, vcc, s36, v88
	v_addc_co_u32_e32 v21, vcc, v89, v5, vcc
	v_cmp_gt_u32_e32 vcc, s79, v74
	s_waitcnt vmcnt(5)
	v_mov_b32_e32 v97, 0x7fff
	v_mov_b32_e32 v5, 0x7fff
	s_and_saveexec_b64 s[36:37], vcc
	s_cbranch_execz .LBB2079_246
; %bb.245:                              ;   in Loop: Header=BB2079_240 Depth=2
	global_load_ushort v5, v[20:21], off
.LBB2079_246:                           ;   in Loop: Header=BB2079_240 Depth=2
	s_or_b64 exec, exec, s[36:37]
	v_cmp_gt_u32_e32 vcc, s79, v81
	s_and_saveexec_b64 s[36:37], vcc
	s_cbranch_execz .LBB2079_248
; %bb.247:                              ;   in Loop: Header=BB2079_240 Depth=2
	global_load_ushort v97, v[20:21], off offset:128
.LBB2079_248:                           ;   in Loop: Header=BB2079_240 Depth=2
	s_or_b64 exec, exec, s[36:37]
	v_cmp_gt_u32_e32 vcc, s79, v82
	s_waitcnt vmcnt(3)
	v_mov_b32_e32 v106, 0x7fff
	v_mov_b32_e32 v101, 0x7fff
	s_and_saveexec_b64 s[36:37], vcc
	s_cbranch_execz .LBB2079_250
; %bb.249:                              ;   in Loop: Header=BB2079_240 Depth=2
	global_load_ushort v101, v[20:21], off offset:256
.LBB2079_250:                           ;   in Loop: Header=BB2079_240 Depth=2
	s_or_b64 exec, exec, s[36:37]
	v_cmp_gt_u32_e32 vcc, s79, v83
	s_and_saveexec_b64 s[36:37], vcc
	s_cbranch_execz .LBB2079_252
; %bb.251:                              ;   in Loop: Header=BB2079_240 Depth=2
	global_load_ushort v106, v[20:21], off offset:384
.LBB2079_252:                           ;   in Loop: Header=BB2079_240 Depth=2
	s_or_b64 exec, exec, s[36:37]
	v_cmp_gt_u32_e32 vcc, s79, v84
	s_waitcnt vmcnt(1)
	v_mov_b32_e32 v104, 0x7fff
	v_mov_b32_e32 v109, 0x7fff
	s_and_saveexec_b64 s[36:37], vcc
	s_cbranch_execz .LBB2079_254
; %bb.253:                              ;   in Loop: Header=BB2079_240 Depth=2
	global_load_ushort v109, v[20:21], off offset:512
.LBB2079_254:                           ;   in Loop: Header=BB2079_240 Depth=2
	s_or_b64 exec, exec, s[36:37]
	v_cmp_gt_u32_e32 vcc, s79, v85
	s_and_saveexec_b64 s[36:37], vcc
	s_cbranch_execz .LBB2079_256
; %bb.255:                              ;   in Loop: Header=BB2079_240 Depth=2
	global_load_ushort v104, v[20:21], off offset:640
.LBB2079_256:                           ;   in Loop: Header=BB2079_240 Depth=2
	s_or_b64 exec, exec, s[36:37]
	v_cmp_gt_u32_e32 vcc, s79, v86
	s_waitcnt vmcnt(0)
	v_mov_b32_e32 v22, 0x7fff
	s_and_saveexec_b64 s[36:37], vcc
	s_cbranch_execz .LBB2079_258
; %bb.257:                              ;   in Loop: Header=BB2079_240 Depth=2
	global_load_ushort v22, v[20:21], off offset:768
.LBB2079_258:                           ;   in Loop: Header=BB2079_240 Depth=2
	s_or_b64 exec, exec, s[36:37]
	s_sub_i32 s40, s76, s72
	v_cmp_gt_u32_e64 s[36:37], s79, v87
	s_movk_i32 s38, 0x7fff
	v_mov_b32_e32 v23, s38
	v_mov_b32_e32 v93, s79
	s_and_saveexec_b64 s[38:39], s[36:37]
	s_cbranch_execz .LBB2079_260
.LBB2079_259:                           ;   in Loop: Header=BB2079_240 Depth=2
	s_lshl_b64 s[36:37], s[72:73], 1
	v_mov_b32_e32 v21, s37
	v_add_co_u32_e32 v20, vcc, s36, v90
	v_addc_co_u32_e32 v21, vcc, v91, v21, vcc
	global_load_ushort v23, v[20:21], off
	v_mov_b32_e32 v93, s40
.LBB2079_260:                           ;   in Loop: Header=BB2079_240 Depth=2
	s_or_b64 exec, exec, s[38:39]
	s_waitcnt vmcnt(6)
	v_cmp_lt_i16_e32 vcc, -1, v5
	v_cndmask_b32_e32 v20, -1, v66, vcc
	v_xor_b32_e32 v94, v20, v5
	v_add_u32_e32 v5, 0x410, v41
	v_cmp_ne_u16_e32 vcc, s68, v94
	ds_write2_b32 v5, v4, v4 offset1:1
	ds_write2_b32 v43, v4, v4 offset0:2 offset1:3
	ds_write_b32 v43, v4 offset:16
	v_cndmask_b32_e32 v5, v66, v94, vcc
	v_lshrrev_b32_sdwa v5, s77, v5 dst_sel:DWORD dst_unused:UNUSED_PAD src0_sel:DWORD src1_sel:WORD_0
	v_and_b32_e32 v20, s78, v5
	v_mad_u32_u24 v5, v20, 5, v92
	v_lshl_add_u32 v95, v5, 2, v42
	v_and_b32_e32 v5, 1, v20
	v_add_co_u32_e32 v21, vcc, -1, v5
	v_addc_co_u32_e64 v96, s[36:37], 0, -1, vcc
	v_cmp_ne_u32_e32 vcc, 0, v5
	v_xor_b32_e32 v5, vcc_hi, v96
	v_and_b32_e32 v96, exec_hi, v5
	v_lshlrev_b32_e32 v5, 30, v20
	v_xor_b32_e32 v21, vcc_lo, v21
	v_cmp_gt_i64_e32 vcc, 0, v[4:5]
	v_not_b32_e32 v5, v5
	v_ashrrev_i32_e32 v5, 31, v5
	v_and_b32_e32 v21, exec_lo, v21
	v_xor_b32_e32 v98, vcc_hi, v5
	v_xor_b32_e32 v5, vcc_lo, v5
	v_and_b32_e32 v21, v21, v5
	v_lshlrev_b32_e32 v5, 29, v20
	v_cmp_gt_i64_e32 vcc, 0, v[4:5]
	v_not_b32_e32 v5, v5
	v_ashrrev_i32_e32 v5, 31, v5
	v_and_b32_e32 v96, v96, v98
	v_xor_b32_e32 v98, vcc_hi, v5
	v_xor_b32_e32 v5, vcc_lo, v5
	v_and_b32_e32 v21, v21, v5
	v_lshlrev_b32_e32 v5, 28, v20
	v_cmp_gt_i64_e32 vcc, 0, v[4:5]
	v_not_b32_e32 v5, v5
	v_ashrrev_i32_e32 v5, 31, v5
	v_and_b32_e32 v96, v96, v98
	;; [unrolled: 8-line block ×5, first 2 shown]
	v_xor_b32_e32 v98, vcc_hi, v5
	v_xor_b32_e32 v5, vcc_lo, v5
	v_and_b32_e32 v96, v96, v98
	v_and_b32_e32 v98, v21, v5
	v_lshlrev_b32_e32 v5, 24, v20
	v_cmp_gt_i64_e32 vcc, 0, v[4:5]
	v_not_b32_e32 v5, v5
	v_ashrrev_i32_e32 v5, 31, v5
	v_xor_b32_e32 v20, vcc_hi, v5
	v_xor_b32_e32 v5, vcc_lo, v5
	v_and_b32_e32 v21, v96, v20
	v_and_b32_e32 v20, v98, v5
	v_mbcnt_lo_u32_b32 v5, v20, 0
	v_mbcnt_hi_u32_b32 v96, v21, v5
	v_cmp_eq_u32_e32 vcc, 0, v96
	v_cmp_ne_u64_e64 s[36:37], 0, v[20:21]
	s_and_b64 s[38:39], s[36:37], vcc
	s_waitcnt lgkmcnt(0)
	s_barrier
	s_waitcnt lgkmcnt(0)
	; wave barrier
	s_and_saveexec_b64 s[36:37], s[38:39]
	s_cbranch_execz .LBB2079_262
; %bb.261:                              ;   in Loop: Header=BB2079_240 Depth=2
	v_bcnt_u32_b32 v5, v20, 0
	v_bcnt_u32_b32 v5, v21, v5
	ds_write_b32 v95, v5
.LBB2079_262:                           ;   in Loop: Header=BB2079_240 Depth=2
	s_or_b64 exec, exec, s[36:37]
	s_waitcnt vmcnt(5)
	v_cmp_lt_i16_e32 vcc, -1, v97
	v_cndmask_b32_e32 v5, -1, v66, vcc
	v_xor_b32_e32 v97, v5, v97
	v_cmp_ne_u16_e32 vcc, s68, v97
	v_cndmask_b32_e32 v5, v66, v97, vcc
	v_lshrrev_b32_sdwa v5, s77, v5 dst_sel:DWORD dst_unused:UNUSED_PAD src0_sel:DWORD src1_sel:WORD_0
	v_and_b32_e32 v20, s78, v5
	v_mul_u32_u24_e32 v5, 5, v20
	v_add_lshl_u32 v5, v5, v92, 2
	; wave barrier
	v_add_u32_e32 v99, 0x410, v5
	ds_read_b32 v98, v5 offset:1040
	v_and_b32_e32 v5, 1, v20
	v_add_co_u32_e32 v21, vcc, -1, v5
	v_addc_co_u32_e64 v100, s[36:37], 0, -1, vcc
	v_cmp_ne_u32_e32 vcc, 0, v5
	v_xor_b32_e32 v5, vcc_hi, v100
	v_and_b32_e32 v100, exec_hi, v5
	v_lshlrev_b32_e32 v5, 30, v20
	v_xor_b32_e32 v21, vcc_lo, v21
	v_cmp_gt_i64_e32 vcc, 0, v[4:5]
	v_not_b32_e32 v5, v5
	v_ashrrev_i32_e32 v5, 31, v5
	v_and_b32_e32 v21, exec_lo, v21
	v_xor_b32_e32 v102, vcc_hi, v5
	v_xor_b32_e32 v5, vcc_lo, v5
	v_and_b32_e32 v21, v21, v5
	v_lshlrev_b32_e32 v5, 29, v20
	v_cmp_gt_i64_e32 vcc, 0, v[4:5]
	v_not_b32_e32 v5, v5
	v_ashrrev_i32_e32 v5, 31, v5
	v_and_b32_e32 v100, v100, v102
	v_xor_b32_e32 v102, vcc_hi, v5
	v_xor_b32_e32 v5, vcc_lo, v5
	v_and_b32_e32 v21, v21, v5
	v_lshlrev_b32_e32 v5, 28, v20
	v_cmp_gt_i64_e32 vcc, 0, v[4:5]
	v_not_b32_e32 v5, v5
	v_ashrrev_i32_e32 v5, 31, v5
	v_and_b32_e32 v100, v100, v102
	v_xor_b32_e32 v102, vcc_hi, v5
	v_xor_b32_e32 v5, vcc_lo, v5
	v_and_b32_e32 v21, v21, v5
	v_lshlrev_b32_e32 v5, 27, v20
	v_cmp_gt_i64_e32 vcc, 0, v[4:5]
	v_not_b32_e32 v5, v5
	v_ashrrev_i32_e32 v5, 31, v5
	v_and_b32_e32 v100, v100, v102
	v_xor_b32_e32 v102, vcc_hi, v5
	v_xor_b32_e32 v5, vcc_lo, v5
	v_and_b32_e32 v21, v21, v5
	v_lshlrev_b32_e32 v5, 26, v20
	v_cmp_gt_i64_e32 vcc, 0, v[4:5]
	v_not_b32_e32 v5, v5
	v_ashrrev_i32_e32 v5, 31, v5
	v_and_b32_e32 v100, v100, v102
	v_xor_b32_e32 v102, vcc_hi, v5
	v_xor_b32_e32 v5, vcc_lo, v5
	v_and_b32_e32 v21, v21, v5
	v_lshlrev_b32_e32 v5, 25, v20
	v_cmp_gt_i64_e32 vcc, 0, v[4:5]
	v_not_b32_e32 v5, v5
	v_ashrrev_i32_e32 v5, 31, v5
	v_and_b32_e32 v100, v100, v102
	v_xor_b32_e32 v102, vcc_hi, v5
	v_xor_b32_e32 v5, vcc_lo, v5
	v_and_b32_e32 v100, v100, v102
	v_and_b32_e32 v102, v21, v5
	v_lshlrev_b32_e32 v5, 24, v20
	v_cmp_gt_i64_e32 vcc, 0, v[4:5]
	v_not_b32_e32 v5, v5
	v_ashrrev_i32_e32 v5, 31, v5
	v_xor_b32_e32 v20, vcc_hi, v5
	v_xor_b32_e32 v5, vcc_lo, v5
	v_and_b32_e32 v21, v100, v20
	v_and_b32_e32 v20, v102, v5
	v_mbcnt_lo_u32_b32 v5, v20, 0
	v_mbcnt_hi_u32_b32 v100, v21, v5
	v_cmp_eq_u32_e32 vcc, 0, v100
	v_cmp_ne_u64_e64 s[36:37], 0, v[20:21]
	s_and_b64 s[38:39], s[36:37], vcc
	; wave barrier
	s_and_saveexec_b64 s[36:37], s[38:39]
	s_cbranch_execz .LBB2079_264
; %bb.263:                              ;   in Loop: Header=BB2079_240 Depth=2
	v_bcnt_u32_b32 v5, v20, 0
	v_bcnt_u32_b32 v5, v21, v5
	s_waitcnt lgkmcnt(0)
	v_add_u32_e32 v5, v98, v5
	ds_write_b32 v99, v5
.LBB2079_264:                           ;   in Loop: Header=BB2079_240 Depth=2
	s_or_b64 exec, exec, s[36:37]
	s_waitcnt vmcnt(4)
	v_cmp_lt_i16_e32 vcc, -1, v101
	v_cndmask_b32_e32 v5, -1, v66, vcc
	v_xor_b32_e32 v101, v5, v101
	v_cmp_ne_u16_e32 vcc, s68, v101
	v_cndmask_b32_e32 v5, v66, v101, vcc
	v_lshrrev_b32_sdwa v5, s77, v5 dst_sel:DWORD dst_unused:UNUSED_PAD src0_sel:DWORD src1_sel:WORD_0
	v_and_b32_e32 v20, s78, v5
	v_mul_u32_u24_e32 v5, 5, v20
	v_add_lshl_u32 v5, v5, v92, 2
	; wave barrier
	v_add_u32_e32 v103, 0x410, v5
	ds_read_b32 v102, v5 offset:1040
	v_and_b32_e32 v5, 1, v20
	v_add_co_u32_e32 v21, vcc, -1, v5
	v_addc_co_u32_e64 v105, s[36:37], 0, -1, vcc
	v_cmp_ne_u32_e32 vcc, 0, v5
	v_xor_b32_e32 v5, vcc_hi, v105
	v_and_b32_e32 v105, exec_hi, v5
	v_lshlrev_b32_e32 v5, 30, v20
	v_xor_b32_e32 v21, vcc_lo, v21
	v_cmp_gt_i64_e32 vcc, 0, v[4:5]
	v_not_b32_e32 v5, v5
	v_ashrrev_i32_e32 v5, 31, v5
	v_and_b32_e32 v21, exec_lo, v21
	v_xor_b32_e32 v107, vcc_hi, v5
	v_xor_b32_e32 v5, vcc_lo, v5
	v_and_b32_e32 v21, v21, v5
	v_lshlrev_b32_e32 v5, 29, v20
	v_cmp_gt_i64_e32 vcc, 0, v[4:5]
	v_not_b32_e32 v5, v5
	v_ashrrev_i32_e32 v5, 31, v5
	v_and_b32_e32 v105, v105, v107
	v_xor_b32_e32 v107, vcc_hi, v5
	v_xor_b32_e32 v5, vcc_lo, v5
	v_and_b32_e32 v21, v21, v5
	v_lshlrev_b32_e32 v5, 28, v20
	v_cmp_gt_i64_e32 vcc, 0, v[4:5]
	v_not_b32_e32 v5, v5
	v_ashrrev_i32_e32 v5, 31, v5
	v_and_b32_e32 v105, v105, v107
	v_xor_b32_e32 v107, vcc_hi, v5
	v_xor_b32_e32 v5, vcc_lo, v5
	v_and_b32_e32 v21, v21, v5
	v_lshlrev_b32_e32 v5, 27, v20
	v_cmp_gt_i64_e32 vcc, 0, v[4:5]
	v_not_b32_e32 v5, v5
	v_ashrrev_i32_e32 v5, 31, v5
	v_and_b32_e32 v105, v105, v107
	v_xor_b32_e32 v107, vcc_hi, v5
	v_xor_b32_e32 v5, vcc_lo, v5
	v_and_b32_e32 v21, v21, v5
	v_lshlrev_b32_e32 v5, 26, v20
	v_cmp_gt_i64_e32 vcc, 0, v[4:5]
	v_not_b32_e32 v5, v5
	v_ashrrev_i32_e32 v5, 31, v5
	v_and_b32_e32 v105, v105, v107
	v_xor_b32_e32 v107, vcc_hi, v5
	v_xor_b32_e32 v5, vcc_lo, v5
	v_and_b32_e32 v21, v21, v5
	v_lshlrev_b32_e32 v5, 25, v20
	v_cmp_gt_i64_e32 vcc, 0, v[4:5]
	v_not_b32_e32 v5, v5
	v_ashrrev_i32_e32 v5, 31, v5
	v_and_b32_e32 v105, v105, v107
	v_xor_b32_e32 v107, vcc_hi, v5
	v_xor_b32_e32 v5, vcc_lo, v5
	v_and_b32_e32 v105, v105, v107
	v_and_b32_e32 v107, v21, v5
	v_lshlrev_b32_e32 v5, 24, v20
	v_cmp_gt_i64_e32 vcc, 0, v[4:5]
	v_not_b32_e32 v5, v5
	v_ashrrev_i32_e32 v5, 31, v5
	v_xor_b32_e32 v20, vcc_hi, v5
	v_xor_b32_e32 v5, vcc_lo, v5
	v_and_b32_e32 v21, v105, v20
	v_and_b32_e32 v20, v107, v5
	v_mbcnt_lo_u32_b32 v5, v20, 0
	v_mbcnt_hi_u32_b32 v105, v21, v5
	v_cmp_eq_u32_e32 vcc, 0, v105
	v_cmp_ne_u64_e64 s[36:37], 0, v[20:21]
	s_and_b64 s[38:39], s[36:37], vcc
	; wave barrier
	s_and_saveexec_b64 s[36:37], s[38:39]
	s_cbranch_execz .LBB2079_266
; %bb.265:                              ;   in Loop: Header=BB2079_240 Depth=2
	v_bcnt_u32_b32 v5, v20, 0
	v_bcnt_u32_b32 v5, v21, v5
	s_waitcnt lgkmcnt(0)
	v_add_u32_e32 v5, v102, v5
	ds_write_b32 v103, v5
.LBB2079_266:                           ;   in Loop: Header=BB2079_240 Depth=2
	s_or_b64 exec, exec, s[36:37]
	s_waitcnt vmcnt(3)
	v_cmp_lt_i16_e32 vcc, -1, v106
	v_cndmask_b32_e32 v5, -1, v66, vcc
	v_xor_b32_e32 v106, v5, v106
	v_cmp_ne_u16_e32 vcc, s68, v106
	v_cndmask_b32_e32 v5, v66, v106, vcc
	v_lshrrev_b32_sdwa v5, s77, v5 dst_sel:DWORD dst_unused:UNUSED_PAD src0_sel:DWORD src1_sel:WORD_0
	v_and_b32_e32 v20, s78, v5
	v_mul_u32_u24_e32 v5, 5, v20
	v_add_lshl_u32 v5, v5, v92, 2
	; wave barrier
	v_add_u32_e32 v108, 0x410, v5
	ds_read_b32 v107, v5 offset:1040
	v_and_b32_e32 v5, 1, v20
	v_add_co_u32_e32 v21, vcc, -1, v5
	v_addc_co_u32_e64 v110, s[36:37], 0, -1, vcc
	v_cmp_ne_u32_e32 vcc, 0, v5
	v_xor_b32_e32 v5, vcc_hi, v110
	v_and_b32_e32 v110, exec_hi, v5
	v_lshlrev_b32_e32 v5, 30, v20
	v_xor_b32_e32 v21, vcc_lo, v21
	v_cmp_gt_i64_e32 vcc, 0, v[4:5]
	v_not_b32_e32 v5, v5
	v_ashrrev_i32_e32 v5, 31, v5
	v_and_b32_e32 v21, exec_lo, v21
	v_xor_b32_e32 v111, vcc_hi, v5
	v_xor_b32_e32 v5, vcc_lo, v5
	v_and_b32_e32 v21, v21, v5
	v_lshlrev_b32_e32 v5, 29, v20
	v_cmp_gt_i64_e32 vcc, 0, v[4:5]
	v_not_b32_e32 v5, v5
	v_ashrrev_i32_e32 v5, 31, v5
	v_and_b32_e32 v110, v110, v111
	v_xor_b32_e32 v111, vcc_hi, v5
	v_xor_b32_e32 v5, vcc_lo, v5
	v_and_b32_e32 v21, v21, v5
	v_lshlrev_b32_e32 v5, 28, v20
	v_cmp_gt_i64_e32 vcc, 0, v[4:5]
	v_not_b32_e32 v5, v5
	v_ashrrev_i32_e32 v5, 31, v5
	v_and_b32_e32 v110, v110, v111
	;; [unrolled: 8-line block ×5, first 2 shown]
	v_xor_b32_e32 v111, vcc_hi, v5
	v_xor_b32_e32 v5, vcc_lo, v5
	v_and_b32_e32 v110, v110, v111
	v_and_b32_e32 v111, v21, v5
	v_lshlrev_b32_e32 v5, 24, v20
	v_cmp_gt_i64_e32 vcc, 0, v[4:5]
	v_not_b32_e32 v5, v5
	v_ashrrev_i32_e32 v5, 31, v5
	v_xor_b32_e32 v20, vcc_hi, v5
	v_xor_b32_e32 v5, vcc_lo, v5
	v_and_b32_e32 v21, v110, v20
	v_and_b32_e32 v20, v111, v5
	v_mbcnt_lo_u32_b32 v5, v20, 0
	v_mbcnt_hi_u32_b32 v110, v21, v5
	v_cmp_eq_u32_e32 vcc, 0, v110
	v_cmp_ne_u64_e64 s[36:37], 0, v[20:21]
	s_and_b64 s[38:39], s[36:37], vcc
	; wave barrier
	s_and_saveexec_b64 s[36:37], s[38:39]
	s_cbranch_execz .LBB2079_268
; %bb.267:                              ;   in Loop: Header=BB2079_240 Depth=2
	v_bcnt_u32_b32 v5, v20, 0
	v_bcnt_u32_b32 v5, v21, v5
	s_waitcnt lgkmcnt(0)
	v_add_u32_e32 v5, v107, v5
	ds_write_b32 v108, v5
.LBB2079_268:                           ;   in Loop: Header=BB2079_240 Depth=2
	s_or_b64 exec, exec, s[36:37]
	s_waitcnt vmcnt(2)
	v_cmp_lt_i16_e32 vcc, -1, v109
	v_cndmask_b32_e32 v5, -1, v66, vcc
	v_xor_b32_e32 v109, v5, v109
	v_cmp_ne_u16_e32 vcc, s68, v109
	v_cndmask_b32_e32 v5, v66, v109, vcc
	v_lshrrev_b32_sdwa v5, s77, v5 dst_sel:DWORD dst_unused:UNUSED_PAD src0_sel:DWORD src1_sel:WORD_0
	v_and_b32_e32 v20, s78, v5
	v_mul_u32_u24_e32 v5, 5, v20
	v_add_lshl_u32 v5, v5, v92, 2
	; wave barrier
	v_add_u32_e32 v112, 0x410, v5
	ds_read_b32 v111, v5 offset:1040
	v_and_b32_e32 v5, 1, v20
	v_add_co_u32_e32 v21, vcc, -1, v5
	v_addc_co_u32_e64 v113, s[36:37], 0, -1, vcc
	v_cmp_ne_u32_e32 vcc, 0, v5
	v_xor_b32_e32 v5, vcc_hi, v113
	v_and_b32_e32 v113, exec_hi, v5
	v_lshlrev_b32_e32 v5, 30, v20
	v_xor_b32_e32 v21, vcc_lo, v21
	v_cmp_gt_i64_e32 vcc, 0, v[4:5]
	v_not_b32_e32 v5, v5
	v_ashrrev_i32_e32 v5, 31, v5
	v_and_b32_e32 v21, exec_lo, v21
	v_xor_b32_e32 v114, vcc_hi, v5
	v_xor_b32_e32 v5, vcc_lo, v5
	v_and_b32_e32 v21, v21, v5
	v_lshlrev_b32_e32 v5, 29, v20
	v_cmp_gt_i64_e32 vcc, 0, v[4:5]
	v_not_b32_e32 v5, v5
	v_ashrrev_i32_e32 v5, 31, v5
	v_and_b32_e32 v113, v113, v114
	v_xor_b32_e32 v114, vcc_hi, v5
	v_xor_b32_e32 v5, vcc_lo, v5
	v_and_b32_e32 v21, v21, v5
	v_lshlrev_b32_e32 v5, 28, v20
	v_cmp_gt_i64_e32 vcc, 0, v[4:5]
	v_not_b32_e32 v5, v5
	v_ashrrev_i32_e32 v5, 31, v5
	v_and_b32_e32 v113, v113, v114
	v_xor_b32_e32 v114, vcc_hi, v5
	v_xor_b32_e32 v5, vcc_lo, v5
	v_and_b32_e32 v21, v21, v5
	v_lshlrev_b32_e32 v5, 27, v20
	v_cmp_gt_i64_e32 vcc, 0, v[4:5]
	v_not_b32_e32 v5, v5
	v_ashrrev_i32_e32 v5, 31, v5
	v_and_b32_e32 v113, v113, v114
	v_xor_b32_e32 v114, vcc_hi, v5
	v_xor_b32_e32 v5, vcc_lo, v5
	v_and_b32_e32 v21, v21, v5
	v_lshlrev_b32_e32 v5, 26, v20
	v_cmp_gt_i64_e32 vcc, 0, v[4:5]
	v_not_b32_e32 v5, v5
	v_ashrrev_i32_e32 v5, 31, v5
	v_and_b32_e32 v113, v113, v114
	v_xor_b32_e32 v114, vcc_hi, v5
	v_xor_b32_e32 v5, vcc_lo, v5
	v_and_b32_e32 v21, v21, v5
	v_lshlrev_b32_e32 v5, 25, v20
	v_cmp_gt_i64_e32 vcc, 0, v[4:5]
	v_not_b32_e32 v5, v5
	v_ashrrev_i32_e32 v5, 31, v5
	v_and_b32_e32 v113, v113, v114
	v_xor_b32_e32 v114, vcc_hi, v5
	v_xor_b32_e32 v5, vcc_lo, v5
	v_and_b32_e32 v113, v113, v114
	v_and_b32_e32 v114, v21, v5
	v_lshlrev_b32_e32 v5, 24, v20
	v_cmp_gt_i64_e32 vcc, 0, v[4:5]
	v_not_b32_e32 v5, v5
	v_ashrrev_i32_e32 v5, 31, v5
	v_xor_b32_e32 v20, vcc_hi, v5
	v_xor_b32_e32 v5, vcc_lo, v5
	v_and_b32_e32 v21, v113, v20
	v_and_b32_e32 v20, v114, v5
	v_mbcnt_lo_u32_b32 v5, v20, 0
	v_mbcnt_hi_u32_b32 v113, v21, v5
	v_cmp_eq_u32_e32 vcc, 0, v113
	v_cmp_ne_u64_e64 s[36:37], 0, v[20:21]
	s_and_b64 s[38:39], s[36:37], vcc
	; wave barrier
	s_and_saveexec_b64 s[36:37], s[38:39]
	s_cbranch_execz .LBB2079_270
; %bb.269:                              ;   in Loop: Header=BB2079_240 Depth=2
	v_bcnt_u32_b32 v5, v20, 0
	v_bcnt_u32_b32 v5, v21, v5
	s_waitcnt lgkmcnt(0)
	v_add_u32_e32 v5, v111, v5
	ds_write_b32 v112, v5
.LBB2079_270:                           ;   in Loop: Header=BB2079_240 Depth=2
	s_or_b64 exec, exec, s[36:37]
	s_waitcnt vmcnt(1)
	v_cmp_lt_i16_e32 vcc, -1, v104
	v_cndmask_b32_e32 v5, -1, v66, vcc
	v_xor_b32_e32 v104, v5, v104
	v_cmp_ne_u16_e32 vcc, s68, v104
	v_cndmask_b32_e32 v5, v66, v104, vcc
	v_lshrrev_b32_sdwa v5, s77, v5 dst_sel:DWORD dst_unused:UNUSED_PAD src0_sel:DWORD src1_sel:WORD_0
	v_and_b32_e32 v20, s78, v5
	v_mul_u32_u24_e32 v5, 5, v20
	v_add_lshl_u32 v5, v5, v92, 2
	; wave barrier
	v_add_u32_e32 v115, 0x410, v5
	ds_read_b32 v114, v5 offset:1040
	v_and_b32_e32 v5, 1, v20
	v_add_co_u32_e32 v21, vcc, -1, v5
	v_addc_co_u32_e64 v116, s[36:37], 0, -1, vcc
	v_cmp_ne_u32_e32 vcc, 0, v5
	v_xor_b32_e32 v5, vcc_hi, v116
	v_and_b32_e32 v116, exec_hi, v5
	v_lshlrev_b32_e32 v5, 30, v20
	v_xor_b32_e32 v21, vcc_lo, v21
	v_cmp_gt_i64_e32 vcc, 0, v[4:5]
	v_not_b32_e32 v5, v5
	v_ashrrev_i32_e32 v5, 31, v5
	v_and_b32_e32 v21, exec_lo, v21
	v_xor_b32_e32 v117, vcc_hi, v5
	v_xor_b32_e32 v5, vcc_lo, v5
	v_and_b32_e32 v21, v21, v5
	v_lshlrev_b32_e32 v5, 29, v20
	v_cmp_gt_i64_e32 vcc, 0, v[4:5]
	v_not_b32_e32 v5, v5
	v_ashrrev_i32_e32 v5, 31, v5
	v_and_b32_e32 v116, v116, v117
	v_xor_b32_e32 v117, vcc_hi, v5
	v_xor_b32_e32 v5, vcc_lo, v5
	v_and_b32_e32 v21, v21, v5
	v_lshlrev_b32_e32 v5, 28, v20
	v_cmp_gt_i64_e32 vcc, 0, v[4:5]
	v_not_b32_e32 v5, v5
	v_ashrrev_i32_e32 v5, 31, v5
	v_and_b32_e32 v116, v116, v117
	;; [unrolled: 8-line block ×5, first 2 shown]
	v_xor_b32_e32 v117, vcc_hi, v5
	v_xor_b32_e32 v5, vcc_lo, v5
	v_and_b32_e32 v116, v116, v117
	v_and_b32_e32 v117, v21, v5
	v_lshlrev_b32_e32 v5, 24, v20
	v_cmp_gt_i64_e32 vcc, 0, v[4:5]
	v_not_b32_e32 v5, v5
	v_ashrrev_i32_e32 v5, 31, v5
	v_xor_b32_e32 v20, vcc_hi, v5
	v_xor_b32_e32 v5, vcc_lo, v5
	v_and_b32_e32 v21, v116, v20
	v_and_b32_e32 v20, v117, v5
	v_mbcnt_lo_u32_b32 v5, v20, 0
	v_mbcnt_hi_u32_b32 v116, v21, v5
	v_cmp_eq_u32_e32 vcc, 0, v116
	v_cmp_ne_u64_e64 s[36:37], 0, v[20:21]
	s_and_b64 s[38:39], s[36:37], vcc
	; wave barrier
	s_and_saveexec_b64 s[36:37], s[38:39]
	s_cbranch_execz .LBB2079_272
; %bb.271:                              ;   in Loop: Header=BB2079_240 Depth=2
	v_bcnt_u32_b32 v5, v20, 0
	v_bcnt_u32_b32 v5, v21, v5
	s_waitcnt lgkmcnt(0)
	v_add_u32_e32 v5, v114, v5
	ds_write_b32 v115, v5
.LBB2079_272:                           ;   in Loop: Header=BB2079_240 Depth=2
	s_or_b64 exec, exec, s[36:37]
	s_waitcnt vmcnt(0)
	v_cmp_lt_i16_e32 vcc, -1, v22
	v_cndmask_b32_e32 v5, -1, v66, vcc
	v_xor_b32_e32 v117, v5, v22
	v_cmp_ne_u16_e32 vcc, s68, v117
	v_cndmask_b32_e32 v5, v66, v117, vcc
	v_lshrrev_b32_sdwa v5, s77, v5 dst_sel:DWORD dst_unused:UNUSED_PAD src0_sel:DWORD src1_sel:WORD_0
	v_and_b32_e32 v20, s78, v5
	v_mul_u32_u24_e32 v5, 5, v20
	v_add_lshl_u32 v5, v5, v92, 2
	; wave barrier
	v_add_u32_e32 v119, 0x410, v5
	ds_read_b32 v118, v5 offset:1040
	v_and_b32_e32 v5, 1, v20
	v_add_co_u32_e32 v21, vcc, -1, v5
	v_addc_co_u32_e64 v22, s[36:37], 0, -1, vcc
	v_cmp_ne_u32_e32 vcc, 0, v5
	v_xor_b32_e32 v5, vcc_hi, v22
	v_and_b32_e32 v22, exec_hi, v5
	v_lshlrev_b32_e32 v5, 30, v20
	v_xor_b32_e32 v21, vcc_lo, v21
	v_cmp_gt_i64_e32 vcc, 0, v[4:5]
	v_not_b32_e32 v5, v5
	v_ashrrev_i32_e32 v5, 31, v5
	v_and_b32_e32 v21, exec_lo, v21
	v_xor_b32_e32 v120, vcc_hi, v5
	v_xor_b32_e32 v5, vcc_lo, v5
	v_and_b32_e32 v21, v21, v5
	v_lshlrev_b32_e32 v5, 29, v20
	v_cmp_gt_i64_e32 vcc, 0, v[4:5]
	v_not_b32_e32 v5, v5
	v_ashrrev_i32_e32 v5, 31, v5
	v_and_b32_e32 v22, v22, v120
	v_xor_b32_e32 v120, vcc_hi, v5
	v_xor_b32_e32 v5, vcc_lo, v5
	v_and_b32_e32 v21, v21, v5
	v_lshlrev_b32_e32 v5, 28, v20
	v_cmp_gt_i64_e32 vcc, 0, v[4:5]
	v_not_b32_e32 v5, v5
	v_ashrrev_i32_e32 v5, 31, v5
	v_and_b32_e32 v22, v22, v120
	;; [unrolled: 8-line block ×5, first 2 shown]
	v_xor_b32_e32 v120, vcc_hi, v5
	v_xor_b32_e32 v5, vcc_lo, v5
	v_and_b32_e32 v22, v22, v120
	v_and_b32_e32 v120, v21, v5
	v_lshlrev_b32_e32 v5, 24, v20
	v_cmp_gt_i64_e32 vcc, 0, v[4:5]
	v_not_b32_e32 v5, v5
	v_ashrrev_i32_e32 v5, 31, v5
	v_xor_b32_e32 v20, vcc_hi, v5
	v_xor_b32_e32 v5, vcc_lo, v5
	v_and_b32_e32 v21, v22, v20
	v_and_b32_e32 v20, v120, v5
	v_mbcnt_lo_u32_b32 v5, v20, 0
	v_mbcnt_hi_u32_b32 v120, v21, v5
	v_cmp_eq_u32_e32 vcc, 0, v120
	v_cmp_ne_u64_e64 s[36:37], 0, v[20:21]
	s_and_b64 s[38:39], s[36:37], vcc
	; wave barrier
	s_and_saveexec_b64 s[36:37], s[38:39]
	s_cbranch_execz .LBB2079_274
; %bb.273:                              ;   in Loop: Header=BB2079_240 Depth=2
	v_bcnt_u32_b32 v5, v20, 0
	v_bcnt_u32_b32 v5, v21, v5
	s_waitcnt lgkmcnt(0)
	v_add_u32_e32 v5, v118, v5
	ds_write_b32 v119, v5
.LBB2079_274:                           ;   in Loop: Header=BB2079_240 Depth=2
	s_or_b64 exec, exec, s[36:37]
	v_cmp_lt_i16_e32 vcc, -1, v23
	v_cndmask_b32_e32 v5, -1, v66, vcc
	v_xor_b32_e32 v121, v5, v23
	v_cmp_ne_u16_e32 vcc, s68, v121
	v_cndmask_b32_e32 v5, v66, v121, vcc
	v_lshrrev_b32_sdwa v5, s77, v5 dst_sel:DWORD dst_unused:UNUSED_PAD src0_sel:DWORD src1_sel:WORD_0
	v_and_b32_e32 v20, s78, v5
	v_mul_u32_u24_e32 v5, 5, v20
	v_add_lshl_u32 v5, v5, v92, 2
	; wave barrier
	v_add_u32_e32 v123, 0x410, v5
	ds_read_b32 v122, v5 offset:1040
	v_and_b32_e32 v5, 1, v20
	v_add_co_u32_e32 v21, vcc, -1, v5
	v_addc_co_u32_e64 v22, s[36:37], 0, -1, vcc
	v_cmp_ne_u32_e32 vcc, 0, v5
	v_xor_b32_e32 v5, vcc_hi, v22
	v_and_b32_e32 v22, exec_hi, v5
	v_lshlrev_b32_e32 v5, 30, v20
	v_xor_b32_e32 v21, vcc_lo, v21
	v_cmp_gt_i64_e32 vcc, 0, v[4:5]
	v_not_b32_e32 v5, v5
	v_ashrrev_i32_e32 v5, 31, v5
	v_and_b32_e32 v21, exec_lo, v21
	v_xor_b32_e32 v23, vcc_hi, v5
	v_xor_b32_e32 v5, vcc_lo, v5
	v_and_b32_e32 v21, v21, v5
	v_lshlrev_b32_e32 v5, 29, v20
	v_cmp_gt_i64_e32 vcc, 0, v[4:5]
	v_not_b32_e32 v5, v5
	v_ashrrev_i32_e32 v5, 31, v5
	v_and_b32_e32 v22, v22, v23
	v_xor_b32_e32 v23, vcc_hi, v5
	v_xor_b32_e32 v5, vcc_lo, v5
	v_and_b32_e32 v21, v21, v5
	v_lshlrev_b32_e32 v5, 28, v20
	v_cmp_gt_i64_e32 vcc, 0, v[4:5]
	v_not_b32_e32 v5, v5
	v_ashrrev_i32_e32 v5, 31, v5
	v_and_b32_e32 v22, v22, v23
	;; [unrolled: 8-line block ×5, first 2 shown]
	v_xor_b32_e32 v23, vcc_hi, v5
	v_xor_b32_e32 v5, vcc_lo, v5
	v_and_b32_e32 v22, v22, v23
	v_and_b32_e32 v23, v21, v5
	v_lshlrev_b32_e32 v5, 24, v20
	v_cmp_gt_i64_e32 vcc, 0, v[4:5]
	v_not_b32_e32 v5, v5
	v_ashrrev_i32_e32 v5, 31, v5
	v_xor_b32_e32 v20, vcc_hi, v5
	v_xor_b32_e32 v5, vcc_lo, v5
	v_and_b32_e32 v21, v22, v20
	v_and_b32_e32 v20, v23, v5
	v_mbcnt_lo_u32_b32 v5, v20, 0
	v_mbcnt_hi_u32_b32 v124, v21, v5
	v_cmp_eq_u32_e32 vcc, 0, v124
	v_cmp_ne_u64_e64 s[36:37], 0, v[20:21]
	s_and_b64 s[38:39], s[36:37], vcc
	; wave barrier
	s_and_saveexec_b64 s[36:37], s[38:39]
	s_cbranch_execz .LBB2079_276
; %bb.275:                              ;   in Loop: Header=BB2079_240 Depth=2
	v_bcnt_u32_b32 v5, v20, 0
	v_bcnt_u32_b32 v5, v21, v5
	s_waitcnt lgkmcnt(0)
	v_add_u32_e32 v5, v122, v5
	ds_write_b32 v123, v5
.LBB2079_276:                           ;   in Loop: Header=BB2079_240 Depth=2
	s_or_b64 exec, exec, s[36:37]
	; wave barrier
	s_waitcnt lgkmcnt(0)
	s_barrier
	ds_read_b32 v5, v41 offset:1040
	ds_read2_b32 v[22:23], v43 offset0:1 offset1:2
	ds_read2_b32 v[20:21], v43 offset0:3 offset1:4
	s_waitcnt lgkmcnt(1)
	v_add3_u32 v125, v22, v5, v23
	s_waitcnt lgkmcnt(0)
	v_add3_u32 v21, v125, v20, v21
	s_nop 1
	v_mov_b32_dpp v125, v21 row_shr:1 row_mask:0xf bank_mask:0xf
	v_cndmask_b32_e64 v125, v125, 0, s[16:17]
	v_add_u32_e32 v21, v125, v21
	s_nop 1
	v_mov_b32_dpp v125, v21 row_shr:2 row_mask:0xf bank_mask:0xf
	v_cndmask_b32_e64 v125, 0, v125, s[18:19]
	v_add_u32_e32 v21, v21, v125
	;; [unrolled: 4-line block ×4, first 2 shown]
	s_nop 1
	v_mov_b32_dpp v125, v21 row_bcast:15 row_mask:0xf bank_mask:0xf
	v_cndmask_b32_e64 v125, v125, 0, s[24:25]
	v_add_u32_e32 v21, v21, v125
	s_nop 1
	v_mov_b32_dpp v125, v21 row_bcast:31 row_mask:0xf bank_mask:0xf
	v_cndmask_b32_e64 v125, 0, v125, s[26:27]
	v_add_u32_e32 v21, v21, v125
	s_and_saveexec_b64 s[36:37], s[6:7]
	s_cbranch_execz .LBB2079_278
; %bb.277:                              ;   in Loop: Header=BB2079_240 Depth=2
	ds_write_b32 v34, v21 offset:1024
.LBB2079_278:                           ;   in Loop: Header=BB2079_240 Depth=2
	s_or_b64 exec, exec, s[36:37]
	s_waitcnt lgkmcnt(0)
	s_barrier
	s_and_saveexec_b64 s[36:37], s[8:9]
	s_cbranch_execz .LBB2079_280
; %bb.279:                              ;   in Loop: Header=BB2079_240 Depth=2
	ds_read_b32 v125, v44 offset:1024
	s_waitcnt lgkmcnt(0)
	s_nop 0
	v_mov_b32_dpp v126, v125 row_shr:1 row_mask:0xf bank_mask:0xf
	v_cndmask_b32_e64 v126, v126, 0, s[30:31]
	v_add_u32_e32 v125, v126, v125
	s_nop 1
	v_mov_b32_dpp v126, v125 row_shr:2 row_mask:0xf bank_mask:0xf
	v_cndmask_b32_e64 v126, 0, v126, s[34:35]
	v_add_u32_e32 v125, v125, v126
	ds_write_b32 v44, v125 offset:1024
.LBB2079_280:                           ;   in Loop: Header=BB2079_240 Depth=2
	s_or_b64 exec, exec, s[36:37]
	v_mov_b32_e32 v125, 0
	s_waitcnt lgkmcnt(0)
	s_barrier
	s_and_saveexec_b64 s[36:37], s[10:11]
	s_cbranch_execz .LBB2079_282
; %bb.281:                              ;   in Loop: Header=BB2079_240 Depth=2
	ds_read_b32 v125, v34 offset:1020
.LBB2079_282:                           ;   in Loop: Header=BB2079_240 Depth=2
	s_or_b64 exec, exec, s[36:37]
	s_waitcnt lgkmcnt(0)
	v_add_u32_e32 v21, v125, v21
	ds_bpermute_b32 v21, v69, v21
	s_waitcnt lgkmcnt(0)
	v_cndmask_b32_e64 v21, v21, v125, s[28:29]
	v_cndmask_b32_e64 v21, v21, 0, s[12:13]
	v_add_u32_e32 v5, v21, v5
	ds_write_b32 v41, v21 offset:1040
	v_add_u32_e32 v21, v5, v22
	v_add_u32_e32 v22, v21, v23
	ds_write2_b32 v43, v5, v21 offset0:1 offset1:2
	v_add_u32_e32 v5, v22, v20
	ds_write2_b32 v43, v22, v5 offset0:3 offset1:4
	s_waitcnt lgkmcnt(0)
	s_barrier
	ds_read_b32 v20, v99
	ds_read_b32 v21, v103
	;; [unrolled: 1-line block ×8, first 2 shown]
	ds_read_b32 v99, v41 offset:1040
	v_mov_b32_e32 v5, 0x800
	s_and_saveexec_b64 s[36:37], s[14:15]
	s_cbranch_execz .LBB2079_284
; %bb.283:                              ;   in Loop: Header=BB2079_240 Depth=2
	ds_read_b32 v5, v41 offset:1060
.LBB2079_284:                           ;   in Loop: Header=BB2079_240 Depth=2
	s_or_b64 exec, exec, s[36:37]
	s_waitcnt lgkmcnt(0)
	s_barrier
	s_and_saveexec_b64 s[36:37], s[4:5]
	s_cbranch_execz .LBB2079_286
; %bb.285:                              ;   in Loop: Header=BB2079_240 Depth=2
	ds_read_b32 v103, v3
	s_waitcnt lgkmcnt(0)
	v_sub_u32_e32 v99, v103, v99
	ds_write_b32 v3, v99
.LBB2079_286:                           ;   in Loop: Header=BB2079_240 Depth=2
	s_or_b64 exec, exec, s[36:37]
	v_add_u32_e32 v103, v95, v96
	v_add3_u32 v100, v100, v98, v20
	v_lshlrev_b32_e32 v20, 1, v103
	v_add3_u32 v99, v105, v102, v21
	ds_write_b16 v20, v94 offset:1024
	v_lshlrev_b32_e32 v20, 1, v100
	v_add3_u32 v98, v110, v107, v22
	ds_write_b16 v20, v97 offset:1024
	;; [unrolled: 3-line block ×6, first 2 shown]
	v_lshlrev_b32_e32 v20, 1, v23
	ds_write_b16 v20, v117 offset:1024
	v_lshlrev_b32_e32 v20, 1, v22
	v_cmp_lt_u32_e32 vcc, v2, v93
	ds_write_b16 v20, v121 offset:1024
	s_waitcnt lgkmcnt(0)
	s_barrier
	s_and_saveexec_b64 s[38:39], vcc
	s_cbranch_execz .LBB2079_294
; %bb.287:                              ;   in Loop: Header=BB2079_240 Depth=2
	ds_read_u16 v20, v49 offset:1024
	v_mov_b32_e32 v21, v4
	v_mov_b32_e32 v97, s61
	s_waitcnt lgkmcnt(0)
	v_cmp_ne_u16_e64 s[36:37], s68, v20
	v_cndmask_b32_e64 v94, v66, v20, s[36:37]
	v_lshrrev_b32_sdwa v94, s77, v94 dst_sel:DWORD dst_unused:UNUSED_PAD src0_sel:DWORD src1_sel:WORD_0
	v_and_b32_e32 v94, s78, v94
	v_lshlrev_b32_e32 v94, 2, v94
	ds_read_b32 v94, v94
	v_cmp_lt_i16_e64 s[36:37], -1, v20
	v_cndmask_b32_e64 v101, v66, -1, s[36:37]
	v_xor_b32_e32 v101, v101, v20
	s_waitcnt lgkmcnt(0)
	v_add_u32_e32 v20, v94, v2
	v_lshlrev_b64 v[20:21], 1, v[20:21]
	v_add_co_u32_e64 v20, s[36:37], s60, v20
	v_addc_co_u32_e64 v21, s[36:37], v97, v21, s[36:37]
	global_store_short v[20:21], v101, off
	s_or_b64 exec, exec, s[38:39]
	v_cmp_lt_u32_e64 s[36:37], v24, v93
	s_and_saveexec_b64 s[40:41], s[36:37]
	s_cbranch_execnz .LBB2079_295
.LBB2079_288:                           ;   in Loop: Header=BB2079_240 Depth=2
	s_or_b64 exec, exec, s[40:41]
	v_cmp_lt_u32_e64 s[38:39], v25, v93
	s_and_saveexec_b64 s[42:43], s[38:39]
	s_cbranch_execz .LBB2079_296
.LBB2079_289:                           ;   in Loop: Header=BB2079_240 Depth=2
	ds_read_u16 v20, v50 offset:1024
	v_mov_b32_e32 v21, v4
	v_mov_b32_e32 v97, s61
	s_waitcnt lgkmcnt(0)
	v_cmp_ne_u16_e64 s[40:41], s68, v20
	v_cndmask_b32_e64 v94, v66, v20, s[40:41]
	v_lshrrev_b32_sdwa v94, s77, v94 dst_sel:DWORD dst_unused:UNUSED_PAD src0_sel:DWORD src1_sel:WORD_0
	v_and_b32_e32 v94, s78, v94
	v_lshlrev_b32_e32 v94, 2, v94
	ds_read_b32 v94, v94
	v_cmp_lt_i16_e64 s[40:41], -1, v20
	v_cndmask_b32_e64 v101, v66, -1, s[40:41]
	v_xor_b32_e32 v101, v101, v20
	s_waitcnt lgkmcnt(0)
	v_add_u32_e32 v20, v94, v25
	v_lshlrev_b64 v[20:21], 1, v[20:21]
	v_add_co_u32_e64 v20, s[40:41], s60, v20
	v_addc_co_u32_e64 v21, s[40:41], v97, v21, s[40:41]
	global_store_short v[20:21], v101, off
	s_or_b64 exec, exec, s[42:43]
	v_cmp_lt_u32_e64 s[40:41], v26, v93
	s_and_saveexec_b64 s[44:45], s[40:41]
	s_cbranch_execnz .LBB2079_297
.LBB2079_290:                           ;   in Loop: Header=BB2079_240 Depth=2
	s_or_b64 exec, exec, s[44:45]
	v_cmp_lt_u32_e64 s[42:43], v29, v93
	s_and_saveexec_b64 s[46:47], s[42:43]
	s_cbranch_execz .LBB2079_298
.LBB2079_291:                           ;   in Loop: Header=BB2079_240 Depth=2
	ds_read_u16 v20, v50 offset:2048
	v_mov_b32_e32 v21, v4
	v_mov_b32_e32 v97, s61
	s_waitcnt lgkmcnt(0)
	v_cmp_ne_u16_e64 s[44:45], s68, v20
	v_cndmask_b32_e64 v94, v66, v20, s[44:45]
	v_lshrrev_b32_sdwa v94, s77, v94 dst_sel:DWORD dst_unused:UNUSED_PAD src0_sel:DWORD src1_sel:WORD_0
	v_and_b32_e32 v94, s78, v94
	v_lshlrev_b32_e32 v94, 2, v94
	ds_read_b32 v94, v94
	v_cmp_lt_i16_e64 s[44:45], -1, v20
	v_cndmask_b32_e64 v101, v66, -1, s[44:45]
	v_xor_b32_e32 v101, v101, v20
	s_waitcnt lgkmcnt(0)
	v_add_u32_e32 v20, v94, v29
	v_lshlrev_b64 v[20:21], 1, v[20:21]
	v_add_co_u32_e64 v20, s[44:45], s60, v20
	v_addc_co_u32_e64 v21, s[44:45], v97, v21, s[44:45]
	global_store_short v[20:21], v101, off
	s_or_b64 exec, exec, s[46:47]
	v_cmp_lt_u32_e64 s[44:45], v30, v93
	s_and_saveexec_b64 s[48:49], s[44:45]
	s_cbranch_execnz .LBB2079_299
.LBB2079_292:                           ;   in Loop: Header=BB2079_240 Depth=2
	s_or_b64 exec, exec, s[48:49]
	v_cmp_lt_u32_e64 s[46:47], v31, v93
	s_and_saveexec_b64 s[52:53], s[46:47]
	s_cbranch_execz .LBB2079_300
.LBB2079_293:                           ;   in Loop: Header=BB2079_240 Depth=2
	ds_read_u16 v20, v50 offset:3072
	v_mov_b32_e32 v21, v4
	v_mov_b32_e32 v97, s61
	s_waitcnt lgkmcnt(0)
	v_cmp_ne_u16_e64 s[48:49], s68, v20
	v_cndmask_b32_e64 v94, v66, v20, s[48:49]
	v_lshrrev_b32_sdwa v94, s77, v94 dst_sel:DWORD dst_unused:UNUSED_PAD src0_sel:DWORD src1_sel:WORD_0
	v_and_b32_e32 v94, s78, v94
	v_lshlrev_b32_e32 v94, 2, v94
	ds_read_b32 v94, v94
	v_cmp_lt_i16_e64 s[48:49], -1, v20
	v_cndmask_b32_e64 v101, v66, -1, s[48:49]
	v_xor_b32_e32 v101, v101, v20
	s_waitcnt lgkmcnt(0)
	v_add_u32_e32 v20, v94, v31
	v_lshlrev_b64 v[20:21], 1, v[20:21]
	v_add_co_u32_e64 v20, s[48:49], s60, v20
	v_addc_co_u32_e64 v21, s[48:49], v97, v21, s[48:49]
	global_store_short v[20:21], v101, off
	s_or_b64 exec, exec, s[52:53]
	v_cmp_lt_u32_e64 s[48:49], v32, v93
	s_and_saveexec_b64 s[62:63], s[48:49]
	s_cbranch_execnz .LBB2079_301
	s_branch .LBB2079_302
.LBB2079_294:                           ;   in Loop: Header=BB2079_240 Depth=2
	s_or_b64 exec, exec, s[38:39]
	v_cmp_lt_u32_e64 s[36:37], v24, v93
	s_and_saveexec_b64 s[40:41], s[36:37]
	s_cbranch_execz .LBB2079_288
.LBB2079_295:                           ;   in Loop: Header=BB2079_240 Depth=2
	ds_read_u16 v20, v50 offset:512
	v_mov_b32_e32 v21, v4
	v_mov_b32_e32 v97, s61
	s_waitcnt lgkmcnt(0)
	v_cmp_ne_u16_e64 s[38:39], s68, v20
	v_cndmask_b32_e64 v94, v66, v20, s[38:39]
	v_lshrrev_b32_sdwa v94, s77, v94 dst_sel:DWORD dst_unused:UNUSED_PAD src0_sel:DWORD src1_sel:WORD_0
	v_and_b32_e32 v94, s78, v94
	v_lshlrev_b32_e32 v94, 2, v94
	ds_read_b32 v94, v94
	v_cmp_lt_i16_e64 s[38:39], -1, v20
	v_cndmask_b32_e64 v101, v66, -1, s[38:39]
	v_xor_b32_e32 v101, v101, v20
	s_waitcnt lgkmcnt(0)
	v_add_u32_e32 v20, v94, v24
	v_lshlrev_b64 v[20:21], 1, v[20:21]
	v_add_co_u32_e64 v20, s[38:39], s60, v20
	v_addc_co_u32_e64 v21, s[38:39], v97, v21, s[38:39]
	global_store_short v[20:21], v101, off
	s_or_b64 exec, exec, s[40:41]
	v_cmp_lt_u32_e64 s[38:39], v25, v93
	s_and_saveexec_b64 s[42:43], s[38:39]
	s_cbranch_execnz .LBB2079_289
.LBB2079_296:                           ;   in Loop: Header=BB2079_240 Depth=2
	s_or_b64 exec, exec, s[42:43]
	v_cmp_lt_u32_e64 s[40:41], v26, v93
	s_and_saveexec_b64 s[44:45], s[40:41]
	s_cbranch_execz .LBB2079_290
.LBB2079_297:                           ;   in Loop: Header=BB2079_240 Depth=2
	ds_read_u16 v20, v50 offset:1536
	v_mov_b32_e32 v21, v4
	v_mov_b32_e32 v97, s61
	s_waitcnt lgkmcnt(0)
	v_cmp_ne_u16_e64 s[42:43], s68, v20
	v_cndmask_b32_e64 v94, v66, v20, s[42:43]
	v_lshrrev_b32_sdwa v94, s77, v94 dst_sel:DWORD dst_unused:UNUSED_PAD src0_sel:DWORD src1_sel:WORD_0
	v_and_b32_e32 v94, s78, v94
	v_lshlrev_b32_e32 v94, 2, v94
	ds_read_b32 v94, v94
	v_cmp_lt_i16_e64 s[42:43], -1, v20
	v_cndmask_b32_e64 v101, v66, -1, s[42:43]
	v_xor_b32_e32 v101, v101, v20
	s_waitcnt lgkmcnt(0)
	v_add_u32_e32 v20, v94, v26
	v_lshlrev_b64 v[20:21], 1, v[20:21]
	v_add_co_u32_e64 v20, s[42:43], s60, v20
	v_addc_co_u32_e64 v21, s[42:43], v97, v21, s[42:43]
	global_store_short v[20:21], v101, off
	s_or_b64 exec, exec, s[44:45]
	v_cmp_lt_u32_e64 s[42:43], v29, v93
	s_and_saveexec_b64 s[46:47], s[42:43]
	s_cbranch_execnz .LBB2079_291
.LBB2079_298:                           ;   in Loop: Header=BB2079_240 Depth=2
	s_or_b64 exec, exec, s[46:47]
	v_cmp_lt_u32_e64 s[44:45], v30, v93
	s_and_saveexec_b64 s[48:49], s[44:45]
	s_cbranch_execz .LBB2079_292
.LBB2079_299:                           ;   in Loop: Header=BB2079_240 Depth=2
	ds_read_u16 v20, v50 offset:2560
	v_mov_b32_e32 v21, v4
	v_mov_b32_e32 v97, s61
	s_waitcnt lgkmcnt(0)
	v_cmp_ne_u16_e64 s[46:47], s68, v20
	v_cndmask_b32_e64 v94, v66, v20, s[46:47]
	v_lshrrev_b32_sdwa v94, s77, v94 dst_sel:DWORD dst_unused:UNUSED_PAD src0_sel:DWORD src1_sel:WORD_0
	v_and_b32_e32 v94, s78, v94
	v_lshlrev_b32_e32 v94, 2, v94
	ds_read_b32 v94, v94
	v_cmp_lt_i16_e64 s[46:47], -1, v20
	v_cndmask_b32_e64 v101, v66, -1, s[46:47]
	v_xor_b32_e32 v101, v101, v20
	s_waitcnt lgkmcnt(0)
	v_add_u32_e32 v20, v94, v30
	v_lshlrev_b64 v[20:21], 1, v[20:21]
	v_add_co_u32_e64 v20, s[46:47], s60, v20
	v_addc_co_u32_e64 v21, s[46:47], v97, v21, s[46:47]
	global_store_short v[20:21], v101, off
	s_or_b64 exec, exec, s[48:49]
	v_cmp_lt_u32_e64 s[46:47], v31, v93
	s_and_saveexec_b64 s[52:53], s[46:47]
	s_cbranch_execnz .LBB2079_293
.LBB2079_300:                           ;   in Loop: Header=BB2079_240 Depth=2
	s_or_b64 exec, exec, s[52:53]
	v_cmp_lt_u32_e64 s[48:49], v32, v93
	s_and_saveexec_b64 s[62:63], s[48:49]
	s_cbranch_execz .LBB2079_302
.LBB2079_301:                           ;   in Loop: Header=BB2079_240 Depth=2
	ds_read_u16 v20, v50 offset:3584
	v_mov_b32_e32 v21, v4
	v_mov_b32_e32 v97, s61
	s_waitcnt lgkmcnt(0)
	v_cmp_ne_u16_e64 s[52:53], s68, v20
	v_cndmask_b32_e64 v94, v66, v20, s[52:53]
	v_lshrrev_b32_sdwa v94, s77, v94 dst_sel:DWORD dst_unused:UNUSED_PAD src0_sel:DWORD src1_sel:WORD_0
	v_and_b32_e32 v94, s78, v94
	v_lshlrev_b32_e32 v94, 2, v94
	ds_read_b32 v94, v94
	v_cmp_lt_i16_e64 s[52:53], -1, v20
	v_cndmask_b32_e64 v101, v66, -1, s[52:53]
	v_xor_b32_e32 v101, v101, v20
	s_waitcnt lgkmcnt(0)
	v_add_u32_e32 v20, v94, v32
	v_lshlrev_b64 v[20:21], 1, v[20:21]
	v_add_co_u32_e64 v20, s[52:53], s60, v20
	v_addc_co_u32_e64 v21, s[52:53], v97, v21, s[52:53]
	global_store_short v[20:21], v101, off
.LBB2079_302:                           ;   in Loop: Header=BB2079_240 Depth=2
	s_or_b64 exec, exec, s[62:63]
	s_lshl_b64 s[52:53], s[72:73], 3
	v_mov_b32_e32 v21, s53
	v_add_co_u32_e64 v20, s[52:53], s52, v77
	v_addc_co_u32_e64 v21, s[52:53], v79, v21, s[52:53]
	v_cmp_lt_u32_e64 s[52:53], v74, v93
	s_and_saveexec_b64 s[62:63], s[52:53]
	s_xor_b64 s[52:53], exec, s[62:63]
	s_cbranch_execz .LBB2079_318
; %bb.303:                              ;   in Loop: Header=BB2079_240 Depth=2
	global_load_dwordx2 v[18:19], v[20:21], off
	s_or_b64 exec, exec, s[52:53]
	v_cmp_lt_u32_e64 s[52:53], v81, v93
	s_and_saveexec_b64 s[62:63], s[52:53]
	s_cbranch_execnz .LBB2079_319
.LBB2079_304:                           ;   in Loop: Header=BB2079_240 Depth=2
	s_or_b64 exec, exec, s[62:63]
	v_cmp_lt_u32_e64 s[52:53], v82, v93
	s_and_saveexec_b64 s[62:63], s[52:53]
	s_cbranch_execz .LBB2079_320
.LBB2079_305:                           ;   in Loop: Header=BB2079_240 Depth=2
	global_load_dwordx2 v[14:15], v[20:21], off offset:1024
	s_or_b64 exec, exec, s[62:63]
	v_cmp_lt_u32_e64 s[52:53], v83, v93
	s_and_saveexec_b64 s[62:63], s[52:53]
	s_cbranch_execnz .LBB2079_321
.LBB2079_306:                           ;   in Loop: Header=BB2079_240 Depth=2
	s_or_b64 exec, exec, s[62:63]
	v_cmp_lt_u32_e64 s[52:53], v84, v93
	s_and_saveexec_b64 s[62:63], s[52:53]
	s_cbranch_execz .LBB2079_322
.LBB2079_307:                           ;   in Loop: Header=BB2079_240 Depth=2
	global_load_dwordx2 v[10:11], v[20:21], off offset:2048
	s_or_b64 exec, exec, s[62:63]
	v_cmp_lt_u32_e64 s[52:53], v85, v93
	s_and_saveexec_b64 s[62:63], s[52:53]
	s_cbranch_execnz .LBB2079_323
.LBB2079_308:                           ;   in Loop: Header=BB2079_240 Depth=2
	s_or_b64 exec, exec, s[62:63]
	v_cmp_lt_u32_e64 s[52:53], v86, v93
	s_and_saveexec_b64 s[62:63], s[52:53]
	s_cbranch_execz .LBB2079_324
.LBB2079_309:                           ;   in Loop: Header=BB2079_240 Depth=2
	global_load_dwordx2 v[6:7], v[20:21], off offset:3072
	s_or_b64 exec, exec, s[62:63]
	v_cmp_lt_u32_e64 s[52:53], v87, v93
	s_and_saveexec_b64 s[62:63], s[52:53]
	s_cbranch_execnz .LBB2079_325
.LBB2079_310:                           ;   in Loop: Header=BB2079_240 Depth=2
	s_or_b64 exec, exec, s[62:63]
	s_and_saveexec_b64 s[62:63], vcc
	s_cbranch_execz .LBB2079_326
.LBB2079_311:                           ;   in Loop: Header=BB2079_240 Depth=2
	ds_read_u16 v20, v49 offset:1024
	s_waitcnt lgkmcnt(0)
	v_cmp_ne_u16_e64 s[52:53], s68, v20
	v_cndmask_b32_e64 v20, v66, v20, s[52:53]
	v_lshrrev_b32_sdwa v20, s77, v20 dst_sel:DWORD dst_unused:UNUSED_PAD src0_sel:DWORD src1_sel:WORD_0
	v_and_b32_e32 v80, s78, v20
	s_or_b64 exec, exec, s[62:63]
	s_and_saveexec_b64 s[62:63], s[36:37]
	s_cbranch_execnz .LBB2079_327
.LBB2079_312:                           ;   in Loop: Header=BB2079_240 Depth=2
	s_or_b64 exec, exec, s[62:63]
	s_and_saveexec_b64 s[62:63], s[38:39]
	s_cbranch_execz .LBB2079_328
.LBB2079_313:                           ;   in Loop: Header=BB2079_240 Depth=2
	ds_read_u16 v20, v50 offset:1024
	s_waitcnt lgkmcnt(0)
	v_cmp_ne_u16_e64 s[52:53], s68, v20
	v_cndmask_b32_e64 v20, v66, v20, s[52:53]
	v_lshrrev_b32_sdwa v20, s77, v20 dst_sel:DWORD dst_unused:UNUSED_PAD src0_sel:DWORD src1_sel:WORD_0
	v_and_b32_e32 v76, s78, v20
	s_or_b64 exec, exec, s[62:63]
	s_and_saveexec_b64 s[62:63], s[40:41]
	s_cbranch_execnz .LBB2079_329
.LBB2079_314:                           ;   in Loop: Header=BB2079_240 Depth=2
	s_or_b64 exec, exec, s[62:63]
	s_and_saveexec_b64 s[62:63], s[42:43]
	s_cbranch_execz .LBB2079_330
.LBB2079_315:                           ;   in Loop: Header=BB2079_240 Depth=2
	ds_read_u16 v20, v50 offset:2048
	s_waitcnt lgkmcnt(0)
	v_cmp_ne_u16_e64 s[52:53], s68, v20
	v_cndmask_b32_e64 v20, v66, v20, s[52:53]
	v_lshrrev_b32_sdwa v20, s77, v20 dst_sel:DWORD dst_unused:UNUSED_PAD src0_sel:DWORD src1_sel:WORD_0
	v_and_b32_e32 v73, s78, v20
	s_or_b64 exec, exec, s[62:63]
	s_and_saveexec_b64 s[62:63], s[44:45]
	s_cbranch_execnz .LBB2079_331
.LBB2079_316:                           ;   in Loop: Header=BB2079_240 Depth=2
	s_or_b64 exec, exec, s[62:63]
	s_and_saveexec_b64 s[62:63], s[46:47]
	s_cbranch_execz .LBB2079_332
.LBB2079_317:                           ;   in Loop: Header=BB2079_240 Depth=2
	ds_read_u16 v20, v50 offset:3072
	s_waitcnt lgkmcnt(0)
	v_cmp_ne_u16_e64 s[52:53], s68, v20
	v_cndmask_b32_e64 v20, v66, v20, s[52:53]
	v_lshrrev_b32_sdwa v20, s77, v20 dst_sel:DWORD dst_unused:UNUSED_PAD src0_sel:DWORD src1_sel:WORD_0
	v_and_b32_e32 v71, s78, v20
	s_or_b64 exec, exec, s[62:63]
	s_and_saveexec_b64 s[62:63], s[48:49]
	s_cbranch_execnz .LBB2079_333
	s_branch .LBB2079_334
.LBB2079_318:                           ;   in Loop: Header=BB2079_240 Depth=2
	s_or_b64 exec, exec, s[52:53]
	v_cmp_lt_u32_e64 s[52:53], v81, v93
	s_and_saveexec_b64 s[62:63], s[52:53]
	s_cbranch_execz .LBB2079_304
.LBB2079_319:                           ;   in Loop: Header=BB2079_240 Depth=2
	global_load_dwordx2 v[16:17], v[20:21], off offset:512
	s_or_b64 exec, exec, s[62:63]
	v_cmp_lt_u32_e64 s[52:53], v82, v93
	s_and_saveexec_b64 s[62:63], s[52:53]
	s_cbranch_execnz .LBB2079_305
.LBB2079_320:                           ;   in Loop: Header=BB2079_240 Depth=2
	s_or_b64 exec, exec, s[62:63]
	v_cmp_lt_u32_e64 s[52:53], v83, v93
	s_and_saveexec_b64 s[62:63], s[52:53]
	s_cbranch_execz .LBB2079_306
.LBB2079_321:                           ;   in Loop: Header=BB2079_240 Depth=2
	global_load_dwordx2 v[12:13], v[20:21], off offset:1536
	s_or_b64 exec, exec, s[62:63]
	v_cmp_lt_u32_e64 s[52:53], v84, v93
	s_and_saveexec_b64 s[62:63], s[52:53]
	s_cbranch_execnz .LBB2079_307
.LBB2079_322:                           ;   in Loop: Header=BB2079_240 Depth=2
	s_or_b64 exec, exec, s[62:63]
	v_cmp_lt_u32_e64 s[52:53], v85, v93
	s_and_saveexec_b64 s[62:63], s[52:53]
	s_cbranch_execz .LBB2079_308
.LBB2079_323:                           ;   in Loop: Header=BB2079_240 Depth=2
	global_load_dwordx2 v[8:9], v[20:21], off offset:2560
	s_or_b64 exec, exec, s[62:63]
	v_cmp_lt_u32_e64 s[52:53], v86, v93
	s_and_saveexec_b64 s[62:63], s[52:53]
	s_cbranch_execnz .LBB2079_309
.LBB2079_324:                           ;   in Loop: Header=BB2079_240 Depth=2
	s_or_b64 exec, exec, s[62:63]
	v_cmp_lt_u32_e64 s[52:53], v87, v93
	s_and_saveexec_b64 s[62:63], s[52:53]
	s_cbranch_execz .LBB2079_310
.LBB2079_325:                           ;   in Loop: Header=BB2079_240 Depth=2
	global_load_dwordx2 v[0:1], v[20:21], off offset:3584
	s_or_b64 exec, exec, s[62:63]
	s_and_saveexec_b64 s[62:63], vcc
	s_cbranch_execnz .LBB2079_311
.LBB2079_326:                           ;   in Loop: Header=BB2079_240 Depth=2
	s_or_b64 exec, exec, s[62:63]
	s_and_saveexec_b64 s[62:63], s[36:37]
	s_cbranch_execz .LBB2079_312
.LBB2079_327:                           ;   in Loop: Header=BB2079_240 Depth=2
	ds_read_u16 v20, v50 offset:512
	s_waitcnt lgkmcnt(0)
	v_cmp_ne_u16_e64 s[52:53], s68, v20
	v_cndmask_b32_e64 v20, v66, v20, s[52:53]
	v_lshrrev_b32_sdwa v20, s77, v20 dst_sel:DWORD dst_unused:UNUSED_PAD src0_sel:DWORD src1_sel:WORD_0
	v_and_b32_e32 v78, s78, v20
	s_or_b64 exec, exec, s[62:63]
	s_and_saveexec_b64 s[62:63], s[38:39]
	s_cbranch_execnz .LBB2079_313
.LBB2079_328:                           ;   in Loop: Header=BB2079_240 Depth=2
	s_or_b64 exec, exec, s[62:63]
	s_and_saveexec_b64 s[62:63], s[40:41]
	s_cbranch_execz .LBB2079_314
.LBB2079_329:                           ;   in Loop: Header=BB2079_240 Depth=2
	ds_read_u16 v20, v50 offset:1536
	s_waitcnt lgkmcnt(0)
	v_cmp_ne_u16_e64 s[52:53], s68, v20
	v_cndmask_b32_e64 v20, v66, v20, s[52:53]
	v_lshrrev_b32_sdwa v20, s77, v20 dst_sel:DWORD dst_unused:UNUSED_PAD src0_sel:DWORD src1_sel:WORD_0
	v_and_b32_e32 v75, s78, v20
	s_or_b64 exec, exec, s[62:63]
	s_and_saveexec_b64 s[62:63], s[42:43]
	s_cbranch_execnz .LBB2079_315
.LBB2079_330:                           ;   in Loop: Header=BB2079_240 Depth=2
	s_or_b64 exec, exec, s[62:63]
	s_and_saveexec_b64 s[62:63], s[44:45]
	s_cbranch_execz .LBB2079_316
.LBB2079_331:                           ;   in Loop: Header=BB2079_240 Depth=2
	ds_read_u16 v20, v50 offset:2560
	s_waitcnt lgkmcnt(0)
	v_cmp_ne_u16_e64 s[52:53], s68, v20
	v_cndmask_b32_e64 v20, v66, v20, s[52:53]
	v_lshrrev_b32_sdwa v20, s77, v20 dst_sel:DWORD dst_unused:UNUSED_PAD src0_sel:DWORD src1_sel:WORD_0
	v_and_b32_e32 v72, s78, v20
	s_or_b64 exec, exec, s[62:63]
	s_and_saveexec_b64 s[62:63], s[46:47]
	s_cbranch_execnz .LBB2079_317
.LBB2079_332:                           ;   in Loop: Header=BB2079_240 Depth=2
	s_or_b64 exec, exec, s[62:63]
	s_and_saveexec_b64 s[62:63], s[48:49]
	s_cbranch_execz .LBB2079_334
.LBB2079_333:                           ;   in Loop: Header=BB2079_240 Depth=2
	ds_read_u16 v20, v50 offset:3584
	s_waitcnt lgkmcnt(0)
	v_cmp_ne_u16_e64 s[52:53], s68, v20
	v_cndmask_b32_e64 v20, v66, v20, s[52:53]
	v_lshrrev_b32_sdwa v20, s77, v20 dst_sel:DWORD dst_unused:UNUSED_PAD src0_sel:DWORD src1_sel:WORD_0
	v_and_b32_e32 v70, s78, v20
.LBB2079_334:                           ;   in Loop: Header=BB2079_240 Depth=2
	s_or_b64 exec, exec, s[62:63]
	v_lshlrev_b32_e32 v20, 3, v103
	s_barrier
	s_waitcnt vmcnt(0)
	ds_write_b64 v20, v[18:19] offset:1024
	v_lshlrev_b32_e32 v20, 3, v100
	ds_write_b64 v20, v[16:17] offset:1024
	v_lshlrev_b32_e32 v20, 3, v99
	;; [unrolled: 2-line block ×7, first 2 shown]
	ds_write_b64 v20, v[0:1] offset:1024
	s_waitcnt lgkmcnt(0)
	s_barrier
	s_and_saveexec_b64 s[52:53], vcc
	s_cbranch_execz .LBB2079_342
; %bb.335:                              ;   in Loop: Header=BB2079_240 Depth=2
	v_lshlrev_b32_e32 v20, 2, v80
	ds_read_b32 v20, v20
	v_add_u32_e32 v22, v49, v51
	ds_read_b64 v[22:23], v22 offset:1024
	v_mov_b32_e32 v21, v4
	v_mov_b32_e32 v93, s67
	s_waitcnt lgkmcnt(1)
	v_add_u32_e32 v20, v20, v2
	v_lshlrev_b64 v[20:21], 3, v[20:21]
	v_add_co_u32_e32 v20, vcc, s66, v20
	v_addc_co_u32_e32 v21, vcc, v93, v21, vcc
	s_waitcnt lgkmcnt(0)
	global_store_dwordx2 v[20:21], v[22:23], off
	s_or_b64 exec, exec, s[52:53]
	s_and_saveexec_b64 s[52:53], s[36:37]
	s_cbranch_execnz .LBB2079_343
.LBB2079_336:                           ;   in Loop: Header=BB2079_240 Depth=2
	s_or_b64 exec, exec, s[52:53]
	s_and_saveexec_b64 s[36:37], s[38:39]
	s_cbranch_execz .LBB2079_344
.LBB2079_337:                           ;   in Loop: Header=BB2079_240 Depth=2
	v_lshlrev_b32_e32 v20, 2, v76
	ds_read_b32 v22, v20
	v_add_u32_e32 v20, v50, v51
	ds_read_b64 v[20:21], v20 offset:4096
	v_mov_b32_e32 v23, v4
	v_mov_b32_e32 v93, s67
	s_waitcnt lgkmcnt(1)
	v_add_u32_e32 v22, v22, v25
	v_lshlrev_b64 v[22:23], 3, v[22:23]
	v_add_co_u32_e32 v22, vcc, s66, v22
	v_addc_co_u32_e32 v23, vcc, v93, v23, vcc
	s_waitcnt lgkmcnt(0)
	global_store_dwordx2 v[22:23], v[20:21], off
	s_or_b64 exec, exec, s[36:37]
	s_and_saveexec_b64 s[36:37], s[40:41]
	s_cbranch_execnz .LBB2079_345
.LBB2079_338:                           ;   in Loop: Header=BB2079_240 Depth=2
	s_or_b64 exec, exec, s[36:37]
	s_and_saveexec_b64 s[36:37], s[42:43]
	s_cbranch_execz .LBB2079_346
.LBB2079_339:                           ;   in Loop: Header=BB2079_240 Depth=2
	v_lshlrev_b32_e32 v20, 2, v73
	ds_read_b32 v22, v20
	v_add_u32_e32 v20, v50, v51
	ds_read_b64 v[20:21], v20 offset:8192
	v_mov_b32_e32 v23, v4
	v_mov_b32_e32 v93, s67
	s_waitcnt lgkmcnt(1)
	v_add_u32_e32 v22, v22, v29
	v_lshlrev_b64 v[22:23], 3, v[22:23]
	v_add_co_u32_e32 v22, vcc, s66, v22
	v_addc_co_u32_e32 v23, vcc, v93, v23, vcc
	s_waitcnt lgkmcnt(0)
	global_store_dwordx2 v[22:23], v[20:21], off
	s_or_b64 exec, exec, s[36:37]
	s_and_saveexec_b64 s[36:37], s[44:45]
	s_cbranch_execnz .LBB2079_347
.LBB2079_340:                           ;   in Loop: Header=BB2079_240 Depth=2
	s_or_b64 exec, exec, s[36:37]
	s_and_saveexec_b64 s[36:37], s[46:47]
	s_cbranch_execz .LBB2079_348
.LBB2079_341:                           ;   in Loop: Header=BB2079_240 Depth=2
	v_lshlrev_b32_e32 v20, 2, v71
	ds_read_b32 v22, v20
	v_add_u32_e32 v20, v50, v51
	ds_read_b64 v[20:21], v20 offset:12288
	v_mov_b32_e32 v23, v4
	v_mov_b32_e32 v93, s67
	s_waitcnt lgkmcnt(1)
	v_add_u32_e32 v22, v22, v31
	v_lshlrev_b64 v[22:23], 3, v[22:23]
	v_add_co_u32_e32 v22, vcc, s66, v22
	v_addc_co_u32_e32 v23, vcc, v93, v23, vcc
	s_waitcnt lgkmcnt(0)
	global_store_dwordx2 v[22:23], v[20:21], off
	s_or_b64 exec, exec, s[36:37]
	s_and_saveexec_b64 s[36:37], s[48:49]
	s_cbranch_execnz .LBB2079_349
	s_branch .LBB2079_350
.LBB2079_342:                           ;   in Loop: Header=BB2079_240 Depth=2
	s_or_b64 exec, exec, s[52:53]
	s_and_saveexec_b64 s[52:53], s[36:37]
	s_cbranch_execz .LBB2079_336
.LBB2079_343:                           ;   in Loop: Header=BB2079_240 Depth=2
	v_lshlrev_b32_e32 v20, 2, v78
	ds_read_b32 v22, v20
	v_add_u32_e32 v20, v50, v51
	ds_read_b64 v[20:21], v20 offset:2048
	v_mov_b32_e32 v23, v4
	v_mov_b32_e32 v93, s67
	s_waitcnt lgkmcnt(1)
	v_add_u32_e32 v22, v22, v24
	v_lshlrev_b64 v[22:23], 3, v[22:23]
	v_add_co_u32_e32 v22, vcc, s66, v22
	v_addc_co_u32_e32 v23, vcc, v93, v23, vcc
	s_waitcnt lgkmcnt(0)
	global_store_dwordx2 v[22:23], v[20:21], off
	s_or_b64 exec, exec, s[52:53]
	s_and_saveexec_b64 s[36:37], s[38:39]
	s_cbranch_execnz .LBB2079_337
.LBB2079_344:                           ;   in Loop: Header=BB2079_240 Depth=2
	s_or_b64 exec, exec, s[36:37]
	s_and_saveexec_b64 s[36:37], s[40:41]
	s_cbranch_execz .LBB2079_338
.LBB2079_345:                           ;   in Loop: Header=BB2079_240 Depth=2
	v_lshlrev_b32_e32 v20, 2, v75
	ds_read_b32 v22, v20
	v_add_u32_e32 v20, v50, v51
	ds_read_b64 v[20:21], v20 offset:6144
	v_mov_b32_e32 v23, v4
	v_mov_b32_e32 v93, s67
	s_waitcnt lgkmcnt(1)
	v_add_u32_e32 v22, v22, v26
	v_lshlrev_b64 v[22:23], 3, v[22:23]
	v_add_co_u32_e32 v22, vcc, s66, v22
	v_addc_co_u32_e32 v23, vcc, v93, v23, vcc
	s_waitcnt lgkmcnt(0)
	global_store_dwordx2 v[22:23], v[20:21], off
	s_or_b64 exec, exec, s[36:37]
	s_and_saveexec_b64 s[36:37], s[42:43]
	s_cbranch_execnz .LBB2079_339
.LBB2079_346:                           ;   in Loop: Header=BB2079_240 Depth=2
	s_or_b64 exec, exec, s[36:37]
	s_and_saveexec_b64 s[36:37], s[44:45]
	s_cbranch_execz .LBB2079_340
.LBB2079_347:                           ;   in Loop: Header=BB2079_240 Depth=2
	v_lshlrev_b32_e32 v20, 2, v72
	ds_read_b32 v22, v20
	v_add_u32_e32 v20, v50, v51
	ds_read_b64 v[20:21], v20 offset:10240
	v_mov_b32_e32 v23, v4
	v_mov_b32_e32 v93, s67
	s_waitcnt lgkmcnt(1)
	v_add_u32_e32 v22, v22, v30
	v_lshlrev_b64 v[22:23], 3, v[22:23]
	v_add_co_u32_e32 v22, vcc, s66, v22
	v_addc_co_u32_e32 v23, vcc, v93, v23, vcc
	s_waitcnt lgkmcnt(0)
	global_store_dwordx2 v[22:23], v[20:21], off
	s_or_b64 exec, exec, s[36:37]
	s_and_saveexec_b64 s[36:37], s[46:47]
	s_cbranch_execnz .LBB2079_341
.LBB2079_348:                           ;   in Loop: Header=BB2079_240 Depth=2
	s_or_b64 exec, exec, s[36:37]
	s_and_saveexec_b64 s[36:37], s[48:49]
	s_cbranch_execz .LBB2079_350
.LBB2079_349:                           ;   in Loop: Header=BB2079_240 Depth=2
	v_lshlrev_b32_e32 v20, 2, v70
	ds_read_b32 v22, v20
	v_add_u32_e32 v20, v50, v51
	ds_read_b64 v[20:21], v20 offset:14336
	v_mov_b32_e32 v23, v4
	v_mov_b32_e32 v93, s67
	s_waitcnt lgkmcnt(1)
	v_add_u32_e32 v22, v22, v32
	v_lshlrev_b64 v[22:23], 3, v[22:23]
	v_add_co_u32_e32 v22, vcc, s66, v22
	v_addc_co_u32_e32 v23, vcc, v93, v23, vcc
	s_waitcnt lgkmcnt(0)
	global_store_dwordx2 v[22:23], v[20:21], off
.LBB2079_350:                           ;   in Loop: Header=BB2079_240 Depth=2
	s_or_b64 exec, exec, s[36:37]
	s_barrier
	s_and_saveexec_b64 s[36:37], s[4:5]
	s_cbranch_execz .LBB2079_239
; %bb.351:                              ;   in Loop: Header=BB2079_240 Depth=2
	ds_read_b32 v20, v3
	s_waitcnt lgkmcnt(0)
	v_add_u32_e32 v5, v20, v5
	ds_write_b32 v3, v5
	s_branch .LBB2079_239
.LBB2079_352:                           ;   in Loop: Header=BB2079_20 Depth=1
	s_waitcnt lgkmcnt(0)
	s_barrier
.LBB2079_353:                           ;   in Loop: Header=BB2079_20 Depth=1
	s_mov_b64 s[16:17], 0
.LBB2079_354:                           ;   in Loop: Header=BB2079_20 Depth=1
	s_andn2_b64 vcc, exec, s[16:17]
	s_cbranch_vccnz .LBB2079_19
; %bb.355:                              ;   in Loop: Header=BB2079_20 Depth=1
	s_mov_b64 s[16:17], -1
	s_and_b64 vcc, exec, s[54:55]
	s_cbranch_vccz .LBB2079_521
; %bb.356:                              ;   in Loop: Header=BB2079_20 Depth=1
	s_mov_b32 s22, s71
	s_mov_b32 s72, s51
	s_barrier
	s_waitcnt lgkmcnt(0)
                                        ; implicit-def: $vgpr12
                                        ; implicit-def: $vgpr5
                                        ; implicit-def: $vgpr6
                                        ; implicit-def: $vgpr7
                                        ; implicit-def: $vgpr8
                                        ; implicit-def: $vgpr9
                                        ; implicit-def: $vgpr10
                                        ; implicit-def: $vgpr11
	s_branch .LBB2079_358
.LBB2079_357:                           ;   in Loop: Header=BB2079_358 Depth=2
	s_or_b64 exec, exec, s[16:17]
	s_addk_i32 s22, 0xf800
	s_cmp_ge_u32 s23, s76
	s_mov_b32 s72, s23
	s_cbranch_scc1 .LBB2079_396
.LBB2079_358:                           ;   Parent Loop BB2079_20 Depth=1
                                        ; =>  This Inner Loop Header: Depth=2
	s_add_i32 s23, s72, 0x800
	s_cmp_gt_u32 s23, s76
	s_cbranch_scc1 .LBB2079_361
; %bb.359:                              ;   in Loop: Header=BB2079_358 Depth=2
	s_lshl_b64 s[16:17], s[72:73], 1
	v_mov_b32_e32 v1, s17
	v_add_co_u32_e32 v0, vcc, s16, v58
	v_addc_co_u32_e32 v1, vcc, v59, v1, vcc
	global_load_ushort v14, v[0:1], off
	global_load_ushort v15, v[0:1], off offset:512
	global_load_ushort v16, v[0:1], off offset:1024
	;; [unrolled: 1-line block ×6, first 2 shown]
	v_add_co_u32_e32 v0, vcc, 0xe00, v0
	v_addc_co_u32_e32 v1, vcc, 0, v1, vcc
	s_mov_b64 s[16:17], -1
	s_movk_i32 s24, 0x800
	s_cbranch_execz .LBB2079_362
; %bb.360:                              ;   in Loop: Header=BB2079_358 Depth=2
                                        ; implicit-def: $vgpr11
                                        ; implicit-def: $vgpr10
                                        ; implicit-def: $vgpr9
                                        ; implicit-def: $vgpr8
                                        ; implicit-def: $vgpr7
                                        ; implicit-def: $vgpr6
                                        ; implicit-def: $vgpr5
                                        ; implicit-def: $vgpr12
	v_mov_b32_e32 v13, s22
	s_and_saveexec_b64 s[18:19], s[16:17]
	s_cbranch_execnz .LBB2079_373
	s_branch .LBB2079_374
.LBB2079_361:                           ;   in Loop: Header=BB2079_358 Depth=2
	s_mov_b64 s[16:17], 0
                                        ; implicit-def: $sgpr24
                                        ; implicit-def: $vgpr14
                                        ; implicit-def: $vgpr15
                                        ; implicit-def: $vgpr16
                                        ; implicit-def: $vgpr17
                                        ; implicit-def: $vgpr18
                                        ; implicit-def: $vgpr19
                                        ; implicit-def: $vgpr20
                                        ; implicit-def: $vgpr0_vgpr1
.LBB2079_362:                           ;   in Loop: Header=BB2079_358 Depth=2
	s_lshl_b64 s[18:19], s[72:73], 1
	s_add_u32 s18, s56, s18
	s_addc_u32 s19, s57, s19
	v_cmp_gt_u32_e32 vcc, s22, v2
	s_and_saveexec_b64 s[20:21], vcc
	s_cbranch_execz .LBB2079_390
; %bb.363:                              ;   in Loop: Header=BB2079_358 Depth=2
	global_load_ushort v11, v65, s[18:19]
	s_or_b64 exec, exec, s[20:21]
	v_cmp_gt_u32_e32 vcc, s22, v24
	s_and_saveexec_b64 s[20:21], vcc
	s_cbranch_execnz .LBB2079_391
.LBB2079_364:                           ;   in Loop: Header=BB2079_358 Depth=2
	s_or_b64 exec, exec, s[20:21]
	v_cmp_gt_u32_e32 vcc, s22, v25
	s_and_saveexec_b64 s[20:21], vcc
	s_cbranch_execz .LBB2079_392
.LBB2079_365:                           ;   in Loop: Header=BB2079_358 Depth=2
	global_load_ushort v9, v65, s[18:19] offset:1024
	s_or_b64 exec, exec, s[20:21]
	v_cmp_gt_u32_e32 vcc, s22, v26
	s_and_saveexec_b64 s[20:21], vcc
	s_cbranch_execnz .LBB2079_393
.LBB2079_366:                           ;   in Loop: Header=BB2079_358 Depth=2
	s_or_b64 exec, exec, s[20:21]
	v_cmp_gt_u32_e32 vcc, s22, v29
	s_and_saveexec_b64 s[20:21], vcc
	s_cbranch_execz .LBB2079_394
.LBB2079_367:                           ;   in Loop: Header=BB2079_358 Depth=2
	global_load_ushort v7, v65, s[18:19] offset:2048
	s_or_b64 exec, exec, s[20:21]
	v_cmp_gt_u32_e32 vcc, s22, v30
	s_and_saveexec_b64 s[20:21], vcc
	s_cbranch_execnz .LBB2079_395
.LBB2079_368:                           ;   in Loop: Header=BB2079_358 Depth=2
	s_or_b64 exec, exec, s[20:21]
	v_cmp_gt_u32_e32 vcc, s22, v31
	s_and_saveexec_b64 s[20:21], vcc
	s_cbranch_execz .LBB2079_370
.LBB2079_369:                           ;   in Loop: Header=BB2079_358 Depth=2
	global_load_ushort v5, v65, s[18:19] offset:3072
.LBB2079_370:                           ;   in Loop: Header=BB2079_358 Depth=2
	s_or_b64 exec, exec, s[20:21]
	v_cmp_gt_u32_e32 vcc, s22, v32
                                        ; implicit-def: $sgpr24
                                        ; implicit-def: $vgpr0_vgpr1
	s_and_saveexec_b64 s[20:21], vcc
	s_cbranch_execz .LBB2079_372
; %bb.371:                              ;   in Loop: Header=BB2079_358 Depth=2
	v_mov_b32_e32 v0, s19
	v_add_co_u32_e32 v1, vcc, s18, v65
	s_waitcnt vmcnt(0)
	v_addc_co_u32_e32 v12, vcc, 0, v0, vcc
	v_add_co_u32_e32 v0, vcc, 0xe00, v1
	s_sub_i32 s24, s76, s72
	v_addc_co_u32_e32 v1, vcc, 0, v12, vcc
	s_or_b64 s[16:17], s[16:17], exec
                                        ; implicit-def: $vgpr12
.LBB2079_372:                           ;   in Loop: Header=BB2079_358 Depth=2
	s_or_b64 exec, exec, s[20:21]
	s_waitcnt vmcnt(0)
	v_mov_b32_e32 v14, v11
	v_mov_b32_e32 v15, v10
	;; [unrolled: 1-line block ×8, first 2 shown]
	s_and_saveexec_b64 s[18:19], s[16:17]
	s_cbranch_execz .LBB2079_374
.LBB2079_373:                           ;   in Loop: Header=BB2079_358 Depth=2
	global_load_ushort v12, v[0:1], off
	v_mov_b32_e32 v13, s24
	s_waitcnt vmcnt(1)
	v_mov_b32_e32 v5, v20
	v_mov_b32_e32 v6, v19
	;; [unrolled: 1-line block ×7, first 2 shown]
.LBB2079_374:                           ;   in Loop: Header=BB2079_358 Depth=2
	s_or_b64 exec, exec, s[18:19]
	v_cmp_lt_u32_e32 vcc, v2, v13
	s_and_saveexec_b64 s[16:17], vcc
	s_cbranch_execz .LBB2079_382
; %bb.375:                              ;   in Loop: Header=BB2079_358 Depth=2
	v_cmp_lt_i16_e32 vcc, -1, v11
	v_cndmask_b32_e32 v0, -1, v66, vcc
	v_xor_b32_e32 v0, v0, v11
	v_cmp_ne_u16_e32 vcc, s68, v0
	v_cndmask_b32_e32 v0, v66, v0, vcc
	v_lshrrev_b32_sdwa v0, s69, v0 dst_sel:DWORD dst_unused:UNUSED_PAD src0_sel:DWORD src1_sel:WORD_0
	v_and_b32_e32 v0, s78, v0
	v_lshl_or_b32 v0, v0, 4, v67
	ds_add_u32 v0, v64
	s_or_b64 exec, exec, s[16:17]
	v_cmp_lt_u32_e32 vcc, v24, v13
	s_and_saveexec_b64 s[16:17], vcc
	s_cbranch_execnz .LBB2079_383
.LBB2079_376:                           ;   in Loop: Header=BB2079_358 Depth=2
	s_or_b64 exec, exec, s[16:17]
	v_cmp_lt_u32_e32 vcc, v25, v13
	s_and_saveexec_b64 s[16:17], vcc
	s_cbranch_execz .LBB2079_384
.LBB2079_377:                           ;   in Loop: Header=BB2079_358 Depth=2
	v_cmp_lt_i16_e32 vcc, -1, v9
	v_cndmask_b32_e32 v0, -1, v66, vcc
	v_xor_b32_e32 v0, v0, v9
	v_cmp_ne_u16_e32 vcc, s68, v0
	v_cndmask_b32_e32 v0, v66, v0, vcc
	v_lshrrev_b32_sdwa v0, s69, v0 dst_sel:DWORD dst_unused:UNUSED_PAD src0_sel:DWORD src1_sel:WORD_0
	v_and_b32_e32 v0, s78, v0
	v_lshl_or_b32 v0, v0, 4, v67
	ds_add_u32 v0, v64
	s_or_b64 exec, exec, s[16:17]
	v_cmp_lt_u32_e32 vcc, v26, v13
	s_and_saveexec_b64 s[16:17], vcc
	s_cbranch_execnz .LBB2079_385
.LBB2079_378:                           ;   in Loop: Header=BB2079_358 Depth=2
	s_or_b64 exec, exec, s[16:17]
	v_cmp_lt_u32_e32 vcc, v29, v13
	s_and_saveexec_b64 s[16:17], vcc
	s_cbranch_execz .LBB2079_386
.LBB2079_379:                           ;   in Loop: Header=BB2079_358 Depth=2
	v_cmp_lt_i16_e32 vcc, -1, v7
	v_cndmask_b32_e32 v0, -1, v66, vcc
	v_xor_b32_e32 v0, v0, v7
	v_cmp_ne_u16_e32 vcc, s68, v0
	v_cndmask_b32_e32 v0, v66, v0, vcc
	v_lshrrev_b32_sdwa v0, s69, v0 dst_sel:DWORD dst_unused:UNUSED_PAD src0_sel:DWORD src1_sel:WORD_0
	v_and_b32_e32 v0, s78, v0
	v_lshl_or_b32 v0, v0, 4, v67
	ds_add_u32 v0, v64
	s_or_b64 exec, exec, s[16:17]
	v_cmp_lt_u32_e32 vcc, v30, v13
	s_and_saveexec_b64 s[16:17], vcc
	s_cbranch_execnz .LBB2079_387
.LBB2079_380:                           ;   in Loop: Header=BB2079_358 Depth=2
	s_or_b64 exec, exec, s[16:17]
	v_cmp_lt_u32_e32 vcc, v31, v13
	s_and_saveexec_b64 s[16:17], vcc
	s_cbranch_execz .LBB2079_388
.LBB2079_381:                           ;   in Loop: Header=BB2079_358 Depth=2
	v_cmp_lt_i16_e32 vcc, -1, v5
	v_cndmask_b32_e32 v0, -1, v66, vcc
	v_xor_b32_e32 v0, v0, v5
	v_cmp_ne_u16_e32 vcc, s68, v0
	v_cndmask_b32_e32 v0, v66, v0, vcc
	v_lshrrev_b32_sdwa v0, s69, v0 dst_sel:DWORD dst_unused:UNUSED_PAD src0_sel:DWORD src1_sel:WORD_0
	v_and_b32_e32 v0, s78, v0
	v_lshl_or_b32 v0, v0, 4, v67
	ds_add_u32 v0, v64
	s_or_b64 exec, exec, s[16:17]
	v_cmp_lt_u32_e32 vcc, v32, v13
	s_and_saveexec_b64 s[16:17], vcc
	s_cbranch_execz .LBB2079_357
	s_branch .LBB2079_389
.LBB2079_382:                           ;   in Loop: Header=BB2079_358 Depth=2
	s_or_b64 exec, exec, s[16:17]
	v_cmp_lt_u32_e32 vcc, v24, v13
	s_and_saveexec_b64 s[16:17], vcc
	s_cbranch_execz .LBB2079_376
.LBB2079_383:                           ;   in Loop: Header=BB2079_358 Depth=2
	v_cmp_lt_i16_e32 vcc, -1, v10
	v_cndmask_b32_e32 v0, -1, v66, vcc
	v_xor_b32_e32 v0, v0, v10
	v_cmp_ne_u16_e32 vcc, s68, v0
	v_cndmask_b32_e32 v0, v66, v0, vcc
	v_lshrrev_b32_sdwa v0, s69, v0 dst_sel:DWORD dst_unused:UNUSED_PAD src0_sel:DWORD src1_sel:WORD_0
	v_and_b32_e32 v0, s78, v0
	v_lshl_or_b32 v0, v0, 4, v67
	ds_add_u32 v0, v64
	s_or_b64 exec, exec, s[16:17]
	v_cmp_lt_u32_e32 vcc, v25, v13
	s_and_saveexec_b64 s[16:17], vcc
	s_cbranch_execnz .LBB2079_377
.LBB2079_384:                           ;   in Loop: Header=BB2079_358 Depth=2
	s_or_b64 exec, exec, s[16:17]
	v_cmp_lt_u32_e32 vcc, v26, v13
	s_and_saveexec_b64 s[16:17], vcc
	s_cbranch_execz .LBB2079_378
.LBB2079_385:                           ;   in Loop: Header=BB2079_358 Depth=2
	v_cmp_lt_i16_e32 vcc, -1, v8
	v_cndmask_b32_e32 v0, -1, v66, vcc
	v_xor_b32_e32 v0, v0, v8
	v_cmp_ne_u16_e32 vcc, s68, v0
	v_cndmask_b32_e32 v0, v66, v0, vcc
	v_lshrrev_b32_sdwa v0, s69, v0 dst_sel:DWORD dst_unused:UNUSED_PAD src0_sel:DWORD src1_sel:WORD_0
	v_and_b32_e32 v0, s78, v0
	v_lshl_or_b32 v0, v0, 4, v67
	ds_add_u32 v0, v64
	s_or_b64 exec, exec, s[16:17]
	v_cmp_lt_u32_e32 vcc, v29, v13
	s_and_saveexec_b64 s[16:17], vcc
	s_cbranch_execnz .LBB2079_379
.LBB2079_386:                           ;   in Loop: Header=BB2079_358 Depth=2
	s_or_b64 exec, exec, s[16:17]
	v_cmp_lt_u32_e32 vcc, v30, v13
	s_and_saveexec_b64 s[16:17], vcc
	s_cbranch_execz .LBB2079_380
.LBB2079_387:                           ;   in Loop: Header=BB2079_358 Depth=2
	v_cmp_lt_i16_e32 vcc, -1, v6
	v_cndmask_b32_e32 v0, -1, v66, vcc
	v_xor_b32_e32 v0, v0, v6
	v_cmp_ne_u16_e32 vcc, s68, v0
	v_cndmask_b32_e32 v0, v66, v0, vcc
	v_lshrrev_b32_sdwa v0, s69, v0 dst_sel:DWORD dst_unused:UNUSED_PAD src0_sel:DWORD src1_sel:WORD_0
	v_and_b32_e32 v0, s78, v0
	v_lshl_or_b32 v0, v0, 4, v67
	ds_add_u32 v0, v64
	s_or_b64 exec, exec, s[16:17]
	v_cmp_lt_u32_e32 vcc, v31, v13
	s_and_saveexec_b64 s[16:17], vcc
	s_cbranch_execnz .LBB2079_381
.LBB2079_388:                           ;   in Loop: Header=BB2079_358 Depth=2
	s_or_b64 exec, exec, s[16:17]
	v_cmp_lt_u32_e32 vcc, v32, v13
	s_and_saveexec_b64 s[16:17], vcc
	s_cbranch_execz .LBB2079_357
.LBB2079_389:                           ;   in Loop: Header=BB2079_358 Depth=2
	s_waitcnt vmcnt(0)
	v_cmp_lt_i16_e32 vcc, -1, v12
	v_cndmask_b32_e32 v0, -1, v66, vcc
	v_xor_b32_e32 v0, v0, v12
	v_cmp_ne_u16_e32 vcc, s68, v0
	v_cndmask_b32_e32 v0, v66, v0, vcc
	v_lshrrev_b32_sdwa v0, s69, v0 dst_sel:DWORD dst_unused:UNUSED_PAD src0_sel:DWORD src1_sel:WORD_0
	v_and_b32_e32 v0, s78, v0
	v_lshl_or_b32 v0, v0, 4, v67
	ds_add_u32 v0, v64
	s_branch .LBB2079_357
.LBB2079_390:                           ;   in Loop: Header=BB2079_358 Depth=2
	s_or_b64 exec, exec, s[20:21]
	v_cmp_gt_u32_e32 vcc, s22, v24
	s_and_saveexec_b64 s[20:21], vcc
	s_cbranch_execz .LBB2079_364
.LBB2079_391:                           ;   in Loop: Header=BB2079_358 Depth=2
	global_load_ushort v10, v65, s[18:19] offset:512
	s_or_b64 exec, exec, s[20:21]
	v_cmp_gt_u32_e32 vcc, s22, v25
	s_and_saveexec_b64 s[20:21], vcc
	s_cbranch_execnz .LBB2079_365
.LBB2079_392:                           ;   in Loop: Header=BB2079_358 Depth=2
	s_or_b64 exec, exec, s[20:21]
	v_cmp_gt_u32_e32 vcc, s22, v26
	s_and_saveexec_b64 s[20:21], vcc
	s_cbranch_execz .LBB2079_366
.LBB2079_393:                           ;   in Loop: Header=BB2079_358 Depth=2
	global_load_ushort v8, v65, s[18:19] offset:1536
	s_or_b64 exec, exec, s[20:21]
	v_cmp_gt_u32_e32 vcc, s22, v29
	s_and_saveexec_b64 s[20:21], vcc
	s_cbranch_execnz .LBB2079_367
.LBB2079_394:                           ;   in Loop: Header=BB2079_358 Depth=2
	s_or_b64 exec, exec, s[20:21]
	v_cmp_gt_u32_e32 vcc, s22, v30
	s_and_saveexec_b64 s[20:21], vcc
	s_cbranch_execz .LBB2079_368
.LBB2079_395:                           ;   in Loop: Header=BB2079_358 Depth=2
	global_load_ushort v6, v65, s[18:19] offset:2560
	s_or_b64 exec, exec, s[20:21]
	v_cmp_gt_u32_e32 vcc, s22, v31
	s_and_saveexec_b64 s[20:21], vcc
	s_cbranch_execz .LBB2079_370
	s_branch .LBB2079_369
.LBB2079_396:                           ;   in Loop: Header=BB2079_20 Depth=1
	v_mov_b32_e32 v0, 0
	s_waitcnt lgkmcnt(0)
	s_barrier
	s_and_saveexec_b64 s[16:17], s[4:5]
	s_cbranch_execz .LBB2079_398
; %bb.397:                              ;   in Loop: Header=BB2079_20 Depth=1
	ds_read2_b64 v[6:9], v33 offset1:1
	s_waitcnt lgkmcnt(0)
	v_add_u32_e32 v0, v7, v6
	v_add3_u32 v0, v0, v8, v9
.LBB2079_398:                           ;   in Loop: Header=BB2079_20 Depth=1
	s_or_b64 exec, exec, s[16:17]
	v_and_b32_e32 v1, 15, v68
	v_mov_b32_dpp v5, v0 row_shr:1 row_mask:0xf bank_mask:0xf
	v_cmp_eq_u32_e64 s[16:17], 0, v1
	v_cndmask_b32_e64 v5, v5, 0, s[16:17]
	v_add_u32_e32 v0, v5, v0
	v_cmp_lt_u32_e64 s[18:19], 1, v1
	v_cmp_lt_u32_e64 s[20:21], 3, v1
	v_mov_b32_dpp v5, v0 row_shr:2 row_mask:0xf bank_mask:0xf
	v_cndmask_b32_e64 v5, 0, v5, s[18:19]
	v_add_u32_e32 v0, v0, v5
	v_cmp_lt_u32_e64 s[22:23], 7, v1
	v_cmp_lt_u32_e64 s[26:27], 31, v68
	v_mov_b32_dpp v5, v0 row_shr:4 row_mask:0xf bank_mask:0xf
	v_cndmask_b32_e64 v5, 0, v5, s[20:21]
	v_add_u32_e32 v0, v0, v5
	v_and_b32_e32 v6, 16, v68
	v_cmp_eq_u32_e64 s[24:25], 0, v6
	v_mov_b32_dpp v5, v0 row_shr:8 row_mask:0xf bank_mask:0xf
	v_cndmask_b32_e64 v1, 0, v5, s[22:23]
	v_add_u32_e32 v0, v0, v1
	v_bfe_i32 v5, v68, 4, 1
	s_nop 0
	v_mov_b32_dpp v1, v0 row_bcast:15 row_mask:0xf bank_mask:0xf
	v_and_b32_e32 v1, v5, v1
	v_add_u32_e32 v0, v0, v1
	s_nop 1
	v_mov_b32_dpp v1, v0 row_bcast:31 row_mask:0xf bank_mask:0xf
	v_cndmask_b32_e64 v1, 0, v1, s[26:27]
	v_add_u32_e32 v1, v0, v1
	s_and_saveexec_b64 s[28:29], s[6:7]
	s_cbranch_execz .LBB2079_400
; %bb.399:                              ;   in Loop: Header=BB2079_20 Depth=1
	ds_write_b32 v35, v1
.LBB2079_400:                           ;   in Loop: Header=BB2079_20 Depth=1
	s_or_b64 exec, exec, s[28:29]
	v_and_b32_e32 v0, 3, v68
	s_waitcnt lgkmcnt(0)
	s_barrier
	s_and_saveexec_b64 s[28:29], s[8:9]
	s_cbranch_execz .LBB2079_402
; %bb.401:                              ;   in Loop: Header=BB2079_20 Depth=1
	ds_read_b32 v5, v36
	v_cmp_ne_u32_e32 vcc, 0, v0
	s_waitcnt lgkmcnt(0)
	v_mov_b32_dpp v6, v5 row_shr:1 row_mask:0xf bank_mask:0xf
	v_cndmask_b32_e32 v6, 0, v6, vcc
	v_add_u32_e32 v5, v6, v5
	v_cmp_lt_u32_e32 vcc, 1, v0
	s_nop 0
	v_mov_b32_dpp v6, v5 row_shr:2 row_mask:0xf bank_mask:0xf
	v_cndmask_b32_e32 v6, 0, v6, vcc
	v_add_u32_e32 v5, v5, v6
	ds_write_b32 v36, v5
.LBB2079_402:                           ;   in Loop: Header=BB2079_20 Depth=1
	s_or_b64 exec, exec, s[28:29]
	v_mov_b32_e32 v5, 0
	s_waitcnt lgkmcnt(0)
	s_barrier
	s_and_saveexec_b64 s[28:29], s[10:11]
	s_cbranch_execz .LBB2079_404
; %bb.403:                              ;   in Loop: Header=BB2079_20 Depth=1
	ds_read_b32 v5, v37
.LBB2079_404:                           ;   in Loop: Header=BB2079_20 Depth=1
	s_or_b64 exec, exec, s[28:29]
	v_add_u32_e32 v6, -1, v68
	v_and_b32_e32 v7, 64, v68
	v_cmp_lt_i32_e32 vcc, v6, v7
	v_cndmask_b32_e32 v6, v6, v68, vcc
	s_waitcnt lgkmcnt(0)
	v_add_u32_e32 v1, v5, v1
	v_lshlrev_b32_e32 v69, 2, v6
	ds_bpermute_b32 v1, v69, v1
	v_cmp_eq_u32_e64 s[28:29], 0, v68
	s_waitcnt lgkmcnt(0)
	s_barrier
	s_and_saveexec_b64 s[30:31], s[4:5]
	s_cbranch_execz .LBB2079_406
; %bb.405:                              ;   in Loop: Header=BB2079_20 Depth=1
	v_cndmask_b32_e64 v1, v1, v5, s[28:29]
	v_add_u32_e32 v1, s51, v1
	ds_write_b32 v3, v1
.LBB2079_406:                           ;   in Loop: Header=BB2079_20 Depth=1
	s_or_b64 exec, exec, s[30:31]
	s_load_dwordx2 s[30:31], s[74:75], 0x0
	v_and_b32_e32 v21, 63, v68
	v_lshlrev_b32_e32 v22, 3, v21
	v_add_co_u32_e32 v77, vcc, v60, v22
	s_waitcnt lgkmcnt(0)
	s_cmp_lt_u32 s50, s30
	s_cselect_b32 s34, 12, 18
	s_cmp_lt_u32 s33, s31
	s_cselect_b32 s30, 14, 20
	s_add_u32 s30, s74, s30
	s_addc_u32 s31, s75, 0
	s_add_u32 s34, s74, s34
	global_load_ushort v5, v4, s[30:31]
	s_addc_u32 s35, s75, 0
	global_load_ushort v20, v4, s[34:35]
	v_or_b32_e32 v74, v21, v38
	v_lshlrev_b32_e32 v21, 1, v21
	v_addc_co_u32_e32 v79, vcc, 0, v61, vcc
	v_add_co_u32_e32 v88, vcc, v62, v21
	v_addc_co_u32_e32 v89, vcc, 0, v63, vcc
	v_add_co_u32_e32 v90, vcc, 0x380, v88
	v_cmp_eq_u32_e64 s[30:31], 0, v0
	v_cmp_lt_u32_e64 s[34:35], 1, v0
	s_mov_b32 s79, s71
	v_or_b32_e32 v81, 64, v74
	v_or_b32_e32 v82, 0x80, v74
	v_or_b32_e32 v83, 0xc0, v74
	v_or_b32_e32 v84, 0x100, v74
	v_or_b32_e32 v85, 0x140, v74
	v_or_b32_e32 v86, 0x180, v74
	v_or_b32_e32 v87, 0x1c0, v74
	v_addc_co_u32_e32 v91, vcc, 0, v89, vcc
	s_mov_b32 s72, s51
                                        ; implicit-def: $vgpr0_vgpr1
                                        ; implicit-def: $vgpr6_vgpr7
                                        ; implicit-def: $vgpr8_vgpr9
                                        ; implicit-def: $vgpr10_vgpr11
                                        ; implicit-def: $vgpr12_vgpr13
                                        ; implicit-def: $vgpr14_vgpr15
                                        ; implicit-def: $vgpr16_vgpr17
                                        ; implicit-def: $vgpr18_vgpr19
                                        ; implicit-def: $vgpr70
                                        ; implicit-def: $vgpr71
                                        ; implicit-def: $vgpr72
                                        ; implicit-def: $vgpr73
                                        ; implicit-def: $vgpr75
                                        ; implicit-def: $vgpr76
                                        ; implicit-def: $vgpr78
                                        ; implicit-def: $vgpr80
	s_waitcnt vmcnt(1)
	v_mad_u32_u24 v5, v39, v5, v40
	s_waitcnt vmcnt(0)
	v_mad_u64_u32 v[20:21], s[36:37], v5, v20, v[2:3]
	v_lshrrev_b32_e32 v92, 6, v20
	s_branch .LBB2079_408
.LBB2079_407:                           ;   in Loop: Header=BB2079_408 Depth=2
	s_or_b64 exec, exec, s[36:37]
	s_addk_i32 s79, 0xf800
	s_cmp_lt_u32 s80, s76
	s_mov_b32 s72, s80
	s_cbranch_scc0 .LBB2079_520
.LBB2079_408:                           ;   Parent Loop BB2079_20 Depth=1
                                        ; =>  This Inner Loop Header: Depth=2
	s_add_i32 s80, s72, 0x800
	s_cmp_gt_u32 s80, s76
	s_cbranch_scc1 .LBB2079_411
; %bb.409:                              ;   in Loop: Header=BB2079_408 Depth=2
	s_lshl_b64 s[36:37], s[72:73], 1
	v_mov_b32_e32 v5, s37
	v_add_co_u32_e32 v20, vcc, s36, v88
	v_addc_co_u32_e32 v21, vcc, v89, v5, vcc
	global_load_ushort v5, v[20:21], off
	global_load_ushort v97, v[20:21], off offset:128
	global_load_ushort v101, v[20:21], off offset:256
	;; [unrolled: 1-line block ×6, first 2 shown]
	s_mov_b64 s[36:37], -1
	s_movk_i32 s40, 0x800
	s_cbranch_execz .LBB2079_412
; %bb.410:                              ;   in Loop: Header=BB2079_408 Depth=2
                                        ; implicit-def: $sgpr38
	v_mov_b32_e32 v23, s38
	v_mov_b32_e32 v93, s79
	s_and_saveexec_b64 s[38:39], s[36:37]
	s_cbranch_execnz .LBB2079_427
	s_branch .LBB2079_428
.LBB2079_411:                           ;   in Loop: Header=BB2079_408 Depth=2
	s_mov_b64 s[36:37], 0
                                        ; implicit-def: $sgpr40
                                        ; implicit-def: $vgpr5
                                        ; implicit-def: $vgpr97
                                        ; implicit-def: $vgpr101
                                        ; implicit-def: $vgpr106
                                        ; implicit-def: $vgpr109
                                        ; implicit-def: $vgpr104
                                        ; implicit-def: $vgpr22
.LBB2079_412:                           ;   in Loop: Header=BB2079_408 Depth=2
	s_lshl_b64 s[36:37], s[72:73], 1
	s_waitcnt vmcnt(6)
	v_mov_b32_e32 v5, s37
	v_add_co_u32_e32 v20, vcc, s36, v88
	v_addc_co_u32_e32 v21, vcc, v89, v5, vcc
	v_cmp_gt_u32_e32 vcc, s79, v74
	s_waitcnt vmcnt(5)
	v_mov_b32_e32 v97, 0x7fff
	v_mov_b32_e32 v5, 0x7fff
	s_and_saveexec_b64 s[36:37], vcc
	s_cbranch_execz .LBB2079_414
; %bb.413:                              ;   in Loop: Header=BB2079_408 Depth=2
	global_load_ushort v5, v[20:21], off
.LBB2079_414:                           ;   in Loop: Header=BB2079_408 Depth=2
	s_or_b64 exec, exec, s[36:37]
	v_cmp_gt_u32_e32 vcc, s79, v81
	s_and_saveexec_b64 s[36:37], vcc
	s_cbranch_execz .LBB2079_416
; %bb.415:                              ;   in Loop: Header=BB2079_408 Depth=2
	global_load_ushort v97, v[20:21], off offset:128
.LBB2079_416:                           ;   in Loop: Header=BB2079_408 Depth=2
	s_or_b64 exec, exec, s[36:37]
	v_cmp_gt_u32_e32 vcc, s79, v82
	s_waitcnt vmcnt(3)
	v_mov_b32_e32 v106, 0x7fff
	v_mov_b32_e32 v101, 0x7fff
	s_and_saveexec_b64 s[36:37], vcc
	s_cbranch_execz .LBB2079_418
; %bb.417:                              ;   in Loop: Header=BB2079_408 Depth=2
	global_load_ushort v101, v[20:21], off offset:256
.LBB2079_418:                           ;   in Loop: Header=BB2079_408 Depth=2
	s_or_b64 exec, exec, s[36:37]
	v_cmp_gt_u32_e32 vcc, s79, v83
	s_and_saveexec_b64 s[36:37], vcc
	s_cbranch_execz .LBB2079_420
; %bb.419:                              ;   in Loop: Header=BB2079_408 Depth=2
	global_load_ushort v106, v[20:21], off offset:384
.LBB2079_420:                           ;   in Loop: Header=BB2079_408 Depth=2
	s_or_b64 exec, exec, s[36:37]
	v_cmp_gt_u32_e32 vcc, s79, v84
	s_waitcnt vmcnt(1)
	v_mov_b32_e32 v104, 0x7fff
	v_mov_b32_e32 v109, 0x7fff
	s_and_saveexec_b64 s[36:37], vcc
	s_cbranch_execz .LBB2079_422
; %bb.421:                              ;   in Loop: Header=BB2079_408 Depth=2
	global_load_ushort v109, v[20:21], off offset:512
.LBB2079_422:                           ;   in Loop: Header=BB2079_408 Depth=2
	s_or_b64 exec, exec, s[36:37]
	v_cmp_gt_u32_e32 vcc, s79, v85
	s_and_saveexec_b64 s[36:37], vcc
	s_cbranch_execz .LBB2079_424
; %bb.423:                              ;   in Loop: Header=BB2079_408 Depth=2
	global_load_ushort v104, v[20:21], off offset:640
.LBB2079_424:                           ;   in Loop: Header=BB2079_408 Depth=2
	s_or_b64 exec, exec, s[36:37]
	v_cmp_gt_u32_e32 vcc, s79, v86
	s_waitcnt vmcnt(0)
	v_mov_b32_e32 v22, 0x7fff
	s_and_saveexec_b64 s[36:37], vcc
	s_cbranch_execz .LBB2079_426
; %bb.425:                              ;   in Loop: Header=BB2079_408 Depth=2
	global_load_ushort v22, v[20:21], off offset:768
.LBB2079_426:                           ;   in Loop: Header=BB2079_408 Depth=2
	s_or_b64 exec, exec, s[36:37]
	s_sub_i32 s40, s76, s72
	v_cmp_gt_u32_e64 s[36:37], s79, v87
	s_movk_i32 s38, 0x7fff
	v_mov_b32_e32 v23, s38
	v_mov_b32_e32 v93, s79
	s_and_saveexec_b64 s[38:39], s[36:37]
	s_cbranch_execz .LBB2079_428
.LBB2079_427:                           ;   in Loop: Header=BB2079_408 Depth=2
	s_lshl_b64 s[36:37], s[72:73], 1
	v_mov_b32_e32 v21, s37
	v_add_co_u32_e32 v20, vcc, s36, v90
	v_addc_co_u32_e32 v21, vcc, v91, v21, vcc
	global_load_ushort v23, v[20:21], off
	v_mov_b32_e32 v93, s40
.LBB2079_428:                           ;   in Loop: Header=BB2079_408 Depth=2
	s_or_b64 exec, exec, s[38:39]
	s_waitcnt vmcnt(6)
	v_cmp_lt_i16_e32 vcc, -1, v5
	v_cndmask_b32_e32 v20, -1, v66, vcc
	v_xor_b32_e32 v94, v20, v5
	v_add_u32_e32 v5, 0x410, v41
	v_cmp_ne_u16_e32 vcc, s68, v94
	ds_write2_b32 v5, v4, v4 offset1:1
	ds_write2_b32 v43, v4, v4 offset0:2 offset1:3
	ds_write_b32 v43, v4 offset:16
	v_cndmask_b32_e32 v5, v66, v94, vcc
	v_lshrrev_b32_sdwa v5, s69, v5 dst_sel:DWORD dst_unused:UNUSED_PAD src0_sel:DWORD src1_sel:WORD_0
	v_and_b32_e32 v20, s78, v5
	v_mad_u32_u24 v5, v20, 5, v92
	v_lshl_add_u32 v95, v5, 2, v42
	v_and_b32_e32 v5, 1, v20
	v_add_co_u32_e32 v21, vcc, -1, v5
	v_addc_co_u32_e64 v96, s[36:37], 0, -1, vcc
	v_cmp_ne_u32_e32 vcc, 0, v5
	v_xor_b32_e32 v5, vcc_hi, v96
	v_and_b32_e32 v96, exec_hi, v5
	v_lshlrev_b32_e32 v5, 30, v20
	v_xor_b32_e32 v21, vcc_lo, v21
	v_cmp_gt_i64_e32 vcc, 0, v[4:5]
	v_not_b32_e32 v5, v5
	v_ashrrev_i32_e32 v5, 31, v5
	v_and_b32_e32 v21, exec_lo, v21
	v_xor_b32_e32 v98, vcc_hi, v5
	v_xor_b32_e32 v5, vcc_lo, v5
	v_and_b32_e32 v21, v21, v5
	v_lshlrev_b32_e32 v5, 29, v20
	v_cmp_gt_i64_e32 vcc, 0, v[4:5]
	v_not_b32_e32 v5, v5
	v_ashrrev_i32_e32 v5, 31, v5
	v_and_b32_e32 v96, v96, v98
	v_xor_b32_e32 v98, vcc_hi, v5
	v_xor_b32_e32 v5, vcc_lo, v5
	v_and_b32_e32 v21, v21, v5
	v_lshlrev_b32_e32 v5, 28, v20
	v_cmp_gt_i64_e32 vcc, 0, v[4:5]
	v_not_b32_e32 v5, v5
	v_ashrrev_i32_e32 v5, 31, v5
	v_and_b32_e32 v96, v96, v98
	;; [unrolled: 8-line block ×5, first 2 shown]
	v_xor_b32_e32 v98, vcc_hi, v5
	v_xor_b32_e32 v5, vcc_lo, v5
	v_and_b32_e32 v96, v96, v98
	v_and_b32_e32 v98, v21, v5
	v_lshlrev_b32_e32 v5, 24, v20
	v_cmp_gt_i64_e32 vcc, 0, v[4:5]
	v_not_b32_e32 v5, v5
	v_ashrrev_i32_e32 v5, 31, v5
	v_xor_b32_e32 v20, vcc_hi, v5
	v_xor_b32_e32 v5, vcc_lo, v5
	v_and_b32_e32 v21, v96, v20
	v_and_b32_e32 v20, v98, v5
	v_mbcnt_lo_u32_b32 v5, v20, 0
	v_mbcnt_hi_u32_b32 v96, v21, v5
	v_cmp_eq_u32_e32 vcc, 0, v96
	v_cmp_ne_u64_e64 s[36:37], 0, v[20:21]
	s_and_b64 s[38:39], s[36:37], vcc
	s_waitcnt lgkmcnt(0)
	s_barrier
	s_waitcnt lgkmcnt(0)
	; wave barrier
	s_and_saveexec_b64 s[36:37], s[38:39]
	s_cbranch_execz .LBB2079_430
; %bb.429:                              ;   in Loop: Header=BB2079_408 Depth=2
	v_bcnt_u32_b32 v5, v20, 0
	v_bcnt_u32_b32 v5, v21, v5
	ds_write_b32 v95, v5
.LBB2079_430:                           ;   in Loop: Header=BB2079_408 Depth=2
	s_or_b64 exec, exec, s[36:37]
	s_waitcnt vmcnt(5)
	v_cmp_lt_i16_e32 vcc, -1, v97
	v_cndmask_b32_e32 v5, -1, v66, vcc
	v_xor_b32_e32 v97, v5, v97
	v_cmp_ne_u16_e32 vcc, s68, v97
	v_cndmask_b32_e32 v5, v66, v97, vcc
	v_lshrrev_b32_sdwa v5, s69, v5 dst_sel:DWORD dst_unused:UNUSED_PAD src0_sel:DWORD src1_sel:WORD_0
	v_and_b32_e32 v20, s78, v5
	v_mul_u32_u24_e32 v5, 5, v20
	v_add_lshl_u32 v5, v5, v92, 2
	; wave barrier
	v_add_u32_e32 v99, 0x410, v5
	ds_read_b32 v98, v5 offset:1040
	v_and_b32_e32 v5, 1, v20
	v_add_co_u32_e32 v21, vcc, -1, v5
	v_addc_co_u32_e64 v100, s[36:37], 0, -1, vcc
	v_cmp_ne_u32_e32 vcc, 0, v5
	v_xor_b32_e32 v5, vcc_hi, v100
	v_and_b32_e32 v100, exec_hi, v5
	v_lshlrev_b32_e32 v5, 30, v20
	v_xor_b32_e32 v21, vcc_lo, v21
	v_cmp_gt_i64_e32 vcc, 0, v[4:5]
	v_not_b32_e32 v5, v5
	v_ashrrev_i32_e32 v5, 31, v5
	v_and_b32_e32 v21, exec_lo, v21
	v_xor_b32_e32 v102, vcc_hi, v5
	v_xor_b32_e32 v5, vcc_lo, v5
	v_and_b32_e32 v21, v21, v5
	v_lshlrev_b32_e32 v5, 29, v20
	v_cmp_gt_i64_e32 vcc, 0, v[4:5]
	v_not_b32_e32 v5, v5
	v_ashrrev_i32_e32 v5, 31, v5
	v_and_b32_e32 v100, v100, v102
	v_xor_b32_e32 v102, vcc_hi, v5
	v_xor_b32_e32 v5, vcc_lo, v5
	v_and_b32_e32 v21, v21, v5
	v_lshlrev_b32_e32 v5, 28, v20
	v_cmp_gt_i64_e32 vcc, 0, v[4:5]
	v_not_b32_e32 v5, v5
	v_ashrrev_i32_e32 v5, 31, v5
	v_and_b32_e32 v100, v100, v102
	;; [unrolled: 8-line block ×5, first 2 shown]
	v_xor_b32_e32 v102, vcc_hi, v5
	v_xor_b32_e32 v5, vcc_lo, v5
	v_and_b32_e32 v100, v100, v102
	v_and_b32_e32 v102, v21, v5
	v_lshlrev_b32_e32 v5, 24, v20
	v_cmp_gt_i64_e32 vcc, 0, v[4:5]
	v_not_b32_e32 v5, v5
	v_ashrrev_i32_e32 v5, 31, v5
	v_xor_b32_e32 v20, vcc_hi, v5
	v_xor_b32_e32 v5, vcc_lo, v5
	v_and_b32_e32 v21, v100, v20
	v_and_b32_e32 v20, v102, v5
	v_mbcnt_lo_u32_b32 v5, v20, 0
	v_mbcnt_hi_u32_b32 v100, v21, v5
	v_cmp_eq_u32_e32 vcc, 0, v100
	v_cmp_ne_u64_e64 s[36:37], 0, v[20:21]
	s_and_b64 s[38:39], s[36:37], vcc
	; wave barrier
	s_and_saveexec_b64 s[36:37], s[38:39]
	s_cbranch_execz .LBB2079_432
; %bb.431:                              ;   in Loop: Header=BB2079_408 Depth=2
	v_bcnt_u32_b32 v5, v20, 0
	v_bcnt_u32_b32 v5, v21, v5
	s_waitcnt lgkmcnt(0)
	v_add_u32_e32 v5, v98, v5
	ds_write_b32 v99, v5
.LBB2079_432:                           ;   in Loop: Header=BB2079_408 Depth=2
	s_or_b64 exec, exec, s[36:37]
	s_waitcnt vmcnt(4)
	v_cmp_lt_i16_e32 vcc, -1, v101
	v_cndmask_b32_e32 v5, -1, v66, vcc
	v_xor_b32_e32 v101, v5, v101
	v_cmp_ne_u16_e32 vcc, s68, v101
	v_cndmask_b32_e32 v5, v66, v101, vcc
	v_lshrrev_b32_sdwa v5, s69, v5 dst_sel:DWORD dst_unused:UNUSED_PAD src0_sel:DWORD src1_sel:WORD_0
	v_and_b32_e32 v20, s78, v5
	v_mul_u32_u24_e32 v5, 5, v20
	v_add_lshl_u32 v5, v5, v92, 2
	; wave barrier
	v_add_u32_e32 v103, 0x410, v5
	ds_read_b32 v102, v5 offset:1040
	v_and_b32_e32 v5, 1, v20
	v_add_co_u32_e32 v21, vcc, -1, v5
	v_addc_co_u32_e64 v105, s[36:37], 0, -1, vcc
	v_cmp_ne_u32_e32 vcc, 0, v5
	v_xor_b32_e32 v5, vcc_hi, v105
	v_and_b32_e32 v105, exec_hi, v5
	v_lshlrev_b32_e32 v5, 30, v20
	v_xor_b32_e32 v21, vcc_lo, v21
	v_cmp_gt_i64_e32 vcc, 0, v[4:5]
	v_not_b32_e32 v5, v5
	v_ashrrev_i32_e32 v5, 31, v5
	v_and_b32_e32 v21, exec_lo, v21
	v_xor_b32_e32 v107, vcc_hi, v5
	v_xor_b32_e32 v5, vcc_lo, v5
	v_and_b32_e32 v21, v21, v5
	v_lshlrev_b32_e32 v5, 29, v20
	v_cmp_gt_i64_e32 vcc, 0, v[4:5]
	v_not_b32_e32 v5, v5
	v_ashrrev_i32_e32 v5, 31, v5
	v_and_b32_e32 v105, v105, v107
	v_xor_b32_e32 v107, vcc_hi, v5
	v_xor_b32_e32 v5, vcc_lo, v5
	v_and_b32_e32 v21, v21, v5
	v_lshlrev_b32_e32 v5, 28, v20
	v_cmp_gt_i64_e32 vcc, 0, v[4:5]
	v_not_b32_e32 v5, v5
	v_ashrrev_i32_e32 v5, 31, v5
	v_and_b32_e32 v105, v105, v107
	;; [unrolled: 8-line block ×5, first 2 shown]
	v_xor_b32_e32 v107, vcc_hi, v5
	v_xor_b32_e32 v5, vcc_lo, v5
	v_and_b32_e32 v105, v105, v107
	v_and_b32_e32 v107, v21, v5
	v_lshlrev_b32_e32 v5, 24, v20
	v_cmp_gt_i64_e32 vcc, 0, v[4:5]
	v_not_b32_e32 v5, v5
	v_ashrrev_i32_e32 v5, 31, v5
	v_xor_b32_e32 v20, vcc_hi, v5
	v_xor_b32_e32 v5, vcc_lo, v5
	v_and_b32_e32 v21, v105, v20
	v_and_b32_e32 v20, v107, v5
	v_mbcnt_lo_u32_b32 v5, v20, 0
	v_mbcnt_hi_u32_b32 v105, v21, v5
	v_cmp_eq_u32_e32 vcc, 0, v105
	v_cmp_ne_u64_e64 s[36:37], 0, v[20:21]
	s_and_b64 s[38:39], s[36:37], vcc
	; wave barrier
	s_and_saveexec_b64 s[36:37], s[38:39]
	s_cbranch_execz .LBB2079_434
; %bb.433:                              ;   in Loop: Header=BB2079_408 Depth=2
	v_bcnt_u32_b32 v5, v20, 0
	v_bcnt_u32_b32 v5, v21, v5
	s_waitcnt lgkmcnt(0)
	v_add_u32_e32 v5, v102, v5
	ds_write_b32 v103, v5
.LBB2079_434:                           ;   in Loop: Header=BB2079_408 Depth=2
	s_or_b64 exec, exec, s[36:37]
	s_waitcnt vmcnt(3)
	v_cmp_lt_i16_e32 vcc, -1, v106
	v_cndmask_b32_e32 v5, -1, v66, vcc
	v_xor_b32_e32 v106, v5, v106
	v_cmp_ne_u16_e32 vcc, s68, v106
	v_cndmask_b32_e32 v5, v66, v106, vcc
	v_lshrrev_b32_sdwa v5, s69, v5 dst_sel:DWORD dst_unused:UNUSED_PAD src0_sel:DWORD src1_sel:WORD_0
	v_and_b32_e32 v20, s78, v5
	v_mul_u32_u24_e32 v5, 5, v20
	v_add_lshl_u32 v5, v5, v92, 2
	; wave barrier
	v_add_u32_e32 v108, 0x410, v5
	ds_read_b32 v107, v5 offset:1040
	v_and_b32_e32 v5, 1, v20
	v_add_co_u32_e32 v21, vcc, -1, v5
	v_addc_co_u32_e64 v110, s[36:37], 0, -1, vcc
	v_cmp_ne_u32_e32 vcc, 0, v5
	v_xor_b32_e32 v5, vcc_hi, v110
	v_and_b32_e32 v110, exec_hi, v5
	v_lshlrev_b32_e32 v5, 30, v20
	v_xor_b32_e32 v21, vcc_lo, v21
	v_cmp_gt_i64_e32 vcc, 0, v[4:5]
	v_not_b32_e32 v5, v5
	v_ashrrev_i32_e32 v5, 31, v5
	v_and_b32_e32 v21, exec_lo, v21
	v_xor_b32_e32 v111, vcc_hi, v5
	v_xor_b32_e32 v5, vcc_lo, v5
	v_and_b32_e32 v21, v21, v5
	v_lshlrev_b32_e32 v5, 29, v20
	v_cmp_gt_i64_e32 vcc, 0, v[4:5]
	v_not_b32_e32 v5, v5
	v_ashrrev_i32_e32 v5, 31, v5
	v_and_b32_e32 v110, v110, v111
	v_xor_b32_e32 v111, vcc_hi, v5
	v_xor_b32_e32 v5, vcc_lo, v5
	v_and_b32_e32 v21, v21, v5
	v_lshlrev_b32_e32 v5, 28, v20
	v_cmp_gt_i64_e32 vcc, 0, v[4:5]
	v_not_b32_e32 v5, v5
	v_ashrrev_i32_e32 v5, 31, v5
	v_and_b32_e32 v110, v110, v111
	;; [unrolled: 8-line block ×5, first 2 shown]
	v_xor_b32_e32 v111, vcc_hi, v5
	v_xor_b32_e32 v5, vcc_lo, v5
	v_and_b32_e32 v110, v110, v111
	v_and_b32_e32 v111, v21, v5
	v_lshlrev_b32_e32 v5, 24, v20
	v_cmp_gt_i64_e32 vcc, 0, v[4:5]
	v_not_b32_e32 v5, v5
	v_ashrrev_i32_e32 v5, 31, v5
	v_xor_b32_e32 v20, vcc_hi, v5
	v_xor_b32_e32 v5, vcc_lo, v5
	v_and_b32_e32 v21, v110, v20
	v_and_b32_e32 v20, v111, v5
	v_mbcnt_lo_u32_b32 v5, v20, 0
	v_mbcnt_hi_u32_b32 v110, v21, v5
	v_cmp_eq_u32_e32 vcc, 0, v110
	v_cmp_ne_u64_e64 s[36:37], 0, v[20:21]
	s_and_b64 s[38:39], s[36:37], vcc
	; wave barrier
	s_and_saveexec_b64 s[36:37], s[38:39]
	s_cbranch_execz .LBB2079_436
; %bb.435:                              ;   in Loop: Header=BB2079_408 Depth=2
	v_bcnt_u32_b32 v5, v20, 0
	v_bcnt_u32_b32 v5, v21, v5
	s_waitcnt lgkmcnt(0)
	v_add_u32_e32 v5, v107, v5
	ds_write_b32 v108, v5
.LBB2079_436:                           ;   in Loop: Header=BB2079_408 Depth=2
	s_or_b64 exec, exec, s[36:37]
	s_waitcnt vmcnt(2)
	v_cmp_lt_i16_e32 vcc, -1, v109
	v_cndmask_b32_e32 v5, -1, v66, vcc
	v_xor_b32_e32 v109, v5, v109
	v_cmp_ne_u16_e32 vcc, s68, v109
	v_cndmask_b32_e32 v5, v66, v109, vcc
	v_lshrrev_b32_sdwa v5, s69, v5 dst_sel:DWORD dst_unused:UNUSED_PAD src0_sel:DWORD src1_sel:WORD_0
	v_and_b32_e32 v20, s78, v5
	v_mul_u32_u24_e32 v5, 5, v20
	v_add_lshl_u32 v5, v5, v92, 2
	; wave barrier
	v_add_u32_e32 v112, 0x410, v5
	ds_read_b32 v111, v5 offset:1040
	v_and_b32_e32 v5, 1, v20
	v_add_co_u32_e32 v21, vcc, -1, v5
	v_addc_co_u32_e64 v113, s[36:37], 0, -1, vcc
	v_cmp_ne_u32_e32 vcc, 0, v5
	v_xor_b32_e32 v5, vcc_hi, v113
	v_and_b32_e32 v113, exec_hi, v5
	v_lshlrev_b32_e32 v5, 30, v20
	v_xor_b32_e32 v21, vcc_lo, v21
	v_cmp_gt_i64_e32 vcc, 0, v[4:5]
	v_not_b32_e32 v5, v5
	v_ashrrev_i32_e32 v5, 31, v5
	v_and_b32_e32 v21, exec_lo, v21
	v_xor_b32_e32 v114, vcc_hi, v5
	v_xor_b32_e32 v5, vcc_lo, v5
	v_and_b32_e32 v21, v21, v5
	v_lshlrev_b32_e32 v5, 29, v20
	v_cmp_gt_i64_e32 vcc, 0, v[4:5]
	v_not_b32_e32 v5, v5
	v_ashrrev_i32_e32 v5, 31, v5
	v_and_b32_e32 v113, v113, v114
	v_xor_b32_e32 v114, vcc_hi, v5
	v_xor_b32_e32 v5, vcc_lo, v5
	v_and_b32_e32 v21, v21, v5
	v_lshlrev_b32_e32 v5, 28, v20
	v_cmp_gt_i64_e32 vcc, 0, v[4:5]
	v_not_b32_e32 v5, v5
	v_ashrrev_i32_e32 v5, 31, v5
	v_and_b32_e32 v113, v113, v114
	;; [unrolled: 8-line block ×5, first 2 shown]
	v_xor_b32_e32 v114, vcc_hi, v5
	v_xor_b32_e32 v5, vcc_lo, v5
	v_and_b32_e32 v113, v113, v114
	v_and_b32_e32 v114, v21, v5
	v_lshlrev_b32_e32 v5, 24, v20
	v_cmp_gt_i64_e32 vcc, 0, v[4:5]
	v_not_b32_e32 v5, v5
	v_ashrrev_i32_e32 v5, 31, v5
	v_xor_b32_e32 v20, vcc_hi, v5
	v_xor_b32_e32 v5, vcc_lo, v5
	v_and_b32_e32 v21, v113, v20
	v_and_b32_e32 v20, v114, v5
	v_mbcnt_lo_u32_b32 v5, v20, 0
	v_mbcnt_hi_u32_b32 v113, v21, v5
	v_cmp_eq_u32_e32 vcc, 0, v113
	v_cmp_ne_u64_e64 s[36:37], 0, v[20:21]
	s_and_b64 s[38:39], s[36:37], vcc
	; wave barrier
	s_and_saveexec_b64 s[36:37], s[38:39]
	s_cbranch_execz .LBB2079_438
; %bb.437:                              ;   in Loop: Header=BB2079_408 Depth=2
	v_bcnt_u32_b32 v5, v20, 0
	v_bcnt_u32_b32 v5, v21, v5
	s_waitcnt lgkmcnt(0)
	v_add_u32_e32 v5, v111, v5
	ds_write_b32 v112, v5
.LBB2079_438:                           ;   in Loop: Header=BB2079_408 Depth=2
	s_or_b64 exec, exec, s[36:37]
	s_waitcnt vmcnt(1)
	v_cmp_lt_i16_e32 vcc, -1, v104
	v_cndmask_b32_e32 v5, -1, v66, vcc
	v_xor_b32_e32 v104, v5, v104
	v_cmp_ne_u16_e32 vcc, s68, v104
	v_cndmask_b32_e32 v5, v66, v104, vcc
	v_lshrrev_b32_sdwa v5, s69, v5 dst_sel:DWORD dst_unused:UNUSED_PAD src0_sel:DWORD src1_sel:WORD_0
	v_and_b32_e32 v20, s78, v5
	v_mul_u32_u24_e32 v5, 5, v20
	v_add_lshl_u32 v5, v5, v92, 2
	; wave barrier
	v_add_u32_e32 v115, 0x410, v5
	ds_read_b32 v114, v5 offset:1040
	v_and_b32_e32 v5, 1, v20
	v_add_co_u32_e32 v21, vcc, -1, v5
	v_addc_co_u32_e64 v116, s[36:37], 0, -1, vcc
	v_cmp_ne_u32_e32 vcc, 0, v5
	v_xor_b32_e32 v5, vcc_hi, v116
	v_and_b32_e32 v116, exec_hi, v5
	v_lshlrev_b32_e32 v5, 30, v20
	v_xor_b32_e32 v21, vcc_lo, v21
	v_cmp_gt_i64_e32 vcc, 0, v[4:5]
	v_not_b32_e32 v5, v5
	v_ashrrev_i32_e32 v5, 31, v5
	v_and_b32_e32 v21, exec_lo, v21
	v_xor_b32_e32 v117, vcc_hi, v5
	v_xor_b32_e32 v5, vcc_lo, v5
	v_and_b32_e32 v21, v21, v5
	v_lshlrev_b32_e32 v5, 29, v20
	v_cmp_gt_i64_e32 vcc, 0, v[4:5]
	v_not_b32_e32 v5, v5
	v_ashrrev_i32_e32 v5, 31, v5
	v_and_b32_e32 v116, v116, v117
	v_xor_b32_e32 v117, vcc_hi, v5
	v_xor_b32_e32 v5, vcc_lo, v5
	v_and_b32_e32 v21, v21, v5
	v_lshlrev_b32_e32 v5, 28, v20
	v_cmp_gt_i64_e32 vcc, 0, v[4:5]
	v_not_b32_e32 v5, v5
	v_ashrrev_i32_e32 v5, 31, v5
	v_and_b32_e32 v116, v116, v117
	;; [unrolled: 8-line block ×5, first 2 shown]
	v_xor_b32_e32 v117, vcc_hi, v5
	v_xor_b32_e32 v5, vcc_lo, v5
	v_and_b32_e32 v116, v116, v117
	v_and_b32_e32 v117, v21, v5
	v_lshlrev_b32_e32 v5, 24, v20
	v_cmp_gt_i64_e32 vcc, 0, v[4:5]
	v_not_b32_e32 v5, v5
	v_ashrrev_i32_e32 v5, 31, v5
	v_xor_b32_e32 v20, vcc_hi, v5
	v_xor_b32_e32 v5, vcc_lo, v5
	v_and_b32_e32 v21, v116, v20
	v_and_b32_e32 v20, v117, v5
	v_mbcnt_lo_u32_b32 v5, v20, 0
	v_mbcnt_hi_u32_b32 v116, v21, v5
	v_cmp_eq_u32_e32 vcc, 0, v116
	v_cmp_ne_u64_e64 s[36:37], 0, v[20:21]
	s_and_b64 s[38:39], s[36:37], vcc
	; wave barrier
	s_and_saveexec_b64 s[36:37], s[38:39]
	s_cbranch_execz .LBB2079_440
; %bb.439:                              ;   in Loop: Header=BB2079_408 Depth=2
	v_bcnt_u32_b32 v5, v20, 0
	v_bcnt_u32_b32 v5, v21, v5
	s_waitcnt lgkmcnt(0)
	v_add_u32_e32 v5, v114, v5
	ds_write_b32 v115, v5
.LBB2079_440:                           ;   in Loop: Header=BB2079_408 Depth=2
	s_or_b64 exec, exec, s[36:37]
	s_waitcnt vmcnt(0)
	v_cmp_lt_i16_e32 vcc, -1, v22
	v_cndmask_b32_e32 v5, -1, v66, vcc
	v_xor_b32_e32 v117, v5, v22
	v_cmp_ne_u16_e32 vcc, s68, v117
	v_cndmask_b32_e32 v5, v66, v117, vcc
	v_lshrrev_b32_sdwa v5, s69, v5 dst_sel:DWORD dst_unused:UNUSED_PAD src0_sel:DWORD src1_sel:WORD_0
	v_and_b32_e32 v20, s78, v5
	v_mul_u32_u24_e32 v5, 5, v20
	v_add_lshl_u32 v5, v5, v92, 2
	; wave barrier
	v_add_u32_e32 v119, 0x410, v5
	ds_read_b32 v118, v5 offset:1040
	v_and_b32_e32 v5, 1, v20
	v_add_co_u32_e32 v21, vcc, -1, v5
	v_addc_co_u32_e64 v22, s[36:37], 0, -1, vcc
	v_cmp_ne_u32_e32 vcc, 0, v5
	v_xor_b32_e32 v5, vcc_hi, v22
	v_and_b32_e32 v22, exec_hi, v5
	v_lshlrev_b32_e32 v5, 30, v20
	v_xor_b32_e32 v21, vcc_lo, v21
	v_cmp_gt_i64_e32 vcc, 0, v[4:5]
	v_not_b32_e32 v5, v5
	v_ashrrev_i32_e32 v5, 31, v5
	v_and_b32_e32 v21, exec_lo, v21
	v_xor_b32_e32 v120, vcc_hi, v5
	v_xor_b32_e32 v5, vcc_lo, v5
	v_and_b32_e32 v21, v21, v5
	v_lshlrev_b32_e32 v5, 29, v20
	v_cmp_gt_i64_e32 vcc, 0, v[4:5]
	v_not_b32_e32 v5, v5
	v_ashrrev_i32_e32 v5, 31, v5
	v_and_b32_e32 v22, v22, v120
	v_xor_b32_e32 v120, vcc_hi, v5
	v_xor_b32_e32 v5, vcc_lo, v5
	v_and_b32_e32 v21, v21, v5
	v_lshlrev_b32_e32 v5, 28, v20
	v_cmp_gt_i64_e32 vcc, 0, v[4:5]
	v_not_b32_e32 v5, v5
	v_ashrrev_i32_e32 v5, 31, v5
	v_and_b32_e32 v22, v22, v120
	;; [unrolled: 8-line block ×5, first 2 shown]
	v_xor_b32_e32 v120, vcc_hi, v5
	v_xor_b32_e32 v5, vcc_lo, v5
	v_and_b32_e32 v22, v22, v120
	v_and_b32_e32 v120, v21, v5
	v_lshlrev_b32_e32 v5, 24, v20
	v_cmp_gt_i64_e32 vcc, 0, v[4:5]
	v_not_b32_e32 v5, v5
	v_ashrrev_i32_e32 v5, 31, v5
	v_xor_b32_e32 v20, vcc_hi, v5
	v_xor_b32_e32 v5, vcc_lo, v5
	v_and_b32_e32 v21, v22, v20
	v_and_b32_e32 v20, v120, v5
	v_mbcnt_lo_u32_b32 v5, v20, 0
	v_mbcnt_hi_u32_b32 v120, v21, v5
	v_cmp_eq_u32_e32 vcc, 0, v120
	v_cmp_ne_u64_e64 s[36:37], 0, v[20:21]
	s_and_b64 s[38:39], s[36:37], vcc
	; wave barrier
	s_and_saveexec_b64 s[36:37], s[38:39]
	s_cbranch_execz .LBB2079_442
; %bb.441:                              ;   in Loop: Header=BB2079_408 Depth=2
	v_bcnt_u32_b32 v5, v20, 0
	v_bcnt_u32_b32 v5, v21, v5
	s_waitcnt lgkmcnt(0)
	v_add_u32_e32 v5, v118, v5
	ds_write_b32 v119, v5
.LBB2079_442:                           ;   in Loop: Header=BB2079_408 Depth=2
	s_or_b64 exec, exec, s[36:37]
	v_cmp_lt_i16_e32 vcc, -1, v23
	v_cndmask_b32_e32 v5, -1, v66, vcc
	v_xor_b32_e32 v121, v5, v23
	v_cmp_ne_u16_e32 vcc, s68, v121
	v_cndmask_b32_e32 v5, v66, v121, vcc
	v_lshrrev_b32_sdwa v5, s69, v5 dst_sel:DWORD dst_unused:UNUSED_PAD src0_sel:DWORD src1_sel:WORD_0
	v_and_b32_e32 v20, s78, v5
	v_mul_u32_u24_e32 v5, 5, v20
	v_add_lshl_u32 v5, v5, v92, 2
	; wave barrier
	v_add_u32_e32 v123, 0x410, v5
	ds_read_b32 v122, v5 offset:1040
	v_and_b32_e32 v5, 1, v20
	v_add_co_u32_e32 v21, vcc, -1, v5
	v_addc_co_u32_e64 v22, s[36:37], 0, -1, vcc
	v_cmp_ne_u32_e32 vcc, 0, v5
	v_xor_b32_e32 v5, vcc_hi, v22
	v_and_b32_e32 v22, exec_hi, v5
	v_lshlrev_b32_e32 v5, 30, v20
	v_xor_b32_e32 v21, vcc_lo, v21
	v_cmp_gt_i64_e32 vcc, 0, v[4:5]
	v_not_b32_e32 v5, v5
	v_ashrrev_i32_e32 v5, 31, v5
	v_and_b32_e32 v21, exec_lo, v21
	v_xor_b32_e32 v23, vcc_hi, v5
	v_xor_b32_e32 v5, vcc_lo, v5
	v_and_b32_e32 v21, v21, v5
	v_lshlrev_b32_e32 v5, 29, v20
	v_cmp_gt_i64_e32 vcc, 0, v[4:5]
	v_not_b32_e32 v5, v5
	v_ashrrev_i32_e32 v5, 31, v5
	v_and_b32_e32 v22, v22, v23
	v_xor_b32_e32 v23, vcc_hi, v5
	v_xor_b32_e32 v5, vcc_lo, v5
	v_and_b32_e32 v21, v21, v5
	v_lshlrev_b32_e32 v5, 28, v20
	v_cmp_gt_i64_e32 vcc, 0, v[4:5]
	v_not_b32_e32 v5, v5
	v_ashrrev_i32_e32 v5, 31, v5
	v_and_b32_e32 v22, v22, v23
	v_xor_b32_e32 v23, vcc_hi, v5
	v_xor_b32_e32 v5, vcc_lo, v5
	v_and_b32_e32 v21, v21, v5
	v_lshlrev_b32_e32 v5, 27, v20
	v_cmp_gt_i64_e32 vcc, 0, v[4:5]
	v_not_b32_e32 v5, v5
	v_ashrrev_i32_e32 v5, 31, v5
	v_and_b32_e32 v22, v22, v23
	v_xor_b32_e32 v23, vcc_hi, v5
	v_xor_b32_e32 v5, vcc_lo, v5
	v_and_b32_e32 v21, v21, v5
	v_lshlrev_b32_e32 v5, 26, v20
	v_cmp_gt_i64_e32 vcc, 0, v[4:5]
	v_not_b32_e32 v5, v5
	v_ashrrev_i32_e32 v5, 31, v5
	v_and_b32_e32 v22, v22, v23
	v_xor_b32_e32 v23, vcc_hi, v5
	v_xor_b32_e32 v5, vcc_lo, v5
	v_and_b32_e32 v21, v21, v5
	v_lshlrev_b32_e32 v5, 25, v20
	v_cmp_gt_i64_e32 vcc, 0, v[4:5]
	v_not_b32_e32 v5, v5
	v_ashrrev_i32_e32 v5, 31, v5
	v_and_b32_e32 v22, v22, v23
	v_xor_b32_e32 v23, vcc_hi, v5
	v_xor_b32_e32 v5, vcc_lo, v5
	v_and_b32_e32 v22, v22, v23
	v_and_b32_e32 v23, v21, v5
	v_lshlrev_b32_e32 v5, 24, v20
	v_cmp_gt_i64_e32 vcc, 0, v[4:5]
	v_not_b32_e32 v5, v5
	v_ashrrev_i32_e32 v5, 31, v5
	v_xor_b32_e32 v20, vcc_hi, v5
	v_xor_b32_e32 v5, vcc_lo, v5
	v_and_b32_e32 v21, v22, v20
	v_and_b32_e32 v20, v23, v5
	v_mbcnt_lo_u32_b32 v5, v20, 0
	v_mbcnt_hi_u32_b32 v124, v21, v5
	v_cmp_eq_u32_e32 vcc, 0, v124
	v_cmp_ne_u64_e64 s[36:37], 0, v[20:21]
	s_and_b64 s[38:39], s[36:37], vcc
	; wave barrier
	s_and_saveexec_b64 s[36:37], s[38:39]
	s_cbranch_execz .LBB2079_444
; %bb.443:                              ;   in Loop: Header=BB2079_408 Depth=2
	v_bcnt_u32_b32 v5, v20, 0
	v_bcnt_u32_b32 v5, v21, v5
	s_waitcnt lgkmcnt(0)
	v_add_u32_e32 v5, v122, v5
	ds_write_b32 v123, v5
.LBB2079_444:                           ;   in Loop: Header=BB2079_408 Depth=2
	s_or_b64 exec, exec, s[36:37]
	; wave barrier
	s_waitcnt lgkmcnt(0)
	s_barrier
	ds_read_b32 v5, v41 offset:1040
	ds_read2_b32 v[22:23], v43 offset0:1 offset1:2
	ds_read2_b32 v[20:21], v43 offset0:3 offset1:4
	s_waitcnt lgkmcnt(1)
	v_add3_u32 v125, v22, v5, v23
	s_waitcnt lgkmcnt(0)
	v_add3_u32 v21, v125, v20, v21
	s_nop 1
	v_mov_b32_dpp v125, v21 row_shr:1 row_mask:0xf bank_mask:0xf
	v_cndmask_b32_e64 v125, v125, 0, s[16:17]
	v_add_u32_e32 v21, v125, v21
	s_nop 1
	v_mov_b32_dpp v125, v21 row_shr:2 row_mask:0xf bank_mask:0xf
	v_cndmask_b32_e64 v125, 0, v125, s[18:19]
	v_add_u32_e32 v21, v21, v125
	;; [unrolled: 4-line block ×4, first 2 shown]
	s_nop 1
	v_mov_b32_dpp v125, v21 row_bcast:15 row_mask:0xf bank_mask:0xf
	v_cndmask_b32_e64 v125, v125, 0, s[24:25]
	v_add_u32_e32 v21, v21, v125
	s_nop 1
	v_mov_b32_dpp v125, v21 row_bcast:31 row_mask:0xf bank_mask:0xf
	v_cndmask_b32_e64 v125, 0, v125, s[26:27]
	v_add_u32_e32 v21, v21, v125
	s_and_saveexec_b64 s[36:37], s[6:7]
	s_cbranch_execz .LBB2079_446
; %bb.445:                              ;   in Loop: Header=BB2079_408 Depth=2
	ds_write_b32 v34, v21 offset:1024
.LBB2079_446:                           ;   in Loop: Header=BB2079_408 Depth=2
	s_or_b64 exec, exec, s[36:37]
	s_waitcnt lgkmcnt(0)
	s_barrier
	s_and_saveexec_b64 s[36:37], s[8:9]
	s_cbranch_execz .LBB2079_448
; %bb.447:                              ;   in Loop: Header=BB2079_408 Depth=2
	ds_read_b32 v125, v44 offset:1024
	s_waitcnt lgkmcnt(0)
	s_nop 0
	v_mov_b32_dpp v126, v125 row_shr:1 row_mask:0xf bank_mask:0xf
	v_cndmask_b32_e64 v126, v126, 0, s[30:31]
	v_add_u32_e32 v125, v126, v125
	s_nop 1
	v_mov_b32_dpp v126, v125 row_shr:2 row_mask:0xf bank_mask:0xf
	v_cndmask_b32_e64 v126, 0, v126, s[34:35]
	v_add_u32_e32 v125, v125, v126
	ds_write_b32 v44, v125 offset:1024
.LBB2079_448:                           ;   in Loop: Header=BB2079_408 Depth=2
	s_or_b64 exec, exec, s[36:37]
	v_mov_b32_e32 v125, 0
	s_waitcnt lgkmcnt(0)
	s_barrier
	s_and_saveexec_b64 s[36:37], s[10:11]
	s_cbranch_execz .LBB2079_450
; %bb.449:                              ;   in Loop: Header=BB2079_408 Depth=2
	ds_read_b32 v125, v34 offset:1020
.LBB2079_450:                           ;   in Loop: Header=BB2079_408 Depth=2
	s_or_b64 exec, exec, s[36:37]
	s_waitcnt lgkmcnt(0)
	v_add_u32_e32 v21, v125, v21
	ds_bpermute_b32 v21, v69, v21
	s_waitcnt lgkmcnt(0)
	v_cndmask_b32_e64 v21, v21, v125, s[28:29]
	v_cndmask_b32_e64 v21, v21, 0, s[12:13]
	v_add_u32_e32 v5, v21, v5
	ds_write_b32 v41, v21 offset:1040
	v_add_u32_e32 v21, v5, v22
	v_add_u32_e32 v22, v21, v23
	ds_write2_b32 v43, v5, v21 offset0:1 offset1:2
	v_add_u32_e32 v5, v22, v20
	ds_write2_b32 v43, v22, v5 offset0:3 offset1:4
	s_waitcnt lgkmcnt(0)
	s_barrier
	ds_read_b32 v20, v99
	ds_read_b32 v21, v103
	;; [unrolled: 1-line block ×8, first 2 shown]
	ds_read_b32 v99, v41 offset:1040
	v_mov_b32_e32 v5, 0x800
	s_and_saveexec_b64 s[36:37], s[14:15]
	s_cbranch_execz .LBB2079_452
; %bb.451:                              ;   in Loop: Header=BB2079_408 Depth=2
	ds_read_b32 v5, v41 offset:1060
.LBB2079_452:                           ;   in Loop: Header=BB2079_408 Depth=2
	s_or_b64 exec, exec, s[36:37]
	s_waitcnt lgkmcnt(0)
	s_barrier
	s_and_saveexec_b64 s[36:37], s[4:5]
	s_cbranch_execz .LBB2079_454
; %bb.453:                              ;   in Loop: Header=BB2079_408 Depth=2
	ds_read_b32 v103, v3
	s_waitcnt lgkmcnt(0)
	v_sub_u32_e32 v99, v103, v99
	ds_write_b32 v3, v99
.LBB2079_454:                           ;   in Loop: Header=BB2079_408 Depth=2
	s_or_b64 exec, exec, s[36:37]
	v_add_u32_e32 v103, v95, v96
	v_add3_u32 v100, v100, v98, v20
	v_lshlrev_b32_e32 v20, 1, v103
	v_add3_u32 v99, v105, v102, v21
	ds_write_b16 v20, v94 offset:1024
	v_lshlrev_b32_e32 v20, 1, v100
	v_add3_u32 v98, v110, v107, v22
	ds_write_b16 v20, v97 offset:1024
	;; [unrolled: 3-line block ×6, first 2 shown]
	v_lshlrev_b32_e32 v20, 1, v23
	ds_write_b16 v20, v117 offset:1024
	v_lshlrev_b32_e32 v20, 1, v22
	v_cmp_lt_u32_e32 vcc, v2, v93
	ds_write_b16 v20, v121 offset:1024
	s_waitcnt lgkmcnt(0)
	s_barrier
	s_and_saveexec_b64 s[38:39], vcc
	s_cbranch_execz .LBB2079_462
; %bb.455:                              ;   in Loop: Header=BB2079_408 Depth=2
	ds_read_u16 v20, v49 offset:1024
	v_mov_b32_e32 v21, v4
	v_mov_b32_e32 v97, s59
	s_waitcnt lgkmcnt(0)
	v_cmp_ne_u16_e64 s[36:37], s68, v20
	v_cndmask_b32_e64 v94, v66, v20, s[36:37]
	v_lshrrev_b32_sdwa v94, s69, v94 dst_sel:DWORD dst_unused:UNUSED_PAD src0_sel:DWORD src1_sel:WORD_0
	v_and_b32_e32 v94, s78, v94
	v_lshlrev_b32_e32 v94, 2, v94
	ds_read_b32 v94, v94
	v_cmp_lt_i16_e64 s[36:37], -1, v20
	v_cndmask_b32_e64 v101, v66, -1, s[36:37]
	v_xor_b32_e32 v101, v101, v20
	s_waitcnt lgkmcnt(0)
	v_add_u32_e32 v20, v94, v2
	v_lshlrev_b64 v[20:21], 1, v[20:21]
	v_add_co_u32_e64 v20, s[36:37], s58, v20
	v_addc_co_u32_e64 v21, s[36:37], v97, v21, s[36:37]
	global_store_short v[20:21], v101, off
	s_or_b64 exec, exec, s[38:39]
	v_cmp_lt_u32_e64 s[36:37], v24, v93
	s_and_saveexec_b64 s[40:41], s[36:37]
	s_cbranch_execnz .LBB2079_463
.LBB2079_456:                           ;   in Loop: Header=BB2079_408 Depth=2
	s_or_b64 exec, exec, s[40:41]
	v_cmp_lt_u32_e64 s[38:39], v25, v93
	s_and_saveexec_b64 s[42:43], s[38:39]
	s_cbranch_execz .LBB2079_464
.LBB2079_457:                           ;   in Loop: Header=BB2079_408 Depth=2
	ds_read_u16 v20, v50 offset:1024
	v_mov_b32_e32 v21, v4
	v_mov_b32_e32 v97, s59
	s_waitcnt lgkmcnt(0)
	v_cmp_ne_u16_e64 s[40:41], s68, v20
	v_cndmask_b32_e64 v94, v66, v20, s[40:41]
	v_lshrrev_b32_sdwa v94, s69, v94 dst_sel:DWORD dst_unused:UNUSED_PAD src0_sel:DWORD src1_sel:WORD_0
	v_and_b32_e32 v94, s78, v94
	v_lshlrev_b32_e32 v94, 2, v94
	ds_read_b32 v94, v94
	v_cmp_lt_i16_e64 s[40:41], -1, v20
	v_cndmask_b32_e64 v101, v66, -1, s[40:41]
	v_xor_b32_e32 v101, v101, v20
	s_waitcnt lgkmcnt(0)
	v_add_u32_e32 v20, v94, v25
	v_lshlrev_b64 v[20:21], 1, v[20:21]
	v_add_co_u32_e64 v20, s[40:41], s58, v20
	v_addc_co_u32_e64 v21, s[40:41], v97, v21, s[40:41]
	global_store_short v[20:21], v101, off
	s_or_b64 exec, exec, s[42:43]
	v_cmp_lt_u32_e64 s[40:41], v26, v93
	s_and_saveexec_b64 s[44:45], s[40:41]
	s_cbranch_execnz .LBB2079_465
.LBB2079_458:                           ;   in Loop: Header=BB2079_408 Depth=2
	s_or_b64 exec, exec, s[44:45]
	v_cmp_lt_u32_e64 s[42:43], v29, v93
	s_and_saveexec_b64 s[46:47], s[42:43]
	s_cbranch_execz .LBB2079_466
.LBB2079_459:                           ;   in Loop: Header=BB2079_408 Depth=2
	ds_read_u16 v20, v50 offset:2048
	v_mov_b32_e32 v21, v4
	v_mov_b32_e32 v97, s59
	s_waitcnt lgkmcnt(0)
	v_cmp_ne_u16_e64 s[44:45], s68, v20
	v_cndmask_b32_e64 v94, v66, v20, s[44:45]
	v_lshrrev_b32_sdwa v94, s69, v94 dst_sel:DWORD dst_unused:UNUSED_PAD src0_sel:DWORD src1_sel:WORD_0
	v_and_b32_e32 v94, s78, v94
	v_lshlrev_b32_e32 v94, 2, v94
	ds_read_b32 v94, v94
	v_cmp_lt_i16_e64 s[44:45], -1, v20
	v_cndmask_b32_e64 v101, v66, -1, s[44:45]
	v_xor_b32_e32 v101, v101, v20
	s_waitcnt lgkmcnt(0)
	v_add_u32_e32 v20, v94, v29
	v_lshlrev_b64 v[20:21], 1, v[20:21]
	v_add_co_u32_e64 v20, s[44:45], s58, v20
	v_addc_co_u32_e64 v21, s[44:45], v97, v21, s[44:45]
	global_store_short v[20:21], v101, off
	s_or_b64 exec, exec, s[46:47]
	v_cmp_lt_u32_e64 s[44:45], v30, v93
	s_and_saveexec_b64 s[48:49], s[44:45]
	s_cbranch_execnz .LBB2079_467
.LBB2079_460:                           ;   in Loop: Header=BB2079_408 Depth=2
	s_or_b64 exec, exec, s[48:49]
	v_cmp_lt_u32_e64 s[46:47], v31, v93
	s_and_saveexec_b64 s[52:53], s[46:47]
	s_cbranch_execz .LBB2079_468
.LBB2079_461:                           ;   in Loop: Header=BB2079_408 Depth=2
	ds_read_u16 v20, v50 offset:3072
	v_mov_b32_e32 v21, v4
	v_mov_b32_e32 v97, s59
	s_waitcnt lgkmcnt(0)
	v_cmp_ne_u16_e64 s[48:49], s68, v20
	v_cndmask_b32_e64 v94, v66, v20, s[48:49]
	v_lshrrev_b32_sdwa v94, s69, v94 dst_sel:DWORD dst_unused:UNUSED_PAD src0_sel:DWORD src1_sel:WORD_0
	v_and_b32_e32 v94, s78, v94
	v_lshlrev_b32_e32 v94, 2, v94
	ds_read_b32 v94, v94
	v_cmp_lt_i16_e64 s[48:49], -1, v20
	v_cndmask_b32_e64 v101, v66, -1, s[48:49]
	v_xor_b32_e32 v101, v101, v20
	s_waitcnt lgkmcnt(0)
	v_add_u32_e32 v20, v94, v31
	v_lshlrev_b64 v[20:21], 1, v[20:21]
	v_add_co_u32_e64 v20, s[48:49], s58, v20
	v_addc_co_u32_e64 v21, s[48:49], v97, v21, s[48:49]
	global_store_short v[20:21], v101, off
	s_or_b64 exec, exec, s[52:53]
	v_cmp_lt_u32_e64 s[48:49], v32, v93
	s_and_saveexec_b64 s[62:63], s[48:49]
	s_cbranch_execnz .LBB2079_469
	s_branch .LBB2079_470
.LBB2079_462:                           ;   in Loop: Header=BB2079_408 Depth=2
	s_or_b64 exec, exec, s[38:39]
	v_cmp_lt_u32_e64 s[36:37], v24, v93
	s_and_saveexec_b64 s[40:41], s[36:37]
	s_cbranch_execz .LBB2079_456
.LBB2079_463:                           ;   in Loop: Header=BB2079_408 Depth=2
	ds_read_u16 v20, v50 offset:512
	v_mov_b32_e32 v21, v4
	v_mov_b32_e32 v97, s59
	s_waitcnt lgkmcnt(0)
	v_cmp_ne_u16_e64 s[38:39], s68, v20
	v_cndmask_b32_e64 v94, v66, v20, s[38:39]
	v_lshrrev_b32_sdwa v94, s69, v94 dst_sel:DWORD dst_unused:UNUSED_PAD src0_sel:DWORD src1_sel:WORD_0
	v_and_b32_e32 v94, s78, v94
	v_lshlrev_b32_e32 v94, 2, v94
	ds_read_b32 v94, v94
	v_cmp_lt_i16_e64 s[38:39], -1, v20
	v_cndmask_b32_e64 v101, v66, -1, s[38:39]
	v_xor_b32_e32 v101, v101, v20
	s_waitcnt lgkmcnt(0)
	v_add_u32_e32 v20, v94, v24
	v_lshlrev_b64 v[20:21], 1, v[20:21]
	v_add_co_u32_e64 v20, s[38:39], s58, v20
	v_addc_co_u32_e64 v21, s[38:39], v97, v21, s[38:39]
	global_store_short v[20:21], v101, off
	s_or_b64 exec, exec, s[40:41]
	v_cmp_lt_u32_e64 s[38:39], v25, v93
	s_and_saveexec_b64 s[42:43], s[38:39]
	s_cbranch_execnz .LBB2079_457
.LBB2079_464:                           ;   in Loop: Header=BB2079_408 Depth=2
	s_or_b64 exec, exec, s[42:43]
	v_cmp_lt_u32_e64 s[40:41], v26, v93
	s_and_saveexec_b64 s[44:45], s[40:41]
	s_cbranch_execz .LBB2079_458
.LBB2079_465:                           ;   in Loop: Header=BB2079_408 Depth=2
	ds_read_u16 v20, v50 offset:1536
	v_mov_b32_e32 v21, v4
	v_mov_b32_e32 v97, s59
	s_waitcnt lgkmcnt(0)
	v_cmp_ne_u16_e64 s[42:43], s68, v20
	v_cndmask_b32_e64 v94, v66, v20, s[42:43]
	v_lshrrev_b32_sdwa v94, s69, v94 dst_sel:DWORD dst_unused:UNUSED_PAD src0_sel:DWORD src1_sel:WORD_0
	v_and_b32_e32 v94, s78, v94
	v_lshlrev_b32_e32 v94, 2, v94
	ds_read_b32 v94, v94
	v_cmp_lt_i16_e64 s[42:43], -1, v20
	v_cndmask_b32_e64 v101, v66, -1, s[42:43]
	v_xor_b32_e32 v101, v101, v20
	s_waitcnt lgkmcnt(0)
	v_add_u32_e32 v20, v94, v26
	v_lshlrev_b64 v[20:21], 1, v[20:21]
	v_add_co_u32_e64 v20, s[42:43], s58, v20
	v_addc_co_u32_e64 v21, s[42:43], v97, v21, s[42:43]
	global_store_short v[20:21], v101, off
	s_or_b64 exec, exec, s[44:45]
	v_cmp_lt_u32_e64 s[42:43], v29, v93
	s_and_saveexec_b64 s[46:47], s[42:43]
	s_cbranch_execnz .LBB2079_459
.LBB2079_466:                           ;   in Loop: Header=BB2079_408 Depth=2
	s_or_b64 exec, exec, s[46:47]
	v_cmp_lt_u32_e64 s[44:45], v30, v93
	s_and_saveexec_b64 s[48:49], s[44:45]
	s_cbranch_execz .LBB2079_460
.LBB2079_467:                           ;   in Loop: Header=BB2079_408 Depth=2
	ds_read_u16 v20, v50 offset:2560
	v_mov_b32_e32 v21, v4
	v_mov_b32_e32 v97, s59
	s_waitcnt lgkmcnt(0)
	v_cmp_ne_u16_e64 s[46:47], s68, v20
	v_cndmask_b32_e64 v94, v66, v20, s[46:47]
	v_lshrrev_b32_sdwa v94, s69, v94 dst_sel:DWORD dst_unused:UNUSED_PAD src0_sel:DWORD src1_sel:WORD_0
	v_and_b32_e32 v94, s78, v94
	v_lshlrev_b32_e32 v94, 2, v94
	ds_read_b32 v94, v94
	v_cmp_lt_i16_e64 s[46:47], -1, v20
	v_cndmask_b32_e64 v101, v66, -1, s[46:47]
	v_xor_b32_e32 v101, v101, v20
	s_waitcnt lgkmcnt(0)
	v_add_u32_e32 v20, v94, v30
	v_lshlrev_b64 v[20:21], 1, v[20:21]
	v_add_co_u32_e64 v20, s[46:47], s58, v20
	v_addc_co_u32_e64 v21, s[46:47], v97, v21, s[46:47]
	global_store_short v[20:21], v101, off
	s_or_b64 exec, exec, s[48:49]
	v_cmp_lt_u32_e64 s[46:47], v31, v93
	s_and_saveexec_b64 s[52:53], s[46:47]
	s_cbranch_execnz .LBB2079_461
.LBB2079_468:                           ;   in Loop: Header=BB2079_408 Depth=2
	s_or_b64 exec, exec, s[52:53]
	v_cmp_lt_u32_e64 s[48:49], v32, v93
	s_and_saveexec_b64 s[62:63], s[48:49]
	s_cbranch_execz .LBB2079_470
.LBB2079_469:                           ;   in Loop: Header=BB2079_408 Depth=2
	ds_read_u16 v20, v50 offset:3584
	v_mov_b32_e32 v21, v4
	v_mov_b32_e32 v97, s59
	s_waitcnt lgkmcnt(0)
	v_cmp_ne_u16_e64 s[52:53], s68, v20
	v_cndmask_b32_e64 v94, v66, v20, s[52:53]
	v_lshrrev_b32_sdwa v94, s69, v94 dst_sel:DWORD dst_unused:UNUSED_PAD src0_sel:DWORD src1_sel:WORD_0
	v_and_b32_e32 v94, s78, v94
	v_lshlrev_b32_e32 v94, 2, v94
	ds_read_b32 v94, v94
	v_cmp_lt_i16_e64 s[52:53], -1, v20
	v_cndmask_b32_e64 v101, v66, -1, s[52:53]
	v_xor_b32_e32 v101, v101, v20
	s_waitcnt lgkmcnt(0)
	v_add_u32_e32 v20, v94, v32
	v_lshlrev_b64 v[20:21], 1, v[20:21]
	v_add_co_u32_e64 v20, s[52:53], s58, v20
	v_addc_co_u32_e64 v21, s[52:53], v97, v21, s[52:53]
	global_store_short v[20:21], v101, off
.LBB2079_470:                           ;   in Loop: Header=BB2079_408 Depth=2
	s_or_b64 exec, exec, s[62:63]
	s_lshl_b64 s[52:53], s[72:73], 3
	v_mov_b32_e32 v21, s53
	v_add_co_u32_e64 v20, s[52:53], s52, v77
	v_addc_co_u32_e64 v21, s[52:53], v79, v21, s[52:53]
	v_cmp_lt_u32_e64 s[52:53], v74, v93
	s_and_saveexec_b64 s[62:63], s[52:53]
	s_xor_b64 s[52:53], exec, s[62:63]
	s_cbranch_execz .LBB2079_486
; %bb.471:                              ;   in Loop: Header=BB2079_408 Depth=2
	global_load_dwordx2 v[18:19], v[20:21], off
	s_or_b64 exec, exec, s[52:53]
	v_cmp_lt_u32_e64 s[52:53], v81, v93
	s_and_saveexec_b64 s[62:63], s[52:53]
	s_cbranch_execnz .LBB2079_487
.LBB2079_472:                           ;   in Loop: Header=BB2079_408 Depth=2
	s_or_b64 exec, exec, s[62:63]
	v_cmp_lt_u32_e64 s[52:53], v82, v93
	s_and_saveexec_b64 s[62:63], s[52:53]
	s_cbranch_execz .LBB2079_488
.LBB2079_473:                           ;   in Loop: Header=BB2079_408 Depth=2
	global_load_dwordx2 v[14:15], v[20:21], off offset:1024
	s_or_b64 exec, exec, s[62:63]
	v_cmp_lt_u32_e64 s[52:53], v83, v93
	s_and_saveexec_b64 s[62:63], s[52:53]
	s_cbranch_execnz .LBB2079_489
.LBB2079_474:                           ;   in Loop: Header=BB2079_408 Depth=2
	s_or_b64 exec, exec, s[62:63]
	v_cmp_lt_u32_e64 s[52:53], v84, v93
	s_and_saveexec_b64 s[62:63], s[52:53]
	s_cbranch_execz .LBB2079_490
.LBB2079_475:                           ;   in Loop: Header=BB2079_408 Depth=2
	global_load_dwordx2 v[10:11], v[20:21], off offset:2048
	s_or_b64 exec, exec, s[62:63]
	v_cmp_lt_u32_e64 s[52:53], v85, v93
	s_and_saveexec_b64 s[62:63], s[52:53]
	s_cbranch_execnz .LBB2079_491
.LBB2079_476:                           ;   in Loop: Header=BB2079_408 Depth=2
	s_or_b64 exec, exec, s[62:63]
	v_cmp_lt_u32_e64 s[52:53], v86, v93
	s_and_saveexec_b64 s[62:63], s[52:53]
	s_cbranch_execz .LBB2079_492
.LBB2079_477:                           ;   in Loop: Header=BB2079_408 Depth=2
	global_load_dwordx2 v[6:7], v[20:21], off offset:3072
	s_or_b64 exec, exec, s[62:63]
	v_cmp_lt_u32_e64 s[52:53], v87, v93
	s_and_saveexec_b64 s[62:63], s[52:53]
	s_cbranch_execnz .LBB2079_493
.LBB2079_478:                           ;   in Loop: Header=BB2079_408 Depth=2
	s_or_b64 exec, exec, s[62:63]
	s_and_saveexec_b64 s[62:63], vcc
	s_cbranch_execz .LBB2079_494
.LBB2079_479:                           ;   in Loop: Header=BB2079_408 Depth=2
	ds_read_u16 v20, v49 offset:1024
	s_waitcnt lgkmcnt(0)
	v_cmp_ne_u16_e64 s[52:53], s68, v20
	v_cndmask_b32_e64 v20, v66, v20, s[52:53]
	v_lshrrev_b32_sdwa v20, s69, v20 dst_sel:DWORD dst_unused:UNUSED_PAD src0_sel:DWORD src1_sel:WORD_0
	v_and_b32_e32 v80, s78, v20
	s_or_b64 exec, exec, s[62:63]
	s_and_saveexec_b64 s[62:63], s[36:37]
	s_cbranch_execnz .LBB2079_495
.LBB2079_480:                           ;   in Loop: Header=BB2079_408 Depth=2
	s_or_b64 exec, exec, s[62:63]
	s_and_saveexec_b64 s[62:63], s[38:39]
	s_cbranch_execz .LBB2079_496
.LBB2079_481:                           ;   in Loop: Header=BB2079_408 Depth=2
	ds_read_u16 v20, v50 offset:1024
	s_waitcnt lgkmcnt(0)
	v_cmp_ne_u16_e64 s[52:53], s68, v20
	v_cndmask_b32_e64 v20, v66, v20, s[52:53]
	v_lshrrev_b32_sdwa v20, s69, v20 dst_sel:DWORD dst_unused:UNUSED_PAD src0_sel:DWORD src1_sel:WORD_0
	v_and_b32_e32 v76, s78, v20
	s_or_b64 exec, exec, s[62:63]
	s_and_saveexec_b64 s[62:63], s[40:41]
	s_cbranch_execnz .LBB2079_497
.LBB2079_482:                           ;   in Loop: Header=BB2079_408 Depth=2
	s_or_b64 exec, exec, s[62:63]
	s_and_saveexec_b64 s[62:63], s[42:43]
	s_cbranch_execz .LBB2079_498
.LBB2079_483:                           ;   in Loop: Header=BB2079_408 Depth=2
	ds_read_u16 v20, v50 offset:2048
	s_waitcnt lgkmcnt(0)
	v_cmp_ne_u16_e64 s[52:53], s68, v20
	v_cndmask_b32_e64 v20, v66, v20, s[52:53]
	v_lshrrev_b32_sdwa v20, s69, v20 dst_sel:DWORD dst_unused:UNUSED_PAD src0_sel:DWORD src1_sel:WORD_0
	v_and_b32_e32 v73, s78, v20
	s_or_b64 exec, exec, s[62:63]
	s_and_saveexec_b64 s[62:63], s[44:45]
	s_cbranch_execnz .LBB2079_499
.LBB2079_484:                           ;   in Loop: Header=BB2079_408 Depth=2
	s_or_b64 exec, exec, s[62:63]
	s_and_saveexec_b64 s[62:63], s[46:47]
	s_cbranch_execz .LBB2079_500
.LBB2079_485:                           ;   in Loop: Header=BB2079_408 Depth=2
	ds_read_u16 v20, v50 offset:3072
	s_waitcnt lgkmcnt(0)
	v_cmp_ne_u16_e64 s[52:53], s68, v20
	v_cndmask_b32_e64 v20, v66, v20, s[52:53]
	v_lshrrev_b32_sdwa v20, s69, v20 dst_sel:DWORD dst_unused:UNUSED_PAD src0_sel:DWORD src1_sel:WORD_0
	v_and_b32_e32 v71, s78, v20
	s_or_b64 exec, exec, s[62:63]
	s_and_saveexec_b64 s[62:63], s[48:49]
	s_cbranch_execnz .LBB2079_501
	s_branch .LBB2079_502
.LBB2079_486:                           ;   in Loop: Header=BB2079_408 Depth=2
	s_or_b64 exec, exec, s[52:53]
	v_cmp_lt_u32_e64 s[52:53], v81, v93
	s_and_saveexec_b64 s[62:63], s[52:53]
	s_cbranch_execz .LBB2079_472
.LBB2079_487:                           ;   in Loop: Header=BB2079_408 Depth=2
	global_load_dwordx2 v[16:17], v[20:21], off offset:512
	s_or_b64 exec, exec, s[62:63]
	v_cmp_lt_u32_e64 s[52:53], v82, v93
	s_and_saveexec_b64 s[62:63], s[52:53]
	s_cbranch_execnz .LBB2079_473
.LBB2079_488:                           ;   in Loop: Header=BB2079_408 Depth=2
	s_or_b64 exec, exec, s[62:63]
	v_cmp_lt_u32_e64 s[52:53], v83, v93
	s_and_saveexec_b64 s[62:63], s[52:53]
	s_cbranch_execz .LBB2079_474
.LBB2079_489:                           ;   in Loop: Header=BB2079_408 Depth=2
	global_load_dwordx2 v[12:13], v[20:21], off offset:1536
	s_or_b64 exec, exec, s[62:63]
	v_cmp_lt_u32_e64 s[52:53], v84, v93
	s_and_saveexec_b64 s[62:63], s[52:53]
	s_cbranch_execnz .LBB2079_475
.LBB2079_490:                           ;   in Loop: Header=BB2079_408 Depth=2
	s_or_b64 exec, exec, s[62:63]
	v_cmp_lt_u32_e64 s[52:53], v85, v93
	s_and_saveexec_b64 s[62:63], s[52:53]
	s_cbranch_execz .LBB2079_476
.LBB2079_491:                           ;   in Loop: Header=BB2079_408 Depth=2
	global_load_dwordx2 v[8:9], v[20:21], off offset:2560
	s_or_b64 exec, exec, s[62:63]
	v_cmp_lt_u32_e64 s[52:53], v86, v93
	s_and_saveexec_b64 s[62:63], s[52:53]
	s_cbranch_execnz .LBB2079_477
.LBB2079_492:                           ;   in Loop: Header=BB2079_408 Depth=2
	s_or_b64 exec, exec, s[62:63]
	v_cmp_lt_u32_e64 s[52:53], v87, v93
	s_and_saveexec_b64 s[62:63], s[52:53]
	s_cbranch_execz .LBB2079_478
.LBB2079_493:                           ;   in Loop: Header=BB2079_408 Depth=2
	global_load_dwordx2 v[0:1], v[20:21], off offset:3584
	s_or_b64 exec, exec, s[62:63]
	s_and_saveexec_b64 s[62:63], vcc
	s_cbranch_execnz .LBB2079_479
.LBB2079_494:                           ;   in Loop: Header=BB2079_408 Depth=2
	s_or_b64 exec, exec, s[62:63]
	s_and_saveexec_b64 s[62:63], s[36:37]
	s_cbranch_execz .LBB2079_480
.LBB2079_495:                           ;   in Loop: Header=BB2079_408 Depth=2
	ds_read_u16 v20, v50 offset:512
	s_waitcnt lgkmcnt(0)
	v_cmp_ne_u16_e64 s[52:53], s68, v20
	v_cndmask_b32_e64 v20, v66, v20, s[52:53]
	v_lshrrev_b32_sdwa v20, s69, v20 dst_sel:DWORD dst_unused:UNUSED_PAD src0_sel:DWORD src1_sel:WORD_0
	v_and_b32_e32 v78, s78, v20
	s_or_b64 exec, exec, s[62:63]
	s_and_saveexec_b64 s[62:63], s[38:39]
	s_cbranch_execnz .LBB2079_481
.LBB2079_496:                           ;   in Loop: Header=BB2079_408 Depth=2
	s_or_b64 exec, exec, s[62:63]
	s_and_saveexec_b64 s[62:63], s[40:41]
	s_cbranch_execz .LBB2079_482
.LBB2079_497:                           ;   in Loop: Header=BB2079_408 Depth=2
	ds_read_u16 v20, v50 offset:1536
	s_waitcnt lgkmcnt(0)
	v_cmp_ne_u16_e64 s[52:53], s68, v20
	v_cndmask_b32_e64 v20, v66, v20, s[52:53]
	v_lshrrev_b32_sdwa v20, s69, v20 dst_sel:DWORD dst_unused:UNUSED_PAD src0_sel:DWORD src1_sel:WORD_0
	v_and_b32_e32 v75, s78, v20
	s_or_b64 exec, exec, s[62:63]
	s_and_saveexec_b64 s[62:63], s[42:43]
	s_cbranch_execnz .LBB2079_483
.LBB2079_498:                           ;   in Loop: Header=BB2079_408 Depth=2
	s_or_b64 exec, exec, s[62:63]
	s_and_saveexec_b64 s[62:63], s[44:45]
	s_cbranch_execz .LBB2079_484
.LBB2079_499:                           ;   in Loop: Header=BB2079_408 Depth=2
	ds_read_u16 v20, v50 offset:2560
	s_waitcnt lgkmcnt(0)
	v_cmp_ne_u16_e64 s[52:53], s68, v20
	v_cndmask_b32_e64 v20, v66, v20, s[52:53]
	v_lshrrev_b32_sdwa v20, s69, v20 dst_sel:DWORD dst_unused:UNUSED_PAD src0_sel:DWORD src1_sel:WORD_0
	v_and_b32_e32 v72, s78, v20
	s_or_b64 exec, exec, s[62:63]
	s_and_saveexec_b64 s[62:63], s[46:47]
	s_cbranch_execnz .LBB2079_485
.LBB2079_500:                           ;   in Loop: Header=BB2079_408 Depth=2
	s_or_b64 exec, exec, s[62:63]
	s_and_saveexec_b64 s[62:63], s[48:49]
	s_cbranch_execz .LBB2079_502
.LBB2079_501:                           ;   in Loop: Header=BB2079_408 Depth=2
	ds_read_u16 v20, v50 offset:3584
	s_waitcnt lgkmcnt(0)
	v_cmp_ne_u16_e64 s[52:53], s68, v20
	v_cndmask_b32_e64 v20, v66, v20, s[52:53]
	v_lshrrev_b32_sdwa v20, s69, v20 dst_sel:DWORD dst_unused:UNUSED_PAD src0_sel:DWORD src1_sel:WORD_0
	v_and_b32_e32 v70, s78, v20
.LBB2079_502:                           ;   in Loop: Header=BB2079_408 Depth=2
	s_or_b64 exec, exec, s[62:63]
	v_lshlrev_b32_e32 v20, 3, v103
	s_barrier
	s_waitcnt vmcnt(0)
	ds_write_b64 v20, v[18:19] offset:1024
	v_lshlrev_b32_e32 v20, 3, v100
	ds_write_b64 v20, v[16:17] offset:1024
	v_lshlrev_b32_e32 v20, 3, v99
	;; [unrolled: 2-line block ×7, first 2 shown]
	ds_write_b64 v20, v[0:1] offset:1024
	s_waitcnt lgkmcnt(0)
	s_barrier
	s_and_saveexec_b64 s[52:53], vcc
	s_cbranch_execz .LBB2079_510
; %bb.503:                              ;   in Loop: Header=BB2079_408 Depth=2
	v_lshlrev_b32_e32 v20, 2, v80
	ds_read_b32 v20, v20
	v_add_u32_e32 v22, v49, v51
	ds_read_b64 v[22:23], v22 offset:1024
	v_mov_b32_e32 v21, v4
	v_mov_b32_e32 v93, s65
	s_waitcnt lgkmcnt(1)
	v_add_u32_e32 v20, v20, v2
	v_lshlrev_b64 v[20:21], 3, v[20:21]
	v_add_co_u32_e32 v20, vcc, s64, v20
	v_addc_co_u32_e32 v21, vcc, v93, v21, vcc
	s_waitcnt lgkmcnt(0)
	global_store_dwordx2 v[20:21], v[22:23], off
	s_or_b64 exec, exec, s[52:53]
	s_and_saveexec_b64 s[52:53], s[36:37]
	s_cbranch_execnz .LBB2079_511
.LBB2079_504:                           ;   in Loop: Header=BB2079_408 Depth=2
	s_or_b64 exec, exec, s[52:53]
	s_and_saveexec_b64 s[36:37], s[38:39]
	s_cbranch_execz .LBB2079_512
.LBB2079_505:                           ;   in Loop: Header=BB2079_408 Depth=2
	v_lshlrev_b32_e32 v20, 2, v76
	ds_read_b32 v22, v20
	v_add_u32_e32 v20, v50, v51
	ds_read_b64 v[20:21], v20 offset:4096
	v_mov_b32_e32 v23, v4
	v_mov_b32_e32 v93, s65
	s_waitcnt lgkmcnt(1)
	v_add_u32_e32 v22, v22, v25
	v_lshlrev_b64 v[22:23], 3, v[22:23]
	v_add_co_u32_e32 v22, vcc, s64, v22
	v_addc_co_u32_e32 v23, vcc, v93, v23, vcc
	s_waitcnt lgkmcnt(0)
	global_store_dwordx2 v[22:23], v[20:21], off
	s_or_b64 exec, exec, s[36:37]
	s_and_saveexec_b64 s[36:37], s[40:41]
	s_cbranch_execnz .LBB2079_513
.LBB2079_506:                           ;   in Loop: Header=BB2079_408 Depth=2
	s_or_b64 exec, exec, s[36:37]
	s_and_saveexec_b64 s[36:37], s[42:43]
	s_cbranch_execz .LBB2079_514
.LBB2079_507:                           ;   in Loop: Header=BB2079_408 Depth=2
	v_lshlrev_b32_e32 v20, 2, v73
	ds_read_b32 v22, v20
	v_add_u32_e32 v20, v50, v51
	ds_read_b64 v[20:21], v20 offset:8192
	v_mov_b32_e32 v23, v4
	v_mov_b32_e32 v93, s65
	s_waitcnt lgkmcnt(1)
	v_add_u32_e32 v22, v22, v29
	v_lshlrev_b64 v[22:23], 3, v[22:23]
	v_add_co_u32_e32 v22, vcc, s64, v22
	v_addc_co_u32_e32 v23, vcc, v93, v23, vcc
	s_waitcnt lgkmcnt(0)
	global_store_dwordx2 v[22:23], v[20:21], off
	s_or_b64 exec, exec, s[36:37]
	s_and_saveexec_b64 s[36:37], s[44:45]
	s_cbranch_execnz .LBB2079_515
.LBB2079_508:                           ;   in Loop: Header=BB2079_408 Depth=2
	s_or_b64 exec, exec, s[36:37]
	s_and_saveexec_b64 s[36:37], s[46:47]
	s_cbranch_execz .LBB2079_516
.LBB2079_509:                           ;   in Loop: Header=BB2079_408 Depth=2
	v_lshlrev_b32_e32 v20, 2, v71
	ds_read_b32 v22, v20
	v_add_u32_e32 v20, v50, v51
	ds_read_b64 v[20:21], v20 offset:12288
	v_mov_b32_e32 v23, v4
	v_mov_b32_e32 v93, s65
	s_waitcnt lgkmcnt(1)
	v_add_u32_e32 v22, v22, v31
	v_lshlrev_b64 v[22:23], 3, v[22:23]
	v_add_co_u32_e32 v22, vcc, s64, v22
	v_addc_co_u32_e32 v23, vcc, v93, v23, vcc
	s_waitcnt lgkmcnt(0)
	global_store_dwordx2 v[22:23], v[20:21], off
	s_or_b64 exec, exec, s[36:37]
	s_and_saveexec_b64 s[36:37], s[48:49]
	s_cbranch_execnz .LBB2079_517
	s_branch .LBB2079_518
.LBB2079_510:                           ;   in Loop: Header=BB2079_408 Depth=2
	s_or_b64 exec, exec, s[52:53]
	s_and_saveexec_b64 s[52:53], s[36:37]
	s_cbranch_execz .LBB2079_504
.LBB2079_511:                           ;   in Loop: Header=BB2079_408 Depth=2
	v_lshlrev_b32_e32 v20, 2, v78
	ds_read_b32 v22, v20
	v_add_u32_e32 v20, v50, v51
	ds_read_b64 v[20:21], v20 offset:2048
	v_mov_b32_e32 v23, v4
	v_mov_b32_e32 v93, s65
	s_waitcnt lgkmcnt(1)
	v_add_u32_e32 v22, v22, v24
	v_lshlrev_b64 v[22:23], 3, v[22:23]
	v_add_co_u32_e32 v22, vcc, s64, v22
	v_addc_co_u32_e32 v23, vcc, v93, v23, vcc
	s_waitcnt lgkmcnt(0)
	global_store_dwordx2 v[22:23], v[20:21], off
	s_or_b64 exec, exec, s[52:53]
	s_and_saveexec_b64 s[36:37], s[38:39]
	s_cbranch_execnz .LBB2079_505
.LBB2079_512:                           ;   in Loop: Header=BB2079_408 Depth=2
	s_or_b64 exec, exec, s[36:37]
	s_and_saveexec_b64 s[36:37], s[40:41]
	s_cbranch_execz .LBB2079_506
.LBB2079_513:                           ;   in Loop: Header=BB2079_408 Depth=2
	v_lshlrev_b32_e32 v20, 2, v75
	ds_read_b32 v22, v20
	v_add_u32_e32 v20, v50, v51
	ds_read_b64 v[20:21], v20 offset:6144
	v_mov_b32_e32 v23, v4
	v_mov_b32_e32 v93, s65
	s_waitcnt lgkmcnt(1)
	v_add_u32_e32 v22, v22, v26
	v_lshlrev_b64 v[22:23], 3, v[22:23]
	v_add_co_u32_e32 v22, vcc, s64, v22
	v_addc_co_u32_e32 v23, vcc, v93, v23, vcc
	s_waitcnt lgkmcnt(0)
	global_store_dwordx2 v[22:23], v[20:21], off
	s_or_b64 exec, exec, s[36:37]
	s_and_saveexec_b64 s[36:37], s[42:43]
	s_cbranch_execnz .LBB2079_507
.LBB2079_514:                           ;   in Loop: Header=BB2079_408 Depth=2
	s_or_b64 exec, exec, s[36:37]
	s_and_saveexec_b64 s[36:37], s[44:45]
	s_cbranch_execz .LBB2079_508
.LBB2079_515:                           ;   in Loop: Header=BB2079_408 Depth=2
	v_lshlrev_b32_e32 v20, 2, v72
	ds_read_b32 v22, v20
	v_add_u32_e32 v20, v50, v51
	ds_read_b64 v[20:21], v20 offset:10240
	v_mov_b32_e32 v23, v4
	v_mov_b32_e32 v93, s65
	s_waitcnt lgkmcnt(1)
	v_add_u32_e32 v22, v22, v30
	v_lshlrev_b64 v[22:23], 3, v[22:23]
	v_add_co_u32_e32 v22, vcc, s64, v22
	v_addc_co_u32_e32 v23, vcc, v93, v23, vcc
	s_waitcnt lgkmcnt(0)
	global_store_dwordx2 v[22:23], v[20:21], off
	s_or_b64 exec, exec, s[36:37]
	s_and_saveexec_b64 s[36:37], s[46:47]
	s_cbranch_execnz .LBB2079_509
.LBB2079_516:                           ;   in Loop: Header=BB2079_408 Depth=2
	s_or_b64 exec, exec, s[36:37]
	s_and_saveexec_b64 s[36:37], s[48:49]
	s_cbranch_execz .LBB2079_518
.LBB2079_517:                           ;   in Loop: Header=BB2079_408 Depth=2
	v_lshlrev_b32_e32 v20, 2, v70
	ds_read_b32 v22, v20
	v_add_u32_e32 v20, v50, v51
	ds_read_b64 v[20:21], v20 offset:14336
	v_mov_b32_e32 v23, v4
	v_mov_b32_e32 v93, s65
	s_waitcnt lgkmcnt(1)
	v_add_u32_e32 v22, v22, v32
	v_lshlrev_b64 v[22:23], 3, v[22:23]
	v_add_co_u32_e32 v22, vcc, s64, v22
	v_addc_co_u32_e32 v23, vcc, v93, v23, vcc
	s_waitcnt lgkmcnt(0)
	global_store_dwordx2 v[22:23], v[20:21], off
.LBB2079_518:                           ;   in Loop: Header=BB2079_408 Depth=2
	s_or_b64 exec, exec, s[36:37]
	s_barrier
	s_and_saveexec_b64 s[36:37], s[4:5]
	s_cbranch_execz .LBB2079_407
; %bb.519:                              ;   in Loop: Header=BB2079_408 Depth=2
	ds_read_b32 v20, v3
	s_waitcnt lgkmcnt(0)
	v_add_u32_e32 v5, v20, v5
	ds_write_b32 v3, v5
	s_branch .LBB2079_407
.LBB2079_520:                           ;   in Loop: Header=BB2079_20 Depth=1
	s_waitcnt lgkmcnt(0)
	s_barrier
	s_mov_b64 s[16:17], 0
.LBB2079_521:                           ;   in Loop: Header=BB2079_20 Depth=1
	s_and_b64 vcc, exec, s[16:17]
	s_cbranch_vccz .LBB2079_19
; %bb.522:                              ;   in Loop: Header=BB2079_20 Depth=1
	s_mov_b32 s22, s71
	s_mov_b32 s72, s51
	s_barrier
	s_waitcnt lgkmcnt(0)
                                        ; implicit-def: $vgpr12
                                        ; implicit-def: $vgpr5
                                        ; implicit-def: $vgpr6
                                        ; implicit-def: $vgpr7
                                        ; implicit-def: $vgpr8
                                        ; implicit-def: $vgpr9
                                        ; implicit-def: $vgpr10
                                        ; implicit-def: $vgpr11
	s_branch .LBB2079_524
.LBB2079_523:                           ;   in Loop: Header=BB2079_524 Depth=2
	s_or_b64 exec, exec, s[16:17]
	s_addk_i32 s22, 0xf800
	s_cmp_ge_u32 s23, s76
	s_mov_b32 s72, s23
	s_cbranch_scc1 .LBB2079_562
.LBB2079_524:                           ;   Parent Loop BB2079_20 Depth=1
                                        ; =>  This Inner Loop Header: Depth=2
	s_add_i32 s23, s72, 0x800
	s_cmp_gt_u32 s23, s76
	s_cbranch_scc1 .LBB2079_527
; %bb.525:                              ;   in Loop: Header=BB2079_524 Depth=2
	s_lshl_b64 s[16:17], s[72:73], 1
	v_mov_b32_e32 v1, s17
	v_add_co_u32_e32 v0, vcc, s16, v58
	v_addc_co_u32_e32 v1, vcc, v59, v1, vcc
	global_load_ushort v14, v[0:1], off
	global_load_ushort v15, v[0:1], off offset:512
	global_load_ushort v16, v[0:1], off offset:1024
	;; [unrolled: 1-line block ×6, first 2 shown]
	v_add_co_u32_e32 v0, vcc, 0xe00, v0
	v_addc_co_u32_e32 v1, vcc, 0, v1, vcc
	s_mov_b64 s[16:17], -1
	s_movk_i32 s24, 0x800
	s_cbranch_execz .LBB2079_528
; %bb.526:                              ;   in Loop: Header=BB2079_524 Depth=2
                                        ; implicit-def: $vgpr11
                                        ; implicit-def: $vgpr10
                                        ; implicit-def: $vgpr9
                                        ; implicit-def: $vgpr8
                                        ; implicit-def: $vgpr7
                                        ; implicit-def: $vgpr6
                                        ; implicit-def: $vgpr5
                                        ; implicit-def: $vgpr12
	v_mov_b32_e32 v13, s22
	s_and_saveexec_b64 s[18:19], s[16:17]
	s_cbranch_execnz .LBB2079_539
	s_branch .LBB2079_540
.LBB2079_527:                           ;   in Loop: Header=BB2079_524 Depth=2
	s_mov_b64 s[16:17], 0
                                        ; implicit-def: $sgpr24
                                        ; implicit-def: $vgpr14
                                        ; implicit-def: $vgpr15
                                        ; implicit-def: $vgpr16
                                        ; implicit-def: $vgpr17
                                        ; implicit-def: $vgpr18
                                        ; implicit-def: $vgpr19
                                        ; implicit-def: $vgpr20
                                        ; implicit-def: $vgpr0_vgpr1
.LBB2079_528:                           ;   in Loop: Header=BB2079_524 Depth=2
	s_lshl_b64 s[18:19], s[72:73], 1
	s_add_u32 s18, s56, s18
	s_addc_u32 s19, s57, s19
	v_cmp_gt_u32_e32 vcc, s22, v2
	s_and_saveexec_b64 s[20:21], vcc
	s_cbranch_execz .LBB2079_556
; %bb.529:                              ;   in Loop: Header=BB2079_524 Depth=2
	global_load_ushort v11, v65, s[18:19]
	s_or_b64 exec, exec, s[20:21]
	v_cmp_gt_u32_e32 vcc, s22, v24
	s_and_saveexec_b64 s[20:21], vcc
	s_cbranch_execnz .LBB2079_557
.LBB2079_530:                           ;   in Loop: Header=BB2079_524 Depth=2
	s_or_b64 exec, exec, s[20:21]
	v_cmp_gt_u32_e32 vcc, s22, v25
	s_and_saveexec_b64 s[20:21], vcc
	s_cbranch_execz .LBB2079_558
.LBB2079_531:                           ;   in Loop: Header=BB2079_524 Depth=2
	global_load_ushort v9, v65, s[18:19] offset:1024
	s_or_b64 exec, exec, s[20:21]
	v_cmp_gt_u32_e32 vcc, s22, v26
	s_and_saveexec_b64 s[20:21], vcc
	s_cbranch_execnz .LBB2079_559
.LBB2079_532:                           ;   in Loop: Header=BB2079_524 Depth=2
	s_or_b64 exec, exec, s[20:21]
	v_cmp_gt_u32_e32 vcc, s22, v29
	s_and_saveexec_b64 s[20:21], vcc
	s_cbranch_execz .LBB2079_560
.LBB2079_533:                           ;   in Loop: Header=BB2079_524 Depth=2
	global_load_ushort v7, v65, s[18:19] offset:2048
	s_or_b64 exec, exec, s[20:21]
	v_cmp_gt_u32_e32 vcc, s22, v30
	s_and_saveexec_b64 s[20:21], vcc
	s_cbranch_execnz .LBB2079_561
.LBB2079_534:                           ;   in Loop: Header=BB2079_524 Depth=2
	s_or_b64 exec, exec, s[20:21]
	v_cmp_gt_u32_e32 vcc, s22, v31
	s_and_saveexec_b64 s[20:21], vcc
	s_cbranch_execz .LBB2079_536
.LBB2079_535:                           ;   in Loop: Header=BB2079_524 Depth=2
	global_load_ushort v5, v65, s[18:19] offset:3072
.LBB2079_536:                           ;   in Loop: Header=BB2079_524 Depth=2
	s_or_b64 exec, exec, s[20:21]
	v_cmp_gt_u32_e32 vcc, s22, v32
                                        ; implicit-def: $sgpr24
                                        ; implicit-def: $vgpr0_vgpr1
	s_and_saveexec_b64 s[20:21], vcc
	s_cbranch_execz .LBB2079_538
; %bb.537:                              ;   in Loop: Header=BB2079_524 Depth=2
	v_mov_b32_e32 v0, s19
	v_add_co_u32_e32 v1, vcc, s18, v65
	s_waitcnt vmcnt(0)
	v_addc_co_u32_e32 v12, vcc, 0, v0, vcc
	v_add_co_u32_e32 v0, vcc, 0xe00, v1
	s_sub_i32 s24, s76, s72
	v_addc_co_u32_e32 v1, vcc, 0, v12, vcc
	s_or_b64 s[16:17], s[16:17], exec
                                        ; implicit-def: $vgpr12
.LBB2079_538:                           ;   in Loop: Header=BB2079_524 Depth=2
	s_or_b64 exec, exec, s[20:21]
	s_waitcnt vmcnt(0)
	v_mov_b32_e32 v14, v11
	v_mov_b32_e32 v15, v10
	;; [unrolled: 1-line block ×8, first 2 shown]
	s_and_saveexec_b64 s[18:19], s[16:17]
	s_cbranch_execz .LBB2079_540
.LBB2079_539:                           ;   in Loop: Header=BB2079_524 Depth=2
	global_load_ushort v12, v[0:1], off
	v_mov_b32_e32 v13, s24
	s_waitcnt vmcnt(1)
	v_mov_b32_e32 v5, v20
	v_mov_b32_e32 v6, v19
	v_mov_b32_e32 v7, v18
	v_mov_b32_e32 v8, v17
	v_mov_b32_e32 v9, v16
	v_mov_b32_e32 v10, v15
	v_mov_b32_e32 v11, v14
.LBB2079_540:                           ;   in Loop: Header=BB2079_524 Depth=2
	s_or_b64 exec, exec, s[18:19]
	v_cmp_lt_u32_e32 vcc, v2, v13
	s_and_saveexec_b64 s[16:17], vcc
	s_cbranch_execz .LBB2079_548
; %bb.541:                              ;   in Loop: Header=BB2079_524 Depth=2
	v_cmp_lt_i16_e32 vcc, -1, v11
	v_cndmask_b32_e32 v0, -1, v66, vcc
	v_xor_b32_e32 v0, v0, v11
	v_cmp_ne_u16_e32 vcc, s68, v0
	v_cndmask_b32_e32 v0, v66, v0, vcc
	v_lshrrev_b32_sdwa v0, s69, v0 dst_sel:DWORD dst_unused:UNUSED_PAD src0_sel:DWORD src1_sel:WORD_0
	v_and_b32_e32 v0, s78, v0
	v_lshl_or_b32 v0, v0, 4, v67
	ds_add_u32 v0, v64
	s_or_b64 exec, exec, s[16:17]
	v_cmp_lt_u32_e32 vcc, v24, v13
	s_and_saveexec_b64 s[16:17], vcc
	s_cbranch_execnz .LBB2079_549
.LBB2079_542:                           ;   in Loop: Header=BB2079_524 Depth=2
	s_or_b64 exec, exec, s[16:17]
	v_cmp_lt_u32_e32 vcc, v25, v13
	s_and_saveexec_b64 s[16:17], vcc
	s_cbranch_execz .LBB2079_550
.LBB2079_543:                           ;   in Loop: Header=BB2079_524 Depth=2
	v_cmp_lt_i16_e32 vcc, -1, v9
	v_cndmask_b32_e32 v0, -1, v66, vcc
	v_xor_b32_e32 v0, v0, v9
	v_cmp_ne_u16_e32 vcc, s68, v0
	v_cndmask_b32_e32 v0, v66, v0, vcc
	v_lshrrev_b32_sdwa v0, s69, v0 dst_sel:DWORD dst_unused:UNUSED_PAD src0_sel:DWORD src1_sel:WORD_0
	v_and_b32_e32 v0, s78, v0
	v_lshl_or_b32 v0, v0, 4, v67
	ds_add_u32 v0, v64
	s_or_b64 exec, exec, s[16:17]
	v_cmp_lt_u32_e32 vcc, v26, v13
	s_and_saveexec_b64 s[16:17], vcc
	s_cbranch_execnz .LBB2079_551
.LBB2079_544:                           ;   in Loop: Header=BB2079_524 Depth=2
	s_or_b64 exec, exec, s[16:17]
	v_cmp_lt_u32_e32 vcc, v29, v13
	s_and_saveexec_b64 s[16:17], vcc
	s_cbranch_execz .LBB2079_552
.LBB2079_545:                           ;   in Loop: Header=BB2079_524 Depth=2
	v_cmp_lt_i16_e32 vcc, -1, v7
	v_cndmask_b32_e32 v0, -1, v66, vcc
	v_xor_b32_e32 v0, v0, v7
	v_cmp_ne_u16_e32 vcc, s68, v0
	v_cndmask_b32_e32 v0, v66, v0, vcc
	v_lshrrev_b32_sdwa v0, s69, v0 dst_sel:DWORD dst_unused:UNUSED_PAD src0_sel:DWORD src1_sel:WORD_0
	v_and_b32_e32 v0, s78, v0
	v_lshl_or_b32 v0, v0, 4, v67
	ds_add_u32 v0, v64
	s_or_b64 exec, exec, s[16:17]
	v_cmp_lt_u32_e32 vcc, v30, v13
	s_and_saveexec_b64 s[16:17], vcc
	s_cbranch_execnz .LBB2079_553
.LBB2079_546:                           ;   in Loop: Header=BB2079_524 Depth=2
	s_or_b64 exec, exec, s[16:17]
	v_cmp_lt_u32_e32 vcc, v31, v13
	s_and_saveexec_b64 s[16:17], vcc
	s_cbranch_execz .LBB2079_554
.LBB2079_547:                           ;   in Loop: Header=BB2079_524 Depth=2
	v_cmp_lt_i16_e32 vcc, -1, v5
	v_cndmask_b32_e32 v0, -1, v66, vcc
	v_xor_b32_e32 v0, v0, v5
	v_cmp_ne_u16_e32 vcc, s68, v0
	v_cndmask_b32_e32 v0, v66, v0, vcc
	v_lshrrev_b32_sdwa v0, s69, v0 dst_sel:DWORD dst_unused:UNUSED_PAD src0_sel:DWORD src1_sel:WORD_0
	v_and_b32_e32 v0, s78, v0
	v_lshl_or_b32 v0, v0, 4, v67
	ds_add_u32 v0, v64
	s_or_b64 exec, exec, s[16:17]
	v_cmp_lt_u32_e32 vcc, v32, v13
	s_and_saveexec_b64 s[16:17], vcc
	s_cbranch_execz .LBB2079_523
	s_branch .LBB2079_555
.LBB2079_548:                           ;   in Loop: Header=BB2079_524 Depth=2
	s_or_b64 exec, exec, s[16:17]
	v_cmp_lt_u32_e32 vcc, v24, v13
	s_and_saveexec_b64 s[16:17], vcc
	s_cbranch_execz .LBB2079_542
.LBB2079_549:                           ;   in Loop: Header=BB2079_524 Depth=2
	v_cmp_lt_i16_e32 vcc, -1, v10
	v_cndmask_b32_e32 v0, -1, v66, vcc
	v_xor_b32_e32 v0, v0, v10
	v_cmp_ne_u16_e32 vcc, s68, v0
	v_cndmask_b32_e32 v0, v66, v0, vcc
	v_lshrrev_b32_sdwa v0, s69, v0 dst_sel:DWORD dst_unused:UNUSED_PAD src0_sel:DWORD src1_sel:WORD_0
	v_and_b32_e32 v0, s78, v0
	v_lshl_or_b32 v0, v0, 4, v67
	ds_add_u32 v0, v64
	s_or_b64 exec, exec, s[16:17]
	v_cmp_lt_u32_e32 vcc, v25, v13
	s_and_saveexec_b64 s[16:17], vcc
	s_cbranch_execnz .LBB2079_543
.LBB2079_550:                           ;   in Loop: Header=BB2079_524 Depth=2
	s_or_b64 exec, exec, s[16:17]
	v_cmp_lt_u32_e32 vcc, v26, v13
	s_and_saveexec_b64 s[16:17], vcc
	s_cbranch_execz .LBB2079_544
.LBB2079_551:                           ;   in Loop: Header=BB2079_524 Depth=2
	v_cmp_lt_i16_e32 vcc, -1, v8
	v_cndmask_b32_e32 v0, -1, v66, vcc
	v_xor_b32_e32 v0, v0, v8
	v_cmp_ne_u16_e32 vcc, s68, v0
	v_cndmask_b32_e32 v0, v66, v0, vcc
	v_lshrrev_b32_sdwa v0, s69, v0 dst_sel:DWORD dst_unused:UNUSED_PAD src0_sel:DWORD src1_sel:WORD_0
	v_and_b32_e32 v0, s78, v0
	v_lshl_or_b32 v0, v0, 4, v67
	ds_add_u32 v0, v64
	s_or_b64 exec, exec, s[16:17]
	v_cmp_lt_u32_e32 vcc, v29, v13
	s_and_saveexec_b64 s[16:17], vcc
	s_cbranch_execnz .LBB2079_545
.LBB2079_552:                           ;   in Loop: Header=BB2079_524 Depth=2
	s_or_b64 exec, exec, s[16:17]
	v_cmp_lt_u32_e32 vcc, v30, v13
	s_and_saveexec_b64 s[16:17], vcc
	s_cbranch_execz .LBB2079_546
.LBB2079_553:                           ;   in Loop: Header=BB2079_524 Depth=2
	v_cmp_lt_i16_e32 vcc, -1, v6
	v_cndmask_b32_e32 v0, -1, v66, vcc
	v_xor_b32_e32 v0, v0, v6
	v_cmp_ne_u16_e32 vcc, s68, v0
	v_cndmask_b32_e32 v0, v66, v0, vcc
	v_lshrrev_b32_sdwa v0, s69, v0 dst_sel:DWORD dst_unused:UNUSED_PAD src0_sel:DWORD src1_sel:WORD_0
	v_and_b32_e32 v0, s78, v0
	v_lshl_or_b32 v0, v0, 4, v67
	ds_add_u32 v0, v64
	s_or_b64 exec, exec, s[16:17]
	v_cmp_lt_u32_e32 vcc, v31, v13
	s_and_saveexec_b64 s[16:17], vcc
	s_cbranch_execnz .LBB2079_547
.LBB2079_554:                           ;   in Loop: Header=BB2079_524 Depth=2
	s_or_b64 exec, exec, s[16:17]
	v_cmp_lt_u32_e32 vcc, v32, v13
	s_and_saveexec_b64 s[16:17], vcc
	s_cbranch_execz .LBB2079_523
.LBB2079_555:                           ;   in Loop: Header=BB2079_524 Depth=2
	s_waitcnt vmcnt(0)
	v_cmp_lt_i16_e32 vcc, -1, v12
	v_cndmask_b32_e32 v0, -1, v66, vcc
	v_xor_b32_e32 v0, v0, v12
	v_cmp_ne_u16_e32 vcc, s68, v0
	v_cndmask_b32_e32 v0, v66, v0, vcc
	v_lshrrev_b32_sdwa v0, s69, v0 dst_sel:DWORD dst_unused:UNUSED_PAD src0_sel:DWORD src1_sel:WORD_0
	v_and_b32_e32 v0, s78, v0
	v_lshl_or_b32 v0, v0, 4, v67
	ds_add_u32 v0, v64
	s_branch .LBB2079_523
.LBB2079_556:                           ;   in Loop: Header=BB2079_524 Depth=2
	s_or_b64 exec, exec, s[20:21]
	v_cmp_gt_u32_e32 vcc, s22, v24
	s_and_saveexec_b64 s[20:21], vcc
	s_cbranch_execz .LBB2079_530
.LBB2079_557:                           ;   in Loop: Header=BB2079_524 Depth=2
	global_load_ushort v10, v65, s[18:19] offset:512
	s_or_b64 exec, exec, s[20:21]
	v_cmp_gt_u32_e32 vcc, s22, v25
	s_and_saveexec_b64 s[20:21], vcc
	s_cbranch_execnz .LBB2079_531
.LBB2079_558:                           ;   in Loop: Header=BB2079_524 Depth=2
	s_or_b64 exec, exec, s[20:21]
	v_cmp_gt_u32_e32 vcc, s22, v26
	s_and_saveexec_b64 s[20:21], vcc
	s_cbranch_execz .LBB2079_532
.LBB2079_559:                           ;   in Loop: Header=BB2079_524 Depth=2
	global_load_ushort v8, v65, s[18:19] offset:1536
	s_or_b64 exec, exec, s[20:21]
	v_cmp_gt_u32_e32 vcc, s22, v29
	s_and_saveexec_b64 s[20:21], vcc
	s_cbranch_execnz .LBB2079_533
.LBB2079_560:                           ;   in Loop: Header=BB2079_524 Depth=2
	s_or_b64 exec, exec, s[20:21]
	v_cmp_gt_u32_e32 vcc, s22, v30
	s_and_saveexec_b64 s[20:21], vcc
	s_cbranch_execz .LBB2079_534
.LBB2079_561:                           ;   in Loop: Header=BB2079_524 Depth=2
	global_load_ushort v6, v65, s[18:19] offset:2560
	s_or_b64 exec, exec, s[20:21]
	v_cmp_gt_u32_e32 vcc, s22, v31
	s_and_saveexec_b64 s[20:21], vcc
	s_cbranch_execz .LBB2079_536
	s_branch .LBB2079_535
.LBB2079_562:                           ;   in Loop: Header=BB2079_20 Depth=1
	v_mov_b32_e32 v0, 0
	s_waitcnt lgkmcnt(0)
	s_barrier
	s_and_saveexec_b64 s[16:17], s[4:5]
	s_cbranch_execz .LBB2079_564
; %bb.563:                              ;   in Loop: Header=BB2079_20 Depth=1
	ds_read2_b64 v[6:9], v33 offset1:1
	s_waitcnt lgkmcnt(0)
	v_add_u32_e32 v0, v7, v6
	v_add3_u32 v0, v0, v8, v9
.LBB2079_564:                           ;   in Loop: Header=BB2079_20 Depth=1
	s_or_b64 exec, exec, s[16:17]
	v_and_b32_e32 v1, 15, v68
	v_mov_b32_dpp v5, v0 row_shr:1 row_mask:0xf bank_mask:0xf
	v_cmp_eq_u32_e64 s[16:17], 0, v1
	v_cndmask_b32_e64 v5, v5, 0, s[16:17]
	v_add_u32_e32 v0, v5, v0
	v_cmp_lt_u32_e64 s[18:19], 1, v1
	v_cmp_lt_u32_e64 s[20:21], 3, v1
	v_mov_b32_dpp v5, v0 row_shr:2 row_mask:0xf bank_mask:0xf
	v_cndmask_b32_e64 v5, 0, v5, s[18:19]
	v_add_u32_e32 v0, v0, v5
	v_cmp_lt_u32_e64 s[22:23], 7, v1
	v_cmp_lt_u32_e64 s[26:27], 31, v68
	v_mov_b32_dpp v5, v0 row_shr:4 row_mask:0xf bank_mask:0xf
	v_cndmask_b32_e64 v5, 0, v5, s[20:21]
	v_add_u32_e32 v0, v0, v5
	v_and_b32_e32 v6, 16, v68
	v_cmp_eq_u32_e64 s[24:25], 0, v6
	v_mov_b32_dpp v5, v0 row_shr:8 row_mask:0xf bank_mask:0xf
	v_cndmask_b32_e64 v1, 0, v5, s[22:23]
	v_add_u32_e32 v0, v0, v1
	v_bfe_i32 v5, v68, 4, 1
	s_nop 0
	v_mov_b32_dpp v1, v0 row_bcast:15 row_mask:0xf bank_mask:0xf
	v_and_b32_e32 v1, v5, v1
	v_add_u32_e32 v0, v0, v1
	s_nop 1
	v_mov_b32_dpp v1, v0 row_bcast:31 row_mask:0xf bank_mask:0xf
	v_cndmask_b32_e64 v1, 0, v1, s[26:27]
	v_add_u32_e32 v1, v0, v1
	s_and_saveexec_b64 s[28:29], s[6:7]
	s_cbranch_execz .LBB2079_566
; %bb.565:                              ;   in Loop: Header=BB2079_20 Depth=1
	ds_write_b32 v35, v1
.LBB2079_566:                           ;   in Loop: Header=BB2079_20 Depth=1
	s_or_b64 exec, exec, s[28:29]
	v_and_b32_e32 v0, 3, v68
	s_waitcnt lgkmcnt(0)
	s_barrier
	s_and_saveexec_b64 s[28:29], s[8:9]
	s_cbranch_execz .LBB2079_568
; %bb.567:                              ;   in Loop: Header=BB2079_20 Depth=1
	ds_read_b32 v5, v36
	v_cmp_ne_u32_e32 vcc, 0, v0
	s_waitcnt lgkmcnt(0)
	v_mov_b32_dpp v6, v5 row_shr:1 row_mask:0xf bank_mask:0xf
	v_cndmask_b32_e32 v6, 0, v6, vcc
	v_add_u32_e32 v5, v6, v5
	v_cmp_lt_u32_e32 vcc, 1, v0
	s_nop 0
	v_mov_b32_dpp v6, v5 row_shr:2 row_mask:0xf bank_mask:0xf
	v_cndmask_b32_e32 v6, 0, v6, vcc
	v_add_u32_e32 v5, v5, v6
	ds_write_b32 v36, v5
.LBB2079_568:                           ;   in Loop: Header=BB2079_20 Depth=1
	s_or_b64 exec, exec, s[28:29]
	v_mov_b32_e32 v5, 0
	s_waitcnt lgkmcnt(0)
	s_barrier
	s_and_saveexec_b64 s[28:29], s[10:11]
	s_cbranch_execz .LBB2079_570
; %bb.569:                              ;   in Loop: Header=BB2079_20 Depth=1
	ds_read_b32 v5, v37
.LBB2079_570:                           ;   in Loop: Header=BB2079_20 Depth=1
	s_or_b64 exec, exec, s[28:29]
	v_add_u32_e32 v6, -1, v68
	v_and_b32_e32 v7, 64, v68
	v_cmp_lt_i32_e32 vcc, v6, v7
	v_cndmask_b32_e32 v6, v6, v68, vcc
	s_waitcnt lgkmcnt(0)
	v_add_u32_e32 v1, v5, v1
	v_lshlrev_b32_e32 v69, 2, v6
	ds_bpermute_b32 v1, v69, v1
	v_cmp_eq_u32_e64 s[28:29], 0, v68
	s_waitcnt lgkmcnt(0)
	s_barrier
	s_and_saveexec_b64 s[30:31], s[4:5]
	s_cbranch_execz .LBB2079_572
; %bb.571:                              ;   in Loop: Header=BB2079_20 Depth=1
	v_cndmask_b32_e64 v1, v1, v5, s[28:29]
	v_add_u32_e32 v1, s51, v1
	ds_write_b32 v3, v1
.LBB2079_572:                           ;   in Loop: Header=BB2079_20 Depth=1
	s_or_b64 exec, exec, s[30:31]
	s_load_dwordx2 s[30:31], s[74:75], 0x0
	v_and_b32_e32 v21, 63, v68
	v_lshlrev_b32_e32 v22, 3, v21
	v_add_co_u32_e32 v77, vcc, v60, v22
	s_waitcnt lgkmcnt(0)
	s_cmp_lt_u32 s50, s30
	s_cselect_b32 s34, 12, 18
	s_cmp_lt_u32 s33, s31
	s_cselect_b32 s30, 14, 20
	s_add_u32 s30, s74, s30
	s_addc_u32 s31, s75, 0
	s_add_u32 s34, s74, s34
	global_load_ushort v5, v4, s[30:31]
	s_addc_u32 s35, s75, 0
	global_load_ushort v20, v4, s[34:35]
	v_or_b32_e32 v74, v21, v38
	v_lshlrev_b32_e32 v21, 1, v21
	v_addc_co_u32_e32 v79, vcc, 0, v61, vcc
	v_add_co_u32_e32 v88, vcc, v62, v21
	v_addc_co_u32_e32 v89, vcc, 0, v63, vcc
	v_add_co_u32_e32 v90, vcc, 0x380, v88
	v_cmp_eq_u32_e64 s[30:31], 0, v0
	v_cmp_lt_u32_e64 s[34:35], 1, v0
	s_mov_b32 s79, s71
	v_or_b32_e32 v81, 64, v74
	v_or_b32_e32 v82, 0x80, v74
	;; [unrolled: 1-line block ×7, first 2 shown]
	v_addc_co_u32_e32 v91, vcc, 0, v89, vcc
	s_mov_b32 s72, s51
                                        ; implicit-def: $vgpr0_vgpr1
                                        ; implicit-def: $vgpr6_vgpr7
                                        ; implicit-def: $vgpr8_vgpr9
                                        ; implicit-def: $vgpr10_vgpr11
                                        ; implicit-def: $vgpr12_vgpr13
                                        ; implicit-def: $vgpr14_vgpr15
                                        ; implicit-def: $vgpr16_vgpr17
                                        ; implicit-def: $vgpr18_vgpr19
                                        ; implicit-def: $vgpr70
                                        ; implicit-def: $vgpr71
                                        ; implicit-def: $vgpr72
                                        ; implicit-def: $vgpr73
                                        ; implicit-def: $vgpr75
                                        ; implicit-def: $vgpr76
                                        ; implicit-def: $vgpr78
                                        ; implicit-def: $vgpr80
	s_waitcnt vmcnt(1)
	v_mad_u32_u24 v5, v39, v5, v40
	s_waitcnt vmcnt(0)
	v_mad_u64_u32 v[20:21], s[36:37], v5, v20, v[2:3]
	v_lshrrev_b32_e32 v92, 6, v20
	s_branch .LBB2079_574
.LBB2079_573:                           ;   in Loop: Header=BB2079_574 Depth=2
	s_or_b64 exec, exec, s[36:37]
	s_addk_i32 s79, 0xf800
	s_cmp_lt_u32 s80, s76
	s_mov_b32 s72, s80
	s_cbranch_scc0 .LBB2079_18
.LBB2079_574:                           ;   Parent Loop BB2079_20 Depth=1
                                        ; =>  This Inner Loop Header: Depth=2
	s_add_i32 s80, s72, 0x800
	s_cmp_gt_u32 s80, s76
	s_cbranch_scc1 .LBB2079_577
; %bb.575:                              ;   in Loop: Header=BB2079_574 Depth=2
	s_lshl_b64 s[36:37], s[72:73], 1
	v_mov_b32_e32 v5, s37
	v_add_co_u32_e32 v20, vcc, s36, v88
	v_addc_co_u32_e32 v21, vcc, v89, v5, vcc
	global_load_ushort v5, v[20:21], off
	global_load_ushort v97, v[20:21], off offset:128
	global_load_ushort v101, v[20:21], off offset:256
	;; [unrolled: 1-line block ×6, first 2 shown]
	s_mov_b64 s[36:37], -1
	s_movk_i32 s40, 0x800
	s_cbranch_execz .LBB2079_578
; %bb.576:                              ;   in Loop: Header=BB2079_574 Depth=2
                                        ; implicit-def: $sgpr38
	v_mov_b32_e32 v23, s38
	v_mov_b32_e32 v93, s79
	s_and_saveexec_b64 s[38:39], s[36:37]
	s_cbranch_execnz .LBB2079_593
	s_branch .LBB2079_594
.LBB2079_577:                           ;   in Loop: Header=BB2079_574 Depth=2
	s_mov_b64 s[36:37], 0
                                        ; implicit-def: $sgpr40
                                        ; implicit-def: $vgpr5
                                        ; implicit-def: $vgpr97
                                        ; implicit-def: $vgpr101
                                        ; implicit-def: $vgpr106
                                        ; implicit-def: $vgpr109
                                        ; implicit-def: $vgpr104
                                        ; implicit-def: $vgpr22
.LBB2079_578:                           ;   in Loop: Header=BB2079_574 Depth=2
	s_lshl_b64 s[36:37], s[72:73], 1
	s_waitcnt vmcnt(6)
	v_mov_b32_e32 v5, s37
	v_add_co_u32_e32 v20, vcc, s36, v88
	v_addc_co_u32_e32 v21, vcc, v89, v5, vcc
	v_cmp_gt_u32_e32 vcc, s79, v74
	s_waitcnt vmcnt(5)
	v_mov_b32_e32 v97, 0x7fff
	v_mov_b32_e32 v5, 0x7fff
	s_and_saveexec_b64 s[36:37], vcc
	s_cbranch_execz .LBB2079_580
; %bb.579:                              ;   in Loop: Header=BB2079_574 Depth=2
	global_load_ushort v5, v[20:21], off
.LBB2079_580:                           ;   in Loop: Header=BB2079_574 Depth=2
	s_or_b64 exec, exec, s[36:37]
	v_cmp_gt_u32_e32 vcc, s79, v81
	s_and_saveexec_b64 s[36:37], vcc
	s_cbranch_execz .LBB2079_582
; %bb.581:                              ;   in Loop: Header=BB2079_574 Depth=2
	global_load_ushort v97, v[20:21], off offset:128
.LBB2079_582:                           ;   in Loop: Header=BB2079_574 Depth=2
	s_or_b64 exec, exec, s[36:37]
	v_cmp_gt_u32_e32 vcc, s79, v82
	s_waitcnt vmcnt(3)
	v_mov_b32_e32 v106, 0x7fff
	v_mov_b32_e32 v101, 0x7fff
	s_and_saveexec_b64 s[36:37], vcc
	s_cbranch_execz .LBB2079_584
; %bb.583:                              ;   in Loop: Header=BB2079_574 Depth=2
	global_load_ushort v101, v[20:21], off offset:256
.LBB2079_584:                           ;   in Loop: Header=BB2079_574 Depth=2
	s_or_b64 exec, exec, s[36:37]
	v_cmp_gt_u32_e32 vcc, s79, v83
	s_and_saveexec_b64 s[36:37], vcc
	s_cbranch_execz .LBB2079_586
; %bb.585:                              ;   in Loop: Header=BB2079_574 Depth=2
	global_load_ushort v106, v[20:21], off offset:384
.LBB2079_586:                           ;   in Loop: Header=BB2079_574 Depth=2
	s_or_b64 exec, exec, s[36:37]
	v_cmp_gt_u32_e32 vcc, s79, v84
	s_waitcnt vmcnt(1)
	v_mov_b32_e32 v104, 0x7fff
	v_mov_b32_e32 v109, 0x7fff
	s_and_saveexec_b64 s[36:37], vcc
	s_cbranch_execz .LBB2079_588
; %bb.587:                              ;   in Loop: Header=BB2079_574 Depth=2
	global_load_ushort v109, v[20:21], off offset:512
.LBB2079_588:                           ;   in Loop: Header=BB2079_574 Depth=2
	s_or_b64 exec, exec, s[36:37]
	v_cmp_gt_u32_e32 vcc, s79, v85
	s_and_saveexec_b64 s[36:37], vcc
	s_cbranch_execz .LBB2079_590
; %bb.589:                              ;   in Loop: Header=BB2079_574 Depth=2
	global_load_ushort v104, v[20:21], off offset:640
.LBB2079_590:                           ;   in Loop: Header=BB2079_574 Depth=2
	s_or_b64 exec, exec, s[36:37]
	v_cmp_gt_u32_e32 vcc, s79, v86
	s_waitcnt vmcnt(0)
	v_mov_b32_e32 v22, 0x7fff
	s_and_saveexec_b64 s[36:37], vcc
	s_cbranch_execz .LBB2079_592
; %bb.591:                              ;   in Loop: Header=BB2079_574 Depth=2
	global_load_ushort v22, v[20:21], off offset:768
.LBB2079_592:                           ;   in Loop: Header=BB2079_574 Depth=2
	s_or_b64 exec, exec, s[36:37]
	s_sub_i32 s40, s76, s72
	v_cmp_gt_u32_e64 s[36:37], s79, v87
	s_movk_i32 s38, 0x7fff
	v_mov_b32_e32 v23, s38
	v_mov_b32_e32 v93, s79
	s_and_saveexec_b64 s[38:39], s[36:37]
	s_cbranch_execz .LBB2079_594
.LBB2079_593:                           ;   in Loop: Header=BB2079_574 Depth=2
	s_lshl_b64 s[36:37], s[72:73], 1
	v_mov_b32_e32 v21, s37
	v_add_co_u32_e32 v20, vcc, s36, v90
	v_addc_co_u32_e32 v21, vcc, v91, v21, vcc
	global_load_ushort v23, v[20:21], off
	v_mov_b32_e32 v93, s40
.LBB2079_594:                           ;   in Loop: Header=BB2079_574 Depth=2
	s_or_b64 exec, exec, s[38:39]
	s_waitcnt vmcnt(6)
	v_cmp_lt_i16_e32 vcc, -1, v5
	v_cndmask_b32_e32 v20, -1, v66, vcc
	v_xor_b32_e32 v94, v20, v5
	v_add_u32_e32 v5, 0x410, v41
	v_cmp_ne_u16_e32 vcc, s68, v94
	ds_write2_b32 v5, v4, v4 offset1:1
	ds_write2_b32 v43, v4, v4 offset0:2 offset1:3
	ds_write_b32 v43, v4 offset:16
	v_cndmask_b32_e32 v5, v66, v94, vcc
	v_lshrrev_b32_sdwa v5, s69, v5 dst_sel:DWORD dst_unused:UNUSED_PAD src0_sel:DWORD src1_sel:WORD_0
	v_and_b32_e32 v20, s78, v5
	v_mad_u32_u24 v5, v20, 5, v92
	v_lshl_add_u32 v95, v5, 2, v42
	v_and_b32_e32 v5, 1, v20
	v_add_co_u32_e32 v21, vcc, -1, v5
	v_addc_co_u32_e64 v96, s[36:37], 0, -1, vcc
	v_cmp_ne_u32_e32 vcc, 0, v5
	v_xor_b32_e32 v5, vcc_hi, v96
	v_and_b32_e32 v96, exec_hi, v5
	v_lshlrev_b32_e32 v5, 30, v20
	v_xor_b32_e32 v21, vcc_lo, v21
	v_cmp_gt_i64_e32 vcc, 0, v[4:5]
	v_not_b32_e32 v5, v5
	v_ashrrev_i32_e32 v5, 31, v5
	v_and_b32_e32 v21, exec_lo, v21
	v_xor_b32_e32 v98, vcc_hi, v5
	v_xor_b32_e32 v5, vcc_lo, v5
	v_and_b32_e32 v21, v21, v5
	v_lshlrev_b32_e32 v5, 29, v20
	v_cmp_gt_i64_e32 vcc, 0, v[4:5]
	v_not_b32_e32 v5, v5
	v_ashrrev_i32_e32 v5, 31, v5
	v_and_b32_e32 v96, v96, v98
	v_xor_b32_e32 v98, vcc_hi, v5
	v_xor_b32_e32 v5, vcc_lo, v5
	v_and_b32_e32 v21, v21, v5
	v_lshlrev_b32_e32 v5, 28, v20
	v_cmp_gt_i64_e32 vcc, 0, v[4:5]
	v_not_b32_e32 v5, v5
	v_ashrrev_i32_e32 v5, 31, v5
	v_and_b32_e32 v96, v96, v98
	;; [unrolled: 8-line block ×5, first 2 shown]
	v_xor_b32_e32 v98, vcc_hi, v5
	v_xor_b32_e32 v5, vcc_lo, v5
	v_and_b32_e32 v96, v96, v98
	v_and_b32_e32 v98, v21, v5
	v_lshlrev_b32_e32 v5, 24, v20
	v_cmp_gt_i64_e32 vcc, 0, v[4:5]
	v_not_b32_e32 v5, v5
	v_ashrrev_i32_e32 v5, 31, v5
	v_xor_b32_e32 v20, vcc_hi, v5
	v_xor_b32_e32 v5, vcc_lo, v5
	v_and_b32_e32 v21, v96, v20
	v_and_b32_e32 v20, v98, v5
	v_mbcnt_lo_u32_b32 v5, v20, 0
	v_mbcnt_hi_u32_b32 v96, v21, v5
	v_cmp_eq_u32_e32 vcc, 0, v96
	v_cmp_ne_u64_e64 s[36:37], 0, v[20:21]
	s_and_b64 s[38:39], s[36:37], vcc
	s_waitcnt lgkmcnt(0)
	s_barrier
	s_waitcnt lgkmcnt(0)
	; wave barrier
	s_and_saveexec_b64 s[36:37], s[38:39]
	s_cbranch_execz .LBB2079_596
; %bb.595:                              ;   in Loop: Header=BB2079_574 Depth=2
	v_bcnt_u32_b32 v5, v20, 0
	v_bcnt_u32_b32 v5, v21, v5
	ds_write_b32 v95, v5
.LBB2079_596:                           ;   in Loop: Header=BB2079_574 Depth=2
	s_or_b64 exec, exec, s[36:37]
	s_waitcnt vmcnt(5)
	v_cmp_lt_i16_e32 vcc, -1, v97
	v_cndmask_b32_e32 v5, -1, v66, vcc
	v_xor_b32_e32 v97, v5, v97
	v_cmp_ne_u16_e32 vcc, s68, v97
	v_cndmask_b32_e32 v5, v66, v97, vcc
	v_lshrrev_b32_sdwa v5, s69, v5 dst_sel:DWORD dst_unused:UNUSED_PAD src0_sel:DWORD src1_sel:WORD_0
	v_and_b32_e32 v20, s78, v5
	v_mul_u32_u24_e32 v5, 5, v20
	v_add_lshl_u32 v5, v5, v92, 2
	; wave barrier
	v_add_u32_e32 v99, 0x410, v5
	ds_read_b32 v98, v5 offset:1040
	v_and_b32_e32 v5, 1, v20
	v_add_co_u32_e32 v21, vcc, -1, v5
	v_addc_co_u32_e64 v100, s[36:37], 0, -1, vcc
	v_cmp_ne_u32_e32 vcc, 0, v5
	v_xor_b32_e32 v5, vcc_hi, v100
	v_and_b32_e32 v100, exec_hi, v5
	v_lshlrev_b32_e32 v5, 30, v20
	v_xor_b32_e32 v21, vcc_lo, v21
	v_cmp_gt_i64_e32 vcc, 0, v[4:5]
	v_not_b32_e32 v5, v5
	v_ashrrev_i32_e32 v5, 31, v5
	v_and_b32_e32 v21, exec_lo, v21
	v_xor_b32_e32 v102, vcc_hi, v5
	v_xor_b32_e32 v5, vcc_lo, v5
	v_and_b32_e32 v21, v21, v5
	v_lshlrev_b32_e32 v5, 29, v20
	v_cmp_gt_i64_e32 vcc, 0, v[4:5]
	v_not_b32_e32 v5, v5
	v_ashrrev_i32_e32 v5, 31, v5
	v_and_b32_e32 v100, v100, v102
	v_xor_b32_e32 v102, vcc_hi, v5
	v_xor_b32_e32 v5, vcc_lo, v5
	v_and_b32_e32 v21, v21, v5
	v_lshlrev_b32_e32 v5, 28, v20
	v_cmp_gt_i64_e32 vcc, 0, v[4:5]
	v_not_b32_e32 v5, v5
	v_ashrrev_i32_e32 v5, 31, v5
	v_and_b32_e32 v100, v100, v102
	;; [unrolled: 8-line block ×5, first 2 shown]
	v_xor_b32_e32 v102, vcc_hi, v5
	v_xor_b32_e32 v5, vcc_lo, v5
	v_and_b32_e32 v100, v100, v102
	v_and_b32_e32 v102, v21, v5
	v_lshlrev_b32_e32 v5, 24, v20
	v_cmp_gt_i64_e32 vcc, 0, v[4:5]
	v_not_b32_e32 v5, v5
	v_ashrrev_i32_e32 v5, 31, v5
	v_xor_b32_e32 v20, vcc_hi, v5
	v_xor_b32_e32 v5, vcc_lo, v5
	v_and_b32_e32 v21, v100, v20
	v_and_b32_e32 v20, v102, v5
	v_mbcnt_lo_u32_b32 v5, v20, 0
	v_mbcnt_hi_u32_b32 v100, v21, v5
	v_cmp_eq_u32_e32 vcc, 0, v100
	v_cmp_ne_u64_e64 s[36:37], 0, v[20:21]
	s_and_b64 s[38:39], s[36:37], vcc
	; wave barrier
	s_and_saveexec_b64 s[36:37], s[38:39]
	s_cbranch_execz .LBB2079_598
; %bb.597:                              ;   in Loop: Header=BB2079_574 Depth=2
	v_bcnt_u32_b32 v5, v20, 0
	v_bcnt_u32_b32 v5, v21, v5
	s_waitcnt lgkmcnt(0)
	v_add_u32_e32 v5, v98, v5
	ds_write_b32 v99, v5
.LBB2079_598:                           ;   in Loop: Header=BB2079_574 Depth=2
	s_or_b64 exec, exec, s[36:37]
	s_waitcnt vmcnt(4)
	v_cmp_lt_i16_e32 vcc, -1, v101
	v_cndmask_b32_e32 v5, -1, v66, vcc
	v_xor_b32_e32 v101, v5, v101
	v_cmp_ne_u16_e32 vcc, s68, v101
	v_cndmask_b32_e32 v5, v66, v101, vcc
	v_lshrrev_b32_sdwa v5, s69, v5 dst_sel:DWORD dst_unused:UNUSED_PAD src0_sel:DWORD src1_sel:WORD_0
	v_and_b32_e32 v20, s78, v5
	v_mul_u32_u24_e32 v5, 5, v20
	v_add_lshl_u32 v5, v5, v92, 2
	; wave barrier
	v_add_u32_e32 v103, 0x410, v5
	ds_read_b32 v102, v5 offset:1040
	v_and_b32_e32 v5, 1, v20
	v_add_co_u32_e32 v21, vcc, -1, v5
	v_addc_co_u32_e64 v105, s[36:37], 0, -1, vcc
	v_cmp_ne_u32_e32 vcc, 0, v5
	v_xor_b32_e32 v5, vcc_hi, v105
	v_and_b32_e32 v105, exec_hi, v5
	v_lshlrev_b32_e32 v5, 30, v20
	v_xor_b32_e32 v21, vcc_lo, v21
	v_cmp_gt_i64_e32 vcc, 0, v[4:5]
	v_not_b32_e32 v5, v5
	v_ashrrev_i32_e32 v5, 31, v5
	v_and_b32_e32 v21, exec_lo, v21
	v_xor_b32_e32 v107, vcc_hi, v5
	v_xor_b32_e32 v5, vcc_lo, v5
	v_and_b32_e32 v21, v21, v5
	v_lshlrev_b32_e32 v5, 29, v20
	v_cmp_gt_i64_e32 vcc, 0, v[4:5]
	v_not_b32_e32 v5, v5
	v_ashrrev_i32_e32 v5, 31, v5
	v_and_b32_e32 v105, v105, v107
	v_xor_b32_e32 v107, vcc_hi, v5
	v_xor_b32_e32 v5, vcc_lo, v5
	v_and_b32_e32 v21, v21, v5
	v_lshlrev_b32_e32 v5, 28, v20
	v_cmp_gt_i64_e32 vcc, 0, v[4:5]
	v_not_b32_e32 v5, v5
	v_ashrrev_i32_e32 v5, 31, v5
	v_and_b32_e32 v105, v105, v107
	;; [unrolled: 8-line block ×5, first 2 shown]
	v_xor_b32_e32 v107, vcc_hi, v5
	v_xor_b32_e32 v5, vcc_lo, v5
	v_and_b32_e32 v105, v105, v107
	v_and_b32_e32 v107, v21, v5
	v_lshlrev_b32_e32 v5, 24, v20
	v_cmp_gt_i64_e32 vcc, 0, v[4:5]
	v_not_b32_e32 v5, v5
	v_ashrrev_i32_e32 v5, 31, v5
	v_xor_b32_e32 v20, vcc_hi, v5
	v_xor_b32_e32 v5, vcc_lo, v5
	v_and_b32_e32 v21, v105, v20
	v_and_b32_e32 v20, v107, v5
	v_mbcnt_lo_u32_b32 v5, v20, 0
	v_mbcnt_hi_u32_b32 v105, v21, v5
	v_cmp_eq_u32_e32 vcc, 0, v105
	v_cmp_ne_u64_e64 s[36:37], 0, v[20:21]
	s_and_b64 s[38:39], s[36:37], vcc
	; wave barrier
	s_and_saveexec_b64 s[36:37], s[38:39]
	s_cbranch_execz .LBB2079_600
; %bb.599:                              ;   in Loop: Header=BB2079_574 Depth=2
	v_bcnt_u32_b32 v5, v20, 0
	v_bcnt_u32_b32 v5, v21, v5
	s_waitcnt lgkmcnt(0)
	v_add_u32_e32 v5, v102, v5
	ds_write_b32 v103, v5
.LBB2079_600:                           ;   in Loop: Header=BB2079_574 Depth=2
	s_or_b64 exec, exec, s[36:37]
	s_waitcnt vmcnt(3)
	v_cmp_lt_i16_e32 vcc, -1, v106
	v_cndmask_b32_e32 v5, -1, v66, vcc
	v_xor_b32_e32 v106, v5, v106
	v_cmp_ne_u16_e32 vcc, s68, v106
	v_cndmask_b32_e32 v5, v66, v106, vcc
	v_lshrrev_b32_sdwa v5, s69, v5 dst_sel:DWORD dst_unused:UNUSED_PAD src0_sel:DWORD src1_sel:WORD_0
	v_and_b32_e32 v20, s78, v5
	v_mul_u32_u24_e32 v5, 5, v20
	v_add_lshl_u32 v5, v5, v92, 2
	; wave barrier
	v_add_u32_e32 v108, 0x410, v5
	ds_read_b32 v107, v5 offset:1040
	v_and_b32_e32 v5, 1, v20
	v_add_co_u32_e32 v21, vcc, -1, v5
	v_addc_co_u32_e64 v110, s[36:37], 0, -1, vcc
	v_cmp_ne_u32_e32 vcc, 0, v5
	v_xor_b32_e32 v5, vcc_hi, v110
	v_and_b32_e32 v110, exec_hi, v5
	v_lshlrev_b32_e32 v5, 30, v20
	v_xor_b32_e32 v21, vcc_lo, v21
	v_cmp_gt_i64_e32 vcc, 0, v[4:5]
	v_not_b32_e32 v5, v5
	v_ashrrev_i32_e32 v5, 31, v5
	v_and_b32_e32 v21, exec_lo, v21
	v_xor_b32_e32 v111, vcc_hi, v5
	v_xor_b32_e32 v5, vcc_lo, v5
	v_and_b32_e32 v21, v21, v5
	v_lshlrev_b32_e32 v5, 29, v20
	v_cmp_gt_i64_e32 vcc, 0, v[4:5]
	v_not_b32_e32 v5, v5
	v_ashrrev_i32_e32 v5, 31, v5
	v_and_b32_e32 v110, v110, v111
	v_xor_b32_e32 v111, vcc_hi, v5
	v_xor_b32_e32 v5, vcc_lo, v5
	v_and_b32_e32 v21, v21, v5
	v_lshlrev_b32_e32 v5, 28, v20
	v_cmp_gt_i64_e32 vcc, 0, v[4:5]
	v_not_b32_e32 v5, v5
	v_ashrrev_i32_e32 v5, 31, v5
	v_and_b32_e32 v110, v110, v111
	;; [unrolled: 8-line block ×5, first 2 shown]
	v_xor_b32_e32 v111, vcc_hi, v5
	v_xor_b32_e32 v5, vcc_lo, v5
	v_and_b32_e32 v110, v110, v111
	v_and_b32_e32 v111, v21, v5
	v_lshlrev_b32_e32 v5, 24, v20
	v_cmp_gt_i64_e32 vcc, 0, v[4:5]
	v_not_b32_e32 v5, v5
	v_ashrrev_i32_e32 v5, 31, v5
	v_xor_b32_e32 v20, vcc_hi, v5
	v_xor_b32_e32 v5, vcc_lo, v5
	v_and_b32_e32 v21, v110, v20
	v_and_b32_e32 v20, v111, v5
	v_mbcnt_lo_u32_b32 v5, v20, 0
	v_mbcnt_hi_u32_b32 v110, v21, v5
	v_cmp_eq_u32_e32 vcc, 0, v110
	v_cmp_ne_u64_e64 s[36:37], 0, v[20:21]
	s_and_b64 s[38:39], s[36:37], vcc
	; wave barrier
	s_and_saveexec_b64 s[36:37], s[38:39]
	s_cbranch_execz .LBB2079_602
; %bb.601:                              ;   in Loop: Header=BB2079_574 Depth=2
	v_bcnt_u32_b32 v5, v20, 0
	v_bcnt_u32_b32 v5, v21, v5
	s_waitcnt lgkmcnt(0)
	v_add_u32_e32 v5, v107, v5
	ds_write_b32 v108, v5
.LBB2079_602:                           ;   in Loop: Header=BB2079_574 Depth=2
	s_or_b64 exec, exec, s[36:37]
	s_waitcnt vmcnt(2)
	v_cmp_lt_i16_e32 vcc, -1, v109
	v_cndmask_b32_e32 v5, -1, v66, vcc
	v_xor_b32_e32 v109, v5, v109
	v_cmp_ne_u16_e32 vcc, s68, v109
	v_cndmask_b32_e32 v5, v66, v109, vcc
	v_lshrrev_b32_sdwa v5, s69, v5 dst_sel:DWORD dst_unused:UNUSED_PAD src0_sel:DWORD src1_sel:WORD_0
	v_and_b32_e32 v20, s78, v5
	v_mul_u32_u24_e32 v5, 5, v20
	v_add_lshl_u32 v5, v5, v92, 2
	; wave barrier
	v_add_u32_e32 v112, 0x410, v5
	ds_read_b32 v111, v5 offset:1040
	v_and_b32_e32 v5, 1, v20
	v_add_co_u32_e32 v21, vcc, -1, v5
	v_addc_co_u32_e64 v113, s[36:37], 0, -1, vcc
	v_cmp_ne_u32_e32 vcc, 0, v5
	v_xor_b32_e32 v5, vcc_hi, v113
	v_and_b32_e32 v113, exec_hi, v5
	v_lshlrev_b32_e32 v5, 30, v20
	v_xor_b32_e32 v21, vcc_lo, v21
	v_cmp_gt_i64_e32 vcc, 0, v[4:5]
	v_not_b32_e32 v5, v5
	v_ashrrev_i32_e32 v5, 31, v5
	v_and_b32_e32 v21, exec_lo, v21
	v_xor_b32_e32 v114, vcc_hi, v5
	v_xor_b32_e32 v5, vcc_lo, v5
	v_and_b32_e32 v21, v21, v5
	v_lshlrev_b32_e32 v5, 29, v20
	v_cmp_gt_i64_e32 vcc, 0, v[4:5]
	v_not_b32_e32 v5, v5
	v_ashrrev_i32_e32 v5, 31, v5
	v_and_b32_e32 v113, v113, v114
	v_xor_b32_e32 v114, vcc_hi, v5
	v_xor_b32_e32 v5, vcc_lo, v5
	v_and_b32_e32 v21, v21, v5
	v_lshlrev_b32_e32 v5, 28, v20
	v_cmp_gt_i64_e32 vcc, 0, v[4:5]
	v_not_b32_e32 v5, v5
	v_ashrrev_i32_e32 v5, 31, v5
	v_and_b32_e32 v113, v113, v114
	;; [unrolled: 8-line block ×5, first 2 shown]
	v_xor_b32_e32 v114, vcc_hi, v5
	v_xor_b32_e32 v5, vcc_lo, v5
	v_and_b32_e32 v113, v113, v114
	v_and_b32_e32 v114, v21, v5
	v_lshlrev_b32_e32 v5, 24, v20
	v_cmp_gt_i64_e32 vcc, 0, v[4:5]
	v_not_b32_e32 v5, v5
	v_ashrrev_i32_e32 v5, 31, v5
	v_xor_b32_e32 v20, vcc_hi, v5
	v_xor_b32_e32 v5, vcc_lo, v5
	v_and_b32_e32 v21, v113, v20
	v_and_b32_e32 v20, v114, v5
	v_mbcnt_lo_u32_b32 v5, v20, 0
	v_mbcnt_hi_u32_b32 v113, v21, v5
	v_cmp_eq_u32_e32 vcc, 0, v113
	v_cmp_ne_u64_e64 s[36:37], 0, v[20:21]
	s_and_b64 s[38:39], s[36:37], vcc
	; wave barrier
	s_and_saveexec_b64 s[36:37], s[38:39]
	s_cbranch_execz .LBB2079_604
; %bb.603:                              ;   in Loop: Header=BB2079_574 Depth=2
	v_bcnt_u32_b32 v5, v20, 0
	v_bcnt_u32_b32 v5, v21, v5
	s_waitcnt lgkmcnt(0)
	v_add_u32_e32 v5, v111, v5
	ds_write_b32 v112, v5
.LBB2079_604:                           ;   in Loop: Header=BB2079_574 Depth=2
	s_or_b64 exec, exec, s[36:37]
	s_waitcnt vmcnt(1)
	v_cmp_lt_i16_e32 vcc, -1, v104
	v_cndmask_b32_e32 v5, -1, v66, vcc
	v_xor_b32_e32 v104, v5, v104
	v_cmp_ne_u16_e32 vcc, s68, v104
	v_cndmask_b32_e32 v5, v66, v104, vcc
	v_lshrrev_b32_sdwa v5, s69, v5 dst_sel:DWORD dst_unused:UNUSED_PAD src0_sel:DWORD src1_sel:WORD_0
	v_and_b32_e32 v20, s78, v5
	v_mul_u32_u24_e32 v5, 5, v20
	v_add_lshl_u32 v5, v5, v92, 2
	; wave barrier
	v_add_u32_e32 v115, 0x410, v5
	ds_read_b32 v114, v5 offset:1040
	v_and_b32_e32 v5, 1, v20
	v_add_co_u32_e32 v21, vcc, -1, v5
	v_addc_co_u32_e64 v116, s[36:37], 0, -1, vcc
	v_cmp_ne_u32_e32 vcc, 0, v5
	v_xor_b32_e32 v5, vcc_hi, v116
	v_and_b32_e32 v116, exec_hi, v5
	v_lshlrev_b32_e32 v5, 30, v20
	v_xor_b32_e32 v21, vcc_lo, v21
	v_cmp_gt_i64_e32 vcc, 0, v[4:5]
	v_not_b32_e32 v5, v5
	v_ashrrev_i32_e32 v5, 31, v5
	v_and_b32_e32 v21, exec_lo, v21
	v_xor_b32_e32 v117, vcc_hi, v5
	v_xor_b32_e32 v5, vcc_lo, v5
	v_and_b32_e32 v21, v21, v5
	v_lshlrev_b32_e32 v5, 29, v20
	v_cmp_gt_i64_e32 vcc, 0, v[4:5]
	v_not_b32_e32 v5, v5
	v_ashrrev_i32_e32 v5, 31, v5
	v_and_b32_e32 v116, v116, v117
	v_xor_b32_e32 v117, vcc_hi, v5
	v_xor_b32_e32 v5, vcc_lo, v5
	v_and_b32_e32 v21, v21, v5
	v_lshlrev_b32_e32 v5, 28, v20
	v_cmp_gt_i64_e32 vcc, 0, v[4:5]
	v_not_b32_e32 v5, v5
	v_ashrrev_i32_e32 v5, 31, v5
	v_and_b32_e32 v116, v116, v117
	;; [unrolled: 8-line block ×5, first 2 shown]
	v_xor_b32_e32 v117, vcc_hi, v5
	v_xor_b32_e32 v5, vcc_lo, v5
	v_and_b32_e32 v116, v116, v117
	v_and_b32_e32 v117, v21, v5
	v_lshlrev_b32_e32 v5, 24, v20
	v_cmp_gt_i64_e32 vcc, 0, v[4:5]
	v_not_b32_e32 v5, v5
	v_ashrrev_i32_e32 v5, 31, v5
	v_xor_b32_e32 v20, vcc_hi, v5
	v_xor_b32_e32 v5, vcc_lo, v5
	v_and_b32_e32 v21, v116, v20
	v_and_b32_e32 v20, v117, v5
	v_mbcnt_lo_u32_b32 v5, v20, 0
	v_mbcnt_hi_u32_b32 v116, v21, v5
	v_cmp_eq_u32_e32 vcc, 0, v116
	v_cmp_ne_u64_e64 s[36:37], 0, v[20:21]
	s_and_b64 s[38:39], s[36:37], vcc
	; wave barrier
	s_and_saveexec_b64 s[36:37], s[38:39]
	s_cbranch_execz .LBB2079_606
; %bb.605:                              ;   in Loop: Header=BB2079_574 Depth=2
	v_bcnt_u32_b32 v5, v20, 0
	v_bcnt_u32_b32 v5, v21, v5
	s_waitcnt lgkmcnt(0)
	v_add_u32_e32 v5, v114, v5
	ds_write_b32 v115, v5
.LBB2079_606:                           ;   in Loop: Header=BB2079_574 Depth=2
	s_or_b64 exec, exec, s[36:37]
	s_waitcnt vmcnt(0)
	v_cmp_lt_i16_e32 vcc, -1, v22
	v_cndmask_b32_e32 v5, -1, v66, vcc
	v_xor_b32_e32 v117, v5, v22
	v_cmp_ne_u16_e32 vcc, s68, v117
	v_cndmask_b32_e32 v5, v66, v117, vcc
	v_lshrrev_b32_sdwa v5, s69, v5 dst_sel:DWORD dst_unused:UNUSED_PAD src0_sel:DWORD src1_sel:WORD_0
	v_and_b32_e32 v20, s78, v5
	v_mul_u32_u24_e32 v5, 5, v20
	v_add_lshl_u32 v5, v5, v92, 2
	; wave barrier
	v_add_u32_e32 v119, 0x410, v5
	ds_read_b32 v118, v5 offset:1040
	v_and_b32_e32 v5, 1, v20
	v_add_co_u32_e32 v21, vcc, -1, v5
	v_addc_co_u32_e64 v22, s[36:37], 0, -1, vcc
	v_cmp_ne_u32_e32 vcc, 0, v5
	v_xor_b32_e32 v5, vcc_hi, v22
	v_and_b32_e32 v22, exec_hi, v5
	v_lshlrev_b32_e32 v5, 30, v20
	v_xor_b32_e32 v21, vcc_lo, v21
	v_cmp_gt_i64_e32 vcc, 0, v[4:5]
	v_not_b32_e32 v5, v5
	v_ashrrev_i32_e32 v5, 31, v5
	v_and_b32_e32 v21, exec_lo, v21
	v_xor_b32_e32 v120, vcc_hi, v5
	v_xor_b32_e32 v5, vcc_lo, v5
	v_and_b32_e32 v21, v21, v5
	v_lshlrev_b32_e32 v5, 29, v20
	v_cmp_gt_i64_e32 vcc, 0, v[4:5]
	v_not_b32_e32 v5, v5
	v_ashrrev_i32_e32 v5, 31, v5
	v_and_b32_e32 v22, v22, v120
	v_xor_b32_e32 v120, vcc_hi, v5
	v_xor_b32_e32 v5, vcc_lo, v5
	v_and_b32_e32 v21, v21, v5
	v_lshlrev_b32_e32 v5, 28, v20
	v_cmp_gt_i64_e32 vcc, 0, v[4:5]
	v_not_b32_e32 v5, v5
	v_ashrrev_i32_e32 v5, 31, v5
	v_and_b32_e32 v22, v22, v120
	;; [unrolled: 8-line block ×5, first 2 shown]
	v_xor_b32_e32 v120, vcc_hi, v5
	v_xor_b32_e32 v5, vcc_lo, v5
	v_and_b32_e32 v22, v22, v120
	v_and_b32_e32 v120, v21, v5
	v_lshlrev_b32_e32 v5, 24, v20
	v_cmp_gt_i64_e32 vcc, 0, v[4:5]
	v_not_b32_e32 v5, v5
	v_ashrrev_i32_e32 v5, 31, v5
	v_xor_b32_e32 v20, vcc_hi, v5
	v_xor_b32_e32 v5, vcc_lo, v5
	v_and_b32_e32 v21, v22, v20
	v_and_b32_e32 v20, v120, v5
	v_mbcnt_lo_u32_b32 v5, v20, 0
	v_mbcnt_hi_u32_b32 v120, v21, v5
	v_cmp_eq_u32_e32 vcc, 0, v120
	v_cmp_ne_u64_e64 s[36:37], 0, v[20:21]
	s_and_b64 s[38:39], s[36:37], vcc
	; wave barrier
	s_and_saveexec_b64 s[36:37], s[38:39]
	s_cbranch_execz .LBB2079_608
; %bb.607:                              ;   in Loop: Header=BB2079_574 Depth=2
	v_bcnt_u32_b32 v5, v20, 0
	v_bcnt_u32_b32 v5, v21, v5
	s_waitcnt lgkmcnt(0)
	v_add_u32_e32 v5, v118, v5
	ds_write_b32 v119, v5
.LBB2079_608:                           ;   in Loop: Header=BB2079_574 Depth=2
	s_or_b64 exec, exec, s[36:37]
	v_cmp_lt_i16_e32 vcc, -1, v23
	v_cndmask_b32_e32 v5, -1, v66, vcc
	v_xor_b32_e32 v121, v5, v23
	v_cmp_ne_u16_e32 vcc, s68, v121
	v_cndmask_b32_e32 v5, v66, v121, vcc
	v_lshrrev_b32_sdwa v5, s69, v5 dst_sel:DWORD dst_unused:UNUSED_PAD src0_sel:DWORD src1_sel:WORD_0
	v_and_b32_e32 v20, s78, v5
	v_mul_u32_u24_e32 v5, 5, v20
	v_add_lshl_u32 v5, v5, v92, 2
	; wave barrier
	v_add_u32_e32 v123, 0x410, v5
	ds_read_b32 v122, v5 offset:1040
	v_and_b32_e32 v5, 1, v20
	v_add_co_u32_e32 v21, vcc, -1, v5
	v_addc_co_u32_e64 v22, s[36:37], 0, -1, vcc
	v_cmp_ne_u32_e32 vcc, 0, v5
	v_xor_b32_e32 v5, vcc_hi, v22
	v_and_b32_e32 v22, exec_hi, v5
	v_lshlrev_b32_e32 v5, 30, v20
	v_xor_b32_e32 v21, vcc_lo, v21
	v_cmp_gt_i64_e32 vcc, 0, v[4:5]
	v_not_b32_e32 v5, v5
	v_ashrrev_i32_e32 v5, 31, v5
	v_and_b32_e32 v21, exec_lo, v21
	v_xor_b32_e32 v23, vcc_hi, v5
	v_xor_b32_e32 v5, vcc_lo, v5
	v_and_b32_e32 v21, v21, v5
	v_lshlrev_b32_e32 v5, 29, v20
	v_cmp_gt_i64_e32 vcc, 0, v[4:5]
	v_not_b32_e32 v5, v5
	v_ashrrev_i32_e32 v5, 31, v5
	v_and_b32_e32 v22, v22, v23
	v_xor_b32_e32 v23, vcc_hi, v5
	v_xor_b32_e32 v5, vcc_lo, v5
	v_and_b32_e32 v21, v21, v5
	v_lshlrev_b32_e32 v5, 28, v20
	v_cmp_gt_i64_e32 vcc, 0, v[4:5]
	v_not_b32_e32 v5, v5
	v_ashrrev_i32_e32 v5, 31, v5
	v_and_b32_e32 v22, v22, v23
	;; [unrolled: 8-line block ×5, first 2 shown]
	v_xor_b32_e32 v23, vcc_hi, v5
	v_xor_b32_e32 v5, vcc_lo, v5
	v_and_b32_e32 v22, v22, v23
	v_and_b32_e32 v23, v21, v5
	v_lshlrev_b32_e32 v5, 24, v20
	v_cmp_gt_i64_e32 vcc, 0, v[4:5]
	v_not_b32_e32 v5, v5
	v_ashrrev_i32_e32 v5, 31, v5
	v_xor_b32_e32 v20, vcc_hi, v5
	v_xor_b32_e32 v5, vcc_lo, v5
	v_and_b32_e32 v21, v22, v20
	v_and_b32_e32 v20, v23, v5
	v_mbcnt_lo_u32_b32 v5, v20, 0
	v_mbcnt_hi_u32_b32 v124, v21, v5
	v_cmp_eq_u32_e32 vcc, 0, v124
	v_cmp_ne_u64_e64 s[36:37], 0, v[20:21]
	s_and_b64 s[38:39], s[36:37], vcc
	; wave barrier
	s_and_saveexec_b64 s[36:37], s[38:39]
	s_cbranch_execz .LBB2079_610
; %bb.609:                              ;   in Loop: Header=BB2079_574 Depth=2
	v_bcnt_u32_b32 v5, v20, 0
	v_bcnt_u32_b32 v5, v21, v5
	s_waitcnt lgkmcnt(0)
	v_add_u32_e32 v5, v122, v5
	ds_write_b32 v123, v5
.LBB2079_610:                           ;   in Loop: Header=BB2079_574 Depth=2
	s_or_b64 exec, exec, s[36:37]
	; wave barrier
	s_waitcnt lgkmcnt(0)
	s_barrier
	ds_read_b32 v5, v41 offset:1040
	ds_read2_b32 v[22:23], v43 offset0:1 offset1:2
	ds_read2_b32 v[20:21], v43 offset0:3 offset1:4
	s_waitcnt lgkmcnt(1)
	v_add3_u32 v125, v22, v5, v23
	s_waitcnt lgkmcnt(0)
	v_add3_u32 v21, v125, v20, v21
	s_nop 1
	v_mov_b32_dpp v125, v21 row_shr:1 row_mask:0xf bank_mask:0xf
	v_cndmask_b32_e64 v125, v125, 0, s[16:17]
	v_add_u32_e32 v21, v125, v21
	s_nop 1
	v_mov_b32_dpp v125, v21 row_shr:2 row_mask:0xf bank_mask:0xf
	v_cndmask_b32_e64 v125, 0, v125, s[18:19]
	v_add_u32_e32 v21, v21, v125
	;; [unrolled: 4-line block ×4, first 2 shown]
	s_nop 1
	v_mov_b32_dpp v125, v21 row_bcast:15 row_mask:0xf bank_mask:0xf
	v_cndmask_b32_e64 v125, v125, 0, s[24:25]
	v_add_u32_e32 v21, v21, v125
	s_nop 1
	v_mov_b32_dpp v125, v21 row_bcast:31 row_mask:0xf bank_mask:0xf
	v_cndmask_b32_e64 v125, 0, v125, s[26:27]
	v_add_u32_e32 v21, v21, v125
	s_and_saveexec_b64 s[36:37], s[6:7]
	s_cbranch_execz .LBB2079_612
; %bb.611:                              ;   in Loop: Header=BB2079_574 Depth=2
	ds_write_b32 v34, v21 offset:1024
.LBB2079_612:                           ;   in Loop: Header=BB2079_574 Depth=2
	s_or_b64 exec, exec, s[36:37]
	s_waitcnt lgkmcnt(0)
	s_barrier
	s_and_saveexec_b64 s[36:37], s[8:9]
	s_cbranch_execz .LBB2079_614
; %bb.613:                              ;   in Loop: Header=BB2079_574 Depth=2
	ds_read_b32 v125, v44 offset:1024
	s_waitcnt lgkmcnt(0)
	s_nop 0
	v_mov_b32_dpp v126, v125 row_shr:1 row_mask:0xf bank_mask:0xf
	v_cndmask_b32_e64 v126, v126, 0, s[30:31]
	v_add_u32_e32 v125, v126, v125
	s_nop 1
	v_mov_b32_dpp v126, v125 row_shr:2 row_mask:0xf bank_mask:0xf
	v_cndmask_b32_e64 v126, 0, v126, s[34:35]
	v_add_u32_e32 v125, v125, v126
	ds_write_b32 v44, v125 offset:1024
.LBB2079_614:                           ;   in Loop: Header=BB2079_574 Depth=2
	s_or_b64 exec, exec, s[36:37]
	v_mov_b32_e32 v125, 0
	s_waitcnt lgkmcnt(0)
	s_barrier
	s_and_saveexec_b64 s[36:37], s[10:11]
	s_cbranch_execz .LBB2079_616
; %bb.615:                              ;   in Loop: Header=BB2079_574 Depth=2
	ds_read_b32 v125, v34 offset:1020
.LBB2079_616:                           ;   in Loop: Header=BB2079_574 Depth=2
	s_or_b64 exec, exec, s[36:37]
	s_waitcnt lgkmcnt(0)
	v_add_u32_e32 v21, v125, v21
	ds_bpermute_b32 v21, v69, v21
	s_waitcnt lgkmcnt(0)
	v_cndmask_b32_e64 v21, v21, v125, s[28:29]
	v_cndmask_b32_e64 v21, v21, 0, s[12:13]
	v_add_u32_e32 v5, v21, v5
	ds_write_b32 v41, v21 offset:1040
	v_add_u32_e32 v21, v5, v22
	v_add_u32_e32 v22, v21, v23
	ds_write2_b32 v43, v5, v21 offset0:1 offset1:2
	v_add_u32_e32 v5, v22, v20
	ds_write2_b32 v43, v22, v5 offset0:3 offset1:4
	s_waitcnt lgkmcnt(0)
	s_barrier
	ds_read_b32 v20, v99
	ds_read_b32 v21, v103
	;; [unrolled: 1-line block ×8, first 2 shown]
	ds_read_b32 v99, v41 offset:1040
	v_mov_b32_e32 v5, 0x800
	s_and_saveexec_b64 s[36:37], s[14:15]
	s_cbranch_execz .LBB2079_618
; %bb.617:                              ;   in Loop: Header=BB2079_574 Depth=2
	ds_read_b32 v5, v41 offset:1060
.LBB2079_618:                           ;   in Loop: Header=BB2079_574 Depth=2
	s_or_b64 exec, exec, s[36:37]
	s_waitcnt lgkmcnt(0)
	s_barrier
	s_and_saveexec_b64 s[36:37], s[4:5]
	s_cbranch_execz .LBB2079_620
; %bb.619:                              ;   in Loop: Header=BB2079_574 Depth=2
	ds_read_b32 v103, v3
	s_waitcnt lgkmcnt(0)
	v_sub_u32_e32 v99, v103, v99
	ds_write_b32 v3, v99
.LBB2079_620:                           ;   in Loop: Header=BB2079_574 Depth=2
	s_or_b64 exec, exec, s[36:37]
	v_add_u32_e32 v103, v95, v96
	v_add3_u32 v100, v100, v98, v20
	v_lshlrev_b32_e32 v20, 1, v103
	v_add3_u32 v99, v105, v102, v21
	ds_write_b16 v20, v94 offset:1024
	v_lshlrev_b32_e32 v20, 1, v100
	v_add3_u32 v98, v110, v107, v22
	ds_write_b16 v20, v97 offset:1024
	;; [unrolled: 3-line block ×6, first 2 shown]
	v_lshlrev_b32_e32 v20, 1, v23
	ds_write_b16 v20, v117 offset:1024
	v_lshlrev_b32_e32 v20, 1, v22
	v_cmp_lt_u32_e32 vcc, v2, v93
	ds_write_b16 v20, v121 offset:1024
	s_waitcnt lgkmcnt(0)
	s_barrier
	s_and_saveexec_b64 s[38:39], vcc
	s_cbranch_execz .LBB2079_628
; %bb.621:                              ;   in Loop: Header=BB2079_574 Depth=2
	ds_read_u16 v20, v49 offset:1024
	v_mov_b32_e32 v21, v4
	v_mov_b32_e32 v97, s61
	s_waitcnt lgkmcnt(0)
	v_cmp_ne_u16_e64 s[36:37], s68, v20
	v_cndmask_b32_e64 v94, v66, v20, s[36:37]
	v_lshrrev_b32_sdwa v94, s69, v94 dst_sel:DWORD dst_unused:UNUSED_PAD src0_sel:DWORD src1_sel:WORD_0
	v_and_b32_e32 v94, s78, v94
	v_lshlrev_b32_e32 v94, 2, v94
	ds_read_b32 v94, v94
	v_cmp_lt_i16_e64 s[36:37], -1, v20
	v_cndmask_b32_e64 v101, v66, -1, s[36:37]
	v_xor_b32_e32 v101, v101, v20
	s_waitcnt lgkmcnt(0)
	v_add_u32_e32 v20, v94, v2
	v_lshlrev_b64 v[20:21], 1, v[20:21]
	v_add_co_u32_e64 v20, s[36:37], s60, v20
	v_addc_co_u32_e64 v21, s[36:37], v97, v21, s[36:37]
	global_store_short v[20:21], v101, off
	s_or_b64 exec, exec, s[38:39]
	v_cmp_lt_u32_e64 s[36:37], v24, v93
	s_and_saveexec_b64 s[40:41], s[36:37]
	s_cbranch_execnz .LBB2079_629
.LBB2079_622:                           ;   in Loop: Header=BB2079_574 Depth=2
	s_or_b64 exec, exec, s[40:41]
	v_cmp_lt_u32_e64 s[38:39], v25, v93
	s_and_saveexec_b64 s[42:43], s[38:39]
	s_cbranch_execz .LBB2079_630
.LBB2079_623:                           ;   in Loop: Header=BB2079_574 Depth=2
	ds_read_u16 v20, v50 offset:1024
	v_mov_b32_e32 v21, v4
	v_mov_b32_e32 v97, s61
	s_waitcnt lgkmcnt(0)
	v_cmp_ne_u16_e64 s[40:41], s68, v20
	v_cndmask_b32_e64 v94, v66, v20, s[40:41]
	v_lshrrev_b32_sdwa v94, s69, v94 dst_sel:DWORD dst_unused:UNUSED_PAD src0_sel:DWORD src1_sel:WORD_0
	v_and_b32_e32 v94, s78, v94
	v_lshlrev_b32_e32 v94, 2, v94
	ds_read_b32 v94, v94
	v_cmp_lt_i16_e64 s[40:41], -1, v20
	v_cndmask_b32_e64 v101, v66, -1, s[40:41]
	v_xor_b32_e32 v101, v101, v20
	s_waitcnt lgkmcnt(0)
	v_add_u32_e32 v20, v94, v25
	v_lshlrev_b64 v[20:21], 1, v[20:21]
	v_add_co_u32_e64 v20, s[40:41], s60, v20
	v_addc_co_u32_e64 v21, s[40:41], v97, v21, s[40:41]
	global_store_short v[20:21], v101, off
	s_or_b64 exec, exec, s[42:43]
	v_cmp_lt_u32_e64 s[40:41], v26, v93
	s_and_saveexec_b64 s[44:45], s[40:41]
	s_cbranch_execnz .LBB2079_631
.LBB2079_624:                           ;   in Loop: Header=BB2079_574 Depth=2
	s_or_b64 exec, exec, s[44:45]
	v_cmp_lt_u32_e64 s[42:43], v29, v93
	s_and_saveexec_b64 s[46:47], s[42:43]
	s_cbranch_execz .LBB2079_632
.LBB2079_625:                           ;   in Loop: Header=BB2079_574 Depth=2
	ds_read_u16 v20, v50 offset:2048
	v_mov_b32_e32 v21, v4
	v_mov_b32_e32 v97, s61
	s_waitcnt lgkmcnt(0)
	v_cmp_ne_u16_e64 s[44:45], s68, v20
	v_cndmask_b32_e64 v94, v66, v20, s[44:45]
	v_lshrrev_b32_sdwa v94, s69, v94 dst_sel:DWORD dst_unused:UNUSED_PAD src0_sel:DWORD src1_sel:WORD_0
	v_and_b32_e32 v94, s78, v94
	v_lshlrev_b32_e32 v94, 2, v94
	ds_read_b32 v94, v94
	v_cmp_lt_i16_e64 s[44:45], -1, v20
	v_cndmask_b32_e64 v101, v66, -1, s[44:45]
	v_xor_b32_e32 v101, v101, v20
	s_waitcnt lgkmcnt(0)
	v_add_u32_e32 v20, v94, v29
	v_lshlrev_b64 v[20:21], 1, v[20:21]
	v_add_co_u32_e64 v20, s[44:45], s60, v20
	v_addc_co_u32_e64 v21, s[44:45], v97, v21, s[44:45]
	global_store_short v[20:21], v101, off
	s_or_b64 exec, exec, s[46:47]
	v_cmp_lt_u32_e64 s[44:45], v30, v93
	s_and_saveexec_b64 s[48:49], s[44:45]
	s_cbranch_execnz .LBB2079_633
.LBB2079_626:                           ;   in Loop: Header=BB2079_574 Depth=2
	s_or_b64 exec, exec, s[48:49]
	v_cmp_lt_u32_e64 s[46:47], v31, v93
	s_and_saveexec_b64 s[52:53], s[46:47]
	s_cbranch_execz .LBB2079_634
.LBB2079_627:                           ;   in Loop: Header=BB2079_574 Depth=2
	ds_read_u16 v20, v50 offset:3072
	v_mov_b32_e32 v21, v4
	v_mov_b32_e32 v97, s61
	s_waitcnt lgkmcnt(0)
	v_cmp_ne_u16_e64 s[48:49], s68, v20
	v_cndmask_b32_e64 v94, v66, v20, s[48:49]
	v_lshrrev_b32_sdwa v94, s69, v94 dst_sel:DWORD dst_unused:UNUSED_PAD src0_sel:DWORD src1_sel:WORD_0
	v_and_b32_e32 v94, s78, v94
	v_lshlrev_b32_e32 v94, 2, v94
	ds_read_b32 v94, v94
	v_cmp_lt_i16_e64 s[48:49], -1, v20
	v_cndmask_b32_e64 v101, v66, -1, s[48:49]
	v_xor_b32_e32 v101, v101, v20
	s_waitcnt lgkmcnt(0)
	v_add_u32_e32 v20, v94, v31
	v_lshlrev_b64 v[20:21], 1, v[20:21]
	v_add_co_u32_e64 v20, s[48:49], s60, v20
	v_addc_co_u32_e64 v21, s[48:49], v97, v21, s[48:49]
	global_store_short v[20:21], v101, off
	s_or_b64 exec, exec, s[52:53]
	v_cmp_lt_u32_e64 s[48:49], v32, v93
	s_and_saveexec_b64 s[62:63], s[48:49]
	s_cbranch_execnz .LBB2079_635
	s_branch .LBB2079_636
.LBB2079_628:                           ;   in Loop: Header=BB2079_574 Depth=2
	s_or_b64 exec, exec, s[38:39]
	v_cmp_lt_u32_e64 s[36:37], v24, v93
	s_and_saveexec_b64 s[40:41], s[36:37]
	s_cbranch_execz .LBB2079_622
.LBB2079_629:                           ;   in Loop: Header=BB2079_574 Depth=2
	ds_read_u16 v20, v50 offset:512
	v_mov_b32_e32 v21, v4
	v_mov_b32_e32 v97, s61
	s_waitcnt lgkmcnt(0)
	v_cmp_ne_u16_e64 s[38:39], s68, v20
	v_cndmask_b32_e64 v94, v66, v20, s[38:39]
	v_lshrrev_b32_sdwa v94, s69, v94 dst_sel:DWORD dst_unused:UNUSED_PAD src0_sel:DWORD src1_sel:WORD_0
	v_and_b32_e32 v94, s78, v94
	v_lshlrev_b32_e32 v94, 2, v94
	ds_read_b32 v94, v94
	v_cmp_lt_i16_e64 s[38:39], -1, v20
	v_cndmask_b32_e64 v101, v66, -1, s[38:39]
	v_xor_b32_e32 v101, v101, v20
	s_waitcnt lgkmcnt(0)
	v_add_u32_e32 v20, v94, v24
	v_lshlrev_b64 v[20:21], 1, v[20:21]
	v_add_co_u32_e64 v20, s[38:39], s60, v20
	v_addc_co_u32_e64 v21, s[38:39], v97, v21, s[38:39]
	global_store_short v[20:21], v101, off
	s_or_b64 exec, exec, s[40:41]
	v_cmp_lt_u32_e64 s[38:39], v25, v93
	s_and_saveexec_b64 s[42:43], s[38:39]
	s_cbranch_execnz .LBB2079_623
.LBB2079_630:                           ;   in Loop: Header=BB2079_574 Depth=2
	s_or_b64 exec, exec, s[42:43]
	v_cmp_lt_u32_e64 s[40:41], v26, v93
	s_and_saveexec_b64 s[44:45], s[40:41]
	s_cbranch_execz .LBB2079_624
.LBB2079_631:                           ;   in Loop: Header=BB2079_574 Depth=2
	ds_read_u16 v20, v50 offset:1536
	v_mov_b32_e32 v21, v4
	v_mov_b32_e32 v97, s61
	s_waitcnt lgkmcnt(0)
	v_cmp_ne_u16_e64 s[42:43], s68, v20
	v_cndmask_b32_e64 v94, v66, v20, s[42:43]
	v_lshrrev_b32_sdwa v94, s69, v94 dst_sel:DWORD dst_unused:UNUSED_PAD src0_sel:DWORD src1_sel:WORD_0
	v_and_b32_e32 v94, s78, v94
	v_lshlrev_b32_e32 v94, 2, v94
	ds_read_b32 v94, v94
	v_cmp_lt_i16_e64 s[42:43], -1, v20
	v_cndmask_b32_e64 v101, v66, -1, s[42:43]
	v_xor_b32_e32 v101, v101, v20
	s_waitcnt lgkmcnt(0)
	v_add_u32_e32 v20, v94, v26
	v_lshlrev_b64 v[20:21], 1, v[20:21]
	v_add_co_u32_e64 v20, s[42:43], s60, v20
	v_addc_co_u32_e64 v21, s[42:43], v97, v21, s[42:43]
	global_store_short v[20:21], v101, off
	s_or_b64 exec, exec, s[44:45]
	v_cmp_lt_u32_e64 s[42:43], v29, v93
	s_and_saveexec_b64 s[46:47], s[42:43]
	s_cbranch_execnz .LBB2079_625
.LBB2079_632:                           ;   in Loop: Header=BB2079_574 Depth=2
	s_or_b64 exec, exec, s[46:47]
	v_cmp_lt_u32_e64 s[44:45], v30, v93
	s_and_saveexec_b64 s[48:49], s[44:45]
	s_cbranch_execz .LBB2079_626
.LBB2079_633:                           ;   in Loop: Header=BB2079_574 Depth=2
	ds_read_u16 v20, v50 offset:2560
	v_mov_b32_e32 v21, v4
	v_mov_b32_e32 v97, s61
	s_waitcnt lgkmcnt(0)
	v_cmp_ne_u16_e64 s[46:47], s68, v20
	v_cndmask_b32_e64 v94, v66, v20, s[46:47]
	v_lshrrev_b32_sdwa v94, s69, v94 dst_sel:DWORD dst_unused:UNUSED_PAD src0_sel:DWORD src1_sel:WORD_0
	v_and_b32_e32 v94, s78, v94
	v_lshlrev_b32_e32 v94, 2, v94
	ds_read_b32 v94, v94
	v_cmp_lt_i16_e64 s[46:47], -1, v20
	v_cndmask_b32_e64 v101, v66, -1, s[46:47]
	v_xor_b32_e32 v101, v101, v20
	s_waitcnt lgkmcnt(0)
	v_add_u32_e32 v20, v94, v30
	v_lshlrev_b64 v[20:21], 1, v[20:21]
	v_add_co_u32_e64 v20, s[46:47], s60, v20
	v_addc_co_u32_e64 v21, s[46:47], v97, v21, s[46:47]
	global_store_short v[20:21], v101, off
	s_or_b64 exec, exec, s[48:49]
	v_cmp_lt_u32_e64 s[46:47], v31, v93
	s_and_saveexec_b64 s[52:53], s[46:47]
	s_cbranch_execnz .LBB2079_627
.LBB2079_634:                           ;   in Loop: Header=BB2079_574 Depth=2
	s_or_b64 exec, exec, s[52:53]
	v_cmp_lt_u32_e64 s[48:49], v32, v93
	s_and_saveexec_b64 s[62:63], s[48:49]
	s_cbranch_execz .LBB2079_636
.LBB2079_635:                           ;   in Loop: Header=BB2079_574 Depth=2
	ds_read_u16 v20, v50 offset:3584
	v_mov_b32_e32 v21, v4
	v_mov_b32_e32 v97, s61
	s_waitcnt lgkmcnt(0)
	v_cmp_ne_u16_e64 s[52:53], s68, v20
	v_cndmask_b32_e64 v94, v66, v20, s[52:53]
	v_lshrrev_b32_sdwa v94, s69, v94 dst_sel:DWORD dst_unused:UNUSED_PAD src0_sel:DWORD src1_sel:WORD_0
	v_and_b32_e32 v94, s78, v94
	v_lshlrev_b32_e32 v94, 2, v94
	ds_read_b32 v94, v94
	v_cmp_lt_i16_e64 s[52:53], -1, v20
	v_cndmask_b32_e64 v101, v66, -1, s[52:53]
	v_xor_b32_e32 v101, v101, v20
	s_waitcnt lgkmcnt(0)
	v_add_u32_e32 v20, v94, v32
	v_lshlrev_b64 v[20:21], 1, v[20:21]
	v_add_co_u32_e64 v20, s[52:53], s60, v20
	v_addc_co_u32_e64 v21, s[52:53], v97, v21, s[52:53]
	global_store_short v[20:21], v101, off
.LBB2079_636:                           ;   in Loop: Header=BB2079_574 Depth=2
	s_or_b64 exec, exec, s[62:63]
	s_lshl_b64 s[52:53], s[72:73], 3
	v_mov_b32_e32 v21, s53
	v_add_co_u32_e64 v20, s[52:53], s52, v77
	v_addc_co_u32_e64 v21, s[52:53], v79, v21, s[52:53]
	v_cmp_lt_u32_e64 s[52:53], v74, v93
	s_and_saveexec_b64 s[62:63], s[52:53]
	s_xor_b64 s[52:53], exec, s[62:63]
	s_cbranch_execz .LBB2079_652
; %bb.637:                              ;   in Loop: Header=BB2079_574 Depth=2
	global_load_dwordx2 v[18:19], v[20:21], off
	s_or_b64 exec, exec, s[52:53]
	v_cmp_lt_u32_e64 s[52:53], v81, v93
	s_and_saveexec_b64 s[62:63], s[52:53]
	s_cbranch_execnz .LBB2079_653
.LBB2079_638:                           ;   in Loop: Header=BB2079_574 Depth=2
	s_or_b64 exec, exec, s[62:63]
	v_cmp_lt_u32_e64 s[52:53], v82, v93
	s_and_saveexec_b64 s[62:63], s[52:53]
	s_cbranch_execz .LBB2079_654
.LBB2079_639:                           ;   in Loop: Header=BB2079_574 Depth=2
	global_load_dwordx2 v[14:15], v[20:21], off offset:1024
	s_or_b64 exec, exec, s[62:63]
	v_cmp_lt_u32_e64 s[52:53], v83, v93
	s_and_saveexec_b64 s[62:63], s[52:53]
	s_cbranch_execnz .LBB2079_655
.LBB2079_640:                           ;   in Loop: Header=BB2079_574 Depth=2
	s_or_b64 exec, exec, s[62:63]
	v_cmp_lt_u32_e64 s[52:53], v84, v93
	s_and_saveexec_b64 s[62:63], s[52:53]
	s_cbranch_execz .LBB2079_656
.LBB2079_641:                           ;   in Loop: Header=BB2079_574 Depth=2
	global_load_dwordx2 v[10:11], v[20:21], off offset:2048
	s_or_b64 exec, exec, s[62:63]
	v_cmp_lt_u32_e64 s[52:53], v85, v93
	s_and_saveexec_b64 s[62:63], s[52:53]
	s_cbranch_execnz .LBB2079_657
.LBB2079_642:                           ;   in Loop: Header=BB2079_574 Depth=2
	s_or_b64 exec, exec, s[62:63]
	v_cmp_lt_u32_e64 s[52:53], v86, v93
	s_and_saveexec_b64 s[62:63], s[52:53]
	s_cbranch_execz .LBB2079_658
.LBB2079_643:                           ;   in Loop: Header=BB2079_574 Depth=2
	global_load_dwordx2 v[6:7], v[20:21], off offset:3072
	s_or_b64 exec, exec, s[62:63]
	v_cmp_lt_u32_e64 s[52:53], v87, v93
	s_and_saveexec_b64 s[62:63], s[52:53]
	s_cbranch_execnz .LBB2079_659
.LBB2079_644:                           ;   in Loop: Header=BB2079_574 Depth=2
	s_or_b64 exec, exec, s[62:63]
	s_and_saveexec_b64 s[62:63], vcc
	s_cbranch_execz .LBB2079_660
.LBB2079_645:                           ;   in Loop: Header=BB2079_574 Depth=2
	ds_read_u16 v20, v49 offset:1024
	s_waitcnt lgkmcnt(0)
	v_cmp_ne_u16_e64 s[52:53], s68, v20
	v_cndmask_b32_e64 v20, v66, v20, s[52:53]
	v_lshrrev_b32_sdwa v20, s69, v20 dst_sel:DWORD dst_unused:UNUSED_PAD src0_sel:DWORD src1_sel:WORD_0
	v_and_b32_e32 v80, s78, v20
	s_or_b64 exec, exec, s[62:63]
	s_and_saveexec_b64 s[62:63], s[36:37]
	s_cbranch_execnz .LBB2079_661
.LBB2079_646:                           ;   in Loop: Header=BB2079_574 Depth=2
	s_or_b64 exec, exec, s[62:63]
	s_and_saveexec_b64 s[62:63], s[38:39]
	s_cbranch_execz .LBB2079_662
.LBB2079_647:                           ;   in Loop: Header=BB2079_574 Depth=2
	ds_read_u16 v20, v50 offset:1024
	s_waitcnt lgkmcnt(0)
	v_cmp_ne_u16_e64 s[52:53], s68, v20
	v_cndmask_b32_e64 v20, v66, v20, s[52:53]
	v_lshrrev_b32_sdwa v20, s69, v20 dst_sel:DWORD dst_unused:UNUSED_PAD src0_sel:DWORD src1_sel:WORD_0
	v_and_b32_e32 v76, s78, v20
	s_or_b64 exec, exec, s[62:63]
	s_and_saveexec_b64 s[62:63], s[40:41]
	s_cbranch_execnz .LBB2079_663
.LBB2079_648:                           ;   in Loop: Header=BB2079_574 Depth=2
	s_or_b64 exec, exec, s[62:63]
	s_and_saveexec_b64 s[62:63], s[42:43]
	s_cbranch_execz .LBB2079_664
.LBB2079_649:                           ;   in Loop: Header=BB2079_574 Depth=2
	ds_read_u16 v20, v50 offset:2048
	s_waitcnt lgkmcnt(0)
	v_cmp_ne_u16_e64 s[52:53], s68, v20
	v_cndmask_b32_e64 v20, v66, v20, s[52:53]
	v_lshrrev_b32_sdwa v20, s69, v20 dst_sel:DWORD dst_unused:UNUSED_PAD src0_sel:DWORD src1_sel:WORD_0
	v_and_b32_e32 v73, s78, v20
	s_or_b64 exec, exec, s[62:63]
	s_and_saveexec_b64 s[62:63], s[44:45]
	s_cbranch_execnz .LBB2079_665
.LBB2079_650:                           ;   in Loop: Header=BB2079_574 Depth=2
	s_or_b64 exec, exec, s[62:63]
	s_and_saveexec_b64 s[62:63], s[46:47]
	s_cbranch_execz .LBB2079_666
.LBB2079_651:                           ;   in Loop: Header=BB2079_574 Depth=2
	ds_read_u16 v20, v50 offset:3072
	s_waitcnt lgkmcnt(0)
	v_cmp_ne_u16_e64 s[52:53], s68, v20
	v_cndmask_b32_e64 v20, v66, v20, s[52:53]
	v_lshrrev_b32_sdwa v20, s69, v20 dst_sel:DWORD dst_unused:UNUSED_PAD src0_sel:DWORD src1_sel:WORD_0
	v_and_b32_e32 v71, s78, v20
	s_or_b64 exec, exec, s[62:63]
	s_and_saveexec_b64 s[62:63], s[48:49]
	s_cbranch_execnz .LBB2079_667
	s_branch .LBB2079_668
.LBB2079_652:                           ;   in Loop: Header=BB2079_574 Depth=2
	s_or_b64 exec, exec, s[52:53]
	v_cmp_lt_u32_e64 s[52:53], v81, v93
	s_and_saveexec_b64 s[62:63], s[52:53]
	s_cbranch_execz .LBB2079_638
.LBB2079_653:                           ;   in Loop: Header=BB2079_574 Depth=2
	global_load_dwordx2 v[16:17], v[20:21], off offset:512
	s_or_b64 exec, exec, s[62:63]
	v_cmp_lt_u32_e64 s[52:53], v82, v93
	s_and_saveexec_b64 s[62:63], s[52:53]
	s_cbranch_execnz .LBB2079_639
.LBB2079_654:                           ;   in Loop: Header=BB2079_574 Depth=2
	s_or_b64 exec, exec, s[62:63]
	v_cmp_lt_u32_e64 s[52:53], v83, v93
	s_and_saveexec_b64 s[62:63], s[52:53]
	s_cbranch_execz .LBB2079_640
.LBB2079_655:                           ;   in Loop: Header=BB2079_574 Depth=2
	global_load_dwordx2 v[12:13], v[20:21], off offset:1536
	s_or_b64 exec, exec, s[62:63]
	v_cmp_lt_u32_e64 s[52:53], v84, v93
	s_and_saveexec_b64 s[62:63], s[52:53]
	s_cbranch_execnz .LBB2079_641
.LBB2079_656:                           ;   in Loop: Header=BB2079_574 Depth=2
	s_or_b64 exec, exec, s[62:63]
	v_cmp_lt_u32_e64 s[52:53], v85, v93
	s_and_saveexec_b64 s[62:63], s[52:53]
	s_cbranch_execz .LBB2079_642
.LBB2079_657:                           ;   in Loop: Header=BB2079_574 Depth=2
	global_load_dwordx2 v[8:9], v[20:21], off offset:2560
	s_or_b64 exec, exec, s[62:63]
	v_cmp_lt_u32_e64 s[52:53], v86, v93
	s_and_saveexec_b64 s[62:63], s[52:53]
	s_cbranch_execnz .LBB2079_643
.LBB2079_658:                           ;   in Loop: Header=BB2079_574 Depth=2
	s_or_b64 exec, exec, s[62:63]
	v_cmp_lt_u32_e64 s[52:53], v87, v93
	s_and_saveexec_b64 s[62:63], s[52:53]
	s_cbranch_execz .LBB2079_644
.LBB2079_659:                           ;   in Loop: Header=BB2079_574 Depth=2
	global_load_dwordx2 v[0:1], v[20:21], off offset:3584
	s_or_b64 exec, exec, s[62:63]
	s_and_saveexec_b64 s[62:63], vcc
	s_cbranch_execnz .LBB2079_645
.LBB2079_660:                           ;   in Loop: Header=BB2079_574 Depth=2
	s_or_b64 exec, exec, s[62:63]
	s_and_saveexec_b64 s[62:63], s[36:37]
	s_cbranch_execz .LBB2079_646
.LBB2079_661:                           ;   in Loop: Header=BB2079_574 Depth=2
	ds_read_u16 v20, v50 offset:512
	s_waitcnt lgkmcnt(0)
	v_cmp_ne_u16_e64 s[52:53], s68, v20
	v_cndmask_b32_e64 v20, v66, v20, s[52:53]
	v_lshrrev_b32_sdwa v20, s69, v20 dst_sel:DWORD dst_unused:UNUSED_PAD src0_sel:DWORD src1_sel:WORD_0
	v_and_b32_e32 v78, s78, v20
	s_or_b64 exec, exec, s[62:63]
	s_and_saveexec_b64 s[62:63], s[38:39]
	s_cbranch_execnz .LBB2079_647
.LBB2079_662:                           ;   in Loop: Header=BB2079_574 Depth=2
	s_or_b64 exec, exec, s[62:63]
	s_and_saveexec_b64 s[62:63], s[40:41]
	s_cbranch_execz .LBB2079_648
.LBB2079_663:                           ;   in Loop: Header=BB2079_574 Depth=2
	ds_read_u16 v20, v50 offset:1536
	s_waitcnt lgkmcnt(0)
	v_cmp_ne_u16_e64 s[52:53], s68, v20
	v_cndmask_b32_e64 v20, v66, v20, s[52:53]
	v_lshrrev_b32_sdwa v20, s69, v20 dst_sel:DWORD dst_unused:UNUSED_PAD src0_sel:DWORD src1_sel:WORD_0
	v_and_b32_e32 v75, s78, v20
	s_or_b64 exec, exec, s[62:63]
	s_and_saveexec_b64 s[62:63], s[42:43]
	s_cbranch_execnz .LBB2079_649
.LBB2079_664:                           ;   in Loop: Header=BB2079_574 Depth=2
	s_or_b64 exec, exec, s[62:63]
	s_and_saveexec_b64 s[62:63], s[44:45]
	s_cbranch_execz .LBB2079_650
.LBB2079_665:                           ;   in Loop: Header=BB2079_574 Depth=2
	ds_read_u16 v20, v50 offset:2560
	s_waitcnt lgkmcnt(0)
	v_cmp_ne_u16_e64 s[52:53], s68, v20
	v_cndmask_b32_e64 v20, v66, v20, s[52:53]
	v_lshrrev_b32_sdwa v20, s69, v20 dst_sel:DWORD dst_unused:UNUSED_PAD src0_sel:DWORD src1_sel:WORD_0
	v_and_b32_e32 v72, s78, v20
	s_or_b64 exec, exec, s[62:63]
	s_and_saveexec_b64 s[62:63], s[46:47]
	s_cbranch_execnz .LBB2079_651
.LBB2079_666:                           ;   in Loop: Header=BB2079_574 Depth=2
	s_or_b64 exec, exec, s[62:63]
	s_and_saveexec_b64 s[62:63], s[48:49]
	s_cbranch_execz .LBB2079_668
.LBB2079_667:                           ;   in Loop: Header=BB2079_574 Depth=2
	ds_read_u16 v20, v50 offset:3584
	s_waitcnt lgkmcnt(0)
	v_cmp_ne_u16_e64 s[52:53], s68, v20
	v_cndmask_b32_e64 v20, v66, v20, s[52:53]
	v_lshrrev_b32_sdwa v20, s69, v20 dst_sel:DWORD dst_unused:UNUSED_PAD src0_sel:DWORD src1_sel:WORD_0
	v_and_b32_e32 v70, s78, v20
.LBB2079_668:                           ;   in Loop: Header=BB2079_574 Depth=2
	s_or_b64 exec, exec, s[62:63]
	v_lshlrev_b32_e32 v20, 3, v103
	s_barrier
	s_waitcnt vmcnt(0)
	ds_write_b64 v20, v[18:19] offset:1024
	v_lshlrev_b32_e32 v20, 3, v100
	ds_write_b64 v20, v[16:17] offset:1024
	v_lshlrev_b32_e32 v20, 3, v99
	;; [unrolled: 2-line block ×7, first 2 shown]
	ds_write_b64 v20, v[0:1] offset:1024
	s_waitcnt lgkmcnt(0)
	s_barrier
	s_and_saveexec_b64 s[52:53], vcc
	s_cbranch_execz .LBB2079_676
; %bb.669:                              ;   in Loop: Header=BB2079_574 Depth=2
	v_lshlrev_b32_e32 v20, 2, v80
	ds_read_b32 v20, v20
	v_add_u32_e32 v22, v49, v51
	ds_read_b64 v[22:23], v22 offset:1024
	v_mov_b32_e32 v21, v4
	v_mov_b32_e32 v93, s67
	s_waitcnt lgkmcnt(1)
	v_add_u32_e32 v20, v20, v2
	v_lshlrev_b64 v[20:21], 3, v[20:21]
	v_add_co_u32_e32 v20, vcc, s66, v20
	v_addc_co_u32_e32 v21, vcc, v93, v21, vcc
	s_waitcnt lgkmcnt(0)
	global_store_dwordx2 v[20:21], v[22:23], off
	s_or_b64 exec, exec, s[52:53]
	v_add_u32_e32 v20, v50, v51
	s_and_saveexec_b64 s[52:53], s[36:37]
	s_cbranch_execnz .LBB2079_677
.LBB2079_670:                           ;   in Loop: Header=BB2079_574 Depth=2
	s_or_b64 exec, exec, s[52:53]
	s_and_saveexec_b64 s[36:37], s[38:39]
	s_cbranch_execz .LBB2079_678
.LBB2079_671:                           ;   in Loop: Header=BB2079_574 Depth=2
	v_lshlrev_b32_e32 v21, 2, v76
	ds_read_b32 v21, v21
	ds_read_b64 v[22:23], v20 offset:4096
	v_mov_b32_e32 v95, v4
	v_mov_b32_e32 v93, s67
	s_waitcnt lgkmcnt(1)
	v_add_u32_e32 v94, v21, v25
	v_lshlrev_b64 v[94:95], 3, v[94:95]
	v_add_co_u32_e32 v94, vcc, s66, v94
	v_addc_co_u32_e32 v95, vcc, v93, v95, vcc
	s_waitcnt lgkmcnt(0)
	global_store_dwordx2 v[94:95], v[22:23], off
	s_or_b64 exec, exec, s[36:37]
	s_and_saveexec_b64 s[36:37], s[40:41]
	s_cbranch_execnz .LBB2079_679
.LBB2079_672:                           ;   in Loop: Header=BB2079_574 Depth=2
	s_or_b64 exec, exec, s[36:37]
	s_and_saveexec_b64 s[36:37], s[42:43]
	s_cbranch_execz .LBB2079_680
.LBB2079_673:                           ;   in Loop: Header=BB2079_574 Depth=2
	v_lshlrev_b32_e32 v21, 2, v73
	ds_read_b32 v21, v21
	ds_read_b64 v[22:23], v20 offset:8192
	v_mov_b32_e32 v95, v4
	v_mov_b32_e32 v93, s67
	s_waitcnt lgkmcnt(1)
	v_add_u32_e32 v94, v21, v29
	v_lshlrev_b64 v[94:95], 3, v[94:95]
	v_add_co_u32_e32 v94, vcc, s66, v94
	v_addc_co_u32_e32 v95, vcc, v93, v95, vcc
	s_waitcnt lgkmcnt(0)
	global_store_dwordx2 v[94:95], v[22:23], off
	s_or_b64 exec, exec, s[36:37]
	s_and_saveexec_b64 s[36:37], s[44:45]
	s_cbranch_execnz .LBB2079_681
.LBB2079_674:                           ;   in Loop: Header=BB2079_574 Depth=2
	s_or_b64 exec, exec, s[36:37]
	s_and_saveexec_b64 s[36:37], s[46:47]
	s_cbranch_execz .LBB2079_682
.LBB2079_675:                           ;   in Loop: Header=BB2079_574 Depth=2
	v_lshlrev_b32_e32 v21, 2, v71
	ds_read_b32 v21, v21
	ds_read_b64 v[22:23], v20 offset:12288
	v_mov_b32_e32 v95, v4
	v_mov_b32_e32 v93, s67
	s_waitcnt lgkmcnt(1)
	v_add_u32_e32 v94, v21, v31
	v_lshlrev_b64 v[94:95], 3, v[94:95]
	v_add_co_u32_e32 v94, vcc, s66, v94
	v_addc_co_u32_e32 v95, vcc, v93, v95, vcc
	s_waitcnt lgkmcnt(0)
	global_store_dwordx2 v[94:95], v[22:23], off
	s_or_b64 exec, exec, s[36:37]
	s_and_saveexec_b64 s[36:37], s[48:49]
	s_cbranch_execnz .LBB2079_683
	s_branch .LBB2079_684
.LBB2079_676:                           ;   in Loop: Header=BB2079_574 Depth=2
	s_or_b64 exec, exec, s[52:53]
	v_add_u32_e32 v20, v50, v51
	s_and_saveexec_b64 s[52:53], s[36:37]
	s_cbranch_execz .LBB2079_670
.LBB2079_677:                           ;   in Loop: Header=BB2079_574 Depth=2
	v_lshlrev_b32_e32 v21, 2, v78
	ds_read_b32 v21, v21
	ds_read_b64 v[22:23], v20 offset:2048
	v_mov_b32_e32 v95, v4
	v_mov_b32_e32 v93, s67
	s_waitcnt lgkmcnt(1)
	v_add_u32_e32 v94, v21, v24
	v_lshlrev_b64 v[94:95], 3, v[94:95]
	v_add_co_u32_e32 v94, vcc, s66, v94
	v_addc_co_u32_e32 v95, vcc, v93, v95, vcc
	s_waitcnt lgkmcnt(0)
	global_store_dwordx2 v[94:95], v[22:23], off
	s_or_b64 exec, exec, s[52:53]
	s_and_saveexec_b64 s[36:37], s[38:39]
	s_cbranch_execnz .LBB2079_671
.LBB2079_678:                           ;   in Loop: Header=BB2079_574 Depth=2
	s_or_b64 exec, exec, s[36:37]
	s_and_saveexec_b64 s[36:37], s[40:41]
	s_cbranch_execz .LBB2079_672
.LBB2079_679:                           ;   in Loop: Header=BB2079_574 Depth=2
	v_lshlrev_b32_e32 v21, 2, v75
	ds_read_b32 v21, v21
	ds_read_b64 v[22:23], v20 offset:6144
	v_mov_b32_e32 v95, v4
	v_mov_b32_e32 v93, s67
	s_waitcnt lgkmcnt(1)
	v_add_u32_e32 v94, v21, v26
	v_lshlrev_b64 v[94:95], 3, v[94:95]
	v_add_co_u32_e32 v94, vcc, s66, v94
	v_addc_co_u32_e32 v95, vcc, v93, v95, vcc
	s_waitcnt lgkmcnt(0)
	global_store_dwordx2 v[94:95], v[22:23], off
	s_or_b64 exec, exec, s[36:37]
	s_and_saveexec_b64 s[36:37], s[42:43]
	s_cbranch_execnz .LBB2079_673
.LBB2079_680:                           ;   in Loop: Header=BB2079_574 Depth=2
	s_or_b64 exec, exec, s[36:37]
	s_and_saveexec_b64 s[36:37], s[44:45]
	s_cbranch_execz .LBB2079_674
.LBB2079_681:                           ;   in Loop: Header=BB2079_574 Depth=2
	v_lshlrev_b32_e32 v21, 2, v72
	ds_read_b32 v21, v21
	ds_read_b64 v[22:23], v20 offset:10240
	v_mov_b32_e32 v95, v4
	v_mov_b32_e32 v93, s67
	s_waitcnt lgkmcnt(1)
	v_add_u32_e32 v94, v21, v30
	v_lshlrev_b64 v[94:95], 3, v[94:95]
	v_add_co_u32_e32 v94, vcc, s66, v94
	v_addc_co_u32_e32 v95, vcc, v93, v95, vcc
	s_waitcnt lgkmcnt(0)
	global_store_dwordx2 v[94:95], v[22:23], off
	s_or_b64 exec, exec, s[36:37]
	s_and_saveexec_b64 s[36:37], s[46:47]
	s_cbranch_execnz .LBB2079_675
.LBB2079_682:                           ;   in Loop: Header=BB2079_574 Depth=2
	s_or_b64 exec, exec, s[36:37]
	s_and_saveexec_b64 s[36:37], s[48:49]
	s_cbranch_execz .LBB2079_684
.LBB2079_683:                           ;   in Loop: Header=BB2079_574 Depth=2
	v_lshlrev_b32_e32 v21, 2, v70
	ds_read_b32 v22, v21
	ds_read_b64 v[20:21], v20 offset:14336
	v_mov_b32_e32 v23, v4
	v_mov_b32_e32 v93, s67
	s_waitcnt lgkmcnt(1)
	v_add_u32_e32 v22, v22, v32
	v_lshlrev_b64 v[22:23], 3, v[22:23]
	v_add_co_u32_e32 v22, vcc, s66, v22
	v_addc_co_u32_e32 v23, vcc, v93, v23, vcc
	s_waitcnt lgkmcnt(0)
	global_store_dwordx2 v[22:23], v[20:21], off
.LBB2079_684:                           ;   in Loop: Header=BB2079_574 Depth=2
	s_or_b64 exec, exec, s[36:37]
	s_barrier
	s_and_saveexec_b64 s[36:37], s[4:5]
	s_cbranch_execz .LBB2079_573
; %bb.685:                              ;   in Loop: Header=BB2079_574 Depth=2
	ds_read_b32 v20, v3
	s_waitcnt lgkmcnt(0)
	v_add_u32_e32 v5, v20, v5
	ds_write_b32 v3, v5
	s_branch .LBB2079_573
.LBB2079_686:
	s_endpgm
	.section	.rodata,"a",@progbits
	.p2align	6, 0x0
	.amdhsa_kernel _ZN7rocprim17ROCPRIM_400000_NS6detail17trampoline_kernelINS0_14default_configENS1_36segmented_radix_sort_config_selectorI12hip_bfloat16lEEZNS1_25segmented_radix_sort_implIS3_Lb0EPKS5_PS5_PKlPlN2at6native12_GLOBAL__N_18offset_tEEE10hipError_tPvRmT1_PNSt15iterator_traitsISL_E10value_typeET2_T3_PNSM_ISR_E10value_typeET4_jRbjT5_SX_jjP12ihipStream_tbEUlT_E2_NS1_11comp_targetILNS1_3genE4ELNS1_11target_archE910ELNS1_3gpuE8ELNS1_3repE0EEENS1_30default_config_static_selectorELNS0_4arch9wavefront6targetE1EEEvSL_
		.amdhsa_group_segment_fixed_size 17424
		.amdhsa_private_segment_fixed_size 8
		.amdhsa_kernarg_size 336
		.amdhsa_user_sgpr_count 8
		.amdhsa_user_sgpr_private_segment_buffer 1
		.amdhsa_user_sgpr_dispatch_ptr 0
		.amdhsa_user_sgpr_queue_ptr 0
		.amdhsa_user_sgpr_kernarg_segment_ptr 1
		.amdhsa_user_sgpr_dispatch_id 0
		.amdhsa_user_sgpr_flat_scratch_init 1
		.amdhsa_user_sgpr_kernarg_preload_length 0
		.amdhsa_user_sgpr_kernarg_preload_offset 0
		.amdhsa_user_sgpr_private_segment_size 0
		.amdhsa_uses_dynamic_stack 0
		.amdhsa_system_sgpr_private_segment_wavefront_offset 1
		.amdhsa_system_sgpr_workgroup_id_x 1
		.amdhsa_system_sgpr_workgroup_id_y 1
		.amdhsa_system_sgpr_workgroup_id_z 0
		.amdhsa_system_sgpr_workgroup_info 0
		.amdhsa_system_vgpr_workitem_id 2
		.amdhsa_next_free_vgpr 178
		.amdhsa_next_free_sgpr 81
		.amdhsa_accum_offset 180
		.amdhsa_reserve_vcc 1
		.amdhsa_reserve_flat_scratch 1
		.amdhsa_float_round_mode_32 0
		.amdhsa_float_round_mode_16_64 0
		.amdhsa_float_denorm_mode_32 3
		.amdhsa_float_denorm_mode_16_64 3
		.amdhsa_dx10_clamp 1
		.amdhsa_ieee_mode 1
		.amdhsa_fp16_overflow 0
		.amdhsa_tg_split 0
		.amdhsa_exception_fp_ieee_invalid_op 0
		.amdhsa_exception_fp_denorm_src 0
		.amdhsa_exception_fp_ieee_div_zero 0
		.amdhsa_exception_fp_ieee_overflow 0
		.amdhsa_exception_fp_ieee_underflow 0
		.amdhsa_exception_fp_ieee_inexact 0
		.amdhsa_exception_int_div_zero 0
	.end_amdhsa_kernel
	.section	.text._ZN7rocprim17ROCPRIM_400000_NS6detail17trampoline_kernelINS0_14default_configENS1_36segmented_radix_sort_config_selectorI12hip_bfloat16lEEZNS1_25segmented_radix_sort_implIS3_Lb0EPKS5_PS5_PKlPlN2at6native12_GLOBAL__N_18offset_tEEE10hipError_tPvRmT1_PNSt15iterator_traitsISL_E10value_typeET2_T3_PNSM_ISR_E10value_typeET4_jRbjT5_SX_jjP12ihipStream_tbEUlT_E2_NS1_11comp_targetILNS1_3genE4ELNS1_11target_archE910ELNS1_3gpuE8ELNS1_3repE0EEENS1_30default_config_static_selectorELNS0_4arch9wavefront6targetE1EEEvSL_,"axG",@progbits,_ZN7rocprim17ROCPRIM_400000_NS6detail17trampoline_kernelINS0_14default_configENS1_36segmented_radix_sort_config_selectorI12hip_bfloat16lEEZNS1_25segmented_radix_sort_implIS3_Lb0EPKS5_PS5_PKlPlN2at6native12_GLOBAL__N_18offset_tEEE10hipError_tPvRmT1_PNSt15iterator_traitsISL_E10value_typeET2_T3_PNSM_ISR_E10value_typeET4_jRbjT5_SX_jjP12ihipStream_tbEUlT_E2_NS1_11comp_targetILNS1_3genE4ELNS1_11target_archE910ELNS1_3gpuE8ELNS1_3repE0EEENS1_30default_config_static_selectorELNS0_4arch9wavefront6targetE1EEEvSL_,comdat
.Lfunc_end2079:
	.size	_ZN7rocprim17ROCPRIM_400000_NS6detail17trampoline_kernelINS0_14default_configENS1_36segmented_radix_sort_config_selectorI12hip_bfloat16lEEZNS1_25segmented_radix_sort_implIS3_Lb0EPKS5_PS5_PKlPlN2at6native12_GLOBAL__N_18offset_tEEE10hipError_tPvRmT1_PNSt15iterator_traitsISL_E10value_typeET2_T3_PNSM_ISR_E10value_typeET4_jRbjT5_SX_jjP12ihipStream_tbEUlT_E2_NS1_11comp_targetILNS1_3genE4ELNS1_11target_archE910ELNS1_3gpuE8ELNS1_3repE0EEENS1_30default_config_static_selectorELNS0_4arch9wavefront6targetE1EEEvSL_, .Lfunc_end2079-_ZN7rocprim17ROCPRIM_400000_NS6detail17trampoline_kernelINS0_14default_configENS1_36segmented_radix_sort_config_selectorI12hip_bfloat16lEEZNS1_25segmented_radix_sort_implIS3_Lb0EPKS5_PS5_PKlPlN2at6native12_GLOBAL__N_18offset_tEEE10hipError_tPvRmT1_PNSt15iterator_traitsISL_E10value_typeET2_T3_PNSM_ISR_E10value_typeET4_jRbjT5_SX_jjP12ihipStream_tbEUlT_E2_NS1_11comp_targetILNS1_3genE4ELNS1_11target_archE910ELNS1_3gpuE8ELNS1_3repE0EEENS1_30default_config_static_selectorELNS0_4arch9wavefront6targetE1EEEvSL_
                                        ; -- End function
	.section	.AMDGPU.csdata,"",@progbits
; Kernel info:
; codeLenInByte = 38836
; NumSgprs: 87
; NumVgprs: 178
; NumAgprs: 0
; TotalNumVgprs: 178
; ScratchSize: 8
; MemoryBound: 0
; FloatMode: 240
; IeeeMode: 1
; LDSByteSize: 17424 bytes/workgroup (compile time only)
; SGPRBlocks: 10
; VGPRBlocks: 22
; NumSGPRsForWavesPerEU: 87
; NumVGPRsForWavesPerEU: 178
; AccumOffset: 180
; Occupancy: 2
; WaveLimiterHint : 1
; COMPUTE_PGM_RSRC2:SCRATCH_EN: 1
; COMPUTE_PGM_RSRC2:USER_SGPR: 8
; COMPUTE_PGM_RSRC2:TRAP_HANDLER: 0
; COMPUTE_PGM_RSRC2:TGID_X_EN: 1
; COMPUTE_PGM_RSRC2:TGID_Y_EN: 1
; COMPUTE_PGM_RSRC2:TGID_Z_EN: 0
; COMPUTE_PGM_RSRC2:TIDIG_COMP_CNT: 2
; COMPUTE_PGM_RSRC3_GFX90A:ACCUM_OFFSET: 44
; COMPUTE_PGM_RSRC3_GFX90A:TG_SPLIT: 0
	.section	.text._ZN7rocprim17ROCPRIM_400000_NS6detail17trampoline_kernelINS0_14default_configENS1_36segmented_radix_sort_config_selectorI12hip_bfloat16lEEZNS1_25segmented_radix_sort_implIS3_Lb0EPKS5_PS5_PKlPlN2at6native12_GLOBAL__N_18offset_tEEE10hipError_tPvRmT1_PNSt15iterator_traitsISL_E10value_typeET2_T3_PNSM_ISR_E10value_typeET4_jRbjT5_SX_jjP12ihipStream_tbEUlT_E2_NS1_11comp_targetILNS1_3genE3ELNS1_11target_archE908ELNS1_3gpuE7ELNS1_3repE0EEENS1_30default_config_static_selectorELNS0_4arch9wavefront6targetE1EEEvSL_,"axG",@progbits,_ZN7rocprim17ROCPRIM_400000_NS6detail17trampoline_kernelINS0_14default_configENS1_36segmented_radix_sort_config_selectorI12hip_bfloat16lEEZNS1_25segmented_radix_sort_implIS3_Lb0EPKS5_PS5_PKlPlN2at6native12_GLOBAL__N_18offset_tEEE10hipError_tPvRmT1_PNSt15iterator_traitsISL_E10value_typeET2_T3_PNSM_ISR_E10value_typeET4_jRbjT5_SX_jjP12ihipStream_tbEUlT_E2_NS1_11comp_targetILNS1_3genE3ELNS1_11target_archE908ELNS1_3gpuE7ELNS1_3repE0EEENS1_30default_config_static_selectorELNS0_4arch9wavefront6targetE1EEEvSL_,comdat
	.globl	_ZN7rocprim17ROCPRIM_400000_NS6detail17trampoline_kernelINS0_14default_configENS1_36segmented_radix_sort_config_selectorI12hip_bfloat16lEEZNS1_25segmented_radix_sort_implIS3_Lb0EPKS5_PS5_PKlPlN2at6native12_GLOBAL__N_18offset_tEEE10hipError_tPvRmT1_PNSt15iterator_traitsISL_E10value_typeET2_T3_PNSM_ISR_E10value_typeET4_jRbjT5_SX_jjP12ihipStream_tbEUlT_E2_NS1_11comp_targetILNS1_3genE3ELNS1_11target_archE908ELNS1_3gpuE7ELNS1_3repE0EEENS1_30default_config_static_selectorELNS0_4arch9wavefront6targetE1EEEvSL_ ; -- Begin function _ZN7rocprim17ROCPRIM_400000_NS6detail17trampoline_kernelINS0_14default_configENS1_36segmented_radix_sort_config_selectorI12hip_bfloat16lEEZNS1_25segmented_radix_sort_implIS3_Lb0EPKS5_PS5_PKlPlN2at6native12_GLOBAL__N_18offset_tEEE10hipError_tPvRmT1_PNSt15iterator_traitsISL_E10value_typeET2_T3_PNSM_ISR_E10value_typeET4_jRbjT5_SX_jjP12ihipStream_tbEUlT_E2_NS1_11comp_targetILNS1_3genE3ELNS1_11target_archE908ELNS1_3gpuE7ELNS1_3repE0EEENS1_30default_config_static_selectorELNS0_4arch9wavefront6targetE1EEEvSL_
	.p2align	8
	.type	_ZN7rocprim17ROCPRIM_400000_NS6detail17trampoline_kernelINS0_14default_configENS1_36segmented_radix_sort_config_selectorI12hip_bfloat16lEEZNS1_25segmented_radix_sort_implIS3_Lb0EPKS5_PS5_PKlPlN2at6native12_GLOBAL__N_18offset_tEEE10hipError_tPvRmT1_PNSt15iterator_traitsISL_E10value_typeET2_T3_PNSM_ISR_E10value_typeET4_jRbjT5_SX_jjP12ihipStream_tbEUlT_E2_NS1_11comp_targetILNS1_3genE3ELNS1_11target_archE908ELNS1_3gpuE7ELNS1_3repE0EEENS1_30default_config_static_selectorELNS0_4arch9wavefront6targetE1EEEvSL_,@function
_ZN7rocprim17ROCPRIM_400000_NS6detail17trampoline_kernelINS0_14default_configENS1_36segmented_radix_sort_config_selectorI12hip_bfloat16lEEZNS1_25segmented_radix_sort_implIS3_Lb0EPKS5_PS5_PKlPlN2at6native12_GLOBAL__N_18offset_tEEE10hipError_tPvRmT1_PNSt15iterator_traitsISL_E10value_typeET2_T3_PNSM_ISR_E10value_typeET4_jRbjT5_SX_jjP12ihipStream_tbEUlT_E2_NS1_11comp_targetILNS1_3genE3ELNS1_11target_archE908ELNS1_3gpuE7ELNS1_3repE0EEENS1_30default_config_static_selectorELNS0_4arch9wavefront6targetE1EEEvSL_: ; @_ZN7rocprim17ROCPRIM_400000_NS6detail17trampoline_kernelINS0_14default_configENS1_36segmented_radix_sort_config_selectorI12hip_bfloat16lEEZNS1_25segmented_radix_sort_implIS3_Lb0EPKS5_PS5_PKlPlN2at6native12_GLOBAL__N_18offset_tEEE10hipError_tPvRmT1_PNSt15iterator_traitsISL_E10value_typeET2_T3_PNSM_ISR_E10value_typeET4_jRbjT5_SX_jjP12ihipStream_tbEUlT_E2_NS1_11comp_targetILNS1_3genE3ELNS1_11target_archE908ELNS1_3gpuE7ELNS1_3repE0EEENS1_30default_config_static_selectorELNS0_4arch9wavefront6targetE1EEEvSL_
; %bb.0:
	.section	.rodata,"a",@progbits
	.p2align	6, 0x0
	.amdhsa_kernel _ZN7rocprim17ROCPRIM_400000_NS6detail17trampoline_kernelINS0_14default_configENS1_36segmented_radix_sort_config_selectorI12hip_bfloat16lEEZNS1_25segmented_radix_sort_implIS3_Lb0EPKS5_PS5_PKlPlN2at6native12_GLOBAL__N_18offset_tEEE10hipError_tPvRmT1_PNSt15iterator_traitsISL_E10value_typeET2_T3_PNSM_ISR_E10value_typeET4_jRbjT5_SX_jjP12ihipStream_tbEUlT_E2_NS1_11comp_targetILNS1_3genE3ELNS1_11target_archE908ELNS1_3gpuE7ELNS1_3repE0EEENS1_30default_config_static_selectorELNS0_4arch9wavefront6targetE1EEEvSL_
		.amdhsa_group_segment_fixed_size 0
		.amdhsa_private_segment_fixed_size 0
		.amdhsa_kernarg_size 80
		.amdhsa_user_sgpr_count 6
		.amdhsa_user_sgpr_private_segment_buffer 1
		.amdhsa_user_sgpr_dispatch_ptr 0
		.amdhsa_user_sgpr_queue_ptr 0
		.amdhsa_user_sgpr_kernarg_segment_ptr 1
		.amdhsa_user_sgpr_dispatch_id 0
		.amdhsa_user_sgpr_flat_scratch_init 0
		.amdhsa_user_sgpr_kernarg_preload_length 0
		.amdhsa_user_sgpr_kernarg_preload_offset 0
		.amdhsa_user_sgpr_private_segment_size 0
		.amdhsa_uses_dynamic_stack 0
		.amdhsa_system_sgpr_private_segment_wavefront_offset 0
		.amdhsa_system_sgpr_workgroup_id_x 1
		.amdhsa_system_sgpr_workgroup_id_y 0
		.amdhsa_system_sgpr_workgroup_id_z 0
		.amdhsa_system_sgpr_workgroup_info 0
		.amdhsa_system_vgpr_workitem_id 0
		.amdhsa_next_free_vgpr 1
		.amdhsa_next_free_sgpr 0
		.amdhsa_accum_offset 4
		.amdhsa_reserve_vcc 0
		.amdhsa_reserve_flat_scratch 0
		.amdhsa_float_round_mode_32 0
		.amdhsa_float_round_mode_16_64 0
		.amdhsa_float_denorm_mode_32 3
		.amdhsa_float_denorm_mode_16_64 3
		.amdhsa_dx10_clamp 1
		.amdhsa_ieee_mode 1
		.amdhsa_fp16_overflow 0
		.amdhsa_tg_split 0
		.amdhsa_exception_fp_ieee_invalid_op 0
		.amdhsa_exception_fp_denorm_src 0
		.amdhsa_exception_fp_ieee_div_zero 0
		.amdhsa_exception_fp_ieee_overflow 0
		.amdhsa_exception_fp_ieee_underflow 0
		.amdhsa_exception_fp_ieee_inexact 0
		.amdhsa_exception_int_div_zero 0
	.end_amdhsa_kernel
	.section	.text._ZN7rocprim17ROCPRIM_400000_NS6detail17trampoline_kernelINS0_14default_configENS1_36segmented_radix_sort_config_selectorI12hip_bfloat16lEEZNS1_25segmented_radix_sort_implIS3_Lb0EPKS5_PS5_PKlPlN2at6native12_GLOBAL__N_18offset_tEEE10hipError_tPvRmT1_PNSt15iterator_traitsISL_E10value_typeET2_T3_PNSM_ISR_E10value_typeET4_jRbjT5_SX_jjP12ihipStream_tbEUlT_E2_NS1_11comp_targetILNS1_3genE3ELNS1_11target_archE908ELNS1_3gpuE7ELNS1_3repE0EEENS1_30default_config_static_selectorELNS0_4arch9wavefront6targetE1EEEvSL_,"axG",@progbits,_ZN7rocprim17ROCPRIM_400000_NS6detail17trampoline_kernelINS0_14default_configENS1_36segmented_radix_sort_config_selectorI12hip_bfloat16lEEZNS1_25segmented_radix_sort_implIS3_Lb0EPKS5_PS5_PKlPlN2at6native12_GLOBAL__N_18offset_tEEE10hipError_tPvRmT1_PNSt15iterator_traitsISL_E10value_typeET2_T3_PNSM_ISR_E10value_typeET4_jRbjT5_SX_jjP12ihipStream_tbEUlT_E2_NS1_11comp_targetILNS1_3genE3ELNS1_11target_archE908ELNS1_3gpuE7ELNS1_3repE0EEENS1_30default_config_static_selectorELNS0_4arch9wavefront6targetE1EEEvSL_,comdat
.Lfunc_end2080:
	.size	_ZN7rocprim17ROCPRIM_400000_NS6detail17trampoline_kernelINS0_14default_configENS1_36segmented_radix_sort_config_selectorI12hip_bfloat16lEEZNS1_25segmented_radix_sort_implIS3_Lb0EPKS5_PS5_PKlPlN2at6native12_GLOBAL__N_18offset_tEEE10hipError_tPvRmT1_PNSt15iterator_traitsISL_E10value_typeET2_T3_PNSM_ISR_E10value_typeET4_jRbjT5_SX_jjP12ihipStream_tbEUlT_E2_NS1_11comp_targetILNS1_3genE3ELNS1_11target_archE908ELNS1_3gpuE7ELNS1_3repE0EEENS1_30default_config_static_selectorELNS0_4arch9wavefront6targetE1EEEvSL_, .Lfunc_end2080-_ZN7rocprim17ROCPRIM_400000_NS6detail17trampoline_kernelINS0_14default_configENS1_36segmented_radix_sort_config_selectorI12hip_bfloat16lEEZNS1_25segmented_radix_sort_implIS3_Lb0EPKS5_PS5_PKlPlN2at6native12_GLOBAL__N_18offset_tEEE10hipError_tPvRmT1_PNSt15iterator_traitsISL_E10value_typeET2_T3_PNSM_ISR_E10value_typeET4_jRbjT5_SX_jjP12ihipStream_tbEUlT_E2_NS1_11comp_targetILNS1_3genE3ELNS1_11target_archE908ELNS1_3gpuE7ELNS1_3repE0EEENS1_30default_config_static_selectorELNS0_4arch9wavefront6targetE1EEEvSL_
                                        ; -- End function
	.section	.AMDGPU.csdata,"",@progbits
; Kernel info:
; codeLenInByte = 0
; NumSgprs: 4
; NumVgprs: 0
; NumAgprs: 0
; TotalNumVgprs: 0
; ScratchSize: 0
; MemoryBound: 0
; FloatMode: 240
; IeeeMode: 1
; LDSByteSize: 0 bytes/workgroup (compile time only)
; SGPRBlocks: 0
; VGPRBlocks: 0
; NumSGPRsForWavesPerEU: 4
; NumVGPRsForWavesPerEU: 1
; AccumOffset: 4
; Occupancy: 8
; WaveLimiterHint : 0
; COMPUTE_PGM_RSRC2:SCRATCH_EN: 0
; COMPUTE_PGM_RSRC2:USER_SGPR: 6
; COMPUTE_PGM_RSRC2:TRAP_HANDLER: 0
; COMPUTE_PGM_RSRC2:TGID_X_EN: 1
; COMPUTE_PGM_RSRC2:TGID_Y_EN: 0
; COMPUTE_PGM_RSRC2:TGID_Z_EN: 0
; COMPUTE_PGM_RSRC2:TIDIG_COMP_CNT: 0
; COMPUTE_PGM_RSRC3_GFX90A:ACCUM_OFFSET: 0
; COMPUTE_PGM_RSRC3_GFX90A:TG_SPLIT: 0
	.section	.text._ZN7rocprim17ROCPRIM_400000_NS6detail17trampoline_kernelINS0_14default_configENS1_36segmented_radix_sort_config_selectorI12hip_bfloat16lEEZNS1_25segmented_radix_sort_implIS3_Lb0EPKS5_PS5_PKlPlN2at6native12_GLOBAL__N_18offset_tEEE10hipError_tPvRmT1_PNSt15iterator_traitsISL_E10value_typeET2_T3_PNSM_ISR_E10value_typeET4_jRbjT5_SX_jjP12ihipStream_tbEUlT_E2_NS1_11comp_targetILNS1_3genE2ELNS1_11target_archE906ELNS1_3gpuE6ELNS1_3repE0EEENS1_30default_config_static_selectorELNS0_4arch9wavefront6targetE1EEEvSL_,"axG",@progbits,_ZN7rocprim17ROCPRIM_400000_NS6detail17trampoline_kernelINS0_14default_configENS1_36segmented_radix_sort_config_selectorI12hip_bfloat16lEEZNS1_25segmented_radix_sort_implIS3_Lb0EPKS5_PS5_PKlPlN2at6native12_GLOBAL__N_18offset_tEEE10hipError_tPvRmT1_PNSt15iterator_traitsISL_E10value_typeET2_T3_PNSM_ISR_E10value_typeET4_jRbjT5_SX_jjP12ihipStream_tbEUlT_E2_NS1_11comp_targetILNS1_3genE2ELNS1_11target_archE906ELNS1_3gpuE6ELNS1_3repE0EEENS1_30default_config_static_selectorELNS0_4arch9wavefront6targetE1EEEvSL_,comdat
	.globl	_ZN7rocprim17ROCPRIM_400000_NS6detail17trampoline_kernelINS0_14default_configENS1_36segmented_radix_sort_config_selectorI12hip_bfloat16lEEZNS1_25segmented_radix_sort_implIS3_Lb0EPKS5_PS5_PKlPlN2at6native12_GLOBAL__N_18offset_tEEE10hipError_tPvRmT1_PNSt15iterator_traitsISL_E10value_typeET2_T3_PNSM_ISR_E10value_typeET4_jRbjT5_SX_jjP12ihipStream_tbEUlT_E2_NS1_11comp_targetILNS1_3genE2ELNS1_11target_archE906ELNS1_3gpuE6ELNS1_3repE0EEENS1_30default_config_static_selectorELNS0_4arch9wavefront6targetE1EEEvSL_ ; -- Begin function _ZN7rocprim17ROCPRIM_400000_NS6detail17trampoline_kernelINS0_14default_configENS1_36segmented_radix_sort_config_selectorI12hip_bfloat16lEEZNS1_25segmented_radix_sort_implIS3_Lb0EPKS5_PS5_PKlPlN2at6native12_GLOBAL__N_18offset_tEEE10hipError_tPvRmT1_PNSt15iterator_traitsISL_E10value_typeET2_T3_PNSM_ISR_E10value_typeET4_jRbjT5_SX_jjP12ihipStream_tbEUlT_E2_NS1_11comp_targetILNS1_3genE2ELNS1_11target_archE906ELNS1_3gpuE6ELNS1_3repE0EEENS1_30default_config_static_selectorELNS0_4arch9wavefront6targetE1EEEvSL_
	.p2align	8
	.type	_ZN7rocprim17ROCPRIM_400000_NS6detail17trampoline_kernelINS0_14default_configENS1_36segmented_radix_sort_config_selectorI12hip_bfloat16lEEZNS1_25segmented_radix_sort_implIS3_Lb0EPKS5_PS5_PKlPlN2at6native12_GLOBAL__N_18offset_tEEE10hipError_tPvRmT1_PNSt15iterator_traitsISL_E10value_typeET2_T3_PNSM_ISR_E10value_typeET4_jRbjT5_SX_jjP12ihipStream_tbEUlT_E2_NS1_11comp_targetILNS1_3genE2ELNS1_11target_archE906ELNS1_3gpuE6ELNS1_3repE0EEENS1_30default_config_static_selectorELNS0_4arch9wavefront6targetE1EEEvSL_,@function
_ZN7rocprim17ROCPRIM_400000_NS6detail17trampoline_kernelINS0_14default_configENS1_36segmented_radix_sort_config_selectorI12hip_bfloat16lEEZNS1_25segmented_radix_sort_implIS3_Lb0EPKS5_PS5_PKlPlN2at6native12_GLOBAL__N_18offset_tEEE10hipError_tPvRmT1_PNSt15iterator_traitsISL_E10value_typeET2_T3_PNSM_ISR_E10value_typeET4_jRbjT5_SX_jjP12ihipStream_tbEUlT_E2_NS1_11comp_targetILNS1_3genE2ELNS1_11target_archE906ELNS1_3gpuE6ELNS1_3repE0EEENS1_30default_config_static_selectorELNS0_4arch9wavefront6targetE1EEEvSL_: ; @_ZN7rocprim17ROCPRIM_400000_NS6detail17trampoline_kernelINS0_14default_configENS1_36segmented_radix_sort_config_selectorI12hip_bfloat16lEEZNS1_25segmented_radix_sort_implIS3_Lb0EPKS5_PS5_PKlPlN2at6native12_GLOBAL__N_18offset_tEEE10hipError_tPvRmT1_PNSt15iterator_traitsISL_E10value_typeET2_T3_PNSM_ISR_E10value_typeET4_jRbjT5_SX_jjP12ihipStream_tbEUlT_E2_NS1_11comp_targetILNS1_3genE2ELNS1_11target_archE906ELNS1_3gpuE6ELNS1_3repE0EEENS1_30default_config_static_selectorELNS0_4arch9wavefront6targetE1EEEvSL_
; %bb.0:
	.section	.rodata,"a",@progbits
	.p2align	6, 0x0
	.amdhsa_kernel _ZN7rocprim17ROCPRIM_400000_NS6detail17trampoline_kernelINS0_14default_configENS1_36segmented_radix_sort_config_selectorI12hip_bfloat16lEEZNS1_25segmented_radix_sort_implIS3_Lb0EPKS5_PS5_PKlPlN2at6native12_GLOBAL__N_18offset_tEEE10hipError_tPvRmT1_PNSt15iterator_traitsISL_E10value_typeET2_T3_PNSM_ISR_E10value_typeET4_jRbjT5_SX_jjP12ihipStream_tbEUlT_E2_NS1_11comp_targetILNS1_3genE2ELNS1_11target_archE906ELNS1_3gpuE6ELNS1_3repE0EEENS1_30default_config_static_selectorELNS0_4arch9wavefront6targetE1EEEvSL_
		.amdhsa_group_segment_fixed_size 0
		.amdhsa_private_segment_fixed_size 0
		.amdhsa_kernarg_size 80
		.amdhsa_user_sgpr_count 6
		.amdhsa_user_sgpr_private_segment_buffer 1
		.amdhsa_user_sgpr_dispatch_ptr 0
		.amdhsa_user_sgpr_queue_ptr 0
		.amdhsa_user_sgpr_kernarg_segment_ptr 1
		.amdhsa_user_sgpr_dispatch_id 0
		.amdhsa_user_sgpr_flat_scratch_init 0
		.amdhsa_user_sgpr_kernarg_preload_length 0
		.amdhsa_user_sgpr_kernarg_preload_offset 0
		.amdhsa_user_sgpr_private_segment_size 0
		.amdhsa_uses_dynamic_stack 0
		.amdhsa_system_sgpr_private_segment_wavefront_offset 0
		.amdhsa_system_sgpr_workgroup_id_x 1
		.amdhsa_system_sgpr_workgroup_id_y 0
		.amdhsa_system_sgpr_workgroup_id_z 0
		.amdhsa_system_sgpr_workgroup_info 0
		.amdhsa_system_vgpr_workitem_id 0
		.amdhsa_next_free_vgpr 1
		.amdhsa_next_free_sgpr 0
		.amdhsa_accum_offset 4
		.amdhsa_reserve_vcc 0
		.amdhsa_reserve_flat_scratch 0
		.amdhsa_float_round_mode_32 0
		.amdhsa_float_round_mode_16_64 0
		.amdhsa_float_denorm_mode_32 3
		.amdhsa_float_denorm_mode_16_64 3
		.amdhsa_dx10_clamp 1
		.amdhsa_ieee_mode 1
		.amdhsa_fp16_overflow 0
		.amdhsa_tg_split 0
		.amdhsa_exception_fp_ieee_invalid_op 0
		.amdhsa_exception_fp_denorm_src 0
		.amdhsa_exception_fp_ieee_div_zero 0
		.amdhsa_exception_fp_ieee_overflow 0
		.amdhsa_exception_fp_ieee_underflow 0
		.amdhsa_exception_fp_ieee_inexact 0
		.amdhsa_exception_int_div_zero 0
	.end_amdhsa_kernel
	.section	.text._ZN7rocprim17ROCPRIM_400000_NS6detail17trampoline_kernelINS0_14default_configENS1_36segmented_radix_sort_config_selectorI12hip_bfloat16lEEZNS1_25segmented_radix_sort_implIS3_Lb0EPKS5_PS5_PKlPlN2at6native12_GLOBAL__N_18offset_tEEE10hipError_tPvRmT1_PNSt15iterator_traitsISL_E10value_typeET2_T3_PNSM_ISR_E10value_typeET4_jRbjT5_SX_jjP12ihipStream_tbEUlT_E2_NS1_11comp_targetILNS1_3genE2ELNS1_11target_archE906ELNS1_3gpuE6ELNS1_3repE0EEENS1_30default_config_static_selectorELNS0_4arch9wavefront6targetE1EEEvSL_,"axG",@progbits,_ZN7rocprim17ROCPRIM_400000_NS6detail17trampoline_kernelINS0_14default_configENS1_36segmented_radix_sort_config_selectorI12hip_bfloat16lEEZNS1_25segmented_radix_sort_implIS3_Lb0EPKS5_PS5_PKlPlN2at6native12_GLOBAL__N_18offset_tEEE10hipError_tPvRmT1_PNSt15iterator_traitsISL_E10value_typeET2_T3_PNSM_ISR_E10value_typeET4_jRbjT5_SX_jjP12ihipStream_tbEUlT_E2_NS1_11comp_targetILNS1_3genE2ELNS1_11target_archE906ELNS1_3gpuE6ELNS1_3repE0EEENS1_30default_config_static_selectorELNS0_4arch9wavefront6targetE1EEEvSL_,comdat
.Lfunc_end2081:
	.size	_ZN7rocprim17ROCPRIM_400000_NS6detail17trampoline_kernelINS0_14default_configENS1_36segmented_radix_sort_config_selectorI12hip_bfloat16lEEZNS1_25segmented_radix_sort_implIS3_Lb0EPKS5_PS5_PKlPlN2at6native12_GLOBAL__N_18offset_tEEE10hipError_tPvRmT1_PNSt15iterator_traitsISL_E10value_typeET2_T3_PNSM_ISR_E10value_typeET4_jRbjT5_SX_jjP12ihipStream_tbEUlT_E2_NS1_11comp_targetILNS1_3genE2ELNS1_11target_archE906ELNS1_3gpuE6ELNS1_3repE0EEENS1_30default_config_static_selectorELNS0_4arch9wavefront6targetE1EEEvSL_, .Lfunc_end2081-_ZN7rocprim17ROCPRIM_400000_NS6detail17trampoline_kernelINS0_14default_configENS1_36segmented_radix_sort_config_selectorI12hip_bfloat16lEEZNS1_25segmented_radix_sort_implIS3_Lb0EPKS5_PS5_PKlPlN2at6native12_GLOBAL__N_18offset_tEEE10hipError_tPvRmT1_PNSt15iterator_traitsISL_E10value_typeET2_T3_PNSM_ISR_E10value_typeET4_jRbjT5_SX_jjP12ihipStream_tbEUlT_E2_NS1_11comp_targetILNS1_3genE2ELNS1_11target_archE906ELNS1_3gpuE6ELNS1_3repE0EEENS1_30default_config_static_selectorELNS0_4arch9wavefront6targetE1EEEvSL_
                                        ; -- End function
	.section	.AMDGPU.csdata,"",@progbits
; Kernel info:
; codeLenInByte = 0
; NumSgprs: 4
; NumVgprs: 0
; NumAgprs: 0
; TotalNumVgprs: 0
; ScratchSize: 0
; MemoryBound: 0
; FloatMode: 240
; IeeeMode: 1
; LDSByteSize: 0 bytes/workgroup (compile time only)
; SGPRBlocks: 0
; VGPRBlocks: 0
; NumSGPRsForWavesPerEU: 4
; NumVGPRsForWavesPerEU: 1
; AccumOffset: 4
; Occupancy: 8
; WaveLimiterHint : 0
; COMPUTE_PGM_RSRC2:SCRATCH_EN: 0
; COMPUTE_PGM_RSRC2:USER_SGPR: 6
; COMPUTE_PGM_RSRC2:TRAP_HANDLER: 0
; COMPUTE_PGM_RSRC2:TGID_X_EN: 1
; COMPUTE_PGM_RSRC2:TGID_Y_EN: 0
; COMPUTE_PGM_RSRC2:TGID_Z_EN: 0
; COMPUTE_PGM_RSRC2:TIDIG_COMP_CNT: 0
; COMPUTE_PGM_RSRC3_GFX90A:ACCUM_OFFSET: 0
; COMPUTE_PGM_RSRC3_GFX90A:TG_SPLIT: 0
	.section	.text._ZN7rocprim17ROCPRIM_400000_NS6detail17trampoline_kernelINS0_14default_configENS1_36segmented_radix_sort_config_selectorI12hip_bfloat16lEEZNS1_25segmented_radix_sort_implIS3_Lb0EPKS5_PS5_PKlPlN2at6native12_GLOBAL__N_18offset_tEEE10hipError_tPvRmT1_PNSt15iterator_traitsISL_E10value_typeET2_T3_PNSM_ISR_E10value_typeET4_jRbjT5_SX_jjP12ihipStream_tbEUlT_E2_NS1_11comp_targetILNS1_3genE10ELNS1_11target_archE1201ELNS1_3gpuE5ELNS1_3repE0EEENS1_30default_config_static_selectorELNS0_4arch9wavefront6targetE1EEEvSL_,"axG",@progbits,_ZN7rocprim17ROCPRIM_400000_NS6detail17trampoline_kernelINS0_14default_configENS1_36segmented_radix_sort_config_selectorI12hip_bfloat16lEEZNS1_25segmented_radix_sort_implIS3_Lb0EPKS5_PS5_PKlPlN2at6native12_GLOBAL__N_18offset_tEEE10hipError_tPvRmT1_PNSt15iterator_traitsISL_E10value_typeET2_T3_PNSM_ISR_E10value_typeET4_jRbjT5_SX_jjP12ihipStream_tbEUlT_E2_NS1_11comp_targetILNS1_3genE10ELNS1_11target_archE1201ELNS1_3gpuE5ELNS1_3repE0EEENS1_30default_config_static_selectorELNS0_4arch9wavefront6targetE1EEEvSL_,comdat
	.globl	_ZN7rocprim17ROCPRIM_400000_NS6detail17trampoline_kernelINS0_14default_configENS1_36segmented_radix_sort_config_selectorI12hip_bfloat16lEEZNS1_25segmented_radix_sort_implIS3_Lb0EPKS5_PS5_PKlPlN2at6native12_GLOBAL__N_18offset_tEEE10hipError_tPvRmT1_PNSt15iterator_traitsISL_E10value_typeET2_T3_PNSM_ISR_E10value_typeET4_jRbjT5_SX_jjP12ihipStream_tbEUlT_E2_NS1_11comp_targetILNS1_3genE10ELNS1_11target_archE1201ELNS1_3gpuE5ELNS1_3repE0EEENS1_30default_config_static_selectorELNS0_4arch9wavefront6targetE1EEEvSL_ ; -- Begin function _ZN7rocprim17ROCPRIM_400000_NS6detail17trampoline_kernelINS0_14default_configENS1_36segmented_radix_sort_config_selectorI12hip_bfloat16lEEZNS1_25segmented_radix_sort_implIS3_Lb0EPKS5_PS5_PKlPlN2at6native12_GLOBAL__N_18offset_tEEE10hipError_tPvRmT1_PNSt15iterator_traitsISL_E10value_typeET2_T3_PNSM_ISR_E10value_typeET4_jRbjT5_SX_jjP12ihipStream_tbEUlT_E2_NS1_11comp_targetILNS1_3genE10ELNS1_11target_archE1201ELNS1_3gpuE5ELNS1_3repE0EEENS1_30default_config_static_selectorELNS0_4arch9wavefront6targetE1EEEvSL_
	.p2align	8
	.type	_ZN7rocprim17ROCPRIM_400000_NS6detail17trampoline_kernelINS0_14default_configENS1_36segmented_radix_sort_config_selectorI12hip_bfloat16lEEZNS1_25segmented_radix_sort_implIS3_Lb0EPKS5_PS5_PKlPlN2at6native12_GLOBAL__N_18offset_tEEE10hipError_tPvRmT1_PNSt15iterator_traitsISL_E10value_typeET2_T3_PNSM_ISR_E10value_typeET4_jRbjT5_SX_jjP12ihipStream_tbEUlT_E2_NS1_11comp_targetILNS1_3genE10ELNS1_11target_archE1201ELNS1_3gpuE5ELNS1_3repE0EEENS1_30default_config_static_selectorELNS0_4arch9wavefront6targetE1EEEvSL_,@function
_ZN7rocprim17ROCPRIM_400000_NS6detail17trampoline_kernelINS0_14default_configENS1_36segmented_radix_sort_config_selectorI12hip_bfloat16lEEZNS1_25segmented_radix_sort_implIS3_Lb0EPKS5_PS5_PKlPlN2at6native12_GLOBAL__N_18offset_tEEE10hipError_tPvRmT1_PNSt15iterator_traitsISL_E10value_typeET2_T3_PNSM_ISR_E10value_typeET4_jRbjT5_SX_jjP12ihipStream_tbEUlT_E2_NS1_11comp_targetILNS1_3genE10ELNS1_11target_archE1201ELNS1_3gpuE5ELNS1_3repE0EEENS1_30default_config_static_selectorELNS0_4arch9wavefront6targetE1EEEvSL_: ; @_ZN7rocprim17ROCPRIM_400000_NS6detail17trampoline_kernelINS0_14default_configENS1_36segmented_radix_sort_config_selectorI12hip_bfloat16lEEZNS1_25segmented_radix_sort_implIS3_Lb0EPKS5_PS5_PKlPlN2at6native12_GLOBAL__N_18offset_tEEE10hipError_tPvRmT1_PNSt15iterator_traitsISL_E10value_typeET2_T3_PNSM_ISR_E10value_typeET4_jRbjT5_SX_jjP12ihipStream_tbEUlT_E2_NS1_11comp_targetILNS1_3genE10ELNS1_11target_archE1201ELNS1_3gpuE5ELNS1_3repE0EEENS1_30default_config_static_selectorELNS0_4arch9wavefront6targetE1EEEvSL_
; %bb.0:
	.section	.rodata,"a",@progbits
	.p2align	6, 0x0
	.amdhsa_kernel _ZN7rocprim17ROCPRIM_400000_NS6detail17trampoline_kernelINS0_14default_configENS1_36segmented_radix_sort_config_selectorI12hip_bfloat16lEEZNS1_25segmented_radix_sort_implIS3_Lb0EPKS5_PS5_PKlPlN2at6native12_GLOBAL__N_18offset_tEEE10hipError_tPvRmT1_PNSt15iterator_traitsISL_E10value_typeET2_T3_PNSM_ISR_E10value_typeET4_jRbjT5_SX_jjP12ihipStream_tbEUlT_E2_NS1_11comp_targetILNS1_3genE10ELNS1_11target_archE1201ELNS1_3gpuE5ELNS1_3repE0EEENS1_30default_config_static_selectorELNS0_4arch9wavefront6targetE1EEEvSL_
		.amdhsa_group_segment_fixed_size 0
		.amdhsa_private_segment_fixed_size 0
		.amdhsa_kernarg_size 80
		.amdhsa_user_sgpr_count 6
		.amdhsa_user_sgpr_private_segment_buffer 1
		.amdhsa_user_sgpr_dispatch_ptr 0
		.amdhsa_user_sgpr_queue_ptr 0
		.amdhsa_user_sgpr_kernarg_segment_ptr 1
		.amdhsa_user_sgpr_dispatch_id 0
		.amdhsa_user_sgpr_flat_scratch_init 0
		.amdhsa_user_sgpr_kernarg_preload_length 0
		.amdhsa_user_sgpr_kernarg_preload_offset 0
		.amdhsa_user_sgpr_private_segment_size 0
		.amdhsa_uses_dynamic_stack 0
		.amdhsa_system_sgpr_private_segment_wavefront_offset 0
		.amdhsa_system_sgpr_workgroup_id_x 1
		.amdhsa_system_sgpr_workgroup_id_y 0
		.amdhsa_system_sgpr_workgroup_id_z 0
		.amdhsa_system_sgpr_workgroup_info 0
		.amdhsa_system_vgpr_workitem_id 0
		.amdhsa_next_free_vgpr 1
		.amdhsa_next_free_sgpr 0
		.amdhsa_accum_offset 4
		.amdhsa_reserve_vcc 0
		.amdhsa_reserve_flat_scratch 0
		.amdhsa_float_round_mode_32 0
		.amdhsa_float_round_mode_16_64 0
		.amdhsa_float_denorm_mode_32 3
		.amdhsa_float_denorm_mode_16_64 3
		.amdhsa_dx10_clamp 1
		.amdhsa_ieee_mode 1
		.amdhsa_fp16_overflow 0
		.amdhsa_tg_split 0
		.amdhsa_exception_fp_ieee_invalid_op 0
		.amdhsa_exception_fp_denorm_src 0
		.amdhsa_exception_fp_ieee_div_zero 0
		.amdhsa_exception_fp_ieee_overflow 0
		.amdhsa_exception_fp_ieee_underflow 0
		.amdhsa_exception_fp_ieee_inexact 0
		.amdhsa_exception_int_div_zero 0
	.end_amdhsa_kernel
	.section	.text._ZN7rocprim17ROCPRIM_400000_NS6detail17trampoline_kernelINS0_14default_configENS1_36segmented_radix_sort_config_selectorI12hip_bfloat16lEEZNS1_25segmented_radix_sort_implIS3_Lb0EPKS5_PS5_PKlPlN2at6native12_GLOBAL__N_18offset_tEEE10hipError_tPvRmT1_PNSt15iterator_traitsISL_E10value_typeET2_T3_PNSM_ISR_E10value_typeET4_jRbjT5_SX_jjP12ihipStream_tbEUlT_E2_NS1_11comp_targetILNS1_3genE10ELNS1_11target_archE1201ELNS1_3gpuE5ELNS1_3repE0EEENS1_30default_config_static_selectorELNS0_4arch9wavefront6targetE1EEEvSL_,"axG",@progbits,_ZN7rocprim17ROCPRIM_400000_NS6detail17trampoline_kernelINS0_14default_configENS1_36segmented_radix_sort_config_selectorI12hip_bfloat16lEEZNS1_25segmented_radix_sort_implIS3_Lb0EPKS5_PS5_PKlPlN2at6native12_GLOBAL__N_18offset_tEEE10hipError_tPvRmT1_PNSt15iterator_traitsISL_E10value_typeET2_T3_PNSM_ISR_E10value_typeET4_jRbjT5_SX_jjP12ihipStream_tbEUlT_E2_NS1_11comp_targetILNS1_3genE10ELNS1_11target_archE1201ELNS1_3gpuE5ELNS1_3repE0EEENS1_30default_config_static_selectorELNS0_4arch9wavefront6targetE1EEEvSL_,comdat
.Lfunc_end2082:
	.size	_ZN7rocprim17ROCPRIM_400000_NS6detail17trampoline_kernelINS0_14default_configENS1_36segmented_radix_sort_config_selectorI12hip_bfloat16lEEZNS1_25segmented_radix_sort_implIS3_Lb0EPKS5_PS5_PKlPlN2at6native12_GLOBAL__N_18offset_tEEE10hipError_tPvRmT1_PNSt15iterator_traitsISL_E10value_typeET2_T3_PNSM_ISR_E10value_typeET4_jRbjT5_SX_jjP12ihipStream_tbEUlT_E2_NS1_11comp_targetILNS1_3genE10ELNS1_11target_archE1201ELNS1_3gpuE5ELNS1_3repE0EEENS1_30default_config_static_selectorELNS0_4arch9wavefront6targetE1EEEvSL_, .Lfunc_end2082-_ZN7rocprim17ROCPRIM_400000_NS6detail17trampoline_kernelINS0_14default_configENS1_36segmented_radix_sort_config_selectorI12hip_bfloat16lEEZNS1_25segmented_radix_sort_implIS3_Lb0EPKS5_PS5_PKlPlN2at6native12_GLOBAL__N_18offset_tEEE10hipError_tPvRmT1_PNSt15iterator_traitsISL_E10value_typeET2_T3_PNSM_ISR_E10value_typeET4_jRbjT5_SX_jjP12ihipStream_tbEUlT_E2_NS1_11comp_targetILNS1_3genE10ELNS1_11target_archE1201ELNS1_3gpuE5ELNS1_3repE0EEENS1_30default_config_static_selectorELNS0_4arch9wavefront6targetE1EEEvSL_
                                        ; -- End function
	.section	.AMDGPU.csdata,"",@progbits
; Kernel info:
; codeLenInByte = 0
; NumSgprs: 4
; NumVgprs: 0
; NumAgprs: 0
; TotalNumVgprs: 0
; ScratchSize: 0
; MemoryBound: 0
; FloatMode: 240
; IeeeMode: 1
; LDSByteSize: 0 bytes/workgroup (compile time only)
; SGPRBlocks: 0
; VGPRBlocks: 0
; NumSGPRsForWavesPerEU: 4
; NumVGPRsForWavesPerEU: 1
; AccumOffset: 4
; Occupancy: 8
; WaveLimiterHint : 0
; COMPUTE_PGM_RSRC2:SCRATCH_EN: 0
; COMPUTE_PGM_RSRC2:USER_SGPR: 6
; COMPUTE_PGM_RSRC2:TRAP_HANDLER: 0
; COMPUTE_PGM_RSRC2:TGID_X_EN: 1
; COMPUTE_PGM_RSRC2:TGID_Y_EN: 0
; COMPUTE_PGM_RSRC2:TGID_Z_EN: 0
; COMPUTE_PGM_RSRC2:TIDIG_COMP_CNT: 0
; COMPUTE_PGM_RSRC3_GFX90A:ACCUM_OFFSET: 0
; COMPUTE_PGM_RSRC3_GFX90A:TG_SPLIT: 0
	.section	.text._ZN7rocprim17ROCPRIM_400000_NS6detail17trampoline_kernelINS0_14default_configENS1_36segmented_radix_sort_config_selectorI12hip_bfloat16lEEZNS1_25segmented_radix_sort_implIS3_Lb0EPKS5_PS5_PKlPlN2at6native12_GLOBAL__N_18offset_tEEE10hipError_tPvRmT1_PNSt15iterator_traitsISL_E10value_typeET2_T3_PNSM_ISR_E10value_typeET4_jRbjT5_SX_jjP12ihipStream_tbEUlT_E2_NS1_11comp_targetILNS1_3genE10ELNS1_11target_archE1200ELNS1_3gpuE4ELNS1_3repE0EEENS1_30default_config_static_selectorELNS0_4arch9wavefront6targetE1EEEvSL_,"axG",@progbits,_ZN7rocprim17ROCPRIM_400000_NS6detail17trampoline_kernelINS0_14default_configENS1_36segmented_radix_sort_config_selectorI12hip_bfloat16lEEZNS1_25segmented_radix_sort_implIS3_Lb0EPKS5_PS5_PKlPlN2at6native12_GLOBAL__N_18offset_tEEE10hipError_tPvRmT1_PNSt15iterator_traitsISL_E10value_typeET2_T3_PNSM_ISR_E10value_typeET4_jRbjT5_SX_jjP12ihipStream_tbEUlT_E2_NS1_11comp_targetILNS1_3genE10ELNS1_11target_archE1200ELNS1_3gpuE4ELNS1_3repE0EEENS1_30default_config_static_selectorELNS0_4arch9wavefront6targetE1EEEvSL_,comdat
	.globl	_ZN7rocprim17ROCPRIM_400000_NS6detail17trampoline_kernelINS0_14default_configENS1_36segmented_radix_sort_config_selectorI12hip_bfloat16lEEZNS1_25segmented_radix_sort_implIS3_Lb0EPKS5_PS5_PKlPlN2at6native12_GLOBAL__N_18offset_tEEE10hipError_tPvRmT1_PNSt15iterator_traitsISL_E10value_typeET2_T3_PNSM_ISR_E10value_typeET4_jRbjT5_SX_jjP12ihipStream_tbEUlT_E2_NS1_11comp_targetILNS1_3genE10ELNS1_11target_archE1200ELNS1_3gpuE4ELNS1_3repE0EEENS1_30default_config_static_selectorELNS0_4arch9wavefront6targetE1EEEvSL_ ; -- Begin function _ZN7rocprim17ROCPRIM_400000_NS6detail17trampoline_kernelINS0_14default_configENS1_36segmented_radix_sort_config_selectorI12hip_bfloat16lEEZNS1_25segmented_radix_sort_implIS3_Lb0EPKS5_PS5_PKlPlN2at6native12_GLOBAL__N_18offset_tEEE10hipError_tPvRmT1_PNSt15iterator_traitsISL_E10value_typeET2_T3_PNSM_ISR_E10value_typeET4_jRbjT5_SX_jjP12ihipStream_tbEUlT_E2_NS1_11comp_targetILNS1_3genE10ELNS1_11target_archE1200ELNS1_3gpuE4ELNS1_3repE0EEENS1_30default_config_static_selectorELNS0_4arch9wavefront6targetE1EEEvSL_
	.p2align	8
	.type	_ZN7rocprim17ROCPRIM_400000_NS6detail17trampoline_kernelINS0_14default_configENS1_36segmented_radix_sort_config_selectorI12hip_bfloat16lEEZNS1_25segmented_radix_sort_implIS3_Lb0EPKS5_PS5_PKlPlN2at6native12_GLOBAL__N_18offset_tEEE10hipError_tPvRmT1_PNSt15iterator_traitsISL_E10value_typeET2_T3_PNSM_ISR_E10value_typeET4_jRbjT5_SX_jjP12ihipStream_tbEUlT_E2_NS1_11comp_targetILNS1_3genE10ELNS1_11target_archE1200ELNS1_3gpuE4ELNS1_3repE0EEENS1_30default_config_static_selectorELNS0_4arch9wavefront6targetE1EEEvSL_,@function
_ZN7rocprim17ROCPRIM_400000_NS6detail17trampoline_kernelINS0_14default_configENS1_36segmented_radix_sort_config_selectorI12hip_bfloat16lEEZNS1_25segmented_radix_sort_implIS3_Lb0EPKS5_PS5_PKlPlN2at6native12_GLOBAL__N_18offset_tEEE10hipError_tPvRmT1_PNSt15iterator_traitsISL_E10value_typeET2_T3_PNSM_ISR_E10value_typeET4_jRbjT5_SX_jjP12ihipStream_tbEUlT_E2_NS1_11comp_targetILNS1_3genE10ELNS1_11target_archE1200ELNS1_3gpuE4ELNS1_3repE0EEENS1_30default_config_static_selectorELNS0_4arch9wavefront6targetE1EEEvSL_: ; @_ZN7rocprim17ROCPRIM_400000_NS6detail17trampoline_kernelINS0_14default_configENS1_36segmented_radix_sort_config_selectorI12hip_bfloat16lEEZNS1_25segmented_radix_sort_implIS3_Lb0EPKS5_PS5_PKlPlN2at6native12_GLOBAL__N_18offset_tEEE10hipError_tPvRmT1_PNSt15iterator_traitsISL_E10value_typeET2_T3_PNSM_ISR_E10value_typeET4_jRbjT5_SX_jjP12ihipStream_tbEUlT_E2_NS1_11comp_targetILNS1_3genE10ELNS1_11target_archE1200ELNS1_3gpuE4ELNS1_3repE0EEENS1_30default_config_static_selectorELNS0_4arch9wavefront6targetE1EEEvSL_
; %bb.0:
	.section	.rodata,"a",@progbits
	.p2align	6, 0x0
	.amdhsa_kernel _ZN7rocprim17ROCPRIM_400000_NS6detail17trampoline_kernelINS0_14default_configENS1_36segmented_radix_sort_config_selectorI12hip_bfloat16lEEZNS1_25segmented_radix_sort_implIS3_Lb0EPKS5_PS5_PKlPlN2at6native12_GLOBAL__N_18offset_tEEE10hipError_tPvRmT1_PNSt15iterator_traitsISL_E10value_typeET2_T3_PNSM_ISR_E10value_typeET4_jRbjT5_SX_jjP12ihipStream_tbEUlT_E2_NS1_11comp_targetILNS1_3genE10ELNS1_11target_archE1200ELNS1_3gpuE4ELNS1_3repE0EEENS1_30default_config_static_selectorELNS0_4arch9wavefront6targetE1EEEvSL_
		.amdhsa_group_segment_fixed_size 0
		.amdhsa_private_segment_fixed_size 0
		.amdhsa_kernarg_size 80
		.amdhsa_user_sgpr_count 6
		.amdhsa_user_sgpr_private_segment_buffer 1
		.amdhsa_user_sgpr_dispatch_ptr 0
		.amdhsa_user_sgpr_queue_ptr 0
		.amdhsa_user_sgpr_kernarg_segment_ptr 1
		.amdhsa_user_sgpr_dispatch_id 0
		.amdhsa_user_sgpr_flat_scratch_init 0
		.amdhsa_user_sgpr_kernarg_preload_length 0
		.amdhsa_user_sgpr_kernarg_preload_offset 0
		.amdhsa_user_sgpr_private_segment_size 0
		.amdhsa_uses_dynamic_stack 0
		.amdhsa_system_sgpr_private_segment_wavefront_offset 0
		.amdhsa_system_sgpr_workgroup_id_x 1
		.amdhsa_system_sgpr_workgroup_id_y 0
		.amdhsa_system_sgpr_workgroup_id_z 0
		.amdhsa_system_sgpr_workgroup_info 0
		.amdhsa_system_vgpr_workitem_id 0
		.amdhsa_next_free_vgpr 1
		.amdhsa_next_free_sgpr 0
		.amdhsa_accum_offset 4
		.amdhsa_reserve_vcc 0
		.amdhsa_reserve_flat_scratch 0
		.amdhsa_float_round_mode_32 0
		.amdhsa_float_round_mode_16_64 0
		.amdhsa_float_denorm_mode_32 3
		.amdhsa_float_denorm_mode_16_64 3
		.amdhsa_dx10_clamp 1
		.amdhsa_ieee_mode 1
		.amdhsa_fp16_overflow 0
		.amdhsa_tg_split 0
		.amdhsa_exception_fp_ieee_invalid_op 0
		.amdhsa_exception_fp_denorm_src 0
		.amdhsa_exception_fp_ieee_div_zero 0
		.amdhsa_exception_fp_ieee_overflow 0
		.amdhsa_exception_fp_ieee_underflow 0
		.amdhsa_exception_fp_ieee_inexact 0
		.amdhsa_exception_int_div_zero 0
	.end_amdhsa_kernel
	.section	.text._ZN7rocprim17ROCPRIM_400000_NS6detail17trampoline_kernelINS0_14default_configENS1_36segmented_radix_sort_config_selectorI12hip_bfloat16lEEZNS1_25segmented_radix_sort_implIS3_Lb0EPKS5_PS5_PKlPlN2at6native12_GLOBAL__N_18offset_tEEE10hipError_tPvRmT1_PNSt15iterator_traitsISL_E10value_typeET2_T3_PNSM_ISR_E10value_typeET4_jRbjT5_SX_jjP12ihipStream_tbEUlT_E2_NS1_11comp_targetILNS1_3genE10ELNS1_11target_archE1200ELNS1_3gpuE4ELNS1_3repE0EEENS1_30default_config_static_selectorELNS0_4arch9wavefront6targetE1EEEvSL_,"axG",@progbits,_ZN7rocprim17ROCPRIM_400000_NS6detail17trampoline_kernelINS0_14default_configENS1_36segmented_radix_sort_config_selectorI12hip_bfloat16lEEZNS1_25segmented_radix_sort_implIS3_Lb0EPKS5_PS5_PKlPlN2at6native12_GLOBAL__N_18offset_tEEE10hipError_tPvRmT1_PNSt15iterator_traitsISL_E10value_typeET2_T3_PNSM_ISR_E10value_typeET4_jRbjT5_SX_jjP12ihipStream_tbEUlT_E2_NS1_11comp_targetILNS1_3genE10ELNS1_11target_archE1200ELNS1_3gpuE4ELNS1_3repE0EEENS1_30default_config_static_selectorELNS0_4arch9wavefront6targetE1EEEvSL_,comdat
.Lfunc_end2083:
	.size	_ZN7rocprim17ROCPRIM_400000_NS6detail17trampoline_kernelINS0_14default_configENS1_36segmented_radix_sort_config_selectorI12hip_bfloat16lEEZNS1_25segmented_radix_sort_implIS3_Lb0EPKS5_PS5_PKlPlN2at6native12_GLOBAL__N_18offset_tEEE10hipError_tPvRmT1_PNSt15iterator_traitsISL_E10value_typeET2_T3_PNSM_ISR_E10value_typeET4_jRbjT5_SX_jjP12ihipStream_tbEUlT_E2_NS1_11comp_targetILNS1_3genE10ELNS1_11target_archE1200ELNS1_3gpuE4ELNS1_3repE0EEENS1_30default_config_static_selectorELNS0_4arch9wavefront6targetE1EEEvSL_, .Lfunc_end2083-_ZN7rocprim17ROCPRIM_400000_NS6detail17trampoline_kernelINS0_14default_configENS1_36segmented_radix_sort_config_selectorI12hip_bfloat16lEEZNS1_25segmented_radix_sort_implIS3_Lb0EPKS5_PS5_PKlPlN2at6native12_GLOBAL__N_18offset_tEEE10hipError_tPvRmT1_PNSt15iterator_traitsISL_E10value_typeET2_T3_PNSM_ISR_E10value_typeET4_jRbjT5_SX_jjP12ihipStream_tbEUlT_E2_NS1_11comp_targetILNS1_3genE10ELNS1_11target_archE1200ELNS1_3gpuE4ELNS1_3repE0EEENS1_30default_config_static_selectorELNS0_4arch9wavefront6targetE1EEEvSL_
                                        ; -- End function
	.section	.AMDGPU.csdata,"",@progbits
; Kernel info:
; codeLenInByte = 0
; NumSgprs: 4
; NumVgprs: 0
; NumAgprs: 0
; TotalNumVgprs: 0
; ScratchSize: 0
; MemoryBound: 0
; FloatMode: 240
; IeeeMode: 1
; LDSByteSize: 0 bytes/workgroup (compile time only)
; SGPRBlocks: 0
; VGPRBlocks: 0
; NumSGPRsForWavesPerEU: 4
; NumVGPRsForWavesPerEU: 1
; AccumOffset: 4
; Occupancy: 8
; WaveLimiterHint : 0
; COMPUTE_PGM_RSRC2:SCRATCH_EN: 0
; COMPUTE_PGM_RSRC2:USER_SGPR: 6
; COMPUTE_PGM_RSRC2:TRAP_HANDLER: 0
; COMPUTE_PGM_RSRC2:TGID_X_EN: 1
; COMPUTE_PGM_RSRC2:TGID_Y_EN: 0
; COMPUTE_PGM_RSRC2:TGID_Z_EN: 0
; COMPUTE_PGM_RSRC2:TIDIG_COMP_CNT: 0
; COMPUTE_PGM_RSRC3_GFX90A:ACCUM_OFFSET: 0
; COMPUTE_PGM_RSRC3_GFX90A:TG_SPLIT: 0
	.section	.text._ZN7rocprim17ROCPRIM_400000_NS6detail17trampoline_kernelINS0_14default_configENS1_36segmented_radix_sort_config_selectorI12hip_bfloat16lEEZNS1_25segmented_radix_sort_implIS3_Lb0EPKS5_PS5_PKlPlN2at6native12_GLOBAL__N_18offset_tEEE10hipError_tPvRmT1_PNSt15iterator_traitsISL_E10value_typeET2_T3_PNSM_ISR_E10value_typeET4_jRbjT5_SX_jjP12ihipStream_tbEUlT_E2_NS1_11comp_targetILNS1_3genE9ELNS1_11target_archE1100ELNS1_3gpuE3ELNS1_3repE0EEENS1_30default_config_static_selectorELNS0_4arch9wavefront6targetE1EEEvSL_,"axG",@progbits,_ZN7rocprim17ROCPRIM_400000_NS6detail17trampoline_kernelINS0_14default_configENS1_36segmented_radix_sort_config_selectorI12hip_bfloat16lEEZNS1_25segmented_radix_sort_implIS3_Lb0EPKS5_PS5_PKlPlN2at6native12_GLOBAL__N_18offset_tEEE10hipError_tPvRmT1_PNSt15iterator_traitsISL_E10value_typeET2_T3_PNSM_ISR_E10value_typeET4_jRbjT5_SX_jjP12ihipStream_tbEUlT_E2_NS1_11comp_targetILNS1_3genE9ELNS1_11target_archE1100ELNS1_3gpuE3ELNS1_3repE0EEENS1_30default_config_static_selectorELNS0_4arch9wavefront6targetE1EEEvSL_,comdat
	.globl	_ZN7rocprim17ROCPRIM_400000_NS6detail17trampoline_kernelINS0_14default_configENS1_36segmented_radix_sort_config_selectorI12hip_bfloat16lEEZNS1_25segmented_radix_sort_implIS3_Lb0EPKS5_PS5_PKlPlN2at6native12_GLOBAL__N_18offset_tEEE10hipError_tPvRmT1_PNSt15iterator_traitsISL_E10value_typeET2_T3_PNSM_ISR_E10value_typeET4_jRbjT5_SX_jjP12ihipStream_tbEUlT_E2_NS1_11comp_targetILNS1_3genE9ELNS1_11target_archE1100ELNS1_3gpuE3ELNS1_3repE0EEENS1_30default_config_static_selectorELNS0_4arch9wavefront6targetE1EEEvSL_ ; -- Begin function _ZN7rocprim17ROCPRIM_400000_NS6detail17trampoline_kernelINS0_14default_configENS1_36segmented_radix_sort_config_selectorI12hip_bfloat16lEEZNS1_25segmented_radix_sort_implIS3_Lb0EPKS5_PS5_PKlPlN2at6native12_GLOBAL__N_18offset_tEEE10hipError_tPvRmT1_PNSt15iterator_traitsISL_E10value_typeET2_T3_PNSM_ISR_E10value_typeET4_jRbjT5_SX_jjP12ihipStream_tbEUlT_E2_NS1_11comp_targetILNS1_3genE9ELNS1_11target_archE1100ELNS1_3gpuE3ELNS1_3repE0EEENS1_30default_config_static_selectorELNS0_4arch9wavefront6targetE1EEEvSL_
	.p2align	8
	.type	_ZN7rocprim17ROCPRIM_400000_NS6detail17trampoline_kernelINS0_14default_configENS1_36segmented_radix_sort_config_selectorI12hip_bfloat16lEEZNS1_25segmented_radix_sort_implIS3_Lb0EPKS5_PS5_PKlPlN2at6native12_GLOBAL__N_18offset_tEEE10hipError_tPvRmT1_PNSt15iterator_traitsISL_E10value_typeET2_T3_PNSM_ISR_E10value_typeET4_jRbjT5_SX_jjP12ihipStream_tbEUlT_E2_NS1_11comp_targetILNS1_3genE9ELNS1_11target_archE1100ELNS1_3gpuE3ELNS1_3repE0EEENS1_30default_config_static_selectorELNS0_4arch9wavefront6targetE1EEEvSL_,@function
_ZN7rocprim17ROCPRIM_400000_NS6detail17trampoline_kernelINS0_14default_configENS1_36segmented_radix_sort_config_selectorI12hip_bfloat16lEEZNS1_25segmented_radix_sort_implIS3_Lb0EPKS5_PS5_PKlPlN2at6native12_GLOBAL__N_18offset_tEEE10hipError_tPvRmT1_PNSt15iterator_traitsISL_E10value_typeET2_T3_PNSM_ISR_E10value_typeET4_jRbjT5_SX_jjP12ihipStream_tbEUlT_E2_NS1_11comp_targetILNS1_3genE9ELNS1_11target_archE1100ELNS1_3gpuE3ELNS1_3repE0EEENS1_30default_config_static_selectorELNS0_4arch9wavefront6targetE1EEEvSL_: ; @_ZN7rocprim17ROCPRIM_400000_NS6detail17trampoline_kernelINS0_14default_configENS1_36segmented_radix_sort_config_selectorI12hip_bfloat16lEEZNS1_25segmented_radix_sort_implIS3_Lb0EPKS5_PS5_PKlPlN2at6native12_GLOBAL__N_18offset_tEEE10hipError_tPvRmT1_PNSt15iterator_traitsISL_E10value_typeET2_T3_PNSM_ISR_E10value_typeET4_jRbjT5_SX_jjP12ihipStream_tbEUlT_E2_NS1_11comp_targetILNS1_3genE9ELNS1_11target_archE1100ELNS1_3gpuE3ELNS1_3repE0EEENS1_30default_config_static_selectorELNS0_4arch9wavefront6targetE1EEEvSL_
; %bb.0:
	.section	.rodata,"a",@progbits
	.p2align	6, 0x0
	.amdhsa_kernel _ZN7rocprim17ROCPRIM_400000_NS6detail17trampoline_kernelINS0_14default_configENS1_36segmented_radix_sort_config_selectorI12hip_bfloat16lEEZNS1_25segmented_radix_sort_implIS3_Lb0EPKS5_PS5_PKlPlN2at6native12_GLOBAL__N_18offset_tEEE10hipError_tPvRmT1_PNSt15iterator_traitsISL_E10value_typeET2_T3_PNSM_ISR_E10value_typeET4_jRbjT5_SX_jjP12ihipStream_tbEUlT_E2_NS1_11comp_targetILNS1_3genE9ELNS1_11target_archE1100ELNS1_3gpuE3ELNS1_3repE0EEENS1_30default_config_static_selectorELNS0_4arch9wavefront6targetE1EEEvSL_
		.amdhsa_group_segment_fixed_size 0
		.amdhsa_private_segment_fixed_size 0
		.amdhsa_kernarg_size 80
		.amdhsa_user_sgpr_count 6
		.amdhsa_user_sgpr_private_segment_buffer 1
		.amdhsa_user_sgpr_dispatch_ptr 0
		.amdhsa_user_sgpr_queue_ptr 0
		.amdhsa_user_sgpr_kernarg_segment_ptr 1
		.amdhsa_user_sgpr_dispatch_id 0
		.amdhsa_user_sgpr_flat_scratch_init 0
		.amdhsa_user_sgpr_kernarg_preload_length 0
		.amdhsa_user_sgpr_kernarg_preload_offset 0
		.amdhsa_user_sgpr_private_segment_size 0
		.amdhsa_uses_dynamic_stack 0
		.amdhsa_system_sgpr_private_segment_wavefront_offset 0
		.amdhsa_system_sgpr_workgroup_id_x 1
		.amdhsa_system_sgpr_workgroup_id_y 0
		.amdhsa_system_sgpr_workgroup_id_z 0
		.amdhsa_system_sgpr_workgroup_info 0
		.amdhsa_system_vgpr_workitem_id 0
		.amdhsa_next_free_vgpr 1
		.amdhsa_next_free_sgpr 0
		.amdhsa_accum_offset 4
		.amdhsa_reserve_vcc 0
		.amdhsa_reserve_flat_scratch 0
		.amdhsa_float_round_mode_32 0
		.amdhsa_float_round_mode_16_64 0
		.amdhsa_float_denorm_mode_32 3
		.amdhsa_float_denorm_mode_16_64 3
		.amdhsa_dx10_clamp 1
		.amdhsa_ieee_mode 1
		.amdhsa_fp16_overflow 0
		.amdhsa_tg_split 0
		.amdhsa_exception_fp_ieee_invalid_op 0
		.amdhsa_exception_fp_denorm_src 0
		.amdhsa_exception_fp_ieee_div_zero 0
		.amdhsa_exception_fp_ieee_overflow 0
		.amdhsa_exception_fp_ieee_underflow 0
		.amdhsa_exception_fp_ieee_inexact 0
		.amdhsa_exception_int_div_zero 0
	.end_amdhsa_kernel
	.section	.text._ZN7rocprim17ROCPRIM_400000_NS6detail17trampoline_kernelINS0_14default_configENS1_36segmented_radix_sort_config_selectorI12hip_bfloat16lEEZNS1_25segmented_radix_sort_implIS3_Lb0EPKS5_PS5_PKlPlN2at6native12_GLOBAL__N_18offset_tEEE10hipError_tPvRmT1_PNSt15iterator_traitsISL_E10value_typeET2_T3_PNSM_ISR_E10value_typeET4_jRbjT5_SX_jjP12ihipStream_tbEUlT_E2_NS1_11comp_targetILNS1_3genE9ELNS1_11target_archE1100ELNS1_3gpuE3ELNS1_3repE0EEENS1_30default_config_static_selectorELNS0_4arch9wavefront6targetE1EEEvSL_,"axG",@progbits,_ZN7rocprim17ROCPRIM_400000_NS6detail17trampoline_kernelINS0_14default_configENS1_36segmented_radix_sort_config_selectorI12hip_bfloat16lEEZNS1_25segmented_radix_sort_implIS3_Lb0EPKS5_PS5_PKlPlN2at6native12_GLOBAL__N_18offset_tEEE10hipError_tPvRmT1_PNSt15iterator_traitsISL_E10value_typeET2_T3_PNSM_ISR_E10value_typeET4_jRbjT5_SX_jjP12ihipStream_tbEUlT_E2_NS1_11comp_targetILNS1_3genE9ELNS1_11target_archE1100ELNS1_3gpuE3ELNS1_3repE0EEENS1_30default_config_static_selectorELNS0_4arch9wavefront6targetE1EEEvSL_,comdat
.Lfunc_end2084:
	.size	_ZN7rocprim17ROCPRIM_400000_NS6detail17trampoline_kernelINS0_14default_configENS1_36segmented_radix_sort_config_selectorI12hip_bfloat16lEEZNS1_25segmented_radix_sort_implIS3_Lb0EPKS5_PS5_PKlPlN2at6native12_GLOBAL__N_18offset_tEEE10hipError_tPvRmT1_PNSt15iterator_traitsISL_E10value_typeET2_T3_PNSM_ISR_E10value_typeET4_jRbjT5_SX_jjP12ihipStream_tbEUlT_E2_NS1_11comp_targetILNS1_3genE9ELNS1_11target_archE1100ELNS1_3gpuE3ELNS1_3repE0EEENS1_30default_config_static_selectorELNS0_4arch9wavefront6targetE1EEEvSL_, .Lfunc_end2084-_ZN7rocprim17ROCPRIM_400000_NS6detail17trampoline_kernelINS0_14default_configENS1_36segmented_radix_sort_config_selectorI12hip_bfloat16lEEZNS1_25segmented_radix_sort_implIS3_Lb0EPKS5_PS5_PKlPlN2at6native12_GLOBAL__N_18offset_tEEE10hipError_tPvRmT1_PNSt15iterator_traitsISL_E10value_typeET2_T3_PNSM_ISR_E10value_typeET4_jRbjT5_SX_jjP12ihipStream_tbEUlT_E2_NS1_11comp_targetILNS1_3genE9ELNS1_11target_archE1100ELNS1_3gpuE3ELNS1_3repE0EEENS1_30default_config_static_selectorELNS0_4arch9wavefront6targetE1EEEvSL_
                                        ; -- End function
	.section	.AMDGPU.csdata,"",@progbits
; Kernel info:
; codeLenInByte = 0
; NumSgprs: 4
; NumVgprs: 0
; NumAgprs: 0
; TotalNumVgprs: 0
; ScratchSize: 0
; MemoryBound: 0
; FloatMode: 240
; IeeeMode: 1
; LDSByteSize: 0 bytes/workgroup (compile time only)
; SGPRBlocks: 0
; VGPRBlocks: 0
; NumSGPRsForWavesPerEU: 4
; NumVGPRsForWavesPerEU: 1
; AccumOffset: 4
; Occupancy: 8
; WaveLimiterHint : 0
; COMPUTE_PGM_RSRC2:SCRATCH_EN: 0
; COMPUTE_PGM_RSRC2:USER_SGPR: 6
; COMPUTE_PGM_RSRC2:TRAP_HANDLER: 0
; COMPUTE_PGM_RSRC2:TGID_X_EN: 1
; COMPUTE_PGM_RSRC2:TGID_Y_EN: 0
; COMPUTE_PGM_RSRC2:TGID_Z_EN: 0
; COMPUTE_PGM_RSRC2:TIDIG_COMP_CNT: 0
; COMPUTE_PGM_RSRC3_GFX90A:ACCUM_OFFSET: 0
; COMPUTE_PGM_RSRC3_GFX90A:TG_SPLIT: 0
	.section	.text._ZN7rocprim17ROCPRIM_400000_NS6detail17trampoline_kernelINS0_14default_configENS1_36segmented_radix_sort_config_selectorI12hip_bfloat16lEEZNS1_25segmented_radix_sort_implIS3_Lb0EPKS5_PS5_PKlPlN2at6native12_GLOBAL__N_18offset_tEEE10hipError_tPvRmT1_PNSt15iterator_traitsISL_E10value_typeET2_T3_PNSM_ISR_E10value_typeET4_jRbjT5_SX_jjP12ihipStream_tbEUlT_E2_NS1_11comp_targetILNS1_3genE8ELNS1_11target_archE1030ELNS1_3gpuE2ELNS1_3repE0EEENS1_30default_config_static_selectorELNS0_4arch9wavefront6targetE1EEEvSL_,"axG",@progbits,_ZN7rocprim17ROCPRIM_400000_NS6detail17trampoline_kernelINS0_14default_configENS1_36segmented_radix_sort_config_selectorI12hip_bfloat16lEEZNS1_25segmented_radix_sort_implIS3_Lb0EPKS5_PS5_PKlPlN2at6native12_GLOBAL__N_18offset_tEEE10hipError_tPvRmT1_PNSt15iterator_traitsISL_E10value_typeET2_T3_PNSM_ISR_E10value_typeET4_jRbjT5_SX_jjP12ihipStream_tbEUlT_E2_NS1_11comp_targetILNS1_3genE8ELNS1_11target_archE1030ELNS1_3gpuE2ELNS1_3repE0EEENS1_30default_config_static_selectorELNS0_4arch9wavefront6targetE1EEEvSL_,comdat
	.globl	_ZN7rocprim17ROCPRIM_400000_NS6detail17trampoline_kernelINS0_14default_configENS1_36segmented_radix_sort_config_selectorI12hip_bfloat16lEEZNS1_25segmented_radix_sort_implIS3_Lb0EPKS5_PS5_PKlPlN2at6native12_GLOBAL__N_18offset_tEEE10hipError_tPvRmT1_PNSt15iterator_traitsISL_E10value_typeET2_T3_PNSM_ISR_E10value_typeET4_jRbjT5_SX_jjP12ihipStream_tbEUlT_E2_NS1_11comp_targetILNS1_3genE8ELNS1_11target_archE1030ELNS1_3gpuE2ELNS1_3repE0EEENS1_30default_config_static_selectorELNS0_4arch9wavefront6targetE1EEEvSL_ ; -- Begin function _ZN7rocprim17ROCPRIM_400000_NS6detail17trampoline_kernelINS0_14default_configENS1_36segmented_radix_sort_config_selectorI12hip_bfloat16lEEZNS1_25segmented_radix_sort_implIS3_Lb0EPKS5_PS5_PKlPlN2at6native12_GLOBAL__N_18offset_tEEE10hipError_tPvRmT1_PNSt15iterator_traitsISL_E10value_typeET2_T3_PNSM_ISR_E10value_typeET4_jRbjT5_SX_jjP12ihipStream_tbEUlT_E2_NS1_11comp_targetILNS1_3genE8ELNS1_11target_archE1030ELNS1_3gpuE2ELNS1_3repE0EEENS1_30default_config_static_selectorELNS0_4arch9wavefront6targetE1EEEvSL_
	.p2align	8
	.type	_ZN7rocprim17ROCPRIM_400000_NS6detail17trampoline_kernelINS0_14default_configENS1_36segmented_radix_sort_config_selectorI12hip_bfloat16lEEZNS1_25segmented_radix_sort_implIS3_Lb0EPKS5_PS5_PKlPlN2at6native12_GLOBAL__N_18offset_tEEE10hipError_tPvRmT1_PNSt15iterator_traitsISL_E10value_typeET2_T3_PNSM_ISR_E10value_typeET4_jRbjT5_SX_jjP12ihipStream_tbEUlT_E2_NS1_11comp_targetILNS1_3genE8ELNS1_11target_archE1030ELNS1_3gpuE2ELNS1_3repE0EEENS1_30default_config_static_selectorELNS0_4arch9wavefront6targetE1EEEvSL_,@function
_ZN7rocprim17ROCPRIM_400000_NS6detail17trampoline_kernelINS0_14default_configENS1_36segmented_radix_sort_config_selectorI12hip_bfloat16lEEZNS1_25segmented_radix_sort_implIS3_Lb0EPKS5_PS5_PKlPlN2at6native12_GLOBAL__N_18offset_tEEE10hipError_tPvRmT1_PNSt15iterator_traitsISL_E10value_typeET2_T3_PNSM_ISR_E10value_typeET4_jRbjT5_SX_jjP12ihipStream_tbEUlT_E2_NS1_11comp_targetILNS1_3genE8ELNS1_11target_archE1030ELNS1_3gpuE2ELNS1_3repE0EEENS1_30default_config_static_selectorELNS0_4arch9wavefront6targetE1EEEvSL_: ; @_ZN7rocprim17ROCPRIM_400000_NS6detail17trampoline_kernelINS0_14default_configENS1_36segmented_radix_sort_config_selectorI12hip_bfloat16lEEZNS1_25segmented_radix_sort_implIS3_Lb0EPKS5_PS5_PKlPlN2at6native12_GLOBAL__N_18offset_tEEE10hipError_tPvRmT1_PNSt15iterator_traitsISL_E10value_typeET2_T3_PNSM_ISR_E10value_typeET4_jRbjT5_SX_jjP12ihipStream_tbEUlT_E2_NS1_11comp_targetILNS1_3genE8ELNS1_11target_archE1030ELNS1_3gpuE2ELNS1_3repE0EEENS1_30default_config_static_selectorELNS0_4arch9wavefront6targetE1EEEvSL_
; %bb.0:
	.section	.rodata,"a",@progbits
	.p2align	6, 0x0
	.amdhsa_kernel _ZN7rocprim17ROCPRIM_400000_NS6detail17trampoline_kernelINS0_14default_configENS1_36segmented_radix_sort_config_selectorI12hip_bfloat16lEEZNS1_25segmented_radix_sort_implIS3_Lb0EPKS5_PS5_PKlPlN2at6native12_GLOBAL__N_18offset_tEEE10hipError_tPvRmT1_PNSt15iterator_traitsISL_E10value_typeET2_T3_PNSM_ISR_E10value_typeET4_jRbjT5_SX_jjP12ihipStream_tbEUlT_E2_NS1_11comp_targetILNS1_3genE8ELNS1_11target_archE1030ELNS1_3gpuE2ELNS1_3repE0EEENS1_30default_config_static_selectorELNS0_4arch9wavefront6targetE1EEEvSL_
		.amdhsa_group_segment_fixed_size 0
		.amdhsa_private_segment_fixed_size 0
		.amdhsa_kernarg_size 80
		.amdhsa_user_sgpr_count 6
		.amdhsa_user_sgpr_private_segment_buffer 1
		.amdhsa_user_sgpr_dispatch_ptr 0
		.amdhsa_user_sgpr_queue_ptr 0
		.amdhsa_user_sgpr_kernarg_segment_ptr 1
		.amdhsa_user_sgpr_dispatch_id 0
		.amdhsa_user_sgpr_flat_scratch_init 0
		.amdhsa_user_sgpr_kernarg_preload_length 0
		.amdhsa_user_sgpr_kernarg_preload_offset 0
		.amdhsa_user_sgpr_private_segment_size 0
		.amdhsa_uses_dynamic_stack 0
		.amdhsa_system_sgpr_private_segment_wavefront_offset 0
		.amdhsa_system_sgpr_workgroup_id_x 1
		.amdhsa_system_sgpr_workgroup_id_y 0
		.amdhsa_system_sgpr_workgroup_id_z 0
		.amdhsa_system_sgpr_workgroup_info 0
		.amdhsa_system_vgpr_workitem_id 0
		.amdhsa_next_free_vgpr 1
		.amdhsa_next_free_sgpr 0
		.amdhsa_accum_offset 4
		.amdhsa_reserve_vcc 0
		.amdhsa_reserve_flat_scratch 0
		.amdhsa_float_round_mode_32 0
		.amdhsa_float_round_mode_16_64 0
		.amdhsa_float_denorm_mode_32 3
		.amdhsa_float_denorm_mode_16_64 3
		.amdhsa_dx10_clamp 1
		.amdhsa_ieee_mode 1
		.amdhsa_fp16_overflow 0
		.amdhsa_tg_split 0
		.amdhsa_exception_fp_ieee_invalid_op 0
		.amdhsa_exception_fp_denorm_src 0
		.amdhsa_exception_fp_ieee_div_zero 0
		.amdhsa_exception_fp_ieee_overflow 0
		.amdhsa_exception_fp_ieee_underflow 0
		.amdhsa_exception_fp_ieee_inexact 0
		.amdhsa_exception_int_div_zero 0
	.end_amdhsa_kernel
	.section	.text._ZN7rocprim17ROCPRIM_400000_NS6detail17trampoline_kernelINS0_14default_configENS1_36segmented_radix_sort_config_selectorI12hip_bfloat16lEEZNS1_25segmented_radix_sort_implIS3_Lb0EPKS5_PS5_PKlPlN2at6native12_GLOBAL__N_18offset_tEEE10hipError_tPvRmT1_PNSt15iterator_traitsISL_E10value_typeET2_T3_PNSM_ISR_E10value_typeET4_jRbjT5_SX_jjP12ihipStream_tbEUlT_E2_NS1_11comp_targetILNS1_3genE8ELNS1_11target_archE1030ELNS1_3gpuE2ELNS1_3repE0EEENS1_30default_config_static_selectorELNS0_4arch9wavefront6targetE1EEEvSL_,"axG",@progbits,_ZN7rocprim17ROCPRIM_400000_NS6detail17trampoline_kernelINS0_14default_configENS1_36segmented_radix_sort_config_selectorI12hip_bfloat16lEEZNS1_25segmented_radix_sort_implIS3_Lb0EPKS5_PS5_PKlPlN2at6native12_GLOBAL__N_18offset_tEEE10hipError_tPvRmT1_PNSt15iterator_traitsISL_E10value_typeET2_T3_PNSM_ISR_E10value_typeET4_jRbjT5_SX_jjP12ihipStream_tbEUlT_E2_NS1_11comp_targetILNS1_3genE8ELNS1_11target_archE1030ELNS1_3gpuE2ELNS1_3repE0EEENS1_30default_config_static_selectorELNS0_4arch9wavefront6targetE1EEEvSL_,comdat
.Lfunc_end2085:
	.size	_ZN7rocprim17ROCPRIM_400000_NS6detail17trampoline_kernelINS0_14default_configENS1_36segmented_radix_sort_config_selectorI12hip_bfloat16lEEZNS1_25segmented_radix_sort_implIS3_Lb0EPKS5_PS5_PKlPlN2at6native12_GLOBAL__N_18offset_tEEE10hipError_tPvRmT1_PNSt15iterator_traitsISL_E10value_typeET2_T3_PNSM_ISR_E10value_typeET4_jRbjT5_SX_jjP12ihipStream_tbEUlT_E2_NS1_11comp_targetILNS1_3genE8ELNS1_11target_archE1030ELNS1_3gpuE2ELNS1_3repE0EEENS1_30default_config_static_selectorELNS0_4arch9wavefront6targetE1EEEvSL_, .Lfunc_end2085-_ZN7rocprim17ROCPRIM_400000_NS6detail17trampoline_kernelINS0_14default_configENS1_36segmented_radix_sort_config_selectorI12hip_bfloat16lEEZNS1_25segmented_radix_sort_implIS3_Lb0EPKS5_PS5_PKlPlN2at6native12_GLOBAL__N_18offset_tEEE10hipError_tPvRmT1_PNSt15iterator_traitsISL_E10value_typeET2_T3_PNSM_ISR_E10value_typeET4_jRbjT5_SX_jjP12ihipStream_tbEUlT_E2_NS1_11comp_targetILNS1_3genE8ELNS1_11target_archE1030ELNS1_3gpuE2ELNS1_3repE0EEENS1_30default_config_static_selectorELNS0_4arch9wavefront6targetE1EEEvSL_
                                        ; -- End function
	.section	.AMDGPU.csdata,"",@progbits
; Kernel info:
; codeLenInByte = 0
; NumSgprs: 4
; NumVgprs: 0
; NumAgprs: 0
; TotalNumVgprs: 0
; ScratchSize: 0
; MemoryBound: 0
; FloatMode: 240
; IeeeMode: 1
; LDSByteSize: 0 bytes/workgroup (compile time only)
; SGPRBlocks: 0
; VGPRBlocks: 0
; NumSGPRsForWavesPerEU: 4
; NumVGPRsForWavesPerEU: 1
; AccumOffset: 4
; Occupancy: 8
; WaveLimiterHint : 0
; COMPUTE_PGM_RSRC2:SCRATCH_EN: 0
; COMPUTE_PGM_RSRC2:USER_SGPR: 6
; COMPUTE_PGM_RSRC2:TRAP_HANDLER: 0
; COMPUTE_PGM_RSRC2:TGID_X_EN: 1
; COMPUTE_PGM_RSRC2:TGID_Y_EN: 0
; COMPUTE_PGM_RSRC2:TGID_Z_EN: 0
; COMPUTE_PGM_RSRC2:TIDIG_COMP_CNT: 0
; COMPUTE_PGM_RSRC3_GFX90A:ACCUM_OFFSET: 0
; COMPUTE_PGM_RSRC3_GFX90A:TG_SPLIT: 0
	.text
	.p2alignl 6, 3212836864
	.fill 256, 4, 3212836864
	.protected	_ZN7rocprim17ROCPRIM_400000_NS16block_radix_sortIhLj256ELj1ElLj1ELj1ELj8ELNS0_26block_radix_rank_algorithmE2ELNS0_18block_padding_hintE2ELNS0_4arch9wavefront6targetE1EE19radix_bits_per_passE ; @_ZN7rocprim17ROCPRIM_400000_NS16block_radix_sortIhLj256ELj1ElLj1ELj1ELj8ELNS0_26block_radix_rank_algorithmE2ELNS0_18block_padding_hintE2ELNS0_4arch9wavefront6targetE1EE19radix_bits_per_passE
	.type	_ZN7rocprim17ROCPRIM_400000_NS16block_radix_sortIhLj256ELj1ElLj1ELj1ELj8ELNS0_26block_radix_rank_algorithmE2ELNS0_18block_padding_hintE2ELNS0_4arch9wavefront6targetE1EE19radix_bits_per_passE,@object
	.section	.rodata._ZN7rocprim17ROCPRIM_400000_NS16block_radix_sortIhLj256ELj1ElLj1ELj1ELj8ELNS0_26block_radix_rank_algorithmE2ELNS0_18block_padding_hintE2ELNS0_4arch9wavefront6targetE1EE19radix_bits_per_passE,"aG",@progbits,_ZN7rocprim17ROCPRIM_400000_NS16block_radix_sortIhLj256ELj1ElLj1ELj1ELj8ELNS0_26block_radix_rank_algorithmE2ELNS0_18block_padding_hintE2ELNS0_4arch9wavefront6targetE1EE19radix_bits_per_passE,comdat
	.weak	_ZN7rocprim17ROCPRIM_400000_NS16block_radix_sortIhLj256ELj1ElLj1ELj1ELj8ELNS0_26block_radix_rank_algorithmE2ELNS0_18block_padding_hintE2ELNS0_4arch9wavefront6targetE1EE19radix_bits_per_passE
	.p2align	2, 0x0
_ZN7rocprim17ROCPRIM_400000_NS16block_radix_sortIhLj256ELj1ElLj1ELj1ELj8ELNS0_26block_radix_rank_algorithmE2ELNS0_18block_padding_hintE2ELNS0_4arch9wavefront6targetE1EE19radix_bits_per_passE:
	.long	8                               ; 0x8
	.size	_ZN7rocprim17ROCPRIM_400000_NS16block_radix_sortIhLj256ELj1ElLj1ELj1ELj8ELNS0_26block_radix_rank_algorithmE2ELNS0_18block_padding_hintE2ELNS0_4arch9wavefront6targetE1EE19radix_bits_per_passE, 4

	.protected	_ZN7rocprim17ROCPRIM_400000_NS16block_radix_sortIhLj256ELj2ElLj1ELj1ELj8ELNS0_26block_radix_rank_algorithmE2ELNS0_18block_padding_hintE2ELNS0_4arch9wavefront6targetE1EE19radix_bits_per_passE ; @_ZN7rocprim17ROCPRIM_400000_NS16block_radix_sortIhLj256ELj2ElLj1ELj1ELj8ELNS0_26block_radix_rank_algorithmE2ELNS0_18block_padding_hintE2ELNS0_4arch9wavefront6targetE1EE19radix_bits_per_passE
	.type	_ZN7rocprim17ROCPRIM_400000_NS16block_radix_sortIhLj256ELj2ElLj1ELj1ELj8ELNS0_26block_radix_rank_algorithmE2ELNS0_18block_padding_hintE2ELNS0_4arch9wavefront6targetE1EE19radix_bits_per_passE,@object
	.section	.rodata._ZN7rocprim17ROCPRIM_400000_NS16block_radix_sortIhLj256ELj2ElLj1ELj1ELj8ELNS0_26block_radix_rank_algorithmE2ELNS0_18block_padding_hintE2ELNS0_4arch9wavefront6targetE1EE19radix_bits_per_passE,"aG",@progbits,_ZN7rocprim17ROCPRIM_400000_NS16block_radix_sortIhLj256ELj2ElLj1ELj1ELj8ELNS0_26block_radix_rank_algorithmE2ELNS0_18block_padding_hintE2ELNS0_4arch9wavefront6targetE1EE19radix_bits_per_passE,comdat
	.weak	_ZN7rocprim17ROCPRIM_400000_NS16block_radix_sortIhLj256ELj2ElLj1ELj1ELj8ELNS0_26block_radix_rank_algorithmE2ELNS0_18block_padding_hintE2ELNS0_4arch9wavefront6targetE1EE19radix_bits_per_passE
	.p2align	2, 0x0
_ZN7rocprim17ROCPRIM_400000_NS16block_radix_sortIhLj256ELj2ElLj1ELj1ELj8ELNS0_26block_radix_rank_algorithmE2ELNS0_18block_padding_hintE2ELNS0_4arch9wavefront6targetE1EE19radix_bits_per_passE:
	.long	8                               ; 0x8
	.size	_ZN7rocprim17ROCPRIM_400000_NS16block_radix_sortIhLj256ELj2ElLj1ELj1ELj8ELNS0_26block_radix_rank_algorithmE2ELNS0_18block_padding_hintE2ELNS0_4arch9wavefront6targetE1EE19radix_bits_per_passE, 4

	.protected	_ZN7rocprim17ROCPRIM_400000_NS16block_radix_sortIhLj256ELj4ElLj1ELj1ELj8ELNS0_26block_radix_rank_algorithmE2ELNS0_18block_padding_hintE2ELNS0_4arch9wavefront6targetE1EE19radix_bits_per_passE ; @_ZN7rocprim17ROCPRIM_400000_NS16block_radix_sortIhLj256ELj4ElLj1ELj1ELj8ELNS0_26block_radix_rank_algorithmE2ELNS0_18block_padding_hintE2ELNS0_4arch9wavefront6targetE1EE19radix_bits_per_passE
	.type	_ZN7rocprim17ROCPRIM_400000_NS16block_radix_sortIhLj256ELj4ElLj1ELj1ELj8ELNS0_26block_radix_rank_algorithmE2ELNS0_18block_padding_hintE2ELNS0_4arch9wavefront6targetE1EE19radix_bits_per_passE,@object
	.section	.rodata._ZN7rocprim17ROCPRIM_400000_NS16block_radix_sortIhLj256ELj4ElLj1ELj1ELj8ELNS0_26block_radix_rank_algorithmE2ELNS0_18block_padding_hintE2ELNS0_4arch9wavefront6targetE1EE19radix_bits_per_passE,"aG",@progbits,_ZN7rocprim17ROCPRIM_400000_NS16block_radix_sortIhLj256ELj4ElLj1ELj1ELj8ELNS0_26block_radix_rank_algorithmE2ELNS0_18block_padding_hintE2ELNS0_4arch9wavefront6targetE1EE19radix_bits_per_passE,comdat
	.weak	_ZN7rocprim17ROCPRIM_400000_NS16block_radix_sortIhLj256ELj4ElLj1ELj1ELj8ELNS0_26block_radix_rank_algorithmE2ELNS0_18block_padding_hintE2ELNS0_4arch9wavefront6targetE1EE19radix_bits_per_passE
	.p2align	2, 0x0
_ZN7rocprim17ROCPRIM_400000_NS16block_radix_sortIhLj256ELj4ElLj1ELj1ELj8ELNS0_26block_radix_rank_algorithmE2ELNS0_18block_padding_hintE2ELNS0_4arch9wavefront6targetE1EE19radix_bits_per_passE:
	.long	8                               ; 0x8
	.size	_ZN7rocprim17ROCPRIM_400000_NS16block_radix_sortIhLj256ELj4ElLj1ELj1ELj8ELNS0_26block_radix_rank_algorithmE2ELNS0_18block_padding_hintE2ELNS0_4arch9wavefront6targetE1EE19radix_bits_per_passE, 4

	.protected	_ZN7rocprim17ROCPRIM_400000_NS16block_radix_sortIhLj256ELj8ElLj1ELj1ELj8ELNS0_26block_radix_rank_algorithmE2ELNS0_18block_padding_hintE2ELNS0_4arch9wavefront6targetE1EE19radix_bits_per_passE ; @_ZN7rocprim17ROCPRIM_400000_NS16block_radix_sortIhLj256ELj8ElLj1ELj1ELj8ELNS0_26block_radix_rank_algorithmE2ELNS0_18block_padding_hintE2ELNS0_4arch9wavefront6targetE1EE19radix_bits_per_passE
	.type	_ZN7rocprim17ROCPRIM_400000_NS16block_radix_sortIhLj256ELj8ElLj1ELj1ELj8ELNS0_26block_radix_rank_algorithmE2ELNS0_18block_padding_hintE2ELNS0_4arch9wavefront6targetE1EE19radix_bits_per_passE,@object
	.section	.rodata._ZN7rocprim17ROCPRIM_400000_NS16block_radix_sortIhLj256ELj8ElLj1ELj1ELj8ELNS0_26block_radix_rank_algorithmE2ELNS0_18block_padding_hintE2ELNS0_4arch9wavefront6targetE1EE19radix_bits_per_passE,"aG",@progbits,_ZN7rocprim17ROCPRIM_400000_NS16block_radix_sortIhLj256ELj8ElLj1ELj1ELj8ELNS0_26block_radix_rank_algorithmE2ELNS0_18block_padding_hintE2ELNS0_4arch9wavefront6targetE1EE19radix_bits_per_passE,comdat
	.weak	_ZN7rocprim17ROCPRIM_400000_NS16block_radix_sortIhLj256ELj8ElLj1ELj1ELj8ELNS0_26block_radix_rank_algorithmE2ELNS0_18block_padding_hintE2ELNS0_4arch9wavefront6targetE1EE19radix_bits_per_passE
	.p2align	2, 0x0
_ZN7rocprim17ROCPRIM_400000_NS16block_radix_sortIhLj256ELj8ElLj1ELj1ELj8ELNS0_26block_radix_rank_algorithmE2ELNS0_18block_padding_hintE2ELNS0_4arch9wavefront6targetE1EE19radix_bits_per_passE:
	.long	8                               ; 0x8
	.size	_ZN7rocprim17ROCPRIM_400000_NS16block_radix_sortIhLj256ELj8ElLj1ELj1ELj8ELNS0_26block_radix_rank_algorithmE2ELNS0_18block_padding_hintE2ELNS0_4arch9wavefront6targetE1EE19radix_bits_per_passE, 4

	.protected	_ZN7rocprim17ROCPRIM_400000_NS16block_radix_sortIaLj256ELj1ElLj1ELj1ELj8ELNS0_26block_radix_rank_algorithmE2ELNS0_18block_padding_hintE2ELNS0_4arch9wavefront6targetE1EE19radix_bits_per_passE ; @_ZN7rocprim17ROCPRIM_400000_NS16block_radix_sortIaLj256ELj1ElLj1ELj1ELj8ELNS0_26block_radix_rank_algorithmE2ELNS0_18block_padding_hintE2ELNS0_4arch9wavefront6targetE1EE19radix_bits_per_passE
	.type	_ZN7rocprim17ROCPRIM_400000_NS16block_radix_sortIaLj256ELj1ElLj1ELj1ELj8ELNS0_26block_radix_rank_algorithmE2ELNS0_18block_padding_hintE2ELNS0_4arch9wavefront6targetE1EE19radix_bits_per_passE,@object
	.section	.rodata._ZN7rocprim17ROCPRIM_400000_NS16block_radix_sortIaLj256ELj1ElLj1ELj1ELj8ELNS0_26block_radix_rank_algorithmE2ELNS0_18block_padding_hintE2ELNS0_4arch9wavefront6targetE1EE19radix_bits_per_passE,"aG",@progbits,_ZN7rocprim17ROCPRIM_400000_NS16block_radix_sortIaLj256ELj1ElLj1ELj1ELj8ELNS0_26block_radix_rank_algorithmE2ELNS0_18block_padding_hintE2ELNS0_4arch9wavefront6targetE1EE19radix_bits_per_passE,comdat
	.weak	_ZN7rocprim17ROCPRIM_400000_NS16block_radix_sortIaLj256ELj1ElLj1ELj1ELj8ELNS0_26block_radix_rank_algorithmE2ELNS0_18block_padding_hintE2ELNS0_4arch9wavefront6targetE1EE19radix_bits_per_passE
	.p2align	2, 0x0
_ZN7rocprim17ROCPRIM_400000_NS16block_radix_sortIaLj256ELj1ElLj1ELj1ELj8ELNS0_26block_radix_rank_algorithmE2ELNS0_18block_padding_hintE2ELNS0_4arch9wavefront6targetE1EE19radix_bits_per_passE:
	.long	8                               ; 0x8
	.size	_ZN7rocprim17ROCPRIM_400000_NS16block_radix_sortIaLj256ELj1ElLj1ELj1ELj8ELNS0_26block_radix_rank_algorithmE2ELNS0_18block_padding_hintE2ELNS0_4arch9wavefront6targetE1EE19radix_bits_per_passE, 4

	.protected	_ZN7rocprim17ROCPRIM_400000_NS16block_radix_sortIaLj256ELj2ElLj1ELj1ELj8ELNS0_26block_radix_rank_algorithmE2ELNS0_18block_padding_hintE2ELNS0_4arch9wavefront6targetE1EE19radix_bits_per_passE ; @_ZN7rocprim17ROCPRIM_400000_NS16block_radix_sortIaLj256ELj2ElLj1ELj1ELj8ELNS0_26block_radix_rank_algorithmE2ELNS0_18block_padding_hintE2ELNS0_4arch9wavefront6targetE1EE19radix_bits_per_passE
	.type	_ZN7rocprim17ROCPRIM_400000_NS16block_radix_sortIaLj256ELj2ElLj1ELj1ELj8ELNS0_26block_radix_rank_algorithmE2ELNS0_18block_padding_hintE2ELNS0_4arch9wavefront6targetE1EE19radix_bits_per_passE,@object
	.section	.rodata._ZN7rocprim17ROCPRIM_400000_NS16block_radix_sortIaLj256ELj2ElLj1ELj1ELj8ELNS0_26block_radix_rank_algorithmE2ELNS0_18block_padding_hintE2ELNS0_4arch9wavefront6targetE1EE19radix_bits_per_passE,"aG",@progbits,_ZN7rocprim17ROCPRIM_400000_NS16block_radix_sortIaLj256ELj2ElLj1ELj1ELj8ELNS0_26block_radix_rank_algorithmE2ELNS0_18block_padding_hintE2ELNS0_4arch9wavefront6targetE1EE19radix_bits_per_passE,comdat
	.weak	_ZN7rocprim17ROCPRIM_400000_NS16block_radix_sortIaLj256ELj2ElLj1ELj1ELj8ELNS0_26block_radix_rank_algorithmE2ELNS0_18block_padding_hintE2ELNS0_4arch9wavefront6targetE1EE19radix_bits_per_passE
	.p2align	2, 0x0
_ZN7rocprim17ROCPRIM_400000_NS16block_radix_sortIaLj256ELj2ElLj1ELj1ELj8ELNS0_26block_radix_rank_algorithmE2ELNS0_18block_padding_hintE2ELNS0_4arch9wavefront6targetE1EE19radix_bits_per_passE:
	.long	8                               ; 0x8
	.size	_ZN7rocprim17ROCPRIM_400000_NS16block_radix_sortIaLj256ELj2ElLj1ELj1ELj8ELNS0_26block_radix_rank_algorithmE2ELNS0_18block_padding_hintE2ELNS0_4arch9wavefront6targetE1EE19radix_bits_per_passE, 4

	.protected	_ZN7rocprim17ROCPRIM_400000_NS16block_radix_sortIaLj256ELj4ElLj1ELj1ELj8ELNS0_26block_radix_rank_algorithmE2ELNS0_18block_padding_hintE2ELNS0_4arch9wavefront6targetE1EE19radix_bits_per_passE ; @_ZN7rocprim17ROCPRIM_400000_NS16block_radix_sortIaLj256ELj4ElLj1ELj1ELj8ELNS0_26block_radix_rank_algorithmE2ELNS0_18block_padding_hintE2ELNS0_4arch9wavefront6targetE1EE19radix_bits_per_passE
	.type	_ZN7rocprim17ROCPRIM_400000_NS16block_radix_sortIaLj256ELj4ElLj1ELj1ELj8ELNS0_26block_radix_rank_algorithmE2ELNS0_18block_padding_hintE2ELNS0_4arch9wavefront6targetE1EE19radix_bits_per_passE,@object
	.section	.rodata._ZN7rocprim17ROCPRIM_400000_NS16block_radix_sortIaLj256ELj4ElLj1ELj1ELj8ELNS0_26block_radix_rank_algorithmE2ELNS0_18block_padding_hintE2ELNS0_4arch9wavefront6targetE1EE19radix_bits_per_passE,"aG",@progbits,_ZN7rocprim17ROCPRIM_400000_NS16block_radix_sortIaLj256ELj4ElLj1ELj1ELj8ELNS0_26block_radix_rank_algorithmE2ELNS0_18block_padding_hintE2ELNS0_4arch9wavefront6targetE1EE19radix_bits_per_passE,comdat
	.weak	_ZN7rocprim17ROCPRIM_400000_NS16block_radix_sortIaLj256ELj4ElLj1ELj1ELj8ELNS0_26block_radix_rank_algorithmE2ELNS0_18block_padding_hintE2ELNS0_4arch9wavefront6targetE1EE19radix_bits_per_passE
	.p2align	2, 0x0
_ZN7rocprim17ROCPRIM_400000_NS16block_radix_sortIaLj256ELj4ElLj1ELj1ELj8ELNS0_26block_radix_rank_algorithmE2ELNS0_18block_padding_hintE2ELNS0_4arch9wavefront6targetE1EE19radix_bits_per_passE:
	.long	8                               ; 0x8
	.size	_ZN7rocprim17ROCPRIM_400000_NS16block_radix_sortIaLj256ELj4ElLj1ELj1ELj8ELNS0_26block_radix_rank_algorithmE2ELNS0_18block_padding_hintE2ELNS0_4arch9wavefront6targetE1EE19radix_bits_per_passE, 4

	.protected	_ZN7rocprim17ROCPRIM_400000_NS16block_radix_sortIaLj256ELj8ElLj1ELj1ELj8ELNS0_26block_radix_rank_algorithmE2ELNS0_18block_padding_hintE2ELNS0_4arch9wavefront6targetE1EE19radix_bits_per_passE ; @_ZN7rocprim17ROCPRIM_400000_NS16block_radix_sortIaLj256ELj8ElLj1ELj1ELj8ELNS0_26block_radix_rank_algorithmE2ELNS0_18block_padding_hintE2ELNS0_4arch9wavefront6targetE1EE19radix_bits_per_passE
	.type	_ZN7rocprim17ROCPRIM_400000_NS16block_radix_sortIaLj256ELj8ElLj1ELj1ELj8ELNS0_26block_radix_rank_algorithmE2ELNS0_18block_padding_hintE2ELNS0_4arch9wavefront6targetE1EE19radix_bits_per_passE,@object
	.section	.rodata._ZN7rocprim17ROCPRIM_400000_NS16block_radix_sortIaLj256ELj8ElLj1ELj1ELj8ELNS0_26block_radix_rank_algorithmE2ELNS0_18block_padding_hintE2ELNS0_4arch9wavefront6targetE1EE19radix_bits_per_passE,"aG",@progbits,_ZN7rocprim17ROCPRIM_400000_NS16block_radix_sortIaLj256ELj8ElLj1ELj1ELj8ELNS0_26block_radix_rank_algorithmE2ELNS0_18block_padding_hintE2ELNS0_4arch9wavefront6targetE1EE19radix_bits_per_passE,comdat
	.weak	_ZN7rocprim17ROCPRIM_400000_NS16block_radix_sortIaLj256ELj8ElLj1ELj1ELj8ELNS0_26block_radix_rank_algorithmE2ELNS0_18block_padding_hintE2ELNS0_4arch9wavefront6targetE1EE19radix_bits_per_passE
	.p2align	2, 0x0
_ZN7rocprim17ROCPRIM_400000_NS16block_radix_sortIaLj256ELj8ElLj1ELj1ELj8ELNS0_26block_radix_rank_algorithmE2ELNS0_18block_padding_hintE2ELNS0_4arch9wavefront6targetE1EE19radix_bits_per_passE:
	.long	8                               ; 0x8
	.size	_ZN7rocprim17ROCPRIM_400000_NS16block_radix_sortIaLj256ELj8ElLj1ELj1ELj8ELNS0_26block_radix_rank_algorithmE2ELNS0_18block_padding_hintE2ELNS0_4arch9wavefront6targetE1EE19radix_bits_per_passE, 4

	.protected	_ZN7rocprim17ROCPRIM_400000_NS16block_radix_sortIiLj256ELj1ElLj1ELj1ELj8ELNS0_26block_radix_rank_algorithmE2ELNS0_18block_padding_hintE2ELNS0_4arch9wavefront6targetE1EE19radix_bits_per_passE ; @_ZN7rocprim17ROCPRIM_400000_NS16block_radix_sortIiLj256ELj1ElLj1ELj1ELj8ELNS0_26block_radix_rank_algorithmE2ELNS0_18block_padding_hintE2ELNS0_4arch9wavefront6targetE1EE19radix_bits_per_passE
	.type	_ZN7rocprim17ROCPRIM_400000_NS16block_radix_sortIiLj256ELj1ElLj1ELj1ELj8ELNS0_26block_radix_rank_algorithmE2ELNS0_18block_padding_hintE2ELNS0_4arch9wavefront6targetE1EE19radix_bits_per_passE,@object
	.section	.rodata._ZN7rocprim17ROCPRIM_400000_NS16block_radix_sortIiLj256ELj1ElLj1ELj1ELj8ELNS0_26block_radix_rank_algorithmE2ELNS0_18block_padding_hintE2ELNS0_4arch9wavefront6targetE1EE19radix_bits_per_passE,"aG",@progbits,_ZN7rocprim17ROCPRIM_400000_NS16block_radix_sortIiLj256ELj1ElLj1ELj1ELj8ELNS0_26block_radix_rank_algorithmE2ELNS0_18block_padding_hintE2ELNS0_4arch9wavefront6targetE1EE19radix_bits_per_passE,comdat
	.weak	_ZN7rocprim17ROCPRIM_400000_NS16block_radix_sortIiLj256ELj1ElLj1ELj1ELj8ELNS0_26block_radix_rank_algorithmE2ELNS0_18block_padding_hintE2ELNS0_4arch9wavefront6targetE1EE19radix_bits_per_passE
	.p2align	2, 0x0
_ZN7rocprim17ROCPRIM_400000_NS16block_radix_sortIiLj256ELj1ElLj1ELj1ELj8ELNS0_26block_radix_rank_algorithmE2ELNS0_18block_padding_hintE2ELNS0_4arch9wavefront6targetE1EE19radix_bits_per_passE:
	.long	8                               ; 0x8
	.size	_ZN7rocprim17ROCPRIM_400000_NS16block_radix_sortIiLj256ELj1ElLj1ELj1ELj8ELNS0_26block_radix_rank_algorithmE2ELNS0_18block_padding_hintE2ELNS0_4arch9wavefront6targetE1EE19radix_bits_per_passE, 4

	.protected	_ZN7rocprim17ROCPRIM_400000_NS16block_radix_sortIiLj256ELj2ElLj1ELj1ELj8ELNS0_26block_radix_rank_algorithmE2ELNS0_18block_padding_hintE2ELNS0_4arch9wavefront6targetE1EE19radix_bits_per_passE ; @_ZN7rocprim17ROCPRIM_400000_NS16block_radix_sortIiLj256ELj2ElLj1ELj1ELj8ELNS0_26block_radix_rank_algorithmE2ELNS0_18block_padding_hintE2ELNS0_4arch9wavefront6targetE1EE19radix_bits_per_passE
	.type	_ZN7rocprim17ROCPRIM_400000_NS16block_radix_sortIiLj256ELj2ElLj1ELj1ELj8ELNS0_26block_radix_rank_algorithmE2ELNS0_18block_padding_hintE2ELNS0_4arch9wavefront6targetE1EE19radix_bits_per_passE,@object
	.section	.rodata._ZN7rocprim17ROCPRIM_400000_NS16block_radix_sortIiLj256ELj2ElLj1ELj1ELj8ELNS0_26block_radix_rank_algorithmE2ELNS0_18block_padding_hintE2ELNS0_4arch9wavefront6targetE1EE19radix_bits_per_passE,"aG",@progbits,_ZN7rocprim17ROCPRIM_400000_NS16block_radix_sortIiLj256ELj2ElLj1ELj1ELj8ELNS0_26block_radix_rank_algorithmE2ELNS0_18block_padding_hintE2ELNS0_4arch9wavefront6targetE1EE19radix_bits_per_passE,comdat
	.weak	_ZN7rocprim17ROCPRIM_400000_NS16block_radix_sortIiLj256ELj2ElLj1ELj1ELj8ELNS0_26block_radix_rank_algorithmE2ELNS0_18block_padding_hintE2ELNS0_4arch9wavefront6targetE1EE19radix_bits_per_passE
	.p2align	2, 0x0
_ZN7rocprim17ROCPRIM_400000_NS16block_radix_sortIiLj256ELj2ElLj1ELj1ELj8ELNS0_26block_radix_rank_algorithmE2ELNS0_18block_padding_hintE2ELNS0_4arch9wavefront6targetE1EE19radix_bits_per_passE:
	.long	8                               ; 0x8
	.size	_ZN7rocprim17ROCPRIM_400000_NS16block_radix_sortIiLj256ELj2ElLj1ELj1ELj8ELNS0_26block_radix_rank_algorithmE2ELNS0_18block_padding_hintE2ELNS0_4arch9wavefront6targetE1EE19radix_bits_per_passE, 4

	.protected	_ZN7rocprim17ROCPRIM_400000_NS16block_radix_sortIiLj256ELj4ElLj1ELj1ELj8ELNS0_26block_radix_rank_algorithmE2ELNS0_18block_padding_hintE2ELNS0_4arch9wavefront6targetE1EE19radix_bits_per_passE ; @_ZN7rocprim17ROCPRIM_400000_NS16block_radix_sortIiLj256ELj4ElLj1ELj1ELj8ELNS0_26block_radix_rank_algorithmE2ELNS0_18block_padding_hintE2ELNS0_4arch9wavefront6targetE1EE19radix_bits_per_passE
	.type	_ZN7rocprim17ROCPRIM_400000_NS16block_radix_sortIiLj256ELj4ElLj1ELj1ELj8ELNS0_26block_radix_rank_algorithmE2ELNS0_18block_padding_hintE2ELNS0_4arch9wavefront6targetE1EE19radix_bits_per_passE,@object
	.section	.rodata._ZN7rocprim17ROCPRIM_400000_NS16block_radix_sortIiLj256ELj4ElLj1ELj1ELj8ELNS0_26block_radix_rank_algorithmE2ELNS0_18block_padding_hintE2ELNS0_4arch9wavefront6targetE1EE19radix_bits_per_passE,"aG",@progbits,_ZN7rocprim17ROCPRIM_400000_NS16block_radix_sortIiLj256ELj4ElLj1ELj1ELj8ELNS0_26block_radix_rank_algorithmE2ELNS0_18block_padding_hintE2ELNS0_4arch9wavefront6targetE1EE19radix_bits_per_passE,comdat
	.weak	_ZN7rocprim17ROCPRIM_400000_NS16block_radix_sortIiLj256ELj4ElLj1ELj1ELj8ELNS0_26block_radix_rank_algorithmE2ELNS0_18block_padding_hintE2ELNS0_4arch9wavefront6targetE1EE19radix_bits_per_passE
	.p2align	2, 0x0
_ZN7rocprim17ROCPRIM_400000_NS16block_radix_sortIiLj256ELj4ElLj1ELj1ELj8ELNS0_26block_radix_rank_algorithmE2ELNS0_18block_padding_hintE2ELNS0_4arch9wavefront6targetE1EE19radix_bits_per_passE:
	.long	8                               ; 0x8
	.size	_ZN7rocprim17ROCPRIM_400000_NS16block_radix_sortIiLj256ELj4ElLj1ELj1ELj8ELNS0_26block_radix_rank_algorithmE2ELNS0_18block_padding_hintE2ELNS0_4arch9wavefront6targetE1EE19radix_bits_per_passE, 4

	.protected	_ZN7rocprim17ROCPRIM_400000_NS16block_radix_sortIiLj256ELj8ElLj1ELj1ELj8ELNS0_26block_radix_rank_algorithmE2ELNS0_18block_padding_hintE2ELNS0_4arch9wavefront6targetE1EE19radix_bits_per_passE ; @_ZN7rocprim17ROCPRIM_400000_NS16block_radix_sortIiLj256ELj8ElLj1ELj1ELj8ELNS0_26block_radix_rank_algorithmE2ELNS0_18block_padding_hintE2ELNS0_4arch9wavefront6targetE1EE19radix_bits_per_passE
	.type	_ZN7rocprim17ROCPRIM_400000_NS16block_radix_sortIiLj256ELj8ElLj1ELj1ELj8ELNS0_26block_radix_rank_algorithmE2ELNS0_18block_padding_hintE2ELNS0_4arch9wavefront6targetE1EE19radix_bits_per_passE,@object
	.section	.rodata._ZN7rocprim17ROCPRIM_400000_NS16block_radix_sortIiLj256ELj8ElLj1ELj1ELj8ELNS0_26block_radix_rank_algorithmE2ELNS0_18block_padding_hintE2ELNS0_4arch9wavefront6targetE1EE19radix_bits_per_passE,"aG",@progbits,_ZN7rocprim17ROCPRIM_400000_NS16block_radix_sortIiLj256ELj8ElLj1ELj1ELj8ELNS0_26block_radix_rank_algorithmE2ELNS0_18block_padding_hintE2ELNS0_4arch9wavefront6targetE1EE19radix_bits_per_passE,comdat
	.weak	_ZN7rocprim17ROCPRIM_400000_NS16block_radix_sortIiLj256ELj8ElLj1ELj1ELj8ELNS0_26block_radix_rank_algorithmE2ELNS0_18block_padding_hintE2ELNS0_4arch9wavefront6targetE1EE19radix_bits_per_passE
	.p2align	2, 0x0
_ZN7rocprim17ROCPRIM_400000_NS16block_radix_sortIiLj256ELj8ElLj1ELj1ELj8ELNS0_26block_radix_rank_algorithmE2ELNS0_18block_padding_hintE2ELNS0_4arch9wavefront6targetE1EE19radix_bits_per_passE:
	.long	8                               ; 0x8
	.size	_ZN7rocprim17ROCPRIM_400000_NS16block_radix_sortIiLj256ELj8ElLj1ELj1ELj8ELNS0_26block_radix_rank_algorithmE2ELNS0_18block_padding_hintE2ELNS0_4arch9wavefront6targetE1EE19radix_bits_per_passE, 4

	.protected	_ZN7rocprim17ROCPRIM_400000_NS16block_radix_sortIiLj256ELj16ElLj1ELj1ELj8ELNS0_26block_radix_rank_algorithmE2ELNS0_18block_padding_hintE2ELNS0_4arch9wavefront6targetE1EE19radix_bits_per_passE ; @_ZN7rocprim17ROCPRIM_400000_NS16block_radix_sortIiLj256ELj16ElLj1ELj1ELj8ELNS0_26block_radix_rank_algorithmE2ELNS0_18block_padding_hintE2ELNS0_4arch9wavefront6targetE1EE19radix_bits_per_passE
	.type	_ZN7rocprim17ROCPRIM_400000_NS16block_radix_sortIiLj256ELj16ElLj1ELj1ELj8ELNS0_26block_radix_rank_algorithmE2ELNS0_18block_padding_hintE2ELNS0_4arch9wavefront6targetE1EE19radix_bits_per_passE,@object
	.section	.rodata._ZN7rocprim17ROCPRIM_400000_NS16block_radix_sortIiLj256ELj16ElLj1ELj1ELj8ELNS0_26block_radix_rank_algorithmE2ELNS0_18block_padding_hintE2ELNS0_4arch9wavefront6targetE1EE19radix_bits_per_passE,"aG",@progbits,_ZN7rocprim17ROCPRIM_400000_NS16block_radix_sortIiLj256ELj16ElLj1ELj1ELj8ELNS0_26block_radix_rank_algorithmE2ELNS0_18block_padding_hintE2ELNS0_4arch9wavefront6targetE1EE19radix_bits_per_passE,comdat
	.weak	_ZN7rocprim17ROCPRIM_400000_NS16block_radix_sortIiLj256ELj16ElLj1ELj1ELj8ELNS0_26block_radix_rank_algorithmE2ELNS0_18block_padding_hintE2ELNS0_4arch9wavefront6targetE1EE19radix_bits_per_passE
	.p2align	2, 0x0
_ZN7rocprim17ROCPRIM_400000_NS16block_radix_sortIiLj256ELj16ElLj1ELj1ELj8ELNS0_26block_radix_rank_algorithmE2ELNS0_18block_padding_hintE2ELNS0_4arch9wavefront6targetE1EE19radix_bits_per_passE:
	.long	8                               ; 0x8
	.size	_ZN7rocprim17ROCPRIM_400000_NS16block_radix_sortIiLj256ELj16ElLj1ELj1ELj8ELNS0_26block_radix_rank_algorithmE2ELNS0_18block_padding_hintE2ELNS0_4arch9wavefront6targetE1EE19radix_bits_per_passE, 4

	.protected	_ZN7rocprim17ROCPRIM_400000_NS16block_radix_sortIlLj256ELj1ElLj1ELj1ELj8ELNS0_26block_radix_rank_algorithmE2ELNS0_18block_padding_hintE2ELNS0_4arch9wavefront6targetE1EE19radix_bits_per_passE ; @_ZN7rocprim17ROCPRIM_400000_NS16block_radix_sortIlLj256ELj1ElLj1ELj1ELj8ELNS0_26block_radix_rank_algorithmE2ELNS0_18block_padding_hintE2ELNS0_4arch9wavefront6targetE1EE19radix_bits_per_passE
	.type	_ZN7rocprim17ROCPRIM_400000_NS16block_radix_sortIlLj256ELj1ElLj1ELj1ELj8ELNS0_26block_radix_rank_algorithmE2ELNS0_18block_padding_hintE2ELNS0_4arch9wavefront6targetE1EE19radix_bits_per_passE,@object
	.section	.rodata._ZN7rocprim17ROCPRIM_400000_NS16block_radix_sortIlLj256ELj1ElLj1ELj1ELj8ELNS0_26block_radix_rank_algorithmE2ELNS0_18block_padding_hintE2ELNS0_4arch9wavefront6targetE1EE19radix_bits_per_passE,"aG",@progbits,_ZN7rocprim17ROCPRIM_400000_NS16block_radix_sortIlLj256ELj1ElLj1ELj1ELj8ELNS0_26block_radix_rank_algorithmE2ELNS0_18block_padding_hintE2ELNS0_4arch9wavefront6targetE1EE19radix_bits_per_passE,comdat
	.weak	_ZN7rocprim17ROCPRIM_400000_NS16block_radix_sortIlLj256ELj1ElLj1ELj1ELj8ELNS0_26block_radix_rank_algorithmE2ELNS0_18block_padding_hintE2ELNS0_4arch9wavefront6targetE1EE19radix_bits_per_passE
	.p2align	2, 0x0
_ZN7rocprim17ROCPRIM_400000_NS16block_radix_sortIlLj256ELj1ElLj1ELj1ELj8ELNS0_26block_radix_rank_algorithmE2ELNS0_18block_padding_hintE2ELNS0_4arch9wavefront6targetE1EE19radix_bits_per_passE:
	.long	8                               ; 0x8
	.size	_ZN7rocprim17ROCPRIM_400000_NS16block_radix_sortIlLj256ELj1ElLj1ELj1ELj8ELNS0_26block_radix_rank_algorithmE2ELNS0_18block_padding_hintE2ELNS0_4arch9wavefront6targetE1EE19radix_bits_per_passE, 4

	.protected	_ZN7rocprim17ROCPRIM_400000_NS16block_radix_sortIlLj256ELj2ElLj1ELj1ELj8ELNS0_26block_radix_rank_algorithmE2ELNS0_18block_padding_hintE2ELNS0_4arch9wavefront6targetE1EE19radix_bits_per_passE ; @_ZN7rocprim17ROCPRIM_400000_NS16block_radix_sortIlLj256ELj2ElLj1ELj1ELj8ELNS0_26block_radix_rank_algorithmE2ELNS0_18block_padding_hintE2ELNS0_4arch9wavefront6targetE1EE19radix_bits_per_passE
	.type	_ZN7rocprim17ROCPRIM_400000_NS16block_radix_sortIlLj256ELj2ElLj1ELj1ELj8ELNS0_26block_radix_rank_algorithmE2ELNS0_18block_padding_hintE2ELNS0_4arch9wavefront6targetE1EE19radix_bits_per_passE,@object
	.section	.rodata._ZN7rocprim17ROCPRIM_400000_NS16block_radix_sortIlLj256ELj2ElLj1ELj1ELj8ELNS0_26block_radix_rank_algorithmE2ELNS0_18block_padding_hintE2ELNS0_4arch9wavefront6targetE1EE19radix_bits_per_passE,"aG",@progbits,_ZN7rocprim17ROCPRIM_400000_NS16block_radix_sortIlLj256ELj2ElLj1ELj1ELj8ELNS0_26block_radix_rank_algorithmE2ELNS0_18block_padding_hintE2ELNS0_4arch9wavefront6targetE1EE19radix_bits_per_passE,comdat
	.weak	_ZN7rocprim17ROCPRIM_400000_NS16block_radix_sortIlLj256ELj2ElLj1ELj1ELj8ELNS0_26block_radix_rank_algorithmE2ELNS0_18block_padding_hintE2ELNS0_4arch9wavefront6targetE1EE19radix_bits_per_passE
	.p2align	2, 0x0
_ZN7rocprim17ROCPRIM_400000_NS16block_radix_sortIlLj256ELj2ElLj1ELj1ELj8ELNS0_26block_radix_rank_algorithmE2ELNS0_18block_padding_hintE2ELNS0_4arch9wavefront6targetE1EE19radix_bits_per_passE:
	.long	8                               ; 0x8
	.size	_ZN7rocprim17ROCPRIM_400000_NS16block_radix_sortIlLj256ELj2ElLj1ELj1ELj8ELNS0_26block_radix_rank_algorithmE2ELNS0_18block_padding_hintE2ELNS0_4arch9wavefront6targetE1EE19radix_bits_per_passE, 4

	.protected	_ZN7rocprim17ROCPRIM_400000_NS16block_radix_sortIlLj256ELj4ElLj1ELj1ELj8ELNS0_26block_radix_rank_algorithmE2ELNS0_18block_padding_hintE2ELNS0_4arch9wavefront6targetE1EE19radix_bits_per_passE ; @_ZN7rocprim17ROCPRIM_400000_NS16block_radix_sortIlLj256ELj4ElLj1ELj1ELj8ELNS0_26block_radix_rank_algorithmE2ELNS0_18block_padding_hintE2ELNS0_4arch9wavefront6targetE1EE19radix_bits_per_passE
	.type	_ZN7rocprim17ROCPRIM_400000_NS16block_radix_sortIlLj256ELj4ElLj1ELj1ELj8ELNS0_26block_radix_rank_algorithmE2ELNS0_18block_padding_hintE2ELNS0_4arch9wavefront6targetE1EE19radix_bits_per_passE,@object
	.section	.rodata._ZN7rocprim17ROCPRIM_400000_NS16block_radix_sortIlLj256ELj4ElLj1ELj1ELj8ELNS0_26block_radix_rank_algorithmE2ELNS0_18block_padding_hintE2ELNS0_4arch9wavefront6targetE1EE19radix_bits_per_passE,"aG",@progbits,_ZN7rocprim17ROCPRIM_400000_NS16block_radix_sortIlLj256ELj4ElLj1ELj1ELj8ELNS0_26block_radix_rank_algorithmE2ELNS0_18block_padding_hintE2ELNS0_4arch9wavefront6targetE1EE19radix_bits_per_passE,comdat
	.weak	_ZN7rocprim17ROCPRIM_400000_NS16block_radix_sortIlLj256ELj4ElLj1ELj1ELj8ELNS0_26block_radix_rank_algorithmE2ELNS0_18block_padding_hintE2ELNS0_4arch9wavefront6targetE1EE19radix_bits_per_passE
	.p2align	2, 0x0
_ZN7rocprim17ROCPRIM_400000_NS16block_radix_sortIlLj256ELj4ElLj1ELj1ELj8ELNS0_26block_radix_rank_algorithmE2ELNS0_18block_padding_hintE2ELNS0_4arch9wavefront6targetE1EE19radix_bits_per_passE:
	.long	8                               ; 0x8
	.size	_ZN7rocprim17ROCPRIM_400000_NS16block_radix_sortIlLj256ELj4ElLj1ELj1ELj8ELNS0_26block_radix_rank_algorithmE2ELNS0_18block_padding_hintE2ELNS0_4arch9wavefront6targetE1EE19radix_bits_per_passE, 4

	.protected	_ZN7rocprim17ROCPRIM_400000_NS16block_radix_sortIlLj256ELj8ElLj1ELj1ELj8ELNS0_26block_radix_rank_algorithmE2ELNS0_18block_padding_hintE2ELNS0_4arch9wavefront6targetE1EE19radix_bits_per_passE ; @_ZN7rocprim17ROCPRIM_400000_NS16block_radix_sortIlLj256ELj8ElLj1ELj1ELj8ELNS0_26block_radix_rank_algorithmE2ELNS0_18block_padding_hintE2ELNS0_4arch9wavefront6targetE1EE19radix_bits_per_passE
	.type	_ZN7rocprim17ROCPRIM_400000_NS16block_radix_sortIlLj256ELj8ElLj1ELj1ELj8ELNS0_26block_radix_rank_algorithmE2ELNS0_18block_padding_hintE2ELNS0_4arch9wavefront6targetE1EE19radix_bits_per_passE,@object
	.section	.rodata._ZN7rocprim17ROCPRIM_400000_NS16block_radix_sortIlLj256ELj8ElLj1ELj1ELj8ELNS0_26block_radix_rank_algorithmE2ELNS0_18block_padding_hintE2ELNS0_4arch9wavefront6targetE1EE19radix_bits_per_passE,"aG",@progbits,_ZN7rocprim17ROCPRIM_400000_NS16block_radix_sortIlLj256ELj8ElLj1ELj1ELj8ELNS0_26block_radix_rank_algorithmE2ELNS0_18block_padding_hintE2ELNS0_4arch9wavefront6targetE1EE19radix_bits_per_passE,comdat
	.weak	_ZN7rocprim17ROCPRIM_400000_NS16block_radix_sortIlLj256ELj8ElLj1ELj1ELj8ELNS0_26block_radix_rank_algorithmE2ELNS0_18block_padding_hintE2ELNS0_4arch9wavefront6targetE1EE19radix_bits_per_passE
	.p2align	2, 0x0
_ZN7rocprim17ROCPRIM_400000_NS16block_radix_sortIlLj256ELj8ElLj1ELj1ELj8ELNS0_26block_radix_rank_algorithmE2ELNS0_18block_padding_hintE2ELNS0_4arch9wavefront6targetE1EE19radix_bits_per_passE:
	.long	8                               ; 0x8
	.size	_ZN7rocprim17ROCPRIM_400000_NS16block_radix_sortIlLj256ELj8ElLj1ELj1ELj8ELNS0_26block_radix_rank_algorithmE2ELNS0_18block_padding_hintE2ELNS0_4arch9wavefront6targetE1EE19radix_bits_per_passE, 4

	.protected	_ZN7rocprim17ROCPRIM_400000_NS16block_radix_sortIlLj256ELj16ElLj1ELj1ELj8ELNS0_26block_radix_rank_algorithmE2ELNS0_18block_padding_hintE2ELNS0_4arch9wavefront6targetE1EE19radix_bits_per_passE ; @_ZN7rocprim17ROCPRIM_400000_NS16block_radix_sortIlLj256ELj16ElLj1ELj1ELj8ELNS0_26block_radix_rank_algorithmE2ELNS0_18block_padding_hintE2ELNS0_4arch9wavefront6targetE1EE19radix_bits_per_passE
	.type	_ZN7rocprim17ROCPRIM_400000_NS16block_radix_sortIlLj256ELj16ElLj1ELj1ELj8ELNS0_26block_radix_rank_algorithmE2ELNS0_18block_padding_hintE2ELNS0_4arch9wavefront6targetE1EE19radix_bits_per_passE,@object
	.section	.rodata._ZN7rocprim17ROCPRIM_400000_NS16block_radix_sortIlLj256ELj16ElLj1ELj1ELj8ELNS0_26block_radix_rank_algorithmE2ELNS0_18block_padding_hintE2ELNS0_4arch9wavefront6targetE1EE19radix_bits_per_passE,"aG",@progbits,_ZN7rocprim17ROCPRIM_400000_NS16block_radix_sortIlLj256ELj16ElLj1ELj1ELj8ELNS0_26block_radix_rank_algorithmE2ELNS0_18block_padding_hintE2ELNS0_4arch9wavefront6targetE1EE19radix_bits_per_passE,comdat
	.weak	_ZN7rocprim17ROCPRIM_400000_NS16block_radix_sortIlLj256ELj16ElLj1ELj1ELj8ELNS0_26block_radix_rank_algorithmE2ELNS0_18block_padding_hintE2ELNS0_4arch9wavefront6targetE1EE19radix_bits_per_passE
	.p2align	2, 0x0
_ZN7rocprim17ROCPRIM_400000_NS16block_radix_sortIlLj256ELj16ElLj1ELj1ELj8ELNS0_26block_radix_rank_algorithmE2ELNS0_18block_padding_hintE2ELNS0_4arch9wavefront6targetE1EE19radix_bits_per_passE:
	.long	8                               ; 0x8
	.size	_ZN7rocprim17ROCPRIM_400000_NS16block_radix_sortIlLj256ELj16ElLj1ELj1ELj8ELNS0_26block_radix_rank_algorithmE2ELNS0_18block_padding_hintE2ELNS0_4arch9wavefront6targetE1EE19radix_bits_per_passE, 4

	.protected	_ZN7rocprim17ROCPRIM_400000_NS16block_radix_sortIsLj256ELj1ElLj1ELj1ELj8ELNS0_26block_radix_rank_algorithmE2ELNS0_18block_padding_hintE2ELNS0_4arch9wavefront6targetE1EE19radix_bits_per_passE ; @_ZN7rocprim17ROCPRIM_400000_NS16block_radix_sortIsLj256ELj1ElLj1ELj1ELj8ELNS0_26block_radix_rank_algorithmE2ELNS0_18block_padding_hintE2ELNS0_4arch9wavefront6targetE1EE19radix_bits_per_passE
	.type	_ZN7rocprim17ROCPRIM_400000_NS16block_radix_sortIsLj256ELj1ElLj1ELj1ELj8ELNS0_26block_radix_rank_algorithmE2ELNS0_18block_padding_hintE2ELNS0_4arch9wavefront6targetE1EE19radix_bits_per_passE,@object
	.section	.rodata._ZN7rocprim17ROCPRIM_400000_NS16block_radix_sortIsLj256ELj1ElLj1ELj1ELj8ELNS0_26block_radix_rank_algorithmE2ELNS0_18block_padding_hintE2ELNS0_4arch9wavefront6targetE1EE19radix_bits_per_passE,"aG",@progbits,_ZN7rocprim17ROCPRIM_400000_NS16block_radix_sortIsLj256ELj1ElLj1ELj1ELj8ELNS0_26block_radix_rank_algorithmE2ELNS0_18block_padding_hintE2ELNS0_4arch9wavefront6targetE1EE19radix_bits_per_passE,comdat
	.weak	_ZN7rocprim17ROCPRIM_400000_NS16block_radix_sortIsLj256ELj1ElLj1ELj1ELj8ELNS0_26block_radix_rank_algorithmE2ELNS0_18block_padding_hintE2ELNS0_4arch9wavefront6targetE1EE19radix_bits_per_passE
	.p2align	2, 0x0
_ZN7rocprim17ROCPRIM_400000_NS16block_radix_sortIsLj256ELj1ElLj1ELj1ELj8ELNS0_26block_radix_rank_algorithmE2ELNS0_18block_padding_hintE2ELNS0_4arch9wavefront6targetE1EE19radix_bits_per_passE:
	.long	8                               ; 0x8
	.size	_ZN7rocprim17ROCPRIM_400000_NS16block_radix_sortIsLj256ELj1ElLj1ELj1ELj8ELNS0_26block_radix_rank_algorithmE2ELNS0_18block_padding_hintE2ELNS0_4arch9wavefront6targetE1EE19radix_bits_per_passE, 4

	.protected	_ZN7rocprim17ROCPRIM_400000_NS16block_radix_sortIsLj256ELj2ElLj1ELj1ELj8ELNS0_26block_radix_rank_algorithmE2ELNS0_18block_padding_hintE2ELNS0_4arch9wavefront6targetE1EE19radix_bits_per_passE ; @_ZN7rocprim17ROCPRIM_400000_NS16block_radix_sortIsLj256ELj2ElLj1ELj1ELj8ELNS0_26block_radix_rank_algorithmE2ELNS0_18block_padding_hintE2ELNS0_4arch9wavefront6targetE1EE19radix_bits_per_passE
	.type	_ZN7rocprim17ROCPRIM_400000_NS16block_radix_sortIsLj256ELj2ElLj1ELj1ELj8ELNS0_26block_radix_rank_algorithmE2ELNS0_18block_padding_hintE2ELNS0_4arch9wavefront6targetE1EE19radix_bits_per_passE,@object
	.section	.rodata._ZN7rocprim17ROCPRIM_400000_NS16block_radix_sortIsLj256ELj2ElLj1ELj1ELj8ELNS0_26block_radix_rank_algorithmE2ELNS0_18block_padding_hintE2ELNS0_4arch9wavefront6targetE1EE19radix_bits_per_passE,"aG",@progbits,_ZN7rocprim17ROCPRIM_400000_NS16block_radix_sortIsLj256ELj2ElLj1ELj1ELj8ELNS0_26block_radix_rank_algorithmE2ELNS0_18block_padding_hintE2ELNS0_4arch9wavefront6targetE1EE19radix_bits_per_passE,comdat
	.weak	_ZN7rocprim17ROCPRIM_400000_NS16block_radix_sortIsLj256ELj2ElLj1ELj1ELj8ELNS0_26block_radix_rank_algorithmE2ELNS0_18block_padding_hintE2ELNS0_4arch9wavefront6targetE1EE19radix_bits_per_passE
	.p2align	2, 0x0
_ZN7rocprim17ROCPRIM_400000_NS16block_radix_sortIsLj256ELj2ElLj1ELj1ELj8ELNS0_26block_radix_rank_algorithmE2ELNS0_18block_padding_hintE2ELNS0_4arch9wavefront6targetE1EE19radix_bits_per_passE:
	.long	8                               ; 0x8
	.size	_ZN7rocprim17ROCPRIM_400000_NS16block_radix_sortIsLj256ELj2ElLj1ELj1ELj8ELNS0_26block_radix_rank_algorithmE2ELNS0_18block_padding_hintE2ELNS0_4arch9wavefront6targetE1EE19radix_bits_per_passE, 4

	.protected	_ZN7rocprim17ROCPRIM_400000_NS16block_radix_sortIsLj256ELj4ElLj1ELj1ELj8ELNS0_26block_radix_rank_algorithmE2ELNS0_18block_padding_hintE2ELNS0_4arch9wavefront6targetE1EE19radix_bits_per_passE ; @_ZN7rocprim17ROCPRIM_400000_NS16block_radix_sortIsLj256ELj4ElLj1ELj1ELj8ELNS0_26block_radix_rank_algorithmE2ELNS0_18block_padding_hintE2ELNS0_4arch9wavefront6targetE1EE19radix_bits_per_passE
	.type	_ZN7rocprim17ROCPRIM_400000_NS16block_radix_sortIsLj256ELj4ElLj1ELj1ELj8ELNS0_26block_radix_rank_algorithmE2ELNS0_18block_padding_hintE2ELNS0_4arch9wavefront6targetE1EE19radix_bits_per_passE,@object
	.section	.rodata._ZN7rocprim17ROCPRIM_400000_NS16block_radix_sortIsLj256ELj4ElLj1ELj1ELj8ELNS0_26block_radix_rank_algorithmE2ELNS0_18block_padding_hintE2ELNS0_4arch9wavefront6targetE1EE19radix_bits_per_passE,"aG",@progbits,_ZN7rocprim17ROCPRIM_400000_NS16block_radix_sortIsLj256ELj4ElLj1ELj1ELj8ELNS0_26block_radix_rank_algorithmE2ELNS0_18block_padding_hintE2ELNS0_4arch9wavefront6targetE1EE19radix_bits_per_passE,comdat
	.weak	_ZN7rocprim17ROCPRIM_400000_NS16block_radix_sortIsLj256ELj4ElLj1ELj1ELj8ELNS0_26block_radix_rank_algorithmE2ELNS0_18block_padding_hintE2ELNS0_4arch9wavefront6targetE1EE19radix_bits_per_passE
	.p2align	2, 0x0
_ZN7rocprim17ROCPRIM_400000_NS16block_radix_sortIsLj256ELj4ElLj1ELj1ELj8ELNS0_26block_radix_rank_algorithmE2ELNS0_18block_padding_hintE2ELNS0_4arch9wavefront6targetE1EE19radix_bits_per_passE:
	.long	8                               ; 0x8
	.size	_ZN7rocprim17ROCPRIM_400000_NS16block_radix_sortIsLj256ELj4ElLj1ELj1ELj8ELNS0_26block_radix_rank_algorithmE2ELNS0_18block_padding_hintE2ELNS0_4arch9wavefront6targetE1EE19radix_bits_per_passE, 4

	.protected	_ZN7rocprim17ROCPRIM_400000_NS16block_radix_sortIsLj256ELj8ElLj1ELj1ELj8ELNS0_26block_radix_rank_algorithmE2ELNS0_18block_padding_hintE2ELNS0_4arch9wavefront6targetE1EE19radix_bits_per_passE ; @_ZN7rocprim17ROCPRIM_400000_NS16block_radix_sortIsLj256ELj8ElLj1ELj1ELj8ELNS0_26block_radix_rank_algorithmE2ELNS0_18block_padding_hintE2ELNS0_4arch9wavefront6targetE1EE19radix_bits_per_passE
	.type	_ZN7rocprim17ROCPRIM_400000_NS16block_radix_sortIsLj256ELj8ElLj1ELj1ELj8ELNS0_26block_radix_rank_algorithmE2ELNS0_18block_padding_hintE2ELNS0_4arch9wavefront6targetE1EE19radix_bits_per_passE,@object
	.section	.rodata._ZN7rocprim17ROCPRIM_400000_NS16block_radix_sortIsLj256ELj8ElLj1ELj1ELj8ELNS0_26block_radix_rank_algorithmE2ELNS0_18block_padding_hintE2ELNS0_4arch9wavefront6targetE1EE19radix_bits_per_passE,"aG",@progbits,_ZN7rocprim17ROCPRIM_400000_NS16block_radix_sortIsLj256ELj8ElLj1ELj1ELj8ELNS0_26block_radix_rank_algorithmE2ELNS0_18block_padding_hintE2ELNS0_4arch9wavefront6targetE1EE19radix_bits_per_passE,comdat
	.weak	_ZN7rocprim17ROCPRIM_400000_NS16block_radix_sortIsLj256ELj8ElLj1ELj1ELj8ELNS0_26block_radix_rank_algorithmE2ELNS0_18block_padding_hintE2ELNS0_4arch9wavefront6targetE1EE19radix_bits_per_passE
	.p2align	2, 0x0
_ZN7rocprim17ROCPRIM_400000_NS16block_radix_sortIsLj256ELj8ElLj1ELj1ELj8ELNS0_26block_radix_rank_algorithmE2ELNS0_18block_padding_hintE2ELNS0_4arch9wavefront6targetE1EE19radix_bits_per_passE:
	.long	8                               ; 0x8
	.size	_ZN7rocprim17ROCPRIM_400000_NS16block_radix_sortIsLj256ELj8ElLj1ELj1ELj8ELNS0_26block_radix_rank_algorithmE2ELNS0_18block_padding_hintE2ELNS0_4arch9wavefront6targetE1EE19radix_bits_per_passE, 4

	.protected	_ZN7rocprim17ROCPRIM_400000_NS16block_radix_sortIsLj256ELj17ElLj1ELj1ELj8ELNS0_26block_radix_rank_algorithmE2ELNS0_18block_padding_hintE2ELNS0_4arch9wavefront6targetE1EE19radix_bits_per_passE ; @_ZN7rocprim17ROCPRIM_400000_NS16block_radix_sortIsLj256ELj17ElLj1ELj1ELj8ELNS0_26block_radix_rank_algorithmE2ELNS0_18block_padding_hintE2ELNS0_4arch9wavefront6targetE1EE19radix_bits_per_passE
	.type	_ZN7rocprim17ROCPRIM_400000_NS16block_radix_sortIsLj256ELj17ElLj1ELj1ELj8ELNS0_26block_radix_rank_algorithmE2ELNS0_18block_padding_hintE2ELNS0_4arch9wavefront6targetE1EE19radix_bits_per_passE,@object
	.section	.rodata._ZN7rocprim17ROCPRIM_400000_NS16block_radix_sortIsLj256ELj17ElLj1ELj1ELj8ELNS0_26block_radix_rank_algorithmE2ELNS0_18block_padding_hintE2ELNS0_4arch9wavefront6targetE1EE19radix_bits_per_passE,"aG",@progbits,_ZN7rocprim17ROCPRIM_400000_NS16block_radix_sortIsLj256ELj17ElLj1ELj1ELj8ELNS0_26block_radix_rank_algorithmE2ELNS0_18block_padding_hintE2ELNS0_4arch9wavefront6targetE1EE19radix_bits_per_passE,comdat
	.weak	_ZN7rocprim17ROCPRIM_400000_NS16block_radix_sortIsLj256ELj17ElLj1ELj1ELj8ELNS0_26block_radix_rank_algorithmE2ELNS0_18block_padding_hintE2ELNS0_4arch9wavefront6targetE1EE19radix_bits_per_passE
	.p2align	2, 0x0
_ZN7rocprim17ROCPRIM_400000_NS16block_radix_sortIsLj256ELj17ElLj1ELj1ELj8ELNS0_26block_radix_rank_algorithmE2ELNS0_18block_padding_hintE2ELNS0_4arch9wavefront6targetE1EE19radix_bits_per_passE:
	.long	8                               ; 0x8
	.size	_ZN7rocprim17ROCPRIM_400000_NS16block_radix_sortIsLj256ELj17ElLj1ELj1ELj8ELNS0_26block_radix_rank_algorithmE2ELNS0_18block_padding_hintE2ELNS0_4arch9wavefront6targetE1EE19radix_bits_per_passE, 4

	.protected	_ZN7rocprim17ROCPRIM_400000_NS16block_radix_sortIdLj256ELj1ElLj1ELj1ELj8ELNS0_26block_radix_rank_algorithmE2ELNS0_18block_padding_hintE2ELNS0_4arch9wavefront6targetE1EE19radix_bits_per_passE ; @_ZN7rocprim17ROCPRIM_400000_NS16block_radix_sortIdLj256ELj1ElLj1ELj1ELj8ELNS0_26block_radix_rank_algorithmE2ELNS0_18block_padding_hintE2ELNS0_4arch9wavefront6targetE1EE19radix_bits_per_passE
	.type	_ZN7rocprim17ROCPRIM_400000_NS16block_radix_sortIdLj256ELj1ElLj1ELj1ELj8ELNS0_26block_radix_rank_algorithmE2ELNS0_18block_padding_hintE2ELNS0_4arch9wavefront6targetE1EE19radix_bits_per_passE,@object
	.section	.rodata._ZN7rocprim17ROCPRIM_400000_NS16block_radix_sortIdLj256ELj1ElLj1ELj1ELj8ELNS0_26block_radix_rank_algorithmE2ELNS0_18block_padding_hintE2ELNS0_4arch9wavefront6targetE1EE19radix_bits_per_passE,"aG",@progbits,_ZN7rocprim17ROCPRIM_400000_NS16block_radix_sortIdLj256ELj1ElLj1ELj1ELj8ELNS0_26block_radix_rank_algorithmE2ELNS0_18block_padding_hintE2ELNS0_4arch9wavefront6targetE1EE19radix_bits_per_passE,comdat
	.weak	_ZN7rocprim17ROCPRIM_400000_NS16block_radix_sortIdLj256ELj1ElLj1ELj1ELj8ELNS0_26block_radix_rank_algorithmE2ELNS0_18block_padding_hintE2ELNS0_4arch9wavefront6targetE1EE19radix_bits_per_passE
	.p2align	2, 0x0
_ZN7rocprim17ROCPRIM_400000_NS16block_radix_sortIdLj256ELj1ElLj1ELj1ELj8ELNS0_26block_radix_rank_algorithmE2ELNS0_18block_padding_hintE2ELNS0_4arch9wavefront6targetE1EE19radix_bits_per_passE:
	.long	8                               ; 0x8
	.size	_ZN7rocprim17ROCPRIM_400000_NS16block_radix_sortIdLj256ELj1ElLj1ELj1ELj8ELNS0_26block_radix_rank_algorithmE2ELNS0_18block_padding_hintE2ELNS0_4arch9wavefront6targetE1EE19radix_bits_per_passE, 4

	.protected	_ZN7rocprim17ROCPRIM_400000_NS16block_radix_sortIdLj256ELj2ElLj1ELj1ELj8ELNS0_26block_radix_rank_algorithmE2ELNS0_18block_padding_hintE2ELNS0_4arch9wavefront6targetE1EE19radix_bits_per_passE ; @_ZN7rocprim17ROCPRIM_400000_NS16block_radix_sortIdLj256ELj2ElLj1ELj1ELj8ELNS0_26block_radix_rank_algorithmE2ELNS0_18block_padding_hintE2ELNS0_4arch9wavefront6targetE1EE19radix_bits_per_passE
	.type	_ZN7rocprim17ROCPRIM_400000_NS16block_radix_sortIdLj256ELj2ElLj1ELj1ELj8ELNS0_26block_radix_rank_algorithmE2ELNS0_18block_padding_hintE2ELNS0_4arch9wavefront6targetE1EE19radix_bits_per_passE,@object
	.section	.rodata._ZN7rocprim17ROCPRIM_400000_NS16block_radix_sortIdLj256ELj2ElLj1ELj1ELj8ELNS0_26block_radix_rank_algorithmE2ELNS0_18block_padding_hintE2ELNS0_4arch9wavefront6targetE1EE19radix_bits_per_passE,"aG",@progbits,_ZN7rocprim17ROCPRIM_400000_NS16block_radix_sortIdLj256ELj2ElLj1ELj1ELj8ELNS0_26block_radix_rank_algorithmE2ELNS0_18block_padding_hintE2ELNS0_4arch9wavefront6targetE1EE19radix_bits_per_passE,comdat
	.weak	_ZN7rocprim17ROCPRIM_400000_NS16block_radix_sortIdLj256ELj2ElLj1ELj1ELj8ELNS0_26block_radix_rank_algorithmE2ELNS0_18block_padding_hintE2ELNS0_4arch9wavefront6targetE1EE19radix_bits_per_passE
	.p2align	2, 0x0
_ZN7rocprim17ROCPRIM_400000_NS16block_radix_sortIdLj256ELj2ElLj1ELj1ELj8ELNS0_26block_radix_rank_algorithmE2ELNS0_18block_padding_hintE2ELNS0_4arch9wavefront6targetE1EE19radix_bits_per_passE:
	.long	8                               ; 0x8
	.size	_ZN7rocprim17ROCPRIM_400000_NS16block_radix_sortIdLj256ELj2ElLj1ELj1ELj8ELNS0_26block_radix_rank_algorithmE2ELNS0_18block_padding_hintE2ELNS0_4arch9wavefront6targetE1EE19radix_bits_per_passE, 4

	.protected	_ZN7rocprim17ROCPRIM_400000_NS16block_radix_sortIdLj256ELj4ElLj1ELj1ELj8ELNS0_26block_radix_rank_algorithmE2ELNS0_18block_padding_hintE2ELNS0_4arch9wavefront6targetE1EE19radix_bits_per_passE ; @_ZN7rocprim17ROCPRIM_400000_NS16block_radix_sortIdLj256ELj4ElLj1ELj1ELj8ELNS0_26block_radix_rank_algorithmE2ELNS0_18block_padding_hintE2ELNS0_4arch9wavefront6targetE1EE19radix_bits_per_passE
	.type	_ZN7rocprim17ROCPRIM_400000_NS16block_radix_sortIdLj256ELj4ElLj1ELj1ELj8ELNS0_26block_radix_rank_algorithmE2ELNS0_18block_padding_hintE2ELNS0_4arch9wavefront6targetE1EE19radix_bits_per_passE,@object
	.section	.rodata._ZN7rocprim17ROCPRIM_400000_NS16block_radix_sortIdLj256ELj4ElLj1ELj1ELj8ELNS0_26block_radix_rank_algorithmE2ELNS0_18block_padding_hintE2ELNS0_4arch9wavefront6targetE1EE19radix_bits_per_passE,"aG",@progbits,_ZN7rocprim17ROCPRIM_400000_NS16block_radix_sortIdLj256ELj4ElLj1ELj1ELj8ELNS0_26block_radix_rank_algorithmE2ELNS0_18block_padding_hintE2ELNS0_4arch9wavefront6targetE1EE19radix_bits_per_passE,comdat
	.weak	_ZN7rocprim17ROCPRIM_400000_NS16block_radix_sortIdLj256ELj4ElLj1ELj1ELj8ELNS0_26block_radix_rank_algorithmE2ELNS0_18block_padding_hintE2ELNS0_4arch9wavefront6targetE1EE19radix_bits_per_passE
	.p2align	2, 0x0
_ZN7rocprim17ROCPRIM_400000_NS16block_radix_sortIdLj256ELj4ElLj1ELj1ELj8ELNS0_26block_radix_rank_algorithmE2ELNS0_18block_padding_hintE2ELNS0_4arch9wavefront6targetE1EE19radix_bits_per_passE:
	.long	8                               ; 0x8
	.size	_ZN7rocprim17ROCPRIM_400000_NS16block_radix_sortIdLj256ELj4ElLj1ELj1ELj8ELNS0_26block_radix_rank_algorithmE2ELNS0_18block_padding_hintE2ELNS0_4arch9wavefront6targetE1EE19radix_bits_per_passE, 4

	.protected	_ZN7rocprim17ROCPRIM_400000_NS16block_radix_sortIdLj256ELj8ElLj1ELj1ELj8ELNS0_26block_radix_rank_algorithmE2ELNS0_18block_padding_hintE2ELNS0_4arch9wavefront6targetE1EE19radix_bits_per_passE ; @_ZN7rocprim17ROCPRIM_400000_NS16block_radix_sortIdLj256ELj8ElLj1ELj1ELj8ELNS0_26block_radix_rank_algorithmE2ELNS0_18block_padding_hintE2ELNS0_4arch9wavefront6targetE1EE19radix_bits_per_passE
	.type	_ZN7rocprim17ROCPRIM_400000_NS16block_radix_sortIdLj256ELj8ElLj1ELj1ELj8ELNS0_26block_radix_rank_algorithmE2ELNS0_18block_padding_hintE2ELNS0_4arch9wavefront6targetE1EE19radix_bits_per_passE,@object
	.section	.rodata._ZN7rocprim17ROCPRIM_400000_NS16block_radix_sortIdLj256ELj8ElLj1ELj1ELj8ELNS0_26block_radix_rank_algorithmE2ELNS0_18block_padding_hintE2ELNS0_4arch9wavefront6targetE1EE19radix_bits_per_passE,"aG",@progbits,_ZN7rocprim17ROCPRIM_400000_NS16block_radix_sortIdLj256ELj8ElLj1ELj1ELj8ELNS0_26block_radix_rank_algorithmE2ELNS0_18block_padding_hintE2ELNS0_4arch9wavefront6targetE1EE19radix_bits_per_passE,comdat
	.weak	_ZN7rocprim17ROCPRIM_400000_NS16block_radix_sortIdLj256ELj8ElLj1ELj1ELj8ELNS0_26block_radix_rank_algorithmE2ELNS0_18block_padding_hintE2ELNS0_4arch9wavefront6targetE1EE19radix_bits_per_passE
	.p2align	2, 0x0
_ZN7rocprim17ROCPRIM_400000_NS16block_radix_sortIdLj256ELj8ElLj1ELj1ELj8ELNS0_26block_radix_rank_algorithmE2ELNS0_18block_padding_hintE2ELNS0_4arch9wavefront6targetE1EE19radix_bits_per_passE:
	.long	8                               ; 0x8
	.size	_ZN7rocprim17ROCPRIM_400000_NS16block_radix_sortIdLj256ELj8ElLj1ELj1ELj8ELNS0_26block_radix_rank_algorithmE2ELNS0_18block_padding_hintE2ELNS0_4arch9wavefront6targetE1EE19radix_bits_per_passE, 4

	.protected	_ZN7rocprim17ROCPRIM_400000_NS16block_radix_sortIdLj256ELj16ElLj1ELj1ELj8ELNS0_26block_radix_rank_algorithmE2ELNS0_18block_padding_hintE2ELNS0_4arch9wavefront6targetE1EE19radix_bits_per_passE ; @_ZN7rocprim17ROCPRIM_400000_NS16block_radix_sortIdLj256ELj16ElLj1ELj1ELj8ELNS0_26block_radix_rank_algorithmE2ELNS0_18block_padding_hintE2ELNS0_4arch9wavefront6targetE1EE19radix_bits_per_passE
	.type	_ZN7rocprim17ROCPRIM_400000_NS16block_radix_sortIdLj256ELj16ElLj1ELj1ELj8ELNS0_26block_radix_rank_algorithmE2ELNS0_18block_padding_hintE2ELNS0_4arch9wavefront6targetE1EE19radix_bits_per_passE,@object
	.section	.rodata._ZN7rocprim17ROCPRIM_400000_NS16block_radix_sortIdLj256ELj16ElLj1ELj1ELj8ELNS0_26block_radix_rank_algorithmE2ELNS0_18block_padding_hintE2ELNS0_4arch9wavefront6targetE1EE19radix_bits_per_passE,"aG",@progbits,_ZN7rocprim17ROCPRIM_400000_NS16block_radix_sortIdLj256ELj16ElLj1ELj1ELj8ELNS0_26block_radix_rank_algorithmE2ELNS0_18block_padding_hintE2ELNS0_4arch9wavefront6targetE1EE19radix_bits_per_passE,comdat
	.weak	_ZN7rocprim17ROCPRIM_400000_NS16block_radix_sortIdLj256ELj16ElLj1ELj1ELj8ELNS0_26block_radix_rank_algorithmE2ELNS0_18block_padding_hintE2ELNS0_4arch9wavefront6targetE1EE19radix_bits_per_passE
	.p2align	2, 0x0
_ZN7rocprim17ROCPRIM_400000_NS16block_radix_sortIdLj256ELj16ElLj1ELj1ELj8ELNS0_26block_radix_rank_algorithmE2ELNS0_18block_padding_hintE2ELNS0_4arch9wavefront6targetE1EE19radix_bits_per_passE:
	.long	8                               ; 0x8
	.size	_ZN7rocprim17ROCPRIM_400000_NS16block_radix_sortIdLj256ELj16ElLj1ELj1ELj8ELNS0_26block_radix_rank_algorithmE2ELNS0_18block_padding_hintE2ELNS0_4arch9wavefront6targetE1EE19radix_bits_per_passE, 4

	.protected	_ZN7rocprim17ROCPRIM_400000_NS16block_radix_sortIfLj256ELj1ElLj1ELj1ELj8ELNS0_26block_radix_rank_algorithmE2ELNS0_18block_padding_hintE2ELNS0_4arch9wavefront6targetE1EE19radix_bits_per_passE ; @_ZN7rocprim17ROCPRIM_400000_NS16block_radix_sortIfLj256ELj1ElLj1ELj1ELj8ELNS0_26block_radix_rank_algorithmE2ELNS0_18block_padding_hintE2ELNS0_4arch9wavefront6targetE1EE19radix_bits_per_passE
	.type	_ZN7rocprim17ROCPRIM_400000_NS16block_radix_sortIfLj256ELj1ElLj1ELj1ELj8ELNS0_26block_radix_rank_algorithmE2ELNS0_18block_padding_hintE2ELNS0_4arch9wavefront6targetE1EE19radix_bits_per_passE,@object
	.section	.rodata._ZN7rocprim17ROCPRIM_400000_NS16block_radix_sortIfLj256ELj1ElLj1ELj1ELj8ELNS0_26block_radix_rank_algorithmE2ELNS0_18block_padding_hintE2ELNS0_4arch9wavefront6targetE1EE19radix_bits_per_passE,"aG",@progbits,_ZN7rocprim17ROCPRIM_400000_NS16block_radix_sortIfLj256ELj1ElLj1ELj1ELj8ELNS0_26block_radix_rank_algorithmE2ELNS0_18block_padding_hintE2ELNS0_4arch9wavefront6targetE1EE19radix_bits_per_passE,comdat
	.weak	_ZN7rocprim17ROCPRIM_400000_NS16block_radix_sortIfLj256ELj1ElLj1ELj1ELj8ELNS0_26block_radix_rank_algorithmE2ELNS0_18block_padding_hintE2ELNS0_4arch9wavefront6targetE1EE19radix_bits_per_passE
	.p2align	2, 0x0
_ZN7rocprim17ROCPRIM_400000_NS16block_radix_sortIfLj256ELj1ElLj1ELj1ELj8ELNS0_26block_radix_rank_algorithmE2ELNS0_18block_padding_hintE2ELNS0_4arch9wavefront6targetE1EE19radix_bits_per_passE:
	.long	8                               ; 0x8
	.size	_ZN7rocprim17ROCPRIM_400000_NS16block_radix_sortIfLj256ELj1ElLj1ELj1ELj8ELNS0_26block_radix_rank_algorithmE2ELNS0_18block_padding_hintE2ELNS0_4arch9wavefront6targetE1EE19radix_bits_per_passE, 4

	.protected	_ZN7rocprim17ROCPRIM_400000_NS16block_radix_sortIfLj256ELj2ElLj1ELj1ELj8ELNS0_26block_radix_rank_algorithmE2ELNS0_18block_padding_hintE2ELNS0_4arch9wavefront6targetE1EE19radix_bits_per_passE ; @_ZN7rocprim17ROCPRIM_400000_NS16block_radix_sortIfLj256ELj2ElLj1ELj1ELj8ELNS0_26block_radix_rank_algorithmE2ELNS0_18block_padding_hintE2ELNS0_4arch9wavefront6targetE1EE19radix_bits_per_passE
	.type	_ZN7rocprim17ROCPRIM_400000_NS16block_radix_sortIfLj256ELj2ElLj1ELj1ELj8ELNS0_26block_radix_rank_algorithmE2ELNS0_18block_padding_hintE2ELNS0_4arch9wavefront6targetE1EE19radix_bits_per_passE,@object
	.section	.rodata._ZN7rocprim17ROCPRIM_400000_NS16block_radix_sortIfLj256ELj2ElLj1ELj1ELj8ELNS0_26block_radix_rank_algorithmE2ELNS0_18block_padding_hintE2ELNS0_4arch9wavefront6targetE1EE19radix_bits_per_passE,"aG",@progbits,_ZN7rocprim17ROCPRIM_400000_NS16block_radix_sortIfLj256ELj2ElLj1ELj1ELj8ELNS0_26block_radix_rank_algorithmE2ELNS0_18block_padding_hintE2ELNS0_4arch9wavefront6targetE1EE19radix_bits_per_passE,comdat
	.weak	_ZN7rocprim17ROCPRIM_400000_NS16block_radix_sortIfLj256ELj2ElLj1ELj1ELj8ELNS0_26block_radix_rank_algorithmE2ELNS0_18block_padding_hintE2ELNS0_4arch9wavefront6targetE1EE19radix_bits_per_passE
	.p2align	2, 0x0
_ZN7rocprim17ROCPRIM_400000_NS16block_radix_sortIfLj256ELj2ElLj1ELj1ELj8ELNS0_26block_radix_rank_algorithmE2ELNS0_18block_padding_hintE2ELNS0_4arch9wavefront6targetE1EE19radix_bits_per_passE:
	.long	8                               ; 0x8
	.size	_ZN7rocprim17ROCPRIM_400000_NS16block_radix_sortIfLj256ELj2ElLj1ELj1ELj8ELNS0_26block_radix_rank_algorithmE2ELNS0_18block_padding_hintE2ELNS0_4arch9wavefront6targetE1EE19radix_bits_per_passE, 4

	.protected	_ZN7rocprim17ROCPRIM_400000_NS16block_radix_sortIfLj256ELj4ElLj1ELj1ELj8ELNS0_26block_radix_rank_algorithmE2ELNS0_18block_padding_hintE2ELNS0_4arch9wavefront6targetE1EE19radix_bits_per_passE ; @_ZN7rocprim17ROCPRIM_400000_NS16block_radix_sortIfLj256ELj4ElLj1ELj1ELj8ELNS0_26block_radix_rank_algorithmE2ELNS0_18block_padding_hintE2ELNS0_4arch9wavefront6targetE1EE19radix_bits_per_passE
	.type	_ZN7rocprim17ROCPRIM_400000_NS16block_radix_sortIfLj256ELj4ElLj1ELj1ELj8ELNS0_26block_radix_rank_algorithmE2ELNS0_18block_padding_hintE2ELNS0_4arch9wavefront6targetE1EE19radix_bits_per_passE,@object
	.section	.rodata._ZN7rocprim17ROCPRIM_400000_NS16block_radix_sortIfLj256ELj4ElLj1ELj1ELj8ELNS0_26block_radix_rank_algorithmE2ELNS0_18block_padding_hintE2ELNS0_4arch9wavefront6targetE1EE19radix_bits_per_passE,"aG",@progbits,_ZN7rocprim17ROCPRIM_400000_NS16block_radix_sortIfLj256ELj4ElLj1ELj1ELj8ELNS0_26block_radix_rank_algorithmE2ELNS0_18block_padding_hintE2ELNS0_4arch9wavefront6targetE1EE19radix_bits_per_passE,comdat
	.weak	_ZN7rocprim17ROCPRIM_400000_NS16block_radix_sortIfLj256ELj4ElLj1ELj1ELj8ELNS0_26block_radix_rank_algorithmE2ELNS0_18block_padding_hintE2ELNS0_4arch9wavefront6targetE1EE19radix_bits_per_passE
	.p2align	2, 0x0
_ZN7rocprim17ROCPRIM_400000_NS16block_radix_sortIfLj256ELj4ElLj1ELj1ELj8ELNS0_26block_radix_rank_algorithmE2ELNS0_18block_padding_hintE2ELNS0_4arch9wavefront6targetE1EE19radix_bits_per_passE:
	.long	8                               ; 0x8
	.size	_ZN7rocprim17ROCPRIM_400000_NS16block_radix_sortIfLj256ELj4ElLj1ELj1ELj8ELNS0_26block_radix_rank_algorithmE2ELNS0_18block_padding_hintE2ELNS0_4arch9wavefront6targetE1EE19radix_bits_per_passE, 4

	.protected	_ZN7rocprim17ROCPRIM_400000_NS16block_radix_sortIfLj256ELj8ElLj1ELj1ELj8ELNS0_26block_radix_rank_algorithmE2ELNS0_18block_padding_hintE2ELNS0_4arch9wavefront6targetE1EE19radix_bits_per_passE ; @_ZN7rocprim17ROCPRIM_400000_NS16block_radix_sortIfLj256ELj8ElLj1ELj1ELj8ELNS0_26block_radix_rank_algorithmE2ELNS0_18block_padding_hintE2ELNS0_4arch9wavefront6targetE1EE19radix_bits_per_passE
	.type	_ZN7rocprim17ROCPRIM_400000_NS16block_radix_sortIfLj256ELj8ElLj1ELj1ELj8ELNS0_26block_radix_rank_algorithmE2ELNS0_18block_padding_hintE2ELNS0_4arch9wavefront6targetE1EE19radix_bits_per_passE,@object
	.section	.rodata._ZN7rocprim17ROCPRIM_400000_NS16block_radix_sortIfLj256ELj8ElLj1ELj1ELj8ELNS0_26block_radix_rank_algorithmE2ELNS0_18block_padding_hintE2ELNS0_4arch9wavefront6targetE1EE19radix_bits_per_passE,"aG",@progbits,_ZN7rocprim17ROCPRIM_400000_NS16block_radix_sortIfLj256ELj8ElLj1ELj1ELj8ELNS0_26block_radix_rank_algorithmE2ELNS0_18block_padding_hintE2ELNS0_4arch9wavefront6targetE1EE19radix_bits_per_passE,comdat
	.weak	_ZN7rocprim17ROCPRIM_400000_NS16block_radix_sortIfLj256ELj8ElLj1ELj1ELj8ELNS0_26block_radix_rank_algorithmE2ELNS0_18block_padding_hintE2ELNS0_4arch9wavefront6targetE1EE19radix_bits_per_passE
	.p2align	2, 0x0
_ZN7rocprim17ROCPRIM_400000_NS16block_radix_sortIfLj256ELj8ElLj1ELj1ELj8ELNS0_26block_radix_rank_algorithmE2ELNS0_18block_padding_hintE2ELNS0_4arch9wavefront6targetE1EE19radix_bits_per_passE:
	.long	8                               ; 0x8
	.size	_ZN7rocprim17ROCPRIM_400000_NS16block_radix_sortIfLj256ELj8ElLj1ELj1ELj8ELNS0_26block_radix_rank_algorithmE2ELNS0_18block_padding_hintE2ELNS0_4arch9wavefront6targetE1EE19radix_bits_per_passE, 4

	.protected	_ZN7rocprim17ROCPRIM_400000_NS16block_radix_sortIbLj256ELj1ElLj1ELj1ELj8ELNS0_26block_radix_rank_algorithmE2ELNS0_18block_padding_hintE2ELNS0_4arch9wavefront6targetE1EE19radix_bits_per_passE ; @_ZN7rocprim17ROCPRIM_400000_NS16block_radix_sortIbLj256ELj1ElLj1ELj1ELj8ELNS0_26block_radix_rank_algorithmE2ELNS0_18block_padding_hintE2ELNS0_4arch9wavefront6targetE1EE19radix_bits_per_passE
	.type	_ZN7rocprim17ROCPRIM_400000_NS16block_radix_sortIbLj256ELj1ElLj1ELj1ELj8ELNS0_26block_radix_rank_algorithmE2ELNS0_18block_padding_hintE2ELNS0_4arch9wavefront6targetE1EE19radix_bits_per_passE,@object
	.section	.rodata._ZN7rocprim17ROCPRIM_400000_NS16block_radix_sortIbLj256ELj1ElLj1ELj1ELj8ELNS0_26block_radix_rank_algorithmE2ELNS0_18block_padding_hintE2ELNS0_4arch9wavefront6targetE1EE19radix_bits_per_passE,"aG",@progbits,_ZN7rocprim17ROCPRIM_400000_NS16block_radix_sortIbLj256ELj1ElLj1ELj1ELj8ELNS0_26block_radix_rank_algorithmE2ELNS0_18block_padding_hintE2ELNS0_4arch9wavefront6targetE1EE19radix_bits_per_passE,comdat
	.weak	_ZN7rocprim17ROCPRIM_400000_NS16block_radix_sortIbLj256ELj1ElLj1ELj1ELj8ELNS0_26block_radix_rank_algorithmE2ELNS0_18block_padding_hintE2ELNS0_4arch9wavefront6targetE1EE19radix_bits_per_passE
	.p2align	2, 0x0
_ZN7rocprim17ROCPRIM_400000_NS16block_radix_sortIbLj256ELj1ElLj1ELj1ELj8ELNS0_26block_radix_rank_algorithmE2ELNS0_18block_padding_hintE2ELNS0_4arch9wavefront6targetE1EE19radix_bits_per_passE:
	.long	8                               ; 0x8
	.size	_ZN7rocprim17ROCPRIM_400000_NS16block_radix_sortIbLj256ELj1ElLj1ELj1ELj8ELNS0_26block_radix_rank_algorithmE2ELNS0_18block_padding_hintE2ELNS0_4arch9wavefront6targetE1EE19radix_bits_per_passE, 4

	.protected	_ZN7rocprim17ROCPRIM_400000_NS16block_radix_sortIbLj256ELj2ElLj1ELj1ELj8ELNS0_26block_radix_rank_algorithmE2ELNS0_18block_padding_hintE2ELNS0_4arch9wavefront6targetE1EE19radix_bits_per_passE ; @_ZN7rocprim17ROCPRIM_400000_NS16block_radix_sortIbLj256ELj2ElLj1ELj1ELj8ELNS0_26block_radix_rank_algorithmE2ELNS0_18block_padding_hintE2ELNS0_4arch9wavefront6targetE1EE19radix_bits_per_passE
	.type	_ZN7rocprim17ROCPRIM_400000_NS16block_radix_sortIbLj256ELj2ElLj1ELj1ELj8ELNS0_26block_radix_rank_algorithmE2ELNS0_18block_padding_hintE2ELNS0_4arch9wavefront6targetE1EE19radix_bits_per_passE,@object
	.section	.rodata._ZN7rocprim17ROCPRIM_400000_NS16block_radix_sortIbLj256ELj2ElLj1ELj1ELj8ELNS0_26block_radix_rank_algorithmE2ELNS0_18block_padding_hintE2ELNS0_4arch9wavefront6targetE1EE19radix_bits_per_passE,"aG",@progbits,_ZN7rocprim17ROCPRIM_400000_NS16block_radix_sortIbLj256ELj2ElLj1ELj1ELj8ELNS0_26block_radix_rank_algorithmE2ELNS0_18block_padding_hintE2ELNS0_4arch9wavefront6targetE1EE19radix_bits_per_passE,comdat
	.weak	_ZN7rocprim17ROCPRIM_400000_NS16block_radix_sortIbLj256ELj2ElLj1ELj1ELj8ELNS0_26block_radix_rank_algorithmE2ELNS0_18block_padding_hintE2ELNS0_4arch9wavefront6targetE1EE19radix_bits_per_passE
	.p2align	2, 0x0
_ZN7rocprim17ROCPRIM_400000_NS16block_radix_sortIbLj256ELj2ElLj1ELj1ELj8ELNS0_26block_radix_rank_algorithmE2ELNS0_18block_padding_hintE2ELNS0_4arch9wavefront6targetE1EE19radix_bits_per_passE:
	.long	8                               ; 0x8
	.size	_ZN7rocprim17ROCPRIM_400000_NS16block_radix_sortIbLj256ELj2ElLj1ELj1ELj8ELNS0_26block_radix_rank_algorithmE2ELNS0_18block_padding_hintE2ELNS0_4arch9wavefront6targetE1EE19radix_bits_per_passE, 4

	.protected	_ZN7rocprim17ROCPRIM_400000_NS16block_radix_sortIbLj256ELj4ElLj1ELj1ELj8ELNS0_26block_radix_rank_algorithmE2ELNS0_18block_padding_hintE2ELNS0_4arch9wavefront6targetE1EE19radix_bits_per_passE ; @_ZN7rocprim17ROCPRIM_400000_NS16block_radix_sortIbLj256ELj4ElLj1ELj1ELj8ELNS0_26block_radix_rank_algorithmE2ELNS0_18block_padding_hintE2ELNS0_4arch9wavefront6targetE1EE19radix_bits_per_passE
	.type	_ZN7rocprim17ROCPRIM_400000_NS16block_radix_sortIbLj256ELj4ElLj1ELj1ELj8ELNS0_26block_radix_rank_algorithmE2ELNS0_18block_padding_hintE2ELNS0_4arch9wavefront6targetE1EE19radix_bits_per_passE,@object
	.section	.rodata._ZN7rocprim17ROCPRIM_400000_NS16block_radix_sortIbLj256ELj4ElLj1ELj1ELj8ELNS0_26block_radix_rank_algorithmE2ELNS0_18block_padding_hintE2ELNS0_4arch9wavefront6targetE1EE19radix_bits_per_passE,"aG",@progbits,_ZN7rocprim17ROCPRIM_400000_NS16block_radix_sortIbLj256ELj4ElLj1ELj1ELj8ELNS0_26block_radix_rank_algorithmE2ELNS0_18block_padding_hintE2ELNS0_4arch9wavefront6targetE1EE19radix_bits_per_passE,comdat
	.weak	_ZN7rocprim17ROCPRIM_400000_NS16block_radix_sortIbLj256ELj4ElLj1ELj1ELj8ELNS0_26block_radix_rank_algorithmE2ELNS0_18block_padding_hintE2ELNS0_4arch9wavefront6targetE1EE19radix_bits_per_passE
	.p2align	2, 0x0
_ZN7rocprim17ROCPRIM_400000_NS16block_radix_sortIbLj256ELj4ElLj1ELj1ELj8ELNS0_26block_radix_rank_algorithmE2ELNS0_18block_padding_hintE2ELNS0_4arch9wavefront6targetE1EE19radix_bits_per_passE:
	.long	8                               ; 0x8
	.size	_ZN7rocprim17ROCPRIM_400000_NS16block_radix_sortIbLj256ELj4ElLj1ELj1ELj8ELNS0_26block_radix_rank_algorithmE2ELNS0_18block_padding_hintE2ELNS0_4arch9wavefront6targetE1EE19radix_bits_per_passE, 4

	.protected	_ZN7rocprim17ROCPRIM_400000_NS16block_radix_sortIbLj256ELj8ElLj1ELj1ELj8ELNS0_26block_radix_rank_algorithmE2ELNS0_18block_padding_hintE2ELNS0_4arch9wavefront6targetE1EE19radix_bits_per_passE ; @_ZN7rocprim17ROCPRIM_400000_NS16block_radix_sortIbLj256ELj8ElLj1ELj1ELj8ELNS0_26block_radix_rank_algorithmE2ELNS0_18block_padding_hintE2ELNS0_4arch9wavefront6targetE1EE19radix_bits_per_passE
	.type	_ZN7rocprim17ROCPRIM_400000_NS16block_radix_sortIbLj256ELj8ElLj1ELj1ELj8ELNS0_26block_radix_rank_algorithmE2ELNS0_18block_padding_hintE2ELNS0_4arch9wavefront6targetE1EE19radix_bits_per_passE,@object
	.section	.rodata._ZN7rocprim17ROCPRIM_400000_NS16block_radix_sortIbLj256ELj8ElLj1ELj1ELj8ELNS0_26block_radix_rank_algorithmE2ELNS0_18block_padding_hintE2ELNS0_4arch9wavefront6targetE1EE19radix_bits_per_passE,"aG",@progbits,_ZN7rocprim17ROCPRIM_400000_NS16block_radix_sortIbLj256ELj8ElLj1ELj1ELj8ELNS0_26block_radix_rank_algorithmE2ELNS0_18block_padding_hintE2ELNS0_4arch9wavefront6targetE1EE19radix_bits_per_passE,comdat
	.weak	_ZN7rocprim17ROCPRIM_400000_NS16block_radix_sortIbLj256ELj8ElLj1ELj1ELj8ELNS0_26block_radix_rank_algorithmE2ELNS0_18block_padding_hintE2ELNS0_4arch9wavefront6targetE1EE19radix_bits_per_passE
	.p2align	2, 0x0
_ZN7rocprim17ROCPRIM_400000_NS16block_radix_sortIbLj256ELj8ElLj1ELj1ELj8ELNS0_26block_radix_rank_algorithmE2ELNS0_18block_padding_hintE2ELNS0_4arch9wavefront6targetE1EE19radix_bits_per_passE:
	.long	8                               ; 0x8
	.size	_ZN7rocprim17ROCPRIM_400000_NS16block_radix_sortIbLj256ELj8ElLj1ELj1ELj8ELNS0_26block_radix_rank_algorithmE2ELNS0_18block_padding_hintE2ELNS0_4arch9wavefront6targetE1EE19radix_bits_per_passE, 4

	.protected	_ZN7rocprim17ROCPRIM_400000_NS16block_radix_sortI6__halfLj256ELj1ElLj1ELj1ELj8ELNS0_26block_radix_rank_algorithmE2ELNS0_18block_padding_hintE2ELNS0_4arch9wavefront6targetE1EE19radix_bits_per_passE ; @_ZN7rocprim17ROCPRIM_400000_NS16block_radix_sortI6__halfLj256ELj1ElLj1ELj1ELj8ELNS0_26block_radix_rank_algorithmE2ELNS0_18block_padding_hintE2ELNS0_4arch9wavefront6targetE1EE19radix_bits_per_passE
	.type	_ZN7rocprim17ROCPRIM_400000_NS16block_radix_sortI6__halfLj256ELj1ElLj1ELj1ELj8ELNS0_26block_radix_rank_algorithmE2ELNS0_18block_padding_hintE2ELNS0_4arch9wavefront6targetE1EE19radix_bits_per_passE,@object
	.section	.rodata._ZN7rocprim17ROCPRIM_400000_NS16block_radix_sortI6__halfLj256ELj1ElLj1ELj1ELj8ELNS0_26block_radix_rank_algorithmE2ELNS0_18block_padding_hintE2ELNS0_4arch9wavefront6targetE1EE19radix_bits_per_passE,"aG",@progbits,_ZN7rocprim17ROCPRIM_400000_NS16block_radix_sortI6__halfLj256ELj1ElLj1ELj1ELj8ELNS0_26block_radix_rank_algorithmE2ELNS0_18block_padding_hintE2ELNS0_4arch9wavefront6targetE1EE19radix_bits_per_passE,comdat
	.weak	_ZN7rocprim17ROCPRIM_400000_NS16block_radix_sortI6__halfLj256ELj1ElLj1ELj1ELj8ELNS0_26block_radix_rank_algorithmE2ELNS0_18block_padding_hintE2ELNS0_4arch9wavefront6targetE1EE19radix_bits_per_passE
	.p2align	2, 0x0
_ZN7rocprim17ROCPRIM_400000_NS16block_radix_sortI6__halfLj256ELj1ElLj1ELj1ELj8ELNS0_26block_radix_rank_algorithmE2ELNS0_18block_padding_hintE2ELNS0_4arch9wavefront6targetE1EE19radix_bits_per_passE:
	.long	8                               ; 0x8
	.size	_ZN7rocprim17ROCPRIM_400000_NS16block_radix_sortI6__halfLj256ELj1ElLj1ELj1ELj8ELNS0_26block_radix_rank_algorithmE2ELNS0_18block_padding_hintE2ELNS0_4arch9wavefront6targetE1EE19radix_bits_per_passE, 4

	.protected	_ZN7rocprim17ROCPRIM_400000_NS16block_radix_sortI6__halfLj256ELj2ElLj1ELj1ELj8ELNS0_26block_radix_rank_algorithmE2ELNS0_18block_padding_hintE2ELNS0_4arch9wavefront6targetE1EE19radix_bits_per_passE ; @_ZN7rocprim17ROCPRIM_400000_NS16block_radix_sortI6__halfLj256ELj2ElLj1ELj1ELj8ELNS0_26block_radix_rank_algorithmE2ELNS0_18block_padding_hintE2ELNS0_4arch9wavefront6targetE1EE19radix_bits_per_passE
	.type	_ZN7rocprim17ROCPRIM_400000_NS16block_radix_sortI6__halfLj256ELj2ElLj1ELj1ELj8ELNS0_26block_radix_rank_algorithmE2ELNS0_18block_padding_hintE2ELNS0_4arch9wavefront6targetE1EE19radix_bits_per_passE,@object
	.section	.rodata._ZN7rocprim17ROCPRIM_400000_NS16block_radix_sortI6__halfLj256ELj2ElLj1ELj1ELj8ELNS0_26block_radix_rank_algorithmE2ELNS0_18block_padding_hintE2ELNS0_4arch9wavefront6targetE1EE19radix_bits_per_passE,"aG",@progbits,_ZN7rocprim17ROCPRIM_400000_NS16block_radix_sortI6__halfLj256ELj2ElLj1ELj1ELj8ELNS0_26block_radix_rank_algorithmE2ELNS0_18block_padding_hintE2ELNS0_4arch9wavefront6targetE1EE19radix_bits_per_passE,comdat
	.weak	_ZN7rocprim17ROCPRIM_400000_NS16block_radix_sortI6__halfLj256ELj2ElLj1ELj1ELj8ELNS0_26block_radix_rank_algorithmE2ELNS0_18block_padding_hintE2ELNS0_4arch9wavefront6targetE1EE19radix_bits_per_passE
	.p2align	2, 0x0
_ZN7rocprim17ROCPRIM_400000_NS16block_radix_sortI6__halfLj256ELj2ElLj1ELj1ELj8ELNS0_26block_radix_rank_algorithmE2ELNS0_18block_padding_hintE2ELNS0_4arch9wavefront6targetE1EE19radix_bits_per_passE:
	.long	8                               ; 0x8
	.size	_ZN7rocprim17ROCPRIM_400000_NS16block_radix_sortI6__halfLj256ELj2ElLj1ELj1ELj8ELNS0_26block_radix_rank_algorithmE2ELNS0_18block_padding_hintE2ELNS0_4arch9wavefront6targetE1EE19radix_bits_per_passE, 4

	.protected	_ZN7rocprim17ROCPRIM_400000_NS16block_radix_sortI6__halfLj256ELj4ElLj1ELj1ELj8ELNS0_26block_radix_rank_algorithmE2ELNS0_18block_padding_hintE2ELNS0_4arch9wavefront6targetE1EE19radix_bits_per_passE ; @_ZN7rocprim17ROCPRIM_400000_NS16block_radix_sortI6__halfLj256ELj4ElLj1ELj1ELj8ELNS0_26block_radix_rank_algorithmE2ELNS0_18block_padding_hintE2ELNS0_4arch9wavefront6targetE1EE19radix_bits_per_passE
	.type	_ZN7rocprim17ROCPRIM_400000_NS16block_radix_sortI6__halfLj256ELj4ElLj1ELj1ELj8ELNS0_26block_radix_rank_algorithmE2ELNS0_18block_padding_hintE2ELNS0_4arch9wavefront6targetE1EE19radix_bits_per_passE,@object
	.section	.rodata._ZN7rocprim17ROCPRIM_400000_NS16block_radix_sortI6__halfLj256ELj4ElLj1ELj1ELj8ELNS0_26block_radix_rank_algorithmE2ELNS0_18block_padding_hintE2ELNS0_4arch9wavefront6targetE1EE19radix_bits_per_passE,"aG",@progbits,_ZN7rocprim17ROCPRIM_400000_NS16block_radix_sortI6__halfLj256ELj4ElLj1ELj1ELj8ELNS0_26block_radix_rank_algorithmE2ELNS0_18block_padding_hintE2ELNS0_4arch9wavefront6targetE1EE19radix_bits_per_passE,comdat
	.weak	_ZN7rocprim17ROCPRIM_400000_NS16block_radix_sortI6__halfLj256ELj4ElLj1ELj1ELj8ELNS0_26block_radix_rank_algorithmE2ELNS0_18block_padding_hintE2ELNS0_4arch9wavefront6targetE1EE19radix_bits_per_passE
	.p2align	2, 0x0
_ZN7rocprim17ROCPRIM_400000_NS16block_radix_sortI6__halfLj256ELj4ElLj1ELj1ELj8ELNS0_26block_radix_rank_algorithmE2ELNS0_18block_padding_hintE2ELNS0_4arch9wavefront6targetE1EE19radix_bits_per_passE:
	.long	8                               ; 0x8
	.size	_ZN7rocprim17ROCPRIM_400000_NS16block_radix_sortI6__halfLj256ELj4ElLj1ELj1ELj8ELNS0_26block_radix_rank_algorithmE2ELNS0_18block_padding_hintE2ELNS0_4arch9wavefront6targetE1EE19radix_bits_per_passE, 4

	.protected	_ZN7rocprim17ROCPRIM_400000_NS16block_radix_sortI6__halfLj256ELj8ElLj1ELj1ELj8ELNS0_26block_radix_rank_algorithmE2ELNS0_18block_padding_hintE2ELNS0_4arch9wavefront6targetE1EE19radix_bits_per_passE ; @_ZN7rocprim17ROCPRIM_400000_NS16block_radix_sortI6__halfLj256ELj8ElLj1ELj1ELj8ELNS0_26block_radix_rank_algorithmE2ELNS0_18block_padding_hintE2ELNS0_4arch9wavefront6targetE1EE19radix_bits_per_passE
	.type	_ZN7rocprim17ROCPRIM_400000_NS16block_radix_sortI6__halfLj256ELj8ElLj1ELj1ELj8ELNS0_26block_radix_rank_algorithmE2ELNS0_18block_padding_hintE2ELNS0_4arch9wavefront6targetE1EE19radix_bits_per_passE,@object
	.section	.rodata._ZN7rocprim17ROCPRIM_400000_NS16block_radix_sortI6__halfLj256ELj8ElLj1ELj1ELj8ELNS0_26block_radix_rank_algorithmE2ELNS0_18block_padding_hintE2ELNS0_4arch9wavefront6targetE1EE19radix_bits_per_passE,"aG",@progbits,_ZN7rocprim17ROCPRIM_400000_NS16block_radix_sortI6__halfLj256ELj8ElLj1ELj1ELj8ELNS0_26block_radix_rank_algorithmE2ELNS0_18block_padding_hintE2ELNS0_4arch9wavefront6targetE1EE19radix_bits_per_passE,comdat
	.weak	_ZN7rocprim17ROCPRIM_400000_NS16block_radix_sortI6__halfLj256ELj8ElLj1ELj1ELj8ELNS0_26block_radix_rank_algorithmE2ELNS0_18block_padding_hintE2ELNS0_4arch9wavefront6targetE1EE19radix_bits_per_passE
	.p2align	2, 0x0
_ZN7rocprim17ROCPRIM_400000_NS16block_radix_sortI6__halfLj256ELj8ElLj1ELj1ELj8ELNS0_26block_radix_rank_algorithmE2ELNS0_18block_padding_hintE2ELNS0_4arch9wavefront6targetE1EE19radix_bits_per_passE:
	.long	8                               ; 0x8
	.size	_ZN7rocprim17ROCPRIM_400000_NS16block_radix_sortI6__halfLj256ELj8ElLj1ELj1ELj8ELNS0_26block_radix_rank_algorithmE2ELNS0_18block_padding_hintE2ELNS0_4arch9wavefront6targetE1EE19radix_bits_per_passE, 4

	.protected	_ZN7rocprim17ROCPRIM_400000_NS16block_radix_sortI12hip_bfloat16Lj256ELj1ElLj1ELj1ELj8ELNS0_26block_radix_rank_algorithmE2ELNS0_18block_padding_hintE2ELNS0_4arch9wavefront6targetE1EE19radix_bits_per_passE ; @_ZN7rocprim17ROCPRIM_400000_NS16block_radix_sortI12hip_bfloat16Lj256ELj1ElLj1ELj1ELj8ELNS0_26block_radix_rank_algorithmE2ELNS0_18block_padding_hintE2ELNS0_4arch9wavefront6targetE1EE19radix_bits_per_passE
	.type	_ZN7rocprim17ROCPRIM_400000_NS16block_radix_sortI12hip_bfloat16Lj256ELj1ElLj1ELj1ELj8ELNS0_26block_radix_rank_algorithmE2ELNS0_18block_padding_hintE2ELNS0_4arch9wavefront6targetE1EE19radix_bits_per_passE,@object
	.section	.rodata._ZN7rocprim17ROCPRIM_400000_NS16block_radix_sortI12hip_bfloat16Lj256ELj1ElLj1ELj1ELj8ELNS0_26block_radix_rank_algorithmE2ELNS0_18block_padding_hintE2ELNS0_4arch9wavefront6targetE1EE19radix_bits_per_passE,"aG",@progbits,_ZN7rocprim17ROCPRIM_400000_NS16block_radix_sortI12hip_bfloat16Lj256ELj1ElLj1ELj1ELj8ELNS0_26block_radix_rank_algorithmE2ELNS0_18block_padding_hintE2ELNS0_4arch9wavefront6targetE1EE19radix_bits_per_passE,comdat
	.weak	_ZN7rocprim17ROCPRIM_400000_NS16block_radix_sortI12hip_bfloat16Lj256ELj1ElLj1ELj1ELj8ELNS0_26block_radix_rank_algorithmE2ELNS0_18block_padding_hintE2ELNS0_4arch9wavefront6targetE1EE19radix_bits_per_passE
	.p2align	2, 0x0
_ZN7rocprim17ROCPRIM_400000_NS16block_radix_sortI12hip_bfloat16Lj256ELj1ElLj1ELj1ELj8ELNS0_26block_radix_rank_algorithmE2ELNS0_18block_padding_hintE2ELNS0_4arch9wavefront6targetE1EE19radix_bits_per_passE:
	.long	8                               ; 0x8
	.size	_ZN7rocprim17ROCPRIM_400000_NS16block_radix_sortI12hip_bfloat16Lj256ELj1ElLj1ELj1ELj8ELNS0_26block_radix_rank_algorithmE2ELNS0_18block_padding_hintE2ELNS0_4arch9wavefront6targetE1EE19radix_bits_per_passE, 4

	.protected	_ZN7rocprim17ROCPRIM_400000_NS16block_radix_sortI12hip_bfloat16Lj256ELj2ElLj1ELj1ELj8ELNS0_26block_radix_rank_algorithmE2ELNS0_18block_padding_hintE2ELNS0_4arch9wavefront6targetE1EE19radix_bits_per_passE ; @_ZN7rocprim17ROCPRIM_400000_NS16block_radix_sortI12hip_bfloat16Lj256ELj2ElLj1ELj1ELj8ELNS0_26block_radix_rank_algorithmE2ELNS0_18block_padding_hintE2ELNS0_4arch9wavefront6targetE1EE19radix_bits_per_passE
	.type	_ZN7rocprim17ROCPRIM_400000_NS16block_radix_sortI12hip_bfloat16Lj256ELj2ElLj1ELj1ELj8ELNS0_26block_radix_rank_algorithmE2ELNS0_18block_padding_hintE2ELNS0_4arch9wavefront6targetE1EE19radix_bits_per_passE,@object
	.section	.rodata._ZN7rocprim17ROCPRIM_400000_NS16block_radix_sortI12hip_bfloat16Lj256ELj2ElLj1ELj1ELj8ELNS0_26block_radix_rank_algorithmE2ELNS0_18block_padding_hintE2ELNS0_4arch9wavefront6targetE1EE19radix_bits_per_passE,"aG",@progbits,_ZN7rocprim17ROCPRIM_400000_NS16block_radix_sortI12hip_bfloat16Lj256ELj2ElLj1ELj1ELj8ELNS0_26block_radix_rank_algorithmE2ELNS0_18block_padding_hintE2ELNS0_4arch9wavefront6targetE1EE19radix_bits_per_passE,comdat
	.weak	_ZN7rocprim17ROCPRIM_400000_NS16block_radix_sortI12hip_bfloat16Lj256ELj2ElLj1ELj1ELj8ELNS0_26block_radix_rank_algorithmE2ELNS0_18block_padding_hintE2ELNS0_4arch9wavefront6targetE1EE19radix_bits_per_passE
	.p2align	2, 0x0
_ZN7rocprim17ROCPRIM_400000_NS16block_radix_sortI12hip_bfloat16Lj256ELj2ElLj1ELj1ELj8ELNS0_26block_radix_rank_algorithmE2ELNS0_18block_padding_hintE2ELNS0_4arch9wavefront6targetE1EE19radix_bits_per_passE:
	.long	8                               ; 0x8
	.size	_ZN7rocprim17ROCPRIM_400000_NS16block_radix_sortI12hip_bfloat16Lj256ELj2ElLj1ELj1ELj8ELNS0_26block_radix_rank_algorithmE2ELNS0_18block_padding_hintE2ELNS0_4arch9wavefront6targetE1EE19radix_bits_per_passE, 4

	.protected	_ZN7rocprim17ROCPRIM_400000_NS16block_radix_sortI12hip_bfloat16Lj256ELj4ElLj1ELj1ELj8ELNS0_26block_radix_rank_algorithmE2ELNS0_18block_padding_hintE2ELNS0_4arch9wavefront6targetE1EE19radix_bits_per_passE ; @_ZN7rocprim17ROCPRIM_400000_NS16block_radix_sortI12hip_bfloat16Lj256ELj4ElLj1ELj1ELj8ELNS0_26block_radix_rank_algorithmE2ELNS0_18block_padding_hintE2ELNS0_4arch9wavefront6targetE1EE19radix_bits_per_passE
	.type	_ZN7rocprim17ROCPRIM_400000_NS16block_radix_sortI12hip_bfloat16Lj256ELj4ElLj1ELj1ELj8ELNS0_26block_radix_rank_algorithmE2ELNS0_18block_padding_hintE2ELNS0_4arch9wavefront6targetE1EE19radix_bits_per_passE,@object
	.section	.rodata._ZN7rocprim17ROCPRIM_400000_NS16block_radix_sortI12hip_bfloat16Lj256ELj4ElLj1ELj1ELj8ELNS0_26block_radix_rank_algorithmE2ELNS0_18block_padding_hintE2ELNS0_4arch9wavefront6targetE1EE19radix_bits_per_passE,"aG",@progbits,_ZN7rocprim17ROCPRIM_400000_NS16block_radix_sortI12hip_bfloat16Lj256ELj4ElLj1ELj1ELj8ELNS0_26block_radix_rank_algorithmE2ELNS0_18block_padding_hintE2ELNS0_4arch9wavefront6targetE1EE19radix_bits_per_passE,comdat
	.weak	_ZN7rocprim17ROCPRIM_400000_NS16block_radix_sortI12hip_bfloat16Lj256ELj4ElLj1ELj1ELj8ELNS0_26block_radix_rank_algorithmE2ELNS0_18block_padding_hintE2ELNS0_4arch9wavefront6targetE1EE19radix_bits_per_passE
	.p2align	2, 0x0
_ZN7rocprim17ROCPRIM_400000_NS16block_radix_sortI12hip_bfloat16Lj256ELj4ElLj1ELj1ELj8ELNS0_26block_radix_rank_algorithmE2ELNS0_18block_padding_hintE2ELNS0_4arch9wavefront6targetE1EE19radix_bits_per_passE:
	.long	8                               ; 0x8
	.size	_ZN7rocprim17ROCPRIM_400000_NS16block_radix_sortI12hip_bfloat16Lj256ELj4ElLj1ELj1ELj8ELNS0_26block_radix_rank_algorithmE2ELNS0_18block_padding_hintE2ELNS0_4arch9wavefront6targetE1EE19radix_bits_per_passE, 4

	.protected	_ZN7rocprim17ROCPRIM_400000_NS16block_radix_sortI12hip_bfloat16Lj256ELj8ElLj1ELj1ELj8ELNS0_26block_radix_rank_algorithmE2ELNS0_18block_padding_hintE2ELNS0_4arch9wavefront6targetE1EE19radix_bits_per_passE ; @_ZN7rocprim17ROCPRIM_400000_NS16block_radix_sortI12hip_bfloat16Lj256ELj8ElLj1ELj1ELj8ELNS0_26block_radix_rank_algorithmE2ELNS0_18block_padding_hintE2ELNS0_4arch9wavefront6targetE1EE19radix_bits_per_passE
	.type	_ZN7rocprim17ROCPRIM_400000_NS16block_radix_sortI12hip_bfloat16Lj256ELj8ElLj1ELj1ELj8ELNS0_26block_radix_rank_algorithmE2ELNS0_18block_padding_hintE2ELNS0_4arch9wavefront6targetE1EE19radix_bits_per_passE,@object
	.section	.rodata._ZN7rocprim17ROCPRIM_400000_NS16block_radix_sortI12hip_bfloat16Lj256ELj8ElLj1ELj1ELj8ELNS0_26block_radix_rank_algorithmE2ELNS0_18block_padding_hintE2ELNS0_4arch9wavefront6targetE1EE19radix_bits_per_passE,"aG",@progbits,_ZN7rocprim17ROCPRIM_400000_NS16block_radix_sortI12hip_bfloat16Lj256ELj8ElLj1ELj1ELj8ELNS0_26block_radix_rank_algorithmE2ELNS0_18block_padding_hintE2ELNS0_4arch9wavefront6targetE1EE19radix_bits_per_passE,comdat
	.weak	_ZN7rocprim17ROCPRIM_400000_NS16block_radix_sortI12hip_bfloat16Lj256ELj8ElLj1ELj1ELj8ELNS0_26block_radix_rank_algorithmE2ELNS0_18block_padding_hintE2ELNS0_4arch9wavefront6targetE1EE19radix_bits_per_passE
	.p2align	2, 0x0
_ZN7rocprim17ROCPRIM_400000_NS16block_radix_sortI12hip_bfloat16Lj256ELj8ElLj1ELj1ELj8ELNS0_26block_radix_rank_algorithmE2ELNS0_18block_padding_hintE2ELNS0_4arch9wavefront6targetE1EE19radix_bits_per_passE:
	.long	8                               ; 0x8
	.size	_ZN7rocprim17ROCPRIM_400000_NS16block_radix_sortI12hip_bfloat16Lj256ELj8ElLj1ELj1ELj8ELNS0_26block_radix_rank_algorithmE2ELNS0_18block_padding_hintE2ELNS0_4arch9wavefront6targetE1EE19radix_bits_per_passE, 4

	.type	__hip_cuid_6ef9eb0ae55ac07,@object ; @__hip_cuid_6ef9eb0ae55ac07
	.section	.bss,"aw",@nobits
	.globl	__hip_cuid_6ef9eb0ae55ac07
__hip_cuid_6ef9eb0ae55ac07:
	.byte	0                               ; 0x0
	.size	__hip_cuid_6ef9eb0ae55ac07, 1

	.ident	"AMD clang version 19.0.0git (https://github.com/RadeonOpenCompute/llvm-project roc-6.4.0 25133 c7fe45cf4b819c5991fe208aaa96edf142730f1d)"
	.section	".note.GNU-stack","",@progbits
	.addrsig
	.addrsig_sym __hip_cuid_6ef9eb0ae55ac07
	.amdgpu_metadata
---
amdhsa.kernels:
  - .agpr_count:     0
    .args:
      - .address_space:  global
        .offset:         0
        .size:           8
        .value_kind:     global_buffer
      - .offset:         8
        .size:           4
        .value_kind:     by_value
      - .offset:         12
        .size:           12
        .value_kind:     by_value
      - .offset:         24
        .size:           4
        .value_kind:     hidden_block_count_x
      - .offset:         28
        .size:           4
        .value_kind:     hidden_block_count_y
      - .offset:         32
        .size:           4
        .value_kind:     hidden_block_count_z
      - .offset:         36
        .size:           2
        .value_kind:     hidden_group_size_x
      - .offset:         38
        .size:           2
        .value_kind:     hidden_group_size_y
      - .offset:         40
        .size:           2
        .value_kind:     hidden_group_size_z
      - .offset:         42
        .size:           2
        .value_kind:     hidden_remainder_x
      - .offset:         44
        .size:           2
        .value_kind:     hidden_remainder_y
      - .offset:         46
        .size:           2
        .value_kind:     hidden_remainder_z
      - .offset:         64
        .size:           8
        .value_kind:     hidden_global_offset_x
      - .offset:         72
        .size:           8
        .value_kind:     hidden_global_offset_y
      - .offset:         80
        .size:           8
        .value_kind:     hidden_global_offset_z
      - .offset:         88
        .size:           2
        .value_kind:     hidden_grid_dims
    .group_segment_fixed_size: 0
    .kernarg_segment_align: 8
    .kernarg_segment_size: 280
    .language:       OpenCL C
    .language_version:
      - 2
      - 0
    .max_flat_workgroup_size: 1024
    .name:           _ZN2at6native12_GLOBAL__N_129fill_index_and_segment_kernelEP15HIP_vector_typeIiLj2EEiNS_4cuda6detail10IntDividerIjEE
    .private_segment_fixed_size: 0
    .sgpr_count:     18
    .sgpr_spill_count: 0
    .symbol:         _ZN2at6native12_GLOBAL__N_129fill_index_and_segment_kernelEP15HIP_vector_typeIiLj2EEiNS_4cuda6detail10IntDividerIjEE.kd
    .uniform_work_group_size: 1
    .uses_dynamic_stack: false
    .vgpr_count:     18
    .vgpr_spill_count: 0
    .wavefront_size: 64
  - .agpr_count:     0
    .args:
      - .address_space:  global
        .offset:         0
        .size:           8
        .value_kind:     global_buffer
      - .offset:         8
        .size:           4
        .value_kind:     by_value
      - .offset:         12
        .size:           12
        .value_kind:     by_value
      - .offset:         24
        .size:           4
        .value_kind:     hidden_block_count_x
      - .offset:         28
        .size:           4
        .value_kind:     hidden_block_count_y
      - .offset:         32
        .size:           4
        .value_kind:     hidden_block_count_z
      - .offset:         36
        .size:           2
        .value_kind:     hidden_group_size_x
      - .offset:         38
        .size:           2
        .value_kind:     hidden_group_size_y
      - .offset:         40
        .size:           2
        .value_kind:     hidden_group_size_z
      - .offset:         42
        .size:           2
        .value_kind:     hidden_remainder_x
      - .offset:         44
        .size:           2
        .value_kind:     hidden_remainder_y
      - .offset:         46
        .size:           2
        .value_kind:     hidden_remainder_z
      - .offset:         64
        .size:           8
        .value_kind:     hidden_global_offset_x
      - .offset:         72
        .size:           8
        .value_kind:     hidden_global_offset_y
      - .offset:         80
        .size:           8
        .value_kind:     hidden_global_offset_z
      - .offset:         88
        .size:           2
        .value_kind:     hidden_grid_dims
    .group_segment_fixed_size: 0
    .kernarg_segment_align: 8
    .kernarg_segment_size: 280
    .language:       OpenCL C
    .language_version:
      - 2
      - 0
    .max_flat_workgroup_size: 1024
    .name:           _ZN2at6native12_GLOBAL__N_127fill_reverse_indices_kernelEPliNS_4cuda6detail10IntDividerIjEE
    .private_segment_fixed_size: 0
    .sgpr_count:     18
    .sgpr_spill_count: 0
    .symbol:         _ZN2at6native12_GLOBAL__N_127fill_reverse_indices_kernelEPliNS_4cuda6detail10IntDividerIjEE.kd
    .uniform_work_group_size: 1
    .uses_dynamic_stack: false
    .vgpr_count:     16
    .vgpr_spill_count: 0
    .wavefront_size: 64
  - .agpr_count:     0
    .args:
      - .address_space:  global
        .offset:         0
        .size:           8
        .value_kind:     global_buffer
      - .address_space:  global
        .offset:         8
        .size:           8
        .value_kind:     global_buffer
      - .address_space:  global
        .offset:         16
        .size:           8
        .value_kind:     global_buffer
      - .address_space:  global
        .offset:         24
        .size:           8
        .value_kind:     global_buffer
      - .offset:         32
        .size:           4
        .value_kind:     by_value
      - .offset:         36
        .size:           4
        .value_kind:     by_value
      - .offset:         40
        .size:           4
        .value_kind:     hidden_block_count_x
      - .offset:         44
        .size:           4
        .value_kind:     hidden_block_count_y
      - .offset:         48
        .size:           4
        .value_kind:     hidden_block_count_z
      - .offset:         52
        .size:           2
        .value_kind:     hidden_group_size_x
      - .offset:         54
        .size:           2
        .value_kind:     hidden_group_size_y
      - .offset:         56
        .size:           2
        .value_kind:     hidden_group_size_z
      - .offset:         58
        .size:           2
        .value_kind:     hidden_remainder_x
      - .offset:         60
        .size:           2
        .value_kind:     hidden_remainder_y
      - .offset:         62
        .size:           2
        .value_kind:     hidden_remainder_z
      - .offset:         80
        .size:           8
        .value_kind:     hidden_global_offset_x
      - .offset:         88
        .size:           8
        .value_kind:     hidden_global_offset_y
      - .offset:         96
        .size:           8
        .value_kind:     hidden_global_offset_z
      - .offset:         104
        .size:           2
        .value_kind:     hidden_grid_dims
    .group_segment_fixed_size: 0
    .kernarg_segment_align: 8
    .kernarg_segment_size: 296
    .language:       OpenCL C
    .language_version:
      - 2
      - 0
    .max_flat_workgroup_size: 1024
    .name:           _ZN2at6native12_GLOBAL__N_123sort_postprocess_kernelIhEEvPKT_PS3_PlPK15HIP_vector_typeIiLj2EEii
    .private_segment_fixed_size: 0
    .sgpr_count:     22
    .sgpr_spill_count: 0
    .symbol:         _ZN2at6native12_GLOBAL__N_123sort_postprocess_kernelIhEEvPKT_PS3_PlPK15HIP_vector_typeIiLj2EEii.kd
    .uniform_work_group_size: 1
    .uses_dynamic_stack: false
    .vgpr_count:     20
    .vgpr_spill_count: 0
    .wavefront_size: 64
  - .agpr_count:     0
    .args:
      - .address_space:  global
        .offset:         0
        .size:           8
        .value_kind:     global_buffer
      - .offset:         8
        .size:           4
        .value_kind:     by_value
      - .offset:         12
        .size:           1
        .value_kind:     by_value
      - .offset:         16
        .size:           4
        .value_kind:     by_value
      - .address_space:  global
        .offset:         24
        .size:           8
        .value_kind:     global_buffer
      - .offset:         32
        .size:           4
        .value_kind:     hidden_block_count_x
      - .offset:         36
        .size:           4
        .value_kind:     hidden_block_count_y
      - .offset:         40
        .size:           4
        .value_kind:     hidden_block_count_z
      - .offset:         44
        .size:           2
        .value_kind:     hidden_group_size_x
      - .offset:         46
        .size:           2
        .value_kind:     hidden_group_size_y
      - .offset:         48
        .size:           2
        .value_kind:     hidden_group_size_z
      - .offset:         50
        .size:           2
        .value_kind:     hidden_remainder_x
      - .offset:         52
        .size:           2
        .value_kind:     hidden_remainder_y
      - .offset:         54
        .size:           2
        .value_kind:     hidden_remainder_z
      - .offset:         72
        .size:           8
        .value_kind:     hidden_global_offset_x
      - .offset:         80
        .size:           8
        .value_kind:     hidden_global_offset_y
      - .offset:         88
        .size:           8
        .value_kind:     hidden_global_offset_z
      - .offset:         96
        .size:           2
        .value_kind:     hidden_grid_dims
    .group_segment_fixed_size: 0
    .kernarg_segment_align: 8
    .kernarg_segment_size: 288
    .language:       OpenCL C
    .language_version:
      - 2
      - 0
    .max_flat_workgroup_size: 256
    .name:           _ZN7rocprim17ROCPRIM_400000_NS6detail31init_lookback_scan_state_kernelINS1_19lookback_scan_stateI15HIP_vector_typeIjLj2EELb0ELb1EEENS1_16block_id_wrapperIjLb0EEEEEvT_jT0_jPNS9_10value_typeE
    .private_segment_fixed_size: 0
    .sgpr_count:     17
    .sgpr_spill_count: 0
    .symbol:         _ZN7rocprim17ROCPRIM_400000_NS6detail31init_lookback_scan_state_kernelINS1_19lookback_scan_stateI15HIP_vector_typeIjLj2EELb0ELb1EEENS1_16block_id_wrapperIjLb0EEEEEvT_jT0_jPNS9_10value_typeE.kd
    .uniform_work_group_size: 1
    .uses_dynamic_stack: false
    .vgpr_count:     10
    .vgpr_spill_count: 0
    .wavefront_size: 64
  - .agpr_count:     0
    .args:
      - .offset:         0
        .size:           176
        .value_kind:     by_value
    .group_segment_fixed_size: 0
    .kernarg_segment_align: 8
    .kernarg_segment_size: 176
    .language:       OpenCL C
    .language_version:
      - 2
      - 0
    .max_flat_workgroup_size: 256
    .name:           _ZN7rocprim17ROCPRIM_400000_NS6detail17trampoline_kernelINS0_13select_configILj256ELj13ELNS0_17block_load_methodE3ELS4_3ELS4_3ELNS0_20block_scan_algorithmE0ELj4294967295EEENS1_25partition_config_selectorILNS1_17partition_subalgoE4EjNS0_10empty_typeEbEEZZNS1_14partition_implILS8_4ELb0ES6_15HIP_vector_typeIjLj2EENS0_17counting_iteratorIjlEEPS9_SG_NS0_5tupleIJPjSI_NS0_16reverse_iteratorISI_EEEEENSH_IJSG_SG_SG_EEES9_SI_JZNS1_25segmented_radix_sort_implINS0_14default_configELb1EPKhPhPKlPlN2at6native12_GLOBAL__N_18offset_tEEE10hipError_tPvRmT1_PNSt15iterator_traitsIS12_E10value_typeET2_T3_PNS13_IS18_E10value_typeET4_jRbjT5_S1E_jjP12ihipStream_tbEUljE_ZNSN_ISO_Lb1ESQ_SR_ST_SU_SY_EESZ_S10_S11_S12_S16_S17_S18_S1B_S1C_jS1D_jS1E_S1E_jjS1G_bEUljE0_EEESZ_S10_S11_S18_S1C_S1E_T6_T7_T9_mT8_S1G_bDpT10_ENKUlT_T0_E_clISt17integral_constantIbLb0EES1U_EEDaS1P_S1Q_EUlS1P_E_NS1_11comp_targetILNS1_3genE0ELNS1_11target_archE4294967295ELNS1_3gpuE0ELNS1_3repE0EEENS1_30default_config_static_selectorELNS0_4arch9wavefront6targetE1EEEvS12_
    .private_segment_fixed_size: 0
    .sgpr_count:     4
    .sgpr_spill_count: 0
    .symbol:         _ZN7rocprim17ROCPRIM_400000_NS6detail17trampoline_kernelINS0_13select_configILj256ELj13ELNS0_17block_load_methodE3ELS4_3ELS4_3ELNS0_20block_scan_algorithmE0ELj4294967295EEENS1_25partition_config_selectorILNS1_17partition_subalgoE4EjNS0_10empty_typeEbEEZZNS1_14partition_implILS8_4ELb0ES6_15HIP_vector_typeIjLj2EENS0_17counting_iteratorIjlEEPS9_SG_NS0_5tupleIJPjSI_NS0_16reverse_iteratorISI_EEEEENSH_IJSG_SG_SG_EEES9_SI_JZNS1_25segmented_radix_sort_implINS0_14default_configELb1EPKhPhPKlPlN2at6native12_GLOBAL__N_18offset_tEEE10hipError_tPvRmT1_PNSt15iterator_traitsIS12_E10value_typeET2_T3_PNS13_IS18_E10value_typeET4_jRbjT5_S1E_jjP12ihipStream_tbEUljE_ZNSN_ISO_Lb1ESQ_SR_ST_SU_SY_EESZ_S10_S11_S12_S16_S17_S18_S1B_S1C_jS1D_jS1E_S1E_jjS1G_bEUljE0_EEESZ_S10_S11_S18_S1C_S1E_T6_T7_T9_mT8_S1G_bDpT10_ENKUlT_T0_E_clISt17integral_constantIbLb0EES1U_EEDaS1P_S1Q_EUlS1P_E_NS1_11comp_targetILNS1_3genE0ELNS1_11target_archE4294967295ELNS1_3gpuE0ELNS1_3repE0EEENS1_30default_config_static_selectorELNS0_4arch9wavefront6targetE1EEEvS12_.kd
    .uniform_work_group_size: 1
    .uses_dynamic_stack: false
    .vgpr_count:     0
    .vgpr_spill_count: 0
    .wavefront_size: 64
  - .agpr_count:     0
    .args:
      - .offset:         0
        .size:           176
        .value_kind:     by_value
    .group_segment_fixed_size: 0
    .kernarg_segment_align: 8
    .kernarg_segment_size: 176
    .language:       OpenCL C
    .language_version:
      - 2
      - 0
    .max_flat_workgroup_size: 256
    .name:           _ZN7rocprim17ROCPRIM_400000_NS6detail17trampoline_kernelINS0_13select_configILj256ELj13ELNS0_17block_load_methodE3ELS4_3ELS4_3ELNS0_20block_scan_algorithmE0ELj4294967295EEENS1_25partition_config_selectorILNS1_17partition_subalgoE4EjNS0_10empty_typeEbEEZZNS1_14partition_implILS8_4ELb0ES6_15HIP_vector_typeIjLj2EENS0_17counting_iteratorIjlEEPS9_SG_NS0_5tupleIJPjSI_NS0_16reverse_iteratorISI_EEEEENSH_IJSG_SG_SG_EEES9_SI_JZNS1_25segmented_radix_sort_implINS0_14default_configELb1EPKhPhPKlPlN2at6native12_GLOBAL__N_18offset_tEEE10hipError_tPvRmT1_PNSt15iterator_traitsIS12_E10value_typeET2_T3_PNS13_IS18_E10value_typeET4_jRbjT5_S1E_jjP12ihipStream_tbEUljE_ZNSN_ISO_Lb1ESQ_SR_ST_SU_SY_EESZ_S10_S11_S12_S16_S17_S18_S1B_S1C_jS1D_jS1E_S1E_jjS1G_bEUljE0_EEESZ_S10_S11_S18_S1C_S1E_T6_T7_T9_mT8_S1G_bDpT10_ENKUlT_T0_E_clISt17integral_constantIbLb0EES1U_EEDaS1P_S1Q_EUlS1P_E_NS1_11comp_targetILNS1_3genE5ELNS1_11target_archE942ELNS1_3gpuE9ELNS1_3repE0EEENS1_30default_config_static_selectorELNS0_4arch9wavefront6targetE1EEEvS12_
    .private_segment_fixed_size: 0
    .sgpr_count:     4
    .sgpr_spill_count: 0
    .symbol:         _ZN7rocprim17ROCPRIM_400000_NS6detail17trampoline_kernelINS0_13select_configILj256ELj13ELNS0_17block_load_methodE3ELS4_3ELS4_3ELNS0_20block_scan_algorithmE0ELj4294967295EEENS1_25partition_config_selectorILNS1_17partition_subalgoE4EjNS0_10empty_typeEbEEZZNS1_14partition_implILS8_4ELb0ES6_15HIP_vector_typeIjLj2EENS0_17counting_iteratorIjlEEPS9_SG_NS0_5tupleIJPjSI_NS0_16reverse_iteratorISI_EEEEENSH_IJSG_SG_SG_EEES9_SI_JZNS1_25segmented_radix_sort_implINS0_14default_configELb1EPKhPhPKlPlN2at6native12_GLOBAL__N_18offset_tEEE10hipError_tPvRmT1_PNSt15iterator_traitsIS12_E10value_typeET2_T3_PNS13_IS18_E10value_typeET4_jRbjT5_S1E_jjP12ihipStream_tbEUljE_ZNSN_ISO_Lb1ESQ_SR_ST_SU_SY_EESZ_S10_S11_S12_S16_S17_S18_S1B_S1C_jS1D_jS1E_S1E_jjS1G_bEUljE0_EEESZ_S10_S11_S18_S1C_S1E_T6_T7_T9_mT8_S1G_bDpT10_ENKUlT_T0_E_clISt17integral_constantIbLb0EES1U_EEDaS1P_S1Q_EUlS1P_E_NS1_11comp_targetILNS1_3genE5ELNS1_11target_archE942ELNS1_3gpuE9ELNS1_3repE0EEENS1_30default_config_static_selectorELNS0_4arch9wavefront6targetE1EEEvS12_.kd
    .uniform_work_group_size: 1
    .uses_dynamic_stack: false
    .vgpr_count:     0
    .vgpr_spill_count: 0
    .wavefront_size: 64
  - .agpr_count:     0
    .args:
      - .offset:         0
        .size:           176
        .value_kind:     by_value
    .group_segment_fixed_size: 13340
    .kernarg_segment_align: 8
    .kernarg_segment_size: 176
    .language:       OpenCL C
    .language_version:
      - 2
      - 0
    .max_flat_workgroup_size: 256
    .name:           _ZN7rocprim17ROCPRIM_400000_NS6detail17trampoline_kernelINS0_13select_configILj256ELj13ELNS0_17block_load_methodE3ELS4_3ELS4_3ELNS0_20block_scan_algorithmE0ELj4294967295EEENS1_25partition_config_selectorILNS1_17partition_subalgoE4EjNS0_10empty_typeEbEEZZNS1_14partition_implILS8_4ELb0ES6_15HIP_vector_typeIjLj2EENS0_17counting_iteratorIjlEEPS9_SG_NS0_5tupleIJPjSI_NS0_16reverse_iteratorISI_EEEEENSH_IJSG_SG_SG_EEES9_SI_JZNS1_25segmented_radix_sort_implINS0_14default_configELb1EPKhPhPKlPlN2at6native12_GLOBAL__N_18offset_tEEE10hipError_tPvRmT1_PNSt15iterator_traitsIS12_E10value_typeET2_T3_PNS13_IS18_E10value_typeET4_jRbjT5_S1E_jjP12ihipStream_tbEUljE_ZNSN_ISO_Lb1ESQ_SR_ST_SU_SY_EESZ_S10_S11_S12_S16_S17_S18_S1B_S1C_jS1D_jS1E_S1E_jjS1G_bEUljE0_EEESZ_S10_S11_S18_S1C_S1E_T6_T7_T9_mT8_S1G_bDpT10_ENKUlT_T0_E_clISt17integral_constantIbLb0EES1U_EEDaS1P_S1Q_EUlS1P_E_NS1_11comp_targetILNS1_3genE4ELNS1_11target_archE910ELNS1_3gpuE8ELNS1_3repE0EEENS1_30default_config_static_selectorELNS0_4arch9wavefront6targetE1EEEvS12_
    .private_segment_fixed_size: 0
    .sgpr_count:     94
    .sgpr_spill_count: 0
    .symbol:         _ZN7rocprim17ROCPRIM_400000_NS6detail17trampoline_kernelINS0_13select_configILj256ELj13ELNS0_17block_load_methodE3ELS4_3ELS4_3ELNS0_20block_scan_algorithmE0ELj4294967295EEENS1_25partition_config_selectorILNS1_17partition_subalgoE4EjNS0_10empty_typeEbEEZZNS1_14partition_implILS8_4ELb0ES6_15HIP_vector_typeIjLj2EENS0_17counting_iteratorIjlEEPS9_SG_NS0_5tupleIJPjSI_NS0_16reverse_iteratorISI_EEEEENSH_IJSG_SG_SG_EEES9_SI_JZNS1_25segmented_radix_sort_implINS0_14default_configELb1EPKhPhPKlPlN2at6native12_GLOBAL__N_18offset_tEEE10hipError_tPvRmT1_PNSt15iterator_traitsIS12_E10value_typeET2_T3_PNS13_IS18_E10value_typeET4_jRbjT5_S1E_jjP12ihipStream_tbEUljE_ZNSN_ISO_Lb1ESQ_SR_ST_SU_SY_EESZ_S10_S11_S12_S16_S17_S18_S1B_S1C_jS1D_jS1E_S1E_jjS1G_bEUljE0_EEESZ_S10_S11_S18_S1C_S1E_T6_T7_T9_mT8_S1G_bDpT10_ENKUlT_T0_E_clISt17integral_constantIbLb0EES1U_EEDaS1P_S1Q_EUlS1P_E_NS1_11comp_targetILNS1_3genE4ELNS1_11target_archE910ELNS1_3gpuE8ELNS1_3repE0EEENS1_30default_config_static_selectorELNS0_4arch9wavefront6targetE1EEEvS12_.kd
    .uniform_work_group_size: 1
    .uses_dynamic_stack: false
    .vgpr_count:     102
    .vgpr_spill_count: 0
    .wavefront_size: 64
  - .agpr_count:     0
    .args:
      - .offset:         0
        .size:           176
        .value_kind:     by_value
    .group_segment_fixed_size: 0
    .kernarg_segment_align: 8
    .kernarg_segment_size: 176
    .language:       OpenCL C
    .language_version:
      - 2
      - 0
    .max_flat_workgroup_size: 256
    .name:           _ZN7rocprim17ROCPRIM_400000_NS6detail17trampoline_kernelINS0_13select_configILj256ELj13ELNS0_17block_load_methodE3ELS4_3ELS4_3ELNS0_20block_scan_algorithmE0ELj4294967295EEENS1_25partition_config_selectorILNS1_17partition_subalgoE4EjNS0_10empty_typeEbEEZZNS1_14partition_implILS8_4ELb0ES6_15HIP_vector_typeIjLj2EENS0_17counting_iteratorIjlEEPS9_SG_NS0_5tupleIJPjSI_NS0_16reverse_iteratorISI_EEEEENSH_IJSG_SG_SG_EEES9_SI_JZNS1_25segmented_radix_sort_implINS0_14default_configELb1EPKhPhPKlPlN2at6native12_GLOBAL__N_18offset_tEEE10hipError_tPvRmT1_PNSt15iterator_traitsIS12_E10value_typeET2_T3_PNS13_IS18_E10value_typeET4_jRbjT5_S1E_jjP12ihipStream_tbEUljE_ZNSN_ISO_Lb1ESQ_SR_ST_SU_SY_EESZ_S10_S11_S12_S16_S17_S18_S1B_S1C_jS1D_jS1E_S1E_jjS1G_bEUljE0_EEESZ_S10_S11_S18_S1C_S1E_T6_T7_T9_mT8_S1G_bDpT10_ENKUlT_T0_E_clISt17integral_constantIbLb0EES1U_EEDaS1P_S1Q_EUlS1P_E_NS1_11comp_targetILNS1_3genE3ELNS1_11target_archE908ELNS1_3gpuE7ELNS1_3repE0EEENS1_30default_config_static_selectorELNS0_4arch9wavefront6targetE1EEEvS12_
    .private_segment_fixed_size: 0
    .sgpr_count:     4
    .sgpr_spill_count: 0
    .symbol:         _ZN7rocprim17ROCPRIM_400000_NS6detail17trampoline_kernelINS0_13select_configILj256ELj13ELNS0_17block_load_methodE3ELS4_3ELS4_3ELNS0_20block_scan_algorithmE0ELj4294967295EEENS1_25partition_config_selectorILNS1_17partition_subalgoE4EjNS0_10empty_typeEbEEZZNS1_14partition_implILS8_4ELb0ES6_15HIP_vector_typeIjLj2EENS0_17counting_iteratorIjlEEPS9_SG_NS0_5tupleIJPjSI_NS0_16reverse_iteratorISI_EEEEENSH_IJSG_SG_SG_EEES9_SI_JZNS1_25segmented_radix_sort_implINS0_14default_configELb1EPKhPhPKlPlN2at6native12_GLOBAL__N_18offset_tEEE10hipError_tPvRmT1_PNSt15iterator_traitsIS12_E10value_typeET2_T3_PNS13_IS18_E10value_typeET4_jRbjT5_S1E_jjP12ihipStream_tbEUljE_ZNSN_ISO_Lb1ESQ_SR_ST_SU_SY_EESZ_S10_S11_S12_S16_S17_S18_S1B_S1C_jS1D_jS1E_S1E_jjS1G_bEUljE0_EEESZ_S10_S11_S18_S1C_S1E_T6_T7_T9_mT8_S1G_bDpT10_ENKUlT_T0_E_clISt17integral_constantIbLb0EES1U_EEDaS1P_S1Q_EUlS1P_E_NS1_11comp_targetILNS1_3genE3ELNS1_11target_archE908ELNS1_3gpuE7ELNS1_3repE0EEENS1_30default_config_static_selectorELNS0_4arch9wavefront6targetE1EEEvS12_.kd
    .uniform_work_group_size: 1
    .uses_dynamic_stack: false
    .vgpr_count:     0
    .vgpr_spill_count: 0
    .wavefront_size: 64
  - .agpr_count:     0
    .args:
      - .offset:         0
        .size:           176
        .value_kind:     by_value
    .group_segment_fixed_size: 0
    .kernarg_segment_align: 8
    .kernarg_segment_size: 176
    .language:       OpenCL C
    .language_version:
      - 2
      - 0
    .max_flat_workgroup_size: 256
    .name:           _ZN7rocprim17ROCPRIM_400000_NS6detail17trampoline_kernelINS0_13select_configILj256ELj13ELNS0_17block_load_methodE3ELS4_3ELS4_3ELNS0_20block_scan_algorithmE0ELj4294967295EEENS1_25partition_config_selectorILNS1_17partition_subalgoE4EjNS0_10empty_typeEbEEZZNS1_14partition_implILS8_4ELb0ES6_15HIP_vector_typeIjLj2EENS0_17counting_iteratorIjlEEPS9_SG_NS0_5tupleIJPjSI_NS0_16reverse_iteratorISI_EEEEENSH_IJSG_SG_SG_EEES9_SI_JZNS1_25segmented_radix_sort_implINS0_14default_configELb1EPKhPhPKlPlN2at6native12_GLOBAL__N_18offset_tEEE10hipError_tPvRmT1_PNSt15iterator_traitsIS12_E10value_typeET2_T3_PNS13_IS18_E10value_typeET4_jRbjT5_S1E_jjP12ihipStream_tbEUljE_ZNSN_ISO_Lb1ESQ_SR_ST_SU_SY_EESZ_S10_S11_S12_S16_S17_S18_S1B_S1C_jS1D_jS1E_S1E_jjS1G_bEUljE0_EEESZ_S10_S11_S18_S1C_S1E_T6_T7_T9_mT8_S1G_bDpT10_ENKUlT_T0_E_clISt17integral_constantIbLb0EES1U_EEDaS1P_S1Q_EUlS1P_E_NS1_11comp_targetILNS1_3genE2ELNS1_11target_archE906ELNS1_3gpuE6ELNS1_3repE0EEENS1_30default_config_static_selectorELNS0_4arch9wavefront6targetE1EEEvS12_
    .private_segment_fixed_size: 0
    .sgpr_count:     4
    .sgpr_spill_count: 0
    .symbol:         _ZN7rocprim17ROCPRIM_400000_NS6detail17trampoline_kernelINS0_13select_configILj256ELj13ELNS0_17block_load_methodE3ELS4_3ELS4_3ELNS0_20block_scan_algorithmE0ELj4294967295EEENS1_25partition_config_selectorILNS1_17partition_subalgoE4EjNS0_10empty_typeEbEEZZNS1_14partition_implILS8_4ELb0ES6_15HIP_vector_typeIjLj2EENS0_17counting_iteratorIjlEEPS9_SG_NS0_5tupleIJPjSI_NS0_16reverse_iteratorISI_EEEEENSH_IJSG_SG_SG_EEES9_SI_JZNS1_25segmented_radix_sort_implINS0_14default_configELb1EPKhPhPKlPlN2at6native12_GLOBAL__N_18offset_tEEE10hipError_tPvRmT1_PNSt15iterator_traitsIS12_E10value_typeET2_T3_PNS13_IS18_E10value_typeET4_jRbjT5_S1E_jjP12ihipStream_tbEUljE_ZNSN_ISO_Lb1ESQ_SR_ST_SU_SY_EESZ_S10_S11_S12_S16_S17_S18_S1B_S1C_jS1D_jS1E_S1E_jjS1G_bEUljE0_EEESZ_S10_S11_S18_S1C_S1E_T6_T7_T9_mT8_S1G_bDpT10_ENKUlT_T0_E_clISt17integral_constantIbLb0EES1U_EEDaS1P_S1Q_EUlS1P_E_NS1_11comp_targetILNS1_3genE2ELNS1_11target_archE906ELNS1_3gpuE6ELNS1_3repE0EEENS1_30default_config_static_selectorELNS0_4arch9wavefront6targetE1EEEvS12_.kd
    .uniform_work_group_size: 1
    .uses_dynamic_stack: false
    .vgpr_count:     0
    .vgpr_spill_count: 0
    .wavefront_size: 64
  - .agpr_count:     0
    .args:
      - .offset:         0
        .size:           176
        .value_kind:     by_value
    .group_segment_fixed_size: 0
    .kernarg_segment_align: 8
    .kernarg_segment_size: 176
    .language:       OpenCL C
    .language_version:
      - 2
      - 0
    .max_flat_workgroup_size: 256
    .name:           _ZN7rocprim17ROCPRIM_400000_NS6detail17trampoline_kernelINS0_13select_configILj256ELj13ELNS0_17block_load_methodE3ELS4_3ELS4_3ELNS0_20block_scan_algorithmE0ELj4294967295EEENS1_25partition_config_selectorILNS1_17partition_subalgoE4EjNS0_10empty_typeEbEEZZNS1_14partition_implILS8_4ELb0ES6_15HIP_vector_typeIjLj2EENS0_17counting_iteratorIjlEEPS9_SG_NS0_5tupleIJPjSI_NS0_16reverse_iteratorISI_EEEEENSH_IJSG_SG_SG_EEES9_SI_JZNS1_25segmented_radix_sort_implINS0_14default_configELb1EPKhPhPKlPlN2at6native12_GLOBAL__N_18offset_tEEE10hipError_tPvRmT1_PNSt15iterator_traitsIS12_E10value_typeET2_T3_PNS13_IS18_E10value_typeET4_jRbjT5_S1E_jjP12ihipStream_tbEUljE_ZNSN_ISO_Lb1ESQ_SR_ST_SU_SY_EESZ_S10_S11_S12_S16_S17_S18_S1B_S1C_jS1D_jS1E_S1E_jjS1G_bEUljE0_EEESZ_S10_S11_S18_S1C_S1E_T6_T7_T9_mT8_S1G_bDpT10_ENKUlT_T0_E_clISt17integral_constantIbLb0EES1U_EEDaS1P_S1Q_EUlS1P_E_NS1_11comp_targetILNS1_3genE10ELNS1_11target_archE1200ELNS1_3gpuE4ELNS1_3repE0EEENS1_30default_config_static_selectorELNS0_4arch9wavefront6targetE1EEEvS12_
    .private_segment_fixed_size: 0
    .sgpr_count:     4
    .sgpr_spill_count: 0
    .symbol:         _ZN7rocprim17ROCPRIM_400000_NS6detail17trampoline_kernelINS0_13select_configILj256ELj13ELNS0_17block_load_methodE3ELS4_3ELS4_3ELNS0_20block_scan_algorithmE0ELj4294967295EEENS1_25partition_config_selectorILNS1_17partition_subalgoE4EjNS0_10empty_typeEbEEZZNS1_14partition_implILS8_4ELb0ES6_15HIP_vector_typeIjLj2EENS0_17counting_iteratorIjlEEPS9_SG_NS0_5tupleIJPjSI_NS0_16reverse_iteratorISI_EEEEENSH_IJSG_SG_SG_EEES9_SI_JZNS1_25segmented_radix_sort_implINS0_14default_configELb1EPKhPhPKlPlN2at6native12_GLOBAL__N_18offset_tEEE10hipError_tPvRmT1_PNSt15iterator_traitsIS12_E10value_typeET2_T3_PNS13_IS18_E10value_typeET4_jRbjT5_S1E_jjP12ihipStream_tbEUljE_ZNSN_ISO_Lb1ESQ_SR_ST_SU_SY_EESZ_S10_S11_S12_S16_S17_S18_S1B_S1C_jS1D_jS1E_S1E_jjS1G_bEUljE0_EEESZ_S10_S11_S18_S1C_S1E_T6_T7_T9_mT8_S1G_bDpT10_ENKUlT_T0_E_clISt17integral_constantIbLb0EES1U_EEDaS1P_S1Q_EUlS1P_E_NS1_11comp_targetILNS1_3genE10ELNS1_11target_archE1200ELNS1_3gpuE4ELNS1_3repE0EEENS1_30default_config_static_selectorELNS0_4arch9wavefront6targetE1EEEvS12_.kd
    .uniform_work_group_size: 1
    .uses_dynamic_stack: false
    .vgpr_count:     0
    .vgpr_spill_count: 0
    .wavefront_size: 64
  - .agpr_count:     0
    .args:
      - .offset:         0
        .size:           176
        .value_kind:     by_value
    .group_segment_fixed_size: 0
    .kernarg_segment_align: 8
    .kernarg_segment_size: 176
    .language:       OpenCL C
    .language_version:
      - 2
      - 0
    .max_flat_workgroup_size: 256
    .name:           _ZN7rocprim17ROCPRIM_400000_NS6detail17trampoline_kernelINS0_13select_configILj256ELj13ELNS0_17block_load_methodE3ELS4_3ELS4_3ELNS0_20block_scan_algorithmE0ELj4294967295EEENS1_25partition_config_selectorILNS1_17partition_subalgoE4EjNS0_10empty_typeEbEEZZNS1_14partition_implILS8_4ELb0ES6_15HIP_vector_typeIjLj2EENS0_17counting_iteratorIjlEEPS9_SG_NS0_5tupleIJPjSI_NS0_16reverse_iteratorISI_EEEEENSH_IJSG_SG_SG_EEES9_SI_JZNS1_25segmented_radix_sort_implINS0_14default_configELb1EPKhPhPKlPlN2at6native12_GLOBAL__N_18offset_tEEE10hipError_tPvRmT1_PNSt15iterator_traitsIS12_E10value_typeET2_T3_PNS13_IS18_E10value_typeET4_jRbjT5_S1E_jjP12ihipStream_tbEUljE_ZNSN_ISO_Lb1ESQ_SR_ST_SU_SY_EESZ_S10_S11_S12_S16_S17_S18_S1B_S1C_jS1D_jS1E_S1E_jjS1G_bEUljE0_EEESZ_S10_S11_S18_S1C_S1E_T6_T7_T9_mT8_S1G_bDpT10_ENKUlT_T0_E_clISt17integral_constantIbLb0EES1U_EEDaS1P_S1Q_EUlS1P_E_NS1_11comp_targetILNS1_3genE9ELNS1_11target_archE1100ELNS1_3gpuE3ELNS1_3repE0EEENS1_30default_config_static_selectorELNS0_4arch9wavefront6targetE1EEEvS12_
    .private_segment_fixed_size: 0
    .sgpr_count:     4
    .sgpr_spill_count: 0
    .symbol:         _ZN7rocprim17ROCPRIM_400000_NS6detail17trampoline_kernelINS0_13select_configILj256ELj13ELNS0_17block_load_methodE3ELS4_3ELS4_3ELNS0_20block_scan_algorithmE0ELj4294967295EEENS1_25partition_config_selectorILNS1_17partition_subalgoE4EjNS0_10empty_typeEbEEZZNS1_14partition_implILS8_4ELb0ES6_15HIP_vector_typeIjLj2EENS0_17counting_iteratorIjlEEPS9_SG_NS0_5tupleIJPjSI_NS0_16reverse_iteratorISI_EEEEENSH_IJSG_SG_SG_EEES9_SI_JZNS1_25segmented_radix_sort_implINS0_14default_configELb1EPKhPhPKlPlN2at6native12_GLOBAL__N_18offset_tEEE10hipError_tPvRmT1_PNSt15iterator_traitsIS12_E10value_typeET2_T3_PNS13_IS18_E10value_typeET4_jRbjT5_S1E_jjP12ihipStream_tbEUljE_ZNSN_ISO_Lb1ESQ_SR_ST_SU_SY_EESZ_S10_S11_S12_S16_S17_S18_S1B_S1C_jS1D_jS1E_S1E_jjS1G_bEUljE0_EEESZ_S10_S11_S18_S1C_S1E_T6_T7_T9_mT8_S1G_bDpT10_ENKUlT_T0_E_clISt17integral_constantIbLb0EES1U_EEDaS1P_S1Q_EUlS1P_E_NS1_11comp_targetILNS1_3genE9ELNS1_11target_archE1100ELNS1_3gpuE3ELNS1_3repE0EEENS1_30default_config_static_selectorELNS0_4arch9wavefront6targetE1EEEvS12_.kd
    .uniform_work_group_size: 1
    .uses_dynamic_stack: false
    .vgpr_count:     0
    .vgpr_spill_count: 0
    .wavefront_size: 64
  - .agpr_count:     0
    .args:
      - .offset:         0
        .size:           176
        .value_kind:     by_value
    .group_segment_fixed_size: 0
    .kernarg_segment_align: 8
    .kernarg_segment_size: 176
    .language:       OpenCL C
    .language_version:
      - 2
      - 0
    .max_flat_workgroup_size: 256
    .name:           _ZN7rocprim17ROCPRIM_400000_NS6detail17trampoline_kernelINS0_13select_configILj256ELj13ELNS0_17block_load_methodE3ELS4_3ELS4_3ELNS0_20block_scan_algorithmE0ELj4294967295EEENS1_25partition_config_selectorILNS1_17partition_subalgoE4EjNS0_10empty_typeEbEEZZNS1_14partition_implILS8_4ELb0ES6_15HIP_vector_typeIjLj2EENS0_17counting_iteratorIjlEEPS9_SG_NS0_5tupleIJPjSI_NS0_16reverse_iteratorISI_EEEEENSH_IJSG_SG_SG_EEES9_SI_JZNS1_25segmented_radix_sort_implINS0_14default_configELb1EPKhPhPKlPlN2at6native12_GLOBAL__N_18offset_tEEE10hipError_tPvRmT1_PNSt15iterator_traitsIS12_E10value_typeET2_T3_PNS13_IS18_E10value_typeET4_jRbjT5_S1E_jjP12ihipStream_tbEUljE_ZNSN_ISO_Lb1ESQ_SR_ST_SU_SY_EESZ_S10_S11_S12_S16_S17_S18_S1B_S1C_jS1D_jS1E_S1E_jjS1G_bEUljE0_EEESZ_S10_S11_S18_S1C_S1E_T6_T7_T9_mT8_S1G_bDpT10_ENKUlT_T0_E_clISt17integral_constantIbLb0EES1U_EEDaS1P_S1Q_EUlS1P_E_NS1_11comp_targetILNS1_3genE8ELNS1_11target_archE1030ELNS1_3gpuE2ELNS1_3repE0EEENS1_30default_config_static_selectorELNS0_4arch9wavefront6targetE1EEEvS12_
    .private_segment_fixed_size: 0
    .sgpr_count:     4
    .sgpr_spill_count: 0
    .symbol:         _ZN7rocprim17ROCPRIM_400000_NS6detail17trampoline_kernelINS0_13select_configILj256ELj13ELNS0_17block_load_methodE3ELS4_3ELS4_3ELNS0_20block_scan_algorithmE0ELj4294967295EEENS1_25partition_config_selectorILNS1_17partition_subalgoE4EjNS0_10empty_typeEbEEZZNS1_14partition_implILS8_4ELb0ES6_15HIP_vector_typeIjLj2EENS0_17counting_iteratorIjlEEPS9_SG_NS0_5tupleIJPjSI_NS0_16reverse_iteratorISI_EEEEENSH_IJSG_SG_SG_EEES9_SI_JZNS1_25segmented_radix_sort_implINS0_14default_configELb1EPKhPhPKlPlN2at6native12_GLOBAL__N_18offset_tEEE10hipError_tPvRmT1_PNSt15iterator_traitsIS12_E10value_typeET2_T3_PNS13_IS18_E10value_typeET4_jRbjT5_S1E_jjP12ihipStream_tbEUljE_ZNSN_ISO_Lb1ESQ_SR_ST_SU_SY_EESZ_S10_S11_S12_S16_S17_S18_S1B_S1C_jS1D_jS1E_S1E_jjS1G_bEUljE0_EEESZ_S10_S11_S18_S1C_S1E_T6_T7_T9_mT8_S1G_bDpT10_ENKUlT_T0_E_clISt17integral_constantIbLb0EES1U_EEDaS1P_S1Q_EUlS1P_E_NS1_11comp_targetILNS1_3genE8ELNS1_11target_archE1030ELNS1_3gpuE2ELNS1_3repE0EEENS1_30default_config_static_selectorELNS0_4arch9wavefront6targetE1EEEvS12_.kd
    .uniform_work_group_size: 1
    .uses_dynamic_stack: false
    .vgpr_count:     0
    .vgpr_spill_count: 0
    .wavefront_size: 64
  - .agpr_count:     0
    .args:
      - .offset:         0
        .size:           40
        .value_kind:     by_value
    .group_segment_fixed_size: 0
    .kernarg_segment_align: 8
    .kernarg_segment_size: 40
    .language:       OpenCL C
    .language_version:
      - 2
      - 0
    .max_flat_workgroup_size: 128
    .name:           _ZN7rocprim17ROCPRIM_400000_NS6detail17trampoline_kernelINS0_14default_configENS1_25transform_config_selectorImLb1EEEZNS1_14transform_implILb1ES3_S5_PmPjNS0_8identityIvEEEE10hipError_tT2_T3_mT4_P12ihipStream_tbEUlT_E_NS1_11comp_targetILNS1_3genE0ELNS1_11target_archE4294967295ELNS1_3gpuE0ELNS1_3repE0EEENS1_30default_config_static_selectorELNS0_4arch9wavefront6targetE1EEEvT1_
    .private_segment_fixed_size: 0
    .sgpr_count:     4
    .sgpr_spill_count: 0
    .symbol:         _ZN7rocprim17ROCPRIM_400000_NS6detail17trampoline_kernelINS0_14default_configENS1_25transform_config_selectorImLb1EEEZNS1_14transform_implILb1ES3_S5_PmPjNS0_8identityIvEEEE10hipError_tT2_T3_mT4_P12ihipStream_tbEUlT_E_NS1_11comp_targetILNS1_3genE0ELNS1_11target_archE4294967295ELNS1_3gpuE0ELNS1_3repE0EEENS1_30default_config_static_selectorELNS0_4arch9wavefront6targetE1EEEvT1_.kd
    .uniform_work_group_size: 1
    .uses_dynamic_stack: false
    .vgpr_count:     0
    .vgpr_spill_count: 0
    .wavefront_size: 64
  - .agpr_count:     0
    .args:
      - .offset:         0
        .size:           40
        .value_kind:     by_value
    .group_segment_fixed_size: 0
    .kernarg_segment_align: 8
    .kernarg_segment_size: 40
    .language:       OpenCL C
    .language_version:
      - 2
      - 0
    .max_flat_workgroup_size: 1024
    .name:           _ZN7rocprim17ROCPRIM_400000_NS6detail17trampoline_kernelINS0_14default_configENS1_25transform_config_selectorImLb1EEEZNS1_14transform_implILb1ES3_S5_PmPjNS0_8identityIvEEEE10hipError_tT2_T3_mT4_P12ihipStream_tbEUlT_E_NS1_11comp_targetILNS1_3genE10ELNS1_11target_archE1201ELNS1_3gpuE5ELNS1_3repE0EEENS1_30default_config_static_selectorELNS0_4arch9wavefront6targetE1EEEvT1_
    .private_segment_fixed_size: 0
    .sgpr_count:     4
    .sgpr_spill_count: 0
    .symbol:         _ZN7rocprim17ROCPRIM_400000_NS6detail17trampoline_kernelINS0_14default_configENS1_25transform_config_selectorImLb1EEEZNS1_14transform_implILb1ES3_S5_PmPjNS0_8identityIvEEEE10hipError_tT2_T3_mT4_P12ihipStream_tbEUlT_E_NS1_11comp_targetILNS1_3genE10ELNS1_11target_archE1201ELNS1_3gpuE5ELNS1_3repE0EEENS1_30default_config_static_selectorELNS0_4arch9wavefront6targetE1EEEvT1_.kd
    .uniform_work_group_size: 1
    .uses_dynamic_stack: false
    .vgpr_count:     0
    .vgpr_spill_count: 0
    .wavefront_size: 64
  - .agpr_count:     0
    .args:
      - .offset:         0
        .size:           40
        .value_kind:     by_value
    .group_segment_fixed_size: 0
    .kernarg_segment_align: 8
    .kernarg_segment_size: 40
    .language:       OpenCL C
    .language_version:
      - 2
      - 0
    .max_flat_workgroup_size: 512
    .name:           _ZN7rocprim17ROCPRIM_400000_NS6detail17trampoline_kernelINS0_14default_configENS1_25transform_config_selectorImLb1EEEZNS1_14transform_implILb1ES3_S5_PmPjNS0_8identityIvEEEE10hipError_tT2_T3_mT4_P12ihipStream_tbEUlT_E_NS1_11comp_targetILNS1_3genE5ELNS1_11target_archE942ELNS1_3gpuE9ELNS1_3repE0EEENS1_30default_config_static_selectorELNS0_4arch9wavefront6targetE1EEEvT1_
    .private_segment_fixed_size: 0
    .sgpr_count:     4
    .sgpr_spill_count: 0
    .symbol:         _ZN7rocprim17ROCPRIM_400000_NS6detail17trampoline_kernelINS0_14default_configENS1_25transform_config_selectorImLb1EEEZNS1_14transform_implILb1ES3_S5_PmPjNS0_8identityIvEEEE10hipError_tT2_T3_mT4_P12ihipStream_tbEUlT_E_NS1_11comp_targetILNS1_3genE5ELNS1_11target_archE942ELNS1_3gpuE9ELNS1_3repE0EEENS1_30default_config_static_selectorELNS0_4arch9wavefront6targetE1EEEvT1_.kd
    .uniform_work_group_size: 1
    .uses_dynamic_stack: false
    .vgpr_count:     0
    .vgpr_spill_count: 0
    .wavefront_size: 64
  - .agpr_count:     0
    .args:
      - .offset:         0
        .size:           40
        .value_kind:     by_value
      - .offset:         40
        .size:           4
        .value_kind:     hidden_block_count_x
      - .offset:         44
        .size:           4
        .value_kind:     hidden_block_count_y
      - .offset:         48
        .size:           4
        .value_kind:     hidden_block_count_z
      - .offset:         52
        .size:           2
        .value_kind:     hidden_group_size_x
      - .offset:         54
        .size:           2
        .value_kind:     hidden_group_size_y
      - .offset:         56
        .size:           2
        .value_kind:     hidden_group_size_z
      - .offset:         58
        .size:           2
        .value_kind:     hidden_remainder_x
      - .offset:         60
        .size:           2
        .value_kind:     hidden_remainder_y
      - .offset:         62
        .size:           2
        .value_kind:     hidden_remainder_z
      - .offset:         80
        .size:           8
        .value_kind:     hidden_global_offset_x
      - .offset:         88
        .size:           8
        .value_kind:     hidden_global_offset_y
      - .offset:         96
        .size:           8
        .value_kind:     hidden_global_offset_z
      - .offset:         104
        .size:           2
        .value_kind:     hidden_grid_dims
    .group_segment_fixed_size: 0
    .kernarg_segment_align: 8
    .kernarg_segment_size: 296
    .language:       OpenCL C
    .language_version:
      - 2
      - 0
    .max_flat_workgroup_size: 1024
    .name:           _ZN7rocprim17ROCPRIM_400000_NS6detail17trampoline_kernelINS0_14default_configENS1_25transform_config_selectorImLb1EEEZNS1_14transform_implILb1ES3_S5_PmPjNS0_8identityIvEEEE10hipError_tT2_T3_mT4_P12ihipStream_tbEUlT_E_NS1_11comp_targetILNS1_3genE4ELNS1_11target_archE910ELNS1_3gpuE8ELNS1_3repE0EEENS1_30default_config_static_selectorELNS0_4arch9wavefront6targetE1EEEvT1_
    .private_segment_fixed_size: 0
    .sgpr_count:     20
    .sgpr_spill_count: 0
    .symbol:         _ZN7rocprim17ROCPRIM_400000_NS6detail17trampoline_kernelINS0_14default_configENS1_25transform_config_selectorImLb1EEEZNS1_14transform_implILb1ES3_S5_PmPjNS0_8identityIvEEEE10hipError_tT2_T3_mT4_P12ihipStream_tbEUlT_E_NS1_11comp_targetILNS1_3genE4ELNS1_11target_archE910ELNS1_3gpuE8ELNS1_3repE0EEENS1_30default_config_static_selectorELNS0_4arch9wavefront6targetE1EEEvT1_.kd
    .uniform_work_group_size: 1
    .uses_dynamic_stack: false
    .vgpr_count:     6
    .vgpr_spill_count: 0
    .wavefront_size: 64
  - .agpr_count:     0
    .args:
      - .offset:         0
        .size:           40
        .value_kind:     by_value
    .group_segment_fixed_size: 0
    .kernarg_segment_align: 8
    .kernarg_segment_size: 40
    .language:       OpenCL C
    .language_version:
      - 2
      - 0
    .max_flat_workgroup_size: 128
    .name:           _ZN7rocprim17ROCPRIM_400000_NS6detail17trampoline_kernelINS0_14default_configENS1_25transform_config_selectorImLb1EEEZNS1_14transform_implILb1ES3_S5_PmPjNS0_8identityIvEEEE10hipError_tT2_T3_mT4_P12ihipStream_tbEUlT_E_NS1_11comp_targetILNS1_3genE3ELNS1_11target_archE908ELNS1_3gpuE7ELNS1_3repE0EEENS1_30default_config_static_selectorELNS0_4arch9wavefront6targetE1EEEvT1_
    .private_segment_fixed_size: 0
    .sgpr_count:     4
    .sgpr_spill_count: 0
    .symbol:         _ZN7rocprim17ROCPRIM_400000_NS6detail17trampoline_kernelINS0_14default_configENS1_25transform_config_selectorImLb1EEEZNS1_14transform_implILb1ES3_S5_PmPjNS0_8identityIvEEEE10hipError_tT2_T3_mT4_P12ihipStream_tbEUlT_E_NS1_11comp_targetILNS1_3genE3ELNS1_11target_archE908ELNS1_3gpuE7ELNS1_3repE0EEENS1_30default_config_static_selectorELNS0_4arch9wavefront6targetE1EEEvT1_.kd
    .uniform_work_group_size: 1
    .uses_dynamic_stack: false
    .vgpr_count:     0
    .vgpr_spill_count: 0
    .wavefront_size: 64
  - .agpr_count:     0
    .args:
      - .offset:         0
        .size:           40
        .value_kind:     by_value
    .group_segment_fixed_size: 0
    .kernarg_segment_align: 8
    .kernarg_segment_size: 40
    .language:       OpenCL C
    .language_version:
      - 2
      - 0
    .max_flat_workgroup_size: 512
    .name:           _ZN7rocprim17ROCPRIM_400000_NS6detail17trampoline_kernelINS0_14default_configENS1_25transform_config_selectorImLb1EEEZNS1_14transform_implILb1ES3_S5_PmPjNS0_8identityIvEEEE10hipError_tT2_T3_mT4_P12ihipStream_tbEUlT_E_NS1_11comp_targetILNS1_3genE2ELNS1_11target_archE906ELNS1_3gpuE6ELNS1_3repE0EEENS1_30default_config_static_selectorELNS0_4arch9wavefront6targetE1EEEvT1_
    .private_segment_fixed_size: 0
    .sgpr_count:     4
    .sgpr_spill_count: 0
    .symbol:         _ZN7rocprim17ROCPRIM_400000_NS6detail17trampoline_kernelINS0_14default_configENS1_25transform_config_selectorImLb1EEEZNS1_14transform_implILb1ES3_S5_PmPjNS0_8identityIvEEEE10hipError_tT2_T3_mT4_P12ihipStream_tbEUlT_E_NS1_11comp_targetILNS1_3genE2ELNS1_11target_archE906ELNS1_3gpuE6ELNS1_3repE0EEENS1_30default_config_static_selectorELNS0_4arch9wavefront6targetE1EEEvT1_.kd
    .uniform_work_group_size: 1
    .uses_dynamic_stack: false
    .vgpr_count:     0
    .vgpr_spill_count: 0
    .wavefront_size: 64
  - .agpr_count:     0
    .args:
      - .offset:         0
        .size:           40
        .value_kind:     by_value
    .group_segment_fixed_size: 0
    .kernarg_segment_align: 8
    .kernarg_segment_size: 40
    .language:       OpenCL C
    .language_version:
      - 2
      - 0
    .max_flat_workgroup_size: 1024
    .name:           _ZN7rocprim17ROCPRIM_400000_NS6detail17trampoline_kernelINS0_14default_configENS1_25transform_config_selectorImLb1EEEZNS1_14transform_implILb1ES3_S5_PmPjNS0_8identityIvEEEE10hipError_tT2_T3_mT4_P12ihipStream_tbEUlT_E_NS1_11comp_targetILNS1_3genE9ELNS1_11target_archE1100ELNS1_3gpuE3ELNS1_3repE0EEENS1_30default_config_static_selectorELNS0_4arch9wavefront6targetE1EEEvT1_
    .private_segment_fixed_size: 0
    .sgpr_count:     4
    .sgpr_spill_count: 0
    .symbol:         _ZN7rocprim17ROCPRIM_400000_NS6detail17trampoline_kernelINS0_14default_configENS1_25transform_config_selectorImLb1EEEZNS1_14transform_implILb1ES3_S5_PmPjNS0_8identityIvEEEE10hipError_tT2_T3_mT4_P12ihipStream_tbEUlT_E_NS1_11comp_targetILNS1_3genE9ELNS1_11target_archE1100ELNS1_3gpuE3ELNS1_3repE0EEENS1_30default_config_static_selectorELNS0_4arch9wavefront6targetE1EEEvT1_.kd
    .uniform_work_group_size: 1
    .uses_dynamic_stack: false
    .vgpr_count:     0
    .vgpr_spill_count: 0
    .wavefront_size: 64
  - .agpr_count:     0
    .args:
      - .offset:         0
        .size:           40
        .value_kind:     by_value
    .group_segment_fixed_size: 0
    .kernarg_segment_align: 8
    .kernarg_segment_size: 40
    .language:       OpenCL C
    .language_version:
      - 2
      - 0
    .max_flat_workgroup_size: 1024
    .name:           _ZN7rocprim17ROCPRIM_400000_NS6detail17trampoline_kernelINS0_14default_configENS1_25transform_config_selectorImLb1EEEZNS1_14transform_implILb1ES3_S5_PmPjNS0_8identityIvEEEE10hipError_tT2_T3_mT4_P12ihipStream_tbEUlT_E_NS1_11comp_targetILNS1_3genE8ELNS1_11target_archE1030ELNS1_3gpuE2ELNS1_3repE0EEENS1_30default_config_static_selectorELNS0_4arch9wavefront6targetE1EEEvT1_
    .private_segment_fixed_size: 0
    .sgpr_count:     4
    .sgpr_spill_count: 0
    .symbol:         _ZN7rocprim17ROCPRIM_400000_NS6detail17trampoline_kernelINS0_14default_configENS1_25transform_config_selectorImLb1EEEZNS1_14transform_implILb1ES3_S5_PmPjNS0_8identityIvEEEE10hipError_tT2_T3_mT4_P12ihipStream_tbEUlT_E_NS1_11comp_targetILNS1_3genE8ELNS1_11target_archE1030ELNS1_3gpuE2ELNS1_3repE0EEENS1_30default_config_static_selectorELNS0_4arch9wavefront6targetE1EEEvT1_.kd
    .uniform_work_group_size: 1
    .uses_dynamic_stack: false
    .vgpr_count:     0
    .vgpr_spill_count: 0
    .wavefront_size: 64
  - .agpr_count:     0
    .args:
      - .address_space:  global
        .offset:         0
        .size:           8
        .value_kind:     global_buffer
      - .offset:         8
        .size:           4
        .value_kind:     by_value
      - .address_space:  global
        .offset:         16
        .size:           8
        .value_kind:     global_buffer
      - .offset:         24
        .size:           4
        .value_kind:     by_value
      - .address_space:  global
        .offset:         32
        .size:           8
        .value_kind:     global_buffer
      - .offset:         40
        .size:           4
        .value_kind:     hidden_block_count_x
      - .offset:         44
        .size:           4
        .value_kind:     hidden_block_count_y
      - .offset:         48
        .size:           4
        .value_kind:     hidden_block_count_z
      - .offset:         52
        .size:           2
        .value_kind:     hidden_group_size_x
      - .offset:         54
        .size:           2
        .value_kind:     hidden_group_size_y
      - .offset:         56
        .size:           2
        .value_kind:     hidden_group_size_z
      - .offset:         58
        .size:           2
        .value_kind:     hidden_remainder_x
      - .offset:         60
        .size:           2
        .value_kind:     hidden_remainder_y
      - .offset:         62
        .size:           2
        .value_kind:     hidden_remainder_z
      - .offset:         80
        .size:           8
        .value_kind:     hidden_global_offset_x
      - .offset:         88
        .size:           8
        .value_kind:     hidden_global_offset_y
      - .offset:         96
        .size:           8
        .value_kind:     hidden_global_offset_z
      - .offset:         104
        .size:           2
        .value_kind:     hidden_grid_dims
    .group_segment_fixed_size: 0
    .kernarg_segment_align: 8
    .kernarg_segment_size: 296
    .language:       OpenCL C
    .language_version:
      - 2
      - 0
    .max_flat_workgroup_size: 256
    .name:           _ZN7rocprim17ROCPRIM_400000_NS6detail31init_lookback_scan_state_kernelINS1_19lookback_scan_stateI15HIP_vector_typeIjLj2EELb1ELb1EEENS1_16block_id_wrapperIjLb1EEEEEvT_jT0_jPNS9_10value_typeE
    .private_segment_fixed_size: 0
    .sgpr_count:     20
    .sgpr_spill_count: 0
    .symbol:         _ZN7rocprim17ROCPRIM_400000_NS6detail31init_lookback_scan_state_kernelINS1_19lookback_scan_stateI15HIP_vector_typeIjLj2EELb1ELb1EEENS1_16block_id_wrapperIjLb1EEEEEvT_jT0_jPNS9_10value_typeE.kd
    .uniform_work_group_size: 1
    .uses_dynamic_stack: false
    .vgpr_count:     10
    .vgpr_spill_count: 0
    .wavefront_size: 64
  - .agpr_count:     0
    .args:
      - .offset:         0
        .size:           184
        .value_kind:     by_value
    .group_segment_fixed_size: 0
    .kernarg_segment_align: 8
    .kernarg_segment_size: 184
    .language:       OpenCL C
    .language_version:
      - 2
      - 0
    .max_flat_workgroup_size: 256
    .name:           _ZN7rocprim17ROCPRIM_400000_NS6detail17trampoline_kernelINS0_13select_configILj256ELj13ELNS0_17block_load_methodE3ELS4_3ELS4_3ELNS0_20block_scan_algorithmE0ELj4294967295EEENS1_25partition_config_selectorILNS1_17partition_subalgoE4EjNS0_10empty_typeEbEEZZNS1_14partition_implILS8_4ELb0ES6_15HIP_vector_typeIjLj2EENS0_17counting_iteratorIjlEEPS9_SG_NS0_5tupleIJPjSI_NS0_16reverse_iteratorISI_EEEEENSH_IJSG_SG_SG_EEES9_SI_JZNS1_25segmented_radix_sort_implINS0_14default_configELb1EPKhPhPKlPlN2at6native12_GLOBAL__N_18offset_tEEE10hipError_tPvRmT1_PNSt15iterator_traitsIS12_E10value_typeET2_T3_PNS13_IS18_E10value_typeET4_jRbjT5_S1E_jjP12ihipStream_tbEUljE_ZNSN_ISO_Lb1ESQ_SR_ST_SU_SY_EESZ_S10_S11_S12_S16_S17_S18_S1B_S1C_jS1D_jS1E_S1E_jjS1G_bEUljE0_EEESZ_S10_S11_S18_S1C_S1E_T6_T7_T9_mT8_S1G_bDpT10_ENKUlT_T0_E_clISt17integral_constantIbLb1EES1U_EEDaS1P_S1Q_EUlS1P_E_NS1_11comp_targetILNS1_3genE0ELNS1_11target_archE4294967295ELNS1_3gpuE0ELNS1_3repE0EEENS1_30default_config_static_selectorELNS0_4arch9wavefront6targetE1EEEvS12_
    .private_segment_fixed_size: 0
    .sgpr_count:     4
    .sgpr_spill_count: 0
    .symbol:         _ZN7rocprim17ROCPRIM_400000_NS6detail17trampoline_kernelINS0_13select_configILj256ELj13ELNS0_17block_load_methodE3ELS4_3ELS4_3ELNS0_20block_scan_algorithmE0ELj4294967295EEENS1_25partition_config_selectorILNS1_17partition_subalgoE4EjNS0_10empty_typeEbEEZZNS1_14partition_implILS8_4ELb0ES6_15HIP_vector_typeIjLj2EENS0_17counting_iteratorIjlEEPS9_SG_NS0_5tupleIJPjSI_NS0_16reverse_iteratorISI_EEEEENSH_IJSG_SG_SG_EEES9_SI_JZNS1_25segmented_radix_sort_implINS0_14default_configELb1EPKhPhPKlPlN2at6native12_GLOBAL__N_18offset_tEEE10hipError_tPvRmT1_PNSt15iterator_traitsIS12_E10value_typeET2_T3_PNS13_IS18_E10value_typeET4_jRbjT5_S1E_jjP12ihipStream_tbEUljE_ZNSN_ISO_Lb1ESQ_SR_ST_SU_SY_EESZ_S10_S11_S12_S16_S17_S18_S1B_S1C_jS1D_jS1E_S1E_jjS1G_bEUljE0_EEESZ_S10_S11_S18_S1C_S1E_T6_T7_T9_mT8_S1G_bDpT10_ENKUlT_T0_E_clISt17integral_constantIbLb1EES1U_EEDaS1P_S1Q_EUlS1P_E_NS1_11comp_targetILNS1_3genE0ELNS1_11target_archE4294967295ELNS1_3gpuE0ELNS1_3repE0EEENS1_30default_config_static_selectorELNS0_4arch9wavefront6targetE1EEEvS12_.kd
    .uniform_work_group_size: 1
    .uses_dynamic_stack: false
    .vgpr_count:     0
    .vgpr_spill_count: 0
    .wavefront_size: 64
  - .agpr_count:     0
    .args:
      - .offset:         0
        .size:           184
        .value_kind:     by_value
    .group_segment_fixed_size: 0
    .kernarg_segment_align: 8
    .kernarg_segment_size: 184
    .language:       OpenCL C
    .language_version:
      - 2
      - 0
    .max_flat_workgroup_size: 256
    .name:           _ZN7rocprim17ROCPRIM_400000_NS6detail17trampoline_kernelINS0_13select_configILj256ELj13ELNS0_17block_load_methodE3ELS4_3ELS4_3ELNS0_20block_scan_algorithmE0ELj4294967295EEENS1_25partition_config_selectorILNS1_17partition_subalgoE4EjNS0_10empty_typeEbEEZZNS1_14partition_implILS8_4ELb0ES6_15HIP_vector_typeIjLj2EENS0_17counting_iteratorIjlEEPS9_SG_NS0_5tupleIJPjSI_NS0_16reverse_iteratorISI_EEEEENSH_IJSG_SG_SG_EEES9_SI_JZNS1_25segmented_radix_sort_implINS0_14default_configELb1EPKhPhPKlPlN2at6native12_GLOBAL__N_18offset_tEEE10hipError_tPvRmT1_PNSt15iterator_traitsIS12_E10value_typeET2_T3_PNS13_IS18_E10value_typeET4_jRbjT5_S1E_jjP12ihipStream_tbEUljE_ZNSN_ISO_Lb1ESQ_SR_ST_SU_SY_EESZ_S10_S11_S12_S16_S17_S18_S1B_S1C_jS1D_jS1E_S1E_jjS1G_bEUljE0_EEESZ_S10_S11_S18_S1C_S1E_T6_T7_T9_mT8_S1G_bDpT10_ENKUlT_T0_E_clISt17integral_constantIbLb1EES1U_EEDaS1P_S1Q_EUlS1P_E_NS1_11comp_targetILNS1_3genE5ELNS1_11target_archE942ELNS1_3gpuE9ELNS1_3repE0EEENS1_30default_config_static_selectorELNS0_4arch9wavefront6targetE1EEEvS12_
    .private_segment_fixed_size: 0
    .sgpr_count:     4
    .sgpr_spill_count: 0
    .symbol:         _ZN7rocprim17ROCPRIM_400000_NS6detail17trampoline_kernelINS0_13select_configILj256ELj13ELNS0_17block_load_methodE3ELS4_3ELS4_3ELNS0_20block_scan_algorithmE0ELj4294967295EEENS1_25partition_config_selectorILNS1_17partition_subalgoE4EjNS0_10empty_typeEbEEZZNS1_14partition_implILS8_4ELb0ES6_15HIP_vector_typeIjLj2EENS0_17counting_iteratorIjlEEPS9_SG_NS0_5tupleIJPjSI_NS0_16reverse_iteratorISI_EEEEENSH_IJSG_SG_SG_EEES9_SI_JZNS1_25segmented_radix_sort_implINS0_14default_configELb1EPKhPhPKlPlN2at6native12_GLOBAL__N_18offset_tEEE10hipError_tPvRmT1_PNSt15iterator_traitsIS12_E10value_typeET2_T3_PNS13_IS18_E10value_typeET4_jRbjT5_S1E_jjP12ihipStream_tbEUljE_ZNSN_ISO_Lb1ESQ_SR_ST_SU_SY_EESZ_S10_S11_S12_S16_S17_S18_S1B_S1C_jS1D_jS1E_S1E_jjS1G_bEUljE0_EEESZ_S10_S11_S18_S1C_S1E_T6_T7_T9_mT8_S1G_bDpT10_ENKUlT_T0_E_clISt17integral_constantIbLb1EES1U_EEDaS1P_S1Q_EUlS1P_E_NS1_11comp_targetILNS1_3genE5ELNS1_11target_archE942ELNS1_3gpuE9ELNS1_3repE0EEENS1_30default_config_static_selectorELNS0_4arch9wavefront6targetE1EEEvS12_.kd
    .uniform_work_group_size: 1
    .uses_dynamic_stack: false
    .vgpr_count:     0
    .vgpr_spill_count: 0
    .wavefront_size: 64
  - .agpr_count:     0
    .args:
      - .offset:         0
        .size:           184
        .value_kind:     by_value
    .group_segment_fixed_size: 13340
    .kernarg_segment_align: 8
    .kernarg_segment_size: 184
    .language:       OpenCL C
    .language_version:
      - 2
      - 0
    .max_flat_workgroup_size: 256
    .name:           _ZN7rocprim17ROCPRIM_400000_NS6detail17trampoline_kernelINS0_13select_configILj256ELj13ELNS0_17block_load_methodE3ELS4_3ELS4_3ELNS0_20block_scan_algorithmE0ELj4294967295EEENS1_25partition_config_selectorILNS1_17partition_subalgoE4EjNS0_10empty_typeEbEEZZNS1_14partition_implILS8_4ELb0ES6_15HIP_vector_typeIjLj2EENS0_17counting_iteratorIjlEEPS9_SG_NS0_5tupleIJPjSI_NS0_16reverse_iteratorISI_EEEEENSH_IJSG_SG_SG_EEES9_SI_JZNS1_25segmented_radix_sort_implINS0_14default_configELb1EPKhPhPKlPlN2at6native12_GLOBAL__N_18offset_tEEE10hipError_tPvRmT1_PNSt15iterator_traitsIS12_E10value_typeET2_T3_PNS13_IS18_E10value_typeET4_jRbjT5_S1E_jjP12ihipStream_tbEUljE_ZNSN_ISO_Lb1ESQ_SR_ST_SU_SY_EESZ_S10_S11_S12_S16_S17_S18_S1B_S1C_jS1D_jS1E_S1E_jjS1G_bEUljE0_EEESZ_S10_S11_S18_S1C_S1E_T6_T7_T9_mT8_S1G_bDpT10_ENKUlT_T0_E_clISt17integral_constantIbLb1EES1U_EEDaS1P_S1Q_EUlS1P_E_NS1_11comp_targetILNS1_3genE4ELNS1_11target_archE910ELNS1_3gpuE8ELNS1_3repE0EEENS1_30default_config_static_selectorELNS0_4arch9wavefront6targetE1EEEvS12_
    .private_segment_fixed_size: 0
    .sgpr_count:     91
    .sgpr_spill_count: 0
    .symbol:         _ZN7rocprim17ROCPRIM_400000_NS6detail17trampoline_kernelINS0_13select_configILj256ELj13ELNS0_17block_load_methodE3ELS4_3ELS4_3ELNS0_20block_scan_algorithmE0ELj4294967295EEENS1_25partition_config_selectorILNS1_17partition_subalgoE4EjNS0_10empty_typeEbEEZZNS1_14partition_implILS8_4ELb0ES6_15HIP_vector_typeIjLj2EENS0_17counting_iteratorIjlEEPS9_SG_NS0_5tupleIJPjSI_NS0_16reverse_iteratorISI_EEEEENSH_IJSG_SG_SG_EEES9_SI_JZNS1_25segmented_radix_sort_implINS0_14default_configELb1EPKhPhPKlPlN2at6native12_GLOBAL__N_18offset_tEEE10hipError_tPvRmT1_PNSt15iterator_traitsIS12_E10value_typeET2_T3_PNS13_IS18_E10value_typeET4_jRbjT5_S1E_jjP12ihipStream_tbEUljE_ZNSN_ISO_Lb1ESQ_SR_ST_SU_SY_EESZ_S10_S11_S12_S16_S17_S18_S1B_S1C_jS1D_jS1E_S1E_jjS1G_bEUljE0_EEESZ_S10_S11_S18_S1C_S1E_T6_T7_T9_mT8_S1G_bDpT10_ENKUlT_T0_E_clISt17integral_constantIbLb1EES1U_EEDaS1P_S1Q_EUlS1P_E_NS1_11comp_targetILNS1_3genE4ELNS1_11target_archE910ELNS1_3gpuE8ELNS1_3repE0EEENS1_30default_config_static_selectorELNS0_4arch9wavefront6targetE1EEEvS12_.kd
    .uniform_work_group_size: 1
    .uses_dynamic_stack: false
    .vgpr_count:     107
    .vgpr_spill_count: 0
    .wavefront_size: 64
  - .agpr_count:     0
    .args:
      - .offset:         0
        .size:           184
        .value_kind:     by_value
    .group_segment_fixed_size: 0
    .kernarg_segment_align: 8
    .kernarg_segment_size: 184
    .language:       OpenCL C
    .language_version:
      - 2
      - 0
    .max_flat_workgroup_size: 256
    .name:           _ZN7rocprim17ROCPRIM_400000_NS6detail17trampoline_kernelINS0_13select_configILj256ELj13ELNS0_17block_load_methodE3ELS4_3ELS4_3ELNS0_20block_scan_algorithmE0ELj4294967295EEENS1_25partition_config_selectorILNS1_17partition_subalgoE4EjNS0_10empty_typeEbEEZZNS1_14partition_implILS8_4ELb0ES6_15HIP_vector_typeIjLj2EENS0_17counting_iteratorIjlEEPS9_SG_NS0_5tupleIJPjSI_NS0_16reverse_iteratorISI_EEEEENSH_IJSG_SG_SG_EEES9_SI_JZNS1_25segmented_radix_sort_implINS0_14default_configELb1EPKhPhPKlPlN2at6native12_GLOBAL__N_18offset_tEEE10hipError_tPvRmT1_PNSt15iterator_traitsIS12_E10value_typeET2_T3_PNS13_IS18_E10value_typeET4_jRbjT5_S1E_jjP12ihipStream_tbEUljE_ZNSN_ISO_Lb1ESQ_SR_ST_SU_SY_EESZ_S10_S11_S12_S16_S17_S18_S1B_S1C_jS1D_jS1E_S1E_jjS1G_bEUljE0_EEESZ_S10_S11_S18_S1C_S1E_T6_T7_T9_mT8_S1G_bDpT10_ENKUlT_T0_E_clISt17integral_constantIbLb1EES1U_EEDaS1P_S1Q_EUlS1P_E_NS1_11comp_targetILNS1_3genE3ELNS1_11target_archE908ELNS1_3gpuE7ELNS1_3repE0EEENS1_30default_config_static_selectorELNS0_4arch9wavefront6targetE1EEEvS12_
    .private_segment_fixed_size: 0
    .sgpr_count:     4
    .sgpr_spill_count: 0
    .symbol:         _ZN7rocprim17ROCPRIM_400000_NS6detail17trampoline_kernelINS0_13select_configILj256ELj13ELNS0_17block_load_methodE3ELS4_3ELS4_3ELNS0_20block_scan_algorithmE0ELj4294967295EEENS1_25partition_config_selectorILNS1_17partition_subalgoE4EjNS0_10empty_typeEbEEZZNS1_14partition_implILS8_4ELb0ES6_15HIP_vector_typeIjLj2EENS0_17counting_iteratorIjlEEPS9_SG_NS0_5tupleIJPjSI_NS0_16reverse_iteratorISI_EEEEENSH_IJSG_SG_SG_EEES9_SI_JZNS1_25segmented_radix_sort_implINS0_14default_configELb1EPKhPhPKlPlN2at6native12_GLOBAL__N_18offset_tEEE10hipError_tPvRmT1_PNSt15iterator_traitsIS12_E10value_typeET2_T3_PNS13_IS18_E10value_typeET4_jRbjT5_S1E_jjP12ihipStream_tbEUljE_ZNSN_ISO_Lb1ESQ_SR_ST_SU_SY_EESZ_S10_S11_S12_S16_S17_S18_S1B_S1C_jS1D_jS1E_S1E_jjS1G_bEUljE0_EEESZ_S10_S11_S18_S1C_S1E_T6_T7_T9_mT8_S1G_bDpT10_ENKUlT_T0_E_clISt17integral_constantIbLb1EES1U_EEDaS1P_S1Q_EUlS1P_E_NS1_11comp_targetILNS1_3genE3ELNS1_11target_archE908ELNS1_3gpuE7ELNS1_3repE0EEENS1_30default_config_static_selectorELNS0_4arch9wavefront6targetE1EEEvS12_.kd
    .uniform_work_group_size: 1
    .uses_dynamic_stack: false
    .vgpr_count:     0
    .vgpr_spill_count: 0
    .wavefront_size: 64
  - .agpr_count:     0
    .args:
      - .offset:         0
        .size:           184
        .value_kind:     by_value
    .group_segment_fixed_size: 0
    .kernarg_segment_align: 8
    .kernarg_segment_size: 184
    .language:       OpenCL C
    .language_version:
      - 2
      - 0
    .max_flat_workgroup_size: 256
    .name:           _ZN7rocprim17ROCPRIM_400000_NS6detail17trampoline_kernelINS0_13select_configILj256ELj13ELNS0_17block_load_methodE3ELS4_3ELS4_3ELNS0_20block_scan_algorithmE0ELj4294967295EEENS1_25partition_config_selectorILNS1_17partition_subalgoE4EjNS0_10empty_typeEbEEZZNS1_14partition_implILS8_4ELb0ES6_15HIP_vector_typeIjLj2EENS0_17counting_iteratorIjlEEPS9_SG_NS0_5tupleIJPjSI_NS0_16reverse_iteratorISI_EEEEENSH_IJSG_SG_SG_EEES9_SI_JZNS1_25segmented_radix_sort_implINS0_14default_configELb1EPKhPhPKlPlN2at6native12_GLOBAL__N_18offset_tEEE10hipError_tPvRmT1_PNSt15iterator_traitsIS12_E10value_typeET2_T3_PNS13_IS18_E10value_typeET4_jRbjT5_S1E_jjP12ihipStream_tbEUljE_ZNSN_ISO_Lb1ESQ_SR_ST_SU_SY_EESZ_S10_S11_S12_S16_S17_S18_S1B_S1C_jS1D_jS1E_S1E_jjS1G_bEUljE0_EEESZ_S10_S11_S18_S1C_S1E_T6_T7_T9_mT8_S1G_bDpT10_ENKUlT_T0_E_clISt17integral_constantIbLb1EES1U_EEDaS1P_S1Q_EUlS1P_E_NS1_11comp_targetILNS1_3genE2ELNS1_11target_archE906ELNS1_3gpuE6ELNS1_3repE0EEENS1_30default_config_static_selectorELNS0_4arch9wavefront6targetE1EEEvS12_
    .private_segment_fixed_size: 0
    .sgpr_count:     4
    .sgpr_spill_count: 0
    .symbol:         _ZN7rocprim17ROCPRIM_400000_NS6detail17trampoline_kernelINS0_13select_configILj256ELj13ELNS0_17block_load_methodE3ELS4_3ELS4_3ELNS0_20block_scan_algorithmE0ELj4294967295EEENS1_25partition_config_selectorILNS1_17partition_subalgoE4EjNS0_10empty_typeEbEEZZNS1_14partition_implILS8_4ELb0ES6_15HIP_vector_typeIjLj2EENS0_17counting_iteratorIjlEEPS9_SG_NS0_5tupleIJPjSI_NS0_16reverse_iteratorISI_EEEEENSH_IJSG_SG_SG_EEES9_SI_JZNS1_25segmented_radix_sort_implINS0_14default_configELb1EPKhPhPKlPlN2at6native12_GLOBAL__N_18offset_tEEE10hipError_tPvRmT1_PNSt15iterator_traitsIS12_E10value_typeET2_T3_PNS13_IS18_E10value_typeET4_jRbjT5_S1E_jjP12ihipStream_tbEUljE_ZNSN_ISO_Lb1ESQ_SR_ST_SU_SY_EESZ_S10_S11_S12_S16_S17_S18_S1B_S1C_jS1D_jS1E_S1E_jjS1G_bEUljE0_EEESZ_S10_S11_S18_S1C_S1E_T6_T7_T9_mT8_S1G_bDpT10_ENKUlT_T0_E_clISt17integral_constantIbLb1EES1U_EEDaS1P_S1Q_EUlS1P_E_NS1_11comp_targetILNS1_3genE2ELNS1_11target_archE906ELNS1_3gpuE6ELNS1_3repE0EEENS1_30default_config_static_selectorELNS0_4arch9wavefront6targetE1EEEvS12_.kd
    .uniform_work_group_size: 1
    .uses_dynamic_stack: false
    .vgpr_count:     0
    .vgpr_spill_count: 0
    .wavefront_size: 64
  - .agpr_count:     0
    .args:
      - .offset:         0
        .size:           184
        .value_kind:     by_value
    .group_segment_fixed_size: 0
    .kernarg_segment_align: 8
    .kernarg_segment_size: 184
    .language:       OpenCL C
    .language_version:
      - 2
      - 0
    .max_flat_workgroup_size: 256
    .name:           _ZN7rocprim17ROCPRIM_400000_NS6detail17trampoline_kernelINS0_13select_configILj256ELj13ELNS0_17block_load_methodE3ELS4_3ELS4_3ELNS0_20block_scan_algorithmE0ELj4294967295EEENS1_25partition_config_selectorILNS1_17partition_subalgoE4EjNS0_10empty_typeEbEEZZNS1_14partition_implILS8_4ELb0ES6_15HIP_vector_typeIjLj2EENS0_17counting_iteratorIjlEEPS9_SG_NS0_5tupleIJPjSI_NS0_16reverse_iteratorISI_EEEEENSH_IJSG_SG_SG_EEES9_SI_JZNS1_25segmented_radix_sort_implINS0_14default_configELb1EPKhPhPKlPlN2at6native12_GLOBAL__N_18offset_tEEE10hipError_tPvRmT1_PNSt15iterator_traitsIS12_E10value_typeET2_T3_PNS13_IS18_E10value_typeET4_jRbjT5_S1E_jjP12ihipStream_tbEUljE_ZNSN_ISO_Lb1ESQ_SR_ST_SU_SY_EESZ_S10_S11_S12_S16_S17_S18_S1B_S1C_jS1D_jS1E_S1E_jjS1G_bEUljE0_EEESZ_S10_S11_S18_S1C_S1E_T6_T7_T9_mT8_S1G_bDpT10_ENKUlT_T0_E_clISt17integral_constantIbLb1EES1U_EEDaS1P_S1Q_EUlS1P_E_NS1_11comp_targetILNS1_3genE10ELNS1_11target_archE1200ELNS1_3gpuE4ELNS1_3repE0EEENS1_30default_config_static_selectorELNS0_4arch9wavefront6targetE1EEEvS12_
    .private_segment_fixed_size: 0
    .sgpr_count:     4
    .sgpr_spill_count: 0
    .symbol:         _ZN7rocprim17ROCPRIM_400000_NS6detail17trampoline_kernelINS0_13select_configILj256ELj13ELNS0_17block_load_methodE3ELS4_3ELS4_3ELNS0_20block_scan_algorithmE0ELj4294967295EEENS1_25partition_config_selectorILNS1_17partition_subalgoE4EjNS0_10empty_typeEbEEZZNS1_14partition_implILS8_4ELb0ES6_15HIP_vector_typeIjLj2EENS0_17counting_iteratorIjlEEPS9_SG_NS0_5tupleIJPjSI_NS0_16reverse_iteratorISI_EEEEENSH_IJSG_SG_SG_EEES9_SI_JZNS1_25segmented_radix_sort_implINS0_14default_configELb1EPKhPhPKlPlN2at6native12_GLOBAL__N_18offset_tEEE10hipError_tPvRmT1_PNSt15iterator_traitsIS12_E10value_typeET2_T3_PNS13_IS18_E10value_typeET4_jRbjT5_S1E_jjP12ihipStream_tbEUljE_ZNSN_ISO_Lb1ESQ_SR_ST_SU_SY_EESZ_S10_S11_S12_S16_S17_S18_S1B_S1C_jS1D_jS1E_S1E_jjS1G_bEUljE0_EEESZ_S10_S11_S18_S1C_S1E_T6_T7_T9_mT8_S1G_bDpT10_ENKUlT_T0_E_clISt17integral_constantIbLb1EES1U_EEDaS1P_S1Q_EUlS1P_E_NS1_11comp_targetILNS1_3genE10ELNS1_11target_archE1200ELNS1_3gpuE4ELNS1_3repE0EEENS1_30default_config_static_selectorELNS0_4arch9wavefront6targetE1EEEvS12_.kd
    .uniform_work_group_size: 1
    .uses_dynamic_stack: false
    .vgpr_count:     0
    .vgpr_spill_count: 0
    .wavefront_size: 64
  - .agpr_count:     0
    .args:
      - .offset:         0
        .size:           184
        .value_kind:     by_value
    .group_segment_fixed_size: 0
    .kernarg_segment_align: 8
    .kernarg_segment_size: 184
    .language:       OpenCL C
    .language_version:
      - 2
      - 0
    .max_flat_workgroup_size: 256
    .name:           _ZN7rocprim17ROCPRIM_400000_NS6detail17trampoline_kernelINS0_13select_configILj256ELj13ELNS0_17block_load_methodE3ELS4_3ELS4_3ELNS0_20block_scan_algorithmE0ELj4294967295EEENS1_25partition_config_selectorILNS1_17partition_subalgoE4EjNS0_10empty_typeEbEEZZNS1_14partition_implILS8_4ELb0ES6_15HIP_vector_typeIjLj2EENS0_17counting_iteratorIjlEEPS9_SG_NS0_5tupleIJPjSI_NS0_16reverse_iteratorISI_EEEEENSH_IJSG_SG_SG_EEES9_SI_JZNS1_25segmented_radix_sort_implINS0_14default_configELb1EPKhPhPKlPlN2at6native12_GLOBAL__N_18offset_tEEE10hipError_tPvRmT1_PNSt15iterator_traitsIS12_E10value_typeET2_T3_PNS13_IS18_E10value_typeET4_jRbjT5_S1E_jjP12ihipStream_tbEUljE_ZNSN_ISO_Lb1ESQ_SR_ST_SU_SY_EESZ_S10_S11_S12_S16_S17_S18_S1B_S1C_jS1D_jS1E_S1E_jjS1G_bEUljE0_EEESZ_S10_S11_S18_S1C_S1E_T6_T7_T9_mT8_S1G_bDpT10_ENKUlT_T0_E_clISt17integral_constantIbLb1EES1U_EEDaS1P_S1Q_EUlS1P_E_NS1_11comp_targetILNS1_3genE9ELNS1_11target_archE1100ELNS1_3gpuE3ELNS1_3repE0EEENS1_30default_config_static_selectorELNS0_4arch9wavefront6targetE1EEEvS12_
    .private_segment_fixed_size: 0
    .sgpr_count:     4
    .sgpr_spill_count: 0
    .symbol:         _ZN7rocprim17ROCPRIM_400000_NS6detail17trampoline_kernelINS0_13select_configILj256ELj13ELNS0_17block_load_methodE3ELS4_3ELS4_3ELNS0_20block_scan_algorithmE0ELj4294967295EEENS1_25partition_config_selectorILNS1_17partition_subalgoE4EjNS0_10empty_typeEbEEZZNS1_14partition_implILS8_4ELb0ES6_15HIP_vector_typeIjLj2EENS0_17counting_iteratorIjlEEPS9_SG_NS0_5tupleIJPjSI_NS0_16reverse_iteratorISI_EEEEENSH_IJSG_SG_SG_EEES9_SI_JZNS1_25segmented_radix_sort_implINS0_14default_configELb1EPKhPhPKlPlN2at6native12_GLOBAL__N_18offset_tEEE10hipError_tPvRmT1_PNSt15iterator_traitsIS12_E10value_typeET2_T3_PNS13_IS18_E10value_typeET4_jRbjT5_S1E_jjP12ihipStream_tbEUljE_ZNSN_ISO_Lb1ESQ_SR_ST_SU_SY_EESZ_S10_S11_S12_S16_S17_S18_S1B_S1C_jS1D_jS1E_S1E_jjS1G_bEUljE0_EEESZ_S10_S11_S18_S1C_S1E_T6_T7_T9_mT8_S1G_bDpT10_ENKUlT_T0_E_clISt17integral_constantIbLb1EES1U_EEDaS1P_S1Q_EUlS1P_E_NS1_11comp_targetILNS1_3genE9ELNS1_11target_archE1100ELNS1_3gpuE3ELNS1_3repE0EEENS1_30default_config_static_selectorELNS0_4arch9wavefront6targetE1EEEvS12_.kd
    .uniform_work_group_size: 1
    .uses_dynamic_stack: false
    .vgpr_count:     0
    .vgpr_spill_count: 0
    .wavefront_size: 64
  - .agpr_count:     0
    .args:
      - .offset:         0
        .size:           184
        .value_kind:     by_value
    .group_segment_fixed_size: 0
    .kernarg_segment_align: 8
    .kernarg_segment_size: 184
    .language:       OpenCL C
    .language_version:
      - 2
      - 0
    .max_flat_workgroup_size: 256
    .name:           _ZN7rocprim17ROCPRIM_400000_NS6detail17trampoline_kernelINS0_13select_configILj256ELj13ELNS0_17block_load_methodE3ELS4_3ELS4_3ELNS0_20block_scan_algorithmE0ELj4294967295EEENS1_25partition_config_selectorILNS1_17partition_subalgoE4EjNS0_10empty_typeEbEEZZNS1_14partition_implILS8_4ELb0ES6_15HIP_vector_typeIjLj2EENS0_17counting_iteratorIjlEEPS9_SG_NS0_5tupleIJPjSI_NS0_16reverse_iteratorISI_EEEEENSH_IJSG_SG_SG_EEES9_SI_JZNS1_25segmented_radix_sort_implINS0_14default_configELb1EPKhPhPKlPlN2at6native12_GLOBAL__N_18offset_tEEE10hipError_tPvRmT1_PNSt15iterator_traitsIS12_E10value_typeET2_T3_PNS13_IS18_E10value_typeET4_jRbjT5_S1E_jjP12ihipStream_tbEUljE_ZNSN_ISO_Lb1ESQ_SR_ST_SU_SY_EESZ_S10_S11_S12_S16_S17_S18_S1B_S1C_jS1D_jS1E_S1E_jjS1G_bEUljE0_EEESZ_S10_S11_S18_S1C_S1E_T6_T7_T9_mT8_S1G_bDpT10_ENKUlT_T0_E_clISt17integral_constantIbLb1EES1U_EEDaS1P_S1Q_EUlS1P_E_NS1_11comp_targetILNS1_3genE8ELNS1_11target_archE1030ELNS1_3gpuE2ELNS1_3repE0EEENS1_30default_config_static_selectorELNS0_4arch9wavefront6targetE1EEEvS12_
    .private_segment_fixed_size: 0
    .sgpr_count:     4
    .sgpr_spill_count: 0
    .symbol:         _ZN7rocprim17ROCPRIM_400000_NS6detail17trampoline_kernelINS0_13select_configILj256ELj13ELNS0_17block_load_methodE3ELS4_3ELS4_3ELNS0_20block_scan_algorithmE0ELj4294967295EEENS1_25partition_config_selectorILNS1_17partition_subalgoE4EjNS0_10empty_typeEbEEZZNS1_14partition_implILS8_4ELb0ES6_15HIP_vector_typeIjLj2EENS0_17counting_iteratorIjlEEPS9_SG_NS0_5tupleIJPjSI_NS0_16reverse_iteratorISI_EEEEENSH_IJSG_SG_SG_EEES9_SI_JZNS1_25segmented_radix_sort_implINS0_14default_configELb1EPKhPhPKlPlN2at6native12_GLOBAL__N_18offset_tEEE10hipError_tPvRmT1_PNSt15iterator_traitsIS12_E10value_typeET2_T3_PNS13_IS18_E10value_typeET4_jRbjT5_S1E_jjP12ihipStream_tbEUljE_ZNSN_ISO_Lb1ESQ_SR_ST_SU_SY_EESZ_S10_S11_S12_S16_S17_S18_S1B_S1C_jS1D_jS1E_S1E_jjS1G_bEUljE0_EEESZ_S10_S11_S18_S1C_S1E_T6_T7_T9_mT8_S1G_bDpT10_ENKUlT_T0_E_clISt17integral_constantIbLb1EES1U_EEDaS1P_S1Q_EUlS1P_E_NS1_11comp_targetILNS1_3genE8ELNS1_11target_archE1030ELNS1_3gpuE2ELNS1_3repE0EEENS1_30default_config_static_selectorELNS0_4arch9wavefront6targetE1EEEvS12_.kd
    .uniform_work_group_size: 1
    .uses_dynamic_stack: false
    .vgpr_count:     0
    .vgpr_spill_count: 0
    .wavefront_size: 64
  - .agpr_count:     0
    .args:
      - .address_space:  global
        .offset:         0
        .size:           8
        .value_kind:     global_buffer
      - .offset:         8
        .size:           4
        .value_kind:     by_value
      - .offset:         12
        .size:           1
        .value_kind:     by_value
      - .offset:         16
        .size:           4
        .value_kind:     by_value
      - .address_space:  global
        .offset:         24
        .size:           8
        .value_kind:     global_buffer
      - .offset:         32
        .size:           4
        .value_kind:     hidden_block_count_x
      - .offset:         36
        .size:           4
        .value_kind:     hidden_block_count_y
      - .offset:         40
        .size:           4
        .value_kind:     hidden_block_count_z
      - .offset:         44
        .size:           2
        .value_kind:     hidden_group_size_x
      - .offset:         46
        .size:           2
        .value_kind:     hidden_group_size_y
      - .offset:         48
        .size:           2
        .value_kind:     hidden_group_size_z
      - .offset:         50
        .size:           2
        .value_kind:     hidden_remainder_x
      - .offset:         52
        .size:           2
        .value_kind:     hidden_remainder_y
      - .offset:         54
        .size:           2
        .value_kind:     hidden_remainder_z
      - .offset:         72
        .size:           8
        .value_kind:     hidden_global_offset_x
      - .offset:         80
        .size:           8
        .value_kind:     hidden_global_offset_y
      - .offset:         88
        .size:           8
        .value_kind:     hidden_global_offset_z
      - .offset:         96
        .size:           2
        .value_kind:     hidden_grid_dims
    .group_segment_fixed_size: 0
    .kernarg_segment_align: 8
    .kernarg_segment_size: 288
    .language:       OpenCL C
    .language_version:
      - 2
      - 0
    .max_flat_workgroup_size: 256
    .name:           _ZN7rocprim17ROCPRIM_400000_NS6detail31init_lookback_scan_state_kernelINS1_19lookback_scan_stateI15HIP_vector_typeIjLj2EELb1ELb1EEENS1_16block_id_wrapperIjLb0EEEEEvT_jT0_jPNS9_10value_typeE
    .private_segment_fixed_size: 0
    .sgpr_count:     18
    .sgpr_spill_count: 0
    .symbol:         _ZN7rocprim17ROCPRIM_400000_NS6detail31init_lookback_scan_state_kernelINS1_19lookback_scan_stateI15HIP_vector_typeIjLj2EELb1ELb1EEENS1_16block_id_wrapperIjLb0EEEEEvT_jT0_jPNS9_10value_typeE.kd
    .uniform_work_group_size: 1
    .uses_dynamic_stack: false
    .vgpr_count:     10
    .vgpr_spill_count: 0
    .wavefront_size: 64
  - .agpr_count:     0
    .args:
      - .offset:         0
        .size:           176
        .value_kind:     by_value
    .group_segment_fixed_size: 0
    .kernarg_segment_align: 8
    .kernarg_segment_size: 176
    .language:       OpenCL C
    .language_version:
      - 2
      - 0
    .max_flat_workgroup_size: 256
    .name:           _ZN7rocprim17ROCPRIM_400000_NS6detail17trampoline_kernelINS0_13select_configILj256ELj13ELNS0_17block_load_methodE3ELS4_3ELS4_3ELNS0_20block_scan_algorithmE0ELj4294967295EEENS1_25partition_config_selectorILNS1_17partition_subalgoE4EjNS0_10empty_typeEbEEZZNS1_14partition_implILS8_4ELb0ES6_15HIP_vector_typeIjLj2EENS0_17counting_iteratorIjlEEPS9_SG_NS0_5tupleIJPjSI_NS0_16reverse_iteratorISI_EEEEENSH_IJSG_SG_SG_EEES9_SI_JZNS1_25segmented_radix_sort_implINS0_14default_configELb1EPKhPhPKlPlN2at6native12_GLOBAL__N_18offset_tEEE10hipError_tPvRmT1_PNSt15iterator_traitsIS12_E10value_typeET2_T3_PNS13_IS18_E10value_typeET4_jRbjT5_S1E_jjP12ihipStream_tbEUljE_ZNSN_ISO_Lb1ESQ_SR_ST_SU_SY_EESZ_S10_S11_S12_S16_S17_S18_S1B_S1C_jS1D_jS1E_S1E_jjS1G_bEUljE0_EEESZ_S10_S11_S18_S1C_S1E_T6_T7_T9_mT8_S1G_bDpT10_ENKUlT_T0_E_clISt17integral_constantIbLb1EES1T_IbLb0EEEEDaS1P_S1Q_EUlS1P_E_NS1_11comp_targetILNS1_3genE0ELNS1_11target_archE4294967295ELNS1_3gpuE0ELNS1_3repE0EEENS1_30default_config_static_selectorELNS0_4arch9wavefront6targetE1EEEvS12_
    .private_segment_fixed_size: 0
    .sgpr_count:     4
    .sgpr_spill_count: 0
    .symbol:         _ZN7rocprim17ROCPRIM_400000_NS6detail17trampoline_kernelINS0_13select_configILj256ELj13ELNS0_17block_load_methodE3ELS4_3ELS4_3ELNS0_20block_scan_algorithmE0ELj4294967295EEENS1_25partition_config_selectorILNS1_17partition_subalgoE4EjNS0_10empty_typeEbEEZZNS1_14partition_implILS8_4ELb0ES6_15HIP_vector_typeIjLj2EENS0_17counting_iteratorIjlEEPS9_SG_NS0_5tupleIJPjSI_NS0_16reverse_iteratorISI_EEEEENSH_IJSG_SG_SG_EEES9_SI_JZNS1_25segmented_radix_sort_implINS0_14default_configELb1EPKhPhPKlPlN2at6native12_GLOBAL__N_18offset_tEEE10hipError_tPvRmT1_PNSt15iterator_traitsIS12_E10value_typeET2_T3_PNS13_IS18_E10value_typeET4_jRbjT5_S1E_jjP12ihipStream_tbEUljE_ZNSN_ISO_Lb1ESQ_SR_ST_SU_SY_EESZ_S10_S11_S12_S16_S17_S18_S1B_S1C_jS1D_jS1E_S1E_jjS1G_bEUljE0_EEESZ_S10_S11_S18_S1C_S1E_T6_T7_T9_mT8_S1G_bDpT10_ENKUlT_T0_E_clISt17integral_constantIbLb1EES1T_IbLb0EEEEDaS1P_S1Q_EUlS1P_E_NS1_11comp_targetILNS1_3genE0ELNS1_11target_archE4294967295ELNS1_3gpuE0ELNS1_3repE0EEENS1_30default_config_static_selectorELNS0_4arch9wavefront6targetE1EEEvS12_.kd
    .uniform_work_group_size: 1
    .uses_dynamic_stack: false
    .vgpr_count:     0
    .vgpr_spill_count: 0
    .wavefront_size: 64
  - .agpr_count:     0
    .args:
      - .offset:         0
        .size:           176
        .value_kind:     by_value
    .group_segment_fixed_size: 0
    .kernarg_segment_align: 8
    .kernarg_segment_size: 176
    .language:       OpenCL C
    .language_version:
      - 2
      - 0
    .max_flat_workgroup_size: 256
    .name:           _ZN7rocprim17ROCPRIM_400000_NS6detail17trampoline_kernelINS0_13select_configILj256ELj13ELNS0_17block_load_methodE3ELS4_3ELS4_3ELNS0_20block_scan_algorithmE0ELj4294967295EEENS1_25partition_config_selectorILNS1_17partition_subalgoE4EjNS0_10empty_typeEbEEZZNS1_14partition_implILS8_4ELb0ES6_15HIP_vector_typeIjLj2EENS0_17counting_iteratorIjlEEPS9_SG_NS0_5tupleIJPjSI_NS0_16reverse_iteratorISI_EEEEENSH_IJSG_SG_SG_EEES9_SI_JZNS1_25segmented_radix_sort_implINS0_14default_configELb1EPKhPhPKlPlN2at6native12_GLOBAL__N_18offset_tEEE10hipError_tPvRmT1_PNSt15iterator_traitsIS12_E10value_typeET2_T3_PNS13_IS18_E10value_typeET4_jRbjT5_S1E_jjP12ihipStream_tbEUljE_ZNSN_ISO_Lb1ESQ_SR_ST_SU_SY_EESZ_S10_S11_S12_S16_S17_S18_S1B_S1C_jS1D_jS1E_S1E_jjS1G_bEUljE0_EEESZ_S10_S11_S18_S1C_S1E_T6_T7_T9_mT8_S1G_bDpT10_ENKUlT_T0_E_clISt17integral_constantIbLb1EES1T_IbLb0EEEEDaS1P_S1Q_EUlS1P_E_NS1_11comp_targetILNS1_3genE5ELNS1_11target_archE942ELNS1_3gpuE9ELNS1_3repE0EEENS1_30default_config_static_selectorELNS0_4arch9wavefront6targetE1EEEvS12_
    .private_segment_fixed_size: 0
    .sgpr_count:     4
    .sgpr_spill_count: 0
    .symbol:         _ZN7rocprim17ROCPRIM_400000_NS6detail17trampoline_kernelINS0_13select_configILj256ELj13ELNS0_17block_load_methodE3ELS4_3ELS4_3ELNS0_20block_scan_algorithmE0ELj4294967295EEENS1_25partition_config_selectorILNS1_17partition_subalgoE4EjNS0_10empty_typeEbEEZZNS1_14partition_implILS8_4ELb0ES6_15HIP_vector_typeIjLj2EENS0_17counting_iteratorIjlEEPS9_SG_NS0_5tupleIJPjSI_NS0_16reverse_iteratorISI_EEEEENSH_IJSG_SG_SG_EEES9_SI_JZNS1_25segmented_radix_sort_implINS0_14default_configELb1EPKhPhPKlPlN2at6native12_GLOBAL__N_18offset_tEEE10hipError_tPvRmT1_PNSt15iterator_traitsIS12_E10value_typeET2_T3_PNS13_IS18_E10value_typeET4_jRbjT5_S1E_jjP12ihipStream_tbEUljE_ZNSN_ISO_Lb1ESQ_SR_ST_SU_SY_EESZ_S10_S11_S12_S16_S17_S18_S1B_S1C_jS1D_jS1E_S1E_jjS1G_bEUljE0_EEESZ_S10_S11_S18_S1C_S1E_T6_T7_T9_mT8_S1G_bDpT10_ENKUlT_T0_E_clISt17integral_constantIbLb1EES1T_IbLb0EEEEDaS1P_S1Q_EUlS1P_E_NS1_11comp_targetILNS1_3genE5ELNS1_11target_archE942ELNS1_3gpuE9ELNS1_3repE0EEENS1_30default_config_static_selectorELNS0_4arch9wavefront6targetE1EEEvS12_.kd
    .uniform_work_group_size: 1
    .uses_dynamic_stack: false
    .vgpr_count:     0
    .vgpr_spill_count: 0
    .wavefront_size: 64
  - .agpr_count:     0
    .args:
      - .offset:         0
        .size:           176
        .value_kind:     by_value
    .group_segment_fixed_size: 13340
    .kernarg_segment_align: 8
    .kernarg_segment_size: 176
    .language:       OpenCL C
    .language_version:
      - 2
      - 0
    .max_flat_workgroup_size: 256
    .name:           _ZN7rocprim17ROCPRIM_400000_NS6detail17trampoline_kernelINS0_13select_configILj256ELj13ELNS0_17block_load_methodE3ELS4_3ELS4_3ELNS0_20block_scan_algorithmE0ELj4294967295EEENS1_25partition_config_selectorILNS1_17partition_subalgoE4EjNS0_10empty_typeEbEEZZNS1_14partition_implILS8_4ELb0ES6_15HIP_vector_typeIjLj2EENS0_17counting_iteratorIjlEEPS9_SG_NS0_5tupleIJPjSI_NS0_16reverse_iteratorISI_EEEEENSH_IJSG_SG_SG_EEES9_SI_JZNS1_25segmented_radix_sort_implINS0_14default_configELb1EPKhPhPKlPlN2at6native12_GLOBAL__N_18offset_tEEE10hipError_tPvRmT1_PNSt15iterator_traitsIS12_E10value_typeET2_T3_PNS13_IS18_E10value_typeET4_jRbjT5_S1E_jjP12ihipStream_tbEUljE_ZNSN_ISO_Lb1ESQ_SR_ST_SU_SY_EESZ_S10_S11_S12_S16_S17_S18_S1B_S1C_jS1D_jS1E_S1E_jjS1G_bEUljE0_EEESZ_S10_S11_S18_S1C_S1E_T6_T7_T9_mT8_S1G_bDpT10_ENKUlT_T0_E_clISt17integral_constantIbLb1EES1T_IbLb0EEEEDaS1P_S1Q_EUlS1P_E_NS1_11comp_targetILNS1_3genE4ELNS1_11target_archE910ELNS1_3gpuE8ELNS1_3repE0EEENS1_30default_config_static_selectorELNS0_4arch9wavefront6targetE1EEEvS12_
    .private_segment_fixed_size: 0
    .sgpr_count:     94
    .sgpr_spill_count: 0
    .symbol:         _ZN7rocprim17ROCPRIM_400000_NS6detail17trampoline_kernelINS0_13select_configILj256ELj13ELNS0_17block_load_methodE3ELS4_3ELS4_3ELNS0_20block_scan_algorithmE0ELj4294967295EEENS1_25partition_config_selectorILNS1_17partition_subalgoE4EjNS0_10empty_typeEbEEZZNS1_14partition_implILS8_4ELb0ES6_15HIP_vector_typeIjLj2EENS0_17counting_iteratorIjlEEPS9_SG_NS0_5tupleIJPjSI_NS0_16reverse_iteratorISI_EEEEENSH_IJSG_SG_SG_EEES9_SI_JZNS1_25segmented_radix_sort_implINS0_14default_configELb1EPKhPhPKlPlN2at6native12_GLOBAL__N_18offset_tEEE10hipError_tPvRmT1_PNSt15iterator_traitsIS12_E10value_typeET2_T3_PNS13_IS18_E10value_typeET4_jRbjT5_S1E_jjP12ihipStream_tbEUljE_ZNSN_ISO_Lb1ESQ_SR_ST_SU_SY_EESZ_S10_S11_S12_S16_S17_S18_S1B_S1C_jS1D_jS1E_S1E_jjS1G_bEUljE0_EEESZ_S10_S11_S18_S1C_S1E_T6_T7_T9_mT8_S1G_bDpT10_ENKUlT_T0_E_clISt17integral_constantIbLb1EES1T_IbLb0EEEEDaS1P_S1Q_EUlS1P_E_NS1_11comp_targetILNS1_3genE4ELNS1_11target_archE910ELNS1_3gpuE8ELNS1_3repE0EEENS1_30default_config_static_selectorELNS0_4arch9wavefront6targetE1EEEvS12_.kd
    .uniform_work_group_size: 1
    .uses_dynamic_stack: false
    .vgpr_count:     102
    .vgpr_spill_count: 0
    .wavefront_size: 64
  - .agpr_count:     0
    .args:
      - .offset:         0
        .size:           176
        .value_kind:     by_value
    .group_segment_fixed_size: 0
    .kernarg_segment_align: 8
    .kernarg_segment_size: 176
    .language:       OpenCL C
    .language_version:
      - 2
      - 0
    .max_flat_workgroup_size: 256
    .name:           _ZN7rocprim17ROCPRIM_400000_NS6detail17trampoline_kernelINS0_13select_configILj256ELj13ELNS0_17block_load_methodE3ELS4_3ELS4_3ELNS0_20block_scan_algorithmE0ELj4294967295EEENS1_25partition_config_selectorILNS1_17partition_subalgoE4EjNS0_10empty_typeEbEEZZNS1_14partition_implILS8_4ELb0ES6_15HIP_vector_typeIjLj2EENS0_17counting_iteratorIjlEEPS9_SG_NS0_5tupleIJPjSI_NS0_16reverse_iteratorISI_EEEEENSH_IJSG_SG_SG_EEES9_SI_JZNS1_25segmented_radix_sort_implINS0_14default_configELb1EPKhPhPKlPlN2at6native12_GLOBAL__N_18offset_tEEE10hipError_tPvRmT1_PNSt15iterator_traitsIS12_E10value_typeET2_T3_PNS13_IS18_E10value_typeET4_jRbjT5_S1E_jjP12ihipStream_tbEUljE_ZNSN_ISO_Lb1ESQ_SR_ST_SU_SY_EESZ_S10_S11_S12_S16_S17_S18_S1B_S1C_jS1D_jS1E_S1E_jjS1G_bEUljE0_EEESZ_S10_S11_S18_S1C_S1E_T6_T7_T9_mT8_S1G_bDpT10_ENKUlT_T0_E_clISt17integral_constantIbLb1EES1T_IbLb0EEEEDaS1P_S1Q_EUlS1P_E_NS1_11comp_targetILNS1_3genE3ELNS1_11target_archE908ELNS1_3gpuE7ELNS1_3repE0EEENS1_30default_config_static_selectorELNS0_4arch9wavefront6targetE1EEEvS12_
    .private_segment_fixed_size: 0
    .sgpr_count:     4
    .sgpr_spill_count: 0
    .symbol:         _ZN7rocprim17ROCPRIM_400000_NS6detail17trampoline_kernelINS0_13select_configILj256ELj13ELNS0_17block_load_methodE3ELS4_3ELS4_3ELNS0_20block_scan_algorithmE0ELj4294967295EEENS1_25partition_config_selectorILNS1_17partition_subalgoE4EjNS0_10empty_typeEbEEZZNS1_14partition_implILS8_4ELb0ES6_15HIP_vector_typeIjLj2EENS0_17counting_iteratorIjlEEPS9_SG_NS0_5tupleIJPjSI_NS0_16reverse_iteratorISI_EEEEENSH_IJSG_SG_SG_EEES9_SI_JZNS1_25segmented_radix_sort_implINS0_14default_configELb1EPKhPhPKlPlN2at6native12_GLOBAL__N_18offset_tEEE10hipError_tPvRmT1_PNSt15iterator_traitsIS12_E10value_typeET2_T3_PNS13_IS18_E10value_typeET4_jRbjT5_S1E_jjP12ihipStream_tbEUljE_ZNSN_ISO_Lb1ESQ_SR_ST_SU_SY_EESZ_S10_S11_S12_S16_S17_S18_S1B_S1C_jS1D_jS1E_S1E_jjS1G_bEUljE0_EEESZ_S10_S11_S18_S1C_S1E_T6_T7_T9_mT8_S1G_bDpT10_ENKUlT_T0_E_clISt17integral_constantIbLb1EES1T_IbLb0EEEEDaS1P_S1Q_EUlS1P_E_NS1_11comp_targetILNS1_3genE3ELNS1_11target_archE908ELNS1_3gpuE7ELNS1_3repE0EEENS1_30default_config_static_selectorELNS0_4arch9wavefront6targetE1EEEvS12_.kd
    .uniform_work_group_size: 1
    .uses_dynamic_stack: false
    .vgpr_count:     0
    .vgpr_spill_count: 0
    .wavefront_size: 64
  - .agpr_count:     0
    .args:
      - .offset:         0
        .size:           176
        .value_kind:     by_value
    .group_segment_fixed_size: 0
    .kernarg_segment_align: 8
    .kernarg_segment_size: 176
    .language:       OpenCL C
    .language_version:
      - 2
      - 0
    .max_flat_workgroup_size: 256
    .name:           _ZN7rocprim17ROCPRIM_400000_NS6detail17trampoline_kernelINS0_13select_configILj256ELj13ELNS0_17block_load_methodE3ELS4_3ELS4_3ELNS0_20block_scan_algorithmE0ELj4294967295EEENS1_25partition_config_selectorILNS1_17partition_subalgoE4EjNS0_10empty_typeEbEEZZNS1_14partition_implILS8_4ELb0ES6_15HIP_vector_typeIjLj2EENS0_17counting_iteratorIjlEEPS9_SG_NS0_5tupleIJPjSI_NS0_16reverse_iteratorISI_EEEEENSH_IJSG_SG_SG_EEES9_SI_JZNS1_25segmented_radix_sort_implINS0_14default_configELb1EPKhPhPKlPlN2at6native12_GLOBAL__N_18offset_tEEE10hipError_tPvRmT1_PNSt15iterator_traitsIS12_E10value_typeET2_T3_PNS13_IS18_E10value_typeET4_jRbjT5_S1E_jjP12ihipStream_tbEUljE_ZNSN_ISO_Lb1ESQ_SR_ST_SU_SY_EESZ_S10_S11_S12_S16_S17_S18_S1B_S1C_jS1D_jS1E_S1E_jjS1G_bEUljE0_EEESZ_S10_S11_S18_S1C_S1E_T6_T7_T9_mT8_S1G_bDpT10_ENKUlT_T0_E_clISt17integral_constantIbLb1EES1T_IbLb0EEEEDaS1P_S1Q_EUlS1P_E_NS1_11comp_targetILNS1_3genE2ELNS1_11target_archE906ELNS1_3gpuE6ELNS1_3repE0EEENS1_30default_config_static_selectorELNS0_4arch9wavefront6targetE1EEEvS12_
    .private_segment_fixed_size: 0
    .sgpr_count:     4
    .sgpr_spill_count: 0
    .symbol:         _ZN7rocprim17ROCPRIM_400000_NS6detail17trampoline_kernelINS0_13select_configILj256ELj13ELNS0_17block_load_methodE3ELS4_3ELS4_3ELNS0_20block_scan_algorithmE0ELj4294967295EEENS1_25partition_config_selectorILNS1_17partition_subalgoE4EjNS0_10empty_typeEbEEZZNS1_14partition_implILS8_4ELb0ES6_15HIP_vector_typeIjLj2EENS0_17counting_iteratorIjlEEPS9_SG_NS0_5tupleIJPjSI_NS0_16reverse_iteratorISI_EEEEENSH_IJSG_SG_SG_EEES9_SI_JZNS1_25segmented_radix_sort_implINS0_14default_configELb1EPKhPhPKlPlN2at6native12_GLOBAL__N_18offset_tEEE10hipError_tPvRmT1_PNSt15iterator_traitsIS12_E10value_typeET2_T3_PNS13_IS18_E10value_typeET4_jRbjT5_S1E_jjP12ihipStream_tbEUljE_ZNSN_ISO_Lb1ESQ_SR_ST_SU_SY_EESZ_S10_S11_S12_S16_S17_S18_S1B_S1C_jS1D_jS1E_S1E_jjS1G_bEUljE0_EEESZ_S10_S11_S18_S1C_S1E_T6_T7_T9_mT8_S1G_bDpT10_ENKUlT_T0_E_clISt17integral_constantIbLb1EES1T_IbLb0EEEEDaS1P_S1Q_EUlS1P_E_NS1_11comp_targetILNS1_3genE2ELNS1_11target_archE906ELNS1_3gpuE6ELNS1_3repE0EEENS1_30default_config_static_selectorELNS0_4arch9wavefront6targetE1EEEvS12_.kd
    .uniform_work_group_size: 1
    .uses_dynamic_stack: false
    .vgpr_count:     0
    .vgpr_spill_count: 0
    .wavefront_size: 64
  - .agpr_count:     0
    .args:
      - .offset:         0
        .size:           176
        .value_kind:     by_value
    .group_segment_fixed_size: 0
    .kernarg_segment_align: 8
    .kernarg_segment_size: 176
    .language:       OpenCL C
    .language_version:
      - 2
      - 0
    .max_flat_workgroup_size: 256
    .name:           _ZN7rocprim17ROCPRIM_400000_NS6detail17trampoline_kernelINS0_13select_configILj256ELj13ELNS0_17block_load_methodE3ELS4_3ELS4_3ELNS0_20block_scan_algorithmE0ELj4294967295EEENS1_25partition_config_selectorILNS1_17partition_subalgoE4EjNS0_10empty_typeEbEEZZNS1_14partition_implILS8_4ELb0ES6_15HIP_vector_typeIjLj2EENS0_17counting_iteratorIjlEEPS9_SG_NS0_5tupleIJPjSI_NS0_16reverse_iteratorISI_EEEEENSH_IJSG_SG_SG_EEES9_SI_JZNS1_25segmented_radix_sort_implINS0_14default_configELb1EPKhPhPKlPlN2at6native12_GLOBAL__N_18offset_tEEE10hipError_tPvRmT1_PNSt15iterator_traitsIS12_E10value_typeET2_T3_PNS13_IS18_E10value_typeET4_jRbjT5_S1E_jjP12ihipStream_tbEUljE_ZNSN_ISO_Lb1ESQ_SR_ST_SU_SY_EESZ_S10_S11_S12_S16_S17_S18_S1B_S1C_jS1D_jS1E_S1E_jjS1G_bEUljE0_EEESZ_S10_S11_S18_S1C_S1E_T6_T7_T9_mT8_S1G_bDpT10_ENKUlT_T0_E_clISt17integral_constantIbLb1EES1T_IbLb0EEEEDaS1P_S1Q_EUlS1P_E_NS1_11comp_targetILNS1_3genE10ELNS1_11target_archE1200ELNS1_3gpuE4ELNS1_3repE0EEENS1_30default_config_static_selectorELNS0_4arch9wavefront6targetE1EEEvS12_
    .private_segment_fixed_size: 0
    .sgpr_count:     4
    .sgpr_spill_count: 0
    .symbol:         _ZN7rocprim17ROCPRIM_400000_NS6detail17trampoline_kernelINS0_13select_configILj256ELj13ELNS0_17block_load_methodE3ELS4_3ELS4_3ELNS0_20block_scan_algorithmE0ELj4294967295EEENS1_25partition_config_selectorILNS1_17partition_subalgoE4EjNS0_10empty_typeEbEEZZNS1_14partition_implILS8_4ELb0ES6_15HIP_vector_typeIjLj2EENS0_17counting_iteratorIjlEEPS9_SG_NS0_5tupleIJPjSI_NS0_16reverse_iteratorISI_EEEEENSH_IJSG_SG_SG_EEES9_SI_JZNS1_25segmented_radix_sort_implINS0_14default_configELb1EPKhPhPKlPlN2at6native12_GLOBAL__N_18offset_tEEE10hipError_tPvRmT1_PNSt15iterator_traitsIS12_E10value_typeET2_T3_PNS13_IS18_E10value_typeET4_jRbjT5_S1E_jjP12ihipStream_tbEUljE_ZNSN_ISO_Lb1ESQ_SR_ST_SU_SY_EESZ_S10_S11_S12_S16_S17_S18_S1B_S1C_jS1D_jS1E_S1E_jjS1G_bEUljE0_EEESZ_S10_S11_S18_S1C_S1E_T6_T7_T9_mT8_S1G_bDpT10_ENKUlT_T0_E_clISt17integral_constantIbLb1EES1T_IbLb0EEEEDaS1P_S1Q_EUlS1P_E_NS1_11comp_targetILNS1_3genE10ELNS1_11target_archE1200ELNS1_3gpuE4ELNS1_3repE0EEENS1_30default_config_static_selectorELNS0_4arch9wavefront6targetE1EEEvS12_.kd
    .uniform_work_group_size: 1
    .uses_dynamic_stack: false
    .vgpr_count:     0
    .vgpr_spill_count: 0
    .wavefront_size: 64
  - .agpr_count:     0
    .args:
      - .offset:         0
        .size:           176
        .value_kind:     by_value
    .group_segment_fixed_size: 0
    .kernarg_segment_align: 8
    .kernarg_segment_size: 176
    .language:       OpenCL C
    .language_version:
      - 2
      - 0
    .max_flat_workgroup_size: 256
    .name:           _ZN7rocprim17ROCPRIM_400000_NS6detail17trampoline_kernelINS0_13select_configILj256ELj13ELNS0_17block_load_methodE3ELS4_3ELS4_3ELNS0_20block_scan_algorithmE0ELj4294967295EEENS1_25partition_config_selectorILNS1_17partition_subalgoE4EjNS0_10empty_typeEbEEZZNS1_14partition_implILS8_4ELb0ES6_15HIP_vector_typeIjLj2EENS0_17counting_iteratorIjlEEPS9_SG_NS0_5tupleIJPjSI_NS0_16reverse_iteratorISI_EEEEENSH_IJSG_SG_SG_EEES9_SI_JZNS1_25segmented_radix_sort_implINS0_14default_configELb1EPKhPhPKlPlN2at6native12_GLOBAL__N_18offset_tEEE10hipError_tPvRmT1_PNSt15iterator_traitsIS12_E10value_typeET2_T3_PNS13_IS18_E10value_typeET4_jRbjT5_S1E_jjP12ihipStream_tbEUljE_ZNSN_ISO_Lb1ESQ_SR_ST_SU_SY_EESZ_S10_S11_S12_S16_S17_S18_S1B_S1C_jS1D_jS1E_S1E_jjS1G_bEUljE0_EEESZ_S10_S11_S18_S1C_S1E_T6_T7_T9_mT8_S1G_bDpT10_ENKUlT_T0_E_clISt17integral_constantIbLb1EES1T_IbLb0EEEEDaS1P_S1Q_EUlS1P_E_NS1_11comp_targetILNS1_3genE9ELNS1_11target_archE1100ELNS1_3gpuE3ELNS1_3repE0EEENS1_30default_config_static_selectorELNS0_4arch9wavefront6targetE1EEEvS12_
    .private_segment_fixed_size: 0
    .sgpr_count:     4
    .sgpr_spill_count: 0
    .symbol:         _ZN7rocprim17ROCPRIM_400000_NS6detail17trampoline_kernelINS0_13select_configILj256ELj13ELNS0_17block_load_methodE3ELS4_3ELS4_3ELNS0_20block_scan_algorithmE0ELj4294967295EEENS1_25partition_config_selectorILNS1_17partition_subalgoE4EjNS0_10empty_typeEbEEZZNS1_14partition_implILS8_4ELb0ES6_15HIP_vector_typeIjLj2EENS0_17counting_iteratorIjlEEPS9_SG_NS0_5tupleIJPjSI_NS0_16reverse_iteratorISI_EEEEENSH_IJSG_SG_SG_EEES9_SI_JZNS1_25segmented_radix_sort_implINS0_14default_configELb1EPKhPhPKlPlN2at6native12_GLOBAL__N_18offset_tEEE10hipError_tPvRmT1_PNSt15iterator_traitsIS12_E10value_typeET2_T3_PNS13_IS18_E10value_typeET4_jRbjT5_S1E_jjP12ihipStream_tbEUljE_ZNSN_ISO_Lb1ESQ_SR_ST_SU_SY_EESZ_S10_S11_S12_S16_S17_S18_S1B_S1C_jS1D_jS1E_S1E_jjS1G_bEUljE0_EEESZ_S10_S11_S18_S1C_S1E_T6_T7_T9_mT8_S1G_bDpT10_ENKUlT_T0_E_clISt17integral_constantIbLb1EES1T_IbLb0EEEEDaS1P_S1Q_EUlS1P_E_NS1_11comp_targetILNS1_3genE9ELNS1_11target_archE1100ELNS1_3gpuE3ELNS1_3repE0EEENS1_30default_config_static_selectorELNS0_4arch9wavefront6targetE1EEEvS12_.kd
    .uniform_work_group_size: 1
    .uses_dynamic_stack: false
    .vgpr_count:     0
    .vgpr_spill_count: 0
    .wavefront_size: 64
  - .agpr_count:     0
    .args:
      - .offset:         0
        .size:           176
        .value_kind:     by_value
    .group_segment_fixed_size: 0
    .kernarg_segment_align: 8
    .kernarg_segment_size: 176
    .language:       OpenCL C
    .language_version:
      - 2
      - 0
    .max_flat_workgroup_size: 256
    .name:           _ZN7rocprim17ROCPRIM_400000_NS6detail17trampoline_kernelINS0_13select_configILj256ELj13ELNS0_17block_load_methodE3ELS4_3ELS4_3ELNS0_20block_scan_algorithmE0ELj4294967295EEENS1_25partition_config_selectorILNS1_17partition_subalgoE4EjNS0_10empty_typeEbEEZZNS1_14partition_implILS8_4ELb0ES6_15HIP_vector_typeIjLj2EENS0_17counting_iteratorIjlEEPS9_SG_NS0_5tupleIJPjSI_NS0_16reverse_iteratorISI_EEEEENSH_IJSG_SG_SG_EEES9_SI_JZNS1_25segmented_radix_sort_implINS0_14default_configELb1EPKhPhPKlPlN2at6native12_GLOBAL__N_18offset_tEEE10hipError_tPvRmT1_PNSt15iterator_traitsIS12_E10value_typeET2_T3_PNS13_IS18_E10value_typeET4_jRbjT5_S1E_jjP12ihipStream_tbEUljE_ZNSN_ISO_Lb1ESQ_SR_ST_SU_SY_EESZ_S10_S11_S12_S16_S17_S18_S1B_S1C_jS1D_jS1E_S1E_jjS1G_bEUljE0_EEESZ_S10_S11_S18_S1C_S1E_T6_T7_T9_mT8_S1G_bDpT10_ENKUlT_T0_E_clISt17integral_constantIbLb1EES1T_IbLb0EEEEDaS1P_S1Q_EUlS1P_E_NS1_11comp_targetILNS1_3genE8ELNS1_11target_archE1030ELNS1_3gpuE2ELNS1_3repE0EEENS1_30default_config_static_selectorELNS0_4arch9wavefront6targetE1EEEvS12_
    .private_segment_fixed_size: 0
    .sgpr_count:     4
    .sgpr_spill_count: 0
    .symbol:         _ZN7rocprim17ROCPRIM_400000_NS6detail17trampoline_kernelINS0_13select_configILj256ELj13ELNS0_17block_load_methodE3ELS4_3ELS4_3ELNS0_20block_scan_algorithmE0ELj4294967295EEENS1_25partition_config_selectorILNS1_17partition_subalgoE4EjNS0_10empty_typeEbEEZZNS1_14partition_implILS8_4ELb0ES6_15HIP_vector_typeIjLj2EENS0_17counting_iteratorIjlEEPS9_SG_NS0_5tupleIJPjSI_NS0_16reverse_iteratorISI_EEEEENSH_IJSG_SG_SG_EEES9_SI_JZNS1_25segmented_radix_sort_implINS0_14default_configELb1EPKhPhPKlPlN2at6native12_GLOBAL__N_18offset_tEEE10hipError_tPvRmT1_PNSt15iterator_traitsIS12_E10value_typeET2_T3_PNS13_IS18_E10value_typeET4_jRbjT5_S1E_jjP12ihipStream_tbEUljE_ZNSN_ISO_Lb1ESQ_SR_ST_SU_SY_EESZ_S10_S11_S12_S16_S17_S18_S1B_S1C_jS1D_jS1E_S1E_jjS1G_bEUljE0_EEESZ_S10_S11_S18_S1C_S1E_T6_T7_T9_mT8_S1G_bDpT10_ENKUlT_T0_E_clISt17integral_constantIbLb1EES1T_IbLb0EEEEDaS1P_S1Q_EUlS1P_E_NS1_11comp_targetILNS1_3genE8ELNS1_11target_archE1030ELNS1_3gpuE2ELNS1_3repE0EEENS1_30default_config_static_selectorELNS0_4arch9wavefront6targetE1EEEvS12_.kd
    .uniform_work_group_size: 1
    .uses_dynamic_stack: false
    .vgpr_count:     0
    .vgpr_spill_count: 0
    .wavefront_size: 64
  - .agpr_count:     0
    .args:
      - .address_space:  global
        .offset:         0
        .size:           8
        .value_kind:     global_buffer
      - .offset:         8
        .size:           4
        .value_kind:     by_value
      - .address_space:  global
        .offset:         16
        .size:           8
        .value_kind:     global_buffer
      - .offset:         24
        .size:           4
        .value_kind:     by_value
      - .address_space:  global
        .offset:         32
        .size:           8
        .value_kind:     global_buffer
      - .offset:         40
        .size:           4
        .value_kind:     hidden_block_count_x
      - .offset:         44
        .size:           4
        .value_kind:     hidden_block_count_y
      - .offset:         48
        .size:           4
        .value_kind:     hidden_block_count_z
      - .offset:         52
        .size:           2
        .value_kind:     hidden_group_size_x
      - .offset:         54
        .size:           2
        .value_kind:     hidden_group_size_y
      - .offset:         56
        .size:           2
        .value_kind:     hidden_group_size_z
      - .offset:         58
        .size:           2
        .value_kind:     hidden_remainder_x
      - .offset:         60
        .size:           2
        .value_kind:     hidden_remainder_y
      - .offset:         62
        .size:           2
        .value_kind:     hidden_remainder_z
      - .offset:         80
        .size:           8
        .value_kind:     hidden_global_offset_x
      - .offset:         88
        .size:           8
        .value_kind:     hidden_global_offset_y
      - .offset:         96
        .size:           8
        .value_kind:     hidden_global_offset_z
      - .offset:         104
        .size:           2
        .value_kind:     hidden_grid_dims
    .group_segment_fixed_size: 0
    .kernarg_segment_align: 8
    .kernarg_segment_size: 296
    .language:       OpenCL C
    .language_version:
      - 2
      - 0
    .max_flat_workgroup_size: 256
    .name:           _ZN7rocprim17ROCPRIM_400000_NS6detail31init_lookback_scan_state_kernelINS1_19lookback_scan_stateI15HIP_vector_typeIjLj2EELb0ELb1EEENS1_16block_id_wrapperIjLb1EEEEEvT_jT0_jPNS9_10value_typeE
    .private_segment_fixed_size: 0
    .sgpr_count:     19
    .sgpr_spill_count: 0
    .symbol:         _ZN7rocprim17ROCPRIM_400000_NS6detail31init_lookback_scan_state_kernelINS1_19lookback_scan_stateI15HIP_vector_typeIjLj2EELb0ELb1EEENS1_16block_id_wrapperIjLb1EEEEEvT_jT0_jPNS9_10value_typeE.kd
    .uniform_work_group_size: 1
    .uses_dynamic_stack: false
    .vgpr_count:     10
    .vgpr_spill_count: 0
    .wavefront_size: 64
  - .agpr_count:     0
    .args:
      - .offset:         0
        .size:           184
        .value_kind:     by_value
    .group_segment_fixed_size: 0
    .kernarg_segment_align: 8
    .kernarg_segment_size: 184
    .language:       OpenCL C
    .language_version:
      - 2
      - 0
    .max_flat_workgroup_size: 256
    .name:           _ZN7rocprim17ROCPRIM_400000_NS6detail17trampoline_kernelINS0_13select_configILj256ELj13ELNS0_17block_load_methodE3ELS4_3ELS4_3ELNS0_20block_scan_algorithmE0ELj4294967295EEENS1_25partition_config_selectorILNS1_17partition_subalgoE4EjNS0_10empty_typeEbEEZZNS1_14partition_implILS8_4ELb0ES6_15HIP_vector_typeIjLj2EENS0_17counting_iteratorIjlEEPS9_SG_NS0_5tupleIJPjSI_NS0_16reverse_iteratorISI_EEEEENSH_IJSG_SG_SG_EEES9_SI_JZNS1_25segmented_radix_sort_implINS0_14default_configELb1EPKhPhPKlPlN2at6native12_GLOBAL__N_18offset_tEEE10hipError_tPvRmT1_PNSt15iterator_traitsIS12_E10value_typeET2_T3_PNS13_IS18_E10value_typeET4_jRbjT5_S1E_jjP12ihipStream_tbEUljE_ZNSN_ISO_Lb1ESQ_SR_ST_SU_SY_EESZ_S10_S11_S12_S16_S17_S18_S1B_S1C_jS1D_jS1E_S1E_jjS1G_bEUljE0_EEESZ_S10_S11_S18_S1C_S1E_T6_T7_T9_mT8_S1G_bDpT10_ENKUlT_T0_E_clISt17integral_constantIbLb0EES1T_IbLb1EEEEDaS1P_S1Q_EUlS1P_E_NS1_11comp_targetILNS1_3genE0ELNS1_11target_archE4294967295ELNS1_3gpuE0ELNS1_3repE0EEENS1_30default_config_static_selectorELNS0_4arch9wavefront6targetE1EEEvS12_
    .private_segment_fixed_size: 0
    .sgpr_count:     4
    .sgpr_spill_count: 0
    .symbol:         _ZN7rocprim17ROCPRIM_400000_NS6detail17trampoline_kernelINS0_13select_configILj256ELj13ELNS0_17block_load_methodE3ELS4_3ELS4_3ELNS0_20block_scan_algorithmE0ELj4294967295EEENS1_25partition_config_selectorILNS1_17partition_subalgoE4EjNS0_10empty_typeEbEEZZNS1_14partition_implILS8_4ELb0ES6_15HIP_vector_typeIjLj2EENS0_17counting_iteratorIjlEEPS9_SG_NS0_5tupleIJPjSI_NS0_16reverse_iteratorISI_EEEEENSH_IJSG_SG_SG_EEES9_SI_JZNS1_25segmented_radix_sort_implINS0_14default_configELb1EPKhPhPKlPlN2at6native12_GLOBAL__N_18offset_tEEE10hipError_tPvRmT1_PNSt15iterator_traitsIS12_E10value_typeET2_T3_PNS13_IS18_E10value_typeET4_jRbjT5_S1E_jjP12ihipStream_tbEUljE_ZNSN_ISO_Lb1ESQ_SR_ST_SU_SY_EESZ_S10_S11_S12_S16_S17_S18_S1B_S1C_jS1D_jS1E_S1E_jjS1G_bEUljE0_EEESZ_S10_S11_S18_S1C_S1E_T6_T7_T9_mT8_S1G_bDpT10_ENKUlT_T0_E_clISt17integral_constantIbLb0EES1T_IbLb1EEEEDaS1P_S1Q_EUlS1P_E_NS1_11comp_targetILNS1_3genE0ELNS1_11target_archE4294967295ELNS1_3gpuE0ELNS1_3repE0EEENS1_30default_config_static_selectorELNS0_4arch9wavefront6targetE1EEEvS12_.kd
    .uniform_work_group_size: 1
    .uses_dynamic_stack: false
    .vgpr_count:     0
    .vgpr_spill_count: 0
    .wavefront_size: 64
  - .agpr_count:     0
    .args:
      - .offset:         0
        .size:           184
        .value_kind:     by_value
    .group_segment_fixed_size: 0
    .kernarg_segment_align: 8
    .kernarg_segment_size: 184
    .language:       OpenCL C
    .language_version:
      - 2
      - 0
    .max_flat_workgroup_size: 256
    .name:           _ZN7rocprim17ROCPRIM_400000_NS6detail17trampoline_kernelINS0_13select_configILj256ELj13ELNS0_17block_load_methodE3ELS4_3ELS4_3ELNS0_20block_scan_algorithmE0ELj4294967295EEENS1_25partition_config_selectorILNS1_17partition_subalgoE4EjNS0_10empty_typeEbEEZZNS1_14partition_implILS8_4ELb0ES6_15HIP_vector_typeIjLj2EENS0_17counting_iteratorIjlEEPS9_SG_NS0_5tupleIJPjSI_NS0_16reverse_iteratorISI_EEEEENSH_IJSG_SG_SG_EEES9_SI_JZNS1_25segmented_radix_sort_implINS0_14default_configELb1EPKhPhPKlPlN2at6native12_GLOBAL__N_18offset_tEEE10hipError_tPvRmT1_PNSt15iterator_traitsIS12_E10value_typeET2_T3_PNS13_IS18_E10value_typeET4_jRbjT5_S1E_jjP12ihipStream_tbEUljE_ZNSN_ISO_Lb1ESQ_SR_ST_SU_SY_EESZ_S10_S11_S12_S16_S17_S18_S1B_S1C_jS1D_jS1E_S1E_jjS1G_bEUljE0_EEESZ_S10_S11_S18_S1C_S1E_T6_T7_T9_mT8_S1G_bDpT10_ENKUlT_T0_E_clISt17integral_constantIbLb0EES1T_IbLb1EEEEDaS1P_S1Q_EUlS1P_E_NS1_11comp_targetILNS1_3genE5ELNS1_11target_archE942ELNS1_3gpuE9ELNS1_3repE0EEENS1_30default_config_static_selectorELNS0_4arch9wavefront6targetE1EEEvS12_
    .private_segment_fixed_size: 0
    .sgpr_count:     4
    .sgpr_spill_count: 0
    .symbol:         _ZN7rocprim17ROCPRIM_400000_NS6detail17trampoline_kernelINS0_13select_configILj256ELj13ELNS0_17block_load_methodE3ELS4_3ELS4_3ELNS0_20block_scan_algorithmE0ELj4294967295EEENS1_25partition_config_selectorILNS1_17partition_subalgoE4EjNS0_10empty_typeEbEEZZNS1_14partition_implILS8_4ELb0ES6_15HIP_vector_typeIjLj2EENS0_17counting_iteratorIjlEEPS9_SG_NS0_5tupleIJPjSI_NS0_16reverse_iteratorISI_EEEEENSH_IJSG_SG_SG_EEES9_SI_JZNS1_25segmented_radix_sort_implINS0_14default_configELb1EPKhPhPKlPlN2at6native12_GLOBAL__N_18offset_tEEE10hipError_tPvRmT1_PNSt15iterator_traitsIS12_E10value_typeET2_T3_PNS13_IS18_E10value_typeET4_jRbjT5_S1E_jjP12ihipStream_tbEUljE_ZNSN_ISO_Lb1ESQ_SR_ST_SU_SY_EESZ_S10_S11_S12_S16_S17_S18_S1B_S1C_jS1D_jS1E_S1E_jjS1G_bEUljE0_EEESZ_S10_S11_S18_S1C_S1E_T6_T7_T9_mT8_S1G_bDpT10_ENKUlT_T0_E_clISt17integral_constantIbLb0EES1T_IbLb1EEEEDaS1P_S1Q_EUlS1P_E_NS1_11comp_targetILNS1_3genE5ELNS1_11target_archE942ELNS1_3gpuE9ELNS1_3repE0EEENS1_30default_config_static_selectorELNS0_4arch9wavefront6targetE1EEEvS12_.kd
    .uniform_work_group_size: 1
    .uses_dynamic_stack: false
    .vgpr_count:     0
    .vgpr_spill_count: 0
    .wavefront_size: 64
  - .agpr_count:     0
    .args:
      - .offset:         0
        .size:           184
        .value_kind:     by_value
    .group_segment_fixed_size: 13340
    .kernarg_segment_align: 8
    .kernarg_segment_size: 184
    .language:       OpenCL C
    .language_version:
      - 2
      - 0
    .max_flat_workgroup_size: 256
    .name:           _ZN7rocprim17ROCPRIM_400000_NS6detail17trampoline_kernelINS0_13select_configILj256ELj13ELNS0_17block_load_methodE3ELS4_3ELS4_3ELNS0_20block_scan_algorithmE0ELj4294967295EEENS1_25partition_config_selectorILNS1_17partition_subalgoE4EjNS0_10empty_typeEbEEZZNS1_14partition_implILS8_4ELb0ES6_15HIP_vector_typeIjLj2EENS0_17counting_iteratorIjlEEPS9_SG_NS0_5tupleIJPjSI_NS0_16reverse_iteratorISI_EEEEENSH_IJSG_SG_SG_EEES9_SI_JZNS1_25segmented_radix_sort_implINS0_14default_configELb1EPKhPhPKlPlN2at6native12_GLOBAL__N_18offset_tEEE10hipError_tPvRmT1_PNSt15iterator_traitsIS12_E10value_typeET2_T3_PNS13_IS18_E10value_typeET4_jRbjT5_S1E_jjP12ihipStream_tbEUljE_ZNSN_ISO_Lb1ESQ_SR_ST_SU_SY_EESZ_S10_S11_S12_S16_S17_S18_S1B_S1C_jS1D_jS1E_S1E_jjS1G_bEUljE0_EEESZ_S10_S11_S18_S1C_S1E_T6_T7_T9_mT8_S1G_bDpT10_ENKUlT_T0_E_clISt17integral_constantIbLb0EES1T_IbLb1EEEEDaS1P_S1Q_EUlS1P_E_NS1_11comp_targetILNS1_3genE4ELNS1_11target_archE910ELNS1_3gpuE8ELNS1_3repE0EEENS1_30default_config_static_selectorELNS0_4arch9wavefront6targetE1EEEvS12_
    .private_segment_fixed_size: 0
    .sgpr_count:     91
    .sgpr_spill_count: 0
    .symbol:         _ZN7rocprim17ROCPRIM_400000_NS6detail17trampoline_kernelINS0_13select_configILj256ELj13ELNS0_17block_load_methodE3ELS4_3ELS4_3ELNS0_20block_scan_algorithmE0ELj4294967295EEENS1_25partition_config_selectorILNS1_17partition_subalgoE4EjNS0_10empty_typeEbEEZZNS1_14partition_implILS8_4ELb0ES6_15HIP_vector_typeIjLj2EENS0_17counting_iteratorIjlEEPS9_SG_NS0_5tupleIJPjSI_NS0_16reverse_iteratorISI_EEEEENSH_IJSG_SG_SG_EEES9_SI_JZNS1_25segmented_radix_sort_implINS0_14default_configELb1EPKhPhPKlPlN2at6native12_GLOBAL__N_18offset_tEEE10hipError_tPvRmT1_PNSt15iterator_traitsIS12_E10value_typeET2_T3_PNS13_IS18_E10value_typeET4_jRbjT5_S1E_jjP12ihipStream_tbEUljE_ZNSN_ISO_Lb1ESQ_SR_ST_SU_SY_EESZ_S10_S11_S12_S16_S17_S18_S1B_S1C_jS1D_jS1E_S1E_jjS1G_bEUljE0_EEESZ_S10_S11_S18_S1C_S1E_T6_T7_T9_mT8_S1G_bDpT10_ENKUlT_T0_E_clISt17integral_constantIbLb0EES1T_IbLb1EEEEDaS1P_S1Q_EUlS1P_E_NS1_11comp_targetILNS1_3genE4ELNS1_11target_archE910ELNS1_3gpuE8ELNS1_3repE0EEENS1_30default_config_static_selectorELNS0_4arch9wavefront6targetE1EEEvS12_.kd
    .uniform_work_group_size: 1
    .uses_dynamic_stack: false
    .vgpr_count:     107
    .vgpr_spill_count: 0
    .wavefront_size: 64
  - .agpr_count:     0
    .args:
      - .offset:         0
        .size:           184
        .value_kind:     by_value
    .group_segment_fixed_size: 0
    .kernarg_segment_align: 8
    .kernarg_segment_size: 184
    .language:       OpenCL C
    .language_version:
      - 2
      - 0
    .max_flat_workgroup_size: 256
    .name:           _ZN7rocprim17ROCPRIM_400000_NS6detail17trampoline_kernelINS0_13select_configILj256ELj13ELNS0_17block_load_methodE3ELS4_3ELS4_3ELNS0_20block_scan_algorithmE0ELj4294967295EEENS1_25partition_config_selectorILNS1_17partition_subalgoE4EjNS0_10empty_typeEbEEZZNS1_14partition_implILS8_4ELb0ES6_15HIP_vector_typeIjLj2EENS0_17counting_iteratorIjlEEPS9_SG_NS0_5tupleIJPjSI_NS0_16reverse_iteratorISI_EEEEENSH_IJSG_SG_SG_EEES9_SI_JZNS1_25segmented_radix_sort_implINS0_14default_configELb1EPKhPhPKlPlN2at6native12_GLOBAL__N_18offset_tEEE10hipError_tPvRmT1_PNSt15iterator_traitsIS12_E10value_typeET2_T3_PNS13_IS18_E10value_typeET4_jRbjT5_S1E_jjP12ihipStream_tbEUljE_ZNSN_ISO_Lb1ESQ_SR_ST_SU_SY_EESZ_S10_S11_S12_S16_S17_S18_S1B_S1C_jS1D_jS1E_S1E_jjS1G_bEUljE0_EEESZ_S10_S11_S18_S1C_S1E_T6_T7_T9_mT8_S1G_bDpT10_ENKUlT_T0_E_clISt17integral_constantIbLb0EES1T_IbLb1EEEEDaS1P_S1Q_EUlS1P_E_NS1_11comp_targetILNS1_3genE3ELNS1_11target_archE908ELNS1_3gpuE7ELNS1_3repE0EEENS1_30default_config_static_selectorELNS0_4arch9wavefront6targetE1EEEvS12_
    .private_segment_fixed_size: 0
    .sgpr_count:     4
    .sgpr_spill_count: 0
    .symbol:         _ZN7rocprim17ROCPRIM_400000_NS6detail17trampoline_kernelINS0_13select_configILj256ELj13ELNS0_17block_load_methodE3ELS4_3ELS4_3ELNS0_20block_scan_algorithmE0ELj4294967295EEENS1_25partition_config_selectorILNS1_17partition_subalgoE4EjNS0_10empty_typeEbEEZZNS1_14partition_implILS8_4ELb0ES6_15HIP_vector_typeIjLj2EENS0_17counting_iteratorIjlEEPS9_SG_NS0_5tupleIJPjSI_NS0_16reverse_iteratorISI_EEEEENSH_IJSG_SG_SG_EEES9_SI_JZNS1_25segmented_radix_sort_implINS0_14default_configELb1EPKhPhPKlPlN2at6native12_GLOBAL__N_18offset_tEEE10hipError_tPvRmT1_PNSt15iterator_traitsIS12_E10value_typeET2_T3_PNS13_IS18_E10value_typeET4_jRbjT5_S1E_jjP12ihipStream_tbEUljE_ZNSN_ISO_Lb1ESQ_SR_ST_SU_SY_EESZ_S10_S11_S12_S16_S17_S18_S1B_S1C_jS1D_jS1E_S1E_jjS1G_bEUljE0_EEESZ_S10_S11_S18_S1C_S1E_T6_T7_T9_mT8_S1G_bDpT10_ENKUlT_T0_E_clISt17integral_constantIbLb0EES1T_IbLb1EEEEDaS1P_S1Q_EUlS1P_E_NS1_11comp_targetILNS1_3genE3ELNS1_11target_archE908ELNS1_3gpuE7ELNS1_3repE0EEENS1_30default_config_static_selectorELNS0_4arch9wavefront6targetE1EEEvS12_.kd
    .uniform_work_group_size: 1
    .uses_dynamic_stack: false
    .vgpr_count:     0
    .vgpr_spill_count: 0
    .wavefront_size: 64
  - .agpr_count:     0
    .args:
      - .offset:         0
        .size:           184
        .value_kind:     by_value
    .group_segment_fixed_size: 0
    .kernarg_segment_align: 8
    .kernarg_segment_size: 184
    .language:       OpenCL C
    .language_version:
      - 2
      - 0
    .max_flat_workgroup_size: 256
    .name:           _ZN7rocprim17ROCPRIM_400000_NS6detail17trampoline_kernelINS0_13select_configILj256ELj13ELNS0_17block_load_methodE3ELS4_3ELS4_3ELNS0_20block_scan_algorithmE0ELj4294967295EEENS1_25partition_config_selectorILNS1_17partition_subalgoE4EjNS0_10empty_typeEbEEZZNS1_14partition_implILS8_4ELb0ES6_15HIP_vector_typeIjLj2EENS0_17counting_iteratorIjlEEPS9_SG_NS0_5tupleIJPjSI_NS0_16reverse_iteratorISI_EEEEENSH_IJSG_SG_SG_EEES9_SI_JZNS1_25segmented_radix_sort_implINS0_14default_configELb1EPKhPhPKlPlN2at6native12_GLOBAL__N_18offset_tEEE10hipError_tPvRmT1_PNSt15iterator_traitsIS12_E10value_typeET2_T3_PNS13_IS18_E10value_typeET4_jRbjT5_S1E_jjP12ihipStream_tbEUljE_ZNSN_ISO_Lb1ESQ_SR_ST_SU_SY_EESZ_S10_S11_S12_S16_S17_S18_S1B_S1C_jS1D_jS1E_S1E_jjS1G_bEUljE0_EEESZ_S10_S11_S18_S1C_S1E_T6_T7_T9_mT8_S1G_bDpT10_ENKUlT_T0_E_clISt17integral_constantIbLb0EES1T_IbLb1EEEEDaS1P_S1Q_EUlS1P_E_NS1_11comp_targetILNS1_3genE2ELNS1_11target_archE906ELNS1_3gpuE6ELNS1_3repE0EEENS1_30default_config_static_selectorELNS0_4arch9wavefront6targetE1EEEvS12_
    .private_segment_fixed_size: 0
    .sgpr_count:     4
    .sgpr_spill_count: 0
    .symbol:         _ZN7rocprim17ROCPRIM_400000_NS6detail17trampoline_kernelINS0_13select_configILj256ELj13ELNS0_17block_load_methodE3ELS4_3ELS4_3ELNS0_20block_scan_algorithmE0ELj4294967295EEENS1_25partition_config_selectorILNS1_17partition_subalgoE4EjNS0_10empty_typeEbEEZZNS1_14partition_implILS8_4ELb0ES6_15HIP_vector_typeIjLj2EENS0_17counting_iteratorIjlEEPS9_SG_NS0_5tupleIJPjSI_NS0_16reverse_iteratorISI_EEEEENSH_IJSG_SG_SG_EEES9_SI_JZNS1_25segmented_radix_sort_implINS0_14default_configELb1EPKhPhPKlPlN2at6native12_GLOBAL__N_18offset_tEEE10hipError_tPvRmT1_PNSt15iterator_traitsIS12_E10value_typeET2_T3_PNS13_IS18_E10value_typeET4_jRbjT5_S1E_jjP12ihipStream_tbEUljE_ZNSN_ISO_Lb1ESQ_SR_ST_SU_SY_EESZ_S10_S11_S12_S16_S17_S18_S1B_S1C_jS1D_jS1E_S1E_jjS1G_bEUljE0_EEESZ_S10_S11_S18_S1C_S1E_T6_T7_T9_mT8_S1G_bDpT10_ENKUlT_T0_E_clISt17integral_constantIbLb0EES1T_IbLb1EEEEDaS1P_S1Q_EUlS1P_E_NS1_11comp_targetILNS1_3genE2ELNS1_11target_archE906ELNS1_3gpuE6ELNS1_3repE0EEENS1_30default_config_static_selectorELNS0_4arch9wavefront6targetE1EEEvS12_.kd
    .uniform_work_group_size: 1
    .uses_dynamic_stack: false
    .vgpr_count:     0
    .vgpr_spill_count: 0
    .wavefront_size: 64
  - .agpr_count:     0
    .args:
      - .offset:         0
        .size:           184
        .value_kind:     by_value
    .group_segment_fixed_size: 0
    .kernarg_segment_align: 8
    .kernarg_segment_size: 184
    .language:       OpenCL C
    .language_version:
      - 2
      - 0
    .max_flat_workgroup_size: 256
    .name:           _ZN7rocprim17ROCPRIM_400000_NS6detail17trampoline_kernelINS0_13select_configILj256ELj13ELNS0_17block_load_methodE3ELS4_3ELS4_3ELNS0_20block_scan_algorithmE0ELj4294967295EEENS1_25partition_config_selectorILNS1_17partition_subalgoE4EjNS0_10empty_typeEbEEZZNS1_14partition_implILS8_4ELb0ES6_15HIP_vector_typeIjLj2EENS0_17counting_iteratorIjlEEPS9_SG_NS0_5tupleIJPjSI_NS0_16reverse_iteratorISI_EEEEENSH_IJSG_SG_SG_EEES9_SI_JZNS1_25segmented_radix_sort_implINS0_14default_configELb1EPKhPhPKlPlN2at6native12_GLOBAL__N_18offset_tEEE10hipError_tPvRmT1_PNSt15iterator_traitsIS12_E10value_typeET2_T3_PNS13_IS18_E10value_typeET4_jRbjT5_S1E_jjP12ihipStream_tbEUljE_ZNSN_ISO_Lb1ESQ_SR_ST_SU_SY_EESZ_S10_S11_S12_S16_S17_S18_S1B_S1C_jS1D_jS1E_S1E_jjS1G_bEUljE0_EEESZ_S10_S11_S18_S1C_S1E_T6_T7_T9_mT8_S1G_bDpT10_ENKUlT_T0_E_clISt17integral_constantIbLb0EES1T_IbLb1EEEEDaS1P_S1Q_EUlS1P_E_NS1_11comp_targetILNS1_3genE10ELNS1_11target_archE1200ELNS1_3gpuE4ELNS1_3repE0EEENS1_30default_config_static_selectorELNS0_4arch9wavefront6targetE1EEEvS12_
    .private_segment_fixed_size: 0
    .sgpr_count:     4
    .sgpr_spill_count: 0
    .symbol:         _ZN7rocprim17ROCPRIM_400000_NS6detail17trampoline_kernelINS0_13select_configILj256ELj13ELNS0_17block_load_methodE3ELS4_3ELS4_3ELNS0_20block_scan_algorithmE0ELj4294967295EEENS1_25partition_config_selectorILNS1_17partition_subalgoE4EjNS0_10empty_typeEbEEZZNS1_14partition_implILS8_4ELb0ES6_15HIP_vector_typeIjLj2EENS0_17counting_iteratorIjlEEPS9_SG_NS0_5tupleIJPjSI_NS0_16reverse_iteratorISI_EEEEENSH_IJSG_SG_SG_EEES9_SI_JZNS1_25segmented_radix_sort_implINS0_14default_configELb1EPKhPhPKlPlN2at6native12_GLOBAL__N_18offset_tEEE10hipError_tPvRmT1_PNSt15iterator_traitsIS12_E10value_typeET2_T3_PNS13_IS18_E10value_typeET4_jRbjT5_S1E_jjP12ihipStream_tbEUljE_ZNSN_ISO_Lb1ESQ_SR_ST_SU_SY_EESZ_S10_S11_S12_S16_S17_S18_S1B_S1C_jS1D_jS1E_S1E_jjS1G_bEUljE0_EEESZ_S10_S11_S18_S1C_S1E_T6_T7_T9_mT8_S1G_bDpT10_ENKUlT_T0_E_clISt17integral_constantIbLb0EES1T_IbLb1EEEEDaS1P_S1Q_EUlS1P_E_NS1_11comp_targetILNS1_3genE10ELNS1_11target_archE1200ELNS1_3gpuE4ELNS1_3repE0EEENS1_30default_config_static_selectorELNS0_4arch9wavefront6targetE1EEEvS12_.kd
    .uniform_work_group_size: 1
    .uses_dynamic_stack: false
    .vgpr_count:     0
    .vgpr_spill_count: 0
    .wavefront_size: 64
  - .agpr_count:     0
    .args:
      - .offset:         0
        .size:           184
        .value_kind:     by_value
    .group_segment_fixed_size: 0
    .kernarg_segment_align: 8
    .kernarg_segment_size: 184
    .language:       OpenCL C
    .language_version:
      - 2
      - 0
    .max_flat_workgroup_size: 256
    .name:           _ZN7rocprim17ROCPRIM_400000_NS6detail17trampoline_kernelINS0_13select_configILj256ELj13ELNS0_17block_load_methodE3ELS4_3ELS4_3ELNS0_20block_scan_algorithmE0ELj4294967295EEENS1_25partition_config_selectorILNS1_17partition_subalgoE4EjNS0_10empty_typeEbEEZZNS1_14partition_implILS8_4ELb0ES6_15HIP_vector_typeIjLj2EENS0_17counting_iteratorIjlEEPS9_SG_NS0_5tupleIJPjSI_NS0_16reverse_iteratorISI_EEEEENSH_IJSG_SG_SG_EEES9_SI_JZNS1_25segmented_radix_sort_implINS0_14default_configELb1EPKhPhPKlPlN2at6native12_GLOBAL__N_18offset_tEEE10hipError_tPvRmT1_PNSt15iterator_traitsIS12_E10value_typeET2_T3_PNS13_IS18_E10value_typeET4_jRbjT5_S1E_jjP12ihipStream_tbEUljE_ZNSN_ISO_Lb1ESQ_SR_ST_SU_SY_EESZ_S10_S11_S12_S16_S17_S18_S1B_S1C_jS1D_jS1E_S1E_jjS1G_bEUljE0_EEESZ_S10_S11_S18_S1C_S1E_T6_T7_T9_mT8_S1G_bDpT10_ENKUlT_T0_E_clISt17integral_constantIbLb0EES1T_IbLb1EEEEDaS1P_S1Q_EUlS1P_E_NS1_11comp_targetILNS1_3genE9ELNS1_11target_archE1100ELNS1_3gpuE3ELNS1_3repE0EEENS1_30default_config_static_selectorELNS0_4arch9wavefront6targetE1EEEvS12_
    .private_segment_fixed_size: 0
    .sgpr_count:     4
    .sgpr_spill_count: 0
    .symbol:         _ZN7rocprim17ROCPRIM_400000_NS6detail17trampoline_kernelINS0_13select_configILj256ELj13ELNS0_17block_load_methodE3ELS4_3ELS4_3ELNS0_20block_scan_algorithmE0ELj4294967295EEENS1_25partition_config_selectorILNS1_17partition_subalgoE4EjNS0_10empty_typeEbEEZZNS1_14partition_implILS8_4ELb0ES6_15HIP_vector_typeIjLj2EENS0_17counting_iteratorIjlEEPS9_SG_NS0_5tupleIJPjSI_NS0_16reverse_iteratorISI_EEEEENSH_IJSG_SG_SG_EEES9_SI_JZNS1_25segmented_radix_sort_implINS0_14default_configELb1EPKhPhPKlPlN2at6native12_GLOBAL__N_18offset_tEEE10hipError_tPvRmT1_PNSt15iterator_traitsIS12_E10value_typeET2_T3_PNS13_IS18_E10value_typeET4_jRbjT5_S1E_jjP12ihipStream_tbEUljE_ZNSN_ISO_Lb1ESQ_SR_ST_SU_SY_EESZ_S10_S11_S12_S16_S17_S18_S1B_S1C_jS1D_jS1E_S1E_jjS1G_bEUljE0_EEESZ_S10_S11_S18_S1C_S1E_T6_T7_T9_mT8_S1G_bDpT10_ENKUlT_T0_E_clISt17integral_constantIbLb0EES1T_IbLb1EEEEDaS1P_S1Q_EUlS1P_E_NS1_11comp_targetILNS1_3genE9ELNS1_11target_archE1100ELNS1_3gpuE3ELNS1_3repE0EEENS1_30default_config_static_selectorELNS0_4arch9wavefront6targetE1EEEvS12_.kd
    .uniform_work_group_size: 1
    .uses_dynamic_stack: false
    .vgpr_count:     0
    .vgpr_spill_count: 0
    .wavefront_size: 64
  - .agpr_count:     0
    .args:
      - .offset:         0
        .size:           184
        .value_kind:     by_value
    .group_segment_fixed_size: 0
    .kernarg_segment_align: 8
    .kernarg_segment_size: 184
    .language:       OpenCL C
    .language_version:
      - 2
      - 0
    .max_flat_workgroup_size: 256
    .name:           _ZN7rocprim17ROCPRIM_400000_NS6detail17trampoline_kernelINS0_13select_configILj256ELj13ELNS0_17block_load_methodE3ELS4_3ELS4_3ELNS0_20block_scan_algorithmE0ELj4294967295EEENS1_25partition_config_selectorILNS1_17partition_subalgoE4EjNS0_10empty_typeEbEEZZNS1_14partition_implILS8_4ELb0ES6_15HIP_vector_typeIjLj2EENS0_17counting_iteratorIjlEEPS9_SG_NS0_5tupleIJPjSI_NS0_16reverse_iteratorISI_EEEEENSH_IJSG_SG_SG_EEES9_SI_JZNS1_25segmented_radix_sort_implINS0_14default_configELb1EPKhPhPKlPlN2at6native12_GLOBAL__N_18offset_tEEE10hipError_tPvRmT1_PNSt15iterator_traitsIS12_E10value_typeET2_T3_PNS13_IS18_E10value_typeET4_jRbjT5_S1E_jjP12ihipStream_tbEUljE_ZNSN_ISO_Lb1ESQ_SR_ST_SU_SY_EESZ_S10_S11_S12_S16_S17_S18_S1B_S1C_jS1D_jS1E_S1E_jjS1G_bEUljE0_EEESZ_S10_S11_S18_S1C_S1E_T6_T7_T9_mT8_S1G_bDpT10_ENKUlT_T0_E_clISt17integral_constantIbLb0EES1T_IbLb1EEEEDaS1P_S1Q_EUlS1P_E_NS1_11comp_targetILNS1_3genE8ELNS1_11target_archE1030ELNS1_3gpuE2ELNS1_3repE0EEENS1_30default_config_static_selectorELNS0_4arch9wavefront6targetE1EEEvS12_
    .private_segment_fixed_size: 0
    .sgpr_count:     4
    .sgpr_spill_count: 0
    .symbol:         _ZN7rocprim17ROCPRIM_400000_NS6detail17trampoline_kernelINS0_13select_configILj256ELj13ELNS0_17block_load_methodE3ELS4_3ELS4_3ELNS0_20block_scan_algorithmE0ELj4294967295EEENS1_25partition_config_selectorILNS1_17partition_subalgoE4EjNS0_10empty_typeEbEEZZNS1_14partition_implILS8_4ELb0ES6_15HIP_vector_typeIjLj2EENS0_17counting_iteratorIjlEEPS9_SG_NS0_5tupleIJPjSI_NS0_16reverse_iteratorISI_EEEEENSH_IJSG_SG_SG_EEES9_SI_JZNS1_25segmented_radix_sort_implINS0_14default_configELb1EPKhPhPKlPlN2at6native12_GLOBAL__N_18offset_tEEE10hipError_tPvRmT1_PNSt15iterator_traitsIS12_E10value_typeET2_T3_PNS13_IS18_E10value_typeET4_jRbjT5_S1E_jjP12ihipStream_tbEUljE_ZNSN_ISO_Lb1ESQ_SR_ST_SU_SY_EESZ_S10_S11_S12_S16_S17_S18_S1B_S1C_jS1D_jS1E_S1E_jjS1G_bEUljE0_EEESZ_S10_S11_S18_S1C_S1E_T6_T7_T9_mT8_S1G_bDpT10_ENKUlT_T0_E_clISt17integral_constantIbLb0EES1T_IbLb1EEEEDaS1P_S1Q_EUlS1P_E_NS1_11comp_targetILNS1_3genE8ELNS1_11target_archE1030ELNS1_3gpuE2ELNS1_3repE0EEENS1_30default_config_static_selectorELNS0_4arch9wavefront6targetE1EEEvS12_.kd
    .uniform_work_group_size: 1
    .uses_dynamic_stack: false
    .vgpr_count:     0
    .vgpr_spill_count: 0
    .wavefront_size: 64
  - .agpr_count:     0
    .args:
      - .address_space:  global
        .offset:         0
        .size:           8
        .value_kind:     global_buffer
      - .offset:         8
        .size:           4
        .value_kind:     by_value
      - .offset:         12
        .size:           1
        .value_kind:     by_value
      - .offset:         16
        .size:           4
        .value_kind:     by_value
      - .address_space:  global
        .offset:         24
        .size:           8
        .value_kind:     global_buffer
      - .offset:         32
        .size:           4
        .value_kind:     hidden_block_count_x
      - .offset:         36
        .size:           4
        .value_kind:     hidden_block_count_y
      - .offset:         40
        .size:           4
        .value_kind:     hidden_block_count_z
      - .offset:         44
        .size:           2
        .value_kind:     hidden_group_size_x
      - .offset:         46
        .size:           2
        .value_kind:     hidden_group_size_y
      - .offset:         48
        .size:           2
        .value_kind:     hidden_group_size_z
      - .offset:         50
        .size:           2
        .value_kind:     hidden_remainder_x
      - .offset:         52
        .size:           2
        .value_kind:     hidden_remainder_y
      - .offset:         54
        .size:           2
        .value_kind:     hidden_remainder_z
      - .offset:         72
        .size:           8
        .value_kind:     hidden_global_offset_x
      - .offset:         80
        .size:           8
        .value_kind:     hidden_global_offset_y
      - .offset:         88
        .size:           8
        .value_kind:     hidden_global_offset_z
      - .offset:         96
        .size:           2
        .value_kind:     hidden_grid_dims
    .group_segment_fixed_size: 0
    .kernarg_segment_align: 8
    .kernarg_segment_size: 288
    .language:       OpenCL C
    .language_version:
      - 2
      - 0
    .max_flat_workgroup_size: 256
    .name:           _ZN7rocprim17ROCPRIM_400000_NS6detail31init_lookback_scan_state_kernelINS1_19lookback_scan_stateIjLb0ELb1EEENS1_16block_id_wrapperIjLb0EEEEEvT_jT0_jPNS7_10value_typeE
    .private_segment_fixed_size: 0
    .sgpr_count:     13
    .sgpr_spill_count: 0
    .symbol:         _ZN7rocprim17ROCPRIM_400000_NS6detail31init_lookback_scan_state_kernelINS1_19lookback_scan_stateIjLb0ELb1EEENS1_16block_id_wrapperIjLb0EEEEEvT_jT0_jPNS7_10value_typeE.kd
    .uniform_work_group_size: 1
    .uses_dynamic_stack: false
    .vgpr_count:     6
    .vgpr_spill_count: 0
    .wavefront_size: 64
  - .agpr_count:     0
    .args:
      - .offset:         0
        .size:           144
        .value_kind:     by_value
    .group_segment_fixed_size: 0
    .kernarg_segment_align: 8
    .kernarg_segment_size: 144
    .language:       OpenCL C
    .language_version:
      - 2
      - 0
    .max_flat_workgroup_size: 256
    .name:           _ZN7rocprim17ROCPRIM_400000_NS6detail17trampoline_kernelINS0_13select_configILj256ELj13ELNS0_17block_load_methodE3ELS4_3ELS4_3ELNS0_20block_scan_algorithmE0ELj4294967295EEENS1_25partition_config_selectorILNS1_17partition_subalgoE3EjNS0_10empty_typeEbEEZZNS1_14partition_implILS8_3ELb0ES6_jNS0_17counting_iteratorIjlEEPS9_SE_NS0_5tupleIJPjSE_EEENSF_IJSE_SE_EEES9_SG_JZNS1_25segmented_radix_sort_implINS0_14default_configELb1EPKhPhPKlPlN2at6native12_GLOBAL__N_18offset_tEEE10hipError_tPvRmT1_PNSt15iterator_traitsISY_E10value_typeET2_T3_PNSZ_IS14_E10value_typeET4_jRbjT5_S1A_jjP12ihipStream_tbEUljE_EEESV_SW_SX_S14_S18_S1A_T6_T7_T9_mT8_S1C_bDpT10_ENKUlT_T0_E_clISt17integral_constantIbLb0EES1P_EEDaS1K_S1L_EUlS1K_E_NS1_11comp_targetILNS1_3genE0ELNS1_11target_archE4294967295ELNS1_3gpuE0ELNS1_3repE0EEENS1_30default_config_static_selectorELNS0_4arch9wavefront6targetE1EEEvSY_
    .private_segment_fixed_size: 0
    .sgpr_count:     4
    .sgpr_spill_count: 0
    .symbol:         _ZN7rocprim17ROCPRIM_400000_NS6detail17trampoline_kernelINS0_13select_configILj256ELj13ELNS0_17block_load_methodE3ELS4_3ELS4_3ELNS0_20block_scan_algorithmE0ELj4294967295EEENS1_25partition_config_selectorILNS1_17partition_subalgoE3EjNS0_10empty_typeEbEEZZNS1_14partition_implILS8_3ELb0ES6_jNS0_17counting_iteratorIjlEEPS9_SE_NS0_5tupleIJPjSE_EEENSF_IJSE_SE_EEES9_SG_JZNS1_25segmented_radix_sort_implINS0_14default_configELb1EPKhPhPKlPlN2at6native12_GLOBAL__N_18offset_tEEE10hipError_tPvRmT1_PNSt15iterator_traitsISY_E10value_typeET2_T3_PNSZ_IS14_E10value_typeET4_jRbjT5_S1A_jjP12ihipStream_tbEUljE_EEESV_SW_SX_S14_S18_S1A_T6_T7_T9_mT8_S1C_bDpT10_ENKUlT_T0_E_clISt17integral_constantIbLb0EES1P_EEDaS1K_S1L_EUlS1K_E_NS1_11comp_targetILNS1_3genE0ELNS1_11target_archE4294967295ELNS1_3gpuE0ELNS1_3repE0EEENS1_30default_config_static_selectorELNS0_4arch9wavefront6targetE1EEEvSY_.kd
    .uniform_work_group_size: 1
    .uses_dynamic_stack: false
    .vgpr_count:     0
    .vgpr_spill_count: 0
    .wavefront_size: 64
  - .agpr_count:     0
    .args:
      - .offset:         0
        .size:           144
        .value_kind:     by_value
    .group_segment_fixed_size: 0
    .kernarg_segment_align: 8
    .kernarg_segment_size: 144
    .language:       OpenCL C
    .language_version:
      - 2
      - 0
    .max_flat_workgroup_size: 256
    .name:           _ZN7rocprim17ROCPRIM_400000_NS6detail17trampoline_kernelINS0_13select_configILj256ELj13ELNS0_17block_load_methodE3ELS4_3ELS4_3ELNS0_20block_scan_algorithmE0ELj4294967295EEENS1_25partition_config_selectorILNS1_17partition_subalgoE3EjNS0_10empty_typeEbEEZZNS1_14partition_implILS8_3ELb0ES6_jNS0_17counting_iteratorIjlEEPS9_SE_NS0_5tupleIJPjSE_EEENSF_IJSE_SE_EEES9_SG_JZNS1_25segmented_radix_sort_implINS0_14default_configELb1EPKhPhPKlPlN2at6native12_GLOBAL__N_18offset_tEEE10hipError_tPvRmT1_PNSt15iterator_traitsISY_E10value_typeET2_T3_PNSZ_IS14_E10value_typeET4_jRbjT5_S1A_jjP12ihipStream_tbEUljE_EEESV_SW_SX_S14_S18_S1A_T6_T7_T9_mT8_S1C_bDpT10_ENKUlT_T0_E_clISt17integral_constantIbLb0EES1P_EEDaS1K_S1L_EUlS1K_E_NS1_11comp_targetILNS1_3genE5ELNS1_11target_archE942ELNS1_3gpuE9ELNS1_3repE0EEENS1_30default_config_static_selectorELNS0_4arch9wavefront6targetE1EEEvSY_
    .private_segment_fixed_size: 0
    .sgpr_count:     4
    .sgpr_spill_count: 0
    .symbol:         _ZN7rocprim17ROCPRIM_400000_NS6detail17trampoline_kernelINS0_13select_configILj256ELj13ELNS0_17block_load_methodE3ELS4_3ELS4_3ELNS0_20block_scan_algorithmE0ELj4294967295EEENS1_25partition_config_selectorILNS1_17partition_subalgoE3EjNS0_10empty_typeEbEEZZNS1_14partition_implILS8_3ELb0ES6_jNS0_17counting_iteratorIjlEEPS9_SE_NS0_5tupleIJPjSE_EEENSF_IJSE_SE_EEES9_SG_JZNS1_25segmented_radix_sort_implINS0_14default_configELb1EPKhPhPKlPlN2at6native12_GLOBAL__N_18offset_tEEE10hipError_tPvRmT1_PNSt15iterator_traitsISY_E10value_typeET2_T3_PNSZ_IS14_E10value_typeET4_jRbjT5_S1A_jjP12ihipStream_tbEUljE_EEESV_SW_SX_S14_S18_S1A_T6_T7_T9_mT8_S1C_bDpT10_ENKUlT_T0_E_clISt17integral_constantIbLb0EES1P_EEDaS1K_S1L_EUlS1K_E_NS1_11comp_targetILNS1_3genE5ELNS1_11target_archE942ELNS1_3gpuE9ELNS1_3repE0EEENS1_30default_config_static_selectorELNS0_4arch9wavefront6targetE1EEEvSY_.kd
    .uniform_work_group_size: 1
    .uses_dynamic_stack: false
    .vgpr_count:     0
    .vgpr_spill_count: 0
    .wavefront_size: 64
  - .agpr_count:     0
    .args:
      - .offset:         0
        .size:           144
        .value_kind:     by_value
    .group_segment_fixed_size: 13324
    .kernarg_segment_align: 8
    .kernarg_segment_size: 144
    .language:       OpenCL C
    .language_version:
      - 2
      - 0
    .max_flat_workgroup_size: 256
    .name:           _ZN7rocprim17ROCPRIM_400000_NS6detail17trampoline_kernelINS0_13select_configILj256ELj13ELNS0_17block_load_methodE3ELS4_3ELS4_3ELNS0_20block_scan_algorithmE0ELj4294967295EEENS1_25partition_config_selectorILNS1_17partition_subalgoE3EjNS0_10empty_typeEbEEZZNS1_14partition_implILS8_3ELb0ES6_jNS0_17counting_iteratorIjlEEPS9_SE_NS0_5tupleIJPjSE_EEENSF_IJSE_SE_EEES9_SG_JZNS1_25segmented_radix_sort_implINS0_14default_configELb1EPKhPhPKlPlN2at6native12_GLOBAL__N_18offset_tEEE10hipError_tPvRmT1_PNSt15iterator_traitsISY_E10value_typeET2_T3_PNSZ_IS14_E10value_typeET4_jRbjT5_S1A_jjP12ihipStream_tbEUljE_EEESV_SW_SX_S14_S18_S1A_T6_T7_T9_mT8_S1C_bDpT10_ENKUlT_T0_E_clISt17integral_constantIbLb0EES1P_EEDaS1K_S1L_EUlS1K_E_NS1_11comp_targetILNS1_3genE4ELNS1_11target_archE910ELNS1_3gpuE8ELNS1_3repE0EEENS1_30default_config_static_selectorELNS0_4arch9wavefront6targetE1EEEvSY_
    .private_segment_fixed_size: 0
    .sgpr_count:     50
    .sgpr_spill_count: 0
    .symbol:         _ZN7rocprim17ROCPRIM_400000_NS6detail17trampoline_kernelINS0_13select_configILj256ELj13ELNS0_17block_load_methodE3ELS4_3ELS4_3ELNS0_20block_scan_algorithmE0ELj4294967295EEENS1_25partition_config_selectorILNS1_17partition_subalgoE3EjNS0_10empty_typeEbEEZZNS1_14partition_implILS8_3ELb0ES6_jNS0_17counting_iteratorIjlEEPS9_SE_NS0_5tupleIJPjSE_EEENSF_IJSE_SE_EEES9_SG_JZNS1_25segmented_radix_sort_implINS0_14default_configELb1EPKhPhPKlPlN2at6native12_GLOBAL__N_18offset_tEEE10hipError_tPvRmT1_PNSt15iterator_traitsISY_E10value_typeET2_T3_PNSZ_IS14_E10value_typeET4_jRbjT5_S1A_jjP12ihipStream_tbEUljE_EEESV_SW_SX_S14_S18_S1A_T6_T7_T9_mT8_S1C_bDpT10_ENKUlT_T0_E_clISt17integral_constantIbLb0EES1P_EEDaS1K_S1L_EUlS1K_E_NS1_11comp_targetILNS1_3genE4ELNS1_11target_archE910ELNS1_3gpuE8ELNS1_3repE0EEENS1_30default_config_static_selectorELNS0_4arch9wavefront6targetE1EEEvSY_.kd
    .uniform_work_group_size: 1
    .uses_dynamic_stack: false
    .vgpr_count:     61
    .vgpr_spill_count: 0
    .wavefront_size: 64
  - .agpr_count:     0
    .args:
      - .offset:         0
        .size:           144
        .value_kind:     by_value
    .group_segment_fixed_size: 0
    .kernarg_segment_align: 8
    .kernarg_segment_size: 144
    .language:       OpenCL C
    .language_version:
      - 2
      - 0
    .max_flat_workgroup_size: 256
    .name:           _ZN7rocprim17ROCPRIM_400000_NS6detail17trampoline_kernelINS0_13select_configILj256ELj13ELNS0_17block_load_methodE3ELS4_3ELS4_3ELNS0_20block_scan_algorithmE0ELj4294967295EEENS1_25partition_config_selectorILNS1_17partition_subalgoE3EjNS0_10empty_typeEbEEZZNS1_14partition_implILS8_3ELb0ES6_jNS0_17counting_iteratorIjlEEPS9_SE_NS0_5tupleIJPjSE_EEENSF_IJSE_SE_EEES9_SG_JZNS1_25segmented_radix_sort_implINS0_14default_configELb1EPKhPhPKlPlN2at6native12_GLOBAL__N_18offset_tEEE10hipError_tPvRmT1_PNSt15iterator_traitsISY_E10value_typeET2_T3_PNSZ_IS14_E10value_typeET4_jRbjT5_S1A_jjP12ihipStream_tbEUljE_EEESV_SW_SX_S14_S18_S1A_T6_T7_T9_mT8_S1C_bDpT10_ENKUlT_T0_E_clISt17integral_constantIbLb0EES1P_EEDaS1K_S1L_EUlS1K_E_NS1_11comp_targetILNS1_3genE3ELNS1_11target_archE908ELNS1_3gpuE7ELNS1_3repE0EEENS1_30default_config_static_selectorELNS0_4arch9wavefront6targetE1EEEvSY_
    .private_segment_fixed_size: 0
    .sgpr_count:     4
    .sgpr_spill_count: 0
    .symbol:         _ZN7rocprim17ROCPRIM_400000_NS6detail17trampoline_kernelINS0_13select_configILj256ELj13ELNS0_17block_load_methodE3ELS4_3ELS4_3ELNS0_20block_scan_algorithmE0ELj4294967295EEENS1_25partition_config_selectorILNS1_17partition_subalgoE3EjNS0_10empty_typeEbEEZZNS1_14partition_implILS8_3ELb0ES6_jNS0_17counting_iteratorIjlEEPS9_SE_NS0_5tupleIJPjSE_EEENSF_IJSE_SE_EEES9_SG_JZNS1_25segmented_radix_sort_implINS0_14default_configELb1EPKhPhPKlPlN2at6native12_GLOBAL__N_18offset_tEEE10hipError_tPvRmT1_PNSt15iterator_traitsISY_E10value_typeET2_T3_PNSZ_IS14_E10value_typeET4_jRbjT5_S1A_jjP12ihipStream_tbEUljE_EEESV_SW_SX_S14_S18_S1A_T6_T7_T9_mT8_S1C_bDpT10_ENKUlT_T0_E_clISt17integral_constantIbLb0EES1P_EEDaS1K_S1L_EUlS1K_E_NS1_11comp_targetILNS1_3genE3ELNS1_11target_archE908ELNS1_3gpuE7ELNS1_3repE0EEENS1_30default_config_static_selectorELNS0_4arch9wavefront6targetE1EEEvSY_.kd
    .uniform_work_group_size: 1
    .uses_dynamic_stack: false
    .vgpr_count:     0
    .vgpr_spill_count: 0
    .wavefront_size: 64
  - .agpr_count:     0
    .args:
      - .offset:         0
        .size:           144
        .value_kind:     by_value
    .group_segment_fixed_size: 0
    .kernarg_segment_align: 8
    .kernarg_segment_size: 144
    .language:       OpenCL C
    .language_version:
      - 2
      - 0
    .max_flat_workgroup_size: 256
    .name:           _ZN7rocprim17ROCPRIM_400000_NS6detail17trampoline_kernelINS0_13select_configILj256ELj13ELNS0_17block_load_methodE3ELS4_3ELS4_3ELNS0_20block_scan_algorithmE0ELj4294967295EEENS1_25partition_config_selectorILNS1_17partition_subalgoE3EjNS0_10empty_typeEbEEZZNS1_14partition_implILS8_3ELb0ES6_jNS0_17counting_iteratorIjlEEPS9_SE_NS0_5tupleIJPjSE_EEENSF_IJSE_SE_EEES9_SG_JZNS1_25segmented_radix_sort_implINS0_14default_configELb1EPKhPhPKlPlN2at6native12_GLOBAL__N_18offset_tEEE10hipError_tPvRmT1_PNSt15iterator_traitsISY_E10value_typeET2_T3_PNSZ_IS14_E10value_typeET4_jRbjT5_S1A_jjP12ihipStream_tbEUljE_EEESV_SW_SX_S14_S18_S1A_T6_T7_T9_mT8_S1C_bDpT10_ENKUlT_T0_E_clISt17integral_constantIbLb0EES1P_EEDaS1K_S1L_EUlS1K_E_NS1_11comp_targetILNS1_3genE2ELNS1_11target_archE906ELNS1_3gpuE6ELNS1_3repE0EEENS1_30default_config_static_selectorELNS0_4arch9wavefront6targetE1EEEvSY_
    .private_segment_fixed_size: 0
    .sgpr_count:     4
    .sgpr_spill_count: 0
    .symbol:         _ZN7rocprim17ROCPRIM_400000_NS6detail17trampoline_kernelINS0_13select_configILj256ELj13ELNS0_17block_load_methodE3ELS4_3ELS4_3ELNS0_20block_scan_algorithmE0ELj4294967295EEENS1_25partition_config_selectorILNS1_17partition_subalgoE3EjNS0_10empty_typeEbEEZZNS1_14partition_implILS8_3ELb0ES6_jNS0_17counting_iteratorIjlEEPS9_SE_NS0_5tupleIJPjSE_EEENSF_IJSE_SE_EEES9_SG_JZNS1_25segmented_radix_sort_implINS0_14default_configELb1EPKhPhPKlPlN2at6native12_GLOBAL__N_18offset_tEEE10hipError_tPvRmT1_PNSt15iterator_traitsISY_E10value_typeET2_T3_PNSZ_IS14_E10value_typeET4_jRbjT5_S1A_jjP12ihipStream_tbEUljE_EEESV_SW_SX_S14_S18_S1A_T6_T7_T9_mT8_S1C_bDpT10_ENKUlT_T0_E_clISt17integral_constantIbLb0EES1P_EEDaS1K_S1L_EUlS1K_E_NS1_11comp_targetILNS1_3genE2ELNS1_11target_archE906ELNS1_3gpuE6ELNS1_3repE0EEENS1_30default_config_static_selectorELNS0_4arch9wavefront6targetE1EEEvSY_.kd
    .uniform_work_group_size: 1
    .uses_dynamic_stack: false
    .vgpr_count:     0
    .vgpr_spill_count: 0
    .wavefront_size: 64
  - .agpr_count:     0
    .args:
      - .offset:         0
        .size:           144
        .value_kind:     by_value
    .group_segment_fixed_size: 0
    .kernarg_segment_align: 8
    .kernarg_segment_size: 144
    .language:       OpenCL C
    .language_version:
      - 2
      - 0
    .max_flat_workgroup_size: 256
    .name:           _ZN7rocprim17ROCPRIM_400000_NS6detail17trampoline_kernelINS0_13select_configILj256ELj13ELNS0_17block_load_methodE3ELS4_3ELS4_3ELNS0_20block_scan_algorithmE0ELj4294967295EEENS1_25partition_config_selectorILNS1_17partition_subalgoE3EjNS0_10empty_typeEbEEZZNS1_14partition_implILS8_3ELb0ES6_jNS0_17counting_iteratorIjlEEPS9_SE_NS0_5tupleIJPjSE_EEENSF_IJSE_SE_EEES9_SG_JZNS1_25segmented_radix_sort_implINS0_14default_configELb1EPKhPhPKlPlN2at6native12_GLOBAL__N_18offset_tEEE10hipError_tPvRmT1_PNSt15iterator_traitsISY_E10value_typeET2_T3_PNSZ_IS14_E10value_typeET4_jRbjT5_S1A_jjP12ihipStream_tbEUljE_EEESV_SW_SX_S14_S18_S1A_T6_T7_T9_mT8_S1C_bDpT10_ENKUlT_T0_E_clISt17integral_constantIbLb0EES1P_EEDaS1K_S1L_EUlS1K_E_NS1_11comp_targetILNS1_3genE10ELNS1_11target_archE1200ELNS1_3gpuE4ELNS1_3repE0EEENS1_30default_config_static_selectorELNS0_4arch9wavefront6targetE1EEEvSY_
    .private_segment_fixed_size: 0
    .sgpr_count:     4
    .sgpr_spill_count: 0
    .symbol:         _ZN7rocprim17ROCPRIM_400000_NS6detail17trampoline_kernelINS0_13select_configILj256ELj13ELNS0_17block_load_methodE3ELS4_3ELS4_3ELNS0_20block_scan_algorithmE0ELj4294967295EEENS1_25partition_config_selectorILNS1_17partition_subalgoE3EjNS0_10empty_typeEbEEZZNS1_14partition_implILS8_3ELb0ES6_jNS0_17counting_iteratorIjlEEPS9_SE_NS0_5tupleIJPjSE_EEENSF_IJSE_SE_EEES9_SG_JZNS1_25segmented_radix_sort_implINS0_14default_configELb1EPKhPhPKlPlN2at6native12_GLOBAL__N_18offset_tEEE10hipError_tPvRmT1_PNSt15iterator_traitsISY_E10value_typeET2_T3_PNSZ_IS14_E10value_typeET4_jRbjT5_S1A_jjP12ihipStream_tbEUljE_EEESV_SW_SX_S14_S18_S1A_T6_T7_T9_mT8_S1C_bDpT10_ENKUlT_T0_E_clISt17integral_constantIbLb0EES1P_EEDaS1K_S1L_EUlS1K_E_NS1_11comp_targetILNS1_3genE10ELNS1_11target_archE1200ELNS1_3gpuE4ELNS1_3repE0EEENS1_30default_config_static_selectorELNS0_4arch9wavefront6targetE1EEEvSY_.kd
    .uniform_work_group_size: 1
    .uses_dynamic_stack: false
    .vgpr_count:     0
    .vgpr_spill_count: 0
    .wavefront_size: 64
  - .agpr_count:     0
    .args:
      - .offset:         0
        .size:           144
        .value_kind:     by_value
    .group_segment_fixed_size: 0
    .kernarg_segment_align: 8
    .kernarg_segment_size: 144
    .language:       OpenCL C
    .language_version:
      - 2
      - 0
    .max_flat_workgroup_size: 256
    .name:           _ZN7rocprim17ROCPRIM_400000_NS6detail17trampoline_kernelINS0_13select_configILj256ELj13ELNS0_17block_load_methodE3ELS4_3ELS4_3ELNS0_20block_scan_algorithmE0ELj4294967295EEENS1_25partition_config_selectorILNS1_17partition_subalgoE3EjNS0_10empty_typeEbEEZZNS1_14partition_implILS8_3ELb0ES6_jNS0_17counting_iteratorIjlEEPS9_SE_NS0_5tupleIJPjSE_EEENSF_IJSE_SE_EEES9_SG_JZNS1_25segmented_radix_sort_implINS0_14default_configELb1EPKhPhPKlPlN2at6native12_GLOBAL__N_18offset_tEEE10hipError_tPvRmT1_PNSt15iterator_traitsISY_E10value_typeET2_T3_PNSZ_IS14_E10value_typeET4_jRbjT5_S1A_jjP12ihipStream_tbEUljE_EEESV_SW_SX_S14_S18_S1A_T6_T7_T9_mT8_S1C_bDpT10_ENKUlT_T0_E_clISt17integral_constantIbLb0EES1P_EEDaS1K_S1L_EUlS1K_E_NS1_11comp_targetILNS1_3genE9ELNS1_11target_archE1100ELNS1_3gpuE3ELNS1_3repE0EEENS1_30default_config_static_selectorELNS0_4arch9wavefront6targetE1EEEvSY_
    .private_segment_fixed_size: 0
    .sgpr_count:     4
    .sgpr_spill_count: 0
    .symbol:         _ZN7rocprim17ROCPRIM_400000_NS6detail17trampoline_kernelINS0_13select_configILj256ELj13ELNS0_17block_load_methodE3ELS4_3ELS4_3ELNS0_20block_scan_algorithmE0ELj4294967295EEENS1_25partition_config_selectorILNS1_17partition_subalgoE3EjNS0_10empty_typeEbEEZZNS1_14partition_implILS8_3ELb0ES6_jNS0_17counting_iteratorIjlEEPS9_SE_NS0_5tupleIJPjSE_EEENSF_IJSE_SE_EEES9_SG_JZNS1_25segmented_radix_sort_implINS0_14default_configELb1EPKhPhPKlPlN2at6native12_GLOBAL__N_18offset_tEEE10hipError_tPvRmT1_PNSt15iterator_traitsISY_E10value_typeET2_T3_PNSZ_IS14_E10value_typeET4_jRbjT5_S1A_jjP12ihipStream_tbEUljE_EEESV_SW_SX_S14_S18_S1A_T6_T7_T9_mT8_S1C_bDpT10_ENKUlT_T0_E_clISt17integral_constantIbLb0EES1P_EEDaS1K_S1L_EUlS1K_E_NS1_11comp_targetILNS1_3genE9ELNS1_11target_archE1100ELNS1_3gpuE3ELNS1_3repE0EEENS1_30default_config_static_selectorELNS0_4arch9wavefront6targetE1EEEvSY_.kd
    .uniform_work_group_size: 1
    .uses_dynamic_stack: false
    .vgpr_count:     0
    .vgpr_spill_count: 0
    .wavefront_size: 64
  - .agpr_count:     0
    .args:
      - .offset:         0
        .size:           144
        .value_kind:     by_value
    .group_segment_fixed_size: 0
    .kernarg_segment_align: 8
    .kernarg_segment_size: 144
    .language:       OpenCL C
    .language_version:
      - 2
      - 0
    .max_flat_workgroup_size: 256
    .name:           _ZN7rocprim17ROCPRIM_400000_NS6detail17trampoline_kernelINS0_13select_configILj256ELj13ELNS0_17block_load_methodE3ELS4_3ELS4_3ELNS0_20block_scan_algorithmE0ELj4294967295EEENS1_25partition_config_selectorILNS1_17partition_subalgoE3EjNS0_10empty_typeEbEEZZNS1_14partition_implILS8_3ELb0ES6_jNS0_17counting_iteratorIjlEEPS9_SE_NS0_5tupleIJPjSE_EEENSF_IJSE_SE_EEES9_SG_JZNS1_25segmented_radix_sort_implINS0_14default_configELb1EPKhPhPKlPlN2at6native12_GLOBAL__N_18offset_tEEE10hipError_tPvRmT1_PNSt15iterator_traitsISY_E10value_typeET2_T3_PNSZ_IS14_E10value_typeET4_jRbjT5_S1A_jjP12ihipStream_tbEUljE_EEESV_SW_SX_S14_S18_S1A_T6_T7_T9_mT8_S1C_bDpT10_ENKUlT_T0_E_clISt17integral_constantIbLb0EES1P_EEDaS1K_S1L_EUlS1K_E_NS1_11comp_targetILNS1_3genE8ELNS1_11target_archE1030ELNS1_3gpuE2ELNS1_3repE0EEENS1_30default_config_static_selectorELNS0_4arch9wavefront6targetE1EEEvSY_
    .private_segment_fixed_size: 0
    .sgpr_count:     4
    .sgpr_spill_count: 0
    .symbol:         _ZN7rocprim17ROCPRIM_400000_NS6detail17trampoline_kernelINS0_13select_configILj256ELj13ELNS0_17block_load_methodE3ELS4_3ELS4_3ELNS0_20block_scan_algorithmE0ELj4294967295EEENS1_25partition_config_selectorILNS1_17partition_subalgoE3EjNS0_10empty_typeEbEEZZNS1_14partition_implILS8_3ELb0ES6_jNS0_17counting_iteratorIjlEEPS9_SE_NS0_5tupleIJPjSE_EEENSF_IJSE_SE_EEES9_SG_JZNS1_25segmented_radix_sort_implINS0_14default_configELb1EPKhPhPKlPlN2at6native12_GLOBAL__N_18offset_tEEE10hipError_tPvRmT1_PNSt15iterator_traitsISY_E10value_typeET2_T3_PNSZ_IS14_E10value_typeET4_jRbjT5_S1A_jjP12ihipStream_tbEUljE_EEESV_SW_SX_S14_S18_S1A_T6_T7_T9_mT8_S1C_bDpT10_ENKUlT_T0_E_clISt17integral_constantIbLb0EES1P_EEDaS1K_S1L_EUlS1K_E_NS1_11comp_targetILNS1_3genE8ELNS1_11target_archE1030ELNS1_3gpuE2ELNS1_3repE0EEENS1_30default_config_static_selectorELNS0_4arch9wavefront6targetE1EEEvSY_.kd
    .uniform_work_group_size: 1
    .uses_dynamic_stack: false
    .vgpr_count:     0
    .vgpr_spill_count: 0
    .wavefront_size: 64
  - .agpr_count:     0
    .args:
      - .address_space:  global
        .offset:         0
        .size:           8
        .value_kind:     global_buffer
      - .offset:         8
        .size:           4
        .value_kind:     by_value
      - .address_space:  global
        .offset:         16
        .size:           8
        .value_kind:     global_buffer
      - .offset:         24
        .size:           4
        .value_kind:     by_value
      - .address_space:  global
        .offset:         32
        .size:           8
        .value_kind:     global_buffer
      - .offset:         40
        .size:           4
        .value_kind:     hidden_block_count_x
      - .offset:         44
        .size:           4
        .value_kind:     hidden_block_count_y
      - .offset:         48
        .size:           4
        .value_kind:     hidden_block_count_z
      - .offset:         52
        .size:           2
        .value_kind:     hidden_group_size_x
      - .offset:         54
        .size:           2
        .value_kind:     hidden_group_size_y
      - .offset:         56
        .size:           2
        .value_kind:     hidden_group_size_z
      - .offset:         58
        .size:           2
        .value_kind:     hidden_remainder_x
      - .offset:         60
        .size:           2
        .value_kind:     hidden_remainder_y
      - .offset:         62
        .size:           2
        .value_kind:     hidden_remainder_z
      - .offset:         80
        .size:           8
        .value_kind:     hidden_global_offset_x
      - .offset:         88
        .size:           8
        .value_kind:     hidden_global_offset_y
      - .offset:         96
        .size:           8
        .value_kind:     hidden_global_offset_z
      - .offset:         104
        .size:           2
        .value_kind:     hidden_grid_dims
    .group_segment_fixed_size: 0
    .kernarg_segment_align: 8
    .kernarg_segment_size: 296
    .language:       OpenCL C
    .language_version:
      - 2
      - 0
    .max_flat_workgroup_size: 256
    .name:           _ZN7rocprim17ROCPRIM_400000_NS6detail31init_lookback_scan_state_kernelINS1_19lookback_scan_stateIjLb1ELb1EEENS1_16block_id_wrapperIjLb1EEEEEvT_jT0_jPNS7_10value_typeE
    .private_segment_fixed_size: 0
    .sgpr_count:     18
    .sgpr_spill_count: 0
    .symbol:         _ZN7rocprim17ROCPRIM_400000_NS6detail31init_lookback_scan_state_kernelINS1_19lookback_scan_stateIjLb1ELb1EEENS1_16block_id_wrapperIjLb1EEEEEvT_jT0_jPNS7_10value_typeE.kd
    .uniform_work_group_size: 1
    .uses_dynamic_stack: false
    .vgpr_count:     6
    .vgpr_spill_count: 0
    .wavefront_size: 64
  - .agpr_count:     0
    .args:
      - .offset:         0
        .size:           152
        .value_kind:     by_value
    .group_segment_fixed_size: 0
    .kernarg_segment_align: 8
    .kernarg_segment_size: 152
    .language:       OpenCL C
    .language_version:
      - 2
      - 0
    .max_flat_workgroup_size: 256
    .name:           _ZN7rocprim17ROCPRIM_400000_NS6detail17trampoline_kernelINS0_13select_configILj256ELj13ELNS0_17block_load_methodE3ELS4_3ELS4_3ELNS0_20block_scan_algorithmE0ELj4294967295EEENS1_25partition_config_selectorILNS1_17partition_subalgoE3EjNS0_10empty_typeEbEEZZNS1_14partition_implILS8_3ELb0ES6_jNS0_17counting_iteratorIjlEEPS9_SE_NS0_5tupleIJPjSE_EEENSF_IJSE_SE_EEES9_SG_JZNS1_25segmented_radix_sort_implINS0_14default_configELb1EPKhPhPKlPlN2at6native12_GLOBAL__N_18offset_tEEE10hipError_tPvRmT1_PNSt15iterator_traitsISY_E10value_typeET2_T3_PNSZ_IS14_E10value_typeET4_jRbjT5_S1A_jjP12ihipStream_tbEUljE_EEESV_SW_SX_S14_S18_S1A_T6_T7_T9_mT8_S1C_bDpT10_ENKUlT_T0_E_clISt17integral_constantIbLb1EES1P_EEDaS1K_S1L_EUlS1K_E_NS1_11comp_targetILNS1_3genE0ELNS1_11target_archE4294967295ELNS1_3gpuE0ELNS1_3repE0EEENS1_30default_config_static_selectorELNS0_4arch9wavefront6targetE1EEEvSY_
    .private_segment_fixed_size: 0
    .sgpr_count:     4
    .sgpr_spill_count: 0
    .symbol:         _ZN7rocprim17ROCPRIM_400000_NS6detail17trampoline_kernelINS0_13select_configILj256ELj13ELNS0_17block_load_methodE3ELS4_3ELS4_3ELNS0_20block_scan_algorithmE0ELj4294967295EEENS1_25partition_config_selectorILNS1_17partition_subalgoE3EjNS0_10empty_typeEbEEZZNS1_14partition_implILS8_3ELb0ES6_jNS0_17counting_iteratorIjlEEPS9_SE_NS0_5tupleIJPjSE_EEENSF_IJSE_SE_EEES9_SG_JZNS1_25segmented_radix_sort_implINS0_14default_configELb1EPKhPhPKlPlN2at6native12_GLOBAL__N_18offset_tEEE10hipError_tPvRmT1_PNSt15iterator_traitsISY_E10value_typeET2_T3_PNSZ_IS14_E10value_typeET4_jRbjT5_S1A_jjP12ihipStream_tbEUljE_EEESV_SW_SX_S14_S18_S1A_T6_T7_T9_mT8_S1C_bDpT10_ENKUlT_T0_E_clISt17integral_constantIbLb1EES1P_EEDaS1K_S1L_EUlS1K_E_NS1_11comp_targetILNS1_3genE0ELNS1_11target_archE4294967295ELNS1_3gpuE0ELNS1_3repE0EEENS1_30default_config_static_selectorELNS0_4arch9wavefront6targetE1EEEvSY_.kd
    .uniform_work_group_size: 1
    .uses_dynamic_stack: false
    .vgpr_count:     0
    .vgpr_spill_count: 0
    .wavefront_size: 64
  - .agpr_count:     0
    .args:
      - .offset:         0
        .size:           152
        .value_kind:     by_value
    .group_segment_fixed_size: 0
    .kernarg_segment_align: 8
    .kernarg_segment_size: 152
    .language:       OpenCL C
    .language_version:
      - 2
      - 0
    .max_flat_workgroup_size: 256
    .name:           _ZN7rocprim17ROCPRIM_400000_NS6detail17trampoline_kernelINS0_13select_configILj256ELj13ELNS0_17block_load_methodE3ELS4_3ELS4_3ELNS0_20block_scan_algorithmE0ELj4294967295EEENS1_25partition_config_selectorILNS1_17partition_subalgoE3EjNS0_10empty_typeEbEEZZNS1_14partition_implILS8_3ELb0ES6_jNS0_17counting_iteratorIjlEEPS9_SE_NS0_5tupleIJPjSE_EEENSF_IJSE_SE_EEES9_SG_JZNS1_25segmented_radix_sort_implINS0_14default_configELb1EPKhPhPKlPlN2at6native12_GLOBAL__N_18offset_tEEE10hipError_tPvRmT1_PNSt15iterator_traitsISY_E10value_typeET2_T3_PNSZ_IS14_E10value_typeET4_jRbjT5_S1A_jjP12ihipStream_tbEUljE_EEESV_SW_SX_S14_S18_S1A_T6_T7_T9_mT8_S1C_bDpT10_ENKUlT_T0_E_clISt17integral_constantIbLb1EES1P_EEDaS1K_S1L_EUlS1K_E_NS1_11comp_targetILNS1_3genE5ELNS1_11target_archE942ELNS1_3gpuE9ELNS1_3repE0EEENS1_30default_config_static_selectorELNS0_4arch9wavefront6targetE1EEEvSY_
    .private_segment_fixed_size: 0
    .sgpr_count:     4
    .sgpr_spill_count: 0
    .symbol:         _ZN7rocprim17ROCPRIM_400000_NS6detail17trampoline_kernelINS0_13select_configILj256ELj13ELNS0_17block_load_methodE3ELS4_3ELS4_3ELNS0_20block_scan_algorithmE0ELj4294967295EEENS1_25partition_config_selectorILNS1_17partition_subalgoE3EjNS0_10empty_typeEbEEZZNS1_14partition_implILS8_3ELb0ES6_jNS0_17counting_iteratorIjlEEPS9_SE_NS0_5tupleIJPjSE_EEENSF_IJSE_SE_EEES9_SG_JZNS1_25segmented_radix_sort_implINS0_14default_configELb1EPKhPhPKlPlN2at6native12_GLOBAL__N_18offset_tEEE10hipError_tPvRmT1_PNSt15iterator_traitsISY_E10value_typeET2_T3_PNSZ_IS14_E10value_typeET4_jRbjT5_S1A_jjP12ihipStream_tbEUljE_EEESV_SW_SX_S14_S18_S1A_T6_T7_T9_mT8_S1C_bDpT10_ENKUlT_T0_E_clISt17integral_constantIbLb1EES1P_EEDaS1K_S1L_EUlS1K_E_NS1_11comp_targetILNS1_3genE5ELNS1_11target_archE942ELNS1_3gpuE9ELNS1_3repE0EEENS1_30default_config_static_selectorELNS0_4arch9wavefront6targetE1EEEvSY_.kd
    .uniform_work_group_size: 1
    .uses_dynamic_stack: false
    .vgpr_count:     0
    .vgpr_spill_count: 0
    .wavefront_size: 64
  - .agpr_count:     0
    .args:
      - .offset:         0
        .size:           152
        .value_kind:     by_value
    .group_segment_fixed_size: 13324
    .kernarg_segment_align: 8
    .kernarg_segment_size: 152
    .language:       OpenCL C
    .language_version:
      - 2
      - 0
    .max_flat_workgroup_size: 256
    .name:           _ZN7rocprim17ROCPRIM_400000_NS6detail17trampoline_kernelINS0_13select_configILj256ELj13ELNS0_17block_load_methodE3ELS4_3ELS4_3ELNS0_20block_scan_algorithmE0ELj4294967295EEENS1_25partition_config_selectorILNS1_17partition_subalgoE3EjNS0_10empty_typeEbEEZZNS1_14partition_implILS8_3ELb0ES6_jNS0_17counting_iteratorIjlEEPS9_SE_NS0_5tupleIJPjSE_EEENSF_IJSE_SE_EEES9_SG_JZNS1_25segmented_radix_sort_implINS0_14default_configELb1EPKhPhPKlPlN2at6native12_GLOBAL__N_18offset_tEEE10hipError_tPvRmT1_PNSt15iterator_traitsISY_E10value_typeET2_T3_PNSZ_IS14_E10value_typeET4_jRbjT5_S1A_jjP12ihipStream_tbEUljE_EEESV_SW_SX_S14_S18_S1A_T6_T7_T9_mT8_S1C_bDpT10_ENKUlT_T0_E_clISt17integral_constantIbLb1EES1P_EEDaS1K_S1L_EUlS1K_E_NS1_11comp_targetILNS1_3genE4ELNS1_11target_archE910ELNS1_3gpuE8ELNS1_3repE0EEENS1_30default_config_static_selectorELNS0_4arch9wavefront6targetE1EEEvSY_
    .private_segment_fixed_size: 0
    .sgpr_count:     48
    .sgpr_spill_count: 0
    .symbol:         _ZN7rocprim17ROCPRIM_400000_NS6detail17trampoline_kernelINS0_13select_configILj256ELj13ELNS0_17block_load_methodE3ELS4_3ELS4_3ELNS0_20block_scan_algorithmE0ELj4294967295EEENS1_25partition_config_selectorILNS1_17partition_subalgoE3EjNS0_10empty_typeEbEEZZNS1_14partition_implILS8_3ELb0ES6_jNS0_17counting_iteratorIjlEEPS9_SE_NS0_5tupleIJPjSE_EEENSF_IJSE_SE_EEES9_SG_JZNS1_25segmented_radix_sort_implINS0_14default_configELb1EPKhPhPKlPlN2at6native12_GLOBAL__N_18offset_tEEE10hipError_tPvRmT1_PNSt15iterator_traitsISY_E10value_typeET2_T3_PNSZ_IS14_E10value_typeET4_jRbjT5_S1A_jjP12ihipStream_tbEUljE_EEESV_SW_SX_S14_S18_S1A_T6_T7_T9_mT8_S1C_bDpT10_ENKUlT_T0_E_clISt17integral_constantIbLb1EES1P_EEDaS1K_S1L_EUlS1K_E_NS1_11comp_targetILNS1_3genE4ELNS1_11target_archE910ELNS1_3gpuE8ELNS1_3repE0EEENS1_30default_config_static_selectorELNS0_4arch9wavefront6targetE1EEEvSY_.kd
    .uniform_work_group_size: 1
    .uses_dynamic_stack: false
    .vgpr_count:     64
    .vgpr_spill_count: 0
    .wavefront_size: 64
  - .agpr_count:     0
    .args:
      - .offset:         0
        .size:           152
        .value_kind:     by_value
    .group_segment_fixed_size: 0
    .kernarg_segment_align: 8
    .kernarg_segment_size: 152
    .language:       OpenCL C
    .language_version:
      - 2
      - 0
    .max_flat_workgroup_size: 256
    .name:           _ZN7rocprim17ROCPRIM_400000_NS6detail17trampoline_kernelINS0_13select_configILj256ELj13ELNS0_17block_load_methodE3ELS4_3ELS4_3ELNS0_20block_scan_algorithmE0ELj4294967295EEENS1_25partition_config_selectorILNS1_17partition_subalgoE3EjNS0_10empty_typeEbEEZZNS1_14partition_implILS8_3ELb0ES6_jNS0_17counting_iteratorIjlEEPS9_SE_NS0_5tupleIJPjSE_EEENSF_IJSE_SE_EEES9_SG_JZNS1_25segmented_radix_sort_implINS0_14default_configELb1EPKhPhPKlPlN2at6native12_GLOBAL__N_18offset_tEEE10hipError_tPvRmT1_PNSt15iterator_traitsISY_E10value_typeET2_T3_PNSZ_IS14_E10value_typeET4_jRbjT5_S1A_jjP12ihipStream_tbEUljE_EEESV_SW_SX_S14_S18_S1A_T6_T7_T9_mT8_S1C_bDpT10_ENKUlT_T0_E_clISt17integral_constantIbLb1EES1P_EEDaS1K_S1L_EUlS1K_E_NS1_11comp_targetILNS1_3genE3ELNS1_11target_archE908ELNS1_3gpuE7ELNS1_3repE0EEENS1_30default_config_static_selectorELNS0_4arch9wavefront6targetE1EEEvSY_
    .private_segment_fixed_size: 0
    .sgpr_count:     4
    .sgpr_spill_count: 0
    .symbol:         _ZN7rocprim17ROCPRIM_400000_NS6detail17trampoline_kernelINS0_13select_configILj256ELj13ELNS0_17block_load_methodE3ELS4_3ELS4_3ELNS0_20block_scan_algorithmE0ELj4294967295EEENS1_25partition_config_selectorILNS1_17partition_subalgoE3EjNS0_10empty_typeEbEEZZNS1_14partition_implILS8_3ELb0ES6_jNS0_17counting_iteratorIjlEEPS9_SE_NS0_5tupleIJPjSE_EEENSF_IJSE_SE_EEES9_SG_JZNS1_25segmented_radix_sort_implINS0_14default_configELb1EPKhPhPKlPlN2at6native12_GLOBAL__N_18offset_tEEE10hipError_tPvRmT1_PNSt15iterator_traitsISY_E10value_typeET2_T3_PNSZ_IS14_E10value_typeET4_jRbjT5_S1A_jjP12ihipStream_tbEUljE_EEESV_SW_SX_S14_S18_S1A_T6_T7_T9_mT8_S1C_bDpT10_ENKUlT_T0_E_clISt17integral_constantIbLb1EES1P_EEDaS1K_S1L_EUlS1K_E_NS1_11comp_targetILNS1_3genE3ELNS1_11target_archE908ELNS1_3gpuE7ELNS1_3repE0EEENS1_30default_config_static_selectorELNS0_4arch9wavefront6targetE1EEEvSY_.kd
    .uniform_work_group_size: 1
    .uses_dynamic_stack: false
    .vgpr_count:     0
    .vgpr_spill_count: 0
    .wavefront_size: 64
  - .agpr_count:     0
    .args:
      - .offset:         0
        .size:           152
        .value_kind:     by_value
    .group_segment_fixed_size: 0
    .kernarg_segment_align: 8
    .kernarg_segment_size: 152
    .language:       OpenCL C
    .language_version:
      - 2
      - 0
    .max_flat_workgroup_size: 256
    .name:           _ZN7rocprim17ROCPRIM_400000_NS6detail17trampoline_kernelINS0_13select_configILj256ELj13ELNS0_17block_load_methodE3ELS4_3ELS4_3ELNS0_20block_scan_algorithmE0ELj4294967295EEENS1_25partition_config_selectorILNS1_17partition_subalgoE3EjNS0_10empty_typeEbEEZZNS1_14partition_implILS8_3ELb0ES6_jNS0_17counting_iteratorIjlEEPS9_SE_NS0_5tupleIJPjSE_EEENSF_IJSE_SE_EEES9_SG_JZNS1_25segmented_radix_sort_implINS0_14default_configELb1EPKhPhPKlPlN2at6native12_GLOBAL__N_18offset_tEEE10hipError_tPvRmT1_PNSt15iterator_traitsISY_E10value_typeET2_T3_PNSZ_IS14_E10value_typeET4_jRbjT5_S1A_jjP12ihipStream_tbEUljE_EEESV_SW_SX_S14_S18_S1A_T6_T7_T9_mT8_S1C_bDpT10_ENKUlT_T0_E_clISt17integral_constantIbLb1EES1P_EEDaS1K_S1L_EUlS1K_E_NS1_11comp_targetILNS1_3genE2ELNS1_11target_archE906ELNS1_3gpuE6ELNS1_3repE0EEENS1_30default_config_static_selectorELNS0_4arch9wavefront6targetE1EEEvSY_
    .private_segment_fixed_size: 0
    .sgpr_count:     4
    .sgpr_spill_count: 0
    .symbol:         _ZN7rocprim17ROCPRIM_400000_NS6detail17trampoline_kernelINS0_13select_configILj256ELj13ELNS0_17block_load_methodE3ELS4_3ELS4_3ELNS0_20block_scan_algorithmE0ELj4294967295EEENS1_25partition_config_selectorILNS1_17partition_subalgoE3EjNS0_10empty_typeEbEEZZNS1_14partition_implILS8_3ELb0ES6_jNS0_17counting_iteratorIjlEEPS9_SE_NS0_5tupleIJPjSE_EEENSF_IJSE_SE_EEES9_SG_JZNS1_25segmented_radix_sort_implINS0_14default_configELb1EPKhPhPKlPlN2at6native12_GLOBAL__N_18offset_tEEE10hipError_tPvRmT1_PNSt15iterator_traitsISY_E10value_typeET2_T3_PNSZ_IS14_E10value_typeET4_jRbjT5_S1A_jjP12ihipStream_tbEUljE_EEESV_SW_SX_S14_S18_S1A_T6_T7_T9_mT8_S1C_bDpT10_ENKUlT_T0_E_clISt17integral_constantIbLb1EES1P_EEDaS1K_S1L_EUlS1K_E_NS1_11comp_targetILNS1_3genE2ELNS1_11target_archE906ELNS1_3gpuE6ELNS1_3repE0EEENS1_30default_config_static_selectorELNS0_4arch9wavefront6targetE1EEEvSY_.kd
    .uniform_work_group_size: 1
    .uses_dynamic_stack: false
    .vgpr_count:     0
    .vgpr_spill_count: 0
    .wavefront_size: 64
  - .agpr_count:     0
    .args:
      - .offset:         0
        .size:           152
        .value_kind:     by_value
    .group_segment_fixed_size: 0
    .kernarg_segment_align: 8
    .kernarg_segment_size: 152
    .language:       OpenCL C
    .language_version:
      - 2
      - 0
    .max_flat_workgroup_size: 256
    .name:           _ZN7rocprim17ROCPRIM_400000_NS6detail17trampoline_kernelINS0_13select_configILj256ELj13ELNS0_17block_load_methodE3ELS4_3ELS4_3ELNS0_20block_scan_algorithmE0ELj4294967295EEENS1_25partition_config_selectorILNS1_17partition_subalgoE3EjNS0_10empty_typeEbEEZZNS1_14partition_implILS8_3ELb0ES6_jNS0_17counting_iteratorIjlEEPS9_SE_NS0_5tupleIJPjSE_EEENSF_IJSE_SE_EEES9_SG_JZNS1_25segmented_radix_sort_implINS0_14default_configELb1EPKhPhPKlPlN2at6native12_GLOBAL__N_18offset_tEEE10hipError_tPvRmT1_PNSt15iterator_traitsISY_E10value_typeET2_T3_PNSZ_IS14_E10value_typeET4_jRbjT5_S1A_jjP12ihipStream_tbEUljE_EEESV_SW_SX_S14_S18_S1A_T6_T7_T9_mT8_S1C_bDpT10_ENKUlT_T0_E_clISt17integral_constantIbLb1EES1P_EEDaS1K_S1L_EUlS1K_E_NS1_11comp_targetILNS1_3genE10ELNS1_11target_archE1200ELNS1_3gpuE4ELNS1_3repE0EEENS1_30default_config_static_selectorELNS0_4arch9wavefront6targetE1EEEvSY_
    .private_segment_fixed_size: 0
    .sgpr_count:     4
    .sgpr_spill_count: 0
    .symbol:         _ZN7rocprim17ROCPRIM_400000_NS6detail17trampoline_kernelINS0_13select_configILj256ELj13ELNS0_17block_load_methodE3ELS4_3ELS4_3ELNS0_20block_scan_algorithmE0ELj4294967295EEENS1_25partition_config_selectorILNS1_17partition_subalgoE3EjNS0_10empty_typeEbEEZZNS1_14partition_implILS8_3ELb0ES6_jNS0_17counting_iteratorIjlEEPS9_SE_NS0_5tupleIJPjSE_EEENSF_IJSE_SE_EEES9_SG_JZNS1_25segmented_radix_sort_implINS0_14default_configELb1EPKhPhPKlPlN2at6native12_GLOBAL__N_18offset_tEEE10hipError_tPvRmT1_PNSt15iterator_traitsISY_E10value_typeET2_T3_PNSZ_IS14_E10value_typeET4_jRbjT5_S1A_jjP12ihipStream_tbEUljE_EEESV_SW_SX_S14_S18_S1A_T6_T7_T9_mT8_S1C_bDpT10_ENKUlT_T0_E_clISt17integral_constantIbLb1EES1P_EEDaS1K_S1L_EUlS1K_E_NS1_11comp_targetILNS1_3genE10ELNS1_11target_archE1200ELNS1_3gpuE4ELNS1_3repE0EEENS1_30default_config_static_selectorELNS0_4arch9wavefront6targetE1EEEvSY_.kd
    .uniform_work_group_size: 1
    .uses_dynamic_stack: false
    .vgpr_count:     0
    .vgpr_spill_count: 0
    .wavefront_size: 64
  - .agpr_count:     0
    .args:
      - .offset:         0
        .size:           152
        .value_kind:     by_value
    .group_segment_fixed_size: 0
    .kernarg_segment_align: 8
    .kernarg_segment_size: 152
    .language:       OpenCL C
    .language_version:
      - 2
      - 0
    .max_flat_workgroup_size: 256
    .name:           _ZN7rocprim17ROCPRIM_400000_NS6detail17trampoline_kernelINS0_13select_configILj256ELj13ELNS0_17block_load_methodE3ELS4_3ELS4_3ELNS0_20block_scan_algorithmE0ELj4294967295EEENS1_25partition_config_selectorILNS1_17partition_subalgoE3EjNS0_10empty_typeEbEEZZNS1_14partition_implILS8_3ELb0ES6_jNS0_17counting_iteratorIjlEEPS9_SE_NS0_5tupleIJPjSE_EEENSF_IJSE_SE_EEES9_SG_JZNS1_25segmented_radix_sort_implINS0_14default_configELb1EPKhPhPKlPlN2at6native12_GLOBAL__N_18offset_tEEE10hipError_tPvRmT1_PNSt15iterator_traitsISY_E10value_typeET2_T3_PNSZ_IS14_E10value_typeET4_jRbjT5_S1A_jjP12ihipStream_tbEUljE_EEESV_SW_SX_S14_S18_S1A_T6_T7_T9_mT8_S1C_bDpT10_ENKUlT_T0_E_clISt17integral_constantIbLb1EES1P_EEDaS1K_S1L_EUlS1K_E_NS1_11comp_targetILNS1_3genE9ELNS1_11target_archE1100ELNS1_3gpuE3ELNS1_3repE0EEENS1_30default_config_static_selectorELNS0_4arch9wavefront6targetE1EEEvSY_
    .private_segment_fixed_size: 0
    .sgpr_count:     4
    .sgpr_spill_count: 0
    .symbol:         _ZN7rocprim17ROCPRIM_400000_NS6detail17trampoline_kernelINS0_13select_configILj256ELj13ELNS0_17block_load_methodE3ELS4_3ELS4_3ELNS0_20block_scan_algorithmE0ELj4294967295EEENS1_25partition_config_selectorILNS1_17partition_subalgoE3EjNS0_10empty_typeEbEEZZNS1_14partition_implILS8_3ELb0ES6_jNS0_17counting_iteratorIjlEEPS9_SE_NS0_5tupleIJPjSE_EEENSF_IJSE_SE_EEES9_SG_JZNS1_25segmented_radix_sort_implINS0_14default_configELb1EPKhPhPKlPlN2at6native12_GLOBAL__N_18offset_tEEE10hipError_tPvRmT1_PNSt15iterator_traitsISY_E10value_typeET2_T3_PNSZ_IS14_E10value_typeET4_jRbjT5_S1A_jjP12ihipStream_tbEUljE_EEESV_SW_SX_S14_S18_S1A_T6_T7_T9_mT8_S1C_bDpT10_ENKUlT_T0_E_clISt17integral_constantIbLb1EES1P_EEDaS1K_S1L_EUlS1K_E_NS1_11comp_targetILNS1_3genE9ELNS1_11target_archE1100ELNS1_3gpuE3ELNS1_3repE0EEENS1_30default_config_static_selectorELNS0_4arch9wavefront6targetE1EEEvSY_.kd
    .uniform_work_group_size: 1
    .uses_dynamic_stack: false
    .vgpr_count:     0
    .vgpr_spill_count: 0
    .wavefront_size: 64
  - .agpr_count:     0
    .args:
      - .offset:         0
        .size:           152
        .value_kind:     by_value
    .group_segment_fixed_size: 0
    .kernarg_segment_align: 8
    .kernarg_segment_size: 152
    .language:       OpenCL C
    .language_version:
      - 2
      - 0
    .max_flat_workgroup_size: 256
    .name:           _ZN7rocprim17ROCPRIM_400000_NS6detail17trampoline_kernelINS0_13select_configILj256ELj13ELNS0_17block_load_methodE3ELS4_3ELS4_3ELNS0_20block_scan_algorithmE0ELj4294967295EEENS1_25partition_config_selectorILNS1_17partition_subalgoE3EjNS0_10empty_typeEbEEZZNS1_14partition_implILS8_3ELb0ES6_jNS0_17counting_iteratorIjlEEPS9_SE_NS0_5tupleIJPjSE_EEENSF_IJSE_SE_EEES9_SG_JZNS1_25segmented_radix_sort_implINS0_14default_configELb1EPKhPhPKlPlN2at6native12_GLOBAL__N_18offset_tEEE10hipError_tPvRmT1_PNSt15iterator_traitsISY_E10value_typeET2_T3_PNSZ_IS14_E10value_typeET4_jRbjT5_S1A_jjP12ihipStream_tbEUljE_EEESV_SW_SX_S14_S18_S1A_T6_T7_T9_mT8_S1C_bDpT10_ENKUlT_T0_E_clISt17integral_constantIbLb1EES1P_EEDaS1K_S1L_EUlS1K_E_NS1_11comp_targetILNS1_3genE8ELNS1_11target_archE1030ELNS1_3gpuE2ELNS1_3repE0EEENS1_30default_config_static_selectorELNS0_4arch9wavefront6targetE1EEEvSY_
    .private_segment_fixed_size: 0
    .sgpr_count:     4
    .sgpr_spill_count: 0
    .symbol:         _ZN7rocprim17ROCPRIM_400000_NS6detail17trampoline_kernelINS0_13select_configILj256ELj13ELNS0_17block_load_methodE3ELS4_3ELS4_3ELNS0_20block_scan_algorithmE0ELj4294967295EEENS1_25partition_config_selectorILNS1_17partition_subalgoE3EjNS0_10empty_typeEbEEZZNS1_14partition_implILS8_3ELb0ES6_jNS0_17counting_iteratorIjlEEPS9_SE_NS0_5tupleIJPjSE_EEENSF_IJSE_SE_EEES9_SG_JZNS1_25segmented_radix_sort_implINS0_14default_configELb1EPKhPhPKlPlN2at6native12_GLOBAL__N_18offset_tEEE10hipError_tPvRmT1_PNSt15iterator_traitsISY_E10value_typeET2_T3_PNSZ_IS14_E10value_typeET4_jRbjT5_S1A_jjP12ihipStream_tbEUljE_EEESV_SW_SX_S14_S18_S1A_T6_T7_T9_mT8_S1C_bDpT10_ENKUlT_T0_E_clISt17integral_constantIbLb1EES1P_EEDaS1K_S1L_EUlS1K_E_NS1_11comp_targetILNS1_3genE8ELNS1_11target_archE1030ELNS1_3gpuE2ELNS1_3repE0EEENS1_30default_config_static_selectorELNS0_4arch9wavefront6targetE1EEEvSY_.kd
    .uniform_work_group_size: 1
    .uses_dynamic_stack: false
    .vgpr_count:     0
    .vgpr_spill_count: 0
    .wavefront_size: 64
  - .agpr_count:     0
    .args:
      - .address_space:  global
        .offset:         0
        .size:           8
        .value_kind:     global_buffer
      - .offset:         8
        .size:           4
        .value_kind:     by_value
      - .offset:         12
        .size:           1
        .value_kind:     by_value
      - .offset:         16
        .size:           4
        .value_kind:     by_value
      - .address_space:  global
        .offset:         24
        .size:           8
        .value_kind:     global_buffer
      - .offset:         32
        .size:           4
        .value_kind:     hidden_block_count_x
      - .offset:         36
        .size:           4
        .value_kind:     hidden_block_count_y
      - .offset:         40
        .size:           4
        .value_kind:     hidden_block_count_z
      - .offset:         44
        .size:           2
        .value_kind:     hidden_group_size_x
      - .offset:         46
        .size:           2
        .value_kind:     hidden_group_size_y
      - .offset:         48
        .size:           2
        .value_kind:     hidden_group_size_z
      - .offset:         50
        .size:           2
        .value_kind:     hidden_remainder_x
      - .offset:         52
        .size:           2
        .value_kind:     hidden_remainder_y
      - .offset:         54
        .size:           2
        .value_kind:     hidden_remainder_z
      - .offset:         72
        .size:           8
        .value_kind:     hidden_global_offset_x
      - .offset:         80
        .size:           8
        .value_kind:     hidden_global_offset_y
      - .offset:         88
        .size:           8
        .value_kind:     hidden_global_offset_z
      - .offset:         96
        .size:           2
        .value_kind:     hidden_grid_dims
    .group_segment_fixed_size: 0
    .kernarg_segment_align: 8
    .kernarg_segment_size: 288
    .language:       OpenCL C
    .language_version:
      - 2
      - 0
    .max_flat_workgroup_size: 256
    .name:           _ZN7rocprim17ROCPRIM_400000_NS6detail31init_lookback_scan_state_kernelINS1_19lookback_scan_stateIjLb1ELb1EEENS1_16block_id_wrapperIjLb0EEEEEvT_jT0_jPNS7_10value_typeE
    .private_segment_fixed_size: 0
    .sgpr_count:     16
    .sgpr_spill_count: 0
    .symbol:         _ZN7rocprim17ROCPRIM_400000_NS6detail31init_lookback_scan_state_kernelINS1_19lookback_scan_stateIjLb1ELb1EEENS1_16block_id_wrapperIjLb0EEEEEvT_jT0_jPNS7_10value_typeE.kd
    .uniform_work_group_size: 1
    .uses_dynamic_stack: false
    .vgpr_count:     6
    .vgpr_spill_count: 0
    .wavefront_size: 64
  - .agpr_count:     0
    .args:
      - .offset:         0
        .size:           144
        .value_kind:     by_value
    .group_segment_fixed_size: 0
    .kernarg_segment_align: 8
    .kernarg_segment_size: 144
    .language:       OpenCL C
    .language_version:
      - 2
      - 0
    .max_flat_workgroup_size: 256
    .name:           _ZN7rocprim17ROCPRIM_400000_NS6detail17trampoline_kernelINS0_13select_configILj256ELj13ELNS0_17block_load_methodE3ELS4_3ELS4_3ELNS0_20block_scan_algorithmE0ELj4294967295EEENS1_25partition_config_selectorILNS1_17partition_subalgoE3EjNS0_10empty_typeEbEEZZNS1_14partition_implILS8_3ELb0ES6_jNS0_17counting_iteratorIjlEEPS9_SE_NS0_5tupleIJPjSE_EEENSF_IJSE_SE_EEES9_SG_JZNS1_25segmented_radix_sort_implINS0_14default_configELb1EPKhPhPKlPlN2at6native12_GLOBAL__N_18offset_tEEE10hipError_tPvRmT1_PNSt15iterator_traitsISY_E10value_typeET2_T3_PNSZ_IS14_E10value_typeET4_jRbjT5_S1A_jjP12ihipStream_tbEUljE_EEESV_SW_SX_S14_S18_S1A_T6_T7_T9_mT8_S1C_bDpT10_ENKUlT_T0_E_clISt17integral_constantIbLb1EES1O_IbLb0EEEEDaS1K_S1L_EUlS1K_E_NS1_11comp_targetILNS1_3genE0ELNS1_11target_archE4294967295ELNS1_3gpuE0ELNS1_3repE0EEENS1_30default_config_static_selectorELNS0_4arch9wavefront6targetE1EEEvSY_
    .private_segment_fixed_size: 0
    .sgpr_count:     4
    .sgpr_spill_count: 0
    .symbol:         _ZN7rocprim17ROCPRIM_400000_NS6detail17trampoline_kernelINS0_13select_configILj256ELj13ELNS0_17block_load_methodE3ELS4_3ELS4_3ELNS0_20block_scan_algorithmE0ELj4294967295EEENS1_25partition_config_selectorILNS1_17partition_subalgoE3EjNS0_10empty_typeEbEEZZNS1_14partition_implILS8_3ELb0ES6_jNS0_17counting_iteratorIjlEEPS9_SE_NS0_5tupleIJPjSE_EEENSF_IJSE_SE_EEES9_SG_JZNS1_25segmented_radix_sort_implINS0_14default_configELb1EPKhPhPKlPlN2at6native12_GLOBAL__N_18offset_tEEE10hipError_tPvRmT1_PNSt15iterator_traitsISY_E10value_typeET2_T3_PNSZ_IS14_E10value_typeET4_jRbjT5_S1A_jjP12ihipStream_tbEUljE_EEESV_SW_SX_S14_S18_S1A_T6_T7_T9_mT8_S1C_bDpT10_ENKUlT_T0_E_clISt17integral_constantIbLb1EES1O_IbLb0EEEEDaS1K_S1L_EUlS1K_E_NS1_11comp_targetILNS1_3genE0ELNS1_11target_archE4294967295ELNS1_3gpuE0ELNS1_3repE0EEENS1_30default_config_static_selectorELNS0_4arch9wavefront6targetE1EEEvSY_.kd
    .uniform_work_group_size: 1
    .uses_dynamic_stack: false
    .vgpr_count:     0
    .vgpr_spill_count: 0
    .wavefront_size: 64
  - .agpr_count:     0
    .args:
      - .offset:         0
        .size:           144
        .value_kind:     by_value
    .group_segment_fixed_size: 0
    .kernarg_segment_align: 8
    .kernarg_segment_size: 144
    .language:       OpenCL C
    .language_version:
      - 2
      - 0
    .max_flat_workgroup_size: 256
    .name:           _ZN7rocprim17ROCPRIM_400000_NS6detail17trampoline_kernelINS0_13select_configILj256ELj13ELNS0_17block_load_methodE3ELS4_3ELS4_3ELNS0_20block_scan_algorithmE0ELj4294967295EEENS1_25partition_config_selectorILNS1_17partition_subalgoE3EjNS0_10empty_typeEbEEZZNS1_14partition_implILS8_3ELb0ES6_jNS0_17counting_iteratorIjlEEPS9_SE_NS0_5tupleIJPjSE_EEENSF_IJSE_SE_EEES9_SG_JZNS1_25segmented_radix_sort_implINS0_14default_configELb1EPKhPhPKlPlN2at6native12_GLOBAL__N_18offset_tEEE10hipError_tPvRmT1_PNSt15iterator_traitsISY_E10value_typeET2_T3_PNSZ_IS14_E10value_typeET4_jRbjT5_S1A_jjP12ihipStream_tbEUljE_EEESV_SW_SX_S14_S18_S1A_T6_T7_T9_mT8_S1C_bDpT10_ENKUlT_T0_E_clISt17integral_constantIbLb1EES1O_IbLb0EEEEDaS1K_S1L_EUlS1K_E_NS1_11comp_targetILNS1_3genE5ELNS1_11target_archE942ELNS1_3gpuE9ELNS1_3repE0EEENS1_30default_config_static_selectorELNS0_4arch9wavefront6targetE1EEEvSY_
    .private_segment_fixed_size: 0
    .sgpr_count:     4
    .sgpr_spill_count: 0
    .symbol:         _ZN7rocprim17ROCPRIM_400000_NS6detail17trampoline_kernelINS0_13select_configILj256ELj13ELNS0_17block_load_methodE3ELS4_3ELS4_3ELNS0_20block_scan_algorithmE0ELj4294967295EEENS1_25partition_config_selectorILNS1_17partition_subalgoE3EjNS0_10empty_typeEbEEZZNS1_14partition_implILS8_3ELb0ES6_jNS0_17counting_iteratorIjlEEPS9_SE_NS0_5tupleIJPjSE_EEENSF_IJSE_SE_EEES9_SG_JZNS1_25segmented_radix_sort_implINS0_14default_configELb1EPKhPhPKlPlN2at6native12_GLOBAL__N_18offset_tEEE10hipError_tPvRmT1_PNSt15iterator_traitsISY_E10value_typeET2_T3_PNSZ_IS14_E10value_typeET4_jRbjT5_S1A_jjP12ihipStream_tbEUljE_EEESV_SW_SX_S14_S18_S1A_T6_T7_T9_mT8_S1C_bDpT10_ENKUlT_T0_E_clISt17integral_constantIbLb1EES1O_IbLb0EEEEDaS1K_S1L_EUlS1K_E_NS1_11comp_targetILNS1_3genE5ELNS1_11target_archE942ELNS1_3gpuE9ELNS1_3repE0EEENS1_30default_config_static_selectorELNS0_4arch9wavefront6targetE1EEEvSY_.kd
    .uniform_work_group_size: 1
    .uses_dynamic_stack: false
    .vgpr_count:     0
    .vgpr_spill_count: 0
    .wavefront_size: 64
  - .agpr_count:     0
    .args:
      - .offset:         0
        .size:           144
        .value_kind:     by_value
    .group_segment_fixed_size: 13324
    .kernarg_segment_align: 8
    .kernarg_segment_size: 144
    .language:       OpenCL C
    .language_version:
      - 2
      - 0
    .max_flat_workgroup_size: 256
    .name:           _ZN7rocprim17ROCPRIM_400000_NS6detail17trampoline_kernelINS0_13select_configILj256ELj13ELNS0_17block_load_methodE3ELS4_3ELS4_3ELNS0_20block_scan_algorithmE0ELj4294967295EEENS1_25partition_config_selectorILNS1_17partition_subalgoE3EjNS0_10empty_typeEbEEZZNS1_14partition_implILS8_3ELb0ES6_jNS0_17counting_iteratorIjlEEPS9_SE_NS0_5tupleIJPjSE_EEENSF_IJSE_SE_EEES9_SG_JZNS1_25segmented_radix_sort_implINS0_14default_configELb1EPKhPhPKlPlN2at6native12_GLOBAL__N_18offset_tEEE10hipError_tPvRmT1_PNSt15iterator_traitsISY_E10value_typeET2_T3_PNSZ_IS14_E10value_typeET4_jRbjT5_S1A_jjP12ihipStream_tbEUljE_EEESV_SW_SX_S14_S18_S1A_T6_T7_T9_mT8_S1C_bDpT10_ENKUlT_T0_E_clISt17integral_constantIbLb1EES1O_IbLb0EEEEDaS1K_S1L_EUlS1K_E_NS1_11comp_targetILNS1_3genE4ELNS1_11target_archE910ELNS1_3gpuE8ELNS1_3repE0EEENS1_30default_config_static_selectorELNS0_4arch9wavefront6targetE1EEEvSY_
    .private_segment_fixed_size: 0
    .sgpr_count:     50
    .sgpr_spill_count: 0
    .symbol:         _ZN7rocprim17ROCPRIM_400000_NS6detail17trampoline_kernelINS0_13select_configILj256ELj13ELNS0_17block_load_methodE3ELS4_3ELS4_3ELNS0_20block_scan_algorithmE0ELj4294967295EEENS1_25partition_config_selectorILNS1_17partition_subalgoE3EjNS0_10empty_typeEbEEZZNS1_14partition_implILS8_3ELb0ES6_jNS0_17counting_iteratorIjlEEPS9_SE_NS0_5tupleIJPjSE_EEENSF_IJSE_SE_EEES9_SG_JZNS1_25segmented_radix_sort_implINS0_14default_configELb1EPKhPhPKlPlN2at6native12_GLOBAL__N_18offset_tEEE10hipError_tPvRmT1_PNSt15iterator_traitsISY_E10value_typeET2_T3_PNSZ_IS14_E10value_typeET4_jRbjT5_S1A_jjP12ihipStream_tbEUljE_EEESV_SW_SX_S14_S18_S1A_T6_T7_T9_mT8_S1C_bDpT10_ENKUlT_T0_E_clISt17integral_constantIbLb1EES1O_IbLb0EEEEDaS1K_S1L_EUlS1K_E_NS1_11comp_targetILNS1_3genE4ELNS1_11target_archE910ELNS1_3gpuE8ELNS1_3repE0EEENS1_30default_config_static_selectorELNS0_4arch9wavefront6targetE1EEEvSY_.kd
    .uniform_work_group_size: 1
    .uses_dynamic_stack: false
    .vgpr_count:     61
    .vgpr_spill_count: 0
    .wavefront_size: 64
  - .agpr_count:     0
    .args:
      - .offset:         0
        .size:           144
        .value_kind:     by_value
    .group_segment_fixed_size: 0
    .kernarg_segment_align: 8
    .kernarg_segment_size: 144
    .language:       OpenCL C
    .language_version:
      - 2
      - 0
    .max_flat_workgroup_size: 256
    .name:           _ZN7rocprim17ROCPRIM_400000_NS6detail17trampoline_kernelINS0_13select_configILj256ELj13ELNS0_17block_load_methodE3ELS4_3ELS4_3ELNS0_20block_scan_algorithmE0ELj4294967295EEENS1_25partition_config_selectorILNS1_17partition_subalgoE3EjNS0_10empty_typeEbEEZZNS1_14partition_implILS8_3ELb0ES6_jNS0_17counting_iteratorIjlEEPS9_SE_NS0_5tupleIJPjSE_EEENSF_IJSE_SE_EEES9_SG_JZNS1_25segmented_radix_sort_implINS0_14default_configELb1EPKhPhPKlPlN2at6native12_GLOBAL__N_18offset_tEEE10hipError_tPvRmT1_PNSt15iterator_traitsISY_E10value_typeET2_T3_PNSZ_IS14_E10value_typeET4_jRbjT5_S1A_jjP12ihipStream_tbEUljE_EEESV_SW_SX_S14_S18_S1A_T6_T7_T9_mT8_S1C_bDpT10_ENKUlT_T0_E_clISt17integral_constantIbLb1EES1O_IbLb0EEEEDaS1K_S1L_EUlS1K_E_NS1_11comp_targetILNS1_3genE3ELNS1_11target_archE908ELNS1_3gpuE7ELNS1_3repE0EEENS1_30default_config_static_selectorELNS0_4arch9wavefront6targetE1EEEvSY_
    .private_segment_fixed_size: 0
    .sgpr_count:     4
    .sgpr_spill_count: 0
    .symbol:         _ZN7rocprim17ROCPRIM_400000_NS6detail17trampoline_kernelINS0_13select_configILj256ELj13ELNS0_17block_load_methodE3ELS4_3ELS4_3ELNS0_20block_scan_algorithmE0ELj4294967295EEENS1_25partition_config_selectorILNS1_17partition_subalgoE3EjNS0_10empty_typeEbEEZZNS1_14partition_implILS8_3ELb0ES6_jNS0_17counting_iteratorIjlEEPS9_SE_NS0_5tupleIJPjSE_EEENSF_IJSE_SE_EEES9_SG_JZNS1_25segmented_radix_sort_implINS0_14default_configELb1EPKhPhPKlPlN2at6native12_GLOBAL__N_18offset_tEEE10hipError_tPvRmT1_PNSt15iterator_traitsISY_E10value_typeET2_T3_PNSZ_IS14_E10value_typeET4_jRbjT5_S1A_jjP12ihipStream_tbEUljE_EEESV_SW_SX_S14_S18_S1A_T6_T7_T9_mT8_S1C_bDpT10_ENKUlT_T0_E_clISt17integral_constantIbLb1EES1O_IbLb0EEEEDaS1K_S1L_EUlS1K_E_NS1_11comp_targetILNS1_3genE3ELNS1_11target_archE908ELNS1_3gpuE7ELNS1_3repE0EEENS1_30default_config_static_selectorELNS0_4arch9wavefront6targetE1EEEvSY_.kd
    .uniform_work_group_size: 1
    .uses_dynamic_stack: false
    .vgpr_count:     0
    .vgpr_spill_count: 0
    .wavefront_size: 64
  - .agpr_count:     0
    .args:
      - .offset:         0
        .size:           144
        .value_kind:     by_value
    .group_segment_fixed_size: 0
    .kernarg_segment_align: 8
    .kernarg_segment_size: 144
    .language:       OpenCL C
    .language_version:
      - 2
      - 0
    .max_flat_workgroup_size: 256
    .name:           _ZN7rocprim17ROCPRIM_400000_NS6detail17trampoline_kernelINS0_13select_configILj256ELj13ELNS0_17block_load_methodE3ELS4_3ELS4_3ELNS0_20block_scan_algorithmE0ELj4294967295EEENS1_25partition_config_selectorILNS1_17partition_subalgoE3EjNS0_10empty_typeEbEEZZNS1_14partition_implILS8_3ELb0ES6_jNS0_17counting_iteratorIjlEEPS9_SE_NS0_5tupleIJPjSE_EEENSF_IJSE_SE_EEES9_SG_JZNS1_25segmented_radix_sort_implINS0_14default_configELb1EPKhPhPKlPlN2at6native12_GLOBAL__N_18offset_tEEE10hipError_tPvRmT1_PNSt15iterator_traitsISY_E10value_typeET2_T3_PNSZ_IS14_E10value_typeET4_jRbjT5_S1A_jjP12ihipStream_tbEUljE_EEESV_SW_SX_S14_S18_S1A_T6_T7_T9_mT8_S1C_bDpT10_ENKUlT_T0_E_clISt17integral_constantIbLb1EES1O_IbLb0EEEEDaS1K_S1L_EUlS1K_E_NS1_11comp_targetILNS1_3genE2ELNS1_11target_archE906ELNS1_3gpuE6ELNS1_3repE0EEENS1_30default_config_static_selectorELNS0_4arch9wavefront6targetE1EEEvSY_
    .private_segment_fixed_size: 0
    .sgpr_count:     4
    .sgpr_spill_count: 0
    .symbol:         _ZN7rocprim17ROCPRIM_400000_NS6detail17trampoline_kernelINS0_13select_configILj256ELj13ELNS0_17block_load_methodE3ELS4_3ELS4_3ELNS0_20block_scan_algorithmE0ELj4294967295EEENS1_25partition_config_selectorILNS1_17partition_subalgoE3EjNS0_10empty_typeEbEEZZNS1_14partition_implILS8_3ELb0ES6_jNS0_17counting_iteratorIjlEEPS9_SE_NS0_5tupleIJPjSE_EEENSF_IJSE_SE_EEES9_SG_JZNS1_25segmented_radix_sort_implINS0_14default_configELb1EPKhPhPKlPlN2at6native12_GLOBAL__N_18offset_tEEE10hipError_tPvRmT1_PNSt15iterator_traitsISY_E10value_typeET2_T3_PNSZ_IS14_E10value_typeET4_jRbjT5_S1A_jjP12ihipStream_tbEUljE_EEESV_SW_SX_S14_S18_S1A_T6_T7_T9_mT8_S1C_bDpT10_ENKUlT_T0_E_clISt17integral_constantIbLb1EES1O_IbLb0EEEEDaS1K_S1L_EUlS1K_E_NS1_11comp_targetILNS1_3genE2ELNS1_11target_archE906ELNS1_3gpuE6ELNS1_3repE0EEENS1_30default_config_static_selectorELNS0_4arch9wavefront6targetE1EEEvSY_.kd
    .uniform_work_group_size: 1
    .uses_dynamic_stack: false
    .vgpr_count:     0
    .vgpr_spill_count: 0
    .wavefront_size: 64
  - .agpr_count:     0
    .args:
      - .offset:         0
        .size:           144
        .value_kind:     by_value
    .group_segment_fixed_size: 0
    .kernarg_segment_align: 8
    .kernarg_segment_size: 144
    .language:       OpenCL C
    .language_version:
      - 2
      - 0
    .max_flat_workgroup_size: 256
    .name:           _ZN7rocprim17ROCPRIM_400000_NS6detail17trampoline_kernelINS0_13select_configILj256ELj13ELNS0_17block_load_methodE3ELS4_3ELS4_3ELNS0_20block_scan_algorithmE0ELj4294967295EEENS1_25partition_config_selectorILNS1_17partition_subalgoE3EjNS0_10empty_typeEbEEZZNS1_14partition_implILS8_3ELb0ES6_jNS0_17counting_iteratorIjlEEPS9_SE_NS0_5tupleIJPjSE_EEENSF_IJSE_SE_EEES9_SG_JZNS1_25segmented_radix_sort_implINS0_14default_configELb1EPKhPhPKlPlN2at6native12_GLOBAL__N_18offset_tEEE10hipError_tPvRmT1_PNSt15iterator_traitsISY_E10value_typeET2_T3_PNSZ_IS14_E10value_typeET4_jRbjT5_S1A_jjP12ihipStream_tbEUljE_EEESV_SW_SX_S14_S18_S1A_T6_T7_T9_mT8_S1C_bDpT10_ENKUlT_T0_E_clISt17integral_constantIbLb1EES1O_IbLb0EEEEDaS1K_S1L_EUlS1K_E_NS1_11comp_targetILNS1_3genE10ELNS1_11target_archE1200ELNS1_3gpuE4ELNS1_3repE0EEENS1_30default_config_static_selectorELNS0_4arch9wavefront6targetE1EEEvSY_
    .private_segment_fixed_size: 0
    .sgpr_count:     4
    .sgpr_spill_count: 0
    .symbol:         _ZN7rocprim17ROCPRIM_400000_NS6detail17trampoline_kernelINS0_13select_configILj256ELj13ELNS0_17block_load_methodE3ELS4_3ELS4_3ELNS0_20block_scan_algorithmE0ELj4294967295EEENS1_25partition_config_selectorILNS1_17partition_subalgoE3EjNS0_10empty_typeEbEEZZNS1_14partition_implILS8_3ELb0ES6_jNS0_17counting_iteratorIjlEEPS9_SE_NS0_5tupleIJPjSE_EEENSF_IJSE_SE_EEES9_SG_JZNS1_25segmented_radix_sort_implINS0_14default_configELb1EPKhPhPKlPlN2at6native12_GLOBAL__N_18offset_tEEE10hipError_tPvRmT1_PNSt15iterator_traitsISY_E10value_typeET2_T3_PNSZ_IS14_E10value_typeET4_jRbjT5_S1A_jjP12ihipStream_tbEUljE_EEESV_SW_SX_S14_S18_S1A_T6_T7_T9_mT8_S1C_bDpT10_ENKUlT_T0_E_clISt17integral_constantIbLb1EES1O_IbLb0EEEEDaS1K_S1L_EUlS1K_E_NS1_11comp_targetILNS1_3genE10ELNS1_11target_archE1200ELNS1_3gpuE4ELNS1_3repE0EEENS1_30default_config_static_selectorELNS0_4arch9wavefront6targetE1EEEvSY_.kd
    .uniform_work_group_size: 1
    .uses_dynamic_stack: false
    .vgpr_count:     0
    .vgpr_spill_count: 0
    .wavefront_size: 64
  - .agpr_count:     0
    .args:
      - .offset:         0
        .size:           144
        .value_kind:     by_value
    .group_segment_fixed_size: 0
    .kernarg_segment_align: 8
    .kernarg_segment_size: 144
    .language:       OpenCL C
    .language_version:
      - 2
      - 0
    .max_flat_workgroup_size: 256
    .name:           _ZN7rocprim17ROCPRIM_400000_NS6detail17trampoline_kernelINS0_13select_configILj256ELj13ELNS0_17block_load_methodE3ELS4_3ELS4_3ELNS0_20block_scan_algorithmE0ELj4294967295EEENS1_25partition_config_selectorILNS1_17partition_subalgoE3EjNS0_10empty_typeEbEEZZNS1_14partition_implILS8_3ELb0ES6_jNS0_17counting_iteratorIjlEEPS9_SE_NS0_5tupleIJPjSE_EEENSF_IJSE_SE_EEES9_SG_JZNS1_25segmented_radix_sort_implINS0_14default_configELb1EPKhPhPKlPlN2at6native12_GLOBAL__N_18offset_tEEE10hipError_tPvRmT1_PNSt15iterator_traitsISY_E10value_typeET2_T3_PNSZ_IS14_E10value_typeET4_jRbjT5_S1A_jjP12ihipStream_tbEUljE_EEESV_SW_SX_S14_S18_S1A_T6_T7_T9_mT8_S1C_bDpT10_ENKUlT_T0_E_clISt17integral_constantIbLb1EES1O_IbLb0EEEEDaS1K_S1L_EUlS1K_E_NS1_11comp_targetILNS1_3genE9ELNS1_11target_archE1100ELNS1_3gpuE3ELNS1_3repE0EEENS1_30default_config_static_selectorELNS0_4arch9wavefront6targetE1EEEvSY_
    .private_segment_fixed_size: 0
    .sgpr_count:     4
    .sgpr_spill_count: 0
    .symbol:         _ZN7rocprim17ROCPRIM_400000_NS6detail17trampoline_kernelINS0_13select_configILj256ELj13ELNS0_17block_load_methodE3ELS4_3ELS4_3ELNS0_20block_scan_algorithmE0ELj4294967295EEENS1_25partition_config_selectorILNS1_17partition_subalgoE3EjNS0_10empty_typeEbEEZZNS1_14partition_implILS8_3ELb0ES6_jNS0_17counting_iteratorIjlEEPS9_SE_NS0_5tupleIJPjSE_EEENSF_IJSE_SE_EEES9_SG_JZNS1_25segmented_radix_sort_implINS0_14default_configELb1EPKhPhPKlPlN2at6native12_GLOBAL__N_18offset_tEEE10hipError_tPvRmT1_PNSt15iterator_traitsISY_E10value_typeET2_T3_PNSZ_IS14_E10value_typeET4_jRbjT5_S1A_jjP12ihipStream_tbEUljE_EEESV_SW_SX_S14_S18_S1A_T6_T7_T9_mT8_S1C_bDpT10_ENKUlT_T0_E_clISt17integral_constantIbLb1EES1O_IbLb0EEEEDaS1K_S1L_EUlS1K_E_NS1_11comp_targetILNS1_3genE9ELNS1_11target_archE1100ELNS1_3gpuE3ELNS1_3repE0EEENS1_30default_config_static_selectorELNS0_4arch9wavefront6targetE1EEEvSY_.kd
    .uniform_work_group_size: 1
    .uses_dynamic_stack: false
    .vgpr_count:     0
    .vgpr_spill_count: 0
    .wavefront_size: 64
  - .agpr_count:     0
    .args:
      - .offset:         0
        .size:           144
        .value_kind:     by_value
    .group_segment_fixed_size: 0
    .kernarg_segment_align: 8
    .kernarg_segment_size: 144
    .language:       OpenCL C
    .language_version:
      - 2
      - 0
    .max_flat_workgroup_size: 256
    .name:           _ZN7rocprim17ROCPRIM_400000_NS6detail17trampoline_kernelINS0_13select_configILj256ELj13ELNS0_17block_load_methodE3ELS4_3ELS4_3ELNS0_20block_scan_algorithmE0ELj4294967295EEENS1_25partition_config_selectorILNS1_17partition_subalgoE3EjNS0_10empty_typeEbEEZZNS1_14partition_implILS8_3ELb0ES6_jNS0_17counting_iteratorIjlEEPS9_SE_NS0_5tupleIJPjSE_EEENSF_IJSE_SE_EEES9_SG_JZNS1_25segmented_radix_sort_implINS0_14default_configELb1EPKhPhPKlPlN2at6native12_GLOBAL__N_18offset_tEEE10hipError_tPvRmT1_PNSt15iterator_traitsISY_E10value_typeET2_T3_PNSZ_IS14_E10value_typeET4_jRbjT5_S1A_jjP12ihipStream_tbEUljE_EEESV_SW_SX_S14_S18_S1A_T6_T7_T9_mT8_S1C_bDpT10_ENKUlT_T0_E_clISt17integral_constantIbLb1EES1O_IbLb0EEEEDaS1K_S1L_EUlS1K_E_NS1_11comp_targetILNS1_3genE8ELNS1_11target_archE1030ELNS1_3gpuE2ELNS1_3repE0EEENS1_30default_config_static_selectorELNS0_4arch9wavefront6targetE1EEEvSY_
    .private_segment_fixed_size: 0
    .sgpr_count:     4
    .sgpr_spill_count: 0
    .symbol:         _ZN7rocprim17ROCPRIM_400000_NS6detail17trampoline_kernelINS0_13select_configILj256ELj13ELNS0_17block_load_methodE3ELS4_3ELS4_3ELNS0_20block_scan_algorithmE0ELj4294967295EEENS1_25partition_config_selectorILNS1_17partition_subalgoE3EjNS0_10empty_typeEbEEZZNS1_14partition_implILS8_3ELb0ES6_jNS0_17counting_iteratorIjlEEPS9_SE_NS0_5tupleIJPjSE_EEENSF_IJSE_SE_EEES9_SG_JZNS1_25segmented_radix_sort_implINS0_14default_configELb1EPKhPhPKlPlN2at6native12_GLOBAL__N_18offset_tEEE10hipError_tPvRmT1_PNSt15iterator_traitsISY_E10value_typeET2_T3_PNSZ_IS14_E10value_typeET4_jRbjT5_S1A_jjP12ihipStream_tbEUljE_EEESV_SW_SX_S14_S18_S1A_T6_T7_T9_mT8_S1C_bDpT10_ENKUlT_T0_E_clISt17integral_constantIbLb1EES1O_IbLb0EEEEDaS1K_S1L_EUlS1K_E_NS1_11comp_targetILNS1_3genE8ELNS1_11target_archE1030ELNS1_3gpuE2ELNS1_3repE0EEENS1_30default_config_static_selectorELNS0_4arch9wavefront6targetE1EEEvSY_.kd
    .uniform_work_group_size: 1
    .uses_dynamic_stack: false
    .vgpr_count:     0
    .vgpr_spill_count: 0
    .wavefront_size: 64
  - .agpr_count:     0
    .args:
      - .address_space:  global
        .offset:         0
        .size:           8
        .value_kind:     global_buffer
      - .offset:         8
        .size:           4
        .value_kind:     by_value
      - .address_space:  global
        .offset:         16
        .size:           8
        .value_kind:     global_buffer
      - .offset:         24
        .size:           4
        .value_kind:     by_value
      - .address_space:  global
        .offset:         32
        .size:           8
        .value_kind:     global_buffer
      - .offset:         40
        .size:           4
        .value_kind:     hidden_block_count_x
      - .offset:         44
        .size:           4
        .value_kind:     hidden_block_count_y
      - .offset:         48
        .size:           4
        .value_kind:     hidden_block_count_z
      - .offset:         52
        .size:           2
        .value_kind:     hidden_group_size_x
      - .offset:         54
        .size:           2
        .value_kind:     hidden_group_size_y
      - .offset:         56
        .size:           2
        .value_kind:     hidden_group_size_z
      - .offset:         58
        .size:           2
        .value_kind:     hidden_remainder_x
      - .offset:         60
        .size:           2
        .value_kind:     hidden_remainder_y
      - .offset:         62
        .size:           2
        .value_kind:     hidden_remainder_z
      - .offset:         80
        .size:           8
        .value_kind:     hidden_global_offset_x
      - .offset:         88
        .size:           8
        .value_kind:     hidden_global_offset_y
      - .offset:         96
        .size:           8
        .value_kind:     hidden_global_offset_z
      - .offset:         104
        .size:           2
        .value_kind:     hidden_grid_dims
    .group_segment_fixed_size: 0
    .kernarg_segment_align: 8
    .kernarg_segment_size: 296
    .language:       OpenCL C
    .language_version:
      - 2
      - 0
    .max_flat_workgroup_size: 256
    .name:           _ZN7rocprim17ROCPRIM_400000_NS6detail31init_lookback_scan_state_kernelINS1_19lookback_scan_stateIjLb0ELb1EEENS1_16block_id_wrapperIjLb1EEEEEvT_jT0_jPNS7_10value_typeE
    .private_segment_fixed_size: 0
    .sgpr_count:     15
    .sgpr_spill_count: 0
    .symbol:         _ZN7rocprim17ROCPRIM_400000_NS6detail31init_lookback_scan_state_kernelINS1_19lookback_scan_stateIjLb0ELb1EEENS1_16block_id_wrapperIjLb1EEEEEvT_jT0_jPNS7_10value_typeE.kd
    .uniform_work_group_size: 1
    .uses_dynamic_stack: false
    .vgpr_count:     6
    .vgpr_spill_count: 0
    .wavefront_size: 64
  - .agpr_count:     0
    .args:
      - .offset:         0
        .size:           152
        .value_kind:     by_value
    .group_segment_fixed_size: 0
    .kernarg_segment_align: 8
    .kernarg_segment_size: 152
    .language:       OpenCL C
    .language_version:
      - 2
      - 0
    .max_flat_workgroup_size: 256
    .name:           _ZN7rocprim17ROCPRIM_400000_NS6detail17trampoline_kernelINS0_13select_configILj256ELj13ELNS0_17block_load_methodE3ELS4_3ELS4_3ELNS0_20block_scan_algorithmE0ELj4294967295EEENS1_25partition_config_selectorILNS1_17partition_subalgoE3EjNS0_10empty_typeEbEEZZNS1_14partition_implILS8_3ELb0ES6_jNS0_17counting_iteratorIjlEEPS9_SE_NS0_5tupleIJPjSE_EEENSF_IJSE_SE_EEES9_SG_JZNS1_25segmented_radix_sort_implINS0_14default_configELb1EPKhPhPKlPlN2at6native12_GLOBAL__N_18offset_tEEE10hipError_tPvRmT1_PNSt15iterator_traitsISY_E10value_typeET2_T3_PNSZ_IS14_E10value_typeET4_jRbjT5_S1A_jjP12ihipStream_tbEUljE_EEESV_SW_SX_S14_S18_S1A_T6_T7_T9_mT8_S1C_bDpT10_ENKUlT_T0_E_clISt17integral_constantIbLb0EES1O_IbLb1EEEEDaS1K_S1L_EUlS1K_E_NS1_11comp_targetILNS1_3genE0ELNS1_11target_archE4294967295ELNS1_3gpuE0ELNS1_3repE0EEENS1_30default_config_static_selectorELNS0_4arch9wavefront6targetE1EEEvSY_
    .private_segment_fixed_size: 0
    .sgpr_count:     4
    .sgpr_spill_count: 0
    .symbol:         _ZN7rocprim17ROCPRIM_400000_NS6detail17trampoline_kernelINS0_13select_configILj256ELj13ELNS0_17block_load_methodE3ELS4_3ELS4_3ELNS0_20block_scan_algorithmE0ELj4294967295EEENS1_25partition_config_selectorILNS1_17partition_subalgoE3EjNS0_10empty_typeEbEEZZNS1_14partition_implILS8_3ELb0ES6_jNS0_17counting_iteratorIjlEEPS9_SE_NS0_5tupleIJPjSE_EEENSF_IJSE_SE_EEES9_SG_JZNS1_25segmented_radix_sort_implINS0_14default_configELb1EPKhPhPKlPlN2at6native12_GLOBAL__N_18offset_tEEE10hipError_tPvRmT1_PNSt15iterator_traitsISY_E10value_typeET2_T3_PNSZ_IS14_E10value_typeET4_jRbjT5_S1A_jjP12ihipStream_tbEUljE_EEESV_SW_SX_S14_S18_S1A_T6_T7_T9_mT8_S1C_bDpT10_ENKUlT_T0_E_clISt17integral_constantIbLb0EES1O_IbLb1EEEEDaS1K_S1L_EUlS1K_E_NS1_11comp_targetILNS1_3genE0ELNS1_11target_archE4294967295ELNS1_3gpuE0ELNS1_3repE0EEENS1_30default_config_static_selectorELNS0_4arch9wavefront6targetE1EEEvSY_.kd
    .uniform_work_group_size: 1
    .uses_dynamic_stack: false
    .vgpr_count:     0
    .vgpr_spill_count: 0
    .wavefront_size: 64
  - .agpr_count:     0
    .args:
      - .offset:         0
        .size:           152
        .value_kind:     by_value
    .group_segment_fixed_size: 0
    .kernarg_segment_align: 8
    .kernarg_segment_size: 152
    .language:       OpenCL C
    .language_version:
      - 2
      - 0
    .max_flat_workgroup_size: 256
    .name:           _ZN7rocprim17ROCPRIM_400000_NS6detail17trampoline_kernelINS0_13select_configILj256ELj13ELNS0_17block_load_methodE3ELS4_3ELS4_3ELNS0_20block_scan_algorithmE0ELj4294967295EEENS1_25partition_config_selectorILNS1_17partition_subalgoE3EjNS0_10empty_typeEbEEZZNS1_14partition_implILS8_3ELb0ES6_jNS0_17counting_iteratorIjlEEPS9_SE_NS0_5tupleIJPjSE_EEENSF_IJSE_SE_EEES9_SG_JZNS1_25segmented_radix_sort_implINS0_14default_configELb1EPKhPhPKlPlN2at6native12_GLOBAL__N_18offset_tEEE10hipError_tPvRmT1_PNSt15iterator_traitsISY_E10value_typeET2_T3_PNSZ_IS14_E10value_typeET4_jRbjT5_S1A_jjP12ihipStream_tbEUljE_EEESV_SW_SX_S14_S18_S1A_T6_T7_T9_mT8_S1C_bDpT10_ENKUlT_T0_E_clISt17integral_constantIbLb0EES1O_IbLb1EEEEDaS1K_S1L_EUlS1K_E_NS1_11comp_targetILNS1_3genE5ELNS1_11target_archE942ELNS1_3gpuE9ELNS1_3repE0EEENS1_30default_config_static_selectorELNS0_4arch9wavefront6targetE1EEEvSY_
    .private_segment_fixed_size: 0
    .sgpr_count:     4
    .sgpr_spill_count: 0
    .symbol:         _ZN7rocprim17ROCPRIM_400000_NS6detail17trampoline_kernelINS0_13select_configILj256ELj13ELNS0_17block_load_methodE3ELS4_3ELS4_3ELNS0_20block_scan_algorithmE0ELj4294967295EEENS1_25partition_config_selectorILNS1_17partition_subalgoE3EjNS0_10empty_typeEbEEZZNS1_14partition_implILS8_3ELb0ES6_jNS0_17counting_iteratorIjlEEPS9_SE_NS0_5tupleIJPjSE_EEENSF_IJSE_SE_EEES9_SG_JZNS1_25segmented_radix_sort_implINS0_14default_configELb1EPKhPhPKlPlN2at6native12_GLOBAL__N_18offset_tEEE10hipError_tPvRmT1_PNSt15iterator_traitsISY_E10value_typeET2_T3_PNSZ_IS14_E10value_typeET4_jRbjT5_S1A_jjP12ihipStream_tbEUljE_EEESV_SW_SX_S14_S18_S1A_T6_T7_T9_mT8_S1C_bDpT10_ENKUlT_T0_E_clISt17integral_constantIbLb0EES1O_IbLb1EEEEDaS1K_S1L_EUlS1K_E_NS1_11comp_targetILNS1_3genE5ELNS1_11target_archE942ELNS1_3gpuE9ELNS1_3repE0EEENS1_30default_config_static_selectorELNS0_4arch9wavefront6targetE1EEEvSY_.kd
    .uniform_work_group_size: 1
    .uses_dynamic_stack: false
    .vgpr_count:     0
    .vgpr_spill_count: 0
    .wavefront_size: 64
  - .agpr_count:     0
    .args:
      - .offset:         0
        .size:           152
        .value_kind:     by_value
    .group_segment_fixed_size: 13324
    .kernarg_segment_align: 8
    .kernarg_segment_size: 152
    .language:       OpenCL C
    .language_version:
      - 2
      - 0
    .max_flat_workgroup_size: 256
    .name:           _ZN7rocprim17ROCPRIM_400000_NS6detail17trampoline_kernelINS0_13select_configILj256ELj13ELNS0_17block_load_methodE3ELS4_3ELS4_3ELNS0_20block_scan_algorithmE0ELj4294967295EEENS1_25partition_config_selectorILNS1_17partition_subalgoE3EjNS0_10empty_typeEbEEZZNS1_14partition_implILS8_3ELb0ES6_jNS0_17counting_iteratorIjlEEPS9_SE_NS0_5tupleIJPjSE_EEENSF_IJSE_SE_EEES9_SG_JZNS1_25segmented_radix_sort_implINS0_14default_configELb1EPKhPhPKlPlN2at6native12_GLOBAL__N_18offset_tEEE10hipError_tPvRmT1_PNSt15iterator_traitsISY_E10value_typeET2_T3_PNSZ_IS14_E10value_typeET4_jRbjT5_S1A_jjP12ihipStream_tbEUljE_EEESV_SW_SX_S14_S18_S1A_T6_T7_T9_mT8_S1C_bDpT10_ENKUlT_T0_E_clISt17integral_constantIbLb0EES1O_IbLb1EEEEDaS1K_S1L_EUlS1K_E_NS1_11comp_targetILNS1_3genE4ELNS1_11target_archE910ELNS1_3gpuE8ELNS1_3repE0EEENS1_30default_config_static_selectorELNS0_4arch9wavefront6targetE1EEEvSY_
    .private_segment_fixed_size: 0
    .sgpr_count:     48
    .sgpr_spill_count: 0
    .symbol:         _ZN7rocprim17ROCPRIM_400000_NS6detail17trampoline_kernelINS0_13select_configILj256ELj13ELNS0_17block_load_methodE3ELS4_3ELS4_3ELNS0_20block_scan_algorithmE0ELj4294967295EEENS1_25partition_config_selectorILNS1_17partition_subalgoE3EjNS0_10empty_typeEbEEZZNS1_14partition_implILS8_3ELb0ES6_jNS0_17counting_iteratorIjlEEPS9_SE_NS0_5tupleIJPjSE_EEENSF_IJSE_SE_EEES9_SG_JZNS1_25segmented_radix_sort_implINS0_14default_configELb1EPKhPhPKlPlN2at6native12_GLOBAL__N_18offset_tEEE10hipError_tPvRmT1_PNSt15iterator_traitsISY_E10value_typeET2_T3_PNSZ_IS14_E10value_typeET4_jRbjT5_S1A_jjP12ihipStream_tbEUljE_EEESV_SW_SX_S14_S18_S1A_T6_T7_T9_mT8_S1C_bDpT10_ENKUlT_T0_E_clISt17integral_constantIbLb0EES1O_IbLb1EEEEDaS1K_S1L_EUlS1K_E_NS1_11comp_targetILNS1_3genE4ELNS1_11target_archE910ELNS1_3gpuE8ELNS1_3repE0EEENS1_30default_config_static_selectorELNS0_4arch9wavefront6targetE1EEEvSY_.kd
    .uniform_work_group_size: 1
    .uses_dynamic_stack: false
    .vgpr_count:     64
    .vgpr_spill_count: 0
    .wavefront_size: 64
  - .agpr_count:     0
    .args:
      - .offset:         0
        .size:           152
        .value_kind:     by_value
    .group_segment_fixed_size: 0
    .kernarg_segment_align: 8
    .kernarg_segment_size: 152
    .language:       OpenCL C
    .language_version:
      - 2
      - 0
    .max_flat_workgroup_size: 256
    .name:           _ZN7rocprim17ROCPRIM_400000_NS6detail17trampoline_kernelINS0_13select_configILj256ELj13ELNS0_17block_load_methodE3ELS4_3ELS4_3ELNS0_20block_scan_algorithmE0ELj4294967295EEENS1_25partition_config_selectorILNS1_17partition_subalgoE3EjNS0_10empty_typeEbEEZZNS1_14partition_implILS8_3ELb0ES6_jNS0_17counting_iteratorIjlEEPS9_SE_NS0_5tupleIJPjSE_EEENSF_IJSE_SE_EEES9_SG_JZNS1_25segmented_radix_sort_implINS0_14default_configELb1EPKhPhPKlPlN2at6native12_GLOBAL__N_18offset_tEEE10hipError_tPvRmT1_PNSt15iterator_traitsISY_E10value_typeET2_T3_PNSZ_IS14_E10value_typeET4_jRbjT5_S1A_jjP12ihipStream_tbEUljE_EEESV_SW_SX_S14_S18_S1A_T6_T7_T9_mT8_S1C_bDpT10_ENKUlT_T0_E_clISt17integral_constantIbLb0EES1O_IbLb1EEEEDaS1K_S1L_EUlS1K_E_NS1_11comp_targetILNS1_3genE3ELNS1_11target_archE908ELNS1_3gpuE7ELNS1_3repE0EEENS1_30default_config_static_selectorELNS0_4arch9wavefront6targetE1EEEvSY_
    .private_segment_fixed_size: 0
    .sgpr_count:     4
    .sgpr_spill_count: 0
    .symbol:         _ZN7rocprim17ROCPRIM_400000_NS6detail17trampoline_kernelINS0_13select_configILj256ELj13ELNS0_17block_load_methodE3ELS4_3ELS4_3ELNS0_20block_scan_algorithmE0ELj4294967295EEENS1_25partition_config_selectorILNS1_17partition_subalgoE3EjNS0_10empty_typeEbEEZZNS1_14partition_implILS8_3ELb0ES6_jNS0_17counting_iteratorIjlEEPS9_SE_NS0_5tupleIJPjSE_EEENSF_IJSE_SE_EEES9_SG_JZNS1_25segmented_radix_sort_implINS0_14default_configELb1EPKhPhPKlPlN2at6native12_GLOBAL__N_18offset_tEEE10hipError_tPvRmT1_PNSt15iterator_traitsISY_E10value_typeET2_T3_PNSZ_IS14_E10value_typeET4_jRbjT5_S1A_jjP12ihipStream_tbEUljE_EEESV_SW_SX_S14_S18_S1A_T6_T7_T9_mT8_S1C_bDpT10_ENKUlT_T0_E_clISt17integral_constantIbLb0EES1O_IbLb1EEEEDaS1K_S1L_EUlS1K_E_NS1_11comp_targetILNS1_3genE3ELNS1_11target_archE908ELNS1_3gpuE7ELNS1_3repE0EEENS1_30default_config_static_selectorELNS0_4arch9wavefront6targetE1EEEvSY_.kd
    .uniform_work_group_size: 1
    .uses_dynamic_stack: false
    .vgpr_count:     0
    .vgpr_spill_count: 0
    .wavefront_size: 64
  - .agpr_count:     0
    .args:
      - .offset:         0
        .size:           152
        .value_kind:     by_value
    .group_segment_fixed_size: 0
    .kernarg_segment_align: 8
    .kernarg_segment_size: 152
    .language:       OpenCL C
    .language_version:
      - 2
      - 0
    .max_flat_workgroup_size: 256
    .name:           _ZN7rocprim17ROCPRIM_400000_NS6detail17trampoline_kernelINS0_13select_configILj256ELj13ELNS0_17block_load_methodE3ELS4_3ELS4_3ELNS0_20block_scan_algorithmE0ELj4294967295EEENS1_25partition_config_selectorILNS1_17partition_subalgoE3EjNS0_10empty_typeEbEEZZNS1_14partition_implILS8_3ELb0ES6_jNS0_17counting_iteratorIjlEEPS9_SE_NS0_5tupleIJPjSE_EEENSF_IJSE_SE_EEES9_SG_JZNS1_25segmented_radix_sort_implINS0_14default_configELb1EPKhPhPKlPlN2at6native12_GLOBAL__N_18offset_tEEE10hipError_tPvRmT1_PNSt15iterator_traitsISY_E10value_typeET2_T3_PNSZ_IS14_E10value_typeET4_jRbjT5_S1A_jjP12ihipStream_tbEUljE_EEESV_SW_SX_S14_S18_S1A_T6_T7_T9_mT8_S1C_bDpT10_ENKUlT_T0_E_clISt17integral_constantIbLb0EES1O_IbLb1EEEEDaS1K_S1L_EUlS1K_E_NS1_11comp_targetILNS1_3genE2ELNS1_11target_archE906ELNS1_3gpuE6ELNS1_3repE0EEENS1_30default_config_static_selectorELNS0_4arch9wavefront6targetE1EEEvSY_
    .private_segment_fixed_size: 0
    .sgpr_count:     4
    .sgpr_spill_count: 0
    .symbol:         _ZN7rocprim17ROCPRIM_400000_NS6detail17trampoline_kernelINS0_13select_configILj256ELj13ELNS0_17block_load_methodE3ELS4_3ELS4_3ELNS0_20block_scan_algorithmE0ELj4294967295EEENS1_25partition_config_selectorILNS1_17partition_subalgoE3EjNS0_10empty_typeEbEEZZNS1_14partition_implILS8_3ELb0ES6_jNS0_17counting_iteratorIjlEEPS9_SE_NS0_5tupleIJPjSE_EEENSF_IJSE_SE_EEES9_SG_JZNS1_25segmented_radix_sort_implINS0_14default_configELb1EPKhPhPKlPlN2at6native12_GLOBAL__N_18offset_tEEE10hipError_tPvRmT1_PNSt15iterator_traitsISY_E10value_typeET2_T3_PNSZ_IS14_E10value_typeET4_jRbjT5_S1A_jjP12ihipStream_tbEUljE_EEESV_SW_SX_S14_S18_S1A_T6_T7_T9_mT8_S1C_bDpT10_ENKUlT_T0_E_clISt17integral_constantIbLb0EES1O_IbLb1EEEEDaS1K_S1L_EUlS1K_E_NS1_11comp_targetILNS1_3genE2ELNS1_11target_archE906ELNS1_3gpuE6ELNS1_3repE0EEENS1_30default_config_static_selectorELNS0_4arch9wavefront6targetE1EEEvSY_.kd
    .uniform_work_group_size: 1
    .uses_dynamic_stack: false
    .vgpr_count:     0
    .vgpr_spill_count: 0
    .wavefront_size: 64
  - .agpr_count:     0
    .args:
      - .offset:         0
        .size:           152
        .value_kind:     by_value
    .group_segment_fixed_size: 0
    .kernarg_segment_align: 8
    .kernarg_segment_size: 152
    .language:       OpenCL C
    .language_version:
      - 2
      - 0
    .max_flat_workgroup_size: 256
    .name:           _ZN7rocprim17ROCPRIM_400000_NS6detail17trampoline_kernelINS0_13select_configILj256ELj13ELNS0_17block_load_methodE3ELS4_3ELS4_3ELNS0_20block_scan_algorithmE0ELj4294967295EEENS1_25partition_config_selectorILNS1_17partition_subalgoE3EjNS0_10empty_typeEbEEZZNS1_14partition_implILS8_3ELb0ES6_jNS0_17counting_iteratorIjlEEPS9_SE_NS0_5tupleIJPjSE_EEENSF_IJSE_SE_EEES9_SG_JZNS1_25segmented_radix_sort_implINS0_14default_configELb1EPKhPhPKlPlN2at6native12_GLOBAL__N_18offset_tEEE10hipError_tPvRmT1_PNSt15iterator_traitsISY_E10value_typeET2_T3_PNSZ_IS14_E10value_typeET4_jRbjT5_S1A_jjP12ihipStream_tbEUljE_EEESV_SW_SX_S14_S18_S1A_T6_T7_T9_mT8_S1C_bDpT10_ENKUlT_T0_E_clISt17integral_constantIbLb0EES1O_IbLb1EEEEDaS1K_S1L_EUlS1K_E_NS1_11comp_targetILNS1_3genE10ELNS1_11target_archE1200ELNS1_3gpuE4ELNS1_3repE0EEENS1_30default_config_static_selectorELNS0_4arch9wavefront6targetE1EEEvSY_
    .private_segment_fixed_size: 0
    .sgpr_count:     4
    .sgpr_spill_count: 0
    .symbol:         _ZN7rocprim17ROCPRIM_400000_NS6detail17trampoline_kernelINS0_13select_configILj256ELj13ELNS0_17block_load_methodE3ELS4_3ELS4_3ELNS0_20block_scan_algorithmE0ELj4294967295EEENS1_25partition_config_selectorILNS1_17partition_subalgoE3EjNS0_10empty_typeEbEEZZNS1_14partition_implILS8_3ELb0ES6_jNS0_17counting_iteratorIjlEEPS9_SE_NS0_5tupleIJPjSE_EEENSF_IJSE_SE_EEES9_SG_JZNS1_25segmented_radix_sort_implINS0_14default_configELb1EPKhPhPKlPlN2at6native12_GLOBAL__N_18offset_tEEE10hipError_tPvRmT1_PNSt15iterator_traitsISY_E10value_typeET2_T3_PNSZ_IS14_E10value_typeET4_jRbjT5_S1A_jjP12ihipStream_tbEUljE_EEESV_SW_SX_S14_S18_S1A_T6_T7_T9_mT8_S1C_bDpT10_ENKUlT_T0_E_clISt17integral_constantIbLb0EES1O_IbLb1EEEEDaS1K_S1L_EUlS1K_E_NS1_11comp_targetILNS1_3genE10ELNS1_11target_archE1200ELNS1_3gpuE4ELNS1_3repE0EEENS1_30default_config_static_selectorELNS0_4arch9wavefront6targetE1EEEvSY_.kd
    .uniform_work_group_size: 1
    .uses_dynamic_stack: false
    .vgpr_count:     0
    .vgpr_spill_count: 0
    .wavefront_size: 64
  - .agpr_count:     0
    .args:
      - .offset:         0
        .size:           152
        .value_kind:     by_value
    .group_segment_fixed_size: 0
    .kernarg_segment_align: 8
    .kernarg_segment_size: 152
    .language:       OpenCL C
    .language_version:
      - 2
      - 0
    .max_flat_workgroup_size: 256
    .name:           _ZN7rocprim17ROCPRIM_400000_NS6detail17trampoline_kernelINS0_13select_configILj256ELj13ELNS0_17block_load_methodE3ELS4_3ELS4_3ELNS0_20block_scan_algorithmE0ELj4294967295EEENS1_25partition_config_selectorILNS1_17partition_subalgoE3EjNS0_10empty_typeEbEEZZNS1_14partition_implILS8_3ELb0ES6_jNS0_17counting_iteratorIjlEEPS9_SE_NS0_5tupleIJPjSE_EEENSF_IJSE_SE_EEES9_SG_JZNS1_25segmented_radix_sort_implINS0_14default_configELb1EPKhPhPKlPlN2at6native12_GLOBAL__N_18offset_tEEE10hipError_tPvRmT1_PNSt15iterator_traitsISY_E10value_typeET2_T3_PNSZ_IS14_E10value_typeET4_jRbjT5_S1A_jjP12ihipStream_tbEUljE_EEESV_SW_SX_S14_S18_S1A_T6_T7_T9_mT8_S1C_bDpT10_ENKUlT_T0_E_clISt17integral_constantIbLb0EES1O_IbLb1EEEEDaS1K_S1L_EUlS1K_E_NS1_11comp_targetILNS1_3genE9ELNS1_11target_archE1100ELNS1_3gpuE3ELNS1_3repE0EEENS1_30default_config_static_selectorELNS0_4arch9wavefront6targetE1EEEvSY_
    .private_segment_fixed_size: 0
    .sgpr_count:     4
    .sgpr_spill_count: 0
    .symbol:         _ZN7rocprim17ROCPRIM_400000_NS6detail17trampoline_kernelINS0_13select_configILj256ELj13ELNS0_17block_load_methodE3ELS4_3ELS4_3ELNS0_20block_scan_algorithmE0ELj4294967295EEENS1_25partition_config_selectorILNS1_17partition_subalgoE3EjNS0_10empty_typeEbEEZZNS1_14partition_implILS8_3ELb0ES6_jNS0_17counting_iteratorIjlEEPS9_SE_NS0_5tupleIJPjSE_EEENSF_IJSE_SE_EEES9_SG_JZNS1_25segmented_radix_sort_implINS0_14default_configELb1EPKhPhPKlPlN2at6native12_GLOBAL__N_18offset_tEEE10hipError_tPvRmT1_PNSt15iterator_traitsISY_E10value_typeET2_T3_PNSZ_IS14_E10value_typeET4_jRbjT5_S1A_jjP12ihipStream_tbEUljE_EEESV_SW_SX_S14_S18_S1A_T6_T7_T9_mT8_S1C_bDpT10_ENKUlT_T0_E_clISt17integral_constantIbLb0EES1O_IbLb1EEEEDaS1K_S1L_EUlS1K_E_NS1_11comp_targetILNS1_3genE9ELNS1_11target_archE1100ELNS1_3gpuE3ELNS1_3repE0EEENS1_30default_config_static_selectorELNS0_4arch9wavefront6targetE1EEEvSY_.kd
    .uniform_work_group_size: 1
    .uses_dynamic_stack: false
    .vgpr_count:     0
    .vgpr_spill_count: 0
    .wavefront_size: 64
  - .agpr_count:     0
    .args:
      - .offset:         0
        .size:           152
        .value_kind:     by_value
    .group_segment_fixed_size: 0
    .kernarg_segment_align: 8
    .kernarg_segment_size: 152
    .language:       OpenCL C
    .language_version:
      - 2
      - 0
    .max_flat_workgroup_size: 256
    .name:           _ZN7rocprim17ROCPRIM_400000_NS6detail17trampoline_kernelINS0_13select_configILj256ELj13ELNS0_17block_load_methodE3ELS4_3ELS4_3ELNS0_20block_scan_algorithmE0ELj4294967295EEENS1_25partition_config_selectorILNS1_17partition_subalgoE3EjNS0_10empty_typeEbEEZZNS1_14partition_implILS8_3ELb0ES6_jNS0_17counting_iteratorIjlEEPS9_SE_NS0_5tupleIJPjSE_EEENSF_IJSE_SE_EEES9_SG_JZNS1_25segmented_radix_sort_implINS0_14default_configELb1EPKhPhPKlPlN2at6native12_GLOBAL__N_18offset_tEEE10hipError_tPvRmT1_PNSt15iterator_traitsISY_E10value_typeET2_T3_PNSZ_IS14_E10value_typeET4_jRbjT5_S1A_jjP12ihipStream_tbEUljE_EEESV_SW_SX_S14_S18_S1A_T6_T7_T9_mT8_S1C_bDpT10_ENKUlT_T0_E_clISt17integral_constantIbLb0EES1O_IbLb1EEEEDaS1K_S1L_EUlS1K_E_NS1_11comp_targetILNS1_3genE8ELNS1_11target_archE1030ELNS1_3gpuE2ELNS1_3repE0EEENS1_30default_config_static_selectorELNS0_4arch9wavefront6targetE1EEEvSY_
    .private_segment_fixed_size: 0
    .sgpr_count:     4
    .sgpr_spill_count: 0
    .symbol:         _ZN7rocprim17ROCPRIM_400000_NS6detail17trampoline_kernelINS0_13select_configILj256ELj13ELNS0_17block_load_methodE3ELS4_3ELS4_3ELNS0_20block_scan_algorithmE0ELj4294967295EEENS1_25partition_config_selectorILNS1_17partition_subalgoE3EjNS0_10empty_typeEbEEZZNS1_14partition_implILS8_3ELb0ES6_jNS0_17counting_iteratorIjlEEPS9_SE_NS0_5tupleIJPjSE_EEENSF_IJSE_SE_EEES9_SG_JZNS1_25segmented_radix_sort_implINS0_14default_configELb1EPKhPhPKlPlN2at6native12_GLOBAL__N_18offset_tEEE10hipError_tPvRmT1_PNSt15iterator_traitsISY_E10value_typeET2_T3_PNSZ_IS14_E10value_typeET4_jRbjT5_S1A_jjP12ihipStream_tbEUljE_EEESV_SW_SX_S14_S18_S1A_T6_T7_T9_mT8_S1C_bDpT10_ENKUlT_T0_E_clISt17integral_constantIbLb0EES1O_IbLb1EEEEDaS1K_S1L_EUlS1K_E_NS1_11comp_targetILNS1_3genE8ELNS1_11target_archE1030ELNS1_3gpuE2ELNS1_3repE0EEENS1_30default_config_static_selectorELNS0_4arch9wavefront6targetE1EEEvSY_.kd
    .uniform_work_group_size: 1
    .uses_dynamic_stack: false
    .vgpr_count:     0
    .vgpr_spill_count: 0
    .wavefront_size: 64
  - .agpr_count:     0
    .args:
      - .offset:         0
        .size:           96
        .value_kind:     by_value
    .group_segment_fixed_size: 0
    .kernarg_segment_align: 8
    .kernarg_segment_size: 96
    .language:       OpenCL C
    .language_version:
      - 2
      - 0
    .max_flat_workgroup_size: 256
    .name:           _ZN7rocprim17ROCPRIM_400000_NS6detail17trampoline_kernelINS0_14default_configENS1_36segmented_radix_sort_config_selectorIhlEEZNS1_25segmented_radix_sort_implIS3_Lb1EPKhPhPKlPlN2at6native12_GLOBAL__N_18offset_tEEE10hipError_tPvRmT1_PNSt15iterator_traitsISK_E10value_typeET2_T3_PNSL_ISQ_E10value_typeET4_jRbjT5_SW_jjP12ihipStream_tbEUlT_E_NS1_11comp_targetILNS1_3genE0ELNS1_11target_archE4294967295ELNS1_3gpuE0ELNS1_3repE0EEENS1_30default_config_static_selectorELNS0_4arch9wavefront6targetE1EEEvSK_
    .private_segment_fixed_size: 0
    .sgpr_count:     4
    .sgpr_spill_count: 0
    .symbol:         _ZN7rocprim17ROCPRIM_400000_NS6detail17trampoline_kernelINS0_14default_configENS1_36segmented_radix_sort_config_selectorIhlEEZNS1_25segmented_radix_sort_implIS3_Lb1EPKhPhPKlPlN2at6native12_GLOBAL__N_18offset_tEEE10hipError_tPvRmT1_PNSt15iterator_traitsISK_E10value_typeET2_T3_PNSL_ISQ_E10value_typeET4_jRbjT5_SW_jjP12ihipStream_tbEUlT_E_NS1_11comp_targetILNS1_3genE0ELNS1_11target_archE4294967295ELNS1_3gpuE0ELNS1_3repE0EEENS1_30default_config_static_selectorELNS0_4arch9wavefront6targetE1EEEvSK_.kd
    .uniform_work_group_size: 1
    .uses_dynamic_stack: false
    .vgpr_count:     0
    .vgpr_spill_count: 0
    .wavefront_size: 64
  - .agpr_count:     0
    .args:
      - .offset:         0
        .size:           96
        .value_kind:     by_value
    .group_segment_fixed_size: 0
    .kernarg_segment_align: 8
    .kernarg_segment_size: 96
    .language:       OpenCL C
    .language_version:
      - 2
      - 0
    .max_flat_workgroup_size: 256
    .name:           _ZN7rocprim17ROCPRIM_400000_NS6detail17trampoline_kernelINS0_14default_configENS1_36segmented_radix_sort_config_selectorIhlEEZNS1_25segmented_radix_sort_implIS3_Lb1EPKhPhPKlPlN2at6native12_GLOBAL__N_18offset_tEEE10hipError_tPvRmT1_PNSt15iterator_traitsISK_E10value_typeET2_T3_PNSL_ISQ_E10value_typeET4_jRbjT5_SW_jjP12ihipStream_tbEUlT_E_NS1_11comp_targetILNS1_3genE5ELNS1_11target_archE942ELNS1_3gpuE9ELNS1_3repE0EEENS1_30default_config_static_selectorELNS0_4arch9wavefront6targetE1EEEvSK_
    .private_segment_fixed_size: 0
    .sgpr_count:     4
    .sgpr_spill_count: 0
    .symbol:         _ZN7rocprim17ROCPRIM_400000_NS6detail17trampoline_kernelINS0_14default_configENS1_36segmented_radix_sort_config_selectorIhlEEZNS1_25segmented_radix_sort_implIS3_Lb1EPKhPhPKlPlN2at6native12_GLOBAL__N_18offset_tEEE10hipError_tPvRmT1_PNSt15iterator_traitsISK_E10value_typeET2_T3_PNSL_ISQ_E10value_typeET4_jRbjT5_SW_jjP12ihipStream_tbEUlT_E_NS1_11comp_targetILNS1_3genE5ELNS1_11target_archE942ELNS1_3gpuE9ELNS1_3repE0EEENS1_30default_config_static_selectorELNS0_4arch9wavefront6targetE1EEEvSK_.kd
    .uniform_work_group_size: 1
    .uses_dynamic_stack: false
    .vgpr_count:     0
    .vgpr_spill_count: 0
    .wavefront_size: 64
  - .agpr_count:     0
    .args:
      - .offset:         0
        .size:           96
        .value_kind:     by_value
      - .offset:         96
        .size:           4
        .value_kind:     hidden_block_count_x
      - .offset:         100
        .size:           4
        .value_kind:     hidden_block_count_y
      - .offset:         104
        .size:           4
        .value_kind:     hidden_block_count_z
      - .offset:         108
        .size:           2
        .value_kind:     hidden_group_size_x
      - .offset:         110
        .size:           2
        .value_kind:     hidden_group_size_y
      - .offset:         112
        .size:           2
        .value_kind:     hidden_group_size_z
      - .offset:         114
        .size:           2
        .value_kind:     hidden_remainder_x
      - .offset:         116
        .size:           2
        .value_kind:     hidden_remainder_y
      - .offset:         118
        .size:           2
        .value_kind:     hidden_remainder_z
      - .offset:         136
        .size:           8
        .value_kind:     hidden_global_offset_x
      - .offset:         144
        .size:           8
        .value_kind:     hidden_global_offset_y
      - .offset:         152
        .size:           8
        .value_kind:     hidden_global_offset_z
      - .offset:         160
        .size:           2
        .value_kind:     hidden_grid_dims
      - .offset:         176
        .size:           8
        .value_kind:     hidden_hostcall_buffer
      - .offset:         184
        .size:           8
        .value_kind:     hidden_multigrid_sync_arg
      - .offset:         192
        .size:           8
        .value_kind:     hidden_heap_v1
      - .offset:         200
        .size:           8
        .value_kind:     hidden_default_queue
      - .offset:         208
        .size:           8
        .value_kind:     hidden_completion_action
      - .offset:         296
        .size:           8
        .value_kind:     hidden_queue_ptr
    .group_segment_fixed_size: 17424
    .kernarg_segment_align: 8
    .kernarg_segment_size: 352
    .language:       OpenCL C
    .language_version:
      - 2
      - 0
    .max_flat_workgroup_size: 256
    .name:           _ZN7rocprim17ROCPRIM_400000_NS6detail17trampoline_kernelINS0_14default_configENS1_36segmented_radix_sort_config_selectorIhlEEZNS1_25segmented_radix_sort_implIS3_Lb1EPKhPhPKlPlN2at6native12_GLOBAL__N_18offset_tEEE10hipError_tPvRmT1_PNSt15iterator_traitsISK_E10value_typeET2_T3_PNSL_ISQ_E10value_typeET4_jRbjT5_SW_jjP12ihipStream_tbEUlT_E_NS1_11comp_targetILNS1_3genE4ELNS1_11target_archE910ELNS1_3gpuE8ELNS1_3repE0EEENS1_30default_config_static_selectorELNS0_4arch9wavefront6targetE1EEEvSK_
    .private_segment_fixed_size: 8
    .sgpr_count:     93
    .sgpr_spill_count: 0
    .symbol:         _ZN7rocprim17ROCPRIM_400000_NS6detail17trampoline_kernelINS0_14default_configENS1_36segmented_radix_sort_config_selectorIhlEEZNS1_25segmented_radix_sort_implIS3_Lb1EPKhPhPKlPlN2at6native12_GLOBAL__N_18offset_tEEE10hipError_tPvRmT1_PNSt15iterator_traitsISK_E10value_typeET2_T3_PNSL_ISQ_E10value_typeET4_jRbjT5_SW_jjP12ihipStream_tbEUlT_E_NS1_11comp_targetILNS1_3genE4ELNS1_11target_archE910ELNS1_3gpuE8ELNS1_3repE0EEENS1_30default_config_static_selectorELNS0_4arch9wavefront6targetE1EEEvSK_.kd
    .uniform_work_group_size: 1
    .uses_dynamic_stack: false
    .vgpr_count:     168
    .vgpr_spill_count: 0
    .wavefront_size: 64
  - .agpr_count:     0
    .args:
      - .offset:         0
        .size:           96
        .value_kind:     by_value
    .group_segment_fixed_size: 0
    .kernarg_segment_align: 8
    .kernarg_segment_size: 96
    .language:       OpenCL C
    .language_version:
      - 2
      - 0
    .max_flat_workgroup_size: 256
    .name:           _ZN7rocprim17ROCPRIM_400000_NS6detail17trampoline_kernelINS0_14default_configENS1_36segmented_radix_sort_config_selectorIhlEEZNS1_25segmented_radix_sort_implIS3_Lb1EPKhPhPKlPlN2at6native12_GLOBAL__N_18offset_tEEE10hipError_tPvRmT1_PNSt15iterator_traitsISK_E10value_typeET2_T3_PNSL_ISQ_E10value_typeET4_jRbjT5_SW_jjP12ihipStream_tbEUlT_E_NS1_11comp_targetILNS1_3genE3ELNS1_11target_archE908ELNS1_3gpuE7ELNS1_3repE0EEENS1_30default_config_static_selectorELNS0_4arch9wavefront6targetE1EEEvSK_
    .private_segment_fixed_size: 0
    .sgpr_count:     4
    .sgpr_spill_count: 0
    .symbol:         _ZN7rocprim17ROCPRIM_400000_NS6detail17trampoline_kernelINS0_14default_configENS1_36segmented_radix_sort_config_selectorIhlEEZNS1_25segmented_radix_sort_implIS3_Lb1EPKhPhPKlPlN2at6native12_GLOBAL__N_18offset_tEEE10hipError_tPvRmT1_PNSt15iterator_traitsISK_E10value_typeET2_T3_PNSL_ISQ_E10value_typeET4_jRbjT5_SW_jjP12ihipStream_tbEUlT_E_NS1_11comp_targetILNS1_3genE3ELNS1_11target_archE908ELNS1_3gpuE7ELNS1_3repE0EEENS1_30default_config_static_selectorELNS0_4arch9wavefront6targetE1EEEvSK_.kd
    .uniform_work_group_size: 1
    .uses_dynamic_stack: false
    .vgpr_count:     0
    .vgpr_spill_count: 0
    .wavefront_size: 64
  - .agpr_count:     0
    .args:
      - .offset:         0
        .size:           96
        .value_kind:     by_value
    .group_segment_fixed_size: 0
    .kernarg_segment_align: 8
    .kernarg_segment_size: 96
    .language:       OpenCL C
    .language_version:
      - 2
      - 0
    .max_flat_workgroup_size: 256
    .name:           _ZN7rocprim17ROCPRIM_400000_NS6detail17trampoline_kernelINS0_14default_configENS1_36segmented_radix_sort_config_selectorIhlEEZNS1_25segmented_radix_sort_implIS3_Lb1EPKhPhPKlPlN2at6native12_GLOBAL__N_18offset_tEEE10hipError_tPvRmT1_PNSt15iterator_traitsISK_E10value_typeET2_T3_PNSL_ISQ_E10value_typeET4_jRbjT5_SW_jjP12ihipStream_tbEUlT_E_NS1_11comp_targetILNS1_3genE2ELNS1_11target_archE906ELNS1_3gpuE6ELNS1_3repE0EEENS1_30default_config_static_selectorELNS0_4arch9wavefront6targetE1EEEvSK_
    .private_segment_fixed_size: 0
    .sgpr_count:     4
    .sgpr_spill_count: 0
    .symbol:         _ZN7rocprim17ROCPRIM_400000_NS6detail17trampoline_kernelINS0_14default_configENS1_36segmented_radix_sort_config_selectorIhlEEZNS1_25segmented_radix_sort_implIS3_Lb1EPKhPhPKlPlN2at6native12_GLOBAL__N_18offset_tEEE10hipError_tPvRmT1_PNSt15iterator_traitsISK_E10value_typeET2_T3_PNSL_ISQ_E10value_typeET4_jRbjT5_SW_jjP12ihipStream_tbEUlT_E_NS1_11comp_targetILNS1_3genE2ELNS1_11target_archE906ELNS1_3gpuE6ELNS1_3repE0EEENS1_30default_config_static_selectorELNS0_4arch9wavefront6targetE1EEEvSK_.kd
    .uniform_work_group_size: 1
    .uses_dynamic_stack: false
    .vgpr_count:     0
    .vgpr_spill_count: 0
    .wavefront_size: 64
  - .agpr_count:     0
    .args:
      - .offset:         0
        .size:           96
        .value_kind:     by_value
    .group_segment_fixed_size: 0
    .kernarg_segment_align: 8
    .kernarg_segment_size: 96
    .language:       OpenCL C
    .language_version:
      - 2
      - 0
    .max_flat_workgroup_size: 256
    .name:           _ZN7rocprim17ROCPRIM_400000_NS6detail17trampoline_kernelINS0_14default_configENS1_36segmented_radix_sort_config_selectorIhlEEZNS1_25segmented_radix_sort_implIS3_Lb1EPKhPhPKlPlN2at6native12_GLOBAL__N_18offset_tEEE10hipError_tPvRmT1_PNSt15iterator_traitsISK_E10value_typeET2_T3_PNSL_ISQ_E10value_typeET4_jRbjT5_SW_jjP12ihipStream_tbEUlT_E_NS1_11comp_targetILNS1_3genE10ELNS1_11target_archE1201ELNS1_3gpuE5ELNS1_3repE0EEENS1_30default_config_static_selectorELNS0_4arch9wavefront6targetE1EEEvSK_
    .private_segment_fixed_size: 0
    .sgpr_count:     4
    .sgpr_spill_count: 0
    .symbol:         _ZN7rocprim17ROCPRIM_400000_NS6detail17trampoline_kernelINS0_14default_configENS1_36segmented_radix_sort_config_selectorIhlEEZNS1_25segmented_radix_sort_implIS3_Lb1EPKhPhPKlPlN2at6native12_GLOBAL__N_18offset_tEEE10hipError_tPvRmT1_PNSt15iterator_traitsISK_E10value_typeET2_T3_PNSL_ISQ_E10value_typeET4_jRbjT5_SW_jjP12ihipStream_tbEUlT_E_NS1_11comp_targetILNS1_3genE10ELNS1_11target_archE1201ELNS1_3gpuE5ELNS1_3repE0EEENS1_30default_config_static_selectorELNS0_4arch9wavefront6targetE1EEEvSK_.kd
    .uniform_work_group_size: 1
    .uses_dynamic_stack: false
    .vgpr_count:     0
    .vgpr_spill_count: 0
    .wavefront_size: 64
  - .agpr_count:     0
    .args:
      - .offset:         0
        .size:           96
        .value_kind:     by_value
    .group_segment_fixed_size: 0
    .kernarg_segment_align: 8
    .kernarg_segment_size: 96
    .language:       OpenCL C
    .language_version:
      - 2
      - 0
    .max_flat_workgroup_size: 128
    .name:           _ZN7rocprim17ROCPRIM_400000_NS6detail17trampoline_kernelINS0_14default_configENS1_36segmented_radix_sort_config_selectorIhlEEZNS1_25segmented_radix_sort_implIS3_Lb1EPKhPhPKlPlN2at6native12_GLOBAL__N_18offset_tEEE10hipError_tPvRmT1_PNSt15iterator_traitsISK_E10value_typeET2_T3_PNSL_ISQ_E10value_typeET4_jRbjT5_SW_jjP12ihipStream_tbEUlT_E_NS1_11comp_targetILNS1_3genE10ELNS1_11target_archE1200ELNS1_3gpuE4ELNS1_3repE0EEENS1_30default_config_static_selectorELNS0_4arch9wavefront6targetE1EEEvSK_
    .private_segment_fixed_size: 0
    .sgpr_count:     4
    .sgpr_spill_count: 0
    .symbol:         _ZN7rocprim17ROCPRIM_400000_NS6detail17trampoline_kernelINS0_14default_configENS1_36segmented_radix_sort_config_selectorIhlEEZNS1_25segmented_radix_sort_implIS3_Lb1EPKhPhPKlPlN2at6native12_GLOBAL__N_18offset_tEEE10hipError_tPvRmT1_PNSt15iterator_traitsISK_E10value_typeET2_T3_PNSL_ISQ_E10value_typeET4_jRbjT5_SW_jjP12ihipStream_tbEUlT_E_NS1_11comp_targetILNS1_3genE10ELNS1_11target_archE1200ELNS1_3gpuE4ELNS1_3repE0EEENS1_30default_config_static_selectorELNS0_4arch9wavefront6targetE1EEEvSK_.kd
    .uniform_work_group_size: 1
    .uses_dynamic_stack: false
    .vgpr_count:     0
    .vgpr_spill_count: 0
    .wavefront_size: 64
  - .agpr_count:     0
    .args:
      - .offset:         0
        .size:           96
        .value_kind:     by_value
    .group_segment_fixed_size: 0
    .kernarg_segment_align: 8
    .kernarg_segment_size: 96
    .language:       OpenCL C
    .language_version:
      - 2
      - 0
    .max_flat_workgroup_size: 256
    .name:           _ZN7rocprim17ROCPRIM_400000_NS6detail17trampoline_kernelINS0_14default_configENS1_36segmented_radix_sort_config_selectorIhlEEZNS1_25segmented_radix_sort_implIS3_Lb1EPKhPhPKlPlN2at6native12_GLOBAL__N_18offset_tEEE10hipError_tPvRmT1_PNSt15iterator_traitsISK_E10value_typeET2_T3_PNSL_ISQ_E10value_typeET4_jRbjT5_SW_jjP12ihipStream_tbEUlT_E_NS1_11comp_targetILNS1_3genE9ELNS1_11target_archE1100ELNS1_3gpuE3ELNS1_3repE0EEENS1_30default_config_static_selectorELNS0_4arch9wavefront6targetE1EEEvSK_
    .private_segment_fixed_size: 0
    .sgpr_count:     4
    .sgpr_spill_count: 0
    .symbol:         _ZN7rocprim17ROCPRIM_400000_NS6detail17trampoline_kernelINS0_14default_configENS1_36segmented_radix_sort_config_selectorIhlEEZNS1_25segmented_radix_sort_implIS3_Lb1EPKhPhPKlPlN2at6native12_GLOBAL__N_18offset_tEEE10hipError_tPvRmT1_PNSt15iterator_traitsISK_E10value_typeET2_T3_PNSL_ISQ_E10value_typeET4_jRbjT5_SW_jjP12ihipStream_tbEUlT_E_NS1_11comp_targetILNS1_3genE9ELNS1_11target_archE1100ELNS1_3gpuE3ELNS1_3repE0EEENS1_30default_config_static_selectorELNS0_4arch9wavefront6targetE1EEEvSK_.kd
    .uniform_work_group_size: 1
    .uses_dynamic_stack: false
    .vgpr_count:     0
    .vgpr_spill_count: 0
    .wavefront_size: 64
  - .agpr_count:     0
    .args:
      - .offset:         0
        .size:           96
        .value_kind:     by_value
    .group_segment_fixed_size: 0
    .kernarg_segment_align: 8
    .kernarg_segment_size: 96
    .language:       OpenCL C
    .language_version:
      - 2
      - 0
    .max_flat_workgroup_size: 256
    .name:           _ZN7rocprim17ROCPRIM_400000_NS6detail17trampoline_kernelINS0_14default_configENS1_36segmented_radix_sort_config_selectorIhlEEZNS1_25segmented_radix_sort_implIS3_Lb1EPKhPhPKlPlN2at6native12_GLOBAL__N_18offset_tEEE10hipError_tPvRmT1_PNSt15iterator_traitsISK_E10value_typeET2_T3_PNSL_ISQ_E10value_typeET4_jRbjT5_SW_jjP12ihipStream_tbEUlT_E_NS1_11comp_targetILNS1_3genE8ELNS1_11target_archE1030ELNS1_3gpuE2ELNS1_3repE0EEENS1_30default_config_static_selectorELNS0_4arch9wavefront6targetE1EEEvSK_
    .private_segment_fixed_size: 0
    .sgpr_count:     4
    .sgpr_spill_count: 0
    .symbol:         _ZN7rocprim17ROCPRIM_400000_NS6detail17trampoline_kernelINS0_14default_configENS1_36segmented_radix_sort_config_selectorIhlEEZNS1_25segmented_radix_sort_implIS3_Lb1EPKhPhPKlPlN2at6native12_GLOBAL__N_18offset_tEEE10hipError_tPvRmT1_PNSt15iterator_traitsISK_E10value_typeET2_T3_PNSL_ISQ_E10value_typeET4_jRbjT5_SW_jjP12ihipStream_tbEUlT_E_NS1_11comp_targetILNS1_3genE8ELNS1_11target_archE1030ELNS1_3gpuE2ELNS1_3repE0EEENS1_30default_config_static_selectorELNS0_4arch9wavefront6targetE1EEEvSK_.kd
    .uniform_work_group_size: 1
    .uses_dynamic_stack: false
    .vgpr_count:     0
    .vgpr_spill_count: 0
    .wavefront_size: 64
  - .agpr_count:     0
    .args:
      - .offset:         0
        .size:           88
        .value_kind:     by_value
    .group_segment_fixed_size: 0
    .kernarg_segment_align: 8
    .kernarg_segment_size: 88
    .language:       OpenCL C
    .language_version:
      - 2
      - 0
    .max_flat_workgroup_size: 256
    .name:           _ZN7rocprim17ROCPRIM_400000_NS6detail17trampoline_kernelINS0_14default_configENS1_36segmented_radix_sort_config_selectorIhlEEZNS1_25segmented_radix_sort_implIS3_Lb1EPKhPhPKlPlN2at6native12_GLOBAL__N_18offset_tEEE10hipError_tPvRmT1_PNSt15iterator_traitsISK_E10value_typeET2_T3_PNSL_ISQ_E10value_typeET4_jRbjT5_SW_jjP12ihipStream_tbEUlT_E0_NS1_11comp_targetILNS1_3genE0ELNS1_11target_archE4294967295ELNS1_3gpuE0ELNS1_3repE0EEENS1_60segmented_radix_sort_warp_sort_medium_config_static_selectorELNS0_4arch9wavefront6targetE1EEEvSK_
    .private_segment_fixed_size: 0
    .sgpr_count:     4
    .sgpr_spill_count: 0
    .symbol:         _ZN7rocprim17ROCPRIM_400000_NS6detail17trampoline_kernelINS0_14default_configENS1_36segmented_radix_sort_config_selectorIhlEEZNS1_25segmented_radix_sort_implIS3_Lb1EPKhPhPKlPlN2at6native12_GLOBAL__N_18offset_tEEE10hipError_tPvRmT1_PNSt15iterator_traitsISK_E10value_typeET2_T3_PNSL_ISQ_E10value_typeET4_jRbjT5_SW_jjP12ihipStream_tbEUlT_E0_NS1_11comp_targetILNS1_3genE0ELNS1_11target_archE4294967295ELNS1_3gpuE0ELNS1_3repE0EEENS1_60segmented_radix_sort_warp_sort_medium_config_static_selectorELNS0_4arch9wavefront6targetE1EEEvSK_.kd
    .uniform_work_group_size: 1
    .uses_dynamic_stack: false
    .vgpr_count:     0
    .vgpr_spill_count: 0
    .wavefront_size: 64
  - .agpr_count:     0
    .args:
      - .offset:         0
        .size:           88
        .value_kind:     by_value
    .group_segment_fixed_size: 0
    .kernarg_segment_align: 8
    .kernarg_segment_size: 88
    .language:       OpenCL C
    .language_version:
      - 2
      - 0
    .max_flat_workgroup_size: 256
    .name:           _ZN7rocprim17ROCPRIM_400000_NS6detail17trampoline_kernelINS0_14default_configENS1_36segmented_radix_sort_config_selectorIhlEEZNS1_25segmented_radix_sort_implIS3_Lb1EPKhPhPKlPlN2at6native12_GLOBAL__N_18offset_tEEE10hipError_tPvRmT1_PNSt15iterator_traitsISK_E10value_typeET2_T3_PNSL_ISQ_E10value_typeET4_jRbjT5_SW_jjP12ihipStream_tbEUlT_E0_NS1_11comp_targetILNS1_3genE5ELNS1_11target_archE942ELNS1_3gpuE9ELNS1_3repE0EEENS1_60segmented_radix_sort_warp_sort_medium_config_static_selectorELNS0_4arch9wavefront6targetE1EEEvSK_
    .private_segment_fixed_size: 0
    .sgpr_count:     4
    .sgpr_spill_count: 0
    .symbol:         _ZN7rocprim17ROCPRIM_400000_NS6detail17trampoline_kernelINS0_14default_configENS1_36segmented_radix_sort_config_selectorIhlEEZNS1_25segmented_radix_sort_implIS3_Lb1EPKhPhPKlPlN2at6native12_GLOBAL__N_18offset_tEEE10hipError_tPvRmT1_PNSt15iterator_traitsISK_E10value_typeET2_T3_PNSL_ISQ_E10value_typeET4_jRbjT5_SW_jjP12ihipStream_tbEUlT_E0_NS1_11comp_targetILNS1_3genE5ELNS1_11target_archE942ELNS1_3gpuE9ELNS1_3repE0EEENS1_60segmented_radix_sort_warp_sort_medium_config_static_selectorELNS0_4arch9wavefront6targetE1EEEvSK_.kd
    .uniform_work_group_size: 1
    .uses_dynamic_stack: false
    .vgpr_count:     0
    .vgpr_spill_count: 0
    .wavefront_size: 64
  - .agpr_count:     0
    .args:
      - .offset:         0
        .size:           88
        .value_kind:     by_value
      - .offset:         88
        .size:           4
        .value_kind:     hidden_block_count_x
      - .offset:         92
        .size:           4
        .value_kind:     hidden_block_count_y
      - .offset:         96
        .size:           4
        .value_kind:     hidden_block_count_z
      - .offset:         100
        .size:           2
        .value_kind:     hidden_group_size_x
      - .offset:         102
        .size:           2
        .value_kind:     hidden_group_size_y
      - .offset:         104
        .size:           2
        .value_kind:     hidden_group_size_z
      - .offset:         106
        .size:           2
        .value_kind:     hidden_remainder_x
      - .offset:         108
        .size:           2
        .value_kind:     hidden_remainder_y
      - .offset:         110
        .size:           2
        .value_kind:     hidden_remainder_z
      - .offset:         128
        .size:           8
        .value_kind:     hidden_global_offset_x
      - .offset:         136
        .size:           8
        .value_kind:     hidden_global_offset_y
      - .offset:         144
        .size:           8
        .value_kind:     hidden_global_offset_z
      - .offset:         152
        .size:           2
        .value_kind:     hidden_grid_dims
      - .offset:         168
        .size:           8
        .value_kind:     hidden_hostcall_buffer
      - .offset:         176
        .size:           8
        .value_kind:     hidden_multigrid_sync_arg
      - .offset:         184
        .size:           8
        .value_kind:     hidden_heap_v1
      - .offset:         192
        .size:           8
        .value_kind:     hidden_default_queue
      - .offset:         200
        .size:           8
        .value_kind:     hidden_completion_action
      - .offset:         288
        .size:           8
        .value_kind:     hidden_queue_ptr
    .group_segment_fixed_size: 18432
    .kernarg_segment_align: 8
    .kernarg_segment_size: 344
    .language:       OpenCL C
    .language_version:
      - 2
      - 0
    .max_flat_workgroup_size: 256
    .name:           _ZN7rocprim17ROCPRIM_400000_NS6detail17trampoline_kernelINS0_14default_configENS1_36segmented_radix_sort_config_selectorIhlEEZNS1_25segmented_radix_sort_implIS3_Lb1EPKhPhPKlPlN2at6native12_GLOBAL__N_18offset_tEEE10hipError_tPvRmT1_PNSt15iterator_traitsISK_E10value_typeET2_T3_PNSL_ISQ_E10value_typeET4_jRbjT5_SW_jjP12ihipStream_tbEUlT_E0_NS1_11comp_targetILNS1_3genE4ELNS1_11target_archE910ELNS1_3gpuE8ELNS1_3repE0EEENS1_60segmented_radix_sort_warp_sort_medium_config_static_selectorELNS0_4arch9wavefront6targetE1EEEvSK_
    .private_segment_fixed_size: 8
    .sgpr_count:     66
    .sgpr_spill_count: 0
    .symbol:         _ZN7rocprim17ROCPRIM_400000_NS6detail17trampoline_kernelINS0_14default_configENS1_36segmented_radix_sort_config_selectorIhlEEZNS1_25segmented_radix_sort_implIS3_Lb1EPKhPhPKlPlN2at6native12_GLOBAL__N_18offset_tEEE10hipError_tPvRmT1_PNSt15iterator_traitsISK_E10value_typeET2_T3_PNSL_ISQ_E10value_typeET4_jRbjT5_SW_jjP12ihipStream_tbEUlT_E0_NS1_11comp_targetILNS1_3genE4ELNS1_11target_archE910ELNS1_3gpuE8ELNS1_3repE0EEENS1_60segmented_radix_sort_warp_sort_medium_config_static_selectorELNS0_4arch9wavefront6targetE1EEEvSK_.kd
    .uniform_work_group_size: 1
    .uses_dynamic_stack: false
    .vgpr_count:     71
    .vgpr_spill_count: 0
    .wavefront_size: 64
  - .agpr_count:     0
    .args:
      - .offset:         0
        .size:           88
        .value_kind:     by_value
    .group_segment_fixed_size: 0
    .kernarg_segment_align: 8
    .kernarg_segment_size: 88
    .language:       OpenCL C
    .language_version:
      - 2
      - 0
    .max_flat_workgroup_size: 256
    .name:           _ZN7rocprim17ROCPRIM_400000_NS6detail17trampoline_kernelINS0_14default_configENS1_36segmented_radix_sort_config_selectorIhlEEZNS1_25segmented_radix_sort_implIS3_Lb1EPKhPhPKlPlN2at6native12_GLOBAL__N_18offset_tEEE10hipError_tPvRmT1_PNSt15iterator_traitsISK_E10value_typeET2_T3_PNSL_ISQ_E10value_typeET4_jRbjT5_SW_jjP12ihipStream_tbEUlT_E0_NS1_11comp_targetILNS1_3genE3ELNS1_11target_archE908ELNS1_3gpuE7ELNS1_3repE0EEENS1_60segmented_radix_sort_warp_sort_medium_config_static_selectorELNS0_4arch9wavefront6targetE1EEEvSK_
    .private_segment_fixed_size: 0
    .sgpr_count:     4
    .sgpr_spill_count: 0
    .symbol:         _ZN7rocprim17ROCPRIM_400000_NS6detail17trampoline_kernelINS0_14default_configENS1_36segmented_radix_sort_config_selectorIhlEEZNS1_25segmented_radix_sort_implIS3_Lb1EPKhPhPKlPlN2at6native12_GLOBAL__N_18offset_tEEE10hipError_tPvRmT1_PNSt15iterator_traitsISK_E10value_typeET2_T3_PNSL_ISQ_E10value_typeET4_jRbjT5_SW_jjP12ihipStream_tbEUlT_E0_NS1_11comp_targetILNS1_3genE3ELNS1_11target_archE908ELNS1_3gpuE7ELNS1_3repE0EEENS1_60segmented_radix_sort_warp_sort_medium_config_static_selectorELNS0_4arch9wavefront6targetE1EEEvSK_.kd
    .uniform_work_group_size: 1
    .uses_dynamic_stack: false
    .vgpr_count:     0
    .vgpr_spill_count: 0
    .wavefront_size: 64
  - .agpr_count:     0
    .args:
      - .offset:         0
        .size:           88
        .value_kind:     by_value
    .group_segment_fixed_size: 0
    .kernarg_segment_align: 8
    .kernarg_segment_size: 88
    .language:       OpenCL C
    .language_version:
      - 2
      - 0
    .max_flat_workgroup_size: 256
    .name:           _ZN7rocprim17ROCPRIM_400000_NS6detail17trampoline_kernelINS0_14default_configENS1_36segmented_radix_sort_config_selectorIhlEEZNS1_25segmented_radix_sort_implIS3_Lb1EPKhPhPKlPlN2at6native12_GLOBAL__N_18offset_tEEE10hipError_tPvRmT1_PNSt15iterator_traitsISK_E10value_typeET2_T3_PNSL_ISQ_E10value_typeET4_jRbjT5_SW_jjP12ihipStream_tbEUlT_E0_NS1_11comp_targetILNS1_3genE2ELNS1_11target_archE906ELNS1_3gpuE6ELNS1_3repE0EEENS1_60segmented_radix_sort_warp_sort_medium_config_static_selectorELNS0_4arch9wavefront6targetE1EEEvSK_
    .private_segment_fixed_size: 0
    .sgpr_count:     4
    .sgpr_spill_count: 0
    .symbol:         _ZN7rocprim17ROCPRIM_400000_NS6detail17trampoline_kernelINS0_14default_configENS1_36segmented_radix_sort_config_selectorIhlEEZNS1_25segmented_radix_sort_implIS3_Lb1EPKhPhPKlPlN2at6native12_GLOBAL__N_18offset_tEEE10hipError_tPvRmT1_PNSt15iterator_traitsISK_E10value_typeET2_T3_PNSL_ISQ_E10value_typeET4_jRbjT5_SW_jjP12ihipStream_tbEUlT_E0_NS1_11comp_targetILNS1_3genE2ELNS1_11target_archE906ELNS1_3gpuE6ELNS1_3repE0EEENS1_60segmented_radix_sort_warp_sort_medium_config_static_selectorELNS0_4arch9wavefront6targetE1EEEvSK_.kd
    .uniform_work_group_size: 1
    .uses_dynamic_stack: false
    .vgpr_count:     0
    .vgpr_spill_count: 0
    .wavefront_size: 64
  - .agpr_count:     0
    .args:
      - .offset:         0
        .size:           88
        .value_kind:     by_value
    .group_segment_fixed_size: 0
    .kernarg_segment_align: 8
    .kernarg_segment_size: 88
    .language:       OpenCL C
    .language_version:
      - 2
      - 0
    .max_flat_workgroup_size: 256
    .name:           _ZN7rocprim17ROCPRIM_400000_NS6detail17trampoline_kernelINS0_14default_configENS1_36segmented_radix_sort_config_selectorIhlEEZNS1_25segmented_radix_sort_implIS3_Lb1EPKhPhPKlPlN2at6native12_GLOBAL__N_18offset_tEEE10hipError_tPvRmT1_PNSt15iterator_traitsISK_E10value_typeET2_T3_PNSL_ISQ_E10value_typeET4_jRbjT5_SW_jjP12ihipStream_tbEUlT_E0_NS1_11comp_targetILNS1_3genE10ELNS1_11target_archE1201ELNS1_3gpuE5ELNS1_3repE0EEENS1_60segmented_radix_sort_warp_sort_medium_config_static_selectorELNS0_4arch9wavefront6targetE1EEEvSK_
    .private_segment_fixed_size: 0
    .sgpr_count:     4
    .sgpr_spill_count: 0
    .symbol:         _ZN7rocprim17ROCPRIM_400000_NS6detail17trampoline_kernelINS0_14default_configENS1_36segmented_radix_sort_config_selectorIhlEEZNS1_25segmented_radix_sort_implIS3_Lb1EPKhPhPKlPlN2at6native12_GLOBAL__N_18offset_tEEE10hipError_tPvRmT1_PNSt15iterator_traitsISK_E10value_typeET2_T3_PNSL_ISQ_E10value_typeET4_jRbjT5_SW_jjP12ihipStream_tbEUlT_E0_NS1_11comp_targetILNS1_3genE10ELNS1_11target_archE1201ELNS1_3gpuE5ELNS1_3repE0EEENS1_60segmented_radix_sort_warp_sort_medium_config_static_selectorELNS0_4arch9wavefront6targetE1EEEvSK_.kd
    .uniform_work_group_size: 1
    .uses_dynamic_stack: false
    .vgpr_count:     0
    .vgpr_spill_count: 0
    .wavefront_size: 64
  - .agpr_count:     0
    .args:
      - .offset:         0
        .size:           88
        .value_kind:     by_value
    .group_segment_fixed_size: 0
    .kernarg_segment_align: 8
    .kernarg_segment_size: 88
    .language:       OpenCL C
    .language_version:
      - 2
      - 0
    .max_flat_workgroup_size: 256
    .name:           _ZN7rocprim17ROCPRIM_400000_NS6detail17trampoline_kernelINS0_14default_configENS1_36segmented_radix_sort_config_selectorIhlEEZNS1_25segmented_radix_sort_implIS3_Lb1EPKhPhPKlPlN2at6native12_GLOBAL__N_18offset_tEEE10hipError_tPvRmT1_PNSt15iterator_traitsISK_E10value_typeET2_T3_PNSL_ISQ_E10value_typeET4_jRbjT5_SW_jjP12ihipStream_tbEUlT_E0_NS1_11comp_targetILNS1_3genE10ELNS1_11target_archE1200ELNS1_3gpuE4ELNS1_3repE0EEENS1_60segmented_radix_sort_warp_sort_medium_config_static_selectorELNS0_4arch9wavefront6targetE1EEEvSK_
    .private_segment_fixed_size: 0
    .sgpr_count:     4
    .sgpr_spill_count: 0
    .symbol:         _ZN7rocprim17ROCPRIM_400000_NS6detail17trampoline_kernelINS0_14default_configENS1_36segmented_radix_sort_config_selectorIhlEEZNS1_25segmented_radix_sort_implIS3_Lb1EPKhPhPKlPlN2at6native12_GLOBAL__N_18offset_tEEE10hipError_tPvRmT1_PNSt15iterator_traitsISK_E10value_typeET2_T3_PNSL_ISQ_E10value_typeET4_jRbjT5_SW_jjP12ihipStream_tbEUlT_E0_NS1_11comp_targetILNS1_3genE10ELNS1_11target_archE1200ELNS1_3gpuE4ELNS1_3repE0EEENS1_60segmented_radix_sort_warp_sort_medium_config_static_selectorELNS0_4arch9wavefront6targetE1EEEvSK_.kd
    .uniform_work_group_size: 1
    .uses_dynamic_stack: false
    .vgpr_count:     0
    .vgpr_spill_count: 0
    .wavefront_size: 64
  - .agpr_count:     0
    .args:
      - .offset:         0
        .size:           88
        .value_kind:     by_value
    .group_segment_fixed_size: 0
    .kernarg_segment_align: 8
    .kernarg_segment_size: 88
    .language:       OpenCL C
    .language_version:
      - 2
      - 0
    .max_flat_workgroup_size: 256
    .name:           _ZN7rocprim17ROCPRIM_400000_NS6detail17trampoline_kernelINS0_14default_configENS1_36segmented_radix_sort_config_selectorIhlEEZNS1_25segmented_radix_sort_implIS3_Lb1EPKhPhPKlPlN2at6native12_GLOBAL__N_18offset_tEEE10hipError_tPvRmT1_PNSt15iterator_traitsISK_E10value_typeET2_T3_PNSL_ISQ_E10value_typeET4_jRbjT5_SW_jjP12ihipStream_tbEUlT_E0_NS1_11comp_targetILNS1_3genE9ELNS1_11target_archE1100ELNS1_3gpuE3ELNS1_3repE0EEENS1_60segmented_radix_sort_warp_sort_medium_config_static_selectorELNS0_4arch9wavefront6targetE1EEEvSK_
    .private_segment_fixed_size: 0
    .sgpr_count:     4
    .sgpr_spill_count: 0
    .symbol:         _ZN7rocprim17ROCPRIM_400000_NS6detail17trampoline_kernelINS0_14default_configENS1_36segmented_radix_sort_config_selectorIhlEEZNS1_25segmented_radix_sort_implIS3_Lb1EPKhPhPKlPlN2at6native12_GLOBAL__N_18offset_tEEE10hipError_tPvRmT1_PNSt15iterator_traitsISK_E10value_typeET2_T3_PNSL_ISQ_E10value_typeET4_jRbjT5_SW_jjP12ihipStream_tbEUlT_E0_NS1_11comp_targetILNS1_3genE9ELNS1_11target_archE1100ELNS1_3gpuE3ELNS1_3repE0EEENS1_60segmented_radix_sort_warp_sort_medium_config_static_selectorELNS0_4arch9wavefront6targetE1EEEvSK_.kd
    .uniform_work_group_size: 1
    .uses_dynamic_stack: false
    .vgpr_count:     0
    .vgpr_spill_count: 0
    .wavefront_size: 64
  - .agpr_count:     0
    .args:
      - .offset:         0
        .size:           88
        .value_kind:     by_value
    .group_segment_fixed_size: 0
    .kernarg_segment_align: 8
    .kernarg_segment_size: 88
    .language:       OpenCL C
    .language_version:
      - 2
      - 0
    .max_flat_workgroup_size: 256
    .name:           _ZN7rocprim17ROCPRIM_400000_NS6detail17trampoline_kernelINS0_14default_configENS1_36segmented_radix_sort_config_selectorIhlEEZNS1_25segmented_radix_sort_implIS3_Lb1EPKhPhPKlPlN2at6native12_GLOBAL__N_18offset_tEEE10hipError_tPvRmT1_PNSt15iterator_traitsISK_E10value_typeET2_T3_PNSL_ISQ_E10value_typeET4_jRbjT5_SW_jjP12ihipStream_tbEUlT_E0_NS1_11comp_targetILNS1_3genE8ELNS1_11target_archE1030ELNS1_3gpuE2ELNS1_3repE0EEENS1_60segmented_radix_sort_warp_sort_medium_config_static_selectorELNS0_4arch9wavefront6targetE1EEEvSK_
    .private_segment_fixed_size: 0
    .sgpr_count:     4
    .sgpr_spill_count: 0
    .symbol:         _ZN7rocprim17ROCPRIM_400000_NS6detail17trampoline_kernelINS0_14default_configENS1_36segmented_radix_sort_config_selectorIhlEEZNS1_25segmented_radix_sort_implIS3_Lb1EPKhPhPKlPlN2at6native12_GLOBAL__N_18offset_tEEE10hipError_tPvRmT1_PNSt15iterator_traitsISK_E10value_typeET2_T3_PNSL_ISQ_E10value_typeET4_jRbjT5_SW_jjP12ihipStream_tbEUlT_E0_NS1_11comp_targetILNS1_3genE8ELNS1_11target_archE1030ELNS1_3gpuE2ELNS1_3repE0EEENS1_60segmented_radix_sort_warp_sort_medium_config_static_selectorELNS0_4arch9wavefront6targetE1EEEvSK_.kd
    .uniform_work_group_size: 1
    .uses_dynamic_stack: false
    .vgpr_count:     0
    .vgpr_spill_count: 0
    .wavefront_size: 64
  - .agpr_count:     0
    .args:
      - .offset:         0
        .size:           88
        .value_kind:     by_value
    .group_segment_fixed_size: 0
    .kernarg_segment_align: 8
    .kernarg_segment_size: 88
    .language:       OpenCL C
    .language_version:
      - 2
      - 0
    .max_flat_workgroup_size: 256
    .name:           _ZN7rocprim17ROCPRIM_400000_NS6detail17trampoline_kernelINS0_14default_configENS1_36segmented_radix_sort_config_selectorIhlEEZNS1_25segmented_radix_sort_implIS3_Lb1EPKhPhPKlPlN2at6native12_GLOBAL__N_18offset_tEEE10hipError_tPvRmT1_PNSt15iterator_traitsISK_E10value_typeET2_T3_PNSL_ISQ_E10value_typeET4_jRbjT5_SW_jjP12ihipStream_tbEUlT_E1_NS1_11comp_targetILNS1_3genE0ELNS1_11target_archE4294967295ELNS1_3gpuE0ELNS1_3repE0EEENS1_59segmented_radix_sort_warp_sort_small_config_static_selectorELNS0_4arch9wavefront6targetE1EEEvSK_
    .private_segment_fixed_size: 0
    .sgpr_count:     4
    .sgpr_spill_count: 0
    .symbol:         _ZN7rocprim17ROCPRIM_400000_NS6detail17trampoline_kernelINS0_14default_configENS1_36segmented_radix_sort_config_selectorIhlEEZNS1_25segmented_radix_sort_implIS3_Lb1EPKhPhPKlPlN2at6native12_GLOBAL__N_18offset_tEEE10hipError_tPvRmT1_PNSt15iterator_traitsISK_E10value_typeET2_T3_PNSL_ISQ_E10value_typeET4_jRbjT5_SW_jjP12ihipStream_tbEUlT_E1_NS1_11comp_targetILNS1_3genE0ELNS1_11target_archE4294967295ELNS1_3gpuE0ELNS1_3repE0EEENS1_59segmented_radix_sort_warp_sort_small_config_static_selectorELNS0_4arch9wavefront6targetE1EEEvSK_.kd
    .uniform_work_group_size: 1
    .uses_dynamic_stack: false
    .vgpr_count:     0
    .vgpr_spill_count: 0
    .wavefront_size: 64
  - .agpr_count:     0
    .args:
      - .offset:         0
        .size:           88
        .value_kind:     by_value
    .group_segment_fixed_size: 0
    .kernarg_segment_align: 8
    .kernarg_segment_size: 88
    .language:       OpenCL C
    .language_version:
      - 2
      - 0
    .max_flat_workgroup_size: 256
    .name:           _ZN7rocprim17ROCPRIM_400000_NS6detail17trampoline_kernelINS0_14default_configENS1_36segmented_radix_sort_config_selectorIhlEEZNS1_25segmented_radix_sort_implIS3_Lb1EPKhPhPKlPlN2at6native12_GLOBAL__N_18offset_tEEE10hipError_tPvRmT1_PNSt15iterator_traitsISK_E10value_typeET2_T3_PNSL_ISQ_E10value_typeET4_jRbjT5_SW_jjP12ihipStream_tbEUlT_E1_NS1_11comp_targetILNS1_3genE5ELNS1_11target_archE942ELNS1_3gpuE9ELNS1_3repE0EEENS1_59segmented_radix_sort_warp_sort_small_config_static_selectorELNS0_4arch9wavefront6targetE1EEEvSK_
    .private_segment_fixed_size: 0
    .sgpr_count:     4
    .sgpr_spill_count: 0
    .symbol:         _ZN7rocprim17ROCPRIM_400000_NS6detail17trampoline_kernelINS0_14default_configENS1_36segmented_radix_sort_config_selectorIhlEEZNS1_25segmented_radix_sort_implIS3_Lb1EPKhPhPKlPlN2at6native12_GLOBAL__N_18offset_tEEE10hipError_tPvRmT1_PNSt15iterator_traitsISK_E10value_typeET2_T3_PNSL_ISQ_E10value_typeET4_jRbjT5_SW_jjP12ihipStream_tbEUlT_E1_NS1_11comp_targetILNS1_3genE5ELNS1_11target_archE942ELNS1_3gpuE9ELNS1_3repE0EEENS1_59segmented_radix_sort_warp_sort_small_config_static_selectorELNS0_4arch9wavefront6targetE1EEEvSK_.kd
    .uniform_work_group_size: 1
    .uses_dynamic_stack: false
    .vgpr_count:     0
    .vgpr_spill_count: 0
    .wavefront_size: 64
  - .agpr_count:     0
    .args:
      - .offset:         0
        .size:           88
        .value_kind:     by_value
      - .offset:         88
        .size:           4
        .value_kind:     hidden_block_count_x
      - .offset:         92
        .size:           4
        .value_kind:     hidden_block_count_y
      - .offset:         96
        .size:           4
        .value_kind:     hidden_block_count_z
      - .offset:         100
        .size:           2
        .value_kind:     hidden_group_size_x
      - .offset:         102
        .size:           2
        .value_kind:     hidden_group_size_y
      - .offset:         104
        .size:           2
        .value_kind:     hidden_group_size_z
      - .offset:         106
        .size:           2
        .value_kind:     hidden_remainder_x
      - .offset:         108
        .size:           2
        .value_kind:     hidden_remainder_y
      - .offset:         110
        .size:           2
        .value_kind:     hidden_remainder_z
      - .offset:         128
        .size:           8
        .value_kind:     hidden_global_offset_x
      - .offset:         136
        .size:           8
        .value_kind:     hidden_global_offset_y
      - .offset:         144
        .size:           8
        .value_kind:     hidden_global_offset_z
      - .offset:         152
        .size:           2
        .value_kind:     hidden_grid_dims
      - .offset:         168
        .size:           8
        .value_kind:     hidden_hostcall_buffer
      - .offset:         176
        .size:           8
        .value_kind:     hidden_multigrid_sync_arg
      - .offset:         184
        .size:           8
        .value_kind:     hidden_heap_v1
      - .offset:         192
        .size:           8
        .value_kind:     hidden_default_queue
      - .offset:         200
        .size:           8
        .value_kind:     hidden_completion_action
      - .offset:         288
        .size:           8
        .value_kind:     hidden_queue_ptr
    .group_segment_fixed_size: 9216
    .kernarg_segment_align: 8
    .kernarg_segment_size: 344
    .language:       OpenCL C
    .language_version:
      - 2
      - 0
    .max_flat_workgroup_size: 256
    .name:           _ZN7rocprim17ROCPRIM_400000_NS6detail17trampoline_kernelINS0_14default_configENS1_36segmented_radix_sort_config_selectorIhlEEZNS1_25segmented_radix_sort_implIS3_Lb1EPKhPhPKlPlN2at6native12_GLOBAL__N_18offset_tEEE10hipError_tPvRmT1_PNSt15iterator_traitsISK_E10value_typeET2_T3_PNSL_ISQ_E10value_typeET4_jRbjT5_SW_jjP12ihipStream_tbEUlT_E1_NS1_11comp_targetILNS1_3genE4ELNS1_11target_archE910ELNS1_3gpuE8ELNS1_3repE0EEENS1_59segmented_radix_sort_warp_sort_small_config_static_selectorELNS0_4arch9wavefront6targetE1EEEvSK_
    .private_segment_fixed_size: 0
    .sgpr_count:     56
    .sgpr_spill_count: 0
    .symbol:         _ZN7rocprim17ROCPRIM_400000_NS6detail17trampoline_kernelINS0_14default_configENS1_36segmented_radix_sort_config_selectorIhlEEZNS1_25segmented_radix_sort_implIS3_Lb1EPKhPhPKlPlN2at6native12_GLOBAL__N_18offset_tEEE10hipError_tPvRmT1_PNSt15iterator_traitsISK_E10value_typeET2_T3_PNSL_ISQ_E10value_typeET4_jRbjT5_SW_jjP12ihipStream_tbEUlT_E1_NS1_11comp_targetILNS1_3genE4ELNS1_11target_archE910ELNS1_3gpuE8ELNS1_3repE0EEENS1_59segmented_radix_sort_warp_sort_small_config_static_selectorELNS0_4arch9wavefront6targetE1EEEvSK_.kd
    .uniform_work_group_size: 1
    .uses_dynamic_stack: false
    .vgpr_count:     68
    .vgpr_spill_count: 0
    .wavefront_size: 64
  - .agpr_count:     0
    .args:
      - .offset:         0
        .size:           88
        .value_kind:     by_value
    .group_segment_fixed_size: 0
    .kernarg_segment_align: 8
    .kernarg_segment_size: 88
    .language:       OpenCL C
    .language_version:
      - 2
      - 0
    .max_flat_workgroup_size: 256
    .name:           _ZN7rocprim17ROCPRIM_400000_NS6detail17trampoline_kernelINS0_14default_configENS1_36segmented_radix_sort_config_selectorIhlEEZNS1_25segmented_radix_sort_implIS3_Lb1EPKhPhPKlPlN2at6native12_GLOBAL__N_18offset_tEEE10hipError_tPvRmT1_PNSt15iterator_traitsISK_E10value_typeET2_T3_PNSL_ISQ_E10value_typeET4_jRbjT5_SW_jjP12ihipStream_tbEUlT_E1_NS1_11comp_targetILNS1_3genE3ELNS1_11target_archE908ELNS1_3gpuE7ELNS1_3repE0EEENS1_59segmented_radix_sort_warp_sort_small_config_static_selectorELNS0_4arch9wavefront6targetE1EEEvSK_
    .private_segment_fixed_size: 0
    .sgpr_count:     4
    .sgpr_spill_count: 0
    .symbol:         _ZN7rocprim17ROCPRIM_400000_NS6detail17trampoline_kernelINS0_14default_configENS1_36segmented_radix_sort_config_selectorIhlEEZNS1_25segmented_radix_sort_implIS3_Lb1EPKhPhPKlPlN2at6native12_GLOBAL__N_18offset_tEEE10hipError_tPvRmT1_PNSt15iterator_traitsISK_E10value_typeET2_T3_PNSL_ISQ_E10value_typeET4_jRbjT5_SW_jjP12ihipStream_tbEUlT_E1_NS1_11comp_targetILNS1_3genE3ELNS1_11target_archE908ELNS1_3gpuE7ELNS1_3repE0EEENS1_59segmented_radix_sort_warp_sort_small_config_static_selectorELNS0_4arch9wavefront6targetE1EEEvSK_.kd
    .uniform_work_group_size: 1
    .uses_dynamic_stack: false
    .vgpr_count:     0
    .vgpr_spill_count: 0
    .wavefront_size: 64
  - .agpr_count:     0
    .args:
      - .offset:         0
        .size:           88
        .value_kind:     by_value
    .group_segment_fixed_size: 0
    .kernarg_segment_align: 8
    .kernarg_segment_size: 88
    .language:       OpenCL C
    .language_version:
      - 2
      - 0
    .max_flat_workgroup_size: 256
    .name:           _ZN7rocprim17ROCPRIM_400000_NS6detail17trampoline_kernelINS0_14default_configENS1_36segmented_radix_sort_config_selectorIhlEEZNS1_25segmented_radix_sort_implIS3_Lb1EPKhPhPKlPlN2at6native12_GLOBAL__N_18offset_tEEE10hipError_tPvRmT1_PNSt15iterator_traitsISK_E10value_typeET2_T3_PNSL_ISQ_E10value_typeET4_jRbjT5_SW_jjP12ihipStream_tbEUlT_E1_NS1_11comp_targetILNS1_3genE2ELNS1_11target_archE906ELNS1_3gpuE6ELNS1_3repE0EEENS1_59segmented_radix_sort_warp_sort_small_config_static_selectorELNS0_4arch9wavefront6targetE1EEEvSK_
    .private_segment_fixed_size: 0
    .sgpr_count:     4
    .sgpr_spill_count: 0
    .symbol:         _ZN7rocprim17ROCPRIM_400000_NS6detail17trampoline_kernelINS0_14default_configENS1_36segmented_radix_sort_config_selectorIhlEEZNS1_25segmented_radix_sort_implIS3_Lb1EPKhPhPKlPlN2at6native12_GLOBAL__N_18offset_tEEE10hipError_tPvRmT1_PNSt15iterator_traitsISK_E10value_typeET2_T3_PNSL_ISQ_E10value_typeET4_jRbjT5_SW_jjP12ihipStream_tbEUlT_E1_NS1_11comp_targetILNS1_3genE2ELNS1_11target_archE906ELNS1_3gpuE6ELNS1_3repE0EEENS1_59segmented_radix_sort_warp_sort_small_config_static_selectorELNS0_4arch9wavefront6targetE1EEEvSK_.kd
    .uniform_work_group_size: 1
    .uses_dynamic_stack: false
    .vgpr_count:     0
    .vgpr_spill_count: 0
    .wavefront_size: 64
  - .agpr_count:     0
    .args:
      - .offset:         0
        .size:           88
        .value_kind:     by_value
    .group_segment_fixed_size: 0
    .kernarg_segment_align: 8
    .kernarg_segment_size: 88
    .language:       OpenCL C
    .language_version:
      - 2
      - 0
    .max_flat_workgroup_size: 256
    .name:           _ZN7rocprim17ROCPRIM_400000_NS6detail17trampoline_kernelINS0_14default_configENS1_36segmented_radix_sort_config_selectorIhlEEZNS1_25segmented_radix_sort_implIS3_Lb1EPKhPhPKlPlN2at6native12_GLOBAL__N_18offset_tEEE10hipError_tPvRmT1_PNSt15iterator_traitsISK_E10value_typeET2_T3_PNSL_ISQ_E10value_typeET4_jRbjT5_SW_jjP12ihipStream_tbEUlT_E1_NS1_11comp_targetILNS1_3genE10ELNS1_11target_archE1201ELNS1_3gpuE5ELNS1_3repE0EEENS1_59segmented_radix_sort_warp_sort_small_config_static_selectorELNS0_4arch9wavefront6targetE1EEEvSK_
    .private_segment_fixed_size: 0
    .sgpr_count:     4
    .sgpr_spill_count: 0
    .symbol:         _ZN7rocprim17ROCPRIM_400000_NS6detail17trampoline_kernelINS0_14default_configENS1_36segmented_radix_sort_config_selectorIhlEEZNS1_25segmented_radix_sort_implIS3_Lb1EPKhPhPKlPlN2at6native12_GLOBAL__N_18offset_tEEE10hipError_tPvRmT1_PNSt15iterator_traitsISK_E10value_typeET2_T3_PNSL_ISQ_E10value_typeET4_jRbjT5_SW_jjP12ihipStream_tbEUlT_E1_NS1_11comp_targetILNS1_3genE10ELNS1_11target_archE1201ELNS1_3gpuE5ELNS1_3repE0EEENS1_59segmented_radix_sort_warp_sort_small_config_static_selectorELNS0_4arch9wavefront6targetE1EEEvSK_.kd
    .uniform_work_group_size: 1
    .uses_dynamic_stack: false
    .vgpr_count:     0
    .vgpr_spill_count: 0
    .wavefront_size: 64
  - .agpr_count:     0
    .args:
      - .offset:         0
        .size:           88
        .value_kind:     by_value
    .group_segment_fixed_size: 0
    .kernarg_segment_align: 8
    .kernarg_segment_size: 88
    .language:       OpenCL C
    .language_version:
      - 2
      - 0
    .max_flat_workgroup_size: 256
    .name:           _ZN7rocprim17ROCPRIM_400000_NS6detail17trampoline_kernelINS0_14default_configENS1_36segmented_radix_sort_config_selectorIhlEEZNS1_25segmented_radix_sort_implIS3_Lb1EPKhPhPKlPlN2at6native12_GLOBAL__N_18offset_tEEE10hipError_tPvRmT1_PNSt15iterator_traitsISK_E10value_typeET2_T3_PNSL_ISQ_E10value_typeET4_jRbjT5_SW_jjP12ihipStream_tbEUlT_E1_NS1_11comp_targetILNS1_3genE10ELNS1_11target_archE1200ELNS1_3gpuE4ELNS1_3repE0EEENS1_59segmented_radix_sort_warp_sort_small_config_static_selectorELNS0_4arch9wavefront6targetE1EEEvSK_
    .private_segment_fixed_size: 0
    .sgpr_count:     4
    .sgpr_spill_count: 0
    .symbol:         _ZN7rocprim17ROCPRIM_400000_NS6detail17trampoline_kernelINS0_14default_configENS1_36segmented_radix_sort_config_selectorIhlEEZNS1_25segmented_radix_sort_implIS3_Lb1EPKhPhPKlPlN2at6native12_GLOBAL__N_18offset_tEEE10hipError_tPvRmT1_PNSt15iterator_traitsISK_E10value_typeET2_T3_PNSL_ISQ_E10value_typeET4_jRbjT5_SW_jjP12ihipStream_tbEUlT_E1_NS1_11comp_targetILNS1_3genE10ELNS1_11target_archE1200ELNS1_3gpuE4ELNS1_3repE0EEENS1_59segmented_radix_sort_warp_sort_small_config_static_selectorELNS0_4arch9wavefront6targetE1EEEvSK_.kd
    .uniform_work_group_size: 1
    .uses_dynamic_stack: false
    .vgpr_count:     0
    .vgpr_spill_count: 0
    .wavefront_size: 64
  - .agpr_count:     0
    .args:
      - .offset:         0
        .size:           88
        .value_kind:     by_value
    .group_segment_fixed_size: 0
    .kernarg_segment_align: 8
    .kernarg_segment_size: 88
    .language:       OpenCL C
    .language_version:
      - 2
      - 0
    .max_flat_workgroup_size: 256
    .name:           _ZN7rocprim17ROCPRIM_400000_NS6detail17trampoline_kernelINS0_14default_configENS1_36segmented_radix_sort_config_selectorIhlEEZNS1_25segmented_radix_sort_implIS3_Lb1EPKhPhPKlPlN2at6native12_GLOBAL__N_18offset_tEEE10hipError_tPvRmT1_PNSt15iterator_traitsISK_E10value_typeET2_T3_PNSL_ISQ_E10value_typeET4_jRbjT5_SW_jjP12ihipStream_tbEUlT_E1_NS1_11comp_targetILNS1_3genE9ELNS1_11target_archE1100ELNS1_3gpuE3ELNS1_3repE0EEENS1_59segmented_radix_sort_warp_sort_small_config_static_selectorELNS0_4arch9wavefront6targetE1EEEvSK_
    .private_segment_fixed_size: 0
    .sgpr_count:     4
    .sgpr_spill_count: 0
    .symbol:         _ZN7rocprim17ROCPRIM_400000_NS6detail17trampoline_kernelINS0_14default_configENS1_36segmented_radix_sort_config_selectorIhlEEZNS1_25segmented_radix_sort_implIS3_Lb1EPKhPhPKlPlN2at6native12_GLOBAL__N_18offset_tEEE10hipError_tPvRmT1_PNSt15iterator_traitsISK_E10value_typeET2_T3_PNSL_ISQ_E10value_typeET4_jRbjT5_SW_jjP12ihipStream_tbEUlT_E1_NS1_11comp_targetILNS1_3genE9ELNS1_11target_archE1100ELNS1_3gpuE3ELNS1_3repE0EEENS1_59segmented_radix_sort_warp_sort_small_config_static_selectorELNS0_4arch9wavefront6targetE1EEEvSK_.kd
    .uniform_work_group_size: 1
    .uses_dynamic_stack: false
    .vgpr_count:     0
    .vgpr_spill_count: 0
    .wavefront_size: 64
  - .agpr_count:     0
    .args:
      - .offset:         0
        .size:           88
        .value_kind:     by_value
    .group_segment_fixed_size: 0
    .kernarg_segment_align: 8
    .kernarg_segment_size: 88
    .language:       OpenCL C
    .language_version:
      - 2
      - 0
    .max_flat_workgroup_size: 256
    .name:           _ZN7rocprim17ROCPRIM_400000_NS6detail17trampoline_kernelINS0_14default_configENS1_36segmented_radix_sort_config_selectorIhlEEZNS1_25segmented_radix_sort_implIS3_Lb1EPKhPhPKlPlN2at6native12_GLOBAL__N_18offset_tEEE10hipError_tPvRmT1_PNSt15iterator_traitsISK_E10value_typeET2_T3_PNSL_ISQ_E10value_typeET4_jRbjT5_SW_jjP12ihipStream_tbEUlT_E1_NS1_11comp_targetILNS1_3genE8ELNS1_11target_archE1030ELNS1_3gpuE2ELNS1_3repE0EEENS1_59segmented_radix_sort_warp_sort_small_config_static_selectorELNS0_4arch9wavefront6targetE1EEEvSK_
    .private_segment_fixed_size: 0
    .sgpr_count:     4
    .sgpr_spill_count: 0
    .symbol:         _ZN7rocprim17ROCPRIM_400000_NS6detail17trampoline_kernelINS0_14default_configENS1_36segmented_radix_sort_config_selectorIhlEEZNS1_25segmented_radix_sort_implIS3_Lb1EPKhPhPKlPlN2at6native12_GLOBAL__N_18offset_tEEE10hipError_tPvRmT1_PNSt15iterator_traitsISK_E10value_typeET2_T3_PNSL_ISQ_E10value_typeET4_jRbjT5_SW_jjP12ihipStream_tbEUlT_E1_NS1_11comp_targetILNS1_3genE8ELNS1_11target_archE1030ELNS1_3gpuE2ELNS1_3repE0EEENS1_59segmented_radix_sort_warp_sort_small_config_static_selectorELNS0_4arch9wavefront6targetE1EEEvSK_.kd
    .uniform_work_group_size: 1
    .uses_dynamic_stack: false
    .vgpr_count:     0
    .vgpr_spill_count: 0
    .wavefront_size: 64
  - .agpr_count:     0
    .args:
      - .offset:         0
        .size:           80
        .value_kind:     by_value
    .group_segment_fixed_size: 0
    .kernarg_segment_align: 8
    .kernarg_segment_size: 80
    .language:       OpenCL C
    .language_version:
      - 2
      - 0
    .max_flat_workgroup_size: 256
    .name:           _ZN7rocprim17ROCPRIM_400000_NS6detail17trampoline_kernelINS0_14default_configENS1_36segmented_radix_sort_config_selectorIhlEEZNS1_25segmented_radix_sort_implIS3_Lb1EPKhPhPKlPlN2at6native12_GLOBAL__N_18offset_tEEE10hipError_tPvRmT1_PNSt15iterator_traitsISK_E10value_typeET2_T3_PNSL_ISQ_E10value_typeET4_jRbjT5_SW_jjP12ihipStream_tbEUlT_E2_NS1_11comp_targetILNS1_3genE0ELNS1_11target_archE4294967295ELNS1_3gpuE0ELNS1_3repE0EEENS1_30default_config_static_selectorELNS0_4arch9wavefront6targetE1EEEvSK_
    .private_segment_fixed_size: 0
    .sgpr_count:     4
    .sgpr_spill_count: 0
    .symbol:         _ZN7rocprim17ROCPRIM_400000_NS6detail17trampoline_kernelINS0_14default_configENS1_36segmented_radix_sort_config_selectorIhlEEZNS1_25segmented_radix_sort_implIS3_Lb1EPKhPhPKlPlN2at6native12_GLOBAL__N_18offset_tEEE10hipError_tPvRmT1_PNSt15iterator_traitsISK_E10value_typeET2_T3_PNSL_ISQ_E10value_typeET4_jRbjT5_SW_jjP12ihipStream_tbEUlT_E2_NS1_11comp_targetILNS1_3genE0ELNS1_11target_archE4294967295ELNS1_3gpuE0ELNS1_3repE0EEENS1_30default_config_static_selectorELNS0_4arch9wavefront6targetE1EEEvSK_.kd
    .uniform_work_group_size: 1
    .uses_dynamic_stack: false
    .vgpr_count:     0
    .vgpr_spill_count: 0
    .wavefront_size: 64
  - .agpr_count:     0
    .args:
      - .offset:         0
        .size:           80
        .value_kind:     by_value
    .group_segment_fixed_size: 0
    .kernarg_segment_align: 8
    .kernarg_segment_size: 80
    .language:       OpenCL C
    .language_version:
      - 2
      - 0
    .max_flat_workgroup_size: 256
    .name:           _ZN7rocprim17ROCPRIM_400000_NS6detail17trampoline_kernelINS0_14default_configENS1_36segmented_radix_sort_config_selectorIhlEEZNS1_25segmented_radix_sort_implIS3_Lb1EPKhPhPKlPlN2at6native12_GLOBAL__N_18offset_tEEE10hipError_tPvRmT1_PNSt15iterator_traitsISK_E10value_typeET2_T3_PNSL_ISQ_E10value_typeET4_jRbjT5_SW_jjP12ihipStream_tbEUlT_E2_NS1_11comp_targetILNS1_3genE5ELNS1_11target_archE942ELNS1_3gpuE9ELNS1_3repE0EEENS1_30default_config_static_selectorELNS0_4arch9wavefront6targetE1EEEvSK_
    .private_segment_fixed_size: 0
    .sgpr_count:     4
    .sgpr_spill_count: 0
    .symbol:         _ZN7rocprim17ROCPRIM_400000_NS6detail17trampoline_kernelINS0_14default_configENS1_36segmented_radix_sort_config_selectorIhlEEZNS1_25segmented_radix_sort_implIS3_Lb1EPKhPhPKlPlN2at6native12_GLOBAL__N_18offset_tEEE10hipError_tPvRmT1_PNSt15iterator_traitsISK_E10value_typeET2_T3_PNSL_ISQ_E10value_typeET4_jRbjT5_SW_jjP12ihipStream_tbEUlT_E2_NS1_11comp_targetILNS1_3genE5ELNS1_11target_archE942ELNS1_3gpuE9ELNS1_3repE0EEENS1_30default_config_static_selectorELNS0_4arch9wavefront6targetE1EEEvSK_.kd
    .uniform_work_group_size: 1
    .uses_dynamic_stack: false
    .vgpr_count:     0
    .vgpr_spill_count: 0
    .wavefront_size: 64
  - .agpr_count:     0
    .args:
      - .offset:         0
        .size:           80
        .value_kind:     by_value
      - .offset:         80
        .size:           4
        .value_kind:     hidden_block_count_x
      - .offset:         84
        .size:           4
        .value_kind:     hidden_block_count_y
      - .offset:         88
        .size:           4
        .value_kind:     hidden_block_count_z
      - .offset:         92
        .size:           2
        .value_kind:     hidden_group_size_x
      - .offset:         94
        .size:           2
        .value_kind:     hidden_group_size_y
      - .offset:         96
        .size:           2
        .value_kind:     hidden_group_size_z
      - .offset:         98
        .size:           2
        .value_kind:     hidden_remainder_x
      - .offset:         100
        .size:           2
        .value_kind:     hidden_remainder_y
      - .offset:         102
        .size:           2
        .value_kind:     hidden_remainder_z
      - .offset:         120
        .size:           8
        .value_kind:     hidden_global_offset_x
      - .offset:         128
        .size:           8
        .value_kind:     hidden_global_offset_y
      - .offset:         136
        .size:           8
        .value_kind:     hidden_global_offset_z
      - .offset:         144
        .size:           2
        .value_kind:     hidden_grid_dims
      - .offset:         160
        .size:           8
        .value_kind:     hidden_hostcall_buffer
      - .offset:         168
        .size:           8
        .value_kind:     hidden_multigrid_sync_arg
      - .offset:         176
        .size:           8
        .value_kind:     hidden_heap_v1
      - .offset:         184
        .size:           8
        .value_kind:     hidden_default_queue
      - .offset:         192
        .size:           8
        .value_kind:     hidden_completion_action
      - .offset:         280
        .size:           8
        .value_kind:     hidden_queue_ptr
    .group_segment_fixed_size: 17424
    .kernarg_segment_align: 8
    .kernarg_segment_size: 336
    .language:       OpenCL C
    .language_version:
      - 2
      - 0
    .max_flat_workgroup_size: 256
    .name:           _ZN7rocprim17ROCPRIM_400000_NS6detail17trampoline_kernelINS0_14default_configENS1_36segmented_radix_sort_config_selectorIhlEEZNS1_25segmented_radix_sort_implIS3_Lb1EPKhPhPKlPlN2at6native12_GLOBAL__N_18offset_tEEE10hipError_tPvRmT1_PNSt15iterator_traitsISK_E10value_typeET2_T3_PNSL_ISQ_E10value_typeET4_jRbjT5_SW_jjP12ihipStream_tbEUlT_E2_NS1_11comp_targetILNS1_3genE4ELNS1_11target_archE910ELNS1_3gpuE8ELNS1_3repE0EEENS1_30default_config_static_selectorELNS0_4arch9wavefront6targetE1EEEvSK_
    .private_segment_fixed_size: 8
    .sgpr_count:     93
    .sgpr_spill_count: 0
    .symbol:         _ZN7rocprim17ROCPRIM_400000_NS6detail17trampoline_kernelINS0_14default_configENS1_36segmented_radix_sort_config_selectorIhlEEZNS1_25segmented_radix_sort_implIS3_Lb1EPKhPhPKlPlN2at6native12_GLOBAL__N_18offset_tEEE10hipError_tPvRmT1_PNSt15iterator_traitsISK_E10value_typeET2_T3_PNSL_ISQ_E10value_typeET4_jRbjT5_SW_jjP12ihipStream_tbEUlT_E2_NS1_11comp_targetILNS1_3genE4ELNS1_11target_archE910ELNS1_3gpuE8ELNS1_3repE0EEENS1_30default_config_static_selectorELNS0_4arch9wavefront6targetE1EEEvSK_.kd
    .uniform_work_group_size: 1
    .uses_dynamic_stack: false
    .vgpr_count:     168
    .vgpr_spill_count: 0
    .wavefront_size: 64
  - .agpr_count:     0
    .args:
      - .offset:         0
        .size:           80
        .value_kind:     by_value
    .group_segment_fixed_size: 0
    .kernarg_segment_align: 8
    .kernarg_segment_size: 80
    .language:       OpenCL C
    .language_version:
      - 2
      - 0
    .max_flat_workgroup_size: 256
    .name:           _ZN7rocprim17ROCPRIM_400000_NS6detail17trampoline_kernelINS0_14default_configENS1_36segmented_radix_sort_config_selectorIhlEEZNS1_25segmented_radix_sort_implIS3_Lb1EPKhPhPKlPlN2at6native12_GLOBAL__N_18offset_tEEE10hipError_tPvRmT1_PNSt15iterator_traitsISK_E10value_typeET2_T3_PNSL_ISQ_E10value_typeET4_jRbjT5_SW_jjP12ihipStream_tbEUlT_E2_NS1_11comp_targetILNS1_3genE3ELNS1_11target_archE908ELNS1_3gpuE7ELNS1_3repE0EEENS1_30default_config_static_selectorELNS0_4arch9wavefront6targetE1EEEvSK_
    .private_segment_fixed_size: 0
    .sgpr_count:     4
    .sgpr_spill_count: 0
    .symbol:         _ZN7rocprim17ROCPRIM_400000_NS6detail17trampoline_kernelINS0_14default_configENS1_36segmented_radix_sort_config_selectorIhlEEZNS1_25segmented_radix_sort_implIS3_Lb1EPKhPhPKlPlN2at6native12_GLOBAL__N_18offset_tEEE10hipError_tPvRmT1_PNSt15iterator_traitsISK_E10value_typeET2_T3_PNSL_ISQ_E10value_typeET4_jRbjT5_SW_jjP12ihipStream_tbEUlT_E2_NS1_11comp_targetILNS1_3genE3ELNS1_11target_archE908ELNS1_3gpuE7ELNS1_3repE0EEENS1_30default_config_static_selectorELNS0_4arch9wavefront6targetE1EEEvSK_.kd
    .uniform_work_group_size: 1
    .uses_dynamic_stack: false
    .vgpr_count:     0
    .vgpr_spill_count: 0
    .wavefront_size: 64
  - .agpr_count:     0
    .args:
      - .offset:         0
        .size:           80
        .value_kind:     by_value
    .group_segment_fixed_size: 0
    .kernarg_segment_align: 8
    .kernarg_segment_size: 80
    .language:       OpenCL C
    .language_version:
      - 2
      - 0
    .max_flat_workgroup_size: 256
    .name:           _ZN7rocprim17ROCPRIM_400000_NS6detail17trampoline_kernelINS0_14default_configENS1_36segmented_radix_sort_config_selectorIhlEEZNS1_25segmented_radix_sort_implIS3_Lb1EPKhPhPKlPlN2at6native12_GLOBAL__N_18offset_tEEE10hipError_tPvRmT1_PNSt15iterator_traitsISK_E10value_typeET2_T3_PNSL_ISQ_E10value_typeET4_jRbjT5_SW_jjP12ihipStream_tbEUlT_E2_NS1_11comp_targetILNS1_3genE2ELNS1_11target_archE906ELNS1_3gpuE6ELNS1_3repE0EEENS1_30default_config_static_selectorELNS0_4arch9wavefront6targetE1EEEvSK_
    .private_segment_fixed_size: 0
    .sgpr_count:     4
    .sgpr_spill_count: 0
    .symbol:         _ZN7rocprim17ROCPRIM_400000_NS6detail17trampoline_kernelINS0_14default_configENS1_36segmented_radix_sort_config_selectorIhlEEZNS1_25segmented_radix_sort_implIS3_Lb1EPKhPhPKlPlN2at6native12_GLOBAL__N_18offset_tEEE10hipError_tPvRmT1_PNSt15iterator_traitsISK_E10value_typeET2_T3_PNSL_ISQ_E10value_typeET4_jRbjT5_SW_jjP12ihipStream_tbEUlT_E2_NS1_11comp_targetILNS1_3genE2ELNS1_11target_archE906ELNS1_3gpuE6ELNS1_3repE0EEENS1_30default_config_static_selectorELNS0_4arch9wavefront6targetE1EEEvSK_.kd
    .uniform_work_group_size: 1
    .uses_dynamic_stack: false
    .vgpr_count:     0
    .vgpr_spill_count: 0
    .wavefront_size: 64
  - .agpr_count:     0
    .args:
      - .offset:         0
        .size:           80
        .value_kind:     by_value
    .group_segment_fixed_size: 0
    .kernarg_segment_align: 8
    .kernarg_segment_size: 80
    .language:       OpenCL C
    .language_version:
      - 2
      - 0
    .max_flat_workgroup_size: 256
    .name:           _ZN7rocprim17ROCPRIM_400000_NS6detail17trampoline_kernelINS0_14default_configENS1_36segmented_radix_sort_config_selectorIhlEEZNS1_25segmented_radix_sort_implIS3_Lb1EPKhPhPKlPlN2at6native12_GLOBAL__N_18offset_tEEE10hipError_tPvRmT1_PNSt15iterator_traitsISK_E10value_typeET2_T3_PNSL_ISQ_E10value_typeET4_jRbjT5_SW_jjP12ihipStream_tbEUlT_E2_NS1_11comp_targetILNS1_3genE10ELNS1_11target_archE1201ELNS1_3gpuE5ELNS1_3repE0EEENS1_30default_config_static_selectorELNS0_4arch9wavefront6targetE1EEEvSK_
    .private_segment_fixed_size: 0
    .sgpr_count:     4
    .sgpr_spill_count: 0
    .symbol:         _ZN7rocprim17ROCPRIM_400000_NS6detail17trampoline_kernelINS0_14default_configENS1_36segmented_radix_sort_config_selectorIhlEEZNS1_25segmented_radix_sort_implIS3_Lb1EPKhPhPKlPlN2at6native12_GLOBAL__N_18offset_tEEE10hipError_tPvRmT1_PNSt15iterator_traitsISK_E10value_typeET2_T3_PNSL_ISQ_E10value_typeET4_jRbjT5_SW_jjP12ihipStream_tbEUlT_E2_NS1_11comp_targetILNS1_3genE10ELNS1_11target_archE1201ELNS1_3gpuE5ELNS1_3repE0EEENS1_30default_config_static_selectorELNS0_4arch9wavefront6targetE1EEEvSK_.kd
    .uniform_work_group_size: 1
    .uses_dynamic_stack: false
    .vgpr_count:     0
    .vgpr_spill_count: 0
    .wavefront_size: 64
  - .agpr_count:     0
    .args:
      - .offset:         0
        .size:           80
        .value_kind:     by_value
    .group_segment_fixed_size: 0
    .kernarg_segment_align: 8
    .kernarg_segment_size: 80
    .language:       OpenCL C
    .language_version:
      - 2
      - 0
    .max_flat_workgroup_size: 128
    .name:           _ZN7rocprim17ROCPRIM_400000_NS6detail17trampoline_kernelINS0_14default_configENS1_36segmented_radix_sort_config_selectorIhlEEZNS1_25segmented_radix_sort_implIS3_Lb1EPKhPhPKlPlN2at6native12_GLOBAL__N_18offset_tEEE10hipError_tPvRmT1_PNSt15iterator_traitsISK_E10value_typeET2_T3_PNSL_ISQ_E10value_typeET4_jRbjT5_SW_jjP12ihipStream_tbEUlT_E2_NS1_11comp_targetILNS1_3genE10ELNS1_11target_archE1200ELNS1_3gpuE4ELNS1_3repE0EEENS1_30default_config_static_selectorELNS0_4arch9wavefront6targetE1EEEvSK_
    .private_segment_fixed_size: 0
    .sgpr_count:     4
    .sgpr_spill_count: 0
    .symbol:         _ZN7rocprim17ROCPRIM_400000_NS6detail17trampoline_kernelINS0_14default_configENS1_36segmented_radix_sort_config_selectorIhlEEZNS1_25segmented_radix_sort_implIS3_Lb1EPKhPhPKlPlN2at6native12_GLOBAL__N_18offset_tEEE10hipError_tPvRmT1_PNSt15iterator_traitsISK_E10value_typeET2_T3_PNSL_ISQ_E10value_typeET4_jRbjT5_SW_jjP12ihipStream_tbEUlT_E2_NS1_11comp_targetILNS1_3genE10ELNS1_11target_archE1200ELNS1_3gpuE4ELNS1_3repE0EEENS1_30default_config_static_selectorELNS0_4arch9wavefront6targetE1EEEvSK_.kd
    .uniform_work_group_size: 1
    .uses_dynamic_stack: false
    .vgpr_count:     0
    .vgpr_spill_count: 0
    .wavefront_size: 64
  - .agpr_count:     0
    .args:
      - .offset:         0
        .size:           80
        .value_kind:     by_value
    .group_segment_fixed_size: 0
    .kernarg_segment_align: 8
    .kernarg_segment_size: 80
    .language:       OpenCL C
    .language_version:
      - 2
      - 0
    .max_flat_workgroup_size: 256
    .name:           _ZN7rocprim17ROCPRIM_400000_NS6detail17trampoline_kernelINS0_14default_configENS1_36segmented_radix_sort_config_selectorIhlEEZNS1_25segmented_radix_sort_implIS3_Lb1EPKhPhPKlPlN2at6native12_GLOBAL__N_18offset_tEEE10hipError_tPvRmT1_PNSt15iterator_traitsISK_E10value_typeET2_T3_PNSL_ISQ_E10value_typeET4_jRbjT5_SW_jjP12ihipStream_tbEUlT_E2_NS1_11comp_targetILNS1_3genE9ELNS1_11target_archE1100ELNS1_3gpuE3ELNS1_3repE0EEENS1_30default_config_static_selectorELNS0_4arch9wavefront6targetE1EEEvSK_
    .private_segment_fixed_size: 0
    .sgpr_count:     4
    .sgpr_spill_count: 0
    .symbol:         _ZN7rocprim17ROCPRIM_400000_NS6detail17trampoline_kernelINS0_14default_configENS1_36segmented_radix_sort_config_selectorIhlEEZNS1_25segmented_radix_sort_implIS3_Lb1EPKhPhPKlPlN2at6native12_GLOBAL__N_18offset_tEEE10hipError_tPvRmT1_PNSt15iterator_traitsISK_E10value_typeET2_T3_PNSL_ISQ_E10value_typeET4_jRbjT5_SW_jjP12ihipStream_tbEUlT_E2_NS1_11comp_targetILNS1_3genE9ELNS1_11target_archE1100ELNS1_3gpuE3ELNS1_3repE0EEENS1_30default_config_static_selectorELNS0_4arch9wavefront6targetE1EEEvSK_.kd
    .uniform_work_group_size: 1
    .uses_dynamic_stack: false
    .vgpr_count:     0
    .vgpr_spill_count: 0
    .wavefront_size: 64
  - .agpr_count:     0
    .args:
      - .offset:         0
        .size:           80
        .value_kind:     by_value
    .group_segment_fixed_size: 0
    .kernarg_segment_align: 8
    .kernarg_segment_size: 80
    .language:       OpenCL C
    .language_version:
      - 2
      - 0
    .max_flat_workgroup_size: 256
    .name:           _ZN7rocprim17ROCPRIM_400000_NS6detail17trampoline_kernelINS0_14default_configENS1_36segmented_radix_sort_config_selectorIhlEEZNS1_25segmented_radix_sort_implIS3_Lb1EPKhPhPKlPlN2at6native12_GLOBAL__N_18offset_tEEE10hipError_tPvRmT1_PNSt15iterator_traitsISK_E10value_typeET2_T3_PNSL_ISQ_E10value_typeET4_jRbjT5_SW_jjP12ihipStream_tbEUlT_E2_NS1_11comp_targetILNS1_3genE8ELNS1_11target_archE1030ELNS1_3gpuE2ELNS1_3repE0EEENS1_30default_config_static_selectorELNS0_4arch9wavefront6targetE1EEEvSK_
    .private_segment_fixed_size: 0
    .sgpr_count:     4
    .sgpr_spill_count: 0
    .symbol:         _ZN7rocprim17ROCPRIM_400000_NS6detail17trampoline_kernelINS0_14default_configENS1_36segmented_radix_sort_config_selectorIhlEEZNS1_25segmented_radix_sort_implIS3_Lb1EPKhPhPKlPlN2at6native12_GLOBAL__N_18offset_tEEE10hipError_tPvRmT1_PNSt15iterator_traitsISK_E10value_typeET2_T3_PNSL_ISQ_E10value_typeET4_jRbjT5_SW_jjP12ihipStream_tbEUlT_E2_NS1_11comp_targetILNS1_3genE8ELNS1_11target_archE1030ELNS1_3gpuE2ELNS1_3repE0EEENS1_30default_config_static_selectorELNS0_4arch9wavefront6targetE1EEEvSK_.kd
    .uniform_work_group_size: 1
    .uses_dynamic_stack: false
    .vgpr_count:     0
    .vgpr_spill_count: 0
    .wavefront_size: 64
  - .agpr_count:     0
    .args:
      - .offset:         0
        .size:           176
        .value_kind:     by_value
    .group_segment_fixed_size: 0
    .kernarg_segment_align: 8
    .kernarg_segment_size: 176
    .language:       OpenCL C
    .language_version:
      - 2
      - 0
    .max_flat_workgroup_size: 256
    .name:           _ZN7rocprim17ROCPRIM_400000_NS6detail17trampoline_kernelINS0_13select_configILj256ELj13ELNS0_17block_load_methodE3ELS4_3ELS4_3ELNS0_20block_scan_algorithmE0ELj4294967295EEENS1_25partition_config_selectorILNS1_17partition_subalgoE4EjNS0_10empty_typeEbEEZZNS1_14partition_implILS8_4ELb0ES6_15HIP_vector_typeIjLj2EENS0_17counting_iteratorIjlEEPS9_SG_NS0_5tupleIJPjSI_NS0_16reverse_iteratorISI_EEEEENSH_IJSG_SG_SG_EEES9_SI_JZNS1_25segmented_radix_sort_implINS0_14default_configELb0EPKhPhPKlPlN2at6native12_GLOBAL__N_18offset_tEEE10hipError_tPvRmT1_PNSt15iterator_traitsIS12_E10value_typeET2_T3_PNS13_IS18_E10value_typeET4_jRbjT5_S1E_jjP12ihipStream_tbEUljE_ZNSN_ISO_Lb0ESQ_SR_ST_SU_SY_EESZ_S10_S11_S12_S16_S17_S18_S1B_S1C_jS1D_jS1E_S1E_jjS1G_bEUljE0_EEESZ_S10_S11_S18_S1C_S1E_T6_T7_T9_mT8_S1G_bDpT10_ENKUlT_T0_E_clISt17integral_constantIbLb0EES1U_EEDaS1P_S1Q_EUlS1P_E_NS1_11comp_targetILNS1_3genE0ELNS1_11target_archE4294967295ELNS1_3gpuE0ELNS1_3repE0EEENS1_30default_config_static_selectorELNS0_4arch9wavefront6targetE1EEEvS12_
    .private_segment_fixed_size: 0
    .sgpr_count:     4
    .sgpr_spill_count: 0
    .symbol:         _ZN7rocprim17ROCPRIM_400000_NS6detail17trampoline_kernelINS0_13select_configILj256ELj13ELNS0_17block_load_methodE3ELS4_3ELS4_3ELNS0_20block_scan_algorithmE0ELj4294967295EEENS1_25partition_config_selectorILNS1_17partition_subalgoE4EjNS0_10empty_typeEbEEZZNS1_14partition_implILS8_4ELb0ES6_15HIP_vector_typeIjLj2EENS0_17counting_iteratorIjlEEPS9_SG_NS0_5tupleIJPjSI_NS0_16reverse_iteratorISI_EEEEENSH_IJSG_SG_SG_EEES9_SI_JZNS1_25segmented_radix_sort_implINS0_14default_configELb0EPKhPhPKlPlN2at6native12_GLOBAL__N_18offset_tEEE10hipError_tPvRmT1_PNSt15iterator_traitsIS12_E10value_typeET2_T3_PNS13_IS18_E10value_typeET4_jRbjT5_S1E_jjP12ihipStream_tbEUljE_ZNSN_ISO_Lb0ESQ_SR_ST_SU_SY_EESZ_S10_S11_S12_S16_S17_S18_S1B_S1C_jS1D_jS1E_S1E_jjS1G_bEUljE0_EEESZ_S10_S11_S18_S1C_S1E_T6_T7_T9_mT8_S1G_bDpT10_ENKUlT_T0_E_clISt17integral_constantIbLb0EES1U_EEDaS1P_S1Q_EUlS1P_E_NS1_11comp_targetILNS1_3genE0ELNS1_11target_archE4294967295ELNS1_3gpuE0ELNS1_3repE0EEENS1_30default_config_static_selectorELNS0_4arch9wavefront6targetE1EEEvS12_.kd
    .uniform_work_group_size: 1
    .uses_dynamic_stack: false
    .vgpr_count:     0
    .vgpr_spill_count: 0
    .wavefront_size: 64
  - .agpr_count:     0
    .args:
      - .offset:         0
        .size:           176
        .value_kind:     by_value
    .group_segment_fixed_size: 0
    .kernarg_segment_align: 8
    .kernarg_segment_size: 176
    .language:       OpenCL C
    .language_version:
      - 2
      - 0
    .max_flat_workgroup_size: 256
    .name:           _ZN7rocprim17ROCPRIM_400000_NS6detail17trampoline_kernelINS0_13select_configILj256ELj13ELNS0_17block_load_methodE3ELS4_3ELS4_3ELNS0_20block_scan_algorithmE0ELj4294967295EEENS1_25partition_config_selectorILNS1_17partition_subalgoE4EjNS0_10empty_typeEbEEZZNS1_14partition_implILS8_4ELb0ES6_15HIP_vector_typeIjLj2EENS0_17counting_iteratorIjlEEPS9_SG_NS0_5tupleIJPjSI_NS0_16reverse_iteratorISI_EEEEENSH_IJSG_SG_SG_EEES9_SI_JZNS1_25segmented_radix_sort_implINS0_14default_configELb0EPKhPhPKlPlN2at6native12_GLOBAL__N_18offset_tEEE10hipError_tPvRmT1_PNSt15iterator_traitsIS12_E10value_typeET2_T3_PNS13_IS18_E10value_typeET4_jRbjT5_S1E_jjP12ihipStream_tbEUljE_ZNSN_ISO_Lb0ESQ_SR_ST_SU_SY_EESZ_S10_S11_S12_S16_S17_S18_S1B_S1C_jS1D_jS1E_S1E_jjS1G_bEUljE0_EEESZ_S10_S11_S18_S1C_S1E_T6_T7_T9_mT8_S1G_bDpT10_ENKUlT_T0_E_clISt17integral_constantIbLb0EES1U_EEDaS1P_S1Q_EUlS1P_E_NS1_11comp_targetILNS1_3genE5ELNS1_11target_archE942ELNS1_3gpuE9ELNS1_3repE0EEENS1_30default_config_static_selectorELNS0_4arch9wavefront6targetE1EEEvS12_
    .private_segment_fixed_size: 0
    .sgpr_count:     4
    .sgpr_spill_count: 0
    .symbol:         _ZN7rocprim17ROCPRIM_400000_NS6detail17trampoline_kernelINS0_13select_configILj256ELj13ELNS0_17block_load_methodE3ELS4_3ELS4_3ELNS0_20block_scan_algorithmE0ELj4294967295EEENS1_25partition_config_selectorILNS1_17partition_subalgoE4EjNS0_10empty_typeEbEEZZNS1_14partition_implILS8_4ELb0ES6_15HIP_vector_typeIjLj2EENS0_17counting_iteratorIjlEEPS9_SG_NS0_5tupleIJPjSI_NS0_16reverse_iteratorISI_EEEEENSH_IJSG_SG_SG_EEES9_SI_JZNS1_25segmented_radix_sort_implINS0_14default_configELb0EPKhPhPKlPlN2at6native12_GLOBAL__N_18offset_tEEE10hipError_tPvRmT1_PNSt15iterator_traitsIS12_E10value_typeET2_T3_PNS13_IS18_E10value_typeET4_jRbjT5_S1E_jjP12ihipStream_tbEUljE_ZNSN_ISO_Lb0ESQ_SR_ST_SU_SY_EESZ_S10_S11_S12_S16_S17_S18_S1B_S1C_jS1D_jS1E_S1E_jjS1G_bEUljE0_EEESZ_S10_S11_S18_S1C_S1E_T6_T7_T9_mT8_S1G_bDpT10_ENKUlT_T0_E_clISt17integral_constantIbLb0EES1U_EEDaS1P_S1Q_EUlS1P_E_NS1_11comp_targetILNS1_3genE5ELNS1_11target_archE942ELNS1_3gpuE9ELNS1_3repE0EEENS1_30default_config_static_selectorELNS0_4arch9wavefront6targetE1EEEvS12_.kd
    .uniform_work_group_size: 1
    .uses_dynamic_stack: false
    .vgpr_count:     0
    .vgpr_spill_count: 0
    .wavefront_size: 64
  - .agpr_count:     0
    .args:
      - .offset:         0
        .size:           176
        .value_kind:     by_value
    .group_segment_fixed_size: 13340
    .kernarg_segment_align: 8
    .kernarg_segment_size: 176
    .language:       OpenCL C
    .language_version:
      - 2
      - 0
    .max_flat_workgroup_size: 256
    .name:           _ZN7rocprim17ROCPRIM_400000_NS6detail17trampoline_kernelINS0_13select_configILj256ELj13ELNS0_17block_load_methodE3ELS4_3ELS4_3ELNS0_20block_scan_algorithmE0ELj4294967295EEENS1_25partition_config_selectorILNS1_17partition_subalgoE4EjNS0_10empty_typeEbEEZZNS1_14partition_implILS8_4ELb0ES6_15HIP_vector_typeIjLj2EENS0_17counting_iteratorIjlEEPS9_SG_NS0_5tupleIJPjSI_NS0_16reverse_iteratorISI_EEEEENSH_IJSG_SG_SG_EEES9_SI_JZNS1_25segmented_radix_sort_implINS0_14default_configELb0EPKhPhPKlPlN2at6native12_GLOBAL__N_18offset_tEEE10hipError_tPvRmT1_PNSt15iterator_traitsIS12_E10value_typeET2_T3_PNS13_IS18_E10value_typeET4_jRbjT5_S1E_jjP12ihipStream_tbEUljE_ZNSN_ISO_Lb0ESQ_SR_ST_SU_SY_EESZ_S10_S11_S12_S16_S17_S18_S1B_S1C_jS1D_jS1E_S1E_jjS1G_bEUljE0_EEESZ_S10_S11_S18_S1C_S1E_T6_T7_T9_mT8_S1G_bDpT10_ENKUlT_T0_E_clISt17integral_constantIbLb0EES1U_EEDaS1P_S1Q_EUlS1P_E_NS1_11comp_targetILNS1_3genE4ELNS1_11target_archE910ELNS1_3gpuE8ELNS1_3repE0EEENS1_30default_config_static_selectorELNS0_4arch9wavefront6targetE1EEEvS12_
    .private_segment_fixed_size: 0
    .sgpr_count:     94
    .sgpr_spill_count: 0
    .symbol:         _ZN7rocprim17ROCPRIM_400000_NS6detail17trampoline_kernelINS0_13select_configILj256ELj13ELNS0_17block_load_methodE3ELS4_3ELS4_3ELNS0_20block_scan_algorithmE0ELj4294967295EEENS1_25partition_config_selectorILNS1_17partition_subalgoE4EjNS0_10empty_typeEbEEZZNS1_14partition_implILS8_4ELb0ES6_15HIP_vector_typeIjLj2EENS0_17counting_iteratorIjlEEPS9_SG_NS0_5tupleIJPjSI_NS0_16reverse_iteratorISI_EEEEENSH_IJSG_SG_SG_EEES9_SI_JZNS1_25segmented_radix_sort_implINS0_14default_configELb0EPKhPhPKlPlN2at6native12_GLOBAL__N_18offset_tEEE10hipError_tPvRmT1_PNSt15iterator_traitsIS12_E10value_typeET2_T3_PNS13_IS18_E10value_typeET4_jRbjT5_S1E_jjP12ihipStream_tbEUljE_ZNSN_ISO_Lb0ESQ_SR_ST_SU_SY_EESZ_S10_S11_S12_S16_S17_S18_S1B_S1C_jS1D_jS1E_S1E_jjS1G_bEUljE0_EEESZ_S10_S11_S18_S1C_S1E_T6_T7_T9_mT8_S1G_bDpT10_ENKUlT_T0_E_clISt17integral_constantIbLb0EES1U_EEDaS1P_S1Q_EUlS1P_E_NS1_11comp_targetILNS1_3genE4ELNS1_11target_archE910ELNS1_3gpuE8ELNS1_3repE0EEENS1_30default_config_static_selectorELNS0_4arch9wavefront6targetE1EEEvS12_.kd
    .uniform_work_group_size: 1
    .uses_dynamic_stack: false
    .vgpr_count:     102
    .vgpr_spill_count: 0
    .wavefront_size: 64
  - .agpr_count:     0
    .args:
      - .offset:         0
        .size:           176
        .value_kind:     by_value
    .group_segment_fixed_size: 0
    .kernarg_segment_align: 8
    .kernarg_segment_size: 176
    .language:       OpenCL C
    .language_version:
      - 2
      - 0
    .max_flat_workgroup_size: 256
    .name:           _ZN7rocprim17ROCPRIM_400000_NS6detail17trampoline_kernelINS0_13select_configILj256ELj13ELNS0_17block_load_methodE3ELS4_3ELS4_3ELNS0_20block_scan_algorithmE0ELj4294967295EEENS1_25partition_config_selectorILNS1_17partition_subalgoE4EjNS0_10empty_typeEbEEZZNS1_14partition_implILS8_4ELb0ES6_15HIP_vector_typeIjLj2EENS0_17counting_iteratorIjlEEPS9_SG_NS0_5tupleIJPjSI_NS0_16reverse_iteratorISI_EEEEENSH_IJSG_SG_SG_EEES9_SI_JZNS1_25segmented_radix_sort_implINS0_14default_configELb0EPKhPhPKlPlN2at6native12_GLOBAL__N_18offset_tEEE10hipError_tPvRmT1_PNSt15iterator_traitsIS12_E10value_typeET2_T3_PNS13_IS18_E10value_typeET4_jRbjT5_S1E_jjP12ihipStream_tbEUljE_ZNSN_ISO_Lb0ESQ_SR_ST_SU_SY_EESZ_S10_S11_S12_S16_S17_S18_S1B_S1C_jS1D_jS1E_S1E_jjS1G_bEUljE0_EEESZ_S10_S11_S18_S1C_S1E_T6_T7_T9_mT8_S1G_bDpT10_ENKUlT_T0_E_clISt17integral_constantIbLb0EES1U_EEDaS1P_S1Q_EUlS1P_E_NS1_11comp_targetILNS1_3genE3ELNS1_11target_archE908ELNS1_3gpuE7ELNS1_3repE0EEENS1_30default_config_static_selectorELNS0_4arch9wavefront6targetE1EEEvS12_
    .private_segment_fixed_size: 0
    .sgpr_count:     4
    .sgpr_spill_count: 0
    .symbol:         _ZN7rocprim17ROCPRIM_400000_NS6detail17trampoline_kernelINS0_13select_configILj256ELj13ELNS0_17block_load_methodE3ELS4_3ELS4_3ELNS0_20block_scan_algorithmE0ELj4294967295EEENS1_25partition_config_selectorILNS1_17partition_subalgoE4EjNS0_10empty_typeEbEEZZNS1_14partition_implILS8_4ELb0ES6_15HIP_vector_typeIjLj2EENS0_17counting_iteratorIjlEEPS9_SG_NS0_5tupleIJPjSI_NS0_16reverse_iteratorISI_EEEEENSH_IJSG_SG_SG_EEES9_SI_JZNS1_25segmented_radix_sort_implINS0_14default_configELb0EPKhPhPKlPlN2at6native12_GLOBAL__N_18offset_tEEE10hipError_tPvRmT1_PNSt15iterator_traitsIS12_E10value_typeET2_T3_PNS13_IS18_E10value_typeET4_jRbjT5_S1E_jjP12ihipStream_tbEUljE_ZNSN_ISO_Lb0ESQ_SR_ST_SU_SY_EESZ_S10_S11_S12_S16_S17_S18_S1B_S1C_jS1D_jS1E_S1E_jjS1G_bEUljE0_EEESZ_S10_S11_S18_S1C_S1E_T6_T7_T9_mT8_S1G_bDpT10_ENKUlT_T0_E_clISt17integral_constantIbLb0EES1U_EEDaS1P_S1Q_EUlS1P_E_NS1_11comp_targetILNS1_3genE3ELNS1_11target_archE908ELNS1_3gpuE7ELNS1_3repE0EEENS1_30default_config_static_selectorELNS0_4arch9wavefront6targetE1EEEvS12_.kd
    .uniform_work_group_size: 1
    .uses_dynamic_stack: false
    .vgpr_count:     0
    .vgpr_spill_count: 0
    .wavefront_size: 64
  - .agpr_count:     0
    .args:
      - .offset:         0
        .size:           176
        .value_kind:     by_value
    .group_segment_fixed_size: 0
    .kernarg_segment_align: 8
    .kernarg_segment_size: 176
    .language:       OpenCL C
    .language_version:
      - 2
      - 0
    .max_flat_workgroup_size: 256
    .name:           _ZN7rocprim17ROCPRIM_400000_NS6detail17trampoline_kernelINS0_13select_configILj256ELj13ELNS0_17block_load_methodE3ELS4_3ELS4_3ELNS0_20block_scan_algorithmE0ELj4294967295EEENS1_25partition_config_selectorILNS1_17partition_subalgoE4EjNS0_10empty_typeEbEEZZNS1_14partition_implILS8_4ELb0ES6_15HIP_vector_typeIjLj2EENS0_17counting_iteratorIjlEEPS9_SG_NS0_5tupleIJPjSI_NS0_16reverse_iteratorISI_EEEEENSH_IJSG_SG_SG_EEES9_SI_JZNS1_25segmented_radix_sort_implINS0_14default_configELb0EPKhPhPKlPlN2at6native12_GLOBAL__N_18offset_tEEE10hipError_tPvRmT1_PNSt15iterator_traitsIS12_E10value_typeET2_T3_PNS13_IS18_E10value_typeET4_jRbjT5_S1E_jjP12ihipStream_tbEUljE_ZNSN_ISO_Lb0ESQ_SR_ST_SU_SY_EESZ_S10_S11_S12_S16_S17_S18_S1B_S1C_jS1D_jS1E_S1E_jjS1G_bEUljE0_EEESZ_S10_S11_S18_S1C_S1E_T6_T7_T9_mT8_S1G_bDpT10_ENKUlT_T0_E_clISt17integral_constantIbLb0EES1U_EEDaS1P_S1Q_EUlS1P_E_NS1_11comp_targetILNS1_3genE2ELNS1_11target_archE906ELNS1_3gpuE6ELNS1_3repE0EEENS1_30default_config_static_selectorELNS0_4arch9wavefront6targetE1EEEvS12_
    .private_segment_fixed_size: 0
    .sgpr_count:     4
    .sgpr_spill_count: 0
    .symbol:         _ZN7rocprim17ROCPRIM_400000_NS6detail17trampoline_kernelINS0_13select_configILj256ELj13ELNS0_17block_load_methodE3ELS4_3ELS4_3ELNS0_20block_scan_algorithmE0ELj4294967295EEENS1_25partition_config_selectorILNS1_17partition_subalgoE4EjNS0_10empty_typeEbEEZZNS1_14partition_implILS8_4ELb0ES6_15HIP_vector_typeIjLj2EENS0_17counting_iteratorIjlEEPS9_SG_NS0_5tupleIJPjSI_NS0_16reverse_iteratorISI_EEEEENSH_IJSG_SG_SG_EEES9_SI_JZNS1_25segmented_radix_sort_implINS0_14default_configELb0EPKhPhPKlPlN2at6native12_GLOBAL__N_18offset_tEEE10hipError_tPvRmT1_PNSt15iterator_traitsIS12_E10value_typeET2_T3_PNS13_IS18_E10value_typeET4_jRbjT5_S1E_jjP12ihipStream_tbEUljE_ZNSN_ISO_Lb0ESQ_SR_ST_SU_SY_EESZ_S10_S11_S12_S16_S17_S18_S1B_S1C_jS1D_jS1E_S1E_jjS1G_bEUljE0_EEESZ_S10_S11_S18_S1C_S1E_T6_T7_T9_mT8_S1G_bDpT10_ENKUlT_T0_E_clISt17integral_constantIbLb0EES1U_EEDaS1P_S1Q_EUlS1P_E_NS1_11comp_targetILNS1_3genE2ELNS1_11target_archE906ELNS1_3gpuE6ELNS1_3repE0EEENS1_30default_config_static_selectorELNS0_4arch9wavefront6targetE1EEEvS12_.kd
    .uniform_work_group_size: 1
    .uses_dynamic_stack: false
    .vgpr_count:     0
    .vgpr_spill_count: 0
    .wavefront_size: 64
  - .agpr_count:     0
    .args:
      - .offset:         0
        .size:           176
        .value_kind:     by_value
    .group_segment_fixed_size: 0
    .kernarg_segment_align: 8
    .kernarg_segment_size: 176
    .language:       OpenCL C
    .language_version:
      - 2
      - 0
    .max_flat_workgroup_size: 256
    .name:           _ZN7rocprim17ROCPRIM_400000_NS6detail17trampoline_kernelINS0_13select_configILj256ELj13ELNS0_17block_load_methodE3ELS4_3ELS4_3ELNS0_20block_scan_algorithmE0ELj4294967295EEENS1_25partition_config_selectorILNS1_17partition_subalgoE4EjNS0_10empty_typeEbEEZZNS1_14partition_implILS8_4ELb0ES6_15HIP_vector_typeIjLj2EENS0_17counting_iteratorIjlEEPS9_SG_NS0_5tupleIJPjSI_NS0_16reverse_iteratorISI_EEEEENSH_IJSG_SG_SG_EEES9_SI_JZNS1_25segmented_radix_sort_implINS0_14default_configELb0EPKhPhPKlPlN2at6native12_GLOBAL__N_18offset_tEEE10hipError_tPvRmT1_PNSt15iterator_traitsIS12_E10value_typeET2_T3_PNS13_IS18_E10value_typeET4_jRbjT5_S1E_jjP12ihipStream_tbEUljE_ZNSN_ISO_Lb0ESQ_SR_ST_SU_SY_EESZ_S10_S11_S12_S16_S17_S18_S1B_S1C_jS1D_jS1E_S1E_jjS1G_bEUljE0_EEESZ_S10_S11_S18_S1C_S1E_T6_T7_T9_mT8_S1G_bDpT10_ENKUlT_T0_E_clISt17integral_constantIbLb0EES1U_EEDaS1P_S1Q_EUlS1P_E_NS1_11comp_targetILNS1_3genE10ELNS1_11target_archE1200ELNS1_3gpuE4ELNS1_3repE0EEENS1_30default_config_static_selectorELNS0_4arch9wavefront6targetE1EEEvS12_
    .private_segment_fixed_size: 0
    .sgpr_count:     4
    .sgpr_spill_count: 0
    .symbol:         _ZN7rocprim17ROCPRIM_400000_NS6detail17trampoline_kernelINS0_13select_configILj256ELj13ELNS0_17block_load_methodE3ELS4_3ELS4_3ELNS0_20block_scan_algorithmE0ELj4294967295EEENS1_25partition_config_selectorILNS1_17partition_subalgoE4EjNS0_10empty_typeEbEEZZNS1_14partition_implILS8_4ELb0ES6_15HIP_vector_typeIjLj2EENS0_17counting_iteratorIjlEEPS9_SG_NS0_5tupleIJPjSI_NS0_16reverse_iteratorISI_EEEEENSH_IJSG_SG_SG_EEES9_SI_JZNS1_25segmented_radix_sort_implINS0_14default_configELb0EPKhPhPKlPlN2at6native12_GLOBAL__N_18offset_tEEE10hipError_tPvRmT1_PNSt15iterator_traitsIS12_E10value_typeET2_T3_PNS13_IS18_E10value_typeET4_jRbjT5_S1E_jjP12ihipStream_tbEUljE_ZNSN_ISO_Lb0ESQ_SR_ST_SU_SY_EESZ_S10_S11_S12_S16_S17_S18_S1B_S1C_jS1D_jS1E_S1E_jjS1G_bEUljE0_EEESZ_S10_S11_S18_S1C_S1E_T6_T7_T9_mT8_S1G_bDpT10_ENKUlT_T0_E_clISt17integral_constantIbLb0EES1U_EEDaS1P_S1Q_EUlS1P_E_NS1_11comp_targetILNS1_3genE10ELNS1_11target_archE1200ELNS1_3gpuE4ELNS1_3repE0EEENS1_30default_config_static_selectorELNS0_4arch9wavefront6targetE1EEEvS12_.kd
    .uniform_work_group_size: 1
    .uses_dynamic_stack: false
    .vgpr_count:     0
    .vgpr_spill_count: 0
    .wavefront_size: 64
  - .agpr_count:     0
    .args:
      - .offset:         0
        .size:           176
        .value_kind:     by_value
    .group_segment_fixed_size: 0
    .kernarg_segment_align: 8
    .kernarg_segment_size: 176
    .language:       OpenCL C
    .language_version:
      - 2
      - 0
    .max_flat_workgroup_size: 256
    .name:           _ZN7rocprim17ROCPRIM_400000_NS6detail17trampoline_kernelINS0_13select_configILj256ELj13ELNS0_17block_load_methodE3ELS4_3ELS4_3ELNS0_20block_scan_algorithmE0ELj4294967295EEENS1_25partition_config_selectorILNS1_17partition_subalgoE4EjNS0_10empty_typeEbEEZZNS1_14partition_implILS8_4ELb0ES6_15HIP_vector_typeIjLj2EENS0_17counting_iteratorIjlEEPS9_SG_NS0_5tupleIJPjSI_NS0_16reverse_iteratorISI_EEEEENSH_IJSG_SG_SG_EEES9_SI_JZNS1_25segmented_radix_sort_implINS0_14default_configELb0EPKhPhPKlPlN2at6native12_GLOBAL__N_18offset_tEEE10hipError_tPvRmT1_PNSt15iterator_traitsIS12_E10value_typeET2_T3_PNS13_IS18_E10value_typeET4_jRbjT5_S1E_jjP12ihipStream_tbEUljE_ZNSN_ISO_Lb0ESQ_SR_ST_SU_SY_EESZ_S10_S11_S12_S16_S17_S18_S1B_S1C_jS1D_jS1E_S1E_jjS1G_bEUljE0_EEESZ_S10_S11_S18_S1C_S1E_T6_T7_T9_mT8_S1G_bDpT10_ENKUlT_T0_E_clISt17integral_constantIbLb0EES1U_EEDaS1P_S1Q_EUlS1P_E_NS1_11comp_targetILNS1_3genE9ELNS1_11target_archE1100ELNS1_3gpuE3ELNS1_3repE0EEENS1_30default_config_static_selectorELNS0_4arch9wavefront6targetE1EEEvS12_
    .private_segment_fixed_size: 0
    .sgpr_count:     4
    .sgpr_spill_count: 0
    .symbol:         _ZN7rocprim17ROCPRIM_400000_NS6detail17trampoline_kernelINS0_13select_configILj256ELj13ELNS0_17block_load_methodE3ELS4_3ELS4_3ELNS0_20block_scan_algorithmE0ELj4294967295EEENS1_25partition_config_selectorILNS1_17partition_subalgoE4EjNS0_10empty_typeEbEEZZNS1_14partition_implILS8_4ELb0ES6_15HIP_vector_typeIjLj2EENS0_17counting_iteratorIjlEEPS9_SG_NS0_5tupleIJPjSI_NS0_16reverse_iteratorISI_EEEEENSH_IJSG_SG_SG_EEES9_SI_JZNS1_25segmented_radix_sort_implINS0_14default_configELb0EPKhPhPKlPlN2at6native12_GLOBAL__N_18offset_tEEE10hipError_tPvRmT1_PNSt15iterator_traitsIS12_E10value_typeET2_T3_PNS13_IS18_E10value_typeET4_jRbjT5_S1E_jjP12ihipStream_tbEUljE_ZNSN_ISO_Lb0ESQ_SR_ST_SU_SY_EESZ_S10_S11_S12_S16_S17_S18_S1B_S1C_jS1D_jS1E_S1E_jjS1G_bEUljE0_EEESZ_S10_S11_S18_S1C_S1E_T6_T7_T9_mT8_S1G_bDpT10_ENKUlT_T0_E_clISt17integral_constantIbLb0EES1U_EEDaS1P_S1Q_EUlS1P_E_NS1_11comp_targetILNS1_3genE9ELNS1_11target_archE1100ELNS1_3gpuE3ELNS1_3repE0EEENS1_30default_config_static_selectorELNS0_4arch9wavefront6targetE1EEEvS12_.kd
    .uniform_work_group_size: 1
    .uses_dynamic_stack: false
    .vgpr_count:     0
    .vgpr_spill_count: 0
    .wavefront_size: 64
  - .agpr_count:     0
    .args:
      - .offset:         0
        .size:           176
        .value_kind:     by_value
    .group_segment_fixed_size: 0
    .kernarg_segment_align: 8
    .kernarg_segment_size: 176
    .language:       OpenCL C
    .language_version:
      - 2
      - 0
    .max_flat_workgroup_size: 256
    .name:           _ZN7rocprim17ROCPRIM_400000_NS6detail17trampoline_kernelINS0_13select_configILj256ELj13ELNS0_17block_load_methodE3ELS4_3ELS4_3ELNS0_20block_scan_algorithmE0ELj4294967295EEENS1_25partition_config_selectorILNS1_17partition_subalgoE4EjNS0_10empty_typeEbEEZZNS1_14partition_implILS8_4ELb0ES6_15HIP_vector_typeIjLj2EENS0_17counting_iteratorIjlEEPS9_SG_NS0_5tupleIJPjSI_NS0_16reverse_iteratorISI_EEEEENSH_IJSG_SG_SG_EEES9_SI_JZNS1_25segmented_radix_sort_implINS0_14default_configELb0EPKhPhPKlPlN2at6native12_GLOBAL__N_18offset_tEEE10hipError_tPvRmT1_PNSt15iterator_traitsIS12_E10value_typeET2_T3_PNS13_IS18_E10value_typeET4_jRbjT5_S1E_jjP12ihipStream_tbEUljE_ZNSN_ISO_Lb0ESQ_SR_ST_SU_SY_EESZ_S10_S11_S12_S16_S17_S18_S1B_S1C_jS1D_jS1E_S1E_jjS1G_bEUljE0_EEESZ_S10_S11_S18_S1C_S1E_T6_T7_T9_mT8_S1G_bDpT10_ENKUlT_T0_E_clISt17integral_constantIbLb0EES1U_EEDaS1P_S1Q_EUlS1P_E_NS1_11comp_targetILNS1_3genE8ELNS1_11target_archE1030ELNS1_3gpuE2ELNS1_3repE0EEENS1_30default_config_static_selectorELNS0_4arch9wavefront6targetE1EEEvS12_
    .private_segment_fixed_size: 0
    .sgpr_count:     4
    .sgpr_spill_count: 0
    .symbol:         _ZN7rocprim17ROCPRIM_400000_NS6detail17trampoline_kernelINS0_13select_configILj256ELj13ELNS0_17block_load_methodE3ELS4_3ELS4_3ELNS0_20block_scan_algorithmE0ELj4294967295EEENS1_25partition_config_selectorILNS1_17partition_subalgoE4EjNS0_10empty_typeEbEEZZNS1_14partition_implILS8_4ELb0ES6_15HIP_vector_typeIjLj2EENS0_17counting_iteratorIjlEEPS9_SG_NS0_5tupleIJPjSI_NS0_16reverse_iteratorISI_EEEEENSH_IJSG_SG_SG_EEES9_SI_JZNS1_25segmented_radix_sort_implINS0_14default_configELb0EPKhPhPKlPlN2at6native12_GLOBAL__N_18offset_tEEE10hipError_tPvRmT1_PNSt15iterator_traitsIS12_E10value_typeET2_T3_PNS13_IS18_E10value_typeET4_jRbjT5_S1E_jjP12ihipStream_tbEUljE_ZNSN_ISO_Lb0ESQ_SR_ST_SU_SY_EESZ_S10_S11_S12_S16_S17_S18_S1B_S1C_jS1D_jS1E_S1E_jjS1G_bEUljE0_EEESZ_S10_S11_S18_S1C_S1E_T6_T7_T9_mT8_S1G_bDpT10_ENKUlT_T0_E_clISt17integral_constantIbLb0EES1U_EEDaS1P_S1Q_EUlS1P_E_NS1_11comp_targetILNS1_3genE8ELNS1_11target_archE1030ELNS1_3gpuE2ELNS1_3repE0EEENS1_30default_config_static_selectorELNS0_4arch9wavefront6targetE1EEEvS12_.kd
    .uniform_work_group_size: 1
    .uses_dynamic_stack: false
    .vgpr_count:     0
    .vgpr_spill_count: 0
    .wavefront_size: 64
  - .agpr_count:     0
    .args:
      - .offset:         0
        .size:           184
        .value_kind:     by_value
    .group_segment_fixed_size: 0
    .kernarg_segment_align: 8
    .kernarg_segment_size: 184
    .language:       OpenCL C
    .language_version:
      - 2
      - 0
    .max_flat_workgroup_size: 256
    .name:           _ZN7rocprim17ROCPRIM_400000_NS6detail17trampoline_kernelINS0_13select_configILj256ELj13ELNS0_17block_load_methodE3ELS4_3ELS4_3ELNS0_20block_scan_algorithmE0ELj4294967295EEENS1_25partition_config_selectorILNS1_17partition_subalgoE4EjNS0_10empty_typeEbEEZZNS1_14partition_implILS8_4ELb0ES6_15HIP_vector_typeIjLj2EENS0_17counting_iteratorIjlEEPS9_SG_NS0_5tupleIJPjSI_NS0_16reverse_iteratorISI_EEEEENSH_IJSG_SG_SG_EEES9_SI_JZNS1_25segmented_radix_sort_implINS0_14default_configELb0EPKhPhPKlPlN2at6native12_GLOBAL__N_18offset_tEEE10hipError_tPvRmT1_PNSt15iterator_traitsIS12_E10value_typeET2_T3_PNS13_IS18_E10value_typeET4_jRbjT5_S1E_jjP12ihipStream_tbEUljE_ZNSN_ISO_Lb0ESQ_SR_ST_SU_SY_EESZ_S10_S11_S12_S16_S17_S18_S1B_S1C_jS1D_jS1E_S1E_jjS1G_bEUljE0_EEESZ_S10_S11_S18_S1C_S1E_T6_T7_T9_mT8_S1G_bDpT10_ENKUlT_T0_E_clISt17integral_constantIbLb1EES1U_EEDaS1P_S1Q_EUlS1P_E_NS1_11comp_targetILNS1_3genE0ELNS1_11target_archE4294967295ELNS1_3gpuE0ELNS1_3repE0EEENS1_30default_config_static_selectorELNS0_4arch9wavefront6targetE1EEEvS12_
    .private_segment_fixed_size: 0
    .sgpr_count:     4
    .sgpr_spill_count: 0
    .symbol:         _ZN7rocprim17ROCPRIM_400000_NS6detail17trampoline_kernelINS0_13select_configILj256ELj13ELNS0_17block_load_methodE3ELS4_3ELS4_3ELNS0_20block_scan_algorithmE0ELj4294967295EEENS1_25partition_config_selectorILNS1_17partition_subalgoE4EjNS0_10empty_typeEbEEZZNS1_14partition_implILS8_4ELb0ES6_15HIP_vector_typeIjLj2EENS0_17counting_iteratorIjlEEPS9_SG_NS0_5tupleIJPjSI_NS0_16reverse_iteratorISI_EEEEENSH_IJSG_SG_SG_EEES9_SI_JZNS1_25segmented_radix_sort_implINS0_14default_configELb0EPKhPhPKlPlN2at6native12_GLOBAL__N_18offset_tEEE10hipError_tPvRmT1_PNSt15iterator_traitsIS12_E10value_typeET2_T3_PNS13_IS18_E10value_typeET4_jRbjT5_S1E_jjP12ihipStream_tbEUljE_ZNSN_ISO_Lb0ESQ_SR_ST_SU_SY_EESZ_S10_S11_S12_S16_S17_S18_S1B_S1C_jS1D_jS1E_S1E_jjS1G_bEUljE0_EEESZ_S10_S11_S18_S1C_S1E_T6_T7_T9_mT8_S1G_bDpT10_ENKUlT_T0_E_clISt17integral_constantIbLb1EES1U_EEDaS1P_S1Q_EUlS1P_E_NS1_11comp_targetILNS1_3genE0ELNS1_11target_archE4294967295ELNS1_3gpuE0ELNS1_3repE0EEENS1_30default_config_static_selectorELNS0_4arch9wavefront6targetE1EEEvS12_.kd
    .uniform_work_group_size: 1
    .uses_dynamic_stack: false
    .vgpr_count:     0
    .vgpr_spill_count: 0
    .wavefront_size: 64
  - .agpr_count:     0
    .args:
      - .offset:         0
        .size:           184
        .value_kind:     by_value
    .group_segment_fixed_size: 0
    .kernarg_segment_align: 8
    .kernarg_segment_size: 184
    .language:       OpenCL C
    .language_version:
      - 2
      - 0
    .max_flat_workgroup_size: 256
    .name:           _ZN7rocprim17ROCPRIM_400000_NS6detail17trampoline_kernelINS0_13select_configILj256ELj13ELNS0_17block_load_methodE3ELS4_3ELS4_3ELNS0_20block_scan_algorithmE0ELj4294967295EEENS1_25partition_config_selectorILNS1_17partition_subalgoE4EjNS0_10empty_typeEbEEZZNS1_14partition_implILS8_4ELb0ES6_15HIP_vector_typeIjLj2EENS0_17counting_iteratorIjlEEPS9_SG_NS0_5tupleIJPjSI_NS0_16reverse_iteratorISI_EEEEENSH_IJSG_SG_SG_EEES9_SI_JZNS1_25segmented_radix_sort_implINS0_14default_configELb0EPKhPhPKlPlN2at6native12_GLOBAL__N_18offset_tEEE10hipError_tPvRmT1_PNSt15iterator_traitsIS12_E10value_typeET2_T3_PNS13_IS18_E10value_typeET4_jRbjT5_S1E_jjP12ihipStream_tbEUljE_ZNSN_ISO_Lb0ESQ_SR_ST_SU_SY_EESZ_S10_S11_S12_S16_S17_S18_S1B_S1C_jS1D_jS1E_S1E_jjS1G_bEUljE0_EEESZ_S10_S11_S18_S1C_S1E_T6_T7_T9_mT8_S1G_bDpT10_ENKUlT_T0_E_clISt17integral_constantIbLb1EES1U_EEDaS1P_S1Q_EUlS1P_E_NS1_11comp_targetILNS1_3genE5ELNS1_11target_archE942ELNS1_3gpuE9ELNS1_3repE0EEENS1_30default_config_static_selectorELNS0_4arch9wavefront6targetE1EEEvS12_
    .private_segment_fixed_size: 0
    .sgpr_count:     4
    .sgpr_spill_count: 0
    .symbol:         _ZN7rocprim17ROCPRIM_400000_NS6detail17trampoline_kernelINS0_13select_configILj256ELj13ELNS0_17block_load_methodE3ELS4_3ELS4_3ELNS0_20block_scan_algorithmE0ELj4294967295EEENS1_25partition_config_selectorILNS1_17partition_subalgoE4EjNS0_10empty_typeEbEEZZNS1_14partition_implILS8_4ELb0ES6_15HIP_vector_typeIjLj2EENS0_17counting_iteratorIjlEEPS9_SG_NS0_5tupleIJPjSI_NS0_16reverse_iteratorISI_EEEEENSH_IJSG_SG_SG_EEES9_SI_JZNS1_25segmented_radix_sort_implINS0_14default_configELb0EPKhPhPKlPlN2at6native12_GLOBAL__N_18offset_tEEE10hipError_tPvRmT1_PNSt15iterator_traitsIS12_E10value_typeET2_T3_PNS13_IS18_E10value_typeET4_jRbjT5_S1E_jjP12ihipStream_tbEUljE_ZNSN_ISO_Lb0ESQ_SR_ST_SU_SY_EESZ_S10_S11_S12_S16_S17_S18_S1B_S1C_jS1D_jS1E_S1E_jjS1G_bEUljE0_EEESZ_S10_S11_S18_S1C_S1E_T6_T7_T9_mT8_S1G_bDpT10_ENKUlT_T0_E_clISt17integral_constantIbLb1EES1U_EEDaS1P_S1Q_EUlS1P_E_NS1_11comp_targetILNS1_3genE5ELNS1_11target_archE942ELNS1_3gpuE9ELNS1_3repE0EEENS1_30default_config_static_selectorELNS0_4arch9wavefront6targetE1EEEvS12_.kd
    .uniform_work_group_size: 1
    .uses_dynamic_stack: false
    .vgpr_count:     0
    .vgpr_spill_count: 0
    .wavefront_size: 64
  - .agpr_count:     0
    .args:
      - .offset:         0
        .size:           184
        .value_kind:     by_value
    .group_segment_fixed_size: 13340
    .kernarg_segment_align: 8
    .kernarg_segment_size: 184
    .language:       OpenCL C
    .language_version:
      - 2
      - 0
    .max_flat_workgroup_size: 256
    .name:           _ZN7rocprim17ROCPRIM_400000_NS6detail17trampoline_kernelINS0_13select_configILj256ELj13ELNS0_17block_load_methodE3ELS4_3ELS4_3ELNS0_20block_scan_algorithmE0ELj4294967295EEENS1_25partition_config_selectorILNS1_17partition_subalgoE4EjNS0_10empty_typeEbEEZZNS1_14partition_implILS8_4ELb0ES6_15HIP_vector_typeIjLj2EENS0_17counting_iteratorIjlEEPS9_SG_NS0_5tupleIJPjSI_NS0_16reverse_iteratorISI_EEEEENSH_IJSG_SG_SG_EEES9_SI_JZNS1_25segmented_radix_sort_implINS0_14default_configELb0EPKhPhPKlPlN2at6native12_GLOBAL__N_18offset_tEEE10hipError_tPvRmT1_PNSt15iterator_traitsIS12_E10value_typeET2_T3_PNS13_IS18_E10value_typeET4_jRbjT5_S1E_jjP12ihipStream_tbEUljE_ZNSN_ISO_Lb0ESQ_SR_ST_SU_SY_EESZ_S10_S11_S12_S16_S17_S18_S1B_S1C_jS1D_jS1E_S1E_jjS1G_bEUljE0_EEESZ_S10_S11_S18_S1C_S1E_T6_T7_T9_mT8_S1G_bDpT10_ENKUlT_T0_E_clISt17integral_constantIbLb1EES1U_EEDaS1P_S1Q_EUlS1P_E_NS1_11comp_targetILNS1_3genE4ELNS1_11target_archE910ELNS1_3gpuE8ELNS1_3repE0EEENS1_30default_config_static_selectorELNS0_4arch9wavefront6targetE1EEEvS12_
    .private_segment_fixed_size: 0
    .sgpr_count:     91
    .sgpr_spill_count: 0
    .symbol:         _ZN7rocprim17ROCPRIM_400000_NS6detail17trampoline_kernelINS0_13select_configILj256ELj13ELNS0_17block_load_methodE3ELS4_3ELS4_3ELNS0_20block_scan_algorithmE0ELj4294967295EEENS1_25partition_config_selectorILNS1_17partition_subalgoE4EjNS0_10empty_typeEbEEZZNS1_14partition_implILS8_4ELb0ES6_15HIP_vector_typeIjLj2EENS0_17counting_iteratorIjlEEPS9_SG_NS0_5tupleIJPjSI_NS0_16reverse_iteratorISI_EEEEENSH_IJSG_SG_SG_EEES9_SI_JZNS1_25segmented_radix_sort_implINS0_14default_configELb0EPKhPhPKlPlN2at6native12_GLOBAL__N_18offset_tEEE10hipError_tPvRmT1_PNSt15iterator_traitsIS12_E10value_typeET2_T3_PNS13_IS18_E10value_typeET4_jRbjT5_S1E_jjP12ihipStream_tbEUljE_ZNSN_ISO_Lb0ESQ_SR_ST_SU_SY_EESZ_S10_S11_S12_S16_S17_S18_S1B_S1C_jS1D_jS1E_S1E_jjS1G_bEUljE0_EEESZ_S10_S11_S18_S1C_S1E_T6_T7_T9_mT8_S1G_bDpT10_ENKUlT_T0_E_clISt17integral_constantIbLb1EES1U_EEDaS1P_S1Q_EUlS1P_E_NS1_11comp_targetILNS1_3genE4ELNS1_11target_archE910ELNS1_3gpuE8ELNS1_3repE0EEENS1_30default_config_static_selectorELNS0_4arch9wavefront6targetE1EEEvS12_.kd
    .uniform_work_group_size: 1
    .uses_dynamic_stack: false
    .vgpr_count:     107
    .vgpr_spill_count: 0
    .wavefront_size: 64
  - .agpr_count:     0
    .args:
      - .offset:         0
        .size:           184
        .value_kind:     by_value
    .group_segment_fixed_size: 0
    .kernarg_segment_align: 8
    .kernarg_segment_size: 184
    .language:       OpenCL C
    .language_version:
      - 2
      - 0
    .max_flat_workgroup_size: 256
    .name:           _ZN7rocprim17ROCPRIM_400000_NS6detail17trampoline_kernelINS0_13select_configILj256ELj13ELNS0_17block_load_methodE3ELS4_3ELS4_3ELNS0_20block_scan_algorithmE0ELj4294967295EEENS1_25partition_config_selectorILNS1_17partition_subalgoE4EjNS0_10empty_typeEbEEZZNS1_14partition_implILS8_4ELb0ES6_15HIP_vector_typeIjLj2EENS0_17counting_iteratorIjlEEPS9_SG_NS0_5tupleIJPjSI_NS0_16reverse_iteratorISI_EEEEENSH_IJSG_SG_SG_EEES9_SI_JZNS1_25segmented_radix_sort_implINS0_14default_configELb0EPKhPhPKlPlN2at6native12_GLOBAL__N_18offset_tEEE10hipError_tPvRmT1_PNSt15iterator_traitsIS12_E10value_typeET2_T3_PNS13_IS18_E10value_typeET4_jRbjT5_S1E_jjP12ihipStream_tbEUljE_ZNSN_ISO_Lb0ESQ_SR_ST_SU_SY_EESZ_S10_S11_S12_S16_S17_S18_S1B_S1C_jS1D_jS1E_S1E_jjS1G_bEUljE0_EEESZ_S10_S11_S18_S1C_S1E_T6_T7_T9_mT8_S1G_bDpT10_ENKUlT_T0_E_clISt17integral_constantIbLb1EES1U_EEDaS1P_S1Q_EUlS1P_E_NS1_11comp_targetILNS1_3genE3ELNS1_11target_archE908ELNS1_3gpuE7ELNS1_3repE0EEENS1_30default_config_static_selectorELNS0_4arch9wavefront6targetE1EEEvS12_
    .private_segment_fixed_size: 0
    .sgpr_count:     4
    .sgpr_spill_count: 0
    .symbol:         _ZN7rocprim17ROCPRIM_400000_NS6detail17trampoline_kernelINS0_13select_configILj256ELj13ELNS0_17block_load_methodE3ELS4_3ELS4_3ELNS0_20block_scan_algorithmE0ELj4294967295EEENS1_25partition_config_selectorILNS1_17partition_subalgoE4EjNS0_10empty_typeEbEEZZNS1_14partition_implILS8_4ELb0ES6_15HIP_vector_typeIjLj2EENS0_17counting_iteratorIjlEEPS9_SG_NS0_5tupleIJPjSI_NS0_16reverse_iteratorISI_EEEEENSH_IJSG_SG_SG_EEES9_SI_JZNS1_25segmented_radix_sort_implINS0_14default_configELb0EPKhPhPKlPlN2at6native12_GLOBAL__N_18offset_tEEE10hipError_tPvRmT1_PNSt15iterator_traitsIS12_E10value_typeET2_T3_PNS13_IS18_E10value_typeET4_jRbjT5_S1E_jjP12ihipStream_tbEUljE_ZNSN_ISO_Lb0ESQ_SR_ST_SU_SY_EESZ_S10_S11_S12_S16_S17_S18_S1B_S1C_jS1D_jS1E_S1E_jjS1G_bEUljE0_EEESZ_S10_S11_S18_S1C_S1E_T6_T7_T9_mT8_S1G_bDpT10_ENKUlT_T0_E_clISt17integral_constantIbLb1EES1U_EEDaS1P_S1Q_EUlS1P_E_NS1_11comp_targetILNS1_3genE3ELNS1_11target_archE908ELNS1_3gpuE7ELNS1_3repE0EEENS1_30default_config_static_selectorELNS0_4arch9wavefront6targetE1EEEvS12_.kd
    .uniform_work_group_size: 1
    .uses_dynamic_stack: false
    .vgpr_count:     0
    .vgpr_spill_count: 0
    .wavefront_size: 64
  - .agpr_count:     0
    .args:
      - .offset:         0
        .size:           184
        .value_kind:     by_value
    .group_segment_fixed_size: 0
    .kernarg_segment_align: 8
    .kernarg_segment_size: 184
    .language:       OpenCL C
    .language_version:
      - 2
      - 0
    .max_flat_workgroup_size: 256
    .name:           _ZN7rocprim17ROCPRIM_400000_NS6detail17trampoline_kernelINS0_13select_configILj256ELj13ELNS0_17block_load_methodE3ELS4_3ELS4_3ELNS0_20block_scan_algorithmE0ELj4294967295EEENS1_25partition_config_selectorILNS1_17partition_subalgoE4EjNS0_10empty_typeEbEEZZNS1_14partition_implILS8_4ELb0ES6_15HIP_vector_typeIjLj2EENS0_17counting_iteratorIjlEEPS9_SG_NS0_5tupleIJPjSI_NS0_16reverse_iteratorISI_EEEEENSH_IJSG_SG_SG_EEES9_SI_JZNS1_25segmented_radix_sort_implINS0_14default_configELb0EPKhPhPKlPlN2at6native12_GLOBAL__N_18offset_tEEE10hipError_tPvRmT1_PNSt15iterator_traitsIS12_E10value_typeET2_T3_PNS13_IS18_E10value_typeET4_jRbjT5_S1E_jjP12ihipStream_tbEUljE_ZNSN_ISO_Lb0ESQ_SR_ST_SU_SY_EESZ_S10_S11_S12_S16_S17_S18_S1B_S1C_jS1D_jS1E_S1E_jjS1G_bEUljE0_EEESZ_S10_S11_S18_S1C_S1E_T6_T7_T9_mT8_S1G_bDpT10_ENKUlT_T0_E_clISt17integral_constantIbLb1EES1U_EEDaS1P_S1Q_EUlS1P_E_NS1_11comp_targetILNS1_3genE2ELNS1_11target_archE906ELNS1_3gpuE6ELNS1_3repE0EEENS1_30default_config_static_selectorELNS0_4arch9wavefront6targetE1EEEvS12_
    .private_segment_fixed_size: 0
    .sgpr_count:     4
    .sgpr_spill_count: 0
    .symbol:         _ZN7rocprim17ROCPRIM_400000_NS6detail17trampoline_kernelINS0_13select_configILj256ELj13ELNS0_17block_load_methodE3ELS4_3ELS4_3ELNS0_20block_scan_algorithmE0ELj4294967295EEENS1_25partition_config_selectorILNS1_17partition_subalgoE4EjNS0_10empty_typeEbEEZZNS1_14partition_implILS8_4ELb0ES6_15HIP_vector_typeIjLj2EENS0_17counting_iteratorIjlEEPS9_SG_NS0_5tupleIJPjSI_NS0_16reverse_iteratorISI_EEEEENSH_IJSG_SG_SG_EEES9_SI_JZNS1_25segmented_radix_sort_implINS0_14default_configELb0EPKhPhPKlPlN2at6native12_GLOBAL__N_18offset_tEEE10hipError_tPvRmT1_PNSt15iterator_traitsIS12_E10value_typeET2_T3_PNS13_IS18_E10value_typeET4_jRbjT5_S1E_jjP12ihipStream_tbEUljE_ZNSN_ISO_Lb0ESQ_SR_ST_SU_SY_EESZ_S10_S11_S12_S16_S17_S18_S1B_S1C_jS1D_jS1E_S1E_jjS1G_bEUljE0_EEESZ_S10_S11_S18_S1C_S1E_T6_T7_T9_mT8_S1G_bDpT10_ENKUlT_T0_E_clISt17integral_constantIbLb1EES1U_EEDaS1P_S1Q_EUlS1P_E_NS1_11comp_targetILNS1_3genE2ELNS1_11target_archE906ELNS1_3gpuE6ELNS1_3repE0EEENS1_30default_config_static_selectorELNS0_4arch9wavefront6targetE1EEEvS12_.kd
    .uniform_work_group_size: 1
    .uses_dynamic_stack: false
    .vgpr_count:     0
    .vgpr_spill_count: 0
    .wavefront_size: 64
  - .agpr_count:     0
    .args:
      - .offset:         0
        .size:           184
        .value_kind:     by_value
    .group_segment_fixed_size: 0
    .kernarg_segment_align: 8
    .kernarg_segment_size: 184
    .language:       OpenCL C
    .language_version:
      - 2
      - 0
    .max_flat_workgroup_size: 256
    .name:           _ZN7rocprim17ROCPRIM_400000_NS6detail17trampoline_kernelINS0_13select_configILj256ELj13ELNS0_17block_load_methodE3ELS4_3ELS4_3ELNS0_20block_scan_algorithmE0ELj4294967295EEENS1_25partition_config_selectorILNS1_17partition_subalgoE4EjNS0_10empty_typeEbEEZZNS1_14partition_implILS8_4ELb0ES6_15HIP_vector_typeIjLj2EENS0_17counting_iteratorIjlEEPS9_SG_NS0_5tupleIJPjSI_NS0_16reverse_iteratorISI_EEEEENSH_IJSG_SG_SG_EEES9_SI_JZNS1_25segmented_radix_sort_implINS0_14default_configELb0EPKhPhPKlPlN2at6native12_GLOBAL__N_18offset_tEEE10hipError_tPvRmT1_PNSt15iterator_traitsIS12_E10value_typeET2_T3_PNS13_IS18_E10value_typeET4_jRbjT5_S1E_jjP12ihipStream_tbEUljE_ZNSN_ISO_Lb0ESQ_SR_ST_SU_SY_EESZ_S10_S11_S12_S16_S17_S18_S1B_S1C_jS1D_jS1E_S1E_jjS1G_bEUljE0_EEESZ_S10_S11_S18_S1C_S1E_T6_T7_T9_mT8_S1G_bDpT10_ENKUlT_T0_E_clISt17integral_constantIbLb1EES1U_EEDaS1P_S1Q_EUlS1P_E_NS1_11comp_targetILNS1_3genE10ELNS1_11target_archE1200ELNS1_3gpuE4ELNS1_3repE0EEENS1_30default_config_static_selectorELNS0_4arch9wavefront6targetE1EEEvS12_
    .private_segment_fixed_size: 0
    .sgpr_count:     4
    .sgpr_spill_count: 0
    .symbol:         _ZN7rocprim17ROCPRIM_400000_NS6detail17trampoline_kernelINS0_13select_configILj256ELj13ELNS0_17block_load_methodE3ELS4_3ELS4_3ELNS0_20block_scan_algorithmE0ELj4294967295EEENS1_25partition_config_selectorILNS1_17partition_subalgoE4EjNS0_10empty_typeEbEEZZNS1_14partition_implILS8_4ELb0ES6_15HIP_vector_typeIjLj2EENS0_17counting_iteratorIjlEEPS9_SG_NS0_5tupleIJPjSI_NS0_16reverse_iteratorISI_EEEEENSH_IJSG_SG_SG_EEES9_SI_JZNS1_25segmented_radix_sort_implINS0_14default_configELb0EPKhPhPKlPlN2at6native12_GLOBAL__N_18offset_tEEE10hipError_tPvRmT1_PNSt15iterator_traitsIS12_E10value_typeET2_T3_PNS13_IS18_E10value_typeET4_jRbjT5_S1E_jjP12ihipStream_tbEUljE_ZNSN_ISO_Lb0ESQ_SR_ST_SU_SY_EESZ_S10_S11_S12_S16_S17_S18_S1B_S1C_jS1D_jS1E_S1E_jjS1G_bEUljE0_EEESZ_S10_S11_S18_S1C_S1E_T6_T7_T9_mT8_S1G_bDpT10_ENKUlT_T0_E_clISt17integral_constantIbLb1EES1U_EEDaS1P_S1Q_EUlS1P_E_NS1_11comp_targetILNS1_3genE10ELNS1_11target_archE1200ELNS1_3gpuE4ELNS1_3repE0EEENS1_30default_config_static_selectorELNS0_4arch9wavefront6targetE1EEEvS12_.kd
    .uniform_work_group_size: 1
    .uses_dynamic_stack: false
    .vgpr_count:     0
    .vgpr_spill_count: 0
    .wavefront_size: 64
  - .agpr_count:     0
    .args:
      - .offset:         0
        .size:           184
        .value_kind:     by_value
    .group_segment_fixed_size: 0
    .kernarg_segment_align: 8
    .kernarg_segment_size: 184
    .language:       OpenCL C
    .language_version:
      - 2
      - 0
    .max_flat_workgroup_size: 256
    .name:           _ZN7rocprim17ROCPRIM_400000_NS6detail17trampoline_kernelINS0_13select_configILj256ELj13ELNS0_17block_load_methodE3ELS4_3ELS4_3ELNS0_20block_scan_algorithmE0ELj4294967295EEENS1_25partition_config_selectorILNS1_17partition_subalgoE4EjNS0_10empty_typeEbEEZZNS1_14partition_implILS8_4ELb0ES6_15HIP_vector_typeIjLj2EENS0_17counting_iteratorIjlEEPS9_SG_NS0_5tupleIJPjSI_NS0_16reverse_iteratorISI_EEEEENSH_IJSG_SG_SG_EEES9_SI_JZNS1_25segmented_radix_sort_implINS0_14default_configELb0EPKhPhPKlPlN2at6native12_GLOBAL__N_18offset_tEEE10hipError_tPvRmT1_PNSt15iterator_traitsIS12_E10value_typeET2_T3_PNS13_IS18_E10value_typeET4_jRbjT5_S1E_jjP12ihipStream_tbEUljE_ZNSN_ISO_Lb0ESQ_SR_ST_SU_SY_EESZ_S10_S11_S12_S16_S17_S18_S1B_S1C_jS1D_jS1E_S1E_jjS1G_bEUljE0_EEESZ_S10_S11_S18_S1C_S1E_T6_T7_T9_mT8_S1G_bDpT10_ENKUlT_T0_E_clISt17integral_constantIbLb1EES1U_EEDaS1P_S1Q_EUlS1P_E_NS1_11comp_targetILNS1_3genE9ELNS1_11target_archE1100ELNS1_3gpuE3ELNS1_3repE0EEENS1_30default_config_static_selectorELNS0_4arch9wavefront6targetE1EEEvS12_
    .private_segment_fixed_size: 0
    .sgpr_count:     4
    .sgpr_spill_count: 0
    .symbol:         _ZN7rocprim17ROCPRIM_400000_NS6detail17trampoline_kernelINS0_13select_configILj256ELj13ELNS0_17block_load_methodE3ELS4_3ELS4_3ELNS0_20block_scan_algorithmE0ELj4294967295EEENS1_25partition_config_selectorILNS1_17partition_subalgoE4EjNS0_10empty_typeEbEEZZNS1_14partition_implILS8_4ELb0ES6_15HIP_vector_typeIjLj2EENS0_17counting_iteratorIjlEEPS9_SG_NS0_5tupleIJPjSI_NS0_16reverse_iteratorISI_EEEEENSH_IJSG_SG_SG_EEES9_SI_JZNS1_25segmented_radix_sort_implINS0_14default_configELb0EPKhPhPKlPlN2at6native12_GLOBAL__N_18offset_tEEE10hipError_tPvRmT1_PNSt15iterator_traitsIS12_E10value_typeET2_T3_PNS13_IS18_E10value_typeET4_jRbjT5_S1E_jjP12ihipStream_tbEUljE_ZNSN_ISO_Lb0ESQ_SR_ST_SU_SY_EESZ_S10_S11_S12_S16_S17_S18_S1B_S1C_jS1D_jS1E_S1E_jjS1G_bEUljE0_EEESZ_S10_S11_S18_S1C_S1E_T6_T7_T9_mT8_S1G_bDpT10_ENKUlT_T0_E_clISt17integral_constantIbLb1EES1U_EEDaS1P_S1Q_EUlS1P_E_NS1_11comp_targetILNS1_3genE9ELNS1_11target_archE1100ELNS1_3gpuE3ELNS1_3repE0EEENS1_30default_config_static_selectorELNS0_4arch9wavefront6targetE1EEEvS12_.kd
    .uniform_work_group_size: 1
    .uses_dynamic_stack: false
    .vgpr_count:     0
    .vgpr_spill_count: 0
    .wavefront_size: 64
  - .agpr_count:     0
    .args:
      - .offset:         0
        .size:           184
        .value_kind:     by_value
    .group_segment_fixed_size: 0
    .kernarg_segment_align: 8
    .kernarg_segment_size: 184
    .language:       OpenCL C
    .language_version:
      - 2
      - 0
    .max_flat_workgroup_size: 256
    .name:           _ZN7rocprim17ROCPRIM_400000_NS6detail17trampoline_kernelINS0_13select_configILj256ELj13ELNS0_17block_load_methodE3ELS4_3ELS4_3ELNS0_20block_scan_algorithmE0ELj4294967295EEENS1_25partition_config_selectorILNS1_17partition_subalgoE4EjNS0_10empty_typeEbEEZZNS1_14partition_implILS8_4ELb0ES6_15HIP_vector_typeIjLj2EENS0_17counting_iteratorIjlEEPS9_SG_NS0_5tupleIJPjSI_NS0_16reverse_iteratorISI_EEEEENSH_IJSG_SG_SG_EEES9_SI_JZNS1_25segmented_radix_sort_implINS0_14default_configELb0EPKhPhPKlPlN2at6native12_GLOBAL__N_18offset_tEEE10hipError_tPvRmT1_PNSt15iterator_traitsIS12_E10value_typeET2_T3_PNS13_IS18_E10value_typeET4_jRbjT5_S1E_jjP12ihipStream_tbEUljE_ZNSN_ISO_Lb0ESQ_SR_ST_SU_SY_EESZ_S10_S11_S12_S16_S17_S18_S1B_S1C_jS1D_jS1E_S1E_jjS1G_bEUljE0_EEESZ_S10_S11_S18_S1C_S1E_T6_T7_T9_mT8_S1G_bDpT10_ENKUlT_T0_E_clISt17integral_constantIbLb1EES1U_EEDaS1P_S1Q_EUlS1P_E_NS1_11comp_targetILNS1_3genE8ELNS1_11target_archE1030ELNS1_3gpuE2ELNS1_3repE0EEENS1_30default_config_static_selectorELNS0_4arch9wavefront6targetE1EEEvS12_
    .private_segment_fixed_size: 0
    .sgpr_count:     4
    .sgpr_spill_count: 0
    .symbol:         _ZN7rocprim17ROCPRIM_400000_NS6detail17trampoline_kernelINS0_13select_configILj256ELj13ELNS0_17block_load_methodE3ELS4_3ELS4_3ELNS0_20block_scan_algorithmE0ELj4294967295EEENS1_25partition_config_selectorILNS1_17partition_subalgoE4EjNS0_10empty_typeEbEEZZNS1_14partition_implILS8_4ELb0ES6_15HIP_vector_typeIjLj2EENS0_17counting_iteratorIjlEEPS9_SG_NS0_5tupleIJPjSI_NS0_16reverse_iteratorISI_EEEEENSH_IJSG_SG_SG_EEES9_SI_JZNS1_25segmented_radix_sort_implINS0_14default_configELb0EPKhPhPKlPlN2at6native12_GLOBAL__N_18offset_tEEE10hipError_tPvRmT1_PNSt15iterator_traitsIS12_E10value_typeET2_T3_PNS13_IS18_E10value_typeET4_jRbjT5_S1E_jjP12ihipStream_tbEUljE_ZNSN_ISO_Lb0ESQ_SR_ST_SU_SY_EESZ_S10_S11_S12_S16_S17_S18_S1B_S1C_jS1D_jS1E_S1E_jjS1G_bEUljE0_EEESZ_S10_S11_S18_S1C_S1E_T6_T7_T9_mT8_S1G_bDpT10_ENKUlT_T0_E_clISt17integral_constantIbLb1EES1U_EEDaS1P_S1Q_EUlS1P_E_NS1_11comp_targetILNS1_3genE8ELNS1_11target_archE1030ELNS1_3gpuE2ELNS1_3repE0EEENS1_30default_config_static_selectorELNS0_4arch9wavefront6targetE1EEEvS12_.kd
    .uniform_work_group_size: 1
    .uses_dynamic_stack: false
    .vgpr_count:     0
    .vgpr_spill_count: 0
    .wavefront_size: 64
  - .agpr_count:     0
    .args:
      - .offset:         0
        .size:           176
        .value_kind:     by_value
    .group_segment_fixed_size: 0
    .kernarg_segment_align: 8
    .kernarg_segment_size: 176
    .language:       OpenCL C
    .language_version:
      - 2
      - 0
    .max_flat_workgroup_size: 256
    .name:           _ZN7rocprim17ROCPRIM_400000_NS6detail17trampoline_kernelINS0_13select_configILj256ELj13ELNS0_17block_load_methodE3ELS4_3ELS4_3ELNS0_20block_scan_algorithmE0ELj4294967295EEENS1_25partition_config_selectorILNS1_17partition_subalgoE4EjNS0_10empty_typeEbEEZZNS1_14partition_implILS8_4ELb0ES6_15HIP_vector_typeIjLj2EENS0_17counting_iteratorIjlEEPS9_SG_NS0_5tupleIJPjSI_NS0_16reverse_iteratorISI_EEEEENSH_IJSG_SG_SG_EEES9_SI_JZNS1_25segmented_radix_sort_implINS0_14default_configELb0EPKhPhPKlPlN2at6native12_GLOBAL__N_18offset_tEEE10hipError_tPvRmT1_PNSt15iterator_traitsIS12_E10value_typeET2_T3_PNS13_IS18_E10value_typeET4_jRbjT5_S1E_jjP12ihipStream_tbEUljE_ZNSN_ISO_Lb0ESQ_SR_ST_SU_SY_EESZ_S10_S11_S12_S16_S17_S18_S1B_S1C_jS1D_jS1E_S1E_jjS1G_bEUljE0_EEESZ_S10_S11_S18_S1C_S1E_T6_T7_T9_mT8_S1G_bDpT10_ENKUlT_T0_E_clISt17integral_constantIbLb1EES1T_IbLb0EEEEDaS1P_S1Q_EUlS1P_E_NS1_11comp_targetILNS1_3genE0ELNS1_11target_archE4294967295ELNS1_3gpuE0ELNS1_3repE0EEENS1_30default_config_static_selectorELNS0_4arch9wavefront6targetE1EEEvS12_
    .private_segment_fixed_size: 0
    .sgpr_count:     4
    .sgpr_spill_count: 0
    .symbol:         _ZN7rocprim17ROCPRIM_400000_NS6detail17trampoline_kernelINS0_13select_configILj256ELj13ELNS0_17block_load_methodE3ELS4_3ELS4_3ELNS0_20block_scan_algorithmE0ELj4294967295EEENS1_25partition_config_selectorILNS1_17partition_subalgoE4EjNS0_10empty_typeEbEEZZNS1_14partition_implILS8_4ELb0ES6_15HIP_vector_typeIjLj2EENS0_17counting_iteratorIjlEEPS9_SG_NS0_5tupleIJPjSI_NS0_16reverse_iteratorISI_EEEEENSH_IJSG_SG_SG_EEES9_SI_JZNS1_25segmented_radix_sort_implINS0_14default_configELb0EPKhPhPKlPlN2at6native12_GLOBAL__N_18offset_tEEE10hipError_tPvRmT1_PNSt15iterator_traitsIS12_E10value_typeET2_T3_PNS13_IS18_E10value_typeET4_jRbjT5_S1E_jjP12ihipStream_tbEUljE_ZNSN_ISO_Lb0ESQ_SR_ST_SU_SY_EESZ_S10_S11_S12_S16_S17_S18_S1B_S1C_jS1D_jS1E_S1E_jjS1G_bEUljE0_EEESZ_S10_S11_S18_S1C_S1E_T6_T7_T9_mT8_S1G_bDpT10_ENKUlT_T0_E_clISt17integral_constantIbLb1EES1T_IbLb0EEEEDaS1P_S1Q_EUlS1P_E_NS1_11comp_targetILNS1_3genE0ELNS1_11target_archE4294967295ELNS1_3gpuE0ELNS1_3repE0EEENS1_30default_config_static_selectorELNS0_4arch9wavefront6targetE1EEEvS12_.kd
    .uniform_work_group_size: 1
    .uses_dynamic_stack: false
    .vgpr_count:     0
    .vgpr_spill_count: 0
    .wavefront_size: 64
  - .agpr_count:     0
    .args:
      - .offset:         0
        .size:           176
        .value_kind:     by_value
    .group_segment_fixed_size: 0
    .kernarg_segment_align: 8
    .kernarg_segment_size: 176
    .language:       OpenCL C
    .language_version:
      - 2
      - 0
    .max_flat_workgroup_size: 256
    .name:           _ZN7rocprim17ROCPRIM_400000_NS6detail17trampoline_kernelINS0_13select_configILj256ELj13ELNS0_17block_load_methodE3ELS4_3ELS4_3ELNS0_20block_scan_algorithmE0ELj4294967295EEENS1_25partition_config_selectorILNS1_17partition_subalgoE4EjNS0_10empty_typeEbEEZZNS1_14partition_implILS8_4ELb0ES6_15HIP_vector_typeIjLj2EENS0_17counting_iteratorIjlEEPS9_SG_NS0_5tupleIJPjSI_NS0_16reverse_iteratorISI_EEEEENSH_IJSG_SG_SG_EEES9_SI_JZNS1_25segmented_radix_sort_implINS0_14default_configELb0EPKhPhPKlPlN2at6native12_GLOBAL__N_18offset_tEEE10hipError_tPvRmT1_PNSt15iterator_traitsIS12_E10value_typeET2_T3_PNS13_IS18_E10value_typeET4_jRbjT5_S1E_jjP12ihipStream_tbEUljE_ZNSN_ISO_Lb0ESQ_SR_ST_SU_SY_EESZ_S10_S11_S12_S16_S17_S18_S1B_S1C_jS1D_jS1E_S1E_jjS1G_bEUljE0_EEESZ_S10_S11_S18_S1C_S1E_T6_T7_T9_mT8_S1G_bDpT10_ENKUlT_T0_E_clISt17integral_constantIbLb1EES1T_IbLb0EEEEDaS1P_S1Q_EUlS1P_E_NS1_11comp_targetILNS1_3genE5ELNS1_11target_archE942ELNS1_3gpuE9ELNS1_3repE0EEENS1_30default_config_static_selectorELNS0_4arch9wavefront6targetE1EEEvS12_
    .private_segment_fixed_size: 0
    .sgpr_count:     4
    .sgpr_spill_count: 0
    .symbol:         _ZN7rocprim17ROCPRIM_400000_NS6detail17trampoline_kernelINS0_13select_configILj256ELj13ELNS0_17block_load_methodE3ELS4_3ELS4_3ELNS0_20block_scan_algorithmE0ELj4294967295EEENS1_25partition_config_selectorILNS1_17partition_subalgoE4EjNS0_10empty_typeEbEEZZNS1_14partition_implILS8_4ELb0ES6_15HIP_vector_typeIjLj2EENS0_17counting_iteratorIjlEEPS9_SG_NS0_5tupleIJPjSI_NS0_16reverse_iteratorISI_EEEEENSH_IJSG_SG_SG_EEES9_SI_JZNS1_25segmented_radix_sort_implINS0_14default_configELb0EPKhPhPKlPlN2at6native12_GLOBAL__N_18offset_tEEE10hipError_tPvRmT1_PNSt15iterator_traitsIS12_E10value_typeET2_T3_PNS13_IS18_E10value_typeET4_jRbjT5_S1E_jjP12ihipStream_tbEUljE_ZNSN_ISO_Lb0ESQ_SR_ST_SU_SY_EESZ_S10_S11_S12_S16_S17_S18_S1B_S1C_jS1D_jS1E_S1E_jjS1G_bEUljE0_EEESZ_S10_S11_S18_S1C_S1E_T6_T7_T9_mT8_S1G_bDpT10_ENKUlT_T0_E_clISt17integral_constantIbLb1EES1T_IbLb0EEEEDaS1P_S1Q_EUlS1P_E_NS1_11comp_targetILNS1_3genE5ELNS1_11target_archE942ELNS1_3gpuE9ELNS1_3repE0EEENS1_30default_config_static_selectorELNS0_4arch9wavefront6targetE1EEEvS12_.kd
    .uniform_work_group_size: 1
    .uses_dynamic_stack: false
    .vgpr_count:     0
    .vgpr_spill_count: 0
    .wavefront_size: 64
  - .agpr_count:     0
    .args:
      - .offset:         0
        .size:           176
        .value_kind:     by_value
    .group_segment_fixed_size: 13340
    .kernarg_segment_align: 8
    .kernarg_segment_size: 176
    .language:       OpenCL C
    .language_version:
      - 2
      - 0
    .max_flat_workgroup_size: 256
    .name:           _ZN7rocprim17ROCPRIM_400000_NS6detail17trampoline_kernelINS0_13select_configILj256ELj13ELNS0_17block_load_methodE3ELS4_3ELS4_3ELNS0_20block_scan_algorithmE0ELj4294967295EEENS1_25partition_config_selectorILNS1_17partition_subalgoE4EjNS0_10empty_typeEbEEZZNS1_14partition_implILS8_4ELb0ES6_15HIP_vector_typeIjLj2EENS0_17counting_iteratorIjlEEPS9_SG_NS0_5tupleIJPjSI_NS0_16reverse_iteratorISI_EEEEENSH_IJSG_SG_SG_EEES9_SI_JZNS1_25segmented_radix_sort_implINS0_14default_configELb0EPKhPhPKlPlN2at6native12_GLOBAL__N_18offset_tEEE10hipError_tPvRmT1_PNSt15iterator_traitsIS12_E10value_typeET2_T3_PNS13_IS18_E10value_typeET4_jRbjT5_S1E_jjP12ihipStream_tbEUljE_ZNSN_ISO_Lb0ESQ_SR_ST_SU_SY_EESZ_S10_S11_S12_S16_S17_S18_S1B_S1C_jS1D_jS1E_S1E_jjS1G_bEUljE0_EEESZ_S10_S11_S18_S1C_S1E_T6_T7_T9_mT8_S1G_bDpT10_ENKUlT_T0_E_clISt17integral_constantIbLb1EES1T_IbLb0EEEEDaS1P_S1Q_EUlS1P_E_NS1_11comp_targetILNS1_3genE4ELNS1_11target_archE910ELNS1_3gpuE8ELNS1_3repE0EEENS1_30default_config_static_selectorELNS0_4arch9wavefront6targetE1EEEvS12_
    .private_segment_fixed_size: 0
    .sgpr_count:     94
    .sgpr_spill_count: 0
    .symbol:         _ZN7rocprim17ROCPRIM_400000_NS6detail17trampoline_kernelINS0_13select_configILj256ELj13ELNS0_17block_load_methodE3ELS4_3ELS4_3ELNS0_20block_scan_algorithmE0ELj4294967295EEENS1_25partition_config_selectorILNS1_17partition_subalgoE4EjNS0_10empty_typeEbEEZZNS1_14partition_implILS8_4ELb0ES6_15HIP_vector_typeIjLj2EENS0_17counting_iteratorIjlEEPS9_SG_NS0_5tupleIJPjSI_NS0_16reverse_iteratorISI_EEEEENSH_IJSG_SG_SG_EEES9_SI_JZNS1_25segmented_radix_sort_implINS0_14default_configELb0EPKhPhPKlPlN2at6native12_GLOBAL__N_18offset_tEEE10hipError_tPvRmT1_PNSt15iterator_traitsIS12_E10value_typeET2_T3_PNS13_IS18_E10value_typeET4_jRbjT5_S1E_jjP12ihipStream_tbEUljE_ZNSN_ISO_Lb0ESQ_SR_ST_SU_SY_EESZ_S10_S11_S12_S16_S17_S18_S1B_S1C_jS1D_jS1E_S1E_jjS1G_bEUljE0_EEESZ_S10_S11_S18_S1C_S1E_T6_T7_T9_mT8_S1G_bDpT10_ENKUlT_T0_E_clISt17integral_constantIbLb1EES1T_IbLb0EEEEDaS1P_S1Q_EUlS1P_E_NS1_11comp_targetILNS1_3genE4ELNS1_11target_archE910ELNS1_3gpuE8ELNS1_3repE0EEENS1_30default_config_static_selectorELNS0_4arch9wavefront6targetE1EEEvS12_.kd
    .uniform_work_group_size: 1
    .uses_dynamic_stack: false
    .vgpr_count:     102
    .vgpr_spill_count: 0
    .wavefront_size: 64
  - .agpr_count:     0
    .args:
      - .offset:         0
        .size:           176
        .value_kind:     by_value
    .group_segment_fixed_size: 0
    .kernarg_segment_align: 8
    .kernarg_segment_size: 176
    .language:       OpenCL C
    .language_version:
      - 2
      - 0
    .max_flat_workgroup_size: 256
    .name:           _ZN7rocprim17ROCPRIM_400000_NS6detail17trampoline_kernelINS0_13select_configILj256ELj13ELNS0_17block_load_methodE3ELS4_3ELS4_3ELNS0_20block_scan_algorithmE0ELj4294967295EEENS1_25partition_config_selectorILNS1_17partition_subalgoE4EjNS0_10empty_typeEbEEZZNS1_14partition_implILS8_4ELb0ES6_15HIP_vector_typeIjLj2EENS0_17counting_iteratorIjlEEPS9_SG_NS0_5tupleIJPjSI_NS0_16reverse_iteratorISI_EEEEENSH_IJSG_SG_SG_EEES9_SI_JZNS1_25segmented_radix_sort_implINS0_14default_configELb0EPKhPhPKlPlN2at6native12_GLOBAL__N_18offset_tEEE10hipError_tPvRmT1_PNSt15iterator_traitsIS12_E10value_typeET2_T3_PNS13_IS18_E10value_typeET4_jRbjT5_S1E_jjP12ihipStream_tbEUljE_ZNSN_ISO_Lb0ESQ_SR_ST_SU_SY_EESZ_S10_S11_S12_S16_S17_S18_S1B_S1C_jS1D_jS1E_S1E_jjS1G_bEUljE0_EEESZ_S10_S11_S18_S1C_S1E_T6_T7_T9_mT8_S1G_bDpT10_ENKUlT_T0_E_clISt17integral_constantIbLb1EES1T_IbLb0EEEEDaS1P_S1Q_EUlS1P_E_NS1_11comp_targetILNS1_3genE3ELNS1_11target_archE908ELNS1_3gpuE7ELNS1_3repE0EEENS1_30default_config_static_selectorELNS0_4arch9wavefront6targetE1EEEvS12_
    .private_segment_fixed_size: 0
    .sgpr_count:     4
    .sgpr_spill_count: 0
    .symbol:         _ZN7rocprim17ROCPRIM_400000_NS6detail17trampoline_kernelINS0_13select_configILj256ELj13ELNS0_17block_load_methodE3ELS4_3ELS4_3ELNS0_20block_scan_algorithmE0ELj4294967295EEENS1_25partition_config_selectorILNS1_17partition_subalgoE4EjNS0_10empty_typeEbEEZZNS1_14partition_implILS8_4ELb0ES6_15HIP_vector_typeIjLj2EENS0_17counting_iteratorIjlEEPS9_SG_NS0_5tupleIJPjSI_NS0_16reverse_iteratorISI_EEEEENSH_IJSG_SG_SG_EEES9_SI_JZNS1_25segmented_radix_sort_implINS0_14default_configELb0EPKhPhPKlPlN2at6native12_GLOBAL__N_18offset_tEEE10hipError_tPvRmT1_PNSt15iterator_traitsIS12_E10value_typeET2_T3_PNS13_IS18_E10value_typeET4_jRbjT5_S1E_jjP12ihipStream_tbEUljE_ZNSN_ISO_Lb0ESQ_SR_ST_SU_SY_EESZ_S10_S11_S12_S16_S17_S18_S1B_S1C_jS1D_jS1E_S1E_jjS1G_bEUljE0_EEESZ_S10_S11_S18_S1C_S1E_T6_T7_T9_mT8_S1G_bDpT10_ENKUlT_T0_E_clISt17integral_constantIbLb1EES1T_IbLb0EEEEDaS1P_S1Q_EUlS1P_E_NS1_11comp_targetILNS1_3genE3ELNS1_11target_archE908ELNS1_3gpuE7ELNS1_3repE0EEENS1_30default_config_static_selectorELNS0_4arch9wavefront6targetE1EEEvS12_.kd
    .uniform_work_group_size: 1
    .uses_dynamic_stack: false
    .vgpr_count:     0
    .vgpr_spill_count: 0
    .wavefront_size: 64
  - .agpr_count:     0
    .args:
      - .offset:         0
        .size:           176
        .value_kind:     by_value
    .group_segment_fixed_size: 0
    .kernarg_segment_align: 8
    .kernarg_segment_size: 176
    .language:       OpenCL C
    .language_version:
      - 2
      - 0
    .max_flat_workgroup_size: 256
    .name:           _ZN7rocprim17ROCPRIM_400000_NS6detail17trampoline_kernelINS0_13select_configILj256ELj13ELNS0_17block_load_methodE3ELS4_3ELS4_3ELNS0_20block_scan_algorithmE0ELj4294967295EEENS1_25partition_config_selectorILNS1_17partition_subalgoE4EjNS0_10empty_typeEbEEZZNS1_14partition_implILS8_4ELb0ES6_15HIP_vector_typeIjLj2EENS0_17counting_iteratorIjlEEPS9_SG_NS0_5tupleIJPjSI_NS0_16reverse_iteratorISI_EEEEENSH_IJSG_SG_SG_EEES9_SI_JZNS1_25segmented_radix_sort_implINS0_14default_configELb0EPKhPhPKlPlN2at6native12_GLOBAL__N_18offset_tEEE10hipError_tPvRmT1_PNSt15iterator_traitsIS12_E10value_typeET2_T3_PNS13_IS18_E10value_typeET4_jRbjT5_S1E_jjP12ihipStream_tbEUljE_ZNSN_ISO_Lb0ESQ_SR_ST_SU_SY_EESZ_S10_S11_S12_S16_S17_S18_S1B_S1C_jS1D_jS1E_S1E_jjS1G_bEUljE0_EEESZ_S10_S11_S18_S1C_S1E_T6_T7_T9_mT8_S1G_bDpT10_ENKUlT_T0_E_clISt17integral_constantIbLb1EES1T_IbLb0EEEEDaS1P_S1Q_EUlS1P_E_NS1_11comp_targetILNS1_3genE2ELNS1_11target_archE906ELNS1_3gpuE6ELNS1_3repE0EEENS1_30default_config_static_selectorELNS0_4arch9wavefront6targetE1EEEvS12_
    .private_segment_fixed_size: 0
    .sgpr_count:     4
    .sgpr_spill_count: 0
    .symbol:         _ZN7rocprim17ROCPRIM_400000_NS6detail17trampoline_kernelINS0_13select_configILj256ELj13ELNS0_17block_load_methodE3ELS4_3ELS4_3ELNS0_20block_scan_algorithmE0ELj4294967295EEENS1_25partition_config_selectorILNS1_17partition_subalgoE4EjNS0_10empty_typeEbEEZZNS1_14partition_implILS8_4ELb0ES6_15HIP_vector_typeIjLj2EENS0_17counting_iteratorIjlEEPS9_SG_NS0_5tupleIJPjSI_NS0_16reverse_iteratorISI_EEEEENSH_IJSG_SG_SG_EEES9_SI_JZNS1_25segmented_radix_sort_implINS0_14default_configELb0EPKhPhPKlPlN2at6native12_GLOBAL__N_18offset_tEEE10hipError_tPvRmT1_PNSt15iterator_traitsIS12_E10value_typeET2_T3_PNS13_IS18_E10value_typeET4_jRbjT5_S1E_jjP12ihipStream_tbEUljE_ZNSN_ISO_Lb0ESQ_SR_ST_SU_SY_EESZ_S10_S11_S12_S16_S17_S18_S1B_S1C_jS1D_jS1E_S1E_jjS1G_bEUljE0_EEESZ_S10_S11_S18_S1C_S1E_T6_T7_T9_mT8_S1G_bDpT10_ENKUlT_T0_E_clISt17integral_constantIbLb1EES1T_IbLb0EEEEDaS1P_S1Q_EUlS1P_E_NS1_11comp_targetILNS1_3genE2ELNS1_11target_archE906ELNS1_3gpuE6ELNS1_3repE0EEENS1_30default_config_static_selectorELNS0_4arch9wavefront6targetE1EEEvS12_.kd
    .uniform_work_group_size: 1
    .uses_dynamic_stack: false
    .vgpr_count:     0
    .vgpr_spill_count: 0
    .wavefront_size: 64
  - .agpr_count:     0
    .args:
      - .offset:         0
        .size:           176
        .value_kind:     by_value
    .group_segment_fixed_size: 0
    .kernarg_segment_align: 8
    .kernarg_segment_size: 176
    .language:       OpenCL C
    .language_version:
      - 2
      - 0
    .max_flat_workgroup_size: 256
    .name:           _ZN7rocprim17ROCPRIM_400000_NS6detail17trampoline_kernelINS0_13select_configILj256ELj13ELNS0_17block_load_methodE3ELS4_3ELS4_3ELNS0_20block_scan_algorithmE0ELj4294967295EEENS1_25partition_config_selectorILNS1_17partition_subalgoE4EjNS0_10empty_typeEbEEZZNS1_14partition_implILS8_4ELb0ES6_15HIP_vector_typeIjLj2EENS0_17counting_iteratorIjlEEPS9_SG_NS0_5tupleIJPjSI_NS0_16reverse_iteratorISI_EEEEENSH_IJSG_SG_SG_EEES9_SI_JZNS1_25segmented_radix_sort_implINS0_14default_configELb0EPKhPhPKlPlN2at6native12_GLOBAL__N_18offset_tEEE10hipError_tPvRmT1_PNSt15iterator_traitsIS12_E10value_typeET2_T3_PNS13_IS18_E10value_typeET4_jRbjT5_S1E_jjP12ihipStream_tbEUljE_ZNSN_ISO_Lb0ESQ_SR_ST_SU_SY_EESZ_S10_S11_S12_S16_S17_S18_S1B_S1C_jS1D_jS1E_S1E_jjS1G_bEUljE0_EEESZ_S10_S11_S18_S1C_S1E_T6_T7_T9_mT8_S1G_bDpT10_ENKUlT_T0_E_clISt17integral_constantIbLb1EES1T_IbLb0EEEEDaS1P_S1Q_EUlS1P_E_NS1_11comp_targetILNS1_3genE10ELNS1_11target_archE1200ELNS1_3gpuE4ELNS1_3repE0EEENS1_30default_config_static_selectorELNS0_4arch9wavefront6targetE1EEEvS12_
    .private_segment_fixed_size: 0
    .sgpr_count:     4
    .sgpr_spill_count: 0
    .symbol:         _ZN7rocprim17ROCPRIM_400000_NS6detail17trampoline_kernelINS0_13select_configILj256ELj13ELNS0_17block_load_methodE3ELS4_3ELS4_3ELNS0_20block_scan_algorithmE0ELj4294967295EEENS1_25partition_config_selectorILNS1_17partition_subalgoE4EjNS0_10empty_typeEbEEZZNS1_14partition_implILS8_4ELb0ES6_15HIP_vector_typeIjLj2EENS0_17counting_iteratorIjlEEPS9_SG_NS0_5tupleIJPjSI_NS0_16reverse_iteratorISI_EEEEENSH_IJSG_SG_SG_EEES9_SI_JZNS1_25segmented_radix_sort_implINS0_14default_configELb0EPKhPhPKlPlN2at6native12_GLOBAL__N_18offset_tEEE10hipError_tPvRmT1_PNSt15iterator_traitsIS12_E10value_typeET2_T3_PNS13_IS18_E10value_typeET4_jRbjT5_S1E_jjP12ihipStream_tbEUljE_ZNSN_ISO_Lb0ESQ_SR_ST_SU_SY_EESZ_S10_S11_S12_S16_S17_S18_S1B_S1C_jS1D_jS1E_S1E_jjS1G_bEUljE0_EEESZ_S10_S11_S18_S1C_S1E_T6_T7_T9_mT8_S1G_bDpT10_ENKUlT_T0_E_clISt17integral_constantIbLb1EES1T_IbLb0EEEEDaS1P_S1Q_EUlS1P_E_NS1_11comp_targetILNS1_3genE10ELNS1_11target_archE1200ELNS1_3gpuE4ELNS1_3repE0EEENS1_30default_config_static_selectorELNS0_4arch9wavefront6targetE1EEEvS12_.kd
    .uniform_work_group_size: 1
    .uses_dynamic_stack: false
    .vgpr_count:     0
    .vgpr_spill_count: 0
    .wavefront_size: 64
  - .agpr_count:     0
    .args:
      - .offset:         0
        .size:           176
        .value_kind:     by_value
    .group_segment_fixed_size: 0
    .kernarg_segment_align: 8
    .kernarg_segment_size: 176
    .language:       OpenCL C
    .language_version:
      - 2
      - 0
    .max_flat_workgroup_size: 256
    .name:           _ZN7rocprim17ROCPRIM_400000_NS6detail17trampoline_kernelINS0_13select_configILj256ELj13ELNS0_17block_load_methodE3ELS4_3ELS4_3ELNS0_20block_scan_algorithmE0ELj4294967295EEENS1_25partition_config_selectorILNS1_17partition_subalgoE4EjNS0_10empty_typeEbEEZZNS1_14partition_implILS8_4ELb0ES6_15HIP_vector_typeIjLj2EENS0_17counting_iteratorIjlEEPS9_SG_NS0_5tupleIJPjSI_NS0_16reverse_iteratorISI_EEEEENSH_IJSG_SG_SG_EEES9_SI_JZNS1_25segmented_radix_sort_implINS0_14default_configELb0EPKhPhPKlPlN2at6native12_GLOBAL__N_18offset_tEEE10hipError_tPvRmT1_PNSt15iterator_traitsIS12_E10value_typeET2_T3_PNS13_IS18_E10value_typeET4_jRbjT5_S1E_jjP12ihipStream_tbEUljE_ZNSN_ISO_Lb0ESQ_SR_ST_SU_SY_EESZ_S10_S11_S12_S16_S17_S18_S1B_S1C_jS1D_jS1E_S1E_jjS1G_bEUljE0_EEESZ_S10_S11_S18_S1C_S1E_T6_T7_T9_mT8_S1G_bDpT10_ENKUlT_T0_E_clISt17integral_constantIbLb1EES1T_IbLb0EEEEDaS1P_S1Q_EUlS1P_E_NS1_11comp_targetILNS1_3genE9ELNS1_11target_archE1100ELNS1_3gpuE3ELNS1_3repE0EEENS1_30default_config_static_selectorELNS0_4arch9wavefront6targetE1EEEvS12_
    .private_segment_fixed_size: 0
    .sgpr_count:     4
    .sgpr_spill_count: 0
    .symbol:         _ZN7rocprim17ROCPRIM_400000_NS6detail17trampoline_kernelINS0_13select_configILj256ELj13ELNS0_17block_load_methodE3ELS4_3ELS4_3ELNS0_20block_scan_algorithmE0ELj4294967295EEENS1_25partition_config_selectorILNS1_17partition_subalgoE4EjNS0_10empty_typeEbEEZZNS1_14partition_implILS8_4ELb0ES6_15HIP_vector_typeIjLj2EENS0_17counting_iteratorIjlEEPS9_SG_NS0_5tupleIJPjSI_NS0_16reverse_iteratorISI_EEEEENSH_IJSG_SG_SG_EEES9_SI_JZNS1_25segmented_radix_sort_implINS0_14default_configELb0EPKhPhPKlPlN2at6native12_GLOBAL__N_18offset_tEEE10hipError_tPvRmT1_PNSt15iterator_traitsIS12_E10value_typeET2_T3_PNS13_IS18_E10value_typeET4_jRbjT5_S1E_jjP12ihipStream_tbEUljE_ZNSN_ISO_Lb0ESQ_SR_ST_SU_SY_EESZ_S10_S11_S12_S16_S17_S18_S1B_S1C_jS1D_jS1E_S1E_jjS1G_bEUljE0_EEESZ_S10_S11_S18_S1C_S1E_T6_T7_T9_mT8_S1G_bDpT10_ENKUlT_T0_E_clISt17integral_constantIbLb1EES1T_IbLb0EEEEDaS1P_S1Q_EUlS1P_E_NS1_11comp_targetILNS1_3genE9ELNS1_11target_archE1100ELNS1_3gpuE3ELNS1_3repE0EEENS1_30default_config_static_selectorELNS0_4arch9wavefront6targetE1EEEvS12_.kd
    .uniform_work_group_size: 1
    .uses_dynamic_stack: false
    .vgpr_count:     0
    .vgpr_spill_count: 0
    .wavefront_size: 64
  - .agpr_count:     0
    .args:
      - .offset:         0
        .size:           176
        .value_kind:     by_value
    .group_segment_fixed_size: 0
    .kernarg_segment_align: 8
    .kernarg_segment_size: 176
    .language:       OpenCL C
    .language_version:
      - 2
      - 0
    .max_flat_workgroup_size: 256
    .name:           _ZN7rocprim17ROCPRIM_400000_NS6detail17trampoline_kernelINS0_13select_configILj256ELj13ELNS0_17block_load_methodE3ELS4_3ELS4_3ELNS0_20block_scan_algorithmE0ELj4294967295EEENS1_25partition_config_selectorILNS1_17partition_subalgoE4EjNS0_10empty_typeEbEEZZNS1_14partition_implILS8_4ELb0ES6_15HIP_vector_typeIjLj2EENS0_17counting_iteratorIjlEEPS9_SG_NS0_5tupleIJPjSI_NS0_16reverse_iteratorISI_EEEEENSH_IJSG_SG_SG_EEES9_SI_JZNS1_25segmented_radix_sort_implINS0_14default_configELb0EPKhPhPKlPlN2at6native12_GLOBAL__N_18offset_tEEE10hipError_tPvRmT1_PNSt15iterator_traitsIS12_E10value_typeET2_T3_PNS13_IS18_E10value_typeET4_jRbjT5_S1E_jjP12ihipStream_tbEUljE_ZNSN_ISO_Lb0ESQ_SR_ST_SU_SY_EESZ_S10_S11_S12_S16_S17_S18_S1B_S1C_jS1D_jS1E_S1E_jjS1G_bEUljE0_EEESZ_S10_S11_S18_S1C_S1E_T6_T7_T9_mT8_S1G_bDpT10_ENKUlT_T0_E_clISt17integral_constantIbLb1EES1T_IbLb0EEEEDaS1P_S1Q_EUlS1P_E_NS1_11comp_targetILNS1_3genE8ELNS1_11target_archE1030ELNS1_3gpuE2ELNS1_3repE0EEENS1_30default_config_static_selectorELNS0_4arch9wavefront6targetE1EEEvS12_
    .private_segment_fixed_size: 0
    .sgpr_count:     4
    .sgpr_spill_count: 0
    .symbol:         _ZN7rocprim17ROCPRIM_400000_NS6detail17trampoline_kernelINS0_13select_configILj256ELj13ELNS0_17block_load_methodE3ELS4_3ELS4_3ELNS0_20block_scan_algorithmE0ELj4294967295EEENS1_25partition_config_selectorILNS1_17partition_subalgoE4EjNS0_10empty_typeEbEEZZNS1_14partition_implILS8_4ELb0ES6_15HIP_vector_typeIjLj2EENS0_17counting_iteratorIjlEEPS9_SG_NS0_5tupleIJPjSI_NS0_16reverse_iteratorISI_EEEEENSH_IJSG_SG_SG_EEES9_SI_JZNS1_25segmented_radix_sort_implINS0_14default_configELb0EPKhPhPKlPlN2at6native12_GLOBAL__N_18offset_tEEE10hipError_tPvRmT1_PNSt15iterator_traitsIS12_E10value_typeET2_T3_PNS13_IS18_E10value_typeET4_jRbjT5_S1E_jjP12ihipStream_tbEUljE_ZNSN_ISO_Lb0ESQ_SR_ST_SU_SY_EESZ_S10_S11_S12_S16_S17_S18_S1B_S1C_jS1D_jS1E_S1E_jjS1G_bEUljE0_EEESZ_S10_S11_S18_S1C_S1E_T6_T7_T9_mT8_S1G_bDpT10_ENKUlT_T0_E_clISt17integral_constantIbLb1EES1T_IbLb0EEEEDaS1P_S1Q_EUlS1P_E_NS1_11comp_targetILNS1_3genE8ELNS1_11target_archE1030ELNS1_3gpuE2ELNS1_3repE0EEENS1_30default_config_static_selectorELNS0_4arch9wavefront6targetE1EEEvS12_.kd
    .uniform_work_group_size: 1
    .uses_dynamic_stack: false
    .vgpr_count:     0
    .vgpr_spill_count: 0
    .wavefront_size: 64
  - .agpr_count:     0
    .args:
      - .offset:         0
        .size:           184
        .value_kind:     by_value
    .group_segment_fixed_size: 0
    .kernarg_segment_align: 8
    .kernarg_segment_size: 184
    .language:       OpenCL C
    .language_version:
      - 2
      - 0
    .max_flat_workgroup_size: 256
    .name:           _ZN7rocprim17ROCPRIM_400000_NS6detail17trampoline_kernelINS0_13select_configILj256ELj13ELNS0_17block_load_methodE3ELS4_3ELS4_3ELNS0_20block_scan_algorithmE0ELj4294967295EEENS1_25partition_config_selectorILNS1_17partition_subalgoE4EjNS0_10empty_typeEbEEZZNS1_14partition_implILS8_4ELb0ES6_15HIP_vector_typeIjLj2EENS0_17counting_iteratorIjlEEPS9_SG_NS0_5tupleIJPjSI_NS0_16reverse_iteratorISI_EEEEENSH_IJSG_SG_SG_EEES9_SI_JZNS1_25segmented_radix_sort_implINS0_14default_configELb0EPKhPhPKlPlN2at6native12_GLOBAL__N_18offset_tEEE10hipError_tPvRmT1_PNSt15iterator_traitsIS12_E10value_typeET2_T3_PNS13_IS18_E10value_typeET4_jRbjT5_S1E_jjP12ihipStream_tbEUljE_ZNSN_ISO_Lb0ESQ_SR_ST_SU_SY_EESZ_S10_S11_S12_S16_S17_S18_S1B_S1C_jS1D_jS1E_S1E_jjS1G_bEUljE0_EEESZ_S10_S11_S18_S1C_S1E_T6_T7_T9_mT8_S1G_bDpT10_ENKUlT_T0_E_clISt17integral_constantIbLb0EES1T_IbLb1EEEEDaS1P_S1Q_EUlS1P_E_NS1_11comp_targetILNS1_3genE0ELNS1_11target_archE4294967295ELNS1_3gpuE0ELNS1_3repE0EEENS1_30default_config_static_selectorELNS0_4arch9wavefront6targetE1EEEvS12_
    .private_segment_fixed_size: 0
    .sgpr_count:     4
    .sgpr_spill_count: 0
    .symbol:         _ZN7rocprim17ROCPRIM_400000_NS6detail17trampoline_kernelINS0_13select_configILj256ELj13ELNS0_17block_load_methodE3ELS4_3ELS4_3ELNS0_20block_scan_algorithmE0ELj4294967295EEENS1_25partition_config_selectorILNS1_17partition_subalgoE4EjNS0_10empty_typeEbEEZZNS1_14partition_implILS8_4ELb0ES6_15HIP_vector_typeIjLj2EENS0_17counting_iteratorIjlEEPS9_SG_NS0_5tupleIJPjSI_NS0_16reverse_iteratorISI_EEEEENSH_IJSG_SG_SG_EEES9_SI_JZNS1_25segmented_radix_sort_implINS0_14default_configELb0EPKhPhPKlPlN2at6native12_GLOBAL__N_18offset_tEEE10hipError_tPvRmT1_PNSt15iterator_traitsIS12_E10value_typeET2_T3_PNS13_IS18_E10value_typeET4_jRbjT5_S1E_jjP12ihipStream_tbEUljE_ZNSN_ISO_Lb0ESQ_SR_ST_SU_SY_EESZ_S10_S11_S12_S16_S17_S18_S1B_S1C_jS1D_jS1E_S1E_jjS1G_bEUljE0_EEESZ_S10_S11_S18_S1C_S1E_T6_T7_T9_mT8_S1G_bDpT10_ENKUlT_T0_E_clISt17integral_constantIbLb0EES1T_IbLb1EEEEDaS1P_S1Q_EUlS1P_E_NS1_11comp_targetILNS1_3genE0ELNS1_11target_archE4294967295ELNS1_3gpuE0ELNS1_3repE0EEENS1_30default_config_static_selectorELNS0_4arch9wavefront6targetE1EEEvS12_.kd
    .uniform_work_group_size: 1
    .uses_dynamic_stack: false
    .vgpr_count:     0
    .vgpr_spill_count: 0
    .wavefront_size: 64
  - .agpr_count:     0
    .args:
      - .offset:         0
        .size:           184
        .value_kind:     by_value
    .group_segment_fixed_size: 0
    .kernarg_segment_align: 8
    .kernarg_segment_size: 184
    .language:       OpenCL C
    .language_version:
      - 2
      - 0
    .max_flat_workgroup_size: 256
    .name:           _ZN7rocprim17ROCPRIM_400000_NS6detail17trampoline_kernelINS0_13select_configILj256ELj13ELNS0_17block_load_methodE3ELS4_3ELS4_3ELNS0_20block_scan_algorithmE0ELj4294967295EEENS1_25partition_config_selectorILNS1_17partition_subalgoE4EjNS0_10empty_typeEbEEZZNS1_14partition_implILS8_4ELb0ES6_15HIP_vector_typeIjLj2EENS0_17counting_iteratorIjlEEPS9_SG_NS0_5tupleIJPjSI_NS0_16reverse_iteratorISI_EEEEENSH_IJSG_SG_SG_EEES9_SI_JZNS1_25segmented_radix_sort_implINS0_14default_configELb0EPKhPhPKlPlN2at6native12_GLOBAL__N_18offset_tEEE10hipError_tPvRmT1_PNSt15iterator_traitsIS12_E10value_typeET2_T3_PNS13_IS18_E10value_typeET4_jRbjT5_S1E_jjP12ihipStream_tbEUljE_ZNSN_ISO_Lb0ESQ_SR_ST_SU_SY_EESZ_S10_S11_S12_S16_S17_S18_S1B_S1C_jS1D_jS1E_S1E_jjS1G_bEUljE0_EEESZ_S10_S11_S18_S1C_S1E_T6_T7_T9_mT8_S1G_bDpT10_ENKUlT_T0_E_clISt17integral_constantIbLb0EES1T_IbLb1EEEEDaS1P_S1Q_EUlS1P_E_NS1_11comp_targetILNS1_3genE5ELNS1_11target_archE942ELNS1_3gpuE9ELNS1_3repE0EEENS1_30default_config_static_selectorELNS0_4arch9wavefront6targetE1EEEvS12_
    .private_segment_fixed_size: 0
    .sgpr_count:     4
    .sgpr_spill_count: 0
    .symbol:         _ZN7rocprim17ROCPRIM_400000_NS6detail17trampoline_kernelINS0_13select_configILj256ELj13ELNS0_17block_load_methodE3ELS4_3ELS4_3ELNS0_20block_scan_algorithmE0ELj4294967295EEENS1_25partition_config_selectorILNS1_17partition_subalgoE4EjNS0_10empty_typeEbEEZZNS1_14partition_implILS8_4ELb0ES6_15HIP_vector_typeIjLj2EENS0_17counting_iteratorIjlEEPS9_SG_NS0_5tupleIJPjSI_NS0_16reverse_iteratorISI_EEEEENSH_IJSG_SG_SG_EEES9_SI_JZNS1_25segmented_radix_sort_implINS0_14default_configELb0EPKhPhPKlPlN2at6native12_GLOBAL__N_18offset_tEEE10hipError_tPvRmT1_PNSt15iterator_traitsIS12_E10value_typeET2_T3_PNS13_IS18_E10value_typeET4_jRbjT5_S1E_jjP12ihipStream_tbEUljE_ZNSN_ISO_Lb0ESQ_SR_ST_SU_SY_EESZ_S10_S11_S12_S16_S17_S18_S1B_S1C_jS1D_jS1E_S1E_jjS1G_bEUljE0_EEESZ_S10_S11_S18_S1C_S1E_T6_T7_T9_mT8_S1G_bDpT10_ENKUlT_T0_E_clISt17integral_constantIbLb0EES1T_IbLb1EEEEDaS1P_S1Q_EUlS1P_E_NS1_11comp_targetILNS1_3genE5ELNS1_11target_archE942ELNS1_3gpuE9ELNS1_3repE0EEENS1_30default_config_static_selectorELNS0_4arch9wavefront6targetE1EEEvS12_.kd
    .uniform_work_group_size: 1
    .uses_dynamic_stack: false
    .vgpr_count:     0
    .vgpr_spill_count: 0
    .wavefront_size: 64
  - .agpr_count:     0
    .args:
      - .offset:         0
        .size:           184
        .value_kind:     by_value
    .group_segment_fixed_size: 13340
    .kernarg_segment_align: 8
    .kernarg_segment_size: 184
    .language:       OpenCL C
    .language_version:
      - 2
      - 0
    .max_flat_workgroup_size: 256
    .name:           _ZN7rocprim17ROCPRIM_400000_NS6detail17trampoline_kernelINS0_13select_configILj256ELj13ELNS0_17block_load_methodE3ELS4_3ELS4_3ELNS0_20block_scan_algorithmE0ELj4294967295EEENS1_25partition_config_selectorILNS1_17partition_subalgoE4EjNS0_10empty_typeEbEEZZNS1_14partition_implILS8_4ELb0ES6_15HIP_vector_typeIjLj2EENS0_17counting_iteratorIjlEEPS9_SG_NS0_5tupleIJPjSI_NS0_16reverse_iteratorISI_EEEEENSH_IJSG_SG_SG_EEES9_SI_JZNS1_25segmented_radix_sort_implINS0_14default_configELb0EPKhPhPKlPlN2at6native12_GLOBAL__N_18offset_tEEE10hipError_tPvRmT1_PNSt15iterator_traitsIS12_E10value_typeET2_T3_PNS13_IS18_E10value_typeET4_jRbjT5_S1E_jjP12ihipStream_tbEUljE_ZNSN_ISO_Lb0ESQ_SR_ST_SU_SY_EESZ_S10_S11_S12_S16_S17_S18_S1B_S1C_jS1D_jS1E_S1E_jjS1G_bEUljE0_EEESZ_S10_S11_S18_S1C_S1E_T6_T7_T9_mT8_S1G_bDpT10_ENKUlT_T0_E_clISt17integral_constantIbLb0EES1T_IbLb1EEEEDaS1P_S1Q_EUlS1P_E_NS1_11comp_targetILNS1_3genE4ELNS1_11target_archE910ELNS1_3gpuE8ELNS1_3repE0EEENS1_30default_config_static_selectorELNS0_4arch9wavefront6targetE1EEEvS12_
    .private_segment_fixed_size: 0
    .sgpr_count:     91
    .sgpr_spill_count: 0
    .symbol:         _ZN7rocprim17ROCPRIM_400000_NS6detail17trampoline_kernelINS0_13select_configILj256ELj13ELNS0_17block_load_methodE3ELS4_3ELS4_3ELNS0_20block_scan_algorithmE0ELj4294967295EEENS1_25partition_config_selectorILNS1_17partition_subalgoE4EjNS0_10empty_typeEbEEZZNS1_14partition_implILS8_4ELb0ES6_15HIP_vector_typeIjLj2EENS0_17counting_iteratorIjlEEPS9_SG_NS0_5tupleIJPjSI_NS0_16reverse_iteratorISI_EEEEENSH_IJSG_SG_SG_EEES9_SI_JZNS1_25segmented_radix_sort_implINS0_14default_configELb0EPKhPhPKlPlN2at6native12_GLOBAL__N_18offset_tEEE10hipError_tPvRmT1_PNSt15iterator_traitsIS12_E10value_typeET2_T3_PNS13_IS18_E10value_typeET4_jRbjT5_S1E_jjP12ihipStream_tbEUljE_ZNSN_ISO_Lb0ESQ_SR_ST_SU_SY_EESZ_S10_S11_S12_S16_S17_S18_S1B_S1C_jS1D_jS1E_S1E_jjS1G_bEUljE0_EEESZ_S10_S11_S18_S1C_S1E_T6_T7_T9_mT8_S1G_bDpT10_ENKUlT_T0_E_clISt17integral_constantIbLb0EES1T_IbLb1EEEEDaS1P_S1Q_EUlS1P_E_NS1_11comp_targetILNS1_3genE4ELNS1_11target_archE910ELNS1_3gpuE8ELNS1_3repE0EEENS1_30default_config_static_selectorELNS0_4arch9wavefront6targetE1EEEvS12_.kd
    .uniform_work_group_size: 1
    .uses_dynamic_stack: false
    .vgpr_count:     107
    .vgpr_spill_count: 0
    .wavefront_size: 64
  - .agpr_count:     0
    .args:
      - .offset:         0
        .size:           184
        .value_kind:     by_value
    .group_segment_fixed_size: 0
    .kernarg_segment_align: 8
    .kernarg_segment_size: 184
    .language:       OpenCL C
    .language_version:
      - 2
      - 0
    .max_flat_workgroup_size: 256
    .name:           _ZN7rocprim17ROCPRIM_400000_NS6detail17trampoline_kernelINS0_13select_configILj256ELj13ELNS0_17block_load_methodE3ELS4_3ELS4_3ELNS0_20block_scan_algorithmE0ELj4294967295EEENS1_25partition_config_selectorILNS1_17partition_subalgoE4EjNS0_10empty_typeEbEEZZNS1_14partition_implILS8_4ELb0ES6_15HIP_vector_typeIjLj2EENS0_17counting_iteratorIjlEEPS9_SG_NS0_5tupleIJPjSI_NS0_16reverse_iteratorISI_EEEEENSH_IJSG_SG_SG_EEES9_SI_JZNS1_25segmented_radix_sort_implINS0_14default_configELb0EPKhPhPKlPlN2at6native12_GLOBAL__N_18offset_tEEE10hipError_tPvRmT1_PNSt15iterator_traitsIS12_E10value_typeET2_T3_PNS13_IS18_E10value_typeET4_jRbjT5_S1E_jjP12ihipStream_tbEUljE_ZNSN_ISO_Lb0ESQ_SR_ST_SU_SY_EESZ_S10_S11_S12_S16_S17_S18_S1B_S1C_jS1D_jS1E_S1E_jjS1G_bEUljE0_EEESZ_S10_S11_S18_S1C_S1E_T6_T7_T9_mT8_S1G_bDpT10_ENKUlT_T0_E_clISt17integral_constantIbLb0EES1T_IbLb1EEEEDaS1P_S1Q_EUlS1P_E_NS1_11comp_targetILNS1_3genE3ELNS1_11target_archE908ELNS1_3gpuE7ELNS1_3repE0EEENS1_30default_config_static_selectorELNS0_4arch9wavefront6targetE1EEEvS12_
    .private_segment_fixed_size: 0
    .sgpr_count:     4
    .sgpr_spill_count: 0
    .symbol:         _ZN7rocprim17ROCPRIM_400000_NS6detail17trampoline_kernelINS0_13select_configILj256ELj13ELNS0_17block_load_methodE3ELS4_3ELS4_3ELNS0_20block_scan_algorithmE0ELj4294967295EEENS1_25partition_config_selectorILNS1_17partition_subalgoE4EjNS0_10empty_typeEbEEZZNS1_14partition_implILS8_4ELb0ES6_15HIP_vector_typeIjLj2EENS0_17counting_iteratorIjlEEPS9_SG_NS0_5tupleIJPjSI_NS0_16reverse_iteratorISI_EEEEENSH_IJSG_SG_SG_EEES9_SI_JZNS1_25segmented_radix_sort_implINS0_14default_configELb0EPKhPhPKlPlN2at6native12_GLOBAL__N_18offset_tEEE10hipError_tPvRmT1_PNSt15iterator_traitsIS12_E10value_typeET2_T3_PNS13_IS18_E10value_typeET4_jRbjT5_S1E_jjP12ihipStream_tbEUljE_ZNSN_ISO_Lb0ESQ_SR_ST_SU_SY_EESZ_S10_S11_S12_S16_S17_S18_S1B_S1C_jS1D_jS1E_S1E_jjS1G_bEUljE0_EEESZ_S10_S11_S18_S1C_S1E_T6_T7_T9_mT8_S1G_bDpT10_ENKUlT_T0_E_clISt17integral_constantIbLb0EES1T_IbLb1EEEEDaS1P_S1Q_EUlS1P_E_NS1_11comp_targetILNS1_3genE3ELNS1_11target_archE908ELNS1_3gpuE7ELNS1_3repE0EEENS1_30default_config_static_selectorELNS0_4arch9wavefront6targetE1EEEvS12_.kd
    .uniform_work_group_size: 1
    .uses_dynamic_stack: false
    .vgpr_count:     0
    .vgpr_spill_count: 0
    .wavefront_size: 64
  - .agpr_count:     0
    .args:
      - .offset:         0
        .size:           184
        .value_kind:     by_value
    .group_segment_fixed_size: 0
    .kernarg_segment_align: 8
    .kernarg_segment_size: 184
    .language:       OpenCL C
    .language_version:
      - 2
      - 0
    .max_flat_workgroup_size: 256
    .name:           _ZN7rocprim17ROCPRIM_400000_NS6detail17trampoline_kernelINS0_13select_configILj256ELj13ELNS0_17block_load_methodE3ELS4_3ELS4_3ELNS0_20block_scan_algorithmE0ELj4294967295EEENS1_25partition_config_selectorILNS1_17partition_subalgoE4EjNS0_10empty_typeEbEEZZNS1_14partition_implILS8_4ELb0ES6_15HIP_vector_typeIjLj2EENS0_17counting_iteratorIjlEEPS9_SG_NS0_5tupleIJPjSI_NS0_16reverse_iteratorISI_EEEEENSH_IJSG_SG_SG_EEES9_SI_JZNS1_25segmented_radix_sort_implINS0_14default_configELb0EPKhPhPKlPlN2at6native12_GLOBAL__N_18offset_tEEE10hipError_tPvRmT1_PNSt15iterator_traitsIS12_E10value_typeET2_T3_PNS13_IS18_E10value_typeET4_jRbjT5_S1E_jjP12ihipStream_tbEUljE_ZNSN_ISO_Lb0ESQ_SR_ST_SU_SY_EESZ_S10_S11_S12_S16_S17_S18_S1B_S1C_jS1D_jS1E_S1E_jjS1G_bEUljE0_EEESZ_S10_S11_S18_S1C_S1E_T6_T7_T9_mT8_S1G_bDpT10_ENKUlT_T0_E_clISt17integral_constantIbLb0EES1T_IbLb1EEEEDaS1P_S1Q_EUlS1P_E_NS1_11comp_targetILNS1_3genE2ELNS1_11target_archE906ELNS1_3gpuE6ELNS1_3repE0EEENS1_30default_config_static_selectorELNS0_4arch9wavefront6targetE1EEEvS12_
    .private_segment_fixed_size: 0
    .sgpr_count:     4
    .sgpr_spill_count: 0
    .symbol:         _ZN7rocprim17ROCPRIM_400000_NS6detail17trampoline_kernelINS0_13select_configILj256ELj13ELNS0_17block_load_methodE3ELS4_3ELS4_3ELNS0_20block_scan_algorithmE0ELj4294967295EEENS1_25partition_config_selectorILNS1_17partition_subalgoE4EjNS0_10empty_typeEbEEZZNS1_14partition_implILS8_4ELb0ES6_15HIP_vector_typeIjLj2EENS0_17counting_iteratorIjlEEPS9_SG_NS0_5tupleIJPjSI_NS0_16reverse_iteratorISI_EEEEENSH_IJSG_SG_SG_EEES9_SI_JZNS1_25segmented_radix_sort_implINS0_14default_configELb0EPKhPhPKlPlN2at6native12_GLOBAL__N_18offset_tEEE10hipError_tPvRmT1_PNSt15iterator_traitsIS12_E10value_typeET2_T3_PNS13_IS18_E10value_typeET4_jRbjT5_S1E_jjP12ihipStream_tbEUljE_ZNSN_ISO_Lb0ESQ_SR_ST_SU_SY_EESZ_S10_S11_S12_S16_S17_S18_S1B_S1C_jS1D_jS1E_S1E_jjS1G_bEUljE0_EEESZ_S10_S11_S18_S1C_S1E_T6_T7_T9_mT8_S1G_bDpT10_ENKUlT_T0_E_clISt17integral_constantIbLb0EES1T_IbLb1EEEEDaS1P_S1Q_EUlS1P_E_NS1_11comp_targetILNS1_3genE2ELNS1_11target_archE906ELNS1_3gpuE6ELNS1_3repE0EEENS1_30default_config_static_selectorELNS0_4arch9wavefront6targetE1EEEvS12_.kd
    .uniform_work_group_size: 1
    .uses_dynamic_stack: false
    .vgpr_count:     0
    .vgpr_spill_count: 0
    .wavefront_size: 64
  - .agpr_count:     0
    .args:
      - .offset:         0
        .size:           184
        .value_kind:     by_value
    .group_segment_fixed_size: 0
    .kernarg_segment_align: 8
    .kernarg_segment_size: 184
    .language:       OpenCL C
    .language_version:
      - 2
      - 0
    .max_flat_workgroup_size: 256
    .name:           _ZN7rocprim17ROCPRIM_400000_NS6detail17trampoline_kernelINS0_13select_configILj256ELj13ELNS0_17block_load_methodE3ELS4_3ELS4_3ELNS0_20block_scan_algorithmE0ELj4294967295EEENS1_25partition_config_selectorILNS1_17partition_subalgoE4EjNS0_10empty_typeEbEEZZNS1_14partition_implILS8_4ELb0ES6_15HIP_vector_typeIjLj2EENS0_17counting_iteratorIjlEEPS9_SG_NS0_5tupleIJPjSI_NS0_16reverse_iteratorISI_EEEEENSH_IJSG_SG_SG_EEES9_SI_JZNS1_25segmented_radix_sort_implINS0_14default_configELb0EPKhPhPKlPlN2at6native12_GLOBAL__N_18offset_tEEE10hipError_tPvRmT1_PNSt15iterator_traitsIS12_E10value_typeET2_T3_PNS13_IS18_E10value_typeET4_jRbjT5_S1E_jjP12ihipStream_tbEUljE_ZNSN_ISO_Lb0ESQ_SR_ST_SU_SY_EESZ_S10_S11_S12_S16_S17_S18_S1B_S1C_jS1D_jS1E_S1E_jjS1G_bEUljE0_EEESZ_S10_S11_S18_S1C_S1E_T6_T7_T9_mT8_S1G_bDpT10_ENKUlT_T0_E_clISt17integral_constantIbLb0EES1T_IbLb1EEEEDaS1P_S1Q_EUlS1P_E_NS1_11comp_targetILNS1_3genE10ELNS1_11target_archE1200ELNS1_3gpuE4ELNS1_3repE0EEENS1_30default_config_static_selectorELNS0_4arch9wavefront6targetE1EEEvS12_
    .private_segment_fixed_size: 0
    .sgpr_count:     4
    .sgpr_spill_count: 0
    .symbol:         _ZN7rocprim17ROCPRIM_400000_NS6detail17trampoline_kernelINS0_13select_configILj256ELj13ELNS0_17block_load_methodE3ELS4_3ELS4_3ELNS0_20block_scan_algorithmE0ELj4294967295EEENS1_25partition_config_selectorILNS1_17partition_subalgoE4EjNS0_10empty_typeEbEEZZNS1_14partition_implILS8_4ELb0ES6_15HIP_vector_typeIjLj2EENS0_17counting_iteratorIjlEEPS9_SG_NS0_5tupleIJPjSI_NS0_16reverse_iteratorISI_EEEEENSH_IJSG_SG_SG_EEES9_SI_JZNS1_25segmented_radix_sort_implINS0_14default_configELb0EPKhPhPKlPlN2at6native12_GLOBAL__N_18offset_tEEE10hipError_tPvRmT1_PNSt15iterator_traitsIS12_E10value_typeET2_T3_PNS13_IS18_E10value_typeET4_jRbjT5_S1E_jjP12ihipStream_tbEUljE_ZNSN_ISO_Lb0ESQ_SR_ST_SU_SY_EESZ_S10_S11_S12_S16_S17_S18_S1B_S1C_jS1D_jS1E_S1E_jjS1G_bEUljE0_EEESZ_S10_S11_S18_S1C_S1E_T6_T7_T9_mT8_S1G_bDpT10_ENKUlT_T0_E_clISt17integral_constantIbLb0EES1T_IbLb1EEEEDaS1P_S1Q_EUlS1P_E_NS1_11comp_targetILNS1_3genE10ELNS1_11target_archE1200ELNS1_3gpuE4ELNS1_3repE0EEENS1_30default_config_static_selectorELNS0_4arch9wavefront6targetE1EEEvS12_.kd
    .uniform_work_group_size: 1
    .uses_dynamic_stack: false
    .vgpr_count:     0
    .vgpr_spill_count: 0
    .wavefront_size: 64
  - .agpr_count:     0
    .args:
      - .offset:         0
        .size:           184
        .value_kind:     by_value
    .group_segment_fixed_size: 0
    .kernarg_segment_align: 8
    .kernarg_segment_size: 184
    .language:       OpenCL C
    .language_version:
      - 2
      - 0
    .max_flat_workgroup_size: 256
    .name:           _ZN7rocprim17ROCPRIM_400000_NS6detail17trampoline_kernelINS0_13select_configILj256ELj13ELNS0_17block_load_methodE3ELS4_3ELS4_3ELNS0_20block_scan_algorithmE0ELj4294967295EEENS1_25partition_config_selectorILNS1_17partition_subalgoE4EjNS0_10empty_typeEbEEZZNS1_14partition_implILS8_4ELb0ES6_15HIP_vector_typeIjLj2EENS0_17counting_iteratorIjlEEPS9_SG_NS0_5tupleIJPjSI_NS0_16reverse_iteratorISI_EEEEENSH_IJSG_SG_SG_EEES9_SI_JZNS1_25segmented_radix_sort_implINS0_14default_configELb0EPKhPhPKlPlN2at6native12_GLOBAL__N_18offset_tEEE10hipError_tPvRmT1_PNSt15iterator_traitsIS12_E10value_typeET2_T3_PNS13_IS18_E10value_typeET4_jRbjT5_S1E_jjP12ihipStream_tbEUljE_ZNSN_ISO_Lb0ESQ_SR_ST_SU_SY_EESZ_S10_S11_S12_S16_S17_S18_S1B_S1C_jS1D_jS1E_S1E_jjS1G_bEUljE0_EEESZ_S10_S11_S18_S1C_S1E_T6_T7_T9_mT8_S1G_bDpT10_ENKUlT_T0_E_clISt17integral_constantIbLb0EES1T_IbLb1EEEEDaS1P_S1Q_EUlS1P_E_NS1_11comp_targetILNS1_3genE9ELNS1_11target_archE1100ELNS1_3gpuE3ELNS1_3repE0EEENS1_30default_config_static_selectorELNS0_4arch9wavefront6targetE1EEEvS12_
    .private_segment_fixed_size: 0
    .sgpr_count:     4
    .sgpr_spill_count: 0
    .symbol:         _ZN7rocprim17ROCPRIM_400000_NS6detail17trampoline_kernelINS0_13select_configILj256ELj13ELNS0_17block_load_methodE3ELS4_3ELS4_3ELNS0_20block_scan_algorithmE0ELj4294967295EEENS1_25partition_config_selectorILNS1_17partition_subalgoE4EjNS0_10empty_typeEbEEZZNS1_14partition_implILS8_4ELb0ES6_15HIP_vector_typeIjLj2EENS0_17counting_iteratorIjlEEPS9_SG_NS0_5tupleIJPjSI_NS0_16reverse_iteratorISI_EEEEENSH_IJSG_SG_SG_EEES9_SI_JZNS1_25segmented_radix_sort_implINS0_14default_configELb0EPKhPhPKlPlN2at6native12_GLOBAL__N_18offset_tEEE10hipError_tPvRmT1_PNSt15iterator_traitsIS12_E10value_typeET2_T3_PNS13_IS18_E10value_typeET4_jRbjT5_S1E_jjP12ihipStream_tbEUljE_ZNSN_ISO_Lb0ESQ_SR_ST_SU_SY_EESZ_S10_S11_S12_S16_S17_S18_S1B_S1C_jS1D_jS1E_S1E_jjS1G_bEUljE0_EEESZ_S10_S11_S18_S1C_S1E_T6_T7_T9_mT8_S1G_bDpT10_ENKUlT_T0_E_clISt17integral_constantIbLb0EES1T_IbLb1EEEEDaS1P_S1Q_EUlS1P_E_NS1_11comp_targetILNS1_3genE9ELNS1_11target_archE1100ELNS1_3gpuE3ELNS1_3repE0EEENS1_30default_config_static_selectorELNS0_4arch9wavefront6targetE1EEEvS12_.kd
    .uniform_work_group_size: 1
    .uses_dynamic_stack: false
    .vgpr_count:     0
    .vgpr_spill_count: 0
    .wavefront_size: 64
  - .agpr_count:     0
    .args:
      - .offset:         0
        .size:           184
        .value_kind:     by_value
    .group_segment_fixed_size: 0
    .kernarg_segment_align: 8
    .kernarg_segment_size: 184
    .language:       OpenCL C
    .language_version:
      - 2
      - 0
    .max_flat_workgroup_size: 256
    .name:           _ZN7rocprim17ROCPRIM_400000_NS6detail17trampoline_kernelINS0_13select_configILj256ELj13ELNS0_17block_load_methodE3ELS4_3ELS4_3ELNS0_20block_scan_algorithmE0ELj4294967295EEENS1_25partition_config_selectorILNS1_17partition_subalgoE4EjNS0_10empty_typeEbEEZZNS1_14partition_implILS8_4ELb0ES6_15HIP_vector_typeIjLj2EENS0_17counting_iteratorIjlEEPS9_SG_NS0_5tupleIJPjSI_NS0_16reverse_iteratorISI_EEEEENSH_IJSG_SG_SG_EEES9_SI_JZNS1_25segmented_radix_sort_implINS0_14default_configELb0EPKhPhPKlPlN2at6native12_GLOBAL__N_18offset_tEEE10hipError_tPvRmT1_PNSt15iterator_traitsIS12_E10value_typeET2_T3_PNS13_IS18_E10value_typeET4_jRbjT5_S1E_jjP12ihipStream_tbEUljE_ZNSN_ISO_Lb0ESQ_SR_ST_SU_SY_EESZ_S10_S11_S12_S16_S17_S18_S1B_S1C_jS1D_jS1E_S1E_jjS1G_bEUljE0_EEESZ_S10_S11_S18_S1C_S1E_T6_T7_T9_mT8_S1G_bDpT10_ENKUlT_T0_E_clISt17integral_constantIbLb0EES1T_IbLb1EEEEDaS1P_S1Q_EUlS1P_E_NS1_11comp_targetILNS1_3genE8ELNS1_11target_archE1030ELNS1_3gpuE2ELNS1_3repE0EEENS1_30default_config_static_selectorELNS0_4arch9wavefront6targetE1EEEvS12_
    .private_segment_fixed_size: 0
    .sgpr_count:     4
    .sgpr_spill_count: 0
    .symbol:         _ZN7rocprim17ROCPRIM_400000_NS6detail17trampoline_kernelINS0_13select_configILj256ELj13ELNS0_17block_load_methodE3ELS4_3ELS4_3ELNS0_20block_scan_algorithmE0ELj4294967295EEENS1_25partition_config_selectorILNS1_17partition_subalgoE4EjNS0_10empty_typeEbEEZZNS1_14partition_implILS8_4ELb0ES6_15HIP_vector_typeIjLj2EENS0_17counting_iteratorIjlEEPS9_SG_NS0_5tupleIJPjSI_NS0_16reverse_iteratorISI_EEEEENSH_IJSG_SG_SG_EEES9_SI_JZNS1_25segmented_radix_sort_implINS0_14default_configELb0EPKhPhPKlPlN2at6native12_GLOBAL__N_18offset_tEEE10hipError_tPvRmT1_PNSt15iterator_traitsIS12_E10value_typeET2_T3_PNS13_IS18_E10value_typeET4_jRbjT5_S1E_jjP12ihipStream_tbEUljE_ZNSN_ISO_Lb0ESQ_SR_ST_SU_SY_EESZ_S10_S11_S12_S16_S17_S18_S1B_S1C_jS1D_jS1E_S1E_jjS1G_bEUljE0_EEESZ_S10_S11_S18_S1C_S1E_T6_T7_T9_mT8_S1G_bDpT10_ENKUlT_T0_E_clISt17integral_constantIbLb0EES1T_IbLb1EEEEDaS1P_S1Q_EUlS1P_E_NS1_11comp_targetILNS1_3genE8ELNS1_11target_archE1030ELNS1_3gpuE2ELNS1_3repE0EEENS1_30default_config_static_selectorELNS0_4arch9wavefront6targetE1EEEvS12_.kd
    .uniform_work_group_size: 1
    .uses_dynamic_stack: false
    .vgpr_count:     0
    .vgpr_spill_count: 0
    .wavefront_size: 64
  - .agpr_count:     0
    .args:
      - .offset:         0
        .size:           144
        .value_kind:     by_value
    .group_segment_fixed_size: 0
    .kernarg_segment_align: 8
    .kernarg_segment_size: 144
    .language:       OpenCL C
    .language_version:
      - 2
      - 0
    .max_flat_workgroup_size: 256
    .name:           _ZN7rocprim17ROCPRIM_400000_NS6detail17trampoline_kernelINS0_13select_configILj256ELj13ELNS0_17block_load_methodE3ELS4_3ELS4_3ELNS0_20block_scan_algorithmE0ELj4294967295EEENS1_25partition_config_selectorILNS1_17partition_subalgoE3EjNS0_10empty_typeEbEEZZNS1_14partition_implILS8_3ELb0ES6_jNS0_17counting_iteratorIjlEEPS9_SE_NS0_5tupleIJPjSE_EEENSF_IJSE_SE_EEES9_SG_JZNS1_25segmented_radix_sort_implINS0_14default_configELb0EPKhPhPKlPlN2at6native12_GLOBAL__N_18offset_tEEE10hipError_tPvRmT1_PNSt15iterator_traitsISY_E10value_typeET2_T3_PNSZ_IS14_E10value_typeET4_jRbjT5_S1A_jjP12ihipStream_tbEUljE_EEESV_SW_SX_S14_S18_S1A_T6_T7_T9_mT8_S1C_bDpT10_ENKUlT_T0_E_clISt17integral_constantIbLb0EES1P_EEDaS1K_S1L_EUlS1K_E_NS1_11comp_targetILNS1_3genE0ELNS1_11target_archE4294967295ELNS1_3gpuE0ELNS1_3repE0EEENS1_30default_config_static_selectorELNS0_4arch9wavefront6targetE1EEEvSY_
    .private_segment_fixed_size: 0
    .sgpr_count:     4
    .sgpr_spill_count: 0
    .symbol:         _ZN7rocprim17ROCPRIM_400000_NS6detail17trampoline_kernelINS0_13select_configILj256ELj13ELNS0_17block_load_methodE3ELS4_3ELS4_3ELNS0_20block_scan_algorithmE0ELj4294967295EEENS1_25partition_config_selectorILNS1_17partition_subalgoE3EjNS0_10empty_typeEbEEZZNS1_14partition_implILS8_3ELb0ES6_jNS0_17counting_iteratorIjlEEPS9_SE_NS0_5tupleIJPjSE_EEENSF_IJSE_SE_EEES9_SG_JZNS1_25segmented_radix_sort_implINS0_14default_configELb0EPKhPhPKlPlN2at6native12_GLOBAL__N_18offset_tEEE10hipError_tPvRmT1_PNSt15iterator_traitsISY_E10value_typeET2_T3_PNSZ_IS14_E10value_typeET4_jRbjT5_S1A_jjP12ihipStream_tbEUljE_EEESV_SW_SX_S14_S18_S1A_T6_T7_T9_mT8_S1C_bDpT10_ENKUlT_T0_E_clISt17integral_constantIbLb0EES1P_EEDaS1K_S1L_EUlS1K_E_NS1_11comp_targetILNS1_3genE0ELNS1_11target_archE4294967295ELNS1_3gpuE0ELNS1_3repE0EEENS1_30default_config_static_selectorELNS0_4arch9wavefront6targetE1EEEvSY_.kd
    .uniform_work_group_size: 1
    .uses_dynamic_stack: false
    .vgpr_count:     0
    .vgpr_spill_count: 0
    .wavefront_size: 64
  - .agpr_count:     0
    .args:
      - .offset:         0
        .size:           144
        .value_kind:     by_value
    .group_segment_fixed_size: 0
    .kernarg_segment_align: 8
    .kernarg_segment_size: 144
    .language:       OpenCL C
    .language_version:
      - 2
      - 0
    .max_flat_workgroup_size: 256
    .name:           _ZN7rocprim17ROCPRIM_400000_NS6detail17trampoline_kernelINS0_13select_configILj256ELj13ELNS0_17block_load_methodE3ELS4_3ELS4_3ELNS0_20block_scan_algorithmE0ELj4294967295EEENS1_25partition_config_selectorILNS1_17partition_subalgoE3EjNS0_10empty_typeEbEEZZNS1_14partition_implILS8_3ELb0ES6_jNS0_17counting_iteratorIjlEEPS9_SE_NS0_5tupleIJPjSE_EEENSF_IJSE_SE_EEES9_SG_JZNS1_25segmented_radix_sort_implINS0_14default_configELb0EPKhPhPKlPlN2at6native12_GLOBAL__N_18offset_tEEE10hipError_tPvRmT1_PNSt15iterator_traitsISY_E10value_typeET2_T3_PNSZ_IS14_E10value_typeET4_jRbjT5_S1A_jjP12ihipStream_tbEUljE_EEESV_SW_SX_S14_S18_S1A_T6_T7_T9_mT8_S1C_bDpT10_ENKUlT_T0_E_clISt17integral_constantIbLb0EES1P_EEDaS1K_S1L_EUlS1K_E_NS1_11comp_targetILNS1_3genE5ELNS1_11target_archE942ELNS1_3gpuE9ELNS1_3repE0EEENS1_30default_config_static_selectorELNS0_4arch9wavefront6targetE1EEEvSY_
    .private_segment_fixed_size: 0
    .sgpr_count:     4
    .sgpr_spill_count: 0
    .symbol:         _ZN7rocprim17ROCPRIM_400000_NS6detail17trampoline_kernelINS0_13select_configILj256ELj13ELNS0_17block_load_methodE3ELS4_3ELS4_3ELNS0_20block_scan_algorithmE0ELj4294967295EEENS1_25partition_config_selectorILNS1_17partition_subalgoE3EjNS0_10empty_typeEbEEZZNS1_14partition_implILS8_3ELb0ES6_jNS0_17counting_iteratorIjlEEPS9_SE_NS0_5tupleIJPjSE_EEENSF_IJSE_SE_EEES9_SG_JZNS1_25segmented_radix_sort_implINS0_14default_configELb0EPKhPhPKlPlN2at6native12_GLOBAL__N_18offset_tEEE10hipError_tPvRmT1_PNSt15iterator_traitsISY_E10value_typeET2_T3_PNSZ_IS14_E10value_typeET4_jRbjT5_S1A_jjP12ihipStream_tbEUljE_EEESV_SW_SX_S14_S18_S1A_T6_T7_T9_mT8_S1C_bDpT10_ENKUlT_T0_E_clISt17integral_constantIbLb0EES1P_EEDaS1K_S1L_EUlS1K_E_NS1_11comp_targetILNS1_3genE5ELNS1_11target_archE942ELNS1_3gpuE9ELNS1_3repE0EEENS1_30default_config_static_selectorELNS0_4arch9wavefront6targetE1EEEvSY_.kd
    .uniform_work_group_size: 1
    .uses_dynamic_stack: false
    .vgpr_count:     0
    .vgpr_spill_count: 0
    .wavefront_size: 64
  - .agpr_count:     0
    .args:
      - .offset:         0
        .size:           144
        .value_kind:     by_value
    .group_segment_fixed_size: 13324
    .kernarg_segment_align: 8
    .kernarg_segment_size: 144
    .language:       OpenCL C
    .language_version:
      - 2
      - 0
    .max_flat_workgroup_size: 256
    .name:           _ZN7rocprim17ROCPRIM_400000_NS6detail17trampoline_kernelINS0_13select_configILj256ELj13ELNS0_17block_load_methodE3ELS4_3ELS4_3ELNS0_20block_scan_algorithmE0ELj4294967295EEENS1_25partition_config_selectorILNS1_17partition_subalgoE3EjNS0_10empty_typeEbEEZZNS1_14partition_implILS8_3ELb0ES6_jNS0_17counting_iteratorIjlEEPS9_SE_NS0_5tupleIJPjSE_EEENSF_IJSE_SE_EEES9_SG_JZNS1_25segmented_radix_sort_implINS0_14default_configELb0EPKhPhPKlPlN2at6native12_GLOBAL__N_18offset_tEEE10hipError_tPvRmT1_PNSt15iterator_traitsISY_E10value_typeET2_T3_PNSZ_IS14_E10value_typeET4_jRbjT5_S1A_jjP12ihipStream_tbEUljE_EEESV_SW_SX_S14_S18_S1A_T6_T7_T9_mT8_S1C_bDpT10_ENKUlT_T0_E_clISt17integral_constantIbLb0EES1P_EEDaS1K_S1L_EUlS1K_E_NS1_11comp_targetILNS1_3genE4ELNS1_11target_archE910ELNS1_3gpuE8ELNS1_3repE0EEENS1_30default_config_static_selectorELNS0_4arch9wavefront6targetE1EEEvSY_
    .private_segment_fixed_size: 0
    .sgpr_count:     50
    .sgpr_spill_count: 0
    .symbol:         _ZN7rocprim17ROCPRIM_400000_NS6detail17trampoline_kernelINS0_13select_configILj256ELj13ELNS0_17block_load_methodE3ELS4_3ELS4_3ELNS0_20block_scan_algorithmE0ELj4294967295EEENS1_25partition_config_selectorILNS1_17partition_subalgoE3EjNS0_10empty_typeEbEEZZNS1_14partition_implILS8_3ELb0ES6_jNS0_17counting_iteratorIjlEEPS9_SE_NS0_5tupleIJPjSE_EEENSF_IJSE_SE_EEES9_SG_JZNS1_25segmented_radix_sort_implINS0_14default_configELb0EPKhPhPKlPlN2at6native12_GLOBAL__N_18offset_tEEE10hipError_tPvRmT1_PNSt15iterator_traitsISY_E10value_typeET2_T3_PNSZ_IS14_E10value_typeET4_jRbjT5_S1A_jjP12ihipStream_tbEUljE_EEESV_SW_SX_S14_S18_S1A_T6_T7_T9_mT8_S1C_bDpT10_ENKUlT_T0_E_clISt17integral_constantIbLb0EES1P_EEDaS1K_S1L_EUlS1K_E_NS1_11comp_targetILNS1_3genE4ELNS1_11target_archE910ELNS1_3gpuE8ELNS1_3repE0EEENS1_30default_config_static_selectorELNS0_4arch9wavefront6targetE1EEEvSY_.kd
    .uniform_work_group_size: 1
    .uses_dynamic_stack: false
    .vgpr_count:     61
    .vgpr_spill_count: 0
    .wavefront_size: 64
  - .agpr_count:     0
    .args:
      - .offset:         0
        .size:           144
        .value_kind:     by_value
    .group_segment_fixed_size: 0
    .kernarg_segment_align: 8
    .kernarg_segment_size: 144
    .language:       OpenCL C
    .language_version:
      - 2
      - 0
    .max_flat_workgroup_size: 256
    .name:           _ZN7rocprim17ROCPRIM_400000_NS6detail17trampoline_kernelINS0_13select_configILj256ELj13ELNS0_17block_load_methodE3ELS4_3ELS4_3ELNS0_20block_scan_algorithmE0ELj4294967295EEENS1_25partition_config_selectorILNS1_17partition_subalgoE3EjNS0_10empty_typeEbEEZZNS1_14partition_implILS8_3ELb0ES6_jNS0_17counting_iteratorIjlEEPS9_SE_NS0_5tupleIJPjSE_EEENSF_IJSE_SE_EEES9_SG_JZNS1_25segmented_radix_sort_implINS0_14default_configELb0EPKhPhPKlPlN2at6native12_GLOBAL__N_18offset_tEEE10hipError_tPvRmT1_PNSt15iterator_traitsISY_E10value_typeET2_T3_PNSZ_IS14_E10value_typeET4_jRbjT5_S1A_jjP12ihipStream_tbEUljE_EEESV_SW_SX_S14_S18_S1A_T6_T7_T9_mT8_S1C_bDpT10_ENKUlT_T0_E_clISt17integral_constantIbLb0EES1P_EEDaS1K_S1L_EUlS1K_E_NS1_11comp_targetILNS1_3genE3ELNS1_11target_archE908ELNS1_3gpuE7ELNS1_3repE0EEENS1_30default_config_static_selectorELNS0_4arch9wavefront6targetE1EEEvSY_
    .private_segment_fixed_size: 0
    .sgpr_count:     4
    .sgpr_spill_count: 0
    .symbol:         _ZN7rocprim17ROCPRIM_400000_NS6detail17trampoline_kernelINS0_13select_configILj256ELj13ELNS0_17block_load_methodE3ELS4_3ELS4_3ELNS0_20block_scan_algorithmE0ELj4294967295EEENS1_25partition_config_selectorILNS1_17partition_subalgoE3EjNS0_10empty_typeEbEEZZNS1_14partition_implILS8_3ELb0ES6_jNS0_17counting_iteratorIjlEEPS9_SE_NS0_5tupleIJPjSE_EEENSF_IJSE_SE_EEES9_SG_JZNS1_25segmented_radix_sort_implINS0_14default_configELb0EPKhPhPKlPlN2at6native12_GLOBAL__N_18offset_tEEE10hipError_tPvRmT1_PNSt15iterator_traitsISY_E10value_typeET2_T3_PNSZ_IS14_E10value_typeET4_jRbjT5_S1A_jjP12ihipStream_tbEUljE_EEESV_SW_SX_S14_S18_S1A_T6_T7_T9_mT8_S1C_bDpT10_ENKUlT_T0_E_clISt17integral_constantIbLb0EES1P_EEDaS1K_S1L_EUlS1K_E_NS1_11comp_targetILNS1_3genE3ELNS1_11target_archE908ELNS1_3gpuE7ELNS1_3repE0EEENS1_30default_config_static_selectorELNS0_4arch9wavefront6targetE1EEEvSY_.kd
    .uniform_work_group_size: 1
    .uses_dynamic_stack: false
    .vgpr_count:     0
    .vgpr_spill_count: 0
    .wavefront_size: 64
  - .agpr_count:     0
    .args:
      - .offset:         0
        .size:           144
        .value_kind:     by_value
    .group_segment_fixed_size: 0
    .kernarg_segment_align: 8
    .kernarg_segment_size: 144
    .language:       OpenCL C
    .language_version:
      - 2
      - 0
    .max_flat_workgroup_size: 256
    .name:           _ZN7rocprim17ROCPRIM_400000_NS6detail17trampoline_kernelINS0_13select_configILj256ELj13ELNS0_17block_load_methodE3ELS4_3ELS4_3ELNS0_20block_scan_algorithmE0ELj4294967295EEENS1_25partition_config_selectorILNS1_17partition_subalgoE3EjNS0_10empty_typeEbEEZZNS1_14partition_implILS8_3ELb0ES6_jNS0_17counting_iteratorIjlEEPS9_SE_NS0_5tupleIJPjSE_EEENSF_IJSE_SE_EEES9_SG_JZNS1_25segmented_radix_sort_implINS0_14default_configELb0EPKhPhPKlPlN2at6native12_GLOBAL__N_18offset_tEEE10hipError_tPvRmT1_PNSt15iterator_traitsISY_E10value_typeET2_T3_PNSZ_IS14_E10value_typeET4_jRbjT5_S1A_jjP12ihipStream_tbEUljE_EEESV_SW_SX_S14_S18_S1A_T6_T7_T9_mT8_S1C_bDpT10_ENKUlT_T0_E_clISt17integral_constantIbLb0EES1P_EEDaS1K_S1L_EUlS1K_E_NS1_11comp_targetILNS1_3genE2ELNS1_11target_archE906ELNS1_3gpuE6ELNS1_3repE0EEENS1_30default_config_static_selectorELNS0_4arch9wavefront6targetE1EEEvSY_
    .private_segment_fixed_size: 0
    .sgpr_count:     4
    .sgpr_spill_count: 0
    .symbol:         _ZN7rocprim17ROCPRIM_400000_NS6detail17trampoline_kernelINS0_13select_configILj256ELj13ELNS0_17block_load_methodE3ELS4_3ELS4_3ELNS0_20block_scan_algorithmE0ELj4294967295EEENS1_25partition_config_selectorILNS1_17partition_subalgoE3EjNS0_10empty_typeEbEEZZNS1_14partition_implILS8_3ELb0ES6_jNS0_17counting_iteratorIjlEEPS9_SE_NS0_5tupleIJPjSE_EEENSF_IJSE_SE_EEES9_SG_JZNS1_25segmented_radix_sort_implINS0_14default_configELb0EPKhPhPKlPlN2at6native12_GLOBAL__N_18offset_tEEE10hipError_tPvRmT1_PNSt15iterator_traitsISY_E10value_typeET2_T3_PNSZ_IS14_E10value_typeET4_jRbjT5_S1A_jjP12ihipStream_tbEUljE_EEESV_SW_SX_S14_S18_S1A_T6_T7_T9_mT8_S1C_bDpT10_ENKUlT_T0_E_clISt17integral_constantIbLb0EES1P_EEDaS1K_S1L_EUlS1K_E_NS1_11comp_targetILNS1_3genE2ELNS1_11target_archE906ELNS1_3gpuE6ELNS1_3repE0EEENS1_30default_config_static_selectorELNS0_4arch9wavefront6targetE1EEEvSY_.kd
    .uniform_work_group_size: 1
    .uses_dynamic_stack: false
    .vgpr_count:     0
    .vgpr_spill_count: 0
    .wavefront_size: 64
  - .agpr_count:     0
    .args:
      - .offset:         0
        .size:           144
        .value_kind:     by_value
    .group_segment_fixed_size: 0
    .kernarg_segment_align: 8
    .kernarg_segment_size: 144
    .language:       OpenCL C
    .language_version:
      - 2
      - 0
    .max_flat_workgroup_size: 256
    .name:           _ZN7rocprim17ROCPRIM_400000_NS6detail17trampoline_kernelINS0_13select_configILj256ELj13ELNS0_17block_load_methodE3ELS4_3ELS4_3ELNS0_20block_scan_algorithmE0ELj4294967295EEENS1_25partition_config_selectorILNS1_17partition_subalgoE3EjNS0_10empty_typeEbEEZZNS1_14partition_implILS8_3ELb0ES6_jNS0_17counting_iteratorIjlEEPS9_SE_NS0_5tupleIJPjSE_EEENSF_IJSE_SE_EEES9_SG_JZNS1_25segmented_radix_sort_implINS0_14default_configELb0EPKhPhPKlPlN2at6native12_GLOBAL__N_18offset_tEEE10hipError_tPvRmT1_PNSt15iterator_traitsISY_E10value_typeET2_T3_PNSZ_IS14_E10value_typeET4_jRbjT5_S1A_jjP12ihipStream_tbEUljE_EEESV_SW_SX_S14_S18_S1A_T6_T7_T9_mT8_S1C_bDpT10_ENKUlT_T0_E_clISt17integral_constantIbLb0EES1P_EEDaS1K_S1L_EUlS1K_E_NS1_11comp_targetILNS1_3genE10ELNS1_11target_archE1200ELNS1_3gpuE4ELNS1_3repE0EEENS1_30default_config_static_selectorELNS0_4arch9wavefront6targetE1EEEvSY_
    .private_segment_fixed_size: 0
    .sgpr_count:     4
    .sgpr_spill_count: 0
    .symbol:         _ZN7rocprim17ROCPRIM_400000_NS6detail17trampoline_kernelINS0_13select_configILj256ELj13ELNS0_17block_load_methodE3ELS4_3ELS4_3ELNS0_20block_scan_algorithmE0ELj4294967295EEENS1_25partition_config_selectorILNS1_17partition_subalgoE3EjNS0_10empty_typeEbEEZZNS1_14partition_implILS8_3ELb0ES6_jNS0_17counting_iteratorIjlEEPS9_SE_NS0_5tupleIJPjSE_EEENSF_IJSE_SE_EEES9_SG_JZNS1_25segmented_radix_sort_implINS0_14default_configELb0EPKhPhPKlPlN2at6native12_GLOBAL__N_18offset_tEEE10hipError_tPvRmT1_PNSt15iterator_traitsISY_E10value_typeET2_T3_PNSZ_IS14_E10value_typeET4_jRbjT5_S1A_jjP12ihipStream_tbEUljE_EEESV_SW_SX_S14_S18_S1A_T6_T7_T9_mT8_S1C_bDpT10_ENKUlT_T0_E_clISt17integral_constantIbLb0EES1P_EEDaS1K_S1L_EUlS1K_E_NS1_11comp_targetILNS1_3genE10ELNS1_11target_archE1200ELNS1_3gpuE4ELNS1_3repE0EEENS1_30default_config_static_selectorELNS0_4arch9wavefront6targetE1EEEvSY_.kd
    .uniform_work_group_size: 1
    .uses_dynamic_stack: false
    .vgpr_count:     0
    .vgpr_spill_count: 0
    .wavefront_size: 64
  - .agpr_count:     0
    .args:
      - .offset:         0
        .size:           144
        .value_kind:     by_value
    .group_segment_fixed_size: 0
    .kernarg_segment_align: 8
    .kernarg_segment_size: 144
    .language:       OpenCL C
    .language_version:
      - 2
      - 0
    .max_flat_workgroup_size: 256
    .name:           _ZN7rocprim17ROCPRIM_400000_NS6detail17trampoline_kernelINS0_13select_configILj256ELj13ELNS0_17block_load_methodE3ELS4_3ELS4_3ELNS0_20block_scan_algorithmE0ELj4294967295EEENS1_25partition_config_selectorILNS1_17partition_subalgoE3EjNS0_10empty_typeEbEEZZNS1_14partition_implILS8_3ELb0ES6_jNS0_17counting_iteratorIjlEEPS9_SE_NS0_5tupleIJPjSE_EEENSF_IJSE_SE_EEES9_SG_JZNS1_25segmented_radix_sort_implINS0_14default_configELb0EPKhPhPKlPlN2at6native12_GLOBAL__N_18offset_tEEE10hipError_tPvRmT1_PNSt15iterator_traitsISY_E10value_typeET2_T3_PNSZ_IS14_E10value_typeET4_jRbjT5_S1A_jjP12ihipStream_tbEUljE_EEESV_SW_SX_S14_S18_S1A_T6_T7_T9_mT8_S1C_bDpT10_ENKUlT_T0_E_clISt17integral_constantIbLb0EES1P_EEDaS1K_S1L_EUlS1K_E_NS1_11comp_targetILNS1_3genE9ELNS1_11target_archE1100ELNS1_3gpuE3ELNS1_3repE0EEENS1_30default_config_static_selectorELNS0_4arch9wavefront6targetE1EEEvSY_
    .private_segment_fixed_size: 0
    .sgpr_count:     4
    .sgpr_spill_count: 0
    .symbol:         _ZN7rocprim17ROCPRIM_400000_NS6detail17trampoline_kernelINS0_13select_configILj256ELj13ELNS0_17block_load_methodE3ELS4_3ELS4_3ELNS0_20block_scan_algorithmE0ELj4294967295EEENS1_25partition_config_selectorILNS1_17partition_subalgoE3EjNS0_10empty_typeEbEEZZNS1_14partition_implILS8_3ELb0ES6_jNS0_17counting_iteratorIjlEEPS9_SE_NS0_5tupleIJPjSE_EEENSF_IJSE_SE_EEES9_SG_JZNS1_25segmented_radix_sort_implINS0_14default_configELb0EPKhPhPKlPlN2at6native12_GLOBAL__N_18offset_tEEE10hipError_tPvRmT1_PNSt15iterator_traitsISY_E10value_typeET2_T3_PNSZ_IS14_E10value_typeET4_jRbjT5_S1A_jjP12ihipStream_tbEUljE_EEESV_SW_SX_S14_S18_S1A_T6_T7_T9_mT8_S1C_bDpT10_ENKUlT_T0_E_clISt17integral_constantIbLb0EES1P_EEDaS1K_S1L_EUlS1K_E_NS1_11comp_targetILNS1_3genE9ELNS1_11target_archE1100ELNS1_3gpuE3ELNS1_3repE0EEENS1_30default_config_static_selectorELNS0_4arch9wavefront6targetE1EEEvSY_.kd
    .uniform_work_group_size: 1
    .uses_dynamic_stack: false
    .vgpr_count:     0
    .vgpr_spill_count: 0
    .wavefront_size: 64
  - .agpr_count:     0
    .args:
      - .offset:         0
        .size:           144
        .value_kind:     by_value
    .group_segment_fixed_size: 0
    .kernarg_segment_align: 8
    .kernarg_segment_size: 144
    .language:       OpenCL C
    .language_version:
      - 2
      - 0
    .max_flat_workgroup_size: 256
    .name:           _ZN7rocprim17ROCPRIM_400000_NS6detail17trampoline_kernelINS0_13select_configILj256ELj13ELNS0_17block_load_methodE3ELS4_3ELS4_3ELNS0_20block_scan_algorithmE0ELj4294967295EEENS1_25partition_config_selectorILNS1_17partition_subalgoE3EjNS0_10empty_typeEbEEZZNS1_14partition_implILS8_3ELb0ES6_jNS0_17counting_iteratorIjlEEPS9_SE_NS0_5tupleIJPjSE_EEENSF_IJSE_SE_EEES9_SG_JZNS1_25segmented_radix_sort_implINS0_14default_configELb0EPKhPhPKlPlN2at6native12_GLOBAL__N_18offset_tEEE10hipError_tPvRmT1_PNSt15iterator_traitsISY_E10value_typeET2_T3_PNSZ_IS14_E10value_typeET4_jRbjT5_S1A_jjP12ihipStream_tbEUljE_EEESV_SW_SX_S14_S18_S1A_T6_T7_T9_mT8_S1C_bDpT10_ENKUlT_T0_E_clISt17integral_constantIbLb0EES1P_EEDaS1K_S1L_EUlS1K_E_NS1_11comp_targetILNS1_3genE8ELNS1_11target_archE1030ELNS1_3gpuE2ELNS1_3repE0EEENS1_30default_config_static_selectorELNS0_4arch9wavefront6targetE1EEEvSY_
    .private_segment_fixed_size: 0
    .sgpr_count:     4
    .sgpr_spill_count: 0
    .symbol:         _ZN7rocprim17ROCPRIM_400000_NS6detail17trampoline_kernelINS0_13select_configILj256ELj13ELNS0_17block_load_methodE3ELS4_3ELS4_3ELNS0_20block_scan_algorithmE0ELj4294967295EEENS1_25partition_config_selectorILNS1_17partition_subalgoE3EjNS0_10empty_typeEbEEZZNS1_14partition_implILS8_3ELb0ES6_jNS0_17counting_iteratorIjlEEPS9_SE_NS0_5tupleIJPjSE_EEENSF_IJSE_SE_EEES9_SG_JZNS1_25segmented_radix_sort_implINS0_14default_configELb0EPKhPhPKlPlN2at6native12_GLOBAL__N_18offset_tEEE10hipError_tPvRmT1_PNSt15iterator_traitsISY_E10value_typeET2_T3_PNSZ_IS14_E10value_typeET4_jRbjT5_S1A_jjP12ihipStream_tbEUljE_EEESV_SW_SX_S14_S18_S1A_T6_T7_T9_mT8_S1C_bDpT10_ENKUlT_T0_E_clISt17integral_constantIbLb0EES1P_EEDaS1K_S1L_EUlS1K_E_NS1_11comp_targetILNS1_3genE8ELNS1_11target_archE1030ELNS1_3gpuE2ELNS1_3repE0EEENS1_30default_config_static_selectorELNS0_4arch9wavefront6targetE1EEEvSY_.kd
    .uniform_work_group_size: 1
    .uses_dynamic_stack: false
    .vgpr_count:     0
    .vgpr_spill_count: 0
    .wavefront_size: 64
  - .agpr_count:     0
    .args:
      - .offset:         0
        .size:           152
        .value_kind:     by_value
    .group_segment_fixed_size: 0
    .kernarg_segment_align: 8
    .kernarg_segment_size: 152
    .language:       OpenCL C
    .language_version:
      - 2
      - 0
    .max_flat_workgroup_size: 256
    .name:           _ZN7rocprim17ROCPRIM_400000_NS6detail17trampoline_kernelINS0_13select_configILj256ELj13ELNS0_17block_load_methodE3ELS4_3ELS4_3ELNS0_20block_scan_algorithmE0ELj4294967295EEENS1_25partition_config_selectorILNS1_17partition_subalgoE3EjNS0_10empty_typeEbEEZZNS1_14partition_implILS8_3ELb0ES6_jNS0_17counting_iteratorIjlEEPS9_SE_NS0_5tupleIJPjSE_EEENSF_IJSE_SE_EEES9_SG_JZNS1_25segmented_radix_sort_implINS0_14default_configELb0EPKhPhPKlPlN2at6native12_GLOBAL__N_18offset_tEEE10hipError_tPvRmT1_PNSt15iterator_traitsISY_E10value_typeET2_T3_PNSZ_IS14_E10value_typeET4_jRbjT5_S1A_jjP12ihipStream_tbEUljE_EEESV_SW_SX_S14_S18_S1A_T6_T7_T9_mT8_S1C_bDpT10_ENKUlT_T0_E_clISt17integral_constantIbLb1EES1P_EEDaS1K_S1L_EUlS1K_E_NS1_11comp_targetILNS1_3genE0ELNS1_11target_archE4294967295ELNS1_3gpuE0ELNS1_3repE0EEENS1_30default_config_static_selectorELNS0_4arch9wavefront6targetE1EEEvSY_
    .private_segment_fixed_size: 0
    .sgpr_count:     4
    .sgpr_spill_count: 0
    .symbol:         _ZN7rocprim17ROCPRIM_400000_NS6detail17trampoline_kernelINS0_13select_configILj256ELj13ELNS0_17block_load_methodE3ELS4_3ELS4_3ELNS0_20block_scan_algorithmE0ELj4294967295EEENS1_25partition_config_selectorILNS1_17partition_subalgoE3EjNS0_10empty_typeEbEEZZNS1_14partition_implILS8_3ELb0ES6_jNS0_17counting_iteratorIjlEEPS9_SE_NS0_5tupleIJPjSE_EEENSF_IJSE_SE_EEES9_SG_JZNS1_25segmented_radix_sort_implINS0_14default_configELb0EPKhPhPKlPlN2at6native12_GLOBAL__N_18offset_tEEE10hipError_tPvRmT1_PNSt15iterator_traitsISY_E10value_typeET2_T3_PNSZ_IS14_E10value_typeET4_jRbjT5_S1A_jjP12ihipStream_tbEUljE_EEESV_SW_SX_S14_S18_S1A_T6_T7_T9_mT8_S1C_bDpT10_ENKUlT_T0_E_clISt17integral_constantIbLb1EES1P_EEDaS1K_S1L_EUlS1K_E_NS1_11comp_targetILNS1_3genE0ELNS1_11target_archE4294967295ELNS1_3gpuE0ELNS1_3repE0EEENS1_30default_config_static_selectorELNS0_4arch9wavefront6targetE1EEEvSY_.kd
    .uniform_work_group_size: 1
    .uses_dynamic_stack: false
    .vgpr_count:     0
    .vgpr_spill_count: 0
    .wavefront_size: 64
  - .agpr_count:     0
    .args:
      - .offset:         0
        .size:           152
        .value_kind:     by_value
    .group_segment_fixed_size: 0
    .kernarg_segment_align: 8
    .kernarg_segment_size: 152
    .language:       OpenCL C
    .language_version:
      - 2
      - 0
    .max_flat_workgroup_size: 256
    .name:           _ZN7rocprim17ROCPRIM_400000_NS6detail17trampoline_kernelINS0_13select_configILj256ELj13ELNS0_17block_load_methodE3ELS4_3ELS4_3ELNS0_20block_scan_algorithmE0ELj4294967295EEENS1_25partition_config_selectorILNS1_17partition_subalgoE3EjNS0_10empty_typeEbEEZZNS1_14partition_implILS8_3ELb0ES6_jNS0_17counting_iteratorIjlEEPS9_SE_NS0_5tupleIJPjSE_EEENSF_IJSE_SE_EEES9_SG_JZNS1_25segmented_radix_sort_implINS0_14default_configELb0EPKhPhPKlPlN2at6native12_GLOBAL__N_18offset_tEEE10hipError_tPvRmT1_PNSt15iterator_traitsISY_E10value_typeET2_T3_PNSZ_IS14_E10value_typeET4_jRbjT5_S1A_jjP12ihipStream_tbEUljE_EEESV_SW_SX_S14_S18_S1A_T6_T7_T9_mT8_S1C_bDpT10_ENKUlT_T0_E_clISt17integral_constantIbLb1EES1P_EEDaS1K_S1L_EUlS1K_E_NS1_11comp_targetILNS1_3genE5ELNS1_11target_archE942ELNS1_3gpuE9ELNS1_3repE0EEENS1_30default_config_static_selectorELNS0_4arch9wavefront6targetE1EEEvSY_
    .private_segment_fixed_size: 0
    .sgpr_count:     4
    .sgpr_spill_count: 0
    .symbol:         _ZN7rocprim17ROCPRIM_400000_NS6detail17trampoline_kernelINS0_13select_configILj256ELj13ELNS0_17block_load_methodE3ELS4_3ELS4_3ELNS0_20block_scan_algorithmE0ELj4294967295EEENS1_25partition_config_selectorILNS1_17partition_subalgoE3EjNS0_10empty_typeEbEEZZNS1_14partition_implILS8_3ELb0ES6_jNS0_17counting_iteratorIjlEEPS9_SE_NS0_5tupleIJPjSE_EEENSF_IJSE_SE_EEES9_SG_JZNS1_25segmented_radix_sort_implINS0_14default_configELb0EPKhPhPKlPlN2at6native12_GLOBAL__N_18offset_tEEE10hipError_tPvRmT1_PNSt15iterator_traitsISY_E10value_typeET2_T3_PNSZ_IS14_E10value_typeET4_jRbjT5_S1A_jjP12ihipStream_tbEUljE_EEESV_SW_SX_S14_S18_S1A_T6_T7_T9_mT8_S1C_bDpT10_ENKUlT_T0_E_clISt17integral_constantIbLb1EES1P_EEDaS1K_S1L_EUlS1K_E_NS1_11comp_targetILNS1_3genE5ELNS1_11target_archE942ELNS1_3gpuE9ELNS1_3repE0EEENS1_30default_config_static_selectorELNS0_4arch9wavefront6targetE1EEEvSY_.kd
    .uniform_work_group_size: 1
    .uses_dynamic_stack: false
    .vgpr_count:     0
    .vgpr_spill_count: 0
    .wavefront_size: 64
  - .agpr_count:     0
    .args:
      - .offset:         0
        .size:           152
        .value_kind:     by_value
    .group_segment_fixed_size: 13324
    .kernarg_segment_align: 8
    .kernarg_segment_size: 152
    .language:       OpenCL C
    .language_version:
      - 2
      - 0
    .max_flat_workgroup_size: 256
    .name:           _ZN7rocprim17ROCPRIM_400000_NS6detail17trampoline_kernelINS0_13select_configILj256ELj13ELNS0_17block_load_methodE3ELS4_3ELS4_3ELNS0_20block_scan_algorithmE0ELj4294967295EEENS1_25partition_config_selectorILNS1_17partition_subalgoE3EjNS0_10empty_typeEbEEZZNS1_14partition_implILS8_3ELb0ES6_jNS0_17counting_iteratorIjlEEPS9_SE_NS0_5tupleIJPjSE_EEENSF_IJSE_SE_EEES9_SG_JZNS1_25segmented_radix_sort_implINS0_14default_configELb0EPKhPhPKlPlN2at6native12_GLOBAL__N_18offset_tEEE10hipError_tPvRmT1_PNSt15iterator_traitsISY_E10value_typeET2_T3_PNSZ_IS14_E10value_typeET4_jRbjT5_S1A_jjP12ihipStream_tbEUljE_EEESV_SW_SX_S14_S18_S1A_T6_T7_T9_mT8_S1C_bDpT10_ENKUlT_T0_E_clISt17integral_constantIbLb1EES1P_EEDaS1K_S1L_EUlS1K_E_NS1_11comp_targetILNS1_3genE4ELNS1_11target_archE910ELNS1_3gpuE8ELNS1_3repE0EEENS1_30default_config_static_selectorELNS0_4arch9wavefront6targetE1EEEvSY_
    .private_segment_fixed_size: 0
    .sgpr_count:     48
    .sgpr_spill_count: 0
    .symbol:         _ZN7rocprim17ROCPRIM_400000_NS6detail17trampoline_kernelINS0_13select_configILj256ELj13ELNS0_17block_load_methodE3ELS4_3ELS4_3ELNS0_20block_scan_algorithmE0ELj4294967295EEENS1_25partition_config_selectorILNS1_17partition_subalgoE3EjNS0_10empty_typeEbEEZZNS1_14partition_implILS8_3ELb0ES6_jNS0_17counting_iteratorIjlEEPS9_SE_NS0_5tupleIJPjSE_EEENSF_IJSE_SE_EEES9_SG_JZNS1_25segmented_radix_sort_implINS0_14default_configELb0EPKhPhPKlPlN2at6native12_GLOBAL__N_18offset_tEEE10hipError_tPvRmT1_PNSt15iterator_traitsISY_E10value_typeET2_T3_PNSZ_IS14_E10value_typeET4_jRbjT5_S1A_jjP12ihipStream_tbEUljE_EEESV_SW_SX_S14_S18_S1A_T6_T7_T9_mT8_S1C_bDpT10_ENKUlT_T0_E_clISt17integral_constantIbLb1EES1P_EEDaS1K_S1L_EUlS1K_E_NS1_11comp_targetILNS1_3genE4ELNS1_11target_archE910ELNS1_3gpuE8ELNS1_3repE0EEENS1_30default_config_static_selectorELNS0_4arch9wavefront6targetE1EEEvSY_.kd
    .uniform_work_group_size: 1
    .uses_dynamic_stack: false
    .vgpr_count:     64
    .vgpr_spill_count: 0
    .wavefront_size: 64
  - .agpr_count:     0
    .args:
      - .offset:         0
        .size:           152
        .value_kind:     by_value
    .group_segment_fixed_size: 0
    .kernarg_segment_align: 8
    .kernarg_segment_size: 152
    .language:       OpenCL C
    .language_version:
      - 2
      - 0
    .max_flat_workgroup_size: 256
    .name:           _ZN7rocprim17ROCPRIM_400000_NS6detail17trampoline_kernelINS0_13select_configILj256ELj13ELNS0_17block_load_methodE3ELS4_3ELS4_3ELNS0_20block_scan_algorithmE0ELj4294967295EEENS1_25partition_config_selectorILNS1_17partition_subalgoE3EjNS0_10empty_typeEbEEZZNS1_14partition_implILS8_3ELb0ES6_jNS0_17counting_iteratorIjlEEPS9_SE_NS0_5tupleIJPjSE_EEENSF_IJSE_SE_EEES9_SG_JZNS1_25segmented_radix_sort_implINS0_14default_configELb0EPKhPhPKlPlN2at6native12_GLOBAL__N_18offset_tEEE10hipError_tPvRmT1_PNSt15iterator_traitsISY_E10value_typeET2_T3_PNSZ_IS14_E10value_typeET4_jRbjT5_S1A_jjP12ihipStream_tbEUljE_EEESV_SW_SX_S14_S18_S1A_T6_T7_T9_mT8_S1C_bDpT10_ENKUlT_T0_E_clISt17integral_constantIbLb1EES1P_EEDaS1K_S1L_EUlS1K_E_NS1_11comp_targetILNS1_3genE3ELNS1_11target_archE908ELNS1_3gpuE7ELNS1_3repE0EEENS1_30default_config_static_selectorELNS0_4arch9wavefront6targetE1EEEvSY_
    .private_segment_fixed_size: 0
    .sgpr_count:     4
    .sgpr_spill_count: 0
    .symbol:         _ZN7rocprim17ROCPRIM_400000_NS6detail17trampoline_kernelINS0_13select_configILj256ELj13ELNS0_17block_load_methodE3ELS4_3ELS4_3ELNS0_20block_scan_algorithmE0ELj4294967295EEENS1_25partition_config_selectorILNS1_17partition_subalgoE3EjNS0_10empty_typeEbEEZZNS1_14partition_implILS8_3ELb0ES6_jNS0_17counting_iteratorIjlEEPS9_SE_NS0_5tupleIJPjSE_EEENSF_IJSE_SE_EEES9_SG_JZNS1_25segmented_radix_sort_implINS0_14default_configELb0EPKhPhPKlPlN2at6native12_GLOBAL__N_18offset_tEEE10hipError_tPvRmT1_PNSt15iterator_traitsISY_E10value_typeET2_T3_PNSZ_IS14_E10value_typeET4_jRbjT5_S1A_jjP12ihipStream_tbEUljE_EEESV_SW_SX_S14_S18_S1A_T6_T7_T9_mT8_S1C_bDpT10_ENKUlT_T0_E_clISt17integral_constantIbLb1EES1P_EEDaS1K_S1L_EUlS1K_E_NS1_11comp_targetILNS1_3genE3ELNS1_11target_archE908ELNS1_3gpuE7ELNS1_3repE0EEENS1_30default_config_static_selectorELNS0_4arch9wavefront6targetE1EEEvSY_.kd
    .uniform_work_group_size: 1
    .uses_dynamic_stack: false
    .vgpr_count:     0
    .vgpr_spill_count: 0
    .wavefront_size: 64
  - .agpr_count:     0
    .args:
      - .offset:         0
        .size:           152
        .value_kind:     by_value
    .group_segment_fixed_size: 0
    .kernarg_segment_align: 8
    .kernarg_segment_size: 152
    .language:       OpenCL C
    .language_version:
      - 2
      - 0
    .max_flat_workgroup_size: 256
    .name:           _ZN7rocprim17ROCPRIM_400000_NS6detail17trampoline_kernelINS0_13select_configILj256ELj13ELNS0_17block_load_methodE3ELS4_3ELS4_3ELNS0_20block_scan_algorithmE0ELj4294967295EEENS1_25partition_config_selectorILNS1_17partition_subalgoE3EjNS0_10empty_typeEbEEZZNS1_14partition_implILS8_3ELb0ES6_jNS0_17counting_iteratorIjlEEPS9_SE_NS0_5tupleIJPjSE_EEENSF_IJSE_SE_EEES9_SG_JZNS1_25segmented_radix_sort_implINS0_14default_configELb0EPKhPhPKlPlN2at6native12_GLOBAL__N_18offset_tEEE10hipError_tPvRmT1_PNSt15iterator_traitsISY_E10value_typeET2_T3_PNSZ_IS14_E10value_typeET4_jRbjT5_S1A_jjP12ihipStream_tbEUljE_EEESV_SW_SX_S14_S18_S1A_T6_T7_T9_mT8_S1C_bDpT10_ENKUlT_T0_E_clISt17integral_constantIbLb1EES1P_EEDaS1K_S1L_EUlS1K_E_NS1_11comp_targetILNS1_3genE2ELNS1_11target_archE906ELNS1_3gpuE6ELNS1_3repE0EEENS1_30default_config_static_selectorELNS0_4arch9wavefront6targetE1EEEvSY_
    .private_segment_fixed_size: 0
    .sgpr_count:     4
    .sgpr_spill_count: 0
    .symbol:         _ZN7rocprim17ROCPRIM_400000_NS6detail17trampoline_kernelINS0_13select_configILj256ELj13ELNS0_17block_load_methodE3ELS4_3ELS4_3ELNS0_20block_scan_algorithmE0ELj4294967295EEENS1_25partition_config_selectorILNS1_17partition_subalgoE3EjNS0_10empty_typeEbEEZZNS1_14partition_implILS8_3ELb0ES6_jNS0_17counting_iteratorIjlEEPS9_SE_NS0_5tupleIJPjSE_EEENSF_IJSE_SE_EEES9_SG_JZNS1_25segmented_radix_sort_implINS0_14default_configELb0EPKhPhPKlPlN2at6native12_GLOBAL__N_18offset_tEEE10hipError_tPvRmT1_PNSt15iterator_traitsISY_E10value_typeET2_T3_PNSZ_IS14_E10value_typeET4_jRbjT5_S1A_jjP12ihipStream_tbEUljE_EEESV_SW_SX_S14_S18_S1A_T6_T7_T9_mT8_S1C_bDpT10_ENKUlT_T0_E_clISt17integral_constantIbLb1EES1P_EEDaS1K_S1L_EUlS1K_E_NS1_11comp_targetILNS1_3genE2ELNS1_11target_archE906ELNS1_3gpuE6ELNS1_3repE0EEENS1_30default_config_static_selectorELNS0_4arch9wavefront6targetE1EEEvSY_.kd
    .uniform_work_group_size: 1
    .uses_dynamic_stack: false
    .vgpr_count:     0
    .vgpr_spill_count: 0
    .wavefront_size: 64
  - .agpr_count:     0
    .args:
      - .offset:         0
        .size:           152
        .value_kind:     by_value
    .group_segment_fixed_size: 0
    .kernarg_segment_align: 8
    .kernarg_segment_size: 152
    .language:       OpenCL C
    .language_version:
      - 2
      - 0
    .max_flat_workgroup_size: 256
    .name:           _ZN7rocprim17ROCPRIM_400000_NS6detail17trampoline_kernelINS0_13select_configILj256ELj13ELNS0_17block_load_methodE3ELS4_3ELS4_3ELNS0_20block_scan_algorithmE0ELj4294967295EEENS1_25partition_config_selectorILNS1_17partition_subalgoE3EjNS0_10empty_typeEbEEZZNS1_14partition_implILS8_3ELb0ES6_jNS0_17counting_iteratorIjlEEPS9_SE_NS0_5tupleIJPjSE_EEENSF_IJSE_SE_EEES9_SG_JZNS1_25segmented_radix_sort_implINS0_14default_configELb0EPKhPhPKlPlN2at6native12_GLOBAL__N_18offset_tEEE10hipError_tPvRmT1_PNSt15iterator_traitsISY_E10value_typeET2_T3_PNSZ_IS14_E10value_typeET4_jRbjT5_S1A_jjP12ihipStream_tbEUljE_EEESV_SW_SX_S14_S18_S1A_T6_T7_T9_mT8_S1C_bDpT10_ENKUlT_T0_E_clISt17integral_constantIbLb1EES1P_EEDaS1K_S1L_EUlS1K_E_NS1_11comp_targetILNS1_3genE10ELNS1_11target_archE1200ELNS1_3gpuE4ELNS1_3repE0EEENS1_30default_config_static_selectorELNS0_4arch9wavefront6targetE1EEEvSY_
    .private_segment_fixed_size: 0
    .sgpr_count:     4
    .sgpr_spill_count: 0
    .symbol:         _ZN7rocprim17ROCPRIM_400000_NS6detail17trampoline_kernelINS0_13select_configILj256ELj13ELNS0_17block_load_methodE3ELS4_3ELS4_3ELNS0_20block_scan_algorithmE0ELj4294967295EEENS1_25partition_config_selectorILNS1_17partition_subalgoE3EjNS0_10empty_typeEbEEZZNS1_14partition_implILS8_3ELb0ES6_jNS0_17counting_iteratorIjlEEPS9_SE_NS0_5tupleIJPjSE_EEENSF_IJSE_SE_EEES9_SG_JZNS1_25segmented_radix_sort_implINS0_14default_configELb0EPKhPhPKlPlN2at6native12_GLOBAL__N_18offset_tEEE10hipError_tPvRmT1_PNSt15iterator_traitsISY_E10value_typeET2_T3_PNSZ_IS14_E10value_typeET4_jRbjT5_S1A_jjP12ihipStream_tbEUljE_EEESV_SW_SX_S14_S18_S1A_T6_T7_T9_mT8_S1C_bDpT10_ENKUlT_T0_E_clISt17integral_constantIbLb1EES1P_EEDaS1K_S1L_EUlS1K_E_NS1_11comp_targetILNS1_3genE10ELNS1_11target_archE1200ELNS1_3gpuE4ELNS1_3repE0EEENS1_30default_config_static_selectorELNS0_4arch9wavefront6targetE1EEEvSY_.kd
    .uniform_work_group_size: 1
    .uses_dynamic_stack: false
    .vgpr_count:     0
    .vgpr_spill_count: 0
    .wavefront_size: 64
  - .agpr_count:     0
    .args:
      - .offset:         0
        .size:           152
        .value_kind:     by_value
    .group_segment_fixed_size: 0
    .kernarg_segment_align: 8
    .kernarg_segment_size: 152
    .language:       OpenCL C
    .language_version:
      - 2
      - 0
    .max_flat_workgroup_size: 256
    .name:           _ZN7rocprim17ROCPRIM_400000_NS6detail17trampoline_kernelINS0_13select_configILj256ELj13ELNS0_17block_load_methodE3ELS4_3ELS4_3ELNS0_20block_scan_algorithmE0ELj4294967295EEENS1_25partition_config_selectorILNS1_17partition_subalgoE3EjNS0_10empty_typeEbEEZZNS1_14partition_implILS8_3ELb0ES6_jNS0_17counting_iteratorIjlEEPS9_SE_NS0_5tupleIJPjSE_EEENSF_IJSE_SE_EEES9_SG_JZNS1_25segmented_radix_sort_implINS0_14default_configELb0EPKhPhPKlPlN2at6native12_GLOBAL__N_18offset_tEEE10hipError_tPvRmT1_PNSt15iterator_traitsISY_E10value_typeET2_T3_PNSZ_IS14_E10value_typeET4_jRbjT5_S1A_jjP12ihipStream_tbEUljE_EEESV_SW_SX_S14_S18_S1A_T6_T7_T9_mT8_S1C_bDpT10_ENKUlT_T0_E_clISt17integral_constantIbLb1EES1P_EEDaS1K_S1L_EUlS1K_E_NS1_11comp_targetILNS1_3genE9ELNS1_11target_archE1100ELNS1_3gpuE3ELNS1_3repE0EEENS1_30default_config_static_selectorELNS0_4arch9wavefront6targetE1EEEvSY_
    .private_segment_fixed_size: 0
    .sgpr_count:     4
    .sgpr_spill_count: 0
    .symbol:         _ZN7rocprim17ROCPRIM_400000_NS6detail17trampoline_kernelINS0_13select_configILj256ELj13ELNS0_17block_load_methodE3ELS4_3ELS4_3ELNS0_20block_scan_algorithmE0ELj4294967295EEENS1_25partition_config_selectorILNS1_17partition_subalgoE3EjNS0_10empty_typeEbEEZZNS1_14partition_implILS8_3ELb0ES6_jNS0_17counting_iteratorIjlEEPS9_SE_NS0_5tupleIJPjSE_EEENSF_IJSE_SE_EEES9_SG_JZNS1_25segmented_radix_sort_implINS0_14default_configELb0EPKhPhPKlPlN2at6native12_GLOBAL__N_18offset_tEEE10hipError_tPvRmT1_PNSt15iterator_traitsISY_E10value_typeET2_T3_PNSZ_IS14_E10value_typeET4_jRbjT5_S1A_jjP12ihipStream_tbEUljE_EEESV_SW_SX_S14_S18_S1A_T6_T7_T9_mT8_S1C_bDpT10_ENKUlT_T0_E_clISt17integral_constantIbLb1EES1P_EEDaS1K_S1L_EUlS1K_E_NS1_11comp_targetILNS1_3genE9ELNS1_11target_archE1100ELNS1_3gpuE3ELNS1_3repE0EEENS1_30default_config_static_selectorELNS0_4arch9wavefront6targetE1EEEvSY_.kd
    .uniform_work_group_size: 1
    .uses_dynamic_stack: false
    .vgpr_count:     0
    .vgpr_spill_count: 0
    .wavefront_size: 64
  - .agpr_count:     0
    .args:
      - .offset:         0
        .size:           152
        .value_kind:     by_value
    .group_segment_fixed_size: 0
    .kernarg_segment_align: 8
    .kernarg_segment_size: 152
    .language:       OpenCL C
    .language_version:
      - 2
      - 0
    .max_flat_workgroup_size: 256
    .name:           _ZN7rocprim17ROCPRIM_400000_NS6detail17trampoline_kernelINS0_13select_configILj256ELj13ELNS0_17block_load_methodE3ELS4_3ELS4_3ELNS0_20block_scan_algorithmE0ELj4294967295EEENS1_25partition_config_selectorILNS1_17partition_subalgoE3EjNS0_10empty_typeEbEEZZNS1_14partition_implILS8_3ELb0ES6_jNS0_17counting_iteratorIjlEEPS9_SE_NS0_5tupleIJPjSE_EEENSF_IJSE_SE_EEES9_SG_JZNS1_25segmented_radix_sort_implINS0_14default_configELb0EPKhPhPKlPlN2at6native12_GLOBAL__N_18offset_tEEE10hipError_tPvRmT1_PNSt15iterator_traitsISY_E10value_typeET2_T3_PNSZ_IS14_E10value_typeET4_jRbjT5_S1A_jjP12ihipStream_tbEUljE_EEESV_SW_SX_S14_S18_S1A_T6_T7_T9_mT8_S1C_bDpT10_ENKUlT_T0_E_clISt17integral_constantIbLb1EES1P_EEDaS1K_S1L_EUlS1K_E_NS1_11comp_targetILNS1_3genE8ELNS1_11target_archE1030ELNS1_3gpuE2ELNS1_3repE0EEENS1_30default_config_static_selectorELNS0_4arch9wavefront6targetE1EEEvSY_
    .private_segment_fixed_size: 0
    .sgpr_count:     4
    .sgpr_spill_count: 0
    .symbol:         _ZN7rocprim17ROCPRIM_400000_NS6detail17trampoline_kernelINS0_13select_configILj256ELj13ELNS0_17block_load_methodE3ELS4_3ELS4_3ELNS0_20block_scan_algorithmE0ELj4294967295EEENS1_25partition_config_selectorILNS1_17partition_subalgoE3EjNS0_10empty_typeEbEEZZNS1_14partition_implILS8_3ELb0ES6_jNS0_17counting_iteratorIjlEEPS9_SE_NS0_5tupleIJPjSE_EEENSF_IJSE_SE_EEES9_SG_JZNS1_25segmented_radix_sort_implINS0_14default_configELb0EPKhPhPKlPlN2at6native12_GLOBAL__N_18offset_tEEE10hipError_tPvRmT1_PNSt15iterator_traitsISY_E10value_typeET2_T3_PNSZ_IS14_E10value_typeET4_jRbjT5_S1A_jjP12ihipStream_tbEUljE_EEESV_SW_SX_S14_S18_S1A_T6_T7_T9_mT8_S1C_bDpT10_ENKUlT_T0_E_clISt17integral_constantIbLb1EES1P_EEDaS1K_S1L_EUlS1K_E_NS1_11comp_targetILNS1_3genE8ELNS1_11target_archE1030ELNS1_3gpuE2ELNS1_3repE0EEENS1_30default_config_static_selectorELNS0_4arch9wavefront6targetE1EEEvSY_.kd
    .uniform_work_group_size: 1
    .uses_dynamic_stack: false
    .vgpr_count:     0
    .vgpr_spill_count: 0
    .wavefront_size: 64
  - .agpr_count:     0
    .args:
      - .offset:         0
        .size:           144
        .value_kind:     by_value
    .group_segment_fixed_size: 0
    .kernarg_segment_align: 8
    .kernarg_segment_size: 144
    .language:       OpenCL C
    .language_version:
      - 2
      - 0
    .max_flat_workgroup_size: 256
    .name:           _ZN7rocprim17ROCPRIM_400000_NS6detail17trampoline_kernelINS0_13select_configILj256ELj13ELNS0_17block_load_methodE3ELS4_3ELS4_3ELNS0_20block_scan_algorithmE0ELj4294967295EEENS1_25partition_config_selectorILNS1_17partition_subalgoE3EjNS0_10empty_typeEbEEZZNS1_14partition_implILS8_3ELb0ES6_jNS0_17counting_iteratorIjlEEPS9_SE_NS0_5tupleIJPjSE_EEENSF_IJSE_SE_EEES9_SG_JZNS1_25segmented_radix_sort_implINS0_14default_configELb0EPKhPhPKlPlN2at6native12_GLOBAL__N_18offset_tEEE10hipError_tPvRmT1_PNSt15iterator_traitsISY_E10value_typeET2_T3_PNSZ_IS14_E10value_typeET4_jRbjT5_S1A_jjP12ihipStream_tbEUljE_EEESV_SW_SX_S14_S18_S1A_T6_T7_T9_mT8_S1C_bDpT10_ENKUlT_T0_E_clISt17integral_constantIbLb1EES1O_IbLb0EEEEDaS1K_S1L_EUlS1K_E_NS1_11comp_targetILNS1_3genE0ELNS1_11target_archE4294967295ELNS1_3gpuE0ELNS1_3repE0EEENS1_30default_config_static_selectorELNS0_4arch9wavefront6targetE1EEEvSY_
    .private_segment_fixed_size: 0
    .sgpr_count:     4
    .sgpr_spill_count: 0
    .symbol:         _ZN7rocprim17ROCPRIM_400000_NS6detail17trampoline_kernelINS0_13select_configILj256ELj13ELNS0_17block_load_methodE3ELS4_3ELS4_3ELNS0_20block_scan_algorithmE0ELj4294967295EEENS1_25partition_config_selectorILNS1_17partition_subalgoE3EjNS0_10empty_typeEbEEZZNS1_14partition_implILS8_3ELb0ES6_jNS0_17counting_iteratorIjlEEPS9_SE_NS0_5tupleIJPjSE_EEENSF_IJSE_SE_EEES9_SG_JZNS1_25segmented_radix_sort_implINS0_14default_configELb0EPKhPhPKlPlN2at6native12_GLOBAL__N_18offset_tEEE10hipError_tPvRmT1_PNSt15iterator_traitsISY_E10value_typeET2_T3_PNSZ_IS14_E10value_typeET4_jRbjT5_S1A_jjP12ihipStream_tbEUljE_EEESV_SW_SX_S14_S18_S1A_T6_T7_T9_mT8_S1C_bDpT10_ENKUlT_T0_E_clISt17integral_constantIbLb1EES1O_IbLb0EEEEDaS1K_S1L_EUlS1K_E_NS1_11comp_targetILNS1_3genE0ELNS1_11target_archE4294967295ELNS1_3gpuE0ELNS1_3repE0EEENS1_30default_config_static_selectorELNS0_4arch9wavefront6targetE1EEEvSY_.kd
    .uniform_work_group_size: 1
    .uses_dynamic_stack: false
    .vgpr_count:     0
    .vgpr_spill_count: 0
    .wavefront_size: 64
  - .agpr_count:     0
    .args:
      - .offset:         0
        .size:           144
        .value_kind:     by_value
    .group_segment_fixed_size: 0
    .kernarg_segment_align: 8
    .kernarg_segment_size: 144
    .language:       OpenCL C
    .language_version:
      - 2
      - 0
    .max_flat_workgroup_size: 256
    .name:           _ZN7rocprim17ROCPRIM_400000_NS6detail17trampoline_kernelINS0_13select_configILj256ELj13ELNS0_17block_load_methodE3ELS4_3ELS4_3ELNS0_20block_scan_algorithmE0ELj4294967295EEENS1_25partition_config_selectorILNS1_17partition_subalgoE3EjNS0_10empty_typeEbEEZZNS1_14partition_implILS8_3ELb0ES6_jNS0_17counting_iteratorIjlEEPS9_SE_NS0_5tupleIJPjSE_EEENSF_IJSE_SE_EEES9_SG_JZNS1_25segmented_radix_sort_implINS0_14default_configELb0EPKhPhPKlPlN2at6native12_GLOBAL__N_18offset_tEEE10hipError_tPvRmT1_PNSt15iterator_traitsISY_E10value_typeET2_T3_PNSZ_IS14_E10value_typeET4_jRbjT5_S1A_jjP12ihipStream_tbEUljE_EEESV_SW_SX_S14_S18_S1A_T6_T7_T9_mT8_S1C_bDpT10_ENKUlT_T0_E_clISt17integral_constantIbLb1EES1O_IbLb0EEEEDaS1K_S1L_EUlS1K_E_NS1_11comp_targetILNS1_3genE5ELNS1_11target_archE942ELNS1_3gpuE9ELNS1_3repE0EEENS1_30default_config_static_selectorELNS0_4arch9wavefront6targetE1EEEvSY_
    .private_segment_fixed_size: 0
    .sgpr_count:     4
    .sgpr_spill_count: 0
    .symbol:         _ZN7rocprim17ROCPRIM_400000_NS6detail17trampoline_kernelINS0_13select_configILj256ELj13ELNS0_17block_load_methodE3ELS4_3ELS4_3ELNS0_20block_scan_algorithmE0ELj4294967295EEENS1_25partition_config_selectorILNS1_17partition_subalgoE3EjNS0_10empty_typeEbEEZZNS1_14partition_implILS8_3ELb0ES6_jNS0_17counting_iteratorIjlEEPS9_SE_NS0_5tupleIJPjSE_EEENSF_IJSE_SE_EEES9_SG_JZNS1_25segmented_radix_sort_implINS0_14default_configELb0EPKhPhPKlPlN2at6native12_GLOBAL__N_18offset_tEEE10hipError_tPvRmT1_PNSt15iterator_traitsISY_E10value_typeET2_T3_PNSZ_IS14_E10value_typeET4_jRbjT5_S1A_jjP12ihipStream_tbEUljE_EEESV_SW_SX_S14_S18_S1A_T6_T7_T9_mT8_S1C_bDpT10_ENKUlT_T0_E_clISt17integral_constantIbLb1EES1O_IbLb0EEEEDaS1K_S1L_EUlS1K_E_NS1_11comp_targetILNS1_3genE5ELNS1_11target_archE942ELNS1_3gpuE9ELNS1_3repE0EEENS1_30default_config_static_selectorELNS0_4arch9wavefront6targetE1EEEvSY_.kd
    .uniform_work_group_size: 1
    .uses_dynamic_stack: false
    .vgpr_count:     0
    .vgpr_spill_count: 0
    .wavefront_size: 64
  - .agpr_count:     0
    .args:
      - .offset:         0
        .size:           144
        .value_kind:     by_value
    .group_segment_fixed_size: 13324
    .kernarg_segment_align: 8
    .kernarg_segment_size: 144
    .language:       OpenCL C
    .language_version:
      - 2
      - 0
    .max_flat_workgroup_size: 256
    .name:           _ZN7rocprim17ROCPRIM_400000_NS6detail17trampoline_kernelINS0_13select_configILj256ELj13ELNS0_17block_load_methodE3ELS4_3ELS4_3ELNS0_20block_scan_algorithmE0ELj4294967295EEENS1_25partition_config_selectorILNS1_17partition_subalgoE3EjNS0_10empty_typeEbEEZZNS1_14partition_implILS8_3ELb0ES6_jNS0_17counting_iteratorIjlEEPS9_SE_NS0_5tupleIJPjSE_EEENSF_IJSE_SE_EEES9_SG_JZNS1_25segmented_radix_sort_implINS0_14default_configELb0EPKhPhPKlPlN2at6native12_GLOBAL__N_18offset_tEEE10hipError_tPvRmT1_PNSt15iterator_traitsISY_E10value_typeET2_T3_PNSZ_IS14_E10value_typeET4_jRbjT5_S1A_jjP12ihipStream_tbEUljE_EEESV_SW_SX_S14_S18_S1A_T6_T7_T9_mT8_S1C_bDpT10_ENKUlT_T0_E_clISt17integral_constantIbLb1EES1O_IbLb0EEEEDaS1K_S1L_EUlS1K_E_NS1_11comp_targetILNS1_3genE4ELNS1_11target_archE910ELNS1_3gpuE8ELNS1_3repE0EEENS1_30default_config_static_selectorELNS0_4arch9wavefront6targetE1EEEvSY_
    .private_segment_fixed_size: 0
    .sgpr_count:     50
    .sgpr_spill_count: 0
    .symbol:         _ZN7rocprim17ROCPRIM_400000_NS6detail17trampoline_kernelINS0_13select_configILj256ELj13ELNS0_17block_load_methodE3ELS4_3ELS4_3ELNS0_20block_scan_algorithmE0ELj4294967295EEENS1_25partition_config_selectorILNS1_17partition_subalgoE3EjNS0_10empty_typeEbEEZZNS1_14partition_implILS8_3ELb0ES6_jNS0_17counting_iteratorIjlEEPS9_SE_NS0_5tupleIJPjSE_EEENSF_IJSE_SE_EEES9_SG_JZNS1_25segmented_radix_sort_implINS0_14default_configELb0EPKhPhPKlPlN2at6native12_GLOBAL__N_18offset_tEEE10hipError_tPvRmT1_PNSt15iterator_traitsISY_E10value_typeET2_T3_PNSZ_IS14_E10value_typeET4_jRbjT5_S1A_jjP12ihipStream_tbEUljE_EEESV_SW_SX_S14_S18_S1A_T6_T7_T9_mT8_S1C_bDpT10_ENKUlT_T0_E_clISt17integral_constantIbLb1EES1O_IbLb0EEEEDaS1K_S1L_EUlS1K_E_NS1_11comp_targetILNS1_3genE4ELNS1_11target_archE910ELNS1_3gpuE8ELNS1_3repE0EEENS1_30default_config_static_selectorELNS0_4arch9wavefront6targetE1EEEvSY_.kd
    .uniform_work_group_size: 1
    .uses_dynamic_stack: false
    .vgpr_count:     61
    .vgpr_spill_count: 0
    .wavefront_size: 64
  - .agpr_count:     0
    .args:
      - .offset:         0
        .size:           144
        .value_kind:     by_value
    .group_segment_fixed_size: 0
    .kernarg_segment_align: 8
    .kernarg_segment_size: 144
    .language:       OpenCL C
    .language_version:
      - 2
      - 0
    .max_flat_workgroup_size: 256
    .name:           _ZN7rocprim17ROCPRIM_400000_NS6detail17trampoline_kernelINS0_13select_configILj256ELj13ELNS0_17block_load_methodE3ELS4_3ELS4_3ELNS0_20block_scan_algorithmE0ELj4294967295EEENS1_25partition_config_selectorILNS1_17partition_subalgoE3EjNS0_10empty_typeEbEEZZNS1_14partition_implILS8_3ELb0ES6_jNS0_17counting_iteratorIjlEEPS9_SE_NS0_5tupleIJPjSE_EEENSF_IJSE_SE_EEES9_SG_JZNS1_25segmented_radix_sort_implINS0_14default_configELb0EPKhPhPKlPlN2at6native12_GLOBAL__N_18offset_tEEE10hipError_tPvRmT1_PNSt15iterator_traitsISY_E10value_typeET2_T3_PNSZ_IS14_E10value_typeET4_jRbjT5_S1A_jjP12ihipStream_tbEUljE_EEESV_SW_SX_S14_S18_S1A_T6_T7_T9_mT8_S1C_bDpT10_ENKUlT_T0_E_clISt17integral_constantIbLb1EES1O_IbLb0EEEEDaS1K_S1L_EUlS1K_E_NS1_11comp_targetILNS1_3genE3ELNS1_11target_archE908ELNS1_3gpuE7ELNS1_3repE0EEENS1_30default_config_static_selectorELNS0_4arch9wavefront6targetE1EEEvSY_
    .private_segment_fixed_size: 0
    .sgpr_count:     4
    .sgpr_spill_count: 0
    .symbol:         _ZN7rocprim17ROCPRIM_400000_NS6detail17trampoline_kernelINS0_13select_configILj256ELj13ELNS0_17block_load_methodE3ELS4_3ELS4_3ELNS0_20block_scan_algorithmE0ELj4294967295EEENS1_25partition_config_selectorILNS1_17partition_subalgoE3EjNS0_10empty_typeEbEEZZNS1_14partition_implILS8_3ELb0ES6_jNS0_17counting_iteratorIjlEEPS9_SE_NS0_5tupleIJPjSE_EEENSF_IJSE_SE_EEES9_SG_JZNS1_25segmented_radix_sort_implINS0_14default_configELb0EPKhPhPKlPlN2at6native12_GLOBAL__N_18offset_tEEE10hipError_tPvRmT1_PNSt15iterator_traitsISY_E10value_typeET2_T3_PNSZ_IS14_E10value_typeET4_jRbjT5_S1A_jjP12ihipStream_tbEUljE_EEESV_SW_SX_S14_S18_S1A_T6_T7_T9_mT8_S1C_bDpT10_ENKUlT_T0_E_clISt17integral_constantIbLb1EES1O_IbLb0EEEEDaS1K_S1L_EUlS1K_E_NS1_11comp_targetILNS1_3genE3ELNS1_11target_archE908ELNS1_3gpuE7ELNS1_3repE0EEENS1_30default_config_static_selectorELNS0_4arch9wavefront6targetE1EEEvSY_.kd
    .uniform_work_group_size: 1
    .uses_dynamic_stack: false
    .vgpr_count:     0
    .vgpr_spill_count: 0
    .wavefront_size: 64
  - .agpr_count:     0
    .args:
      - .offset:         0
        .size:           144
        .value_kind:     by_value
    .group_segment_fixed_size: 0
    .kernarg_segment_align: 8
    .kernarg_segment_size: 144
    .language:       OpenCL C
    .language_version:
      - 2
      - 0
    .max_flat_workgroup_size: 256
    .name:           _ZN7rocprim17ROCPRIM_400000_NS6detail17trampoline_kernelINS0_13select_configILj256ELj13ELNS0_17block_load_methodE3ELS4_3ELS4_3ELNS0_20block_scan_algorithmE0ELj4294967295EEENS1_25partition_config_selectorILNS1_17partition_subalgoE3EjNS0_10empty_typeEbEEZZNS1_14partition_implILS8_3ELb0ES6_jNS0_17counting_iteratorIjlEEPS9_SE_NS0_5tupleIJPjSE_EEENSF_IJSE_SE_EEES9_SG_JZNS1_25segmented_radix_sort_implINS0_14default_configELb0EPKhPhPKlPlN2at6native12_GLOBAL__N_18offset_tEEE10hipError_tPvRmT1_PNSt15iterator_traitsISY_E10value_typeET2_T3_PNSZ_IS14_E10value_typeET4_jRbjT5_S1A_jjP12ihipStream_tbEUljE_EEESV_SW_SX_S14_S18_S1A_T6_T7_T9_mT8_S1C_bDpT10_ENKUlT_T0_E_clISt17integral_constantIbLb1EES1O_IbLb0EEEEDaS1K_S1L_EUlS1K_E_NS1_11comp_targetILNS1_3genE2ELNS1_11target_archE906ELNS1_3gpuE6ELNS1_3repE0EEENS1_30default_config_static_selectorELNS0_4arch9wavefront6targetE1EEEvSY_
    .private_segment_fixed_size: 0
    .sgpr_count:     4
    .sgpr_spill_count: 0
    .symbol:         _ZN7rocprim17ROCPRIM_400000_NS6detail17trampoline_kernelINS0_13select_configILj256ELj13ELNS0_17block_load_methodE3ELS4_3ELS4_3ELNS0_20block_scan_algorithmE0ELj4294967295EEENS1_25partition_config_selectorILNS1_17partition_subalgoE3EjNS0_10empty_typeEbEEZZNS1_14partition_implILS8_3ELb0ES6_jNS0_17counting_iteratorIjlEEPS9_SE_NS0_5tupleIJPjSE_EEENSF_IJSE_SE_EEES9_SG_JZNS1_25segmented_radix_sort_implINS0_14default_configELb0EPKhPhPKlPlN2at6native12_GLOBAL__N_18offset_tEEE10hipError_tPvRmT1_PNSt15iterator_traitsISY_E10value_typeET2_T3_PNSZ_IS14_E10value_typeET4_jRbjT5_S1A_jjP12ihipStream_tbEUljE_EEESV_SW_SX_S14_S18_S1A_T6_T7_T9_mT8_S1C_bDpT10_ENKUlT_T0_E_clISt17integral_constantIbLb1EES1O_IbLb0EEEEDaS1K_S1L_EUlS1K_E_NS1_11comp_targetILNS1_3genE2ELNS1_11target_archE906ELNS1_3gpuE6ELNS1_3repE0EEENS1_30default_config_static_selectorELNS0_4arch9wavefront6targetE1EEEvSY_.kd
    .uniform_work_group_size: 1
    .uses_dynamic_stack: false
    .vgpr_count:     0
    .vgpr_spill_count: 0
    .wavefront_size: 64
  - .agpr_count:     0
    .args:
      - .offset:         0
        .size:           144
        .value_kind:     by_value
    .group_segment_fixed_size: 0
    .kernarg_segment_align: 8
    .kernarg_segment_size: 144
    .language:       OpenCL C
    .language_version:
      - 2
      - 0
    .max_flat_workgroup_size: 256
    .name:           _ZN7rocprim17ROCPRIM_400000_NS6detail17trampoline_kernelINS0_13select_configILj256ELj13ELNS0_17block_load_methodE3ELS4_3ELS4_3ELNS0_20block_scan_algorithmE0ELj4294967295EEENS1_25partition_config_selectorILNS1_17partition_subalgoE3EjNS0_10empty_typeEbEEZZNS1_14partition_implILS8_3ELb0ES6_jNS0_17counting_iteratorIjlEEPS9_SE_NS0_5tupleIJPjSE_EEENSF_IJSE_SE_EEES9_SG_JZNS1_25segmented_radix_sort_implINS0_14default_configELb0EPKhPhPKlPlN2at6native12_GLOBAL__N_18offset_tEEE10hipError_tPvRmT1_PNSt15iterator_traitsISY_E10value_typeET2_T3_PNSZ_IS14_E10value_typeET4_jRbjT5_S1A_jjP12ihipStream_tbEUljE_EEESV_SW_SX_S14_S18_S1A_T6_T7_T9_mT8_S1C_bDpT10_ENKUlT_T0_E_clISt17integral_constantIbLb1EES1O_IbLb0EEEEDaS1K_S1L_EUlS1K_E_NS1_11comp_targetILNS1_3genE10ELNS1_11target_archE1200ELNS1_3gpuE4ELNS1_3repE0EEENS1_30default_config_static_selectorELNS0_4arch9wavefront6targetE1EEEvSY_
    .private_segment_fixed_size: 0
    .sgpr_count:     4
    .sgpr_spill_count: 0
    .symbol:         _ZN7rocprim17ROCPRIM_400000_NS6detail17trampoline_kernelINS0_13select_configILj256ELj13ELNS0_17block_load_methodE3ELS4_3ELS4_3ELNS0_20block_scan_algorithmE0ELj4294967295EEENS1_25partition_config_selectorILNS1_17partition_subalgoE3EjNS0_10empty_typeEbEEZZNS1_14partition_implILS8_3ELb0ES6_jNS0_17counting_iteratorIjlEEPS9_SE_NS0_5tupleIJPjSE_EEENSF_IJSE_SE_EEES9_SG_JZNS1_25segmented_radix_sort_implINS0_14default_configELb0EPKhPhPKlPlN2at6native12_GLOBAL__N_18offset_tEEE10hipError_tPvRmT1_PNSt15iterator_traitsISY_E10value_typeET2_T3_PNSZ_IS14_E10value_typeET4_jRbjT5_S1A_jjP12ihipStream_tbEUljE_EEESV_SW_SX_S14_S18_S1A_T6_T7_T9_mT8_S1C_bDpT10_ENKUlT_T0_E_clISt17integral_constantIbLb1EES1O_IbLb0EEEEDaS1K_S1L_EUlS1K_E_NS1_11comp_targetILNS1_3genE10ELNS1_11target_archE1200ELNS1_3gpuE4ELNS1_3repE0EEENS1_30default_config_static_selectorELNS0_4arch9wavefront6targetE1EEEvSY_.kd
    .uniform_work_group_size: 1
    .uses_dynamic_stack: false
    .vgpr_count:     0
    .vgpr_spill_count: 0
    .wavefront_size: 64
  - .agpr_count:     0
    .args:
      - .offset:         0
        .size:           144
        .value_kind:     by_value
    .group_segment_fixed_size: 0
    .kernarg_segment_align: 8
    .kernarg_segment_size: 144
    .language:       OpenCL C
    .language_version:
      - 2
      - 0
    .max_flat_workgroup_size: 256
    .name:           _ZN7rocprim17ROCPRIM_400000_NS6detail17trampoline_kernelINS0_13select_configILj256ELj13ELNS0_17block_load_methodE3ELS4_3ELS4_3ELNS0_20block_scan_algorithmE0ELj4294967295EEENS1_25partition_config_selectorILNS1_17partition_subalgoE3EjNS0_10empty_typeEbEEZZNS1_14partition_implILS8_3ELb0ES6_jNS0_17counting_iteratorIjlEEPS9_SE_NS0_5tupleIJPjSE_EEENSF_IJSE_SE_EEES9_SG_JZNS1_25segmented_radix_sort_implINS0_14default_configELb0EPKhPhPKlPlN2at6native12_GLOBAL__N_18offset_tEEE10hipError_tPvRmT1_PNSt15iterator_traitsISY_E10value_typeET2_T3_PNSZ_IS14_E10value_typeET4_jRbjT5_S1A_jjP12ihipStream_tbEUljE_EEESV_SW_SX_S14_S18_S1A_T6_T7_T9_mT8_S1C_bDpT10_ENKUlT_T0_E_clISt17integral_constantIbLb1EES1O_IbLb0EEEEDaS1K_S1L_EUlS1K_E_NS1_11comp_targetILNS1_3genE9ELNS1_11target_archE1100ELNS1_3gpuE3ELNS1_3repE0EEENS1_30default_config_static_selectorELNS0_4arch9wavefront6targetE1EEEvSY_
    .private_segment_fixed_size: 0
    .sgpr_count:     4
    .sgpr_spill_count: 0
    .symbol:         _ZN7rocprim17ROCPRIM_400000_NS6detail17trampoline_kernelINS0_13select_configILj256ELj13ELNS0_17block_load_methodE3ELS4_3ELS4_3ELNS0_20block_scan_algorithmE0ELj4294967295EEENS1_25partition_config_selectorILNS1_17partition_subalgoE3EjNS0_10empty_typeEbEEZZNS1_14partition_implILS8_3ELb0ES6_jNS0_17counting_iteratorIjlEEPS9_SE_NS0_5tupleIJPjSE_EEENSF_IJSE_SE_EEES9_SG_JZNS1_25segmented_radix_sort_implINS0_14default_configELb0EPKhPhPKlPlN2at6native12_GLOBAL__N_18offset_tEEE10hipError_tPvRmT1_PNSt15iterator_traitsISY_E10value_typeET2_T3_PNSZ_IS14_E10value_typeET4_jRbjT5_S1A_jjP12ihipStream_tbEUljE_EEESV_SW_SX_S14_S18_S1A_T6_T7_T9_mT8_S1C_bDpT10_ENKUlT_T0_E_clISt17integral_constantIbLb1EES1O_IbLb0EEEEDaS1K_S1L_EUlS1K_E_NS1_11comp_targetILNS1_3genE9ELNS1_11target_archE1100ELNS1_3gpuE3ELNS1_3repE0EEENS1_30default_config_static_selectorELNS0_4arch9wavefront6targetE1EEEvSY_.kd
    .uniform_work_group_size: 1
    .uses_dynamic_stack: false
    .vgpr_count:     0
    .vgpr_spill_count: 0
    .wavefront_size: 64
  - .agpr_count:     0
    .args:
      - .offset:         0
        .size:           144
        .value_kind:     by_value
    .group_segment_fixed_size: 0
    .kernarg_segment_align: 8
    .kernarg_segment_size: 144
    .language:       OpenCL C
    .language_version:
      - 2
      - 0
    .max_flat_workgroup_size: 256
    .name:           _ZN7rocprim17ROCPRIM_400000_NS6detail17trampoline_kernelINS0_13select_configILj256ELj13ELNS0_17block_load_methodE3ELS4_3ELS4_3ELNS0_20block_scan_algorithmE0ELj4294967295EEENS1_25partition_config_selectorILNS1_17partition_subalgoE3EjNS0_10empty_typeEbEEZZNS1_14partition_implILS8_3ELb0ES6_jNS0_17counting_iteratorIjlEEPS9_SE_NS0_5tupleIJPjSE_EEENSF_IJSE_SE_EEES9_SG_JZNS1_25segmented_radix_sort_implINS0_14default_configELb0EPKhPhPKlPlN2at6native12_GLOBAL__N_18offset_tEEE10hipError_tPvRmT1_PNSt15iterator_traitsISY_E10value_typeET2_T3_PNSZ_IS14_E10value_typeET4_jRbjT5_S1A_jjP12ihipStream_tbEUljE_EEESV_SW_SX_S14_S18_S1A_T6_T7_T9_mT8_S1C_bDpT10_ENKUlT_T0_E_clISt17integral_constantIbLb1EES1O_IbLb0EEEEDaS1K_S1L_EUlS1K_E_NS1_11comp_targetILNS1_3genE8ELNS1_11target_archE1030ELNS1_3gpuE2ELNS1_3repE0EEENS1_30default_config_static_selectorELNS0_4arch9wavefront6targetE1EEEvSY_
    .private_segment_fixed_size: 0
    .sgpr_count:     4
    .sgpr_spill_count: 0
    .symbol:         _ZN7rocprim17ROCPRIM_400000_NS6detail17trampoline_kernelINS0_13select_configILj256ELj13ELNS0_17block_load_methodE3ELS4_3ELS4_3ELNS0_20block_scan_algorithmE0ELj4294967295EEENS1_25partition_config_selectorILNS1_17partition_subalgoE3EjNS0_10empty_typeEbEEZZNS1_14partition_implILS8_3ELb0ES6_jNS0_17counting_iteratorIjlEEPS9_SE_NS0_5tupleIJPjSE_EEENSF_IJSE_SE_EEES9_SG_JZNS1_25segmented_radix_sort_implINS0_14default_configELb0EPKhPhPKlPlN2at6native12_GLOBAL__N_18offset_tEEE10hipError_tPvRmT1_PNSt15iterator_traitsISY_E10value_typeET2_T3_PNSZ_IS14_E10value_typeET4_jRbjT5_S1A_jjP12ihipStream_tbEUljE_EEESV_SW_SX_S14_S18_S1A_T6_T7_T9_mT8_S1C_bDpT10_ENKUlT_T0_E_clISt17integral_constantIbLb1EES1O_IbLb0EEEEDaS1K_S1L_EUlS1K_E_NS1_11comp_targetILNS1_3genE8ELNS1_11target_archE1030ELNS1_3gpuE2ELNS1_3repE0EEENS1_30default_config_static_selectorELNS0_4arch9wavefront6targetE1EEEvSY_.kd
    .uniform_work_group_size: 1
    .uses_dynamic_stack: false
    .vgpr_count:     0
    .vgpr_spill_count: 0
    .wavefront_size: 64
  - .agpr_count:     0
    .args:
      - .offset:         0
        .size:           152
        .value_kind:     by_value
    .group_segment_fixed_size: 0
    .kernarg_segment_align: 8
    .kernarg_segment_size: 152
    .language:       OpenCL C
    .language_version:
      - 2
      - 0
    .max_flat_workgroup_size: 256
    .name:           _ZN7rocprim17ROCPRIM_400000_NS6detail17trampoline_kernelINS0_13select_configILj256ELj13ELNS0_17block_load_methodE3ELS4_3ELS4_3ELNS0_20block_scan_algorithmE0ELj4294967295EEENS1_25partition_config_selectorILNS1_17partition_subalgoE3EjNS0_10empty_typeEbEEZZNS1_14partition_implILS8_3ELb0ES6_jNS0_17counting_iteratorIjlEEPS9_SE_NS0_5tupleIJPjSE_EEENSF_IJSE_SE_EEES9_SG_JZNS1_25segmented_radix_sort_implINS0_14default_configELb0EPKhPhPKlPlN2at6native12_GLOBAL__N_18offset_tEEE10hipError_tPvRmT1_PNSt15iterator_traitsISY_E10value_typeET2_T3_PNSZ_IS14_E10value_typeET4_jRbjT5_S1A_jjP12ihipStream_tbEUljE_EEESV_SW_SX_S14_S18_S1A_T6_T7_T9_mT8_S1C_bDpT10_ENKUlT_T0_E_clISt17integral_constantIbLb0EES1O_IbLb1EEEEDaS1K_S1L_EUlS1K_E_NS1_11comp_targetILNS1_3genE0ELNS1_11target_archE4294967295ELNS1_3gpuE0ELNS1_3repE0EEENS1_30default_config_static_selectorELNS0_4arch9wavefront6targetE1EEEvSY_
    .private_segment_fixed_size: 0
    .sgpr_count:     4
    .sgpr_spill_count: 0
    .symbol:         _ZN7rocprim17ROCPRIM_400000_NS6detail17trampoline_kernelINS0_13select_configILj256ELj13ELNS0_17block_load_methodE3ELS4_3ELS4_3ELNS0_20block_scan_algorithmE0ELj4294967295EEENS1_25partition_config_selectorILNS1_17partition_subalgoE3EjNS0_10empty_typeEbEEZZNS1_14partition_implILS8_3ELb0ES6_jNS0_17counting_iteratorIjlEEPS9_SE_NS0_5tupleIJPjSE_EEENSF_IJSE_SE_EEES9_SG_JZNS1_25segmented_radix_sort_implINS0_14default_configELb0EPKhPhPKlPlN2at6native12_GLOBAL__N_18offset_tEEE10hipError_tPvRmT1_PNSt15iterator_traitsISY_E10value_typeET2_T3_PNSZ_IS14_E10value_typeET4_jRbjT5_S1A_jjP12ihipStream_tbEUljE_EEESV_SW_SX_S14_S18_S1A_T6_T7_T9_mT8_S1C_bDpT10_ENKUlT_T0_E_clISt17integral_constantIbLb0EES1O_IbLb1EEEEDaS1K_S1L_EUlS1K_E_NS1_11comp_targetILNS1_3genE0ELNS1_11target_archE4294967295ELNS1_3gpuE0ELNS1_3repE0EEENS1_30default_config_static_selectorELNS0_4arch9wavefront6targetE1EEEvSY_.kd
    .uniform_work_group_size: 1
    .uses_dynamic_stack: false
    .vgpr_count:     0
    .vgpr_spill_count: 0
    .wavefront_size: 64
  - .agpr_count:     0
    .args:
      - .offset:         0
        .size:           152
        .value_kind:     by_value
    .group_segment_fixed_size: 0
    .kernarg_segment_align: 8
    .kernarg_segment_size: 152
    .language:       OpenCL C
    .language_version:
      - 2
      - 0
    .max_flat_workgroup_size: 256
    .name:           _ZN7rocprim17ROCPRIM_400000_NS6detail17trampoline_kernelINS0_13select_configILj256ELj13ELNS0_17block_load_methodE3ELS4_3ELS4_3ELNS0_20block_scan_algorithmE0ELj4294967295EEENS1_25partition_config_selectorILNS1_17partition_subalgoE3EjNS0_10empty_typeEbEEZZNS1_14partition_implILS8_3ELb0ES6_jNS0_17counting_iteratorIjlEEPS9_SE_NS0_5tupleIJPjSE_EEENSF_IJSE_SE_EEES9_SG_JZNS1_25segmented_radix_sort_implINS0_14default_configELb0EPKhPhPKlPlN2at6native12_GLOBAL__N_18offset_tEEE10hipError_tPvRmT1_PNSt15iterator_traitsISY_E10value_typeET2_T3_PNSZ_IS14_E10value_typeET4_jRbjT5_S1A_jjP12ihipStream_tbEUljE_EEESV_SW_SX_S14_S18_S1A_T6_T7_T9_mT8_S1C_bDpT10_ENKUlT_T0_E_clISt17integral_constantIbLb0EES1O_IbLb1EEEEDaS1K_S1L_EUlS1K_E_NS1_11comp_targetILNS1_3genE5ELNS1_11target_archE942ELNS1_3gpuE9ELNS1_3repE0EEENS1_30default_config_static_selectorELNS0_4arch9wavefront6targetE1EEEvSY_
    .private_segment_fixed_size: 0
    .sgpr_count:     4
    .sgpr_spill_count: 0
    .symbol:         _ZN7rocprim17ROCPRIM_400000_NS6detail17trampoline_kernelINS0_13select_configILj256ELj13ELNS0_17block_load_methodE3ELS4_3ELS4_3ELNS0_20block_scan_algorithmE0ELj4294967295EEENS1_25partition_config_selectorILNS1_17partition_subalgoE3EjNS0_10empty_typeEbEEZZNS1_14partition_implILS8_3ELb0ES6_jNS0_17counting_iteratorIjlEEPS9_SE_NS0_5tupleIJPjSE_EEENSF_IJSE_SE_EEES9_SG_JZNS1_25segmented_radix_sort_implINS0_14default_configELb0EPKhPhPKlPlN2at6native12_GLOBAL__N_18offset_tEEE10hipError_tPvRmT1_PNSt15iterator_traitsISY_E10value_typeET2_T3_PNSZ_IS14_E10value_typeET4_jRbjT5_S1A_jjP12ihipStream_tbEUljE_EEESV_SW_SX_S14_S18_S1A_T6_T7_T9_mT8_S1C_bDpT10_ENKUlT_T0_E_clISt17integral_constantIbLb0EES1O_IbLb1EEEEDaS1K_S1L_EUlS1K_E_NS1_11comp_targetILNS1_3genE5ELNS1_11target_archE942ELNS1_3gpuE9ELNS1_3repE0EEENS1_30default_config_static_selectorELNS0_4arch9wavefront6targetE1EEEvSY_.kd
    .uniform_work_group_size: 1
    .uses_dynamic_stack: false
    .vgpr_count:     0
    .vgpr_spill_count: 0
    .wavefront_size: 64
  - .agpr_count:     0
    .args:
      - .offset:         0
        .size:           152
        .value_kind:     by_value
    .group_segment_fixed_size: 13324
    .kernarg_segment_align: 8
    .kernarg_segment_size: 152
    .language:       OpenCL C
    .language_version:
      - 2
      - 0
    .max_flat_workgroup_size: 256
    .name:           _ZN7rocprim17ROCPRIM_400000_NS6detail17trampoline_kernelINS0_13select_configILj256ELj13ELNS0_17block_load_methodE3ELS4_3ELS4_3ELNS0_20block_scan_algorithmE0ELj4294967295EEENS1_25partition_config_selectorILNS1_17partition_subalgoE3EjNS0_10empty_typeEbEEZZNS1_14partition_implILS8_3ELb0ES6_jNS0_17counting_iteratorIjlEEPS9_SE_NS0_5tupleIJPjSE_EEENSF_IJSE_SE_EEES9_SG_JZNS1_25segmented_radix_sort_implINS0_14default_configELb0EPKhPhPKlPlN2at6native12_GLOBAL__N_18offset_tEEE10hipError_tPvRmT1_PNSt15iterator_traitsISY_E10value_typeET2_T3_PNSZ_IS14_E10value_typeET4_jRbjT5_S1A_jjP12ihipStream_tbEUljE_EEESV_SW_SX_S14_S18_S1A_T6_T7_T9_mT8_S1C_bDpT10_ENKUlT_T0_E_clISt17integral_constantIbLb0EES1O_IbLb1EEEEDaS1K_S1L_EUlS1K_E_NS1_11comp_targetILNS1_3genE4ELNS1_11target_archE910ELNS1_3gpuE8ELNS1_3repE0EEENS1_30default_config_static_selectorELNS0_4arch9wavefront6targetE1EEEvSY_
    .private_segment_fixed_size: 0
    .sgpr_count:     48
    .sgpr_spill_count: 0
    .symbol:         _ZN7rocprim17ROCPRIM_400000_NS6detail17trampoline_kernelINS0_13select_configILj256ELj13ELNS0_17block_load_methodE3ELS4_3ELS4_3ELNS0_20block_scan_algorithmE0ELj4294967295EEENS1_25partition_config_selectorILNS1_17partition_subalgoE3EjNS0_10empty_typeEbEEZZNS1_14partition_implILS8_3ELb0ES6_jNS0_17counting_iteratorIjlEEPS9_SE_NS0_5tupleIJPjSE_EEENSF_IJSE_SE_EEES9_SG_JZNS1_25segmented_radix_sort_implINS0_14default_configELb0EPKhPhPKlPlN2at6native12_GLOBAL__N_18offset_tEEE10hipError_tPvRmT1_PNSt15iterator_traitsISY_E10value_typeET2_T3_PNSZ_IS14_E10value_typeET4_jRbjT5_S1A_jjP12ihipStream_tbEUljE_EEESV_SW_SX_S14_S18_S1A_T6_T7_T9_mT8_S1C_bDpT10_ENKUlT_T0_E_clISt17integral_constantIbLb0EES1O_IbLb1EEEEDaS1K_S1L_EUlS1K_E_NS1_11comp_targetILNS1_3genE4ELNS1_11target_archE910ELNS1_3gpuE8ELNS1_3repE0EEENS1_30default_config_static_selectorELNS0_4arch9wavefront6targetE1EEEvSY_.kd
    .uniform_work_group_size: 1
    .uses_dynamic_stack: false
    .vgpr_count:     64
    .vgpr_spill_count: 0
    .wavefront_size: 64
  - .agpr_count:     0
    .args:
      - .offset:         0
        .size:           152
        .value_kind:     by_value
    .group_segment_fixed_size: 0
    .kernarg_segment_align: 8
    .kernarg_segment_size: 152
    .language:       OpenCL C
    .language_version:
      - 2
      - 0
    .max_flat_workgroup_size: 256
    .name:           _ZN7rocprim17ROCPRIM_400000_NS6detail17trampoline_kernelINS0_13select_configILj256ELj13ELNS0_17block_load_methodE3ELS4_3ELS4_3ELNS0_20block_scan_algorithmE0ELj4294967295EEENS1_25partition_config_selectorILNS1_17partition_subalgoE3EjNS0_10empty_typeEbEEZZNS1_14partition_implILS8_3ELb0ES6_jNS0_17counting_iteratorIjlEEPS9_SE_NS0_5tupleIJPjSE_EEENSF_IJSE_SE_EEES9_SG_JZNS1_25segmented_radix_sort_implINS0_14default_configELb0EPKhPhPKlPlN2at6native12_GLOBAL__N_18offset_tEEE10hipError_tPvRmT1_PNSt15iterator_traitsISY_E10value_typeET2_T3_PNSZ_IS14_E10value_typeET4_jRbjT5_S1A_jjP12ihipStream_tbEUljE_EEESV_SW_SX_S14_S18_S1A_T6_T7_T9_mT8_S1C_bDpT10_ENKUlT_T0_E_clISt17integral_constantIbLb0EES1O_IbLb1EEEEDaS1K_S1L_EUlS1K_E_NS1_11comp_targetILNS1_3genE3ELNS1_11target_archE908ELNS1_3gpuE7ELNS1_3repE0EEENS1_30default_config_static_selectorELNS0_4arch9wavefront6targetE1EEEvSY_
    .private_segment_fixed_size: 0
    .sgpr_count:     4
    .sgpr_spill_count: 0
    .symbol:         _ZN7rocprim17ROCPRIM_400000_NS6detail17trampoline_kernelINS0_13select_configILj256ELj13ELNS0_17block_load_methodE3ELS4_3ELS4_3ELNS0_20block_scan_algorithmE0ELj4294967295EEENS1_25partition_config_selectorILNS1_17partition_subalgoE3EjNS0_10empty_typeEbEEZZNS1_14partition_implILS8_3ELb0ES6_jNS0_17counting_iteratorIjlEEPS9_SE_NS0_5tupleIJPjSE_EEENSF_IJSE_SE_EEES9_SG_JZNS1_25segmented_radix_sort_implINS0_14default_configELb0EPKhPhPKlPlN2at6native12_GLOBAL__N_18offset_tEEE10hipError_tPvRmT1_PNSt15iterator_traitsISY_E10value_typeET2_T3_PNSZ_IS14_E10value_typeET4_jRbjT5_S1A_jjP12ihipStream_tbEUljE_EEESV_SW_SX_S14_S18_S1A_T6_T7_T9_mT8_S1C_bDpT10_ENKUlT_T0_E_clISt17integral_constantIbLb0EES1O_IbLb1EEEEDaS1K_S1L_EUlS1K_E_NS1_11comp_targetILNS1_3genE3ELNS1_11target_archE908ELNS1_3gpuE7ELNS1_3repE0EEENS1_30default_config_static_selectorELNS0_4arch9wavefront6targetE1EEEvSY_.kd
    .uniform_work_group_size: 1
    .uses_dynamic_stack: false
    .vgpr_count:     0
    .vgpr_spill_count: 0
    .wavefront_size: 64
  - .agpr_count:     0
    .args:
      - .offset:         0
        .size:           152
        .value_kind:     by_value
    .group_segment_fixed_size: 0
    .kernarg_segment_align: 8
    .kernarg_segment_size: 152
    .language:       OpenCL C
    .language_version:
      - 2
      - 0
    .max_flat_workgroup_size: 256
    .name:           _ZN7rocprim17ROCPRIM_400000_NS6detail17trampoline_kernelINS0_13select_configILj256ELj13ELNS0_17block_load_methodE3ELS4_3ELS4_3ELNS0_20block_scan_algorithmE0ELj4294967295EEENS1_25partition_config_selectorILNS1_17partition_subalgoE3EjNS0_10empty_typeEbEEZZNS1_14partition_implILS8_3ELb0ES6_jNS0_17counting_iteratorIjlEEPS9_SE_NS0_5tupleIJPjSE_EEENSF_IJSE_SE_EEES9_SG_JZNS1_25segmented_radix_sort_implINS0_14default_configELb0EPKhPhPKlPlN2at6native12_GLOBAL__N_18offset_tEEE10hipError_tPvRmT1_PNSt15iterator_traitsISY_E10value_typeET2_T3_PNSZ_IS14_E10value_typeET4_jRbjT5_S1A_jjP12ihipStream_tbEUljE_EEESV_SW_SX_S14_S18_S1A_T6_T7_T9_mT8_S1C_bDpT10_ENKUlT_T0_E_clISt17integral_constantIbLb0EES1O_IbLb1EEEEDaS1K_S1L_EUlS1K_E_NS1_11comp_targetILNS1_3genE2ELNS1_11target_archE906ELNS1_3gpuE6ELNS1_3repE0EEENS1_30default_config_static_selectorELNS0_4arch9wavefront6targetE1EEEvSY_
    .private_segment_fixed_size: 0
    .sgpr_count:     4
    .sgpr_spill_count: 0
    .symbol:         _ZN7rocprim17ROCPRIM_400000_NS6detail17trampoline_kernelINS0_13select_configILj256ELj13ELNS0_17block_load_methodE3ELS4_3ELS4_3ELNS0_20block_scan_algorithmE0ELj4294967295EEENS1_25partition_config_selectorILNS1_17partition_subalgoE3EjNS0_10empty_typeEbEEZZNS1_14partition_implILS8_3ELb0ES6_jNS0_17counting_iteratorIjlEEPS9_SE_NS0_5tupleIJPjSE_EEENSF_IJSE_SE_EEES9_SG_JZNS1_25segmented_radix_sort_implINS0_14default_configELb0EPKhPhPKlPlN2at6native12_GLOBAL__N_18offset_tEEE10hipError_tPvRmT1_PNSt15iterator_traitsISY_E10value_typeET2_T3_PNSZ_IS14_E10value_typeET4_jRbjT5_S1A_jjP12ihipStream_tbEUljE_EEESV_SW_SX_S14_S18_S1A_T6_T7_T9_mT8_S1C_bDpT10_ENKUlT_T0_E_clISt17integral_constantIbLb0EES1O_IbLb1EEEEDaS1K_S1L_EUlS1K_E_NS1_11comp_targetILNS1_3genE2ELNS1_11target_archE906ELNS1_3gpuE6ELNS1_3repE0EEENS1_30default_config_static_selectorELNS0_4arch9wavefront6targetE1EEEvSY_.kd
    .uniform_work_group_size: 1
    .uses_dynamic_stack: false
    .vgpr_count:     0
    .vgpr_spill_count: 0
    .wavefront_size: 64
  - .agpr_count:     0
    .args:
      - .offset:         0
        .size:           152
        .value_kind:     by_value
    .group_segment_fixed_size: 0
    .kernarg_segment_align: 8
    .kernarg_segment_size: 152
    .language:       OpenCL C
    .language_version:
      - 2
      - 0
    .max_flat_workgroup_size: 256
    .name:           _ZN7rocprim17ROCPRIM_400000_NS6detail17trampoline_kernelINS0_13select_configILj256ELj13ELNS0_17block_load_methodE3ELS4_3ELS4_3ELNS0_20block_scan_algorithmE0ELj4294967295EEENS1_25partition_config_selectorILNS1_17partition_subalgoE3EjNS0_10empty_typeEbEEZZNS1_14partition_implILS8_3ELb0ES6_jNS0_17counting_iteratorIjlEEPS9_SE_NS0_5tupleIJPjSE_EEENSF_IJSE_SE_EEES9_SG_JZNS1_25segmented_radix_sort_implINS0_14default_configELb0EPKhPhPKlPlN2at6native12_GLOBAL__N_18offset_tEEE10hipError_tPvRmT1_PNSt15iterator_traitsISY_E10value_typeET2_T3_PNSZ_IS14_E10value_typeET4_jRbjT5_S1A_jjP12ihipStream_tbEUljE_EEESV_SW_SX_S14_S18_S1A_T6_T7_T9_mT8_S1C_bDpT10_ENKUlT_T0_E_clISt17integral_constantIbLb0EES1O_IbLb1EEEEDaS1K_S1L_EUlS1K_E_NS1_11comp_targetILNS1_3genE10ELNS1_11target_archE1200ELNS1_3gpuE4ELNS1_3repE0EEENS1_30default_config_static_selectorELNS0_4arch9wavefront6targetE1EEEvSY_
    .private_segment_fixed_size: 0
    .sgpr_count:     4
    .sgpr_spill_count: 0
    .symbol:         _ZN7rocprim17ROCPRIM_400000_NS6detail17trampoline_kernelINS0_13select_configILj256ELj13ELNS0_17block_load_methodE3ELS4_3ELS4_3ELNS0_20block_scan_algorithmE0ELj4294967295EEENS1_25partition_config_selectorILNS1_17partition_subalgoE3EjNS0_10empty_typeEbEEZZNS1_14partition_implILS8_3ELb0ES6_jNS0_17counting_iteratorIjlEEPS9_SE_NS0_5tupleIJPjSE_EEENSF_IJSE_SE_EEES9_SG_JZNS1_25segmented_radix_sort_implINS0_14default_configELb0EPKhPhPKlPlN2at6native12_GLOBAL__N_18offset_tEEE10hipError_tPvRmT1_PNSt15iterator_traitsISY_E10value_typeET2_T3_PNSZ_IS14_E10value_typeET4_jRbjT5_S1A_jjP12ihipStream_tbEUljE_EEESV_SW_SX_S14_S18_S1A_T6_T7_T9_mT8_S1C_bDpT10_ENKUlT_T0_E_clISt17integral_constantIbLb0EES1O_IbLb1EEEEDaS1K_S1L_EUlS1K_E_NS1_11comp_targetILNS1_3genE10ELNS1_11target_archE1200ELNS1_3gpuE4ELNS1_3repE0EEENS1_30default_config_static_selectorELNS0_4arch9wavefront6targetE1EEEvSY_.kd
    .uniform_work_group_size: 1
    .uses_dynamic_stack: false
    .vgpr_count:     0
    .vgpr_spill_count: 0
    .wavefront_size: 64
  - .agpr_count:     0
    .args:
      - .offset:         0
        .size:           152
        .value_kind:     by_value
    .group_segment_fixed_size: 0
    .kernarg_segment_align: 8
    .kernarg_segment_size: 152
    .language:       OpenCL C
    .language_version:
      - 2
      - 0
    .max_flat_workgroup_size: 256
    .name:           _ZN7rocprim17ROCPRIM_400000_NS6detail17trampoline_kernelINS0_13select_configILj256ELj13ELNS0_17block_load_methodE3ELS4_3ELS4_3ELNS0_20block_scan_algorithmE0ELj4294967295EEENS1_25partition_config_selectorILNS1_17partition_subalgoE3EjNS0_10empty_typeEbEEZZNS1_14partition_implILS8_3ELb0ES6_jNS0_17counting_iteratorIjlEEPS9_SE_NS0_5tupleIJPjSE_EEENSF_IJSE_SE_EEES9_SG_JZNS1_25segmented_radix_sort_implINS0_14default_configELb0EPKhPhPKlPlN2at6native12_GLOBAL__N_18offset_tEEE10hipError_tPvRmT1_PNSt15iterator_traitsISY_E10value_typeET2_T3_PNSZ_IS14_E10value_typeET4_jRbjT5_S1A_jjP12ihipStream_tbEUljE_EEESV_SW_SX_S14_S18_S1A_T6_T7_T9_mT8_S1C_bDpT10_ENKUlT_T0_E_clISt17integral_constantIbLb0EES1O_IbLb1EEEEDaS1K_S1L_EUlS1K_E_NS1_11comp_targetILNS1_3genE9ELNS1_11target_archE1100ELNS1_3gpuE3ELNS1_3repE0EEENS1_30default_config_static_selectorELNS0_4arch9wavefront6targetE1EEEvSY_
    .private_segment_fixed_size: 0
    .sgpr_count:     4
    .sgpr_spill_count: 0
    .symbol:         _ZN7rocprim17ROCPRIM_400000_NS6detail17trampoline_kernelINS0_13select_configILj256ELj13ELNS0_17block_load_methodE3ELS4_3ELS4_3ELNS0_20block_scan_algorithmE0ELj4294967295EEENS1_25partition_config_selectorILNS1_17partition_subalgoE3EjNS0_10empty_typeEbEEZZNS1_14partition_implILS8_3ELb0ES6_jNS0_17counting_iteratorIjlEEPS9_SE_NS0_5tupleIJPjSE_EEENSF_IJSE_SE_EEES9_SG_JZNS1_25segmented_radix_sort_implINS0_14default_configELb0EPKhPhPKlPlN2at6native12_GLOBAL__N_18offset_tEEE10hipError_tPvRmT1_PNSt15iterator_traitsISY_E10value_typeET2_T3_PNSZ_IS14_E10value_typeET4_jRbjT5_S1A_jjP12ihipStream_tbEUljE_EEESV_SW_SX_S14_S18_S1A_T6_T7_T9_mT8_S1C_bDpT10_ENKUlT_T0_E_clISt17integral_constantIbLb0EES1O_IbLb1EEEEDaS1K_S1L_EUlS1K_E_NS1_11comp_targetILNS1_3genE9ELNS1_11target_archE1100ELNS1_3gpuE3ELNS1_3repE0EEENS1_30default_config_static_selectorELNS0_4arch9wavefront6targetE1EEEvSY_.kd
    .uniform_work_group_size: 1
    .uses_dynamic_stack: false
    .vgpr_count:     0
    .vgpr_spill_count: 0
    .wavefront_size: 64
  - .agpr_count:     0
    .args:
      - .offset:         0
        .size:           152
        .value_kind:     by_value
    .group_segment_fixed_size: 0
    .kernarg_segment_align: 8
    .kernarg_segment_size: 152
    .language:       OpenCL C
    .language_version:
      - 2
      - 0
    .max_flat_workgroup_size: 256
    .name:           _ZN7rocprim17ROCPRIM_400000_NS6detail17trampoline_kernelINS0_13select_configILj256ELj13ELNS0_17block_load_methodE3ELS4_3ELS4_3ELNS0_20block_scan_algorithmE0ELj4294967295EEENS1_25partition_config_selectorILNS1_17partition_subalgoE3EjNS0_10empty_typeEbEEZZNS1_14partition_implILS8_3ELb0ES6_jNS0_17counting_iteratorIjlEEPS9_SE_NS0_5tupleIJPjSE_EEENSF_IJSE_SE_EEES9_SG_JZNS1_25segmented_radix_sort_implINS0_14default_configELb0EPKhPhPKlPlN2at6native12_GLOBAL__N_18offset_tEEE10hipError_tPvRmT1_PNSt15iterator_traitsISY_E10value_typeET2_T3_PNSZ_IS14_E10value_typeET4_jRbjT5_S1A_jjP12ihipStream_tbEUljE_EEESV_SW_SX_S14_S18_S1A_T6_T7_T9_mT8_S1C_bDpT10_ENKUlT_T0_E_clISt17integral_constantIbLb0EES1O_IbLb1EEEEDaS1K_S1L_EUlS1K_E_NS1_11comp_targetILNS1_3genE8ELNS1_11target_archE1030ELNS1_3gpuE2ELNS1_3repE0EEENS1_30default_config_static_selectorELNS0_4arch9wavefront6targetE1EEEvSY_
    .private_segment_fixed_size: 0
    .sgpr_count:     4
    .sgpr_spill_count: 0
    .symbol:         _ZN7rocprim17ROCPRIM_400000_NS6detail17trampoline_kernelINS0_13select_configILj256ELj13ELNS0_17block_load_methodE3ELS4_3ELS4_3ELNS0_20block_scan_algorithmE0ELj4294967295EEENS1_25partition_config_selectorILNS1_17partition_subalgoE3EjNS0_10empty_typeEbEEZZNS1_14partition_implILS8_3ELb0ES6_jNS0_17counting_iteratorIjlEEPS9_SE_NS0_5tupleIJPjSE_EEENSF_IJSE_SE_EEES9_SG_JZNS1_25segmented_radix_sort_implINS0_14default_configELb0EPKhPhPKlPlN2at6native12_GLOBAL__N_18offset_tEEE10hipError_tPvRmT1_PNSt15iterator_traitsISY_E10value_typeET2_T3_PNSZ_IS14_E10value_typeET4_jRbjT5_S1A_jjP12ihipStream_tbEUljE_EEESV_SW_SX_S14_S18_S1A_T6_T7_T9_mT8_S1C_bDpT10_ENKUlT_T0_E_clISt17integral_constantIbLb0EES1O_IbLb1EEEEDaS1K_S1L_EUlS1K_E_NS1_11comp_targetILNS1_3genE8ELNS1_11target_archE1030ELNS1_3gpuE2ELNS1_3repE0EEENS1_30default_config_static_selectorELNS0_4arch9wavefront6targetE1EEEvSY_.kd
    .uniform_work_group_size: 1
    .uses_dynamic_stack: false
    .vgpr_count:     0
    .vgpr_spill_count: 0
    .wavefront_size: 64
  - .agpr_count:     0
    .args:
      - .offset:         0
        .size:           96
        .value_kind:     by_value
    .group_segment_fixed_size: 0
    .kernarg_segment_align: 8
    .kernarg_segment_size: 96
    .language:       OpenCL C
    .language_version:
      - 2
      - 0
    .max_flat_workgroup_size: 256
    .name:           _ZN7rocprim17ROCPRIM_400000_NS6detail17trampoline_kernelINS0_14default_configENS1_36segmented_radix_sort_config_selectorIhlEEZNS1_25segmented_radix_sort_implIS3_Lb0EPKhPhPKlPlN2at6native12_GLOBAL__N_18offset_tEEE10hipError_tPvRmT1_PNSt15iterator_traitsISK_E10value_typeET2_T3_PNSL_ISQ_E10value_typeET4_jRbjT5_SW_jjP12ihipStream_tbEUlT_E_NS1_11comp_targetILNS1_3genE0ELNS1_11target_archE4294967295ELNS1_3gpuE0ELNS1_3repE0EEENS1_30default_config_static_selectorELNS0_4arch9wavefront6targetE1EEEvSK_
    .private_segment_fixed_size: 0
    .sgpr_count:     4
    .sgpr_spill_count: 0
    .symbol:         _ZN7rocprim17ROCPRIM_400000_NS6detail17trampoline_kernelINS0_14default_configENS1_36segmented_radix_sort_config_selectorIhlEEZNS1_25segmented_radix_sort_implIS3_Lb0EPKhPhPKlPlN2at6native12_GLOBAL__N_18offset_tEEE10hipError_tPvRmT1_PNSt15iterator_traitsISK_E10value_typeET2_T3_PNSL_ISQ_E10value_typeET4_jRbjT5_SW_jjP12ihipStream_tbEUlT_E_NS1_11comp_targetILNS1_3genE0ELNS1_11target_archE4294967295ELNS1_3gpuE0ELNS1_3repE0EEENS1_30default_config_static_selectorELNS0_4arch9wavefront6targetE1EEEvSK_.kd
    .uniform_work_group_size: 1
    .uses_dynamic_stack: false
    .vgpr_count:     0
    .vgpr_spill_count: 0
    .wavefront_size: 64
  - .agpr_count:     0
    .args:
      - .offset:         0
        .size:           96
        .value_kind:     by_value
    .group_segment_fixed_size: 0
    .kernarg_segment_align: 8
    .kernarg_segment_size: 96
    .language:       OpenCL C
    .language_version:
      - 2
      - 0
    .max_flat_workgroup_size: 256
    .name:           _ZN7rocprim17ROCPRIM_400000_NS6detail17trampoline_kernelINS0_14default_configENS1_36segmented_radix_sort_config_selectorIhlEEZNS1_25segmented_radix_sort_implIS3_Lb0EPKhPhPKlPlN2at6native12_GLOBAL__N_18offset_tEEE10hipError_tPvRmT1_PNSt15iterator_traitsISK_E10value_typeET2_T3_PNSL_ISQ_E10value_typeET4_jRbjT5_SW_jjP12ihipStream_tbEUlT_E_NS1_11comp_targetILNS1_3genE5ELNS1_11target_archE942ELNS1_3gpuE9ELNS1_3repE0EEENS1_30default_config_static_selectorELNS0_4arch9wavefront6targetE1EEEvSK_
    .private_segment_fixed_size: 0
    .sgpr_count:     4
    .sgpr_spill_count: 0
    .symbol:         _ZN7rocprim17ROCPRIM_400000_NS6detail17trampoline_kernelINS0_14default_configENS1_36segmented_radix_sort_config_selectorIhlEEZNS1_25segmented_radix_sort_implIS3_Lb0EPKhPhPKlPlN2at6native12_GLOBAL__N_18offset_tEEE10hipError_tPvRmT1_PNSt15iterator_traitsISK_E10value_typeET2_T3_PNSL_ISQ_E10value_typeET4_jRbjT5_SW_jjP12ihipStream_tbEUlT_E_NS1_11comp_targetILNS1_3genE5ELNS1_11target_archE942ELNS1_3gpuE9ELNS1_3repE0EEENS1_30default_config_static_selectorELNS0_4arch9wavefront6targetE1EEEvSK_.kd
    .uniform_work_group_size: 1
    .uses_dynamic_stack: false
    .vgpr_count:     0
    .vgpr_spill_count: 0
    .wavefront_size: 64
  - .agpr_count:     0
    .args:
      - .offset:         0
        .size:           96
        .value_kind:     by_value
      - .offset:         96
        .size:           4
        .value_kind:     hidden_block_count_x
      - .offset:         100
        .size:           4
        .value_kind:     hidden_block_count_y
      - .offset:         104
        .size:           4
        .value_kind:     hidden_block_count_z
      - .offset:         108
        .size:           2
        .value_kind:     hidden_group_size_x
      - .offset:         110
        .size:           2
        .value_kind:     hidden_group_size_y
      - .offset:         112
        .size:           2
        .value_kind:     hidden_group_size_z
      - .offset:         114
        .size:           2
        .value_kind:     hidden_remainder_x
      - .offset:         116
        .size:           2
        .value_kind:     hidden_remainder_y
      - .offset:         118
        .size:           2
        .value_kind:     hidden_remainder_z
      - .offset:         136
        .size:           8
        .value_kind:     hidden_global_offset_x
      - .offset:         144
        .size:           8
        .value_kind:     hidden_global_offset_y
      - .offset:         152
        .size:           8
        .value_kind:     hidden_global_offset_z
      - .offset:         160
        .size:           2
        .value_kind:     hidden_grid_dims
      - .offset:         176
        .size:           8
        .value_kind:     hidden_hostcall_buffer
      - .offset:         184
        .size:           8
        .value_kind:     hidden_multigrid_sync_arg
      - .offset:         192
        .size:           8
        .value_kind:     hidden_heap_v1
      - .offset:         200
        .size:           8
        .value_kind:     hidden_default_queue
      - .offset:         208
        .size:           8
        .value_kind:     hidden_completion_action
      - .offset:         296
        .size:           8
        .value_kind:     hidden_queue_ptr
    .group_segment_fixed_size: 17424
    .kernarg_segment_align: 8
    .kernarg_segment_size: 352
    .language:       OpenCL C
    .language_version:
      - 2
      - 0
    .max_flat_workgroup_size: 256
    .name:           _ZN7rocprim17ROCPRIM_400000_NS6detail17trampoline_kernelINS0_14default_configENS1_36segmented_radix_sort_config_selectorIhlEEZNS1_25segmented_radix_sort_implIS3_Lb0EPKhPhPKlPlN2at6native12_GLOBAL__N_18offset_tEEE10hipError_tPvRmT1_PNSt15iterator_traitsISK_E10value_typeET2_T3_PNSL_ISQ_E10value_typeET4_jRbjT5_SW_jjP12ihipStream_tbEUlT_E_NS1_11comp_targetILNS1_3genE4ELNS1_11target_archE910ELNS1_3gpuE8ELNS1_3repE0EEENS1_30default_config_static_selectorELNS0_4arch9wavefront6targetE1EEEvSK_
    .private_segment_fixed_size: 8
    .sgpr_count:     86
    .sgpr_spill_count: 0
    .symbol:         _ZN7rocprim17ROCPRIM_400000_NS6detail17trampoline_kernelINS0_14default_configENS1_36segmented_radix_sort_config_selectorIhlEEZNS1_25segmented_radix_sort_implIS3_Lb0EPKhPhPKlPlN2at6native12_GLOBAL__N_18offset_tEEE10hipError_tPvRmT1_PNSt15iterator_traitsISK_E10value_typeET2_T3_PNSL_ISQ_E10value_typeET4_jRbjT5_SW_jjP12ihipStream_tbEUlT_E_NS1_11comp_targetILNS1_3genE4ELNS1_11target_archE910ELNS1_3gpuE8ELNS1_3repE0EEENS1_30default_config_static_selectorELNS0_4arch9wavefront6targetE1EEEvSK_.kd
    .uniform_work_group_size: 1
    .uses_dynamic_stack: false
    .vgpr_count:     180
    .vgpr_spill_count: 0
    .wavefront_size: 64
  - .agpr_count:     0
    .args:
      - .offset:         0
        .size:           96
        .value_kind:     by_value
    .group_segment_fixed_size: 0
    .kernarg_segment_align: 8
    .kernarg_segment_size: 96
    .language:       OpenCL C
    .language_version:
      - 2
      - 0
    .max_flat_workgroup_size: 256
    .name:           _ZN7rocprim17ROCPRIM_400000_NS6detail17trampoline_kernelINS0_14default_configENS1_36segmented_radix_sort_config_selectorIhlEEZNS1_25segmented_radix_sort_implIS3_Lb0EPKhPhPKlPlN2at6native12_GLOBAL__N_18offset_tEEE10hipError_tPvRmT1_PNSt15iterator_traitsISK_E10value_typeET2_T3_PNSL_ISQ_E10value_typeET4_jRbjT5_SW_jjP12ihipStream_tbEUlT_E_NS1_11comp_targetILNS1_3genE3ELNS1_11target_archE908ELNS1_3gpuE7ELNS1_3repE0EEENS1_30default_config_static_selectorELNS0_4arch9wavefront6targetE1EEEvSK_
    .private_segment_fixed_size: 0
    .sgpr_count:     4
    .sgpr_spill_count: 0
    .symbol:         _ZN7rocprim17ROCPRIM_400000_NS6detail17trampoline_kernelINS0_14default_configENS1_36segmented_radix_sort_config_selectorIhlEEZNS1_25segmented_radix_sort_implIS3_Lb0EPKhPhPKlPlN2at6native12_GLOBAL__N_18offset_tEEE10hipError_tPvRmT1_PNSt15iterator_traitsISK_E10value_typeET2_T3_PNSL_ISQ_E10value_typeET4_jRbjT5_SW_jjP12ihipStream_tbEUlT_E_NS1_11comp_targetILNS1_3genE3ELNS1_11target_archE908ELNS1_3gpuE7ELNS1_3repE0EEENS1_30default_config_static_selectorELNS0_4arch9wavefront6targetE1EEEvSK_.kd
    .uniform_work_group_size: 1
    .uses_dynamic_stack: false
    .vgpr_count:     0
    .vgpr_spill_count: 0
    .wavefront_size: 64
  - .agpr_count:     0
    .args:
      - .offset:         0
        .size:           96
        .value_kind:     by_value
    .group_segment_fixed_size: 0
    .kernarg_segment_align: 8
    .kernarg_segment_size: 96
    .language:       OpenCL C
    .language_version:
      - 2
      - 0
    .max_flat_workgroup_size: 256
    .name:           _ZN7rocprim17ROCPRIM_400000_NS6detail17trampoline_kernelINS0_14default_configENS1_36segmented_radix_sort_config_selectorIhlEEZNS1_25segmented_radix_sort_implIS3_Lb0EPKhPhPKlPlN2at6native12_GLOBAL__N_18offset_tEEE10hipError_tPvRmT1_PNSt15iterator_traitsISK_E10value_typeET2_T3_PNSL_ISQ_E10value_typeET4_jRbjT5_SW_jjP12ihipStream_tbEUlT_E_NS1_11comp_targetILNS1_3genE2ELNS1_11target_archE906ELNS1_3gpuE6ELNS1_3repE0EEENS1_30default_config_static_selectorELNS0_4arch9wavefront6targetE1EEEvSK_
    .private_segment_fixed_size: 0
    .sgpr_count:     4
    .sgpr_spill_count: 0
    .symbol:         _ZN7rocprim17ROCPRIM_400000_NS6detail17trampoline_kernelINS0_14default_configENS1_36segmented_radix_sort_config_selectorIhlEEZNS1_25segmented_radix_sort_implIS3_Lb0EPKhPhPKlPlN2at6native12_GLOBAL__N_18offset_tEEE10hipError_tPvRmT1_PNSt15iterator_traitsISK_E10value_typeET2_T3_PNSL_ISQ_E10value_typeET4_jRbjT5_SW_jjP12ihipStream_tbEUlT_E_NS1_11comp_targetILNS1_3genE2ELNS1_11target_archE906ELNS1_3gpuE6ELNS1_3repE0EEENS1_30default_config_static_selectorELNS0_4arch9wavefront6targetE1EEEvSK_.kd
    .uniform_work_group_size: 1
    .uses_dynamic_stack: false
    .vgpr_count:     0
    .vgpr_spill_count: 0
    .wavefront_size: 64
  - .agpr_count:     0
    .args:
      - .offset:         0
        .size:           96
        .value_kind:     by_value
    .group_segment_fixed_size: 0
    .kernarg_segment_align: 8
    .kernarg_segment_size: 96
    .language:       OpenCL C
    .language_version:
      - 2
      - 0
    .max_flat_workgroup_size: 256
    .name:           _ZN7rocprim17ROCPRIM_400000_NS6detail17trampoline_kernelINS0_14default_configENS1_36segmented_radix_sort_config_selectorIhlEEZNS1_25segmented_radix_sort_implIS3_Lb0EPKhPhPKlPlN2at6native12_GLOBAL__N_18offset_tEEE10hipError_tPvRmT1_PNSt15iterator_traitsISK_E10value_typeET2_T3_PNSL_ISQ_E10value_typeET4_jRbjT5_SW_jjP12ihipStream_tbEUlT_E_NS1_11comp_targetILNS1_3genE10ELNS1_11target_archE1201ELNS1_3gpuE5ELNS1_3repE0EEENS1_30default_config_static_selectorELNS0_4arch9wavefront6targetE1EEEvSK_
    .private_segment_fixed_size: 0
    .sgpr_count:     4
    .sgpr_spill_count: 0
    .symbol:         _ZN7rocprim17ROCPRIM_400000_NS6detail17trampoline_kernelINS0_14default_configENS1_36segmented_radix_sort_config_selectorIhlEEZNS1_25segmented_radix_sort_implIS3_Lb0EPKhPhPKlPlN2at6native12_GLOBAL__N_18offset_tEEE10hipError_tPvRmT1_PNSt15iterator_traitsISK_E10value_typeET2_T3_PNSL_ISQ_E10value_typeET4_jRbjT5_SW_jjP12ihipStream_tbEUlT_E_NS1_11comp_targetILNS1_3genE10ELNS1_11target_archE1201ELNS1_3gpuE5ELNS1_3repE0EEENS1_30default_config_static_selectorELNS0_4arch9wavefront6targetE1EEEvSK_.kd
    .uniform_work_group_size: 1
    .uses_dynamic_stack: false
    .vgpr_count:     0
    .vgpr_spill_count: 0
    .wavefront_size: 64
  - .agpr_count:     0
    .args:
      - .offset:         0
        .size:           96
        .value_kind:     by_value
    .group_segment_fixed_size: 0
    .kernarg_segment_align: 8
    .kernarg_segment_size: 96
    .language:       OpenCL C
    .language_version:
      - 2
      - 0
    .max_flat_workgroup_size: 128
    .name:           _ZN7rocprim17ROCPRIM_400000_NS6detail17trampoline_kernelINS0_14default_configENS1_36segmented_radix_sort_config_selectorIhlEEZNS1_25segmented_radix_sort_implIS3_Lb0EPKhPhPKlPlN2at6native12_GLOBAL__N_18offset_tEEE10hipError_tPvRmT1_PNSt15iterator_traitsISK_E10value_typeET2_T3_PNSL_ISQ_E10value_typeET4_jRbjT5_SW_jjP12ihipStream_tbEUlT_E_NS1_11comp_targetILNS1_3genE10ELNS1_11target_archE1200ELNS1_3gpuE4ELNS1_3repE0EEENS1_30default_config_static_selectorELNS0_4arch9wavefront6targetE1EEEvSK_
    .private_segment_fixed_size: 0
    .sgpr_count:     4
    .sgpr_spill_count: 0
    .symbol:         _ZN7rocprim17ROCPRIM_400000_NS6detail17trampoline_kernelINS0_14default_configENS1_36segmented_radix_sort_config_selectorIhlEEZNS1_25segmented_radix_sort_implIS3_Lb0EPKhPhPKlPlN2at6native12_GLOBAL__N_18offset_tEEE10hipError_tPvRmT1_PNSt15iterator_traitsISK_E10value_typeET2_T3_PNSL_ISQ_E10value_typeET4_jRbjT5_SW_jjP12ihipStream_tbEUlT_E_NS1_11comp_targetILNS1_3genE10ELNS1_11target_archE1200ELNS1_3gpuE4ELNS1_3repE0EEENS1_30default_config_static_selectorELNS0_4arch9wavefront6targetE1EEEvSK_.kd
    .uniform_work_group_size: 1
    .uses_dynamic_stack: false
    .vgpr_count:     0
    .vgpr_spill_count: 0
    .wavefront_size: 64
  - .agpr_count:     0
    .args:
      - .offset:         0
        .size:           96
        .value_kind:     by_value
    .group_segment_fixed_size: 0
    .kernarg_segment_align: 8
    .kernarg_segment_size: 96
    .language:       OpenCL C
    .language_version:
      - 2
      - 0
    .max_flat_workgroup_size: 256
    .name:           _ZN7rocprim17ROCPRIM_400000_NS6detail17trampoline_kernelINS0_14default_configENS1_36segmented_radix_sort_config_selectorIhlEEZNS1_25segmented_radix_sort_implIS3_Lb0EPKhPhPKlPlN2at6native12_GLOBAL__N_18offset_tEEE10hipError_tPvRmT1_PNSt15iterator_traitsISK_E10value_typeET2_T3_PNSL_ISQ_E10value_typeET4_jRbjT5_SW_jjP12ihipStream_tbEUlT_E_NS1_11comp_targetILNS1_3genE9ELNS1_11target_archE1100ELNS1_3gpuE3ELNS1_3repE0EEENS1_30default_config_static_selectorELNS0_4arch9wavefront6targetE1EEEvSK_
    .private_segment_fixed_size: 0
    .sgpr_count:     4
    .sgpr_spill_count: 0
    .symbol:         _ZN7rocprim17ROCPRIM_400000_NS6detail17trampoline_kernelINS0_14default_configENS1_36segmented_radix_sort_config_selectorIhlEEZNS1_25segmented_radix_sort_implIS3_Lb0EPKhPhPKlPlN2at6native12_GLOBAL__N_18offset_tEEE10hipError_tPvRmT1_PNSt15iterator_traitsISK_E10value_typeET2_T3_PNSL_ISQ_E10value_typeET4_jRbjT5_SW_jjP12ihipStream_tbEUlT_E_NS1_11comp_targetILNS1_3genE9ELNS1_11target_archE1100ELNS1_3gpuE3ELNS1_3repE0EEENS1_30default_config_static_selectorELNS0_4arch9wavefront6targetE1EEEvSK_.kd
    .uniform_work_group_size: 1
    .uses_dynamic_stack: false
    .vgpr_count:     0
    .vgpr_spill_count: 0
    .wavefront_size: 64
  - .agpr_count:     0
    .args:
      - .offset:         0
        .size:           96
        .value_kind:     by_value
    .group_segment_fixed_size: 0
    .kernarg_segment_align: 8
    .kernarg_segment_size: 96
    .language:       OpenCL C
    .language_version:
      - 2
      - 0
    .max_flat_workgroup_size: 256
    .name:           _ZN7rocprim17ROCPRIM_400000_NS6detail17trampoline_kernelINS0_14default_configENS1_36segmented_radix_sort_config_selectorIhlEEZNS1_25segmented_radix_sort_implIS3_Lb0EPKhPhPKlPlN2at6native12_GLOBAL__N_18offset_tEEE10hipError_tPvRmT1_PNSt15iterator_traitsISK_E10value_typeET2_T3_PNSL_ISQ_E10value_typeET4_jRbjT5_SW_jjP12ihipStream_tbEUlT_E_NS1_11comp_targetILNS1_3genE8ELNS1_11target_archE1030ELNS1_3gpuE2ELNS1_3repE0EEENS1_30default_config_static_selectorELNS0_4arch9wavefront6targetE1EEEvSK_
    .private_segment_fixed_size: 0
    .sgpr_count:     4
    .sgpr_spill_count: 0
    .symbol:         _ZN7rocprim17ROCPRIM_400000_NS6detail17trampoline_kernelINS0_14default_configENS1_36segmented_radix_sort_config_selectorIhlEEZNS1_25segmented_radix_sort_implIS3_Lb0EPKhPhPKlPlN2at6native12_GLOBAL__N_18offset_tEEE10hipError_tPvRmT1_PNSt15iterator_traitsISK_E10value_typeET2_T3_PNSL_ISQ_E10value_typeET4_jRbjT5_SW_jjP12ihipStream_tbEUlT_E_NS1_11comp_targetILNS1_3genE8ELNS1_11target_archE1030ELNS1_3gpuE2ELNS1_3repE0EEENS1_30default_config_static_selectorELNS0_4arch9wavefront6targetE1EEEvSK_.kd
    .uniform_work_group_size: 1
    .uses_dynamic_stack: false
    .vgpr_count:     0
    .vgpr_spill_count: 0
    .wavefront_size: 64
  - .agpr_count:     0
    .args:
      - .offset:         0
        .size:           88
        .value_kind:     by_value
    .group_segment_fixed_size: 0
    .kernarg_segment_align: 8
    .kernarg_segment_size: 88
    .language:       OpenCL C
    .language_version:
      - 2
      - 0
    .max_flat_workgroup_size: 256
    .name:           _ZN7rocprim17ROCPRIM_400000_NS6detail17trampoline_kernelINS0_14default_configENS1_36segmented_radix_sort_config_selectorIhlEEZNS1_25segmented_radix_sort_implIS3_Lb0EPKhPhPKlPlN2at6native12_GLOBAL__N_18offset_tEEE10hipError_tPvRmT1_PNSt15iterator_traitsISK_E10value_typeET2_T3_PNSL_ISQ_E10value_typeET4_jRbjT5_SW_jjP12ihipStream_tbEUlT_E0_NS1_11comp_targetILNS1_3genE0ELNS1_11target_archE4294967295ELNS1_3gpuE0ELNS1_3repE0EEENS1_60segmented_radix_sort_warp_sort_medium_config_static_selectorELNS0_4arch9wavefront6targetE1EEEvSK_
    .private_segment_fixed_size: 0
    .sgpr_count:     4
    .sgpr_spill_count: 0
    .symbol:         _ZN7rocprim17ROCPRIM_400000_NS6detail17trampoline_kernelINS0_14default_configENS1_36segmented_radix_sort_config_selectorIhlEEZNS1_25segmented_radix_sort_implIS3_Lb0EPKhPhPKlPlN2at6native12_GLOBAL__N_18offset_tEEE10hipError_tPvRmT1_PNSt15iterator_traitsISK_E10value_typeET2_T3_PNSL_ISQ_E10value_typeET4_jRbjT5_SW_jjP12ihipStream_tbEUlT_E0_NS1_11comp_targetILNS1_3genE0ELNS1_11target_archE4294967295ELNS1_3gpuE0ELNS1_3repE0EEENS1_60segmented_radix_sort_warp_sort_medium_config_static_selectorELNS0_4arch9wavefront6targetE1EEEvSK_.kd
    .uniform_work_group_size: 1
    .uses_dynamic_stack: false
    .vgpr_count:     0
    .vgpr_spill_count: 0
    .wavefront_size: 64
  - .agpr_count:     0
    .args:
      - .offset:         0
        .size:           88
        .value_kind:     by_value
    .group_segment_fixed_size: 0
    .kernarg_segment_align: 8
    .kernarg_segment_size: 88
    .language:       OpenCL C
    .language_version:
      - 2
      - 0
    .max_flat_workgroup_size: 256
    .name:           _ZN7rocprim17ROCPRIM_400000_NS6detail17trampoline_kernelINS0_14default_configENS1_36segmented_radix_sort_config_selectorIhlEEZNS1_25segmented_radix_sort_implIS3_Lb0EPKhPhPKlPlN2at6native12_GLOBAL__N_18offset_tEEE10hipError_tPvRmT1_PNSt15iterator_traitsISK_E10value_typeET2_T3_PNSL_ISQ_E10value_typeET4_jRbjT5_SW_jjP12ihipStream_tbEUlT_E0_NS1_11comp_targetILNS1_3genE5ELNS1_11target_archE942ELNS1_3gpuE9ELNS1_3repE0EEENS1_60segmented_radix_sort_warp_sort_medium_config_static_selectorELNS0_4arch9wavefront6targetE1EEEvSK_
    .private_segment_fixed_size: 0
    .sgpr_count:     4
    .sgpr_spill_count: 0
    .symbol:         _ZN7rocprim17ROCPRIM_400000_NS6detail17trampoline_kernelINS0_14default_configENS1_36segmented_radix_sort_config_selectorIhlEEZNS1_25segmented_radix_sort_implIS3_Lb0EPKhPhPKlPlN2at6native12_GLOBAL__N_18offset_tEEE10hipError_tPvRmT1_PNSt15iterator_traitsISK_E10value_typeET2_T3_PNSL_ISQ_E10value_typeET4_jRbjT5_SW_jjP12ihipStream_tbEUlT_E0_NS1_11comp_targetILNS1_3genE5ELNS1_11target_archE942ELNS1_3gpuE9ELNS1_3repE0EEENS1_60segmented_radix_sort_warp_sort_medium_config_static_selectorELNS0_4arch9wavefront6targetE1EEEvSK_.kd
    .uniform_work_group_size: 1
    .uses_dynamic_stack: false
    .vgpr_count:     0
    .vgpr_spill_count: 0
    .wavefront_size: 64
  - .agpr_count:     0
    .args:
      - .offset:         0
        .size:           88
        .value_kind:     by_value
      - .offset:         88
        .size:           4
        .value_kind:     hidden_block_count_x
      - .offset:         92
        .size:           4
        .value_kind:     hidden_block_count_y
      - .offset:         96
        .size:           4
        .value_kind:     hidden_block_count_z
      - .offset:         100
        .size:           2
        .value_kind:     hidden_group_size_x
      - .offset:         102
        .size:           2
        .value_kind:     hidden_group_size_y
      - .offset:         104
        .size:           2
        .value_kind:     hidden_group_size_z
      - .offset:         106
        .size:           2
        .value_kind:     hidden_remainder_x
      - .offset:         108
        .size:           2
        .value_kind:     hidden_remainder_y
      - .offset:         110
        .size:           2
        .value_kind:     hidden_remainder_z
      - .offset:         128
        .size:           8
        .value_kind:     hidden_global_offset_x
      - .offset:         136
        .size:           8
        .value_kind:     hidden_global_offset_y
      - .offset:         144
        .size:           8
        .value_kind:     hidden_global_offset_z
      - .offset:         152
        .size:           2
        .value_kind:     hidden_grid_dims
      - .offset:         168
        .size:           8
        .value_kind:     hidden_hostcall_buffer
      - .offset:         176
        .size:           8
        .value_kind:     hidden_multigrid_sync_arg
      - .offset:         184
        .size:           8
        .value_kind:     hidden_heap_v1
      - .offset:         192
        .size:           8
        .value_kind:     hidden_default_queue
      - .offset:         200
        .size:           8
        .value_kind:     hidden_completion_action
      - .offset:         288
        .size:           8
        .value_kind:     hidden_queue_ptr
    .group_segment_fixed_size: 18432
    .kernarg_segment_align: 8
    .kernarg_segment_size: 344
    .language:       OpenCL C
    .language_version:
      - 2
      - 0
    .max_flat_workgroup_size: 256
    .name:           _ZN7rocprim17ROCPRIM_400000_NS6detail17trampoline_kernelINS0_14default_configENS1_36segmented_radix_sort_config_selectorIhlEEZNS1_25segmented_radix_sort_implIS3_Lb0EPKhPhPKlPlN2at6native12_GLOBAL__N_18offset_tEEE10hipError_tPvRmT1_PNSt15iterator_traitsISK_E10value_typeET2_T3_PNSL_ISQ_E10value_typeET4_jRbjT5_SW_jjP12ihipStream_tbEUlT_E0_NS1_11comp_targetILNS1_3genE4ELNS1_11target_archE910ELNS1_3gpuE8ELNS1_3repE0EEENS1_60segmented_radix_sort_warp_sort_medium_config_static_selectorELNS0_4arch9wavefront6targetE1EEEvSK_
    .private_segment_fixed_size: 8
    .sgpr_count:     68
    .sgpr_spill_count: 0
    .symbol:         _ZN7rocprim17ROCPRIM_400000_NS6detail17trampoline_kernelINS0_14default_configENS1_36segmented_radix_sort_config_selectorIhlEEZNS1_25segmented_radix_sort_implIS3_Lb0EPKhPhPKlPlN2at6native12_GLOBAL__N_18offset_tEEE10hipError_tPvRmT1_PNSt15iterator_traitsISK_E10value_typeET2_T3_PNSL_ISQ_E10value_typeET4_jRbjT5_SW_jjP12ihipStream_tbEUlT_E0_NS1_11comp_targetILNS1_3genE4ELNS1_11target_archE910ELNS1_3gpuE8ELNS1_3repE0EEENS1_60segmented_radix_sort_warp_sort_medium_config_static_selectorELNS0_4arch9wavefront6targetE1EEEvSK_.kd
    .uniform_work_group_size: 1
    .uses_dynamic_stack: false
    .vgpr_count:     69
    .vgpr_spill_count: 0
    .wavefront_size: 64
  - .agpr_count:     0
    .args:
      - .offset:         0
        .size:           88
        .value_kind:     by_value
    .group_segment_fixed_size: 0
    .kernarg_segment_align: 8
    .kernarg_segment_size: 88
    .language:       OpenCL C
    .language_version:
      - 2
      - 0
    .max_flat_workgroup_size: 256
    .name:           _ZN7rocprim17ROCPRIM_400000_NS6detail17trampoline_kernelINS0_14default_configENS1_36segmented_radix_sort_config_selectorIhlEEZNS1_25segmented_radix_sort_implIS3_Lb0EPKhPhPKlPlN2at6native12_GLOBAL__N_18offset_tEEE10hipError_tPvRmT1_PNSt15iterator_traitsISK_E10value_typeET2_T3_PNSL_ISQ_E10value_typeET4_jRbjT5_SW_jjP12ihipStream_tbEUlT_E0_NS1_11comp_targetILNS1_3genE3ELNS1_11target_archE908ELNS1_3gpuE7ELNS1_3repE0EEENS1_60segmented_radix_sort_warp_sort_medium_config_static_selectorELNS0_4arch9wavefront6targetE1EEEvSK_
    .private_segment_fixed_size: 0
    .sgpr_count:     4
    .sgpr_spill_count: 0
    .symbol:         _ZN7rocprim17ROCPRIM_400000_NS6detail17trampoline_kernelINS0_14default_configENS1_36segmented_radix_sort_config_selectorIhlEEZNS1_25segmented_radix_sort_implIS3_Lb0EPKhPhPKlPlN2at6native12_GLOBAL__N_18offset_tEEE10hipError_tPvRmT1_PNSt15iterator_traitsISK_E10value_typeET2_T3_PNSL_ISQ_E10value_typeET4_jRbjT5_SW_jjP12ihipStream_tbEUlT_E0_NS1_11comp_targetILNS1_3genE3ELNS1_11target_archE908ELNS1_3gpuE7ELNS1_3repE0EEENS1_60segmented_radix_sort_warp_sort_medium_config_static_selectorELNS0_4arch9wavefront6targetE1EEEvSK_.kd
    .uniform_work_group_size: 1
    .uses_dynamic_stack: false
    .vgpr_count:     0
    .vgpr_spill_count: 0
    .wavefront_size: 64
  - .agpr_count:     0
    .args:
      - .offset:         0
        .size:           88
        .value_kind:     by_value
    .group_segment_fixed_size: 0
    .kernarg_segment_align: 8
    .kernarg_segment_size: 88
    .language:       OpenCL C
    .language_version:
      - 2
      - 0
    .max_flat_workgroup_size: 256
    .name:           _ZN7rocprim17ROCPRIM_400000_NS6detail17trampoline_kernelINS0_14default_configENS1_36segmented_radix_sort_config_selectorIhlEEZNS1_25segmented_radix_sort_implIS3_Lb0EPKhPhPKlPlN2at6native12_GLOBAL__N_18offset_tEEE10hipError_tPvRmT1_PNSt15iterator_traitsISK_E10value_typeET2_T3_PNSL_ISQ_E10value_typeET4_jRbjT5_SW_jjP12ihipStream_tbEUlT_E0_NS1_11comp_targetILNS1_3genE2ELNS1_11target_archE906ELNS1_3gpuE6ELNS1_3repE0EEENS1_60segmented_radix_sort_warp_sort_medium_config_static_selectorELNS0_4arch9wavefront6targetE1EEEvSK_
    .private_segment_fixed_size: 0
    .sgpr_count:     4
    .sgpr_spill_count: 0
    .symbol:         _ZN7rocprim17ROCPRIM_400000_NS6detail17trampoline_kernelINS0_14default_configENS1_36segmented_radix_sort_config_selectorIhlEEZNS1_25segmented_radix_sort_implIS3_Lb0EPKhPhPKlPlN2at6native12_GLOBAL__N_18offset_tEEE10hipError_tPvRmT1_PNSt15iterator_traitsISK_E10value_typeET2_T3_PNSL_ISQ_E10value_typeET4_jRbjT5_SW_jjP12ihipStream_tbEUlT_E0_NS1_11comp_targetILNS1_3genE2ELNS1_11target_archE906ELNS1_3gpuE6ELNS1_3repE0EEENS1_60segmented_radix_sort_warp_sort_medium_config_static_selectorELNS0_4arch9wavefront6targetE1EEEvSK_.kd
    .uniform_work_group_size: 1
    .uses_dynamic_stack: false
    .vgpr_count:     0
    .vgpr_spill_count: 0
    .wavefront_size: 64
  - .agpr_count:     0
    .args:
      - .offset:         0
        .size:           88
        .value_kind:     by_value
    .group_segment_fixed_size: 0
    .kernarg_segment_align: 8
    .kernarg_segment_size: 88
    .language:       OpenCL C
    .language_version:
      - 2
      - 0
    .max_flat_workgroup_size: 256
    .name:           _ZN7rocprim17ROCPRIM_400000_NS6detail17trampoline_kernelINS0_14default_configENS1_36segmented_radix_sort_config_selectorIhlEEZNS1_25segmented_radix_sort_implIS3_Lb0EPKhPhPKlPlN2at6native12_GLOBAL__N_18offset_tEEE10hipError_tPvRmT1_PNSt15iterator_traitsISK_E10value_typeET2_T3_PNSL_ISQ_E10value_typeET4_jRbjT5_SW_jjP12ihipStream_tbEUlT_E0_NS1_11comp_targetILNS1_3genE10ELNS1_11target_archE1201ELNS1_3gpuE5ELNS1_3repE0EEENS1_60segmented_radix_sort_warp_sort_medium_config_static_selectorELNS0_4arch9wavefront6targetE1EEEvSK_
    .private_segment_fixed_size: 0
    .sgpr_count:     4
    .sgpr_spill_count: 0
    .symbol:         _ZN7rocprim17ROCPRIM_400000_NS6detail17trampoline_kernelINS0_14default_configENS1_36segmented_radix_sort_config_selectorIhlEEZNS1_25segmented_radix_sort_implIS3_Lb0EPKhPhPKlPlN2at6native12_GLOBAL__N_18offset_tEEE10hipError_tPvRmT1_PNSt15iterator_traitsISK_E10value_typeET2_T3_PNSL_ISQ_E10value_typeET4_jRbjT5_SW_jjP12ihipStream_tbEUlT_E0_NS1_11comp_targetILNS1_3genE10ELNS1_11target_archE1201ELNS1_3gpuE5ELNS1_3repE0EEENS1_60segmented_radix_sort_warp_sort_medium_config_static_selectorELNS0_4arch9wavefront6targetE1EEEvSK_.kd
    .uniform_work_group_size: 1
    .uses_dynamic_stack: false
    .vgpr_count:     0
    .vgpr_spill_count: 0
    .wavefront_size: 64
  - .agpr_count:     0
    .args:
      - .offset:         0
        .size:           88
        .value_kind:     by_value
    .group_segment_fixed_size: 0
    .kernarg_segment_align: 8
    .kernarg_segment_size: 88
    .language:       OpenCL C
    .language_version:
      - 2
      - 0
    .max_flat_workgroup_size: 256
    .name:           _ZN7rocprim17ROCPRIM_400000_NS6detail17trampoline_kernelINS0_14default_configENS1_36segmented_radix_sort_config_selectorIhlEEZNS1_25segmented_radix_sort_implIS3_Lb0EPKhPhPKlPlN2at6native12_GLOBAL__N_18offset_tEEE10hipError_tPvRmT1_PNSt15iterator_traitsISK_E10value_typeET2_T3_PNSL_ISQ_E10value_typeET4_jRbjT5_SW_jjP12ihipStream_tbEUlT_E0_NS1_11comp_targetILNS1_3genE10ELNS1_11target_archE1200ELNS1_3gpuE4ELNS1_3repE0EEENS1_60segmented_radix_sort_warp_sort_medium_config_static_selectorELNS0_4arch9wavefront6targetE1EEEvSK_
    .private_segment_fixed_size: 0
    .sgpr_count:     4
    .sgpr_spill_count: 0
    .symbol:         _ZN7rocprim17ROCPRIM_400000_NS6detail17trampoline_kernelINS0_14default_configENS1_36segmented_radix_sort_config_selectorIhlEEZNS1_25segmented_radix_sort_implIS3_Lb0EPKhPhPKlPlN2at6native12_GLOBAL__N_18offset_tEEE10hipError_tPvRmT1_PNSt15iterator_traitsISK_E10value_typeET2_T3_PNSL_ISQ_E10value_typeET4_jRbjT5_SW_jjP12ihipStream_tbEUlT_E0_NS1_11comp_targetILNS1_3genE10ELNS1_11target_archE1200ELNS1_3gpuE4ELNS1_3repE0EEENS1_60segmented_radix_sort_warp_sort_medium_config_static_selectorELNS0_4arch9wavefront6targetE1EEEvSK_.kd
    .uniform_work_group_size: 1
    .uses_dynamic_stack: false
    .vgpr_count:     0
    .vgpr_spill_count: 0
    .wavefront_size: 64
  - .agpr_count:     0
    .args:
      - .offset:         0
        .size:           88
        .value_kind:     by_value
    .group_segment_fixed_size: 0
    .kernarg_segment_align: 8
    .kernarg_segment_size: 88
    .language:       OpenCL C
    .language_version:
      - 2
      - 0
    .max_flat_workgroup_size: 256
    .name:           _ZN7rocprim17ROCPRIM_400000_NS6detail17trampoline_kernelINS0_14default_configENS1_36segmented_radix_sort_config_selectorIhlEEZNS1_25segmented_radix_sort_implIS3_Lb0EPKhPhPKlPlN2at6native12_GLOBAL__N_18offset_tEEE10hipError_tPvRmT1_PNSt15iterator_traitsISK_E10value_typeET2_T3_PNSL_ISQ_E10value_typeET4_jRbjT5_SW_jjP12ihipStream_tbEUlT_E0_NS1_11comp_targetILNS1_3genE9ELNS1_11target_archE1100ELNS1_3gpuE3ELNS1_3repE0EEENS1_60segmented_radix_sort_warp_sort_medium_config_static_selectorELNS0_4arch9wavefront6targetE1EEEvSK_
    .private_segment_fixed_size: 0
    .sgpr_count:     4
    .sgpr_spill_count: 0
    .symbol:         _ZN7rocprim17ROCPRIM_400000_NS6detail17trampoline_kernelINS0_14default_configENS1_36segmented_radix_sort_config_selectorIhlEEZNS1_25segmented_radix_sort_implIS3_Lb0EPKhPhPKlPlN2at6native12_GLOBAL__N_18offset_tEEE10hipError_tPvRmT1_PNSt15iterator_traitsISK_E10value_typeET2_T3_PNSL_ISQ_E10value_typeET4_jRbjT5_SW_jjP12ihipStream_tbEUlT_E0_NS1_11comp_targetILNS1_3genE9ELNS1_11target_archE1100ELNS1_3gpuE3ELNS1_3repE0EEENS1_60segmented_radix_sort_warp_sort_medium_config_static_selectorELNS0_4arch9wavefront6targetE1EEEvSK_.kd
    .uniform_work_group_size: 1
    .uses_dynamic_stack: false
    .vgpr_count:     0
    .vgpr_spill_count: 0
    .wavefront_size: 64
  - .agpr_count:     0
    .args:
      - .offset:         0
        .size:           88
        .value_kind:     by_value
    .group_segment_fixed_size: 0
    .kernarg_segment_align: 8
    .kernarg_segment_size: 88
    .language:       OpenCL C
    .language_version:
      - 2
      - 0
    .max_flat_workgroup_size: 256
    .name:           _ZN7rocprim17ROCPRIM_400000_NS6detail17trampoline_kernelINS0_14default_configENS1_36segmented_radix_sort_config_selectorIhlEEZNS1_25segmented_radix_sort_implIS3_Lb0EPKhPhPKlPlN2at6native12_GLOBAL__N_18offset_tEEE10hipError_tPvRmT1_PNSt15iterator_traitsISK_E10value_typeET2_T3_PNSL_ISQ_E10value_typeET4_jRbjT5_SW_jjP12ihipStream_tbEUlT_E0_NS1_11comp_targetILNS1_3genE8ELNS1_11target_archE1030ELNS1_3gpuE2ELNS1_3repE0EEENS1_60segmented_radix_sort_warp_sort_medium_config_static_selectorELNS0_4arch9wavefront6targetE1EEEvSK_
    .private_segment_fixed_size: 0
    .sgpr_count:     4
    .sgpr_spill_count: 0
    .symbol:         _ZN7rocprim17ROCPRIM_400000_NS6detail17trampoline_kernelINS0_14default_configENS1_36segmented_radix_sort_config_selectorIhlEEZNS1_25segmented_radix_sort_implIS3_Lb0EPKhPhPKlPlN2at6native12_GLOBAL__N_18offset_tEEE10hipError_tPvRmT1_PNSt15iterator_traitsISK_E10value_typeET2_T3_PNSL_ISQ_E10value_typeET4_jRbjT5_SW_jjP12ihipStream_tbEUlT_E0_NS1_11comp_targetILNS1_3genE8ELNS1_11target_archE1030ELNS1_3gpuE2ELNS1_3repE0EEENS1_60segmented_radix_sort_warp_sort_medium_config_static_selectorELNS0_4arch9wavefront6targetE1EEEvSK_.kd
    .uniform_work_group_size: 1
    .uses_dynamic_stack: false
    .vgpr_count:     0
    .vgpr_spill_count: 0
    .wavefront_size: 64
  - .agpr_count:     0
    .args:
      - .offset:         0
        .size:           88
        .value_kind:     by_value
    .group_segment_fixed_size: 0
    .kernarg_segment_align: 8
    .kernarg_segment_size: 88
    .language:       OpenCL C
    .language_version:
      - 2
      - 0
    .max_flat_workgroup_size: 256
    .name:           _ZN7rocprim17ROCPRIM_400000_NS6detail17trampoline_kernelINS0_14default_configENS1_36segmented_radix_sort_config_selectorIhlEEZNS1_25segmented_radix_sort_implIS3_Lb0EPKhPhPKlPlN2at6native12_GLOBAL__N_18offset_tEEE10hipError_tPvRmT1_PNSt15iterator_traitsISK_E10value_typeET2_T3_PNSL_ISQ_E10value_typeET4_jRbjT5_SW_jjP12ihipStream_tbEUlT_E1_NS1_11comp_targetILNS1_3genE0ELNS1_11target_archE4294967295ELNS1_3gpuE0ELNS1_3repE0EEENS1_59segmented_radix_sort_warp_sort_small_config_static_selectorELNS0_4arch9wavefront6targetE1EEEvSK_
    .private_segment_fixed_size: 0
    .sgpr_count:     4
    .sgpr_spill_count: 0
    .symbol:         _ZN7rocprim17ROCPRIM_400000_NS6detail17trampoline_kernelINS0_14default_configENS1_36segmented_radix_sort_config_selectorIhlEEZNS1_25segmented_radix_sort_implIS3_Lb0EPKhPhPKlPlN2at6native12_GLOBAL__N_18offset_tEEE10hipError_tPvRmT1_PNSt15iterator_traitsISK_E10value_typeET2_T3_PNSL_ISQ_E10value_typeET4_jRbjT5_SW_jjP12ihipStream_tbEUlT_E1_NS1_11comp_targetILNS1_3genE0ELNS1_11target_archE4294967295ELNS1_3gpuE0ELNS1_3repE0EEENS1_59segmented_radix_sort_warp_sort_small_config_static_selectorELNS0_4arch9wavefront6targetE1EEEvSK_.kd
    .uniform_work_group_size: 1
    .uses_dynamic_stack: false
    .vgpr_count:     0
    .vgpr_spill_count: 0
    .wavefront_size: 64
  - .agpr_count:     0
    .args:
      - .offset:         0
        .size:           88
        .value_kind:     by_value
    .group_segment_fixed_size: 0
    .kernarg_segment_align: 8
    .kernarg_segment_size: 88
    .language:       OpenCL C
    .language_version:
      - 2
      - 0
    .max_flat_workgroup_size: 256
    .name:           _ZN7rocprim17ROCPRIM_400000_NS6detail17trampoline_kernelINS0_14default_configENS1_36segmented_radix_sort_config_selectorIhlEEZNS1_25segmented_radix_sort_implIS3_Lb0EPKhPhPKlPlN2at6native12_GLOBAL__N_18offset_tEEE10hipError_tPvRmT1_PNSt15iterator_traitsISK_E10value_typeET2_T3_PNSL_ISQ_E10value_typeET4_jRbjT5_SW_jjP12ihipStream_tbEUlT_E1_NS1_11comp_targetILNS1_3genE5ELNS1_11target_archE942ELNS1_3gpuE9ELNS1_3repE0EEENS1_59segmented_radix_sort_warp_sort_small_config_static_selectorELNS0_4arch9wavefront6targetE1EEEvSK_
    .private_segment_fixed_size: 0
    .sgpr_count:     4
    .sgpr_spill_count: 0
    .symbol:         _ZN7rocprim17ROCPRIM_400000_NS6detail17trampoline_kernelINS0_14default_configENS1_36segmented_radix_sort_config_selectorIhlEEZNS1_25segmented_radix_sort_implIS3_Lb0EPKhPhPKlPlN2at6native12_GLOBAL__N_18offset_tEEE10hipError_tPvRmT1_PNSt15iterator_traitsISK_E10value_typeET2_T3_PNSL_ISQ_E10value_typeET4_jRbjT5_SW_jjP12ihipStream_tbEUlT_E1_NS1_11comp_targetILNS1_3genE5ELNS1_11target_archE942ELNS1_3gpuE9ELNS1_3repE0EEENS1_59segmented_radix_sort_warp_sort_small_config_static_selectorELNS0_4arch9wavefront6targetE1EEEvSK_.kd
    .uniform_work_group_size: 1
    .uses_dynamic_stack: false
    .vgpr_count:     0
    .vgpr_spill_count: 0
    .wavefront_size: 64
  - .agpr_count:     0
    .args:
      - .offset:         0
        .size:           88
        .value_kind:     by_value
      - .offset:         88
        .size:           4
        .value_kind:     hidden_block_count_x
      - .offset:         92
        .size:           4
        .value_kind:     hidden_block_count_y
      - .offset:         96
        .size:           4
        .value_kind:     hidden_block_count_z
      - .offset:         100
        .size:           2
        .value_kind:     hidden_group_size_x
      - .offset:         102
        .size:           2
        .value_kind:     hidden_group_size_y
      - .offset:         104
        .size:           2
        .value_kind:     hidden_group_size_z
      - .offset:         106
        .size:           2
        .value_kind:     hidden_remainder_x
      - .offset:         108
        .size:           2
        .value_kind:     hidden_remainder_y
      - .offset:         110
        .size:           2
        .value_kind:     hidden_remainder_z
      - .offset:         128
        .size:           8
        .value_kind:     hidden_global_offset_x
      - .offset:         136
        .size:           8
        .value_kind:     hidden_global_offset_y
      - .offset:         144
        .size:           8
        .value_kind:     hidden_global_offset_z
      - .offset:         152
        .size:           2
        .value_kind:     hidden_grid_dims
      - .offset:         168
        .size:           8
        .value_kind:     hidden_hostcall_buffer
      - .offset:         176
        .size:           8
        .value_kind:     hidden_multigrid_sync_arg
      - .offset:         184
        .size:           8
        .value_kind:     hidden_heap_v1
      - .offset:         192
        .size:           8
        .value_kind:     hidden_default_queue
      - .offset:         200
        .size:           8
        .value_kind:     hidden_completion_action
      - .offset:         288
        .size:           8
        .value_kind:     hidden_queue_ptr
    .group_segment_fixed_size: 9216
    .kernarg_segment_align: 8
    .kernarg_segment_size: 344
    .language:       OpenCL C
    .language_version:
      - 2
      - 0
    .max_flat_workgroup_size: 256
    .name:           _ZN7rocprim17ROCPRIM_400000_NS6detail17trampoline_kernelINS0_14default_configENS1_36segmented_radix_sort_config_selectorIhlEEZNS1_25segmented_radix_sort_implIS3_Lb0EPKhPhPKlPlN2at6native12_GLOBAL__N_18offset_tEEE10hipError_tPvRmT1_PNSt15iterator_traitsISK_E10value_typeET2_T3_PNSL_ISQ_E10value_typeET4_jRbjT5_SW_jjP12ihipStream_tbEUlT_E1_NS1_11comp_targetILNS1_3genE4ELNS1_11target_archE910ELNS1_3gpuE8ELNS1_3repE0EEENS1_59segmented_radix_sort_warp_sort_small_config_static_selectorELNS0_4arch9wavefront6targetE1EEEvSK_
    .private_segment_fixed_size: 0
    .sgpr_count:     56
    .sgpr_spill_count: 0
    .symbol:         _ZN7rocprim17ROCPRIM_400000_NS6detail17trampoline_kernelINS0_14default_configENS1_36segmented_radix_sort_config_selectorIhlEEZNS1_25segmented_radix_sort_implIS3_Lb0EPKhPhPKlPlN2at6native12_GLOBAL__N_18offset_tEEE10hipError_tPvRmT1_PNSt15iterator_traitsISK_E10value_typeET2_T3_PNSL_ISQ_E10value_typeET4_jRbjT5_SW_jjP12ihipStream_tbEUlT_E1_NS1_11comp_targetILNS1_3genE4ELNS1_11target_archE910ELNS1_3gpuE8ELNS1_3repE0EEENS1_59segmented_radix_sort_warp_sort_small_config_static_selectorELNS0_4arch9wavefront6targetE1EEEvSK_.kd
    .uniform_work_group_size: 1
    .uses_dynamic_stack: false
    .vgpr_count:     67
    .vgpr_spill_count: 0
    .wavefront_size: 64
  - .agpr_count:     0
    .args:
      - .offset:         0
        .size:           88
        .value_kind:     by_value
    .group_segment_fixed_size: 0
    .kernarg_segment_align: 8
    .kernarg_segment_size: 88
    .language:       OpenCL C
    .language_version:
      - 2
      - 0
    .max_flat_workgroup_size: 256
    .name:           _ZN7rocprim17ROCPRIM_400000_NS6detail17trampoline_kernelINS0_14default_configENS1_36segmented_radix_sort_config_selectorIhlEEZNS1_25segmented_radix_sort_implIS3_Lb0EPKhPhPKlPlN2at6native12_GLOBAL__N_18offset_tEEE10hipError_tPvRmT1_PNSt15iterator_traitsISK_E10value_typeET2_T3_PNSL_ISQ_E10value_typeET4_jRbjT5_SW_jjP12ihipStream_tbEUlT_E1_NS1_11comp_targetILNS1_3genE3ELNS1_11target_archE908ELNS1_3gpuE7ELNS1_3repE0EEENS1_59segmented_radix_sort_warp_sort_small_config_static_selectorELNS0_4arch9wavefront6targetE1EEEvSK_
    .private_segment_fixed_size: 0
    .sgpr_count:     4
    .sgpr_spill_count: 0
    .symbol:         _ZN7rocprim17ROCPRIM_400000_NS6detail17trampoline_kernelINS0_14default_configENS1_36segmented_radix_sort_config_selectorIhlEEZNS1_25segmented_radix_sort_implIS3_Lb0EPKhPhPKlPlN2at6native12_GLOBAL__N_18offset_tEEE10hipError_tPvRmT1_PNSt15iterator_traitsISK_E10value_typeET2_T3_PNSL_ISQ_E10value_typeET4_jRbjT5_SW_jjP12ihipStream_tbEUlT_E1_NS1_11comp_targetILNS1_3genE3ELNS1_11target_archE908ELNS1_3gpuE7ELNS1_3repE0EEENS1_59segmented_radix_sort_warp_sort_small_config_static_selectorELNS0_4arch9wavefront6targetE1EEEvSK_.kd
    .uniform_work_group_size: 1
    .uses_dynamic_stack: false
    .vgpr_count:     0
    .vgpr_spill_count: 0
    .wavefront_size: 64
  - .agpr_count:     0
    .args:
      - .offset:         0
        .size:           88
        .value_kind:     by_value
    .group_segment_fixed_size: 0
    .kernarg_segment_align: 8
    .kernarg_segment_size: 88
    .language:       OpenCL C
    .language_version:
      - 2
      - 0
    .max_flat_workgroup_size: 256
    .name:           _ZN7rocprim17ROCPRIM_400000_NS6detail17trampoline_kernelINS0_14default_configENS1_36segmented_radix_sort_config_selectorIhlEEZNS1_25segmented_radix_sort_implIS3_Lb0EPKhPhPKlPlN2at6native12_GLOBAL__N_18offset_tEEE10hipError_tPvRmT1_PNSt15iterator_traitsISK_E10value_typeET2_T3_PNSL_ISQ_E10value_typeET4_jRbjT5_SW_jjP12ihipStream_tbEUlT_E1_NS1_11comp_targetILNS1_3genE2ELNS1_11target_archE906ELNS1_3gpuE6ELNS1_3repE0EEENS1_59segmented_radix_sort_warp_sort_small_config_static_selectorELNS0_4arch9wavefront6targetE1EEEvSK_
    .private_segment_fixed_size: 0
    .sgpr_count:     4
    .sgpr_spill_count: 0
    .symbol:         _ZN7rocprim17ROCPRIM_400000_NS6detail17trampoline_kernelINS0_14default_configENS1_36segmented_radix_sort_config_selectorIhlEEZNS1_25segmented_radix_sort_implIS3_Lb0EPKhPhPKlPlN2at6native12_GLOBAL__N_18offset_tEEE10hipError_tPvRmT1_PNSt15iterator_traitsISK_E10value_typeET2_T3_PNSL_ISQ_E10value_typeET4_jRbjT5_SW_jjP12ihipStream_tbEUlT_E1_NS1_11comp_targetILNS1_3genE2ELNS1_11target_archE906ELNS1_3gpuE6ELNS1_3repE0EEENS1_59segmented_radix_sort_warp_sort_small_config_static_selectorELNS0_4arch9wavefront6targetE1EEEvSK_.kd
    .uniform_work_group_size: 1
    .uses_dynamic_stack: false
    .vgpr_count:     0
    .vgpr_spill_count: 0
    .wavefront_size: 64
  - .agpr_count:     0
    .args:
      - .offset:         0
        .size:           88
        .value_kind:     by_value
    .group_segment_fixed_size: 0
    .kernarg_segment_align: 8
    .kernarg_segment_size: 88
    .language:       OpenCL C
    .language_version:
      - 2
      - 0
    .max_flat_workgroup_size: 256
    .name:           _ZN7rocprim17ROCPRIM_400000_NS6detail17trampoline_kernelINS0_14default_configENS1_36segmented_radix_sort_config_selectorIhlEEZNS1_25segmented_radix_sort_implIS3_Lb0EPKhPhPKlPlN2at6native12_GLOBAL__N_18offset_tEEE10hipError_tPvRmT1_PNSt15iterator_traitsISK_E10value_typeET2_T3_PNSL_ISQ_E10value_typeET4_jRbjT5_SW_jjP12ihipStream_tbEUlT_E1_NS1_11comp_targetILNS1_3genE10ELNS1_11target_archE1201ELNS1_3gpuE5ELNS1_3repE0EEENS1_59segmented_radix_sort_warp_sort_small_config_static_selectorELNS0_4arch9wavefront6targetE1EEEvSK_
    .private_segment_fixed_size: 0
    .sgpr_count:     4
    .sgpr_spill_count: 0
    .symbol:         _ZN7rocprim17ROCPRIM_400000_NS6detail17trampoline_kernelINS0_14default_configENS1_36segmented_radix_sort_config_selectorIhlEEZNS1_25segmented_radix_sort_implIS3_Lb0EPKhPhPKlPlN2at6native12_GLOBAL__N_18offset_tEEE10hipError_tPvRmT1_PNSt15iterator_traitsISK_E10value_typeET2_T3_PNSL_ISQ_E10value_typeET4_jRbjT5_SW_jjP12ihipStream_tbEUlT_E1_NS1_11comp_targetILNS1_3genE10ELNS1_11target_archE1201ELNS1_3gpuE5ELNS1_3repE0EEENS1_59segmented_radix_sort_warp_sort_small_config_static_selectorELNS0_4arch9wavefront6targetE1EEEvSK_.kd
    .uniform_work_group_size: 1
    .uses_dynamic_stack: false
    .vgpr_count:     0
    .vgpr_spill_count: 0
    .wavefront_size: 64
  - .agpr_count:     0
    .args:
      - .offset:         0
        .size:           88
        .value_kind:     by_value
    .group_segment_fixed_size: 0
    .kernarg_segment_align: 8
    .kernarg_segment_size: 88
    .language:       OpenCL C
    .language_version:
      - 2
      - 0
    .max_flat_workgroup_size: 256
    .name:           _ZN7rocprim17ROCPRIM_400000_NS6detail17trampoline_kernelINS0_14default_configENS1_36segmented_radix_sort_config_selectorIhlEEZNS1_25segmented_radix_sort_implIS3_Lb0EPKhPhPKlPlN2at6native12_GLOBAL__N_18offset_tEEE10hipError_tPvRmT1_PNSt15iterator_traitsISK_E10value_typeET2_T3_PNSL_ISQ_E10value_typeET4_jRbjT5_SW_jjP12ihipStream_tbEUlT_E1_NS1_11comp_targetILNS1_3genE10ELNS1_11target_archE1200ELNS1_3gpuE4ELNS1_3repE0EEENS1_59segmented_radix_sort_warp_sort_small_config_static_selectorELNS0_4arch9wavefront6targetE1EEEvSK_
    .private_segment_fixed_size: 0
    .sgpr_count:     4
    .sgpr_spill_count: 0
    .symbol:         _ZN7rocprim17ROCPRIM_400000_NS6detail17trampoline_kernelINS0_14default_configENS1_36segmented_radix_sort_config_selectorIhlEEZNS1_25segmented_radix_sort_implIS3_Lb0EPKhPhPKlPlN2at6native12_GLOBAL__N_18offset_tEEE10hipError_tPvRmT1_PNSt15iterator_traitsISK_E10value_typeET2_T3_PNSL_ISQ_E10value_typeET4_jRbjT5_SW_jjP12ihipStream_tbEUlT_E1_NS1_11comp_targetILNS1_3genE10ELNS1_11target_archE1200ELNS1_3gpuE4ELNS1_3repE0EEENS1_59segmented_radix_sort_warp_sort_small_config_static_selectorELNS0_4arch9wavefront6targetE1EEEvSK_.kd
    .uniform_work_group_size: 1
    .uses_dynamic_stack: false
    .vgpr_count:     0
    .vgpr_spill_count: 0
    .wavefront_size: 64
  - .agpr_count:     0
    .args:
      - .offset:         0
        .size:           88
        .value_kind:     by_value
    .group_segment_fixed_size: 0
    .kernarg_segment_align: 8
    .kernarg_segment_size: 88
    .language:       OpenCL C
    .language_version:
      - 2
      - 0
    .max_flat_workgroup_size: 256
    .name:           _ZN7rocprim17ROCPRIM_400000_NS6detail17trampoline_kernelINS0_14default_configENS1_36segmented_radix_sort_config_selectorIhlEEZNS1_25segmented_radix_sort_implIS3_Lb0EPKhPhPKlPlN2at6native12_GLOBAL__N_18offset_tEEE10hipError_tPvRmT1_PNSt15iterator_traitsISK_E10value_typeET2_T3_PNSL_ISQ_E10value_typeET4_jRbjT5_SW_jjP12ihipStream_tbEUlT_E1_NS1_11comp_targetILNS1_3genE9ELNS1_11target_archE1100ELNS1_3gpuE3ELNS1_3repE0EEENS1_59segmented_radix_sort_warp_sort_small_config_static_selectorELNS0_4arch9wavefront6targetE1EEEvSK_
    .private_segment_fixed_size: 0
    .sgpr_count:     4
    .sgpr_spill_count: 0
    .symbol:         _ZN7rocprim17ROCPRIM_400000_NS6detail17trampoline_kernelINS0_14default_configENS1_36segmented_radix_sort_config_selectorIhlEEZNS1_25segmented_radix_sort_implIS3_Lb0EPKhPhPKlPlN2at6native12_GLOBAL__N_18offset_tEEE10hipError_tPvRmT1_PNSt15iterator_traitsISK_E10value_typeET2_T3_PNSL_ISQ_E10value_typeET4_jRbjT5_SW_jjP12ihipStream_tbEUlT_E1_NS1_11comp_targetILNS1_3genE9ELNS1_11target_archE1100ELNS1_3gpuE3ELNS1_3repE0EEENS1_59segmented_radix_sort_warp_sort_small_config_static_selectorELNS0_4arch9wavefront6targetE1EEEvSK_.kd
    .uniform_work_group_size: 1
    .uses_dynamic_stack: false
    .vgpr_count:     0
    .vgpr_spill_count: 0
    .wavefront_size: 64
  - .agpr_count:     0
    .args:
      - .offset:         0
        .size:           88
        .value_kind:     by_value
    .group_segment_fixed_size: 0
    .kernarg_segment_align: 8
    .kernarg_segment_size: 88
    .language:       OpenCL C
    .language_version:
      - 2
      - 0
    .max_flat_workgroup_size: 256
    .name:           _ZN7rocprim17ROCPRIM_400000_NS6detail17trampoline_kernelINS0_14default_configENS1_36segmented_radix_sort_config_selectorIhlEEZNS1_25segmented_radix_sort_implIS3_Lb0EPKhPhPKlPlN2at6native12_GLOBAL__N_18offset_tEEE10hipError_tPvRmT1_PNSt15iterator_traitsISK_E10value_typeET2_T3_PNSL_ISQ_E10value_typeET4_jRbjT5_SW_jjP12ihipStream_tbEUlT_E1_NS1_11comp_targetILNS1_3genE8ELNS1_11target_archE1030ELNS1_3gpuE2ELNS1_3repE0EEENS1_59segmented_radix_sort_warp_sort_small_config_static_selectorELNS0_4arch9wavefront6targetE1EEEvSK_
    .private_segment_fixed_size: 0
    .sgpr_count:     4
    .sgpr_spill_count: 0
    .symbol:         _ZN7rocprim17ROCPRIM_400000_NS6detail17trampoline_kernelINS0_14default_configENS1_36segmented_radix_sort_config_selectorIhlEEZNS1_25segmented_radix_sort_implIS3_Lb0EPKhPhPKlPlN2at6native12_GLOBAL__N_18offset_tEEE10hipError_tPvRmT1_PNSt15iterator_traitsISK_E10value_typeET2_T3_PNSL_ISQ_E10value_typeET4_jRbjT5_SW_jjP12ihipStream_tbEUlT_E1_NS1_11comp_targetILNS1_3genE8ELNS1_11target_archE1030ELNS1_3gpuE2ELNS1_3repE0EEENS1_59segmented_radix_sort_warp_sort_small_config_static_selectorELNS0_4arch9wavefront6targetE1EEEvSK_.kd
    .uniform_work_group_size: 1
    .uses_dynamic_stack: false
    .vgpr_count:     0
    .vgpr_spill_count: 0
    .wavefront_size: 64
  - .agpr_count:     0
    .args:
      - .offset:         0
        .size:           80
        .value_kind:     by_value
    .group_segment_fixed_size: 0
    .kernarg_segment_align: 8
    .kernarg_segment_size: 80
    .language:       OpenCL C
    .language_version:
      - 2
      - 0
    .max_flat_workgroup_size: 256
    .name:           _ZN7rocprim17ROCPRIM_400000_NS6detail17trampoline_kernelINS0_14default_configENS1_36segmented_radix_sort_config_selectorIhlEEZNS1_25segmented_radix_sort_implIS3_Lb0EPKhPhPKlPlN2at6native12_GLOBAL__N_18offset_tEEE10hipError_tPvRmT1_PNSt15iterator_traitsISK_E10value_typeET2_T3_PNSL_ISQ_E10value_typeET4_jRbjT5_SW_jjP12ihipStream_tbEUlT_E2_NS1_11comp_targetILNS1_3genE0ELNS1_11target_archE4294967295ELNS1_3gpuE0ELNS1_3repE0EEENS1_30default_config_static_selectorELNS0_4arch9wavefront6targetE1EEEvSK_
    .private_segment_fixed_size: 0
    .sgpr_count:     4
    .sgpr_spill_count: 0
    .symbol:         _ZN7rocprim17ROCPRIM_400000_NS6detail17trampoline_kernelINS0_14default_configENS1_36segmented_radix_sort_config_selectorIhlEEZNS1_25segmented_radix_sort_implIS3_Lb0EPKhPhPKlPlN2at6native12_GLOBAL__N_18offset_tEEE10hipError_tPvRmT1_PNSt15iterator_traitsISK_E10value_typeET2_T3_PNSL_ISQ_E10value_typeET4_jRbjT5_SW_jjP12ihipStream_tbEUlT_E2_NS1_11comp_targetILNS1_3genE0ELNS1_11target_archE4294967295ELNS1_3gpuE0ELNS1_3repE0EEENS1_30default_config_static_selectorELNS0_4arch9wavefront6targetE1EEEvSK_.kd
    .uniform_work_group_size: 1
    .uses_dynamic_stack: false
    .vgpr_count:     0
    .vgpr_spill_count: 0
    .wavefront_size: 64
  - .agpr_count:     0
    .args:
      - .offset:         0
        .size:           80
        .value_kind:     by_value
    .group_segment_fixed_size: 0
    .kernarg_segment_align: 8
    .kernarg_segment_size: 80
    .language:       OpenCL C
    .language_version:
      - 2
      - 0
    .max_flat_workgroup_size: 256
    .name:           _ZN7rocprim17ROCPRIM_400000_NS6detail17trampoline_kernelINS0_14default_configENS1_36segmented_radix_sort_config_selectorIhlEEZNS1_25segmented_radix_sort_implIS3_Lb0EPKhPhPKlPlN2at6native12_GLOBAL__N_18offset_tEEE10hipError_tPvRmT1_PNSt15iterator_traitsISK_E10value_typeET2_T3_PNSL_ISQ_E10value_typeET4_jRbjT5_SW_jjP12ihipStream_tbEUlT_E2_NS1_11comp_targetILNS1_3genE5ELNS1_11target_archE942ELNS1_3gpuE9ELNS1_3repE0EEENS1_30default_config_static_selectorELNS0_4arch9wavefront6targetE1EEEvSK_
    .private_segment_fixed_size: 0
    .sgpr_count:     4
    .sgpr_spill_count: 0
    .symbol:         _ZN7rocprim17ROCPRIM_400000_NS6detail17trampoline_kernelINS0_14default_configENS1_36segmented_radix_sort_config_selectorIhlEEZNS1_25segmented_radix_sort_implIS3_Lb0EPKhPhPKlPlN2at6native12_GLOBAL__N_18offset_tEEE10hipError_tPvRmT1_PNSt15iterator_traitsISK_E10value_typeET2_T3_PNSL_ISQ_E10value_typeET4_jRbjT5_SW_jjP12ihipStream_tbEUlT_E2_NS1_11comp_targetILNS1_3genE5ELNS1_11target_archE942ELNS1_3gpuE9ELNS1_3repE0EEENS1_30default_config_static_selectorELNS0_4arch9wavefront6targetE1EEEvSK_.kd
    .uniform_work_group_size: 1
    .uses_dynamic_stack: false
    .vgpr_count:     0
    .vgpr_spill_count: 0
    .wavefront_size: 64
  - .agpr_count:     0
    .args:
      - .offset:         0
        .size:           80
        .value_kind:     by_value
      - .offset:         80
        .size:           4
        .value_kind:     hidden_block_count_x
      - .offset:         84
        .size:           4
        .value_kind:     hidden_block_count_y
      - .offset:         88
        .size:           4
        .value_kind:     hidden_block_count_z
      - .offset:         92
        .size:           2
        .value_kind:     hidden_group_size_x
      - .offset:         94
        .size:           2
        .value_kind:     hidden_group_size_y
      - .offset:         96
        .size:           2
        .value_kind:     hidden_group_size_z
      - .offset:         98
        .size:           2
        .value_kind:     hidden_remainder_x
      - .offset:         100
        .size:           2
        .value_kind:     hidden_remainder_y
      - .offset:         102
        .size:           2
        .value_kind:     hidden_remainder_z
      - .offset:         120
        .size:           8
        .value_kind:     hidden_global_offset_x
      - .offset:         128
        .size:           8
        .value_kind:     hidden_global_offset_y
      - .offset:         136
        .size:           8
        .value_kind:     hidden_global_offset_z
      - .offset:         144
        .size:           2
        .value_kind:     hidden_grid_dims
      - .offset:         160
        .size:           8
        .value_kind:     hidden_hostcall_buffer
      - .offset:         168
        .size:           8
        .value_kind:     hidden_multigrid_sync_arg
      - .offset:         176
        .size:           8
        .value_kind:     hidden_heap_v1
      - .offset:         184
        .size:           8
        .value_kind:     hidden_default_queue
      - .offset:         192
        .size:           8
        .value_kind:     hidden_completion_action
      - .offset:         280
        .size:           8
        .value_kind:     hidden_queue_ptr
    .group_segment_fixed_size: 17424
    .kernarg_segment_align: 8
    .kernarg_segment_size: 336
    .language:       OpenCL C
    .language_version:
      - 2
      - 0
    .max_flat_workgroup_size: 256
    .name:           _ZN7rocprim17ROCPRIM_400000_NS6detail17trampoline_kernelINS0_14default_configENS1_36segmented_radix_sort_config_selectorIhlEEZNS1_25segmented_radix_sort_implIS3_Lb0EPKhPhPKlPlN2at6native12_GLOBAL__N_18offset_tEEE10hipError_tPvRmT1_PNSt15iterator_traitsISK_E10value_typeET2_T3_PNSL_ISQ_E10value_typeET4_jRbjT5_SW_jjP12ihipStream_tbEUlT_E2_NS1_11comp_targetILNS1_3genE4ELNS1_11target_archE910ELNS1_3gpuE8ELNS1_3repE0EEENS1_30default_config_static_selectorELNS0_4arch9wavefront6targetE1EEEvSK_
    .private_segment_fixed_size: 8
    .sgpr_count:     86
    .sgpr_spill_count: 0
    .symbol:         _ZN7rocprim17ROCPRIM_400000_NS6detail17trampoline_kernelINS0_14default_configENS1_36segmented_radix_sort_config_selectorIhlEEZNS1_25segmented_radix_sort_implIS3_Lb0EPKhPhPKlPlN2at6native12_GLOBAL__N_18offset_tEEE10hipError_tPvRmT1_PNSt15iterator_traitsISK_E10value_typeET2_T3_PNSL_ISQ_E10value_typeET4_jRbjT5_SW_jjP12ihipStream_tbEUlT_E2_NS1_11comp_targetILNS1_3genE4ELNS1_11target_archE910ELNS1_3gpuE8ELNS1_3repE0EEENS1_30default_config_static_selectorELNS0_4arch9wavefront6targetE1EEEvSK_.kd
    .uniform_work_group_size: 1
    .uses_dynamic_stack: false
    .vgpr_count:     180
    .vgpr_spill_count: 0
    .wavefront_size: 64
  - .agpr_count:     0
    .args:
      - .offset:         0
        .size:           80
        .value_kind:     by_value
    .group_segment_fixed_size: 0
    .kernarg_segment_align: 8
    .kernarg_segment_size: 80
    .language:       OpenCL C
    .language_version:
      - 2
      - 0
    .max_flat_workgroup_size: 256
    .name:           _ZN7rocprim17ROCPRIM_400000_NS6detail17trampoline_kernelINS0_14default_configENS1_36segmented_radix_sort_config_selectorIhlEEZNS1_25segmented_radix_sort_implIS3_Lb0EPKhPhPKlPlN2at6native12_GLOBAL__N_18offset_tEEE10hipError_tPvRmT1_PNSt15iterator_traitsISK_E10value_typeET2_T3_PNSL_ISQ_E10value_typeET4_jRbjT5_SW_jjP12ihipStream_tbEUlT_E2_NS1_11comp_targetILNS1_3genE3ELNS1_11target_archE908ELNS1_3gpuE7ELNS1_3repE0EEENS1_30default_config_static_selectorELNS0_4arch9wavefront6targetE1EEEvSK_
    .private_segment_fixed_size: 0
    .sgpr_count:     4
    .sgpr_spill_count: 0
    .symbol:         _ZN7rocprim17ROCPRIM_400000_NS6detail17trampoline_kernelINS0_14default_configENS1_36segmented_radix_sort_config_selectorIhlEEZNS1_25segmented_radix_sort_implIS3_Lb0EPKhPhPKlPlN2at6native12_GLOBAL__N_18offset_tEEE10hipError_tPvRmT1_PNSt15iterator_traitsISK_E10value_typeET2_T3_PNSL_ISQ_E10value_typeET4_jRbjT5_SW_jjP12ihipStream_tbEUlT_E2_NS1_11comp_targetILNS1_3genE3ELNS1_11target_archE908ELNS1_3gpuE7ELNS1_3repE0EEENS1_30default_config_static_selectorELNS0_4arch9wavefront6targetE1EEEvSK_.kd
    .uniform_work_group_size: 1
    .uses_dynamic_stack: false
    .vgpr_count:     0
    .vgpr_spill_count: 0
    .wavefront_size: 64
  - .agpr_count:     0
    .args:
      - .offset:         0
        .size:           80
        .value_kind:     by_value
    .group_segment_fixed_size: 0
    .kernarg_segment_align: 8
    .kernarg_segment_size: 80
    .language:       OpenCL C
    .language_version:
      - 2
      - 0
    .max_flat_workgroup_size: 256
    .name:           _ZN7rocprim17ROCPRIM_400000_NS6detail17trampoline_kernelINS0_14default_configENS1_36segmented_radix_sort_config_selectorIhlEEZNS1_25segmented_radix_sort_implIS3_Lb0EPKhPhPKlPlN2at6native12_GLOBAL__N_18offset_tEEE10hipError_tPvRmT1_PNSt15iterator_traitsISK_E10value_typeET2_T3_PNSL_ISQ_E10value_typeET4_jRbjT5_SW_jjP12ihipStream_tbEUlT_E2_NS1_11comp_targetILNS1_3genE2ELNS1_11target_archE906ELNS1_3gpuE6ELNS1_3repE0EEENS1_30default_config_static_selectorELNS0_4arch9wavefront6targetE1EEEvSK_
    .private_segment_fixed_size: 0
    .sgpr_count:     4
    .sgpr_spill_count: 0
    .symbol:         _ZN7rocprim17ROCPRIM_400000_NS6detail17trampoline_kernelINS0_14default_configENS1_36segmented_radix_sort_config_selectorIhlEEZNS1_25segmented_radix_sort_implIS3_Lb0EPKhPhPKlPlN2at6native12_GLOBAL__N_18offset_tEEE10hipError_tPvRmT1_PNSt15iterator_traitsISK_E10value_typeET2_T3_PNSL_ISQ_E10value_typeET4_jRbjT5_SW_jjP12ihipStream_tbEUlT_E2_NS1_11comp_targetILNS1_3genE2ELNS1_11target_archE906ELNS1_3gpuE6ELNS1_3repE0EEENS1_30default_config_static_selectorELNS0_4arch9wavefront6targetE1EEEvSK_.kd
    .uniform_work_group_size: 1
    .uses_dynamic_stack: false
    .vgpr_count:     0
    .vgpr_spill_count: 0
    .wavefront_size: 64
  - .agpr_count:     0
    .args:
      - .offset:         0
        .size:           80
        .value_kind:     by_value
    .group_segment_fixed_size: 0
    .kernarg_segment_align: 8
    .kernarg_segment_size: 80
    .language:       OpenCL C
    .language_version:
      - 2
      - 0
    .max_flat_workgroup_size: 256
    .name:           _ZN7rocprim17ROCPRIM_400000_NS6detail17trampoline_kernelINS0_14default_configENS1_36segmented_radix_sort_config_selectorIhlEEZNS1_25segmented_radix_sort_implIS3_Lb0EPKhPhPKlPlN2at6native12_GLOBAL__N_18offset_tEEE10hipError_tPvRmT1_PNSt15iterator_traitsISK_E10value_typeET2_T3_PNSL_ISQ_E10value_typeET4_jRbjT5_SW_jjP12ihipStream_tbEUlT_E2_NS1_11comp_targetILNS1_3genE10ELNS1_11target_archE1201ELNS1_3gpuE5ELNS1_3repE0EEENS1_30default_config_static_selectorELNS0_4arch9wavefront6targetE1EEEvSK_
    .private_segment_fixed_size: 0
    .sgpr_count:     4
    .sgpr_spill_count: 0
    .symbol:         _ZN7rocprim17ROCPRIM_400000_NS6detail17trampoline_kernelINS0_14default_configENS1_36segmented_radix_sort_config_selectorIhlEEZNS1_25segmented_radix_sort_implIS3_Lb0EPKhPhPKlPlN2at6native12_GLOBAL__N_18offset_tEEE10hipError_tPvRmT1_PNSt15iterator_traitsISK_E10value_typeET2_T3_PNSL_ISQ_E10value_typeET4_jRbjT5_SW_jjP12ihipStream_tbEUlT_E2_NS1_11comp_targetILNS1_3genE10ELNS1_11target_archE1201ELNS1_3gpuE5ELNS1_3repE0EEENS1_30default_config_static_selectorELNS0_4arch9wavefront6targetE1EEEvSK_.kd
    .uniform_work_group_size: 1
    .uses_dynamic_stack: false
    .vgpr_count:     0
    .vgpr_spill_count: 0
    .wavefront_size: 64
  - .agpr_count:     0
    .args:
      - .offset:         0
        .size:           80
        .value_kind:     by_value
    .group_segment_fixed_size: 0
    .kernarg_segment_align: 8
    .kernarg_segment_size: 80
    .language:       OpenCL C
    .language_version:
      - 2
      - 0
    .max_flat_workgroup_size: 128
    .name:           _ZN7rocprim17ROCPRIM_400000_NS6detail17trampoline_kernelINS0_14default_configENS1_36segmented_radix_sort_config_selectorIhlEEZNS1_25segmented_radix_sort_implIS3_Lb0EPKhPhPKlPlN2at6native12_GLOBAL__N_18offset_tEEE10hipError_tPvRmT1_PNSt15iterator_traitsISK_E10value_typeET2_T3_PNSL_ISQ_E10value_typeET4_jRbjT5_SW_jjP12ihipStream_tbEUlT_E2_NS1_11comp_targetILNS1_3genE10ELNS1_11target_archE1200ELNS1_3gpuE4ELNS1_3repE0EEENS1_30default_config_static_selectorELNS0_4arch9wavefront6targetE1EEEvSK_
    .private_segment_fixed_size: 0
    .sgpr_count:     4
    .sgpr_spill_count: 0
    .symbol:         _ZN7rocprim17ROCPRIM_400000_NS6detail17trampoline_kernelINS0_14default_configENS1_36segmented_radix_sort_config_selectorIhlEEZNS1_25segmented_radix_sort_implIS3_Lb0EPKhPhPKlPlN2at6native12_GLOBAL__N_18offset_tEEE10hipError_tPvRmT1_PNSt15iterator_traitsISK_E10value_typeET2_T3_PNSL_ISQ_E10value_typeET4_jRbjT5_SW_jjP12ihipStream_tbEUlT_E2_NS1_11comp_targetILNS1_3genE10ELNS1_11target_archE1200ELNS1_3gpuE4ELNS1_3repE0EEENS1_30default_config_static_selectorELNS0_4arch9wavefront6targetE1EEEvSK_.kd
    .uniform_work_group_size: 1
    .uses_dynamic_stack: false
    .vgpr_count:     0
    .vgpr_spill_count: 0
    .wavefront_size: 64
  - .agpr_count:     0
    .args:
      - .offset:         0
        .size:           80
        .value_kind:     by_value
    .group_segment_fixed_size: 0
    .kernarg_segment_align: 8
    .kernarg_segment_size: 80
    .language:       OpenCL C
    .language_version:
      - 2
      - 0
    .max_flat_workgroup_size: 256
    .name:           _ZN7rocprim17ROCPRIM_400000_NS6detail17trampoline_kernelINS0_14default_configENS1_36segmented_radix_sort_config_selectorIhlEEZNS1_25segmented_radix_sort_implIS3_Lb0EPKhPhPKlPlN2at6native12_GLOBAL__N_18offset_tEEE10hipError_tPvRmT1_PNSt15iterator_traitsISK_E10value_typeET2_T3_PNSL_ISQ_E10value_typeET4_jRbjT5_SW_jjP12ihipStream_tbEUlT_E2_NS1_11comp_targetILNS1_3genE9ELNS1_11target_archE1100ELNS1_3gpuE3ELNS1_3repE0EEENS1_30default_config_static_selectorELNS0_4arch9wavefront6targetE1EEEvSK_
    .private_segment_fixed_size: 0
    .sgpr_count:     4
    .sgpr_spill_count: 0
    .symbol:         _ZN7rocprim17ROCPRIM_400000_NS6detail17trampoline_kernelINS0_14default_configENS1_36segmented_radix_sort_config_selectorIhlEEZNS1_25segmented_radix_sort_implIS3_Lb0EPKhPhPKlPlN2at6native12_GLOBAL__N_18offset_tEEE10hipError_tPvRmT1_PNSt15iterator_traitsISK_E10value_typeET2_T3_PNSL_ISQ_E10value_typeET4_jRbjT5_SW_jjP12ihipStream_tbEUlT_E2_NS1_11comp_targetILNS1_3genE9ELNS1_11target_archE1100ELNS1_3gpuE3ELNS1_3repE0EEENS1_30default_config_static_selectorELNS0_4arch9wavefront6targetE1EEEvSK_.kd
    .uniform_work_group_size: 1
    .uses_dynamic_stack: false
    .vgpr_count:     0
    .vgpr_spill_count: 0
    .wavefront_size: 64
  - .agpr_count:     0
    .args:
      - .offset:         0
        .size:           80
        .value_kind:     by_value
    .group_segment_fixed_size: 0
    .kernarg_segment_align: 8
    .kernarg_segment_size: 80
    .language:       OpenCL C
    .language_version:
      - 2
      - 0
    .max_flat_workgroup_size: 256
    .name:           _ZN7rocprim17ROCPRIM_400000_NS6detail17trampoline_kernelINS0_14default_configENS1_36segmented_radix_sort_config_selectorIhlEEZNS1_25segmented_radix_sort_implIS3_Lb0EPKhPhPKlPlN2at6native12_GLOBAL__N_18offset_tEEE10hipError_tPvRmT1_PNSt15iterator_traitsISK_E10value_typeET2_T3_PNSL_ISQ_E10value_typeET4_jRbjT5_SW_jjP12ihipStream_tbEUlT_E2_NS1_11comp_targetILNS1_3genE8ELNS1_11target_archE1030ELNS1_3gpuE2ELNS1_3repE0EEENS1_30default_config_static_selectorELNS0_4arch9wavefront6targetE1EEEvSK_
    .private_segment_fixed_size: 0
    .sgpr_count:     4
    .sgpr_spill_count: 0
    .symbol:         _ZN7rocprim17ROCPRIM_400000_NS6detail17trampoline_kernelINS0_14default_configENS1_36segmented_radix_sort_config_selectorIhlEEZNS1_25segmented_radix_sort_implIS3_Lb0EPKhPhPKlPlN2at6native12_GLOBAL__N_18offset_tEEE10hipError_tPvRmT1_PNSt15iterator_traitsISK_E10value_typeET2_T3_PNSL_ISQ_E10value_typeET4_jRbjT5_SW_jjP12ihipStream_tbEUlT_E2_NS1_11comp_targetILNS1_3genE8ELNS1_11target_archE1030ELNS1_3gpuE2ELNS1_3repE0EEENS1_30default_config_static_selectorELNS0_4arch9wavefront6targetE1EEEvSK_.kd
    .uniform_work_group_size: 1
    .uses_dynamic_stack: false
    .vgpr_count:     0
    .vgpr_spill_count: 0
    .wavefront_size: 64
  - .agpr_count:     0
    .args:
      - .address_space:  global
        .offset:         0
        .size:           8
        .value_kind:     global_buffer
      - .address_space:  global
        .offset:         8
        .size:           8
        .value_kind:     global_buffer
      - .address_space:  global
        .offset:         16
        .size:           8
        .value_kind:     global_buffer
      - .address_space:  global
        .offset:         24
        .size:           8
        .value_kind:     global_buffer
      - .offset:         32
        .size:           4
        .value_kind:     by_value
      - .offset:         36
        .size:           4
        .value_kind:     by_value
      - .offset:         40
        .size:           4
        .value_kind:     hidden_block_count_x
      - .offset:         44
        .size:           4
        .value_kind:     hidden_block_count_y
      - .offset:         48
        .size:           4
        .value_kind:     hidden_block_count_z
      - .offset:         52
        .size:           2
        .value_kind:     hidden_group_size_x
      - .offset:         54
        .size:           2
        .value_kind:     hidden_group_size_y
      - .offset:         56
        .size:           2
        .value_kind:     hidden_group_size_z
      - .offset:         58
        .size:           2
        .value_kind:     hidden_remainder_x
      - .offset:         60
        .size:           2
        .value_kind:     hidden_remainder_y
      - .offset:         62
        .size:           2
        .value_kind:     hidden_remainder_z
      - .offset:         80
        .size:           8
        .value_kind:     hidden_global_offset_x
      - .offset:         88
        .size:           8
        .value_kind:     hidden_global_offset_y
      - .offset:         96
        .size:           8
        .value_kind:     hidden_global_offset_z
      - .offset:         104
        .size:           2
        .value_kind:     hidden_grid_dims
    .group_segment_fixed_size: 0
    .kernarg_segment_align: 8
    .kernarg_segment_size: 296
    .language:       OpenCL C
    .language_version:
      - 2
      - 0
    .max_flat_workgroup_size: 1024
    .name:           _ZN2at6native12_GLOBAL__N_123sort_postprocess_kernelIaEEvPKT_PS3_PlPK15HIP_vector_typeIiLj2EEii
    .private_segment_fixed_size: 0
    .sgpr_count:     22
    .sgpr_spill_count: 0
    .symbol:         _ZN2at6native12_GLOBAL__N_123sort_postprocess_kernelIaEEvPKT_PS3_PlPK15HIP_vector_typeIiLj2EEii.kd
    .uniform_work_group_size: 1
    .uses_dynamic_stack: false
    .vgpr_count:     20
    .vgpr_spill_count: 0
    .wavefront_size: 64
  - .agpr_count:     0
    .args:
      - .offset:         0
        .size:           176
        .value_kind:     by_value
    .group_segment_fixed_size: 0
    .kernarg_segment_align: 8
    .kernarg_segment_size: 176
    .language:       OpenCL C
    .language_version:
      - 2
      - 0
    .max_flat_workgroup_size: 256
    .name:           _ZN7rocprim17ROCPRIM_400000_NS6detail17trampoline_kernelINS0_13select_configILj256ELj13ELNS0_17block_load_methodE3ELS4_3ELS4_3ELNS0_20block_scan_algorithmE0ELj4294967295EEENS1_25partition_config_selectorILNS1_17partition_subalgoE4EjNS0_10empty_typeEbEEZZNS1_14partition_implILS8_4ELb0ES6_15HIP_vector_typeIjLj2EENS0_17counting_iteratorIjlEEPS9_SG_NS0_5tupleIJPjSI_NS0_16reverse_iteratorISI_EEEEENSH_IJSG_SG_SG_EEES9_SI_JZNS1_25segmented_radix_sort_implINS0_14default_configELb1EPKaPaPKlPlN2at6native12_GLOBAL__N_18offset_tEEE10hipError_tPvRmT1_PNSt15iterator_traitsIS12_E10value_typeET2_T3_PNS13_IS18_E10value_typeET4_jRbjT5_S1E_jjP12ihipStream_tbEUljE_ZNSN_ISO_Lb1ESQ_SR_ST_SU_SY_EESZ_S10_S11_S12_S16_S17_S18_S1B_S1C_jS1D_jS1E_S1E_jjS1G_bEUljE0_EEESZ_S10_S11_S18_S1C_S1E_T6_T7_T9_mT8_S1G_bDpT10_ENKUlT_T0_E_clISt17integral_constantIbLb0EES1U_EEDaS1P_S1Q_EUlS1P_E_NS1_11comp_targetILNS1_3genE0ELNS1_11target_archE4294967295ELNS1_3gpuE0ELNS1_3repE0EEENS1_30default_config_static_selectorELNS0_4arch9wavefront6targetE1EEEvS12_
    .private_segment_fixed_size: 0
    .sgpr_count:     4
    .sgpr_spill_count: 0
    .symbol:         _ZN7rocprim17ROCPRIM_400000_NS6detail17trampoline_kernelINS0_13select_configILj256ELj13ELNS0_17block_load_methodE3ELS4_3ELS4_3ELNS0_20block_scan_algorithmE0ELj4294967295EEENS1_25partition_config_selectorILNS1_17partition_subalgoE4EjNS0_10empty_typeEbEEZZNS1_14partition_implILS8_4ELb0ES6_15HIP_vector_typeIjLj2EENS0_17counting_iteratorIjlEEPS9_SG_NS0_5tupleIJPjSI_NS0_16reverse_iteratorISI_EEEEENSH_IJSG_SG_SG_EEES9_SI_JZNS1_25segmented_radix_sort_implINS0_14default_configELb1EPKaPaPKlPlN2at6native12_GLOBAL__N_18offset_tEEE10hipError_tPvRmT1_PNSt15iterator_traitsIS12_E10value_typeET2_T3_PNS13_IS18_E10value_typeET4_jRbjT5_S1E_jjP12ihipStream_tbEUljE_ZNSN_ISO_Lb1ESQ_SR_ST_SU_SY_EESZ_S10_S11_S12_S16_S17_S18_S1B_S1C_jS1D_jS1E_S1E_jjS1G_bEUljE0_EEESZ_S10_S11_S18_S1C_S1E_T6_T7_T9_mT8_S1G_bDpT10_ENKUlT_T0_E_clISt17integral_constantIbLb0EES1U_EEDaS1P_S1Q_EUlS1P_E_NS1_11comp_targetILNS1_3genE0ELNS1_11target_archE4294967295ELNS1_3gpuE0ELNS1_3repE0EEENS1_30default_config_static_selectorELNS0_4arch9wavefront6targetE1EEEvS12_.kd
    .uniform_work_group_size: 1
    .uses_dynamic_stack: false
    .vgpr_count:     0
    .vgpr_spill_count: 0
    .wavefront_size: 64
  - .agpr_count:     0
    .args:
      - .offset:         0
        .size:           176
        .value_kind:     by_value
    .group_segment_fixed_size: 0
    .kernarg_segment_align: 8
    .kernarg_segment_size: 176
    .language:       OpenCL C
    .language_version:
      - 2
      - 0
    .max_flat_workgroup_size: 256
    .name:           _ZN7rocprim17ROCPRIM_400000_NS6detail17trampoline_kernelINS0_13select_configILj256ELj13ELNS0_17block_load_methodE3ELS4_3ELS4_3ELNS0_20block_scan_algorithmE0ELj4294967295EEENS1_25partition_config_selectorILNS1_17partition_subalgoE4EjNS0_10empty_typeEbEEZZNS1_14partition_implILS8_4ELb0ES6_15HIP_vector_typeIjLj2EENS0_17counting_iteratorIjlEEPS9_SG_NS0_5tupleIJPjSI_NS0_16reverse_iteratorISI_EEEEENSH_IJSG_SG_SG_EEES9_SI_JZNS1_25segmented_radix_sort_implINS0_14default_configELb1EPKaPaPKlPlN2at6native12_GLOBAL__N_18offset_tEEE10hipError_tPvRmT1_PNSt15iterator_traitsIS12_E10value_typeET2_T3_PNS13_IS18_E10value_typeET4_jRbjT5_S1E_jjP12ihipStream_tbEUljE_ZNSN_ISO_Lb1ESQ_SR_ST_SU_SY_EESZ_S10_S11_S12_S16_S17_S18_S1B_S1C_jS1D_jS1E_S1E_jjS1G_bEUljE0_EEESZ_S10_S11_S18_S1C_S1E_T6_T7_T9_mT8_S1G_bDpT10_ENKUlT_T0_E_clISt17integral_constantIbLb0EES1U_EEDaS1P_S1Q_EUlS1P_E_NS1_11comp_targetILNS1_3genE5ELNS1_11target_archE942ELNS1_3gpuE9ELNS1_3repE0EEENS1_30default_config_static_selectorELNS0_4arch9wavefront6targetE1EEEvS12_
    .private_segment_fixed_size: 0
    .sgpr_count:     4
    .sgpr_spill_count: 0
    .symbol:         _ZN7rocprim17ROCPRIM_400000_NS6detail17trampoline_kernelINS0_13select_configILj256ELj13ELNS0_17block_load_methodE3ELS4_3ELS4_3ELNS0_20block_scan_algorithmE0ELj4294967295EEENS1_25partition_config_selectorILNS1_17partition_subalgoE4EjNS0_10empty_typeEbEEZZNS1_14partition_implILS8_4ELb0ES6_15HIP_vector_typeIjLj2EENS0_17counting_iteratorIjlEEPS9_SG_NS0_5tupleIJPjSI_NS0_16reverse_iteratorISI_EEEEENSH_IJSG_SG_SG_EEES9_SI_JZNS1_25segmented_radix_sort_implINS0_14default_configELb1EPKaPaPKlPlN2at6native12_GLOBAL__N_18offset_tEEE10hipError_tPvRmT1_PNSt15iterator_traitsIS12_E10value_typeET2_T3_PNS13_IS18_E10value_typeET4_jRbjT5_S1E_jjP12ihipStream_tbEUljE_ZNSN_ISO_Lb1ESQ_SR_ST_SU_SY_EESZ_S10_S11_S12_S16_S17_S18_S1B_S1C_jS1D_jS1E_S1E_jjS1G_bEUljE0_EEESZ_S10_S11_S18_S1C_S1E_T6_T7_T9_mT8_S1G_bDpT10_ENKUlT_T0_E_clISt17integral_constantIbLb0EES1U_EEDaS1P_S1Q_EUlS1P_E_NS1_11comp_targetILNS1_3genE5ELNS1_11target_archE942ELNS1_3gpuE9ELNS1_3repE0EEENS1_30default_config_static_selectorELNS0_4arch9wavefront6targetE1EEEvS12_.kd
    .uniform_work_group_size: 1
    .uses_dynamic_stack: false
    .vgpr_count:     0
    .vgpr_spill_count: 0
    .wavefront_size: 64
  - .agpr_count:     0
    .args:
      - .offset:         0
        .size:           176
        .value_kind:     by_value
    .group_segment_fixed_size: 13340
    .kernarg_segment_align: 8
    .kernarg_segment_size: 176
    .language:       OpenCL C
    .language_version:
      - 2
      - 0
    .max_flat_workgroup_size: 256
    .name:           _ZN7rocprim17ROCPRIM_400000_NS6detail17trampoline_kernelINS0_13select_configILj256ELj13ELNS0_17block_load_methodE3ELS4_3ELS4_3ELNS0_20block_scan_algorithmE0ELj4294967295EEENS1_25partition_config_selectorILNS1_17partition_subalgoE4EjNS0_10empty_typeEbEEZZNS1_14partition_implILS8_4ELb0ES6_15HIP_vector_typeIjLj2EENS0_17counting_iteratorIjlEEPS9_SG_NS0_5tupleIJPjSI_NS0_16reverse_iteratorISI_EEEEENSH_IJSG_SG_SG_EEES9_SI_JZNS1_25segmented_radix_sort_implINS0_14default_configELb1EPKaPaPKlPlN2at6native12_GLOBAL__N_18offset_tEEE10hipError_tPvRmT1_PNSt15iterator_traitsIS12_E10value_typeET2_T3_PNS13_IS18_E10value_typeET4_jRbjT5_S1E_jjP12ihipStream_tbEUljE_ZNSN_ISO_Lb1ESQ_SR_ST_SU_SY_EESZ_S10_S11_S12_S16_S17_S18_S1B_S1C_jS1D_jS1E_S1E_jjS1G_bEUljE0_EEESZ_S10_S11_S18_S1C_S1E_T6_T7_T9_mT8_S1G_bDpT10_ENKUlT_T0_E_clISt17integral_constantIbLb0EES1U_EEDaS1P_S1Q_EUlS1P_E_NS1_11comp_targetILNS1_3genE4ELNS1_11target_archE910ELNS1_3gpuE8ELNS1_3repE0EEENS1_30default_config_static_selectorELNS0_4arch9wavefront6targetE1EEEvS12_
    .private_segment_fixed_size: 0
    .sgpr_count:     94
    .sgpr_spill_count: 0
    .symbol:         _ZN7rocprim17ROCPRIM_400000_NS6detail17trampoline_kernelINS0_13select_configILj256ELj13ELNS0_17block_load_methodE3ELS4_3ELS4_3ELNS0_20block_scan_algorithmE0ELj4294967295EEENS1_25partition_config_selectorILNS1_17partition_subalgoE4EjNS0_10empty_typeEbEEZZNS1_14partition_implILS8_4ELb0ES6_15HIP_vector_typeIjLj2EENS0_17counting_iteratorIjlEEPS9_SG_NS0_5tupleIJPjSI_NS0_16reverse_iteratorISI_EEEEENSH_IJSG_SG_SG_EEES9_SI_JZNS1_25segmented_radix_sort_implINS0_14default_configELb1EPKaPaPKlPlN2at6native12_GLOBAL__N_18offset_tEEE10hipError_tPvRmT1_PNSt15iterator_traitsIS12_E10value_typeET2_T3_PNS13_IS18_E10value_typeET4_jRbjT5_S1E_jjP12ihipStream_tbEUljE_ZNSN_ISO_Lb1ESQ_SR_ST_SU_SY_EESZ_S10_S11_S12_S16_S17_S18_S1B_S1C_jS1D_jS1E_S1E_jjS1G_bEUljE0_EEESZ_S10_S11_S18_S1C_S1E_T6_T7_T9_mT8_S1G_bDpT10_ENKUlT_T0_E_clISt17integral_constantIbLb0EES1U_EEDaS1P_S1Q_EUlS1P_E_NS1_11comp_targetILNS1_3genE4ELNS1_11target_archE910ELNS1_3gpuE8ELNS1_3repE0EEENS1_30default_config_static_selectorELNS0_4arch9wavefront6targetE1EEEvS12_.kd
    .uniform_work_group_size: 1
    .uses_dynamic_stack: false
    .vgpr_count:     102
    .vgpr_spill_count: 0
    .wavefront_size: 64
  - .agpr_count:     0
    .args:
      - .offset:         0
        .size:           176
        .value_kind:     by_value
    .group_segment_fixed_size: 0
    .kernarg_segment_align: 8
    .kernarg_segment_size: 176
    .language:       OpenCL C
    .language_version:
      - 2
      - 0
    .max_flat_workgroup_size: 256
    .name:           _ZN7rocprim17ROCPRIM_400000_NS6detail17trampoline_kernelINS0_13select_configILj256ELj13ELNS0_17block_load_methodE3ELS4_3ELS4_3ELNS0_20block_scan_algorithmE0ELj4294967295EEENS1_25partition_config_selectorILNS1_17partition_subalgoE4EjNS0_10empty_typeEbEEZZNS1_14partition_implILS8_4ELb0ES6_15HIP_vector_typeIjLj2EENS0_17counting_iteratorIjlEEPS9_SG_NS0_5tupleIJPjSI_NS0_16reverse_iteratorISI_EEEEENSH_IJSG_SG_SG_EEES9_SI_JZNS1_25segmented_radix_sort_implINS0_14default_configELb1EPKaPaPKlPlN2at6native12_GLOBAL__N_18offset_tEEE10hipError_tPvRmT1_PNSt15iterator_traitsIS12_E10value_typeET2_T3_PNS13_IS18_E10value_typeET4_jRbjT5_S1E_jjP12ihipStream_tbEUljE_ZNSN_ISO_Lb1ESQ_SR_ST_SU_SY_EESZ_S10_S11_S12_S16_S17_S18_S1B_S1C_jS1D_jS1E_S1E_jjS1G_bEUljE0_EEESZ_S10_S11_S18_S1C_S1E_T6_T7_T9_mT8_S1G_bDpT10_ENKUlT_T0_E_clISt17integral_constantIbLb0EES1U_EEDaS1P_S1Q_EUlS1P_E_NS1_11comp_targetILNS1_3genE3ELNS1_11target_archE908ELNS1_3gpuE7ELNS1_3repE0EEENS1_30default_config_static_selectorELNS0_4arch9wavefront6targetE1EEEvS12_
    .private_segment_fixed_size: 0
    .sgpr_count:     4
    .sgpr_spill_count: 0
    .symbol:         _ZN7rocprim17ROCPRIM_400000_NS6detail17trampoline_kernelINS0_13select_configILj256ELj13ELNS0_17block_load_methodE3ELS4_3ELS4_3ELNS0_20block_scan_algorithmE0ELj4294967295EEENS1_25partition_config_selectorILNS1_17partition_subalgoE4EjNS0_10empty_typeEbEEZZNS1_14partition_implILS8_4ELb0ES6_15HIP_vector_typeIjLj2EENS0_17counting_iteratorIjlEEPS9_SG_NS0_5tupleIJPjSI_NS0_16reverse_iteratorISI_EEEEENSH_IJSG_SG_SG_EEES9_SI_JZNS1_25segmented_radix_sort_implINS0_14default_configELb1EPKaPaPKlPlN2at6native12_GLOBAL__N_18offset_tEEE10hipError_tPvRmT1_PNSt15iterator_traitsIS12_E10value_typeET2_T3_PNS13_IS18_E10value_typeET4_jRbjT5_S1E_jjP12ihipStream_tbEUljE_ZNSN_ISO_Lb1ESQ_SR_ST_SU_SY_EESZ_S10_S11_S12_S16_S17_S18_S1B_S1C_jS1D_jS1E_S1E_jjS1G_bEUljE0_EEESZ_S10_S11_S18_S1C_S1E_T6_T7_T9_mT8_S1G_bDpT10_ENKUlT_T0_E_clISt17integral_constantIbLb0EES1U_EEDaS1P_S1Q_EUlS1P_E_NS1_11comp_targetILNS1_3genE3ELNS1_11target_archE908ELNS1_3gpuE7ELNS1_3repE0EEENS1_30default_config_static_selectorELNS0_4arch9wavefront6targetE1EEEvS12_.kd
    .uniform_work_group_size: 1
    .uses_dynamic_stack: false
    .vgpr_count:     0
    .vgpr_spill_count: 0
    .wavefront_size: 64
  - .agpr_count:     0
    .args:
      - .offset:         0
        .size:           176
        .value_kind:     by_value
    .group_segment_fixed_size: 0
    .kernarg_segment_align: 8
    .kernarg_segment_size: 176
    .language:       OpenCL C
    .language_version:
      - 2
      - 0
    .max_flat_workgroup_size: 256
    .name:           _ZN7rocprim17ROCPRIM_400000_NS6detail17trampoline_kernelINS0_13select_configILj256ELj13ELNS0_17block_load_methodE3ELS4_3ELS4_3ELNS0_20block_scan_algorithmE0ELj4294967295EEENS1_25partition_config_selectorILNS1_17partition_subalgoE4EjNS0_10empty_typeEbEEZZNS1_14partition_implILS8_4ELb0ES6_15HIP_vector_typeIjLj2EENS0_17counting_iteratorIjlEEPS9_SG_NS0_5tupleIJPjSI_NS0_16reverse_iteratorISI_EEEEENSH_IJSG_SG_SG_EEES9_SI_JZNS1_25segmented_radix_sort_implINS0_14default_configELb1EPKaPaPKlPlN2at6native12_GLOBAL__N_18offset_tEEE10hipError_tPvRmT1_PNSt15iterator_traitsIS12_E10value_typeET2_T3_PNS13_IS18_E10value_typeET4_jRbjT5_S1E_jjP12ihipStream_tbEUljE_ZNSN_ISO_Lb1ESQ_SR_ST_SU_SY_EESZ_S10_S11_S12_S16_S17_S18_S1B_S1C_jS1D_jS1E_S1E_jjS1G_bEUljE0_EEESZ_S10_S11_S18_S1C_S1E_T6_T7_T9_mT8_S1G_bDpT10_ENKUlT_T0_E_clISt17integral_constantIbLb0EES1U_EEDaS1P_S1Q_EUlS1P_E_NS1_11comp_targetILNS1_3genE2ELNS1_11target_archE906ELNS1_3gpuE6ELNS1_3repE0EEENS1_30default_config_static_selectorELNS0_4arch9wavefront6targetE1EEEvS12_
    .private_segment_fixed_size: 0
    .sgpr_count:     4
    .sgpr_spill_count: 0
    .symbol:         _ZN7rocprim17ROCPRIM_400000_NS6detail17trampoline_kernelINS0_13select_configILj256ELj13ELNS0_17block_load_methodE3ELS4_3ELS4_3ELNS0_20block_scan_algorithmE0ELj4294967295EEENS1_25partition_config_selectorILNS1_17partition_subalgoE4EjNS0_10empty_typeEbEEZZNS1_14partition_implILS8_4ELb0ES6_15HIP_vector_typeIjLj2EENS0_17counting_iteratorIjlEEPS9_SG_NS0_5tupleIJPjSI_NS0_16reverse_iteratorISI_EEEEENSH_IJSG_SG_SG_EEES9_SI_JZNS1_25segmented_radix_sort_implINS0_14default_configELb1EPKaPaPKlPlN2at6native12_GLOBAL__N_18offset_tEEE10hipError_tPvRmT1_PNSt15iterator_traitsIS12_E10value_typeET2_T3_PNS13_IS18_E10value_typeET4_jRbjT5_S1E_jjP12ihipStream_tbEUljE_ZNSN_ISO_Lb1ESQ_SR_ST_SU_SY_EESZ_S10_S11_S12_S16_S17_S18_S1B_S1C_jS1D_jS1E_S1E_jjS1G_bEUljE0_EEESZ_S10_S11_S18_S1C_S1E_T6_T7_T9_mT8_S1G_bDpT10_ENKUlT_T0_E_clISt17integral_constantIbLb0EES1U_EEDaS1P_S1Q_EUlS1P_E_NS1_11comp_targetILNS1_3genE2ELNS1_11target_archE906ELNS1_3gpuE6ELNS1_3repE0EEENS1_30default_config_static_selectorELNS0_4arch9wavefront6targetE1EEEvS12_.kd
    .uniform_work_group_size: 1
    .uses_dynamic_stack: false
    .vgpr_count:     0
    .vgpr_spill_count: 0
    .wavefront_size: 64
  - .agpr_count:     0
    .args:
      - .offset:         0
        .size:           176
        .value_kind:     by_value
    .group_segment_fixed_size: 0
    .kernarg_segment_align: 8
    .kernarg_segment_size: 176
    .language:       OpenCL C
    .language_version:
      - 2
      - 0
    .max_flat_workgroup_size: 256
    .name:           _ZN7rocprim17ROCPRIM_400000_NS6detail17trampoline_kernelINS0_13select_configILj256ELj13ELNS0_17block_load_methodE3ELS4_3ELS4_3ELNS0_20block_scan_algorithmE0ELj4294967295EEENS1_25partition_config_selectorILNS1_17partition_subalgoE4EjNS0_10empty_typeEbEEZZNS1_14partition_implILS8_4ELb0ES6_15HIP_vector_typeIjLj2EENS0_17counting_iteratorIjlEEPS9_SG_NS0_5tupleIJPjSI_NS0_16reverse_iteratorISI_EEEEENSH_IJSG_SG_SG_EEES9_SI_JZNS1_25segmented_radix_sort_implINS0_14default_configELb1EPKaPaPKlPlN2at6native12_GLOBAL__N_18offset_tEEE10hipError_tPvRmT1_PNSt15iterator_traitsIS12_E10value_typeET2_T3_PNS13_IS18_E10value_typeET4_jRbjT5_S1E_jjP12ihipStream_tbEUljE_ZNSN_ISO_Lb1ESQ_SR_ST_SU_SY_EESZ_S10_S11_S12_S16_S17_S18_S1B_S1C_jS1D_jS1E_S1E_jjS1G_bEUljE0_EEESZ_S10_S11_S18_S1C_S1E_T6_T7_T9_mT8_S1G_bDpT10_ENKUlT_T0_E_clISt17integral_constantIbLb0EES1U_EEDaS1P_S1Q_EUlS1P_E_NS1_11comp_targetILNS1_3genE10ELNS1_11target_archE1200ELNS1_3gpuE4ELNS1_3repE0EEENS1_30default_config_static_selectorELNS0_4arch9wavefront6targetE1EEEvS12_
    .private_segment_fixed_size: 0
    .sgpr_count:     4
    .sgpr_spill_count: 0
    .symbol:         _ZN7rocprim17ROCPRIM_400000_NS6detail17trampoline_kernelINS0_13select_configILj256ELj13ELNS0_17block_load_methodE3ELS4_3ELS4_3ELNS0_20block_scan_algorithmE0ELj4294967295EEENS1_25partition_config_selectorILNS1_17partition_subalgoE4EjNS0_10empty_typeEbEEZZNS1_14partition_implILS8_4ELb0ES6_15HIP_vector_typeIjLj2EENS0_17counting_iteratorIjlEEPS9_SG_NS0_5tupleIJPjSI_NS0_16reverse_iteratorISI_EEEEENSH_IJSG_SG_SG_EEES9_SI_JZNS1_25segmented_radix_sort_implINS0_14default_configELb1EPKaPaPKlPlN2at6native12_GLOBAL__N_18offset_tEEE10hipError_tPvRmT1_PNSt15iterator_traitsIS12_E10value_typeET2_T3_PNS13_IS18_E10value_typeET4_jRbjT5_S1E_jjP12ihipStream_tbEUljE_ZNSN_ISO_Lb1ESQ_SR_ST_SU_SY_EESZ_S10_S11_S12_S16_S17_S18_S1B_S1C_jS1D_jS1E_S1E_jjS1G_bEUljE0_EEESZ_S10_S11_S18_S1C_S1E_T6_T7_T9_mT8_S1G_bDpT10_ENKUlT_T0_E_clISt17integral_constantIbLb0EES1U_EEDaS1P_S1Q_EUlS1P_E_NS1_11comp_targetILNS1_3genE10ELNS1_11target_archE1200ELNS1_3gpuE4ELNS1_3repE0EEENS1_30default_config_static_selectorELNS0_4arch9wavefront6targetE1EEEvS12_.kd
    .uniform_work_group_size: 1
    .uses_dynamic_stack: false
    .vgpr_count:     0
    .vgpr_spill_count: 0
    .wavefront_size: 64
  - .agpr_count:     0
    .args:
      - .offset:         0
        .size:           176
        .value_kind:     by_value
    .group_segment_fixed_size: 0
    .kernarg_segment_align: 8
    .kernarg_segment_size: 176
    .language:       OpenCL C
    .language_version:
      - 2
      - 0
    .max_flat_workgroup_size: 256
    .name:           _ZN7rocprim17ROCPRIM_400000_NS6detail17trampoline_kernelINS0_13select_configILj256ELj13ELNS0_17block_load_methodE3ELS4_3ELS4_3ELNS0_20block_scan_algorithmE0ELj4294967295EEENS1_25partition_config_selectorILNS1_17partition_subalgoE4EjNS0_10empty_typeEbEEZZNS1_14partition_implILS8_4ELb0ES6_15HIP_vector_typeIjLj2EENS0_17counting_iteratorIjlEEPS9_SG_NS0_5tupleIJPjSI_NS0_16reverse_iteratorISI_EEEEENSH_IJSG_SG_SG_EEES9_SI_JZNS1_25segmented_radix_sort_implINS0_14default_configELb1EPKaPaPKlPlN2at6native12_GLOBAL__N_18offset_tEEE10hipError_tPvRmT1_PNSt15iterator_traitsIS12_E10value_typeET2_T3_PNS13_IS18_E10value_typeET4_jRbjT5_S1E_jjP12ihipStream_tbEUljE_ZNSN_ISO_Lb1ESQ_SR_ST_SU_SY_EESZ_S10_S11_S12_S16_S17_S18_S1B_S1C_jS1D_jS1E_S1E_jjS1G_bEUljE0_EEESZ_S10_S11_S18_S1C_S1E_T6_T7_T9_mT8_S1G_bDpT10_ENKUlT_T0_E_clISt17integral_constantIbLb0EES1U_EEDaS1P_S1Q_EUlS1P_E_NS1_11comp_targetILNS1_3genE9ELNS1_11target_archE1100ELNS1_3gpuE3ELNS1_3repE0EEENS1_30default_config_static_selectorELNS0_4arch9wavefront6targetE1EEEvS12_
    .private_segment_fixed_size: 0
    .sgpr_count:     4
    .sgpr_spill_count: 0
    .symbol:         _ZN7rocprim17ROCPRIM_400000_NS6detail17trampoline_kernelINS0_13select_configILj256ELj13ELNS0_17block_load_methodE3ELS4_3ELS4_3ELNS0_20block_scan_algorithmE0ELj4294967295EEENS1_25partition_config_selectorILNS1_17partition_subalgoE4EjNS0_10empty_typeEbEEZZNS1_14partition_implILS8_4ELb0ES6_15HIP_vector_typeIjLj2EENS0_17counting_iteratorIjlEEPS9_SG_NS0_5tupleIJPjSI_NS0_16reverse_iteratorISI_EEEEENSH_IJSG_SG_SG_EEES9_SI_JZNS1_25segmented_radix_sort_implINS0_14default_configELb1EPKaPaPKlPlN2at6native12_GLOBAL__N_18offset_tEEE10hipError_tPvRmT1_PNSt15iterator_traitsIS12_E10value_typeET2_T3_PNS13_IS18_E10value_typeET4_jRbjT5_S1E_jjP12ihipStream_tbEUljE_ZNSN_ISO_Lb1ESQ_SR_ST_SU_SY_EESZ_S10_S11_S12_S16_S17_S18_S1B_S1C_jS1D_jS1E_S1E_jjS1G_bEUljE0_EEESZ_S10_S11_S18_S1C_S1E_T6_T7_T9_mT8_S1G_bDpT10_ENKUlT_T0_E_clISt17integral_constantIbLb0EES1U_EEDaS1P_S1Q_EUlS1P_E_NS1_11comp_targetILNS1_3genE9ELNS1_11target_archE1100ELNS1_3gpuE3ELNS1_3repE0EEENS1_30default_config_static_selectorELNS0_4arch9wavefront6targetE1EEEvS12_.kd
    .uniform_work_group_size: 1
    .uses_dynamic_stack: false
    .vgpr_count:     0
    .vgpr_spill_count: 0
    .wavefront_size: 64
  - .agpr_count:     0
    .args:
      - .offset:         0
        .size:           176
        .value_kind:     by_value
    .group_segment_fixed_size: 0
    .kernarg_segment_align: 8
    .kernarg_segment_size: 176
    .language:       OpenCL C
    .language_version:
      - 2
      - 0
    .max_flat_workgroup_size: 256
    .name:           _ZN7rocprim17ROCPRIM_400000_NS6detail17trampoline_kernelINS0_13select_configILj256ELj13ELNS0_17block_load_methodE3ELS4_3ELS4_3ELNS0_20block_scan_algorithmE0ELj4294967295EEENS1_25partition_config_selectorILNS1_17partition_subalgoE4EjNS0_10empty_typeEbEEZZNS1_14partition_implILS8_4ELb0ES6_15HIP_vector_typeIjLj2EENS0_17counting_iteratorIjlEEPS9_SG_NS0_5tupleIJPjSI_NS0_16reverse_iteratorISI_EEEEENSH_IJSG_SG_SG_EEES9_SI_JZNS1_25segmented_radix_sort_implINS0_14default_configELb1EPKaPaPKlPlN2at6native12_GLOBAL__N_18offset_tEEE10hipError_tPvRmT1_PNSt15iterator_traitsIS12_E10value_typeET2_T3_PNS13_IS18_E10value_typeET4_jRbjT5_S1E_jjP12ihipStream_tbEUljE_ZNSN_ISO_Lb1ESQ_SR_ST_SU_SY_EESZ_S10_S11_S12_S16_S17_S18_S1B_S1C_jS1D_jS1E_S1E_jjS1G_bEUljE0_EEESZ_S10_S11_S18_S1C_S1E_T6_T7_T9_mT8_S1G_bDpT10_ENKUlT_T0_E_clISt17integral_constantIbLb0EES1U_EEDaS1P_S1Q_EUlS1P_E_NS1_11comp_targetILNS1_3genE8ELNS1_11target_archE1030ELNS1_3gpuE2ELNS1_3repE0EEENS1_30default_config_static_selectorELNS0_4arch9wavefront6targetE1EEEvS12_
    .private_segment_fixed_size: 0
    .sgpr_count:     4
    .sgpr_spill_count: 0
    .symbol:         _ZN7rocprim17ROCPRIM_400000_NS6detail17trampoline_kernelINS0_13select_configILj256ELj13ELNS0_17block_load_methodE3ELS4_3ELS4_3ELNS0_20block_scan_algorithmE0ELj4294967295EEENS1_25partition_config_selectorILNS1_17partition_subalgoE4EjNS0_10empty_typeEbEEZZNS1_14partition_implILS8_4ELb0ES6_15HIP_vector_typeIjLj2EENS0_17counting_iteratorIjlEEPS9_SG_NS0_5tupleIJPjSI_NS0_16reverse_iteratorISI_EEEEENSH_IJSG_SG_SG_EEES9_SI_JZNS1_25segmented_radix_sort_implINS0_14default_configELb1EPKaPaPKlPlN2at6native12_GLOBAL__N_18offset_tEEE10hipError_tPvRmT1_PNSt15iterator_traitsIS12_E10value_typeET2_T3_PNS13_IS18_E10value_typeET4_jRbjT5_S1E_jjP12ihipStream_tbEUljE_ZNSN_ISO_Lb1ESQ_SR_ST_SU_SY_EESZ_S10_S11_S12_S16_S17_S18_S1B_S1C_jS1D_jS1E_S1E_jjS1G_bEUljE0_EEESZ_S10_S11_S18_S1C_S1E_T6_T7_T9_mT8_S1G_bDpT10_ENKUlT_T0_E_clISt17integral_constantIbLb0EES1U_EEDaS1P_S1Q_EUlS1P_E_NS1_11comp_targetILNS1_3genE8ELNS1_11target_archE1030ELNS1_3gpuE2ELNS1_3repE0EEENS1_30default_config_static_selectorELNS0_4arch9wavefront6targetE1EEEvS12_.kd
    .uniform_work_group_size: 1
    .uses_dynamic_stack: false
    .vgpr_count:     0
    .vgpr_spill_count: 0
    .wavefront_size: 64
  - .agpr_count:     0
    .args:
      - .offset:         0
        .size:           184
        .value_kind:     by_value
    .group_segment_fixed_size: 0
    .kernarg_segment_align: 8
    .kernarg_segment_size: 184
    .language:       OpenCL C
    .language_version:
      - 2
      - 0
    .max_flat_workgroup_size: 256
    .name:           _ZN7rocprim17ROCPRIM_400000_NS6detail17trampoline_kernelINS0_13select_configILj256ELj13ELNS0_17block_load_methodE3ELS4_3ELS4_3ELNS0_20block_scan_algorithmE0ELj4294967295EEENS1_25partition_config_selectorILNS1_17partition_subalgoE4EjNS0_10empty_typeEbEEZZNS1_14partition_implILS8_4ELb0ES6_15HIP_vector_typeIjLj2EENS0_17counting_iteratorIjlEEPS9_SG_NS0_5tupleIJPjSI_NS0_16reverse_iteratorISI_EEEEENSH_IJSG_SG_SG_EEES9_SI_JZNS1_25segmented_radix_sort_implINS0_14default_configELb1EPKaPaPKlPlN2at6native12_GLOBAL__N_18offset_tEEE10hipError_tPvRmT1_PNSt15iterator_traitsIS12_E10value_typeET2_T3_PNS13_IS18_E10value_typeET4_jRbjT5_S1E_jjP12ihipStream_tbEUljE_ZNSN_ISO_Lb1ESQ_SR_ST_SU_SY_EESZ_S10_S11_S12_S16_S17_S18_S1B_S1C_jS1D_jS1E_S1E_jjS1G_bEUljE0_EEESZ_S10_S11_S18_S1C_S1E_T6_T7_T9_mT8_S1G_bDpT10_ENKUlT_T0_E_clISt17integral_constantIbLb1EES1U_EEDaS1P_S1Q_EUlS1P_E_NS1_11comp_targetILNS1_3genE0ELNS1_11target_archE4294967295ELNS1_3gpuE0ELNS1_3repE0EEENS1_30default_config_static_selectorELNS0_4arch9wavefront6targetE1EEEvS12_
    .private_segment_fixed_size: 0
    .sgpr_count:     4
    .sgpr_spill_count: 0
    .symbol:         _ZN7rocprim17ROCPRIM_400000_NS6detail17trampoline_kernelINS0_13select_configILj256ELj13ELNS0_17block_load_methodE3ELS4_3ELS4_3ELNS0_20block_scan_algorithmE0ELj4294967295EEENS1_25partition_config_selectorILNS1_17partition_subalgoE4EjNS0_10empty_typeEbEEZZNS1_14partition_implILS8_4ELb0ES6_15HIP_vector_typeIjLj2EENS0_17counting_iteratorIjlEEPS9_SG_NS0_5tupleIJPjSI_NS0_16reverse_iteratorISI_EEEEENSH_IJSG_SG_SG_EEES9_SI_JZNS1_25segmented_radix_sort_implINS0_14default_configELb1EPKaPaPKlPlN2at6native12_GLOBAL__N_18offset_tEEE10hipError_tPvRmT1_PNSt15iterator_traitsIS12_E10value_typeET2_T3_PNS13_IS18_E10value_typeET4_jRbjT5_S1E_jjP12ihipStream_tbEUljE_ZNSN_ISO_Lb1ESQ_SR_ST_SU_SY_EESZ_S10_S11_S12_S16_S17_S18_S1B_S1C_jS1D_jS1E_S1E_jjS1G_bEUljE0_EEESZ_S10_S11_S18_S1C_S1E_T6_T7_T9_mT8_S1G_bDpT10_ENKUlT_T0_E_clISt17integral_constantIbLb1EES1U_EEDaS1P_S1Q_EUlS1P_E_NS1_11comp_targetILNS1_3genE0ELNS1_11target_archE4294967295ELNS1_3gpuE0ELNS1_3repE0EEENS1_30default_config_static_selectorELNS0_4arch9wavefront6targetE1EEEvS12_.kd
    .uniform_work_group_size: 1
    .uses_dynamic_stack: false
    .vgpr_count:     0
    .vgpr_spill_count: 0
    .wavefront_size: 64
  - .agpr_count:     0
    .args:
      - .offset:         0
        .size:           184
        .value_kind:     by_value
    .group_segment_fixed_size: 0
    .kernarg_segment_align: 8
    .kernarg_segment_size: 184
    .language:       OpenCL C
    .language_version:
      - 2
      - 0
    .max_flat_workgroup_size: 256
    .name:           _ZN7rocprim17ROCPRIM_400000_NS6detail17trampoline_kernelINS0_13select_configILj256ELj13ELNS0_17block_load_methodE3ELS4_3ELS4_3ELNS0_20block_scan_algorithmE0ELj4294967295EEENS1_25partition_config_selectorILNS1_17partition_subalgoE4EjNS0_10empty_typeEbEEZZNS1_14partition_implILS8_4ELb0ES6_15HIP_vector_typeIjLj2EENS0_17counting_iteratorIjlEEPS9_SG_NS0_5tupleIJPjSI_NS0_16reverse_iteratorISI_EEEEENSH_IJSG_SG_SG_EEES9_SI_JZNS1_25segmented_radix_sort_implINS0_14default_configELb1EPKaPaPKlPlN2at6native12_GLOBAL__N_18offset_tEEE10hipError_tPvRmT1_PNSt15iterator_traitsIS12_E10value_typeET2_T3_PNS13_IS18_E10value_typeET4_jRbjT5_S1E_jjP12ihipStream_tbEUljE_ZNSN_ISO_Lb1ESQ_SR_ST_SU_SY_EESZ_S10_S11_S12_S16_S17_S18_S1B_S1C_jS1D_jS1E_S1E_jjS1G_bEUljE0_EEESZ_S10_S11_S18_S1C_S1E_T6_T7_T9_mT8_S1G_bDpT10_ENKUlT_T0_E_clISt17integral_constantIbLb1EES1U_EEDaS1P_S1Q_EUlS1P_E_NS1_11comp_targetILNS1_3genE5ELNS1_11target_archE942ELNS1_3gpuE9ELNS1_3repE0EEENS1_30default_config_static_selectorELNS0_4arch9wavefront6targetE1EEEvS12_
    .private_segment_fixed_size: 0
    .sgpr_count:     4
    .sgpr_spill_count: 0
    .symbol:         _ZN7rocprim17ROCPRIM_400000_NS6detail17trampoline_kernelINS0_13select_configILj256ELj13ELNS0_17block_load_methodE3ELS4_3ELS4_3ELNS0_20block_scan_algorithmE0ELj4294967295EEENS1_25partition_config_selectorILNS1_17partition_subalgoE4EjNS0_10empty_typeEbEEZZNS1_14partition_implILS8_4ELb0ES6_15HIP_vector_typeIjLj2EENS0_17counting_iteratorIjlEEPS9_SG_NS0_5tupleIJPjSI_NS0_16reverse_iteratorISI_EEEEENSH_IJSG_SG_SG_EEES9_SI_JZNS1_25segmented_radix_sort_implINS0_14default_configELb1EPKaPaPKlPlN2at6native12_GLOBAL__N_18offset_tEEE10hipError_tPvRmT1_PNSt15iterator_traitsIS12_E10value_typeET2_T3_PNS13_IS18_E10value_typeET4_jRbjT5_S1E_jjP12ihipStream_tbEUljE_ZNSN_ISO_Lb1ESQ_SR_ST_SU_SY_EESZ_S10_S11_S12_S16_S17_S18_S1B_S1C_jS1D_jS1E_S1E_jjS1G_bEUljE0_EEESZ_S10_S11_S18_S1C_S1E_T6_T7_T9_mT8_S1G_bDpT10_ENKUlT_T0_E_clISt17integral_constantIbLb1EES1U_EEDaS1P_S1Q_EUlS1P_E_NS1_11comp_targetILNS1_3genE5ELNS1_11target_archE942ELNS1_3gpuE9ELNS1_3repE0EEENS1_30default_config_static_selectorELNS0_4arch9wavefront6targetE1EEEvS12_.kd
    .uniform_work_group_size: 1
    .uses_dynamic_stack: false
    .vgpr_count:     0
    .vgpr_spill_count: 0
    .wavefront_size: 64
  - .agpr_count:     0
    .args:
      - .offset:         0
        .size:           184
        .value_kind:     by_value
    .group_segment_fixed_size: 13340
    .kernarg_segment_align: 8
    .kernarg_segment_size: 184
    .language:       OpenCL C
    .language_version:
      - 2
      - 0
    .max_flat_workgroup_size: 256
    .name:           _ZN7rocprim17ROCPRIM_400000_NS6detail17trampoline_kernelINS0_13select_configILj256ELj13ELNS0_17block_load_methodE3ELS4_3ELS4_3ELNS0_20block_scan_algorithmE0ELj4294967295EEENS1_25partition_config_selectorILNS1_17partition_subalgoE4EjNS0_10empty_typeEbEEZZNS1_14partition_implILS8_4ELb0ES6_15HIP_vector_typeIjLj2EENS0_17counting_iteratorIjlEEPS9_SG_NS0_5tupleIJPjSI_NS0_16reverse_iteratorISI_EEEEENSH_IJSG_SG_SG_EEES9_SI_JZNS1_25segmented_radix_sort_implINS0_14default_configELb1EPKaPaPKlPlN2at6native12_GLOBAL__N_18offset_tEEE10hipError_tPvRmT1_PNSt15iterator_traitsIS12_E10value_typeET2_T3_PNS13_IS18_E10value_typeET4_jRbjT5_S1E_jjP12ihipStream_tbEUljE_ZNSN_ISO_Lb1ESQ_SR_ST_SU_SY_EESZ_S10_S11_S12_S16_S17_S18_S1B_S1C_jS1D_jS1E_S1E_jjS1G_bEUljE0_EEESZ_S10_S11_S18_S1C_S1E_T6_T7_T9_mT8_S1G_bDpT10_ENKUlT_T0_E_clISt17integral_constantIbLb1EES1U_EEDaS1P_S1Q_EUlS1P_E_NS1_11comp_targetILNS1_3genE4ELNS1_11target_archE910ELNS1_3gpuE8ELNS1_3repE0EEENS1_30default_config_static_selectorELNS0_4arch9wavefront6targetE1EEEvS12_
    .private_segment_fixed_size: 0
    .sgpr_count:     91
    .sgpr_spill_count: 0
    .symbol:         _ZN7rocprim17ROCPRIM_400000_NS6detail17trampoline_kernelINS0_13select_configILj256ELj13ELNS0_17block_load_methodE3ELS4_3ELS4_3ELNS0_20block_scan_algorithmE0ELj4294967295EEENS1_25partition_config_selectorILNS1_17partition_subalgoE4EjNS0_10empty_typeEbEEZZNS1_14partition_implILS8_4ELb0ES6_15HIP_vector_typeIjLj2EENS0_17counting_iteratorIjlEEPS9_SG_NS0_5tupleIJPjSI_NS0_16reverse_iteratorISI_EEEEENSH_IJSG_SG_SG_EEES9_SI_JZNS1_25segmented_radix_sort_implINS0_14default_configELb1EPKaPaPKlPlN2at6native12_GLOBAL__N_18offset_tEEE10hipError_tPvRmT1_PNSt15iterator_traitsIS12_E10value_typeET2_T3_PNS13_IS18_E10value_typeET4_jRbjT5_S1E_jjP12ihipStream_tbEUljE_ZNSN_ISO_Lb1ESQ_SR_ST_SU_SY_EESZ_S10_S11_S12_S16_S17_S18_S1B_S1C_jS1D_jS1E_S1E_jjS1G_bEUljE0_EEESZ_S10_S11_S18_S1C_S1E_T6_T7_T9_mT8_S1G_bDpT10_ENKUlT_T0_E_clISt17integral_constantIbLb1EES1U_EEDaS1P_S1Q_EUlS1P_E_NS1_11comp_targetILNS1_3genE4ELNS1_11target_archE910ELNS1_3gpuE8ELNS1_3repE0EEENS1_30default_config_static_selectorELNS0_4arch9wavefront6targetE1EEEvS12_.kd
    .uniform_work_group_size: 1
    .uses_dynamic_stack: false
    .vgpr_count:     107
    .vgpr_spill_count: 0
    .wavefront_size: 64
  - .agpr_count:     0
    .args:
      - .offset:         0
        .size:           184
        .value_kind:     by_value
    .group_segment_fixed_size: 0
    .kernarg_segment_align: 8
    .kernarg_segment_size: 184
    .language:       OpenCL C
    .language_version:
      - 2
      - 0
    .max_flat_workgroup_size: 256
    .name:           _ZN7rocprim17ROCPRIM_400000_NS6detail17trampoline_kernelINS0_13select_configILj256ELj13ELNS0_17block_load_methodE3ELS4_3ELS4_3ELNS0_20block_scan_algorithmE0ELj4294967295EEENS1_25partition_config_selectorILNS1_17partition_subalgoE4EjNS0_10empty_typeEbEEZZNS1_14partition_implILS8_4ELb0ES6_15HIP_vector_typeIjLj2EENS0_17counting_iteratorIjlEEPS9_SG_NS0_5tupleIJPjSI_NS0_16reverse_iteratorISI_EEEEENSH_IJSG_SG_SG_EEES9_SI_JZNS1_25segmented_radix_sort_implINS0_14default_configELb1EPKaPaPKlPlN2at6native12_GLOBAL__N_18offset_tEEE10hipError_tPvRmT1_PNSt15iterator_traitsIS12_E10value_typeET2_T3_PNS13_IS18_E10value_typeET4_jRbjT5_S1E_jjP12ihipStream_tbEUljE_ZNSN_ISO_Lb1ESQ_SR_ST_SU_SY_EESZ_S10_S11_S12_S16_S17_S18_S1B_S1C_jS1D_jS1E_S1E_jjS1G_bEUljE0_EEESZ_S10_S11_S18_S1C_S1E_T6_T7_T9_mT8_S1G_bDpT10_ENKUlT_T0_E_clISt17integral_constantIbLb1EES1U_EEDaS1P_S1Q_EUlS1P_E_NS1_11comp_targetILNS1_3genE3ELNS1_11target_archE908ELNS1_3gpuE7ELNS1_3repE0EEENS1_30default_config_static_selectorELNS0_4arch9wavefront6targetE1EEEvS12_
    .private_segment_fixed_size: 0
    .sgpr_count:     4
    .sgpr_spill_count: 0
    .symbol:         _ZN7rocprim17ROCPRIM_400000_NS6detail17trampoline_kernelINS0_13select_configILj256ELj13ELNS0_17block_load_methodE3ELS4_3ELS4_3ELNS0_20block_scan_algorithmE0ELj4294967295EEENS1_25partition_config_selectorILNS1_17partition_subalgoE4EjNS0_10empty_typeEbEEZZNS1_14partition_implILS8_4ELb0ES6_15HIP_vector_typeIjLj2EENS0_17counting_iteratorIjlEEPS9_SG_NS0_5tupleIJPjSI_NS0_16reverse_iteratorISI_EEEEENSH_IJSG_SG_SG_EEES9_SI_JZNS1_25segmented_radix_sort_implINS0_14default_configELb1EPKaPaPKlPlN2at6native12_GLOBAL__N_18offset_tEEE10hipError_tPvRmT1_PNSt15iterator_traitsIS12_E10value_typeET2_T3_PNS13_IS18_E10value_typeET4_jRbjT5_S1E_jjP12ihipStream_tbEUljE_ZNSN_ISO_Lb1ESQ_SR_ST_SU_SY_EESZ_S10_S11_S12_S16_S17_S18_S1B_S1C_jS1D_jS1E_S1E_jjS1G_bEUljE0_EEESZ_S10_S11_S18_S1C_S1E_T6_T7_T9_mT8_S1G_bDpT10_ENKUlT_T0_E_clISt17integral_constantIbLb1EES1U_EEDaS1P_S1Q_EUlS1P_E_NS1_11comp_targetILNS1_3genE3ELNS1_11target_archE908ELNS1_3gpuE7ELNS1_3repE0EEENS1_30default_config_static_selectorELNS0_4arch9wavefront6targetE1EEEvS12_.kd
    .uniform_work_group_size: 1
    .uses_dynamic_stack: false
    .vgpr_count:     0
    .vgpr_spill_count: 0
    .wavefront_size: 64
  - .agpr_count:     0
    .args:
      - .offset:         0
        .size:           184
        .value_kind:     by_value
    .group_segment_fixed_size: 0
    .kernarg_segment_align: 8
    .kernarg_segment_size: 184
    .language:       OpenCL C
    .language_version:
      - 2
      - 0
    .max_flat_workgroup_size: 256
    .name:           _ZN7rocprim17ROCPRIM_400000_NS6detail17trampoline_kernelINS0_13select_configILj256ELj13ELNS0_17block_load_methodE3ELS4_3ELS4_3ELNS0_20block_scan_algorithmE0ELj4294967295EEENS1_25partition_config_selectorILNS1_17partition_subalgoE4EjNS0_10empty_typeEbEEZZNS1_14partition_implILS8_4ELb0ES6_15HIP_vector_typeIjLj2EENS0_17counting_iteratorIjlEEPS9_SG_NS0_5tupleIJPjSI_NS0_16reverse_iteratorISI_EEEEENSH_IJSG_SG_SG_EEES9_SI_JZNS1_25segmented_radix_sort_implINS0_14default_configELb1EPKaPaPKlPlN2at6native12_GLOBAL__N_18offset_tEEE10hipError_tPvRmT1_PNSt15iterator_traitsIS12_E10value_typeET2_T3_PNS13_IS18_E10value_typeET4_jRbjT5_S1E_jjP12ihipStream_tbEUljE_ZNSN_ISO_Lb1ESQ_SR_ST_SU_SY_EESZ_S10_S11_S12_S16_S17_S18_S1B_S1C_jS1D_jS1E_S1E_jjS1G_bEUljE0_EEESZ_S10_S11_S18_S1C_S1E_T6_T7_T9_mT8_S1G_bDpT10_ENKUlT_T0_E_clISt17integral_constantIbLb1EES1U_EEDaS1P_S1Q_EUlS1P_E_NS1_11comp_targetILNS1_3genE2ELNS1_11target_archE906ELNS1_3gpuE6ELNS1_3repE0EEENS1_30default_config_static_selectorELNS0_4arch9wavefront6targetE1EEEvS12_
    .private_segment_fixed_size: 0
    .sgpr_count:     4
    .sgpr_spill_count: 0
    .symbol:         _ZN7rocprim17ROCPRIM_400000_NS6detail17trampoline_kernelINS0_13select_configILj256ELj13ELNS0_17block_load_methodE3ELS4_3ELS4_3ELNS0_20block_scan_algorithmE0ELj4294967295EEENS1_25partition_config_selectorILNS1_17partition_subalgoE4EjNS0_10empty_typeEbEEZZNS1_14partition_implILS8_4ELb0ES6_15HIP_vector_typeIjLj2EENS0_17counting_iteratorIjlEEPS9_SG_NS0_5tupleIJPjSI_NS0_16reverse_iteratorISI_EEEEENSH_IJSG_SG_SG_EEES9_SI_JZNS1_25segmented_radix_sort_implINS0_14default_configELb1EPKaPaPKlPlN2at6native12_GLOBAL__N_18offset_tEEE10hipError_tPvRmT1_PNSt15iterator_traitsIS12_E10value_typeET2_T3_PNS13_IS18_E10value_typeET4_jRbjT5_S1E_jjP12ihipStream_tbEUljE_ZNSN_ISO_Lb1ESQ_SR_ST_SU_SY_EESZ_S10_S11_S12_S16_S17_S18_S1B_S1C_jS1D_jS1E_S1E_jjS1G_bEUljE0_EEESZ_S10_S11_S18_S1C_S1E_T6_T7_T9_mT8_S1G_bDpT10_ENKUlT_T0_E_clISt17integral_constantIbLb1EES1U_EEDaS1P_S1Q_EUlS1P_E_NS1_11comp_targetILNS1_3genE2ELNS1_11target_archE906ELNS1_3gpuE6ELNS1_3repE0EEENS1_30default_config_static_selectorELNS0_4arch9wavefront6targetE1EEEvS12_.kd
    .uniform_work_group_size: 1
    .uses_dynamic_stack: false
    .vgpr_count:     0
    .vgpr_spill_count: 0
    .wavefront_size: 64
  - .agpr_count:     0
    .args:
      - .offset:         0
        .size:           184
        .value_kind:     by_value
    .group_segment_fixed_size: 0
    .kernarg_segment_align: 8
    .kernarg_segment_size: 184
    .language:       OpenCL C
    .language_version:
      - 2
      - 0
    .max_flat_workgroup_size: 256
    .name:           _ZN7rocprim17ROCPRIM_400000_NS6detail17trampoline_kernelINS0_13select_configILj256ELj13ELNS0_17block_load_methodE3ELS4_3ELS4_3ELNS0_20block_scan_algorithmE0ELj4294967295EEENS1_25partition_config_selectorILNS1_17partition_subalgoE4EjNS0_10empty_typeEbEEZZNS1_14partition_implILS8_4ELb0ES6_15HIP_vector_typeIjLj2EENS0_17counting_iteratorIjlEEPS9_SG_NS0_5tupleIJPjSI_NS0_16reverse_iteratorISI_EEEEENSH_IJSG_SG_SG_EEES9_SI_JZNS1_25segmented_radix_sort_implINS0_14default_configELb1EPKaPaPKlPlN2at6native12_GLOBAL__N_18offset_tEEE10hipError_tPvRmT1_PNSt15iterator_traitsIS12_E10value_typeET2_T3_PNS13_IS18_E10value_typeET4_jRbjT5_S1E_jjP12ihipStream_tbEUljE_ZNSN_ISO_Lb1ESQ_SR_ST_SU_SY_EESZ_S10_S11_S12_S16_S17_S18_S1B_S1C_jS1D_jS1E_S1E_jjS1G_bEUljE0_EEESZ_S10_S11_S18_S1C_S1E_T6_T7_T9_mT8_S1G_bDpT10_ENKUlT_T0_E_clISt17integral_constantIbLb1EES1U_EEDaS1P_S1Q_EUlS1P_E_NS1_11comp_targetILNS1_3genE10ELNS1_11target_archE1200ELNS1_3gpuE4ELNS1_3repE0EEENS1_30default_config_static_selectorELNS0_4arch9wavefront6targetE1EEEvS12_
    .private_segment_fixed_size: 0
    .sgpr_count:     4
    .sgpr_spill_count: 0
    .symbol:         _ZN7rocprim17ROCPRIM_400000_NS6detail17trampoline_kernelINS0_13select_configILj256ELj13ELNS0_17block_load_methodE3ELS4_3ELS4_3ELNS0_20block_scan_algorithmE0ELj4294967295EEENS1_25partition_config_selectorILNS1_17partition_subalgoE4EjNS0_10empty_typeEbEEZZNS1_14partition_implILS8_4ELb0ES6_15HIP_vector_typeIjLj2EENS0_17counting_iteratorIjlEEPS9_SG_NS0_5tupleIJPjSI_NS0_16reverse_iteratorISI_EEEEENSH_IJSG_SG_SG_EEES9_SI_JZNS1_25segmented_radix_sort_implINS0_14default_configELb1EPKaPaPKlPlN2at6native12_GLOBAL__N_18offset_tEEE10hipError_tPvRmT1_PNSt15iterator_traitsIS12_E10value_typeET2_T3_PNS13_IS18_E10value_typeET4_jRbjT5_S1E_jjP12ihipStream_tbEUljE_ZNSN_ISO_Lb1ESQ_SR_ST_SU_SY_EESZ_S10_S11_S12_S16_S17_S18_S1B_S1C_jS1D_jS1E_S1E_jjS1G_bEUljE0_EEESZ_S10_S11_S18_S1C_S1E_T6_T7_T9_mT8_S1G_bDpT10_ENKUlT_T0_E_clISt17integral_constantIbLb1EES1U_EEDaS1P_S1Q_EUlS1P_E_NS1_11comp_targetILNS1_3genE10ELNS1_11target_archE1200ELNS1_3gpuE4ELNS1_3repE0EEENS1_30default_config_static_selectorELNS0_4arch9wavefront6targetE1EEEvS12_.kd
    .uniform_work_group_size: 1
    .uses_dynamic_stack: false
    .vgpr_count:     0
    .vgpr_spill_count: 0
    .wavefront_size: 64
  - .agpr_count:     0
    .args:
      - .offset:         0
        .size:           184
        .value_kind:     by_value
    .group_segment_fixed_size: 0
    .kernarg_segment_align: 8
    .kernarg_segment_size: 184
    .language:       OpenCL C
    .language_version:
      - 2
      - 0
    .max_flat_workgroup_size: 256
    .name:           _ZN7rocprim17ROCPRIM_400000_NS6detail17trampoline_kernelINS0_13select_configILj256ELj13ELNS0_17block_load_methodE3ELS4_3ELS4_3ELNS0_20block_scan_algorithmE0ELj4294967295EEENS1_25partition_config_selectorILNS1_17partition_subalgoE4EjNS0_10empty_typeEbEEZZNS1_14partition_implILS8_4ELb0ES6_15HIP_vector_typeIjLj2EENS0_17counting_iteratorIjlEEPS9_SG_NS0_5tupleIJPjSI_NS0_16reverse_iteratorISI_EEEEENSH_IJSG_SG_SG_EEES9_SI_JZNS1_25segmented_radix_sort_implINS0_14default_configELb1EPKaPaPKlPlN2at6native12_GLOBAL__N_18offset_tEEE10hipError_tPvRmT1_PNSt15iterator_traitsIS12_E10value_typeET2_T3_PNS13_IS18_E10value_typeET4_jRbjT5_S1E_jjP12ihipStream_tbEUljE_ZNSN_ISO_Lb1ESQ_SR_ST_SU_SY_EESZ_S10_S11_S12_S16_S17_S18_S1B_S1C_jS1D_jS1E_S1E_jjS1G_bEUljE0_EEESZ_S10_S11_S18_S1C_S1E_T6_T7_T9_mT8_S1G_bDpT10_ENKUlT_T0_E_clISt17integral_constantIbLb1EES1U_EEDaS1P_S1Q_EUlS1P_E_NS1_11comp_targetILNS1_3genE9ELNS1_11target_archE1100ELNS1_3gpuE3ELNS1_3repE0EEENS1_30default_config_static_selectorELNS0_4arch9wavefront6targetE1EEEvS12_
    .private_segment_fixed_size: 0
    .sgpr_count:     4
    .sgpr_spill_count: 0
    .symbol:         _ZN7rocprim17ROCPRIM_400000_NS6detail17trampoline_kernelINS0_13select_configILj256ELj13ELNS0_17block_load_methodE3ELS4_3ELS4_3ELNS0_20block_scan_algorithmE0ELj4294967295EEENS1_25partition_config_selectorILNS1_17partition_subalgoE4EjNS0_10empty_typeEbEEZZNS1_14partition_implILS8_4ELb0ES6_15HIP_vector_typeIjLj2EENS0_17counting_iteratorIjlEEPS9_SG_NS0_5tupleIJPjSI_NS0_16reverse_iteratorISI_EEEEENSH_IJSG_SG_SG_EEES9_SI_JZNS1_25segmented_radix_sort_implINS0_14default_configELb1EPKaPaPKlPlN2at6native12_GLOBAL__N_18offset_tEEE10hipError_tPvRmT1_PNSt15iterator_traitsIS12_E10value_typeET2_T3_PNS13_IS18_E10value_typeET4_jRbjT5_S1E_jjP12ihipStream_tbEUljE_ZNSN_ISO_Lb1ESQ_SR_ST_SU_SY_EESZ_S10_S11_S12_S16_S17_S18_S1B_S1C_jS1D_jS1E_S1E_jjS1G_bEUljE0_EEESZ_S10_S11_S18_S1C_S1E_T6_T7_T9_mT8_S1G_bDpT10_ENKUlT_T0_E_clISt17integral_constantIbLb1EES1U_EEDaS1P_S1Q_EUlS1P_E_NS1_11comp_targetILNS1_3genE9ELNS1_11target_archE1100ELNS1_3gpuE3ELNS1_3repE0EEENS1_30default_config_static_selectorELNS0_4arch9wavefront6targetE1EEEvS12_.kd
    .uniform_work_group_size: 1
    .uses_dynamic_stack: false
    .vgpr_count:     0
    .vgpr_spill_count: 0
    .wavefront_size: 64
  - .agpr_count:     0
    .args:
      - .offset:         0
        .size:           184
        .value_kind:     by_value
    .group_segment_fixed_size: 0
    .kernarg_segment_align: 8
    .kernarg_segment_size: 184
    .language:       OpenCL C
    .language_version:
      - 2
      - 0
    .max_flat_workgroup_size: 256
    .name:           _ZN7rocprim17ROCPRIM_400000_NS6detail17trampoline_kernelINS0_13select_configILj256ELj13ELNS0_17block_load_methodE3ELS4_3ELS4_3ELNS0_20block_scan_algorithmE0ELj4294967295EEENS1_25partition_config_selectorILNS1_17partition_subalgoE4EjNS0_10empty_typeEbEEZZNS1_14partition_implILS8_4ELb0ES6_15HIP_vector_typeIjLj2EENS0_17counting_iteratorIjlEEPS9_SG_NS0_5tupleIJPjSI_NS0_16reverse_iteratorISI_EEEEENSH_IJSG_SG_SG_EEES9_SI_JZNS1_25segmented_radix_sort_implINS0_14default_configELb1EPKaPaPKlPlN2at6native12_GLOBAL__N_18offset_tEEE10hipError_tPvRmT1_PNSt15iterator_traitsIS12_E10value_typeET2_T3_PNS13_IS18_E10value_typeET4_jRbjT5_S1E_jjP12ihipStream_tbEUljE_ZNSN_ISO_Lb1ESQ_SR_ST_SU_SY_EESZ_S10_S11_S12_S16_S17_S18_S1B_S1C_jS1D_jS1E_S1E_jjS1G_bEUljE0_EEESZ_S10_S11_S18_S1C_S1E_T6_T7_T9_mT8_S1G_bDpT10_ENKUlT_T0_E_clISt17integral_constantIbLb1EES1U_EEDaS1P_S1Q_EUlS1P_E_NS1_11comp_targetILNS1_3genE8ELNS1_11target_archE1030ELNS1_3gpuE2ELNS1_3repE0EEENS1_30default_config_static_selectorELNS0_4arch9wavefront6targetE1EEEvS12_
    .private_segment_fixed_size: 0
    .sgpr_count:     4
    .sgpr_spill_count: 0
    .symbol:         _ZN7rocprim17ROCPRIM_400000_NS6detail17trampoline_kernelINS0_13select_configILj256ELj13ELNS0_17block_load_methodE3ELS4_3ELS4_3ELNS0_20block_scan_algorithmE0ELj4294967295EEENS1_25partition_config_selectorILNS1_17partition_subalgoE4EjNS0_10empty_typeEbEEZZNS1_14partition_implILS8_4ELb0ES6_15HIP_vector_typeIjLj2EENS0_17counting_iteratorIjlEEPS9_SG_NS0_5tupleIJPjSI_NS0_16reverse_iteratorISI_EEEEENSH_IJSG_SG_SG_EEES9_SI_JZNS1_25segmented_radix_sort_implINS0_14default_configELb1EPKaPaPKlPlN2at6native12_GLOBAL__N_18offset_tEEE10hipError_tPvRmT1_PNSt15iterator_traitsIS12_E10value_typeET2_T3_PNS13_IS18_E10value_typeET4_jRbjT5_S1E_jjP12ihipStream_tbEUljE_ZNSN_ISO_Lb1ESQ_SR_ST_SU_SY_EESZ_S10_S11_S12_S16_S17_S18_S1B_S1C_jS1D_jS1E_S1E_jjS1G_bEUljE0_EEESZ_S10_S11_S18_S1C_S1E_T6_T7_T9_mT8_S1G_bDpT10_ENKUlT_T0_E_clISt17integral_constantIbLb1EES1U_EEDaS1P_S1Q_EUlS1P_E_NS1_11comp_targetILNS1_3genE8ELNS1_11target_archE1030ELNS1_3gpuE2ELNS1_3repE0EEENS1_30default_config_static_selectorELNS0_4arch9wavefront6targetE1EEEvS12_.kd
    .uniform_work_group_size: 1
    .uses_dynamic_stack: false
    .vgpr_count:     0
    .vgpr_spill_count: 0
    .wavefront_size: 64
  - .agpr_count:     0
    .args:
      - .offset:         0
        .size:           176
        .value_kind:     by_value
    .group_segment_fixed_size: 0
    .kernarg_segment_align: 8
    .kernarg_segment_size: 176
    .language:       OpenCL C
    .language_version:
      - 2
      - 0
    .max_flat_workgroup_size: 256
    .name:           _ZN7rocprim17ROCPRIM_400000_NS6detail17trampoline_kernelINS0_13select_configILj256ELj13ELNS0_17block_load_methodE3ELS4_3ELS4_3ELNS0_20block_scan_algorithmE0ELj4294967295EEENS1_25partition_config_selectorILNS1_17partition_subalgoE4EjNS0_10empty_typeEbEEZZNS1_14partition_implILS8_4ELb0ES6_15HIP_vector_typeIjLj2EENS0_17counting_iteratorIjlEEPS9_SG_NS0_5tupleIJPjSI_NS0_16reverse_iteratorISI_EEEEENSH_IJSG_SG_SG_EEES9_SI_JZNS1_25segmented_radix_sort_implINS0_14default_configELb1EPKaPaPKlPlN2at6native12_GLOBAL__N_18offset_tEEE10hipError_tPvRmT1_PNSt15iterator_traitsIS12_E10value_typeET2_T3_PNS13_IS18_E10value_typeET4_jRbjT5_S1E_jjP12ihipStream_tbEUljE_ZNSN_ISO_Lb1ESQ_SR_ST_SU_SY_EESZ_S10_S11_S12_S16_S17_S18_S1B_S1C_jS1D_jS1E_S1E_jjS1G_bEUljE0_EEESZ_S10_S11_S18_S1C_S1E_T6_T7_T9_mT8_S1G_bDpT10_ENKUlT_T0_E_clISt17integral_constantIbLb1EES1T_IbLb0EEEEDaS1P_S1Q_EUlS1P_E_NS1_11comp_targetILNS1_3genE0ELNS1_11target_archE4294967295ELNS1_3gpuE0ELNS1_3repE0EEENS1_30default_config_static_selectorELNS0_4arch9wavefront6targetE1EEEvS12_
    .private_segment_fixed_size: 0
    .sgpr_count:     4
    .sgpr_spill_count: 0
    .symbol:         _ZN7rocprim17ROCPRIM_400000_NS6detail17trampoline_kernelINS0_13select_configILj256ELj13ELNS0_17block_load_methodE3ELS4_3ELS4_3ELNS0_20block_scan_algorithmE0ELj4294967295EEENS1_25partition_config_selectorILNS1_17partition_subalgoE4EjNS0_10empty_typeEbEEZZNS1_14partition_implILS8_4ELb0ES6_15HIP_vector_typeIjLj2EENS0_17counting_iteratorIjlEEPS9_SG_NS0_5tupleIJPjSI_NS0_16reverse_iteratorISI_EEEEENSH_IJSG_SG_SG_EEES9_SI_JZNS1_25segmented_radix_sort_implINS0_14default_configELb1EPKaPaPKlPlN2at6native12_GLOBAL__N_18offset_tEEE10hipError_tPvRmT1_PNSt15iterator_traitsIS12_E10value_typeET2_T3_PNS13_IS18_E10value_typeET4_jRbjT5_S1E_jjP12ihipStream_tbEUljE_ZNSN_ISO_Lb1ESQ_SR_ST_SU_SY_EESZ_S10_S11_S12_S16_S17_S18_S1B_S1C_jS1D_jS1E_S1E_jjS1G_bEUljE0_EEESZ_S10_S11_S18_S1C_S1E_T6_T7_T9_mT8_S1G_bDpT10_ENKUlT_T0_E_clISt17integral_constantIbLb1EES1T_IbLb0EEEEDaS1P_S1Q_EUlS1P_E_NS1_11comp_targetILNS1_3genE0ELNS1_11target_archE4294967295ELNS1_3gpuE0ELNS1_3repE0EEENS1_30default_config_static_selectorELNS0_4arch9wavefront6targetE1EEEvS12_.kd
    .uniform_work_group_size: 1
    .uses_dynamic_stack: false
    .vgpr_count:     0
    .vgpr_spill_count: 0
    .wavefront_size: 64
  - .agpr_count:     0
    .args:
      - .offset:         0
        .size:           176
        .value_kind:     by_value
    .group_segment_fixed_size: 0
    .kernarg_segment_align: 8
    .kernarg_segment_size: 176
    .language:       OpenCL C
    .language_version:
      - 2
      - 0
    .max_flat_workgroup_size: 256
    .name:           _ZN7rocprim17ROCPRIM_400000_NS6detail17trampoline_kernelINS0_13select_configILj256ELj13ELNS0_17block_load_methodE3ELS4_3ELS4_3ELNS0_20block_scan_algorithmE0ELj4294967295EEENS1_25partition_config_selectorILNS1_17partition_subalgoE4EjNS0_10empty_typeEbEEZZNS1_14partition_implILS8_4ELb0ES6_15HIP_vector_typeIjLj2EENS0_17counting_iteratorIjlEEPS9_SG_NS0_5tupleIJPjSI_NS0_16reverse_iteratorISI_EEEEENSH_IJSG_SG_SG_EEES9_SI_JZNS1_25segmented_radix_sort_implINS0_14default_configELb1EPKaPaPKlPlN2at6native12_GLOBAL__N_18offset_tEEE10hipError_tPvRmT1_PNSt15iterator_traitsIS12_E10value_typeET2_T3_PNS13_IS18_E10value_typeET4_jRbjT5_S1E_jjP12ihipStream_tbEUljE_ZNSN_ISO_Lb1ESQ_SR_ST_SU_SY_EESZ_S10_S11_S12_S16_S17_S18_S1B_S1C_jS1D_jS1E_S1E_jjS1G_bEUljE0_EEESZ_S10_S11_S18_S1C_S1E_T6_T7_T9_mT8_S1G_bDpT10_ENKUlT_T0_E_clISt17integral_constantIbLb1EES1T_IbLb0EEEEDaS1P_S1Q_EUlS1P_E_NS1_11comp_targetILNS1_3genE5ELNS1_11target_archE942ELNS1_3gpuE9ELNS1_3repE0EEENS1_30default_config_static_selectorELNS0_4arch9wavefront6targetE1EEEvS12_
    .private_segment_fixed_size: 0
    .sgpr_count:     4
    .sgpr_spill_count: 0
    .symbol:         _ZN7rocprim17ROCPRIM_400000_NS6detail17trampoline_kernelINS0_13select_configILj256ELj13ELNS0_17block_load_methodE3ELS4_3ELS4_3ELNS0_20block_scan_algorithmE0ELj4294967295EEENS1_25partition_config_selectorILNS1_17partition_subalgoE4EjNS0_10empty_typeEbEEZZNS1_14partition_implILS8_4ELb0ES6_15HIP_vector_typeIjLj2EENS0_17counting_iteratorIjlEEPS9_SG_NS0_5tupleIJPjSI_NS0_16reverse_iteratorISI_EEEEENSH_IJSG_SG_SG_EEES9_SI_JZNS1_25segmented_radix_sort_implINS0_14default_configELb1EPKaPaPKlPlN2at6native12_GLOBAL__N_18offset_tEEE10hipError_tPvRmT1_PNSt15iterator_traitsIS12_E10value_typeET2_T3_PNS13_IS18_E10value_typeET4_jRbjT5_S1E_jjP12ihipStream_tbEUljE_ZNSN_ISO_Lb1ESQ_SR_ST_SU_SY_EESZ_S10_S11_S12_S16_S17_S18_S1B_S1C_jS1D_jS1E_S1E_jjS1G_bEUljE0_EEESZ_S10_S11_S18_S1C_S1E_T6_T7_T9_mT8_S1G_bDpT10_ENKUlT_T0_E_clISt17integral_constantIbLb1EES1T_IbLb0EEEEDaS1P_S1Q_EUlS1P_E_NS1_11comp_targetILNS1_3genE5ELNS1_11target_archE942ELNS1_3gpuE9ELNS1_3repE0EEENS1_30default_config_static_selectorELNS0_4arch9wavefront6targetE1EEEvS12_.kd
    .uniform_work_group_size: 1
    .uses_dynamic_stack: false
    .vgpr_count:     0
    .vgpr_spill_count: 0
    .wavefront_size: 64
  - .agpr_count:     0
    .args:
      - .offset:         0
        .size:           176
        .value_kind:     by_value
    .group_segment_fixed_size: 13340
    .kernarg_segment_align: 8
    .kernarg_segment_size: 176
    .language:       OpenCL C
    .language_version:
      - 2
      - 0
    .max_flat_workgroup_size: 256
    .name:           _ZN7rocprim17ROCPRIM_400000_NS6detail17trampoline_kernelINS0_13select_configILj256ELj13ELNS0_17block_load_methodE3ELS4_3ELS4_3ELNS0_20block_scan_algorithmE0ELj4294967295EEENS1_25partition_config_selectorILNS1_17partition_subalgoE4EjNS0_10empty_typeEbEEZZNS1_14partition_implILS8_4ELb0ES6_15HIP_vector_typeIjLj2EENS0_17counting_iteratorIjlEEPS9_SG_NS0_5tupleIJPjSI_NS0_16reverse_iteratorISI_EEEEENSH_IJSG_SG_SG_EEES9_SI_JZNS1_25segmented_radix_sort_implINS0_14default_configELb1EPKaPaPKlPlN2at6native12_GLOBAL__N_18offset_tEEE10hipError_tPvRmT1_PNSt15iterator_traitsIS12_E10value_typeET2_T3_PNS13_IS18_E10value_typeET4_jRbjT5_S1E_jjP12ihipStream_tbEUljE_ZNSN_ISO_Lb1ESQ_SR_ST_SU_SY_EESZ_S10_S11_S12_S16_S17_S18_S1B_S1C_jS1D_jS1E_S1E_jjS1G_bEUljE0_EEESZ_S10_S11_S18_S1C_S1E_T6_T7_T9_mT8_S1G_bDpT10_ENKUlT_T0_E_clISt17integral_constantIbLb1EES1T_IbLb0EEEEDaS1P_S1Q_EUlS1P_E_NS1_11comp_targetILNS1_3genE4ELNS1_11target_archE910ELNS1_3gpuE8ELNS1_3repE0EEENS1_30default_config_static_selectorELNS0_4arch9wavefront6targetE1EEEvS12_
    .private_segment_fixed_size: 0
    .sgpr_count:     94
    .sgpr_spill_count: 0
    .symbol:         _ZN7rocprim17ROCPRIM_400000_NS6detail17trampoline_kernelINS0_13select_configILj256ELj13ELNS0_17block_load_methodE3ELS4_3ELS4_3ELNS0_20block_scan_algorithmE0ELj4294967295EEENS1_25partition_config_selectorILNS1_17partition_subalgoE4EjNS0_10empty_typeEbEEZZNS1_14partition_implILS8_4ELb0ES6_15HIP_vector_typeIjLj2EENS0_17counting_iteratorIjlEEPS9_SG_NS0_5tupleIJPjSI_NS0_16reverse_iteratorISI_EEEEENSH_IJSG_SG_SG_EEES9_SI_JZNS1_25segmented_radix_sort_implINS0_14default_configELb1EPKaPaPKlPlN2at6native12_GLOBAL__N_18offset_tEEE10hipError_tPvRmT1_PNSt15iterator_traitsIS12_E10value_typeET2_T3_PNS13_IS18_E10value_typeET4_jRbjT5_S1E_jjP12ihipStream_tbEUljE_ZNSN_ISO_Lb1ESQ_SR_ST_SU_SY_EESZ_S10_S11_S12_S16_S17_S18_S1B_S1C_jS1D_jS1E_S1E_jjS1G_bEUljE0_EEESZ_S10_S11_S18_S1C_S1E_T6_T7_T9_mT8_S1G_bDpT10_ENKUlT_T0_E_clISt17integral_constantIbLb1EES1T_IbLb0EEEEDaS1P_S1Q_EUlS1P_E_NS1_11comp_targetILNS1_3genE4ELNS1_11target_archE910ELNS1_3gpuE8ELNS1_3repE0EEENS1_30default_config_static_selectorELNS0_4arch9wavefront6targetE1EEEvS12_.kd
    .uniform_work_group_size: 1
    .uses_dynamic_stack: false
    .vgpr_count:     102
    .vgpr_spill_count: 0
    .wavefront_size: 64
  - .agpr_count:     0
    .args:
      - .offset:         0
        .size:           176
        .value_kind:     by_value
    .group_segment_fixed_size: 0
    .kernarg_segment_align: 8
    .kernarg_segment_size: 176
    .language:       OpenCL C
    .language_version:
      - 2
      - 0
    .max_flat_workgroup_size: 256
    .name:           _ZN7rocprim17ROCPRIM_400000_NS6detail17trampoline_kernelINS0_13select_configILj256ELj13ELNS0_17block_load_methodE3ELS4_3ELS4_3ELNS0_20block_scan_algorithmE0ELj4294967295EEENS1_25partition_config_selectorILNS1_17partition_subalgoE4EjNS0_10empty_typeEbEEZZNS1_14partition_implILS8_4ELb0ES6_15HIP_vector_typeIjLj2EENS0_17counting_iteratorIjlEEPS9_SG_NS0_5tupleIJPjSI_NS0_16reverse_iteratorISI_EEEEENSH_IJSG_SG_SG_EEES9_SI_JZNS1_25segmented_radix_sort_implINS0_14default_configELb1EPKaPaPKlPlN2at6native12_GLOBAL__N_18offset_tEEE10hipError_tPvRmT1_PNSt15iterator_traitsIS12_E10value_typeET2_T3_PNS13_IS18_E10value_typeET4_jRbjT5_S1E_jjP12ihipStream_tbEUljE_ZNSN_ISO_Lb1ESQ_SR_ST_SU_SY_EESZ_S10_S11_S12_S16_S17_S18_S1B_S1C_jS1D_jS1E_S1E_jjS1G_bEUljE0_EEESZ_S10_S11_S18_S1C_S1E_T6_T7_T9_mT8_S1G_bDpT10_ENKUlT_T0_E_clISt17integral_constantIbLb1EES1T_IbLb0EEEEDaS1P_S1Q_EUlS1P_E_NS1_11comp_targetILNS1_3genE3ELNS1_11target_archE908ELNS1_3gpuE7ELNS1_3repE0EEENS1_30default_config_static_selectorELNS0_4arch9wavefront6targetE1EEEvS12_
    .private_segment_fixed_size: 0
    .sgpr_count:     4
    .sgpr_spill_count: 0
    .symbol:         _ZN7rocprim17ROCPRIM_400000_NS6detail17trampoline_kernelINS0_13select_configILj256ELj13ELNS0_17block_load_methodE3ELS4_3ELS4_3ELNS0_20block_scan_algorithmE0ELj4294967295EEENS1_25partition_config_selectorILNS1_17partition_subalgoE4EjNS0_10empty_typeEbEEZZNS1_14partition_implILS8_4ELb0ES6_15HIP_vector_typeIjLj2EENS0_17counting_iteratorIjlEEPS9_SG_NS0_5tupleIJPjSI_NS0_16reverse_iteratorISI_EEEEENSH_IJSG_SG_SG_EEES9_SI_JZNS1_25segmented_radix_sort_implINS0_14default_configELb1EPKaPaPKlPlN2at6native12_GLOBAL__N_18offset_tEEE10hipError_tPvRmT1_PNSt15iterator_traitsIS12_E10value_typeET2_T3_PNS13_IS18_E10value_typeET4_jRbjT5_S1E_jjP12ihipStream_tbEUljE_ZNSN_ISO_Lb1ESQ_SR_ST_SU_SY_EESZ_S10_S11_S12_S16_S17_S18_S1B_S1C_jS1D_jS1E_S1E_jjS1G_bEUljE0_EEESZ_S10_S11_S18_S1C_S1E_T6_T7_T9_mT8_S1G_bDpT10_ENKUlT_T0_E_clISt17integral_constantIbLb1EES1T_IbLb0EEEEDaS1P_S1Q_EUlS1P_E_NS1_11comp_targetILNS1_3genE3ELNS1_11target_archE908ELNS1_3gpuE7ELNS1_3repE0EEENS1_30default_config_static_selectorELNS0_4arch9wavefront6targetE1EEEvS12_.kd
    .uniform_work_group_size: 1
    .uses_dynamic_stack: false
    .vgpr_count:     0
    .vgpr_spill_count: 0
    .wavefront_size: 64
  - .agpr_count:     0
    .args:
      - .offset:         0
        .size:           176
        .value_kind:     by_value
    .group_segment_fixed_size: 0
    .kernarg_segment_align: 8
    .kernarg_segment_size: 176
    .language:       OpenCL C
    .language_version:
      - 2
      - 0
    .max_flat_workgroup_size: 256
    .name:           _ZN7rocprim17ROCPRIM_400000_NS6detail17trampoline_kernelINS0_13select_configILj256ELj13ELNS0_17block_load_methodE3ELS4_3ELS4_3ELNS0_20block_scan_algorithmE0ELj4294967295EEENS1_25partition_config_selectorILNS1_17partition_subalgoE4EjNS0_10empty_typeEbEEZZNS1_14partition_implILS8_4ELb0ES6_15HIP_vector_typeIjLj2EENS0_17counting_iteratorIjlEEPS9_SG_NS0_5tupleIJPjSI_NS0_16reverse_iteratorISI_EEEEENSH_IJSG_SG_SG_EEES9_SI_JZNS1_25segmented_radix_sort_implINS0_14default_configELb1EPKaPaPKlPlN2at6native12_GLOBAL__N_18offset_tEEE10hipError_tPvRmT1_PNSt15iterator_traitsIS12_E10value_typeET2_T3_PNS13_IS18_E10value_typeET4_jRbjT5_S1E_jjP12ihipStream_tbEUljE_ZNSN_ISO_Lb1ESQ_SR_ST_SU_SY_EESZ_S10_S11_S12_S16_S17_S18_S1B_S1C_jS1D_jS1E_S1E_jjS1G_bEUljE0_EEESZ_S10_S11_S18_S1C_S1E_T6_T7_T9_mT8_S1G_bDpT10_ENKUlT_T0_E_clISt17integral_constantIbLb1EES1T_IbLb0EEEEDaS1P_S1Q_EUlS1P_E_NS1_11comp_targetILNS1_3genE2ELNS1_11target_archE906ELNS1_3gpuE6ELNS1_3repE0EEENS1_30default_config_static_selectorELNS0_4arch9wavefront6targetE1EEEvS12_
    .private_segment_fixed_size: 0
    .sgpr_count:     4
    .sgpr_spill_count: 0
    .symbol:         _ZN7rocprim17ROCPRIM_400000_NS6detail17trampoline_kernelINS0_13select_configILj256ELj13ELNS0_17block_load_methodE3ELS4_3ELS4_3ELNS0_20block_scan_algorithmE0ELj4294967295EEENS1_25partition_config_selectorILNS1_17partition_subalgoE4EjNS0_10empty_typeEbEEZZNS1_14partition_implILS8_4ELb0ES6_15HIP_vector_typeIjLj2EENS0_17counting_iteratorIjlEEPS9_SG_NS0_5tupleIJPjSI_NS0_16reverse_iteratorISI_EEEEENSH_IJSG_SG_SG_EEES9_SI_JZNS1_25segmented_radix_sort_implINS0_14default_configELb1EPKaPaPKlPlN2at6native12_GLOBAL__N_18offset_tEEE10hipError_tPvRmT1_PNSt15iterator_traitsIS12_E10value_typeET2_T3_PNS13_IS18_E10value_typeET4_jRbjT5_S1E_jjP12ihipStream_tbEUljE_ZNSN_ISO_Lb1ESQ_SR_ST_SU_SY_EESZ_S10_S11_S12_S16_S17_S18_S1B_S1C_jS1D_jS1E_S1E_jjS1G_bEUljE0_EEESZ_S10_S11_S18_S1C_S1E_T6_T7_T9_mT8_S1G_bDpT10_ENKUlT_T0_E_clISt17integral_constantIbLb1EES1T_IbLb0EEEEDaS1P_S1Q_EUlS1P_E_NS1_11comp_targetILNS1_3genE2ELNS1_11target_archE906ELNS1_3gpuE6ELNS1_3repE0EEENS1_30default_config_static_selectorELNS0_4arch9wavefront6targetE1EEEvS12_.kd
    .uniform_work_group_size: 1
    .uses_dynamic_stack: false
    .vgpr_count:     0
    .vgpr_spill_count: 0
    .wavefront_size: 64
  - .agpr_count:     0
    .args:
      - .offset:         0
        .size:           176
        .value_kind:     by_value
    .group_segment_fixed_size: 0
    .kernarg_segment_align: 8
    .kernarg_segment_size: 176
    .language:       OpenCL C
    .language_version:
      - 2
      - 0
    .max_flat_workgroup_size: 256
    .name:           _ZN7rocprim17ROCPRIM_400000_NS6detail17trampoline_kernelINS0_13select_configILj256ELj13ELNS0_17block_load_methodE3ELS4_3ELS4_3ELNS0_20block_scan_algorithmE0ELj4294967295EEENS1_25partition_config_selectorILNS1_17partition_subalgoE4EjNS0_10empty_typeEbEEZZNS1_14partition_implILS8_4ELb0ES6_15HIP_vector_typeIjLj2EENS0_17counting_iteratorIjlEEPS9_SG_NS0_5tupleIJPjSI_NS0_16reverse_iteratorISI_EEEEENSH_IJSG_SG_SG_EEES9_SI_JZNS1_25segmented_radix_sort_implINS0_14default_configELb1EPKaPaPKlPlN2at6native12_GLOBAL__N_18offset_tEEE10hipError_tPvRmT1_PNSt15iterator_traitsIS12_E10value_typeET2_T3_PNS13_IS18_E10value_typeET4_jRbjT5_S1E_jjP12ihipStream_tbEUljE_ZNSN_ISO_Lb1ESQ_SR_ST_SU_SY_EESZ_S10_S11_S12_S16_S17_S18_S1B_S1C_jS1D_jS1E_S1E_jjS1G_bEUljE0_EEESZ_S10_S11_S18_S1C_S1E_T6_T7_T9_mT8_S1G_bDpT10_ENKUlT_T0_E_clISt17integral_constantIbLb1EES1T_IbLb0EEEEDaS1P_S1Q_EUlS1P_E_NS1_11comp_targetILNS1_3genE10ELNS1_11target_archE1200ELNS1_3gpuE4ELNS1_3repE0EEENS1_30default_config_static_selectorELNS0_4arch9wavefront6targetE1EEEvS12_
    .private_segment_fixed_size: 0
    .sgpr_count:     4
    .sgpr_spill_count: 0
    .symbol:         _ZN7rocprim17ROCPRIM_400000_NS6detail17trampoline_kernelINS0_13select_configILj256ELj13ELNS0_17block_load_methodE3ELS4_3ELS4_3ELNS0_20block_scan_algorithmE0ELj4294967295EEENS1_25partition_config_selectorILNS1_17partition_subalgoE4EjNS0_10empty_typeEbEEZZNS1_14partition_implILS8_4ELb0ES6_15HIP_vector_typeIjLj2EENS0_17counting_iteratorIjlEEPS9_SG_NS0_5tupleIJPjSI_NS0_16reverse_iteratorISI_EEEEENSH_IJSG_SG_SG_EEES9_SI_JZNS1_25segmented_radix_sort_implINS0_14default_configELb1EPKaPaPKlPlN2at6native12_GLOBAL__N_18offset_tEEE10hipError_tPvRmT1_PNSt15iterator_traitsIS12_E10value_typeET2_T3_PNS13_IS18_E10value_typeET4_jRbjT5_S1E_jjP12ihipStream_tbEUljE_ZNSN_ISO_Lb1ESQ_SR_ST_SU_SY_EESZ_S10_S11_S12_S16_S17_S18_S1B_S1C_jS1D_jS1E_S1E_jjS1G_bEUljE0_EEESZ_S10_S11_S18_S1C_S1E_T6_T7_T9_mT8_S1G_bDpT10_ENKUlT_T0_E_clISt17integral_constantIbLb1EES1T_IbLb0EEEEDaS1P_S1Q_EUlS1P_E_NS1_11comp_targetILNS1_3genE10ELNS1_11target_archE1200ELNS1_3gpuE4ELNS1_3repE0EEENS1_30default_config_static_selectorELNS0_4arch9wavefront6targetE1EEEvS12_.kd
    .uniform_work_group_size: 1
    .uses_dynamic_stack: false
    .vgpr_count:     0
    .vgpr_spill_count: 0
    .wavefront_size: 64
  - .agpr_count:     0
    .args:
      - .offset:         0
        .size:           176
        .value_kind:     by_value
    .group_segment_fixed_size: 0
    .kernarg_segment_align: 8
    .kernarg_segment_size: 176
    .language:       OpenCL C
    .language_version:
      - 2
      - 0
    .max_flat_workgroup_size: 256
    .name:           _ZN7rocprim17ROCPRIM_400000_NS6detail17trampoline_kernelINS0_13select_configILj256ELj13ELNS0_17block_load_methodE3ELS4_3ELS4_3ELNS0_20block_scan_algorithmE0ELj4294967295EEENS1_25partition_config_selectorILNS1_17partition_subalgoE4EjNS0_10empty_typeEbEEZZNS1_14partition_implILS8_4ELb0ES6_15HIP_vector_typeIjLj2EENS0_17counting_iteratorIjlEEPS9_SG_NS0_5tupleIJPjSI_NS0_16reverse_iteratorISI_EEEEENSH_IJSG_SG_SG_EEES9_SI_JZNS1_25segmented_radix_sort_implINS0_14default_configELb1EPKaPaPKlPlN2at6native12_GLOBAL__N_18offset_tEEE10hipError_tPvRmT1_PNSt15iterator_traitsIS12_E10value_typeET2_T3_PNS13_IS18_E10value_typeET4_jRbjT5_S1E_jjP12ihipStream_tbEUljE_ZNSN_ISO_Lb1ESQ_SR_ST_SU_SY_EESZ_S10_S11_S12_S16_S17_S18_S1B_S1C_jS1D_jS1E_S1E_jjS1G_bEUljE0_EEESZ_S10_S11_S18_S1C_S1E_T6_T7_T9_mT8_S1G_bDpT10_ENKUlT_T0_E_clISt17integral_constantIbLb1EES1T_IbLb0EEEEDaS1P_S1Q_EUlS1P_E_NS1_11comp_targetILNS1_3genE9ELNS1_11target_archE1100ELNS1_3gpuE3ELNS1_3repE0EEENS1_30default_config_static_selectorELNS0_4arch9wavefront6targetE1EEEvS12_
    .private_segment_fixed_size: 0
    .sgpr_count:     4
    .sgpr_spill_count: 0
    .symbol:         _ZN7rocprim17ROCPRIM_400000_NS6detail17trampoline_kernelINS0_13select_configILj256ELj13ELNS0_17block_load_methodE3ELS4_3ELS4_3ELNS0_20block_scan_algorithmE0ELj4294967295EEENS1_25partition_config_selectorILNS1_17partition_subalgoE4EjNS0_10empty_typeEbEEZZNS1_14partition_implILS8_4ELb0ES6_15HIP_vector_typeIjLj2EENS0_17counting_iteratorIjlEEPS9_SG_NS0_5tupleIJPjSI_NS0_16reverse_iteratorISI_EEEEENSH_IJSG_SG_SG_EEES9_SI_JZNS1_25segmented_radix_sort_implINS0_14default_configELb1EPKaPaPKlPlN2at6native12_GLOBAL__N_18offset_tEEE10hipError_tPvRmT1_PNSt15iterator_traitsIS12_E10value_typeET2_T3_PNS13_IS18_E10value_typeET4_jRbjT5_S1E_jjP12ihipStream_tbEUljE_ZNSN_ISO_Lb1ESQ_SR_ST_SU_SY_EESZ_S10_S11_S12_S16_S17_S18_S1B_S1C_jS1D_jS1E_S1E_jjS1G_bEUljE0_EEESZ_S10_S11_S18_S1C_S1E_T6_T7_T9_mT8_S1G_bDpT10_ENKUlT_T0_E_clISt17integral_constantIbLb1EES1T_IbLb0EEEEDaS1P_S1Q_EUlS1P_E_NS1_11comp_targetILNS1_3genE9ELNS1_11target_archE1100ELNS1_3gpuE3ELNS1_3repE0EEENS1_30default_config_static_selectorELNS0_4arch9wavefront6targetE1EEEvS12_.kd
    .uniform_work_group_size: 1
    .uses_dynamic_stack: false
    .vgpr_count:     0
    .vgpr_spill_count: 0
    .wavefront_size: 64
  - .agpr_count:     0
    .args:
      - .offset:         0
        .size:           176
        .value_kind:     by_value
    .group_segment_fixed_size: 0
    .kernarg_segment_align: 8
    .kernarg_segment_size: 176
    .language:       OpenCL C
    .language_version:
      - 2
      - 0
    .max_flat_workgroup_size: 256
    .name:           _ZN7rocprim17ROCPRIM_400000_NS6detail17trampoline_kernelINS0_13select_configILj256ELj13ELNS0_17block_load_methodE3ELS4_3ELS4_3ELNS0_20block_scan_algorithmE0ELj4294967295EEENS1_25partition_config_selectorILNS1_17partition_subalgoE4EjNS0_10empty_typeEbEEZZNS1_14partition_implILS8_4ELb0ES6_15HIP_vector_typeIjLj2EENS0_17counting_iteratorIjlEEPS9_SG_NS0_5tupleIJPjSI_NS0_16reverse_iteratorISI_EEEEENSH_IJSG_SG_SG_EEES9_SI_JZNS1_25segmented_radix_sort_implINS0_14default_configELb1EPKaPaPKlPlN2at6native12_GLOBAL__N_18offset_tEEE10hipError_tPvRmT1_PNSt15iterator_traitsIS12_E10value_typeET2_T3_PNS13_IS18_E10value_typeET4_jRbjT5_S1E_jjP12ihipStream_tbEUljE_ZNSN_ISO_Lb1ESQ_SR_ST_SU_SY_EESZ_S10_S11_S12_S16_S17_S18_S1B_S1C_jS1D_jS1E_S1E_jjS1G_bEUljE0_EEESZ_S10_S11_S18_S1C_S1E_T6_T7_T9_mT8_S1G_bDpT10_ENKUlT_T0_E_clISt17integral_constantIbLb1EES1T_IbLb0EEEEDaS1P_S1Q_EUlS1P_E_NS1_11comp_targetILNS1_3genE8ELNS1_11target_archE1030ELNS1_3gpuE2ELNS1_3repE0EEENS1_30default_config_static_selectorELNS0_4arch9wavefront6targetE1EEEvS12_
    .private_segment_fixed_size: 0
    .sgpr_count:     4
    .sgpr_spill_count: 0
    .symbol:         _ZN7rocprim17ROCPRIM_400000_NS6detail17trampoline_kernelINS0_13select_configILj256ELj13ELNS0_17block_load_methodE3ELS4_3ELS4_3ELNS0_20block_scan_algorithmE0ELj4294967295EEENS1_25partition_config_selectorILNS1_17partition_subalgoE4EjNS0_10empty_typeEbEEZZNS1_14partition_implILS8_4ELb0ES6_15HIP_vector_typeIjLj2EENS0_17counting_iteratorIjlEEPS9_SG_NS0_5tupleIJPjSI_NS0_16reverse_iteratorISI_EEEEENSH_IJSG_SG_SG_EEES9_SI_JZNS1_25segmented_radix_sort_implINS0_14default_configELb1EPKaPaPKlPlN2at6native12_GLOBAL__N_18offset_tEEE10hipError_tPvRmT1_PNSt15iterator_traitsIS12_E10value_typeET2_T3_PNS13_IS18_E10value_typeET4_jRbjT5_S1E_jjP12ihipStream_tbEUljE_ZNSN_ISO_Lb1ESQ_SR_ST_SU_SY_EESZ_S10_S11_S12_S16_S17_S18_S1B_S1C_jS1D_jS1E_S1E_jjS1G_bEUljE0_EEESZ_S10_S11_S18_S1C_S1E_T6_T7_T9_mT8_S1G_bDpT10_ENKUlT_T0_E_clISt17integral_constantIbLb1EES1T_IbLb0EEEEDaS1P_S1Q_EUlS1P_E_NS1_11comp_targetILNS1_3genE8ELNS1_11target_archE1030ELNS1_3gpuE2ELNS1_3repE0EEENS1_30default_config_static_selectorELNS0_4arch9wavefront6targetE1EEEvS12_.kd
    .uniform_work_group_size: 1
    .uses_dynamic_stack: false
    .vgpr_count:     0
    .vgpr_spill_count: 0
    .wavefront_size: 64
  - .agpr_count:     0
    .args:
      - .offset:         0
        .size:           184
        .value_kind:     by_value
    .group_segment_fixed_size: 0
    .kernarg_segment_align: 8
    .kernarg_segment_size: 184
    .language:       OpenCL C
    .language_version:
      - 2
      - 0
    .max_flat_workgroup_size: 256
    .name:           _ZN7rocprim17ROCPRIM_400000_NS6detail17trampoline_kernelINS0_13select_configILj256ELj13ELNS0_17block_load_methodE3ELS4_3ELS4_3ELNS0_20block_scan_algorithmE0ELj4294967295EEENS1_25partition_config_selectorILNS1_17partition_subalgoE4EjNS0_10empty_typeEbEEZZNS1_14partition_implILS8_4ELb0ES6_15HIP_vector_typeIjLj2EENS0_17counting_iteratorIjlEEPS9_SG_NS0_5tupleIJPjSI_NS0_16reverse_iteratorISI_EEEEENSH_IJSG_SG_SG_EEES9_SI_JZNS1_25segmented_radix_sort_implINS0_14default_configELb1EPKaPaPKlPlN2at6native12_GLOBAL__N_18offset_tEEE10hipError_tPvRmT1_PNSt15iterator_traitsIS12_E10value_typeET2_T3_PNS13_IS18_E10value_typeET4_jRbjT5_S1E_jjP12ihipStream_tbEUljE_ZNSN_ISO_Lb1ESQ_SR_ST_SU_SY_EESZ_S10_S11_S12_S16_S17_S18_S1B_S1C_jS1D_jS1E_S1E_jjS1G_bEUljE0_EEESZ_S10_S11_S18_S1C_S1E_T6_T7_T9_mT8_S1G_bDpT10_ENKUlT_T0_E_clISt17integral_constantIbLb0EES1T_IbLb1EEEEDaS1P_S1Q_EUlS1P_E_NS1_11comp_targetILNS1_3genE0ELNS1_11target_archE4294967295ELNS1_3gpuE0ELNS1_3repE0EEENS1_30default_config_static_selectorELNS0_4arch9wavefront6targetE1EEEvS12_
    .private_segment_fixed_size: 0
    .sgpr_count:     4
    .sgpr_spill_count: 0
    .symbol:         _ZN7rocprim17ROCPRIM_400000_NS6detail17trampoline_kernelINS0_13select_configILj256ELj13ELNS0_17block_load_methodE3ELS4_3ELS4_3ELNS0_20block_scan_algorithmE0ELj4294967295EEENS1_25partition_config_selectorILNS1_17partition_subalgoE4EjNS0_10empty_typeEbEEZZNS1_14partition_implILS8_4ELb0ES6_15HIP_vector_typeIjLj2EENS0_17counting_iteratorIjlEEPS9_SG_NS0_5tupleIJPjSI_NS0_16reverse_iteratorISI_EEEEENSH_IJSG_SG_SG_EEES9_SI_JZNS1_25segmented_radix_sort_implINS0_14default_configELb1EPKaPaPKlPlN2at6native12_GLOBAL__N_18offset_tEEE10hipError_tPvRmT1_PNSt15iterator_traitsIS12_E10value_typeET2_T3_PNS13_IS18_E10value_typeET4_jRbjT5_S1E_jjP12ihipStream_tbEUljE_ZNSN_ISO_Lb1ESQ_SR_ST_SU_SY_EESZ_S10_S11_S12_S16_S17_S18_S1B_S1C_jS1D_jS1E_S1E_jjS1G_bEUljE0_EEESZ_S10_S11_S18_S1C_S1E_T6_T7_T9_mT8_S1G_bDpT10_ENKUlT_T0_E_clISt17integral_constantIbLb0EES1T_IbLb1EEEEDaS1P_S1Q_EUlS1P_E_NS1_11comp_targetILNS1_3genE0ELNS1_11target_archE4294967295ELNS1_3gpuE0ELNS1_3repE0EEENS1_30default_config_static_selectorELNS0_4arch9wavefront6targetE1EEEvS12_.kd
    .uniform_work_group_size: 1
    .uses_dynamic_stack: false
    .vgpr_count:     0
    .vgpr_spill_count: 0
    .wavefront_size: 64
  - .agpr_count:     0
    .args:
      - .offset:         0
        .size:           184
        .value_kind:     by_value
    .group_segment_fixed_size: 0
    .kernarg_segment_align: 8
    .kernarg_segment_size: 184
    .language:       OpenCL C
    .language_version:
      - 2
      - 0
    .max_flat_workgroup_size: 256
    .name:           _ZN7rocprim17ROCPRIM_400000_NS6detail17trampoline_kernelINS0_13select_configILj256ELj13ELNS0_17block_load_methodE3ELS4_3ELS4_3ELNS0_20block_scan_algorithmE0ELj4294967295EEENS1_25partition_config_selectorILNS1_17partition_subalgoE4EjNS0_10empty_typeEbEEZZNS1_14partition_implILS8_4ELb0ES6_15HIP_vector_typeIjLj2EENS0_17counting_iteratorIjlEEPS9_SG_NS0_5tupleIJPjSI_NS0_16reverse_iteratorISI_EEEEENSH_IJSG_SG_SG_EEES9_SI_JZNS1_25segmented_radix_sort_implINS0_14default_configELb1EPKaPaPKlPlN2at6native12_GLOBAL__N_18offset_tEEE10hipError_tPvRmT1_PNSt15iterator_traitsIS12_E10value_typeET2_T3_PNS13_IS18_E10value_typeET4_jRbjT5_S1E_jjP12ihipStream_tbEUljE_ZNSN_ISO_Lb1ESQ_SR_ST_SU_SY_EESZ_S10_S11_S12_S16_S17_S18_S1B_S1C_jS1D_jS1E_S1E_jjS1G_bEUljE0_EEESZ_S10_S11_S18_S1C_S1E_T6_T7_T9_mT8_S1G_bDpT10_ENKUlT_T0_E_clISt17integral_constantIbLb0EES1T_IbLb1EEEEDaS1P_S1Q_EUlS1P_E_NS1_11comp_targetILNS1_3genE5ELNS1_11target_archE942ELNS1_3gpuE9ELNS1_3repE0EEENS1_30default_config_static_selectorELNS0_4arch9wavefront6targetE1EEEvS12_
    .private_segment_fixed_size: 0
    .sgpr_count:     4
    .sgpr_spill_count: 0
    .symbol:         _ZN7rocprim17ROCPRIM_400000_NS6detail17trampoline_kernelINS0_13select_configILj256ELj13ELNS0_17block_load_methodE3ELS4_3ELS4_3ELNS0_20block_scan_algorithmE0ELj4294967295EEENS1_25partition_config_selectorILNS1_17partition_subalgoE4EjNS0_10empty_typeEbEEZZNS1_14partition_implILS8_4ELb0ES6_15HIP_vector_typeIjLj2EENS0_17counting_iteratorIjlEEPS9_SG_NS0_5tupleIJPjSI_NS0_16reverse_iteratorISI_EEEEENSH_IJSG_SG_SG_EEES9_SI_JZNS1_25segmented_radix_sort_implINS0_14default_configELb1EPKaPaPKlPlN2at6native12_GLOBAL__N_18offset_tEEE10hipError_tPvRmT1_PNSt15iterator_traitsIS12_E10value_typeET2_T3_PNS13_IS18_E10value_typeET4_jRbjT5_S1E_jjP12ihipStream_tbEUljE_ZNSN_ISO_Lb1ESQ_SR_ST_SU_SY_EESZ_S10_S11_S12_S16_S17_S18_S1B_S1C_jS1D_jS1E_S1E_jjS1G_bEUljE0_EEESZ_S10_S11_S18_S1C_S1E_T6_T7_T9_mT8_S1G_bDpT10_ENKUlT_T0_E_clISt17integral_constantIbLb0EES1T_IbLb1EEEEDaS1P_S1Q_EUlS1P_E_NS1_11comp_targetILNS1_3genE5ELNS1_11target_archE942ELNS1_3gpuE9ELNS1_3repE0EEENS1_30default_config_static_selectorELNS0_4arch9wavefront6targetE1EEEvS12_.kd
    .uniform_work_group_size: 1
    .uses_dynamic_stack: false
    .vgpr_count:     0
    .vgpr_spill_count: 0
    .wavefront_size: 64
  - .agpr_count:     0
    .args:
      - .offset:         0
        .size:           184
        .value_kind:     by_value
    .group_segment_fixed_size: 13340
    .kernarg_segment_align: 8
    .kernarg_segment_size: 184
    .language:       OpenCL C
    .language_version:
      - 2
      - 0
    .max_flat_workgroup_size: 256
    .name:           _ZN7rocprim17ROCPRIM_400000_NS6detail17trampoline_kernelINS0_13select_configILj256ELj13ELNS0_17block_load_methodE3ELS4_3ELS4_3ELNS0_20block_scan_algorithmE0ELj4294967295EEENS1_25partition_config_selectorILNS1_17partition_subalgoE4EjNS0_10empty_typeEbEEZZNS1_14partition_implILS8_4ELb0ES6_15HIP_vector_typeIjLj2EENS0_17counting_iteratorIjlEEPS9_SG_NS0_5tupleIJPjSI_NS0_16reverse_iteratorISI_EEEEENSH_IJSG_SG_SG_EEES9_SI_JZNS1_25segmented_radix_sort_implINS0_14default_configELb1EPKaPaPKlPlN2at6native12_GLOBAL__N_18offset_tEEE10hipError_tPvRmT1_PNSt15iterator_traitsIS12_E10value_typeET2_T3_PNS13_IS18_E10value_typeET4_jRbjT5_S1E_jjP12ihipStream_tbEUljE_ZNSN_ISO_Lb1ESQ_SR_ST_SU_SY_EESZ_S10_S11_S12_S16_S17_S18_S1B_S1C_jS1D_jS1E_S1E_jjS1G_bEUljE0_EEESZ_S10_S11_S18_S1C_S1E_T6_T7_T9_mT8_S1G_bDpT10_ENKUlT_T0_E_clISt17integral_constantIbLb0EES1T_IbLb1EEEEDaS1P_S1Q_EUlS1P_E_NS1_11comp_targetILNS1_3genE4ELNS1_11target_archE910ELNS1_3gpuE8ELNS1_3repE0EEENS1_30default_config_static_selectorELNS0_4arch9wavefront6targetE1EEEvS12_
    .private_segment_fixed_size: 0
    .sgpr_count:     91
    .sgpr_spill_count: 0
    .symbol:         _ZN7rocprim17ROCPRIM_400000_NS6detail17trampoline_kernelINS0_13select_configILj256ELj13ELNS0_17block_load_methodE3ELS4_3ELS4_3ELNS0_20block_scan_algorithmE0ELj4294967295EEENS1_25partition_config_selectorILNS1_17partition_subalgoE4EjNS0_10empty_typeEbEEZZNS1_14partition_implILS8_4ELb0ES6_15HIP_vector_typeIjLj2EENS0_17counting_iteratorIjlEEPS9_SG_NS0_5tupleIJPjSI_NS0_16reverse_iteratorISI_EEEEENSH_IJSG_SG_SG_EEES9_SI_JZNS1_25segmented_radix_sort_implINS0_14default_configELb1EPKaPaPKlPlN2at6native12_GLOBAL__N_18offset_tEEE10hipError_tPvRmT1_PNSt15iterator_traitsIS12_E10value_typeET2_T3_PNS13_IS18_E10value_typeET4_jRbjT5_S1E_jjP12ihipStream_tbEUljE_ZNSN_ISO_Lb1ESQ_SR_ST_SU_SY_EESZ_S10_S11_S12_S16_S17_S18_S1B_S1C_jS1D_jS1E_S1E_jjS1G_bEUljE0_EEESZ_S10_S11_S18_S1C_S1E_T6_T7_T9_mT8_S1G_bDpT10_ENKUlT_T0_E_clISt17integral_constantIbLb0EES1T_IbLb1EEEEDaS1P_S1Q_EUlS1P_E_NS1_11comp_targetILNS1_3genE4ELNS1_11target_archE910ELNS1_3gpuE8ELNS1_3repE0EEENS1_30default_config_static_selectorELNS0_4arch9wavefront6targetE1EEEvS12_.kd
    .uniform_work_group_size: 1
    .uses_dynamic_stack: false
    .vgpr_count:     107
    .vgpr_spill_count: 0
    .wavefront_size: 64
  - .agpr_count:     0
    .args:
      - .offset:         0
        .size:           184
        .value_kind:     by_value
    .group_segment_fixed_size: 0
    .kernarg_segment_align: 8
    .kernarg_segment_size: 184
    .language:       OpenCL C
    .language_version:
      - 2
      - 0
    .max_flat_workgroup_size: 256
    .name:           _ZN7rocprim17ROCPRIM_400000_NS6detail17trampoline_kernelINS0_13select_configILj256ELj13ELNS0_17block_load_methodE3ELS4_3ELS4_3ELNS0_20block_scan_algorithmE0ELj4294967295EEENS1_25partition_config_selectorILNS1_17partition_subalgoE4EjNS0_10empty_typeEbEEZZNS1_14partition_implILS8_4ELb0ES6_15HIP_vector_typeIjLj2EENS0_17counting_iteratorIjlEEPS9_SG_NS0_5tupleIJPjSI_NS0_16reverse_iteratorISI_EEEEENSH_IJSG_SG_SG_EEES9_SI_JZNS1_25segmented_radix_sort_implINS0_14default_configELb1EPKaPaPKlPlN2at6native12_GLOBAL__N_18offset_tEEE10hipError_tPvRmT1_PNSt15iterator_traitsIS12_E10value_typeET2_T3_PNS13_IS18_E10value_typeET4_jRbjT5_S1E_jjP12ihipStream_tbEUljE_ZNSN_ISO_Lb1ESQ_SR_ST_SU_SY_EESZ_S10_S11_S12_S16_S17_S18_S1B_S1C_jS1D_jS1E_S1E_jjS1G_bEUljE0_EEESZ_S10_S11_S18_S1C_S1E_T6_T7_T9_mT8_S1G_bDpT10_ENKUlT_T0_E_clISt17integral_constantIbLb0EES1T_IbLb1EEEEDaS1P_S1Q_EUlS1P_E_NS1_11comp_targetILNS1_3genE3ELNS1_11target_archE908ELNS1_3gpuE7ELNS1_3repE0EEENS1_30default_config_static_selectorELNS0_4arch9wavefront6targetE1EEEvS12_
    .private_segment_fixed_size: 0
    .sgpr_count:     4
    .sgpr_spill_count: 0
    .symbol:         _ZN7rocprim17ROCPRIM_400000_NS6detail17trampoline_kernelINS0_13select_configILj256ELj13ELNS0_17block_load_methodE3ELS4_3ELS4_3ELNS0_20block_scan_algorithmE0ELj4294967295EEENS1_25partition_config_selectorILNS1_17partition_subalgoE4EjNS0_10empty_typeEbEEZZNS1_14partition_implILS8_4ELb0ES6_15HIP_vector_typeIjLj2EENS0_17counting_iteratorIjlEEPS9_SG_NS0_5tupleIJPjSI_NS0_16reverse_iteratorISI_EEEEENSH_IJSG_SG_SG_EEES9_SI_JZNS1_25segmented_radix_sort_implINS0_14default_configELb1EPKaPaPKlPlN2at6native12_GLOBAL__N_18offset_tEEE10hipError_tPvRmT1_PNSt15iterator_traitsIS12_E10value_typeET2_T3_PNS13_IS18_E10value_typeET4_jRbjT5_S1E_jjP12ihipStream_tbEUljE_ZNSN_ISO_Lb1ESQ_SR_ST_SU_SY_EESZ_S10_S11_S12_S16_S17_S18_S1B_S1C_jS1D_jS1E_S1E_jjS1G_bEUljE0_EEESZ_S10_S11_S18_S1C_S1E_T6_T7_T9_mT8_S1G_bDpT10_ENKUlT_T0_E_clISt17integral_constantIbLb0EES1T_IbLb1EEEEDaS1P_S1Q_EUlS1P_E_NS1_11comp_targetILNS1_3genE3ELNS1_11target_archE908ELNS1_3gpuE7ELNS1_3repE0EEENS1_30default_config_static_selectorELNS0_4arch9wavefront6targetE1EEEvS12_.kd
    .uniform_work_group_size: 1
    .uses_dynamic_stack: false
    .vgpr_count:     0
    .vgpr_spill_count: 0
    .wavefront_size: 64
  - .agpr_count:     0
    .args:
      - .offset:         0
        .size:           184
        .value_kind:     by_value
    .group_segment_fixed_size: 0
    .kernarg_segment_align: 8
    .kernarg_segment_size: 184
    .language:       OpenCL C
    .language_version:
      - 2
      - 0
    .max_flat_workgroup_size: 256
    .name:           _ZN7rocprim17ROCPRIM_400000_NS6detail17trampoline_kernelINS0_13select_configILj256ELj13ELNS0_17block_load_methodE3ELS4_3ELS4_3ELNS0_20block_scan_algorithmE0ELj4294967295EEENS1_25partition_config_selectorILNS1_17partition_subalgoE4EjNS0_10empty_typeEbEEZZNS1_14partition_implILS8_4ELb0ES6_15HIP_vector_typeIjLj2EENS0_17counting_iteratorIjlEEPS9_SG_NS0_5tupleIJPjSI_NS0_16reverse_iteratorISI_EEEEENSH_IJSG_SG_SG_EEES9_SI_JZNS1_25segmented_radix_sort_implINS0_14default_configELb1EPKaPaPKlPlN2at6native12_GLOBAL__N_18offset_tEEE10hipError_tPvRmT1_PNSt15iterator_traitsIS12_E10value_typeET2_T3_PNS13_IS18_E10value_typeET4_jRbjT5_S1E_jjP12ihipStream_tbEUljE_ZNSN_ISO_Lb1ESQ_SR_ST_SU_SY_EESZ_S10_S11_S12_S16_S17_S18_S1B_S1C_jS1D_jS1E_S1E_jjS1G_bEUljE0_EEESZ_S10_S11_S18_S1C_S1E_T6_T7_T9_mT8_S1G_bDpT10_ENKUlT_T0_E_clISt17integral_constantIbLb0EES1T_IbLb1EEEEDaS1P_S1Q_EUlS1P_E_NS1_11comp_targetILNS1_3genE2ELNS1_11target_archE906ELNS1_3gpuE6ELNS1_3repE0EEENS1_30default_config_static_selectorELNS0_4arch9wavefront6targetE1EEEvS12_
    .private_segment_fixed_size: 0
    .sgpr_count:     4
    .sgpr_spill_count: 0
    .symbol:         _ZN7rocprim17ROCPRIM_400000_NS6detail17trampoline_kernelINS0_13select_configILj256ELj13ELNS0_17block_load_methodE3ELS4_3ELS4_3ELNS0_20block_scan_algorithmE0ELj4294967295EEENS1_25partition_config_selectorILNS1_17partition_subalgoE4EjNS0_10empty_typeEbEEZZNS1_14partition_implILS8_4ELb0ES6_15HIP_vector_typeIjLj2EENS0_17counting_iteratorIjlEEPS9_SG_NS0_5tupleIJPjSI_NS0_16reverse_iteratorISI_EEEEENSH_IJSG_SG_SG_EEES9_SI_JZNS1_25segmented_radix_sort_implINS0_14default_configELb1EPKaPaPKlPlN2at6native12_GLOBAL__N_18offset_tEEE10hipError_tPvRmT1_PNSt15iterator_traitsIS12_E10value_typeET2_T3_PNS13_IS18_E10value_typeET4_jRbjT5_S1E_jjP12ihipStream_tbEUljE_ZNSN_ISO_Lb1ESQ_SR_ST_SU_SY_EESZ_S10_S11_S12_S16_S17_S18_S1B_S1C_jS1D_jS1E_S1E_jjS1G_bEUljE0_EEESZ_S10_S11_S18_S1C_S1E_T6_T7_T9_mT8_S1G_bDpT10_ENKUlT_T0_E_clISt17integral_constantIbLb0EES1T_IbLb1EEEEDaS1P_S1Q_EUlS1P_E_NS1_11comp_targetILNS1_3genE2ELNS1_11target_archE906ELNS1_3gpuE6ELNS1_3repE0EEENS1_30default_config_static_selectorELNS0_4arch9wavefront6targetE1EEEvS12_.kd
    .uniform_work_group_size: 1
    .uses_dynamic_stack: false
    .vgpr_count:     0
    .vgpr_spill_count: 0
    .wavefront_size: 64
  - .agpr_count:     0
    .args:
      - .offset:         0
        .size:           184
        .value_kind:     by_value
    .group_segment_fixed_size: 0
    .kernarg_segment_align: 8
    .kernarg_segment_size: 184
    .language:       OpenCL C
    .language_version:
      - 2
      - 0
    .max_flat_workgroup_size: 256
    .name:           _ZN7rocprim17ROCPRIM_400000_NS6detail17trampoline_kernelINS0_13select_configILj256ELj13ELNS0_17block_load_methodE3ELS4_3ELS4_3ELNS0_20block_scan_algorithmE0ELj4294967295EEENS1_25partition_config_selectorILNS1_17partition_subalgoE4EjNS0_10empty_typeEbEEZZNS1_14partition_implILS8_4ELb0ES6_15HIP_vector_typeIjLj2EENS0_17counting_iteratorIjlEEPS9_SG_NS0_5tupleIJPjSI_NS0_16reverse_iteratorISI_EEEEENSH_IJSG_SG_SG_EEES9_SI_JZNS1_25segmented_radix_sort_implINS0_14default_configELb1EPKaPaPKlPlN2at6native12_GLOBAL__N_18offset_tEEE10hipError_tPvRmT1_PNSt15iterator_traitsIS12_E10value_typeET2_T3_PNS13_IS18_E10value_typeET4_jRbjT5_S1E_jjP12ihipStream_tbEUljE_ZNSN_ISO_Lb1ESQ_SR_ST_SU_SY_EESZ_S10_S11_S12_S16_S17_S18_S1B_S1C_jS1D_jS1E_S1E_jjS1G_bEUljE0_EEESZ_S10_S11_S18_S1C_S1E_T6_T7_T9_mT8_S1G_bDpT10_ENKUlT_T0_E_clISt17integral_constantIbLb0EES1T_IbLb1EEEEDaS1P_S1Q_EUlS1P_E_NS1_11comp_targetILNS1_3genE10ELNS1_11target_archE1200ELNS1_3gpuE4ELNS1_3repE0EEENS1_30default_config_static_selectorELNS0_4arch9wavefront6targetE1EEEvS12_
    .private_segment_fixed_size: 0
    .sgpr_count:     4
    .sgpr_spill_count: 0
    .symbol:         _ZN7rocprim17ROCPRIM_400000_NS6detail17trampoline_kernelINS0_13select_configILj256ELj13ELNS0_17block_load_methodE3ELS4_3ELS4_3ELNS0_20block_scan_algorithmE0ELj4294967295EEENS1_25partition_config_selectorILNS1_17partition_subalgoE4EjNS0_10empty_typeEbEEZZNS1_14partition_implILS8_4ELb0ES6_15HIP_vector_typeIjLj2EENS0_17counting_iteratorIjlEEPS9_SG_NS0_5tupleIJPjSI_NS0_16reverse_iteratorISI_EEEEENSH_IJSG_SG_SG_EEES9_SI_JZNS1_25segmented_radix_sort_implINS0_14default_configELb1EPKaPaPKlPlN2at6native12_GLOBAL__N_18offset_tEEE10hipError_tPvRmT1_PNSt15iterator_traitsIS12_E10value_typeET2_T3_PNS13_IS18_E10value_typeET4_jRbjT5_S1E_jjP12ihipStream_tbEUljE_ZNSN_ISO_Lb1ESQ_SR_ST_SU_SY_EESZ_S10_S11_S12_S16_S17_S18_S1B_S1C_jS1D_jS1E_S1E_jjS1G_bEUljE0_EEESZ_S10_S11_S18_S1C_S1E_T6_T7_T9_mT8_S1G_bDpT10_ENKUlT_T0_E_clISt17integral_constantIbLb0EES1T_IbLb1EEEEDaS1P_S1Q_EUlS1P_E_NS1_11comp_targetILNS1_3genE10ELNS1_11target_archE1200ELNS1_3gpuE4ELNS1_3repE0EEENS1_30default_config_static_selectorELNS0_4arch9wavefront6targetE1EEEvS12_.kd
    .uniform_work_group_size: 1
    .uses_dynamic_stack: false
    .vgpr_count:     0
    .vgpr_spill_count: 0
    .wavefront_size: 64
  - .agpr_count:     0
    .args:
      - .offset:         0
        .size:           184
        .value_kind:     by_value
    .group_segment_fixed_size: 0
    .kernarg_segment_align: 8
    .kernarg_segment_size: 184
    .language:       OpenCL C
    .language_version:
      - 2
      - 0
    .max_flat_workgroup_size: 256
    .name:           _ZN7rocprim17ROCPRIM_400000_NS6detail17trampoline_kernelINS0_13select_configILj256ELj13ELNS0_17block_load_methodE3ELS4_3ELS4_3ELNS0_20block_scan_algorithmE0ELj4294967295EEENS1_25partition_config_selectorILNS1_17partition_subalgoE4EjNS0_10empty_typeEbEEZZNS1_14partition_implILS8_4ELb0ES6_15HIP_vector_typeIjLj2EENS0_17counting_iteratorIjlEEPS9_SG_NS0_5tupleIJPjSI_NS0_16reverse_iteratorISI_EEEEENSH_IJSG_SG_SG_EEES9_SI_JZNS1_25segmented_radix_sort_implINS0_14default_configELb1EPKaPaPKlPlN2at6native12_GLOBAL__N_18offset_tEEE10hipError_tPvRmT1_PNSt15iterator_traitsIS12_E10value_typeET2_T3_PNS13_IS18_E10value_typeET4_jRbjT5_S1E_jjP12ihipStream_tbEUljE_ZNSN_ISO_Lb1ESQ_SR_ST_SU_SY_EESZ_S10_S11_S12_S16_S17_S18_S1B_S1C_jS1D_jS1E_S1E_jjS1G_bEUljE0_EEESZ_S10_S11_S18_S1C_S1E_T6_T7_T9_mT8_S1G_bDpT10_ENKUlT_T0_E_clISt17integral_constantIbLb0EES1T_IbLb1EEEEDaS1P_S1Q_EUlS1P_E_NS1_11comp_targetILNS1_3genE9ELNS1_11target_archE1100ELNS1_3gpuE3ELNS1_3repE0EEENS1_30default_config_static_selectorELNS0_4arch9wavefront6targetE1EEEvS12_
    .private_segment_fixed_size: 0
    .sgpr_count:     4
    .sgpr_spill_count: 0
    .symbol:         _ZN7rocprim17ROCPRIM_400000_NS6detail17trampoline_kernelINS0_13select_configILj256ELj13ELNS0_17block_load_methodE3ELS4_3ELS4_3ELNS0_20block_scan_algorithmE0ELj4294967295EEENS1_25partition_config_selectorILNS1_17partition_subalgoE4EjNS0_10empty_typeEbEEZZNS1_14partition_implILS8_4ELb0ES6_15HIP_vector_typeIjLj2EENS0_17counting_iteratorIjlEEPS9_SG_NS0_5tupleIJPjSI_NS0_16reverse_iteratorISI_EEEEENSH_IJSG_SG_SG_EEES9_SI_JZNS1_25segmented_radix_sort_implINS0_14default_configELb1EPKaPaPKlPlN2at6native12_GLOBAL__N_18offset_tEEE10hipError_tPvRmT1_PNSt15iterator_traitsIS12_E10value_typeET2_T3_PNS13_IS18_E10value_typeET4_jRbjT5_S1E_jjP12ihipStream_tbEUljE_ZNSN_ISO_Lb1ESQ_SR_ST_SU_SY_EESZ_S10_S11_S12_S16_S17_S18_S1B_S1C_jS1D_jS1E_S1E_jjS1G_bEUljE0_EEESZ_S10_S11_S18_S1C_S1E_T6_T7_T9_mT8_S1G_bDpT10_ENKUlT_T0_E_clISt17integral_constantIbLb0EES1T_IbLb1EEEEDaS1P_S1Q_EUlS1P_E_NS1_11comp_targetILNS1_3genE9ELNS1_11target_archE1100ELNS1_3gpuE3ELNS1_3repE0EEENS1_30default_config_static_selectorELNS0_4arch9wavefront6targetE1EEEvS12_.kd
    .uniform_work_group_size: 1
    .uses_dynamic_stack: false
    .vgpr_count:     0
    .vgpr_spill_count: 0
    .wavefront_size: 64
  - .agpr_count:     0
    .args:
      - .offset:         0
        .size:           184
        .value_kind:     by_value
    .group_segment_fixed_size: 0
    .kernarg_segment_align: 8
    .kernarg_segment_size: 184
    .language:       OpenCL C
    .language_version:
      - 2
      - 0
    .max_flat_workgroup_size: 256
    .name:           _ZN7rocprim17ROCPRIM_400000_NS6detail17trampoline_kernelINS0_13select_configILj256ELj13ELNS0_17block_load_methodE3ELS4_3ELS4_3ELNS0_20block_scan_algorithmE0ELj4294967295EEENS1_25partition_config_selectorILNS1_17partition_subalgoE4EjNS0_10empty_typeEbEEZZNS1_14partition_implILS8_4ELb0ES6_15HIP_vector_typeIjLj2EENS0_17counting_iteratorIjlEEPS9_SG_NS0_5tupleIJPjSI_NS0_16reverse_iteratorISI_EEEEENSH_IJSG_SG_SG_EEES9_SI_JZNS1_25segmented_radix_sort_implINS0_14default_configELb1EPKaPaPKlPlN2at6native12_GLOBAL__N_18offset_tEEE10hipError_tPvRmT1_PNSt15iterator_traitsIS12_E10value_typeET2_T3_PNS13_IS18_E10value_typeET4_jRbjT5_S1E_jjP12ihipStream_tbEUljE_ZNSN_ISO_Lb1ESQ_SR_ST_SU_SY_EESZ_S10_S11_S12_S16_S17_S18_S1B_S1C_jS1D_jS1E_S1E_jjS1G_bEUljE0_EEESZ_S10_S11_S18_S1C_S1E_T6_T7_T9_mT8_S1G_bDpT10_ENKUlT_T0_E_clISt17integral_constantIbLb0EES1T_IbLb1EEEEDaS1P_S1Q_EUlS1P_E_NS1_11comp_targetILNS1_3genE8ELNS1_11target_archE1030ELNS1_3gpuE2ELNS1_3repE0EEENS1_30default_config_static_selectorELNS0_4arch9wavefront6targetE1EEEvS12_
    .private_segment_fixed_size: 0
    .sgpr_count:     4
    .sgpr_spill_count: 0
    .symbol:         _ZN7rocprim17ROCPRIM_400000_NS6detail17trampoline_kernelINS0_13select_configILj256ELj13ELNS0_17block_load_methodE3ELS4_3ELS4_3ELNS0_20block_scan_algorithmE0ELj4294967295EEENS1_25partition_config_selectorILNS1_17partition_subalgoE4EjNS0_10empty_typeEbEEZZNS1_14partition_implILS8_4ELb0ES6_15HIP_vector_typeIjLj2EENS0_17counting_iteratorIjlEEPS9_SG_NS0_5tupleIJPjSI_NS0_16reverse_iteratorISI_EEEEENSH_IJSG_SG_SG_EEES9_SI_JZNS1_25segmented_radix_sort_implINS0_14default_configELb1EPKaPaPKlPlN2at6native12_GLOBAL__N_18offset_tEEE10hipError_tPvRmT1_PNSt15iterator_traitsIS12_E10value_typeET2_T3_PNS13_IS18_E10value_typeET4_jRbjT5_S1E_jjP12ihipStream_tbEUljE_ZNSN_ISO_Lb1ESQ_SR_ST_SU_SY_EESZ_S10_S11_S12_S16_S17_S18_S1B_S1C_jS1D_jS1E_S1E_jjS1G_bEUljE0_EEESZ_S10_S11_S18_S1C_S1E_T6_T7_T9_mT8_S1G_bDpT10_ENKUlT_T0_E_clISt17integral_constantIbLb0EES1T_IbLb1EEEEDaS1P_S1Q_EUlS1P_E_NS1_11comp_targetILNS1_3genE8ELNS1_11target_archE1030ELNS1_3gpuE2ELNS1_3repE0EEENS1_30default_config_static_selectorELNS0_4arch9wavefront6targetE1EEEvS12_.kd
    .uniform_work_group_size: 1
    .uses_dynamic_stack: false
    .vgpr_count:     0
    .vgpr_spill_count: 0
    .wavefront_size: 64
  - .agpr_count:     0
    .args:
      - .offset:         0
        .size:           144
        .value_kind:     by_value
    .group_segment_fixed_size: 0
    .kernarg_segment_align: 8
    .kernarg_segment_size: 144
    .language:       OpenCL C
    .language_version:
      - 2
      - 0
    .max_flat_workgroup_size: 256
    .name:           _ZN7rocprim17ROCPRIM_400000_NS6detail17trampoline_kernelINS0_13select_configILj256ELj13ELNS0_17block_load_methodE3ELS4_3ELS4_3ELNS0_20block_scan_algorithmE0ELj4294967295EEENS1_25partition_config_selectorILNS1_17partition_subalgoE3EjNS0_10empty_typeEbEEZZNS1_14partition_implILS8_3ELb0ES6_jNS0_17counting_iteratorIjlEEPS9_SE_NS0_5tupleIJPjSE_EEENSF_IJSE_SE_EEES9_SG_JZNS1_25segmented_radix_sort_implINS0_14default_configELb1EPKaPaPKlPlN2at6native12_GLOBAL__N_18offset_tEEE10hipError_tPvRmT1_PNSt15iterator_traitsISY_E10value_typeET2_T3_PNSZ_IS14_E10value_typeET4_jRbjT5_S1A_jjP12ihipStream_tbEUljE_EEESV_SW_SX_S14_S18_S1A_T6_T7_T9_mT8_S1C_bDpT10_ENKUlT_T0_E_clISt17integral_constantIbLb0EES1P_EEDaS1K_S1L_EUlS1K_E_NS1_11comp_targetILNS1_3genE0ELNS1_11target_archE4294967295ELNS1_3gpuE0ELNS1_3repE0EEENS1_30default_config_static_selectorELNS0_4arch9wavefront6targetE1EEEvSY_
    .private_segment_fixed_size: 0
    .sgpr_count:     4
    .sgpr_spill_count: 0
    .symbol:         _ZN7rocprim17ROCPRIM_400000_NS6detail17trampoline_kernelINS0_13select_configILj256ELj13ELNS0_17block_load_methodE3ELS4_3ELS4_3ELNS0_20block_scan_algorithmE0ELj4294967295EEENS1_25partition_config_selectorILNS1_17partition_subalgoE3EjNS0_10empty_typeEbEEZZNS1_14partition_implILS8_3ELb0ES6_jNS0_17counting_iteratorIjlEEPS9_SE_NS0_5tupleIJPjSE_EEENSF_IJSE_SE_EEES9_SG_JZNS1_25segmented_radix_sort_implINS0_14default_configELb1EPKaPaPKlPlN2at6native12_GLOBAL__N_18offset_tEEE10hipError_tPvRmT1_PNSt15iterator_traitsISY_E10value_typeET2_T3_PNSZ_IS14_E10value_typeET4_jRbjT5_S1A_jjP12ihipStream_tbEUljE_EEESV_SW_SX_S14_S18_S1A_T6_T7_T9_mT8_S1C_bDpT10_ENKUlT_T0_E_clISt17integral_constantIbLb0EES1P_EEDaS1K_S1L_EUlS1K_E_NS1_11comp_targetILNS1_3genE0ELNS1_11target_archE4294967295ELNS1_3gpuE0ELNS1_3repE0EEENS1_30default_config_static_selectorELNS0_4arch9wavefront6targetE1EEEvSY_.kd
    .uniform_work_group_size: 1
    .uses_dynamic_stack: false
    .vgpr_count:     0
    .vgpr_spill_count: 0
    .wavefront_size: 64
  - .agpr_count:     0
    .args:
      - .offset:         0
        .size:           144
        .value_kind:     by_value
    .group_segment_fixed_size: 0
    .kernarg_segment_align: 8
    .kernarg_segment_size: 144
    .language:       OpenCL C
    .language_version:
      - 2
      - 0
    .max_flat_workgroup_size: 256
    .name:           _ZN7rocprim17ROCPRIM_400000_NS6detail17trampoline_kernelINS0_13select_configILj256ELj13ELNS0_17block_load_methodE3ELS4_3ELS4_3ELNS0_20block_scan_algorithmE0ELj4294967295EEENS1_25partition_config_selectorILNS1_17partition_subalgoE3EjNS0_10empty_typeEbEEZZNS1_14partition_implILS8_3ELb0ES6_jNS0_17counting_iteratorIjlEEPS9_SE_NS0_5tupleIJPjSE_EEENSF_IJSE_SE_EEES9_SG_JZNS1_25segmented_radix_sort_implINS0_14default_configELb1EPKaPaPKlPlN2at6native12_GLOBAL__N_18offset_tEEE10hipError_tPvRmT1_PNSt15iterator_traitsISY_E10value_typeET2_T3_PNSZ_IS14_E10value_typeET4_jRbjT5_S1A_jjP12ihipStream_tbEUljE_EEESV_SW_SX_S14_S18_S1A_T6_T7_T9_mT8_S1C_bDpT10_ENKUlT_T0_E_clISt17integral_constantIbLb0EES1P_EEDaS1K_S1L_EUlS1K_E_NS1_11comp_targetILNS1_3genE5ELNS1_11target_archE942ELNS1_3gpuE9ELNS1_3repE0EEENS1_30default_config_static_selectorELNS0_4arch9wavefront6targetE1EEEvSY_
    .private_segment_fixed_size: 0
    .sgpr_count:     4
    .sgpr_spill_count: 0
    .symbol:         _ZN7rocprim17ROCPRIM_400000_NS6detail17trampoline_kernelINS0_13select_configILj256ELj13ELNS0_17block_load_methodE3ELS4_3ELS4_3ELNS0_20block_scan_algorithmE0ELj4294967295EEENS1_25partition_config_selectorILNS1_17partition_subalgoE3EjNS0_10empty_typeEbEEZZNS1_14partition_implILS8_3ELb0ES6_jNS0_17counting_iteratorIjlEEPS9_SE_NS0_5tupleIJPjSE_EEENSF_IJSE_SE_EEES9_SG_JZNS1_25segmented_radix_sort_implINS0_14default_configELb1EPKaPaPKlPlN2at6native12_GLOBAL__N_18offset_tEEE10hipError_tPvRmT1_PNSt15iterator_traitsISY_E10value_typeET2_T3_PNSZ_IS14_E10value_typeET4_jRbjT5_S1A_jjP12ihipStream_tbEUljE_EEESV_SW_SX_S14_S18_S1A_T6_T7_T9_mT8_S1C_bDpT10_ENKUlT_T0_E_clISt17integral_constantIbLb0EES1P_EEDaS1K_S1L_EUlS1K_E_NS1_11comp_targetILNS1_3genE5ELNS1_11target_archE942ELNS1_3gpuE9ELNS1_3repE0EEENS1_30default_config_static_selectorELNS0_4arch9wavefront6targetE1EEEvSY_.kd
    .uniform_work_group_size: 1
    .uses_dynamic_stack: false
    .vgpr_count:     0
    .vgpr_spill_count: 0
    .wavefront_size: 64
  - .agpr_count:     0
    .args:
      - .offset:         0
        .size:           144
        .value_kind:     by_value
    .group_segment_fixed_size: 13324
    .kernarg_segment_align: 8
    .kernarg_segment_size: 144
    .language:       OpenCL C
    .language_version:
      - 2
      - 0
    .max_flat_workgroup_size: 256
    .name:           _ZN7rocprim17ROCPRIM_400000_NS6detail17trampoline_kernelINS0_13select_configILj256ELj13ELNS0_17block_load_methodE3ELS4_3ELS4_3ELNS0_20block_scan_algorithmE0ELj4294967295EEENS1_25partition_config_selectorILNS1_17partition_subalgoE3EjNS0_10empty_typeEbEEZZNS1_14partition_implILS8_3ELb0ES6_jNS0_17counting_iteratorIjlEEPS9_SE_NS0_5tupleIJPjSE_EEENSF_IJSE_SE_EEES9_SG_JZNS1_25segmented_radix_sort_implINS0_14default_configELb1EPKaPaPKlPlN2at6native12_GLOBAL__N_18offset_tEEE10hipError_tPvRmT1_PNSt15iterator_traitsISY_E10value_typeET2_T3_PNSZ_IS14_E10value_typeET4_jRbjT5_S1A_jjP12ihipStream_tbEUljE_EEESV_SW_SX_S14_S18_S1A_T6_T7_T9_mT8_S1C_bDpT10_ENKUlT_T0_E_clISt17integral_constantIbLb0EES1P_EEDaS1K_S1L_EUlS1K_E_NS1_11comp_targetILNS1_3genE4ELNS1_11target_archE910ELNS1_3gpuE8ELNS1_3repE0EEENS1_30default_config_static_selectorELNS0_4arch9wavefront6targetE1EEEvSY_
    .private_segment_fixed_size: 0
    .sgpr_count:     50
    .sgpr_spill_count: 0
    .symbol:         _ZN7rocprim17ROCPRIM_400000_NS6detail17trampoline_kernelINS0_13select_configILj256ELj13ELNS0_17block_load_methodE3ELS4_3ELS4_3ELNS0_20block_scan_algorithmE0ELj4294967295EEENS1_25partition_config_selectorILNS1_17partition_subalgoE3EjNS0_10empty_typeEbEEZZNS1_14partition_implILS8_3ELb0ES6_jNS0_17counting_iteratorIjlEEPS9_SE_NS0_5tupleIJPjSE_EEENSF_IJSE_SE_EEES9_SG_JZNS1_25segmented_radix_sort_implINS0_14default_configELb1EPKaPaPKlPlN2at6native12_GLOBAL__N_18offset_tEEE10hipError_tPvRmT1_PNSt15iterator_traitsISY_E10value_typeET2_T3_PNSZ_IS14_E10value_typeET4_jRbjT5_S1A_jjP12ihipStream_tbEUljE_EEESV_SW_SX_S14_S18_S1A_T6_T7_T9_mT8_S1C_bDpT10_ENKUlT_T0_E_clISt17integral_constantIbLb0EES1P_EEDaS1K_S1L_EUlS1K_E_NS1_11comp_targetILNS1_3genE4ELNS1_11target_archE910ELNS1_3gpuE8ELNS1_3repE0EEENS1_30default_config_static_selectorELNS0_4arch9wavefront6targetE1EEEvSY_.kd
    .uniform_work_group_size: 1
    .uses_dynamic_stack: false
    .vgpr_count:     61
    .vgpr_spill_count: 0
    .wavefront_size: 64
  - .agpr_count:     0
    .args:
      - .offset:         0
        .size:           144
        .value_kind:     by_value
    .group_segment_fixed_size: 0
    .kernarg_segment_align: 8
    .kernarg_segment_size: 144
    .language:       OpenCL C
    .language_version:
      - 2
      - 0
    .max_flat_workgroup_size: 256
    .name:           _ZN7rocprim17ROCPRIM_400000_NS6detail17trampoline_kernelINS0_13select_configILj256ELj13ELNS0_17block_load_methodE3ELS4_3ELS4_3ELNS0_20block_scan_algorithmE0ELj4294967295EEENS1_25partition_config_selectorILNS1_17partition_subalgoE3EjNS0_10empty_typeEbEEZZNS1_14partition_implILS8_3ELb0ES6_jNS0_17counting_iteratorIjlEEPS9_SE_NS0_5tupleIJPjSE_EEENSF_IJSE_SE_EEES9_SG_JZNS1_25segmented_radix_sort_implINS0_14default_configELb1EPKaPaPKlPlN2at6native12_GLOBAL__N_18offset_tEEE10hipError_tPvRmT1_PNSt15iterator_traitsISY_E10value_typeET2_T3_PNSZ_IS14_E10value_typeET4_jRbjT5_S1A_jjP12ihipStream_tbEUljE_EEESV_SW_SX_S14_S18_S1A_T6_T7_T9_mT8_S1C_bDpT10_ENKUlT_T0_E_clISt17integral_constantIbLb0EES1P_EEDaS1K_S1L_EUlS1K_E_NS1_11comp_targetILNS1_3genE3ELNS1_11target_archE908ELNS1_3gpuE7ELNS1_3repE0EEENS1_30default_config_static_selectorELNS0_4arch9wavefront6targetE1EEEvSY_
    .private_segment_fixed_size: 0
    .sgpr_count:     4
    .sgpr_spill_count: 0
    .symbol:         _ZN7rocprim17ROCPRIM_400000_NS6detail17trampoline_kernelINS0_13select_configILj256ELj13ELNS0_17block_load_methodE3ELS4_3ELS4_3ELNS0_20block_scan_algorithmE0ELj4294967295EEENS1_25partition_config_selectorILNS1_17partition_subalgoE3EjNS0_10empty_typeEbEEZZNS1_14partition_implILS8_3ELb0ES6_jNS0_17counting_iteratorIjlEEPS9_SE_NS0_5tupleIJPjSE_EEENSF_IJSE_SE_EEES9_SG_JZNS1_25segmented_radix_sort_implINS0_14default_configELb1EPKaPaPKlPlN2at6native12_GLOBAL__N_18offset_tEEE10hipError_tPvRmT1_PNSt15iterator_traitsISY_E10value_typeET2_T3_PNSZ_IS14_E10value_typeET4_jRbjT5_S1A_jjP12ihipStream_tbEUljE_EEESV_SW_SX_S14_S18_S1A_T6_T7_T9_mT8_S1C_bDpT10_ENKUlT_T0_E_clISt17integral_constantIbLb0EES1P_EEDaS1K_S1L_EUlS1K_E_NS1_11comp_targetILNS1_3genE3ELNS1_11target_archE908ELNS1_3gpuE7ELNS1_3repE0EEENS1_30default_config_static_selectorELNS0_4arch9wavefront6targetE1EEEvSY_.kd
    .uniform_work_group_size: 1
    .uses_dynamic_stack: false
    .vgpr_count:     0
    .vgpr_spill_count: 0
    .wavefront_size: 64
  - .agpr_count:     0
    .args:
      - .offset:         0
        .size:           144
        .value_kind:     by_value
    .group_segment_fixed_size: 0
    .kernarg_segment_align: 8
    .kernarg_segment_size: 144
    .language:       OpenCL C
    .language_version:
      - 2
      - 0
    .max_flat_workgroup_size: 256
    .name:           _ZN7rocprim17ROCPRIM_400000_NS6detail17trampoline_kernelINS0_13select_configILj256ELj13ELNS0_17block_load_methodE3ELS4_3ELS4_3ELNS0_20block_scan_algorithmE0ELj4294967295EEENS1_25partition_config_selectorILNS1_17partition_subalgoE3EjNS0_10empty_typeEbEEZZNS1_14partition_implILS8_3ELb0ES6_jNS0_17counting_iteratorIjlEEPS9_SE_NS0_5tupleIJPjSE_EEENSF_IJSE_SE_EEES9_SG_JZNS1_25segmented_radix_sort_implINS0_14default_configELb1EPKaPaPKlPlN2at6native12_GLOBAL__N_18offset_tEEE10hipError_tPvRmT1_PNSt15iterator_traitsISY_E10value_typeET2_T3_PNSZ_IS14_E10value_typeET4_jRbjT5_S1A_jjP12ihipStream_tbEUljE_EEESV_SW_SX_S14_S18_S1A_T6_T7_T9_mT8_S1C_bDpT10_ENKUlT_T0_E_clISt17integral_constantIbLb0EES1P_EEDaS1K_S1L_EUlS1K_E_NS1_11comp_targetILNS1_3genE2ELNS1_11target_archE906ELNS1_3gpuE6ELNS1_3repE0EEENS1_30default_config_static_selectorELNS0_4arch9wavefront6targetE1EEEvSY_
    .private_segment_fixed_size: 0
    .sgpr_count:     4
    .sgpr_spill_count: 0
    .symbol:         _ZN7rocprim17ROCPRIM_400000_NS6detail17trampoline_kernelINS0_13select_configILj256ELj13ELNS0_17block_load_methodE3ELS4_3ELS4_3ELNS0_20block_scan_algorithmE0ELj4294967295EEENS1_25partition_config_selectorILNS1_17partition_subalgoE3EjNS0_10empty_typeEbEEZZNS1_14partition_implILS8_3ELb0ES6_jNS0_17counting_iteratorIjlEEPS9_SE_NS0_5tupleIJPjSE_EEENSF_IJSE_SE_EEES9_SG_JZNS1_25segmented_radix_sort_implINS0_14default_configELb1EPKaPaPKlPlN2at6native12_GLOBAL__N_18offset_tEEE10hipError_tPvRmT1_PNSt15iterator_traitsISY_E10value_typeET2_T3_PNSZ_IS14_E10value_typeET4_jRbjT5_S1A_jjP12ihipStream_tbEUljE_EEESV_SW_SX_S14_S18_S1A_T6_T7_T9_mT8_S1C_bDpT10_ENKUlT_T0_E_clISt17integral_constantIbLb0EES1P_EEDaS1K_S1L_EUlS1K_E_NS1_11comp_targetILNS1_3genE2ELNS1_11target_archE906ELNS1_3gpuE6ELNS1_3repE0EEENS1_30default_config_static_selectorELNS0_4arch9wavefront6targetE1EEEvSY_.kd
    .uniform_work_group_size: 1
    .uses_dynamic_stack: false
    .vgpr_count:     0
    .vgpr_spill_count: 0
    .wavefront_size: 64
  - .agpr_count:     0
    .args:
      - .offset:         0
        .size:           144
        .value_kind:     by_value
    .group_segment_fixed_size: 0
    .kernarg_segment_align: 8
    .kernarg_segment_size: 144
    .language:       OpenCL C
    .language_version:
      - 2
      - 0
    .max_flat_workgroup_size: 256
    .name:           _ZN7rocprim17ROCPRIM_400000_NS6detail17trampoline_kernelINS0_13select_configILj256ELj13ELNS0_17block_load_methodE3ELS4_3ELS4_3ELNS0_20block_scan_algorithmE0ELj4294967295EEENS1_25partition_config_selectorILNS1_17partition_subalgoE3EjNS0_10empty_typeEbEEZZNS1_14partition_implILS8_3ELb0ES6_jNS0_17counting_iteratorIjlEEPS9_SE_NS0_5tupleIJPjSE_EEENSF_IJSE_SE_EEES9_SG_JZNS1_25segmented_radix_sort_implINS0_14default_configELb1EPKaPaPKlPlN2at6native12_GLOBAL__N_18offset_tEEE10hipError_tPvRmT1_PNSt15iterator_traitsISY_E10value_typeET2_T3_PNSZ_IS14_E10value_typeET4_jRbjT5_S1A_jjP12ihipStream_tbEUljE_EEESV_SW_SX_S14_S18_S1A_T6_T7_T9_mT8_S1C_bDpT10_ENKUlT_T0_E_clISt17integral_constantIbLb0EES1P_EEDaS1K_S1L_EUlS1K_E_NS1_11comp_targetILNS1_3genE10ELNS1_11target_archE1200ELNS1_3gpuE4ELNS1_3repE0EEENS1_30default_config_static_selectorELNS0_4arch9wavefront6targetE1EEEvSY_
    .private_segment_fixed_size: 0
    .sgpr_count:     4
    .sgpr_spill_count: 0
    .symbol:         _ZN7rocprim17ROCPRIM_400000_NS6detail17trampoline_kernelINS0_13select_configILj256ELj13ELNS0_17block_load_methodE3ELS4_3ELS4_3ELNS0_20block_scan_algorithmE0ELj4294967295EEENS1_25partition_config_selectorILNS1_17partition_subalgoE3EjNS0_10empty_typeEbEEZZNS1_14partition_implILS8_3ELb0ES6_jNS0_17counting_iteratorIjlEEPS9_SE_NS0_5tupleIJPjSE_EEENSF_IJSE_SE_EEES9_SG_JZNS1_25segmented_radix_sort_implINS0_14default_configELb1EPKaPaPKlPlN2at6native12_GLOBAL__N_18offset_tEEE10hipError_tPvRmT1_PNSt15iterator_traitsISY_E10value_typeET2_T3_PNSZ_IS14_E10value_typeET4_jRbjT5_S1A_jjP12ihipStream_tbEUljE_EEESV_SW_SX_S14_S18_S1A_T6_T7_T9_mT8_S1C_bDpT10_ENKUlT_T0_E_clISt17integral_constantIbLb0EES1P_EEDaS1K_S1L_EUlS1K_E_NS1_11comp_targetILNS1_3genE10ELNS1_11target_archE1200ELNS1_3gpuE4ELNS1_3repE0EEENS1_30default_config_static_selectorELNS0_4arch9wavefront6targetE1EEEvSY_.kd
    .uniform_work_group_size: 1
    .uses_dynamic_stack: false
    .vgpr_count:     0
    .vgpr_spill_count: 0
    .wavefront_size: 64
  - .agpr_count:     0
    .args:
      - .offset:         0
        .size:           144
        .value_kind:     by_value
    .group_segment_fixed_size: 0
    .kernarg_segment_align: 8
    .kernarg_segment_size: 144
    .language:       OpenCL C
    .language_version:
      - 2
      - 0
    .max_flat_workgroup_size: 256
    .name:           _ZN7rocprim17ROCPRIM_400000_NS6detail17trampoline_kernelINS0_13select_configILj256ELj13ELNS0_17block_load_methodE3ELS4_3ELS4_3ELNS0_20block_scan_algorithmE0ELj4294967295EEENS1_25partition_config_selectorILNS1_17partition_subalgoE3EjNS0_10empty_typeEbEEZZNS1_14partition_implILS8_3ELb0ES6_jNS0_17counting_iteratorIjlEEPS9_SE_NS0_5tupleIJPjSE_EEENSF_IJSE_SE_EEES9_SG_JZNS1_25segmented_radix_sort_implINS0_14default_configELb1EPKaPaPKlPlN2at6native12_GLOBAL__N_18offset_tEEE10hipError_tPvRmT1_PNSt15iterator_traitsISY_E10value_typeET2_T3_PNSZ_IS14_E10value_typeET4_jRbjT5_S1A_jjP12ihipStream_tbEUljE_EEESV_SW_SX_S14_S18_S1A_T6_T7_T9_mT8_S1C_bDpT10_ENKUlT_T0_E_clISt17integral_constantIbLb0EES1P_EEDaS1K_S1L_EUlS1K_E_NS1_11comp_targetILNS1_3genE9ELNS1_11target_archE1100ELNS1_3gpuE3ELNS1_3repE0EEENS1_30default_config_static_selectorELNS0_4arch9wavefront6targetE1EEEvSY_
    .private_segment_fixed_size: 0
    .sgpr_count:     4
    .sgpr_spill_count: 0
    .symbol:         _ZN7rocprim17ROCPRIM_400000_NS6detail17trampoline_kernelINS0_13select_configILj256ELj13ELNS0_17block_load_methodE3ELS4_3ELS4_3ELNS0_20block_scan_algorithmE0ELj4294967295EEENS1_25partition_config_selectorILNS1_17partition_subalgoE3EjNS0_10empty_typeEbEEZZNS1_14partition_implILS8_3ELb0ES6_jNS0_17counting_iteratorIjlEEPS9_SE_NS0_5tupleIJPjSE_EEENSF_IJSE_SE_EEES9_SG_JZNS1_25segmented_radix_sort_implINS0_14default_configELb1EPKaPaPKlPlN2at6native12_GLOBAL__N_18offset_tEEE10hipError_tPvRmT1_PNSt15iterator_traitsISY_E10value_typeET2_T3_PNSZ_IS14_E10value_typeET4_jRbjT5_S1A_jjP12ihipStream_tbEUljE_EEESV_SW_SX_S14_S18_S1A_T6_T7_T9_mT8_S1C_bDpT10_ENKUlT_T0_E_clISt17integral_constantIbLb0EES1P_EEDaS1K_S1L_EUlS1K_E_NS1_11comp_targetILNS1_3genE9ELNS1_11target_archE1100ELNS1_3gpuE3ELNS1_3repE0EEENS1_30default_config_static_selectorELNS0_4arch9wavefront6targetE1EEEvSY_.kd
    .uniform_work_group_size: 1
    .uses_dynamic_stack: false
    .vgpr_count:     0
    .vgpr_spill_count: 0
    .wavefront_size: 64
  - .agpr_count:     0
    .args:
      - .offset:         0
        .size:           144
        .value_kind:     by_value
    .group_segment_fixed_size: 0
    .kernarg_segment_align: 8
    .kernarg_segment_size: 144
    .language:       OpenCL C
    .language_version:
      - 2
      - 0
    .max_flat_workgroup_size: 256
    .name:           _ZN7rocprim17ROCPRIM_400000_NS6detail17trampoline_kernelINS0_13select_configILj256ELj13ELNS0_17block_load_methodE3ELS4_3ELS4_3ELNS0_20block_scan_algorithmE0ELj4294967295EEENS1_25partition_config_selectorILNS1_17partition_subalgoE3EjNS0_10empty_typeEbEEZZNS1_14partition_implILS8_3ELb0ES6_jNS0_17counting_iteratorIjlEEPS9_SE_NS0_5tupleIJPjSE_EEENSF_IJSE_SE_EEES9_SG_JZNS1_25segmented_radix_sort_implINS0_14default_configELb1EPKaPaPKlPlN2at6native12_GLOBAL__N_18offset_tEEE10hipError_tPvRmT1_PNSt15iterator_traitsISY_E10value_typeET2_T3_PNSZ_IS14_E10value_typeET4_jRbjT5_S1A_jjP12ihipStream_tbEUljE_EEESV_SW_SX_S14_S18_S1A_T6_T7_T9_mT8_S1C_bDpT10_ENKUlT_T0_E_clISt17integral_constantIbLb0EES1P_EEDaS1K_S1L_EUlS1K_E_NS1_11comp_targetILNS1_3genE8ELNS1_11target_archE1030ELNS1_3gpuE2ELNS1_3repE0EEENS1_30default_config_static_selectorELNS0_4arch9wavefront6targetE1EEEvSY_
    .private_segment_fixed_size: 0
    .sgpr_count:     4
    .sgpr_spill_count: 0
    .symbol:         _ZN7rocprim17ROCPRIM_400000_NS6detail17trampoline_kernelINS0_13select_configILj256ELj13ELNS0_17block_load_methodE3ELS4_3ELS4_3ELNS0_20block_scan_algorithmE0ELj4294967295EEENS1_25partition_config_selectorILNS1_17partition_subalgoE3EjNS0_10empty_typeEbEEZZNS1_14partition_implILS8_3ELb0ES6_jNS0_17counting_iteratorIjlEEPS9_SE_NS0_5tupleIJPjSE_EEENSF_IJSE_SE_EEES9_SG_JZNS1_25segmented_radix_sort_implINS0_14default_configELb1EPKaPaPKlPlN2at6native12_GLOBAL__N_18offset_tEEE10hipError_tPvRmT1_PNSt15iterator_traitsISY_E10value_typeET2_T3_PNSZ_IS14_E10value_typeET4_jRbjT5_S1A_jjP12ihipStream_tbEUljE_EEESV_SW_SX_S14_S18_S1A_T6_T7_T9_mT8_S1C_bDpT10_ENKUlT_T0_E_clISt17integral_constantIbLb0EES1P_EEDaS1K_S1L_EUlS1K_E_NS1_11comp_targetILNS1_3genE8ELNS1_11target_archE1030ELNS1_3gpuE2ELNS1_3repE0EEENS1_30default_config_static_selectorELNS0_4arch9wavefront6targetE1EEEvSY_.kd
    .uniform_work_group_size: 1
    .uses_dynamic_stack: false
    .vgpr_count:     0
    .vgpr_spill_count: 0
    .wavefront_size: 64
  - .agpr_count:     0
    .args:
      - .offset:         0
        .size:           152
        .value_kind:     by_value
    .group_segment_fixed_size: 0
    .kernarg_segment_align: 8
    .kernarg_segment_size: 152
    .language:       OpenCL C
    .language_version:
      - 2
      - 0
    .max_flat_workgroup_size: 256
    .name:           _ZN7rocprim17ROCPRIM_400000_NS6detail17trampoline_kernelINS0_13select_configILj256ELj13ELNS0_17block_load_methodE3ELS4_3ELS4_3ELNS0_20block_scan_algorithmE0ELj4294967295EEENS1_25partition_config_selectorILNS1_17partition_subalgoE3EjNS0_10empty_typeEbEEZZNS1_14partition_implILS8_3ELb0ES6_jNS0_17counting_iteratorIjlEEPS9_SE_NS0_5tupleIJPjSE_EEENSF_IJSE_SE_EEES9_SG_JZNS1_25segmented_radix_sort_implINS0_14default_configELb1EPKaPaPKlPlN2at6native12_GLOBAL__N_18offset_tEEE10hipError_tPvRmT1_PNSt15iterator_traitsISY_E10value_typeET2_T3_PNSZ_IS14_E10value_typeET4_jRbjT5_S1A_jjP12ihipStream_tbEUljE_EEESV_SW_SX_S14_S18_S1A_T6_T7_T9_mT8_S1C_bDpT10_ENKUlT_T0_E_clISt17integral_constantIbLb1EES1P_EEDaS1K_S1L_EUlS1K_E_NS1_11comp_targetILNS1_3genE0ELNS1_11target_archE4294967295ELNS1_3gpuE0ELNS1_3repE0EEENS1_30default_config_static_selectorELNS0_4arch9wavefront6targetE1EEEvSY_
    .private_segment_fixed_size: 0
    .sgpr_count:     4
    .sgpr_spill_count: 0
    .symbol:         _ZN7rocprim17ROCPRIM_400000_NS6detail17trampoline_kernelINS0_13select_configILj256ELj13ELNS0_17block_load_methodE3ELS4_3ELS4_3ELNS0_20block_scan_algorithmE0ELj4294967295EEENS1_25partition_config_selectorILNS1_17partition_subalgoE3EjNS0_10empty_typeEbEEZZNS1_14partition_implILS8_3ELb0ES6_jNS0_17counting_iteratorIjlEEPS9_SE_NS0_5tupleIJPjSE_EEENSF_IJSE_SE_EEES9_SG_JZNS1_25segmented_radix_sort_implINS0_14default_configELb1EPKaPaPKlPlN2at6native12_GLOBAL__N_18offset_tEEE10hipError_tPvRmT1_PNSt15iterator_traitsISY_E10value_typeET2_T3_PNSZ_IS14_E10value_typeET4_jRbjT5_S1A_jjP12ihipStream_tbEUljE_EEESV_SW_SX_S14_S18_S1A_T6_T7_T9_mT8_S1C_bDpT10_ENKUlT_T0_E_clISt17integral_constantIbLb1EES1P_EEDaS1K_S1L_EUlS1K_E_NS1_11comp_targetILNS1_3genE0ELNS1_11target_archE4294967295ELNS1_3gpuE0ELNS1_3repE0EEENS1_30default_config_static_selectorELNS0_4arch9wavefront6targetE1EEEvSY_.kd
    .uniform_work_group_size: 1
    .uses_dynamic_stack: false
    .vgpr_count:     0
    .vgpr_spill_count: 0
    .wavefront_size: 64
  - .agpr_count:     0
    .args:
      - .offset:         0
        .size:           152
        .value_kind:     by_value
    .group_segment_fixed_size: 0
    .kernarg_segment_align: 8
    .kernarg_segment_size: 152
    .language:       OpenCL C
    .language_version:
      - 2
      - 0
    .max_flat_workgroup_size: 256
    .name:           _ZN7rocprim17ROCPRIM_400000_NS6detail17trampoline_kernelINS0_13select_configILj256ELj13ELNS0_17block_load_methodE3ELS4_3ELS4_3ELNS0_20block_scan_algorithmE0ELj4294967295EEENS1_25partition_config_selectorILNS1_17partition_subalgoE3EjNS0_10empty_typeEbEEZZNS1_14partition_implILS8_3ELb0ES6_jNS0_17counting_iteratorIjlEEPS9_SE_NS0_5tupleIJPjSE_EEENSF_IJSE_SE_EEES9_SG_JZNS1_25segmented_radix_sort_implINS0_14default_configELb1EPKaPaPKlPlN2at6native12_GLOBAL__N_18offset_tEEE10hipError_tPvRmT1_PNSt15iterator_traitsISY_E10value_typeET2_T3_PNSZ_IS14_E10value_typeET4_jRbjT5_S1A_jjP12ihipStream_tbEUljE_EEESV_SW_SX_S14_S18_S1A_T6_T7_T9_mT8_S1C_bDpT10_ENKUlT_T0_E_clISt17integral_constantIbLb1EES1P_EEDaS1K_S1L_EUlS1K_E_NS1_11comp_targetILNS1_3genE5ELNS1_11target_archE942ELNS1_3gpuE9ELNS1_3repE0EEENS1_30default_config_static_selectorELNS0_4arch9wavefront6targetE1EEEvSY_
    .private_segment_fixed_size: 0
    .sgpr_count:     4
    .sgpr_spill_count: 0
    .symbol:         _ZN7rocprim17ROCPRIM_400000_NS6detail17trampoline_kernelINS0_13select_configILj256ELj13ELNS0_17block_load_methodE3ELS4_3ELS4_3ELNS0_20block_scan_algorithmE0ELj4294967295EEENS1_25partition_config_selectorILNS1_17partition_subalgoE3EjNS0_10empty_typeEbEEZZNS1_14partition_implILS8_3ELb0ES6_jNS0_17counting_iteratorIjlEEPS9_SE_NS0_5tupleIJPjSE_EEENSF_IJSE_SE_EEES9_SG_JZNS1_25segmented_radix_sort_implINS0_14default_configELb1EPKaPaPKlPlN2at6native12_GLOBAL__N_18offset_tEEE10hipError_tPvRmT1_PNSt15iterator_traitsISY_E10value_typeET2_T3_PNSZ_IS14_E10value_typeET4_jRbjT5_S1A_jjP12ihipStream_tbEUljE_EEESV_SW_SX_S14_S18_S1A_T6_T7_T9_mT8_S1C_bDpT10_ENKUlT_T0_E_clISt17integral_constantIbLb1EES1P_EEDaS1K_S1L_EUlS1K_E_NS1_11comp_targetILNS1_3genE5ELNS1_11target_archE942ELNS1_3gpuE9ELNS1_3repE0EEENS1_30default_config_static_selectorELNS0_4arch9wavefront6targetE1EEEvSY_.kd
    .uniform_work_group_size: 1
    .uses_dynamic_stack: false
    .vgpr_count:     0
    .vgpr_spill_count: 0
    .wavefront_size: 64
  - .agpr_count:     0
    .args:
      - .offset:         0
        .size:           152
        .value_kind:     by_value
    .group_segment_fixed_size: 13324
    .kernarg_segment_align: 8
    .kernarg_segment_size: 152
    .language:       OpenCL C
    .language_version:
      - 2
      - 0
    .max_flat_workgroup_size: 256
    .name:           _ZN7rocprim17ROCPRIM_400000_NS6detail17trampoline_kernelINS0_13select_configILj256ELj13ELNS0_17block_load_methodE3ELS4_3ELS4_3ELNS0_20block_scan_algorithmE0ELj4294967295EEENS1_25partition_config_selectorILNS1_17partition_subalgoE3EjNS0_10empty_typeEbEEZZNS1_14partition_implILS8_3ELb0ES6_jNS0_17counting_iteratorIjlEEPS9_SE_NS0_5tupleIJPjSE_EEENSF_IJSE_SE_EEES9_SG_JZNS1_25segmented_radix_sort_implINS0_14default_configELb1EPKaPaPKlPlN2at6native12_GLOBAL__N_18offset_tEEE10hipError_tPvRmT1_PNSt15iterator_traitsISY_E10value_typeET2_T3_PNSZ_IS14_E10value_typeET4_jRbjT5_S1A_jjP12ihipStream_tbEUljE_EEESV_SW_SX_S14_S18_S1A_T6_T7_T9_mT8_S1C_bDpT10_ENKUlT_T0_E_clISt17integral_constantIbLb1EES1P_EEDaS1K_S1L_EUlS1K_E_NS1_11comp_targetILNS1_3genE4ELNS1_11target_archE910ELNS1_3gpuE8ELNS1_3repE0EEENS1_30default_config_static_selectorELNS0_4arch9wavefront6targetE1EEEvSY_
    .private_segment_fixed_size: 0
    .sgpr_count:     48
    .sgpr_spill_count: 0
    .symbol:         _ZN7rocprim17ROCPRIM_400000_NS6detail17trampoline_kernelINS0_13select_configILj256ELj13ELNS0_17block_load_methodE3ELS4_3ELS4_3ELNS0_20block_scan_algorithmE0ELj4294967295EEENS1_25partition_config_selectorILNS1_17partition_subalgoE3EjNS0_10empty_typeEbEEZZNS1_14partition_implILS8_3ELb0ES6_jNS0_17counting_iteratorIjlEEPS9_SE_NS0_5tupleIJPjSE_EEENSF_IJSE_SE_EEES9_SG_JZNS1_25segmented_radix_sort_implINS0_14default_configELb1EPKaPaPKlPlN2at6native12_GLOBAL__N_18offset_tEEE10hipError_tPvRmT1_PNSt15iterator_traitsISY_E10value_typeET2_T3_PNSZ_IS14_E10value_typeET4_jRbjT5_S1A_jjP12ihipStream_tbEUljE_EEESV_SW_SX_S14_S18_S1A_T6_T7_T9_mT8_S1C_bDpT10_ENKUlT_T0_E_clISt17integral_constantIbLb1EES1P_EEDaS1K_S1L_EUlS1K_E_NS1_11comp_targetILNS1_3genE4ELNS1_11target_archE910ELNS1_3gpuE8ELNS1_3repE0EEENS1_30default_config_static_selectorELNS0_4arch9wavefront6targetE1EEEvSY_.kd
    .uniform_work_group_size: 1
    .uses_dynamic_stack: false
    .vgpr_count:     64
    .vgpr_spill_count: 0
    .wavefront_size: 64
  - .agpr_count:     0
    .args:
      - .offset:         0
        .size:           152
        .value_kind:     by_value
    .group_segment_fixed_size: 0
    .kernarg_segment_align: 8
    .kernarg_segment_size: 152
    .language:       OpenCL C
    .language_version:
      - 2
      - 0
    .max_flat_workgroup_size: 256
    .name:           _ZN7rocprim17ROCPRIM_400000_NS6detail17trampoline_kernelINS0_13select_configILj256ELj13ELNS0_17block_load_methodE3ELS4_3ELS4_3ELNS0_20block_scan_algorithmE0ELj4294967295EEENS1_25partition_config_selectorILNS1_17partition_subalgoE3EjNS0_10empty_typeEbEEZZNS1_14partition_implILS8_3ELb0ES6_jNS0_17counting_iteratorIjlEEPS9_SE_NS0_5tupleIJPjSE_EEENSF_IJSE_SE_EEES9_SG_JZNS1_25segmented_radix_sort_implINS0_14default_configELb1EPKaPaPKlPlN2at6native12_GLOBAL__N_18offset_tEEE10hipError_tPvRmT1_PNSt15iterator_traitsISY_E10value_typeET2_T3_PNSZ_IS14_E10value_typeET4_jRbjT5_S1A_jjP12ihipStream_tbEUljE_EEESV_SW_SX_S14_S18_S1A_T6_T7_T9_mT8_S1C_bDpT10_ENKUlT_T0_E_clISt17integral_constantIbLb1EES1P_EEDaS1K_S1L_EUlS1K_E_NS1_11comp_targetILNS1_3genE3ELNS1_11target_archE908ELNS1_3gpuE7ELNS1_3repE0EEENS1_30default_config_static_selectorELNS0_4arch9wavefront6targetE1EEEvSY_
    .private_segment_fixed_size: 0
    .sgpr_count:     4
    .sgpr_spill_count: 0
    .symbol:         _ZN7rocprim17ROCPRIM_400000_NS6detail17trampoline_kernelINS0_13select_configILj256ELj13ELNS0_17block_load_methodE3ELS4_3ELS4_3ELNS0_20block_scan_algorithmE0ELj4294967295EEENS1_25partition_config_selectorILNS1_17partition_subalgoE3EjNS0_10empty_typeEbEEZZNS1_14partition_implILS8_3ELb0ES6_jNS0_17counting_iteratorIjlEEPS9_SE_NS0_5tupleIJPjSE_EEENSF_IJSE_SE_EEES9_SG_JZNS1_25segmented_radix_sort_implINS0_14default_configELb1EPKaPaPKlPlN2at6native12_GLOBAL__N_18offset_tEEE10hipError_tPvRmT1_PNSt15iterator_traitsISY_E10value_typeET2_T3_PNSZ_IS14_E10value_typeET4_jRbjT5_S1A_jjP12ihipStream_tbEUljE_EEESV_SW_SX_S14_S18_S1A_T6_T7_T9_mT8_S1C_bDpT10_ENKUlT_T0_E_clISt17integral_constantIbLb1EES1P_EEDaS1K_S1L_EUlS1K_E_NS1_11comp_targetILNS1_3genE3ELNS1_11target_archE908ELNS1_3gpuE7ELNS1_3repE0EEENS1_30default_config_static_selectorELNS0_4arch9wavefront6targetE1EEEvSY_.kd
    .uniform_work_group_size: 1
    .uses_dynamic_stack: false
    .vgpr_count:     0
    .vgpr_spill_count: 0
    .wavefront_size: 64
  - .agpr_count:     0
    .args:
      - .offset:         0
        .size:           152
        .value_kind:     by_value
    .group_segment_fixed_size: 0
    .kernarg_segment_align: 8
    .kernarg_segment_size: 152
    .language:       OpenCL C
    .language_version:
      - 2
      - 0
    .max_flat_workgroup_size: 256
    .name:           _ZN7rocprim17ROCPRIM_400000_NS6detail17trampoline_kernelINS0_13select_configILj256ELj13ELNS0_17block_load_methodE3ELS4_3ELS4_3ELNS0_20block_scan_algorithmE0ELj4294967295EEENS1_25partition_config_selectorILNS1_17partition_subalgoE3EjNS0_10empty_typeEbEEZZNS1_14partition_implILS8_3ELb0ES6_jNS0_17counting_iteratorIjlEEPS9_SE_NS0_5tupleIJPjSE_EEENSF_IJSE_SE_EEES9_SG_JZNS1_25segmented_radix_sort_implINS0_14default_configELb1EPKaPaPKlPlN2at6native12_GLOBAL__N_18offset_tEEE10hipError_tPvRmT1_PNSt15iterator_traitsISY_E10value_typeET2_T3_PNSZ_IS14_E10value_typeET4_jRbjT5_S1A_jjP12ihipStream_tbEUljE_EEESV_SW_SX_S14_S18_S1A_T6_T7_T9_mT8_S1C_bDpT10_ENKUlT_T0_E_clISt17integral_constantIbLb1EES1P_EEDaS1K_S1L_EUlS1K_E_NS1_11comp_targetILNS1_3genE2ELNS1_11target_archE906ELNS1_3gpuE6ELNS1_3repE0EEENS1_30default_config_static_selectorELNS0_4arch9wavefront6targetE1EEEvSY_
    .private_segment_fixed_size: 0
    .sgpr_count:     4
    .sgpr_spill_count: 0
    .symbol:         _ZN7rocprim17ROCPRIM_400000_NS6detail17trampoline_kernelINS0_13select_configILj256ELj13ELNS0_17block_load_methodE3ELS4_3ELS4_3ELNS0_20block_scan_algorithmE0ELj4294967295EEENS1_25partition_config_selectorILNS1_17partition_subalgoE3EjNS0_10empty_typeEbEEZZNS1_14partition_implILS8_3ELb0ES6_jNS0_17counting_iteratorIjlEEPS9_SE_NS0_5tupleIJPjSE_EEENSF_IJSE_SE_EEES9_SG_JZNS1_25segmented_radix_sort_implINS0_14default_configELb1EPKaPaPKlPlN2at6native12_GLOBAL__N_18offset_tEEE10hipError_tPvRmT1_PNSt15iterator_traitsISY_E10value_typeET2_T3_PNSZ_IS14_E10value_typeET4_jRbjT5_S1A_jjP12ihipStream_tbEUljE_EEESV_SW_SX_S14_S18_S1A_T6_T7_T9_mT8_S1C_bDpT10_ENKUlT_T0_E_clISt17integral_constantIbLb1EES1P_EEDaS1K_S1L_EUlS1K_E_NS1_11comp_targetILNS1_3genE2ELNS1_11target_archE906ELNS1_3gpuE6ELNS1_3repE0EEENS1_30default_config_static_selectorELNS0_4arch9wavefront6targetE1EEEvSY_.kd
    .uniform_work_group_size: 1
    .uses_dynamic_stack: false
    .vgpr_count:     0
    .vgpr_spill_count: 0
    .wavefront_size: 64
  - .agpr_count:     0
    .args:
      - .offset:         0
        .size:           152
        .value_kind:     by_value
    .group_segment_fixed_size: 0
    .kernarg_segment_align: 8
    .kernarg_segment_size: 152
    .language:       OpenCL C
    .language_version:
      - 2
      - 0
    .max_flat_workgroup_size: 256
    .name:           _ZN7rocprim17ROCPRIM_400000_NS6detail17trampoline_kernelINS0_13select_configILj256ELj13ELNS0_17block_load_methodE3ELS4_3ELS4_3ELNS0_20block_scan_algorithmE0ELj4294967295EEENS1_25partition_config_selectorILNS1_17partition_subalgoE3EjNS0_10empty_typeEbEEZZNS1_14partition_implILS8_3ELb0ES6_jNS0_17counting_iteratorIjlEEPS9_SE_NS0_5tupleIJPjSE_EEENSF_IJSE_SE_EEES9_SG_JZNS1_25segmented_radix_sort_implINS0_14default_configELb1EPKaPaPKlPlN2at6native12_GLOBAL__N_18offset_tEEE10hipError_tPvRmT1_PNSt15iterator_traitsISY_E10value_typeET2_T3_PNSZ_IS14_E10value_typeET4_jRbjT5_S1A_jjP12ihipStream_tbEUljE_EEESV_SW_SX_S14_S18_S1A_T6_T7_T9_mT8_S1C_bDpT10_ENKUlT_T0_E_clISt17integral_constantIbLb1EES1P_EEDaS1K_S1L_EUlS1K_E_NS1_11comp_targetILNS1_3genE10ELNS1_11target_archE1200ELNS1_3gpuE4ELNS1_3repE0EEENS1_30default_config_static_selectorELNS0_4arch9wavefront6targetE1EEEvSY_
    .private_segment_fixed_size: 0
    .sgpr_count:     4
    .sgpr_spill_count: 0
    .symbol:         _ZN7rocprim17ROCPRIM_400000_NS6detail17trampoline_kernelINS0_13select_configILj256ELj13ELNS0_17block_load_methodE3ELS4_3ELS4_3ELNS0_20block_scan_algorithmE0ELj4294967295EEENS1_25partition_config_selectorILNS1_17partition_subalgoE3EjNS0_10empty_typeEbEEZZNS1_14partition_implILS8_3ELb0ES6_jNS0_17counting_iteratorIjlEEPS9_SE_NS0_5tupleIJPjSE_EEENSF_IJSE_SE_EEES9_SG_JZNS1_25segmented_radix_sort_implINS0_14default_configELb1EPKaPaPKlPlN2at6native12_GLOBAL__N_18offset_tEEE10hipError_tPvRmT1_PNSt15iterator_traitsISY_E10value_typeET2_T3_PNSZ_IS14_E10value_typeET4_jRbjT5_S1A_jjP12ihipStream_tbEUljE_EEESV_SW_SX_S14_S18_S1A_T6_T7_T9_mT8_S1C_bDpT10_ENKUlT_T0_E_clISt17integral_constantIbLb1EES1P_EEDaS1K_S1L_EUlS1K_E_NS1_11comp_targetILNS1_3genE10ELNS1_11target_archE1200ELNS1_3gpuE4ELNS1_3repE0EEENS1_30default_config_static_selectorELNS0_4arch9wavefront6targetE1EEEvSY_.kd
    .uniform_work_group_size: 1
    .uses_dynamic_stack: false
    .vgpr_count:     0
    .vgpr_spill_count: 0
    .wavefront_size: 64
  - .agpr_count:     0
    .args:
      - .offset:         0
        .size:           152
        .value_kind:     by_value
    .group_segment_fixed_size: 0
    .kernarg_segment_align: 8
    .kernarg_segment_size: 152
    .language:       OpenCL C
    .language_version:
      - 2
      - 0
    .max_flat_workgroup_size: 256
    .name:           _ZN7rocprim17ROCPRIM_400000_NS6detail17trampoline_kernelINS0_13select_configILj256ELj13ELNS0_17block_load_methodE3ELS4_3ELS4_3ELNS0_20block_scan_algorithmE0ELj4294967295EEENS1_25partition_config_selectorILNS1_17partition_subalgoE3EjNS0_10empty_typeEbEEZZNS1_14partition_implILS8_3ELb0ES6_jNS0_17counting_iteratorIjlEEPS9_SE_NS0_5tupleIJPjSE_EEENSF_IJSE_SE_EEES9_SG_JZNS1_25segmented_radix_sort_implINS0_14default_configELb1EPKaPaPKlPlN2at6native12_GLOBAL__N_18offset_tEEE10hipError_tPvRmT1_PNSt15iterator_traitsISY_E10value_typeET2_T3_PNSZ_IS14_E10value_typeET4_jRbjT5_S1A_jjP12ihipStream_tbEUljE_EEESV_SW_SX_S14_S18_S1A_T6_T7_T9_mT8_S1C_bDpT10_ENKUlT_T0_E_clISt17integral_constantIbLb1EES1P_EEDaS1K_S1L_EUlS1K_E_NS1_11comp_targetILNS1_3genE9ELNS1_11target_archE1100ELNS1_3gpuE3ELNS1_3repE0EEENS1_30default_config_static_selectorELNS0_4arch9wavefront6targetE1EEEvSY_
    .private_segment_fixed_size: 0
    .sgpr_count:     4
    .sgpr_spill_count: 0
    .symbol:         _ZN7rocprim17ROCPRIM_400000_NS6detail17trampoline_kernelINS0_13select_configILj256ELj13ELNS0_17block_load_methodE3ELS4_3ELS4_3ELNS0_20block_scan_algorithmE0ELj4294967295EEENS1_25partition_config_selectorILNS1_17partition_subalgoE3EjNS0_10empty_typeEbEEZZNS1_14partition_implILS8_3ELb0ES6_jNS0_17counting_iteratorIjlEEPS9_SE_NS0_5tupleIJPjSE_EEENSF_IJSE_SE_EEES9_SG_JZNS1_25segmented_radix_sort_implINS0_14default_configELb1EPKaPaPKlPlN2at6native12_GLOBAL__N_18offset_tEEE10hipError_tPvRmT1_PNSt15iterator_traitsISY_E10value_typeET2_T3_PNSZ_IS14_E10value_typeET4_jRbjT5_S1A_jjP12ihipStream_tbEUljE_EEESV_SW_SX_S14_S18_S1A_T6_T7_T9_mT8_S1C_bDpT10_ENKUlT_T0_E_clISt17integral_constantIbLb1EES1P_EEDaS1K_S1L_EUlS1K_E_NS1_11comp_targetILNS1_3genE9ELNS1_11target_archE1100ELNS1_3gpuE3ELNS1_3repE0EEENS1_30default_config_static_selectorELNS0_4arch9wavefront6targetE1EEEvSY_.kd
    .uniform_work_group_size: 1
    .uses_dynamic_stack: false
    .vgpr_count:     0
    .vgpr_spill_count: 0
    .wavefront_size: 64
  - .agpr_count:     0
    .args:
      - .offset:         0
        .size:           152
        .value_kind:     by_value
    .group_segment_fixed_size: 0
    .kernarg_segment_align: 8
    .kernarg_segment_size: 152
    .language:       OpenCL C
    .language_version:
      - 2
      - 0
    .max_flat_workgroup_size: 256
    .name:           _ZN7rocprim17ROCPRIM_400000_NS6detail17trampoline_kernelINS0_13select_configILj256ELj13ELNS0_17block_load_methodE3ELS4_3ELS4_3ELNS0_20block_scan_algorithmE0ELj4294967295EEENS1_25partition_config_selectorILNS1_17partition_subalgoE3EjNS0_10empty_typeEbEEZZNS1_14partition_implILS8_3ELb0ES6_jNS0_17counting_iteratorIjlEEPS9_SE_NS0_5tupleIJPjSE_EEENSF_IJSE_SE_EEES9_SG_JZNS1_25segmented_radix_sort_implINS0_14default_configELb1EPKaPaPKlPlN2at6native12_GLOBAL__N_18offset_tEEE10hipError_tPvRmT1_PNSt15iterator_traitsISY_E10value_typeET2_T3_PNSZ_IS14_E10value_typeET4_jRbjT5_S1A_jjP12ihipStream_tbEUljE_EEESV_SW_SX_S14_S18_S1A_T6_T7_T9_mT8_S1C_bDpT10_ENKUlT_T0_E_clISt17integral_constantIbLb1EES1P_EEDaS1K_S1L_EUlS1K_E_NS1_11comp_targetILNS1_3genE8ELNS1_11target_archE1030ELNS1_3gpuE2ELNS1_3repE0EEENS1_30default_config_static_selectorELNS0_4arch9wavefront6targetE1EEEvSY_
    .private_segment_fixed_size: 0
    .sgpr_count:     4
    .sgpr_spill_count: 0
    .symbol:         _ZN7rocprim17ROCPRIM_400000_NS6detail17trampoline_kernelINS0_13select_configILj256ELj13ELNS0_17block_load_methodE3ELS4_3ELS4_3ELNS0_20block_scan_algorithmE0ELj4294967295EEENS1_25partition_config_selectorILNS1_17partition_subalgoE3EjNS0_10empty_typeEbEEZZNS1_14partition_implILS8_3ELb0ES6_jNS0_17counting_iteratorIjlEEPS9_SE_NS0_5tupleIJPjSE_EEENSF_IJSE_SE_EEES9_SG_JZNS1_25segmented_radix_sort_implINS0_14default_configELb1EPKaPaPKlPlN2at6native12_GLOBAL__N_18offset_tEEE10hipError_tPvRmT1_PNSt15iterator_traitsISY_E10value_typeET2_T3_PNSZ_IS14_E10value_typeET4_jRbjT5_S1A_jjP12ihipStream_tbEUljE_EEESV_SW_SX_S14_S18_S1A_T6_T7_T9_mT8_S1C_bDpT10_ENKUlT_T0_E_clISt17integral_constantIbLb1EES1P_EEDaS1K_S1L_EUlS1K_E_NS1_11comp_targetILNS1_3genE8ELNS1_11target_archE1030ELNS1_3gpuE2ELNS1_3repE0EEENS1_30default_config_static_selectorELNS0_4arch9wavefront6targetE1EEEvSY_.kd
    .uniform_work_group_size: 1
    .uses_dynamic_stack: false
    .vgpr_count:     0
    .vgpr_spill_count: 0
    .wavefront_size: 64
  - .agpr_count:     0
    .args:
      - .offset:         0
        .size:           144
        .value_kind:     by_value
    .group_segment_fixed_size: 0
    .kernarg_segment_align: 8
    .kernarg_segment_size: 144
    .language:       OpenCL C
    .language_version:
      - 2
      - 0
    .max_flat_workgroup_size: 256
    .name:           _ZN7rocprim17ROCPRIM_400000_NS6detail17trampoline_kernelINS0_13select_configILj256ELj13ELNS0_17block_load_methodE3ELS4_3ELS4_3ELNS0_20block_scan_algorithmE0ELj4294967295EEENS1_25partition_config_selectorILNS1_17partition_subalgoE3EjNS0_10empty_typeEbEEZZNS1_14partition_implILS8_3ELb0ES6_jNS0_17counting_iteratorIjlEEPS9_SE_NS0_5tupleIJPjSE_EEENSF_IJSE_SE_EEES9_SG_JZNS1_25segmented_radix_sort_implINS0_14default_configELb1EPKaPaPKlPlN2at6native12_GLOBAL__N_18offset_tEEE10hipError_tPvRmT1_PNSt15iterator_traitsISY_E10value_typeET2_T3_PNSZ_IS14_E10value_typeET4_jRbjT5_S1A_jjP12ihipStream_tbEUljE_EEESV_SW_SX_S14_S18_S1A_T6_T7_T9_mT8_S1C_bDpT10_ENKUlT_T0_E_clISt17integral_constantIbLb1EES1O_IbLb0EEEEDaS1K_S1L_EUlS1K_E_NS1_11comp_targetILNS1_3genE0ELNS1_11target_archE4294967295ELNS1_3gpuE0ELNS1_3repE0EEENS1_30default_config_static_selectorELNS0_4arch9wavefront6targetE1EEEvSY_
    .private_segment_fixed_size: 0
    .sgpr_count:     4
    .sgpr_spill_count: 0
    .symbol:         _ZN7rocprim17ROCPRIM_400000_NS6detail17trampoline_kernelINS0_13select_configILj256ELj13ELNS0_17block_load_methodE3ELS4_3ELS4_3ELNS0_20block_scan_algorithmE0ELj4294967295EEENS1_25partition_config_selectorILNS1_17partition_subalgoE3EjNS0_10empty_typeEbEEZZNS1_14partition_implILS8_3ELb0ES6_jNS0_17counting_iteratorIjlEEPS9_SE_NS0_5tupleIJPjSE_EEENSF_IJSE_SE_EEES9_SG_JZNS1_25segmented_radix_sort_implINS0_14default_configELb1EPKaPaPKlPlN2at6native12_GLOBAL__N_18offset_tEEE10hipError_tPvRmT1_PNSt15iterator_traitsISY_E10value_typeET2_T3_PNSZ_IS14_E10value_typeET4_jRbjT5_S1A_jjP12ihipStream_tbEUljE_EEESV_SW_SX_S14_S18_S1A_T6_T7_T9_mT8_S1C_bDpT10_ENKUlT_T0_E_clISt17integral_constantIbLb1EES1O_IbLb0EEEEDaS1K_S1L_EUlS1K_E_NS1_11comp_targetILNS1_3genE0ELNS1_11target_archE4294967295ELNS1_3gpuE0ELNS1_3repE0EEENS1_30default_config_static_selectorELNS0_4arch9wavefront6targetE1EEEvSY_.kd
    .uniform_work_group_size: 1
    .uses_dynamic_stack: false
    .vgpr_count:     0
    .vgpr_spill_count: 0
    .wavefront_size: 64
  - .agpr_count:     0
    .args:
      - .offset:         0
        .size:           144
        .value_kind:     by_value
    .group_segment_fixed_size: 0
    .kernarg_segment_align: 8
    .kernarg_segment_size: 144
    .language:       OpenCL C
    .language_version:
      - 2
      - 0
    .max_flat_workgroup_size: 256
    .name:           _ZN7rocprim17ROCPRIM_400000_NS6detail17trampoline_kernelINS0_13select_configILj256ELj13ELNS0_17block_load_methodE3ELS4_3ELS4_3ELNS0_20block_scan_algorithmE0ELj4294967295EEENS1_25partition_config_selectorILNS1_17partition_subalgoE3EjNS0_10empty_typeEbEEZZNS1_14partition_implILS8_3ELb0ES6_jNS0_17counting_iteratorIjlEEPS9_SE_NS0_5tupleIJPjSE_EEENSF_IJSE_SE_EEES9_SG_JZNS1_25segmented_radix_sort_implINS0_14default_configELb1EPKaPaPKlPlN2at6native12_GLOBAL__N_18offset_tEEE10hipError_tPvRmT1_PNSt15iterator_traitsISY_E10value_typeET2_T3_PNSZ_IS14_E10value_typeET4_jRbjT5_S1A_jjP12ihipStream_tbEUljE_EEESV_SW_SX_S14_S18_S1A_T6_T7_T9_mT8_S1C_bDpT10_ENKUlT_T0_E_clISt17integral_constantIbLb1EES1O_IbLb0EEEEDaS1K_S1L_EUlS1K_E_NS1_11comp_targetILNS1_3genE5ELNS1_11target_archE942ELNS1_3gpuE9ELNS1_3repE0EEENS1_30default_config_static_selectorELNS0_4arch9wavefront6targetE1EEEvSY_
    .private_segment_fixed_size: 0
    .sgpr_count:     4
    .sgpr_spill_count: 0
    .symbol:         _ZN7rocprim17ROCPRIM_400000_NS6detail17trampoline_kernelINS0_13select_configILj256ELj13ELNS0_17block_load_methodE3ELS4_3ELS4_3ELNS0_20block_scan_algorithmE0ELj4294967295EEENS1_25partition_config_selectorILNS1_17partition_subalgoE3EjNS0_10empty_typeEbEEZZNS1_14partition_implILS8_3ELb0ES6_jNS0_17counting_iteratorIjlEEPS9_SE_NS0_5tupleIJPjSE_EEENSF_IJSE_SE_EEES9_SG_JZNS1_25segmented_radix_sort_implINS0_14default_configELb1EPKaPaPKlPlN2at6native12_GLOBAL__N_18offset_tEEE10hipError_tPvRmT1_PNSt15iterator_traitsISY_E10value_typeET2_T3_PNSZ_IS14_E10value_typeET4_jRbjT5_S1A_jjP12ihipStream_tbEUljE_EEESV_SW_SX_S14_S18_S1A_T6_T7_T9_mT8_S1C_bDpT10_ENKUlT_T0_E_clISt17integral_constantIbLb1EES1O_IbLb0EEEEDaS1K_S1L_EUlS1K_E_NS1_11comp_targetILNS1_3genE5ELNS1_11target_archE942ELNS1_3gpuE9ELNS1_3repE0EEENS1_30default_config_static_selectorELNS0_4arch9wavefront6targetE1EEEvSY_.kd
    .uniform_work_group_size: 1
    .uses_dynamic_stack: false
    .vgpr_count:     0
    .vgpr_spill_count: 0
    .wavefront_size: 64
  - .agpr_count:     0
    .args:
      - .offset:         0
        .size:           144
        .value_kind:     by_value
    .group_segment_fixed_size: 13324
    .kernarg_segment_align: 8
    .kernarg_segment_size: 144
    .language:       OpenCL C
    .language_version:
      - 2
      - 0
    .max_flat_workgroup_size: 256
    .name:           _ZN7rocprim17ROCPRIM_400000_NS6detail17trampoline_kernelINS0_13select_configILj256ELj13ELNS0_17block_load_methodE3ELS4_3ELS4_3ELNS0_20block_scan_algorithmE0ELj4294967295EEENS1_25partition_config_selectorILNS1_17partition_subalgoE3EjNS0_10empty_typeEbEEZZNS1_14partition_implILS8_3ELb0ES6_jNS0_17counting_iteratorIjlEEPS9_SE_NS0_5tupleIJPjSE_EEENSF_IJSE_SE_EEES9_SG_JZNS1_25segmented_radix_sort_implINS0_14default_configELb1EPKaPaPKlPlN2at6native12_GLOBAL__N_18offset_tEEE10hipError_tPvRmT1_PNSt15iterator_traitsISY_E10value_typeET2_T3_PNSZ_IS14_E10value_typeET4_jRbjT5_S1A_jjP12ihipStream_tbEUljE_EEESV_SW_SX_S14_S18_S1A_T6_T7_T9_mT8_S1C_bDpT10_ENKUlT_T0_E_clISt17integral_constantIbLb1EES1O_IbLb0EEEEDaS1K_S1L_EUlS1K_E_NS1_11comp_targetILNS1_3genE4ELNS1_11target_archE910ELNS1_3gpuE8ELNS1_3repE0EEENS1_30default_config_static_selectorELNS0_4arch9wavefront6targetE1EEEvSY_
    .private_segment_fixed_size: 0
    .sgpr_count:     50
    .sgpr_spill_count: 0
    .symbol:         _ZN7rocprim17ROCPRIM_400000_NS6detail17trampoline_kernelINS0_13select_configILj256ELj13ELNS0_17block_load_methodE3ELS4_3ELS4_3ELNS0_20block_scan_algorithmE0ELj4294967295EEENS1_25partition_config_selectorILNS1_17partition_subalgoE3EjNS0_10empty_typeEbEEZZNS1_14partition_implILS8_3ELb0ES6_jNS0_17counting_iteratorIjlEEPS9_SE_NS0_5tupleIJPjSE_EEENSF_IJSE_SE_EEES9_SG_JZNS1_25segmented_radix_sort_implINS0_14default_configELb1EPKaPaPKlPlN2at6native12_GLOBAL__N_18offset_tEEE10hipError_tPvRmT1_PNSt15iterator_traitsISY_E10value_typeET2_T3_PNSZ_IS14_E10value_typeET4_jRbjT5_S1A_jjP12ihipStream_tbEUljE_EEESV_SW_SX_S14_S18_S1A_T6_T7_T9_mT8_S1C_bDpT10_ENKUlT_T0_E_clISt17integral_constantIbLb1EES1O_IbLb0EEEEDaS1K_S1L_EUlS1K_E_NS1_11comp_targetILNS1_3genE4ELNS1_11target_archE910ELNS1_3gpuE8ELNS1_3repE0EEENS1_30default_config_static_selectorELNS0_4arch9wavefront6targetE1EEEvSY_.kd
    .uniform_work_group_size: 1
    .uses_dynamic_stack: false
    .vgpr_count:     61
    .vgpr_spill_count: 0
    .wavefront_size: 64
  - .agpr_count:     0
    .args:
      - .offset:         0
        .size:           144
        .value_kind:     by_value
    .group_segment_fixed_size: 0
    .kernarg_segment_align: 8
    .kernarg_segment_size: 144
    .language:       OpenCL C
    .language_version:
      - 2
      - 0
    .max_flat_workgroup_size: 256
    .name:           _ZN7rocprim17ROCPRIM_400000_NS6detail17trampoline_kernelINS0_13select_configILj256ELj13ELNS0_17block_load_methodE3ELS4_3ELS4_3ELNS0_20block_scan_algorithmE0ELj4294967295EEENS1_25partition_config_selectorILNS1_17partition_subalgoE3EjNS0_10empty_typeEbEEZZNS1_14partition_implILS8_3ELb0ES6_jNS0_17counting_iteratorIjlEEPS9_SE_NS0_5tupleIJPjSE_EEENSF_IJSE_SE_EEES9_SG_JZNS1_25segmented_radix_sort_implINS0_14default_configELb1EPKaPaPKlPlN2at6native12_GLOBAL__N_18offset_tEEE10hipError_tPvRmT1_PNSt15iterator_traitsISY_E10value_typeET2_T3_PNSZ_IS14_E10value_typeET4_jRbjT5_S1A_jjP12ihipStream_tbEUljE_EEESV_SW_SX_S14_S18_S1A_T6_T7_T9_mT8_S1C_bDpT10_ENKUlT_T0_E_clISt17integral_constantIbLb1EES1O_IbLb0EEEEDaS1K_S1L_EUlS1K_E_NS1_11comp_targetILNS1_3genE3ELNS1_11target_archE908ELNS1_3gpuE7ELNS1_3repE0EEENS1_30default_config_static_selectorELNS0_4arch9wavefront6targetE1EEEvSY_
    .private_segment_fixed_size: 0
    .sgpr_count:     4
    .sgpr_spill_count: 0
    .symbol:         _ZN7rocprim17ROCPRIM_400000_NS6detail17trampoline_kernelINS0_13select_configILj256ELj13ELNS0_17block_load_methodE3ELS4_3ELS4_3ELNS0_20block_scan_algorithmE0ELj4294967295EEENS1_25partition_config_selectorILNS1_17partition_subalgoE3EjNS0_10empty_typeEbEEZZNS1_14partition_implILS8_3ELb0ES6_jNS0_17counting_iteratorIjlEEPS9_SE_NS0_5tupleIJPjSE_EEENSF_IJSE_SE_EEES9_SG_JZNS1_25segmented_radix_sort_implINS0_14default_configELb1EPKaPaPKlPlN2at6native12_GLOBAL__N_18offset_tEEE10hipError_tPvRmT1_PNSt15iterator_traitsISY_E10value_typeET2_T3_PNSZ_IS14_E10value_typeET4_jRbjT5_S1A_jjP12ihipStream_tbEUljE_EEESV_SW_SX_S14_S18_S1A_T6_T7_T9_mT8_S1C_bDpT10_ENKUlT_T0_E_clISt17integral_constantIbLb1EES1O_IbLb0EEEEDaS1K_S1L_EUlS1K_E_NS1_11comp_targetILNS1_3genE3ELNS1_11target_archE908ELNS1_3gpuE7ELNS1_3repE0EEENS1_30default_config_static_selectorELNS0_4arch9wavefront6targetE1EEEvSY_.kd
    .uniform_work_group_size: 1
    .uses_dynamic_stack: false
    .vgpr_count:     0
    .vgpr_spill_count: 0
    .wavefront_size: 64
  - .agpr_count:     0
    .args:
      - .offset:         0
        .size:           144
        .value_kind:     by_value
    .group_segment_fixed_size: 0
    .kernarg_segment_align: 8
    .kernarg_segment_size: 144
    .language:       OpenCL C
    .language_version:
      - 2
      - 0
    .max_flat_workgroup_size: 256
    .name:           _ZN7rocprim17ROCPRIM_400000_NS6detail17trampoline_kernelINS0_13select_configILj256ELj13ELNS0_17block_load_methodE3ELS4_3ELS4_3ELNS0_20block_scan_algorithmE0ELj4294967295EEENS1_25partition_config_selectorILNS1_17partition_subalgoE3EjNS0_10empty_typeEbEEZZNS1_14partition_implILS8_3ELb0ES6_jNS0_17counting_iteratorIjlEEPS9_SE_NS0_5tupleIJPjSE_EEENSF_IJSE_SE_EEES9_SG_JZNS1_25segmented_radix_sort_implINS0_14default_configELb1EPKaPaPKlPlN2at6native12_GLOBAL__N_18offset_tEEE10hipError_tPvRmT1_PNSt15iterator_traitsISY_E10value_typeET2_T3_PNSZ_IS14_E10value_typeET4_jRbjT5_S1A_jjP12ihipStream_tbEUljE_EEESV_SW_SX_S14_S18_S1A_T6_T7_T9_mT8_S1C_bDpT10_ENKUlT_T0_E_clISt17integral_constantIbLb1EES1O_IbLb0EEEEDaS1K_S1L_EUlS1K_E_NS1_11comp_targetILNS1_3genE2ELNS1_11target_archE906ELNS1_3gpuE6ELNS1_3repE0EEENS1_30default_config_static_selectorELNS0_4arch9wavefront6targetE1EEEvSY_
    .private_segment_fixed_size: 0
    .sgpr_count:     4
    .sgpr_spill_count: 0
    .symbol:         _ZN7rocprim17ROCPRIM_400000_NS6detail17trampoline_kernelINS0_13select_configILj256ELj13ELNS0_17block_load_methodE3ELS4_3ELS4_3ELNS0_20block_scan_algorithmE0ELj4294967295EEENS1_25partition_config_selectorILNS1_17partition_subalgoE3EjNS0_10empty_typeEbEEZZNS1_14partition_implILS8_3ELb0ES6_jNS0_17counting_iteratorIjlEEPS9_SE_NS0_5tupleIJPjSE_EEENSF_IJSE_SE_EEES9_SG_JZNS1_25segmented_radix_sort_implINS0_14default_configELb1EPKaPaPKlPlN2at6native12_GLOBAL__N_18offset_tEEE10hipError_tPvRmT1_PNSt15iterator_traitsISY_E10value_typeET2_T3_PNSZ_IS14_E10value_typeET4_jRbjT5_S1A_jjP12ihipStream_tbEUljE_EEESV_SW_SX_S14_S18_S1A_T6_T7_T9_mT8_S1C_bDpT10_ENKUlT_T0_E_clISt17integral_constantIbLb1EES1O_IbLb0EEEEDaS1K_S1L_EUlS1K_E_NS1_11comp_targetILNS1_3genE2ELNS1_11target_archE906ELNS1_3gpuE6ELNS1_3repE0EEENS1_30default_config_static_selectorELNS0_4arch9wavefront6targetE1EEEvSY_.kd
    .uniform_work_group_size: 1
    .uses_dynamic_stack: false
    .vgpr_count:     0
    .vgpr_spill_count: 0
    .wavefront_size: 64
  - .agpr_count:     0
    .args:
      - .offset:         0
        .size:           144
        .value_kind:     by_value
    .group_segment_fixed_size: 0
    .kernarg_segment_align: 8
    .kernarg_segment_size: 144
    .language:       OpenCL C
    .language_version:
      - 2
      - 0
    .max_flat_workgroup_size: 256
    .name:           _ZN7rocprim17ROCPRIM_400000_NS6detail17trampoline_kernelINS0_13select_configILj256ELj13ELNS0_17block_load_methodE3ELS4_3ELS4_3ELNS0_20block_scan_algorithmE0ELj4294967295EEENS1_25partition_config_selectorILNS1_17partition_subalgoE3EjNS0_10empty_typeEbEEZZNS1_14partition_implILS8_3ELb0ES6_jNS0_17counting_iteratorIjlEEPS9_SE_NS0_5tupleIJPjSE_EEENSF_IJSE_SE_EEES9_SG_JZNS1_25segmented_radix_sort_implINS0_14default_configELb1EPKaPaPKlPlN2at6native12_GLOBAL__N_18offset_tEEE10hipError_tPvRmT1_PNSt15iterator_traitsISY_E10value_typeET2_T3_PNSZ_IS14_E10value_typeET4_jRbjT5_S1A_jjP12ihipStream_tbEUljE_EEESV_SW_SX_S14_S18_S1A_T6_T7_T9_mT8_S1C_bDpT10_ENKUlT_T0_E_clISt17integral_constantIbLb1EES1O_IbLb0EEEEDaS1K_S1L_EUlS1K_E_NS1_11comp_targetILNS1_3genE10ELNS1_11target_archE1200ELNS1_3gpuE4ELNS1_3repE0EEENS1_30default_config_static_selectorELNS0_4arch9wavefront6targetE1EEEvSY_
    .private_segment_fixed_size: 0
    .sgpr_count:     4
    .sgpr_spill_count: 0
    .symbol:         _ZN7rocprim17ROCPRIM_400000_NS6detail17trampoline_kernelINS0_13select_configILj256ELj13ELNS0_17block_load_methodE3ELS4_3ELS4_3ELNS0_20block_scan_algorithmE0ELj4294967295EEENS1_25partition_config_selectorILNS1_17partition_subalgoE3EjNS0_10empty_typeEbEEZZNS1_14partition_implILS8_3ELb0ES6_jNS0_17counting_iteratorIjlEEPS9_SE_NS0_5tupleIJPjSE_EEENSF_IJSE_SE_EEES9_SG_JZNS1_25segmented_radix_sort_implINS0_14default_configELb1EPKaPaPKlPlN2at6native12_GLOBAL__N_18offset_tEEE10hipError_tPvRmT1_PNSt15iterator_traitsISY_E10value_typeET2_T3_PNSZ_IS14_E10value_typeET4_jRbjT5_S1A_jjP12ihipStream_tbEUljE_EEESV_SW_SX_S14_S18_S1A_T6_T7_T9_mT8_S1C_bDpT10_ENKUlT_T0_E_clISt17integral_constantIbLb1EES1O_IbLb0EEEEDaS1K_S1L_EUlS1K_E_NS1_11comp_targetILNS1_3genE10ELNS1_11target_archE1200ELNS1_3gpuE4ELNS1_3repE0EEENS1_30default_config_static_selectorELNS0_4arch9wavefront6targetE1EEEvSY_.kd
    .uniform_work_group_size: 1
    .uses_dynamic_stack: false
    .vgpr_count:     0
    .vgpr_spill_count: 0
    .wavefront_size: 64
  - .agpr_count:     0
    .args:
      - .offset:         0
        .size:           144
        .value_kind:     by_value
    .group_segment_fixed_size: 0
    .kernarg_segment_align: 8
    .kernarg_segment_size: 144
    .language:       OpenCL C
    .language_version:
      - 2
      - 0
    .max_flat_workgroup_size: 256
    .name:           _ZN7rocprim17ROCPRIM_400000_NS6detail17trampoline_kernelINS0_13select_configILj256ELj13ELNS0_17block_load_methodE3ELS4_3ELS4_3ELNS0_20block_scan_algorithmE0ELj4294967295EEENS1_25partition_config_selectorILNS1_17partition_subalgoE3EjNS0_10empty_typeEbEEZZNS1_14partition_implILS8_3ELb0ES6_jNS0_17counting_iteratorIjlEEPS9_SE_NS0_5tupleIJPjSE_EEENSF_IJSE_SE_EEES9_SG_JZNS1_25segmented_radix_sort_implINS0_14default_configELb1EPKaPaPKlPlN2at6native12_GLOBAL__N_18offset_tEEE10hipError_tPvRmT1_PNSt15iterator_traitsISY_E10value_typeET2_T3_PNSZ_IS14_E10value_typeET4_jRbjT5_S1A_jjP12ihipStream_tbEUljE_EEESV_SW_SX_S14_S18_S1A_T6_T7_T9_mT8_S1C_bDpT10_ENKUlT_T0_E_clISt17integral_constantIbLb1EES1O_IbLb0EEEEDaS1K_S1L_EUlS1K_E_NS1_11comp_targetILNS1_3genE9ELNS1_11target_archE1100ELNS1_3gpuE3ELNS1_3repE0EEENS1_30default_config_static_selectorELNS0_4arch9wavefront6targetE1EEEvSY_
    .private_segment_fixed_size: 0
    .sgpr_count:     4
    .sgpr_spill_count: 0
    .symbol:         _ZN7rocprim17ROCPRIM_400000_NS6detail17trampoline_kernelINS0_13select_configILj256ELj13ELNS0_17block_load_methodE3ELS4_3ELS4_3ELNS0_20block_scan_algorithmE0ELj4294967295EEENS1_25partition_config_selectorILNS1_17partition_subalgoE3EjNS0_10empty_typeEbEEZZNS1_14partition_implILS8_3ELb0ES6_jNS0_17counting_iteratorIjlEEPS9_SE_NS0_5tupleIJPjSE_EEENSF_IJSE_SE_EEES9_SG_JZNS1_25segmented_radix_sort_implINS0_14default_configELb1EPKaPaPKlPlN2at6native12_GLOBAL__N_18offset_tEEE10hipError_tPvRmT1_PNSt15iterator_traitsISY_E10value_typeET2_T3_PNSZ_IS14_E10value_typeET4_jRbjT5_S1A_jjP12ihipStream_tbEUljE_EEESV_SW_SX_S14_S18_S1A_T6_T7_T9_mT8_S1C_bDpT10_ENKUlT_T0_E_clISt17integral_constantIbLb1EES1O_IbLb0EEEEDaS1K_S1L_EUlS1K_E_NS1_11comp_targetILNS1_3genE9ELNS1_11target_archE1100ELNS1_3gpuE3ELNS1_3repE0EEENS1_30default_config_static_selectorELNS0_4arch9wavefront6targetE1EEEvSY_.kd
    .uniform_work_group_size: 1
    .uses_dynamic_stack: false
    .vgpr_count:     0
    .vgpr_spill_count: 0
    .wavefront_size: 64
  - .agpr_count:     0
    .args:
      - .offset:         0
        .size:           144
        .value_kind:     by_value
    .group_segment_fixed_size: 0
    .kernarg_segment_align: 8
    .kernarg_segment_size: 144
    .language:       OpenCL C
    .language_version:
      - 2
      - 0
    .max_flat_workgroup_size: 256
    .name:           _ZN7rocprim17ROCPRIM_400000_NS6detail17trampoline_kernelINS0_13select_configILj256ELj13ELNS0_17block_load_methodE3ELS4_3ELS4_3ELNS0_20block_scan_algorithmE0ELj4294967295EEENS1_25partition_config_selectorILNS1_17partition_subalgoE3EjNS0_10empty_typeEbEEZZNS1_14partition_implILS8_3ELb0ES6_jNS0_17counting_iteratorIjlEEPS9_SE_NS0_5tupleIJPjSE_EEENSF_IJSE_SE_EEES9_SG_JZNS1_25segmented_radix_sort_implINS0_14default_configELb1EPKaPaPKlPlN2at6native12_GLOBAL__N_18offset_tEEE10hipError_tPvRmT1_PNSt15iterator_traitsISY_E10value_typeET2_T3_PNSZ_IS14_E10value_typeET4_jRbjT5_S1A_jjP12ihipStream_tbEUljE_EEESV_SW_SX_S14_S18_S1A_T6_T7_T9_mT8_S1C_bDpT10_ENKUlT_T0_E_clISt17integral_constantIbLb1EES1O_IbLb0EEEEDaS1K_S1L_EUlS1K_E_NS1_11comp_targetILNS1_3genE8ELNS1_11target_archE1030ELNS1_3gpuE2ELNS1_3repE0EEENS1_30default_config_static_selectorELNS0_4arch9wavefront6targetE1EEEvSY_
    .private_segment_fixed_size: 0
    .sgpr_count:     4
    .sgpr_spill_count: 0
    .symbol:         _ZN7rocprim17ROCPRIM_400000_NS6detail17trampoline_kernelINS0_13select_configILj256ELj13ELNS0_17block_load_methodE3ELS4_3ELS4_3ELNS0_20block_scan_algorithmE0ELj4294967295EEENS1_25partition_config_selectorILNS1_17partition_subalgoE3EjNS0_10empty_typeEbEEZZNS1_14partition_implILS8_3ELb0ES6_jNS0_17counting_iteratorIjlEEPS9_SE_NS0_5tupleIJPjSE_EEENSF_IJSE_SE_EEES9_SG_JZNS1_25segmented_radix_sort_implINS0_14default_configELb1EPKaPaPKlPlN2at6native12_GLOBAL__N_18offset_tEEE10hipError_tPvRmT1_PNSt15iterator_traitsISY_E10value_typeET2_T3_PNSZ_IS14_E10value_typeET4_jRbjT5_S1A_jjP12ihipStream_tbEUljE_EEESV_SW_SX_S14_S18_S1A_T6_T7_T9_mT8_S1C_bDpT10_ENKUlT_T0_E_clISt17integral_constantIbLb1EES1O_IbLb0EEEEDaS1K_S1L_EUlS1K_E_NS1_11comp_targetILNS1_3genE8ELNS1_11target_archE1030ELNS1_3gpuE2ELNS1_3repE0EEENS1_30default_config_static_selectorELNS0_4arch9wavefront6targetE1EEEvSY_.kd
    .uniform_work_group_size: 1
    .uses_dynamic_stack: false
    .vgpr_count:     0
    .vgpr_spill_count: 0
    .wavefront_size: 64
  - .agpr_count:     0
    .args:
      - .offset:         0
        .size:           152
        .value_kind:     by_value
    .group_segment_fixed_size: 0
    .kernarg_segment_align: 8
    .kernarg_segment_size: 152
    .language:       OpenCL C
    .language_version:
      - 2
      - 0
    .max_flat_workgroup_size: 256
    .name:           _ZN7rocprim17ROCPRIM_400000_NS6detail17trampoline_kernelINS0_13select_configILj256ELj13ELNS0_17block_load_methodE3ELS4_3ELS4_3ELNS0_20block_scan_algorithmE0ELj4294967295EEENS1_25partition_config_selectorILNS1_17partition_subalgoE3EjNS0_10empty_typeEbEEZZNS1_14partition_implILS8_3ELb0ES6_jNS0_17counting_iteratorIjlEEPS9_SE_NS0_5tupleIJPjSE_EEENSF_IJSE_SE_EEES9_SG_JZNS1_25segmented_radix_sort_implINS0_14default_configELb1EPKaPaPKlPlN2at6native12_GLOBAL__N_18offset_tEEE10hipError_tPvRmT1_PNSt15iterator_traitsISY_E10value_typeET2_T3_PNSZ_IS14_E10value_typeET4_jRbjT5_S1A_jjP12ihipStream_tbEUljE_EEESV_SW_SX_S14_S18_S1A_T6_T7_T9_mT8_S1C_bDpT10_ENKUlT_T0_E_clISt17integral_constantIbLb0EES1O_IbLb1EEEEDaS1K_S1L_EUlS1K_E_NS1_11comp_targetILNS1_3genE0ELNS1_11target_archE4294967295ELNS1_3gpuE0ELNS1_3repE0EEENS1_30default_config_static_selectorELNS0_4arch9wavefront6targetE1EEEvSY_
    .private_segment_fixed_size: 0
    .sgpr_count:     4
    .sgpr_spill_count: 0
    .symbol:         _ZN7rocprim17ROCPRIM_400000_NS6detail17trampoline_kernelINS0_13select_configILj256ELj13ELNS0_17block_load_methodE3ELS4_3ELS4_3ELNS0_20block_scan_algorithmE0ELj4294967295EEENS1_25partition_config_selectorILNS1_17partition_subalgoE3EjNS0_10empty_typeEbEEZZNS1_14partition_implILS8_3ELb0ES6_jNS0_17counting_iteratorIjlEEPS9_SE_NS0_5tupleIJPjSE_EEENSF_IJSE_SE_EEES9_SG_JZNS1_25segmented_radix_sort_implINS0_14default_configELb1EPKaPaPKlPlN2at6native12_GLOBAL__N_18offset_tEEE10hipError_tPvRmT1_PNSt15iterator_traitsISY_E10value_typeET2_T3_PNSZ_IS14_E10value_typeET4_jRbjT5_S1A_jjP12ihipStream_tbEUljE_EEESV_SW_SX_S14_S18_S1A_T6_T7_T9_mT8_S1C_bDpT10_ENKUlT_T0_E_clISt17integral_constantIbLb0EES1O_IbLb1EEEEDaS1K_S1L_EUlS1K_E_NS1_11comp_targetILNS1_3genE0ELNS1_11target_archE4294967295ELNS1_3gpuE0ELNS1_3repE0EEENS1_30default_config_static_selectorELNS0_4arch9wavefront6targetE1EEEvSY_.kd
    .uniform_work_group_size: 1
    .uses_dynamic_stack: false
    .vgpr_count:     0
    .vgpr_spill_count: 0
    .wavefront_size: 64
  - .agpr_count:     0
    .args:
      - .offset:         0
        .size:           152
        .value_kind:     by_value
    .group_segment_fixed_size: 0
    .kernarg_segment_align: 8
    .kernarg_segment_size: 152
    .language:       OpenCL C
    .language_version:
      - 2
      - 0
    .max_flat_workgroup_size: 256
    .name:           _ZN7rocprim17ROCPRIM_400000_NS6detail17trampoline_kernelINS0_13select_configILj256ELj13ELNS0_17block_load_methodE3ELS4_3ELS4_3ELNS0_20block_scan_algorithmE0ELj4294967295EEENS1_25partition_config_selectorILNS1_17partition_subalgoE3EjNS0_10empty_typeEbEEZZNS1_14partition_implILS8_3ELb0ES6_jNS0_17counting_iteratorIjlEEPS9_SE_NS0_5tupleIJPjSE_EEENSF_IJSE_SE_EEES9_SG_JZNS1_25segmented_radix_sort_implINS0_14default_configELb1EPKaPaPKlPlN2at6native12_GLOBAL__N_18offset_tEEE10hipError_tPvRmT1_PNSt15iterator_traitsISY_E10value_typeET2_T3_PNSZ_IS14_E10value_typeET4_jRbjT5_S1A_jjP12ihipStream_tbEUljE_EEESV_SW_SX_S14_S18_S1A_T6_T7_T9_mT8_S1C_bDpT10_ENKUlT_T0_E_clISt17integral_constantIbLb0EES1O_IbLb1EEEEDaS1K_S1L_EUlS1K_E_NS1_11comp_targetILNS1_3genE5ELNS1_11target_archE942ELNS1_3gpuE9ELNS1_3repE0EEENS1_30default_config_static_selectorELNS0_4arch9wavefront6targetE1EEEvSY_
    .private_segment_fixed_size: 0
    .sgpr_count:     4
    .sgpr_spill_count: 0
    .symbol:         _ZN7rocprim17ROCPRIM_400000_NS6detail17trampoline_kernelINS0_13select_configILj256ELj13ELNS0_17block_load_methodE3ELS4_3ELS4_3ELNS0_20block_scan_algorithmE0ELj4294967295EEENS1_25partition_config_selectorILNS1_17partition_subalgoE3EjNS0_10empty_typeEbEEZZNS1_14partition_implILS8_3ELb0ES6_jNS0_17counting_iteratorIjlEEPS9_SE_NS0_5tupleIJPjSE_EEENSF_IJSE_SE_EEES9_SG_JZNS1_25segmented_radix_sort_implINS0_14default_configELb1EPKaPaPKlPlN2at6native12_GLOBAL__N_18offset_tEEE10hipError_tPvRmT1_PNSt15iterator_traitsISY_E10value_typeET2_T3_PNSZ_IS14_E10value_typeET4_jRbjT5_S1A_jjP12ihipStream_tbEUljE_EEESV_SW_SX_S14_S18_S1A_T6_T7_T9_mT8_S1C_bDpT10_ENKUlT_T0_E_clISt17integral_constantIbLb0EES1O_IbLb1EEEEDaS1K_S1L_EUlS1K_E_NS1_11comp_targetILNS1_3genE5ELNS1_11target_archE942ELNS1_3gpuE9ELNS1_3repE0EEENS1_30default_config_static_selectorELNS0_4arch9wavefront6targetE1EEEvSY_.kd
    .uniform_work_group_size: 1
    .uses_dynamic_stack: false
    .vgpr_count:     0
    .vgpr_spill_count: 0
    .wavefront_size: 64
  - .agpr_count:     0
    .args:
      - .offset:         0
        .size:           152
        .value_kind:     by_value
    .group_segment_fixed_size: 13324
    .kernarg_segment_align: 8
    .kernarg_segment_size: 152
    .language:       OpenCL C
    .language_version:
      - 2
      - 0
    .max_flat_workgroup_size: 256
    .name:           _ZN7rocprim17ROCPRIM_400000_NS6detail17trampoline_kernelINS0_13select_configILj256ELj13ELNS0_17block_load_methodE3ELS4_3ELS4_3ELNS0_20block_scan_algorithmE0ELj4294967295EEENS1_25partition_config_selectorILNS1_17partition_subalgoE3EjNS0_10empty_typeEbEEZZNS1_14partition_implILS8_3ELb0ES6_jNS0_17counting_iteratorIjlEEPS9_SE_NS0_5tupleIJPjSE_EEENSF_IJSE_SE_EEES9_SG_JZNS1_25segmented_radix_sort_implINS0_14default_configELb1EPKaPaPKlPlN2at6native12_GLOBAL__N_18offset_tEEE10hipError_tPvRmT1_PNSt15iterator_traitsISY_E10value_typeET2_T3_PNSZ_IS14_E10value_typeET4_jRbjT5_S1A_jjP12ihipStream_tbEUljE_EEESV_SW_SX_S14_S18_S1A_T6_T7_T9_mT8_S1C_bDpT10_ENKUlT_T0_E_clISt17integral_constantIbLb0EES1O_IbLb1EEEEDaS1K_S1L_EUlS1K_E_NS1_11comp_targetILNS1_3genE4ELNS1_11target_archE910ELNS1_3gpuE8ELNS1_3repE0EEENS1_30default_config_static_selectorELNS0_4arch9wavefront6targetE1EEEvSY_
    .private_segment_fixed_size: 0
    .sgpr_count:     48
    .sgpr_spill_count: 0
    .symbol:         _ZN7rocprim17ROCPRIM_400000_NS6detail17trampoline_kernelINS0_13select_configILj256ELj13ELNS0_17block_load_methodE3ELS4_3ELS4_3ELNS0_20block_scan_algorithmE0ELj4294967295EEENS1_25partition_config_selectorILNS1_17partition_subalgoE3EjNS0_10empty_typeEbEEZZNS1_14partition_implILS8_3ELb0ES6_jNS0_17counting_iteratorIjlEEPS9_SE_NS0_5tupleIJPjSE_EEENSF_IJSE_SE_EEES9_SG_JZNS1_25segmented_radix_sort_implINS0_14default_configELb1EPKaPaPKlPlN2at6native12_GLOBAL__N_18offset_tEEE10hipError_tPvRmT1_PNSt15iterator_traitsISY_E10value_typeET2_T3_PNSZ_IS14_E10value_typeET4_jRbjT5_S1A_jjP12ihipStream_tbEUljE_EEESV_SW_SX_S14_S18_S1A_T6_T7_T9_mT8_S1C_bDpT10_ENKUlT_T0_E_clISt17integral_constantIbLb0EES1O_IbLb1EEEEDaS1K_S1L_EUlS1K_E_NS1_11comp_targetILNS1_3genE4ELNS1_11target_archE910ELNS1_3gpuE8ELNS1_3repE0EEENS1_30default_config_static_selectorELNS0_4arch9wavefront6targetE1EEEvSY_.kd
    .uniform_work_group_size: 1
    .uses_dynamic_stack: false
    .vgpr_count:     64
    .vgpr_spill_count: 0
    .wavefront_size: 64
  - .agpr_count:     0
    .args:
      - .offset:         0
        .size:           152
        .value_kind:     by_value
    .group_segment_fixed_size: 0
    .kernarg_segment_align: 8
    .kernarg_segment_size: 152
    .language:       OpenCL C
    .language_version:
      - 2
      - 0
    .max_flat_workgroup_size: 256
    .name:           _ZN7rocprim17ROCPRIM_400000_NS6detail17trampoline_kernelINS0_13select_configILj256ELj13ELNS0_17block_load_methodE3ELS4_3ELS4_3ELNS0_20block_scan_algorithmE0ELj4294967295EEENS1_25partition_config_selectorILNS1_17partition_subalgoE3EjNS0_10empty_typeEbEEZZNS1_14partition_implILS8_3ELb0ES6_jNS0_17counting_iteratorIjlEEPS9_SE_NS0_5tupleIJPjSE_EEENSF_IJSE_SE_EEES9_SG_JZNS1_25segmented_radix_sort_implINS0_14default_configELb1EPKaPaPKlPlN2at6native12_GLOBAL__N_18offset_tEEE10hipError_tPvRmT1_PNSt15iterator_traitsISY_E10value_typeET2_T3_PNSZ_IS14_E10value_typeET4_jRbjT5_S1A_jjP12ihipStream_tbEUljE_EEESV_SW_SX_S14_S18_S1A_T6_T7_T9_mT8_S1C_bDpT10_ENKUlT_T0_E_clISt17integral_constantIbLb0EES1O_IbLb1EEEEDaS1K_S1L_EUlS1K_E_NS1_11comp_targetILNS1_3genE3ELNS1_11target_archE908ELNS1_3gpuE7ELNS1_3repE0EEENS1_30default_config_static_selectorELNS0_4arch9wavefront6targetE1EEEvSY_
    .private_segment_fixed_size: 0
    .sgpr_count:     4
    .sgpr_spill_count: 0
    .symbol:         _ZN7rocprim17ROCPRIM_400000_NS6detail17trampoline_kernelINS0_13select_configILj256ELj13ELNS0_17block_load_methodE3ELS4_3ELS4_3ELNS0_20block_scan_algorithmE0ELj4294967295EEENS1_25partition_config_selectorILNS1_17partition_subalgoE3EjNS0_10empty_typeEbEEZZNS1_14partition_implILS8_3ELb0ES6_jNS0_17counting_iteratorIjlEEPS9_SE_NS0_5tupleIJPjSE_EEENSF_IJSE_SE_EEES9_SG_JZNS1_25segmented_radix_sort_implINS0_14default_configELb1EPKaPaPKlPlN2at6native12_GLOBAL__N_18offset_tEEE10hipError_tPvRmT1_PNSt15iterator_traitsISY_E10value_typeET2_T3_PNSZ_IS14_E10value_typeET4_jRbjT5_S1A_jjP12ihipStream_tbEUljE_EEESV_SW_SX_S14_S18_S1A_T6_T7_T9_mT8_S1C_bDpT10_ENKUlT_T0_E_clISt17integral_constantIbLb0EES1O_IbLb1EEEEDaS1K_S1L_EUlS1K_E_NS1_11comp_targetILNS1_3genE3ELNS1_11target_archE908ELNS1_3gpuE7ELNS1_3repE0EEENS1_30default_config_static_selectorELNS0_4arch9wavefront6targetE1EEEvSY_.kd
    .uniform_work_group_size: 1
    .uses_dynamic_stack: false
    .vgpr_count:     0
    .vgpr_spill_count: 0
    .wavefront_size: 64
  - .agpr_count:     0
    .args:
      - .offset:         0
        .size:           152
        .value_kind:     by_value
    .group_segment_fixed_size: 0
    .kernarg_segment_align: 8
    .kernarg_segment_size: 152
    .language:       OpenCL C
    .language_version:
      - 2
      - 0
    .max_flat_workgroup_size: 256
    .name:           _ZN7rocprim17ROCPRIM_400000_NS6detail17trampoline_kernelINS0_13select_configILj256ELj13ELNS0_17block_load_methodE3ELS4_3ELS4_3ELNS0_20block_scan_algorithmE0ELj4294967295EEENS1_25partition_config_selectorILNS1_17partition_subalgoE3EjNS0_10empty_typeEbEEZZNS1_14partition_implILS8_3ELb0ES6_jNS0_17counting_iteratorIjlEEPS9_SE_NS0_5tupleIJPjSE_EEENSF_IJSE_SE_EEES9_SG_JZNS1_25segmented_radix_sort_implINS0_14default_configELb1EPKaPaPKlPlN2at6native12_GLOBAL__N_18offset_tEEE10hipError_tPvRmT1_PNSt15iterator_traitsISY_E10value_typeET2_T3_PNSZ_IS14_E10value_typeET4_jRbjT5_S1A_jjP12ihipStream_tbEUljE_EEESV_SW_SX_S14_S18_S1A_T6_T7_T9_mT8_S1C_bDpT10_ENKUlT_T0_E_clISt17integral_constantIbLb0EES1O_IbLb1EEEEDaS1K_S1L_EUlS1K_E_NS1_11comp_targetILNS1_3genE2ELNS1_11target_archE906ELNS1_3gpuE6ELNS1_3repE0EEENS1_30default_config_static_selectorELNS0_4arch9wavefront6targetE1EEEvSY_
    .private_segment_fixed_size: 0
    .sgpr_count:     4
    .sgpr_spill_count: 0
    .symbol:         _ZN7rocprim17ROCPRIM_400000_NS6detail17trampoline_kernelINS0_13select_configILj256ELj13ELNS0_17block_load_methodE3ELS4_3ELS4_3ELNS0_20block_scan_algorithmE0ELj4294967295EEENS1_25partition_config_selectorILNS1_17partition_subalgoE3EjNS0_10empty_typeEbEEZZNS1_14partition_implILS8_3ELb0ES6_jNS0_17counting_iteratorIjlEEPS9_SE_NS0_5tupleIJPjSE_EEENSF_IJSE_SE_EEES9_SG_JZNS1_25segmented_radix_sort_implINS0_14default_configELb1EPKaPaPKlPlN2at6native12_GLOBAL__N_18offset_tEEE10hipError_tPvRmT1_PNSt15iterator_traitsISY_E10value_typeET2_T3_PNSZ_IS14_E10value_typeET4_jRbjT5_S1A_jjP12ihipStream_tbEUljE_EEESV_SW_SX_S14_S18_S1A_T6_T7_T9_mT8_S1C_bDpT10_ENKUlT_T0_E_clISt17integral_constantIbLb0EES1O_IbLb1EEEEDaS1K_S1L_EUlS1K_E_NS1_11comp_targetILNS1_3genE2ELNS1_11target_archE906ELNS1_3gpuE6ELNS1_3repE0EEENS1_30default_config_static_selectorELNS0_4arch9wavefront6targetE1EEEvSY_.kd
    .uniform_work_group_size: 1
    .uses_dynamic_stack: false
    .vgpr_count:     0
    .vgpr_spill_count: 0
    .wavefront_size: 64
  - .agpr_count:     0
    .args:
      - .offset:         0
        .size:           152
        .value_kind:     by_value
    .group_segment_fixed_size: 0
    .kernarg_segment_align: 8
    .kernarg_segment_size: 152
    .language:       OpenCL C
    .language_version:
      - 2
      - 0
    .max_flat_workgroup_size: 256
    .name:           _ZN7rocprim17ROCPRIM_400000_NS6detail17trampoline_kernelINS0_13select_configILj256ELj13ELNS0_17block_load_methodE3ELS4_3ELS4_3ELNS0_20block_scan_algorithmE0ELj4294967295EEENS1_25partition_config_selectorILNS1_17partition_subalgoE3EjNS0_10empty_typeEbEEZZNS1_14partition_implILS8_3ELb0ES6_jNS0_17counting_iteratorIjlEEPS9_SE_NS0_5tupleIJPjSE_EEENSF_IJSE_SE_EEES9_SG_JZNS1_25segmented_radix_sort_implINS0_14default_configELb1EPKaPaPKlPlN2at6native12_GLOBAL__N_18offset_tEEE10hipError_tPvRmT1_PNSt15iterator_traitsISY_E10value_typeET2_T3_PNSZ_IS14_E10value_typeET4_jRbjT5_S1A_jjP12ihipStream_tbEUljE_EEESV_SW_SX_S14_S18_S1A_T6_T7_T9_mT8_S1C_bDpT10_ENKUlT_T0_E_clISt17integral_constantIbLb0EES1O_IbLb1EEEEDaS1K_S1L_EUlS1K_E_NS1_11comp_targetILNS1_3genE10ELNS1_11target_archE1200ELNS1_3gpuE4ELNS1_3repE0EEENS1_30default_config_static_selectorELNS0_4arch9wavefront6targetE1EEEvSY_
    .private_segment_fixed_size: 0
    .sgpr_count:     4
    .sgpr_spill_count: 0
    .symbol:         _ZN7rocprim17ROCPRIM_400000_NS6detail17trampoline_kernelINS0_13select_configILj256ELj13ELNS0_17block_load_methodE3ELS4_3ELS4_3ELNS0_20block_scan_algorithmE0ELj4294967295EEENS1_25partition_config_selectorILNS1_17partition_subalgoE3EjNS0_10empty_typeEbEEZZNS1_14partition_implILS8_3ELb0ES6_jNS0_17counting_iteratorIjlEEPS9_SE_NS0_5tupleIJPjSE_EEENSF_IJSE_SE_EEES9_SG_JZNS1_25segmented_radix_sort_implINS0_14default_configELb1EPKaPaPKlPlN2at6native12_GLOBAL__N_18offset_tEEE10hipError_tPvRmT1_PNSt15iterator_traitsISY_E10value_typeET2_T3_PNSZ_IS14_E10value_typeET4_jRbjT5_S1A_jjP12ihipStream_tbEUljE_EEESV_SW_SX_S14_S18_S1A_T6_T7_T9_mT8_S1C_bDpT10_ENKUlT_T0_E_clISt17integral_constantIbLb0EES1O_IbLb1EEEEDaS1K_S1L_EUlS1K_E_NS1_11comp_targetILNS1_3genE10ELNS1_11target_archE1200ELNS1_3gpuE4ELNS1_3repE0EEENS1_30default_config_static_selectorELNS0_4arch9wavefront6targetE1EEEvSY_.kd
    .uniform_work_group_size: 1
    .uses_dynamic_stack: false
    .vgpr_count:     0
    .vgpr_spill_count: 0
    .wavefront_size: 64
  - .agpr_count:     0
    .args:
      - .offset:         0
        .size:           152
        .value_kind:     by_value
    .group_segment_fixed_size: 0
    .kernarg_segment_align: 8
    .kernarg_segment_size: 152
    .language:       OpenCL C
    .language_version:
      - 2
      - 0
    .max_flat_workgroup_size: 256
    .name:           _ZN7rocprim17ROCPRIM_400000_NS6detail17trampoline_kernelINS0_13select_configILj256ELj13ELNS0_17block_load_methodE3ELS4_3ELS4_3ELNS0_20block_scan_algorithmE0ELj4294967295EEENS1_25partition_config_selectorILNS1_17partition_subalgoE3EjNS0_10empty_typeEbEEZZNS1_14partition_implILS8_3ELb0ES6_jNS0_17counting_iteratorIjlEEPS9_SE_NS0_5tupleIJPjSE_EEENSF_IJSE_SE_EEES9_SG_JZNS1_25segmented_radix_sort_implINS0_14default_configELb1EPKaPaPKlPlN2at6native12_GLOBAL__N_18offset_tEEE10hipError_tPvRmT1_PNSt15iterator_traitsISY_E10value_typeET2_T3_PNSZ_IS14_E10value_typeET4_jRbjT5_S1A_jjP12ihipStream_tbEUljE_EEESV_SW_SX_S14_S18_S1A_T6_T7_T9_mT8_S1C_bDpT10_ENKUlT_T0_E_clISt17integral_constantIbLb0EES1O_IbLb1EEEEDaS1K_S1L_EUlS1K_E_NS1_11comp_targetILNS1_3genE9ELNS1_11target_archE1100ELNS1_3gpuE3ELNS1_3repE0EEENS1_30default_config_static_selectorELNS0_4arch9wavefront6targetE1EEEvSY_
    .private_segment_fixed_size: 0
    .sgpr_count:     4
    .sgpr_spill_count: 0
    .symbol:         _ZN7rocprim17ROCPRIM_400000_NS6detail17trampoline_kernelINS0_13select_configILj256ELj13ELNS0_17block_load_methodE3ELS4_3ELS4_3ELNS0_20block_scan_algorithmE0ELj4294967295EEENS1_25partition_config_selectorILNS1_17partition_subalgoE3EjNS0_10empty_typeEbEEZZNS1_14partition_implILS8_3ELb0ES6_jNS0_17counting_iteratorIjlEEPS9_SE_NS0_5tupleIJPjSE_EEENSF_IJSE_SE_EEES9_SG_JZNS1_25segmented_radix_sort_implINS0_14default_configELb1EPKaPaPKlPlN2at6native12_GLOBAL__N_18offset_tEEE10hipError_tPvRmT1_PNSt15iterator_traitsISY_E10value_typeET2_T3_PNSZ_IS14_E10value_typeET4_jRbjT5_S1A_jjP12ihipStream_tbEUljE_EEESV_SW_SX_S14_S18_S1A_T6_T7_T9_mT8_S1C_bDpT10_ENKUlT_T0_E_clISt17integral_constantIbLb0EES1O_IbLb1EEEEDaS1K_S1L_EUlS1K_E_NS1_11comp_targetILNS1_3genE9ELNS1_11target_archE1100ELNS1_3gpuE3ELNS1_3repE0EEENS1_30default_config_static_selectorELNS0_4arch9wavefront6targetE1EEEvSY_.kd
    .uniform_work_group_size: 1
    .uses_dynamic_stack: false
    .vgpr_count:     0
    .vgpr_spill_count: 0
    .wavefront_size: 64
  - .agpr_count:     0
    .args:
      - .offset:         0
        .size:           152
        .value_kind:     by_value
    .group_segment_fixed_size: 0
    .kernarg_segment_align: 8
    .kernarg_segment_size: 152
    .language:       OpenCL C
    .language_version:
      - 2
      - 0
    .max_flat_workgroup_size: 256
    .name:           _ZN7rocprim17ROCPRIM_400000_NS6detail17trampoline_kernelINS0_13select_configILj256ELj13ELNS0_17block_load_methodE3ELS4_3ELS4_3ELNS0_20block_scan_algorithmE0ELj4294967295EEENS1_25partition_config_selectorILNS1_17partition_subalgoE3EjNS0_10empty_typeEbEEZZNS1_14partition_implILS8_3ELb0ES6_jNS0_17counting_iteratorIjlEEPS9_SE_NS0_5tupleIJPjSE_EEENSF_IJSE_SE_EEES9_SG_JZNS1_25segmented_radix_sort_implINS0_14default_configELb1EPKaPaPKlPlN2at6native12_GLOBAL__N_18offset_tEEE10hipError_tPvRmT1_PNSt15iterator_traitsISY_E10value_typeET2_T3_PNSZ_IS14_E10value_typeET4_jRbjT5_S1A_jjP12ihipStream_tbEUljE_EEESV_SW_SX_S14_S18_S1A_T6_T7_T9_mT8_S1C_bDpT10_ENKUlT_T0_E_clISt17integral_constantIbLb0EES1O_IbLb1EEEEDaS1K_S1L_EUlS1K_E_NS1_11comp_targetILNS1_3genE8ELNS1_11target_archE1030ELNS1_3gpuE2ELNS1_3repE0EEENS1_30default_config_static_selectorELNS0_4arch9wavefront6targetE1EEEvSY_
    .private_segment_fixed_size: 0
    .sgpr_count:     4
    .sgpr_spill_count: 0
    .symbol:         _ZN7rocprim17ROCPRIM_400000_NS6detail17trampoline_kernelINS0_13select_configILj256ELj13ELNS0_17block_load_methodE3ELS4_3ELS4_3ELNS0_20block_scan_algorithmE0ELj4294967295EEENS1_25partition_config_selectorILNS1_17partition_subalgoE3EjNS0_10empty_typeEbEEZZNS1_14partition_implILS8_3ELb0ES6_jNS0_17counting_iteratorIjlEEPS9_SE_NS0_5tupleIJPjSE_EEENSF_IJSE_SE_EEES9_SG_JZNS1_25segmented_radix_sort_implINS0_14default_configELb1EPKaPaPKlPlN2at6native12_GLOBAL__N_18offset_tEEE10hipError_tPvRmT1_PNSt15iterator_traitsISY_E10value_typeET2_T3_PNSZ_IS14_E10value_typeET4_jRbjT5_S1A_jjP12ihipStream_tbEUljE_EEESV_SW_SX_S14_S18_S1A_T6_T7_T9_mT8_S1C_bDpT10_ENKUlT_T0_E_clISt17integral_constantIbLb0EES1O_IbLb1EEEEDaS1K_S1L_EUlS1K_E_NS1_11comp_targetILNS1_3genE8ELNS1_11target_archE1030ELNS1_3gpuE2ELNS1_3repE0EEENS1_30default_config_static_selectorELNS0_4arch9wavefront6targetE1EEEvSY_.kd
    .uniform_work_group_size: 1
    .uses_dynamic_stack: false
    .vgpr_count:     0
    .vgpr_spill_count: 0
    .wavefront_size: 64
  - .agpr_count:     0
    .args:
      - .offset:         0
        .size:           96
        .value_kind:     by_value
    .group_segment_fixed_size: 0
    .kernarg_segment_align: 8
    .kernarg_segment_size: 96
    .language:       OpenCL C
    .language_version:
      - 2
      - 0
    .max_flat_workgroup_size: 256
    .name:           _ZN7rocprim17ROCPRIM_400000_NS6detail17trampoline_kernelINS0_14default_configENS1_36segmented_radix_sort_config_selectorIalEEZNS1_25segmented_radix_sort_implIS3_Lb1EPKaPaPKlPlN2at6native12_GLOBAL__N_18offset_tEEE10hipError_tPvRmT1_PNSt15iterator_traitsISK_E10value_typeET2_T3_PNSL_ISQ_E10value_typeET4_jRbjT5_SW_jjP12ihipStream_tbEUlT_E_NS1_11comp_targetILNS1_3genE0ELNS1_11target_archE4294967295ELNS1_3gpuE0ELNS1_3repE0EEENS1_30default_config_static_selectorELNS0_4arch9wavefront6targetE1EEEvSK_
    .private_segment_fixed_size: 0
    .sgpr_count:     4
    .sgpr_spill_count: 0
    .symbol:         _ZN7rocprim17ROCPRIM_400000_NS6detail17trampoline_kernelINS0_14default_configENS1_36segmented_radix_sort_config_selectorIalEEZNS1_25segmented_radix_sort_implIS3_Lb1EPKaPaPKlPlN2at6native12_GLOBAL__N_18offset_tEEE10hipError_tPvRmT1_PNSt15iterator_traitsISK_E10value_typeET2_T3_PNSL_ISQ_E10value_typeET4_jRbjT5_SW_jjP12ihipStream_tbEUlT_E_NS1_11comp_targetILNS1_3genE0ELNS1_11target_archE4294967295ELNS1_3gpuE0ELNS1_3repE0EEENS1_30default_config_static_selectorELNS0_4arch9wavefront6targetE1EEEvSK_.kd
    .uniform_work_group_size: 1
    .uses_dynamic_stack: false
    .vgpr_count:     0
    .vgpr_spill_count: 0
    .wavefront_size: 64
  - .agpr_count:     0
    .args:
      - .offset:         0
        .size:           96
        .value_kind:     by_value
    .group_segment_fixed_size: 0
    .kernarg_segment_align: 8
    .kernarg_segment_size: 96
    .language:       OpenCL C
    .language_version:
      - 2
      - 0
    .max_flat_workgroup_size: 256
    .name:           _ZN7rocprim17ROCPRIM_400000_NS6detail17trampoline_kernelINS0_14default_configENS1_36segmented_radix_sort_config_selectorIalEEZNS1_25segmented_radix_sort_implIS3_Lb1EPKaPaPKlPlN2at6native12_GLOBAL__N_18offset_tEEE10hipError_tPvRmT1_PNSt15iterator_traitsISK_E10value_typeET2_T3_PNSL_ISQ_E10value_typeET4_jRbjT5_SW_jjP12ihipStream_tbEUlT_E_NS1_11comp_targetILNS1_3genE5ELNS1_11target_archE942ELNS1_3gpuE9ELNS1_3repE0EEENS1_30default_config_static_selectorELNS0_4arch9wavefront6targetE1EEEvSK_
    .private_segment_fixed_size: 0
    .sgpr_count:     4
    .sgpr_spill_count: 0
    .symbol:         _ZN7rocprim17ROCPRIM_400000_NS6detail17trampoline_kernelINS0_14default_configENS1_36segmented_radix_sort_config_selectorIalEEZNS1_25segmented_radix_sort_implIS3_Lb1EPKaPaPKlPlN2at6native12_GLOBAL__N_18offset_tEEE10hipError_tPvRmT1_PNSt15iterator_traitsISK_E10value_typeET2_T3_PNSL_ISQ_E10value_typeET4_jRbjT5_SW_jjP12ihipStream_tbEUlT_E_NS1_11comp_targetILNS1_3genE5ELNS1_11target_archE942ELNS1_3gpuE9ELNS1_3repE0EEENS1_30default_config_static_selectorELNS0_4arch9wavefront6targetE1EEEvSK_.kd
    .uniform_work_group_size: 1
    .uses_dynamic_stack: false
    .vgpr_count:     0
    .vgpr_spill_count: 0
    .wavefront_size: 64
  - .agpr_count:     0
    .args:
      - .offset:         0
        .size:           96
        .value_kind:     by_value
      - .offset:         96
        .size:           4
        .value_kind:     hidden_block_count_x
      - .offset:         100
        .size:           4
        .value_kind:     hidden_block_count_y
      - .offset:         104
        .size:           4
        .value_kind:     hidden_block_count_z
      - .offset:         108
        .size:           2
        .value_kind:     hidden_group_size_x
      - .offset:         110
        .size:           2
        .value_kind:     hidden_group_size_y
      - .offset:         112
        .size:           2
        .value_kind:     hidden_group_size_z
      - .offset:         114
        .size:           2
        .value_kind:     hidden_remainder_x
      - .offset:         116
        .size:           2
        .value_kind:     hidden_remainder_y
      - .offset:         118
        .size:           2
        .value_kind:     hidden_remainder_z
      - .offset:         136
        .size:           8
        .value_kind:     hidden_global_offset_x
      - .offset:         144
        .size:           8
        .value_kind:     hidden_global_offset_y
      - .offset:         152
        .size:           8
        .value_kind:     hidden_global_offset_z
      - .offset:         160
        .size:           2
        .value_kind:     hidden_grid_dims
      - .offset:         176
        .size:           8
        .value_kind:     hidden_hostcall_buffer
      - .offset:         184
        .size:           8
        .value_kind:     hidden_multigrid_sync_arg
      - .offset:         192
        .size:           8
        .value_kind:     hidden_heap_v1
      - .offset:         200
        .size:           8
        .value_kind:     hidden_default_queue
      - .offset:         208
        .size:           8
        .value_kind:     hidden_completion_action
      - .offset:         296
        .size:           8
        .value_kind:     hidden_queue_ptr
    .group_segment_fixed_size: 17424
    .kernarg_segment_align: 8
    .kernarg_segment_size: 352
    .language:       OpenCL C
    .language_version:
      - 2
      - 0
    .max_flat_workgroup_size: 256
    .name:           _ZN7rocprim17ROCPRIM_400000_NS6detail17trampoline_kernelINS0_14default_configENS1_36segmented_radix_sort_config_selectorIalEEZNS1_25segmented_radix_sort_implIS3_Lb1EPKaPaPKlPlN2at6native12_GLOBAL__N_18offset_tEEE10hipError_tPvRmT1_PNSt15iterator_traitsISK_E10value_typeET2_T3_PNSL_ISQ_E10value_typeET4_jRbjT5_SW_jjP12ihipStream_tbEUlT_E_NS1_11comp_targetILNS1_3genE4ELNS1_11target_archE910ELNS1_3gpuE8ELNS1_3repE0EEENS1_30default_config_static_selectorELNS0_4arch9wavefront6targetE1EEEvSK_
    .private_segment_fixed_size: 8
    .sgpr_count:     86
    .sgpr_spill_count: 0
    .symbol:         _ZN7rocprim17ROCPRIM_400000_NS6detail17trampoline_kernelINS0_14default_configENS1_36segmented_radix_sort_config_selectorIalEEZNS1_25segmented_radix_sort_implIS3_Lb1EPKaPaPKlPlN2at6native12_GLOBAL__N_18offset_tEEE10hipError_tPvRmT1_PNSt15iterator_traitsISK_E10value_typeET2_T3_PNSL_ISQ_E10value_typeET4_jRbjT5_SW_jjP12ihipStream_tbEUlT_E_NS1_11comp_targetILNS1_3genE4ELNS1_11target_archE910ELNS1_3gpuE8ELNS1_3repE0EEENS1_30default_config_static_selectorELNS0_4arch9wavefront6targetE1EEEvSK_.kd
    .uniform_work_group_size: 1
    .uses_dynamic_stack: false
    .vgpr_count:     168
    .vgpr_spill_count: 0
    .wavefront_size: 64
  - .agpr_count:     0
    .args:
      - .offset:         0
        .size:           96
        .value_kind:     by_value
    .group_segment_fixed_size: 0
    .kernarg_segment_align: 8
    .kernarg_segment_size: 96
    .language:       OpenCL C
    .language_version:
      - 2
      - 0
    .max_flat_workgroup_size: 256
    .name:           _ZN7rocprim17ROCPRIM_400000_NS6detail17trampoline_kernelINS0_14default_configENS1_36segmented_radix_sort_config_selectorIalEEZNS1_25segmented_radix_sort_implIS3_Lb1EPKaPaPKlPlN2at6native12_GLOBAL__N_18offset_tEEE10hipError_tPvRmT1_PNSt15iterator_traitsISK_E10value_typeET2_T3_PNSL_ISQ_E10value_typeET4_jRbjT5_SW_jjP12ihipStream_tbEUlT_E_NS1_11comp_targetILNS1_3genE3ELNS1_11target_archE908ELNS1_3gpuE7ELNS1_3repE0EEENS1_30default_config_static_selectorELNS0_4arch9wavefront6targetE1EEEvSK_
    .private_segment_fixed_size: 0
    .sgpr_count:     4
    .sgpr_spill_count: 0
    .symbol:         _ZN7rocprim17ROCPRIM_400000_NS6detail17trampoline_kernelINS0_14default_configENS1_36segmented_radix_sort_config_selectorIalEEZNS1_25segmented_radix_sort_implIS3_Lb1EPKaPaPKlPlN2at6native12_GLOBAL__N_18offset_tEEE10hipError_tPvRmT1_PNSt15iterator_traitsISK_E10value_typeET2_T3_PNSL_ISQ_E10value_typeET4_jRbjT5_SW_jjP12ihipStream_tbEUlT_E_NS1_11comp_targetILNS1_3genE3ELNS1_11target_archE908ELNS1_3gpuE7ELNS1_3repE0EEENS1_30default_config_static_selectorELNS0_4arch9wavefront6targetE1EEEvSK_.kd
    .uniform_work_group_size: 1
    .uses_dynamic_stack: false
    .vgpr_count:     0
    .vgpr_spill_count: 0
    .wavefront_size: 64
  - .agpr_count:     0
    .args:
      - .offset:         0
        .size:           96
        .value_kind:     by_value
    .group_segment_fixed_size: 0
    .kernarg_segment_align: 8
    .kernarg_segment_size: 96
    .language:       OpenCL C
    .language_version:
      - 2
      - 0
    .max_flat_workgroup_size: 256
    .name:           _ZN7rocprim17ROCPRIM_400000_NS6detail17trampoline_kernelINS0_14default_configENS1_36segmented_radix_sort_config_selectorIalEEZNS1_25segmented_radix_sort_implIS3_Lb1EPKaPaPKlPlN2at6native12_GLOBAL__N_18offset_tEEE10hipError_tPvRmT1_PNSt15iterator_traitsISK_E10value_typeET2_T3_PNSL_ISQ_E10value_typeET4_jRbjT5_SW_jjP12ihipStream_tbEUlT_E_NS1_11comp_targetILNS1_3genE2ELNS1_11target_archE906ELNS1_3gpuE6ELNS1_3repE0EEENS1_30default_config_static_selectorELNS0_4arch9wavefront6targetE1EEEvSK_
    .private_segment_fixed_size: 0
    .sgpr_count:     4
    .sgpr_spill_count: 0
    .symbol:         _ZN7rocprim17ROCPRIM_400000_NS6detail17trampoline_kernelINS0_14default_configENS1_36segmented_radix_sort_config_selectorIalEEZNS1_25segmented_radix_sort_implIS3_Lb1EPKaPaPKlPlN2at6native12_GLOBAL__N_18offset_tEEE10hipError_tPvRmT1_PNSt15iterator_traitsISK_E10value_typeET2_T3_PNSL_ISQ_E10value_typeET4_jRbjT5_SW_jjP12ihipStream_tbEUlT_E_NS1_11comp_targetILNS1_3genE2ELNS1_11target_archE906ELNS1_3gpuE6ELNS1_3repE0EEENS1_30default_config_static_selectorELNS0_4arch9wavefront6targetE1EEEvSK_.kd
    .uniform_work_group_size: 1
    .uses_dynamic_stack: false
    .vgpr_count:     0
    .vgpr_spill_count: 0
    .wavefront_size: 64
  - .agpr_count:     0
    .args:
      - .offset:         0
        .size:           96
        .value_kind:     by_value
    .group_segment_fixed_size: 0
    .kernarg_segment_align: 8
    .kernarg_segment_size: 96
    .language:       OpenCL C
    .language_version:
      - 2
      - 0
    .max_flat_workgroup_size: 256
    .name:           _ZN7rocprim17ROCPRIM_400000_NS6detail17trampoline_kernelINS0_14default_configENS1_36segmented_radix_sort_config_selectorIalEEZNS1_25segmented_radix_sort_implIS3_Lb1EPKaPaPKlPlN2at6native12_GLOBAL__N_18offset_tEEE10hipError_tPvRmT1_PNSt15iterator_traitsISK_E10value_typeET2_T3_PNSL_ISQ_E10value_typeET4_jRbjT5_SW_jjP12ihipStream_tbEUlT_E_NS1_11comp_targetILNS1_3genE10ELNS1_11target_archE1201ELNS1_3gpuE5ELNS1_3repE0EEENS1_30default_config_static_selectorELNS0_4arch9wavefront6targetE1EEEvSK_
    .private_segment_fixed_size: 0
    .sgpr_count:     4
    .sgpr_spill_count: 0
    .symbol:         _ZN7rocprim17ROCPRIM_400000_NS6detail17trampoline_kernelINS0_14default_configENS1_36segmented_radix_sort_config_selectorIalEEZNS1_25segmented_radix_sort_implIS3_Lb1EPKaPaPKlPlN2at6native12_GLOBAL__N_18offset_tEEE10hipError_tPvRmT1_PNSt15iterator_traitsISK_E10value_typeET2_T3_PNSL_ISQ_E10value_typeET4_jRbjT5_SW_jjP12ihipStream_tbEUlT_E_NS1_11comp_targetILNS1_3genE10ELNS1_11target_archE1201ELNS1_3gpuE5ELNS1_3repE0EEENS1_30default_config_static_selectorELNS0_4arch9wavefront6targetE1EEEvSK_.kd
    .uniform_work_group_size: 1
    .uses_dynamic_stack: false
    .vgpr_count:     0
    .vgpr_spill_count: 0
    .wavefront_size: 64
  - .agpr_count:     0
    .args:
      - .offset:         0
        .size:           96
        .value_kind:     by_value
    .group_segment_fixed_size: 0
    .kernarg_segment_align: 8
    .kernarg_segment_size: 96
    .language:       OpenCL C
    .language_version:
      - 2
      - 0
    .max_flat_workgroup_size: 128
    .name:           _ZN7rocprim17ROCPRIM_400000_NS6detail17trampoline_kernelINS0_14default_configENS1_36segmented_radix_sort_config_selectorIalEEZNS1_25segmented_radix_sort_implIS3_Lb1EPKaPaPKlPlN2at6native12_GLOBAL__N_18offset_tEEE10hipError_tPvRmT1_PNSt15iterator_traitsISK_E10value_typeET2_T3_PNSL_ISQ_E10value_typeET4_jRbjT5_SW_jjP12ihipStream_tbEUlT_E_NS1_11comp_targetILNS1_3genE10ELNS1_11target_archE1200ELNS1_3gpuE4ELNS1_3repE0EEENS1_30default_config_static_selectorELNS0_4arch9wavefront6targetE1EEEvSK_
    .private_segment_fixed_size: 0
    .sgpr_count:     4
    .sgpr_spill_count: 0
    .symbol:         _ZN7rocprim17ROCPRIM_400000_NS6detail17trampoline_kernelINS0_14default_configENS1_36segmented_radix_sort_config_selectorIalEEZNS1_25segmented_radix_sort_implIS3_Lb1EPKaPaPKlPlN2at6native12_GLOBAL__N_18offset_tEEE10hipError_tPvRmT1_PNSt15iterator_traitsISK_E10value_typeET2_T3_PNSL_ISQ_E10value_typeET4_jRbjT5_SW_jjP12ihipStream_tbEUlT_E_NS1_11comp_targetILNS1_3genE10ELNS1_11target_archE1200ELNS1_3gpuE4ELNS1_3repE0EEENS1_30default_config_static_selectorELNS0_4arch9wavefront6targetE1EEEvSK_.kd
    .uniform_work_group_size: 1
    .uses_dynamic_stack: false
    .vgpr_count:     0
    .vgpr_spill_count: 0
    .wavefront_size: 64
  - .agpr_count:     0
    .args:
      - .offset:         0
        .size:           96
        .value_kind:     by_value
    .group_segment_fixed_size: 0
    .kernarg_segment_align: 8
    .kernarg_segment_size: 96
    .language:       OpenCL C
    .language_version:
      - 2
      - 0
    .max_flat_workgroup_size: 256
    .name:           _ZN7rocprim17ROCPRIM_400000_NS6detail17trampoline_kernelINS0_14default_configENS1_36segmented_radix_sort_config_selectorIalEEZNS1_25segmented_radix_sort_implIS3_Lb1EPKaPaPKlPlN2at6native12_GLOBAL__N_18offset_tEEE10hipError_tPvRmT1_PNSt15iterator_traitsISK_E10value_typeET2_T3_PNSL_ISQ_E10value_typeET4_jRbjT5_SW_jjP12ihipStream_tbEUlT_E_NS1_11comp_targetILNS1_3genE9ELNS1_11target_archE1100ELNS1_3gpuE3ELNS1_3repE0EEENS1_30default_config_static_selectorELNS0_4arch9wavefront6targetE1EEEvSK_
    .private_segment_fixed_size: 0
    .sgpr_count:     4
    .sgpr_spill_count: 0
    .symbol:         _ZN7rocprim17ROCPRIM_400000_NS6detail17trampoline_kernelINS0_14default_configENS1_36segmented_radix_sort_config_selectorIalEEZNS1_25segmented_radix_sort_implIS3_Lb1EPKaPaPKlPlN2at6native12_GLOBAL__N_18offset_tEEE10hipError_tPvRmT1_PNSt15iterator_traitsISK_E10value_typeET2_T3_PNSL_ISQ_E10value_typeET4_jRbjT5_SW_jjP12ihipStream_tbEUlT_E_NS1_11comp_targetILNS1_3genE9ELNS1_11target_archE1100ELNS1_3gpuE3ELNS1_3repE0EEENS1_30default_config_static_selectorELNS0_4arch9wavefront6targetE1EEEvSK_.kd
    .uniform_work_group_size: 1
    .uses_dynamic_stack: false
    .vgpr_count:     0
    .vgpr_spill_count: 0
    .wavefront_size: 64
  - .agpr_count:     0
    .args:
      - .offset:         0
        .size:           96
        .value_kind:     by_value
    .group_segment_fixed_size: 0
    .kernarg_segment_align: 8
    .kernarg_segment_size: 96
    .language:       OpenCL C
    .language_version:
      - 2
      - 0
    .max_flat_workgroup_size: 256
    .name:           _ZN7rocprim17ROCPRIM_400000_NS6detail17trampoline_kernelINS0_14default_configENS1_36segmented_radix_sort_config_selectorIalEEZNS1_25segmented_radix_sort_implIS3_Lb1EPKaPaPKlPlN2at6native12_GLOBAL__N_18offset_tEEE10hipError_tPvRmT1_PNSt15iterator_traitsISK_E10value_typeET2_T3_PNSL_ISQ_E10value_typeET4_jRbjT5_SW_jjP12ihipStream_tbEUlT_E_NS1_11comp_targetILNS1_3genE8ELNS1_11target_archE1030ELNS1_3gpuE2ELNS1_3repE0EEENS1_30default_config_static_selectorELNS0_4arch9wavefront6targetE1EEEvSK_
    .private_segment_fixed_size: 0
    .sgpr_count:     4
    .sgpr_spill_count: 0
    .symbol:         _ZN7rocprim17ROCPRIM_400000_NS6detail17trampoline_kernelINS0_14default_configENS1_36segmented_radix_sort_config_selectorIalEEZNS1_25segmented_radix_sort_implIS3_Lb1EPKaPaPKlPlN2at6native12_GLOBAL__N_18offset_tEEE10hipError_tPvRmT1_PNSt15iterator_traitsISK_E10value_typeET2_T3_PNSL_ISQ_E10value_typeET4_jRbjT5_SW_jjP12ihipStream_tbEUlT_E_NS1_11comp_targetILNS1_3genE8ELNS1_11target_archE1030ELNS1_3gpuE2ELNS1_3repE0EEENS1_30default_config_static_selectorELNS0_4arch9wavefront6targetE1EEEvSK_.kd
    .uniform_work_group_size: 1
    .uses_dynamic_stack: false
    .vgpr_count:     0
    .vgpr_spill_count: 0
    .wavefront_size: 64
  - .agpr_count:     0
    .args:
      - .offset:         0
        .size:           88
        .value_kind:     by_value
    .group_segment_fixed_size: 0
    .kernarg_segment_align: 8
    .kernarg_segment_size: 88
    .language:       OpenCL C
    .language_version:
      - 2
      - 0
    .max_flat_workgroup_size: 256
    .name:           _ZN7rocprim17ROCPRIM_400000_NS6detail17trampoline_kernelINS0_14default_configENS1_36segmented_radix_sort_config_selectorIalEEZNS1_25segmented_radix_sort_implIS3_Lb1EPKaPaPKlPlN2at6native12_GLOBAL__N_18offset_tEEE10hipError_tPvRmT1_PNSt15iterator_traitsISK_E10value_typeET2_T3_PNSL_ISQ_E10value_typeET4_jRbjT5_SW_jjP12ihipStream_tbEUlT_E0_NS1_11comp_targetILNS1_3genE0ELNS1_11target_archE4294967295ELNS1_3gpuE0ELNS1_3repE0EEENS1_60segmented_radix_sort_warp_sort_medium_config_static_selectorELNS0_4arch9wavefront6targetE1EEEvSK_
    .private_segment_fixed_size: 0
    .sgpr_count:     4
    .sgpr_spill_count: 0
    .symbol:         _ZN7rocprim17ROCPRIM_400000_NS6detail17trampoline_kernelINS0_14default_configENS1_36segmented_radix_sort_config_selectorIalEEZNS1_25segmented_radix_sort_implIS3_Lb1EPKaPaPKlPlN2at6native12_GLOBAL__N_18offset_tEEE10hipError_tPvRmT1_PNSt15iterator_traitsISK_E10value_typeET2_T3_PNSL_ISQ_E10value_typeET4_jRbjT5_SW_jjP12ihipStream_tbEUlT_E0_NS1_11comp_targetILNS1_3genE0ELNS1_11target_archE4294967295ELNS1_3gpuE0ELNS1_3repE0EEENS1_60segmented_radix_sort_warp_sort_medium_config_static_selectorELNS0_4arch9wavefront6targetE1EEEvSK_.kd
    .uniform_work_group_size: 1
    .uses_dynamic_stack: false
    .vgpr_count:     0
    .vgpr_spill_count: 0
    .wavefront_size: 64
  - .agpr_count:     0
    .args:
      - .offset:         0
        .size:           88
        .value_kind:     by_value
    .group_segment_fixed_size: 0
    .kernarg_segment_align: 8
    .kernarg_segment_size: 88
    .language:       OpenCL C
    .language_version:
      - 2
      - 0
    .max_flat_workgroup_size: 256
    .name:           _ZN7rocprim17ROCPRIM_400000_NS6detail17trampoline_kernelINS0_14default_configENS1_36segmented_radix_sort_config_selectorIalEEZNS1_25segmented_radix_sort_implIS3_Lb1EPKaPaPKlPlN2at6native12_GLOBAL__N_18offset_tEEE10hipError_tPvRmT1_PNSt15iterator_traitsISK_E10value_typeET2_T3_PNSL_ISQ_E10value_typeET4_jRbjT5_SW_jjP12ihipStream_tbEUlT_E0_NS1_11comp_targetILNS1_3genE5ELNS1_11target_archE942ELNS1_3gpuE9ELNS1_3repE0EEENS1_60segmented_radix_sort_warp_sort_medium_config_static_selectorELNS0_4arch9wavefront6targetE1EEEvSK_
    .private_segment_fixed_size: 0
    .sgpr_count:     4
    .sgpr_spill_count: 0
    .symbol:         _ZN7rocprim17ROCPRIM_400000_NS6detail17trampoline_kernelINS0_14default_configENS1_36segmented_radix_sort_config_selectorIalEEZNS1_25segmented_radix_sort_implIS3_Lb1EPKaPaPKlPlN2at6native12_GLOBAL__N_18offset_tEEE10hipError_tPvRmT1_PNSt15iterator_traitsISK_E10value_typeET2_T3_PNSL_ISQ_E10value_typeET4_jRbjT5_SW_jjP12ihipStream_tbEUlT_E0_NS1_11comp_targetILNS1_3genE5ELNS1_11target_archE942ELNS1_3gpuE9ELNS1_3repE0EEENS1_60segmented_radix_sort_warp_sort_medium_config_static_selectorELNS0_4arch9wavefront6targetE1EEEvSK_.kd
    .uniform_work_group_size: 1
    .uses_dynamic_stack: false
    .vgpr_count:     0
    .vgpr_spill_count: 0
    .wavefront_size: 64
  - .agpr_count:     0
    .args:
      - .offset:         0
        .size:           88
        .value_kind:     by_value
      - .offset:         88
        .size:           4
        .value_kind:     hidden_block_count_x
      - .offset:         92
        .size:           4
        .value_kind:     hidden_block_count_y
      - .offset:         96
        .size:           4
        .value_kind:     hidden_block_count_z
      - .offset:         100
        .size:           2
        .value_kind:     hidden_group_size_x
      - .offset:         102
        .size:           2
        .value_kind:     hidden_group_size_y
      - .offset:         104
        .size:           2
        .value_kind:     hidden_group_size_z
      - .offset:         106
        .size:           2
        .value_kind:     hidden_remainder_x
      - .offset:         108
        .size:           2
        .value_kind:     hidden_remainder_y
      - .offset:         110
        .size:           2
        .value_kind:     hidden_remainder_z
      - .offset:         128
        .size:           8
        .value_kind:     hidden_global_offset_x
      - .offset:         136
        .size:           8
        .value_kind:     hidden_global_offset_y
      - .offset:         144
        .size:           8
        .value_kind:     hidden_global_offset_z
      - .offset:         152
        .size:           2
        .value_kind:     hidden_grid_dims
      - .offset:         168
        .size:           8
        .value_kind:     hidden_hostcall_buffer
      - .offset:         176
        .size:           8
        .value_kind:     hidden_multigrid_sync_arg
      - .offset:         184
        .size:           8
        .value_kind:     hidden_heap_v1
      - .offset:         192
        .size:           8
        .value_kind:     hidden_default_queue
      - .offset:         200
        .size:           8
        .value_kind:     hidden_completion_action
      - .offset:         288
        .size:           8
        .value_kind:     hidden_queue_ptr
    .group_segment_fixed_size: 18432
    .kernarg_segment_align: 8
    .kernarg_segment_size: 344
    .language:       OpenCL C
    .language_version:
      - 2
      - 0
    .max_flat_workgroup_size: 256
    .name:           _ZN7rocprim17ROCPRIM_400000_NS6detail17trampoline_kernelINS0_14default_configENS1_36segmented_radix_sort_config_selectorIalEEZNS1_25segmented_radix_sort_implIS3_Lb1EPKaPaPKlPlN2at6native12_GLOBAL__N_18offset_tEEE10hipError_tPvRmT1_PNSt15iterator_traitsISK_E10value_typeET2_T3_PNSL_ISQ_E10value_typeET4_jRbjT5_SW_jjP12ihipStream_tbEUlT_E0_NS1_11comp_targetILNS1_3genE4ELNS1_11target_archE910ELNS1_3gpuE8ELNS1_3repE0EEENS1_60segmented_radix_sort_warp_sort_medium_config_static_selectorELNS0_4arch9wavefront6targetE1EEEvSK_
    .private_segment_fixed_size: 8
    .sgpr_count:     68
    .sgpr_spill_count: 0
    .symbol:         _ZN7rocprim17ROCPRIM_400000_NS6detail17trampoline_kernelINS0_14default_configENS1_36segmented_radix_sort_config_selectorIalEEZNS1_25segmented_radix_sort_implIS3_Lb1EPKaPaPKlPlN2at6native12_GLOBAL__N_18offset_tEEE10hipError_tPvRmT1_PNSt15iterator_traitsISK_E10value_typeET2_T3_PNSL_ISQ_E10value_typeET4_jRbjT5_SW_jjP12ihipStream_tbEUlT_E0_NS1_11comp_targetILNS1_3genE4ELNS1_11target_archE910ELNS1_3gpuE8ELNS1_3repE0EEENS1_60segmented_radix_sort_warp_sort_medium_config_static_selectorELNS0_4arch9wavefront6targetE1EEEvSK_.kd
    .uniform_work_group_size: 1
    .uses_dynamic_stack: false
    .vgpr_count:     69
    .vgpr_spill_count: 0
    .wavefront_size: 64
  - .agpr_count:     0
    .args:
      - .offset:         0
        .size:           88
        .value_kind:     by_value
    .group_segment_fixed_size: 0
    .kernarg_segment_align: 8
    .kernarg_segment_size: 88
    .language:       OpenCL C
    .language_version:
      - 2
      - 0
    .max_flat_workgroup_size: 256
    .name:           _ZN7rocprim17ROCPRIM_400000_NS6detail17trampoline_kernelINS0_14default_configENS1_36segmented_radix_sort_config_selectorIalEEZNS1_25segmented_radix_sort_implIS3_Lb1EPKaPaPKlPlN2at6native12_GLOBAL__N_18offset_tEEE10hipError_tPvRmT1_PNSt15iterator_traitsISK_E10value_typeET2_T3_PNSL_ISQ_E10value_typeET4_jRbjT5_SW_jjP12ihipStream_tbEUlT_E0_NS1_11comp_targetILNS1_3genE3ELNS1_11target_archE908ELNS1_3gpuE7ELNS1_3repE0EEENS1_60segmented_radix_sort_warp_sort_medium_config_static_selectorELNS0_4arch9wavefront6targetE1EEEvSK_
    .private_segment_fixed_size: 0
    .sgpr_count:     4
    .sgpr_spill_count: 0
    .symbol:         _ZN7rocprim17ROCPRIM_400000_NS6detail17trampoline_kernelINS0_14default_configENS1_36segmented_radix_sort_config_selectorIalEEZNS1_25segmented_radix_sort_implIS3_Lb1EPKaPaPKlPlN2at6native12_GLOBAL__N_18offset_tEEE10hipError_tPvRmT1_PNSt15iterator_traitsISK_E10value_typeET2_T3_PNSL_ISQ_E10value_typeET4_jRbjT5_SW_jjP12ihipStream_tbEUlT_E0_NS1_11comp_targetILNS1_3genE3ELNS1_11target_archE908ELNS1_3gpuE7ELNS1_3repE0EEENS1_60segmented_radix_sort_warp_sort_medium_config_static_selectorELNS0_4arch9wavefront6targetE1EEEvSK_.kd
    .uniform_work_group_size: 1
    .uses_dynamic_stack: false
    .vgpr_count:     0
    .vgpr_spill_count: 0
    .wavefront_size: 64
  - .agpr_count:     0
    .args:
      - .offset:         0
        .size:           88
        .value_kind:     by_value
    .group_segment_fixed_size: 0
    .kernarg_segment_align: 8
    .kernarg_segment_size: 88
    .language:       OpenCL C
    .language_version:
      - 2
      - 0
    .max_flat_workgroup_size: 256
    .name:           _ZN7rocprim17ROCPRIM_400000_NS6detail17trampoline_kernelINS0_14default_configENS1_36segmented_radix_sort_config_selectorIalEEZNS1_25segmented_radix_sort_implIS3_Lb1EPKaPaPKlPlN2at6native12_GLOBAL__N_18offset_tEEE10hipError_tPvRmT1_PNSt15iterator_traitsISK_E10value_typeET2_T3_PNSL_ISQ_E10value_typeET4_jRbjT5_SW_jjP12ihipStream_tbEUlT_E0_NS1_11comp_targetILNS1_3genE2ELNS1_11target_archE906ELNS1_3gpuE6ELNS1_3repE0EEENS1_60segmented_radix_sort_warp_sort_medium_config_static_selectorELNS0_4arch9wavefront6targetE1EEEvSK_
    .private_segment_fixed_size: 0
    .sgpr_count:     4
    .sgpr_spill_count: 0
    .symbol:         _ZN7rocprim17ROCPRIM_400000_NS6detail17trampoline_kernelINS0_14default_configENS1_36segmented_radix_sort_config_selectorIalEEZNS1_25segmented_radix_sort_implIS3_Lb1EPKaPaPKlPlN2at6native12_GLOBAL__N_18offset_tEEE10hipError_tPvRmT1_PNSt15iterator_traitsISK_E10value_typeET2_T3_PNSL_ISQ_E10value_typeET4_jRbjT5_SW_jjP12ihipStream_tbEUlT_E0_NS1_11comp_targetILNS1_3genE2ELNS1_11target_archE906ELNS1_3gpuE6ELNS1_3repE0EEENS1_60segmented_radix_sort_warp_sort_medium_config_static_selectorELNS0_4arch9wavefront6targetE1EEEvSK_.kd
    .uniform_work_group_size: 1
    .uses_dynamic_stack: false
    .vgpr_count:     0
    .vgpr_spill_count: 0
    .wavefront_size: 64
  - .agpr_count:     0
    .args:
      - .offset:         0
        .size:           88
        .value_kind:     by_value
    .group_segment_fixed_size: 0
    .kernarg_segment_align: 8
    .kernarg_segment_size: 88
    .language:       OpenCL C
    .language_version:
      - 2
      - 0
    .max_flat_workgroup_size: 256
    .name:           _ZN7rocprim17ROCPRIM_400000_NS6detail17trampoline_kernelINS0_14default_configENS1_36segmented_radix_sort_config_selectorIalEEZNS1_25segmented_radix_sort_implIS3_Lb1EPKaPaPKlPlN2at6native12_GLOBAL__N_18offset_tEEE10hipError_tPvRmT1_PNSt15iterator_traitsISK_E10value_typeET2_T3_PNSL_ISQ_E10value_typeET4_jRbjT5_SW_jjP12ihipStream_tbEUlT_E0_NS1_11comp_targetILNS1_3genE10ELNS1_11target_archE1201ELNS1_3gpuE5ELNS1_3repE0EEENS1_60segmented_radix_sort_warp_sort_medium_config_static_selectorELNS0_4arch9wavefront6targetE1EEEvSK_
    .private_segment_fixed_size: 0
    .sgpr_count:     4
    .sgpr_spill_count: 0
    .symbol:         _ZN7rocprim17ROCPRIM_400000_NS6detail17trampoline_kernelINS0_14default_configENS1_36segmented_radix_sort_config_selectorIalEEZNS1_25segmented_radix_sort_implIS3_Lb1EPKaPaPKlPlN2at6native12_GLOBAL__N_18offset_tEEE10hipError_tPvRmT1_PNSt15iterator_traitsISK_E10value_typeET2_T3_PNSL_ISQ_E10value_typeET4_jRbjT5_SW_jjP12ihipStream_tbEUlT_E0_NS1_11comp_targetILNS1_3genE10ELNS1_11target_archE1201ELNS1_3gpuE5ELNS1_3repE0EEENS1_60segmented_radix_sort_warp_sort_medium_config_static_selectorELNS0_4arch9wavefront6targetE1EEEvSK_.kd
    .uniform_work_group_size: 1
    .uses_dynamic_stack: false
    .vgpr_count:     0
    .vgpr_spill_count: 0
    .wavefront_size: 64
  - .agpr_count:     0
    .args:
      - .offset:         0
        .size:           88
        .value_kind:     by_value
    .group_segment_fixed_size: 0
    .kernarg_segment_align: 8
    .kernarg_segment_size: 88
    .language:       OpenCL C
    .language_version:
      - 2
      - 0
    .max_flat_workgroup_size: 256
    .name:           _ZN7rocprim17ROCPRIM_400000_NS6detail17trampoline_kernelINS0_14default_configENS1_36segmented_radix_sort_config_selectorIalEEZNS1_25segmented_radix_sort_implIS3_Lb1EPKaPaPKlPlN2at6native12_GLOBAL__N_18offset_tEEE10hipError_tPvRmT1_PNSt15iterator_traitsISK_E10value_typeET2_T3_PNSL_ISQ_E10value_typeET4_jRbjT5_SW_jjP12ihipStream_tbEUlT_E0_NS1_11comp_targetILNS1_3genE10ELNS1_11target_archE1200ELNS1_3gpuE4ELNS1_3repE0EEENS1_60segmented_radix_sort_warp_sort_medium_config_static_selectorELNS0_4arch9wavefront6targetE1EEEvSK_
    .private_segment_fixed_size: 0
    .sgpr_count:     4
    .sgpr_spill_count: 0
    .symbol:         _ZN7rocprim17ROCPRIM_400000_NS6detail17trampoline_kernelINS0_14default_configENS1_36segmented_radix_sort_config_selectorIalEEZNS1_25segmented_radix_sort_implIS3_Lb1EPKaPaPKlPlN2at6native12_GLOBAL__N_18offset_tEEE10hipError_tPvRmT1_PNSt15iterator_traitsISK_E10value_typeET2_T3_PNSL_ISQ_E10value_typeET4_jRbjT5_SW_jjP12ihipStream_tbEUlT_E0_NS1_11comp_targetILNS1_3genE10ELNS1_11target_archE1200ELNS1_3gpuE4ELNS1_3repE0EEENS1_60segmented_radix_sort_warp_sort_medium_config_static_selectorELNS0_4arch9wavefront6targetE1EEEvSK_.kd
    .uniform_work_group_size: 1
    .uses_dynamic_stack: false
    .vgpr_count:     0
    .vgpr_spill_count: 0
    .wavefront_size: 64
  - .agpr_count:     0
    .args:
      - .offset:         0
        .size:           88
        .value_kind:     by_value
    .group_segment_fixed_size: 0
    .kernarg_segment_align: 8
    .kernarg_segment_size: 88
    .language:       OpenCL C
    .language_version:
      - 2
      - 0
    .max_flat_workgroup_size: 256
    .name:           _ZN7rocprim17ROCPRIM_400000_NS6detail17trampoline_kernelINS0_14default_configENS1_36segmented_radix_sort_config_selectorIalEEZNS1_25segmented_radix_sort_implIS3_Lb1EPKaPaPKlPlN2at6native12_GLOBAL__N_18offset_tEEE10hipError_tPvRmT1_PNSt15iterator_traitsISK_E10value_typeET2_T3_PNSL_ISQ_E10value_typeET4_jRbjT5_SW_jjP12ihipStream_tbEUlT_E0_NS1_11comp_targetILNS1_3genE9ELNS1_11target_archE1100ELNS1_3gpuE3ELNS1_3repE0EEENS1_60segmented_radix_sort_warp_sort_medium_config_static_selectorELNS0_4arch9wavefront6targetE1EEEvSK_
    .private_segment_fixed_size: 0
    .sgpr_count:     4
    .sgpr_spill_count: 0
    .symbol:         _ZN7rocprim17ROCPRIM_400000_NS6detail17trampoline_kernelINS0_14default_configENS1_36segmented_radix_sort_config_selectorIalEEZNS1_25segmented_radix_sort_implIS3_Lb1EPKaPaPKlPlN2at6native12_GLOBAL__N_18offset_tEEE10hipError_tPvRmT1_PNSt15iterator_traitsISK_E10value_typeET2_T3_PNSL_ISQ_E10value_typeET4_jRbjT5_SW_jjP12ihipStream_tbEUlT_E0_NS1_11comp_targetILNS1_3genE9ELNS1_11target_archE1100ELNS1_3gpuE3ELNS1_3repE0EEENS1_60segmented_radix_sort_warp_sort_medium_config_static_selectorELNS0_4arch9wavefront6targetE1EEEvSK_.kd
    .uniform_work_group_size: 1
    .uses_dynamic_stack: false
    .vgpr_count:     0
    .vgpr_spill_count: 0
    .wavefront_size: 64
  - .agpr_count:     0
    .args:
      - .offset:         0
        .size:           88
        .value_kind:     by_value
    .group_segment_fixed_size: 0
    .kernarg_segment_align: 8
    .kernarg_segment_size: 88
    .language:       OpenCL C
    .language_version:
      - 2
      - 0
    .max_flat_workgroup_size: 256
    .name:           _ZN7rocprim17ROCPRIM_400000_NS6detail17trampoline_kernelINS0_14default_configENS1_36segmented_radix_sort_config_selectorIalEEZNS1_25segmented_radix_sort_implIS3_Lb1EPKaPaPKlPlN2at6native12_GLOBAL__N_18offset_tEEE10hipError_tPvRmT1_PNSt15iterator_traitsISK_E10value_typeET2_T3_PNSL_ISQ_E10value_typeET4_jRbjT5_SW_jjP12ihipStream_tbEUlT_E0_NS1_11comp_targetILNS1_3genE8ELNS1_11target_archE1030ELNS1_3gpuE2ELNS1_3repE0EEENS1_60segmented_radix_sort_warp_sort_medium_config_static_selectorELNS0_4arch9wavefront6targetE1EEEvSK_
    .private_segment_fixed_size: 0
    .sgpr_count:     4
    .sgpr_spill_count: 0
    .symbol:         _ZN7rocprim17ROCPRIM_400000_NS6detail17trampoline_kernelINS0_14default_configENS1_36segmented_radix_sort_config_selectorIalEEZNS1_25segmented_radix_sort_implIS3_Lb1EPKaPaPKlPlN2at6native12_GLOBAL__N_18offset_tEEE10hipError_tPvRmT1_PNSt15iterator_traitsISK_E10value_typeET2_T3_PNSL_ISQ_E10value_typeET4_jRbjT5_SW_jjP12ihipStream_tbEUlT_E0_NS1_11comp_targetILNS1_3genE8ELNS1_11target_archE1030ELNS1_3gpuE2ELNS1_3repE0EEENS1_60segmented_radix_sort_warp_sort_medium_config_static_selectorELNS0_4arch9wavefront6targetE1EEEvSK_.kd
    .uniform_work_group_size: 1
    .uses_dynamic_stack: false
    .vgpr_count:     0
    .vgpr_spill_count: 0
    .wavefront_size: 64
  - .agpr_count:     0
    .args:
      - .offset:         0
        .size:           88
        .value_kind:     by_value
    .group_segment_fixed_size: 0
    .kernarg_segment_align: 8
    .kernarg_segment_size: 88
    .language:       OpenCL C
    .language_version:
      - 2
      - 0
    .max_flat_workgroup_size: 256
    .name:           _ZN7rocprim17ROCPRIM_400000_NS6detail17trampoline_kernelINS0_14default_configENS1_36segmented_radix_sort_config_selectorIalEEZNS1_25segmented_radix_sort_implIS3_Lb1EPKaPaPKlPlN2at6native12_GLOBAL__N_18offset_tEEE10hipError_tPvRmT1_PNSt15iterator_traitsISK_E10value_typeET2_T3_PNSL_ISQ_E10value_typeET4_jRbjT5_SW_jjP12ihipStream_tbEUlT_E1_NS1_11comp_targetILNS1_3genE0ELNS1_11target_archE4294967295ELNS1_3gpuE0ELNS1_3repE0EEENS1_59segmented_radix_sort_warp_sort_small_config_static_selectorELNS0_4arch9wavefront6targetE1EEEvSK_
    .private_segment_fixed_size: 0
    .sgpr_count:     4
    .sgpr_spill_count: 0
    .symbol:         _ZN7rocprim17ROCPRIM_400000_NS6detail17trampoline_kernelINS0_14default_configENS1_36segmented_radix_sort_config_selectorIalEEZNS1_25segmented_radix_sort_implIS3_Lb1EPKaPaPKlPlN2at6native12_GLOBAL__N_18offset_tEEE10hipError_tPvRmT1_PNSt15iterator_traitsISK_E10value_typeET2_T3_PNSL_ISQ_E10value_typeET4_jRbjT5_SW_jjP12ihipStream_tbEUlT_E1_NS1_11comp_targetILNS1_3genE0ELNS1_11target_archE4294967295ELNS1_3gpuE0ELNS1_3repE0EEENS1_59segmented_radix_sort_warp_sort_small_config_static_selectorELNS0_4arch9wavefront6targetE1EEEvSK_.kd
    .uniform_work_group_size: 1
    .uses_dynamic_stack: false
    .vgpr_count:     0
    .vgpr_spill_count: 0
    .wavefront_size: 64
  - .agpr_count:     0
    .args:
      - .offset:         0
        .size:           88
        .value_kind:     by_value
    .group_segment_fixed_size: 0
    .kernarg_segment_align: 8
    .kernarg_segment_size: 88
    .language:       OpenCL C
    .language_version:
      - 2
      - 0
    .max_flat_workgroup_size: 256
    .name:           _ZN7rocprim17ROCPRIM_400000_NS6detail17trampoline_kernelINS0_14default_configENS1_36segmented_radix_sort_config_selectorIalEEZNS1_25segmented_radix_sort_implIS3_Lb1EPKaPaPKlPlN2at6native12_GLOBAL__N_18offset_tEEE10hipError_tPvRmT1_PNSt15iterator_traitsISK_E10value_typeET2_T3_PNSL_ISQ_E10value_typeET4_jRbjT5_SW_jjP12ihipStream_tbEUlT_E1_NS1_11comp_targetILNS1_3genE5ELNS1_11target_archE942ELNS1_3gpuE9ELNS1_3repE0EEENS1_59segmented_radix_sort_warp_sort_small_config_static_selectorELNS0_4arch9wavefront6targetE1EEEvSK_
    .private_segment_fixed_size: 0
    .sgpr_count:     4
    .sgpr_spill_count: 0
    .symbol:         _ZN7rocprim17ROCPRIM_400000_NS6detail17trampoline_kernelINS0_14default_configENS1_36segmented_radix_sort_config_selectorIalEEZNS1_25segmented_radix_sort_implIS3_Lb1EPKaPaPKlPlN2at6native12_GLOBAL__N_18offset_tEEE10hipError_tPvRmT1_PNSt15iterator_traitsISK_E10value_typeET2_T3_PNSL_ISQ_E10value_typeET4_jRbjT5_SW_jjP12ihipStream_tbEUlT_E1_NS1_11comp_targetILNS1_3genE5ELNS1_11target_archE942ELNS1_3gpuE9ELNS1_3repE0EEENS1_59segmented_radix_sort_warp_sort_small_config_static_selectorELNS0_4arch9wavefront6targetE1EEEvSK_.kd
    .uniform_work_group_size: 1
    .uses_dynamic_stack: false
    .vgpr_count:     0
    .vgpr_spill_count: 0
    .wavefront_size: 64
  - .agpr_count:     0
    .args:
      - .offset:         0
        .size:           88
        .value_kind:     by_value
      - .offset:         88
        .size:           4
        .value_kind:     hidden_block_count_x
      - .offset:         92
        .size:           4
        .value_kind:     hidden_block_count_y
      - .offset:         96
        .size:           4
        .value_kind:     hidden_block_count_z
      - .offset:         100
        .size:           2
        .value_kind:     hidden_group_size_x
      - .offset:         102
        .size:           2
        .value_kind:     hidden_group_size_y
      - .offset:         104
        .size:           2
        .value_kind:     hidden_group_size_z
      - .offset:         106
        .size:           2
        .value_kind:     hidden_remainder_x
      - .offset:         108
        .size:           2
        .value_kind:     hidden_remainder_y
      - .offset:         110
        .size:           2
        .value_kind:     hidden_remainder_z
      - .offset:         128
        .size:           8
        .value_kind:     hidden_global_offset_x
      - .offset:         136
        .size:           8
        .value_kind:     hidden_global_offset_y
      - .offset:         144
        .size:           8
        .value_kind:     hidden_global_offset_z
      - .offset:         152
        .size:           2
        .value_kind:     hidden_grid_dims
      - .offset:         168
        .size:           8
        .value_kind:     hidden_hostcall_buffer
      - .offset:         176
        .size:           8
        .value_kind:     hidden_multigrid_sync_arg
      - .offset:         184
        .size:           8
        .value_kind:     hidden_heap_v1
      - .offset:         192
        .size:           8
        .value_kind:     hidden_default_queue
      - .offset:         200
        .size:           8
        .value_kind:     hidden_completion_action
      - .offset:         288
        .size:           8
        .value_kind:     hidden_queue_ptr
    .group_segment_fixed_size: 9216
    .kernarg_segment_align: 8
    .kernarg_segment_size: 344
    .language:       OpenCL C
    .language_version:
      - 2
      - 0
    .max_flat_workgroup_size: 256
    .name:           _ZN7rocprim17ROCPRIM_400000_NS6detail17trampoline_kernelINS0_14default_configENS1_36segmented_radix_sort_config_selectorIalEEZNS1_25segmented_radix_sort_implIS3_Lb1EPKaPaPKlPlN2at6native12_GLOBAL__N_18offset_tEEE10hipError_tPvRmT1_PNSt15iterator_traitsISK_E10value_typeET2_T3_PNSL_ISQ_E10value_typeET4_jRbjT5_SW_jjP12ihipStream_tbEUlT_E1_NS1_11comp_targetILNS1_3genE4ELNS1_11target_archE910ELNS1_3gpuE8ELNS1_3repE0EEENS1_59segmented_radix_sort_warp_sort_small_config_static_selectorELNS0_4arch9wavefront6targetE1EEEvSK_
    .private_segment_fixed_size: 0
    .sgpr_count:     56
    .sgpr_spill_count: 0
    .symbol:         _ZN7rocprim17ROCPRIM_400000_NS6detail17trampoline_kernelINS0_14default_configENS1_36segmented_radix_sort_config_selectorIalEEZNS1_25segmented_radix_sort_implIS3_Lb1EPKaPaPKlPlN2at6native12_GLOBAL__N_18offset_tEEE10hipError_tPvRmT1_PNSt15iterator_traitsISK_E10value_typeET2_T3_PNSL_ISQ_E10value_typeET4_jRbjT5_SW_jjP12ihipStream_tbEUlT_E1_NS1_11comp_targetILNS1_3genE4ELNS1_11target_archE910ELNS1_3gpuE8ELNS1_3repE0EEENS1_59segmented_radix_sort_warp_sort_small_config_static_selectorELNS0_4arch9wavefront6targetE1EEEvSK_.kd
    .uniform_work_group_size: 1
    .uses_dynamic_stack: false
    .vgpr_count:     67
    .vgpr_spill_count: 0
    .wavefront_size: 64
  - .agpr_count:     0
    .args:
      - .offset:         0
        .size:           88
        .value_kind:     by_value
    .group_segment_fixed_size: 0
    .kernarg_segment_align: 8
    .kernarg_segment_size: 88
    .language:       OpenCL C
    .language_version:
      - 2
      - 0
    .max_flat_workgroup_size: 256
    .name:           _ZN7rocprim17ROCPRIM_400000_NS6detail17trampoline_kernelINS0_14default_configENS1_36segmented_radix_sort_config_selectorIalEEZNS1_25segmented_radix_sort_implIS3_Lb1EPKaPaPKlPlN2at6native12_GLOBAL__N_18offset_tEEE10hipError_tPvRmT1_PNSt15iterator_traitsISK_E10value_typeET2_T3_PNSL_ISQ_E10value_typeET4_jRbjT5_SW_jjP12ihipStream_tbEUlT_E1_NS1_11comp_targetILNS1_3genE3ELNS1_11target_archE908ELNS1_3gpuE7ELNS1_3repE0EEENS1_59segmented_radix_sort_warp_sort_small_config_static_selectorELNS0_4arch9wavefront6targetE1EEEvSK_
    .private_segment_fixed_size: 0
    .sgpr_count:     4
    .sgpr_spill_count: 0
    .symbol:         _ZN7rocprim17ROCPRIM_400000_NS6detail17trampoline_kernelINS0_14default_configENS1_36segmented_radix_sort_config_selectorIalEEZNS1_25segmented_radix_sort_implIS3_Lb1EPKaPaPKlPlN2at6native12_GLOBAL__N_18offset_tEEE10hipError_tPvRmT1_PNSt15iterator_traitsISK_E10value_typeET2_T3_PNSL_ISQ_E10value_typeET4_jRbjT5_SW_jjP12ihipStream_tbEUlT_E1_NS1_11comp_targetILNS1_3genE3ELNS1_11target_archE908ELNS1_3gpuE7ELNS1_3repE0EEENS1_59segmented_radix_sort_warp_sort_small_config_static_selectorELNS0_4arch9wavefront6targetE1EEEvSK_.kd
    .uniform_work_group_size: 1
    .uses_dynamic_stack: false
    .vgpr_count:     0
    .vgpr_spill_count: 0
    .wavefront_size: 64
  - .agpr_count:     0
    .args:
      - .offset:         0
        .size:           88
        .value_kind:     by_value
    .group_segment_fixed_size: 0
    .kernarg_segment_align: 8
    .kernarg_segment_size: 88
    .language:       OpenCL C
    .language_version:
      - 2
      - 0
    .max_flat_workgroup_size: 256
    .name:           _ZN7rocprim17ROCPRIM_400000_NS6detail17trampoline_kernelINS0_14default_configENS1_36segmented_radix_sort_config_selectorIalEEZNS1_25segmented_radix_sort_implIS3_Lb1EPKaPaPKlPlN2at6native12_GLOBAL__N_18offset_tEEE10hipError_tPvRmT1_PNSt15iterator_traitsISK_E10value_typeET2_T3_PNSL_ISQ_E10value_typeET4_jRbjT5_SW_jjP12ihipStream_tbEUlT_E1_NS1_11comp_targetILNS1_3genE2ELNS1_11target_archE906ELNS1_3gpuE6ELNS1_3repE0EEENS1_59segmented_radix_sort_warp_sort_small_config_static_selectorELNS0_4arch9wavefront6targetE1EEEvSK_
    .private_segment_fixed_size: 0
    .sgpr_count:     4
    .sgpr_spill_count: 0
    .symbol:         _ZN7rocprim17ROCPRIM_400000_NS6detail17trampoline_kernelINS0_14default_configENS1_36segmented_radix_sort_config_selectorIalEEZNS1_25segmented_radix_sort_implIS3_Lb1EPKaPaPKlPlN2at6native12_GLOBAL__N_18offset_tEEE10hipError_tPvRmT1_PNSt15iterator_traitsISK_E10value_typeET2_T3_PNSL_ISQ_E10value_typeET4_jRbjT5_SW_jjP12ihipStream_tbEUlT_E1_NS1_11comp_targetILNS1_3genE2ELNS1_11target_archE906ELNS1_3gpuE6ELNS1_3repE0EEENS1_59segmented_radix_sort_warp_sort_small_config_static_selectorELNS0_4arch9wavefront6targetE1EEEvSK_.kd
    .uniform_work_group_size: 1
    .uses_dynamic_stack: false
    .vgpr_count:     0
    .vgpr_spill_count: 0
    .wavefront_size: 64
  - .agpr_count:     0
    .args:
      - .offset:         0
        .size:           88
        .value_kind:     by_value
    .group_segment_fixed_size: 0
    .kernarg_segment_align: 8
    .kernarg_segment_size: 88
    .language:       OpenCL C
    .language_version:
      - 2
      - 0
    .max_flat_workgroup_size: 256
    .name:           _ZN7rocprim17ROCPRIM_400000_NS6detail17trampoline_kernelINS0_14default_configENS1_36segmented_radix_sort_config_selectorIalEEZNS1_25segmented_radix_sort_implIS3_Lb1EPKaPaPKlPlN2at6native12_GLOBAL__N_18offset_tEEE10hipError_tPvRmT1_PNSt15iterator_traitsISK_E10value_typeET2_T3_PNSL_ISQ_E10value_typeET4_jRbjT5_SW_jjP12ihipStream_tbEUlT_E1_NS1_11comp_targetILNS1_3genE10ELNS1_11target_archE1201ELNS1_3gpuE5ELNS1_3repE0EEENS1_59segmented_radix_sort_warp_sort_small_config_static_selectorELNS0_4arch9wavefront6targetE1EEEvSK_
    .private_segment_fixed_size: 0
    .sgpr_count:     4
    .sgpr_spill_count: 0
    .symbol:         _ZN7rocprim17ROCPRIM_400000_NS6detail17trampoline_kernelINS0_14default_configENS1_36segmented_radix_sort_config_selectorIalEEZNS1_25segmented_radix_sort_implIS3_Lb1EPKaPaPKlPlN2at6native12_GLOBAL__N_18offset_tEEE10hipError_tPvRmT1_PNSt15iterator_traitsISK_E10value_typeET2_T3_PNSL_ISQ_E10value_typeET4_jRbjT5_SW_jjP12ihipStream_tbEUlT_E1_NS1_11comp_targetILNS1_3genE10ELNS1_11target_archE1201ELNS1_3gpuE5ELNS1_3repE0EEENS1_59segmented_radix_sort_warp_sort_small_config_static_selectorELNS0_4arch9wavefront6targetE1EEEvSK_.kd
    .uniform_work_group_size: 1
    .uses_dynamic_stack: false
    .vgpr_count:     0
    .vgpr_spill_count: 0
    .wavefront_size: 64
  - .agpr_count:     0
    .args:
      - .offset:         0
        .size:           88
        .value_kind:     by_value
    .group_segment_fixed_size: 0
    .kernarg_segment_align: 8
    .kernarg_segment_size: 88
    .language:       OpenCL C
    .language_version:
      - 2
      - 0
    .max_flat_workgroup_size: 256
    .name:           _ZN7rocprim17ROCPRIM_400000_NS6detail17trampoline_kernelINS0_14default_configENS1_36segmented_radix_sort_config_selectorIalEEZNS1_25segmented_radix_sort_implIS3_Lb1EPKaPaPKlPlN2at6native12_GLOBAL__N_18offset_tEEE10hipError_tPvRmT1_PNSt15iterator_traitsISK_E10value_typeET2_T3_PNSL_ISQ_E10value_typeET4_jRbjT5_SW_jjP12ihipStream_tbEUlT_E1_NS1_11comp_targetILNS1_3genE10ELNS1_11target_archE1200ELNS1_3gpuE4ELNS1_3repE0EEENS1_59segmented_radix_sort_warp_sort_small_config_static_selectorELNS0_4arch9wavefront6targetE1EEEvSK_
    .private_segment_fixed_size: 0
    .sgpr_count:     4
    .sgpr_spill_count: 0
    .symbol:         _ZN7rocprim17ROCPRIM_400000_NS6detail17trampoline_kernelINS0_14default_configENS1_36segmented_radix_sort_config_selectorIalEEZNS1_25segmented_radix_sort_implIS3_Lb1EPKaPaPKlPlN2at6native12_GLOBAL__N_18offset_tEEE10hipError_tPvRmT1_PNSt15iterator_traitsISK_E10value_typeET2_T3_PNSL_ISQ_E10value_typeET4_jRbjT5_SW_jjP12ihipStream_tbEUlT_E1_NS1_11comp_targetILNS1_3genE10ELNS1_11target_archE1200ELNS1_3gpuE4ELNS1_3repE0EEENS1_59segmented_radix_sort_warp_sort_small_config_static_selectorELNS0_4arch9wavefront6targetE1EEEvSK_.kd
    .uniform_work_group_size: 1
    .uses_dynamic_stack: false
    .vgpr_count:     0
    .vgpr_spill_count: 0
    .wavefront_size: 64
  - .agpr_count:     0
    .args:
      - .offset:         0
        .size:           88
        .value_kind:     by_value
    .group_segment_fixed_size: 0
    .kernarg_segment_align: 8
    .kernarg_segment_size: 88
    .language:       OpenCL C
    .language_version:
      - 2
      - 0
    .max_flat_workgroup_size: 256
    .name:           _ZN7rocprim17ROCPRIM_400000_NS6detail17trampoline_kernelINS0_14default_configENS1_36segmented_radix_sort_config_selectorIalEEZNS1_25segmented_radix_sort_implIS3_Lb1EPKaPaPKlPlN2at6native12_GLOBAL__N_18offset_tEEE10hipError_tPvRmT1_PNSt15iterator_traitsISK_E10value_typeET2_T3_PNSL_ISQ_E10value_typeET4_jRbjT5_SW_jjP12ihipStream_tbEUlT_E1_NS1_11comp_targetILNS1_3genE9ELNS1_11target_archE1100ELNS1_3gpuE3ELNS1_3repE0EEENS1_59segmented_radix_sort_warp_sort_small_config_static_selectorELNS0_4arch9wavefront6targetE1EEEvSK_
    .private_segment_fixed_size: 0
    .sgpr_count:     4
    .sgpr_spill_count: 0
    .symbol:         _ZN7rocprim17ROCPRIM_400000_NS6detail17trampoline_kernelINS0_14default_configENS1_36segmented_radix_sort_config_selectorIalEEZNS1_25segmented_radix_sort_implIS3_Lb1EPKaPaPKlPlN2at6native12_GLOBAL__N_18offset_tEEE10hipError_tPvRmT1_PNSt15iterator_traitsISK_E10value_typeET2_T3_PNSL_ISQ_E10value_typeET4_jRbjT5_SW_jjP12ihipStream_tbEUlT_E1_NS1_11comp_targetILNS1_3genE9ELNS1_11target_archE1100ELNS1_3gpuE3ELNS1_3repE0EEENS1_59segmented_radix_sort_warp_sort_small_config_static_selectorELNS0_4arch9wavefront6targetE1EEEvSK_.kd
    .uniform_work_group_size: 1
    .uses_dynamic_stack: false
    .vgpr_count:     0
    .vgpr_spill_count: 0
    .wavefront_size: 64
  - .agpr_count:     0
    .args:
      - .offset:         0
        .size:           88
        .value_kind:     by_value
    .group_segment_fixed_size: 0
    .kernarg_segment_align: 8
    .kernarg_segment_size: 88
    .language:       OpenCL C
    .language_version:
      - 2
      - 0
    .max_flat_workgroup_size: 256
    .name:           _ZN7rocprim17ROCPRIM_400000_NS6detail17trampoline_kernelINS0_14default_configENS1_36segmented_radix_sort_config_selectorIalEEZNS1_25segmented_radix_sort_implIS3_Lb1EPKaPaPKlPlN2at6native12_GLOBAL__N_18offset_tEEE10hipError_tPvRmT1_PNSt15iterator_traitsISK_E10value_typeET2_T3_PNSL_ISQ_E10value_typeET4_jRbjT5_SW_jjP12ihipStream_tbEUlT_E1_NS1_11comp_targetILNS1_3genE8ELNS1_11target_archE1030ELNS1_3gpuE2ELNS1_3repE0EEENS1_59segmented_radix_sort_warp_sort_small_config_static_selectorELNS0_4arch9wavefront6targetE1EEEvSK_
    .private_segment_fixed_size: 0
    .sgpr_count:     4
    .sgpr_spill_count: 0
    .symbol:         _ZN7rocprim17ROCPRIM_400000_NS6detail17trampoline_kernelINS0_14default_configENS1_36segmented_radix_sort_config_selectorIalEEZNS1_25segmented_radix_sort_implIS3_Lb1EPKaPaPKlPlN2at6native12_GLOBAL__N_18offset_tEEE10hipError_tPvRmT1_PNSt15iterator_traitsISK_E10value_typeET2_T3_PNSL_ISQ_E10value_typeET4_jRbjT5_SW_jjP12ihipStream_tbEUlT_E1_NS1_11comp_targetILNS1_3genE8ELNS1_11target_archE1030ELNS1_3gpuE2ELNS1_3repE0EEENS1_59segmented_radix_sort_warp_sort_small_config_static_selectorELNS0_4arch9wavefront6targetE1EEEvSK_.kd
    .uniform_work_group_size: 1
    .uses_dynamic_stack: false
    .vgpr_count:     0
    .vgpr_spill_count: 0
    .wavefront_size: 64
  - .agpr_count:     0
    .args:
      - .offset:         0
        .size:           80
        .value_kind:     by_value
    .group_segment_fixed_size: 0
    .kernarg_segment_align: 8
    .kernarg_segment_size: 80
    .language:       OpenCL C
    .language_version:
      - 2
      - 0
    .max_flat_workgroup_size: 256
    .name:           _ZN7rocprim17ROCPRIM_400000_NS6detail17trampoline_kernelINS0_14default_configENS1_36segmented_radix_sort_config_selectorIalEEZNS1_25segmented_radix_sort_implIS3_Lb1EPKaPaPKlPlN2at6native12_GLOBAL__N_18offset_tEEE10hipError_tPvRmT1_PNSt15iterator_traitsISK_E10value_typeET2_T3_PNSL_ISQ_E10value_typeET4_jRbjT5_SW_jjP12ihipStream_tbEUlT_E2_NS1_11comp_targetILNS1_3genE0ELNS1_11target_archE4294967295ELNS1_3gpuE0ELNS1_3repE0EEENS1_30default_config_static_selectorELNS0_4arch9wavefront6targetE1EEEvSK_
    .private_segment_fixed_size: 0
    .sgpr_count:     4
    .sgpr_spill_count: 0
    .symbol:         _ZN7rocprim17ROCPRIM_400000_NS6detail17trampoline_kernelINS0_14default_configENS1_36segmented_radix_sort_config_selectorIalEEZNS1_25segmented_radix_sort_implIS3_Lb1EPKaPaPKlPlN2at6native12_GLOBAL__N_18offset_tEEE10hipError_tPvRmT1_PNSt15iterator_traitsISK_E10value_typeET2_T3_PNSL_ISQ_E10value_typeET4_jRbjT5_SW_jjP12ihipStream_tbEUlT_E2_NS1_11comp_targetILNS1_3genE0ELNS1_11target_archE4294967295ELNS1_3gpuE0ELNS1_3repE0EEENS1_30default_config_static_selectorELNS0_4arch9wavefront6targetE1EEEvSK_.kd
    .uniform_work_group_size: 1
    .uses_dynamic_stack: false
    .vgpr_count:     0
    .vgpr_spill_count: 0
    .wavefront_size: 64
  - .agpr_count:     0
    .args:
      - .offset:         0
        .size:           80
        .value_kind:     by_value
    .group_segment_fixed_size: 0
    .kernarg_segment_align: 8
    .kernarg_segment_size: 80
    .language:       OpenCL C
    .language_version:
      - 2
      - 0
    .max_flat_workgroup_size: 256
    .name:           _ZN7rocprim17ROCPRIM_400000_NS6detail17trampoline_kernelINS0_14default_configENS1_36segmented_radix_sort_config_selectorIalEEZNS1_25segmented_radix_sort_implIS3_Lb1EPKaPaPKlPlN2at6native12_GLOBAL__N_18offset_tEEE10hipError_tPvRmT1_PNSt15iterator_traitsISK_E10value_typeET2_T3_PNSL_ISQ_E10value_typeET4_jRbjT5_SW_jjP12ihipStream_tbEUlT_E2_NS1_11comp_targetILNS1_3genE5ELNS1_11target_archE942ELNS1_3gpuE9ELNS1_3repE0EEENS1_30default_config_static_selectorELNS0_4arch9wavefront6targetE1EEEvSK_
    .private_segment_fixed_size: 0
    .sgpr_count:     4
    .sgpr_spill_count: 0
    .symbol:         _ZN7rocprim17ROCPRIM_400000_NS6detail17trampoline_kernelINS0_14default_configENS1_36segmented_radix_sort_config_selectorIalEEZNS1_25segmented_radix_sort_implIS3_Lb1EPKaPaPKlPlN2at6native12_GLOBAL__N_18offset_tEEE10hipError_tPvRmT1_PNSt15iterator_traitsISK_E10value_typeET2_T3_PNSL_ISQ_E10value_typeET4_jRbjT5_SW_jjP12ihipStream_tbEUlT_E2_NS1_11comp_targetILNS1_3genE5ELNS1_11target_archE942ELNS1_3gpuE9ELNS1_3repE0EEENS1_30default_config_static_selectorELNS0_4arch9wavefront6targetE1EEEvSK_.kd
    .uniform_work_group_size: 1
    .uses_dynamic_stack: false
    .vgpr_count:     0
    .vgpr_spill_count: 0
    .wavefront_size: 64
  - .agpr_count:     0
    .args:
      - .offset:         0
        .size:           80
        .value_kind:     by_value
      - .offset:         80
        .size:           4
        .value_kind:     hidden_block_count_x
      - .offset:         84
        .size:           4
        .value_kind:     hidden_block_count_y
      - .offset:         88
        .size:           4
        .value_kind:     hidden_block_count_z
      - .offset:         92
        .size:           2
        .value_kind:     hidden_group_size_x
      - .offset:         94
        .size:           2
        .value_kind:     hidden_group_size_y
      - .offset:         96
        .size:           2
        .value_kind:     hidden_group_size_z
      - .offset:         98
        .size:           2
        .value_kind:     hidden_remainder_x
      - .offset:         100
        .size:           2
        .value_kind:     hidden_remainder_y
      - .offset:         102
        .size:           2
        .value_kind:     hidden_remainder_z
      - .offset:         120
        .size:           8
        .value_kind:     hidden_global_offset_x
      - .offset:         128
        .size:           8
        .value_kind:     hidden_global_offset_y
      - .offset:         136
        .size:           8
        .value_kind:     hidden_global_offset_z
      - .offset:         144
        .size:           2
        .value_kind:     hidden_grid_dims
      - .offset:         160
        .size:           8
        .value_kind:     hidden_hostcall_buffer
      - .offset:         168
        .size:           8
        .value_kind:     hidden_multigrid_sync_arg
      - .offset:         176
        .size:           8
        .value_kind:     hidden_heap_v1
      - .offset:         184
        .size:           8
        .value_kind:     hidden_default_queue
      - .offset:         192
        .size:           8
        .value_kind:     hidden_completion_action
      - .offset:         280
        .size:           8
        .value_kind:     hidden_queue_ptr
    .group_segment_fixed_size: 17424
    .kernarg_segment_align: 8
    .kernarg_segment_size: 336
    .language:       OpenCL C
    .language_version:
      - 2
      - 0
    .max_flat_workgroup_size: 256
    .name:           _ZN7rocprim17ROCPRIM_400000_NS6detail17trampoline_kernelINS0_14default_configENS1_36segmented_radix_sort_config_selectorIalEEZNS1_25segmented_radix_sort_implIS3_Lb1EPKaPaPKlPlN2at6native12_GLOBAL__N_18offset_tEEE10hipError_tPvRmT1_PNSt15iterator_traitsISK_E10value_typeET2_T3_PNSL_ISQ_E10value_typeET4_jRbjT5_SW_jjP12ihipStream_tbEUlT_E2_NS1_11comp_targetILNS1_3genE4ELNS1_11target_archE910ELNS1_3gpuE8ELNS1_3repE0EEENS1_30default_config_static_selectorELNS0_4arch9wavefront6targetE1EEEvSK_
    .private_segment_fixed_size: 8
    .sgpr_count:     86
    .sgpr_spill_count: 0
    .symbol:         _ZN7rocprim17ROCPRIM_400000_NS6detail17trampoline_kernelINS0_14default_configENS1_36segmented_radix_sort_config_selectorIalEEZNS1_25segmented_radix_sort_implIS3_Lb1EPKaPaPKlPlN2at6native12_GLOBAL__N_18offset_tEEE10hipError_tPvRmT1_PNSt15iterator_traitsISK_E10value_typeET2_T3_PNSL_ISQ_E10value_typeET4_jRbjT5_SW_jjP12ihipStream_tbEUlT_E2_NS1_11comp_targetILNS1_3genE4ELNS1_11target_archE910ELNS1_3gpuE8ELNS1_3repE0EEENS1_30default_config_static_selectorELNS0_4arch9wavefront6targetE1EEEvSK_.kd
    .uniform_work_group_size: 1
    .uses_dynamic_stack: false
    .vgpr_count:     168
    .vgpr_spill_count: 0
    .wavefront_size: 64
  - .agpr_count:     0
    .args:
      - .offset:         0
        .size:           80
        .value_kind:     by_value
    .group_segment_fixed_size: 0
    .kernarg_segment_align: 8
    .kernarg_segment_size: 80
    .language:       OpenCL C
    .language_version:
      - 2
      - 0
    .max_flat_workgroup_size: 256
    .name:           _ZN7rocprim17ROCPRIM_400000_NS6detail17trampoline_kernelINS0_14default_configENS1_36segmented_radix_sort_config_selectorIalEEZNS1_25segmented_radix_sort_implIS3_Lb1EPKaPaPKlPlN2at6native12_GLOBAL__N_18offset_tEEE10hipError_tPvRmT1_PNSt15iterator_traitsISK_E10value_typeET2_T3_PNSL_ISQ_E10value_typeET4_jRbjT5_SW_jjP12ihipStream_tbEUlT_E2_NS1_11comp_targetILNS1_3genE3ELNS1_11target_archE908ELNS1_3gpuE7ELNS1_3repE0EEENS1_30default_config_static_selectorELNS0_4arch9wavefront6targetE1EEEvSK_
    .private_segment_fixed_size: 0
    .sgpr_count:     4
    .sgpr_spill_count: 0
    .symbol:         _ZN7rocprim17ROCPRIM_400000_NS6detail17trampoline_kernelINS0_14default_configENS1_36segmented_radix_sort_config_selectorIalEEZNS1_25segmented_radix_sort_implIS3_Lb1EPKaPaPKlPlN2at6native12_GLOBAL__N_18offset_tEEE10hipError_tPvRmT1_PNSt15iterator_traitsISK_E10value_typeET2_T3_PNSL_ISQ_E10value_typeET4_jRbjT5_SW_jjP12ihipStream_tbEUlT_E2_NS1_11comp_targetILNS1_3genE3ELNS1_11target_archE908ELNS1_3gpuE7ELNS1_3repE0EEENS1_30default_config_static_selectorELNS0_4arch9wavefront6targetE1EEEvSK_.kd
    .uniform_work_group_size: 1
    .uses_dynamic_stack: false
    .vgpr_count:     0
    .vgpr_spill_count: 0
    .wavefront_size: 64
  - .agpr_count:     0
    .args:
      - .offset:         0
        .size:           80
        .value_kind:     by_value
    .group_segment_fixed_size: 0
    .kernarg_segment_align: 8
    .kernarg_segment_size: 80
    .language:       OpenCL C
    .language_version:
      - 2
      - 0
    .max_flat_workgroup_size: 256
    .name:           _ZN7rocprim17ROCPRIM_400000_NS6detail17trampoline_kernelINS0_14default_configENS1_36segmented_radix_sort_config_selectorIalEEZNS1_25segmented_radix_sort_implIS3_Lb1EPKaPaPKlPlN2at6native12_GLOBAL__N_18offset_tEEE10hipError_tPvRmT1_PNSt15iterator_traitsISK_E10value_typeET2_T3_PNSL_ISQ_E10value_typeET4_jRbjT5_SW_jjP12ihipStream_tbEUlT_E2_NS1_11comp_targetILNS1_3genE2ELNS1_11target_archE906ELNS1_3gpuE6ELNS1_3repE0EEENS1_30default_config_static_selectorELNS0_4arch9wavefront6targetE1EEEvSK_
    .private_segment_fixed_size: 0
    .sgpr_count:     4
    .sgpr_spill_count: 0
    .symbol:         _ZN7rocprim17ROCPRIM_400000_NS6detail17trampoline_kernelINS0_14default_configENS1_36segmented_radix_sort_config_selectorIalEEZNS1_25segmented_radix_sort_implIS3_Lb1EPKaPaPKlPlN2at6native12_GLOBAL__N_18offset_tEEE10hipError_tPvRmT1_PNSt15iterator_traitsISK_E10value_typeET2_T3_PNSL_ISQ_E10value_typeET4_jRbjT5_SW_jjP12ihipStream_tbEUlT_E2_NS1_11comp_targetILNS1_3genE2ELNS1_11target_archE906ELNS1_3gpuE6ELNS1_3repE0EEENS1_30default_config_static_selectorELNS0_4arch9wavefront6targetE1EEEvSK_.kd
    .uniform_work_group_size: 1
    .uses_dynamic_stack: false
    .vgpr_count:     0
    .vgpr_spill_count: 0
    .wavefront_size: 64
  - .agpr_count:     0
    .args:
      - .offset:         0
        .size:           80
        .value_kind:     by_value
    .group_segment_fixed_size: 0
    .kernarg_segment_align: 8
    .kernarg_segment_size: 80
    .language:       OpenCL C
    .language_version:
      - 2
      - 0
    .max_flat_workgroup_size: 256
    .name:           _ZN7rocprim17ROCPRIM_400000_NS6detail17trampoline_kernelINS0_14default_configENS1_36segmented_radix_sort_config_selectorIalEEZNS1_25segmented_radix_sort_implIS3_Lb1EPKaPaPKlPlN2at6native12_GLOBAL__N_18offset_tEEE10hipError_tPvRmT1_PNSt15iterator_traitsISK_E10value_typeET2_T3_PNSL_ISQ_E10value_typeET4_jRbjT5_SW_jjP12ihipStream_tbEUlT_E2_NS1_11comp_targetILNS1_3genE10ELNS1_11target_archE1201ELNS1_3gpuE5ELNS1_3repE0EEENS1_30default_config_static_selectorELNS0_4arch9wavefront6targetE1EEEvSK_
    .private_segment_fixed_size: 0
    .sgpr_count:     4
    .sgpr_spill_count: 0
    .symbol:         _ZN7rocprim17ROCPRIM_400000_NS6detail17trampoline_kernelINS0_14default_configENS1_36segmented_radix_sort_config_selectorIalEEZNS1_25segmented_radix_sort_implIS3_Lb1EPKaPaPKlPlN2at6native12_GLOBAL__N_18offset_tEEE10hipError_tPvRmT1_PNSt15iterator_traitsISK_E10value_typeET2_T3_PNSL_ISQ_E10value_typeET4_jRbjT5_SW_jjP12ihipStream_tbEUlT_E2_NS1_11comp_targetILNS1_3genE10ELNS1_11target_archE1201ELNS1_3gpuE5ELNS1_3repE0EEENS1_30default_config_static_selectorELNS0_4arch9wavefront6targetE1EEEvSK_.kd
    .uniform_work_group_size: 1
    .uses_dynamic_stack: false
    .vgpr_count:     0
    .vgpr_spill_count: 0
    .wavefront_size: 64
  - .agpr_count:     0
    .args:
      - .offset:         0
        .size:           80
        .value_kind:     by_value
    .group_segment_fixed_size: 0
    .kernarg_segment_align: 8
    .kernarg_segment_size: 80
    .language:       OpenCL C
    .language_version:
      - 2
      - 0
    .max_flat_workgroup_size: 128
    .name:           _ZN7rocprim17ROCPRIM_400000_NS6detail17trampoline_kernelINS0_14default_configENS1_36segmented_radix_sort_config_selectorIalEEZNS1_25segmented_radix_sort_implIS3_Lb1EPKaPaPKlPlN2at6native12_GLOBAL__N_18offset_tEEE10hipError_tPvRmT1_PNSt15iterator_traitsISK_E10value_typeET2_T3_PNSL_ISQ_E10value_typeET4_jRbjT5_SW_jjP12ihipStream_tbEUlT_E2_NS1_11comp_targetILNS1_3genE10ELNS1_11target_archE1200ELNS1_3gpuE4ELNS1_3repE0EEENS1_30default_config_static_selectorELNS0_4arch9wavefront6targetE1EEEvSK_
    .private_segment_fixed_size: 0
    .sgpr_count:     4
    .sgpr_spill_count: 0
    .symbol:         _ZN7rocprim17ROCPRIM_400000_NS6detail17trampoline_kernelINS0_14default_configENS1_36segmented_radix_sort_config_selectorIalEEZNS1_25segmented_radix_sort_implIS3_Lb1EPKaPaPKlPlN2at6native12_GLOBAL__N_18offset_tEEE10hipError_tPvRmT1_PNSt15iterator_traitsISK_E10value_typeET2_T3_PNSL_ISQ_E10value_typeET4_jRbjT5_SW_jjP12ihipStream_tbEUlT_E2_NS1_11comp_targetILNS1_3genE10ELNS1_11target_archE1200ELNS1_3gpuE4ELNS1_3repE0EEENS1_30default_config_static_selectorELNS0_4arch9wavefront6targetE1EEEvSK_.kd
    .uniform_work_group_size: 1
    .uses_dynamic_stack: false
    .vgpr_count:     0
    .vgpr_spill_count: 0
    .wavefront_size: 64
  - .agpr_count:     0
    .args:
      - .offset:         0
        .size:           80
        .value_kind:     by_value
    .group_segment_fixed_size: 0
    .kernarg_segment_align: 8
    .kernarg_segment_size: 80
    .language:       OpenCL C
    .language_version:
      - 2
      - 0
    .max_flat_workgroup_size: 256
    .name:           _ZN7rocprim17ROCPRIM_400000_NS6detail17trampoline_kernelINS0_14default_configENS1_36segmented_radix_sort_config_selectorIalEEZNS1_25segmented_radix_sort_implIS3_Lb1EPKaPaPKlPlN2at6native12_GLOBAL__N_18offset_tEEE10hipError_tPvRmT1_PNSt15iterator_traitsISK_E10value_typeET2_T3_PNSL_ISQ_E10value_typeET4_jRbjT5_SW_jjP12ihipStream_tbEUlT_E2_NS1_11comp_targetILNS1_3genE9ELNS1_11target_archE1100ELNS1_3gpuE3ELNS1_3repE0EEENS1_30default_config_static_selectorELNS0_4arch9wavefront6targetE1EEEvSK_
    .private_segment_fixed_size: 0
    .sgpr_count:     4
    .sgpr_spill_count: 0
    .symbol:         _ZN7rocprim17ROCPRIM_400000_NS6detail17trampoline_kernelINS0_14default_configENS1_36segmented_radix_sort_config_selectorIalEEZNS1_25segmented_radix_sort_implIS3_Lb1EPKaPaPKlPlN2at6native12_GLOBAL__N_18offset_tEEE10hipError_tPvRmT1_PNSt15iterator_traitsISK_E10value_typeET2_T3_PNSL_ISQ_E10value_typeET4_jRbjT5_SW_jjP12ihipStream_tbEUlT_E2_NS1_11comp_targetILNS1_3genE9ELNS1_11target_archE1100ELNS1_3gpuE3ELNS1_3repE0EEENS1_30default_config_static_selectorELNS0_4arch9wavefront6targetE1EEEvSK_.kd
    .uniform_work_group_size: 1
    .uses_dynamic_stack: false
    .vgpr_count:     0
    .vgpr_spill_count: 0
    .wavefront_size: 64
  - .agpr_count:     0
    .args:
      - .offset:         0
        .size:           80
        .value_kind:     by_value
    .group_segment_fixed_size: 0
    .kernarg_segment_align: 8
    .kernarg_segment_size: 80
    .language:       OpenCL C
    .language_version:
      - 2
      - 0
    .max_flat_workgroup_size: 256
    .name:           _ZN7rocprim17ROCPRIM_400000_NS6detail17trampoline_kernelINS0_14default_configENS1_36segmented_radix_sort_config_selectorIalEEZNS1_25segmented_radix_sort_implIS3_Lb1EPKaPaPKlPlN2at6native12_GLOBAL__N_18offset_tEEE10hipError_tPvRmT1_PNSt15iterator_traitsISK_E10value_typeET2_T3_PNSL_ISQ_E10value_typeET4_jRbjT5_SW_jjP12ihipStream_tbEUlT_E2_NS1_11comp_targetILNS1_3genE8ELNS1_11target_archE1030ELNS1_3gpuE2ELNS1_3repE0EEENS1_30default_config_static_selectorELNS0_4arch9wavefront6targetE1EEEvSK_
    .private_segment_fixed_size: 0
    .sgpr_count:     4
    .sgpr_spill_count: 0
    .symbol:         _ZN7rocprim17ROCPRIM_400000_NS6detail17trampoline_kernelINS0_14default_configENS1_36segmented_radix_sort_config_selectorIalEEZNS1_25segmented_radix_sort_implIS3_Lb1EPKaPaPKlPlN2at6native12_GLOBAL__N_18offset_tEEE10hipError_tPvRmT1_PNSt15iterator_traitsISK_E10value_typeET2_T3_PNSL_ISQ_E10value_typeET4_jRbjT5_SW_jjP12ihipStream_tbEUlT_E2_NS1_11comp_targetILNS1_3genE8ELNS1_11target_archE1030ELNS1_3gpuE2ELNS1_3repE0EEENS1_30default_config_static_selectorELNS0_4arch9wavefront6targetE1EEEvSK_.kd
    .uniform_work_group_size: 1
    .uses_dynamic_stack: false
    .vgpr_count:     0
    .vgpr_spill_count: 0
    .wavefront_size: 64
  - .agpr_count:     0
    .args:
      - .offset:         0
        .size:           176
        .value_kind:     by_value
    .group_segment_fixed_size: 0
    .kernarg_segment_align: 8
    .kernarg_segment_size: 176
    .language:       OpenCL C
    .language_version:
      - 2
      - 0
    .max_flat_workgroup_size: 256
    .name:           _ZN7rocprim17ROCPRIM_400000_NS6detail17trampoline_kernelINS0_13select_configILj256ELj13ELNS0_17block_load_methodE3ELS4_3ELS4_3ELNS0_20block_scan_algorithmE0ELj4294967295EEENS1_25partition_config_selectorILNS1_17partition_subalgoE4EjNS0_10empty_typeEbEEZZNS1_14partition_implILS8_4ELb0ES6_15HIP_vector_typeIjLj2EENS0_17counting_iteratorIjlEEPS9_SG_NS0_5tupleIJPjSI_NS0_16reverse_iteratorISI_EEEEENSH_IJSG_SG_SG_EEES9_SI_JZNS1_25segmented_radix_sort_implINS0_14default_configELb0EPKaPaPKlPlN2at6native12_GLOBAL__N_18offset_tEEE10hipError_tPvRmT1_PNSt15iterator_traitsIS12_E10value_typeET2_T3_PNS13_IS18_E10value_typeET4_jRbjT5_S1E_jjP12ihipStream_tbEUljE_ZNSN_ISO_Lb0ESQ_SR_ST_SU_SY_EESZ_S10_S11_S12_S16_S17_S18_S1B_S1C_jS1D_jS1E_S1E_jjS1G_bEUljE0_EEESZ_S10_S11_S18_S1C_S1E_T6_T7_T9_mT8_S1G_bDpT10_ENKUlT_T0_E_clISt17integral_constantIbLb0EES1U_EEDaS1P_S1Q_EUlS1P_E_NS1_11comp_targetILNS1_3genE0ELNS1_11target_archE4294967295ELNS1_3gpuE0ELNS1_3repE0EEENS1_30default_config_static_selectorELNS0_4arch9wavefront6targetE1EEEvS12_
    .private_segment_fixed_size: 0
    .sgpr_count:     4
    .sgpr_spill_count: 0
    .symbol:         _ZN7rocprim17ROCPRIM_400000_NS6detail17trampoline_kernelINS0_13select_configILj256ELj13ELNS0_17block_load_methodE3ELS4_3ELS4_3ELNS0_20block_scan_algorithmE0ELj4294967295EEENS1_25partition_config_selectorILNS1_17partition_subalgoE4EjNS0_10empty_typeEbEEZZNS1_14partition_implILS8_4ELb0ES6_15HIP_vector_typeIjLj2EENS0_17counting_iteratorIjlEEPS9_SG_NS0_5tupleIJPjSI_NS0_16reverse_iteratorISI_EEEEENSH_IJSG_SG_SG_EEES9_SI_JZNS1_25segmented_radix_sort_implINS0_14default_configELb0EPKaPaPKlPlN2at6native12_GLOBAL__N_18offset_tEEE10hipError_tPvRmT1_PNSt15iterator_traitsIS12_E10value_typeET2_T3_PNS13_IS18_E10value_typeET4_jRbjT5_S1E_jjP12ihipStream_tbEUljE_ZNSN_ISO_Lb0ESQ_SR_ST_SU_SY_EESZ_S10_S11_S12_S16_S17_S18_S1B_S1C_jS1D_jS1E_S1E_jjS1G_bEUljE0_EEESZ_S10_S11_S18_S1C_S1E_T6_T7_T9_mT8_S1G_bDpT10_ENKUlT_T0_E_clISt17integral_constantIbLb0EES1U_EEDaS1P_S1Q_EUlS1P_E_NS1_11comp_targetILNS1_3genE0ELNS1_11target_archE4294967295ELNS1_3gpuE0ELNS1_3repE0EEENS1_30default_config_static_selectorELNS0_4arch9wavefront6targetE1EEEvS12_.kd
    .uniform_work_group_size: 1
    .uses_dynamic_stack: false
    .vgpr_count:     0
    .vgpr_spill_count: 0
    .wavefront_size: 64
  - .agpr_count:     0
    .args:
      - .offset:         0
        .size:           176
        .value_kind:     by_value
    .group_segment_fixed_size: 0
    .kernarg_segment_align: 8
    .kernarg_segment_size: 176
    .language:       OpenCL C
    .language_version:
      - 2
      - 0
    .max_flat_workgroup_size: 256
    .name:           _ZN7rocprim17ROCPRIM_400000_NS6detail17trampoline_kernelINS0_13select_configILj256ELj13ELNS0_17block_load_methodE3ELS4_3ELS4_3ELNS0_20block_scan_algorithmE0ELj4294967295EEENS1_25partition_config_selectorILNS1_17partition_subalgoE4EjNS0_10empty_typeEbEEZZNS1_14partition_implILS8_4ELb0ES6_15HIP_vector_typeIjLj2EENS0_17counting_iteratorIjlEEPS9_SG_NS0_5tupleIJPjSI_NS0_16reverse_iteratorISI_EEEEENSH_IJSG_SG_SG_EEES9_SI_JZNS1_25segmented_radix_sort_implINS0_14default_configELb0EPKaPaPKlPlN2at6native12_GLOBAL__N_18offset_tEEE10hipError_tPvRmT1_PNSt15iterator_traitsIS12_E10value_typeET2_T3_PNS13_IS18_E10value_typeET4_jRbjT5_S1E_jjP12ihipStream_tbEUljE_ZNSN_ISO_Lb0ESQ_SR_ST_SU_SY_EESZ_S10_S11_S12_S16_S17_S18_S1B_S1C_jS1D_jS1E_S1E_jjS1G_bEUljE0_EEESZ_S10_S11_S18_S1C_S1E_T6_T7_T9_mT8_S1G_bDpT10_ENKUlT_T0_E_clISt17integral_constantIbLb0EES1U_EEDaS1P_S1Q_EUlS1P_E_NS1_11comp_targetILNS1_3genE5ELNS1_11target_archE942ELNS1_3gpuE9ELNS1_3repE0EEENS1_30default_config_static_selectorELNS0_4arch9wavefront6targetE1EEEvS12_
    .private_segment_fixed_size: 0
    .sgpr_count:     4
    .sgpr_spill_count: 0
    .symbol:         _ZN7rocprim17ROCPRIM_400000_NS6detail17trampoline_kernelINS0_13select_configILj256ELj13ELNS0_17block_load_methodE3ELS4_3ELS4_3ELNS0_20block_scan_algorithmE0ELj4294967295EEENS1_25partition_config_selectorILNS1_17partition_subalgoE4EjNS0_10empty_typeEbEEZZNS1_14partition_implILS8_4ELb0ES6_15HIP_vector_typeIjLj2EENS0_17counting_iteratorIjlEEPS9_SG_NS0_5tupleIJPjSI_NS0_16reverse_iteratorISI_EEEEENSH_IJSG_SG_SG_EEES9_SI_JZNS1_25segmented_radix_sort_implINS0_14default_configELb0EPKaPaPKlPlN2at6native12_GLOBAL__N_18offset_tEEE10hipError_tPvRmT1_PNSt15iterator_traitsIS12_E10value_typeET2_T3_PNS13_IS18_E10value_typeET4_jRbjT5_S1E_jjP12ihipStream_tbEUljE_ZNSN_ISO_Lb0ESQ_SR_ST_SU_SY_EESZ_S10_S11_S12_S16_S17_S18_S1B_S1C_jS1D_jS1E_S1E_jjS1G_bEUljE0_EEESZ_S10_S11_S18_S1C_S1E_T6_T7_T9_mT8_S1G_bDpT10_ENKUlT_T0_E_clISt17integral_constantIbLb0EES1U_EEDaS1P_S1Q_EUlS1P_E_NS1_11comp_targetILNS1_3genE5ELNS1_11target_archE942ELNS1_3gpuE9ELNS1_3repE0EEENS1_30default_config_static_selectorELNS0_4arch9wavefront6targetE1EEEvS12_.kd
    .uniform_work_group_size: 1
    .uses_dynamic_stack: false
    .vgpr_count:     0
    .vgpr_spill_count: 0
    .wavefront_size: 64
  - .agpr_count:     0
    .args:
      - .offset:         0
        .size:           176
        .value_kind:     by_value
    .group_segment_fixed_size: 13340
    .kernarg_segment_align: 8
    .kernarg_segment_size: 176
    .language:       OpenCL C
    .language_version:
      - 2
      - 0
    .max_flat_workgroup_size: 256
    .name:           _ZN7rocprim17ROCPRIM_400000_NS6detail17trampoline_kernelINS0_13select_configILj256ELj13ELNS0_17block_load_methodE3ELS4_3ELS4_3ELNS0_20block_scan_algorithmE0ELj4294967295EEENS1_25partition_config_selectorILNS1_17partition_subalgoE4EjNS0_10empty_typeEbEEZZNS1_14partition_implILS8_4ELb0ES6_15HIP_vector_typeIjLj2EENS0_17counting_iteratorIjlEEPS9_SG_NS0_5tupleIJPjSI_NS0_16reverse_iteratorISI_EEEEENSH_IJSG_SG_SG_EEES9_SI_JZNS1_25segmented_radix_sort_implINS0_14default_configELb0EPKaPaPKlPlN2at6native12_GLOBAL__N_18offset_tEEE10hipError_tPvRmT1_PNSt15iterator_traitsIS12_E10value_typeET2_T3_PNS13_IS18_E10value_typeET4_jRbjT5_S1E_jjP12ihipStream_tbEUljE_ZNSN_ISO_Lb0ESQ_SR_ST_SU_SY_EESZ_S10_S11_S12_S16_S17_S18_S1B_S1C_jS1D_jS1E_S1E_jjS1G_bEUljE0_EEESZ_S10_S11_S18_S1C_S1E_T6_T7_T9_mT8_S1G_bDpT10_ENKUlT_T0_E_clISt17integral_constantIbLb0EES1U_EEDaS1P_S1Q_EUlS1P_E_NS1_11comp_targetILNS1_3genE4ELNS1_11target_archE910ELNS1_3gpuE8ELNS1_3repE0EEENS1_30default_config_static_selectorELNS0_4arch9wavefront6targetE1EEEvS12_
    .private_segment_fixed_size: 0
    .sgpr_count:     94
    .sgpr_spill_count: 0
    .symbol:         _ZN7rocprim17ROCPRIM_400000_NS6detail17trampoline_kernelINS0_13select_configILj256ELj13ELNS0_17block_load_methodE3ELS4_3ELS4_3ELNS0_20block_scan_algorithmE0ELj4294967295EEENS1_25partition_config_selectorILNS1_17partition_subalgoE4EjNS0_10empty_typeEbEEZZNS1_14partition_implILS8_4ELb0ES6_15HIP_vector_typeIjLj2EENS0_17counting_iteratorIjlEEPS9_SG_NS0_5tupleIJPjSI_NS0_16reverse_iteratorISI_EEEEENSH_IJSG_SG_SG_EEES9_SI_JZNS1_25segmented_radix_sort_implINS0_14default_configELb0EPKaPaPKlPlN2at6native12_GLOBAL__N_18offset_tEEE10hipError_tPvRmT1_PNSt15iterator_traitsIS12_E10value_typeET2_T3_PNS13_IS18_E10value_typeET4_jRbjT5_S1E_jjP12ihipStream_tbEUljE_ZNSN_ISO_Lb0ESQ_SR_ST_SU_SY_EESZ_S10_S11_S12_S16_S17_S18_S1B_S1C_jS1D_jS1E_S1E_jjS1G_bEUljE0_EEESZ_S10_S11_S18_S1C_S1E_T6_T7_T9_mT8_S1G_bDpT10_ENKUlT_T0_E_clISt17integral_constantIbLb0EES1U_EEDaS1P_S1Q_EUlS1P_E_NS1_11comp_targetILNS1_3genE4ELNS1_11target_archE910ELNS1_3gpuE8ELNS1_3repE0EEENS1_30default_config_static_selectorELNS0_4arch9wavefront6targetE1EEEvS12_.kd
    .uniform_work_group_size: 1
    .uses_dynamic_stack: false
    .vgpr_count:     102
    .vgpr_spill_count: 0
    .wavefront_size: 64
  - .agpr_count:     0
    .args:
      - .offset:         0
        .size:           176
        .value_kind:     by_value
    .group_segment_fixed_size: 0
    .kernarg_segment_align: 8
    .kernarg_segment_size: 176
    .language:       OpenCL C
    .language_version:
      - 2
      - 0
    .max_flat_workgroup_size: 256
    .name:           _ZN7rocprim17ROCPRIM_400000_NS6detail17trampoline_kernelINS0_13select_configILj256ELj13ELNS0_17block_load_methodE3ELS4_3ELS4_3ELNS0_20block_scan_algorithmE0ELj4294967295EEENS1_25partition_config_selectorILNS1_17partition_subalgoE4EjNS0_10empty_typeEbEEZZNS1_14partition_implILS8_4ELb0ES6_15HIP_vector_typeIjLj2EENS0_17counting_iteratorIjlEEPS9_SG_NS0_5tupleIJPjSI_NS0_16reverse_iteratorISI_EEEEENSH_IJSG_SG_SG_EEES9_SI_JZNS1_25segmented_radix_sort_implINS0_14default_configELb0EPKaPaPKlPlN2at6native12_GLOBAL__N_18offset_tEEE10hipError_tPvRmT1_PNSt15iterator_traitsIS12_E10value_typeET2_T3_PNS13_IS18_E10value_typeET4_jRbjT5_S1E_jjP12ihipStream_tbEUljE_ZNSN_ISO_Lb0ESQ_SR_ST_SU_SY_EESZ_S10_S11_S12_S16_S17_S18_S1B_S1C_jS1D_jS1E_S1E_jjS1G_bEUljE0_EEESZ_S10_S11_S18_S1C_S1E_T6_T7_T9_mT8_S1G_bDpT10_ENKUlT_T0_E_clISt17integral_constantIbLb0EES1U_EEDaS1P_S1Q_EUlS1P_E_NS1_11comp_targetILNS1_3genE3ELNS1_11target_archE908ELNS1_3gpuE7ELNS1_3repE0EEENS1_30default_config_static_selectorELNS0_4arch9wavefront6targetE1EEEvS12_
    .private_segment_fixed_size: 0
    .sgpr_count:     4
    .sgpr_spill_count: 0
    .symbol:         _ZN7rocprim17ROCPRIM_400000_NS6detail17trampoline_kernelINS0_13select_configILj256ELj13ELNS0_17block_load_methodE3ELS4_3ELS4_3ELNS0_20block_scan_algorithmE0ELj4294967295EEENS1_25partition_config_selectorILNS1_17partition_subalgoE4EjNS0_10empty_typeEbEEZZNS1_14partition_implILS8_4ELb0ES6_15HIP_vector_typeIjLj2EENS0_17counting_iteratorIjlEEPS9_SG_NS0_5tupleIJPjSI_NS0_16reverse_iteratorISI_EEEEENSH_IJSG_SG_SG_EEES9_SI_JZNS1_25segmented_radix_sort_implINS0_14default_configELb0EPKaPaPKlPlN2at6native12_GLOBAL__N_18offset_tEEE10hipError_tPvRmT1_PNSt15iterator_traitsIS12_E10value_typeET2_T3_PNS13_IS18_E10value_typeET4_jRbjT5_S1E_jjP12ihipStream_tbEUljE_ZNSN_ISO_Lb0ESQ_SR_ST_SU_SY_EESZ_S10_S11_S12_S16_S17_S18_S1B_S1C_jS1D_jS1E_S1E_jjS1G_bEUljE0_EEESZ_S10_S11_S18_S1C_S1E_T6_T7_T9_mT8_S1G_bDpT10_ENKUlT_T0_E_clISt17integral_constantIbLb0EES1U_EEDaS1P_S1Q_EUlS1P_E_NS1_11comp_targetILNS1_3genE3ELNS1_11target_archE908ELNS1_3gpuE7ELNS1_3repE0EEENS1_30default_config_static_selectorELNS0_4arch9wavefront6targetE1EEEvS12_.kd
    .uniform_work_group_size: 1
    .uses_dynamic_stack: false
    .vgpr_count:     0
    .vgpr_spill_count: 0
    .wavefront_size: 64
  - .agpr_count:     0
    .args:
      - .offset:         0
        .size:           176
        .value_kind:     by_value
    .group_segment_fixed_size: 0
    .kernarg_segment_align: 8
    .kernarg_segment_size: 176
    .language:       OpenCL C
    .language_version:
      - 2
      - 0
    .max_flat_workgroup_size: 256
    .name:           _ZN7rocprim17ROCPRIM_400000_NS6detail17trampoline_kernelINS0_13select_configILj256ELj13ELNS0_17block_load_methodE3ELS4_3ELS4_3ELNS0_20block_scan_algorithmE0ELj4294967295EEENS1_25partition_config_selectorILNS1_17partition_subalgoE4EjNS0_10empty_typeEbEEZZNS1_14partition_implILS8_4ELb0ES6_15HIP_vector_typeIjLj2EENS0_17counting_iteratorIjlEEPS9_SG_NS0_5tupleIJPjSI_NS0_16reverse_iteratorISI_EEEEENSH_IJSG_SG_SG_EEES9_SI_JZNS1_25segmented_radix_sort_implINS0_14default_configELb0EPKaPaPKlPlN2at6native12_GLOBAL__N_18offset_tEEE10hipError_tPvRmT1_PNSt15iterator_traitsIS12_E10value_typeET2_T3_PNS13_IS18_E10value_typeET4_jRbjT5_S1E_jjP12ihipStream_tbEUljE_ZNSN_ISO_Lb0ESQ_SR_ST_SU_SY_EESZ_S10_S11_S12_S16_S17_S18_S1B_S1C_jS1D_jS1E_S1E_jjS1G_bEUljE0_EEESZ_S10_S11_S18_S1C_S1E_T6_T7_T9_mT8_S1G_bDpT10_ENKUlT_T0_E_clISt17integral_constantIbLb0EES1U_EEDaS1P_S1Q_EUlS1P_E_NS1_11comp_targetILNS1_3genE2ELNS1_11target_archE906ELNS1_3gpuE6ELNS1_3repE0EEENS1_30default_config_static_selectorELNS0_4arch9wavefront6targetE1EEEvS12_
    .private_segment_fixed_size: 0
    .sgpr_count:     4
    .sgpr_spill_count: 0
    .symbol:         _ZN7rocprim17ROCPRIM_400000_NS6detail17trampoline_kernelINS0_13select_configILj256ELj13ELNS0_17block_load_methodE3ELS4_3ELS4_3ELNS0_20block_scan_algorithmE0ELj4294967295EEENS1_25partition_config_selectorILNS1_17partition_subalgoE4EjNS0_10empty_typeEbEEZZNS1_14partition_implILS8_4ELb0ES6_15HIP_vector_typeIjLj2EENS0_17counting_iteratorIjlEEPS9_SG_NS0_5tupleIJPjSI_NS0_16reverse_iteratorISI_EEEEENSH_IJSG_SG_SG_EEES9_SI_JZNS1_25segmented_radix_sort_implINS0_14default_configELb0EPKaPaPKlPlN2at6native12_GLOBAL__N_18offset_tEEE10hipError_tPvRmT1_PNSt15iterator_traitsIS12_E10value_typeET2_T3_PNS13_IS18_E10value_typeET4_jRbjT5_S1E_jjP12ihipStream_tbEUljE_ZNSN_ISO_Lb0ESQ_SR_ST_SU_SY_EESZ_S10_S11_S12_S16_S17_S18_S1B_S1C_jS1D_jS1E_S1E_jjS1G_bEUljE0_EEESZ_S10_S11_S18_S1C_S1E_T6_T7_T9_mT8_S1G_bDpT10_ENKUlT_T0_E_clISt17integral_constantIbLb0EES1U_EEDaS1P_S1Q_EUlS1P_E_NS1_11comp_targetILNS1_3genE2ELNS1_11target_archE906ELNS1_3gpuE6ELNS1_3repE0EEENS1_30default_config_static_selectorELNS0_4arch9wavefront6targetE1EEEvS12_.kd
    .uniform_work_group_size: 1
    .uses_dynamic_stack: false
    .vgpr_count:     0
    .vgpr_spill_count: 0
    .wavefront_size: 64
  - .agpr_count:     0
    .args:
      - .offset:         0
        .size:           176
        .value_kind:     by_value
    .group_segment_fixed_size: 0
    .kernarg_segment_align: 8
    .kernarg_segment_size: 176
    .language:       OpenCL C
    .language_version:
      - 2
      - 0
    .max_flat_workgroup_size: 256
    .name:           _ZN7rocprim17ROCPRIM_400000_NS6detail17trampoline_kernelINS0_13select_configILj256ELj13ELNS0_17block_load_methodE3ELS4_3ELS4_3ELNS0_20block_scan_algorithmE0ELj4294967295EEENS1_25partition_config_selectorILNS1_17partition_subalgoE4EjNS0_10empty_typeEbEEZZNS1_14partition_implILS8_4ELb0ES6_15HIP_vector_typeIjLj2EENS0_17counting_iteratorIjlEEPS9_SG_NS0_5tupleIJPjSI_NS0_16reverse_iteratorISI_EEEEENSH_IJSG_SG_SG_EEES9_SI_JZNS1_25segmented_radix_sort_implINS0_14default_configELb0EPKaPaPKlPlN2at6native12_GLOBAL__N_18offset_tEEE10hipError_tPvRmT1_PNSt15iterator_traitsIS12_E10value_typeET2_T3_PNS13_IS18_E10value_typeET4_jRbjT5_S1E_jjP12ihipStream_tbEUljE_ZNSN_ISO_Lb0ESQ_SR_ST_SU_SY_EESZ_S10_S11_S12_S16_S17_S18_S1B_S1C_jS1D_jS1E_S1E_jjS1G_bEUljE0_EEESZ_S10_S11_S18_S1C_S1E_T6_T7_T9_mT8_S1G_bDpT10_ENKUlT_T0_E_clISt17integral_constantIbLb0EES1U_EEDaS1P_S1Q_EUlS1P_E_NS1_11comp_targetILNS1_3genE10ELNS1_11target_archE1200ELNS1_3gpuE4ELNS1_3repE0EEENS1_30default_config_static_selectorELNS0_4arch9wavefront6targetE1EEEvS12_
    .private_segment_fixed_size: 0
    .sgpr_count:     4
    .sgpr_spill_count: 0
    .symbol:         _ZN7rocprim17ROCPRIM_400000_NS6detail17trampoline_kernelINS0_13select_configILj256ELj13ELNS0_17block_load_methodE3ELS4_3ELS4_3ELNS0_20block_scan_algorithmE0ELj4294967295EEENS1_25partition_config_selectorILNS1_17partition_subalgoE4EjNS0_10empty_typeEbEEZZNS1_14partition_implILS8_4ELb0ES6_15HIP_vector_typeIjLj2EENS0_17counting_iteratorIjlEEPS9_SG_NS0_5tupleIJPjSI_NS0_16reverse_iteratorISI_EEEEENSH_IJSG_SG_SG_EEES9_SI_JZNS1_25segmented_radix_sort_implINS0_14default_configELb0EPKaPaPKlPlN2at6native12_GLOBAL__N_18offset_tEEE10hipError_tPvRmT1_PNSt15iterator_traitsIS12_E10value_typeET2_T3_PNS13_IS18_E10value_typeET4_jRbjT5_S1E_jjP12ihipStream_tbEUljE_ZNSN_ISO_Lb0ESQ_SR_ST_SU_SY_EESZ_S10_S11_S12_S16_S17_S18_S1B_S1C_jS1D_jS1E_S1E_jjS1G_bEUljE0_EEESZ_S10_S11_S18_S1C_S1E_T6_T7_T9_mT8_S1G_bDpT10_ENKUlT_T0_E_clISt17integral_constantIbLb0EES1U_EEDaS1P_S1Q_EUlS1P_E_NS1_11comp_targetILNS1_3genE10ELNS1_11target_archE1200ELNS1_3gpuE4ELNS1_3repE0EEENS1_30default_config_static_selectorELNS0_4arch9wavefront6targetE1EEEvS12_.kd
    .uniform_work_group_size: 1
    .uses_dynamic_stack: false
    .vgpr_count:     0
    .vgpr_spill_count: 0
    .wavefront_size: 64
  - .agpr_count:     0
    .args:
      - .offset:         0
        .size:           176
        .value_kind:     by_value
    .group_segment_fixed_size: 0
    .kernarg_segment_align: 8
    .kernarg_segment_size: 176
    .language:       OpenCL C
    .language_version:
      - 2
      - 0
    .max_flat_workgroup_size: 256
    .name:           _ZN7rocprim17ROCPRIM_400000_NS6detail17trampoline_kernelINS0_13select_configILj256ELj13ELNS0_17block_load_methodE3ELS4_3ELS4_3ELNS0_20block_scan_algorithmE0ELj4294967295EEENS1_25partition_config_selectorILNS1_17partition_subalgoE4EjNS0_10empty_typeEbEEZZNS1_14partition_implILS8_4ELb0ES6_15HIP_vector_typeIjLj2EENS0_17counting_iteratorIjlEEPS9_SG_NS0_5tupleIJPjSI_NS0_16reverse_iteratorISI_EEEEENSH_IJSG_SG_SG_EEES9_SI_JZNS1_25segmented_radix_sort_implINS0_14default_configELb0EPKaPaPKlPlN2at6native12_GLOBAL__N_18offset_tEEE10hipError_tPvRmT1_PNSt15iterator_traitsIS12_E10value_typeET2_T3_PNS13_IS18_E10value_typeET4_jRbjT5_S1E_jjP12ihipStream_tbEUljE_ZNSN_ISO_Lb0ESQ_SR_ST_SU_SY_EESZ_S10_S11_S12_S16_S17_S18_S1B_S1C_jS1D_jS1E_S1E_jjS1G_bEUljE0_EEESZ_S10_S11_S18_S1C_S1E_T6_T7_T9_mT8_S1G_bDpT10_ENKUlT_T0_E_clISt17integral_constantIbLb0EES1U_EEDaS1P_S1Q_EUlS1P_E_NS1_11comp_targetILNS1_3genE9ELNS1_11target_archE1100ELNS1_3gpuE3ELNS1_3repE0EEENS1_30default_config_static_selectorELNS0_4arch9wavefront6targetE1EEEvS12_
    .private_segment_fixed_size: 0
    .sgpr_count:     4
    .sgpr_spill_count: 0
    .symbol:         _ZN7rocprim17ROCPRIM_400000_NS6detail17trampoline_kernelINS0_13select_configILj256ELj13ELNS0_17block_load_methodE3ELS4_3ELS4_3ELNS0_20block_scan_algorithmE0ELj4294967295EEENS1_25partition_config_selectorILNS1_17partition_subalgoE4EjNS0_10empty_typeEbEEZZNS1_14partition_implILS8_4ELb0ES6_15HIP_vector_typeIjLj2EENS0_17counting_iteratorIjlEEPS9_SG_NS0_5tupleIJPjSI_NS0_16reverse_iteratorISI_EEEEENSH_IJSG_SG_SG_EEES9_SI_JZNS1_25segmented_radix_sort_implINS0_14default_configELb0EPKaPaPKlPlN2at6native12_GLOBAL__N_18offset_tEEE10hipError_tPvRmT1_PNSt15iterator_traitsIS12_E10value_typeET2_T3_PNS13_IS18_E10value_typeET4_jRbjT5_S1E_jjP12ihipStream_tbEUljE_ZNSN_ISO_Lb0ESQ_SR_ST_SU_SY_EESZ_S10_S11_S12_S16_S17_S18_S1B_S1C_jS1D_jS1E_S1E_jjS1G_bEUljE0_EEESZ_S10_S11_S18_S1C_S1E_T6_T7_T9_mT8_S1G_bDpT10_ENKUlT_T0_E_clISt17integral_constantIbLb0EES1U_EEDaS1P_S1Q_EUlS1P_E_NS1_11comp_targetILNS1_3genE9ELNS1_11target_archE1100ELNS1_3gpuE3ELNS1_3repE0EEENS1_30default_config_static_selectorELNS0_4arch9wavefront6targetE1EEEvS12_.kd
    .uniform_work_group_size: 1
    .uses_dynamic_stack: false
    .vgpr_count:     0
    .vgpr_spill_count: 0
    .wavefront_size: 64
  - .agpr_count:     0
    .args:
      - .offset:         0
        .size:           176
        .value_kind:     by_value
    .group_segment_fixed_size: 0
    .kernarg_segment_align: 8
    .kernarg_segment_size: 176
    .language:       OpenCL C
    .language_version:
      - 2
      - 0
    .max_flat_workgroup_size: 256
    .name:           _ZN7rocprim17ROCPRIM_400000_NS6detail17trampoline_kernelINS0_13select_configILj256ELj13ELNS0_17block_load_methodE3ELS4_3ELS4_3ELNS0_20block_scan_algorithmE0ELj4294967295EEENS1_25partition_config_selectorILNS1_17partition_subalgoE4EjNS0_10empty_typeEbEEZZNS1_14partition_implILS8_4ELb0ES6_15HIP_vector_typeIjLj2EENS0_17counting_iteratorIjlEEPS9_SG_NS0_5tupleIJPjSI_NS0_16reverse_iteratorISI_EEEEENSH_IJSG_SG_SG_EEES9_SI_JZNS1_25segmented_radix_sort_implINS0_14default_configELb0EPKaPaPKlPlN2at6native12_GLOBAL__N_18offset_tEEE10hipError_tPvRmT1_PNSt15iterator_traitsIS12_E10value_typeET2_T3_PNS13_IS18_E10value_typeET4_jRbjT5_S1E_jjP12ihipStream_tbEUljE_ZNSN_ISO_Lb0ESQ_SR_ST_SU_SY_EESZ_S10_S11_S12_S16_S17_S18_S1B_S1C_jS1D_jS1E_S1E_jjS1G_bEUljE0_EEESZ_S10_S11_S18_S1C_S1E_T6_T7_T9_mT8_S1G_bDpT10_ENKUlT_T0_E_clISt17integral_constantIbLb0EES1U_EEDaS1P_S1Q_EUlS1P_E_NS1_11comp_targetILNS1_3genE8ELNS1_11target_archE1030ELNS1_3gpuE2ELNS1_3repE0EEENS1_30default_config_static_selectorELNS0_4arch9wavefront6targetE1EEEvS12_
    .private_segment_fixed_size: 0
    .sgpr_count:     4
    .sgpr_spill_count: 0
    .symbol:         _ZN7rocprim17ROCPRIM_400000_NS6detail17trampoline_kernelINS0_13select_configILj256ELj13ELNS0_17block_load_methodE3ELS4_3ELS4_3ELNS0_20block_scan_algorithmE0ELj4294967295EEENS1_25partition_config_selectorILNS1_17partition_subalgoE4EjNS0_10empty_typeEbEEZZNS1_14partition_implILS8_4ELb0ES6_15HIP_vector_typeIjLj2EENS0_17counting_iteratorIjlEEPS9_SG_NS0_5tupleIJPjSI_NS0_16reverse_iteratorISI_EEEEENSH_IJSG_SG_SG_EEES9_SI_JZNS1_25segmented_radix_sort_implINS0_14default_configELb0EPKaPaPKlPlN2at6native12_GLOBAL__N_18offset_tEEE10hipError_tPvRmT1_PNSt15iterator_traitsIS12_E10value_typeET2_T3_PNS13_IS18_E10value_typeET4_jRbjT5_S1E_jjP12ihipStream_tbEUljE_ZNSN_ISO_Lb0ESQ_SR_ST_SU_SY_EESZ_S10_S11_S12_S16_S17_S18_S1B_S1C_jS1D_jS1E_S1E_jjS1G_bEUljE0_EEESZ_S10_S11_S18_S1C_S1E_T6_T7_T9_mT8_S1G_bDpT10_ENKUlT_T0_E_clISt17integral_constantIbLb0EES1U_EEDaS1P_S1Q_EUlS1P_E_NS1_11comp_targetILNS1_3genE8ELNS1_11target_archE1030ELNS1_3gpuE2ELNS1_3repE0EEENS1_30default_config_static_selectorELNS0_4arch9wavefront6targetE1EEEvS12_.kd
    .uniform_work_group_size: 1
    .uses_dynamic_stack: false
    .vgpr_count:     0
    .vgpr_spill_count: 0
    .wavefront_size: 64
  - .agpr_count:     0
    .args:
      - .offset:         0
        .size:           184
        .value_kind:     by_value
    .group_segment_fixed_size: 0
    .kernarg_segment_align: 8
    .kernarg_segment_size: 184
    .language:       OpenCL C
    .language_version:
      - 2
      - 0
    .max_flat_workgroup_size: 256
    .name:           _ZN7rocprim17ROCPRIM_400000_NS6detail17trampoline_kernelINS0_13select_configILj256ELj13ELNS0_17block_load_methodE3ELS4_3ELS4_3ELNS0_20block_scan_algorithmE0ELj4294967295EEENS1_25partition_config_selectorILNS1_17partition_subalgoE4EjNS0_10empty_typeEbEEZZNS1_14partition_implILS8_4ELb0ES6_15HIP_vector_typeIjLj2EENS0_17counting_iteratorIjlEEPS9_SG_NS0_5tupleIJPjSI_NS0_16reverse_iteratorISI_EEEEENSH_IJSG_SG_SG_EEES9_SI_JZNS1_25segmented_radix_sort_implINS0_14default_configELb0EPKaPaPKlPlN2at6native12_GLOBAL__N_18offset_tEEE10hipError_tPvRmT1_PNSt15iterator_traitsIS12_E10value_typeET2_T3_PNS13_IS18_E10value_typeET4_jRbjT5_S1E_jjP12ihipStream_tbEUljE_ZNSN_ISO_Lb0ESQ_SR_ST_SU_SY_EESZ_S10_S11_S12_S16_S17_S18_S1B_S1C_jS1D_jS1E_S1E_jjS1G_bEUljE0_EEESZ_S10_S11_S18_S1C_S1E_T6_T7_T9_mT8_S1G_bDpT10_ENKUlT_T0_E_clISt17integral_constantIbLb1EES1U_EEDaS1P_S1Q_EUlS1P_E_NS1_11comp_targetILNS1_3genE0ELNS1_11target_archE4294967295ELNS1_3gpuE0ELNS1_3repE0EEENS1_30default_config_static_selectorELNS0_4arch9wavefront6targetE1EEEvS12_
    .private_segment_fixed_size: 0
    .sgpr_count:     4
    .sgpr_spill_count: 0
    .symbol:         _ZN7rocprim17ROCPRIM_400000_NS6detail17trampoline_kernelINS0_13select_configILj256ELj13ELNS0_17block_load_methodE3ELS4_3ELS4_3ELNS0_20block_scan_algorithmE0ELj4294967295EEENS1_25partition_config_selectorILNS1_17partition_subalgoE4EjNS0_10empty_typeEbEEZZNS1_14partition_implILS8_4ELb0ES6_15HIP_vector_typeIjLj2EENS0_17counting_iteratorIjlEEPS9_SG_NS0_5tupleIJPjSI_NS0_16reverse_iteratorISI_EEEEENSH_IJSG_SG_SG_EEES9_SI_JZNS1_25segmented_radix_sort_implINS0_14default_configELb0EPKaPaPKlPlN2at6native12_GLOBAL__N_18offset_tEEE10hipError_tPvRmT1_PNSt15iterator_traitsIS12_E10value_typeET2_T3_PNS13_IS18_E10value_typeET4_jRbjT5_S1E_jjP12ihipStream_tbEUljE_ZNSN_ISO_Lb0ESQ_SR_ST_SU_SY_EESZ_S10_S11_S12_S16_S17_S18_S1B_S1C_jS1D_jS1E_S1E_jjS1G_bEUljE0_EEESZ_S10_S11_S18_S1C_S1E_T6_T7_T9_mT8_S1G_bDpT10_ENKUlT_T0_E_clISt17integral_constantIbLb1EES1U_EEDaS1P_S1Q_EUlS1P_E_NS1_11comp_targetILNS1_3genE0ELNS1_11target_archE4294967295ELNS1_3gpuE0ELNS1_3repE0EEENS1_30default_config_static_selectorELNS0_4arch9wavefront6targetE1EEEvS12_.kd
    .uniform_work_group_size: 1
    .uses_dynamic_stack: false
    .vgpr_count:     0
    .vgpr_spill_count: 0
    .wavefront_size: 64
  - .agpr_count:     0
    .args:
      - .offset:         0
        .size:           184
        .value_kind:     by_value
    .group_segment_fixed_size: 0
    .kernarg_segment_align: 8
    .kernarg_segment_size: 184
    .language:       OpenCL C
    .language_version:
      - 2
      - 0
    .max_flat_workgroup_size: 256
    .name:           _ZN7rocprim17ROCPRIM_400000_NS6detail17trampoline_kernelINS0_13select_configILj256ELj13ELNS0_17block_load_methodE3ELS4_3ELS4_3ELNS0_20block_scan_algorithmE0ELj4294967295EEENS1_25partition_config_selectorILNS1_17partition_subalgoE4EjNS0_10empty_typeEbEEZZNS1_14partition_implILS8_4ELb0ES6_15HIP_vector_typeIjLj2EENS0_17counting_iteratorIjlEEPS9_SG_NS0_5tupleIJPjSI_NS0_16reverse_iteratorISI_EEEEENSH_IJSG_SG_SG_EEES9_SI_JZNS1_25segmented_radix_sort_implINS0_14default_configELb0EPKaPaPKlPlN2at6native12_GLOBAL__N_18offset_tEEE10hipError_tPvRmT1_PNSt15iterator_traitsIS12_E10value_typeET2_T3_PNS13_IS18_E10value_typeET4_jRbjT5_S1E_jjP12ihipStream_tbEUljE_ZNSN_ISO_Lb0ESQ_SR_ST_SU_SY_EESZ_S10_S11_S12_S16_S17_S18_S1B_S1C_jS1D_jS1E_S1E_jjS1G_bEUljE0_EEESZ_S10_S11_S18_S1C_S1E_T6_T7_T9_mT8_S1G_bDpT10_ENKUlT_T0_E_clISt17integral_constantIbLb1EES1U_EEDaS1P_S1Q_EUlS1P_E_NS1_11comp_targetILNS1_3genE5ELNS1_11target_archE942ELNS1_3gpuE9ELNS1_3repE0EEENS1_30default_config_static_selectorELNS0_4arch9wavefront6targetE1EEEvS12_
    .private_segment_fixed_size: 0
    .sgpr_count:     4
    .sgpr_spill_count: 0
    .symbol:         _ZN7rocprim17ROCPRIM_400000_NS6detail17trampoline_kernelINS0_13select_configILj256ELj13ELNS0_17block_load_methodE3ELS4_3ELS4_3ELNS0_20block_scan_algorithmE0ELj4294967295EEENS1_25partition_config_selectorILNS1_17partition_subalgoE4EjNS0_10empty_typeEbEEZZNS1_14partition_implILS8_4ELb0ES6_15HIP_vector_typeIjLj2EENS0_17counting_iteratorIjlEEPS9_SG_NS0_5tupleIJPjSI_NS0_16reverse_iteratorISI_EEEEENSH_IJSG_SG_SG_EEES9_SI_JZNS1_25segmented_radix_sort_implINS0_14default_configELb0EPKaPaPKlPlN2at6native12_GLOBAL__N_18offset_tEEE10hipError_tPvRmT1_PNSt15iterator_traitsIS12_E10value_typeET2_T3_PNS13_IS18_E10value_typeET4_jRbjT5_S1E_jjP12ihipStream_tbEUljE_ZNSN_ISO_Lb0ESQ_SR_ST_SU_SY_EESZ_S10_S11_S12_S16_S17_S18_S1B_S1C_jS1D_jS1E_S1E_jjS1G_bEUljE0_EEESZ_S10_S11_S18_S1C_S1E_T6_T7_T9_mT8_S1G_bDpT10_ENKUlT_T0_E_clISt17integral_constantIbLb1EES1U_EEDaS1P_S1Q_EUlS1P_E_NS1_11comp_targetILNS1_3genE5ELNS1_11target_archE942ELNS1_3gpuE9ELNS1_3repE0EEENS1_30default_config_static_selectorELNS0_4arch9wavefront6targetE1EEEvS12_.kd
    .uniform_work_group_size: 1
    .uses_dynamic_stack: false
    .vgpr_count:     0
    .vgpr_spill_count: 0
    .wavefront_size: 64
  - .agpr_count:     0
    .args:
      - .offset:         0
        .size:           184
        .value_kind:     by_value
    .group_segment_fixed_size: 13340
    .kernarg_segment_align: 8
    .kernarg_segment_size: 184
    .language:       OpenCL C
    .language_version:
      - 2
      - 0
    .max_flat_workgroup_size: 256
    .name:           _ZN7rocprim17ROCPRIM_400000_NS6detail17trampoline_kernelINS0_13select_configILj256ELj13ELNS0_17block_load_methodE3ELS4_3ELS4_3ELNS0_20block_scan_algorithmE0ELj4294967295EEENS1_25partition_config_selectorILNS1_17partition_subalgoE4EjNS0_10empty_typeEbEEZZNS1_14partition_implILS8_4ELb0ES6_15HIP_vector_typeIjLj2EENS0_17counting_iteratorIjlEEPS9_SG_NS0_5tupleIJPjSI_NS0_16reverse_iteratorISI_EEEEENSH_IJSG_SG_SG_EEES9_SI_JZNS1_25segmented_radix_sort_implINS0_14default_configELb0EPKaPaPKlPlN2at6native12_GLOBAL__N_18offset_tEEE10hipError_tPvRmT1_PNSt15iterator_traitsIS12_E10value_typeET2_T3_PNS13_IS18_E10value_typeET4_jRbjT5_S1E_jjP12ihipStream_tbEUljE_ZNSN_ISO_Lb0ESQ_SR_ST_SU_SY_EESZ_S10_S11_S12_S16_S17_S18_S1B_S1C_jS1D_jS1E_S1E_jjS1G_bEUljE0_EEESZ_S10_S11_S18_S1C_S1E_T6_T7_T9_mT8_S1G_bDpT10_ENKUlT_T0_E_clISt17integral_constantIbLb1EES1U_EEDaS1P_S1Q_EUlS1P_E_NS1_11comp_targetILNS1_3genE4ELNS1_11target_archE910ELNS1_3gpuE8ELNS1_3repE0EEENS1_30default_config_static_selectorELNS0_4arch9wavefront6targetE1EEEvS12_
    .private_segment_fixed_size: 0
    .sgpr_count:     91
    .sgpr_spill_count: 0
    .symbol:         _ZN7rocprim17ROCPRIM_400000_NS6detail17trampoline_kernelINS0_13select_configILj256ELj13ELNS0_17block_load_methodE3ELS4_3ELS4_3ELNS0_20block_scan_algorithmE0ELj4294967295EEENS1_25partition_config_selectorILNS1_17partition_subalgoE4EjNS0_10empty_typeEbEEZZNS1_14partition_implILS8_4ELb0ES6_15HIP_vector_typeIjLj2EENS0_17counting_iteratorIjlEEPS9_SG_NS0_5tupleIJPjSI_NS0_16reverse_iteratorISI_EEEEENSH_IJSG_SG_SG_EEES9_SI_JZNS1_25segmented_radix_sort_implINS0_14default_configELb0EPKaPaPKlPlN2at6native12_GLOBAL__N_18offset_tEEE10hipError_tPvRmT1_PNSt15iterator_traitsIS12_E10value_typeET2_T3_PNS13_IS18_E10value_typeET4_jRbjT5_S1E_jjP12ihipStream_tbEUljE_ZNSN_ISO_Lb0ESQ_SR_ST_SU_SY_EESZ_S10_S11_S12_S16_S17_S18_S1B_S1C_jS1D_jS1E_S1E_jjS1G_bEUljE0_EEESZ_S10_S11_S18_S1C_S1E_T6_T7_T9_mT8_S1G_bDpT10_ENKUlT_T0_E_clISt17integral_constantIbLb1EES1U_EEDaS1P_S1Q_EUlS1P_E_NS1_11comp_targetILNS1_3genE4ELNS1_11target_archE910ELNS1_3gpuE8ELNS1_3repE0EEENS1_30default_config_static_selectorELNS0_4arch9wavefront6targetE1EEEvS12_.kd
    .uniform_work_group_size: 1
    .uses_dynamic_stack: false
    .vgpr_count:     107
    .vgpr_spill_count: 0
    .wavefront_size: 64
  - .agpr_count:     0
    .args:
      - .offset:         0
        .size:           184
        .value_kind:     by_value
    .group_segment_fixed_size: 0
    .kernarg_segment_align: 8
    .kernarg_segment_size: 184
    .language:       OpenCL C
    .language_version:
      - 2
      - 0
    .max_flat_workgroup_size: 256
    .name:           _ZN7rocprim17ROCPRIM_400000_NS6detail17trampoline_kernelINS0_13select_configILj256ELj13ELNS0_17block_load_methodE3ELS4_3ELS4_3ELNS0_20block_scan_algorithmE0ELj4294967295EEENS1_25partition_config_selectorILNS1_17partition_subalgoE4EjNS0_10empty_typeEbEEZZNS1_14partition_implILS8_4ELb0ES6_15HIP_vector_typeIjLj2EENS0_17counting_iteratorIjlEEPS9_SG_NS0_5tupleIJPjSI_NS0_16reverse_iteratorISI_EEEEENSH_IJSG_SG_SG_EEES9_SI_JZNS1_25segmented_radix_sort_implINS0_14default_configELb0EPKaPaPKlPlN2at6native12_GLOBAL__N_18offset_tEEE10hipError_tPvRmT1_PNSt15iterator_traitsIS12_E10value_typeET2_T3_PNS13_IS18_E10value_typeET4_jRbjT5_S1E_jjP12ihipStream_tbEUljE_ZNSN_ISO_Lb0ESQ_SR_ST_SU_SY_EESZ_S10_S11_S12_S16_S17_S18_S1B_S1C_jS1D_jS1E_S1E_jjS1G_bEUljE0_EEESZ_S10_S11_S18_S1C_S1E_T6_T7_T9_mT8_S1G_bDpT10_ENKUlT_T0_E_clISt17integral_constantIbLb1EES1U_EEDaS1P_S1Q_EUlS1P_E_NS1_11comp_targetILNS1_3genE3ELNS1_11target_archE908ELNS1_3gpuE7ELNS1_3repE0EEENS1_30default_config_static_selectorELNS0_4arch9wavefront6targetE1EEEvS12_
    .private_segment_fixed_size: 0
    .sgpr_count:     4
    .sgpr_spill_count: 0
    .symbol:         _ZN7rocprim17ROCPRIM_400000_NS6detail17trampoline_kernelINS0_13select_configILj256ELj13ELNS0_17block_load_methodE3ELS4_3ELS4_3ELNS0_20block_scan_algorithmE0ELj4294967295EEENS1_25partition_config_selectorILNS1_17partition_subalgoE4EjNS0_10empty_typeEbEEZZNS1_14partition_implILS8_4ELb0ES6_15HIP_vector_typeIjLj2EENS0_17counting_iteratorIjlEEPS9_SG_NS0_5tupleIJPjSI_NS0_16reverse_iteratorISI_EEEEENSH_IJSG_SG_SG_EEES9_SI_JZNS1_25segmented_radix_sort_implINS0_14default_configELb0EPKaPaPKlPlN2at6native12_GLOBAL__N_18offset_tEEE10hipError_tPvRmT1_PNSt15iterator_traitsIS12_E10value_typeET2_T3_PNS13_IS18_E10value_typeET4_jRbjT5_S1E_jjP12ihipStream_tbEUljE_ZNSN_ISO_Lb0ESQ_SR_ST_SU_SY_EESZ_S10_S11_S12_S16_S17_S18_S1B_S1C_jS1D_jS1E_S1E_jjS1G_bEUljE0_EEESZ_S10_S11_S18_S1C_S1E_T6_T7_T9_mT8_S1G_bDpT10_ENKUlT_T0_E_clISt17integral_constantIbLb1EES1U_EEDaS1P_S1Q_EUlS1P_E_NS1_11comp_targetILNS1_3genE3ELNS1_11target_archE908ELNS1_3gpuE7ELNS1_3repE0EEENS1_30default_config_static_selectorELNS0_4arch9wavefront6targetE1EEEvS12_.kd
    .uniform_work_group_size: 1
    .uses_dynamic_stack: false
    .vgpr_count:     0
    .vgpr_spill_count: 0
    .wavefront_size: 64
  - .agpr_count:     0
    .args:
      - .offset:         0
        .size:           184
        .value_kind:     by_value
    .group_segment_fixed_size: 0
    .kernarg_segment_align: 8
    .kernarg_segment_size: 184
    .language:       OpenCL C
    .language_version:
      - 2
      - 0
    .max_flat_workgroup_size: 256
    .name:           _ZN7rocprim17ROCPRIM_400000_NS6detail17trampoline_kernelINS0_13select_configILj256ELj13ELNS0_17block_load_methodE3ELS4_3ELS4_3ELNS0_20block_scan_algorithmE0ELj4294967295EEENS1_25partition_config_selectorILNS1_17partition_subalgoE4EjNS0_10empty_typeEbEEZZNS1_14partition_implILS8_4ELb0ES6_15HIP_vector_typeIjLj2EENS0_17counting_iteratorIjlEEPS9_SG_NS0_5tupleIJPjSI_NS0_16reverse_iteratorISI_EEEEENSH_IJSG_SG_SG_EEES9_SI_JZNS1_25segmented_radix_sort_implINS0_14default_configELb0EPKaPaPKlPlN2at6native12_GLOBAL__N_18offset_tEEE10hipError_tPvRmT1_PNSt15iterator_traitsIS12_E10value_typeET2_T3_PNS13_IS18_E10value_typeET4_jRbjT5_S1E_jjP12ihipStream_tbEUljE_ZNSN_ISO_Lb0ESQ_SR_ST_SU_SY_EESZ_S10_S11_S12_S16_S17_S18_S1B_S1C_jS1D_jS1E_S1E_jjS1G_bEUljE0_EEESZ_S10_S11_S18_S1C_S1E_T6_T7_T9_mT8_S1G_bDpT10_ENKUlT_T0_E_clISt17integral_constantIbLb1EES1U_EEDaS1P_S1Q_EUlS1P_E_NS1_11comp_targetILNS1_3genE2ELNS1_11target_archE906ELNS1_3gpuE6ELNS1_3repE0EEENS1_30default_config_static_selectorELNS0_4arch9wavefront6targetE1EEEvS12_
    .private_segment_fixed_size: 0
    .sgpr_count:     4
    .sgpr_spill_count: 0
    .symbol:         _ZN7rocprim17ROCPRIM_400000_NS6detail17trampoline_kernelINS0_13select_configILj256ELj13ELNS0_17block_load_methodE3ELS4_3ELS4_3ELNS0_20block_scan_algorithmE0ELj4294967295EEENS1_25partition_config_selectorILNS1_17partition_subalgoE4EjNS0_10empty_typeEbEEZZNS1_14partition_implILS8_4ELb0ES6_15HIP_vector_typeIjLj2EENS0_17counting_iteratorIjlEEPS9_SG_NS0_5tupleIJPjSI_NS0_16reverse_iteratorISI_EEEEENSH_IJSG_SG_SG_EEES9_SI_JZNS1_25segmented_radix_sort_implINS0_14default_configELb0EPKaPaPKlPlN2at6native12_GLOBAL__N_18offset_tEEE10hipError_tPvRmT1_PNSt15iterator_traitsIS12_E10value_typeET2_T3_PNS13_IS18_E10value_typeET4_jRbjT5_S1E_jjP12ihipStream_tbEUljE_ZNSN_ISO_Lb0ESQ_SR_ST_SU_SY_EESZ_S10_S11_S12_S16_S17_S18_S1B_S1C_jS1D_jS1E_S1E_jjS1G_bEUljE0_EEESZ_S10_S11_S18_S1C_S1E_T6_T7_T9_mT8_S1G_bDpT10_ENKUlT_T0_E_clISt17integral_constantIbLb1EES1U_EEDaS1P_S1Q_EUlS1P_E_NS1_11comp_targetILNS1_3genE2ELNS1_11target_archE906ELNS1_3gpuE6ELNS1_3repE0EEENS1_30default_config_static_selectorELNS0_4arch9wavefront6targetE1EEEvS12_.kd
    .uniform_work_group_size: 1
    .uses_dynamic_stack: false
    .vgpr_count:     0
    .vgpr_spill_count: 0
    .wavefront_size: 64
  - .agpr_count:     0
    .args:
      - .offset:         0
        .size:           184
        .value_kind:     by_value
    .group_segment_fixed_size: 0
    .kernarg_segment_align: 8
    .kernarg_segment_size: 184
    .language:       OpenCL C
    .language_version:
      - 2
      - 0
    .max_flat_workgroup_size: 256
    .name:           _ZN7rocprim17ROCPRIM_400000_NS6detail17trampoline_kernelINS0_13select_configILj256ELj13ELNS0_17block_load_methodE3ELS4_3ELS4_3ELNS0_20block_scan_algorithmE0ELj4294967295EEENS1_25partition_config_selectorILNS1_17partition_subalgoE4EjNS0_10empty_typeEbEEZZNS1_14partition_implILS8_4ELb0ES6_15HIP_vector_typeIjLj2EENS0_17counting_iteratorIjlEEPS9_SG_NS0_5tupleIJPjSI_NS0_16reverse_iteratorISI_EEEEENSH_IJSG_SG_SG_EEES9_SI_JZNS1_25segmented_radix_sort_implINS0_14default_configELb0EPKaPaPKlPlN2at6native12_GLOBAL__N_18offset_tEEE10hipError_tPvRmT1_PNSt15iterator_traitsIS12_E10value_typeET2_T3_PNS13_IS18_E10value_typeET4_jRbjT5_S1E_jjP12ihipStream_tbEUljE_ZNSN_ISO_Lb0ESQ_SR_ST_SU_SY_EESZ_S10_S11_S12_S16_S17_S18_S1B_S1C_jS1D_jS1E_S1E_jjS1G_bEUljE0_EEESZ_S10_S11_S18_S1C_S1E_T6_T7_T9_mT8_S1G_bDpT10_ENKUlT_T0_E_clISt17integral_constantIbLb1EES1U_EEDaS1P_S1Q_EUlS1P_E_NS1_11comp_targetILNS1_3genE10ELNS1_11target_archE1200ELNS1_3gpuE4ELNS1_3repE0EEENS1_30default_config_static_selectorELNS0_4arch9wavefront6targetE1EEEvS12_
    .private_segment_fixed_size: 0
    .sgpr_count:     4
    .sgpr_spill_count: 0
    .symbol:         _ZN7rocprim17ROCPRIM_400000_NS6detail17trampoline_kernelINS0_13select_configILj256ELj13ELNS0_17block_load_methodE3ELS4_3ELS4_3ELNS0_20block_scan_algorithmE0ELj4294967295EEENS1_25partition_config_selectorILNS1_17partition_subalgoE4EjNS0_10empty_typeEbEEZZNS1_14partition_implILS8_4ELb0ES6_15HIP_vector_typeIjLj2EENS0_17counting_iteratorIjlEEPS9_SG_NS0_5tupleIJPjSI_NS0_16reverse_iteratorISI_EEEEENSH_IJSG_SG_SG_EEES9_SI_JZNS1_25segmented_radix_sort_implINS0_14default_configELb0EPKaPaPKlPlN2at6native12_GLOBAL__N_18offset_tEEE10hipError_tPvRmT1_PNSt15iterator_traitsIS12_E10value_typeET2_T3_PNS13_IS18_E10value_typeET4_jRbjT5_S1E_jjP12ihipStream_tbEUljE_ZNSN_ISO_Lb0ESQ_SR_ST_SU_SY_EESZ_S10_S11_S12_S16_S17_S18_S1B_S1C_jS1D_jS1E_S1E_jjS1G_bEUljE0_EEESZ_S10_S11_S18_S1C_S1E_T6_T7_T9_mT8_S1G_bDpT10_ENKUlT_T0_E_clISt17integral_constantIbLb1EES1U_EEDaS1P_S1Q_EUlS1P_E_NS1_11comp_targetILNS1_3genE10ELNS1_11target_archE1200ELNS1_3gpuE4ELNS1_3repE0EEENS1_30default_config_static_selectorELNS0_4arch9wavefront6targetE1EEEvS12_.kd
    .uniform_work_group_size: 1
    .uses_dynamic_stack: false
    .vgpr_count:     0
    .vgpr_spill_count: 0
    .wavefront_size: 64
  - .agpr_count:     0
    .args:
      - .offset:         0
        .size:           184
        .value_kind:     by_value
    .group_segment_fixed_size: 0
    .kernarg_segment_align: 8
    .kernarg_segment_size: 184
    .language:       OpenCL C
    .language_version:
      - 2
      - 0
    .max_flat_workgroup_size: 256
    .name:           _ZN7rocprim17ROCPRIM_400000_NS6detail17trampoline_kernelINS0_13select_configILj256ELj13ELNS0_17block_load_methodE3ELS4_3ELS4_3ELNS0_20block_scan_algorithmE0ELj4294967295EEENS1_25partition_config_selectorILNS1_17partition_subalgoE4EjNS0_10empty_typeEbEEZZNS1_14partition_implILS8_4ELb0ES6_15HIP_vector_typeIjLj2EENS0_17counting_iteratorIjlEEPS9_SG_NS0_5tupleIJPjSI_NS0_16reverse_iteratorISI_EEEEENSH_IJSG_SG_SG_EEES9_SI_JZNS1_25segmented_radix_sort_implINS0_14default_configELb0EPKaPaPKlPlN2at6native12_GLOBAL__N_18offset_tEEE10hipError_tPvRmT1_PNSt15iterator_traitsIS12_E10value_typeET2_T3_PNS13_IS18_E10value_typeET4_jRbjT5_S1E_jjP12ihipStream_tbEUljE_ZNSN_ISO_Lb0ESQ_SR_ST_SU_SY_EESZ_S10_S11_S12_S16_S17_S18_S1B_S1C_jS1D_jS1E_S1E_jjS1G_bEUljE0_EEESZ_S10_S11_S18_S1C_S1E_T6_T7_T9_mT8_S1G_bDpT10_ENKUlT_T0_E_clISt17integral_constantIbLb1EES1U_EEDaS1P_S1Q_EUlS1P_E_NS1_11comp_targetILNS1_3genE9ELNS1_11target_archE1100ELNS1_3gpuE3ELNS1_3repE0EEENS1_30default_config_static_selectorELNS0_4arch9wavefront6targetE1EEEvS12_
    .private_segment_fixed_size: 0
    .sgpr_count:     4
    .sgpr_spill_count: 0
    .symbol:         _ZN7rocprim17ROCPRIM_400000_NS6detail17trampoline_kernelINS0_13select_configILj256ELj13ELNS0_17block_load_methodE3ELS4_3ELS4_3ELNS0_20block_scan_algorithmE0ELj4294967295EEENS1_25partition_config_selectorILNS1_17partition_subalgoE4EjNS0_10empty_typeEbEEZZNS1_14partition_implILS8_4ELb0ES6_15HIP_vector_typeIjLj2EENS0_17counting_iteratorIjlEEPS9_SG_NS0_5tupleIJPjSI_NS0_16reverse_iteratorISI_EEEEENSH_IJSG_SG_SG_EEES9_SI_JZNS1_25segmented_radix_sort_implINS0_14default_configELb0EPKaPaPKlPlN2at6native12_GLOBAL__N_18offset_tEEE10hipError_tPvRmT1_PNSt15iterator_traitsIS12_E10value_typeET2_T3_PNS13_IS18_E10value_typeET4_jRbjT5_S1E_jjP12ihipStream_tbEUljE_ZNSN_ISO_Lb0ESQ_SR_ST_SU_SY_EESZ_S10_S11_S12_S16_S17_S18_S1B_S1C_jS1D_jS1E_S1E_jjS1G_bEUljE0_EEESZ_S10_S11_S18_S1C_S1E_T6_T7_T9_mT8_S1G_bDpT10_ENKUlT_T0_E_clISt17integral_constantIbLb1EES1U_EEDaS1P_S1Q_EUlS1P_E_NS1_11comp_targetILNS1_3genE9ELNS1_11target_archE1100ELNS1_3gpuE3ELNS1_3repE0EEENS1_30default_config_static_selectorELNS0_4arch9wavefront6targetE1EEEvS12_.kd
    .uniform_work_group_size: 1
    .uses_dynamic_stack: false
    .vgpr_count:     0
    .vgpr_spill_count: 0
    .wavefront_size: 64
  - .agpr_count:     0
    .args:
      - .offset:         0
        .size:           184
        .value_kind:     by_value
    .group_segment_fixed_size: 0
    .kernarg_segment_align: 8
    .kernarg_segment_size: 184
    .language:       OpenCL C
    .language_version:
      - 2
      - 0
    .max_flat_workgroup_size: 256
    .name:           _ZN7rocprim17ROCPRIM_400000_NS6detail17trampoline_kernelINS0_13select_configILj256ELj13ELNS0_17block_load_methodE3ELS4_3ELS4_3ELNS0_20block_scan_algorithmE0ELj4294967295EEENS1_25partition_config_selectorILNS1_17partition_subalgoE4EjNS0_10empty_typeEbEEZZNS1_14partition_implILS8_4ELb0ES6_15HIP_vector_typeIjLj2EENS0_17counting_iteratorIjlEEPS9_SG_NS0_5tupleIJPjSI_NS0_16reverse_iteratorISI_EEEEENSH_IJSG_SG_SG_EEES9_SI_JZNS1_25segmented_radix_sort_implINS0_14default_configELb0EPKaPaPKlPlN2at6native12_GLOBAL__N_18offset_tEEE10hipError_tPvRmT1_PNSt15iterator_traitsIS12_E10value_typeET2_T3_PNS13_IS18_E10value_typeET4_jRbjT5_S1E_jjP12ihipStream_tbEUljE_ZNSN_ISO_Lb0ESQ_SR_ST_SU_SY_EESZ_S10_S11_S12_S16_S17_S18_S1B_S1C_jS1D_jS1E_S1E_jjS1G_bEUljE0_EEESZ_S10_S11_S18_S1C_S1E_T6_T7_T9_mT8_S1G_bDpT10_ENKUlT_T0_E_clISt17integral_constantIbLb1EES1U_EEDaS1P_S1Q_EUlS1P_E_NS1_11comp_targetILNS1_3genE8ELNS1_11target_archE1030ELNS1_3gpuE2ELNS1_3repE0EEENS1_30default_config_static_selectorELNS0_4arch9wavefront6targetE1EEEvS12_
    .private_segment_fixed_size: 0
    .sgpr_count:     4
    .sgpr_spill_count: 0
    .symbol:         _ZN7rocprim17ROCPRIM_400000_NS6detail17trampoline_kernelINS0_13select_configILj256ELj13ELNS0_17block_load_methodE3ELS4_3ELS4_3ELNS0_20block_scan_algorithmE0ELj4294967295EEENS1_25partition_config_selectorILNS1_17partition_subalgoE4EjNS0_10empty_typeEbEEZZNS1_14partition_implILS8_4ELb0ES6_15HIP_vector_typeIjLj2EENS0_17counting_iteratorIjlEEPS9_SG_NS0_5tupleIJPjSI_NS0_16reverse_iteratorISI_EEEEENSH_IJSG_SG_SG_EEES9_SI_JZNS1_25segmented_radix_sort_implINS0_14default_configELb0EPKaPaPKlPlN2at6native12_GLOBAL__N_18offset_tEEE10hipError_tPvRmT1_PNSt15iterator_traitsIS12_E10value_typeET2_T3_PNS13_IS18_E10value_typeET4_jRbjT5_S1E_jjP12ihipStream_tbEUljE_ZNSN_ISO_Lb0ESQ_SR_ST_SU_SY_EESZ_S10_S11_S12_S16_S17_S18_S1B_S1C_jS1D_jS1E_S1E_jjS1G_bEUljE0_EEESZ_S10_S11_S18_S1C_S1E_T6_T7_T9_mT8_S1G_bDpT10_ENKUlT_T0_E_clISt17integral_constantIbLb1EES1U_EEDaS1P_S1Q_EUlS1P_E_NS1_11comp_targetILNS1_3genE8ELNS1_11target_archE1030ELNS1_3gpuE2ELNS1_3repE0EEENS1_30default_config_static_selectorELNS0_4arch9wavefront6targetE1EEEvS12_.kd
    .uniform_work_group_size: 1
    .uses_dynamic_stack: false
    .vgpr_count:     0
    .vgpr_spill_count: 0
    .wavefront_size: 64
  - .agpr_count:     0
    .args:
      - .offset:         0
        .size:           176
        .value_kind:     by_value
    .group_segment_fixed_size: 0
    .kernarg_segment_align: 8
    .kernarg_segment_size: 176
    .language:       OpenCL C
    .language_version:
      - 2
      - 0
    .max_flat_workgroup_size: 256
    .name:           _ZN7rocprim17ROCPRIM_400000_NS6detail17trampoline_kernelINS0_13select_configILj256ELj13ELNS0_17block_load_methodE3ELS4_3ELS4_3ELNS0_20block_scan_algorithmE0ELj4294967295EEENS1_25partition_config_selectorILNS1_17partition_subalgoE4EjNS0_10empty_typeEbEEZZNS1_14partition_implILS8_4ELb0ES6_15HIP_vector_typeIjLj2EENS0_17counting_iteratorIjlEEPS9_SG_NS0_5tupleIJPjSI_NS0_16reverse_iteratorISI_EEEEENSH_IJSG_SG_SG_EEES9_SI_JZNS1_25segmented_radix_sort_implINS0_14default_configELb0EPKaPaPKlPlN2at6native12_GLOBAL__N_18offset_tEEE10hipError_tPvRmT1_PNSt15iterator_traitsIS12_E10value_typeET2_T3_PNS13_IS18_E10value_typeET4_jRbjT5_S1E_jjP12ihipStream_tbEUljE_ZNSN_ISO_Lb0ESQ_SR_ST_SU_SY_EESZ_S10_S11_S12_S16_S17_S18_S1B_S1C_jS1D_jS1E_S1E_jjS1G_bEUljE0_EEESZ_S10_S11_S18_S1C_S1E_T6_T7_T9_mT8_S1G_bDpT10_ENKUlT_T0_E_clISt17integral_constantIbLb1EES1T_IbLb0EEEEDaS1P_S1Q_EUlS1P_E_NS1_11comp_targetILNS1_3genE0ELNS1_11target_archE4294967295ELNS1_3gpuE0ELNS1_3repE0EEENS1_30default_config_static_selectorELNS0_4arch9wavefront6targetE1EEEvS12_
    .private_segment_fixed_size: 0
    .sgpr_count:     4
    .sgpr_spill_count: 0
    .symbol:         _ZN7rocprim17ROCPRIM_400000_NS6detail17trampoline_kernelINS0_13select_configILj256ELj13ELNS0_17block_load_methodE3ELS4_3ELS4_3ELNS0_20block_scan_algorithmE0ELj4294967295EEENS1_25partition_config_selectorILNS1_17partition_subalgoE4EjNS0_10empty_typeEbEEZZNS1_14partition_implILS8_4ELb0ES6_15HIP_vector_typeIjLj2EENS0_17counting_iteratorIjlEEPS9_SG_NS0_5tupleIJPjSI_NS0_16reverse_iteratorISI_EEEEENSH_IJSG_SG_SG_EEES9_SI_JZNS1_25segmented_radix_sort_implINS0_14default_configELb0EPKaPaPKlPlN2at6native12_GLOBAL__N_18offset_tEEE10hipError_tPvRmT1_PNSt15iterator_traitsIS12_E10value_typeET2_T3_PNS13_IS18_E10value_typeET4_jRbjT5_S1E_jjP12ihipStream_tbEUljE_ZNSN_ISO_Lb0ESQ_SR_ST_SU_SY_EESZ_S10_S11_S12_S16_S17_S18_S1B_S1C_jS1D_jS1E_S1E_jjS1G_bEUljE0_EEESZ_S10_S11_S18_S1C_S1E_T6_T7_T9_mT8_S1G_bDpT10_ENKUlT_T0_E_clISt17integral_constantIbLb1EES1T_IbLb0EEEEDaS1P_S1Q_EUlS1P_E_NS1_11comp_targetILNS1_3genE0ELNS1_11target_archE4294967295ELNS1_3gpuE0ELNS1_3repE0EEENS1_30default_config_static_selectorELNS0_4arch9wavefront6targetE1EEEvS12_.kd
    .uniform_work_group_size: 1
    .uses_dynamic_stack: false
    .vgpr_count:     0
    .vgpr_spill_count: 0
    .wavefront_size: 64
  - .agpr_count:     0
    .args:
      - .offset:         0
        .size:           176
        .value_kind:     by_value
    .group_segment_fixed_size: 0
    .kernarg_segment_align: 8
    .kernarg_segment_size: 176
    .language:       OpenCL C
    .language_version:
      - 2
      - 0
    .max_flat_workgroup_size: 256
    .name:           _ZN7rocprim17ROCPRIM_400000_NS6detail17trampoline_kernelINS0_13select_configILj256ELj13ELNS0_17block_load_methodE3ELS4_3ELS4_3ELNS0_20block_scan_algorithmE0ELj4294967295EEENS1_25partition_config_selectorILNS1_17partition_subalgoE4EjNS0_10empty_typeEbEEZZNS1_14partition_implILS8_4ELb0ES6_15HIP_vector_typeIjLj2EENS0_17counting_iteratorIjlEEPS9_SG_NS0_5tupleIJPjSI_NS0_16reverse_iteratorISI_EEEEENSH_IJSG_SG_SG_EEES9_SI_JZNS1_25segmented_radix_sort_implINS0_14default_configELb0EPKaPaPKlPlN2at6native12_GLOBAL__N_18offset_tEEE10hipError_tPvRmT1_PNSt15iterator_traitsIS12_E10value_typeET2_T3_PNS13_IS18_E10value_typeET4_jRbjT5_S1E_jjP12ihipStream_tbEUljE_ZNSN_ISO_Lb0ESQ_SR_ST_SU_SY_EESZ_S10_S11_S12_S16_S17_S18_S1B_S1C_jS1D_jS1E_S1E_jjS1G_bEUljE0_EEESZ_S10_S11_S18_S1C_S1E_T6_T7_T9_mT8_S1G_bDpT10_ENKUlT_T0_E_clISt17integral_constantIbLb1EES1T_IbLb0EEEEDaS1P_S1Q_EUlS1P_E_NS1_11comp_targetILNS1_3genE5ELNS1_11target_archE942ELNS1_3gpuE9ELNS1_3repE0EEENS1_30default_config_static_selectorELNS0_4arch9wavefront6targetE1EEEvS12_
    .private_segment_fixed_size: 0
    .sgpr_count:     4
    .sgpr_spill_count: 0
    .symbol:         _ZN7rocprim17ROCPRIM_400000_NS6detail17trampoline_kernelINS0_13select_configILj256ELj13ELNS0_17block_load_methodE3ELS4_3ELS4_3ELNS0_20block_scan_algorithmE0ELj4294967295EEENS1_25partition_config_selectorILNS1_17partition_subalgoE4EjNS0_10empty_typeEbEEZZNS1_14partition_implILS8_4ELb0ES6_15HIP_vector_typeIjLj2EENS0_17counting_iteratorIjlEEPS9_SG_NS0_5tupleIJPjSI_NS0_16reverse_iteratorISI_EEEEENSH_IJSG_SG_SG_EEES9_SI_JZNS1_25segmented_radix_sort_implINS0_14default_configELb0EPKaPaPKlPlN2at6native12_GLOBAL__N_18offset_tEEE10hipError_tPvRmT1_PNSt15iterator_traitsIS12_E10value_typeET2_T3_PNS13_IS18_E10value_typeET4_jRbjT5_S1E_jjP12ihipStream_tbEUljE_ZNSN_ISO_Lb0ESQ_SR_ST_SU_SY_EESZ_S10_S11_S12_S16_S17_S18_S1B_S1C_jS1D_jS1E_S1E_jjS1G_bEUljE0_EEESZ_S10_S11_S18_S1C_S1E_T6_T7_T9_mT8_S1G_bDpT10_ENKUlT_T0_E_clISt17integral_constantIbLb1EES1T_IbLb0EEEEDaS1P_S1Q_EUlS1P_E_NS1_11comp_targetILNS1_3genE5ELNS1_11target_archE942ELNS1_3gpuE9ELNS1_3repE0EEENS1_30default_config_static_selectorELNS0_4arch9wavefront6targetE1EEEvS12_.kd
    .uniform_work_group_size: 1
    .uses_dynamic_stack: false
    .vgpr_count:     0
    .vgpr_spill_count: 0
    .wavefront_size: 64
  - .agpr_count:     0
    .args:
      - .offset:         0
        .size:           176
        .value_kind:     by_value
    .group_segment_fixed_size: 13340
    .kernarg_segment_align: 8
    .kernarg_segment_size: 176
    .language:       OpenCL C
    .language_version:
      - 2
      - 0
    .max_flat_workgroup_size: 256
    .name:           _ZN7rocprim17ROCPRIM_400000_NS6detail17trampoline_kernelINS0_13select_configILj256ELj13ELNS0_17block_load_methodE3ELS4_3ELS4_3ELNS0_20block_scan_algorithmE0ELj4294967295EEENS1_25partition_config_selectorILNS1_17partition_subalgoE4EjNS0_10empty_typeEbEEZZNS1_14partition_implILS8_4ELb0ES6_15HIP_vector_typeIjLj2EENS0_17counting_iteratorIjlEEPS9_SG_NS0_5tupleIJPjSI_NS0_16reverse_iteratorISI_EEEEENSH_IJSG_SG_SG_EEES9_SI_JZNS1_25segmented_radix_sort_implINS0_14default_configELb0EPKaPaPKlPlN2at6native12_GLOBAL__N_18offset_tEEE10hipError_tPvRmT1_PNSt15iterator_traitsIS12_E10value_typeET2_T3_PNS13_IS18_E10value_typeET4_jRbjT5_S1E_jjP12ihipStream_tbEUljE_ZNSN_ISO_Lb0ESQ_SR_ST_SU_SY_EESZ_S10_S11_S12_S16_S17_S18_S1B_S1C_jS1D_jS1E_S1E_jjS1G_bEUljE0_EEESZ_S10_S11_S18_S1C_S1E_T6_T7_T9_mT8_S1G_bDpT10_ENKUlT_T0_E_clISt17integral_constantIbLb1EES1T_IbLb0EEEEDaS1P_S1Q_EUlS1P_E_NS1_11comp_targetILNS1_3genE4ELNS1_11target_archE910ELNS1_3gpuE8ELNS1_3repE0EEENS1_30default_config_static_selectorELNS0_4arch9wavefront6targetE1EEEvS12_
    .private_segment_fixed_size: 0
    .sgpr_count:     94
    .sgpr_spill_count: 0
    .symbol:         _ZN7rocprim17ROCPRIM_400000_NS6detail17trampoline_kernelINS0_13select_configILj256ELj13ELNS0_17block_load_methodE3ELS4_3ELS4_3ELNS0_20block_scan_algorithmE0ELj4294967295EEENS1_25partition_config_selectorILNS1_17partition_subalgoE4EjNS0_10empty_typeEbEEZZNS1_14partition_implILS8_4ELb0ES6_15HIP_vector_typeIjLj2EENS0_17counting_iteratorIjlEEPS9_SG_NS0_5tupleIJPjSI_NS0_16reverse_iteratorISI_EEEEENSH_IJSG_SG_SG_EEES9_SI_JZNS1_25segmented_radix_sort_implINS0_14default_configELb0EPKaPaPKlPlN2at6native12_GLOBAL__N_18offset_tEEE10hipError_tPvRmT1_PNSt15iterator_traitsIS12_E10value_typeET2_T3_PNS13_IS18_E10value_typeET4_jRbjT5_S1E_jjP12ihipStream_tbEUljE_ZNSN_ISO_Lb0ESQ_SR_ST_SU_SY_EESZ_S10_S11_S12_S16_S17_S18_S1B_S1C_jS1D_jS1E_S1E_jjS1G_bEUljE0_EEESZ_S10_S11_S18_S1C_S1E_T6_T7_T9_mT8_S1G_bDpT10_ENKUlT_T0_E_clISt17integral_constantIbLb1EES1T_IbLb0EEEEDaS1P_S1Q_EUlS1P_E_NS1_11comp_targetILNS1_3genE4ELNS1_11target_archE910ELNS1_3gpuE8ELNS1_3repE0EEENS1_30default_config_static_selectorELNS0_4arch9wavefront6targetE1EEEvS12_.kd
    .uniform_work_group_size: 1
    .uses_dynamic_stack: false
    .vgpr_count:     102
    .vgpr_spill_count: 0
    .wavefront_size: 64
  - .agpr_count:     0
    .args:
      - .offset:         0
        .size:           176
        .value_kind:     by_value
    .group_segment_fixed_size: 0
    .kernarg_segment_align: 8
    .kernarg_segment_size: 176
    .language:       OpenCL C
    .language_version:
      - 2
      - 0
    .max_flat_workgroup_size: 256
    .name:           _ZN7rocprim17ROCPRIM_400000_NS6detail17trampoline_kernelINS0_13select_configILj256ELj13ELNS0_17block_load_methodE3ELS4_3ELS4_3ELNS0_20block_scan_algorithmE0ELj4294967295EEENS1_25partition_config_selectorILNS1_17partition_subalgoE4EjNS0_10empty_typeEbEEZZNS1_14partition_implILS8_4ELb0ES6_15HIP_vector_typeIjLj2EENS0_17counting_iteratorIjlEEPS9_SG_NS0_5tupleIJPjSI_NS0_16reverse_iteratorISI_EEEEENSH_IJSG_SG_SG_EEES9_SI_JZNS1_25segmented_radix_sort_implINS0_14default_configELb0EPKaPaPKlPlN2at6native12_GLOBAL__N_18offset_tEEE10hipError_tPvRmT1_PNSt15iterator_traitsIS12_E10value_typeET2_T3_PNS13_IS18_E10value_typeET4_jRbjT5_S1E_jjP12ihipStream_tbEUljE_ZNSN_ISO_Lb0ESQ_SR_ST_SU_SY_EESZ_S10_S11_S12_S16_S17_S18_S1B_S1C_jS1D_jS1E_S1E_jjS1G_bEUljE0_EEESZ_S10_S11_S18_S1C_S1E_T6_T7_T9_mT8_S1G_bDpT10_ENKUlT_T0_E_clISt17integral_constantIbLb1EES1T_IbLb0EEEEDaS1P_S1Q_EUlS1P_E_NS1_11comp_targetILNS1_3genE3ELNS1_11target_archE908ELNS1_3gpuE7ELNS1_3repE0EEENS1_30default_config_static_selectorELNS0_4arch9wavefront6targetE1EEEvS12_
    .private_segment_fixed_size: 0
    .sgpr_count:     4
    .sgpr_spill_count: 0
    .symbol:         _ZN7rocprim17ROCPRIM_400000_NS6detail17trampoline_kernelINS0_13select_configILj256ELj13ELNS0_17block_load_methodE3ELS4_3ELS4_3ELNS0_20block_scan_algorithmE0ELj4294967295EEENS1_25partition_config_selectorILNS1_17partition_subalgoE4EjNS0_10empty_typeEbEEZZNS1_14partition_implILS8_4ELb0ES6_15HIP_vector_typeIjLj2EENS0_17counting_iteratorIjlEEPS9_SG_NS0_5tupleIJPjSI_NS0_16reverse_iteratorISI_EEEEENSH_IJSG_SG_SG_EEES9_SI_JZNS1_25segmented_radix_sort_implINS0_14default_configELb0EPKaPaPKlPlN2at6native12_GLOBAL__N_18offset_tEEE10hipError_tPvRmT1_PNSt15iterator_traitsIS12_E10value_typeET2_T3_PNS13_IS18_E10value_typeET4_jRbjT5_S1E_jjP12ihipStream_tbEUljE_ZNSN_ISO_Lb0ESQ_SR_ST_SU_SY_EESZ_S10_S11_S12_S16_S17_S18_S1B_S1C_jS1D_jS1E_S1E_jjS1G_bEUljE0_EEESZ_S10_S11_S18_S1C_S1E_T6_T7_T9_mT8_S1G_bDpT10_ENKUlT_T0_E_clISt17integral_constantIbLb1EES1T_IbLb0EEEEDaS1P_S1Q_EUlS1P_E_NS1_11comp_targetILNS1_3genE3ELNS1_11target_archE908ELNS1_3gpuE7ELNS1_3repE0EEENS1_30default_config_static_selectorELNS0_4arch9wavefront6targetE1EEEvS12_.kd
    .uniform_work_group_size: 1
    .uses_dynamic_stack: false
    .vgpr_count:     0
    .vgpr_spill_count: 0
    .wavefront_size: 64
  - .agpr_count:     0
    .args:
      - .offset:         0
        .size:           176
        .value_kind:     by_value
    .group_segment_fixed_size: 0
    .kernarg_segment_align: 8
    .kernarg_segment_size: 176
    .language:       OpenCL C
    .language_version:
      - 2
      - 0
    .max_flat_workgroup_size: 256
    .name:           _ZN7rocprim17ROCPRIM_400000_NS6detail17trampoline_kernelINS0_13select_configILj256ELj13ELNS0_17block_load_methodE3ELS4_3ELS4_3ELNS0_20block_scan_algorithmE0ELj4294967295EEENS1_25partition_config_selectorILNS1_17partition_subalgoE4EjNS0_10empty_typeEbEEZZNS1_14partition_implILS8_4ELb0ES6_15HIP_vector_typeIjLj2EENS0_17counting_iteratorIjlEEPS9_SG_NS0_5tupleIJPjSI_NS0_16reverse_iteratorISI_EEEEENSH_IJSG_SG_SG_EEES9_SI_JZNS1_25segmented_radix_sort_implINS0_14default_configELb0EPKaPaPKlPlN2at6native12_GLOBAL__N_18offset_tEEE10hipError_tPvRmT1_PNSt15iterator_traitsIS12_E10value_typeET2_T3_PNS13_IS18_E10value_typeET4_jRbjT5_S1E_jjP12ihipStream_tbEUljE_ZNSN_ISO_Lb0ESQ_SR_ST_SU_SY_EESZ_S10_S11_S12_S16_S17_S18_S1B_S1C_jS1D_jS1E_S1E_jjS1G_bEUljE0_EEESZ_S10_S11_S18_S1C_S1E_T6_T7_T9_mT8_S1G_bDpT10_ENKUlT_T0_E_clISt17integral_constantIbLb1EES1T_IbLb0EEEEDaS1P_S1Q_EUlS1P_E_NS1_11comp_targetILNS1_3genE2ELNS1_11target_archE906ELNS1_3gpuE6ELNS1_3repE0EEENS1_30default_config_static_selectorELNS0_4arch9wavefront6targetE1EEEvS12_
    .private_segment_fixed_size: 0
    .sgpr_count:     4
    .sgpr_spill_count: 0
    .symbol:         _ZN7rocprim17ROCPRIM_400000_NS6detail17trampoline_kernelINS0_13select_configILj256ELj13ELNS0_17block_load_methodE3ELS4_3ELS4_3ELNS0_20block_scan_algorithmE0ELj4294967295EEENS1_25partition_config_selectorILNS1_17partition_subalgoE4EjNS0_10empty_typeEbEEZZNS1_14partition_implILS8_4ELb0ES6_15HIP_vector_typeIjLj2EENS0_17counting_iteratorIjlEEPS9_SG_NS0_5tupleIJPjSI_NS0_16reverse_iteratorISI_EEEEENSH_IJSG_SG_SG_EEES9_SI_JZNS1_25segmented_radix_sort_implINS0_14default_configELb0EPKaPaPKlPlN2at6native12_GLOBAL__N_18offset_tEEE10hipError_tPvRmT1_PNSt15iterator_traitsIS12_E10value_typeET2_T3_PNS13_IS18_E10value_typeET4_jRbjT5_S1E_jjP12ihipStream_tbEUljE_ZNSN_ISO_Lb0ESQ_SR_ST_SU_SY_EESZ_S10_S11_S12_S16_S17_S18_S1B_S1C_jS1D_jS1E_S1E_jjS1G_bEUljE0_EEESZ_S10_S11_S18_S1C_S1E_T6_T7_T9_mT8_S1G_bDpT10_ENKUlT_T0_E_clISt17integral_constantIbLb1EES1T_IbLb0EEEEDaS1P_S1Q_EUlS1P_E_NS1_11comp_targetILNS1_3genE2ELNS1_11target_archE906ELNS1_3gpuE6ELNS1_3repE0EEENS1_30default_config_static_selectorELNS0_4arch9wavefront6targetE1EEEvS12_.kd
    .uniform_work_group_size: 1
    .uses_dynamic_stack: false
    .vgpr_count:     0
    .vgpr_spill_count: 0
    .wavefront_size: 64
  - .agpr_count:     0
    .args:
      - .offset:         0
        .size:           176
        .value_kind:     by_value
    .group_segment_fixed_size: 0
    .kernarg_segment_align: 8
    .kernarg_segment_size: 176
    .language:       OpenCL C
    .language_version:
      - 2
      - 0
    .max_flat_workgroup_size: 256
    .name:           _ZN7rocprim17ROCPRIM_400000_NS6detail17trampoline_kernelINS0_13select_configILj256ELj13ELNS0_17block_load_methodE3ELS4_3ELS4_3ELNS0_20block_scan_algorithmE0ELj4294967295EEENS1_25partition_config_selectorILNS1_17partition_subalgoE4EjNS0_10empty_typeEbEEZZNS1_14partition_implILS8_4ELb0ES6_15HIP_vector_typeIjLj2EENS0_17counting_iteratorIjlEEPS9_SG_NS0_5tupleIJPjSI_NS0_16reverse_iteratorISI_EEEEENSH_IJSG_SG_SG_EEES9_SI_JZNS1_25segmented_radix_sort_implINS0_14default_configELb0EPKaPaPKlPlN2at6native12_GLOBAL__N_18offset_tEEE10hipError_tPvRmT1_PNSt15iterator_traitsIS12_E10value_typeET2_T3_PNS13_IS18_E10value_typeET4_jRbjT5_S1E_jjP12ihipStream_tbEUljE_ZNSN_ISO_Lb0ESQ_SR_ST_SU_SY_EESZ_S10_S11_S12_S16_S17_S18_S1B_S1C_jS1D_jS1E_S1E_jjS1G_bEUljE0_EEESZ_S10_S11_S18_S1C_S1E_T6_T7_T9_mT8_S1G_bDpT10_ENKUlT_T0_E_clISt17integral_constantIbLb1EES1T_IbLb0EEEEDaS1P_S1Q_EUlS1P_E_NS1_11comp_targetILNS1_3genE10ELNS1_11target_archE1200ELNS1_3gpuE4ELNS1_3repE0EEENS1_30default_config_static_selectorELNS0_4arch9wavefront6targetE1EEEvS12_
    .private_segment_fixed_size: 0
    .sgpr_count:     4
    .sgpr_spill_count: 0
    .symbol:         _ZN7rocprim17ROCPRIM_400000_NS6detail17trampoline_kernelINS0_13select_configILj256ELj13ELNS0_17block_load_methodE3ELS4_3ELS4_3ELNS0_20block_scan_algorithmE0ELj4294967295EEENS1_25partition_config_selectorILNS1_17partition_subalgoE4EjNS0_10empty_typeEbEEZZNS1_14partition_implILS8_4ELb0ES6_15HIP_vector_typeIjLj2EENS0_17counting_iteratorIjlEEPS9_SG_NS0_5tupleIJPjSI_NS0_16reverse_iteratorISI_EEEEENSH_IJSG_SG_SG_EEES9_SI_JZNS1_25segmented_radix_sort_implINS0_14default_configELb0EPKaPaPKlPlN2at6native12_GLOBAL__N_18offset_tEEE10hipError_tPvRmT1_PNSt15iterator_traitsIS12_E10value_typeET2_T3_PNS13_IS18_E10value_typeET4_jRbjT5_S1E_jjP12ihipStream_tbEUljE_ZNSN_ISO_Lb0ESQ_SR_ST_SU_SY_EESZ_S10_S11_S12_S16_S17_S18_S1B_S1C_jS1D_jS1E_S1E_jjS1G_bEUljE0_EEESZ_S10_S11_S18_S1C_S1E_T6_T7_T9_mT8_S1G_bDpT10_ENKUlT_T0_E_clISt17integral_constantIbLb1EES1T_IbLb0EEEEDaS1P_S1Q_EUlS1P_E_NS1_11comp_targetILNS1_3genE10ELNS1_11target_archE1200ELNS1_3gpuE4ELNS1_3repE0EEENS1_30default_config_static_selectorELNS0_4arch9wavefront6targetE1EEEvS12_.kd
    .uniform_work_group_size: 1
    .uses_dynamic_stack: false
    .vgpr_count:     0
    .vgpr_spill_count: 0
    .wavefront_size: 64
  - .agpr_count:     0
    .args:
      - .offset:         0
        .size:           176
        .value_kind:     by_value
    .group_segment_fixed_size: 0
    .kernarg_segment_align: 8
    .kernarg_segment_size: 176
    .language:       OpenCL C
    .language_version:
      - 2
      - 0
    .max_flat_workgroup_size: 256
    .name:           _ZN7rocprim17ROCPRIM_400000_NS6detail17trampoline_kernelINS0_13select_configILj256ELj13ELNS0_17block_load_methodE3ELS4_3ELS4_3ELNS0_20block_scan_algorithmE0ELj4294967295EEENS1_25partition_config_selectorILNS1_17partition_subalgoE4EjNS0_10empty_typeEbEEZZNS1_14partition_implILS8_4ELb0ES6_15HIP_vector_typeIjLj2EENS0_17counting_iteratorIjlEEPS9_SG_NS0_5tupleIJPjSI_NS0_16reverse_iteratorISI_EEEEENSH_IJSG_SG_SG_EEES9_SI_JZNS1_25segmented_radix_sort_implINS0_14default_configELb0EPKaPaPKlPlN2at6native12_GLOBAL__N_18offset_tEEE10hipError_tPvRmT1_PNSt15iterator_traitsIS12_E10value_typeET2_T3_PNS13_IS18_E10value_typeET4_jRbjT5_S1E_jjP12ihipStream_tbEUljE_ZNSN_ISO_Lb0ESQ_SR_ST_SU_SY_EESZ_S10_S11_S12_S16_S17_S18_S1B_S1C_jS1D_jS1E_S1E_jjS1G_bEUljE0_EEESZ_S10_S11_S18_S1C_S1E_T6_T7_T9_mT8_S1G_bDpT10_ENKUlT_T0_E_clISt17integral_constantIbLb1EES1T_IbLb0EEEEDaS1P_S1Q_EUlS1P_E_NS1_11comp_targetILNS1_3genE9ELNS1_11target_archE1100ELNS1_3gpuE3ELNS1_3repE0EEENS1_30default_config_static_selectorELNS0_4arch9wavefront6targetE1EEEvS12_
    .private_segment_fixed_size: 0
    .sgpr_count:     4
    .sgpr_spill_count: 0
    .symbol:         _ZN7rocprim17ROCPRIM_400000_NS6detail17trampoline_kernelINS0_13select_configILj256ELj13ELNS0_17block_load_methodE3ELS4_3ELS4_3ELNS0_20block_scan_algorithmE0ELj4294967295EEENS1_25partition_config_selectorILNS1_17partition_subalgoE4EjNS0_10empty_typeEbEEZZNS1_14partition_implILS8_4ELb0ES6_15HIP_vector_typeIjLj2EENS0_17counting_iteratorIjlEEPS9_SG_NS0_5tupleIJPjSI_NS0_16reverse_iteratorISI_EEEEENSH_IJSG_SG_SG_EEES9_SI_JZNS1_25segmented_radix_sort_implINS0_14default_configELb0EPKaPaPKlPlN2at6native12_GLOBAL__N_18offset_tEEE10hipError_tPvRmT1_PNSt15iterator_traitsIS12_E10value_typeET2_T3_PNS13_IS18_E10value_typeET4_jRbjT5_S1E_jjP12ihipStream_tbEUljE_ZNSN_ISO_Lb0ESQ_SR_ST_SU_SY_EESZ_S10_S11_S12_S16_S17_S18_S1B_S1C_jS1D_jS1E_S1E_jjS1G_bEUljE0_EEESZ_S10_S11_S18_S1C_S1E_T6_T7_T9_mT8_S1G_bDpT10_ENKUlT_T0_E_clISt17integral_constantIbLb1EES1T_IbLb0EEEEDaS1P_S1Q_EUlS1P_E_NS1_11comp_targetILNS1_3genE9ELNS1_11target_archE1100ELNS1_3gpuE3ELNS1_3repE0EEENS1_30default_config_static_selectorELNS0_4arch9wavefront6targetE1EEEvS12_.kd
    .uniform_work_group_size: 1
    .uses_dynamic_stack: false
    .vgpr_count:     0
    .vgpr_spill_count: 0
    .wavefront_size: 64
  - .agpr_count:     0
    .args:
      - .offset:         0
        .size:           176
        .value_kind:     by_value
    .group_segment_fixed_size: 0
    .kernarg_segment_align: 8
    .kernarg_segment_size: 176
    .language:       OpenCL C
    .language_version:
      - 2
      - 0
    .max_flat_workgroup_size: 256
    .name:           _ZN7rocprim17ROCPRIM_400000_NS6detail17trampoline_kernelINS0_13select_configILj256ELj13ELNS0_17block_load_methodE3ELS4_3ELS4_3ELNS0_20block_scan_algorithmE0ELj4294967295EEENS1_25partition_config_selectorILNS1_17partition_subalgoE4EjNS0_10empty_typeEbEEZZNS1_14partition_implILS8_4ELb0ES6_15HIP_vector_typeIjLj2EENS0_17counting_iteratorIjlEEPS9_SG_NS0_5tupleIJPjSI_NS0_16reverse_iteratorISI_EEEEENSH_IJSG_SG_SG_EEES9_SI_JZNS1_25segmented_radix_sort_implINS0_14default_configELb0EPKaPaPKlPlN2at6native12_GLOBAL__N_18offset_tEEE10hipError_tPvRmT1_PNSt15iterator_traitsIS12_E10value_typeET2_T3_PNS13_IS18_E10value_typeET4_jRbjT5_S1E_jjP12ihipStream_tbEUljE_ZNSN_ISO_Lb0ESQ_SR_ST_SU_SY_EESZ_S10_S11_S12_S16_S17_S18_S1B_S1C_jS1D_jS1E_S1E_jjS1G_bEUljE0_EEESZ_S10_S11_S18_S1C_S1E_T6_T7_T9_mT8_S1G_bDpT10_ENKUlT_T0_E_clISt17integral_constantIbLb1EES1T_IbLb0EEEEDaS1P_S1Q_EUlS1P_E_NS1_11comp_targetILNS1_3genE8ELNS1_11target_archE1030ELNS1_3gpuE2ELNS1_3repE0EEENS1_30default_config_static_selectorELNS0_4arch9wavefront6targetE1EEEvS12_
    .private_segment_fixed_size: 0
    .sgpr_count:     4
    .sgpr_spill_count: 0
    .symbol:         _ZN7rocprim17ROCPRIM_400000_NS6detail17trampoline_kernelINS0_13select_configILj256ELj13ELNS0_17block_load_methodE3ELS4_3ELS4_3ELNS0_20block_scan_algorithmE0ELj4294967295EEENS1_25partition_config_selectorILNS1_17partition_subalgoE4EjNS0_10empty_typeEbEEZZNS1_14partition_implILS8_4ELb0ES6_15HIP_vector_typeIjLj2EENS0_17counting_iteratorIjlEEPS9_SG_NS0_5tupleIJPjSI_NS0_16reverse_iteratorISI_EEEEENSH_IJSG_SG_SG_EEES9_SI_JZNS1_25segmented_radix_sort_implINS0_14default_configELb0EPKaPaPKlPlN2at6native12_GLOBAL__N_18offset_tEEE10hipError_tPvRmT1_PNSt15iterator_traitsIS12_E10value_typeET2_T3_PNS13_IS18_E10value_typeET4_jRbjT5_S1E_jjP12ihipStream_tbEUljE_ZNSN_ISO_Lb0ESQ_SR_ST_SU_SY_EESZ_S10_S11_S12_S16_S17_S18_S1B_S1C_jS1D_jS1E_S1E_jjS1G_bEUljE0_EEESZ_S10_S11_S18_S1C_S1E_T6_T7_T9_mT8_S1G_bDpT10_ENKUlT_T0_E_clISt17integral_constantIbLb1EES1T_IbLb0EEEEDaS1P_S1Q_EUlS1P_E_NS1_11comp_targetILNS1_3genE8ELNS1_11target_archE1030ELNS1_3gpuE2ELNS1_3repE0EEENS1_30default_config_static_selectorELNS0_4arch9wavefront6targetE1EEEvS12_.kd
    .uniform_work_group_size: 1
    .uses_dynamic_stack: false
    .vgpr_count:     0
    .vgpr_spill_count: 0
    .wavefront_size: 64
  - .agpr_count:     0
    .args:
      - .offset:         0
        .size:           184
        .value_kind:     by_value
    .group_segment_fixed_size: 0
    .kernarg_segment_align: 8
    .kernarg_segment_size: 184
    .language:       OpenCL C
    .language_version:
      - 2
      - 0
    .max_flat_workgroup_size: 256
    .name:           _ZN7rocprim17ROCPRIM_400000_NS6detail17trampoline_kernelINS0_13select_configILj256ELj13ELNS0_17block_load_methodE3ELS4_3ELS4_3ELNS0_20block_scan_algorithmE0ELj4294967295EEENS1_25partition_config_selectorILNS1_17partition_subalgoE4EjNS0_10empty_typeEbEEZZNS1_14partition_implILS8_4ELb0ES6_15HIP_vector_typeIjLj2EENS0_17counting_iteratorIjlEEPS9_SG_NS0_5tupleIJPjSI_NS0_16reverse_iteratorISI_EEEEENSH_IJSG_SG_SG_EEES9_SI_JZNS1_25segmented_radix_sort_implINS0_14default_configELb0EPKaPaPKlPlN2at6native12_GLOBAL__N_18offset_tEEE10hipError_tPvRmT1_PNSt15iterator_traitsIS12_E10value_typeET2_T3_PNS13_IS18_E10value_typeET4_jRbjT5_S1E_jjP12ihipStream_tbEUljE_ZNSN_ISO_Lb0ESQ_SR_ST_SU_SY_EESZ_S10_S11_S12_S16_S17_S18_S1B_S1C_jS1D_jS1E_S1E_jjS1G_bEUljE0_EEESZ_S10_S11_S18_S1C_S1E_T6_T7_T9_mT8_S1G_bDpT10_ENKUlT_T0_E_clISt17integral_constantIbLb0EES1T_IbLb1EEEEDaS1P_S1Q_EUlS1P_E_NS1_11comp_targetILNS1_3genE0ELNS1_11target_archE4294967295ELNS1_3gpuE0ELNS1_3repE0EEENS1_30default_config_static_selectorELNS0_4arch9wavefront6targetE1EEEvS12_
    .private_segment_fixed_size: 0
    .sgpr_count:     4
    .sgpr_spill_count: 0
    .symbol:         _ZN7rocprim17ROCPRIM_400000_NS6detail17trampoline_kernelINS0_13select_configILj256ELj13ELNS0_17block_load_methodE3ELS4_3ELS4_3ELNS0_20block_scan_algorithmE0ELj4294967295EEENS1_25partition_config_selectorILNS1_17partition_subalgoE4EjNS0_10empty_typeEbEEZZNS1_14partition_implILS8_4ELb0ES6_15HIP_vector_typeIjLj2EENS0_17counting_iteratorIjlEEPS9_SG_NS0_5tupleIJPjSI_NS0_16reverse_iteratorISI_EEEEENSH_IJSG_SG_SG_EEES9_SI_JZNS1_25segmented_radix_sort_implINS0_14default_configELb0EPKaPaPKlPlN2at6native12_GLOBAL__N_18offset_tEEE10hipError_tPvRmT1_PNSt15iterator_traitsIS12_E10value_typeET2_T3_PNS13_IS18_E10value_typeET4_jRbjT5_S1E_jjP12ihipStream_tbEUljE_ZNSN_ISO_Lb0ESQ_SR_ST_SU_SY_EESZ_S10_S11_S12_S16_S17_S18_S1B_S1C_jS1D_jS1E_S1E_jjS1G_bEUljE0_EEESZ_S10_S11_S18_S1C_S1E_T6_T7_T9_mT8_S1G_bDpT10_ENKUlT_T0_E_clISt17integral_constantIbLb0EES1T_IbLb1EEEEDaS1P_S1Q_EUlS1P_E_NS1_11comp_targetILNS1_3genE0ELNS1_11target_archE4294967295ELNS1_3gpuE0ELNS1_3repE0EEENS1_30default_config_static_selectorELNS0_4arch9wavefront6targetE1EEEvS12_.kd
    .uniform_work_group_size: 1
    .uses_dynamic_stack: false
    .vgpr_count:     0
    .vgpr_spill_count: 0
    .wavefront_size: 64
  - .agpr_count:     0
    .args:
      - .offset:         0
        .size:           184
        .value_kind:     by_value
    .group_segment_fixed_size: 0
    .kernarg_segment_align: 8
    .kernarg_segment_size: 184
    .language:       OpenCL C
    .language_version:
      - 2
      - 0
    .max_flat_workgroup_size: 256
    .name:           _ZN7rocprim17ROCPRIM_400000_NS6detail17trampoline_kernelINS0_13select_configILj256ELj13ELNS0_17block_load_methodE3ELS4_3ELS4_3ELNS0_20block_scan_algorithmE0ELj4294967295EEENS1_25partition_config_selectorILNS1_17partition_subalgoE4EjNS0_10empty_typeEbEEZZNS1_14partition_implILS8_4ELb0ES6_15HIP_vector_typeIjLj2EENS0_17counting_iteratorIjlEEPS9_SG_NS0_5tupleIJPjSI_NS0_16reverse_iteratorISI_EEEEENSH_IJSG_SG_SG_EEES9_SI_JZNS1_25segmented_radix_sort_implINS0_14default_configELb0EPKaPaPKlPlN2at6native12_GLOBAL__N_18offset_tEEE10hipError_tPvRmT1_PNSt15iterator_traitsIS12_E10value_typeET2_T3_PNS13_IS18_E10value_typeET4_jRbjT5_S1E_jjP12ihipStream_tbEUljE_ZNSN_ISO_Lb0ESQ_SR_ST_SU_SY_EESZ_S10_S11_S12_S16_S17_S18_S1B_S1C_jS1D_jS1E_S1E_jjS1G_bEUljE0_EEESZ_S10_S11_S18_S1C_S1E_T6_T7_T9_mT8_S1G_bDpT10_ENKUlT_T0_E_clISt17integral_constantIbLb0EES1T_IbLb1EEEEDaS1P_S1Q_EUlS1P_E_NS1_11comp_targetILNS1_3genE5ELNS1_11target_archE942ELNS1_3gpuE9ELNS1_3repE0EEENS1_30default_config_static_selectorELNS0_4arch9wavefront6targetE1EEEvS12_
    .private_segment_fixed_size: 0
    .sgpr_count:     4
    .sgpr_spill_count: 0
    .symbol:         _ZN7rocprim17ROCPRIM_400000_NS6detail17trampoline_kernelINS0_13select_configILj256ELj13ELNS0_17block_load_methodE3ELS4_3ELS4_3ELNS0_20block_scan_algorithmE0ELj4294967295EEENS1_25partition_config_selectorILNS1_17partition_subalgoE4EjNS0_10empty_typeEbEEZZNS1_14partition_implILS8_4ELb0ES6_15HIP_vector_typeIjLj2EENS0_17counting_iteratorIjlEEPS9_SG_NS0_5tupleIJPjSI_NS0_16reverse_iteratorISI_EEEEENSH_IJSG_SG_SG_EEES9_SI_JZNS1_25segmented_radix_sort_implINS0_14default_configELb0EPKaPaPKlPlN2at6native12_GLOBAL__N_18offset_tEEE10hipError_tPvRmT1_PNSt15iterator_traitsIS12_E10value_typeET2_T3_PNS13_IS18_E10value_typeET4_jRbjT5_S1E_jjP12ihipStream_tbEUljE_ZNSN_ISO_Lb0ESQ_SR_ST_SU_SY_EESZ_S10_S11_S12_S16_S17_S18_S1B_S1C_jS1D_jS1E_S1E_jjS1G_bEUljE0_EEESZ_S10_S11_S18_S1C_S1E_T6_T7_T9_mT8_S1G_bDpT10_ENKUlT_T0_E_clISt17integral_constantIbLb0EES1T_IbLb1EEEEDaS1P_S1Q_EUlS1P_E_NS1_11comp_targetILNS1_3genE5ELNS1_11target_archE942ELNS1_3gpuE9ELNS1_3repE0EEENS1_30default_config_static_selectorELNS0_4arch9wavefront6targetE1EEEvS12_.kd
    .uniform_work_group_size: 1
    .uses_dynamic_stack: false
    .vgpr_count:     0
    .vgpr_spill_count: 0
    .wavefront_size: 64
  - .agpr_count:     0
    .args:
      - .offset:         0
        .size:           184
        .value_kind:     by_value
    .group_segment_fixed_size: 13340
    .kernarg_segment_align: 8
    .kernarg_segment_size: 184
    .language:       OpenCL C
    .language_version:
      - 2
      - 0
    .max_flat_workgroup_size: 256
    .name:           _ZN7rocprim17ROCPRIM_400000_NS6detail17trampoline_kernelINS0_13select_configILj256ELj13ELNS0_17block_load_methodE3ELS4_3ELS4_3ELNS0_20block_scan_algorithmE0ELj4294967295EEENS1_25partition_config_selectorILNS1_17partition_subalgoE4EjNS0_10empty_typeEbEEZZNS1_14partition_implILS8_4ELb0ES6_15HIP_vector_typeIjLj2EENS0_17counting_iteratorIjlEEPS9_SG_NS0_5tupleIJPjSI_NS0_16reverse_iteratorISI_EEEEENSH_IJSG_SG_SG_EEES9_SI_JZNS1_25segmented_radix_sort_implINS0_14default_configELb0EPKaPaPKlPlN2at6native12_GLOBAL__N_18offset_tEEE10hipError_tPvRmT1_PNSt15iterator_traitsIS12_E10value_typeET2_T3_PNS13_IS18_E10value_typeET4_jRbjT5_S1E_jjP12ihipStream_tbEUljE_ZNSN_ISO_Lb0ESQ_SR_ST_SU_SY_EESZ_S10_S11_S12_S16_S17_S18_S1B_S1C_jS1D_jS1E_S1E_jjS1G_bEUljE0_EEESZ_S10_S11_S18_S1C_S1E_T6_T7_T9_mT8_S1G_bDpT10_ENKUlT_T0_E_clISt17integral_constantIbLb0EES1T_IbLb1EEEEDaS1P_S1Q_EUlS1P_E_NS1_11comp_targetILNS1_3genE4ELNS1_11target_archE910ELNS1_3gpuE8ELNS1_3repE0EEENS1_30default_config_static_selectorELNS0_4arch9wavefront6targetE1EEEvS12_
    .private_segment_fixed_size: 0
    .sgpr_count:     91
    .sgpr_spill_count: 0
    .symbol:         _ZN7rocprim17ROCPRIM_400000_NS6detail17trampoline_kernelINS0_13select_configILj256ELj13ELNS0_17block_load_methodE3ELS4_3ELS4_3ELNS0_20block_scan_algorithmE0ELj4294967295EEENS1_25partition_config_selectorILNS1_17partition_subalgoE4EjNS0_10empty_typeEbEEZZNS1_14partition_implILS8_4ELb0ES6_15HIP_vector_typeIjLj2EENS0_17counting_iteratorIjlEEPS9_SG_NS0_5tupleIJPjSI_NS0_16reverse_iteratorISI_EEEEENSH_IJSG_SG_SG_EEES9_SI_JZNS1_25segmented_radix_sort_implINS0_14default_configELb0EPKaPaPKlPlN2at6native12_GLOBAL__N_18offset_tEEE10hipError_tPvRmT1_PNSt15iterator_traitsIS12_E10value_typeET2_T3_PNS13_IS18_E10value_typeET4_jRbjT5_S1E_jjP12ihipStream_tbEUljE_ZNSN_ISO_Lb0ESQ_SR_ST_SU_SY_EESZ_S10_S11_S12_S16_S17_S18_S1B_S1C_jS1D_jS1E_S1E_jjS1G_bEUljE0_EEESZ_S10_S11_S18_S1C_S1E_T6_T7_T9_mT8_S1G_bDpT10_ENKUlT_T0_E_clISt17integral_constantIbLb0EES1T_IbLb1EEEEDaS1P_S1Q_EUlS1P_E_NS1_11comp_targetILNS1_3genE4ELNS1_11target_archE910ELNS1_3gpuE8ELNS1_3repE0EEENS1_30default_config_static_selectorELNS0_4arch9wavefront6targetE1EEEvS12_.kd
    .uniform_work_group_size: 1
    .uses_dynamic_stack: false
    .vgpr_count:     107
    .vgpr_spill_count: 0
    .wavefront_size: 64
  - .agpr_count:     0
    .args:
      - .offset:         0
        .size:           184
        .value_kind:     by_value
    .group_segment_fixed_size: 0
    .kernarg_segment_align: 8
    .kernarg_segment_size: 184
    .language:       OpenCL C
    .language_version:
      - 2
      - 0
    .max_flat_workgroup_size: 256
    .name:           _ZN7rocprim17ROCPRIM_400000_NS6detail17trampoline_kernelINS0_13select_configILj256ELj13ELNS0_17block_load_methodE3ELS4_3ELS4_3ELNS0_20block_scan_algorithmE0ELj4294967295EEENS1_25partition_config_selectorILNS1_17partition_subalgoE4EjNS0_10empty_typeEbEEZZNS1_14partition_implILS8_4ELb0ES6_15HIP_vector_typeIjLj2EENS0_17counting_iteratorIjlEEPS9_SG_NS0_5tupleIJPjSI_NS0_16reverse_iteratorISI_EEEEENSH_IJSG_SG_SG_EEES9_SI_JZNS1_25segmented_radix_sort_implINS0_14default_configELb0EPKaPaPKlPlN2at6native12_GLOBAL__N_18offset_tEEE10hipError_tPvRmT1_PNSt15iterator_traitsIS12_E10value_typeET2_T3_PNS13_IS18_E10value_typeET4_jRbjT5_S1E_jjP12ihipStream_tbEUljE_ZNSN_ISO_Lb0ESQ_SR_ST_SU_SY_EESZ_S10_S11_S12_S16_S17_S18_S1B_S1C_jS1D_jS1E_S1E_jjS1G_bEUljE0_EEESZ_S10_S11_S18_S1C_S1E_T6_T7_T9_mT8_S1G_bDpT10_ENKUlT_T0_E_clISt17integral_constantIbLb0EES1T_IbLb1EEEEDaS1P_S1Q_EUlS1P_E_NS1_11comp_targetILNS1_3genE3ELNS1_11target_archE908ELNS1_3gpuE7ELNS1_3repE0EEENS1_30default_config_static_selectorELNS0_4arch9wavefront6targetE1EEEvS12_
    .private_segment_fixed_size: 0
    .sgpr_count:     4
    .sgpr_spill_count: 0
    .symbol:         _ZN7rocprim17ROCPRIM_400000_NS6detail17trampoline_kernelINS0_13select_configILj256ELj13ELNS0_17block_load_methodE3ELS4_3ELS4_3ELNS0_20block_scan_algorithmE0ELj4294967295EEENS1_25partition_config_selectorILNS1_17partition_subalgoE4EjNS0_10empty_typeEbEEZZNS1_14partition_implILS8_4ELb0ES6_15HIP_vector_typeIjLj2EENS0_17counting_iteratorIjlEEPS9_SG_NS0_5tupleIJPjSI_NS0_16reverse_iteratorISI_EEEEENSH_IJSG_SG_SG_EEES9_SI_JZNS1_25segmented_radix_sort_implINS0_14default_configELb0EPKaPaPKlPlN2at6native12_GLOBAL__N_18offset_tEEE10hipError_tPvRmT1_PNSt15iterator_traitsIS12_E10value_typeET2_T3_PNS13_IS18_E10value_typeET4_jRbjT5_S1E_jjP12ihipStream_tbEUljE_ZNSN_ISO_Lb0ESQ_SR_ST_SU_SY_EESZ_S10_S11_S12_S16_S17_S18_S1B_S1C_jS1D_jS1E_S1E_jjS1G_bEUljE0_EEESZ_S10_S11_S18_S1C_S1E_T6_T7_T9_mT8_S1G_bDpT10_ENKUlT_T0_E_clISt17integral_constantIbLb0EES1T_IbLb1EEEEDaS1P_S1Q_EUlS1P_E_NS1_11comp_targetILNS1_3genE3ELNS1_11target_archE908ELNS1_3gpuE7ELNS1_3repE0EEENS1_30default_config_static_selectorELNS0_4arch9wavefront6targetE1EEEvS12_.kd
    .uniform_work_group_size: 1
    .uses_dynamic_stack: false
    .vgpr_count:     0
    .vgpr_spill_count: 0
    .wavefront_size: 64
  - .agpr_count:     0
    .args:
      - .offset:         0
        .size:           184
        .value_kind:     by_value
    .group_segment_fixed_size: 0
    .kernarg_segment_align: 8
    .kernarg_segment_size: 184
    .language:       OpenCL C
    .language_version:
      - 2
      - 0
    .max_flat_workgroup_size: 256
    .name:           _ZN7rocprim17ROCPRIM_400000_NS6detail17trampoline_kernelINS0_13select_configILj256ELj13ELNS0_17block_load_methodE3ELS4_3ELS4_3ELNS0_20block_scan_algorithmE0ELj4294967295EEENS1_25partition_config_selectorILNS1_17partition_subalgoE4EjNS0_10empty_typeEbEEZZNS1_14partition_implILS8_4ELb0ES6_15HIP_vector_typeIjLj2EENS0_17counting_iteratorIjlEEPS9_SG_NS0_5tupleIJPjSI_NS0_16reverse_iteratorISI_EEEEENSH_IJSG_SG_SG_EEES9_SI_JZNS1_25segmented_radix_sort_implINS0_14default_configELb0EPKaPaPKlPlN2at6native12_GLOBAL__N_18offset_tEEE10hipError_tPvRmT1_PNSt15iterator_traitsIS12_E10value_typeET2_T3_PNS13_IS18_E10value_typeET4_jRbjT5_S1E_jjP12ihipStream_tbEUljE_ZNSN_ISO_Lb0ESQ_SR_ST_SU_SY_EESZ_S10_S11_S12_S16_S17_S18_S1B_S1C_jS1D_jS1E_S1E_jjS1G_bEUljE0_EEESZ_S10_S11_S18_S1C_S1E_T6_T7_T9_mT8_S1G_bDpT10_ENKUlT_T0_E_clISt17integral_constantIbLb0EES1T_IbLb1EEEEDaS1P_S1Q_EUlS1P_E_NS1_11comp_targetILNS1_3genE2ELNS1_11target_archE906ELNS1_3gpuE6ELNS1_3repE0EEENS1_30default_config_static_selectorELNS0_4arch9wavefront6targetE1EEEvS12_
    .private_segment_fixed_size: 0
    .sgpr_count:     4
    .sgpr_spill_count: 0
    .symbol:         _ZN7rocprim17ROCPRIM_400000_NS6detail17trampoline_kernelINS0_13select_configILj256ELj13ELNS0_17block_load_methodE3ELS4_3ELS4_3ELNS0_20block_scan_algorithmE0ELj4294967295EEENS1_25partition_config_selectorILNS1_17partition_subalgoE4EjNS0_10empty_typeEbEEZZNS1_14partition_implILS8_4ELb0ES6_15HIP_vector_typeIjLj2EENS0_17counting_iteratorIjlEEPS9_SG_NS0_5tupleIJPjSI_NS0_16reverse_iteratorISI_EEEEENSH_IJSG_SG_SG_EEES9_SI_JZNS1_25segmented_radix_sort_implINS0_14default_configELb0EPKaPaPKlPlN2at6native12_GLOBAL__N_18offset_tEEE10hipError_tPvRmT1_PNSt15iterator_traitsIS12_E10value_typeET2_T3_PNS13_IS18_E10value_typeET4_jRbjT5_S1E_jjP12ihipStream_tbEUljE_ZNSN_ISO_Lb0ESQ_SR_ST_SU_SY_EESZ_S10_S11_S12_S16_S17_S18_S1B_S1C_jS1D_jS1E_S1E_jjS1G_bEUljE0_EEESZ_S10_S11_S18_S1C_S1E_T6_T7_T9_mT8_S1G_bDpT10_ENKUlT_T0_E_clISt17integral_constantIbLb0EES1T_IbLb1EEEEDaS1P_S1Q_EUlS1P_E_NS1_11comp_targetILNS1_3genE2ELNS1_11target_archE906ELNS1_3gpuE6ELNS1_3repE0EEENS1_30default_config_static_selectorELNS0_4arch9wavefront6targetE1EEEvS12_.kd
    .uniform_work_group_size: 1
    .uses_dynamic_stack: false
    .vgpr_count:     0
    .vgpr_spill_count: 0
    .wavefront_size: 64
  - .agpr_count:     0
    .args:
      - .offset:         0
        .size:           184
        .value_kind:     by_value
    .group_segment_fixed_size: 0
    .kernarg_segment_align: 8
    .kernarg_segment_size: 184
    .language:       OpenCL C
    .language_version:
      - 2
      - 0
    .max_flat_workgroup_size: 256
    .name:           _ZN7rocprim17ROCPRIM_400000_NS6detail17trampoline_kernelINS0_13select_configILj256ELj13ELNS0_17block_load_methodE3ELS4_3ELS4_3ELNS0_20block_scan_algorithmE0ELj4294967295EEENS1_25partition_config_selectorILNS1_17partition_subalgoE4EjNS0_10empty_typeEbEEZZNS1_14partition_implILS8_4ELb0ES6_15HIP_vector_typeIjLj2EENS0_17counting_iteratorIjlEEPS9_SG_NS0_5tupleIJPjSI_NS0_16reverse_iteratorISI_EEEEENSH_IJSG_SG_SG_EEES9_SI_JZNS1_25segmented_radix_sort_implINS0_14default_configELb0EPKaPaPKlPlN2at6native12_GLOBAL__N_18offset_tEEE10hipError_tPvRmT1_PNSt15iterator_traitsIS12_E10value_typeET2_T3_PNS13_IS18_E10value_typeET4_jRbjT5_S1E_jjP12ihipStream_tbEUljE_ZNSN_ISO_Lb0ESQ_SR_ST_SU_SY_EESZ_S10_S11_S12_S16_S17_S18_S1B_S1C_jS1D_jS1E_S1E_jjS1G_bEUljE0_EEESZ_S10_S11_S18_S1C_S1E_T6_T7_T9_mT8_S1G_bDpT10_ENKUlT_T0_E_clISt17integral_constantIbLb0EES1T_IbLb1EEEEDaS1P_S1Q_EUlS1P_E_NS1_11comp_targetILNS1_3genE10ELNS1_11target_archE1200ELNS1_3gpuE4ELNS1_3repE0EEENS1_30default_config_static_selectorELNS0_4arch9wavefront6targetE1EEEvS12_
    .private_segment_fixed_size: 0
    .sgpr_count:     4
    .sgpr_spill_count: 0
    .symbol:         _ZN7rocprim17ROCPRIM_400000_NS6detail17trampoline_kernelINS0_13select_configILj256ELj13ELNS0_17block_load_methodE3ELS4_3ELS4_3ELNS0_20block_scan_algorithmE0ELj4294967295EEENS1_25partition_config_selectorILNS1_17partition_subalgoE4EjNS0_10empty_typeEbEEZZNS1_14partition_implILS8_4ELb0ES6_15HIP_vector_typeIjLj2EENS0_17counting_iteratorIjlEEPS9_SG_NS0_5tupleIJPjSI_NS0_16reverse_iteratorISI_EEEEENSH_IJSG_SG_SG_EEES9_SI_JZNS1_25segmented_radix_sort_implINS0_14default_configELb0EPKaPaPKlPlN2at6native12_GLOBAL__N_18offset_tEEE10hipError_tPvRmT1_PNSt15iterator_traitsIS12_E10value_typeET2_T3_PNS13_IS18_E10value_typeET4_jRbjT5_S1E_jjP12ihipStream_tbEUljE_ZNSN_ISO_Lb0ESQ_SR_ST_SU_SY_EESZ_S10_S11_S12_S16_S17_S18_S1B_S1C_jS1D_jS1E_S1E_jjS1G_bEUljE0_EEESZ_S10_S11_S18_S1C_S1E_T6_T7_T9_mT8_S1G_bDpT10_ENKUlT_T0_E_clISt17integral_constantIbLb0EES1T_IbLb1EEEEDaS1P_S1Q_EUlS1P_E_NS1_11comp_targetILNS1_3genE10ELNS1_11target_archE1200ELNS1_3gpuE4ELNS1_3repE0EEENS1_30default_config_static_selectorELNS0_4arch9wavefront6targetE1EEEvS12_.kd
    .uniform_work_group_size: 1
    .uses_dynamic_stack: false
    .vgpr_count:     0
    .vgpr_spill_count: 0
    .wavefront_size: 64
  - .agpr_count:     0
    .args:
      - .offset:         0
        .size:           184
        .value_kind:     by_value
    .group_segment_fixed_size: 0
    .kernarg_segment_align: 8
    .kernarg_segment_size: 184
    .language:       OpenCL C
    .language_version:
      - 2
      - 0
    .max_flat_workgroup_size: 256
    .name:           _ZN7rocprim17ROCPRIM_400000_NS6detail17trampoline_kernelINS0_13select_configILj256ELj13ELNS0_17block_load_methodE3ELS4_3ELS4_3ELNS0_20block_scan_algorithmE0ELj4294967295EEENS1_25partition_config_selectorILNS1_17partition_subalgoE4EjNS0_10empty_typeEbEEZZNS1_14partition_implILS8_4ELb0ES6_15HIP_vector_typeIjLj2EENS0_17counting_iteratorIjlEEPS9_SG_NS0_5tupleIJPjSI_NS0_16reverse_iteratorISI_EEEEENSH_IJSG_SG_SG_EEES9_SI_JZNS1_25segmented_radix_sort_implINS0_14default_configELb0EPKaPaPKlPlN2at6native12_GLOBAL__N_18offset_tEEE10hipError_tPvRmT1_PNSt15iterator_traitsIS12_E10value_typeET2_T3_PNS13_IS18_E10value_typeET4_jRbjT5_S1E_jjP12ihipStream_tbEUljE_ZNSN_ISO_Lb0ESQ_SR_ST_SU_SY_EESZ_S10_S11_S12_S16_S17_S18_S1B_S1C_jS1D_jS1E_S1E_jjS1G_bEUljE0_EEESZ_S10_S11_S18_S1C_S1E_T6_T7_T9_mT8_S1G_bDpT10_ENKUlT_T0_E_clISt17integral_constantIbLb0EES1T_IbLb1EEEEDaS1P_S1Q_EUlS1P_E_NS1_11comp_targetILNS1_3genE9ELNS1_11target_archE1100ELNS1_3gpuE3ELNS1_3repE0EEENS1_30default_config_static_selectorELNS0_4arch9wavefront6targetE1EEEvS12_
    .private_segment_fixed_size: 0
    .sgpr_count:     4
    .sgpr_spill_count: 0
    .symbol:         _ZN7rocprim17ROCPRIM_400000_NS6detail17trampoline_kernelINS0_13select_configILj256ELj13ELNS0_17block_load_methodE3ELS4_3ELS4_3ELNS0_20block_scan_algorithmE0ELj4294967295EEENS1_25partition_config_selectorILNS1_17partition_subalgoE4EjNS0_10empty_typeEbEEZZNS1_14partition_implILS8_4ELb0ES6_15HIP_vector_typeIjLj2EENS0_17counting_iteratorIjlEEPS9_SG_NS0_5tupleIJPjSI_NS0_16reverse_iteratorISI_EEEEENSH_IJSG_SG_SG_EEES9_SI_JZNS1_25segmented_radix_sort_implINS0_14default_configELb0EPKaPaPKlPlN2at6native12_GLOBAL__N_18offset_tEEE10hipError_tPvRmT1_PNSt15iterator_traitsIS12_E10value_typeET2_T3_PNS13_IS18_E10value_typeET4_jRbjT5_S1E_jjP12ihipStream_tbEUljE_ZNSN_ISO_Lb0ESQ_SR_ST_SU_SY_EESZ_S10_S11_S12_S16_S17_S18_S1B_S1C_jS1D_jS1E_S1E_jjS1G_bEUljE0_EEESZ_S10_S11_S18_S1C_S1E_T6_T7_T9_mT8_S1G_bDpT10_ENKUlT_T0_E_clISt17integral_constantIbLb0EES1T_IbLb1EEEEDaS1P_S1Q_EUlS1P_E_NS1_11comp_targetILNS1_3genE9ELNS1_11target_archE1100ELNS1_3gpuE3ELNS1_3repE0EEENS1_30default_config_static_selectorELNS0_4arch9wavefront6targetE1EEEvS12_.kd
    .uniform_work_group_size: 1
    .uses_dynamic_stack: false
    .vgpr_count:     0
    .vgpr_spill_count: 0
    .wavefront_size: 64
  - .agpr_count:     0
    .args:
      - .offset:         0
        .size:           184
        .value_kind:     by_value
    .group_segment_fixed_size: 0
    .kernarg_segment_align: 8
    .kernarg_segment_size: 184
    .language:       OpenCL C
    .language_version:
      - 2
      - 0
    .max_flat_workgroup_size: 256
    .name:           _ZN7rocprim17ROCPRIM_400000_NS6detail17trampoline_kernelINS0_13select_configILj256ELj13ELNS0_17block_load_methodE3ELS4_3ELS4_3ELNS0_20block_scan_algorithmE0ELj4294967295EEENS1_25partition_config_selectorILNS1_17partition_subalgoE4EjNS0_10empty_typeEbEEZZNS1_14partition_implILS8_4ELb0ES6_15HIP_vector_typeIjLj2EENS0_17counting_iteratorIjlEEPS9_SG_NS0_5tupleIJPjSI_NS0_16reverse_iteratorISI_EEEEENSH_IJSG_SG_SG_EEES9_SI_JZNS1_25segmented_radix_sort_implINS0_14default_configELb0EPKaPaPKlPlN2at6native12_GLOBAL__N_18offset_tEEE10hipError_tPvRmT1_PNSt15iterator_traitsIS12_E10value_typeET2_T3_PNS13_IS18_E10value_typeET4_jRbjT5_S1E_jjP12ihipStream_tbEUljE_ZNSN_ISO_Lb0ESQ_SR_ST_SU_SY_EESZ_S10_S11_S12_S16_S17_S18_S1B_S1C_jS1D_jS1E_S1E_jjS1G_bEUljE0_EEESZ_S10_S11_S18_S1C_S1E_T6_T7_T9_mT8_S1G_bDpT10_ENKUlT_T0_E_clISt17integral_constantIbLb0EES1T_IbLb1EEEEDaS1P_S1Q_EUlS1P_E_NS1_11comp_targetILNS1_3genE8ELNS1_11target_archE1030ELNS1_3gpuE2ELNS1_3repE0EEENS1_30default_config_static_selectorELNS0_4arch9wavefront6targetE1EEEvS12_
    .private_segment_fixed_size: 0
    .sgpr_count:     4
    .sgpr_spill_count: 0
    .symbol:         _ZN7rocprim17ROCPRIM_400000_NS6detail17trampoline_kernelINS0_13select_configILj256ELj13ELNS0_17block_load_methodE3ELS4_3ELS4_3ELNS0_20block_scan_algorithmE0ELj4294967295EEENS1_25partition_config_selectorILNS1_17partition_subalgoE4EjNS0_10empty_typeEbEEZZNS1_14partition_implILS8_4ELb0ES6_15HIP_vector_typeIjLj2EENS0_17counting_iteratorIjlEEPS9_SG_NS0_5tupleIJPjSI_NS0_16reverse_iteratorISI_EEEEENSH_IJSG_SG_SG_EEES9_SI_JZNS1_25segmented_radix_sort_implINS0_14default_configELb0EPKaPaPKlPlN2at6native12_GLOBAL__N_18offset_tEEE10hipError_tPvRmT1_PNSt15iterator_traitsIS12_E10value_typeET2_T3_PNS13_IS18_E10value_typeET4_jRbjT5_S1E_jjP12ihipStream_tbEUljE_ZNSN_ISO_Lb0ESQ_SR_ST_SU_SY_EESZ_S10_S11_S12_S16_S17_S18_S1B_S1C_jS1D_jS1E_S1E_jjS1G_bEUljE0_EEESZ_S10_S11_S18_S1C_S1E_T6_T7_T9_mT8_S1G_bDpT10_ENKUlT_T0_E_clISt17integral_constantIbLb0EES1T_IbLb1EEEEDaS1P_S1Q_EUlS1P_E_NS1_11comp_targetILNS1_3genE8ELNS1_11target_archE1030ELNS1_3gpuE2ELNS1_3repE0EEENS1_30default_config_static_selectorELNS0_4arch9wavefront6targetE1EEEvS12_.kd
    .uniform_work_group_size: 1
    .uses_dynamic_stack: false
    .vgpr_count:     0
    .vgpr_spill_count: 0
    .wavefront_size: 64
  - .agpr_count:     0
    .args:
      - .offset:         0
        .size:           144
        .value_kind:     by_value
    .group_segment_fixed_size: 0
    .kernarg_segment_align: 8
    .kernarg_segment_size: 144
    .language:       OpenCL C
    .language_version:
      - 2
      - 0
    .max_flat_workgroup_size: 256
    .name:           _ZN7rocprim17ROCPRIM_400000_NS6detail17trampoline_kernelINS0_13select_configILj256ELj13ELNS0_17block_load_methodE3ELS4_3ELS4_3ELNS0_20block_scan_algorithmE0ELj4294967295EEENS1_25partition_config_selectorILNS1_17partition_subalgoE3EjNS0_10empty_typeEbEEZZNS1_14partition_implILS8_3ELb0ES6_jNS0_17counting_iteratorIjlEEPS9_SE_NS0_5tupleIJPjSE_EEENSF_IJSE_SE_EEES9_SG_JZNS1_25segmented_radix_sort_implINS0_14default_configELb0EPKaPaPKlPlN2at6native12_GLOBAL__N_18offset_tEEE10hipError_tPvRmT1_PNSt15iterator_traitsISY_E10value_typeET2_T3_PNSZ_IS14_E10value_typeET4_jRbjT5_S1A_jjP12ihipStream_tbEUljE_EEESV_SW_SX_S14_S18_S1A_T6_T7_T9_mT8_S1C_bDpT10_ENKUlT_T0_E_clISt17integral_constantIbLb0EES1P_EEDaS1K_S1L_EUlS1K_E_NS1_11comp_targetILNS1_3genE0ELNS1_11target_archE4294967295ELNS1_3gpuE0ELNS1_3repE0EEENS1_30default_config_static_selectorELNS0_4arch9wavefront6targetE1EEEvSY_
    .private_segment_fixed_size: 0
    .sgpr_count:     4
    .sgpr_spill_count: 0
    .symbol:         _ZN7rocprim17ROCPRIM_400000_NS6detail17trampoline_kernelINS0_13select_configILj256ELj13ELNS0_17block_load_methodE3ELS4_3ELS4_3ELNS0_20block_scan_algorithmE0ELj4294967295EEENS1_25partition_config_selectorILNS1_17partition_subalgoE3EjNS0_10empty_typeEbEEZZNS1_14partition_implILS8_3ELb0ES6_jNS0_17counting_iteratorIjlEEPS9_SE_NS0_5tupleIJPjSE_EEENSF_IJSE_SE_EEES9_SG_JZNS1_25segmented_radix_sort_implINS0_14default_configELb0EPKaPaPKlPlN2at6native12_GLOBAL__N_18offset_tEEE10hipError_tPvRmT1_PNSt15iterator_traitsISY_E10value_typeET2_T3_PNSZ_IS14_E10value_typeET4_jRbjT5_S1A_jjP12ihipStream_tbEUljE_EEESV_SW_SX_S14_S18_S1A_T6_T7_T9_mT8_S1C_bDpT10_ENKUlT_T0_E_clISt17integral_constantIbLb0EES1P_EEDaS1K_S1L_EUlS1K_E_NS1_11comp_targetILNS1_3genE0ELNS1_11target_archE4294967295ELNS1_3gpuE0ELNS1_3repE0EEENS1_30default_config_static_selectorELNS0_4arch9wavefront6targetE1EEEvSY_.kd
    .uniform_work_group_size: 1
    .uses_dynamic_stack: false
    .vgpr_count:     0
    .vgpr_spill_count: 0
    .wavefront_size: 64
  - .agpr_count:     0
    .args:
      - .offset:         0
        .size:           144
        .value_kind:     by_value
    .group_segment_fixed_size: 0
    .kernarg_segment_align: 8
    .kernarg_segment_size: 144
    .language:       OpenCL C
    .language_version:
      - 2
      - 0
    .max_flat_workgroup_size: 256
    .name:           _ZN7rocprim17ROCPRIM_400000_NS6detail17trampoline_kernelINS0_13select_configILj256ELj13ELNS0_17block_load_methodE3ELS4_3ELS4_3ELNS0_20block_scan_algorithmE0ELj4294967295EEENS1_25partition_config_selectorILNS1_17partition_subalgoE3EjNS0_10empty_typeEbEEZZNS1_14partition_implILS8_3ELb0ES6_jNS0_17counting_iteratorIjlEEPS9_SE_NS0_5tupleIJPjSE_EEENSF_IJSE_SE_EEES9_SG_JZNS1_25segmented_radix_sort_implINS0_14default_configELb0EPKaPaPKlPlN2at6native12_GLOBAL__N_18offset_tEEE10hipError_tPvRmT1_PNSt15iterator_traitsISY_E10value_typeET2_T3_PNSZ_IS14_E10value_typeET4_jRbjT5_S1A_jjP12ihipStream_tbEUljE_EEESV_SW_SX_S14_S18_S1A_T6_T7_T9_mT8_S1C_bDpT10_ENKUlT_T0_E_clISt17integral_constantIbLb0EES1P_EEDaS1K_S1L_EUlS1K_E_NS1_11comp_targetILNS1_3genE5ELNS1_11target_archE942ELNS1_3gpuE9ELNS1_3repE0EEENS1_30default_config_static_selectorELNS0_4arch9wavefront6targetE1EEEvSY_
    .private_segment_fixed_size: 0
    .sgpr_count:     4
    .sgpr_spill_count: 0
    .symbol:         _ZN7rocprim17ROCPRIM_400000_NS6detail17trampoline_kernelINS0_13select_configILj256ELj13ELNS0_17block_load_methodE3ELS4_3ELS4_3ELNS0_20block_scan_algorithmE0ELj4294967295EEENS1_25partition_config_selectorILNS1_17partition_subalgoE3EjNS0_10empty_typeEbEEZZNS1_14partition_implILS8_3ELb0ES6_jNS0_17counting_iteratorIjlEEPS9_SE_NS0_5tupleIJPjSE_EEENSF_IJSE_SE_EEES9_SG_JZNS1_25segmented_radix_sort_implINS0_14default_configELb0EPKaPaPKlPlN2at6native12_GLOBAL__N_18offset_tEEE10hipError_tPvRmT1_PNSt15iterator_traitsISY_E10value_typeET2_T3_PNSZ_IS14_E10value_typeET4_jRbjT5_S1A_jjP12ihipStream_tbEUljE_EEESV_SW_SX_S14_S18_S1A_T6_T7_T9_mT8_S1C_bDpT10_ENKUlT_T0_E_clISt17integral_constantIbLb0EES1P_EEDaS1K_S1L_EUlS1K_E_NS1_11comp_targetILNS1_3genE5ELNS1_11target_archE942ELNS1_3gpuE9ELNS1_3repE0EEENS1_30default_config_static_selectorELNS0_4arch9wavefront6targetE1EEEvSY_.kd
    .uniform_work_group_size: 1
    .uses_dynamic_stack: false
    .vgpr_count:     0
    .vgpr_spill_count: 0
    .wavefront_size: 64
  - .agpr_count:     0
    .args:
      - .offset:         0
        .size:           144
        .value_kind:     by_value
    .group_segment_fixed_size: 13324
    .kernarg_segment_align: 8
    .kernarg_segment_size: 144
    .language:       OpenCL C
    .language_version:
      - 2
      - 0
    .max_flat_workgroup_size: 256
    .name:           _ZN7rocprim17ROCPRIM_400000_NS6detail17trampoline_kernelINS0_13select_configILj256ELj13ELNS0_17block_load_methodE3ELS4_3ELS4_3ELNS0_20block_scan_algorithmE0ELj4294967295EEENS1_25partition_config_selectorILNS1_17partition_subalgoE3EjNS0_10empty_typeEbEEZZNS1_14partition_implILS8_3ELb0ES6_jNS0_17counting_iteratorIjlEEPS9_SE_NS0_5tupleIJPjSE_EEENSF_IJSE_SE_EEES9_SG_JZNS1_25segmented_radix_sort_implINS0_14default_configELb0EPKaPaPKlPlN2at6native12_GLOBAL__N_18offset_tEEE10hipError_tPvRmT1_PNSt15iterator_traitsISY_E10value_typeET2_T3_PNSZ_IS14_E10value_typeET4_jRbjT5_S1A_jjP12ihipStream_tbEUljE_EEESV_SW_SX_S14_S18_S1A_T6_T7_T9_mT8_S1C_bDpT10_ENKUlT_T0_E_clISt17integral_constantIbLb0EES1P_EEDaS1K_S1L_EUlS1K_E_NS1_11comp_targetILNS1_3genE4ELNS1_11target_archE910ELNS1_3gpuE8ELNS1_3repE0EEENS1_30default_config_static_selectorELNS0_4arch9wavefront6targetE1EEEvSY_
    .private_segment_fixed_size: 0
    .sgpr_count:     50
    .sgpr_spill_count: 0
    .symbol:         _ZN7rocprim17ROCPRIM_400000_NS6detail17trampoline_kernelINS0_13select_configILj256ELj13ELNS0_17block_load_methodE3ELS4_3ELS4_3ELNS0_20block_scan_algorithmE0ELj4294967295EEENS1_25partition_config_selectorILNS1_17partition_subalgoE3EjNS0_10empty_typeEbEEZZNS1_14partition_implILS8_3ELb0ES6_jNS0_17counting_iteratorIjlEEPS9_SE_NS0_5tupleIJPjSE_EEENSF_IJSE_SE_EEES9_SG_JZNS1_25segmented_radix_sort_implINS0_14default_configELb0EPKaPaPKlPlN2at6native12_GLOBAL__N_18offset_tEEE10hipError_tPvRmT1_PNSt15iterator_traitsISY_E10value_typeET2_T3_PNSZ_IS14_E10value_typeET4_jRbjT5_S1A_jjP12ihipStream_tbEUljE_EEESV_SW_SX_S14_S18_S1A_T6_T7_T9_mT8_S1C_bDpT10_ENKUlT_T0_E_clISt17integral_constantIbLb0EES1P_EEDaS1K_S1L_EUlS1K_E_NS1_11comp_targetILNS1_3genE4ELNS1_11target_archE910ELNS1_3gpuE8ELNS1_3repE0EEENS1_30default_config_static_selectorELNS0_4arch9wavefront6targetE1EEEvSY_.kd
    .uniform_work_group_size: 1
    .uses_dynamic_stack: false
    .vgpr_count:     61
    .vgpr_spill_count: 0
    .wavefront_size: 64
  - .agpr_count:     0
    .args:
      - .offset:         0
        .size:           144
        .value_kind:     by_value
    .group_segment_fixed_size: 0
    .kernarg_segment_align: 8
    .kernarg_segment_size: 144
    .language:       OpenCL C
    .language_version:
      - 2
      - 0
    .max_flat_workgroup_size: 256
    .name:           _ZN7rocprim17ROCPRIM_400000_NS6detail17trampoline_kernelINS0_13select_configILj256ELj13ELNS0_17block_load_methodE3ELS4_3ELS4_3ELNS0_20block_scan_algorithmE0ELj4294967295EEENS1_25partition_config_selectorILNS1_17partition_subalgoE3EjNS0_10empty_typeEbEEZZNS1_14partition_implILS8_3ELb0ES6_jNS0_17counting_iteratorIjlEEPS9_SE_NS0_5tupleIJPjSE_EEENSF_IJSE_SE_EEES9_SG_JZNS1_25segmented_radix_sort_implINS0_14default_configELb0EPKaPaPKlPlN2at6native12_GLOBAL__N_18offset_tEEE10hipError_tPvRmT1_PNSt15iterator_traitsISY_E10value_typeET2_T3_PNSZ_IS14_E10value_typeET4_jRbjT5_S1A_jjP12ihipStream_tbEUljE_EEESV_SW_SX_S14_S18_S1A_T6_T7_T9_mT8_S1C_bDpT10_ENKUlT_T0_E_clISt17integral_constantIbLb0EES1P_EEDaS1K_S1L_EUlS1K_E_NS1_11comp_targetILNS1_3genE3ELNS1_11target_archE908ELNS1_3gpuE7ELNS1_3repE0EEENS1_30default_config_static_selectorELNS0_4arch9wavefront6targetE1EEEvSY_
    .private_segment_fixed_size: 0
    .sgpr_count:     4
    .sgpr_spill_count: 0
    .symbol:         _ZN7rocprim17ROCPRIM_400000_NS6detail17trampoline_kernelINS0_13select_configILj256ELj13ELNS0_17block_load_methodE3ELS4_3ELS4_3ELNS0_20block_scan_algorithmE0ELj4294967295EEENS1_25partition_config_selectorILNS1_17partition_subalgoE3EjNS0_10empty_typeEbEEZZNS1_14partition_implILS8_3ELb0ES6_jNS0_17counting_iteratorIjlEEPS9_SE_NS0_5tupleIJPjSE_EEENSF_IJSE_SE_EEES9_SG_JZNS1_25segmented_radix_sort_implINS0_14default_configELb0EPKaPaPKlPlN2at6native12_GLOBAL__N_18offset_tEEE10hipError_tPvRmT1_PNSt15iterator_traitsISY_E10value_typeET2_T3_PNSZ_IS14_E10value_typeET4_jRbjT5_S1A_jjP12ihipStream_tbEUljE_EEESV_SW_SX_S14_S18_S1A_T6_T7_T9_mT8_S1C_bDpT10_ENKUlT_T0_E_clISt17integral_constantIbLb0EES1P_EEDaS1K_S1L_EUlS1K_E_NS1_11comp_targetILNS1_3genE3ELNS1_11target_archE908ELNS1_3gpuE7ELNS1_3repE0EEENS1_30default_config_static_selectorELNS0_4arch9wavefront6targetE1EEEvSY_.kd
    .uniform_work_group_size: 1
    .uses_dynamic_stack: false
    .vgpr_count:     0
    .vgpr_spill_count: 0
    .wavefront_size: 64
  - .agpr_count:     0
    .args:
      - .offset:         0
        .size:           144
        .value_kind:     by_value
    .group_segment_fixed_size: 0
    .kernarg_segment_align: 8
    .kernarg_segment_size: 144
    .language:       OpenCL C
    .language_version:
      - 2
      - 0
    .max_flat_workgroup_size: 256
    .name:           _ZN7rocprim17ROCPRIM_400000_NS6detail17trampoline_kernelINS0_13select_configILj256ELj13ELNS0_17block_load_methodE3ELS4_3ELS4_3ELNS0_20block_scan_algorithmE0ELj4294967295EEENS1_25partition_config_selectorILNS1_17partition_subalgoE3EjNS0_10empty_typeEbEEZZNS1_14partition_implILS8_3ELb0ES6_jNS0_17counting_iteratorIjlEEPS9_SE_NS0_5tupleIJPjSE_EEENSF_IJSE_SE_EEES9_SG_JZNS1_25segmented_radix_sort_implINS0_14default_configELb0EPKaPaPKlPlN2at6native12_GLOBAL__N_18offset_tEEE10hipError_tPvRmT1_PNSt15iterator_traitsISY_E10value_typeET2_T3_PNSZ_IS14_E10value_typeET4_jRbjT5_S1A_jjP12ihipStream_tbEUljE_EEESV_SW_SX_S14_S18_S1A_T6_T7_T9_mT8_S1C_bDpT10_ENKUlT_T0_E_clISt17integral_constantIbLb0EES1P_EEDaS1K_S1L_EUlS1K_E_NS1_11comp_targetILNS1_3genE2ELNS1_11target_archE906ELNS1_3gpuE6ELNS1_3repE0EEENS1_30default_config_static_selectorELNS0_4arch9wavefront6targetE1EEEvSY_
    .private_segment_fixed_size: 0
    .sgpr_count:     4
    .sgpr_spill_count: 0
    .symbol:         _ZN7rocprim17ROCPRIM_400000_NS6detail17trampoline_kernelINS0_13select_configILj256ELj13ELNS0_17block_load_methodE3ELS4_3ELS4_3ELNS0_20block_scan_algorithmE0ELj4294967295EEENS1_25partition_config_selectorILNS1_17partition_subalgoE3EjNS0_10empty_typeEbEEZZNS1_14partition_implILS8_3ELb0ES6_jNS0_17counting_iteratorIjlEEPS9_SE_NS0_5tupleIJPjSE_EEENSF_IJSE_SE_EEES9_SG_JZNS1_25segmented_radix_sort_implINS0_14default_configELb0EPKaPaPKlPlN2at6native12_GLOBAL__N_18offset_tEEE10hipError_tPvRmT1_PNSt15iterator_traitsISY_E10value_typeET2_T3_PNSZ_IS14_E10value_typeET4_jRbjT5_S1A_jjP12ihipStream_tbEUljE_EEESV_SW_SX_S14_S18_S1A_T6_T7_T9_mT8_S1C_bDpT10_ENKUlT_T0_E_clISt17integral_constantIbLb0EES1P_EEDaS1K_S1L_EUlS1K_E_NS1_11comp_targetILNS1_3genE2ELNS1_11target_archE906ELNS1_3gpuE6ELNS1_3repE0EEENS1_30default_config_static_selectorELNS0_4arch9wavefront6targetE1EEEvSY_.kd
    .uniform_work_group_size: 1
    .uses_dynamic_stack: false
    .vgpr_count:     0
    .vgpr_spill_count: 0
    .wavefront_size: 64
  - .agpr_count:     0
    .args:
      - .offset:         0
        .size:           144
        .value_kind:     by_value
    .group_segment_fixed_size: 0
    .kernarg_segment_align: 8
    .kernarg_segment_size: 144
    .language:       OpenCL C
    .language_version:
      - 2
      - 0
    .max_flat_workgroup_size: 256
    .name:           _ZN7rocprim17ROCPRIM_400000_NS6detail17trampoline_kernelINS0_13select_configILj256ELj13ELNS0_17block_load_methodE3ELS4_3ELS4_3ELNS0_20block_scan_algorithmE0ELj4294967295EEENS1_25partition_config_selectorILNS1_17partition_subalgoE3EjNS0_10empty_typeEbEEZZNS1_14partition_implILS8_3ELb0ES6_jNS0_17counting_iteratorIjlEEPS9_SE_NS0_5tupleIJPjSE_EEENSF_IJSE_SE_EEES9_SG_JZNS1_25segmented_radix_sort_implINS0_14default_configELb0EPKaPaPKlPlN2at6native12_GLOBAL__N_18offset_tEEE10hipError_tPvRmT1_PNSt15iterator_traitsISY_E10value_typeET2_T3_PNSZ_IS14_E10value_typeET4_jRbjT5_S1A_jjP12ihipStream_tbEUljE_EEESV_SW_SX_S14_S18_S1A_T6_T7_T9_mT8_S1C_bDpT10_ENKUlT_T0_E_clISt17integral_constantIbLb0EES1P_EEDaS1K_S1L_EUlS1K_E_NS1_11comp_targetILNS1_3genE10ELNS1_11target_archE1200ELNS1_3gpuE4ELNS1_3repE0EEENS1_30default_config_static_selectorELNS0_4arch9wavefront6targetE1EEEvSY_
    .private_segment_fixed_size: 0
    .sgpr_count:     4
    .sgpr_spill_count: 0
    .symbol:         _ZN7rocprim17ROCPRIM_400000_NS6detail17trampoline_kernelINS0_13select_configILj256ELj13ELNS0_17block_load_methodE3ELS4_3ELS4_3ELNS0_20block_scan_algorithmE0ELj4294967295EEENS1_25partition_config_selectorILNS1_17partition_subalgoE3EjNS0_10empty_typeEbEEZZNS1_14partition_implILS8_3ELb0ES6_jNS0_17counting_iteratorIjlEEPS9_SE_NS0_5tupleIJPjSE_EEENSF_IJSE_SE_EEES9_SG_JZNS1_25segmented_radix_sort_implINS0_14default_configELb0EPKaPaPKlPlN2at6native12_GLOBAL__N_18offset_tEEE10hipError_tPvRmT1_PNSt15iterator_traitsISY_E10value_typeET2_T3_PNSZ_IS14_E10value_typeET4_jRbjT5_S1A_jjP12ihipStream_tbEUljE_EEESV_SW_SX_S14_S18_S1A_T6_T7_T9_mT8_S1C_bDpT10_ENKUlT_T0_E_clISt17integral_constantIbLb0EES1P_EEDaS1K_S1L_EUlS1K_E_NS1_11comp_targetILNS1_3genE10ELNS1_11target_archE1200ELNS1_3gpuE4ELNS1_3repE0EEENS1_30default_config_static_selectorELNS0_4arch9wavefront6targetE1EEEvSY_.kd
    .uniform_work_group_size: 1
    .uses_dynamic_stack: false
    .vgpr_count:     0
    .vgpr_spill_count: 0
    .wavefront_size: 64
  - .agpr_count:     0
    .args:
      - .offset:         0
        .size:           144
        .value_kind:     by_value
    .group_segment_fixed_size: 0
    .kernarg_segment_align: 8
    .kernarg_segment_size: 144
    .language:       OpenCL C
    .language_version:
      - 2
      - 0
    .max_flat_workgroup_size: 256
    .name:           _ZN7rocprim17ROCPRIM_400000_NS6detail17trampoline_kernelINS0_13select_configILj256ELj13ELNS0_17block_load_methodE3ELS4_3ELS4_3ELNS0_20block_scan_algorithmE0ELj4294967295EEENS1_25partition_config_selectorILNS1_17partition_subalgoE3EjNS0_10empty_typeEbEEZZNS1_14partition_implILS8_3ELb0ES6_jNS0_17counting_iteratorIjlEEPS9_SE_NS0_5tupleIJPjSE_EEENSF_IJSE_SE_EEES9_SG_JZNS1_25segmented_radix_sort_implINS0_14default_configELb0EPKaPaPKlPlN2at6native12_GLOBAL__N_18offset_tEEE10hipError_tPvRmT1_PNSt15iterator_traitsISY_E10value_typeET2_T3_PNSZ_IS14_E10value_typeET4_jRbjT5_S1A_jjP12ihipStream_tbEUljE_EEESV_SW_SX_S14_S18_S1A_T6_T7_T9_mT8_S1C_bDpT10_ENKUlT_T0_E_clISt17integral_constantIbLb0EES1P_EEDaS1K_S1L_EUlS1K_E_NS1_11comp_targetILNS1_3genE9ELNS1_11target_archE1100ELNS1_3gpuE3ELNS1_3repE0EEENS1_30default_config_static_selectorELNS0_4arch9wavefront6targetE1EEEvSY_
    .private_segment_fixed_size: 0
    .sgpr_count:     4
    .sgpr_spill_count: 0
    .symbol:         _ZN7rocprim17ROCPRIM_400000_NS6detail17trampoline_kernelINS0_13select_configILj256ELj13ELNS0_17block_load_methodE3ELS4_3ELS4_3ELNS0_20block_scan_algorithmE0ELj4294967295EEENS1_25partition_config_selectorILNS1_17partition_subalgoE3EjNS0_10empty_typeEbEEZZNS1_14partition_implILS8_3ELb0ES6_jNS0_17counting_iteratorIjlEEPS9_SE_NS0_5tupleIJPjSE_EEENSF_IJSE_SE_EEES9_SG_JZNS1_25segmented_radix_sort_implINS0_14default_configELb0EPKaPaPKlPlN2at6native12_GLOBAL__N_18offset_tEEE10hipError_tPvRmT1_PNSt15iterator_traitsISY_E10value_typeET2_T3_PNSZ_IS14_E10value_typeET4_jRbjT5_S1A_jjP12ihipStream_tbEUljE_EEESV_SW_SX_S14_S18_S1A_T6_T7_T9_mT8_S1C_bDpT10_ENKUlT_T0_E_clISt17integral_constantIbLb0EES1P_EEDaS1K_S1L_EUlS1K_E_NS1_11comp_targetILNS1_3genE9ELNS1_11target_archE1100ELNS1_3gpuE3ELNS1_3repE0EEENS1_30default_config_static_selectorELNS0_4arch9wavefront6targetE1EEEvSY_.kd
    .uniform_work_group_size: 1
    .uses_dynamic_stack: false
    .vgpr_count:     0
    .vgpr_spill_count: 0
    .wavefront_size: 64
  - .agpr_count:     0
    .args:
      - .offset:         0
        .size:           144
        .value_kind:     by_value
    .group_segment_fixed_size: 0
    .kernarg_segment_align: 8
    .kernarg_segment_size: 144
    .language:       OpenCL C
    .language_version:
      - 2
      - 0
    .max_flat_workgroup_size: 256
    .name:           _ZN7rocprim17ROCPRIM_400000_NS6detail17trampoline_kernelINS0_13select_configILj256ELj13ELNS0_17block_load_methodE3ELS4_3ELS4_3ELNS0_20block_scan_algorithmE0ELj4294967295EEENS1_25partition_config_selectorILNS1_17partition_subalgoE3EjNS0_10empty_typeEbEEZZNS1_14partition_implILS8_3ELb0ES6_jNS0_17counting_iteratorIjlEEPS9_SE_NS0_5tupleIJPjSE_EEENSF_IJSE_SE_EEES9_SG_JZNS1_25segmented_radix_sort_implINS0_14default_configELb0EPKaPaPKlPlN2at6native12_GLOBAL__N_18offset_tEEE10hipError_tPvRmT1_PNSt15iterator_traitsISY_E10value_typeET2_T3_PNSZ_IS14_E10value_typeET4_jRbjT5_S1A_jjP12ihipStream_tbEUljE_EEESV_SW_SX_S14_S18_S1A_T6_T7_T9_mT8_S1C_bDpT10_ENKUlT_T0_E_clISt17integral_constantIbLb0EES1P_EEDaS1K_S1L_EUlS1K_E_NS1_11comp_targetILNS1_3genE8ELNS1_11target_archE1030ELNS1_3gpuE2ELNS1_3repE0EEENS1_30default_config_static_selectorELNS0_4arch9wavefront6targetE1EEEvSY_
    .private_segment_fixed_size: 0
    .sgpr_count:     4
    .sgpr_spill_count: 0
    .symbol:         _ZN7rocprim17ROCPRIM_400000_NS6detail17trampoline_kernelINS0_13select_configILj256ELj13ELNS0_17block_load_methodE3ELS4_3ELS4_3ELNS0_20block_scan_algorithmE0ELj4294967295EEENS1_25partition_config_selectorILNS1_17partition_subalgoE3EjNS0_10empty_typeEbEEZZNS1_14partition_implILS8_3ELb0ES6_jNS0_17counting_iteratorIjlEEPS9_SE_NS0_5tupleIJPjSE_EEENSF_IJSE_SE_EEES9_SG_JZNS1_25segmented_radix_sort_implINS0_14default_configELb0EPKaPaPKlPlN2at6native12_GLOBAL__N_18offset_tEEE10hipError_tPvRmT1_PNSt15iterator_traitsISY_E10value_typeET2_T3_PNSZ_IS14_E10value_typeET4_jRbjT5_S1A_jjP12ihipStream_tbEUljE_EEESV_SW_SX_S14_S18_S1A_T6_T7_T9_mT8_S1C_bDpT10_ENKUlT_T0_E_clISt17integral_constantIbLb0EES1P_EEDaS1K_S1L_EUlS1K_E_NS1_11comp_targetILNS1_3genE8ELNS1_11target_archE1030ELNS1_3gpuE2ELNS1_3repE0EEENS1_30default_config_static_selectorELNS0_4arch9wavefront6targetE1EEEvSY_.kd
    .uniform_work_group_size: 1
    .uses_dynamic_stack: false
    .vgpr_count:     0
    .vgpr_spill_count: 0
    .wavefront_size: 64
  - .agpr_count:     0
    .args:
      - .offset:         0
        .size:           152
        .value_kind:     by_value
    .group_segment_fixed_size: 0
    .kernarg_segment_align: 8
    .kernarg_segment_size: 152
    .language:       OpenCL C
    .language_version:
      - 2
      - 0
    .max_flat_workgroup_size: 256
    .name:           _ZN7rocprim17ROCPRIM_400000_NS6detail17trampoline_kernelINS0_13select_configILj256ELj13ELNS0_17block_load_methodE3ELS4_3ELS4_3ELNS0_20block_scan_algorithmE0ELj4294967295EEENS1_25partition_config_selectorILNS1_17partition_subalgoE3EjNS0_10empty_typeEbEEZZNS1_14partition_implILS8_3ELb0ES6_jNS0_17counting_iteratorIjlEEPS9_SE_NS0_5tupleIJPjSE_EEENSF_IJSE_SE_EEES9_SG_JZNS1_25segmented_radix_sort_implINS0_14default_configELb0EPKaPaPKlPlN2at6native12_GLOBAL__N_18offset_tEEE10hipError_tPvRmT1_PNSt15iterator_traitsISY_E10value_typeET2_T3_PNSZ_IS14_E10value_typeET4_jRbjT5_S1A_jjP12ihipStream_tbEUljE_EEESV_SW_SX_S14_S18_S1A_T6_T7_T9_mT8_S1C_bDpT10_ENKUlT_T0_E_clISt17integral_constantIbLb1EES1P_EEDaS1K_S1L_EUlS1K_E_NS1_11comp_targetILNS1_3genE0ELNS1_11target_archE4294967295ELNS1_3gpuE0ELNS1_3repE0EEENS1_30default_config_static_selectorELNS0_4arch9wavefront6targetE1EEEvSY_
    .private_segment_fixed_size: 0
    .sgpr_count:     4
    .sgpr_spill_count: 0
    .symbol:         _ZN7rocprim17ROCPRIM_400000_NS6detail17trampoline_kernelINS0_13select_configILj256ELj13ELNS0_17block_load_methodE3ELS4_3ELS4_3ELNS0_20block_scan_algorithmE0ELj4294967295EEENS1_25partition_config_selectorILNS1_17partition_subalgoE3EjNS0_10empty_typeEbEEZZNS1_14partition_implILS8_3ELb0ES6_jNS0_17counting_iteratorIjlEEPS9_SE_NS0_5tupleIJPjSE_EEENSF_IJSE_SE_EEES9_SG_JZNS1_25segmented_radix_sort_implINS0_14default_configELb0EPKaPaPKlPlN2at6native12_GLOBAL__N_18offset_tEEE10hipError_tPvRmT1_PNSt15iterator_traitsISY_E10value_typeET2_T3_PNSZ_IS14_E10value_typeET4_jRbjT5_S1A_jjP12ihipStream_tbEUljE_EEESV_SW_SX_S14_S18_S1A_T6_T7_T9_mT8_S1C_bDpT10_ENKUlT_T0_E_clISt17integral_constantIbLb1EES1P_EEDaS1K_S1L_EUlS1K_E_NS1_11comp_targetILNS1_3genE0ELNS1_11target_archE4294967295ELNS1_3gpuE0ELNS1_3repE0EEENS1_30default_config_static_selectorELNS0_4arch9wavefront6targetE1EEEvSY_.kd
    .uniform_work_group_size: 1
    .uses_dynamic_stack: false
    .vgpr_count:     0
    .vgpr_spill_count: 0
    .wavefront_size: 64
  - .agpr_count:     0
    .args:
      - .offset:         0
        .size:           152
        .value_kind:     by_value
    .group_segment_fixed_size: 0
    .kernarg_segment_align: 8
    .kernarg_segment_size: 152
    .language:       OpenCL C
    .language_version:
      - 2
      - 0
    .max_flat_workgroup_size: 256
    .name:           _ZN7rocprim17ROCPRIM_400000_NS6detail17trampoline_kernelINS0_13select_configILj256ELj13ELNS0_17block_load_methodE3ELS4_3ELS4_3ELNS0_20block_scan_algorithmE0ELj4294967295EEENS1_25partition_config_selectorILNS1_17partition_subalgoE3EjNS0_10empty_typeEbEEZZNS1_14partition_implILS8_3ELb0ES6_jNS0_17counting_iteratorIjlEEPS9_SE_NS0_5tupleIJPjSE_EEENSF_IJSE_SE_EEES9_SG_JZNS1_25segmented_radix_sort_implINS0_14default_configELb0EPKaPaPKlPlN2at6native12_GLOBAL__N_18offset_tEEE10hipError_tPvRmT1_PNSt15iterator_traitsISY_E10value_typeET2_T3_PNSZ_IS14_E10value_typeET4_jRbjT5_S1A_jjP12ihipStream_tbEUljE_EEESV_SW_SX_S14_S18_S1A_T6_T7_T9_mT8_S1C_bDpT10_ENKUlT_T0_E_clISt17integral_constantIbLb1EES1P_EEDaS1K_S1L_EUlS1K_E_NS1_11comp_targetILNS1_3genE5ELNS1_11target_archE942ELNS1_3gpuE9ELNS1_3repE0EEENS1_30default_config_static_selectorELNS0_4arch9wavefront6targetE1EEEvSY_
    .private_segment_fixed_size: 0
    .sgpr_count:     4
    .sgpr_spill_count: 0
    .symbol:         _ZN7rocprim17ROCPRIM_400000_NS6detail17trampoline_kernelINS0_13select_configILj256ELj13ELNS0_17block_load_methodE3ELS4_3ELS4_3ELNS0_20block_scan_algorithmE0ELj4294967295EEENS1_25partition_config_selectorILNS1_17partition_subalgoE3EjNS0_10empty_typeEbEEZZNS1_14partition_implILS8_3ELb0ES6_jNS0_17counting_iteratorIjlEEPS9_SE_NS0_5tupleIJPjSE_EEENSF_IJSE_SE_EEES9_SG_JZNS1_25segmented_radix_sort_implINS0_14default_configELb0EPKaPaPKlPlN2at6native12_GLOBAL__N_18offset_tEEE10hipError_tPvRmT1_PNSt15iterator_traitsISY_E10value_typeET2_T3_PNSZ_IS14_E10value_typeET4_jRbjT5_S1A_jjP12ihipStream_tbEUljE_EEESV_SW_SX_S14_S18_S1A_T6_T7_T9_mT8_S1C_bDpT10_ENKUlT_T0_E_clISt17integral_constantIbLb1EES1P_EEDaS1K_S1L_EUlS1K_E_NS1_11comp_targetILNS1_3genE5ELNS1_11target_archE942ELNS1_3gpuE9ELNS1_3repE0EEENS1_30default_config_static_selectorELNS0_4arch9wavefront6targetE1EEEvSY_.kd
    .uniform_work_group_size: 1
    .uses_dynamic_stack: false
    .vgpr_count:     0
    .vgpr_spill_count: 0
    .wavefront_size: 64
  - .agpr_count:     0
    .args:
      - .offset:         0
        .size:           152
        .value_kind:     by_value
    .group_segment_fixed_size: 13324
    .kernarg_segment_align: 8
    .kernarg_segment_size: 152
    .language:       OpenCL C
    .language_version:
      - 2
      - 0
    .max_flat_workgroup_size: 256
    .name:           _ZN7rocprim17ROCPRIM_400000_NS6detail17trampoline_kernelINS0_13select_configILj256ELj13ELNS0_17block_load_methodE3ELS4_3ELS4_3ELNS0_20block_scan_algorithmE0ELj4294967295EEENS1_25partition_config_selectorILNS1_17partition_subalgoE3EjNS0_10empty_typeEbEEZZNS1_14partition_implILS8_3ELb0ES6_jNS0_17counting_iteratorIjlEEPS9_SE_NS0_5tupleIJPjSE_EEENSF_IJSE_SE_EEES9_SG_JZNS1_25segmented_radix_sort_implINS0_14default_configELb0EPKaPaPKlPlN2at6native12_GLOBAL__N_18offset_tEEE10hipError_tPvRmT1_PNSt15iterator_traitsISY_E10value_typeET2_T3_PNSZ_IS14_E10value_typeET4_jRbjT5_S1A_jjP12ihipStream_tbEUljE_EEESV_SW_SX_S14_S18_S1A_T6_T7_T9_mT8_S1C_bDpT10_ENKUlT_T0_E_clISt17integral_constantIbLb1EES1P_EEDaS1K_S1L_EUlS1K_E_NS1_11comp_targetILNS1_3genE4ELNS1_11target_archE910ELNS1_3gpuE8ELNS1_3repE0EEENS1_30default_config_static_selectorELNS0_4arch9wavefront6targetE1EEEvSY_
    .private_segment_fixed_size: 0
    .sgpr_count:     48
    .sgpr_spill_count: 0
    .symbol:         _ZN7rocprim17ROCPRIM_400000_NS6detail17trampoline_kernelINS0_13select_configILj256ELj13ELNS0_17block_load_methodE3ELS4_3ELS4_3ELNS0_20block_scan_algorithmE0ELj4294967295EEENS1_25partition_config_selectorILNS1_17partition_subalgoE3EjNS0_10empty_typeEbEEZZNS1_14partition_implILS8_3ELb0ES6_jNS0_17counting_iteratorIjlEEPS9_SE_NS0_5tupleIJPjSE_EEENSF_IJSE_SE_EEES9_SG_JZNS1_25segmented_radix_sort_implINS0_14default_configELb0EPKaPaPKlPlN2at6native12_GLOBAL__N_18offset_tEEE10hipError_tPvRmT1_PNSt15iterator_traitsISY_E10value_typeET2_T3_PNSZ_IS14_E10value_typeET4_jRbjT5_S1A_jjP12ihipStream_tbEUljE_EEESV_SW_SX_S14_S18_S1A_T6_T7_T9_mT8_S1C_bDpT10_ENKUlT_T0_E_clISt17integral_constantIbLb1EES1P_EEDaS1K_S1L_EUlS1K_E_NS1_11comp_targetILNS1_3genE4ELNS1_11target_archE910ELNS1_3gpuE8ELNS1_3repE0EEENS1_30default_config_static_selectorELNS0_4arch9wavefront6targetE1EEEvSY_.kd
    .uniform_work_group_size: 1
    .uses_dynamic_stack: false
    .vgpr_count:     64
    .vgpr_spill_count: 0
    .wavefront_size: 64
  - .agpr_count:     0
    .args:
      - .offset:         0
        .size:           152
        .value_kind:     by_value
    .group_segment_fixed_size: 0
    .kernarg_segment_align: 8
    .kernarg_segment_size: 152
    .language:       OpenCL C
    .language_version:
      - 2
      - 0
    .max_flat_workgroup_size: 256
    .name:           _ZN7rocprim17ROCPRIM_400000_NS6detail17trampoline_kernelINS0_13select_configILj256ELj13ELNS0_17block_load_methodE3ELS4_3ELS4_3ELNS0_20block_scan_algorithmE0ELj4294967295EEENS1_25partition_config_selectorILNS1_17partition_subalgoE3EjNS0_10empty_typeEbEEZZNS1_14partition_implILS8_3ELb0ES6_jNS0_17counting_iteratorIjlEEPS9_SE_NS0_5tupleIJPjSE_EEENSF_IJSE_SE_EEES9_SG_JZNS1_25segmented_radix_sort_implINS0_14default_configELb0EPKaPaPKlPlN2at6native12_GLOBAL__N_18offset_tEEE10hipError_tPvRmT1_PNSt15iterator_traitsISY_E10value_typeET2_T3_PNSZ_IS14_E10value_typeET4_jRbjT5_S1A_jjP12ihipStream_tbEUljE_EEESV_SW_SX_S14_S18_S1A_T6_T7_T9_mT8_S1C_bDpT10_ENKUlT_T0_E_clISt17integral_constantIbLb1EES1P_EEDaS1K_S1L_EUlS1K_E_NS1_11comp_targetILNS1_3genE3ELNS1_11target_archE908ELNS1_3gpuE7ELNS1_3repE0EEENS1_30default_config_static_selectorELNS0_4arch9wavefront6targetE1EEEvSY_
    .private_segment_fixed_size: 0
    .sgpr_count:     4
    .sgpr_spill_count: 0
    .symbol:         _ZN7rocprim17ROCPRIM_400000_NS6detail17trampoline_kernelINS0_13select_configILj256ELj13ELNS0_17block_load_methodE3ELS4_3ELS4_3ELNS0_20block_scan_algorithmE0ELj4294967295EEENS1_25partition_config_selectorILNS1_17partition_subalgoE3EjNS0_10empty_typeEbEEZZNS1_14partition_implILS8_3ELb0ES6_jNS0_17counting_iteratorIjlEEPS9_SE_NS0_5tupleIJPjSE_EEENSF_IJSE_SE_EEES9_SG_JZNS1_25segmented_radix_sort_implINS0_14default_configELb0EPKaPaPKlPlN2at6native12_GLOBAL__N_18offset_tEEE10hipError_tPvRmT1_PNSt15iterator_traitsISY_E10value_typeET2_T3_PNSZ_IS14_E10value_typeET4_jRbjT5_S1A_jjP12ihipStream_tbEUljE_EEESV_SW_SX_S14_S18_S1A_T6_T7_T9_mT8_S1C_bDpT10_ENKUlT_T0_E_clISt17integral_constantIbLb1EES1P_EEDaS1K_S1L_EUlS1K_E_NS1_11comp_targetILNS1_3genE3ELNS1_11target_archE908ELNS1_3gpuE7ELNS1_3repE0EEENS1_30default_config_static_selectorELNS0_4arch9wavefront6targetE1EEEvSY_.kd
    .uniform_work_group_size: 1
    .uses_dynamic_stack: false
    .vgpr_count:     0
    .vgpr_spill_count: 0
    .wavefront_size: 64
  - .agpr_count:     0
    .args:
      - .offset:         0
        .size:           152
        .value_kind:     by_value
    .group_segment_fixed_size: 0
    .kernarg_segment_align: 8
    .kernarg_segment_size: 152
    .language:       OpenCL C
    .language_version:
      - 2
      - 0
    .max_flat_workgroup_size: 256
    .name:           _ZN7rocprim17ROCPRIM_400000_NS6detail17trampoline_kernelINS0_13select_configILj256ELj13ELNS0_17block_load_methodE3ELS4_3ELS4_3ELNS0_20block_scan_algorithmE0ELj4294967295EEENS1_25partition_config_selectorILNS1_17partition_subalgoE3EjNS0_10empty_typeEbEEZZNS1_14partition_implILS8_3ELb0ES6_jNS0_17counting_iteratorIjlEEPS9_SE_NS0_5tupleIJPjSE_EEENSF_IJSE_SE_EEES9_SG_JZNS1_25segmented_radix_sort_implINS0_14default_configELb0EPKaPaPKlPlN2at6native12_GLOBAL__N_18offset_tEEE10hipError_tPvRmT1_PNSt15iterator_traitsISY_E10value_typeET2_T3_PNSZ_IS14_E10value_typeET4_jRbjT5_S1A_jjP12ihipStream_tbEUljE_EEESV_SW_SX_S14_S18_S1A_T6_T7_T9_mT8_S1C_bDpT10_ENKUlT_T0_E_clISt17integral_constantIbLb1EES1P_EEDaS1K_S1L_EUlS1K_E_NS1_11comp_targetILNS1_3genE2ELNS1_11target_archE906ELNS1_3gpuE6ELNS1_3repE0EEENS1_30default_config_static_selectorELNS0_4arch9wavefront6targetE1EEEvSY_
    .private_segment_fixed_size: 0
    .sgpr_count:     4
    .sgpr_spill_count: 0
    .symbol:         _ZN7rocprim17ROCPRIM_400000_NS6detail17trampoline_kernelINS0_13select_configILj256ELj13ELNS0_17block_load_methodE3ELS4_3ELS4_3ELNS0_20block_scan_algorithmE0ELj4294967295EEENS1_25partition_config_selectorILNS1_17partition_subalgoE3EjNS0_10empty_typeEbEEZZNS1_14partition_implILS8_3ELb0ES6_jNS0_17counting_iteratorIjlEEPS9_SE_NS0_5tupleIJPjSE_EEENSF_IJSE_SE_EEES9_SG_JZNS1_25segmented_radix_sort_implINS0_14default_configELb0EPKaPaPKlPlN2at6native12_GLOBAL__N_18offset_tEEE10hipError_tPvRmT1_PNSt15iterator_traitsISY_E10value_typeET2_T3_PNSZ_IS14_E10value_typeET4_jRbjT5_S1A_jjP12ihipStream_tbEUljE_EEESV_SW_SX_S14_S18_S1A_T6_T7_T9_mT8_S1C_bDpT10_ENKUlT_T0_E_clISt17integral_constantIbLb1EES1P_EEDaS1K_S1L_EUlS1K_E_NS1_11comp_targetILNS1_3genE2ELNS1_11target_archE906ELNS1_3gpuE6ELNS1_3repE0EEENS1_30default_config_static_selectorELNS0_4arch9wavefront6targetE1EEEvSY_.kd
    .uniform_work_group_size: 1
    .uses_dynamic_stack: false
    .vgpr_count:     0
    .vgpr_spill_count: 0
    .wavefront_size: 64
  - .agpr_count:     0
    .args:
      - .offset:         0
        .size:           152
        .value_kind:     by_value
    .group_segment_fixed_size: 0
    .kernarg_segment_align: 8
    .kernarg_segment_size: 152
    .language:       OpenCL C
    .language_version:
      - 2
      - 0
    .max_flat_workgroup_size: 256
    .name:           _ZN7rocprim17ROCPRIM_400000_NS6detail17trampoline_kernelINS0_13select_configILj256ELj13ELNS0_17block_load_methodE3ELS4_3ELS4_3ELNS0_20block_scan_algorithmE0ELj4294967295EEENS1_25partition_config_selectorILNS1_17partition_subalgoE3EjNS0_10empty_typeEbEEZZNS1_14partition_implILS8_3ELb0ES6_jNS0_17counting_iteratorIjlEEPS9_SE_NS0_5tupleIJPjSE_EEENSF_IJSE_SE_EEES9_SG_JZNS1_25segmented_radix_sort_implINS0_14default_configELb0EPKaPaPKlPlN2at6native12_GLOBAL__N_18offset_tEEE10hipError_tPvRmT1_PNSt15iterator_traitsISY_E10value_typeET2_T3_PNSZ_IS14_E10value_typeET4_jRbjT5_S1A_jjP12ihipStream_tbEUljE_EEESV_SW_SX_S14_S18_S1A_T6_T7_T9_mT8_S1C_bDpT10_ENKUlT_T0_E_clISt17integral_constantIbLb1EES1P_EEDaS1K_S1L_EUlS1K_E_NS1_11comp_targetILNS1_3genE10ELNS1_11target_archE1200ELNS1_3gpuE4ELNS1_3repE0EEENS1_30default_config_static_selectorELNS0_4arch9wavefront6targetE1EEEvSY_
    .private_segment_fixed_size: 0
    .sgpr_count:     4
    .sgpr_spill_count: 0
    .symbol:         _ZN7rocprim17ROCPRIM_400000_NS6detail17trampoline_kernelINS0_13select_configILj256ELj13ELNS0_17block_load_methodE3ELS4_3ELS4_3ELNS0_20block_scan_algorithmE0ELj4294967295EEENS1_25partition_config_selectorILNS1_17partition_subalgoE3EjNS0_10empty_typeEbEEZZNS1_14partition_implILS8_3ELb0ES6_jNS0_17counting_iteratorIjlEEPS9_SE_NS0_5tupleIJPjSE_EEENSF_IJSE_SE_EEES9_SG_JZNS1_25segmented_radix_sort_implINS0_14default_configELb0EPKaPaPKlPlN2at6native12_GLOBAL__N_18offset_tEEE10hipError_tPvRmT1_PNSt15iterator_traitsISY_E10value_typeET2_T3_PNSZ_IS14_E10value_typeET4_jRbjT5_S1A_jjP12ihipStream_tbEUljE_EEESV_SW_SX_S14_S18_S1A_T6_T7_T9_mT8_S1C_bDpT10_ENKUlT_T0_E_clISt17integral_constantIbLb1EES1P_EEDaS1K_S1L_EUlS1K_E_NS1_11comp_targetILNS1_3genE10ELNS1_11target_archE1200ELNS1_3gpuE4ELNS1_3repE0EEENS1_30default_config_static_selectorELNS0_4arch9wavefront6targetE1EEEvSY_.kd
    .uniform_work_group_size: 1
    .uses_dynamic_stack: false
    .vgpr_count:     0
    .vgpr_spill_count: 0
    .wavefront_size: 64
  - .agpr_count:     0
    .args:
      - .offset:         0
        .size:           152
        .value_kind:     by_value
    .group_segment_fixed_size: 0
    .kernarg_segment_align: 8
    .kernarg_segment_size: 152
    .language:       OpenCL C
    .language_version:
      - 2
      - 0
    .max_flat_workgroup_size: 256
    .name:           _ZN7rocprim17ROCPRIM_400000_NS6detail17trampoline_kernelINS0_13select_configILj256ELj13ELNS0_17block_load_methodE3ELS4_3ELS4_3ELNS0_20block_scan_algorithmE0ELj4294967295EEENS1_25partition_config_selectorILNS1_17partition_subalgoE3EjNS0_10empty_typeEbEEZZNS1_14partition_implILS8_3ELb0ES6_jNS0_17counting_iteratorIjlEEPS9_SE_NS0_5tupleIJPjSE_EEENSF_IJSE_SE_EEES9_SG_JZNS1_25segmented_radix_sort_implINS0_14default_configELb0EPKaPaPKlPlN2at6native12_GLOBAL__N_18offset_tEEE10hipError_tPvRmT1_PNSt15iterator_traitsISY_E10value_typeET2_T3_PNSZ_IS14_E10value_typeET4_jRbjT5_S1A_jjP12ihipStream_tbEUljE_EEESV_SW_SX_S14_S18_S1A_T6_T7_T9_mT8_S1C_bDpT10_ENKUlT_T0_E_clISt17integral_constantIbLb1EES1P_EEDaS1K_S1L_EUlS1K_E_NS1_11comp_targetILNS1_3genE9ELNS1_11target_archE1100ELNS1_3gpuE3ELNS1_3repE0EEENS1_30default_config_static_selectorELNS0_4arch9wavefront6targetE1EEEvSY_
    .private_segment_fixed_size: 0
    .sgpr_count:     4
    .sgpr_spill_count: 0
    .symbol:         _ZN7rocprim17ROCPRIM_400000_NS6detail17trampoline_kernelINS0_13select_configILj256ELj13ELNS0_17block_load_methodE3ELS4_3ELS4_3ELNS0_20block_scan_algorithmE0ELj4294967295EEENS1_25partition_config_selectorILNS1_17partition_subalgoE3EjNS0_10empty_typeEbEEZZNS1_14partition_implILS8_3ELb0ES6_jNS0_17counting_iteratorIjlEEPS9_SE_NS0_5tupleIJPjSE_EEENSF_IJSE_SE_EEES9_SG_JZNS1_25segmented_radix_sort_implINS0_14default_configELb0EPKaPaPKlPlN2at6native12_GLOBAL__N_18offset_tEEE10hipError_tPvRmT1_PNSt15iterator_traitsISY_E10value_typeET2_T3_PNSZ_IS14_E10value_typeET4_jRbjT5_S1A_jjP12ihipStream_tbEUljE_EEESV_SW_SX_S14_S18_S1A_T6_T7_T9_mT8_S1C_bDpT10_ENKUlT_T0_E_clISt17integral_constantIbLb1EES1P_EEDaS1K_S1L_EUlS1K_E_NS1_11comp_targetILNS1_3genE9ELNS1_11target_archE1100ELNS1_3gpuE3ELNS1_3repE0EEENS1_30default_config_static_selectorELNS0_4arch9wavefront6targetE1EEEvSY_.kd
    .uniform_work_group_size: 1
    .uses_dynamic_stack: false
    .vgpr_count:     0
    .vgpr_spill_count: 0
    .wavefront_size: 64
  - .agpr_count:     0
    .args:
      - .offset:         0
        .size:           152
        .value_kind:     by_value
    .group_segment_fixed_size: 0
    .kernarg_segment_align: 8
    .kernarg_segment_size: 152
    .language:       OpenCL C
    .language_version:
      - 2
      - 0
    .max_flat_workgroup_size: 256
    .name:           _ZN7rocprim17ROCPRIM_400000_NS6detail17trampoline_kernelINS0_13select_configILj256ELj13ELNS0_17block_load_methodE3ELS4_3ELS4_3ELNS0_20block_scan_algorithmE0ELj4294967295EEENS1_25partition_config_selectorILNS1_17partition_subalgoE3EjNS0_10empty_typeEbEEZZNS1_14partition_implILS8_3ELb0ES6_jNS0_17counting_iteratorIjlEEPS9_SE_NS0_5tupleIJPjSE_EEENSF_IJSE_SE_EEES9_SG_JZNS1_25segmented_radix_sort_implINS0_14default_configELb0EPKaPaPKlPlN2at6native12_GLOBAL__N_18offset_tEEE10hipError_tPvRmT1_PNSt15iterator_traitsISY_E10value_typeET2_T3_PNSZ_IS14_E10value_typeET4_jRbjT5_S1A_jjP12ihipStream_tbEUljE_EEESV_SW_SX_S14_S18_S1A_T6_T7_T9_mT8_S1C_bDpT10_ENKUlT_T0_E_clISt17integral_constantIbLb1EES1P_EEDaS1K_S1L_EUlS1K_E_NS1_11comp_targetILNS1_3genE8ELNS1_11target_archE1030ELNS1_3gpuE2ELNS1_3repE0EEENS1_30default_config_static_selectorELNS0_4arch9wavefront6targetE1EEEvSY_
    .private_segment_fixed_size: 0
    .sgpr_count:     4
    .sgpr_spill_count: 0
    .symbol:         _ZN7rocprim17ROCPRIM_400000_NS6detail17trampoline_kernelINS0_13select_configILj256ELj13ELNS0_17block_load_methodE3ELS4_3ELS4_3ELNS0_20block_scan_algorithmE0ELj4294967295EEENS1_25partition_config_selectorILNS1_17partition_subalgoE3EjNS0_10empty_typeEbEEZZNS1_14partition_implILS8_3ELb0ES6_jNS0_17counting_iteratorIjlEEPS9_SE_NS0_5tupleIJPjSE_EEENSF_IJSE_SE_EEES9_SG_JZNS1_25segmented_radix_sort_implINS0_14default_configELb0EPKaPaPKlPlN2at6native12_GLOBAL__N_18offset_tEEE10hipError_tPvRmT1_PNSt15iterator_traitsISY_E10value_typeET2_T3_PNSZ_IS14_E10value_typeET4_jRbjT5_S1A_jjP12ihipStream_tbEUljE_EEESV_SW_SX_S14_S18_S1A_T6_T7_T9_mT8_S1C_bDpT10_ENKUlT_T0_E_clISt17integral_constantIbLb1EES1P_EEDaS1K_S1L_EUlS1K_E_NS1_11comp_targetILNS1_3genE8ELNS1_11target_archE1030ELNS1_3gpuE2ELNS1_3repE0EEENS1_30default_config_static_selectorELNS0_4arch9wavefront6targetE1EEEvSY_.kd
    .uniform_work_group_size: 1
    .uses_dynamic_stack: false
    .vgpr_count:     0
    .vgpr_spill_count: 0
    .wavefront_size: 64
  - .agpr_count:     0
    .args:
      - .offset:         0
        .size:           144
        .value_kind:     by_value
    .group_segment_fixed_size: 0
    .kernarg_segment_align: 8
    .kernarg_segment_size: 144
    .language:       OpenCL C
    .language_version:
      - 2
      - 0
    .max_flat_workgroup_size: 256
    .name:           _ZN7rocprim17ROCPRIM_400000_NS6detail17trampoline_kernelINS0_13select_configILj256ELj13ELNS0_17block_load_methodE3ELS4_3ELS4_3ELNS0_20block_scan_algorithmE0ELj4294967295EEENS1_25partition_config_selectorILNS1_17partition_subalgoE3EjNS0_10empty_typeEbEEZZNS1_14partition_implILS8_3ELb0ES6_jNS0_17counting_iteratorIjlEEPS9_SE_NS0_5tupleIJPjSE_EEENSF_IJSE_SE_EEES9_SG_JZNS1_25segmented_radix_sort_implINS0_14default_configELb0EPKaPaPKlPlN2at6native12_GLOBAL__N_18offset_tEEE10hipError_tPvRmT1_PNSt15iterator_traitsISY_E10value_typeET2_T3_PNSZ_IS14_E10value_typeET4_jRbjT5_S1A_jjP12ihipStream_tbEUljE_EEESV_SW_SX_S14_S18_S1A_T6_T7_T9_mT8_S1C_bDpT10_ENKUlT_T0_E_clISt17integral_constantIbLb1EES1O_IbLb0EEEEDaS1K_S1L_EUlS1K_E_NS1_11comp_targetILNS1_3genE0ELNS1_11target_archE4294967295ELNS1_3gpuE0ELNS1_3repE0EEENS1_30default_config_static_selectorELNS0_4arch9wavefront6targetE1EEEvSY_
    .private_segment_fixed_size: 0
    .sgpr_count:     4
    .sgpr_spill_count: 0
    .symbol:         _ZN7rocprim17ROCPRIM_400000_NS6detail17trampoline_kernelINS0_13select_configILj256ELj13ELNS0_17block_load_methodE3ELS4_3ELS4_3ELNS0_20block_scan_algorithmE0ELj4294967295EEENS1_25partition_config_selectorILNS1_17partition_subalgoE3EjNS0_10empty_typeEbEEZZNS1_14partition_implILS8_3ELb0ES6_jNS0_17counting_iteratorIjlEEPS9_SE_NS0_5tupleIJPjSE_EEENSF_IJSE_SE_EEES9_SG_JZNS1_25segmented_radix_sort_implINS0_14default_configELb0EPKaPaPKlPlN2at6native12_GLOBAL__N_18offset_tEEE10hipError_tPvRmT1_PNSt15iterator_traitsISY_E10value_typeET2_T3_PNSZ_IS14_E10value_typeET4_jRbjT5_S1A_jjP12ihipStream_tbEUljE_EEESV_SW_SX_S14_S18_S1A_T6_T7_T9_mT8_S1C_bDpT10_ENKUlT_T0_E_clISt17integral_constantIbLb1EES1O_IbLb0EEEEDaS1K_S1L_EUlS1K_E_NS1_11comp_targetILNS1_3genE0ELNS1_11target_archE4294967295ELNS1_3gpuE0ELNS1_3repE0EEENS1_30default_config_static_selectorELNS0_4arch9wavefront6targetE1EEEvSY_.kd
    .uniform_work_group_size: 1
    .uses_dynamic_stack: false
    .vgpr_count:     0
    .vgpr_spill_count: 0
    .wavefront_size: 64
  - .agpr_count:     0
    .args:
      - .offset:         0
        .size:           144
        .value_kind:     by_value
    .group_segment_fixed_size: 0
    .kernarg_segment_align: 8
    .kernarg_segment_size: 144
    .language:       OpenCL C
    .language_version:
      - 2
      - 0
    .max_flat_workgroup_size: 256
    .name:           _ZN7rocprim17ROCPRIM_400000_NS6detail17trampoline_kernelINS0_13select_configILj256ELj13ELNS0_17block_load_methodE3ELS4_3ELS4_3ELNS0_20block_scan_algorithmE0ELj4294967295EEENS1_25partition_config_selectorILNS1_17partition_subalgoE3EjNS0_10empty_typeEbEEZZNS1_14partition_implILS8_3ELb0ES6_jNS0_17counting_iteratorIjlEEPS9_SE_NS0_5tupleIJPjSE_EEENSF_IJSE_SE_EEES9_SG_JZNS1_25segmented_radix_sort_implINS0_14default_configELb0EPKaPaPKlPlN2at6native12_GLOBAL__N_18offset_tEEE10hipError_tPvRmT1_PNSt15iterator_traitsISY_E10value_typeET2_T3_PNSZ_IS14_E10value_typeET4_jRbjT5_S1A_jjP12ihipStream_tbEUljE_EEESV_SW_SX_S14_S18_S1A_T6_T7_T9_mT8_S1C_bDpT10_ENKUlT_T0_E_clISt17integral_constantIbLb1EES1O_IbLb0EEEEDaS1K_S1L_EUlS1K_E_NS1_11comp_targetILNS1_3genE5ELNS1_11target_archE942ELNS1_3gpuE9ELNS1_3repE0EEENS1_30default_config_static_selectorELNS0_4arch9wavefront6targetE1EEEvSY_
    .private_segment_fixed_size: 0
    .sgpr_count:     4
    .sgpr_spill_count: 0
    .symbol:         _ZN7rocprim17ROCPRIM_400000_NS6detail17trampoline_kernelINS0_13select_configILj256ELj13ELNS0_17block_load_methodE3ELS4_3ELS4_3ELNS0_20block_scan_algorithmE0ELj4294967295EEENS1_25partition_config_selectorILNS1_17partition_subalgoE3EjNS0_10empty_typeEbEEZZNS1_14partition_implILS8_3ELb0ES6_jNS0_17counting_iteratorIjlEEPS9_SE_NS0_5tupleIJPjSE_EEENSF_IJSE_SE_EEES9_SG_JZNS1_25segmented_radix_sort_implINS0_14default_configELb0EPKaPaPKlPlN2at6native12_GLOBAL__N_18offset_tEEE10hipError_tPvRmT1_PNSt15iterator_traitsISY_E10value_typeET2_T3_PNSZ_IS14_E10value_typeET4_jRbjT5_S1A_jjP12ihipStream_tbEUljE_EEESV_SW_SX_S14_S18_S1A_T6_T7_T9_mT8_S1C_bDpT10_ENKUlT_T0_E_clISt17integral_constantIbLb1EES1O_IbLb0EEEEDaS1K_S1L_EUlS1K_E_NS1_11comp_targetILNS1_3genE5ELNS1_11target_archE942ELNS1_3gpuE9ELNS1_3repE0EEENS1_30default_config_static_selectorELNS0_4arch9wavefront6targetE1EEEvSY_.kd
    .uniform_work_group_size: 1
    .uses_dynamic_stack: false
    .vgpr_count:     0
    .vgpr_spill_count: 0
    .wavefront_size: 64
  - .agpr_count:     0
    .args:
      - .offset:         0
        .size:           144
        .value_kind:     by_value
    .group_segment_fixed_size: 13324
    .kernarg_segment_align: 8
    .kernarg_segment_size: 144
    .language:       OpenCL C
    .language_version:
      - 2
      - 0
    .max_flat_workgroup_size: 256
    .name:           _ZN7rocprim17ROCPRIM_400000_NS6detail17trampoline_kernelINS0_13select_configILj256ELj13ELNS0_17block_load_methodE3ELS4_3ELS4_3ELNS0_20block_scan_algorithmE0ELj4294967295EEENS1_25partition_config_selectorILNS1_17partition_subalgoE3EjNS0_10empty_typeEbEEZZNS1_14partition_implILS8_3ELb0ES6_jNS0_17counting_iteratorIjlEEPS9_SE_NS0_5tupleIJPjSE_EEENSF_IJSE_SE_EEES9_SG_JZNS1_25segmented_radix_sort_implINS0_14default_configELb0EPKaPaPKlPlN2at6native12_GLOBAL__N_18offset_tEEE10hipError_tPvRmT1_PNSt15iterator_traitsISY_E10value_typeET2_T3_PNSZ_IS14_E10value_typeET4_jRbjT5_S1A_jjP12ihipStream_tbEUljE_EEESV_SW_SX_S14_S18_S1A_T6_T7_T9_mT8_S1C_bDpT10_ENKUlT_T0_E_clISt17integral_constantIbLb1EES1O_IbLb0EEEEDaS1K_S1L_EUlS1K_E_NS1_11comp_targetILNS1_3genE4ELNS1_11target_archE910ELNS1_3gpuE8ELNS1_3repE0EEENS1_30default_config_static_selectorELNS0_4arch9wavefront6targetE1EEEvSY_
    .private_segment_fixed_size: 0
    .sgpr_count:     50
    .sgpr_spill_count: 0
    .symbol:         _ZN7rocprim17ROCPRIM_400000_NS6detail17trampoline_kernelINS0_13select_configILj256ELj13ELNS0_17block_load_methodE3ELS4_3ELS4_3ELNS0_20block_scan_algorithmE0ELj4294967295EEENS1_25partition_config_selectorILNS1_17partition_subalgoE3EjNS0_10empty_typeEbEEZZNS1_14partition_implILS8_3ELb0ES6_jNS0_17counting_iteratorIjlEEPS9_SE_NS0_5tupleIJPjSE_EEENSF_IJSE_SE_EEES9_SG_JZNS1_25segmented_radix_sort_implINS0_14default_configELb0EPKaPaPKlPlN2at6native12_GLOBAL__N_18offset_tEEE10hipError_tPvRmT1_PNSt15iterator_traitsISY_E10value_typeET2_T3_PNSZ_IS14_E10value_typeET4_jRbjT5_S1A_jjP12ihipStream_tbEUljE_EEESV_SW_SX_S14_S18_S1A_T6_T7_T9_mT8_S1C_bDpT10_ENKUlT_T0_E_clISt17integral_constantIbLb1EES1O_IbLb0EEEEDaS1K_S1L_EUlS1K_E_NS1_11comp_targetILNS1_3genE4ELNS1_11target_archE910ELNS1_3gpuE8ELNS1_3repE0EEENS1_30default_config_static_selectorELNS0_4arch9wavefront6targetE1EEEvSY_.kd
    .uniform_work_group_size: 1
    .uses_dynamic_stack: false
    .vgpr_count:     61
    .vgpr_spill_count: 0
    .wavefront_size: 64
  - .agpr_count:     0
    .args:
      - .offset:         0
        .size:           144
        .value_kind:     by_value
    .group_segment_fixed_size: 0
    .kernarg_segment_align: 8
    .kernarg_segment_size: 144
    .language:       OpenCL C
    .language_version:
      - 2
      - 0
    .max_flat_workgroup_size: 256
    .name:           _ZN7rocprim17ROCPRIM_400000_NS6detail17trampoline_kernelINS0_13select_configILj256ELj13ELNS0_17block_load_methodE3ELS4_3ELS4_3ELNS0_20block_scan_algorithmE0ELj4294967295EEENS1_25partition_config_selectorILNS1_17partition_subalgoE3EjNS0_10empty_typeEbEEZZNS1_14partition_implILS8_3ELb0ES6_jNS0_17counting_iteratorIjlEEPS9_SE_NS0_5tupleIJPjSE_EEENSF_IJSE_SE_EEES9_SG_JZNS1_25segmented_radix_sort_implINS0_14default_configELb0EPKaPaPKlPlN2at6native12_GLOBAL__N_18offset_tEEE10hipError_tPvRmT1_PNSt15iterator_traitsISY_E10value_typeET2_T3_PNSZ_IS14_E10value_typeET4_jRbjT5_S1A_jjP12ihipStream_tbEUljE_EEESV_SW_SX_S14_S18_S1A_T6_T7_T9_mT8_S1C_bDpT10_ENKUlT_T0_E_clISt17integral_constantIbLb1EES1O_IbLb0EEEEDaS1K_S1L_EUlS1K_E_NS1_11comp_targetILNS1_3genE3ELNS1_11target_archE908ELNS1_3gpuE7ELNS1_3repE0EEENS1_30default_config_static_selectorELNS0_4arch9wavefront6targetE1EEEvSY_
    .private_segment_fixed_size: 0
    .sgpr_count:     4
    .sgpr_spill_count: 0
    .symbol:         _ZN7rocprim17ROCPRIM_400000_NS6detail17trampoline_kernelINS0_13select_configILj256ELj13ELNS0_17block_load_methodE3ELS4_3ELS4_3ELNS0_20block_scan_algorithmE0ELj4294967295EEENS1_25partition_config_selectorILNS1_17partition_subalgoE3EjNS0_10empty_typeEbEEZZNS1_14partition_implILS8_3ELb0ES6_jNS0_17counting_iteratorIjlEEPS9_SE_NS0_5tupleIJPjSE_EEENSF_IJSE_SE_EEES9_SG_JZNS1_25segmented_radix_sort_implINS0_14default_configELb0EPKaPaPKlPlN2at6native12_GLOBAL__N_18offset_tEEE10hipError_tPvRmT1_PNSt15iterator_traitsISY_E10value_typeET2_T3_PNSZ_IS14_E10value_typeET4_jRbjT5_S1A_jjP12ihipStream_tbEUljE_EEESV_SW_SX_S14_S18_S1A_T6_T7_T9_mT8_S1C_bDpT10_ENKUlT_T0_E_clISt17integral_constantIbLb1EES1O_IbLb0EEEEDaS1K_S1L_EUlS1K_E_NS1_11comp_targetILNS1_3genE3ELNS1_11target_archE908ELNS1_3gpuE7ELNS1_3repE0EEENS1_30default_config_static_selectorELNS0_4arch9wavefront6targetE1EEEvSY_.kd
    .uniform_work_group_size: 1
    .uses_dynamic_stack: false
    .vgpr_count:     0
    .vgpr_spill_count: 0
    .wavefront_size: 64
  - .agpr_count:     0
    .args:
      - .offset:         0
        .size:           144
        .value_kind:     by_value
    .group_segment_fixed_size: 0
    .kernarg_segment_align: 8
    .kernarg_segment_size: 144
    .language:       OpenCL C
    .language_version:
      - 2
      - 0
    .max_flat_workgroup_size: 256
    .name:           _ZN7rocprim17ROCPRIM_400000_NS6detail17trampoline_kernelINS0_13select_configILj256ELj13ELNS0_17block_load_methodE3ELS4_3ELS4_3ELNS0_20block_scan_algorithmE0ELj4294967295EEENS1_25partition_config_selectorILNS1_17partition_subalgoE3EjNS0_10empty_typeEbEEZZNS1_14partition_implILS8_3ELb0ES6_jNS0_17counting_iteratorIjlEEPS9_SE_NS0_5tupleIJPjSE_EEENSF_IJSE_SE_EEES9_SG_JZNS1_25segmented_radix_sort_implINS0_14default_configELb0EPKaPaPKlPlN2at6native12_GLOBAL__N_18offset_tEEE10hipError_tPvRmT1_PNSt15iterator_traitsISY_E10value_typeET2_T3_PNSZ_IS14_E10value_typeET4_jRbjT5_S1A_jjP12ihipStream_tbEUljE_EEESV_SW_SX_S14_S18_S1A_T6_T7_T9_mT8_S1C_bDpT10_ENKUlT_T0_E_clISt17integral_constantIbLb1EES1O_IbLb0EEEEDaS1K_S1L_EUlS1K_E_NS1_11comp_targetILNS1_3genE2ELNS1_11target_archE906ELNS1_3gpuE6ELNS1_3repE0EEENS1_30default_config_static_selectorELNS0_4arch9wavefront6targetE1EEEvSY_
    .private_segment_fixed_size: 0
    .sgpr_count:     4
    .sgpr_spill_count: 0
    .symbol:         _ZN7rocprim17ROCPRIM_400000_NS6detail17trampoline_kernelINS0_13select_configILj256ELj13ELNS0_17block_load_methodE3ELS4_3ELS4_3ELNS0_20block_scan_algorithmE0ELj4294967295EEENS1_25partition_config_selectorILNS1_17partition_subalgoE3EjNS0_10empty_typeEbEEZZNS1_14partition_implILS8_3ELb0ES6_jNS0_17counting_iteratorIjlEEPS9_SE_NS0_5tupleIJPjSE_EEENSF_IJSE_SE_EEES9_SG_JZNS1_25segmented_radix_sort_implINS0_14default_configELb0EPKaPaPKlPlN2at6native12_GLOBAL__N_18offset_tEEE10hipError_tPvRmT1_PNSt15iterator_traitsISY_E10value_typeET2_T3_PNSZ_IS14_E10value_typeET4_jRbjT5_S1A_jjP12ihipStream_tbEUljE_EEESV_SW_SX_S14_S18_S1A_T6_T7_T9_mT8_S1C_bDpT10_ENKUlT_T0_E_clISt17integral_constantIbLb1EES1O_IbLb0EEEEDaS1K_S1L_EUlS1K_E_NS1_11comp_targetILNS1_3genE2ELNS1_11target_archE906ELNS1_3gpuE6ELNS1_3repE0EEENS1_30default_config_static_selectorELNS0_4arch9wavefront6targetE1EEEvSY_.kd
    .uniform_work_group_size: 1
    .uses_dynamic_stack: false
    .vgpr_count:     0
    .vgpr_spill_count: 0
    .wavefront_size: 64
  - .agpr_count:     0
    .args:
      - .offset:         0
        .size:           144
        .value_kind:     by_value
    .group_segment_fixed_size: 0
    .kernarg_segment_align: 8
    .kernarg_segment_size: 144
    .language:       OpenCL C
    .language_version:
      - 2
      - 0
    .max_flat_workgroup_size: 256
    .name:           _ZN7rocprim17ROCPRIM_400000_NS6detail17trampoline_kernelINS0_13select_configILj256ELj13ELNS0_17block_load_methodE3ELS4_3ELS4_3ELNS0_20block_scan_algorithmE0ELj4294967295EEENS1_25partition_config_selectorILNS1_17partition_subalgoE3EjNS0_10empty_typeEbEEZZNS1_14partition_implILS8_3ELb0ES6_jNS0_17counting_iteratorIjlEEPS9_SE_NS0_5tupleIJPjSE_EEENSF_IJSE_SE_EEES9_SG_JZNS1_25segmented_radix_sort_implINS0_14default_configELb0EPKaPaPKlPlN2at6native12_GLOBAL__N_18offset_tEEE10hipError_tPvRmT1_PNSt15iterator_traitsISY_E10value_typeET2_T3_PNSZ_IS14_E10value_typeET4_jRbjT5_S1A_jjP12ihipStream_tbEUljE_EEESV_SW_SX_S14_S18_S1A_T6_T7_T9_mT8_S1C_bDpT10_ENKUlT_T0_E_clISt17integral_constantIbLb1EES1O_IbLb0EEEEDaS1K_S1L_EUlS1K_E_NS1_11comp_targetILNS1_3genE10ELNS1_11target_archE1200ELNS1_3gpuE4ELNS1_3repE0EEENS1_30default_config_static_selectorELNS0_4arch9wavefront6targetE1EEEvSY_
    .private_segment_fixed_size: 0
    .sgpr_count:     4
    .sgpr_spill_count: 0
    .symbol:         _ZN7rocprim17ROCPRIM_400000_NS6detail17trampoline_kernelINS0_13select_configILj256ELj13ELNS0_17block_load_methodE3ELS4_3ELS4_3ELNS0_20block_scan_algorithmE0ELj4294967295EEENS1_25partition_config_selectorILNS1_17partition_subalgoE3EjNS0_10empty_typeEbEEZZNS1_14partition_implILS8_3ELb0ES6_jNS0_17counting_iteratorIjlEEPS9_SE_NS0_5tupleIJPjSE_EEENSF_IJSE_SE_EEES9_SG_JZNS1_25segmented_radix_sort_implINS0_14default_configELb0EPKaPaPKlPlN2at6native12_GLOBAL__N_18offset_tEEE10hipError_tPvRmT1_PNSt15iterator_traitsISY_E10value_typeET2_T3_PNSZ_IS14_E10value_typeET4_jRbjT5_S1A_jjP12ihipStream_tbEUljE_EEESV_SW_SX_S14_S18_S1A_T6_T7_T9_mT8_S1C_bDpT10_ENKUlT_T0_E_clISt17integral_constantIbLb1EES1O_IbLb0EEEEDaS1K_S1L_EUlS1K_E_NS1_11comp_targetILNS1_3genE10ELNS1_11target_archE1200ELNS1_3gpuE4ELNS1_3repE0EEENS1_30default_config_static_selectorELNS0_4arch9wavefront6targetE1EEEvSY_.kd
    .uniform_work_group_size: 1
    .uses_dynamic_stack: false
    .vgpr_count:     0
    .vgpr_spill_count: 0
    .wavefront_size: 64
  - .agpr_count:     0
    .args:
      - .offset:         0
        .size:           144
        .value_kind:     by_value
    .group_segment_fixed_size: 0
    .kernarg_segment_align: 8
    .kernarg_segment_size: 144
    .language:       OpenCL C
    .language_version:
      - 2
      - 0
    .max_flat_workgroup_size: 256
    .name:           _ZN7rocprim17ROCPRIM_400000_NS6detail17trampoline_kernelINS0_13select_configILj256ELj13ELNS0_17block_load_methodE3ELS4_3ELS4_3ELNS0_20block_scan_algorithmE0ELj4294967295EEENS1_25partition_config_selectorILNS1_17partition_subalgoE3EjNS0_10empty_typeEbEEZZNS1_14partition_implILS8_3ELb0ES6_jNS0_17counting_iteratorIjlEEPS9_SE_NS0_5tupleIJPjSE_EEENSF_IJSE_SE_EEES9_SG_JZNS1_25segmented_radix_sort_implINS0_14default_configELb0EPKaPaPKlPlN2at6native12_GLOBAL__N_18offset_tEEE10hipError_tPvRmT1_PNSt15iterator_traitsISY_E10value_typeET2_T3_PNSZ_IS14_E10value_typeET4_jRbjT5_S1A_jjP12ihipStream_tbEUljE_EEESV_SW_SX_S14_S18_S1A_T6_T7_T9_mT8_S1C_bDpT10_ENKUlT_T0_E_clISt17integral_constantIbLb1EES1O_IbLb0EEEEDaS1K_S1L_EUlS1K_E_NS1_11comp_targetILNS1_3genE9ELNS1_11target_archE1100ELNS1_3gpuE3ELNS1_3repE0EEENS1_30default_config_static_selectorELNS0_4arch9wavefront6targetE1EEEvSY_
    .private_segment_fixed_size: 0
    .sgpr_count:     4
    .sgpr_spill_count: 0
    .symbol:         _ZN7rocprim17ROCPRIM_400000_NS6detail17trampoline_kernelINS0_13select_configILj256ELj13ELNS0_17block_load_methodE3ELS4_3ELS4_3ELNS0_20block_scan_algorithmE0ELj4294967295EEENS1_25partition_config_selectorILNS1_17partition_subalgoE3EjNS0_10empty_typeEbEEZZNS1_14partition_implILS8_3ELb0ES6_jNS0_17counting_iteratorIjlEEPS9_SE_NS0_5tupleIJPjSE_EEENSF_IJSE_SE_EEES9_SG_JZNS1_25segmented_radix_sort_implINS0_14default_configELb0EPKaPaPKlPlN2at6native12_GLOBAL__N_18offset_tEEE10hipError_tPvRmT1_PNSt15iterator_traitsISY_E10value_typeET2_T3_PNSZ_IS14_E10value_typeET4_jRbjT5_S1A_jjP12ihipStream_tbEUljE_EEESV_SW_SX_S14_S18_S1A_T6_T7_T9_mT8_S1C_bDpT10_ENKUlT_T0_E_clISt17integral_constantIbLb1EES1O_IbLb0EEEEDaS1K_S1L_EUlS1K_E_NS1_11comp_targetILNS1_3genE9ELNS1_11target_archE1100ELNS1_3gpuE3ELNS1_3repE0EEENS1_30default_config_static_selectorELNS0_4arch9wavefront6targetE1EEEvSY_.kd
    .uniform_work_group_size: 1
    .uses_dynamic_stack: false
    .vgpr_count:     0
    .vgpr_spill_count: 0
    .wavefront_size: 64
  - .agpr_count:     0
    .args:
      - .offset:         0
        .size:           144
        .value_kind:     by_value
    .group_segment_fixed_size: 0
    .kernarg_segment_align: 8
    .kernarg_segment_size: 144
    .language:       OpenCL C
    .language_version:
      - 2
      - 0
    .max_flat_workgroup_size: 256
    .name:           _ZN7rocprim17ROCPRIM_400000_NS6detail17trampoline_kernelINS0_13select_configILj256ELj13ELNS0_17block_load_methodE3ELS4_3ELS4_3ELNS0_20block_scan_algorithmE0ELj4294967295EEENS1_25partition_config_selectorILNS1_17partition_subalgoE3EjNS0_10empty_typeEbEEZZNS1_14partition_implILS8_3ELb0ES6_jNS0_17counting_iteratorIjlEEPS9_SE_NS0_5tupleIJPjSE_EEENSF_IJSE_SE_EEES9_SG_JZNS1_25segmented_radix_sort_implINS0_14default_configELb0EPKaPaPKlPlN2at6native12_GLOBAL__N_18offset_tEEE10hipError_tPvRmT1_PNSt15iterator_traitsISY_E10value_typeET2_T3_PNSZ_IS14_E10value_typeET4_jRbjT5_S1A_jjP12ihipStream_tbEUljE_EEESV_SW_SX_S14_S18_S1A_T6_T7_T9_mT8_S1C_bDpT10_ENKUlT_T0_E_clISt17integral_constantIbLb1EES1O_IbLb0EEEEDaS1K_S1L_EUlS1K_E_NS1_11comp_targetILNS1_3genE8ELNS1_11target_archE1030ELNS1_3gpuE2ELNS1_3repE0EEENS1_30default_config_static_selectorELNS0_4arch9wavefront6targetE1EEEvSY_
    .private_segment_fixed_size: 0
    .sgpr_count:     4
    .sgpr_spill_count: 0
    .symbol:         _ZN7rocprim17ROCPRIM_400000_NS6detail17trampoline_kernelINS0_13select_configILj256ELj13ELNS0_17block_load_methodE3ELS4_3ELS4_3ELNS0_20block_scan_algorithmE0ELj4294967295EEENS1_25partition_config_selectorILNS1_17partition_subalgoE3EjNS0_10empty_typeEbEEZZNS1_14partition_implILS8_3ELb0ES6_jNS0_17counting_iteratorIjlEEPS9_SE_NS0_5tupleIJPjSE_EEENSF_IJSE_SE_EEES9_SG_JZNS1_25segmented_radix_sort_implINS0_14default_configELb0EPKaPaPKlPlN2at6native12_GLOBAL__N_18offset_tEEE10hipError_tPvRmT1_PNSt15iterator_traitsISY_E10value_typeET2_T3_PNSZ_IS14_E10value_typeET4_jRbjT5_S1A_jjP12ihipStream_tbEUljE_EEESV_SW_SX_S14_S18_S1A_T6_T7_T9_mT8_S1C_bDpT10_ENKUlT_T0_E_clISt17integral_constantIbLb1EES1O_IbLb0EEEEDaS1K_S1L_EUlS1K_E_NS1_11comp_targetILNS1_3genE8ELNS1_11target_archE1030ELNS1_3gpuE2ELNS1_3repE0EEENS1_30default_config_static_selectorELNS0_4arch9wavefront6targetE1EEEvSY_.kd
    .uniform_work_group_size: 1
    .uses_dynamic_stack: false
    .vgpr_count:     0
    .vgpr_spill_count: 0
    .wavefront_size: 64
  - .agpr_count:     0
    .args:
      - .offset:         0
        .size:           152
        .value_kind:     by_value
    .group_segment_fixed_size: 0
    .kernarg_segment_align: 8
    .kernarg_segment_size: 152
    .language:       OpenCL C
    .language_version:
      - 2
      - 0
    .max_flat_workgroup_size: 256
    .name:           _ZN7rocprim17ROCPRIM_400000_NS6detail17trampoline_kernelINS0_13select_configILj256ELj13ELNS0_17block_load_methodE3ELS4_3ELS4_3ELNS0_20block_scan_algorithmE0ELj4294967295EEENS1_25partition_config_selectorILNS1_17partition_subalgoE3EjNS0_10empty_typeEbEEZZNS1_14partition_implILS8_3ELb0ES6_jNS0_17counting_iteratorIjlEEPS9_SE_NS0_5tupleIJPjSE_EEENSF_IJSE_SE_EEES9_SG_JZNS1_25segmented_radix_sort_implINS0_14default_configELb0EPKaPaPKlPlN2at6native12_GLOBAL__N_18offset_tEEE10hipError_tPvRmT1_PNSt15iterator_traitsISY_E10value_typeET2_T3_PNSZ_IS14_E10value_typeET4_jRbjT5_S1A_jjP12ihipStream_tbEUljE_EEESV_SW_SX_S14_S18_S1A_T6_T7_T9_mT8_S1C_bDpT10_ENKUlT_T0_E_clISt17integral_constantIbLb0EES1O_IbLb1EEEEDaS1K_S1L_EUlS1K_E_NS1_11comp_targetILNS1_3genE0ELNS1_11target_archE4294967295ELNS1_3gpuE0ELNS1_3repE0EEENS1_30default_config_static_selectorELNS0_4arch9wavefront6targetE1EEEvSY_
    .private_segment_fixed_size: 0
    .sgpr_count:     4
    .sgpr_spill_count: 0
    .symbol:         _ZN7rocprim17ROCPRIM_400000_NS6detail17trampoline_kernelINS0_13select_configILj256ELj13ELNS0_17block_load_methodE3ELS4_3ELS4_3ELNS0_20block_scan_algorithmE0ELj4294967295EEENS1_25partition_config_selectorILNS1_17partition_subalgoE3EjNS0_10empty_typeEbEEZZNS1_14partition_implILS8_3ELb0ES6_jNS0_17counting_iteratorIjlEEPS9_SE_NS0_5tupleIJPjSE_EEENSF_IJSE_SE_EEES9_SG_JZNS1_25segmented_radix_sort_implINS0_14default_configELb0EPKaPaPKlPlN2at6native12_GLOBAL__N_18offset_tEEE10hipError_tPvRmT1_PNSt15iterator_traitsISY_E10value_typeET2_T3_PNSZ_IS14_E10value_typeET4_jRbjT5_S1A_jjP12ihipStream_tbEUljE_EEESV_SW_SX_S14_S18_S1A_T6_T7_T9_mT8_S1C_bDpT10_ENKUlT_T0_E_clISt17integral_constantIbLb0EES1O_IbLb1EEEEDaS1K_S1L_EUlS1K_E_NS1_11comp_targetILNS1_3genE0ELNS1_11target_archE4294967295ELNS1_3gpuE0ELNS1_3repE0EEENS1_30default_config_static_selectorELNS0_4arch9wavefront6targetE1EEEvSY_.kd
    .uniform_work_group_size: 1
    .uses_dynamic_stack: false
    .vgpr_count:     0
    .vgpr_spill_count: 0
    .wavefront_size: 64
  - .agpr_count:     0
    .args:
      - .offset:         0
        .size:           152
        .value_kind:     by_value
    .group_segment_fixed_size: 0
    .kernarg_segment_align: 8
    .kernarg_segment_size: 152
    .language:       OpenCL C
    .language_version:
      - 2
      - 0
    .max_flat_workgroup_size: 256
    .name:           _ZN7rocprim17ROCPRIM_400000_NS6detail17trampoline_kernelINS0_13select_configILj256ELj13ELNS0_17block_load_methodE3ELS4_3ELS4_3ELNS0_20block_scan_algorithmE0ELj4294967295EEENS1_25partition_config_selectorILNS1_17partition_subalgoE3EjNS0_10empty_typeEbEEZZNS1_14partition_implILS8_3ELb0ES6_jNS0_17counting_iteratorIjlEEPS9_SE_NS0_5tupleIJPjSE_EEENSF_IJSE_SE_EEES9_SG_JZNS1_25segmented_radix_sort_implINS0_14default_configELb0EPKaPaPKlPlN2at6native12_GLOBAL__N_18offset_tEEE10hipError_tPvRmT1_PNSt15iterator_traitsISY_E10value_typeET2_T3_PNSZ_IS14_E10value_typeET4_jRbjT5_S1A_jjP12ihipStream_tbEUljE_EEESV_SW_SX_S14_S18_S1A_T6_T7_T9_mT8_S1C_bDpT10_ENKUlT_T0_E_clISt17integral_constantIbLb0EES1O_IbLb1EEEEDaS1K_S1L_EUlS1K_E_NS1_11comp_targetILNS1_3genE5ELNS1_11target_archE942ELNS1_3gpuE9ELNS1_3repE0EEENS1_30default_config_static_selectorELNS0_4arch9wavefront6targetE1EEEvSY_
    .private_segment_fixed_size: 0
    .sgpr_count:     4
    .sgpr_spill_count: 0
    .symbol:         _ZN7rocprim17ROCPRIM_400000_NS6detail17trampoline_kernelINS0_13select_configILj256ELj13ELNS0_17block_load_methodE3ELS4_3ELS4_3ELNS0_20block_scan_algorithmE0ELj4294967295EEENS1_25partition_config_selectorILNS1_17partition_subalgoE3EjNS0_10empty_typeEbEEZZNS1_14partition_implILS8_3ELb0ES6_jNS0_17counting_iteratorIjlEEPS9_SE_NS0_5tupleIJPjSE_EEENSF_IJSE_SE_EEES9_SG_JZNS1_25segmented_radix_sort_implINS0_14default_configELb0EPKaPaPKlPlN2at6native12_GLOBAL__N_18offset_tEEE10hipError_tPvRmT1_PNSt15iterator_traitsISY_E10value_typeET2_T3_PNSZ_IS14_E10value_typeET4_jRbjT5_S1A_jjP12ihipStream_tbEUljE_EEESV_SW_SX_S14_S18_S1A_T6_T7_T9_mT8_S1C_bDpT10_ENKUlT_T0_E_clISt17integral_constantIbLb0EES1O_IbLb1EEEEDaS1K_S1L_EUlS1K_E_NS1_11comp_targetILNS1_3genE5ELNS1_11target_archE942ELNS1_3gpuE9ELNS1_3repE0EEENS1_30default_config_static_selectorELNS0_4arch9wavefront6targetE1EEEvSY_.kd
    .uniform_work_group_size: 1
    .uses_dynamic_stack: false
    .vgpr_count:     0
    .vgpr_spill_count: 0
    .wavefront_size: 64
  - .agpr_count:     0
    .args:
      - .offset:         0
        .size:           152
        .value_kind:     by_value
    .group_segment_fixed_size: 13324
    .kernarg_segment_align: 8
    .kernarg_segment_size: 152
    .language:       OpenCL C
    .language_version:
      - 2
      - 0
    .max_flat_workgroup_size: 256
    .name:           _ZN7rocprim17ROCPRIM_400000_NS6detail17trampoline_kernelINS0_13select_configILj256ELj13ELNS0_17block_load_methodE3ELS4_3ELS4_3ELNS0_20block_scan_algorithmE0ELj4294967295EEENS1_25partition_config_selectorILNS1_17partition_subalgoE3EjNS0_10empty_typeEbEEZZNS1_14partition_implILS8_3ELb0ES6_jNS0_17counting_iteratorIjlEEPS9_SE_NS0_5tupleIJPjSE_EEENSF_IJSE_SE_EEES9_SG_JZNS1_25segmented_radix_sort_implINS0_14default_configELb0EPKaPaPKlPlN2at6native12_GLOBAL__N_18offset_tEEE10hipError_tPvRmT1_PNSt15iterator_traitsISY_E10value_typeET2_T3_PNSZ_IS14_E10value_typeET4_jRbjT5_S1A_jjP12ihipStream_tbEUljE_EEESV_SW_SX_S14_S18_S1A_T6_T7_T9_mT8_S1C_bDpT10_ENKUlT_T0_E_clISt17integral_constantIbLb0EES1O_IbLb1EEEEDaS1K_S1L_EUlS1K_E_NS1_11comp_targetILNS1_3genE4ELNS1_11target_archE910ELNS1_3gpuE8ELNS1_3repE0EEENS1_30default_config_static_selectorELNS0_4arch9wavefront6targetE1EEEvSY_
    .private_segment_fixed_size: 0
    .sgpr_count:     48
    .sgpr_spill_count: 0
    .symbol:         _ZN7rocprim17ROCPRIM_400000_NS6detail17trampoline_kernelINS0_13select_configILj256ELj13ELNS0_17block_load_methodE3ELS4_3ELS4_3ELNS0_20block_scan_algorithmE0ELj4294967295EEENS1_25partition_config_selectorILNS1_17partition_subalgoE3EjNS0_10empty_typeEbEEZZNS1_14partition_implILS8_3ELb0ES6_jNS0_17counting_iteratorIjlEEPS9_SE_NS0_5tupleIJPjSE_EEENSF_IJSE_SE_EEES9_SG_JZNS1_25segmented_radix_sort_implINS0_14default_configELb0EPKaPaPKlPlN2at6native12_GLOBAL__N_18offset_tEEE10hipError_tPvRmT1_PNSt15iterator_traitsISY_E10value_typeET2_T3_PNSZ_IS14_E10value_typeET4_jRbjT5_S1A_jjP12ihipStream_tbEUljE_EEESV_SW_SX_S14_S18_S1A_T6_T7_T9_mT8_S1C_bDpT10_ENKUlT_T0_E_clISt17integral_constantIbLb0EES1O_IbLb1EEEEDaS1K_S1L_EUlS1K_E_NS1_11comp_targetILNS1_3genE4ELNS1_11target_archE910ELNS1_3gpuE8ELNS1_3repE0EEENS1_30default_config_static_selectorELNS0_4arch9wavefront6targetE1EEEvSY_.kd
    .uniform_work_group_size: 1
    .uses_dynamic_stack: false
    .vgpr_count:     64
    .vgpr_spill_count: 0
    .wavefront_size: 64
  - .agpr_count:     0
    .args:
      - .offset:         0
        .size:           152
        .value_kind:     by_value
    .group_segment_fixed_size: 0
    .kernarg_segment_align: 8
    .kernarg_segment_size: 152
    .language:       OpenCL C
    .language_version:
      - 2
      - 0
    .max_flat_workgroup_size: 256
    .name:           _ZN7rocprim17ROCPRIM_400000_NS6detail17trampoline_kernelINS0_13select_configILj256ELj13ELNS0_17block_load_methodE3ELS4_3ELS4_3ELNS0_20block_scan_algorithmE0ELj4294967295EEENS1_25partition_config_selectorILNS1_17partition_subalgoE3EjNS0_10empty_typeEbEEZZNS1_14partition_implILS8_3ELb0ES6_jNS0_17counting_iteratorIjlEEPS9_SE_NS0_5tupleIJPjSE_EEENSF_IJSE_SE_EEES9_SG_JZNS1_25segmented_radix_sort_implINS0_14default_configELb0EPKaPaPKlPlN2at6native12_GLOBAL__N_18offset_tEEE10hipError_tPvRmT1_PNSt15iterator_traitsISY_E10value_typeET2_T3_PNSZ_IS14_E10value_typeET4_jRbjT5_S1A_jjP12ihipStream_tbEUljE_EEESV_SW_SX_S14_S18_S1A_T6_T7_T9_mT8_S1C_bDpT10_ENKUlT_T0_E_clISt17integral_constantIbLb0EES1O_IbLb1EEEEDaS1K_S1L_EUlS1K_E_NS1_11comp_targetILNS1_3genE3ELNS1_11target_archE908ELNS1_3gpuE7ELNS1_3repE0EEENS1_30default_config_static_selectorELNS0_4arch9wavefront6targetE1EEEvSY_
    .private_segment_fixed_size: 0
    .sgpr_count:     4
    .sgpr_spill_count: 0
    .symbol:         _ZN7rocprim17ROCPRIM_400000_NS6detail17trampoline_kernelINS0_13select_configILj256ELj13ELNS0_17block_load_methodE3ELS4_3ELS4_3ELNS0_20block_scan_algorithmE0ELj4294967295EEENS1_25partition_config_selectorILNS1_17partition_subalgoE3EjNS0_10empty_typeEbEEZZNS1_14partition_implILS8_3ELb0ES6_jNS0_17counting_iteratorIjlEEPS9_SE_NS0_5tupleIJPjSE_EEENSF_IJSE_SE_EEES9_SG_JZNS1_25segmented_radix_sort_implINS0_14default_configELb0EPKaPaPKlPlN2at6native12_GLOBAL__N_18offset_tEEE10hipError_tPvRmT1_PNSt15iterator_traitsISY_E10value_typeET2_T3_PNSZ_IS14_E10value_typeET4_jRbjT5_S1A_jjP12ihipStream_tbEUljE_EEESV_SW_SX_S14_S18_S1A_T6_T7_T9_mT8_S1C_bDpT10_ENKUlT_T0_E_clISt17integral_constantIbLb0EES1O_IbLb1EEEEDaS1K_S1L_EUlS1K_E_NS1_11comp_targetILNS1_3genE3ELNS1_11target_archE908ELNS1_3gpuE7ELNS1_3repE0EEENS1_30default_config_static_selectorELNS0_4arch9wavefront6targetE1EEEvSY_.kd
    .uniform_work_group_size: 1
    .uses_dynamic_stack: false
    .vgpr_count:     0
    .vgpr_spill_count: 0
    .wavefront_size: 64
  - .agpr_count:     0
    .args:
      - .offset:         0
        .size:           152
        .value_kind:     by_value
    .group_segment_fixed_size: 0
    .kernarg_segment_align: 8
    .kernarg_segment_size: 152
    .language:       OpenCL C
    .language_version:
      - 2
      - 0
    .max_flat_workgroup_size: 256
    .name:           _ZN7rocprim17ROCPRIM_400000_NS6detail17trampoline_kernelINS0_13select_configILj256ELj13ELNS0_17block_load_methodE3ELS4_3ELS4_3ELNS0_20block_scan_algorithmE0ELj4294967295EEENS1_25partition_config_selectorILNS1_17partition_subalgoE3EjNS0_10empty_typeEbEEZZNS1_14partition_implILS8_3ELb0ES6_jNS0_17counting_iteratorIjlEEPS9_SE_NS0_5tupleIJPjSE_EEENSF_IJSE_SE_EEES9_SG_JZNS1_25segmented_radix_sort_implINS0_14default_configELb0EPKaPaPKlPlN2at6native12_GLOBAL__N_18offset_tEEE10hipError_tPvRmT1_PNSt15iterator_traitsISY_E10value_typeET2_T3_PNSZ_IS14_E10value_typeET4_jRbjT5_S1A_jjP12ihipStream_tbEUljE_EEESV_SW_SX_S14_S18_S1A_T6_T7_T9_mT8_S1C_bDpT10_ENKUlT_T0_E_clISt17integral_constantIbLb0EES1O_IbLb1EEEEDaS1K_S1L_EUlS1K_E_NS1_11comp_targetILNS1_3genE2ELNS1_11target_archE906ELNS1_3gpuE6ELNS1_3repE0EEENS1_30default_config_static_selectorELNS0_4arch9wavefront6targetE1EEEvSY_
    .private_segment_fixed_size: 0
    .sgpr_count:     4
    .sgpr_spill_count: 0
    .symbol:         _ZN7rocprim17ROCPRIM_400000_NS6detail17trampoline_kernelINS0_13select_configILj256ELj13ELNS0_17block_load_methodE3ELS4_3ELS4_3ELNS0_20block_scan_algorithmE0ELj4294967295EEENS1_25partition_config_selectorILNS1_17partition_subalgoE3EjNS0_10empty_typeEbEEZZNS1_14partition_implILS8_3ELb0ES6_jNS0_17counting_iteratorIjlEEPS9_SE_NS0_5tupleIJPjSE_EEENSF_IJSE_SE_EEES9_SG_JZNS1_25segmented_radix_sort_implINS0_14default_configELb0EPKaPaPKlPlN2at6native12_GLOBAL__N_18offset_tEEE10hipError_tPvRmT1_PNSt15iterator_traitsISY_E10value_typeET2_T3_PNSZ_IS14_E10value_typeET4_jRbjT5_S1A_jjP12ihipStream_tbEUljE_EEESV_SW_SX_S14_S18_S1A_T6_T7_T9_mT8_S1C_bDpT10_ENKUlT_T0_E_clISt17integral_constantIbLb0EES1O_IbLb1EEEEDaS1K_S1L_EUlS1K_E_NS1_11comp_targetILNS1_3genE2ELNS1_11target_archE906ELNS1_3gpuE6ELNS1_3repE0EEENS1_30default_config_static_selectorELNS0_4arch9wavefront6targetE1EEEvSY_.kd
    .uniform_work_group_size: 1
    .uses_dynamic_stack: false
    .vgpr_count:     0
    .vgpr_spill_count: 0
    .wavefront_size: 64
  - .agpr_count:     0
    .args:
      - .offset:         0
        .size:           152
        .value_kind:     by_value
    .group_segment_fixed_size: 0
    .kernarg_segment_align: 8
    .kernarg_segment_size: 152
    .language:       OpenCL C
    .language_version:
      - 2
      - 0
    .max_flat_workgroup_size: 256
    .name:           _ZN7rocprim17ROCPRIM_400000_NS6detail17trampoline_kernelINS0_13select_configILj256ELj13ELNS0_17block_load_methodE3ELS4_3ELS4_3ELNS0_20block_scan_algorithmE0ELj4294967295EEENS1_25partition_config_selectorILNS1_17partition_subalgoE3EjNS0_10empty_typeEbEEZZNS1_14partition_implILS8_3ELb0ES6_jNS0_17counting_iteratorIjlEEPS9_SE_NS0_5tupleIJPjSE_EEENSF_IJSE_SE_EEES9_SG_JZNS1_25segmented_radix_sort_implINS0_14default_configELb0EPKaPaPKlPlN2at6native12_GLOBAL__N_18offset_tEEE10hipError_tPvRmT1_PNSt15iterator_traitsISY_E10value_typeET2_T3_PNSZ_IS14_E10value_typeET4_jRbjT5_S1A_jjP12ihipStream_tbEUljE_EEESV_SW_SX_S14_S18_S1A_T6_T7_T9_mT8_S1C_bDpT10_ENKUlT_T0_E_clISt17integral_constantIbLb0EES1O_IbLb1EEEEDaS1K_S1L_EUlS1K_E_NS1_11comp_targetILNS1_3genE10ELNS1_11target_archE1200ELNS1_3gpuE4ELNS1_3repE0EEENS1_30default_config_static_selectorELNS0_4arch9wavefront6targetE1EEEvSY_
    .private_segment_fixed_size: 0
    .sgpr_count:     4
    .sgpr_spill_count: 0
    .symbol:         _ZN7rocprim17ROCPRIM_400000_NS6detail17trampoline_kernelINS0_13select_configILj256ELj13ELNS0_17block_load_methodE3ELS4_3ELS4_3ELNS0_20block_scan_algorithmE0ELj4294967295EEENS1_25partition_config_selectorILNS1_17partition_subalgoE3EjNS0_10empty_typeEbEEZZNS1_14partition_implILS8_3ELb0ES6_jNS0_17counting_iteratorIjlEEPS9_SE_NS0_5tupleIJPjSE_EEENSF_IJSE_SE_EEES9_SG_JZNS1_25segmented_radix_sort_implINS0_14default_configELb0EPKaPaPKlPlN2at6native12_GLOBAL__N_18offset_tEEE10hipError_tPvRmT1_PNSt15iterator_traitsISY_E10value_typeET2_T3_PNSZ_IS14_E10value_typeET4_jRbjT5_S1A_jjP12ihipStream_tbEUljE_EEESV_SW_SX_S14_S18_S1A_T6_T7_T9_mT8_S1C_bDpT10_ENKUlT_T0_E_clISt17integral_constantIbLb0EES1O_IbLb1EEEEDaS1K_S1L_EUlS1K_E_NS1_11comp_targetILNS1_3genE10ELNS1_11target_archE1200ELNS1_3gpuE4ELNS1_3repE0EEENS1_30default_config_static_selectorELNS0_4arch9wavefront6targetE1EEEvSY_.kd
    .uniform_work_group_size: 1
    .uses_dynamic_stack: false
    .vgpr_count:     0
    .vgpr_spill_count: 0
    .wavefront_size: 64
  - .agpr_count:     0
    .args:
      - .offset:         0
        .size:           152
        .value_kind:     by_value
    .group_segment_fixed_size: 0
    .kernarg_segment_align: 8
    .kernarg_segment_size: 152
    .language:       OpenCL C
    .language_version:
      - 2
      - 0
    .max_flat_workgroup_size: 256
    .name:           _ZN7rocprim17ROCPRIM_400000_NS6detail17trampoline_kernelINS0_13select_configILj256ELj13ELNS0_17block_load_methodE3ELS4_3ELS4_3ELNS0_20block_scan_algorithmE0ELj4294967295EEENS1_25partition_config_selectorILNS1_17partition_subalgoE3EjNS0_10empty_typeEbEEZZNS1_14partition_implILS8_3ELb0ES6_jNS0_17counting_iteratorIjlEEPS9_SE_NS0_5tupleIJPjSE_EEENSF_IJSE_SE_EEES9_SG_JZNS1_25segmented_radix_sort_implINS0_14default_configELb0EPKaPaPKlPlN2at6native12_GLOBAL__N_18offset_tEEE10hipError_tPvRmT1_PNSt15iterator_traitsISY_E10value_typeET2_T3_PNSZ_IS14_E10value_typeET4_jRbjT5_S1A_jjP12ihipStream_tbEUljE_EEESV_SW_SX_S14_S18_S1A_T6_T7_T9_mT8_S1C_bDpT10_ENKUlT_T0_E_clISt17integral_constantIbLb0EES1O_IbLb1EEEEDaS1K_S1L_EUlS1K_E_NS1_11comp_targetILNS1_3genE9ELNS1_11target_archE1100ELNS1_3gpuE3ELNS1_3repE0EEENS1_30default_config_static_selectorELNS0_4arch9wavefront6targetE1EEEvSY_
    .private_segment_fixed_size: 0
    .sgpr_count:     4
    .sgpr_spill_count: 0
    .symbol:         _ZN7rocprim17ROCPRIM_400000_NS6detail17trampoline_kernelINS0_13select_configILj256ELj13ELNS0_17block_load_methodE3ELS4_3ELS4_3ELNS0_20block_scan_algorithmE0ELj4294967295EEENS1_25partition_config_selectorILNS1_17partition_subalgoE3EjNS0_10empty_typeEbEEZZNS1_14partition_implILS8_3ELb0ES6_jNS0_17counting_iteratorIjlEEPS9_SE_NS0_5tupleIJPjSE_EEENSF_IJSE_SE_EEES9_SG_JZNS1_25segmented_radix_sort_implINS0_14default_configELb0EPKaPaPKlPlN2at6native12_GLOBAL__N_18offset_tEEE10hipError_tPvRmT1_PNSt15iterator_traitsISY_E10value_typeET2_T3_PNSZ_IS14_E10value_typeET4_jRbjT5_S1A_jjP12ihipStream_tbEUljE_EEESV_SW_SX_S14_S18_S1A_T6_T7_T9_mT8_S1C_bDpT10_ENKUlT_T0_E_clISt17integral_constantIbLb0EES1O_IbLb1EEEEDaS1K_S1L_EUlS1K_E_NS1_11comp_targetILNS1_3genE9ELNS1_11target_archE1100ELNS1_3gpuE3ELNS1_3repE0EEENS1_30default_config_static_selectorELNS0_4arch9wavefront6targetE1EEEvSY_.kd
    .uniform_work_group_size: 1
    .uses_dynamic_stack: false
    .vgpr_count:     0
    .vgpr_spill_count: 0
    .wavefront_size: 64
  - .agpr_count:     0
    .args:
      - .offset:         0
        .size:           152
        .value_kind:     by_value
    .group_segment_fixed_size: 0
    .kernarg_segment_align: 8
    .kernarg_segment_size: 152
    .language:       OpenCL C
    .language_version:
      - 2
      - 0
    .max_flat_workgroup_size: 256
    .name:           _ZN7rocprim17ROCPRIM_400000_NS6detail17trampoline_kernelINS0_13select_configILj256ELj13ELNS0_17block_load_methodE3ELS4_3ELS4_3ELNS0_20block_scan_algorithmE0ELj4294967295EEENS1_25partition_config_selectorILNS1_17partition_subalgoE3EjNS0_10empty_typeEbEEZZNS1_14partition_implILS8_3ELb0ES6_jNS0_17counting_iteratorIjlEEPS9_SE_NS0_5tupleIJPjSE_EEENSF_IJSE_SE_EEES9_SG_JZNS1_25segmented_radix_sort_implINS0_14default_configELb0EPKaPaPKlPlN2at6native12_GLOBAL__N_18offset_tEEE10hipError_tPvRmT1_PNSt15iterator_traitsISY_E10value_typeET2_T3_PNSZ_IS14_E10value_typeET4_jRbjT5_S1A_jjP12ihipStream_tbEUljE_EEESV_SW_SX_S14_S18_S1A_T6_T7_T9_mT8_S1C_bDpT10_ENKUlT_T0_E_clISt17integral_constantIbLb0EES1O_IbLb1EEEEDaS1K_S1L_EUlS1K_E_NS1_11comp_targetILNS1_3genE8ELNS1_11target_archE1030ELNS1_3gpuE2ELNS1_3repE0EEENS1_30default_config_static_selectorELNS0_4arch9wavefront6targetE1EEEvSY_
    .private_segment_fixed_size: 0
    .sgpr_count:     4
    .sgpr_spill_count: 0
    .symbol:         _ZN7rocprim17ROCPRIM_400000_NS6detail17trampoline_kernelINS0_13select_configILj256ELj13ELNS0_17block_load_methodE3ELS4_3ELS4_3ELNS0_20block_scan_algorithmE0ELj4294967295EEENS1_25partition_config_selectorILNS1_17partition_subalgoE3EjNS0_10empty_typeEbEEZZNS1_14partition_implILS8_3ELb0ES6_jNS0_17counting_iteratorIjlEEPS9_SE_NS0_5tupleIJPjSE_EEENSF_IJSE_SE_EEES9_SG_JZNS1_25segmented_radix_sort_implINS0_14default_configELb0EPKaPaPKlPlN2at6native12_GLOBAL__N_18offset_tEEE10hipError_tPvRmT1_PNSt15iterator_traitsISY_E10value_typeET2_T3_PNSZ_IS14_E10value_typeET4_jRbjT5_S1A_jjP12ihipStream_tbEUljE_EEESV_SW_SX_S14_S18_S1A_T6_T7_T9_mT8_S1C_bDpT10_ENKUlT_T0_E_clISt17integral_constantIbLb0EES1O_IbLb1EEEEDaS1K_S1L_EUlS1K_E_NS1_11comp_targetILNS1_3genE8ELNS1_11target_archE1030ELNS1_3gpuE2ELNS1_3repE0EEENS1_30default_config_static_selectorELNS0_4arch9wavefront6targetE1EEEvSY_.kd
    .uniform_work_group_size: 1
    .uses_dynamic_stack: false
    .vgpr_count:     0
    .vgpr_spill_count: 0
    .wavefront_size: 64
  - .agpr_count:     0
    .args:
      - .offset:         0
        .size:           96
        .value_kind:     by_value
    .group_segment_fixed_size: 0
    .kernarg_segment_align: 8
    .kernarg_segment_size: 96
    .language:       OpenCL C
    .language_version:
      - 2
      - 0
    .max_flat_workgroup_size: 256
    .name:           _ZN7rocprim17ROCPRIM_400000_NS6detail17trampoline_kernelINS0_14default_configENS1_36segmented_radix_sort_config_selectorIalEEZNS1_25segmented_radix_sort_implIS3_Lb0EPKaPaPKlPlN2at6native12_GLOBAL__N_18offset_tEEE10hipError_tPvRmT1_PNSt15iterator_traitsISK_E10value_typeET2_T3_PNSL_ISQ_E10value_typeET4_jRbjT5_SW_jjP12ihipStream_tbEUlT_E_NS1_11comp_targetILNS1_3genE0ELNS1_11target_archE4294967295ELNS1_3gpuE0ELNS1_3repE0EEENS1_30default_config_static_selectorELNS0_4arch9wavefront6targetE1EEEvSK_
    .private_segment_fixed_size: 0
    .sgpr_count:     4
    .sgpr_spill_count: 0
    .symbol:         _ZN7rocprim17ROCPRIM_400000_NS6detail17trampoline_kernelINS0_14default_configENS1_36segmented_radix_sort_config_selectorIalEEZNS1_25segmented_radix_sort_implIS3_Lb0EPKaPaPKlPlN2at6native12_GLOBAL__N_18offset_tEEE10hipError_tPvRmT1_PNSt15iterator_traitsISK_E10value_typeET2_T3_PNSL_ISQ_E10value_typeET4_jRbjT5_SW_jjP12ihipStream_tbEUlT_E_NS1_11comp_targetILNS1_3genE0ELNS1_11target_archE4294967295ELNS1_3gpuE0ELNS1_3repE0EEENS1_30default_config_static_selectorELNS0_4arch9wavefront6targetE1EEEvSK_.kd
    .uniform_work_group_size: 1
    .uses_dynamic_stack: false
    .vgpr_count:     0
    .vgpr_spill_count: 0
    .wavefront_size: 64
  - .agpr_count:     0
    .args:
      - .offset:         0
        .size:           96
        .value_kind:     by_value
    .group_segment_fixed_size: 0
    .kernarg_segment_align: 8
    .kernarg_segment_size: 96
    .language:       OpenCL C
    .language_version:
      - 2
      - 0
    .max_flat_workgroup_size: 256
    .name:           _ZN7rocprim17ROCPRIM_400000_NS6detail17trampoline_kernelINS0_14default_configENS1_36segmented_radix_sort_config_selectorIalEEZNS1_25segmented_radix_sort_implIS3_Lb0EPKaPaPKlPlN2at6native12_GLOBAL__N_18offset_tEEE10hipError_tPvRmT1_PNSt15iterator_traitsISK_E10value_typeET2_T3_PNSL_ISQ_E10value_typeET4_jRbjT5_SW_jjP12ihipStream_tbEUlT_E_NS1_11comp_targetILNS1_3genE5ELNS1_11target_archE942ELNS1_3gpuE9ELNS1_3repE0EEENS1_30default_config_static_selectorELNS0_4arch9wavefront6targetE1EEEvSK_
    .private_segment_fixed_size: 0
    .sgpr_count:     4
    .sgpr_spill_count: 0
    .symbol:         _ZN7rocprim17ROCPRIM_400000_NS6detail17trampoline_kernelINS0_14default_configENS1_36segmented_radix_sort_config_selectorIalEEZNS1_25segmented_radix_sort_implIS3_Lb0EPKaPaPKlPlN2at6native12_GLOBAL__N_18offset_tEEE10hipError_tPvRmT1_PNSt15iterator_traitsISK_E10value_typeET2_T3_PNSL_ISQ_E10value_typeET4_jRbjT5_SW_jjP12ihipStream_tbEUlT_E_NS1_11comp_targetILNS1_3genE5ELNS1_11target_archE942ELNS1_3gpuE9ELNS1_3repE0EEENS1_30default_config_static_selectorELNS0_4arch9wavefront6targetE1EEEvSK_.kd
    .uniform_work_group_size: 1
    .uses_dynamic_stack: false
    .vgpr_count:     0
    .vgpr_spill_count: 0
    .wavefront_size: 64
  - .agpr_count:     0
    .args:
      - .offset:         0
        .size:           96
        .value_kind:     by_value
      - .offset:         96
        .size:           4
        .value_kind:     hidden_block_count_x
      - .offset:         100
        .size:           4
        .value_kind:     hidden_block_count_y
      - .offset:         104
        .size:           4
        .value_kind:     hidden_block_count_z
      - .offset:         108
        .size:           2
        .value_kind:     hidden_group_size_x
      - .offset:         110
        .size:           2
        .value_kind:     hidden_group_size_y
      - .offset:         112
        .size:           2
        .value_kind:     hidden_group_size_z
      - .offset:         114
        .size:           2
        .value_kind:     hidden_remainder_x
      - .offset:         116
        .size:           2
        .value_kind:     hidden_remainder_y
      - .offset:         118
        .size:           2
        .value_kind:     hidden_remainder_z
      - .offset:         136
        .size:           8
        .value_kind:     hidden_global_offset_x
      - .offset:         144
        .size:           8
        .value_kind:     hidden_global_offset_y
      - .offset:         152
        .size:           8
        .value_kind:     hidden_global_offset_z
      - .offset:         160
        .size:           2
        .value_kind:     hidden_grid_dims
      - .offset:         176
        .size:           8
        .value_kind:     hidden_hostcall_buffer
      - .offset:         184
        .size:           8
        .value_kind:     hidden_multigrid_sync_arg
      - .offset:         192
        .size:           8
        .value_kind:     hidden_heap_v1
      - .offset:         200
        .size:           8
        .value_kind:     hidden_default_queue
      - .offset:         208
        .size:           8
        .value_kind:     hidden_completion_action
      - .offset:         296
        .size:           8
        .value_kind:     hidden_queue_ptr
    .group_segment_fixed_size: 17424
    .kernarg_segment_align: 8
    .kernarg_segment_size: 352
    .language:       OpenCL C
    .language_version:
      - 2
      - 0
    .max_flat_workgroup_size: 256
    .name:           _ZN7rocprim17ROCPRIM_400000_NS6detail17trampoline_kernelINS0_14default_configENS1_36segmented_radix_sort_config_selectorIalEEZNS1_25segmented_radix_sort_implIS3_Lb0EPKaPaPKlPlN2at6native12_GLOBAL__N_18offset_tEEE10hipError_tPvRmT1_PNSt15iterator_traitsISK_E10value_typeET2_T3_PNSL_ISQ_E10value_typeET4_jRbjT5_SW_jjP12ihipStream_tbEUlT_E_NS1_11comp_targetILNS1_3genE4ELNS1_11target_archE910ELNS1_3gpuE8ELNS1_3repE0EEENS1_30default_config_static_selectorELNS0_4arch9wavefront6targetE1EEEvSK_
    .private_segment_fixed_size: 8
    .sgpr_count:     86
    .sgpr_spill_count: 0
    .symbol:         _ZN7rocprim17ROCPRIM_400000_NS6detail17trampoline_kernelINS0_14default_configENS1_36segmented_radix_sort_config_selectorIalEEZNS1_25segmented_radix_sort_implIS3_Lb0EPKaPaPKlPlN2at6native12_GLOBAL__N_18offset_tEEE10hipError_tPvRmT1_PNSt15iterator_traitsISK_E10value_typeET2_T3_PNSL_ISQ_E10value_typeET4_jRbjT5_SW_jjP12ihipStream_tbEUlT_E_NS1_11comp_targetILNS1_3genE4ELNS1_11target_archE910ELNS1_3gpuE8ELNS1_3repE0EEENS1_30default_config_static_selectorELNS0_4arch9wavefront6targetE1EEEvSK_.kd
    .uniform_work_group_size: 1
    .uses_dynamic_stack: false
    .vgpr_count:     168
    .vgpr_spill_count: 0
    .wavefront_size: 64
  - .agpr_count:     0
    .args:
      - .offset:         0
        .size:           96
        .value_kind:     by_value
    .group_segment_fixed_size: 0
    .kernarg_segment_align: 8
    .kernarg_segment_size: 96
    .language:       OpenCL C
    .language_version:
      - 2
      - 0
    .max_flat_workgroup_size: 256
    .name:           _ZN7rocprim17ROCPRIM_400000_NS6detail17trampoline_kernelINS0_14default_configENS1_36segmented_radix_sort_config_selectorIalEEZNS1_25segmented_radix_sort_implIS3_Lb0EPKaPaPKlPlN2at6native12_GLOBAL__N_18offset_tEEE10hipError_tPvRmT1_PNSt15iterator_traitsISK_E10value_typeET2_T3_PNSL_ISQ_E10value_typeET4_jRbjT5_SW_jjP12ihipStream_tbEUlT_E_NS1_11comp_targetILNS1_3genE3ELNS1_11target_archE908ELNS1_3gpuE7ELNS1_3repE0EEENS1_30default_config_static_selectorELNS0_4arch9wavefront6targetE1EEEvSK_
    .private_segment_fixed_size: 0
    .sgpr_count:     4
    .sgpr_spill_count: 0
    .symbol:         _ZN7rocprim17ROCPRIM_400000_NS6detail17trampoline_kernelINS0_14default_configENS1_36segmented_radix_sort_config_selectorIalEEZNS1_25segmented_radix_sort_implIS3_Lb0EPKaPaPKlPlN2at6native12_GLOBAL__N_18offset_tEEE10hipError_tPvRmT1_PNSt15iterator_traitsISK_E10value_typeET2_T3_PNSL_ISQ_E10value_typeET4_jRbjT5_SW_jjP12ihipStream_tbEUlT_E_NS1_11comp_targetILNS1_3genE3ELNS1_11target_archE908ELNS1_3gpuE7ELNS1_3repE0EEENS1_30default_config_static_selectorELNS0_4arch9wavefront6targetE1EEEvSK_.kd
    .uniform_work_group_size: 1
    .uses_dynamic_stack: false
    .vgpr_count:     0
    .vgpr_spill_count: 0
    .wavefront_size: 64
  - .agpr_count:     0
    .args:
      - .offset:         0
        .size:           96
        .value_kind:     by_value
    .group_segment_fixed_size: 0
    .kernarg_segment_align: 8
    .kernarg_segment_size: 96
    .language:       OpenCL C
    .language_version:
      - 2
      - 0
    .max_flat_workgroup_size: 256
    .name:           _ZN7rocprim17ROCPRIM_400000_NS6detail17trampoline_kernelINS0_14default_configENS1_36segmented_radix_sort_config_selectorIalEEZNS1_25segmented_radix_sort_implIS3_Lb0EPKaPaPKlPlN2at6native12_GLOBAL__N_18offset_tEEE10hipError_tPvRmT1_PNSt15iterator_traitsISK_E10value_typeET2_T3_PNSL_ISQ_E10value_typeET4_jRbjT5_SW_jjP12ihipStream_tbEUlT_E_NS1_11comp_targetILNS1_3genE2ELNS1_11target_archE906ELNS1_3gpuE6ELNS1_3repE0EEENS1_30default_config_static_selectorELNS0_4arch9wavefront6targetE1EEEvSK_
    .private_segment_fixed_size: 0
    .sgpr_count:     4
    .sgpr_spill_count: 0
    .symbol:         _ZN7rocprim17ROCPRIM_400000_NS6detail17trampoline_kernelINS0_14default_configENS1_36segmented_radix_sort_config_selectorIalEEZNS1_25segmented_radix_sort_implIS3_Lb0EPKaPaPKlPlN2at6native12_GLOBAL__N_18offset_tEEE10hipError_tPvRmT1_PNSt15iterator_traitsISK_E10value_typeET2_T3_PNSL_ISQ_E10value_typeET4_jRbjT5_SW_jjP12ihipStream_tbEUlT_E_NS1_11comp_targetILNS1_3genE2ELNS1_11target_archE906ELNS1_3gpuE6ELNS1_3repE0EEENS1_30default_config_static_selectorELNS0_4arch9wavefront6targetE1EEEvSK_.kd
    .uniform_work_group_size: 1
    .uses_dynamic_stack: false
    .vgpr_count:     0
    .vgpr_spill_count: 0
    .wavefront_size: 64
  - .agpr_count:     0
    .args:
      - .offset:         0
        .size:           96
        .value_kind:     by_value
    .group_segment_fixed_size: 0
    .kernarg_segment_align: 8
    .kernarg_segment_size: 96
    .language:       OpenCL C
    .language_version:
      - 2
      - 0
    .max_flat_workgroup_size: 256
    .name:           _ZN7rocprim17ROCPRIM_400000_NS6detail17trampoline_kernelINS0_14default_configENS1_36segmented_radix_sort_config_selectorIalEEZNS1_25segmented_radix_sort_implIS3_Lb0EPKaPaPKlPlN2at6native12_GLOBAL__N_18offset_tEEE10hipError_tPvRmT1_PNSt15iterator_traitsISK_E10value_typeET2_T3_PNSL_ISQ_E10value_typeET4_jRbjT5_SW_jjP12ihipStream_tbEUlT_E_NS1_11comp_targetILNS1_3genE10ELNS1_11target_archE1201ELNS1_3gpuE5ELNS1_3repE0EEENS1_30default_config_static_selectorELNS0_4arch9wavefront6targetE1EEEvSK_
    .private_segment_fixed_size: 0
    .sgpr_count:     4
    .sgpr_spill_count: 0
    .symbol:         _ZN7rocprim17ROCPRIM_400000_NS6detail17trampoline_kernelINS0_14default_configENS1_36segmented_radix_sort_config_selectorIalEEZNS1_25segmented_radix_sort_implIS3_Lb0EPKaPaPKlPlN2at6native12_GLOBAL__N_18offset_tEEE10hipError_tPvRmT1_PNSt15iterator_traitsISK_E10value_typeET2_T3_PNSL_ISQ_E10value_typeET4_jRbjT5_SW_jjP12ihipStream_tbEUlT_E_NS1_11comp_targetILNS1_3genE10ELNS1_11target_archE1201ELNS1_3gpuE5ELNS1_3repE0EEENS1_30default_config_static_selectorELNS0_4arch9wavefront6targetE1EEEvSK_.kd
    .uniform_work_group_size: 1
    .uses_dynamic_stack: false
    .vgpr_count:     0
    .vgpr_spill_count: 0
    .wavefront_size: 64
  - .agpr_count:     0
    .args:
      - .offset:         0
        .size:           96
        .value_kind:     by_value
    .group_segment_fixed_size: 0
    .kernarg_segment_align: 8
    .kernarg_segment_size: 96
    .language:       OpenCL C
    .language_version:
      - 2
      - 0
    .max_flat_workgroup_size: 128
    .name:           _ZN7rocprim17ROCPRIM_400000_NS6detail17trampoline_kernelINS0_14default_configENS1_36segmented_radix_sort_config_selectorIalEEZNS1_25segmented_radix_sort_implIS3_Lb0EPKaPaPKlPlN2at6native12_GLOBAL__N_18offset_tEEE10hipError_tPvRmT1_PNSt15iterator_traitsISK_E10value_typeET2_T3_PNSL_ISQ_E10value_typeET4_jRbjT5_SW_jjP12ihipStream_tbEUlT_E_NS1_11comp_targetILNS1_3genE10ELNS1_11target_archE1200ELNS1_3gpuE4ELNS1_3repE0EEENS1_30default_config_static_selectorELNS0_4arch9wavefront6targetE1EEEvSK_
    .private_segment_fixed_size: 0
    .sgpr_count:     4
    .sgpr_spill_count: 0
    .symbol:         _ZN7rocprim17ROCPRIM_400000_NS6detail17trampoline_kernelINS0_14default_configENS1_36segmented_radix_sort_config_selectorIalEEZNS1_25segmented_radix_sort_implIS3_Lb0EPKaPaPKlPlN2at6native12_GLOBAL__N_18offset_tEEE10hipError_tPvRmT1_PNSt15iterator_traitsISK_E10value_typeET2_T3_PNSL_ISQ_E10value_typeET4_jRbjT5_SW_jjP12ihipStream_tbEUlT_E_NS1_11comp_targetILNS1_3genE10ELNS1_11target_archE1200ELNS1_3gpuE4ELNS1_3repE0EEENS1_30default_config_static_selectorELNS0_4arch9wavefront6targetE1EEEvSK_.kd
    .uniform_work_group_size: 1
    .uses_dynamic_stack: false
    .vgpr_count:     0
    .vgpr_spill_count: 0
    .wavefront_size: 64
  - .agpr_count:     0
    .args:
      - .offset:         0
        .size:           96
        .value_kind:     by_value
    .group_segment_fixed_size: 0
    .kernarg_segment_align: 8
    .kernarg_segment_size: 96
    .language:       OpenCL C
    .language_version:
      - 2
      - 0
    .max_flat_workgroup_size: 256
    .name:           _ZN7rocprim17ROCPRIM_400000_NS6detail17trampoline_kernelINS0_14default_configENS1_36segmented_radix_sort_config_selectorIalEEZNS1_25segmented_radix_sort_implIS3_Lb0EPKaPaPKlPlN2at6native12_GLOBAL__N_18offset_tEEE10hipError_tPvRmT1_PNSt15iterator_traitsISK_E10value_typeET2_T3_PNSL_ISQ_E10value_typeET4_jRbjT5_SW_jjP12ihipStream_tbEUlT_E_NS1_11comp_targetILNS1_3genE9ELNS1_11target_archE1100ELNS1_3gpuE3ELNS1_3repE0EEENS1_30default_config_static_selectorELNS0_4arch9wavefront6targetE1EEEvSK_
    .private_segment_fixed_size: 0
    .sgpr_count:     4
    .sgpr_spill_count: 0
    .symbol:         _ZN7rocprim17ROCPRIM_400000_NS6detail17trampoline_kernelINS0_14default_configENS1_36segmented_radix_sort_config_selectorIalEEZNS1_25segmented_radix_sort_implIS3_Lb0EPKaPaPKlPlN2at6native12_GLOBAL__N_18offset_tEEE10hipError_tPvRmT1_PNSt15iterator_traitsISK_E10value_typeET2_T3_PNSL_ISQ_E10value_typeET4_jRbjT5_SW_jjP12ihipStream_tbEUlT_E_NS1_11comp_targetILNS1_3genE9ELNS1_11target_archE1100ELNS1_3gpuE3ELNS1_3repE0EEENS1_30default_config_static_selectorELNS0_4arch9wavefront6targetE1EEEvSK_.kd
    .uniform_work_group_size: 1
    .uses_dynamic_stack: false
    .vgpr_count:     0
    .vgpr_spill_count: 0
    .wavefront_size: 64
  - .agpr_count:     0
    .args:
      - .offset:         0
        .size:           96
        .value_kind:     by_value
    .group_segment_fixed_size: 0
    .kernarg_segment_align: 8
    .kernarg_segment_size: 96
    .language:       OpenCL C
    .language_version:
      - 2
      - 0
    .max_flat_workgroup_size: 256
    .name:           _ZN7rocprim17ROCPRIM_400000_NS6detail17trampoline_kernelINS0_14default_configENS1_36segmented_radix_sort_config_selectorIalEEZNS1_25segmented_radix_sort_implIS3_Lb0EPKaPaPKlPlN2at6native12_GLOBAL__N_18offset_tEEE10hipError_tPvRmT1_PNSt15iterator_traitsISK_E10value_typeET2_T3_PNSL_ISQ_E10value_typeET4_jRbjT5_SW_jjP12ihipStream_tbEUlT_E_NS1_11comp_targetILNS1_3genE8ELNS1_11target_archE1030ELNS1_3gpuE2ELNS1_3repE0EEENS1_30default_config_static_selectorELNS0_4arch9wavefront6targetE1EEEvSK_
    .private_segment_fixed_size: 0
    .sgpr_count:     4
    .sgpr_spill_count: 0
    .symbol:         _ZN7rocprim17ROCPRIM_400000_NS6detail17trampoline_kernelINS0_14default_configENS1_36segmented_radix_sort_config_selectorIalEEZNS1_25segmented_radix_sort_implIS3_Lb0EPKaPaPKlPlN2at6native12_GLOBAL__N_18offset_tEEE10hipError_tPvRmT1_PNSt15iterator_traitsISK_E10value_typeET2_T3_PNSL_ISQ_E10value_typeET4_jRbjT5_SW_jjP12ihipStream_tbEUlT_E_NS1_11comp_targetILNS1_3genE8ELNS1_11target_archE1030ELNS1_3gpuE2ELNS1_3repE0EEENS1_30default_config_static_selectorELNS0_4arch9wavefront6targetE1EEEvSK_.kd
    .uniform_work_group_size: 1
    .uses_dynamic_stack: false
    .vgpr_count:     0
    .vgpr_spill_count: 0
    .wavefront_size: 64
  - .agpr_count:     0
    .args:
      - .offset:         0
        .size:           88
        .value_kind:     by_value
    .group_segment_fixed_size: 0
    .kernarg_segment_align: 8
    .kernarg_segment_size: 88
    .language:       OpenCL C
    .language_version:
      - 2
      - 0
    .max_flat_workgroup_size: 256
    .name:           _ZN7rocprim17ROCPRIM_400000_NS6detail17trampoline_kernelINS0_14default_configENS1_36segmented_radix_sort_config_selectorIalEEZNS1_25segmented_radix_sort_implIS3_Lb0EPKaPaPKlPlN2at6native12_GLOBAL__N_18offset_tEEE10hipError_tPvRmT1_PNSt15iterator_traitsISK_E10value_typeET2_T3_PNSL_ISQ_E10value_typeET4_jRbjT5_SW_jjP12ihipStream_tbEUlT_E0_NS1_11comp_targetILNS1_3genE0ELNS1_11target_archE4294967295ELNS1_3gpuE0ELNS1_3repE0EEENS1_60segmented_radix_sort_warp_sort_medium_config_static_selectorELNS0_4arch9wavefront6targetE1EEEvSK_
    .private_segment_fixed_size: 0
    .sgpr_count:     4
    .sgpr_spill_count: 0
    .symbol:         _ZN7rocprim17ROCPRIM_400000_NS6detail17trampoline_kernelINS0_14default_configENS1_36segmented_radix_sort_config_selectorIalEEZNS1_25segmented_radix_sort_implIS3_Lb0EPKaPaPKlPlN2at6native12_GLOBAL__N_18offset_tEEE10hipError_tPvRmT1_PNSt15iterator_traitsISK_E10value_typeET2_T3_PNSL_ISQ_E10value_typeET4_jRbjT5_SW_jjP12ihipStream_tbEUlT_E0_NS1_11comp_targetILNS1_3genE0ELNS1_11target_archE4294967295ELNS1_3gpuE0ELNS1_3repE0EEENS1_60segmented_radix_sort_warp_sort_medium_config_static_selectorELNS0_4arch9wavefront6targetE1EEEvSK_.kd
    .uniform_work_group_size: 1
    .uses_dynamic_stack: false
    .vgpr_count:     0
    .vgpr_spill_count: 0
    .wavefront_size: 64
  - .agpr_count:     0
    .args:
      - .offset:         0
        .size:           88
        .value_kind:     by_value
    .group_segment_fixed_size: 0
    .kernarg_segment_align: 8
    .kernarg_segment_size: 88
    .language:       OpenCL C
    .language_version:
      - 2
      - 0
    .max_flat_workgroup_size: 256
    .name:           _ZN7rocprim17ROCPRIM_400000_NS6detail17trampoline_kernelINS0_14default_configENS1_36segmented_radix_sort_config_selectorIalEEZNS1_25segmented_radix_sort_implIS3_Lb0EPKaPaPKlPlN2at6native12_GLOBAL__N_18offset_tEEE10hipError_tPvRmT1_PNSt15iterator_traitsISK_E10value_typeET2_T3_PNSL_ISQ_E10value_typeET4_jRbjT5_SW_jjP12ihipStream_tbEUlT_E0_NS1_11comp_targetILNS1_3genE5ELNS1_11target_archE942ELNS1_3gpuE9ELNS1_3repE0EEENS1_60segmented_radix_sort_warp_sort_medium_config_static_selectorELNS0_4arch9wavefront6targetE1EEEvSK_
    .private_segment_fixed_size: 0
    .sgpr_count:     4
    .sgpr_spill_count: 0
    .symbol:         _ZN7rocprim17ROCPRIM_400000_NS6detail17trampoline_kernelINS0_14default_configENS1_36segmented_radix_sort_config_selectorIalEEZNS1_25segmented_radix_sort_implIS3_Lb0EPKaPaPKlPlN2at6native12_GLOBAL__N_18offset_tEEE10hipError_tPvRmT1_PNSt15iterator_traitsISK_E10value_typeET2_T3_PNSL_ISQ_E10value_typeET4_jRbjT5_SW_jjP12ihipStream_tbEUlT_E0_NS1_11comp_targetILNS1_3genE5ELNS1_11target_archE942ELNS1_3gpuE9ELNS1_3repE0EEENS1_60segmented_radix_sort_warp_sort_medium_config_static_selectorELNS0_4arch9wavefront6targetE1EEEvSK_.kd
    .uniform_work_group_size: 1
    .uses_dynamic_stack: false
    .vgpr_count:     0
    .vgpr_spill_count: 0
    .wavefront_size: 64
  - .agpr_count:     0
    .args:
      - .offset:         0
        .size:           88
        .value_kind:     by_value
      - .offset:         88
        .size:           4
        .value_kind:     hidden_block_count_x
      - .offset:         92
        .size:           4
        .value_kind:     hidden_block_count_y
      - .offset:         96
        .size:           4
        .value_kind:     hidden_block_count_z
      - .offset:         100
        .size:           2
        .value_kind:     hidden_group_size_x
      - .offset:         102
        .size:           2
        .value_kind:     hidden_group_size_y
      - .offset:         104
        .size:           2
        .value_kind:     hidden_group_size_z
      - .offset:         106
        .size:           2
        .value_kind:     hidden_remainder_x
      - .offset:         108
        .size:           2
        .value_kind:     hidden_remainder_y
      - .offset:         110
        .size:           2
        .value_kind:     hidden_remainder_z
      - .offset:         128
        .size:           8
        .value_kind:     hidden_global_offset_x
      - .offset:         136
        .size:           8
        .value_kind:     hidden_global_offset_y
      - .offset:         144
        .size:           8
        .value_kind:     hidden_global_offset_z
      - .offset:         152
        .size:           2
        .value_kind:     hidden_grid_dims
      - .offset:         168
        .size:           8
        .value_kind:     hidden_hostcall_buffer
      - .offset:         176
        .size:           8
        .value_kind:     hidden_multigrid_sync_arg
      - .offset:         184
        .size:           8
        .value_kind:     hidden_heap_v1
      - .offset:         192
        .size:           8
        .value_kind:     hidden_default_queue
      - .offset:         200
        .size:           8
        .value_kind:     hidden_completion_action
      - .offset:         288
        .size:           8
        .value_kind:     hidden_queue_ptr
    .group_segment_fixed_size: 18432
    .kernarg_segment_align: 8
    .kernarg_segment_size: 344
    .language:       OpenCL C
    .language_version:
      - 2
      - 0
    .max_flat_workgroup_size: 256
    .name:           _ZN7rocprim17ROCPRIM_400000_NS6detail17trampoline_kernelINS0_14default_configENS1_36segmented_radix_sort_config_selectorIalEEZNS1_25segmented_radix_sort_implIS3_Lb0EPKaPaPKlPlN2at6native12_GLOBAL__N_18offset_tEEE10hipError_tPvRmT1_PNSt15iterator_traitsISK_E10value_typeET2_T3_PNSL_ISQ_E10value_typeET4_jRbjT5_SW_jjP12ihipStream_tbEUlT_E0_NS1_11comp_targetILNS1_3genE4ELNS1_11target_archE910ELNS1_3gpuE8ELNS1_3repE0EEENS1_60segmented_radix_sort_warp_sort_medium_config_static_selectorELNS0_4arch9wavefront6targetE1EEEvSK_
    .private_segment_fixed_size: 8
    .sgpr_count:     68
    .sgpr_spill_count: 0
    .symbol:         _ZN7rocprim17ROCPRIM_400000_NS6detail17trampoline_kernelINS0_14default_configENS1_36segmented_radix_sort_config_selectorIalEEZNS1_25segmented_radix_sort_implIS3_Lb0EPKaPaPKlPlN2at6native12_GLOBAL__N_18offset_tEEE10hipError_tPvRmT1_PNSt15iterator_traitsISK_E10value_typeET2_T3_PNSL_ISQ_E10value_typeET4_jRbjT5_SW_jjP12ihipStream_tbEUlT_E0_NS1_11comp_targetILNS1_3genE4ELNS1_11target_archE910ELNS1_3gpuE8ELNS1_3repE0EEENS1_60segmented_radix_sort_warp_sort_medium_config_static_selectorELNS0_4arch9wavefront6targetE1EEEvSK_.kd
    .uniform_work_group_size: 1
    .uses_dynamic_stack: false
    .vgpr_count:     69
    .vgpr_spill_count: 0
    .wavefront_size: 64
  - .agpr_count:     0
    .args:
      - .offset:         0
        .size:           88
        .value_kind:     by_value
    .group_segment_fixed_size: 0
    .kernarg_segment_align: 8
    .kernarg_segment_size: 88
    .language:       OpenCL C
    .language_version:
      - 2
      - 0
    .max_flat_workgroup_size: 256
    .name:           _ZN7rocprim17ROCPRIM_400000_NS6detail17trampoline_kernelINS0_14default_configENS1_36segmented_radix_sort_config_selectorIalEEZNS1_25segmented_radix_sort_implIS3_Lb0EPKaPaPKlPlN2at6native12_GLOBAL__N_18offset_tEEE10hipError_tPvRmT1_PNSt15iterator_traitsISK_E10value_typeET2_T3_PNSL_ISQ_E10value_typeET4_jRbjT5_SW_jjP12ihipStream_tbEUlT_E0_NS1_11comp_targetILNS1_3genE3ELNS1_11target_archE908ELNS1_3gpuE7ELNS1_3repE0EEENS1_60segmented_radix_sort_warp_sort_medium_config_static_selectorELNS0_4arch9wavefront6targetE1EEEvSK_
    .private_segment_fixed_size: 0
    .sgpr_count:     4
    .sgpr_spill_count: 0
    .symbol:         _ZN7rocprim17ROCPRIM_400000_NS6detail17trampoline_kernelINS0_14default_configENS1_36segmented_radix_sort_config_selectorIalEEZNS1_25segmented_radix_sort_implIS3_Lb0EPKaPaPKlPlN2at6native12_GLOBAL__N_18offset_tEEE10hipError_tPvRmT1_PNSt15iterator_traitsISK_E10value_typeET2_T3_PNSL_ISQ_E10value_typeET4_jRbjT5_SW_jjP12ihipStream_tbEUlT_E0_NS1_11comp_targetILNS1_3genE3ELNS1_11target_archE908ELNS1_3gpuE7ELNS1_3repE0EEENS1_60segmented_radix_sort_warp_sort_medium_config_static_selectorELNS0_4arch9wavefront6targetE1EEEvSK_.kd
    .uniform_work_group_size: 1
    .uses_dynamic_stack: false
    .vgpr_count:     0
    .vgpr_spill_count: 0
    .wavefront_size: 64
  - .agpr_count:     0
    .args:
      - .offset:         0
        .size:           88
        .value_kind:     by_value
    .group_segment_fixed_size: 0
    .kernarg_segment_align: 8
    .kernarg_segment_size: 88
    .language:       OpenCL C
    .language_version:
      - 2
      - 0
    .max_flat_workgroup_size: 256
    .name:           _ZN7rocprim17ROCPRIM_400000_NS6detail17trampoline_kernelINS0_14default_configENS1_36segmented_radix_sort_config_selectorIalEEZNS1_25segmented_radix_sort_implIS3_Lb0EPKaPaPKlPlN2at6native12_GLOBAL__N_18offset_tEEE10hipError_tPvRmT1_PNSt15iterator_traitsISK_E10value_typeET2_T3_PNSL_ISQ_E10value_typeET4_jRbjT5_SW_jjP12ihipStream_tbEUlT_E0_NS1_11comp_targetILNS1_3genE2ELNS1_11target_archE906ELNS1_3gpuE6ELNS1_3repE0EEENS1_60segmented_radix_sort_warp_sort_medium_config_static_selectorELNS0_4arch9wavefront6targetE1EEEvSK_
    .private_segment_fixed_size: 0
    .sgpr_count:     4
    .sgpr_spill_count: 0
    .symbol:         _ZN7rocprim17ROCPRIM_400000_NS6detail17trampoline_kernelINS0_14default_configENS1_36segmented_radix_sort_config_selectorIalEEZNS1_25segmented_radix_sort_implIS3_Lb0EPKaPaPKlPlN2at6native12_GLOBAL__N_18offset_tEEE10hipError_tPvRmT1_PNSt15iterator_traitsISK_E10value_typeET2_T3_PNSL_ISQ_E10value_typeET4_jRbjT5_SW_jjP12ihipStream_tbEUlT_E0_NS1_11comp_targetILNS1_3genE2ELNS1_11target_archE906ELNS1_3gpuE6ELNS1_3repE0EEENS1_60segmented_radix_sort_warp_sort_medium_config_static_selectorELNS0_4arch9wavefront6targetE1EEEvSK_.kd
    .uniform_work_group_size: 1
    .uses_dynamic_stack: false
    .vgpr_count:     0
    .vgpr_spill_count: 0
    .wavefront_size: 64
  - .agpr_count:     0
    .args:
      - .offset:         0
        .size:           88
        .value_kind:     by_value
    .group_segment_fixed_size: 0
    .kernarg_segment_align: 8
    .kernarg_segment_size: 88
    .language:       OpenCL C
    .language_version:
      - 2
      - 0
    .max_flat_workgroup_size: 256
    .name:           _ZN7rocprim17ROCPRIM_400000_NS6detail17trampoline_kernelINS0_14default_configENS1_36segmented_radix_sort_config_selectorIalEEZNS1_25segmented_radix_sort_implIS3_Lb0EPKaPaPKlPlN2at6native12_GLOBAL__N_18offset_tEEE10hipError_tPvRmT1_PNSt15iterator_traitsISK_E10value_typeET2_T3_PNSL_ISQ_E10value_typeET4_jRbjT5_SW_jjP12ihipStream_tbEUlT_E0_NS1_11comp_targetILNS1_3genE10ELNS1_11target_archE1201ELNS1_3gpuE5ELNS1_3repE0EEENS1_60segmented_radix_sort_warp_sort_medium_config_static_selectorELNS0_4arch9wavefront6targetE1EEEvSK_
    .private_segment_fixed_size: 0
    .sgpr_count:     4
    .sgpr_spill_count: 0
    .symbol:         _ZN7rocprim17ROCPRIM_400000_NS6detail17trampoline_kernelINS0_14default_configENS1_36segmented_radix_sort_config_selectorIalEEZNS1_25segmented_radix_sort_implIS3_Lb0EPKaPaPKlPlN2at6native12_GLOBAL__N_18offset_tEEE10hipError_tPvRmT1_PNSt15iterator_traitsISK_E10value_typeET2_T3_PNSL_ISQ_E10value_typeET4_jRbjT5_SW_jjP12ihipStream_tbEUlT_E0_NS1_11comp_targetILNS1_3genE10ELNS1_11target_archE1201ELNS1_3gpuE5ELNS1_3repE0EEENS1_60segmented_radix_sort_warp_sort_medium_config_static_selectorELNS0_4arch9wavefront6targetE1EEEvSK_.kd
    .uniform_work_group_size: 1
    .uses_dynamic_stack: false
    .vgpr_count:     0
    .vgpr_spill_count: 0
    .wavefront_size: 64
  - .agpr_count:     0
    .args:
      - .offset:         0
        .size:           88
        .value_kind:     by_value
    .group_segment_fixed_size: 0
    .kernarg_segment_align: 8
    .kernarg_segment_size: 88
    .language:       OpenCL C
    .language_version:
      - 2
      - 0
    .max_flat_workgroup_size: 256
    .name:           _ZN7rocprim17ROCPRIM_400000_NS6detail17trampoline_kernelINS0_14default_configENS1_36segmented_radix_sort_config_selectorIalEEZNS1_25segmented_radix_sort_implIS3_Lb0EPKaPaPKlPlN2at6native12_GLOBAL__N_18offset_tEEE10hipError_tPvRmT1_PNSt15iterator_traitsISK_E10value_typeET2_T3_PNSL_ISQ_E10value_typeET4_jRbjT5_SW_jjP12ihipStream_tbEUlT_E0_NS1_11comp_targetILNS1_3genE10ELNS1_11target_archE1200ELNS1_3gpuE4ELNS1_3repE0EEENS1_60segmented_radix_sort_warp_sort_medium_config_static_selectorELNS0_4arch9wavefront6targetE1EEEvSK_
    .private_segment_fixed_size: 0
    .sgpr_count:     4
    .sgpr_spill_count: 0
    .symbol:         _ZN7rocprim17ROCPRIM_400000_NS6detail17trampoline_kernelINS0_14default_configENS1_36segmented_radix_sort_config_selectorIalEEZNS1_25segmented_radix_sort_implIS3_Lb0EPKaPaPKlPlN2at6native12_GLOBAL__N_18offset_tEEE10hipError_tPvRmT1_PNSt15iterator_traitsISK_E10value_typeET2_T3_PNSL_ISQ_E10value_typeET4_jRbjT5_SW_jjP12ihipStream_tbEUlT_E0_NS1_11comp_targetILNS1_3genE10ELNS1_11target_archE1200ELNS1_3gpuE4ELNS1_3repE0EEENS1_60segmented_radix_sort_warp_sort_medium_config_static_selectorELNS0_4arch9wavefront6targetE1EEEvSK_.kd
    .uniform_work_group_size: 1
    .uses_dynamic_stack: false
    .vgpr_count:     0
    .vgpr_spill_count: 0
    .wavefront_size: 64
  - .agpr_count:     0
    .args:
      - .offset:         0
        .size:           88
        .value_kind:     by_value
    .group_segment_fixed_size: 0
    .kernarg_segment_align: 8
    .kernarg_segment_size: 88
    .language:       OpenCL C
    .language_version:
      - 2
      - 0
    .max_flat_workgroup_size: 256
    .name:           _ZN7rocprim17ROCPRIM_400000_NS6detail17trampoline_kernelINS0_14default_configENS1_36segmented_radix_sort_config_selectorIalEEZNS1_25segmented_radix_sort_implIS3_Lb0EPKaPaPKlPlN2at6native12_GLOBAL__N_18offset_tEEE10hipError_tPvRmT1_PNSt15iterator_traitsISK_E10value_typeET2_T3_PNSL_ISQ_E10value_typeET4_jRbjT5_SW_jjP12ihipStream_tbEUlT_E0_NS1_11comp_targetILNS1_3genE9ELNS1_11target_archE1100ELNS1_3gpuE3ELNS1_3repE0EEENS1_60segmented_radix_sort_warp_sort_medium_config_static_selectorELNS0_4arch9wavefront6targetE1EEEvSK_
    .private_segment_fixed_size: 0
    .sgpr_count:     4
    .sgpr_spill_count: 0
    .symbol:         _ZN7rocprim17ROCPRIM_400000_NS6detail17trampoline_kernelINS0_14default_configENS1_36segmented_radix_sort_config_selectorIalEEZNS1_25segmented_radix_sort_implIS3_Lb0EPKaPaPKlPlN2at6native12_GLOBAL__N_18offset_tEEE10hipError_tPvRmT1_PNSt15iterator_traitsISK_E10value_typeET2_T3_PNSL_ISQ_E10value_typeET4_jRbjT5_SW_jjP12ihipStream_tbEUlT_E0_NS1_11comp_targetILNS1_3genE9ELNS1_11target_archE1100ELNS1_3gpuE3ELNS1_3repE0EEENS1_60segmented_radix_sort_warp_sort_medium_config_static_selectorELNS0_4arch9wavefront6targetE1EEEvSK_.kd
    .uniform_work_group_size: 1
    .uses_dynamic_stack: false
    .vgpr_count:     0
    .vgpr_spill_count: 0
    .wavefront_size: 64
  - .agpr_count:     0
    .args:
      - .offset:         0
        .size:           88
        .value_kind:     by_value
    .group_segment_fixed_size: 0
    .kernarg_segment_align: 8
    .kernarg_segment_size: 88
    .language:       OpenCL C
    .language_version:
      - 2
      - 0
    .max_flat_workgroup_size: 256
    .name:           _ZN7rocprim17ROCPRIM_400000_NS6detail17trampoline_kernelINS0_14default_configENS1_36segmented_radix_sort_config_selectorIalEEZNS1_25segmented_radix_sort_implIS3_Lb0EPKaPaPKlPlN2at6native12_GLOBAL__N_18offset_tEEE10hipError_tPvRmT1_PNSt15iterator_traitsISK_E10value_typeET2_T3_PNSL_ISQ_E10value_typeET4_jRbjT5_SW_jjP12ihipStream_tbEUlT_E0_NS1_11comp_targetILNS1_3genE8ELNS1_11target_archE1030ELNS1_3gpuE2ELNS1_3repE0EEENS1_60segmented_radix_sort_warp_sort_medium_config_static_selectorELNS0_4arch9wavefront6targetE1EEEvSK_
    .private_segment_fixed_size: 0
    .sgpr_count:     4
    .sgpr_spill_count: 0
    .symbol:         _ZN7rocprim17ROCPRIM_400000_NS6detail17trampoline_kernelINS0_14default_configENS1_36segmented_radix_sort_config_selectorIalEEZNS1_25segmented_radix_sort_implIS3_Lb0EPKaPaPKlPlN2at6native12_GLOBAL__N_18offset_tEEE10hipError_tPvRmT1_PNSt15iterator_traitsISK_E10value_typeET2_T3_PNSL_ISQ_E10value_typeET4_jRbjT5_SW_jjP12ihipStream_tbEUlT_E0_NS1_11comp_targetILNS1_3genE8ELNS1_11target_archE1030ELNS1_3gpuE2ELNS1_3repE0EEENS1_60segmented_radix_sort_warp_sort_medium_config_static_selectorELNS0_4arch9wavefront6targetE1EEEvSK_.kd
    .uniform_work_group_size: 1
    .uses_dynamic_stack: false
    .vgpr_count:     0
    .vgpr_spill_count: 0
    .wavefront_size: 64
  - .agpr_count:     0
    .args:
      - .offset:         0
        .size:           88
        .value_kind:     by_value
    .group_segment_fixed_size: 0
    .kernarg_segment_align: 8
    .kernarg_segment_size: 88
    .language:       OpenCL C
    .language_version:
      - 2
      - 0
    .max_flat_workgroup_size: 256
    .name:           _ZN7rocprim17ROCPRIM_400000_NS6detail17trampoline_kernelINS0_14default_configENS1_36segmented_radix_sort_config_selectorIalEEZNS1_25segmented_radix_sort_implIS3_Lb0EPKaPaPKlPlN2at6native12_GLOBAL__N_18offset_tEEE10hipError_tPvRmT1_PNSt15iterator_traitsISK_E10value_typeET2_T3_PNSL_ISQ_E10value_typeET4_jRbjT5_SW_jjP12ihipStream_tbEUlT_E1_NS1_11comp_targetILNS1_3genE0ELNS1_11target_archE4294967295ELNS1_3gpuE0ELNS1_3repE0EEENS1_59segmented_radix_sort_warp_sort_small_config_static_selectorELNS0_4arch9wavefront6targetE1EEEvSK_
    .private_segment_fixed_size: 0
    .sgpr_count:     4
    .sgpr_spill_count: 0
    .symbol:         _ZN7rocprim17ROCPRIM_400000_NS6detail17trampoline_kernelINS0_14default_configENS1_36segmented_radix_sort_config_selectorIalEEZNS1_25segmented_radix_sort_implIS3_Lb0EPKaPaPKlPlN2at6native12_GLOBAL__N_18offset_tEEE10hipError_tPvRmT1_PNSt15iterator_traitsISK_E10value_typeET2_T3_PNSL_ISQ_E10value_typeET4_jRbjT5_SW_jjP12ihipStream_tbEUlT_E1_NS1_11comp_targetILNS1_3genE0ELNS1_11target_archE4294967295ELNS1_3gpuE0ELNS1_3repE0EEENS1_59segmented_radix_sort_warp_sort_small_config_static_selectorELNS0_4arch9wavefront6targetE1EEEvSK_.kd
    .uniform_work_group_size: 1
    .uses_dynamic_stack: false
    .vgpr_count:     0
    .vgpr_spill_count: 0
    .wavefront_size: 64
  - .agpr_count:     0
    .args:
      - .offset:         0
        .size:           88
        .value_kind:     by_value
    .group_segment_fixed_size: 0
    .kernarg_segment_align: 8
    .kernarg_segment_size: 88
    .language:       OpenCL C
    .language_version:
      - 2
      - 0
    .max_flat_workgroup_size: 256
    .name:           _ZN7rocprim17ROCPRIM_400000_NS6detail17trampoline_kernelINS0_14default_configENS1_36segmented_radix_sort_config_selectorIalEEZNS1_25segmented_radix_sort_implIS3_Lb0EPKaPaPKlPlN2at6native12_GLOBAL__N_18offset_tEEE10hipError_tPvRmT1_PNSt15iterator_traitsISK_E10value_typeET2_T3_PNSL_ISQ_E10value_typeET4_jRbjT5_SW_jjP12ihipStream_tbEUlT_E1_NS1_11comp_targetILNS1_3genE5ELNS1_11target_archE942ELNS1_3gpuE9ELNS1_3repE0EEENS1_59segmented_radix_sort_warp_sort_small_config_static_selectorELNS0_4arch9wavefront6targetE1EEEvSK_
    .private_segment_fixed_size: 0
    .sgpr_count:     4
    .sgpr_spill_count: 0
    .symbol:         _ZN7rocprim17ROCPRIM_400000_NS6detail17trampoline_kernelINS0_14default_configENS1_36segmented_radix_sort_config_selectorIalEEZNS1_25segmented_radix_sort_implIS3_Lb0EPKaPaPKlPlN2at6native12_GLOBAL__N_18offset_tEEE10hipError_tPvRmT1_PNSt15iterator_traitsISK_E10value_typeET2_T3_PNSL_ISQ_E10value_typeET4_jRbjT5_SW_jjP12ihipStream_tbEUlT_E1_NS1_11comp_targetILNS1_3genE5ELNS1_11target_archE942ELNS1_3gpuE9ELNS1_3repE0EEENS1_59segmented_radix_sort_warp_sort_small_config_static_selectorELNS0_4arch9wavefront6targetE1EEEvSK_.kd
    .uniform_work_group_size: 1
    .uses_dynamic_stack: false
    .vgpr_count:     0
    .vgpr_spill_count: 0
    .wavefront_size: 64
  - .agpr_count:     0
    .args:
      - .offset:         0
        .size:           88
        .value_kind:     by_value
      - .offset:         88
        .size:           4
        .value_kind:     hidden_block_count_x
      - .offset:         92
        .size:           4
        .value_kind:     hidden_block_count_y
      - .offset:         96
        .size:           4
        .value_kind:     hidden_block_count_z
      - .offset:         100
        .size:           2
        .value_kind:     hidden_group_size_x
      - .offset:         102
        .size:           2
        .value_kind:     hidden_group_size_y
      - .offset:         104
        .size:           2
        .value_kind:     hidden_group_size_z
      - .offset:         106
        .size:           2
        .value_kind:     hidden_remainder_x
      - .offset:         108
        .size:           2
        .value_kind:     hidden_remainder_y
      - .offset:         110
        .size:           2
        .value_kind:     hidden_remainder_z
      - .offset:         128
        .size:           8
        .value_kind:     hidden_global_offset_x
      - .offset:         136
        .size:           8
        .value_kind:     hidden_global_offset_y
      - .offset:         144
        .size:           8
        .value_kind:     hidden_global_offset_z
      - .offset:         152
        .size:           2
        .value_kind:     hidden_grid_dims
      - .offset:         168
        .size:           8
        .value_kind:     hidden_hostcall_buffer
      - .offset:         176
        .size:           8
        .value_kind:     hidden_multigrid_sync_arg
      - .offset:         184
        .size:           8
        .value_kind:     hidden_heap_v1
      - .offset:         192
        .size:           8
        .value_kind:     hidden_default_queue
      - .offset:         200
        .size:           8
        .value_kind:     hidden_completion_action
      - .offset:         288
        .size:           8
        .value_kind:     hidden_queue_ptr
    .group_segment_fixed_size: 9216
    .kernarg_segment_align: 8
    .kernarg_segment_size: 344
    .language:       OpenCL C
    .language_version:
      - 2
      - 0
    .max_flat_workgroup_size: 256
    .name:           _ZN7rocprim17ROCPRIM_400000_NS6detail17trampoline_kernelINS0_14default_configENS1_36segmented_radix_sort_config_selectorIalEEZNS1_25segmented_radix_sort_implIS3_Lb0EPKaPaPKlPlN2at6native12_GLOBAL__N_18offset_tEEE10hipError_tPvRmT1_PNSt15iterator_traitsISK_E10value_typeET2_T3_PNSL_ISQ_E10value_typeET4_jRbjT5_SW_jjP12ihipStream_tbEUlT_E1_NS1_11comp_targetILNS1_3genE4ELNS1_11target_archE910ELNS1_3gpuE8ELNS1_3repE0EEENS1_59segmented_radix_sort_warp_sort_small_config_static_selectorELNS0_4arch9wavefront6targetE1EEEvSK_
    .private_segment_fixed_size: 0
    .sgpr_count:     56
    .sgpr_spill_count: 0
    .symbol:         _ZN7rocprim17ROCPRIM_400000_NS6detail17trampoline_kernelINS0_14default_configENS1_36segmented_radix_sort_config_selectorIalEEZNS1_25segmented_radix_sort_implIS3_Lb0EPKaPaPKlPlN2at6native12_GLOBAL__N_18offset_tEEE10hipError_tPvRmT1_PNSt15iterator_traitsISK_E10value_typeET2_T3_PNSL_ISQ_E10value_typeET4_jRbjT5_SW_jjP12ihipStream_tbEUlT_E1_NS1_11comp_targetILNS1_3genE4ELNS1_11target_archE910ELNS1_3gpuE8ELNS1_3repE0EEENS1_59segmented_radix_sort_warp_sort_small_config_static_selectorELNS0_4arch9wavefront6targetE1EEEvSK_.kd
    .uniform_work_group_size: 1
    .uses_dynamic_stack: false
    .vgpr_count:     67
    .vgpr_spill_count: 0
    .wavefront_size: 64
  - .agpr_count:     0
    .args:
      - .offset:         0
        .size:           88
        .value_kind:     by_value
    .group_segment_fixed_size: 0
    .kernarg_segment_align: 8
    .kernarg_segment_size: 88
    .language:       OpenCL C
    .language_version:
      - 2
      - 0
    .max_flat_workgroup_size: 256
    .name:           _ZN7rocprim17ROCPRIM_400000_NS6detail17trampoline_kernelINS0_14default_configENS1_36segmented_radix_sort_config_selectorIalEEZNS1_25segmented_radix_sort_implIS3_Lb0EPKaPaPKlPlN2at6native12_GLOBAL__N_18offset_tEEE10hipError_tPvRmT1_PNSt15iterator_traitsISK_E10value_typeET2_T3_PNSL_ISQ_E10value_typeET4_jRbjT5_SW_jjP12ihipStream_tbEUlT_E1_NS1_11comp_targetILNS1_3genE3ELNS1_11target_archE908ELNS1_3gpuE7ELNS1_3repE0EEENS1_59segmented_radix_sort_warp_sort_small_config_static_selectorELNS0_4arch9wavefront6targetE1EEEvSK_
    .private_segment_fixed_size: 0
    .sgpr_count:     4
    .sgpr_spill_count: 0
    .symbol:         _ZN7rocprim17ROCPRIM_400000_NS6detail17trampoline_kernelINS0_14default_configENS1_36segmented_radix_sort_config_selectorIalEEZNS1_25segmented_radix_sort_implIS3_Lb0EPKaPaPKlPlN2at6native12_GLOBAL__N_18offset_tEEE10hipError_tPvRmT1_PNSt15iterator_traitsISK_E10value_typeET2_T3_PNSL_ISQ_E10value_typeET4_jRbjT5_SW_jjP12ihipStream_tbEUlT_E1_NS1_11comp_targetILNS1_3genE3ELNS1_11target_archE908ELNS1_3gpuE7ELNS1_3repE0EEENS1_59segmented_radix_sort_warp_sort_small_config_static_selectorELNS0_4arch9wavefront6targetE1EEEvSK_.kd
    .uniform_work_group_size: 1
    .uses_dynamic_stack: false
    .vgpr_count:     0
    .vgpr_spill_count: 0
    .wavefront_size: 64
  - .agpr_count:     0
    .args:
      - .offset:         0
        .size:           88
        .value_kind:     by_value
    .group_segment_fixed_size: 0
    .kernarg_segment_align: 8
    .kernarg_segment_size: 88
    .language:       OpenCL C
    .language_version:
      - 2
      - 0
    .max_flat_workgroup_size: 256
    .name:           _ZN7rocprim17ROCPRIM_400000_NS6detail17trampoline_kernelINS0_14default_configENS1_36segmented_radix_sort_config_selectorIalEEZNS1_25segmented_radix_sort_implIS3_Lb0EPKaPaPKlPlN2at6native12_GLOBAL__N_18offset_tEEE10hipError_tPvRmT1_PNSt15iterator_traitsISK_E10value_typeET2_T3_PNSL_ISQ_E10value_typeET4_jRbjT5_SW_jjP12ihipStream_tbEUlT_E1_NS1_11comp_targetILNS1_3genE2ELNS1_11target_archE906ELNS1_3gpuE6ELNS1_3repE0EEENS1_59segmented_radix_sort_warp_sort_small_config_static_selectorELNS0_4arch9wavefront6targetE1EEEvSK_
    .private_segment_fixed_size: 0
    .sgpr_count:     4
    .sgpr_spill_count: 0
    .symbol:         _ZN7rocprim17ROCPRIM_400000_NS6detail17trampoline_kernelINS0_14default_configENS1_36segmented_radix_sort_config_selectorIalEEZNS1_25segmented_radix_sort_implIS3_Lb0EPKaPaPKlPlN2at6native12_GLOBAL__N_18offset_tEEE10hipError_tPvRmT1_PNSt15iterator_traitsISK_E10value_typeET2_T3_PNSL_ISQ_E10value_typeET4_jRbjT5_SW_jjP12ihipStream_tbEUlT_E1_NS1_11comp_targetILNS1_3genE2ELNS1_11target_archE906ELNS1_3gpuE6ELNS1_3repE0EEENS1_59segmented_radix_sort_warp_sort_small_config_static_selectorELNS0_4arch9wavefront6targetE1EEEvSK_.kd
    .uniform_work_group_size: 1
    .uses_dynamic_stack: false
    .vgpr_count:     0
    .vgpr_spill_count: 0
    .wavefront_size: 64
  - .agpr_count:     0
    .args:
      - .offset:         0
        .size:           88
        .value_kind:     by_value
    .group_segment_fixed_size: 0
    .kernarg_segment_align: 8
    .kernarg_segment_size: 88
    .language:       OpenCL C
    .language_version:
      - 2
      - 0
    .max_flat_workgroup_size: 256
    .name:           _ZN7rocprim17ROCPRIM_400000_NS6detail17trampoline_kernelINS0_14default_configENS1_36segmented_radix_sort_config_selectorIalEEZNS1_25segmented_radix_sort_implIS3_Lb0EPKaPaPKlPlN2at6native12_GLOBAL__N_18offset_tEEE10hipError_tPvRmT1_PNSt15iterator_traitsISK_E10value_typeET2_T3_PNSL_ISQ_E10value_typeET4_jRbjT5_SW_jjP12ihipStream_tbEUlT_E1_NS1_11comp_targetILNS1_3genE10ELNS1_11target_archE1201ELNS1_3gpuE5ELNS1_3repE0EEENS1_59segmented_radix_sort_warp_sort_small_config_static_selectorELNS0_4arch9wavefront6targetE1EEEvSK_
    .private_segment_fixed_size: 0
    .sgpr_count:     4
    .sgpr_spill_count: 0
    .symbol:         _ZN7rocprim17ROCPRIM_400000_NS6detail17trampoline_kernelINS0_14default_configENS1_36segmented_radix_sort_config_selectorIalEEZNS1_25segmented_radix_sort_implIS3_Lb0EPKaPaPKlPlN2at6native12_GLOBAL__N_18offset_tEEE10hipError_tPvRmT1_PNSt15iterator_traitsISK_E10value_typeET2_T3_PNSL_ISQ_E10value_typeET4_jRbjT5_SW_jjP12ihipStream_tbEUlT_E1_NS1_11comp_targetILNS1_3genE10ELNS1_11target_archE1201ELNS1_3gpuE5ELNS1_3repE0EEENS1_59segmented_radix_sort_warp_sort_small_config_static_selectorELNS0_4arch9wavefront6targetE1EEEvSK_.kd
    .uniform_work_group_size: 1
    .uses_dynamic_stack: false
    .vgpr_count:     0
    .vgpr_spill_count: 0
    .wavefront_size: 64
  - .agpr_count:     0
    .args:
      - .offset:         0
        .size:           88
        .value_kind:     by_value
    .group_segment_fixed_size: 0
    .kernarg_segment_align: 8
    .kernarg_segment_size: 88
    .language:       OpenCL C
    .language_version:
      - 2
      - 0
    .max_flat_workgroup_size: 256
    .name:           _ZN7rocprim17ROCPRIM_400000_NS6detail17trampoline_kernelINS0_14default_configENS1_36segmented_radix_sort_config_selectorIalEEZNS1_25segmented_radix_sort_implIS3_Lb0EPKaPaPKlPlN2at6native12_GLOBAL__N_18offset_tEEE10hipError_tPvRmT1_PNSt15iterator_traitsISK_E10value_typeET2_T3_PNSL_ISQ_E10value_typeET4_jRbjT5_SW_jjP12ihipStream_tbEUlT_E1_NS1_11comp_targetILNS1_3genE10ELNS1_11target_archE1200ELNS1_3gpuE4ELNS1_3repE0EEENS1_59segmented_radix_sort_warp_sort_small_config_static_selectorELNS0_4arch9wavefront6targetE1EEEvSK_
    .private_segment_fixed_size: 0
    .sgpr_count:     4
    .sgpr_spill_count: 0
    .symbol:         _ZN7rocprim17ROCPRIM_400000_NS6detail17trampoline_kernelINS0_14default_configENS1_36segmented_radix_sort_config_selectorIalEEZNS1_25segmented_radix_sort_implIS3_Lb0EPKaPaPKlPlN2at6native12_GLOBAL__N_18offset_tEEE10hipError_tPvRmT1_PNSt15iterator_traitsISK_E10value_typeET2_T3_PNSL_ISQ_E10value_typeET4_jRbjT5_SW_jjP12ihipStream_tbEUlT_E1_NS1_11comp_targetILNS1_3genE10ELNS1_11target_archE1200ELNS1_3gpuE4ELNS1_3repE0EEENS1_59segmented_radix_sort_warp_sort_small_config_static_selectorELNS0_4arch9wavefront6targetE1EEEvSK_.kd
    .uniform_work_group_size: 1
    .uses_dynamic_stack: false
    .vgpr_count:     0
    .vgpr_spill_count: 0
    .wavefront_size: 64
  - .agpr_count:     0
    .args:
      - .offset:         0
        .size:           88
        .value_kind:     by_value
    .group_segment_fixed_size: 0
    .kernarg_segment_align: 8
    .kernarg_segment_size: 88
    .language:       OpenCL C
    .language_version:
      - 2
      - 0
    .max_flat_workgroup_size: 256
    .name:           _ZN7rocprim17ROCPRIM_400000_NS6detail17trampoline_kernelINS0_14default_configENS1_36segmented_radix_sort_config_selectorIalEEZNS1_25segmented_radix_sort_implIS3_Lb0EPKaPaPKlPlN2at6native12_GLOBAL__N_18offset_tEEE10hipError_tPvRmT1_PNSt15iterator_traitsISK_E10value_typeET2_T3_PNSL_ISQ_E10value_typeET4_jRbjT5_SW_jjP12ihipStream_tbEUlT_E1_NS1_11comp_targetILNS1_3genE9ELNS1_11target_archE1100ELNS1_3gpuE3ELNS1_3repE0EEENS1_59segmented_radix_sort_warp_sort_small_config_static_selectorELNS0_4arch9wavefront6targetE1EEEvSK_
    .private_segment_fixed_size: 0
    .sgpr_count:     4
    .sgpr_spill_count: 0
    .symbol:         _ZN7rocprim17ROCPRIM_400000_NS6detail17trampoline_kernelINS0_14default_configENS1_36segmented_radix_sort_config_selectorIalEEZNS1_25segmented_radix_sort_implIS3_Lb0EPKaPaPKlPlN2at6native12_GLOBAL__N_18offset_tEEE10hipError_tPvRmT1_PNSt15iterator_traitsISK_E10value_typeET2_T3_PNSL_ISQ_E10value_typeET4_jRbjT5_SW_jjP12ihipStream_tbEUlT_E1_NS1_11comp_targetILNS1_3genE9ELNS1_11target_archE1100ELNS1_3gpuE3ELNS1_3repE0EEENS1_59segmented_radix_sort_warp_sort_small_config_static_selectorELNS0_4arch9wavefront6targetE1EEEvSK_.kd
    .uniform_work_group_size: 1
    .uses_dynamic_stack: false
    .vgpr_count:     0
    .vgpr_spill_count: 0
    .wavefront_size: 64
  - .agpr_count:     0
    .args:
      - .offset:         0
        .size:           88
        .value_kind:     by_value
    .group_segment_fixed_size: 0
    .kernarg_segment_align: 8
    .kernarg_segment_size: 88
    .language:       OpenCL C
    .language_version:
      - 2
      - 0
    .max_flat_workgroup_size: 256
    .name:           _ZN7rocprim17ROCPRIM_400000_NS6detail17trampoline_kernelINS0_14default_configENS1_36segmented_radix_sort_config_selectorIalEEZNS1_25segmented_radix_sort_implIS3_Lb0EPKaPaPKlPlN2at6native12_GLOBAL__N_18offset_tEEE10hipError_tPvRmT1_PNSt15iterator_traitsISK_E10value_typeET2_T3_PNSL_ISQ_E10value_typeET4_jRbjT5_SW_jjP12ihipStream_tbEUlT_E1_NS1_11comp_targetILNS1_3genE8ELNS1_11target_archE1030ELNS1_3gpuE2ELNS1_3repE0EEENS1_59segmented_radix_sort_warp_sort_small_config_static_selectorELNS0_4arch9wavefront6targetE1EEEvSK_
    .private_segment_fixed_size: 0
    .sgpr_count:     4
    .sgpr_spill_count: 0
    .symbol:         _ZN7rocprim17ROCPRIM_400000_NS6detail17trampoline_kernelINS0_14default_configENS1_36segmented_radix_sort_config_selectorIalEEZNS1_25segmented_radix_sort_implIS3_Lb0EPKaPaPKlPlN2at6native12_GLOBAL__N_18offset_tEEE10hipError_tPvRmT1_PNSt15iterator_traitsISK_E10value_typeET2_T3_PNSL_ISQ_E10value_typeET4_jRbjT5_SW_jjP12ihipStream_tbEUlT_E1_NS1_11comp_targetILNS1_3genE8ELNS1_11target_archE1030ELNS1_3gpuE2ELNS1_3repE0EEENS1_59segmented_radix_sort_warp_sort_small_config_static_selectorELNS0_4arch9wavefront6targetE1EEEvSK_.kd
    .uniform_work_group_size: 1
    .uses_dynamic_stack: false
    .vgpr_count:     0
    .vgpr_spill_count: 0
    .wavefront_size: 64
  - .agpr_count:     0
    .args:
      - .offset:         0
        .size:           80
        .value_kind:     by_value
    .group_segment_fixed_size: 0
    .kernarg_segment_align: 8
    .kernarg_segment_size: 80
    .language:       OpenCL C
    .language_version:
      - 2
      - 0
    .max_flat_workgroup_size: 256
    .name:           _ZN7rocprim17ROCPRIM_400000_NS6detail17trampoline_kernelINS0_14default_configENS1_36segmented_radix_sort_config_selectorIalEEZNS1_25segmented_radix_sort_implIS3_Lb0EPKaPaPKlPlN2at6native12_GLOBAL__N_18offset_tEEE10hipError_tPvRmT1_PNSt15iterator_traitsISK_E10value_typeET2_T3_PNSL_ISQ_E10value_typeET4_jRbjT5_SW_jjP12ihipStream_tbEUlT_E2_NS1_11comp_targetILNS1_3genE0ELNS1_11target_archE4294967295ELNS1_3gpuE0ELNS1_3repE0EEENS1_30default_config_static_selectorELNS0_4arch9wavefront6targetE1EEEvSK_
    .private_segment_fixed_size: 0
    .sgpr_count:     4
    .sgpr_spill_count: 0
    .symbol:         _ZN7rocprim17ROCPRIM_400000_NS6detail17trampoline_kernelINS0_14default_configENS1_36segmented_radix_sort_config_selectorIalEEZNS1_25segmented_radix_sort_implIS3_Lb0EPKaPaPKlPlN2at6native12_GLOBAL__N_18offset_tEEE10hipError_tPvRmT1_PNSt15iterator_traitsISK_E10value_typeET2_T3_PNSL_ISQ_E10value_typeET4_jRbjT5_SW_jjP12ihipStream_tbEUlT_E2_NS1_11comp_targetILNS1_3genE0ELNS1_11target_archE4294967295ELNS1_3gpuE0ELNS1_3repE0EEENS1_30default_config_static_selectorELNS0_4arch9wavefront6targetE1EEEvSK_.kd
    .uniform_work_group_size: 1
    .uses_dynamic_stack: false
    .vgpr_count:     0
    .vgpr_spill_count: 0
    .wavefront_size: 64
  - .agpr_count:     0
    .args:
      - .offset:         0
        .size:           80
        .value_kind:     by_value
    .group_segment_fixed_size: 0
    .kernarg_segment_align: 8
    .kernarg_segment_size: 80
    .language:       OpenCL C
    .language_version:
      - 2
      - 0
    .max_flat_workgroup_size: 256
    .name:           _ZN7rocprim17ROCPRIM_400000_NS6detail17trampoline_kernelINS0_14default_configENS1_36segmented_radix_sort_config_selectorIalEEZNS1_25segmented_radix_sort_implIS3_Lb0EPKaPaPKlPlN2at6native12_GLOBAL__N_18offset_tEEE10hipError_tPvRmT1_PNSt15iterator_traitsISK_E10value_typeET2_T3_PNSL_ISQ_E10value_typeET4_jRbjT5_SW_jjP12ihipStream_tbEUlT_E2_NS1_11comp_targetILNS1_3genE5ELNS1_11target_archE942ELNS1_3gpuE9ELNS1_3repE0EEENS1_30default_config_static_selectorELNS0_4arch9wavefront6targetE1EEEvSK_
    .private_segment_fixed_size: 0
    .sgpr_count:     4
    .sgpr_spill_count: 0
    .symbol:         _ZN7rocprim17ROCPRIM_400000_NS6detail17trampoline_kernelINS0_14default_configENS1_36segmented_radix_sort_config_selectorIalEEZNS1_25segmented_radix_sort_implIS3_Lb0EPKaPaPKlPlN2at6native12_GLOBAL__N_18offset_tEEE10hipError_tPvRmT1_PNSt15iterator_traitsISK_E10value_typeET2_T3_PNSL_ISQ_E10value_typeET4_jRbjT5_SW_jjP12ihipStream_tbEUlT_E2_NS1_11comp_targetILNS1_3genE5ELNS1_11target_archE942ELNS1_3gpuE9ELNS1_3repE0EEENS1_30default_config_static_selectorELNS0_4arch9wavefront6targetE1EEEvSK_.kd
    .uniform_work_group_size: 1
    .uses_dynamic_stack: false
    .vgpr_count:     0
    .vgpr_spill_count: 0
    .wavefront_size: 64
  - .agpr_count:     0
    .args:
      - .offset:         0
        .size:           80
        .value_kind:     by_value
      - .offset:         80
        .size:           4
        .value_kind:     hidden_block_count_x
      - .offset:         84
        .size:           4
        .value_kind:     hidden_block_count_y
      - .offset:         88
        .size:           4
        .value_kind:     hidden_block_count_z
      - .offset:         92
        .size:           2
        .value_kind:     hidden_group_size_x
      - .offset:         94
        .size:           2
        .value_kind:     hidden_group_size_y
      - .offset:         96
        .size:           2
        .value_kind:     hidden_group_size_z
      - .offset:         98
        .size:           2
        .value_kind:     hidden_remainder_x
      - .offset:         100
        .size:           2
        .value_kind:     hidden_remainder_y
      - .offset:         102
        .size:           2
        .value_kind:     hidden_remainder_z
      - .offset:         120
        .size:           8
        .value_kind:     hidden_global_offset_x
      - .offset:         128
        .size:           8
        .value_kind:     hidden_global_offset_y
      - .offset:         136
        .size:           8
        .value_kind:     hidden_global_offset_z
      - .offset:         144
        .size:           2
        .value_kind:     hidden_grid_dims
      - .offset:         160
        .size:           8
        .value_kind:     hidden_hostcall_buffer
      - .offset:         168
        .size:           8
        .value_kind:     hidden_multigrid_sync_arg
      - .offset:         176
        .size:           8
        .value_kind:     hidden_heap_v1
      - .offset:         184
        .size:           8
        .value_kind:     hidden_default_queue
      - .offset:         192
        .size:           8
        .value_kind:     hidden_completion_action
      - .offset:         280
        .size:           8
        .value_kind:     hidden_queue_ptr
    .group_segment_fixed_size: 17424
    .kernarg_segment_align: 8
    .kernarg_segment_size: 336
    .language:       OpenCL C
    .language_version:
      - 2
      - 0
    .max_flat_workgroup_size: 256
    .name:           _ZN7rocprim17ROCPRIM_400000_NS6detail17trampoline_kernelINS0_14default_configENS1_36segmented_radix_sort_config_selectorIalEEZNS1_25segmented_radix_sort_implIS3_Lb0EPKaPaPKlPlN2at6native12_GLOBAL__N_18offset_tEEE10hipError_tPvRmT1_PNSt15iterator_traitsISK_E10value_typeET2_T3_PNSL_ISQ_E10value_typeET4_jRbjT5_SW_jjP12ihipStream_tbEUlT_E2_NS1_11comp_targetILNS1_3genE4ELNS1_11target_archE910ELNS1_3gpuE8ELNS1_3repE0EEENS1_30default_config_static_selectorELNS0_4arch9wavefront6targetE1EEEvSK_
    .private_segment_fixed_size: 8
    .sgpr_count:     86
    .sgpr_spill_count: 0
    .symbol:         _ZN7rocprim17ROCPRIM_400000_NS6detail17trampoline_kernelINS0_14default_configENS1_36segmented_radix_sort_config_selectorIalEEZNS1_25segmented_radix_sort_implIS3_Lb0EPKaPaPKlPlN2at6native12_GLOBAL__N_18offset_tEEE10hipError_tPvRmT1_PNSt15iterator_traitsISK_E10value_typeET2_T3_PNSL_ISQ_E10value_typeET4_jRbjT5_SW_jjP12ihipStream_tbEUlT_E2_NS1_11comp_targetILNS1_3genE4ELNS1_11target_archE910ELNS1_3gpuE8ELNS1_3repE0EEENS1_30default_config_static_selectorELNS0_4arch9wavefront6targetE1EEEvSK_.kd
    .uniform_work_group_size: 1
    .uses_dynamic_stack: false
    .vgpr_count:     168
    .vgpr_spill_count: 0
    .wavefront_size: 64
  - .agpr_count:     0
    .args:
      - .offset:         0
        .size:           80
        .value_kind:     by_value
    .group_segment_fixed_size: 0
    .kernarg_segment_align: 8
    .kernarg_segment_size: 80
    .language:       OpenCL C
    .language_version:
      - 2
      - 0
    .max_flat_workgroup_size: 256
    .name:           _ZN7rocprim17ROCPRIM_400000_NS6detail17trampoline_kernelINS0_14default_configENS1_36segmented_radix_sort_config_selectorIalEEZNS1_25segmented_radix_sort_implIS3_Lb0EPKaPaPKlPlN2at6native12_GLOBAL__N_18offset_tEEE10hipError_tPvRmT1_PNSt15iterator_traitsISK_E10value_typeET2_T3_PNSL_ISQ_E10value_typeET4_jRbjT5_SW_jjP12ihipStream_tbEUlT_E2_NS1_11comp_targetILNS1_3genE3ELNS1_11target_archE908ELNS1_3gpuE7ELNS1_3repE0EEENS1_30default_config_static_selectorELNS0_4arch9wavefront6targetE1EEEvSK_
    .private_segment_fixed_size: 0
    .sgpr_count:     4
    .sgpr_spill_count: 0
    .symbol:         _ZN7rocprim17ROCPRIM_400000_NS6detail17trampoline_kernelINS0_14default_configENS1_36segmented_radix_sort_config_selectorIalEEZNS1_25segmented_radix_sort_implIS3_Lb0EPKaPaPKlPlN2at6native12_GLOBAL__N_18offset_tEEE10hipError_tPvRmT1_PNSt15iterator_traitsISK_E10value_typeET2_T3_PNSL_ISQ_E10value_typeET4_jRbjT5_SW_jjP12ihipStream_tbEUlT_E2_NS1_11comp_targetILNS1_3genE3ELNS1_11target_archE908ELNS1_3gpuE7ELNS1_3repE0EEENS1_30default_config_static_selectorELNS0_4arch9wavefront6targetE1EEEvSK_.kd
    .uniform_work_group_size: 1
    .uses_dynamic_stack: false
    .vgpr_count:     0
    .vgpr_spill_count: 0
    .wavefront_size: 64
  - .agpr_count:     0
    .args:
      - .offset:         0
        .size:           80
        .value_kind:     by_value
    .group_segment_fixed_size: 0
    .kernarg_segment_align: 8
    .kernarg_segment_size: 80
    .language:       OpenCL C
    .language_version:
      - 2
      - 0
    .max_flat_workgroup_size: 256
    .name:           _ZN7rocprim17ROCPRIM_400000_NS6detail17trampoline_kernelINS0_14default_configENS1_36segmented_radix_sort_config_selectorIalEEZNS1_25segmented_radix_sort_implIS3_Lb0EPKaPaPKlPlN2at6native12_GLOBAL__N_18offset_tEEE10hipError_tPvRmT1_PNSt15iterator_traitsISK_E10value_typeET2_T3_PNSL_ISQ_E10value_typeET4_jRbjT5_SW_jjP12ihipStream_tbEUlT_E2_NS1_11comp_targetILNS1_3genE2ELNS1_11target_archE906ELNS1_3gpuE6ELNS1_3repE0EEENS1_30default_config_static_selectorELNS0_4arch9wavefront6targetE1EEEvSK_
    .private_segment_fixed_size: 0
    .sgpr_count:     4
    .sgpr_spill_count: 0
    .symbol:         _ZN7rocprim17ROCPRIM_400000_NS6detail17trampoline_kernelINS0_14default_configENS1_36segmented_radix_sort_config_selectorIalEEZNS1_25segmented_radix_sort_implIS3_Lb0EPKaPaPKlPlN2at6native12_GLOBAL__N_18offset_tEEE10hipError_tPvRmT1_PNSt15iterator_traitsISK_E10value_typeET2_T3_PNSL_ISQ_E10value_typeET4_jRbjT5_SW_jjP12ihipStream_tbEUlT_E2_NS1_11comp_targetILNS1_3genE2ELNS1_11target_archE906ELNS1_3gpuE6ELNS1_3repE0EEENS1_30default_config_static_selectorELNS0_4arch9wavefront6targetE1EEEvSK_.kd
    .uniform_work_group_size: 1
    .uses_dynamic_stack: false
    .vgpr_count:     0
    .vgpr_spill_count: 0
    .wavefront_size: 64
  - .agpr_count:     0
    .args:
      - .offset:         0
        .size:           80
        .value_kind:     by_value
    .group_segment_fixed_size: 0
    .kernarg_segment_align: 8
    .kernarg_segment_size: 80
    .language:       OpenCL C
    .language_version:
      - 2
      - 0
    .max_flat_workgroup_size: 256
    .name:           _ZN7rocprim17ROCPRIM_400000_NS6detail17trampoline_kernelINS0_14default_configENS1_36segmented_radix_sort_config_selectorIalEEZNS1_25segmented_radix_sort_implIS3_Lb0EPKaPaPKlPlN2at6native12_GLOBAL__N_18offset_tEEE10hipError_tPvRmT1_PNSt15iterator_traitsISK_E10value_typeET2_T3_PNSL_ISQ_E10value_typeET4_jRbjT5_SW_jjP12ihipStream_tbEUlT_E2_NS1_11comp_targetILNS1_3genE10ELNS1_11target_archE1201ELNS1_3gpuE5ELNS1_3repE0EEENS1_30default_config_static_selectorELNS0_4arch9wavefront6targetE1EEEvSK_
    .private_segment_fixed_size: 0
    .sgpr_count:     4
    .sgpr_spill_count: 0
    .symbol:         _ZN7rocprim17ROCPRIM_400000_NS6detail17trampoline_kernelINS0_14default_configENS1_36segmented_radix_sort_config_selectorIalEEZNS1_25segmented_radix_sort_implIS3_Lb0EPKaPaPKlPlN2at6native12_GLOBAL__N_18offset_tEEE10hipError_tPvRmT1_PNSt15iterator_traitsISK_E10value_typeET2_T3_PNSL_ISQ_E10value_typeET4_jRbjT5_SW_jjP12ihipStream_tbEUlT_E2_NS1_11comp_targetILNS1_3genE10ELNS1_11target_archE1201ELNS1_3gpuE5ELNS1_3repE0EEENS1_30default_config_static_selectorELNS0_4arch9wavefront6targetE1EEEvSK_.kd
    .uniform_work_group_size: 1
    .uses_dynamic_stack: false
    .vgpr_count:     0
    .vgpr_spill_count: 0
    .wavefront_size: 64
  - .agpr_count:     0
    .args:
      - .offset:         0
        .size:           80
        .value_kind:     by_value
    .group_segment_fixed_size: 0
    .kernarg_segment_align: 8
    .kernarg_segment_size: 80
    .language:       OpenCL C
    .language_version:
      - 2
      - 0
    .max_flat_workgroup_size: 128
    .name:           _ZN7rocprim17ROCPRIM_400000_NS6detail17trampoline_kernelINS0_14default_configENS1_36segmented_radix_sort_config_selectorIalEEZNS1_25segmented_radix_sort_implIS3_Lb0EPKaPaPKlPlN2at6native12_GLOBAL__N_18offset_tEEE10hipError_tPvRmT1_PNSt15iterator_traitsISK_E10value_typeET2_T3_PNSL_ISQ_E10value_typeET4_jRbjT5_SW_jjP12ihipStream_tbEUlT_E2_NS1_11comp_targetILNS1_3genE10ELNS1_11target_archE1200ELNS1_3gpuE4ELNS1_3repE0EEENS1_30default_config_static_selectorELNS0_4arch9wavefront6targetE1EEEvSK_
    .private_segment_fixed_size: 0
    .sgpr_count:     4
    .sgpr_spill_count: 0
    .symbol:         _ZN7rocprim17ROCPRIM_400000_NS6detail17trampoline_kernelINS0_14default_configENS1_36segmented_radix_sort_config_selectorIalEEZNS1_25segmented_radix_sort_implIS3_Lb0EPKaPaPKlPlN2at6native12_GLOBAL__N_18offset_tEEE10hipError_tPvRmT1_PNSt15iterator_traitsISK_E10value_typeET2_T3_PNSL_ISQ_E10value_typeET4_jRbjT5_SW_jjP12ihipStream_tbEUlT_E2_NS1_11comp_targetILNS1_3genE10ELNS1_11target_archE1200ELNS1_3gpuE4ELNS1_3repE0EEENS1_30default_config_static_selectorELNS0_4arch9wavefront6targetE1EEEvSK_.kd
    .uniform_work_group_size: 1
    .uses_dynamic_stack: false
    .vgpr_count:     0
    .vgpr_spill_count: 0
    .wavefront_size: 64
  - .agpr_count:     0
    .args:
      - .offset:         0
        .size:           80
        .value_kind:     by_value
    .group_segment_fixed_size: 0
    .kernarg_segment_align: 8
    .kernarg_segment_size: 80
    .language:       OpenCL C
    .language_version:
      - 2
      - 0
    .max_flat_workgroup_size: 256
    .name:           _ZN7rocprim17ROCPRIM_400000_NS6detail17trampoline_kernelINS0_14default_configENS1_36segmented_radix_sort_config_selectorIalEEZNS1_25segmented_radix_sort_implIS3_Lb0EPKaPaPKlPlN2at6native12_GLOBAL__N_18offset_tEEE10hipError_tPvRmT1_PNSt15iterator_traitsISK_E10value_typeET2_T3_PNSL_ISQ_E10value_typeET4_jRbjT5_SW_jjP12ihipStream_tbEUlT_E2_NS1_11comp_targetILNS1_3genE9ELNS1_11target_archE1100ELNS1_3gpuE3ELNS1_3repE0EEENS1_30default_config_static_selectorELNS0_4arch9wavefront6targetE1EEEvSK_
    .private_segment_fixed_size: 0
    .sgpr_count:     4
    .sgpr_spill_count: 0
    .symbol:         _ZN7rocprim17ROCPRIM_400000_NS6detail17trampoline_kernelINS0_14default_configENS1_36segmented_radix_sort_config_selectorIalEEZNS1_25segmented_radix_sort_implIS3_Lb0EPKaPaPKlPlN2at6native12_GLOBAL__N_18offset_tEEE10hipError_tPvRmT1_PNSt15iterator_traitsISK_E10value_typeET2_T3_PNSL_ISQ_E10value_typeET4_jRbjT5_SW_jjP12ihipStream_tbEUlT_E2_NS1_11comp_targetILNS1_3genE9ELNS1_11target_archE1100ELNS1_3gpuE3ELNS1_3repE0EEENS1_30default_config_static_selectorELNS0_4arch9wavefront6targetE1EEEvSK_.kd
    .uniform_work_group_size: 1
    .uses_dynamic_stack: false
    .vgpr_count:     0
    .vgpr_spill_count: 0
    .wavefront_size: 64
  - .agpr_count:     0
    .args:
      - .offset:         0
        .size:           80
        .value_kind:     by_value
    .group_segment_fixed_size: 0
    .kernarg_segment_align: 8
    .kernarg_segment_size: 80
    .language:       OpenCL C
    .language_version:
      - 2
      - 0
    .max_flat_workgroup_size: 256
    .name:           _ZN7rocprim17ROCPRIM_400000_NS6detail17trampoline_kernelINS0_14default_configENS1_36segmented_radix_sort_config_selectorIalEEZNS1_25segmented_radix_sort_implIS3_Lb0EPKaPaPKlPlN2at6native12_GLOBAL__N_18offset_tEEE10hipError_tPvRmT1_PNSt15iterator_traitsISK_E10value_typeET2_T3_PNSL_ISQ_E10value_typeET4_jRbjT5_SW_jjP12ihipStream_tbEUlT_E2_NS1_11comp_targetILNS1_3genE8ELNS1_11target_archE1030ELNS1_3gpuE2ELNS1_3repE0EEENS1_30default_config_static_selectorELNS0_4arch9wavefront6targetE1EEEvSK_
    .private_segment_fixed_size: 0
    .sgpr_count:     4
    .sgpr_spill_count: 0
    .symbol:         _ZN7rocprim17ROCPRIM_400000_NS6detail17trampoline_kernelINS0_14default_configENS1_36segmented_radix_sort_config_selectorIalEEZNS1_25segmented_radix_sort_implIS3_Lb0EPKaPaPKlPlN2at6native12_GLOBAL__N_18offset_tEEE10hipError_tPvRmT1_PNSt15iterator_traitsISK_E10value_typeET2_T3_PNSL_ISQ_E10value_typeET4_jRbjT5_SW_jjP12ihipStream_tbEUlT_E2_NS1_11comp_targetILNS1_3genE8ELNS1_11target_archE1030ELNS1_3gpuE2ELNS1_3repE0EEENS1_30default_config_static_selectorELNS0_4arch9wavefront6targetE1EEEvSK_.kd
    .uniform_work_group_size: 1
    .uses_dynamic_stack: false
    .vgpr_count:     0
    .vgpr_spill_count: 0
    .wavefront_size: 64
  - .agpr_count:     0
    .args:
      - .address_space:  global
        .offset:         0
        .size:           8
        .value_kind:     global_buffer
      - .address_space:  global
        .offset:         8
        .size:           8
        .value_kind:     global_buffer
      - .address_space:  global
        .offset:         16
        .size:           8
        .value_kind:     global_buffer
      - .address_space:  global
        .offset:         24
        .size:           8
        .value_kind:     global_buffer
      - .offset:         32
        .size:           4
        .value_kind:     by_value
      - .offset:         36
        .size:           4
        .value_kind:     by_value
      - .offset:         40
        .size:           4
        .value_kind:     hidden_block_count_x
      - .offset:         44
        .size:           4
        .value_kind:     hidden_block_count_y
      - .offset:         48
        .size:           4
        .value_kind:     hidden_block_count_z
      - .offset:         52
        .size:           2
        .value_kind:     hidden_group_size_x
      - .offset:         54
        .size:           2
        .value_kind:     hidden_group_size_y
      - .offset:         56
        .size:           2
        .value_kind:     hidden_group_size_z
      - .offset:         58
        .size:           2
        .value_kind:     hidden_remainder_x
      - .offset:         60
        .size:           2
        .value_kind:     hidden_remainder_y
      - .offset:         62
        .size:           2
        .value_kind:     hidden_remainder_z
      - .offset:         80
        .size:           8
        .value_kind:     hidden_global_offset_x
      - .offset:         88
        .size:           8
        .value_kind:     hidden_global_offset_y
      - .offset:         96
        .size:           8
        .value_kind:     hidden_global_offset_z
      - .offset:         104
        .size:           2
        .value_kind:     hidden_grid_dims
    .group_segment_fixed_size: 0
    .kernarg_segment_align: 8
    .kernarg_segment_size: 296
    .language:       OpenCL C
    .language_version:
      - 2
      - 0
    .max_flat_workgroup_size: 1024
    .name:           _ZN2at6native12_GLOBAL__N_123sort_postprocess_kernelIiEEvPKT_PS3_PlPK15HIP_vector_typeIiLj2EEii
    .private_segment_fixed_size: 0
    .sgpr_count:     22
    .sgpr_spill_count: 0
    .symbol:         _ZN2at6native12_GLOBAL__N_123sort_postprocess_kernelIiEEvPKT_PS3_PlPK15HIP_vector_typeIiLj2EEii.kd
    .uniform_work_group_size: 1
    .uses_dynamic_stack: false
    .vgpr_count:     22
    .vgpr_spill_count: 0
    .wavefront_size: 64
  - .agpr_count:     0
    .args:
      - .offset:         0
        .size:           176
        .value_kind:     by_value
    .group_segment_fixed_size: 0
    .kernarg_segment_align: 8
    .kernarg_segment_size: 176
    .language:       OpenCL C
    .language_version:
      - 2
      - 0
    .max_flat_workgroup_size: 256
    .name:           _ZN7rocprim17ROCPRIM_400000_NS6detail17trampoline_kernelINS0_13select_configILj256ELj13ELNS0_17block_load_methodE3ELS4_3ELS4_3ELNS0_20block_scan_algorithmE0ELj4294967295EEENS1_25partition_config_selectorILNS1_17partition_subalgoE4EjNS0_10empty_typeEbEEZZNS1_14partition_implILS8_4ELb0ES6_15HIP_vector_typeIjLj2EENS0_17counting_iteratorIjlEEPS9_SG_NS0_5tupleIJPjSI_NS0_16reverse_iteratorISI_EEEEENSH_IJSG_SG_SG_EEES9_SI_JZNS1_25segmented_radix_sort_implINS0_14default_configELb1EPKiPiPKlPlN2at6native12_GLOBAL__N_18offset_tEEE10hipError_tPvRmT1_PNSt15iterator_traitsIS12_E10value_typeET2_T3_PNS13_IS18_E10value_typeET4_jRbjT5_S1E_jjP12ihipStream_tbEUljE_ZNSN_ISO_Lb1ESQ_SR_ST_SU_SY_EESZ_S10_S11_S12_S16_S17_S18_S1B_S1C_jS1D_jS1E_S1E_jjS1G_bEUljE0_EEESZ_S10_S11_S18_S1C_S1E_T6_T7_T9_mT8_S1G_bDpT10_ENKUlT_T0_E_clISt17integral_constantIbLb0EES1U_EEDaS1P_S1Q_EUlS1P_E_NS1_11comp_targetILNS1_3genE0ELNS1_11target_archE4294967295ELNS1_3gpuE0ELNS1_3repE0EEENS1_30default_config_static_selectorELNS0_4arch9wavefront6targetE1EEEvS12_
    .private_segment_fixed_size: 0
    .sgpr_count:     4
    .sgpr_spill_count: 0
    .symbol:         _ZN7rocprim17ROCPRIM_400000_NS6detail17trampoline_kernelINS0_13select_configILj256ELj13ELNS0_17block_load_methodE3ELS4_3ELS4_3ELNS0_20block_scan_algorithmE0ELj4294967295EEENS1_25partition_config_selectorILNS1_17partition_subalgoE4EjNS0_10empty_typeEbEEZZNS1_14partition_implILS8_4ELb0ES6_15HIP_vector_typeIjLj2EENS0_17counting_iteratorIjlEEPS9_SG_NS0_5tupleIJPjSI_NS0_16reverse_iteratorISI_EEEEENSH_IJSG_SG_SG_EEES9_SI_JZNS1_25segmented_radix_sort_implINS0_14default_configELb1EPKiPiPKlPlN2at6native12_GLOBAL__N_18offset_tEEE10hipError_tPvRmT1_PNSt15iterator_traitsIS12_E10value_typeET2_T3_PNS13_IS18_E10value_typeET4_jRbjT5_S1E_jjP12ihipStream_tbEUljE_ZNSN_ISO_Lb1ESQ_SR_ST_SU_SY_EESZ_S10_S11_S12_S16_S17_S18_S1B_S1C_jS1D_jS1E_S1E_jjS1G_bEUljE0_EEESZ_S10_S11_S18_S1C_S1E_T6_T7_T9_mT8_S1G_bDpT10_ENKUlT_T0_E_clISt17integral_constantIbLb0EES1U_EEDaS1P_S1Q_EUlS1P_E_NS1_11comp_targetILNS1_3genE0ELNS1_11target_archE4294967295ELNS1_3gpuE0ELNS1_3repE0EEENS1_30default_config_static_selectorELNS0_4arch9wavefront6targetE1EEEvS12_.kd
    .uniform_work_group_size: 1
    .uses_dynamic_stack: false
    .vgpr_count:     0
    .vgpr_spill_count: 0
    .wavefront_size: 64
  - .agpr_count:     0
    .args:
      - .offset:         0
        .size:           176
        .value_kind:     by_value
    .group_segment_fixed_size: 0
    .kernarg_segment_align: 8
    .kernarg_segment_size: 176
    .language:       OpenCL C
    .language_version:
      - 2
      - 0
    .max_flat_workgroup_size: 256
    .name:           _ZN7rocprim17ROCPRIM_400000_NS6detail17trampoline_kernelINS0_13select_configILj256ELj13ELNS0_17block_load_methodE3ELS4_3ELS4_3ELNS0_20block_scan_algorithmE0ELj4294967295EEENS1_25partition_config_selectorILNS1_17partition_subalgoE4EjNS0_10empty_typeEbEEZZNS1_14partition_implILS8_4ELb0ES6_15HIP_vector_typeIjLj2EENS0_17counting_iteratorIjlEEPS9_SG_NS0_5tupleIJPjSI_NS0_16reverse_iteratorISI_EEEEENSH_IJSG_SG_SG_EEES9_SI_JZNS1_25segmented_radix_sort_implINS0_14default_configELb1EPKiPiPKlPlN2at6native12_GLOBAL__N_18offset_tEEE10hipError_tPvRmT1_PNSt15iterator_traitsIS12_E10value_typeET2_T3_PNS13_IS18_E10value_typeET4_jRbjT5_S1E_jjP12ihipStream_tbEUljE_ZNSN_ISO_Lb1ESQ_SR_ST_SU_SY_EESZ_S10_S11_S12_S16_S17_S18_S1B_S1C_jS1D_jS1E_S1E_jjS1G_bEUljE0_EEESZ_S10_S11_S18_S1C_S1E_T6_T7_T9_mT8_S1G_bDpT10_ENKUlT_T0_E_clISt17integral_constantIbLb0EES1U_EEDaS1P_S1Q_EUlS1P_E_NS1_11comp_targetILNS1_3genE5ELNS1_11target_archE942ELNS1_3gpuE9ELNS1_3repE0EEENS1_30default_config_static_selectorELNS0_4arch9wavefront6targetE1EEEvS12_
    .private_segment_fixed_size: 0
    .sgpr_count:     4
    .sgpr_spill_count: 0
    .symbol:         _ZN7rocprim17ROCPRIM_400000_NS6detail17trampoline_kernelINS0_13select_configILj256ELj13ELNS0_17block_load_methodE3ELS4_3ELS4_3ELNS0_20block_scan_algorithmE0ELj4294967295EEENS1_25partition_config_selectorILNS1_17partition_subalgoE4EjNS0_10empty_typeEbEEZZNS1_14partition_implILS8_4ELb0ES6_15HIP_vector_typeIjLj2EENS0_17counting_iteratorIjlEEPS9_SG_NS0_5tupleIJPjSI_NS0_16reverse_iteratorISI_EEEEENSH_IJSG_SG_SG_EEES9_SI_JZNS1_25segmented_radix_sort_implINS0_14default_configELb1EPKiPiPKlPlN2at6native12_GLOBAL__N_18offset_tEEE10hipError_tPvRmT1_PNSt15iterator_traitsIS12_E10value_typeET2_T3_PNS13_IS18_E10value_typeET4_jRbjT5_S1E_jjP12ihipStream_tbEUljE_ZNSN_ISO_Lb1ESQ_SR_ST_SU_SY_EESZ_S10_S11_S12_S16_S17_S18_S1B_S1C_jS1D_jS1E_S1E_jjS1G_bEUljE0_EEESZ_S10_S11_S18_S1C_S1E_T6_T7_T9_mT8_S1G_bDpT10_ENKUlT_T0_E_clISt17integral_constantIbLb0EES1U_EEDaS1P_S1Q_EUlS1P_E_NS1_11comp_targetILNS1_3genE5ELNS1_11target_archE942ELNS1_3gpuE9ELNS1_3repE0EEENS1_30default_config_static_selectorELNS0_4arch9wavefront6targetE1EEEvS12_.kd
    .uniform_work_group_size: 1
    .uses_dynamic_stack: false
    .vgpr_count:     0
    .vgpr_spill_count: 0
    .wavefront_size: 64
  - .agpr_count:     0
    .args:
      - .offset:         0
        .size:           176
        .value_kind:     by_value
    .group_segment_fixed_size: 13340
    .kernarg_segment_align: 8
    .kernarg_segment_size: 176
    .language:       OpenCL C
    .language_version:
      - 2
      - 0
    .max_flat_workgroup_size: 256
    .name:           _ZN7rocprim17ROCPRIM_400000_NS6detail17trampoline_kernelINS0_13select_configILj256ELj13ELNS0_17block_load_methodE3ELS4_3ELS4_3ELNS0_20block_scan_algorithmE0ELj4294967295EEENS1_25partition_config_selectorILNS1_17partition_subalgoE4EjNS0_10empty_typeEbEEZZNS1_14partition_implILS8_4ELb0ES6_15HIP_vector_typeIjLj2EENS0_17counting_iteratorIjlEEPS9_SG_NS0_5tupleIJPjSI_NS0_16reverse_iteratorISI_EEEEENSH_IJSG_SG_SG_EEES9_SI_JZNS1_25segmented_radix_sort_implINS0_14default_configELb1EPKiPiPKlPlN2at6native12_GLOBAL__N_18offset_tEEE10hipError_tPvRmT1_PNSt15iterator_traitsIS12_E10value_typeET2_T3_PNS13_IS18_E10value_typeET4_jRbjT5_S1E_jjP12ihipStream_tbEUljE_ZNSN_ISO_Lb1ESQ_SR_ST_SU_SY_EESZ_S10_S11_S12_S16_S17_S18_S1B_S1C_jS1D_jS1E_S1E_jjS1G_bEUljE0_EEESZ_S10_S11_S18_S1C_S1E_T6_T7_T9_mT8_S1G_bDpT10_ENKUlT_T0_E_clISt17integral_constantIbLb0EES1U_EEDaS1P_S1Q_EUlS1P_E_NS1_11comp_targetILNS1_3genE4ELNS1_11target_archE910ELNS1_3gpuE8ELNS1_3repE0EEENS1_30default_config_static_selectorELNS0_4arch9wavefront6targetE1EEEvS12_
    .private_segment_fixed_size: 0
    .sgpr_count:     94
    .sgpr_spill_count: 0
    .symbol:         _ZN7rocprim17ROCPRIM_400000_NS6detail17trampoline_kernelINS0_13select_configILj256ELj13ELNS0_17block_load_methodE3ELS4_3ELS4_3ELNS0_20block_scan_algorithmE0ELj4294967295EEENS1_25partition_config_selectorILNS1_17partition_subalgoE4EjNS0_10empty_typeEbEEZZNS1_14partition_implILS8_4ELb0ES6_15HIP_vector_typeIjLj2EENS0_17counting_iteratorIjlEEPS9_SG_NS0_5tupleIJPjSI_NS0_16reverse_iteratorISI_EEEEENSH_IJSG_SG_SG_EEES9_SI_JZNS1_25segmented_radix_sort_implINS0_14default_configELb1EPKiPiPKlPlN2at6native12_GLOBAL__N_18offset_tEEE10hipError_tPvRmT1_PNSt15iterator_traitsIS12_E10value_typeET2_T3_PNS13_IS18_E10value_typeET4_jRbjT5_S1E_jjP12ihipStream_tbEUljE_ZNSN_ISO_Lb1ESQ_SR_ST_SU_SY_EESZ_S10_S11_S12_S16_S17_S18_S1B_S1C_jS1D_jS1E_S1E_jjS1G_bEUljE0_EEESZ_S10_S11_S18_S1C_S1E_T6_T7_T9_mT8_S1G_bDpT10_ENKUlT_T0_E_clISt17integral_constantIbLb0EES1U_EEDaS1P_S1Q_EUlS1P_E_NS1_11comp_targetILNS1_3genE4ELNS1_11target_archE910ELNS1_3gpuE8ELNS1_3repE0EEENS1_30default_config_static_selectorELNS0_4arch9wavefront6targetE1EEEvS12_.kd
    .uniform_work_group_size: 1
    .uses_dynamic_stack: false
    .vgpr_count:     102
    .vgpr_spill_count: 0
    .wavefront_size: 64
  - .agpr_count:     0
    .args:
      - .offset:         0
        .size:           176
        .value_kind:     by_value
    .group_segment_fixed_size: 0
    .kernarg_segment_align: 8
    .kernarg_segment_size: 176
    .language:       OpenCL C
    .language_version:
      - 2
      - 0
    .max_flat_workgroup_size: 256
    .name:           _ZN7rocprim17ROCPRIM_400000_NS6detail17trampoline_kernelINS0_13select_configILj256ELj13ELNS0_17block_load_methodE3ELS4_3ELS4_3ELNS0_20block_scan_algorithmE0ELj4294967295EEENS1_25partition_config_selectorILNS1_17partition_subalgoE4EjNS0_10empty_typeEbEEZZNS1_14partition_implILS8_4ELb0ES6_15HIP_vector_typeIjLj2EENS0_17counting_iteratorIjlEEPS9_SG_NS0_5tupleIJPjSI_NS0_16reverse_iteratorISI_EEEEENSH_IJSG_SG_SG_EEES9_SI_JZNS1_25segmented_radix_sort_implINS0_14default_configELb1EPKiPiPKlPlN2at6native12_GLOBAL__N_18offset_tEEE10hipError_tPvRmT1_PNSt15iterator_traitsIS12_E10value_typeET2_T3_PNS13_IS18_E10value_typeET4_jRbjT5_S1E_jjP12ihipStream_tbEUljE_ZNSN_ISO_Lb1ESQ_SR_ST_SU_SY_EESZ_S10_S11_S12_S16_S17_S18_S1B_S1C_jS1D_jS1E_S1E_jjS1G_bEUljE0_EEESZ_S10_S11_S18_S1C_S1E_T6_T7_T9_mT8_S1G_bDpT10_ENKUlT_T0_E_clISt17integral_constantIbLb0EES1U_EEDaS1P_S1Q_EUlS1P_E_NS1_11comp_targetILNS1_3genE3ELNS1_11target_archE908ELNS1_3gpuE7ELNS1_3repE0EEENS1_30default_config_static_selectorELNS0_4arch9wavefront6targetE1EEEvS12_
    .private_segment_fixed_size: 0
    .sgpr_count:     4
    .sgpr_spill_count: 0
    .symbol:         _ZN7rocprim17ROCPRIM_400000_NS6detail17trampoline_kernelINS0_13select_configILj256ELj13ELNS0_17block_load_methodE3ELS4_3ELS4_3ELNS0_20block_scan_algorithmE0ELj4294967295EEENS1_25partition_config_selectorILNS1_17partition_subalgoE4EjNS0_10empty_typeEbEEZZNS1_14partition_implILS8_4ELb0ES6_15HIP_vector_typeIjLj2EENS0_17counting_iteratorIjlEEPS9_SG_NS0_5tupleIJPjSI_NS0_16reverse_iteratorISI_EEEEENSH_IJSG_SG_SG_EEES9_SI_JZNS1_25segmented_radix_sort_implINS0_14default_configELb1EPKiPiPKlPlN2at6native12_GLOBAL__N_18offset_tEEE10hipError_tPvRmT1_PNSt15iterator_traitsIS12_E10value_typeET2_T3_PNS13_IS18_E10value_typeET4_jRbjT5_S1E_jjP12ihipStream_tbEUljE_ZNSN_ISO_Lb1ESQ_SR_ST_SU_SY_EESZ_S10_S11_S12_S16_S17_S18_S1B_S1C_jS1D_jS1E_S1E_jjS1G_bEUljE0_EEESZ_S10_S11_S18_S1C_S1E_T6_T7_T9_mT8_S1G_bDpT10_ENKUlT_T0_E_clISt17integral_constantIbLb0EES1U_EEDaS1P_S1Q_EUlS1P_E_NS1_11comp_targetILNS1_3genE3ELNS1_11target_archE908ELNS1_3gpuE7ELNS1_3repE0EEENS1_30default_config_static_selectorELNS0_4arch9wavefront6targetE1EEEvS12_.kd
    .uniform_work_group_size: 1
    .uses_dynamic_stack: false
    .vgpr_count:     0
    .vgpr_spill_count: 0
    .wavefront_size: 64
  - .agpr_count:     0
    .args:
      - .offset:         0
        .size:           176
        .value_kind:     by_value
    .group_segment_fixed_size: 0
    .kernarg_segment_align: 8
    .kernarg_segment_size: 176
    .language:       OpenCL C
    .language_version:
      - 2
      - 0
    .max_flat_workgroup_size: 256
    .name:           _ZN7rocprim17ROCPRIM_400000_NS6detail17trampoline_kernelINS0_13select_configILj256ELj13ELNS0_17block_load_methodE3ELS4_3ELS4_3ELNS0_20block_scan_algorithmE0ELj4294967295EEENS1_25partition_config_selectorILNS1_17partition_subalgoE4EjNS0_10empty_typeEbEEZZNS1_14partition_implILS8_4ELb0ES6_15HIP_vector_typeIjLj2EENS0_17counting_iteratorIjlEEPS9_SG_NS0_5tupleIJPjSI_NS0_16reverse_iteratorISI_EEEEENSH_IJSG_SG_SG_EEES9_SI_JZNS1_25segmented_radix_sort_implINS0_14default_configELb1EPKiPiPKlPlN2at6native12_GLOBAL__N_18offset_tEEE10hipError_tPvRmT1_PNSt15iterator_traitsIS12_E10value_typeET2_T3_PNS13_IS18_E10value_typeET4_jRbjT5_S1E_jjP12ihipStream_tbEUljE_ZNSN_ISO_Lb1ESQ_SR_ST_SU_SY_EESZ_S10_S11_S12_S16_S17_S18_S1B_S1C_jS1D_jS1E_S1E_jjS1G_bEUljE0_EEESZ_S10_S11_S18_S1C_S1E_T6_T7_T9_mT8_S1G_bDpT10_ENKUlT_T0_E_clISt17integral_constantIbLb0EES1U_EEDaS1P_S1Q_EUlS1P_E_NS1_11comp_targetILNS1_3genE2ELNS1_11target_archE906ELNS1_3gpuE6ELNS1_3repE0EEENS1_30default_config_static_selectorELNS0_4arch9wavefront6targetE1EEEvS12_
    .private_segment_fixed_size: 0
    .sgpr_count:     4
    .sgpr_spill_count: 0
    .symbol:         _ZN7rocprim17ROCPRIM_400000_NS6detail17trampoline_kernelINS0_13select_configILj256ELj13ELNS0_17block_load_methodE3ELS4_3ELS4_3ELNS0_20block_scan_algorithmE0ELj4294967295EEENS1_25partition_config_selectorILNS1_17partition_subalgoE4EjNS0_10empty_typeEbEEZZNS1_14partition_implILS8_4ELb0ES6_15HIP_vector_typeIjLj2EENS0_17counting_iteratorIjlEEPS9_SG_NS0_5tupleIJPjSI_NS0_16reverse_iteratorISI_EEEEENSH_IJSG_SG_SG_EEES9_SI_JZNS1_25segmented_radix_sort_implINS0_14default_configELb1EPKiPiPKlPlN2at6native12_GLOBAL__N_18offset_tEEE10hipError_tPvRmT1_PNSt15iterator_traitsIS12_E10value_typeET2_T3_PNS13_IS18_E10value_typeET4_jRbjT5_S1E_jjP12ihipStream_tbEUljE_ZNSN_ISO_Lb1ESQ_SR_ST_SU_SY_EESZ_S10_S11_S12_S16_S17_S18_S1B_S1C_jS1D_jS1E_S1E_jjS1G_bEUljE0_EEESZ_S10_S11_S18_S1C_S1E_T6_T7_T9_mT8_S1G_bDpT10_ENKUlT_T0_E_clISt17integral_constantIbLb0EES1U_EEDaS1P_S1Q_EUlS1P_E_NS1_11comp_targetILNS1_3genE2ELNS1_11target_archE906ELNS1_3gpuE6ELNS1_3repE0EEENS1_30default_config_static_selectorELNS0_4arch9wavefront6targetE1EEEvS12_.kd
    .uniform_work_group_size: 1
    .uses_dynamic_stack: false
    .vgpr_count:     0
    .vgpr_spill_count: 0
    .wavefront_size: 64
  - .agpr_count:     0
    .args:
      - .offset:         0
        .size:           176
        .value_kind:     by_value
    .group_segment_fixed_size: 0
    .kernarg_segment_align: 8
    .kernarg_segment_size: 176
    .language:       OpenCL C
    .language_version:
      - 2
      - 0
    .max_flat_workgroup_size: 256
    .name:           _ZN7rocprim17ROCPRIM_400000_NS6detail17trampoline_kernelINS0_13select_configILj256ELj13ELNS0_17block_load_methodE3ELS4_3ELS4_3ELNS0_20block_scan_algorithmE0ELj4294967295EEENS1_25partition_config_selectorILNS1_17partition_subalgoE4EjNS0_10empty_typeEbEEZZNS1_14partition_implILS8_4ELb0ES6_15HIP_vector_typeIjLj2EENS0_17counting_iteratorIjlEEPS9_SG_NS0_5tupleIJPjSI_NS0_16reverse_iteratorISI_EEEEENSH_IJSG_SG_SG_EEES9_SI_JZNS1_25segmented_radix_sort_implINS0_14default_configELb1EPKiPiPKlPlN2at6native12_GLOBAL__N_18offset_tEEE10hipError_tPvRmT1_PNSt15iterator_traitsIS12_E10value_typeET2_T3_PNS13_IS18_E10value_typeET4_jRbjT5_S1E_jjP12ihipStream_tbEUljE_ZNSN_ISO_Lb1ESQ_SR_ST_SU_SY_EESZ_S10_S11_S12_S16_S17_S18_S1B_S1C_jS1D_jS1E_S1E_jjS1G_bEUljE0_EEESZ_S10_S11_S18_S1C_S1E_T6_T7_T9_mT8_S1G_bDpT10_ENKUlT_T0_E_clISt17integral_constantIbLb0EES1U_EEDaS1P_S1Q_EUlS1P_E_NS1_11comp_targetILNS1_3genE10ELNS1_11target_archE1200ELNS1_3gpuE4ELNS1_3repE0EEENS1_30default_config_static_selectorELNS0_4arch9wavefront6targetE1EEEvS12_
    .private_segment_fixed_size: 0
    .sgpr_count:     4
    .sgpr_spill_count: 0
    .symbol:         _ZN7rocprim17ROCPRIM_400000_NS6detail17trampoline_kernelINS0_13select_configILj256ELj13ELNS0_17block_load_methodE3ELS4_3ELS4_3ELNS0_20block_scan_algorithmE0ELj4294967295EEENS1_25partition_config_selectorILNS1_17partition_subalgoE4EjNS0_10empty_typeEbEEZZNS1_14partition_implILS8_4ELb0ES6_15HIP_vector_typeIjLj2EENS0_17counting_iteratorIjlEEPS9_SG_NS0_5tupleIJPjSI_NS0_16reverse_iteratorISI_EEEEENSH_IJSG_SG_SG_EEES9_SI_JZNS1_25segmented_radix_sort_implINS0_14default_configELb1EPKiPiPKlPlN2at6native12_GLOBAL__N_18offset_tEEE10hipError_tPvRmT1_PNSt15iterator_traitsIS12_E10value_typeET2_T3_PNS13_IS18_E10value_typeET4_jRbjT5_S1E_jjP12ihipStream_tbEUljE_ZNSN_ISO_Lb1ESQ_SR_ST_SU_SY_EESZ_S10_S11_S12_S16_S17_S18_S1B_S1C_jS1D_jS1E_S1E_jjS1G_bEUljE0_EEESZ_S10_S11_S18_S1C_S1E_T6_T7_T9_mT8_S1G_bDpT10_ENKUlT_T0_E_clISt17integral_constantIbLb0EES1U_EEDaS1P_S1Q_EUlS1P_E_NS1_11comp_targetILNS1_3genE10ELNS1_11target_archE1200ELNS1_3gpuE4ELNS1_3repE0EEENS1_30default_config_static_selectorELNS0_4arch9wavefront6targetE1EEEvS12_.kd
    .uniform_work_group_size: 1
    .uses_dynamic_stack: false
    .vgpr_count:     0
    .vgpr_spill_count: 0
    .wavefront_size: 64
  - .agpr_count:     0
    .args:
      - .offset:         0
        .size:           176
        .value_kind:     by_value
    .group_segment_fixed_size: 0
    .kernarg_segment_align: 8
    .kernarg_segment_size: 176
    .language:       OpenCL C
    .language_version:
      - 2
      - 0
    .max_flat_workgroup_size: 256
    .name:           _ZN7rocprim17ROCPRIM_400000_NS6detail17trampoline_kernelINS0_13select_configILj256ELj13ELNS0_17block_load_methodE3ELS4_3ELS4_3ELNS0_20block_scan_algorithmE0ELj4294967295EEENS1_25partition_config_selectorILNS1_17partition_subalgoE4EjNS0_10empty_typeEbEEZZNS1_14partition_implILS8_4ELb0ES6_15HIP_vector_typeIjLj2EENS0_17counting_iteratorIjlEEPS9_SG_NS0_5tupleIJPjSI_NS0_16reverse_iteratorISI_EEEEENSH_IJSG_SG_SG_EEES9_SI_JZNS1_25segmented_radix_sort_implINS0_14default_configELb1EPKiPiPKlPlN2at6native12_GLOBAL__N_18offset_tEEE10hipError_tPvRmT1_PNSt15iterator_traitsIS12_E10value_typeET2_T3_PNS13_IS18_E10value_typeET4_jRbjT5_S1E_jjP12ihipStream_tbEUljE_ZNSN_ISO_Lb1ESQ_SR_ST_SU_SY_EESZ_S10_S11_S12_S16_S17_S18_S1B_S1C_jS1D_jS1E_S1E_jjS1G_bEUljE0_EEESZ_S10_S11_S18_S1C_S1E_T6_T7_T9_mT8_S1G_bDpT10_ENKUlT_T0_E_clISt17integral_constantIbLb0EES1U_EEDaS1P_S1Q_EUlS1P_E_NS1_11comp_targetILNS1_3genE9ELNS1_11target_archE1100ELNS1_3gpuE3ELNS1_3repE0EEENS1_30default_config_static_selectorELNS0_4arch9wavefront6targetE1EEEvS12_
    .private_segment_fixed_size: 0
    .sgpr_count:     4
    .sgpr_spill_count: 0
    .symbol:         _ZN7rocprim17ROCPRIM_400000_NS6detail17trampoline_kernelINS0_13select_configILj256ELj13ELNS0_17block_load_methodE3ELS4_3ELS4_3ELNS0_20block_scan_algorithmE0ELj4294967295EEENS1_25partition_config_selectorILNS1_17partition_subalgoE4EjNS0_10empty_typeEbEEZZNS1_14partition_implILS8_4ELb0ES6_15HIP_vector_typeIjLj2EENS0_17counting_iteratorIjlEEPS9_SG_NS0_5tupleIJPjSI_NS0_16reverse_iteratorISI_EEEEENSH_IJSG_SG_SG_EEES9_SI_JZNS1_25segmented_radix_sort_implINS0_14default_configELb1EPKiPiPKlPlN2at6native12_GLOBAL__N_18offset_tEEE10hipError_tPvRmT1_PNSt15iterator_traitsIS12_E10value_typeET2_T3_PNS13_IS18_E10value_typeET4_jRbjT5_S1E_jjP12ihipStream_tbEUljE_ZNSN_ISO_Lb1ESQ_SR_ST_SU_SY_EESZ_S10_S11_S12_S16_S17_S18_S1B_S1C_jS1D_jS1E_S1E_jjS1G_bEUljE0_EEESZ_S10_S11_S18_S1C_S1E_T6_T7_T9_mT8_S1G_bDpT10_ENKUlT_T0_E_clISt17integral_constantIbLb0EES1U_EEDaS1P_S1Q_EUlS1P_E_NS1_11comp_targetILNS1_3genE9ELNS1_11target_archE1100ELNS1_3gpuE3ELNS1_3repE0EEENS1_30default_config_static_selectorELNS0_4arch9wavefront6targetE1EEEvS12_.kd
    .uniform_work_group_size: 1
    .uses_dynamic_stack: false
    .vgpr_count:     0
    .vgpr_spill_count: 0
    .wavefront_size: 64
  - .agpr_count:     0
    .args:
      - .offset:         0
        .size:           176
        .value_kind:     by_value
    .group_segment_fixed_size: 0
    .kernarg_segment_align: 8
    .kernarg_segment_size: 176
    .language:       OpenCL C
    .language_version:
      - 2
      - 0
    .max_flat_workgroup_size: 256
    .name:           _ZN7rocprim17ROCPRIM_400000_NS6detail17trampoline_kernelINS0_13select_configILj256ELj13ELNS0_17block_load_methodE3ELS4_3ELS4_3ELNS0_20block_scan_algorithmE0ELj4294967295EEENS1_25partition_config_selectorILNS1_17partition_subalgoE4EjNS0_10empty_typeEbEEZZNS1_14partition_implILS8_4ELb0ES6_15HIP_vector_typeIjLj2EENS0_17counting_iteratorIjlEEPS9_SG_NS0_5tupleIJPjSI_NS0_16reverse_iteratorISI_EEEEENSH_IJSG_SG_SG_EEES9_SI_JZNS1_25segmented_radix_sort_implINS0_14default_configELb1EPKiPiPKlPlN2at6native12_GLOBAL__N_18offset_tEEE10hipError_tPvRmT1_PNSt15iterator_traitsIS12_E10value_typeET2_T3_PNS13_IS18_E10value_typeET4_jRbjT5_S1E_jjP12ihipStream_tbEUljE_ZNSN_ISO_Lb1ESQ_SR_ST_SU_SY_EESZ_S10_S11_S12_S16_S17_S18_S1B_S1C_jS1D_jS1E_S1E_jjS1G_bEUljE0_EEESZ_S10_S11_S18_S1C_S1E_T6_T7_T9_mT8_S1G_bDpT10_ENKUlT_T0_E_clISt17integral_constantIbLb0EES1U_EEDaS1P_S1Q_EUlS1P_E_NS1_11comp_targetILNS1_3genE8ELNS1_11target_archE1030ELNS1_3gpuE2ELNS1_3repE0EEENS1_30default_config_static_selectorELNS0_4arch9wavefront6targetE1EEEvS12_
    .private_segment_fixed_size: 0
    .sgpr_count:     4
    .sgpr_spill_count: 0
    .symbol:         _ZN7rocprim17ROCPRIM_400000_NS6detail17trampoline_kernelINS0_13select_configILj256ELj13ELNS0_17block_load_methodE3ELS4_3ELS4_3ELNS0_20block_scan_algorithmE0ELj4294967295EEENS1_25partition_config_selectorILNS1_17partition_subalgoE4EjNS0_10empty_typeEbEEZZNS1_14partition_implILS8_4ELb0ES6_15HIP_vector_typeIjLj2EENS0_17counting_iteratorIjlEEPS9_SG_NS0_5tupleIJPjSI_NS0_16reverse_iteratorISI_EEEEENSH_IJSG_SG_SG_EEES9_SI_JZNS1_25segmented_radix_sort_implINS0_14default_configELb1EPKiPiPKlPlN2at6native12_GLOBAL__N_18offset_tEEE10hipError_tPvRmT1_PNSt15iterator_traitsIS12_E10value_typeET2_T3_PNS13_IS18_E10value_typeET4_jRbjT5_S1E_jjP12ihipStream_tbEUljE_ZNSN_ISO_Lb1ESQ_SR_ST_SU_SY_EESZ_S10_S11_S12_S16_S17_S18_S1B_S1C_jS1D_jS1E_S1E_jjS1G_bEUljE0_EEESZ_S10_S11_S18_S1C_S1E_T6_T7_T9_mT8_S1G_bDpT10_ENKUlT_T0_E_clISt17integral_constantIbLb0EES1U_EEDaS1P_S1Q_EUlS1P_E_NS1_11comp_targetILNS1_3genE8ELNS1_11target_archE1030ELNS1_3gpuE2ELNS1_3repE0EEENS1_30default_config_static_selectorELNS0_4arch9wavefront6targetE1EEEvS12_.kd
    .uniform_work_group_size: 1
    .uses_dynamic_stack: false
    .vgpr_count:     0
    .vgpr_spill_count: 0
    .wavefront_size: 64
  - .agpr_count:     0
    .args:
      - .offset:         0
        .size:           184
        .value_kind:     by_value
    .group_segment_fixed_size: 0
    .kernarg_segment_align: 8
    .kernarg_segment_size: 184
    .language:       OpenCL C
    .language_version:
      - 2
      - 0
    .max_flat_workgroup_size: 256
    .name:           _ZN7rocprim17ROCPRIM_400000_NS6detail17trampoline_kernelINS0_13select_configILj256ELj13ELNS0_17block_load_methodE3ELS4_3ELS4_3ELNS0_20block_scan_algorithmE0ELj4294967295EEENS1_25partition_config_selectorILNS1_17partition_subalgoE4EjNS0_10empty_typeEbEEZZNS1_14partition_implILS8_4ELb0ES6_15HIP_vector_typeIjLj2EENS0_17counting_iteratorIjlEEPS9_SG_NS0_5tupleIJPjSI_NS0_16reverse_iteratorISI_EEEEENSH_IJSG_SG_SG_EEES9_SI_JZNS1_25segmented_radix_sort_implINS0_14default_configELb1EPKiPiPKlPlN2at6native12_GLOBAL__N_18offset_tEEE10hipError_tPvRmT1_PNSt15iterator_traitsIS12_E10value_typeET2_T3_PNS13_IS18_E10value_typeET4_jRbjT5_S1E_jjP12ihipStream_tbEUljE_ZNSN_ISO_Lb1ESQ_SR_ST_SU_SY_EESZ_S10_S11_S12_S16_S17_S18_S1B_S1C_jS1D_jS1E_S1E_jjS1G_bEUljE0_EEESZ_S10_S11_S18_S1C_S1E_T6_T7_T9_mT8_S1G_bDpT10_ENKUlT_T0_E_clISt17integral_constantIbLb1EES1U_EEDaS1P_S1Q_EUlS1P_E_NS1_11comp_targetILNS1_3genE0ELNS1_11target_archE4294967295ELNS1_3gpuE0ELNS1_3repE0EEENS1_30default_config_static_selectorELNS0_4arch9wavefront6targetE1EEEvS12_
    .private_segment_fixed_size: 0
    .sgpr_count:     4
    .sgpr_spill_count: 0
    .symbol:         _ZN7rocprim17ROCPRIM_400000_NS6detail17trampoline_kernelINS0_13select_configILj256ELj13ELNS0_17block_load_methodE3ELS4_3ELS4_3ELNS0_20block_scan_algorithmE0ELj4294967295EEENS1_25partition_config_selectorILNS1_17partition_subalgoE4EjNS0_10empty_typeEbEEZZNS1_14partition_implILS8_4ELb0ES6_15HIP_vector_typeIjLj2EENS0_17counting_iteratorIjlEEPS9_SG_NS0_5tupleIJPjSI_NS0_16reverse_iteratorISI_EEEEENSH_IJSG_SG_SG_EEES9_SI_JZNS1_25segmented_radix_sort_implINS0_14default_configELb1EPKiPiPKlPlN2at6native12_GLOBAL__N_18offset_tEEE10hipError_tPvRmT1_PNSt15iterator_traitsIS12_E10value_typeET2_T3_PNS13_IS18_E10value_typeET4_jRbjT5_S1E_jjP12ihipStream_tbEUljE_ZNSN_ISO_Lb1ESQ_SR_ST_SU_SY_EESZ_S10_S11_S12_S16_S17_S18_S1B_S1C_jS1D_jS1E_S1E_jjS1G_bEUljE0_EEESZ_S10_S11_S18_S1C_S1E_T6_T7_T9_mT8_S1G_bDpT10_ENKUlT_T0_E_clISt17integral_constantIbLb1EES1U_EEDaS1P_S1Q_EUlS1P_E_NS1_11comp_targetILNS1_3genE0ELNS1_11target_archE4294967295ELNS1_3gpuE0ELNS1_3repE0EEENS1_30default_config_static_selectorELNS0_4arch9wavefront6targetE1EEEvS12_.kd
    .uniform_work_group_size: 1
    .uses_dynamic_stack: false
    .vgpr_count:     0
    .vgpr_spill_count: 0
    .wavefront_size: 64
  - .agpr_count:     0
    .args:
      - .offset:         0
        .size:           184
        .value_kind:     by_value
    .group_segment_fixed_size: 0
    .kernarg_segment_align: 8
    .kernarg_segment_size: 184
    .language:       OpenCL C
    .language_version:
      - 2
      - 0
    .max_flat_workgroup_size: 256
    .name:           _ZN7rocprim17ROCPRIM_400000_NS6detail17trampoline_kernelINS0_13select_configILj256ELj13ELNS0_17block_load_methodE3ELS4_3ELS4_3ELNS0_20block_scan_algorithmE0ELj4294967295EEENS1_25partition_config_selectorILNS1_17partition_subalgoE4EjNS0_10empty_typeEbEEZZNS1_14partition_implILS8_4ELb0ES6_15HIP_vector_typeIjLj2EENS0_17counting_iteratorIjlEEPS9_SG_NS0_5tupleIJPjSI_NS0_16reverse_iteratorISI_EEEEENSH_IJSG_SG_SG_EEES9_SI_JZNS1_25segmented_radix_sort_implINS0_14default_configELb1EPKiPiPKlPlN2at6native12_GLOBAL__N_18offset_tEEE10hipError_tPvRmT1_PNSt15iterator_traitsIS12_E10value_typeET2_T3_PNS13_IS18_E10value_typeET4_jRbjT5_S1E_jjP12ihipStream_tbEUljE_ZNSN_ISO_Lb1ESQ_SR_ST_SU_SY_EESZ_S10_S11_S12_S16_S17_S18_S1B_S1C_jS1D_jS1E_S1E_jjS1G_bEUljE0_EEESZ_S10_S11_S18_S1C_S1E_T6_T7_T9_mT8_S1G_bDpT10_ENKUlT_T0_E_clISt17integral_constantIbLb1EES1U_EEDaS1P_S1Q_EUlS1P_E_NS1_11comp_targetILNS1_3genE5ELNS1_11target_archE942ELNS1_3gpuE9ELNS1_3repE0EEENS1_30default_config_static_selectorELNS0_4arch9wavefront6targetE1EEEvS12_
    .private_segment_fixed_size: 0
    .sgpr_count:     4
    .sgpr_spill_count: 0
    .symbol:         _ZN7rocprim17ROCPRIM_400000_NS6detail17trampoline_kernelINS0_13select_configILj256ELj13ELNS0_17block_load_methodE3ELS4_3ELS4_3ELNS0_20block_scan_algorithmE0ELj4294967295EEENS1_25partition_config_selectorILNS1_17partition_subalgoE4EjNS0_10empty_typeEbEEZZNS1_14partition_implILS8_4ELb0ES6_15HIP_vector_typeIjLj2EENS0_17counting_iteratorIjlEEPS9_SG_NS0_5tupleIJPjSI_NS0_16reverse_iteratorISI_EEEEENSH_IJSG_SG_SG_EEES9_SI_JZNS1_25segmented_radix_sort_implINS0_14default_configELb1EPKiPiPKlPlN2at6native12_GLOBAL__N_18offset_tEEE10hipError_tPvRmT1_PNSt15iterator_traitsIS12_E10value_typeET2_T3_PNS13_IS18_E10value_typeET4_jRbjT5_S1E_jjP12ihipStream_tbEUljE_ZNSN_ISO_Lb1ESQ_SR_ST_SU_SY_EESZ_S10_S11_S12_S16_S17_S18_S1B_S1C_jS1D_jS1E_S1E_jjS1G_bEUljE0_EEESZ_S10_S11_S18_S1C_S1E_T6_T7_T9_mT8_S1G_bDpT10_ENKUlT_T0_E_clISt17integral_constantIbLb1EES1U_EEDaS1P_S1Q_EUlS1P_E_NS1_11comp_targetILNS1_3genE5ELNS1_11target_archE942ELNS1_3gpuE9ELNS1_3repE0EEENS1_30default_config_static_selectorELNS0_4arch9wavefront6targetE1EEEvS12_.kd
    .uniform_work_group_size: 1
    .uses_dynamic_stack: false
    .vgpr_count:     0
    .vgpr_spill_count: 0
    .wavefront_size: 64
  - .agpr_count:     0
    .args:
      - .offset:         0
        .size:           184
        .value_kind:     by_value
    .group_segment_fixed_size: 13340
    .kernarg_segment_align: 8
    .kernarg_segment_size: 184
    .language:       OpenCL C
    .language_version:
      - 2
      - 0
    .max_flat_workgroup_size: 256
    .name:           _ZN7rocprim17ROCPRIM_400000_NS6detail17trampoline_kernelINS0_13select_configILj256ELj13ELNS0_17block_load_methodE3ELS4_3ELS4_3ELNS0_20block_scan_algorithmE0ELj4294967295EEENS1_25partition_config_selectorILNS1_17partition_subalgoE4EjNS0_10empty_typeEbEEZZNS1_14partition_implILS8_4ELb0ES6_15HIP_vector_typeIjLj2EENS0_17counting_iteratorIjlEEPS9_SG_NS0_5tupleIJPjSI_NS0_16reverse_iteratorISI_EEEEENSH_IJSG_SG_SG_EEES9_SI_JZNS1_25segmented_radix_sort_implINS0_14default_configELb1EPKiPiPKlPlN2at6native12_GLOBAL__N_18offset_tEEE10hipError_tPvRmT1_PNSt15iterator_traitsIS12_E10value_typeET2_T3_PNS13_IS18_E10value_typeET4_jRbjT5_S1E_jjP12ihipStream_tbEUljE_ZNSN_ISO_Lb1ESQ_SR_ST_SU_SY_EESZ_S10_S11_S12_S16_S17_S18_S1B_S1C_jS1D_jS1E_S1E_jjS1G_bEUljE0_EEESZ_S10_S11_S18_S1C_S1E_T6_T7_T9_mT8_S1G_bDpT10_ENKUlT_T0_E_clISt17integral_constantIbLb1EES1U_EEDaS1P_S1Q_EUlS1P_E_NS1_11comp_targetILNS1_3genE4ELNS1_11target_archE910ELNS1_3gpuE8ELNS1_3repE0EEENS1_30default_config_static_selectorELNS0_4arch9wavefront6targetE1EEEvS12_
    .private_segment_fixed_size: 0
    .sgpr_count:     91
    .sgpr_spill_count: 0
    .symbol:         _ZN7rocprim17ROCPRIM_400000_NS6detail17trampoline_kernelINS0_13select_configILj256ELj13ELNS0_17block_load_methodE3ELS4_3ELS4_3ELNS0_20block_scan_algorithmE0ELj4294967295EEENS1_25partition_config_selectorILNS1_17partition_subalgoE4EjNS0_10empty_typeEbEEZZNS1_14partition_implILS8_4ELb0ES6_15HIP_vector_typeIjLj2EENS0_17counting_iteratorIjlEEPS9_SG_NS0_5tupleIJPjSI_NS0_16reverse_iteratorISI_EEEEENSH_IJSG_SG_SG_EEES9_SI_JZNS1_25segmented_radix_sort_implINS0_14default_configELb1EPKiPiPKlPlN2at6native12_GLOBAL__N_18offset_tEEE10hipError_tPvRmT1_PNSt15iterator_traitsIS12_E10value_typeET2_T3_PNS13_IS18_E10value_typeET4_jRbjT5_S1E_jjP12ihipStream_tbEUljE_ZNSN_ISO_Lb1ESQ_SR_ST_SU_SY_EESZ_S10_S11_S12_S16_S17_S18_S1B_S1C_jS1D_jS1E_S1E_jjS1G_bEUljE0_EEESZ_S10_S11_S18_S1C_S1E_T6_T7_T9_mT8_S1G_bDpT10_ENKUlT_T0_E_clISt17integral_constantIbLb1EES1U_EEDaS1P_S1Q_EUlS1P_E_NS1_11comp_targetILNS1_3genE4ELNS1_11target_archE910ELNS1_3gpuE8ELNS1_3repE0EEENS1_30default_config_static_selectorELNS0_4arch9wavefront6targetE1EEEvS12_.kd
    .uniform_work_group_size: 1
    .uses_dynamic_stack: false
    .vgpr_count:     107
    .vgpr_spill_count: 0
    .wavefront_size: 64
  - .agpr_count:     0
    .args:
      - .offset:         0
        .size:           184
        .value_kind:     by_value
    .group_segment_fixed_size: 0
    .kernarg_segment_align: 8
    .kernarg_segment_size: 184
    .language:       OpenCL C
    .language_version:
      - 2
      - 0
    .max_flat_workgroup_size: 256
    .name:           _ZN7rocprim17ROCPRIM_400000_NS6detail17trampoline_kernelINS0_13select_configILj256ELj13ELNS0_17block_load_methodE3ELS4_3ELS4_3ELNS0_20block_scan_algorithmE0ELj4294967295EEENS1_25partition_config_selectorILNS1_17partition_subalgoE4EjNS0_10empty_typeEbEEZZNS1_14partition_implILS8_4ELb0ES6_15HIP_vector_typeIjLj2EENS0_17counting_iteratorIjlEEPS9_SG_NS0_5tupleIJPjSI_NS0_16reverse_iteratorISI_EEEEENSH_IJSG_SG_SG_EEES9_SI_JZNS1_25segmented_radix_sort_implINS0_14default_configELb1EPKiPiPKlPlN2at6native12_GLOBAL__N_18offset_tEEE10hipError_tPvRmT1_PNSt15iterator_traitsIS12_E10value_typeET2_T3_PNS13_IS18_E10value_typeET4_jRbjT5_S1E_jjP12ihipStream_tbEUljE_ZNSN_ISO_Lb1ESQ_SR_ST_SU_SY_EESZ_S10_S11_S12_S16_S17_S18_S1B_S1C_jS1D_jS1E_S1E_jjS1G_bEUljE0_EEESZ_S10_S11_S18_S1C_S1E_T6_T7_T9_mT8_S1G_bDpT10_ENKUlT_T0_E_clISt17integral_constantIbLb1EES1U_EEDaS1P_S1Q_EUlS1P_E_NS1_11comp_targetILNS1_3genE3ELNS1_11target_archE908ELNS1_3gpuE7ELNS1_3repE0EEENS1_30default_config_static_selectorELNS0_4arch9wavefront6targetE1EEEvS12_
    .private_segment_fixed_size: 0
    .sgpr_count:     4
    .sgpr_spill_count: 0
    .symbol:         _ZN7rocprim17ROCPRIM_400000_NS6detail17trampoline_kernelINS0_13select_configILj256ELj13ELNS0_17block_load_methodE3ELS4_3ELS4_3ELNS0_20block_scan_algorithmE0ELj4294967295EEENS1_25partition_config_selectorILNS1_17partition_subalgoE4EjNS0_10empty_typeEbEEZZNS1_14partition_implILS8_4ELb0ES6_15HIP_vector_typeIjLj2EENS0_17counting_iteratorIjlEEPS9_SG_NS0_5tupleIJPjSI_NS0_16reverse_iteratorISI_EEEEENSH_IJSG_SG_SG_EEES9_SI_JZNS1_25segmented_radix_sort_implINS0_14default_configELb1EPKiPiPKlPlN2at6native12_GLOBAL__N_18offset_tEEE10hipError_tPvRmT1_PNSt15iterator_traitsIS12_E10value_typeET2_T3_PNS13_IS18_E10value_typeET4_jRbjT5_S1E_jjP12ihipStream_tbEUljE_ZNSN_ISO_Lb1ESQ_SR_ST_SU_SY_EESZ_S10_S11_S12_S16_S17_S18_S1B_S1C_jS1D_jS1E_S1E_jjS1G_bEUljE0_EEESZ_S10_S11_S18_S1C_S1E_T6_T7_T9_mT8_S1G_bDpT10_ENKUlT_T0_E_clISt17integral_constantIbLb1EES1U_EEDaS1P_S1Q_EUlS1P_E_NS1_11comp_targetILNS1_3genE3ELNS1_11target_archE908ELNS1_3gpuE7ELNS1_3repE0EEENS1_30default_config_static_selectorELNS0_4arch9wavefront6targetE1EEEvS12_.kd
    .uniform_work_group_size: 1
    .uses_dynamic_stack: false
    .vgpr_count:     0
    .vgpr_spill_count: 0
    .wavefront_size: 64
  - .agpr_count:     0
    .args:
      - .offset:         0
        .size:           184
        .value_kind:     by_value
    .group_segment_fixed_size: 0
    .kernarg_segment_align: 8
    .kernarg_segment_size: 184
    .language:       OpenCL C
    .language_version:
      - 2
      - 0
    .max_flat_workgroup_size: 256
    .name:           _ZN7rocprim17ROCPRIM_400000_NS6detail17trampoline_kernelINS0_13select_configILj256ELj13ELNS0_17block_load_methodE3ELS4_3ELS4_3ELNS0_20block_scan_algorithmE0ELj4294967295EEENS1_25partition_config_selectorILNS1_17partition_subalgoE4EjNS0_10empty_typeEbEEZZNS1_14partition_implILS8_4ELb0ES6_15HIP_vector_typeIjLj2EENS0_17counting_iteratorIjlEEPS9_SG_NS0_5tupleIJPjSI_NS0_16reverse_iteratorISI_EEEEENSH_IJSG_SG_SG_EEES9_SI_JZNS1_25segmented_radix_sort_implINS0_14default_configELb1EPKiPiPKlPlN2at6native12_GLOBAL__N_18offset_tEEE10hipError_tPvRmT1_PNSt15iterator_traitsIS12_E10value_typeET2_T3_PNS13_IS18_E10value_typeET4_jRbjT5_S1E_jjP12ihipStream_tbEUljE_ZNSN_ISO_Lb1ESQ_SR_ST_SU_SY_EESZ_S10_S11_S12_S16_S17_S18_S1B_S1C_jS1D_jS1E_S1E_jjS1G_bEUljE0_EEESZ_S10_S11_S18_S1C_S1E_T6_T7_T9_mT8_S1G_bDpT10_ENKUlT_T0_E_clISt17integral_constantIbLb1EES1U_EEDaS1P_S1Q_EUlS1P_E_NS1_11comp_targetILNS1_3genE2ELNS1_11target_archE906ELNS1_3gpuE6ELNS1_3repE0EEENS1_30default_config_static_selectorELNS0_4arch9wavefront6targetE1EEEvS12_
    .private_segment_fixed_size: 0
    .sgpr_count:     4
    .sgpr_spill_count: 0
    .symbol:         _ZN7rocprim17ROCPRIM_400000_NS6detail17trampoline_kernelINS0_13select_configILj256ELj13ELNS0_17block_load_methodE3ELS4_3ELS4_3ELNS0_20block_scan_algorithmE0ELj4294967295EEENS1_25partition_config_selectorILNS1_17partition_subalgoE4EjNS0_10empty_typeEbEEZZNS1_14partition_implILS8_4ELb0ES6_15HIP_vector_typeIjLj2EENS0_17counting_iteratorIjlEEPS9_SG_NS0_5tupleIJPjSI_NS0_16reverse_iteratorISI_EEEEENSH_IJSG_SG_SG_EEES9_SI_JZNS1_25segmented_radix_sort_implINS0_14default_configELb1EPKiPiPKlPlN2at6native12_GLOBAL__N_18offset_tEEE10hipError_tPvRmT1_PNSt15iterator_traitsIS12_E10value_typeET2_T3_PNS13_IS18_E10value_typeET4_jRbjT5_S1E_jjP12ihipStream_tbEUljE_ZNSN_ISO_Lb1ESQ_SR_ST_SU_SY_EESZ_S10_S11_S12_S16_S17_S18_S1B_S1C_jS1D_jS1E_S1E_jjS1G_bEUljE0_EEESZ_S10_S11_S18_S1C_S1E_T6_T7_T9_mT8_S1G_bDpT10_ENKUlT_T0_E_clISt17integral_constantIbLb1EES1U_EEDaS1P_S1Q_EUlS1P_E_NS1_11comp_targetILNS1_3genE2ELNS1_11target_archE906ELNS1_3gpuE6ELNS1_3repE0EEENS1_30default_config_static_selectorELNS0_4arch9wavefront6targetE1EEEvS12_.kd
    .uniform_work_group_size: 1
    .uses_dynamic_stack: false
    .vgpr_count:     0
    .vgpr_spill_count: 0
    .wavefront_size: 64
  - .agpr_count:     0
    .args:
      - .offset:         0
        .size:           184
        .value_kind:     by_value
    .group_segment_fixed_size: 0
    .kernarg_segment_align: 8
    .kernarg_segment_size: 184
    .language:       OpenCL C
    .language_version:
      - 2
      - 0
    .max_flat_workgroup_size: 256
    .name:           _ZN7rocprim17ROCPRIM_400000_NS6detail17trampoline_kernelINS0_13select_configILj256ELj13ELNS0_17block_load_methodE3ELS4_3ELS4_3ELNS0_20block_scan_algorithmE0ELj4294967295EEENS1_25partition_config_selectorILNS1_17partition_subalgoE4EjNS0_10empty_typeEbEEZZNS1_14partition_implILS8_4ELb0ES6_15HIP_vector_typeIjLj2EENS0_17counting_iteratorIjlEEPS9_SG_NS0_5tupleIJPjSI_NS0_16reverse_iteratorISI_EEEEENSH_IJSG_SG_SG_EEES9_SI_JZNS1_25segmented_radix_sort_implINS0_14default_configELb1EPKiPiPKlPlN2at6native12_GLOBAL__N_18offset_tEEE10hipError_tPvRmT1_PNSt15iterator_traitsIS12_E10value_typeET2_T3_PNS13_IS18_E10value_typeET4_jRbjT5_S1E_jjP12ihipStream_tbEUljE_ZNSN_ISO_Lb1ESQ_SR_ST_SU_SY_EESZ_S10_S11_S12_S16_S17_S18_S1B_S1C_jS1D_jS1E_S1E_jjS1G_bEUljE0_EEESZ_S10_S11_S18_S1C_S1E_T6_T7_T9_mT8_S1G_bDpT10_ENKUlT_T0_E_clISt17integral_constantIbLb1EES1U_EEDaS1P_S1Q_EUlS1P_E_NS1_11comp_targetILNS1_3genE10ELNS1_11target_archE1200ELNS1_3gpuE4ELNS1_3repE0EEENS1_30default_config_static_selectorELNS0_4arch9wavefront6targetE1EEEvS12_
    .private_segment_fixed_size: 0
    .sgpr_count:     4
    .sgpr_spill_count: 0
    .symbol:         _ZN7rocprim17ROCPRIM_400000_NS6detail17trampoline_kernelINS0_13select_configILj256ELj13ELNS0_17block_load_methodE3ELS4_3ELS4_3ELNS0_20block_scan_algorithmE0ELj4294967295EEENS1_25partition_config_selectorILNS1_17partition_subalgoE4EjNS0_10empty_typeEbEEZZNS1_14partition_implILS8_4ELb0ES6_15HIP_vector_typeIjLj2EENS0_17counting_iteratorIjlEEPS9_SG_NS0_5tupleIJPjSI_NS0_16reverse_iteratorISI_EEEEENSH_IJSG_SG_SG_EEES9_SI_JZNS1_25segmented_radix_sort_implINS0_14default_configELb1EPKiPiPKlPlN2at6native12_GLOBAL__N_18offset_tEEE10hipError_tPvRmT1_PNSt15iterator_traitsIS12_E10value_typeET2_T3_PNS13_IS18_E10value_typeET4_jRbjT5_S1E_jjP12ihipStream_tbEUljE_ZNSN_ISO_Lb1ESQ_SR_ST_SU_SY_EESZ_S10_S11_S12_S16_S17_S18_S1B_S1C_jS1D_jS1E_S1E_jjS1G_bEUljE0_EEESZ_S10_S11_S18_S1C_S1E_T6_T7_T9_mT8_S1G_bDpT10_ENKUlT_T0_E_clISt17integral_constantIbLb1EES1U_EEDaS1P_S1Q_EUlS1P_E_NS1_11comp_targetILNS1_3genE10ELNS1_11target_archE1200ELNS1_3gpuE4ELNS1_3repE0EEENS1_30default_config_static_selectorELNS0_4arch9wavefront6targetE1EEEvS12_.kd
    .uniform_work_group_size: 1
    .uses_dynamic_stack: false
    .vgpr_count:     0
    .vgpr_spill_count: 0
    .wavefront_size: 64
  - .agpr_count:     0
    .args:
      - .offset:         0
        .size:           184
        .value_kind:     by_value
    .group_segment_fixed_size: 0
    .kernarg_segment_align: 8
    .kernarg_segment_size: 184
    .language:       OpenCL C
    .language_version:
      - 2
      - 0
    .max_flat_workgroup_size: 256
    .name:           _ZN7rocprim17ROCPRIM_400000_NS6detail17trampoline_kernelINS0_13select_configILj256ELj13ELNS0_17block_load_methodE3ELS4_3ELS4_3ELNS0_20block_scan_algorithmE0ELj4294967295EEENS1_25partition_config_selectorILNS1_17partition_subalgoE4EjNS0_10empty_typeEbEEZZNS1_14partition_implILS8_4ELb0ES6_15HIP_vector_typeIjLj2EENS0_17counting_iteratorIjlEEPS9_SG_NS0_5tupleIJPjSI_NS0_16reverse_iteratorISI_EEEEENSH_IJSG_SG_SG_EEES9_SI_JZNS1_25segmented_radix_sort_implINS0_14default_configELb1EPKiPiPKlPlN2at6native12_GLOBAL__N_18offset_tEEE10hipError_tPvRmT1_PNSt15iterator_traitsIS12_E10value_typeET2_T3_PNS13_IS18_E10value_typeET4_jRbjT5_S1E_jjP12ihipStream_tbEUljE_ZNSN_ISO_Lb1ESQ_SR_ST_SU_SY_EESZ_S10_S11_S12_S16_S17_S18_S1B_S1C_jS1D_jS1E_S1E_jjS1G_bEUljE0_EEESZ_S10_S11_S18_S1C_S1E_T6_T7_T9_mT8_S1G_bDpT10_ENKUlT_T0_E_clISt17integral_constantIbLb1EES1U_EEDaS1P_S1Q_EUlS1P_E_NS1_11comp_targetILNS1_3genE9ELNS1_11target_archE1100ELNS1_3gpuE3ELNS1_3repE0EEENS1_30default_config_static_selectorELNS0_4arch9wavefront6targetE1EEEvS12_
    .private_segment_fixed_size: 0
    .sgpr_count:     4
    .sgpr_spill_count: 0
    .symbol:         _ZN7rocprim17ROCPRIM_400000_NS6detail17trampoline_kernelINS0_13select_configILj256ELj13ELNS0_17block_load_methodE3ELS4_3ELS4_3ELNS0_20block_scan_algorithmE0ELj4294967295EEENS1_25partition_config_selectorILNS1_17partition_subalgoE4EjNS0_10empty_typeEbEEZZNS1_14partition_implILS8_4ELb0ES6_15HIP_vector_typeIjLj2EENS0_17counting_iteratorIjlEEPS9_SG_NS0_5tupleIJPjSI_NS0_16reverse_iteratorISI_EEEEENSH_IJSG_SG_SG_EEES9_SI_JZNS1_25segmented_radix_sort_implINS0_14default_configELb1EPKiPiPKlPlN2at6native12_GLOBAL__N_18offset_tEEE10hipError_tPvRmT1_PNSt15iterator_traitsIS12_E10value_typeET2_T3_PNS13_IS18_E10value_typeET4_jRbjT5_S1E_jjP12ihipStream_tbEUljE_ZNSN_ISO_Lb1ESQ_SR_ST_SU_SY_EESZ_S10_S11_S12_S16_S17_S18_S1B_S1C_jS1D_jS1E_S1E_jjS1G_bEUljE0_EEESZ_S10_S11_S18_S1C_S1E_T6_T7_T9_mT8_S1G_bDpT10_ENKUlT_T0_E_clISt17integral_constantIbLb1EES1U_EEDaS1P_S1Q_EUlS1P_E_NS1_11comp_targetILNS1_3genE9ELNS1_11target_archE1100ELNS1_3gpuE3ELNS1_3repE0EEENS1_30default_config_static_selectorELNS0_4arch9wavefront6targetE1EEEvS12_.kd
    .uniform_work_group_size: 1
    .uses_dynamic_stack: false
    .vgpr_count:     0
    .vgpr_spill_count: 0
    .wavefront_size: 64
  - .agpr_count:     0
    .args:
      - .offset:         0
        .size:           184
        .value_kind:     by_value
    .group_segment_fixed_size: 0
    .kernarg_segment_align: 8
    .kernarg_segment_size: 184
    .language:       OpenCL C
    .language_version:
      - 2
      - 0
    .max_flat_workgroup_size: 256
    .name:           _ZN7rocprim17ROCPRIM_400000_NS6detail17trampoline_kernelINS0_13select_configILj256ELj13ELNS0_17block_load_methodE3ELS4_3ELS4_3ELNS0_20block_scan_algorithmE0ELj4294967295EEENS1_25partition_config_selectorILNS1_17partition_subalgoE4EjNS0_10empty_typeEbEEZZNS1_14partition_implILS8_4ELb0ES6_15HIP_vector_typeIjLj2EENS0_17counting_iteratorIjlEEPS9_SG_NS0_5tupleIJPjSI_NS0_16reverse_iteratorISI_EEEEENSH_IJSG_SG_SG_EEES9_SI_JZNS1_25segmented_radix_sort_implINS0_14default_configELb1EPKiPiPKlPlN2at6native12_GLOBAL__N_18offset_tEEE10hipError_tPvRmT1_PNSt15iterator_traitsIS12_E10value_typeET2_T3_PNS13_IS18_E10value_typeET4_jRbjT5_S1E_jjP12ihipStream_tbEUljE_ZNSN_ISO_Lb1ESQ_SR_ST_SU_SY_EESZ_S10_S11_S12_S16_S17_S18_S1B_S1C_jS1D_jS1E_S1E_jjS1G_bEUljE0_EEESZ_S10_S11_S18_S1C_S1E_T6_T7_T9_mT8_S1G_bDpT10_ENKUlT_T0_E_clISt17integral_constantIbLb1EES1U_EEDaS1P_S1Q_EUlS1P_E_NS1_11comp_targetILNS1_3genE8ELNS1_11target_archE1030ELNS1_3gpuE2ELNS1_3repE0EEENS1_30default_config_static_selectorELNS0_4arch9wavefront6targetE1EEEvS12_
    .private_segment_fixed_size: 0
    .sgpr_count:     4
    .sgpr_spill_count: 0
    .symbol:         _ZN7rocprim17ROCPRIM_400000_NS6detail17trampoline_kernelINS0_13select_configILj256ELj13ELNS0_17block_load_methodE3ELS4_3ELS4_3ELNS0_20block_scan_algorithmE0ELj4294967295EEENS1_25partition_config_selectorILNS1_17partition_subalgoE4EjNS0_10empty_typeEbEEZZNS1_14partition_implILS8_4ELb0ES6_15HIP_vector_typeIjLj2EENS0_17counting_iteratorIjlEEPS9_SG_NS0_5tupleIJPjSI_NS0_16reverse_iteratorISI_EEEEENSH_IJSG_SG_SG_EEES9_SI_JZNS1_25segmented_radix_sort_implINS0_14default_configELb1EPKiPiPKlPlN2at6native12_GLOBAL__N_18offset_tEEE10hipError_tPvRmT1_PNSt15iterator_traitsIS12_E10value_typeET2_T3_PNS13_IS18_E10value_typeET4_jRbjT5_S1E_jjP12ihipStream_tbEUljE_ZNSN_ISO_Lb1ESQ_SR_ST_SU_SY_EESZ_S10_S11_S12_S16_S17_S18_S1B_S1C_jS1D_jS1E_S1E_jjS1G_bEUljE0_EEESZ_S10_S11_S18_S1C_S1E_T6_T7_T9_mT8_S1G_bDpT10_ENKUlT_T0_E_clISt17integral_constantIbLb1EES1U_EEDaS1P_S1Q_EUlS1P_E_NS1_11comp_targetILNS1_3genE8ELNS1_11target_archE1030ELNS1_3gpuE2ELNS1_3repE0EEENS1_30default_config_static_selectorELNS0_4arch9wavefront6targetE1EEEvS12_.kd
    .uniform_work_group_size: 1
    .uses_dynamic_stack: false
    .vgpr_count:     0
    .vgpr_spill_count: 0
    .wavefront_size: 64
  - .agpr_count:     0
    .args:
      - .offset:         0
        .size:           176
        .value_kind:     by_value
    .group_segment_fixed_size: 0
    .kernarg_segment_align: 8
    .kernarg_segment_size: 176
    .language:       OpenCL C
    .language_version:
      - 2
      - 0
    .max_flat_workgroup_size: 256
    .name:           _ZN7rocprim17ROCPRIM_400000_NS6detail17trampoline_kernelINS0_13select_configILj256ELj13ELNS0_17block_load_methodE3ELS4_3ELS4_3ELNS0_20block_scan_algorithmE0ELj4294967295EEENS1_25partition_config_selectorILNS1_17partition_subalgoE4EjNS0_10empty_typeEbEEZZNS1_14partition_implILS8_4ELb0ES6_15HIP_vector_typeIjLj2EENS0_17counting_iteratorIjlEEPS9_SG_NS0_5tupleIJPjSI_NS0_16reverse_iteratorISI_EEEEENSH_IJSG_SG_SG_EEES9_SI_JZNS1_25segmented_radix_sort_implINS0_14default_configELb1EPKiPiPKlPlN2at6native12_GLOBAL__N_18offset_tEEE10hipError_tPvRmT1_PNSt15iterator_traitsIS12_E10value_typeET2_T3_PNS13_IS18_E10value_typeET4_jRbjT5_S1E_jjP12ihipStream_tbEUljE_ZNSN_ISO_Lb1ESQ_SR_ST_SU_SY_EESZ_S10_S11_S12_S16_S17_S18_S1B_S1C_jS1D_jS1E_S1E_jjS1G_bEUljE0_EEESZ_S10_S11_S18_S1C_S1E_T6_T7_T9_mT8_S1G_bDpT10_ENKUlT_T0_E_clISt17integral_constantIbLb1EES1T_IbLb0EEEEDaS1P_S1Q_EUlS1P_E_NS1_11comp_targetILNS1_3genE0ELNS1_11target_archE4294967295ELNS1_3gpuE0ELNS1_3repE0EEENS1_30default_config_static_selectorELNS0_4arch9wavefront6targetE1EEEvS12_
    .private_segment_fixed_size: 0
    .sgpr_count:     4
    .sgpr_spill_count: 0
    .symbol:         _ZN7rocprim17ROCPRIM_400000_NS6detail17trampoline_kernelINS0_13select_configILj256ELj13ELNS0_17block_load_methodE3ELS4_3ELS4_3ELNS0_20block_scan_algorithmE0ELj4294967295EEENS1_25partition_config_selectorILNS1_17partition_subalgoE4EjNS0_10empty_typeEbEEZZNS1_14partition_implILS8_4ELb0ES6_15HIP_vector_typeIjLj2EENS0_17counting_iteratorIjlEEPS9_SG_NS0_5tupleIJPjSI_NS0_16reverse_iteratorISI_EEEEENSH_IJSG_SG_SG_EEES9_SI_JZNS1_25segmented_radix_sort_implINS0_14default_configELb1EPKiPiPKlPlN2at6native12_GLOBAL__N_18offset_tEEE10hipError_tPvRmT1_PNSt15iterator_traitsIS12_E10value_typeET2_T3_PNS13_IS18_E10value_typeET4_jRbjT5_S1E_jjP12ihipStream_tbEUljE_ZNSN_ISO_Lb1ESQ_SR_ST_SU_SY_EESZ_S10_S11_S12_S16_S17_S18_S1B_S1C_jS1D_jS1E_S1E_jjS1G_bEUljE0_EEESZ_S10_S11_S18_S1C_S1E_T6_T7_T9_mT8_S1G_bDpT10_ENKUlT_T0_E_clISt17integral_constantIbLb1EES1T_IbLb0EEEEDaS1P_S1Q_EUlS1P_E_NS1_11comp_targetILNS1_3genE0ELNS1_11target_archE4294967295ELNS1_3gpuE0ELNS1_3repE0EEENS1_30default_config_static_selectorELNS0_4arch9wavefront6targetE1EEEvS12_.kd
    .uniform_work_group_size: 1
    .uses_dynamic_stack: false
    .vgpr_count:     0
    .vgpr_spill_count: 0
    .wavefront_size: 64
  - .agpr_count:     0
    .args:
      - .offset:         0
        .size:           176
        .value_kind:     by_value
    .group_segment_fixed_size: 0
    .kernarg_segment_align: 8
    .kernarg_segment_size: 176
    .language:       OpenCL C
    .language_version:
      - 2
      - 0
    .max_flat_workgroup_size: 256
    .name:           _ZN7rocprim17ROCPRIM_400000_NS6detail17trampoline_kernelINS0_13select_configILj256ELj13ELNS0_17block_load_methodE3ELS4_3ELS4_3ELNS0_20block_scan_algorithmE0ELj4294967295EEENS1_25partition_config_selectorILNS1_17partition_subalgoE4EjNS0_10empty_typeEbEEZZNS1_14partition_implILS8_4ELb0ES6_15HIP_vector_typeIjLj2EENS0_17counting_iteratorIjlEEPS9_SG_NS0_5tupleIJPjSI_NS0_16reverse_iteratorISI_EEEEENSH_IJSG_SG_SG_EEES9_SI_JZNS1_25segmented_radix_sort_implINS0_14default_configELb1EPKiPiPKlPlN2at6native12_GLOBAL__N_18offset_tEEE10hipError_tPvRmT1_PNSt15iterator_traitsIS12_E10value_typeET2_T3_PNS13_IS18_E10value_typeET4_jRbjT5_S1E_jjP12ihipStream_tbEUljE_ZNSN_ISO_Lb1ESQ_SR_ST_SU_SY_EESZ_S10_S11_S12_S16_S17_S18_S1B_S1C_jS1D_jS1E_S1E_jjS1G_bEUljE0_EEESZ_S10_S11_S18_S1C_S1E_T6_T7_T9_mT8_S1G_bDpT10_ENKUlT_T0_E_clISt17integral_constantIbLb1EES1T_IbLb0EEEEDaS1P_S1Q_EUlS1P_E_NS1_11comp_targetILNS1_3genE5ELNS1_11target_archE942ELNS1_3gpuE9ELNS1_3repE0EEENS1_30default_config_static_selectorELNS0_4arch9wavefront6targetE1EEEvS12_
    .private_segment_fixed_size: 0
    .sgpr_count:     4
    .sgpr_spill_count: 0
    .symbol:         _ZN7rocprim17ROCPRIM_400000_NS6detail17trampoline_kernelINS0_13select_configILj256ELj13ELNS0_17block_load_methodE3ELS4_3ELS4_3ELNS0_20block_scan_algorithmE0ELj4294967295EEENS1_25partition_config_selectorILNS1_17partition_subalgoE4EjNS0_10empty_typeEbEEZZNS1_14partition_implILS8_4ELb0ES6_15HIP_vector_typeIjLj2EENS0_17counting_iteratorIjlEEPS9_SG_NS0_5tupleIJPjSI_NS0_16reverse_iteratorISI_EEEEENSH_IJSG_SG_SG_EEES9_SI_JZNS1_25segmented_radix_sort_implINS0_14default_configELb1EPKiPiPKlPlN2at6native12_GLOBAL__N_18offset_tEEE10hipError_tPvRmT1_PNSt15iterator_traitsIS12_E10value_typeET2_T3_PNS13_IS18_E10value_typeET4_jRbjT5_S1E_jjP12ihipStream_tbEUljE_ZNSN_ISO_Lb1ESQ_SR_ST_SU_SY_EESZ_S10_S11_S12_S16_S17_S18_S1B_S1C_jS1D_jS1E_S1E_jjS1G_bEUljE0_EEESZ_S10_S11_S18_S1C_S1E_T6_T7_T9_mT8_S1G_bDpT10_ENKUlT_T0_E_clISt17integral_constantIbLb1EES1T_IbLb0EEEEDaS1P_S1Q_EUlS1P_E_NS1_11comp_targetILNS1_3genE5ELNS1_11target_archE942ELNS1_3gpuE9ELNS1_3repE0EEENS1_30default_config_static_selectorELNS0_4arch9wavefront6targetE1EEEvS12_.kd
    .uniform_work_group_size: 1
    .uses_dynamic_stack: false
    .vgpr_count:     0
    .vgpr_spill_count: 0
    .wavefront_size: 64
  - .agpr_count:     0
    .args:
      - .offset:         0
        .size:           176
        .value_kind:     by_value
    .group_segment_fixed_size: 13340
    .kernarg_segment_align: 8
    .kernarg_segment_size: 176
    .language:       OpenCL C
    .language_version:
      - 2
      - 0
    .max_flat_workgroup_size: 256
    .name:           _ZN7rocprim17ROCPRIM_400000_NS6detail17trampoline_kernelINS0_13select_configILj256ELj13ELNS0_17block_load_methodE3ELS4_3ELS4_3ELNS0_20block_scan_algorithmE0ELj4294967295EEENS1_25partition_config_selectorILNS1_17partition_subalgoE4EjNS0_10empty_typeEbEEZZNS1_14partition_implILS8_4ELb0ES6_15HIP_vector_typeIjLj2EENS0_17counting_iteratorIjlEEPS9_SG_NS0_5tupleIJPjSI_NS0_16reverse_iteratorISI_EEEEENSH_IJSG_SG_SG_EEES9_SI_JZNS1_25segmented_radix_sort_implINS0_14default_configELb1EPKiPiPKlPlN2at6native12_GLOBAL__N_18offset_tEEE10hipError_tPvRmT1_PNSt15iterator_traitsIS12_E10value_typeET2_T3_PNS13_IS18_E10value_typeET4_jRbjT5_S1E_jjP12ihipStream_tbEUljE_ZNSN_ISO_Lb1ESQ_SR_ST_SU_SY_EESZ_S10_S11_S12_S16_S17_S18_S1B_S1C_jS1D_jS1E_S1E_jjS1G_bEUljE0_EEESZ_S10_S11_S18_S1C_S1E_T6_T7_T9_mT8_S1G_bDpT10_ENKUlT_T0_E_clISt17integral_constantIbLb1EES1T_IbLb0EEEEDaS1P_S1Q_EUlS1P_E_NS1_11comp_targetILNS1_3genE4ELNS1_11target_archE910ELNS1_3gpuE8ELNS1_3repE0EEENS1_30default_config_static_selectorELNS0_4arch9wavefront6targetE1EEEvS12_
    .private_segment_fixed_size: 0
    .sgpr_count:     94
    .sgpr_spill_count: 0
    .symbol:         _ZN7rocprim17ROCPRIM_400000_NS6detail17trampoline_kernelINS0_13select_configILj256ELj13ELNS0_17block_load_methodE3ELS4_3ELS4_3ELNS0_20block_scan_algorithmE0ELj4294967295EEENS1_25partition_config_selectorILNS1_17partition_subalgoE4EjNS0_10empty_typeEbEEZZNS1_14partition_implILS8_4ELb0ES6_15HIP_vector_typeIjLj2EENS0_17counting_iteratorIjlEEPS9_SG_NS0_5tupleIJPjSI_NS0_16reverse_iteratorISI_EEEEENSH_IJSG_SG_SG_EEES9_SI_JZNS1_25segmented_radix_sort_implINS0_14default_configELb1EPKiPiPKlPlN2at6native12_GLOBAL__N_18offset_tEEE10hipError_tPvRmT1_PNSt15iterator_traitsIS12_E10value_typeET2_T3_PNS13_IS18_E10value_typeET4_jRbjT5_S1E_jjP12ihipStream_tbEUljE_ZNSN_ISO_Lb1ESQ_SR_ST_SU_SY_EESZ_S10_S11_S12_S16_S17_S18_S1B_S1C_jS1D_jS1E_S1E_jjS1G_bEUljE0_EEESZ_S10_S11_S18_S1C_S1E_T6_T7_T9_mT8_S1G_bDpT10_ENKUlT_T0_E_clISt17integral_constantIbLb1EES1T_IbLb0EEEEDaS1P_S1Q_EUlS1P_E_NS1_11comp_targetILNS1_3genE4ELNS1_11target_archE910ELNS1_3gpuE8ELNS1_3repE0EEENS1_30default_config_static_selectorELNS0_4arch9wavefront6targetE1EEEvS12_.kd
    .uniform_work_group_size: 1
    .uses_dynamic_stack: false
    .vgpr_count:     102
    .vgpr_spill_count: 0
    .wavefront_size: 64
  - .agpr_count:     0
    .args:
      - .offset:         0
        .size:           176
        .value_kind:     by_value
    .group_segment_fixed_size: 0
    .kernarg_segment_align: 8
    .kernarg_segment_size: 176
    .language:       OpenCL C
    .language_version:
      - 2
      - 0
    .max_flat_workgroup_size: 256
    .name:           _ZN7rocprim17ROCPRIM_400000_NS6detail17trampoline_kernelINS0_13select_configILj256ELj13ELNS0_17block_load_methodE3ELS4_3ELS4_3ELNS0_20block_scan_algorithmE0ELj4294967295EEENS1_25partition_config_selectorILNS1_17partition_subalgoE4EjNS0_10empty_typeEbEEZZNS1_14partition_implILS8_4ELb0ES6_15HIP_vector_typeIjLj2EENS0_17counting_iteratorIjlEEPS9_SG_NS0_5tupleIJPjSI_NS0_16reverse_iteratorISI_EEEEENSH_IJSG_SG_SG_EEES9_SI_JZNS1_25segmented_radix_sort_implINS0_14default_configELb1EPKiPiPKlPlN2at6native12_GLOBAL__N_18offset_tEEE10hipError_tPvRmT1_PNSt15iterator_traitsIS12_E10value_typeET2_T3_PNS13_IS18_E10value_typeET4_jRbjT5_S1E_jjP12ihipStream_tbEUljE_ZNSN_ISO_Lb1ESQ_SR_ST_SU_SY_EESZ_S10_S11_S12_S16_S17_S18_S1B_S1C_jS1D_jS1E_S1E_jjS1G_bEUljE0_EEESZ_S10_S11_S18_S1C_S1E_T6_T7_T9_mT8_S1G_bDpT10_ENKUlT_T0_E_clISt17integral_constantIbLb1EES1T_IbLb0EEEEDaS1P_S1Q_EUlS1P_E_NS1_11comp_targetILNS1_3genE3ELNS1_11target_archE908ELNS1_3gpuE7ELNS1_3repE0EEENS1_30default_config_static_selectorELNS0_4arch9wavefront6targetE1EEEvS12_
    .private_segment_fixed_size: 0
    .sgpr_count:     4
    .sgpr_spill_count: 0
    .symbol:         _ZN7rocprim17ROCPRIM_400000_NS6detail17trampoline_kernelINS0_13select_configILj256ELj13ELNS0_17block_load_methodE3ELS4_3ELS4_3ELNS0_20block_scan_algorithmE0ELj4294967295EEENS1_25partition_config_selectorILNS1_17partition_subalgoE4EjNS0_10empty_typeEbEEZZNS1_14partition_implILS8_4ELb0ES6_15HIP_vector_typeIjLj2EENS0_17counting_iteratorIjlEEPS9_SG_NS0_5tupleIJPjSI_NS0_16reverse_iteratorISI_EEEEENSH_IJSG_SG_SG_EEES9_SI_JZNS1_25segmented_radix_sort_implINS0_14default_configELb1EPKiPiPKlPlN2at6native12_GLOBAL__N_18offset_tEEE10hipError_tPvRmT1_PNSt15iterator_traitsIS12_E10value_typeET2_T3_PNS13_IS18_E10value_typeET4_jRbjT5_S1E_jjP12ihipStream_tbEUljE_ZNSN_ISO_Lb1ESQ_SR_ST_SU_SY_EESZ_S10_S11_S12_S16_S17_S18_S1B_S1C_jS1D_jS1E_S1E_jjS1G_bEUljE0_EEESZ_S10_S11_S18_S1C_S1E_T6_T7_T9_mT8_S1G_bDpT10_ENKUlT_T0_E_clISt17integral_constantIbLb1EES1T_IbLb0EEEEDaS1P_S1Q_EUlS1P_E_NS1_11comp_targetILNS1_3genE3ELNS1_11target_archE908ELNS1_3gpuE7ELNS1_3repE0EEENS1_30default_config_static_selectorELNS0_4arch9wavefront6targetE1EEEvS12_.kd
    .uniform_work_group_size: 1
    .uses_dynamic_stack: false
    .vgpr_count:     0
    .vgpr_spill_count: 0
    .wavefront_size: 64
  - .agpr_count:     0
    .args:
      - .offset:         0
        .size:           176
        .value_kind:     by_value
    .group_segment_fixed_size: 0
    .kernarg_segment_align: 8
    .kernarg_segment_size: 176
    .language:       OpenCL C
    .language_version:
      - 2
      - 0
    .max_flat_workgroup_size: 256
    .name:           _ZN7rocprim17ROCPRIM_400000_NS6detail17trampoline_kernelINS0_13select_configILj256ELj13ELNS0_17block_load_methodE3ELS4_3ELS4_3ELNS0_20block_scan_algorithmE0ELj4294967295EEENS1_25partition_config_selectorILNS1_17partition_subalgoE4EjNS0_10empty_typeEbEEZZNS1_14partition_implILS8_4ELb0ES6_15HIP_vector_typeIjLj2EENS0_17counting_iteratorIjlEEPS9_SG_NS0_5tupleIJPjSI_NS0_16reverse_iteratorISI_EEEEENSH_IJSG_SG_SG_EEES9_SI_JZNS1_25segmented_radix_sort_implINS0_14default_configELb1EPKiPiPKlPlN2at6native12_GLOBAL__N_18offset_tEEE10hipError_tPvRmT1_PNSt15iterator_traitsIS12_E10value_typeET2_T3_PNS13_IS18_E10value_typeET4_jRbjT5_S1E_jjP12ihipStream_tbEUljE_ZNSN_ISO_Lb1ESQ_SR_ST_SU_SY_EESZ_S10_S11_S12_S16_S17_S18_S1B_S1C_jS1D_jS1E_S1E_jjS1G_bEUljE0_EEESZ_S10_S11_S18_S1C_S1E_T6_T7_T9_mT8_S1G_bDpT10_ENKUlT_T0_E_clISt17integral_constantIbLb1EES1T_IbLb0EEEEDaS1P_S1Q_EUlS1P_E_NS1_11comp_targetILNS1_3genE2ELNS1_11target_archE906ELNS1_3gpuE6ELNS1_3repE0EEENS1_30default_config_static_selectorELNS0_4arch9wavefront6targetE1EEEvS12_
    .private_segment_fixed_size: 0
    .sgpr_count:     4
    .sgpr_spill_count: 0
    .symbol:         _ZN7rocprim17ROCPRIM_400000_NS6detail17trampoline_kernelINS0_13select_configILj256ELj13ELNS0_17block_load_methodE3ELS4_3ELS4_3ELNS0_20block_scan_algorithmE0ELj4294967295EEENS1_25partition_config_selectorILNS1_17partition_subalgoE4EjNS0_10empty_typeEbEEZZNS1_14partition_implILS8_4ELb0ES6_15HIP_vector_typeIjLj2EENS0_17counting_iteratorIjlEEPS9_SG_NS0_5tupleIJPjSI_NS0_16reverse_iteratorISI_EEEEENSH_IJSG_SG_SG_EEES9_SI_JZNS1_25segmented_radix_sort_implINS0_14default_configELb1EPKiPiPKlPlN2at6native12_GLOBAL__N_18offset_tEEE10hipError_tPvRmT1_PNSt15iterator_traitsIS12_E10value_typeET2_T3_PNS13_IS18_E10value_typeET4_jRbjT5_S1E_jjP12ihipStream_tbEUljE_ZNSN_ISO_Lb1ESQ_SR_ST_SU_SY_EESZ_S10_S11_S12_S16_S17_S18_S1B_S1C_jS1D_jS1E_S1E_jjS1G_bEUljE0_EEESZ_S10_S11_S18_S1C_S1E_T6_T7_T9_mT8_S1G_bDpT10_ENKUlT_T0_E_clISt17integral_constantIbLb1EES1T_IbLb0EEEEDaS1P_S1Q_EUlS1P_E_NS1_11comp_targetILNS1_3genE2ELNS1_11target_archE906ELNS1_3gpuE6ELNS1_3repE0EEENS1_30default_config_static_selectorELNS0_4arch9wavefront6targetE1EEEvS12_.kd
    .uniform_work_group_size: 1
    .uses_dynamic_stack: false
    .vgpr_count:     0
    .vgpr_spill_count: 0
    .wavefront_size: 64
  - .agpr_count:     0
    .args:
      - .offset:         0
        .size:           176
        .value_kind:     by_value
    .group_segment_fixed_size: 0
    .kernarg_segment_align: 8
    .kernarg_segment_size: 176
    .language:       OpenCL C
    .language_version:
      - 2
      - 0
    .max_flat_workgroup_size: 256
    .name:           _ZN7rocprim17ROCPRIM_400000_NS6detail17trampoline_kernelINS0_13select_configILj256ELj13ELNS0_17block_load_methodE3ELS4_3ELS4_3ELNS0_20block_scan_algorithmE0ELj4294967295EEENS1_25partition_config_selectorILNS1_17partition_subalgoE4EjNS0_10empty_typeEbEEZZNS1_14partition_implILS8_4ELb0ES6_15HIP_vector_typeIjLj2EENS0_17counting_iteratorIjlEEPS9_SG_NS0_5tupleIJPjSI_NS0_16reverse_iteratorISI_EEEEENSH_IJSG_SG_SG_EEES9_SI_JZNS1_25segmented_radix_sort_implINS0_14default_configELb1EPKiPiPKlPlN2at6native12_GLOBAL__N_18offset_tEEE10hipError_tPvRmT1_PNSt15iterator_traitsIS12_E10value_typeET2_T3_PNS13_IS18_E10value_typeET4_jRbjT5_S1E_jjP12ihipStream_tbEUljE_ZNSN_ISO_Lb1ESQ_SR_ST_SU_SY_EESZ_S10_S11_S12_S16_S17_S18_S1B_S1C_jS1D_jS1E_S1E_jjS1G_bEUljE0_EEESZ_S10_S11_S18_S1C_S1E_T6_T7_T9_mT8_S1G_bDpT10_ENKUlT_T0_E_clISt17integral_constantIbLb1EES1T_IbLb0EEEEDaS1P_S1Q_EUlS1P_E_NS1_11comp_targetILNS1_3genE10ELNS1_11target_archE1200ELNS1_3gpuE4ELNS1_3repE0EEENS1_30default_config_static_selectorELNS0_4arch9wavefront6targetE1EEEvS12_
    .private_segment_fixed_size: 0
    .sgpr_count:     4
    .sgpr_spill_count: 0
    .symbol:         _ZN7rocprim17ROCPRIM_400000_NS6detail17trampoline_kernelINS0_13select_configILj256ELj13ELNS0_17block_load_methodE3ELS4_3ELS4_3ELNS0_20block_scan_algorithmE0ELj4294967295EEENS1_25partition_config_selectorILNS1_17partition_subalgoE4EjNS0_10empty_typeEbEEZZNS1_14partition_implILS8_4ELb0ES6_15HIP_vector_typeIjLj2EENS0_17counting_iteratorIjlEEPS9_SG_NS0_5tupleIJPjSI_NS0_16reverse_iteratorISI_EEEEENSH_IJSG_SG_SG_EEES9_SI_JZNS1_25segmented_radix_sort_implINS0_14default_configELb1EPKiPiPKlPlN2at6native12_GLOBAL__N_18offset_tEEE10hipError_tPvRmT1_PNSt15iterator_traitsIS12_E10value_typeET2_T3_PNS13_IS18_E10value_typeET4_jRbjT5_S1E_jjP12ihipStream_tbEUljE_ZNSN_ISO_Lb1ESQ_SR_ST_SU_SY_EESZ_S10_S11_S12_S16_S17_S18_S1B_S1C_jS1D_jS1E_S1E_jjS1G_bEUljE0_EEESZ_S10_S11_S18_S1C_S1E_T6_T7_T9_mT8_S1G_bDpT10_ENKUlT_T0_E_clISt17integral_constantIbLb1EES1T_IbLb0EEEEDaS1P_S1Q_EUlS1P_E_NS1_11comp_targetILNS1_3genE10ELNS1_11target_archE1200ELNS1_3gpuE4ELNS1_3repE0EEENS1_30default_config_static_selectorELNS0_4arch9wavefront6targetE1EEEvS12_.kd
    .uniform_work_group_size: 1
    .uses_dynamic_stack: false
    .vgpr_count:     0
    .vgpr_spill_count: 0
    .wavefront_size: 64
  - .agpr_count:     0
    .args:
      - .offset:         0
        .size:           176
        .value_kind:     by_value
    .group_segment_fixed_size: 0
    .kernarg_segment_align: 8
    .kernarg_segment_size: 176
    .language:       OpenCL C
    .language_version:
      - 2
      - 0
    .max_flat_workgroup_size: 256
    .name:           _ZN7rocprim17ROCPRIM_400000_NS6detail17trampoline_kernelINS0_13select_configILj256ELj13ELNS0_17block_load_methodE3ELS4_3ELS4_3ELNS0_20block_scan_algorithmE0ELj4294967295EEENS1_25partition_config_selectorILNS1_17partition_subalgoE4EjNS0_10empty_typeEbEEZZNS1_14partition_implILS8_4ELb0ES6_15HIP_vector_typeIjLj2EENS0_17counting_iteratorIjlEEPS9_SG_NS0_5tupleIJPjSI_NS0_16reverse_iteratorISI_EEEEENSH_IJSG_SG_SG_EEES9_SI_JZNS1_25segmented_radix_sort_implINS0_14default_configELb1EPKiPiPKlPlN2at6native12_GLOBAL__N_18offset_tEEE10hipError_tPvRmT1_PNSt15iterator_traitsIS12_E10value_typeET2_T3_PNS13_IS18_E10value_typeET4_jRbjT5_S1E_jjP12ihipStream_tbEUljE_ZNSN_ISO_Lb1ESQ_SR_ST_SU_SY_EESZ_S10_S11_S12_S16_S17_S18_S1B_S1C_jS1D_jS1E_S1E_jjS1G_bEUljE0_EEESZ_S10_S11_S18_S1C_S1E_T6_T7_T9_mT8_S1G_bDpT10_ENKUlT_T0_E_clISt17integral_constantIbLb1EES1T_IbLb0EEEEDaS1P_S1Q_EUlS1P_E_NS1_11comp_targetILNS1_3genE9ELNS1_11target_archE1100ELNS1_3gpuE3ELNS1_3repE0EEENS1_30default_config_static_selectorELNS0_4arch9wavefront6targetE1EEEvS12_
    .private_segment_fixed_size: 0
    .sgpr_count:     4
    .sgpr_spill_count: 0
    .symbol:         _ZN7rocprim17ROCPRIM_400000_NS6detail17trampoline_kernelINS0_13select_configILj256ELj13ELNS0_17block_load_methodE3ELS4_3ELS4_3ELNS0_20block_scan_algorithmE0ELj4294967295EEENS1_25partition_config_selectorILNS1_17partition_subalgoE4EjNS0_10empty_typeEbEEZZNS1_14partition_implILS8_4ELb0ES6_15HIP_vector_typeIjLj2EENS0_17counting_iteratorIjlEEPS9_SG_NS0_5tupleIJPjSI_NS0_16reverse_iteratorISI_EEEEENSH_IJSG_SG_SG_EEES9_SI_JZNS1_25segmented_radix_sort_implINS0_14default_configELb1EPKiPiPKlPlN2at6native12_GLOBAL__N_18offset_tEEE10hipError_tPvRmT1_PNSt15iterator_traitsIS12_E10value_typeET2_T3_PNS13_IS18_E10value_typeET4_jRbjT5_S1E_jjP12ihipStream_tbEUljE_ZNSN_ISO_Lb1ESQ_SR_ST_SU_SY_EESZ_S10_S11_S12_S16_S17_S18_S1B_S1C_jS1D_jS1E_S1E_jjS1G_bEUljE0_EEESZ_S10_S11_S18_S1C_S1E_T6_T7_T9_mT8_S1G_bDpT10_ENKUlT_T0_E_clISt17integral_constantIbLb1EES1T_IbLb0EEEEDaS1P_S1Q_EUlS1P_E_NS1_11comp_targetILNS1_3genE9ELNS1_11target_archE1100ELNS1_3gpuE3ELNS1_3repE0EEENS1_30default_config_static_selectorELNS0_4arch9wavefront6targetE1EEEvS12_.kd
    .uniform_work_group_size: 1
    .uses_dynamic_stack: false
    .vgpr_count:     0
    .vgpr_spill_count: 0
    .wavefront_size: 64
  - .agpr_count:     0
    .args:
      - .offset:         0
        .size:           176
        .value_kind:     by_value
    .group_segment_fixed_size: 0
    .kernarg_segment_align: 8
    .kernarg_segment_size: 176
    .language:       OpenCL C
    .language_version:
      - 2
      - 0
    .max_flat_workgroup_size: 256
    .name:           _ZN7rocprim17ROCPRIM_400000_NS6detail17trampoline_kernelINS0_13select_configILj256ELj13ELNS0_17block_load_methodE3ELS4_3ELS4_3ELNS0_20block_scan_algorithmE0ELj4294967295EEENS1_25partition_config_selectorILNS1_17partition_subalgoE4EjNS0_10empty_typeEbEEZZNS1_14partition_implILS8_4ELb0ES6_15HIP_vector_typeIjLj2EENS0_17counting_iteratorIjlEEPS9_SG_NS0_5tupleIJPjSI_NS0_16reverse_iteratorISI_EEEEENSH_IJSG_SG_SG_EEES9_SI_JZNS1_25segmented_radix_sort_implINS0_14default_configELb1EPKiPiPKlPlN2at6native12_GLOBAL__N_18offset_tEEE10hipError_tPvRmT1_PNSt15iterator_traitsIS12_E10value_typeET2_T3_PNS13_IS18_E10value_typeET4_jRbjT5_S1E_jjP12ihipStream_tbEUljE_ZNSN_ISO_Lb1ESQ_SR_ST_SU_SY_EESZ_S10_S11_S12_S16_S17_S18_S1B_S1C_jS1D_jS1E_S1E_jjS1G_bEUljE0_EEESZ_S10_S11_S18_S1C_S1E_T6_T7_T9_mT8_S1G_bDpT10_ENKUlT_T0_E_clISt17integral_constantIbLb1EES1T_IbLb0EEEEDaS1P_S1Q_EUlS1P_E_NS1_11comp_targetILNS1_3genE8ELNS1_11target_archE1030ELNS1_3gpuE2ELNS1_3repE0EEENS1_30default_config_static_selectorELNS0_4arch9wavefront6targetE1EEEvS12_
    .private_segment_fixed_size: 0
    .sgpr_count:     4
    .sgpr_spill_count: 0
    .symbol:         _ZN7rocprim17ROCPRIM_400000_NS6detail17trampoline_kernelINS0_13select_configILj256ELj13ELNS0_17block_load_methodE3ELS4_3ELS4_3ELNS0_20block_scan_algorithmE0ELj4294967295EEENS1_25partition_config_selectorILNS1_17partition_subalgoE4EjNS0_10empty_typeEbEEZZNS1_14partition_implILS8_4ELb0ES6_15HIP_vector_typeIjLj2EENS0_17counting_iteratorIjlEEPS9_SG_NS0_5tupleIJPjSI_NS0_16reverse_iteratorISI_EEEEENSH_IJSG_SG_SG_EEES9_SI_JZNS1_25segmented_radix_sort_implINS0_14default_configELb1EPKiPiPKlPlN2at6native12_GLOBAL__N_18offset_tEEE10hipError_tPvRmT1_PNSt15iterator_traitsIS12_E10value_typeET2_T3_PNS13_IS18_E10value_typeET4_jRbjT5_S1E_jjP12ihipStream_tbEUljE_ZNSN_ISO_Lb1ESQ_SR_ST_SU_SY_EESZ_S10_S11_S12_S16_S17_S18_S1B_S1C_jS1D_jS1E_S1E_jjS1G_bEUljE0_EEESZ_S10_S11_S18_S1C_S1E_T6_T7_T9_mT8_S1G_bDpT10_ENKUlT_T0_E_clISt17integral_constantIbLb1EES1T_IbLb0EEEEDaS1P_S1Q_EUlS1P_E_NS1_11comp_targetILNS1_3genE8ELNS1_11target_archE1030ELNS1_3gpuE2ELNS1_3repE0EEENS1_30default_config_static_selectorELNS0_4arch9wavefront6targetE1EEEvS12_.kd
    .uniform_work_group_size: 1
    .uses_dynamic_stack: false
    .vgpr_count:     0
    .vgpr_spill_count: 0
    .wavefront_size: 64
  - .agpr_count:     0
    .args:
      - .offset:         0
        .size:           184
        .value_kind:     by_value
    .group_segment_fixed_size: 0
    .kernarg_segment_align: 8
    .kernarg_segment_size: 184
    .language:       OpenCL C
    .language_version:
      - 2
      - 0
    .max_flat_workgroup_size: 256
    .name:           _ZN7rocprim17ROCPRIM_400000_NS6detail17trampoline_kernelINS0_13select_configILj256ELj13ELNS0_17block_load_methodE3ELS4_3ELS4_3ELNS0_20block_scan_algorithmE0ELj4294967295EEENS1_25partition_config_selectorILNS1_17partition_subalgoE4EjNS0_10empty_typeEbEEZZNS1_14partition_implILS8_4ELb0ES6_15HIP_vector_typeIjLj2EENS0_17counting_iteratorIjlEEPS9_SG_NS0_5tupleIJPjSI_NS0_16reverse_iteratorISI_EEEEENSH_IJSG_SG_SG_EEES9_SI_JZNS1_25segmented_radix_sort_implINS0_14default_configELb1EPKiPiPKlPlN2at6native12_GLOBAL__N_18offset_tEEE10hipError_tPvRmT1_PNSt15iterator_traitsIS12_E10value_typeET2_T3_PNS13_IS18_E10value_typeET4_jRbjT5_S1E_jjP12ihipStream_tbEUljE_ZNSN_ISO_Lb1ESQ_SR_ST_SU_SY_EESZ_S10_S11_S12_S16_S17_S18_S1B_S1C_jS1D_jS1E_S1E_jjS1G_bEUljE0_EEESZ_S10_S11_S18_S1C_S1E_T6_T7_T9_mT8_S1G_bDpT10_ENKUlT_T0_E_clISt17integral_constantIbLb0EES1T_IbLb1EEEEDaS1P_S1Q_EUlS1P_E_NS1_11comp_targetILNS1_3genE0ELNS1_11target_archE4294967295ELNS1_3gpuE0ELNS1_3repE0EEENS1_30default_config_static_selectorELNS0_4arch9wavefront6targetE1EEEvS12_
    .private_segment_fixed_size: 0
    .sgpr_count:     4
    .sgpr_spill_count: 0
    .symbol:         _ZN7rocprim17ROCPRIM_400000_NS6detail17trampoline_kernelINS0_13select_configILj256ELj13ELNS0_17block_load_methodE3ELS4_3ELS4_3ELNS0_20block_scan_algorithmE0ELj4294967295EEENS1_25partition_config_selectorILNS1_17partition_subalgoE4EjNS0_10empty_typeEbEEZZNS1_14partition_implILS8_4ELb0ES6_15HIP_vector_typeIjLj2EENS0_17counting_iteratorIjlEEPS9_SG_NS0_5tupleIJPjSI_NS0_16reverse_iteratorISI_EEEEENSH_IJSG_SG_SG_EEES9_SI_JZNS1_25segmented_radix_sort_implINS0_14default_configELb1EPKiPiPKlPlN2at6native12_GLOBAL__N_18offset_tEEE10hipError_tPvRmT1_PNSt15iterator_traitsIS12_E10value_typeET2_T3_PNS13_IS18_E10value_typeET4_jRbjT5_S1E_jjP12ihipStream_tbEUljE_ZNSN_ISO_Lb1ESQ_SR_ST_SU_SY_EESZ_S10_S11_S12_S16_S17_S18_S1B_S1C_jS1D_jS1E_S1E_jjS1G_bEUljE0_EEESZ_S10_S11_S18_S1C_S1E_T6_T7_T9_mT8_S1G_bDpT10_ENKUlT_T0_E_clISt17integral_constantIbLb0EES1T_IbLb1EEEEDaS1P_S1Q_EUlS1P_E_NS1_11comp_targetILNS1_3genE0ELNS1_11target_archE4294967295ELNS1_3gpuE0ELNS1_3repE0EEENS1_30default_config_static_selectorELNS0_4arch9wavefront6targetE1EEEvS12_.kd
    .uniform_work_group_size: 1
    .uses_dynamic_stack: false
    .vgpr_count:     0
    .vgpr_spill_count: 0
    .wavefront_size: 64
  - .agpr_count:     0
    .args:
      - .offset:         0
        .size:           184
        .value_kind:     by_value
    .group_segment_fixed_size: 0
    .kernarg_segment_align: 8
    .kernarg_segment_size: 184
    .language:       OpenCL C
    .language_version:
      - 2
      - 0
    .max_flat_workgroup_size: 256
    .name:           _ZN7rocprim17ROCPRIM_400000_NS6detail17trampoline_kernelINS0_13select_configILj256ELj13ELNS0_17block_load_methodE3ELS4_3ELS4_3ELNS0_20block_scan_algorithmE0ELj4294967295EEENS1_25partition_config_selectorILNS1_17partition_subalgoE4EjNS0_10empty_typeEbEEZZNS1_14partition_implILS8_4ELb0ES6_15HIP_vector_typeIjLj2EENS0_17counting_iteratorIjlEEPS9_SG_NS0_5tupleIJPjSI_NS0_16reverse_iteratorISI_EEEEENSH_IJSG_SG_SG_EEES9_SI_JZNS1_25segmented_radix_sort_implINS0_14default_configELb1EPKiPiPKlPlN2at6native12_GLOBAL__N_18offset_tEEE10hipError_tPvRmT1_PNSt15iterator_traitsIS12_E10value_typeET2_T3_PNS13_IS18_E10value_typeET4_jRbjT5_S1E_jjP12ihipStream_tbEUljE_ZNSN_ISO_Lb1ESQ_SR_ST_SU_SY_EESZ_S10_S11_S12_S16_S17_S18_S1B_S1C_jS1D_jS1E_S1E_jjS1G_bEUljE0_EEESZ_S10_S11_S18_S1C_S1E_T6_T7_T9_mT8_S1G_bDpT10_ENKUlT_T0_E_clISt17integral_constantIbLb0EES1T_IbLb1EEEEDaS1P_S1Q_EUlS1P_E_NS1_11comp_targetILNS1_3genE5ELNS1_11target_archE942ELNS1_3gpuE9ELNS1_3repE0EEENS1_30default_config_static_selectorELNS0_4arch9wavefront6targetE1EEEvS12_
    .private_segment_fixed_size: 0
    .sgpr_count:     4
    .sgpr_spill_count: 0
    .symbol:         _ZN7rocprim17ROCPRIM_400000_NS6detail17trampoline_kernelINS0_13select_configILj256ELj13ELNS0_17block_load_methodE3ELS4_3ELS4_3ELNS0_20block_scan_algorithmE0ELj4294967295EEENS1_25partition_config_selectorILNS1_17partition_subalgoE4EjNS0_10empty_typeEbEEZZNS1_14partition_implILS8_4ELb0ES6_15HIP_vector_typeIjLj2EENS0_17counting_iteratorIjlEEPS9_SG_NS0_5tupleIJPjSI_NS0_16reverse_iteratorISI_EEEEENSH_IJSG_SG_SG_EEES9_SI_JZNS1_25segmented_radix_sort_implINS0_14default_configELb1EPKiPiPKlPlN2at6native12_GLOBAL__N_18offset_tEEE10hipError_tPvRmT1_PNSt15iterator_traitsIS12_E10value_typeET2_T3_PNS13_IS18_E10value_typeET4_jRbjT5_S1E_jjP12ihipStream_tbEUljE_ZNSN_ISO_Lb1ESQ_SR_ST_SU_SY_EESZ_S10_S11_S12_S16_S17_S18_S1B_S1C_jS1D_jS1E_S1E_jjS1G_bEUljE0_EEESZ_S10_S11_S18_S1C_S1E_T6_T7_T9_mT8_S1G_bDpT10_ENKUlT_T0_E_clISt17integral_constantIbLb0EES1T_IbLb1EEEEDaS1P_S1Q_EUlS1P_E_NS1_11comp_targetILNS1_3genE5ELNS1_11target_archE942ELNS1_3gpuE9ELNS1_3repE0EEENS1_30default_config_static_selectorELNS0_4arch9wavefront6targetE1EEEvS12_.kd
    .uniform_work_group_size: 1
    .uses_dynamic_stack: false
    .vgpr_count:     0
    .vgpr_spill_count: 0
    .wavefront_size: 64
  - .agpr_count:     0
    .args:
      - .offset:         0
        .size:           184
        .value_kind:     by_value
    .group_segment_fixed_size: 13340
    .kernarg_segment_align: 8
    .kernarg_segment_size: 184
    .language:       OpenCL C
    .language_version:
      - 2
      - 0
    .max_flat_workgroup_size: 256
    .name:           _ZN7rocprim17ROCPRIM_400000_NS6detail17trampoline_kernelINS0_13select_configILj256ELj13ELNS0_17block_load_methodE3ELS4_3ELS4_3ELNS0_20block_scan_algorithmE0ELj4294967295EEENS1_25partition_config_selectorILNS1_17partition_subalgoE4EjNS0_10empty_typeEbEEZZNS1_14partition_implILS8_4ELb0ES6_15HIP_vector_typeIjLj2EENS0_17counting_iteratorIjlEEPS9_SG_NS0_5tupleIJPjSI_NS0_16reverse_iteratorISI_EEEEENSH_IJSG_SG_SG_EEES9_SI_JZNS1_25segmented_radix_sort_implINS0_14default_configELb1EPKiPiPKlPlN2at6native12_GLOBAL__N_18offset_tEEE10hipError_tPvRmT1_PNSt15iterator_traitsIS12_E10value_typeET2_T3_PNS13_IS18_E10value_typeET4_jRbjT5_S1E_jjP12ihipStream_tbEUljE_ZNSN_ISO_Lb1ESQ_SR_ST_SU_SY_EESZ_S10_S11_S12_S16_S17_S18_S1B_S1C_jS1D_jS1E_S1E_jjS1G_bEUljE0_EEESZ_S10_S11_S18_S1C_S1E_T6_T7_T9_mT8_S1G_bDpT10_ENKUlT_T0_E_clISt17integral_constantIbLb0EES1T_IbLb1EEEEDaS1P_S1Q_EUlS1P_E_NS1_11comp_targetILNS1_3genE4ELNS1_11target_archE910ELNS1_3gpuE8ELNS1_3repE0EEENS1_30default_config_static_selectorELNS0_4arch9wavefront6targetE1EEEvS12_
    .private_segment_fixed_size: 0
    .sgpr_count:     91
    .sgpr_spill_count: 0
    .symbol:         _ZN7rocprim17ROCPRIM_400000_NS6detail17trampoline_kernelINS0_13select_configILj256ELj13ELNS0_17block_load_methodE3ELS4_3ELS4_3ELNS0_20block_scan_algorithmE0ELj4294967295EEENS1_25partition_config_selectorILNS1_17partition_subalgoE4EjNS0_10empty_typeEbEEZZNS1_14partition_implILS8_4ELb0ES6_15HIP_vector_typeIjLj2EENS0_17counting_iteratorIjlEEPS9_SG_NS0_5tupleIJPjSI_NS0_16reverse_iteratorISI_EEEEENSH_IJSG_SG_SG_EEES9_SI_JZNS1_25segmented_radix_sort_implINS0_14default_configELb1EPKiPiPKlPlN2at6native12_GLOBAL__N_18offset_tEEE10hipError_tPvRmT1_PNSt15iterator_traitsIS12_E10value_typeET2_T3_PNS13_IS18_E10value_typeET4_jRbjT5_S1E_jjP12ihipStream_tbEUljE_ZNSN_ISO_Lb1ESQ_SR_ST_SU_SY_EESZ_S10_S11_S12_S16_S17_S18_S1B_S1C_jS1D_jS1E_S1E_jjS1G_bEUljE0_EEESZ_S10_S11_S18_S1C_S1E_T6_T7_T9_mT8_S1G_bDpT10_ENKUlT_T0_E_clISt17integral_constantIbLb0EES1T_IbLb1EEEEDaS1P_S1Q_EUlS1P_E_NS1_11comp_targetILNS1_3genE4ELNS1_11target_archE910ELNS1_3gpuE8ELNS1_3repE0EEENS1_30default_config_static_selectorELNS0_4arch9wavefront6targetE1EEEvS12_.kd
    .uniform_work_group_size: 1
    .uses_dynamic_stack: false
    .vgpr_count:     107
    .vgpr_spill_count: 0
    .wavefront_size: 64
  - .agpr_count:     0
    .args:
      - .offset:         0
        .size:           184
        .value_kind:     by_value
    .group_segment_fixed_size: 0
    .kernarg_segment_align: 8
    .kernarg_segment_size: 184
    .language:       OpenCL C
    .language_version:
      - 2
      - 0
    .max_flat_workgroup_size: 256
    .name:           _ZN7rocprim17ROCPRIM_400000_NS6detail17trampoline_kernelINS0_13select_configILj256ELj13ELNS0_17block_load_methodE3ELS4_3ELS4_3ELNS0_20block_scan_algorithmE0ELj4294967295EEENS1_25partition_config_selectorILNS1_17partition_subalgoE4EjNS0_10empty_typeEbEEZZNS1_14partition_implILS8_4ELb0ES6_15HIP_vector_typeIjLj2EENS0_17counting_iteratorIjlEEPS9_SG_NS0_5tupleIJPjSI_NS0_16reverse_iteratorISI_EEEEENSH_IJSG_SG_SG_EEES9_SI_JZNS1_25segmented_radix_sort_implINS0_14default_configELb1EPKiPiPKlPlN2at6native12_GLOBAL__N_18offset_tEEE10hipError_tPvRmT1_PNSt15iterator_traitsIS12_E10value_typeET2_T3_PNS13_IS18_E10value_typeET4_jRbjT5_S1E_jjP12ihipStream_tbEUljE_ZNSN_ISO_Lb1ESQ_SR_ST_SU_SY_EESZ_S10_S11_S12_S16_S17_S18_S1B_S1C_jS1D_jS1E_S1E_jjS1G_bEUljE0_EEESZ_S10_S11_S18_S1C_S1E_T6_T7_T9_mT8_S1G_bDpT10_ENKUlT_T0_E_clISt17integral_constantIbLb0EES1T_IbLb1EEEEDaS1P_S1Q_EUlS1P_E_NS1_11comp_targetILNS1_3genE3ELNS1_11target_archE908ELNS1_3gpuE7ELNS1_3repE0EEENS1_30default_config_static_selectorELNS0_4arch9wavefront6targetE1EEEvS12_
    .private_segment_fixed_size: 0
    .sgpr_count:     4
    .sgpr_spill_count: 0
    .symbol:         _ZN7rocprim17ROCPRIM_400000_NS6detail17trampoline_kernelINS0_13select_configILj256ELj13ELNS0_17block_load_methodE3ELS4_3ELS4_3ELNS0_20block_scan_algorithmE0ELj4294967295EEENS1_25partition_config_selectorILNS1_17partition_subalgoE4EjNS0_10empty_typeEbEEZZNS1_14partition_implILS8_4ELb0ES6_15HIP_vector_typeIjLj2EENS0_17counting_iteratorIjlEEPS9_SG_NS0_5tupleIJPjSI_NS0_16reverse_iteratorISI_EEEEENSH_IJSG_SG_SG_EEES9_SI_JZNS1_25segmented_radix_sort_implINS0_14default_configELb1EPKiPiPKlPlN2at6native12_GLOBAL__N_18offset_tEEE10hipError_tPvRmT1_PNSt15iterator_traitsIS12_E10value_typeET2_T3_PNS13_IS18_E10value_typeET4_jRbjT5_S1E_jjP12ihipStream_tbEUljE_ZNSN_ISO_Lb1ESQ_SR_ST_SU_SY_EESZ_S10_S11_S12_S16_S17_S18_S1B_S1C_jS1D_jS1E_S1E_jjS1G_bEUljE0_EEESZ_S10_S11_S18_S1C_S1E_T6_T7_T9_mT8_S1G_bDpT10_ENKUlT_T0_E_clISt17integral_constantIbLb0EES1T_IbLb1EEEEDaS1P_S1Q_EUlS1P_E_NS1_11comp_targetILNS1_3genE3ELNS1_11target_archE908ELNS1_3gpuE7ELNS1_3repE0EEENS1_30default_config_static_selectorELNS0_4arch9wavefront6targetE1EEEvS12_.kd
    .uniform_work_group_size: 1
    .uses_dynamic_stack: false
    .vgpr_count:     0
    .vgpr_spill_count: 0
    .wavefront_size: 64
  - .agpr_count:     0
    .args:
      - .offset:         0
        .size:           184
        .value_kind:     by_value
    .group_segment_fixed_size: 0
    .kernarg_segment_align: 8
    .kernarg_segment_size: 184
    .language:       OpenCL C
    .language_version:
      - 2
      - 0
    .max_flat_workgroup_size: 256
    .name:           _ZN7rocprim17ROCPRIM_400000_NS6detail17trampoline_kernelINS0_13select_configILj256ELj13ELNS0_17block_load_methodE3ELS4_3ELS4_3ELNS0_20block_scan_algorithmE0ELj4294967295EEENS1_25partition_config_selectorILNS1_17partition_subalgoE4EjNS0_10empty_typeEbEEZZNS1_14partition_implILS8_4ELb0ES6_15HIP_vector_typeIjLj2EENS0_17counting_iteratorIjlEEPS9_SG_NS0_5tupleIJPjSI_NS0_16reverse_iteratorISI_EEEEENSH_IJSG_SG_SG_EEES9_SI_JZNS1_25segmented_radix_sort_implINS0_14default_configELb1EPKiPiPKlPlN2at6native12_GLOBAL__N_18offset_tEEE10hipError_tPvRmT1_PNSt15iterator_traitsIS12_E10value_typeET2_T3_PNS13_IS18_E10value_typeET4_jRbjT5_S1E_jjP12ihipStream_tbEUljE_ZNSN_ISO_Lb1ESQ_SR_ST_SU_SY_EESZ_S10_S11_S12_S16_S17_S18_S1B_S1C_jS1D_jS1E_S1E_jjS1G_bEUljE0_EEESZ_S10_S11_S18_S1C_S1E_T6_T7_T9_mT8_S1G_bDpT10_ENKUlT_T0_E_clISt17integral_constantIbLb0EES1T_IbLb1EEEEDaS1P_S1Q_EUlS1P_E_NS1_11comp_targetILNS1_3genE2ELNS1_11target_archE906ELNS1_3gpuE6ELNS1_3repE0EEENS1_30default_config_static_selectorELNS0_4arch9wavefront6targetE1EEEvS12_
    .private_segment_fixed_size: 0
    .sgpr_count:     4
    .sgpr_spill_count: 0
    .symbol:         _ZN7rocprim17ROCPRIM_400000_NS6detail17trampoline_kernelINS0_13select_configILj256ELj13ELNS0_17block_load_methodE3ELS4_3ELS4_3ELNS0_20block_scan_algorithmE0ELj4294967295EEENS1_25partition_config_selectorILNS1_17partition_subalgoE4EjNS0_10empty_typeEbEEZZNS1_14partition_implILS8_4ELb0ES6_15HIP_vector_typeIjLj2EENS0_17counting_iteratorIjlEEPS9_SG_NS0_5tupleIJPjSI_NS0_16reverse_iteratorISI_EEEEENSH_IJSG_SG_SG_EEES9_SI_JZNS1_25segmented_radix_sort_implINS0_14default_configELb1EPKiPiPKlPlN2at6native12_GLOBAL__N_18offset_tEEE10hipError_tPvRmT1_PNSt15iterator_traitsIS12_E10value_typeET2_T3_PNS13_IS18_E10value_typeET4_jRbjT5_S1E_jjP12ihipStream_tbEUljE_ZNSN_ISO_Lb1ESQ_SR_ST_SU_SY_EESZ_S10_S11_S12_S16_S17_S18_S1B_S1C_jS1D_jS1E_S1E_jjS1G_bEUljE0_EEESZ_S10_S11_S18_S1C_S1E_T6_T7_T9_mT8_S1G_bDpT10_ENKUlT_T0_E_clISt17integral_constantIbLb0EES1T_IbLb1EEEEDaS1P_S1Q_EUlS1P_E_NS1_11comp_targetILNS1_3genE2ELNS1_11target_archE906ELNS1_3gpuE6ELNS1_3repE0EEENS1_30default_config_static_selectorELNS0_4arch9wavefront6targetE1EEEvS12_.kd
    .uniform_work_group_size: 1
    .uses_dynamic_stack: false
    .vgpr_count:     0
    .vgpr_spill_count: 0
    .wavefront_size: 64
  - .agpr_count:     0
    .args:
      - .offset:         0
        .size:           184
        .value_kind:     by_value
    .group_segment_fixed_size: 0
    .kernarg_segment_align: 8
    .kernarg_segment_size: 184
    .language:       OpenCL C
    .language_version:
      - 2
      - 0
    .max_flat_workgroup_size: 256
    .name:           _ZN7rocprim17ROCPRIM_400000_NS6detail17trampoline_kernelINS0_13select_configILj256ELj13ELNS0_17block_load_methodE3ELS4_3ELS4_3ELNS0_20block_scan_algorithmE0ELj4294967295EEENS1_25partition_config_selectorILNS1_17partition_subalgoE4EjNS0_10empty_typeEbEEZZNS1_14partition_implILS8_4ELb0ES6_15HIP_vector_typeIjLj2EENS0_17counting_iteratorIjlEEPS9_SG_NS0_5tupleIJPjSI_NS0_16reverse_iteratorISI_EEEEENSH_IJSG_SG_SG_EEES9_SI_JZNS1_25segmented_radix_sort_implINS0_14default_configELb1EPKiPiPKlPlN2at6native12_GLOBAL__N_18offset_tEEE10hipError_tPvRmT1_PNSt15iterator_traitsIS12_E10value_typeET2_T3_PNS13_IS18_E10value_typeET4_jRbjT5_S1E_jjP12ihipStream_tbEUljE_ZNSN_ISO_Lb1ESQ_SR_ST_SU_SY_EESZ_S10_S11_S12_S16_S17_S18_S1B_S1C_jS1D_jS1E_S1E_jjS1G_bEUljE0_EEESZ_S10_S11_S18_S1C_S1E_T6_T7_T9_mT8_S1G_bDpT10_ENKUlT_T0_E_clISt17integral_constantIbLb0EES1T_IbLb1EEEEDaS1P_S1Q_EUlS1P_E_NS1_11comp_targetILNS1_3genE10ELNS1_11target_archE1200ELNS1_3gpuE4ELNS1_3repE0EEENS1_30default_config_static_selectorELNS0_4arch9wavefront6targetE1EEEvS12_
    .private_segment_fixed_size: 0
    .sgpr_count:     4
    .sgpr_spill_count: 0
    .symbol:         _ZN7rocprim17ROCPRIM_400000_NS6detail17trampoline_kernelINS0_13select_configILj256ELj13ELNS0_17block_load_methodE3ELS4_3ELS4_3ELNS0_20block_scan_algorithmE0ELj4294967295EEENS1_25partition_config_selectorILNS1_17partition_subalgoE4EjNS0_10empty_typeEbEEZZNS1_14partition_implILS8_4ELb0ES6_15HIP_vector_typeIjLj2EENS0_17counting_iteratorIjlEEPS9_SG_NS0_5tupleIJPjSI_NS0_16reverse_iteratorISI_EEEEENSH_IJSG_SG_SG_EEES9_SI_JZNS1_25segmented_radix_sort_implINS0_14default_configELb1EPKiPiPKlPlN2at6native12_GLOBAL__N_18offset_tEEE10hipError_tPvRmT1_PNSt15iterator_traitsIS12_E10value_typeET2_T3_PNS13_IS18_E10value_typeET4_jRbjT5_S1E_jjP12ihipStream_tbEUljE_ZNSN_ISO_Lb1ESQ_SR_ST_SU_SY_EESZ_S10_S11_S12_S16_S17_S18_S1B_S1C_jS1D_jS1E_S1E_jjS1G_bEUljE0_EEESZ_S10_S11_S18_S1C_S1E_T6_T7_T9_mT8_S1G_bDpT10_ENKUlT_T0_E_clISt17integral_constantIbLb0EES1T_IbLb1EEEEDaS1P_S1Q_EUlS1P_E_NS1_11comp_targetILNS1_3genE10ELNS1_11target_archE1200ELNS1_3gpuE4ELNS1_3repE0EEENS1_30default_config_static_selectorELNS0_4arch9wavefront6targetE1EEEvS12_.kd
    .uniform_work_group_size: 1
    .uses_dynamic_stack: false
    .vgpr_count:     0
    .vgpr_spill_count: 0
    .wavefront_size: 64
  - .agpr_count:     0
    .args:
      - .offset:         0
        .size:           184
        .value_kind:     by_value
    .group_segment_fixed_size: 0
    .kernarg_segment_align: 8
    .kernarg_segment_size: 184
    .language:       OpenCL C
    .language_version:
      - 2
      - 0
    .max_flat_workgroup_size: 256
    .name:           _ZN7rocprim17ROCPRIM_400000_NS6detail17trampoline_kernelINS0_13select_configILj256ELj13ELNS0_17block_load_methodE3ELS4_3ELS4_3ELNS0_20block_scan_algorithmE0ELj4294967295EEENS1_25partition_config_selectorILNS1_17partition_subalgoE4EjNS0_10empty_typeEbEEZZNS1_14partition_implILS8_4ELb0ES6_15HIP_vector_typeIjLj2EENS0_17counting_iteratorIjlEEPS9_SG_NS0_5tupleIJPjSI_NS0_16reverse_iteratorISI_EEEEENSH_IJSG_SG_SG_EEES9_SI_JZNS1_25segmented_radix_sort_implINS0_14default_configELb1EPKiPiPKlPlN2at6native12_GLOBAL__N_18offset_tEEE10hipError_tPvRmT1_PNSt15iterator_traitsIS12_E10value_typeET2_T3_PNS13_IS18_E10value_typeET4_jRbjT5_S1E_jjP12ihipStream_tbEUljE_ZNSN_ISO_Lb1ESQ_SR_ST_SU_SY_EESZ_S10_S11_S12_S16_S17_S18_S1B_S1C_jS1D_jS1E_S1E_jjS1G_bEUljE0_EEESZ_S10_S11_S18_S1C_S1E_T6_T7_T9_mT8_S1G_bDpT10_ENKUlT_T0_E_clISt17integral_constantIbLb0EES1T_IbLb1EEEEDaS1P_S1Q_EUlS1P_E_NS1_11comp_targetILNS1_3genE9ELNS1_11target_archE1100ELNS1_3gpuE3ELNS1_3repE0EEENS1_30default_config_static_selectorELNS0_4arch9wavefront6targetE1EEEvS12_
    .private_segment_fixed_size: 0
    .sgpr_count:     4
    .sgpr_spill_count: 0
    .symbol:         _ZN7rocprim17ROCPRIM_400000_NS6detail17trampoline_kernelINS0_13select_configILj256ELj13ELNS0_17block_load_methodE3ELS4_3ELS4_3ELNS0_20block_scan_algorithmE0ELj4294967295EEENS1_25partition_config_selectorILNS1_17partition_subalgoE4EjNS0_10empty_typeEbEEZZNS1_14partition_implILS8_4ELb0ES6_15HIP_vector_typeIjLj2EENS0_17counting_iteratorIjlEEPS9_SG_NS0_5tupleIJPjSI_NS0_16reverse_iteratorISI_EEEEENSH_IJSG_SG_SG_EEES9_SI_JZNS1_25segmented_radix_sort_implINS0_14default_configELb1EPKiPiPKlPlN2at6native12_GLOBAL__N_18offset_tEEE10hipError_tPvRmT1_PNSt15iterator_traitsIS12_E10value_typeET2_T3_PNS13_IS18_E10value_typeET4_jRbjT5_S1E_jjP12ihipStream_tbEUljE_ZNSN_ISO_Lb1ESQ_SR_ST_SU_SY_EESZ_S10_S11_S12_S16_S17_S18_S1B_S1C_jS1D_jS1E_S1E_jjS1G_bEUljE0_EEESZ_S10_S11_S18_S1C_S1E_T6_T7_T9_mT8_S1G_bDpT10_ENKUlT_T0_E_clISt17integral_constantIbLb0EES1T_IbLb1EEEEDaS1P_S1Q_EUlS1P_E_NS1_11comp_targetILNS1_3genE9ELNS1_11target_archE1100ELNS1_3gpuE3ELNS1_3repE0EEENS1_30default_config_static_selectorELNS0_4arch9wavefront6targetE1EEEvS12_.kd
    .uniform_work_group_size: 1
    .uses_dynamic_stack: false
    .vgpr_count:     0
    .vgpr_spill_count: 0
    .wavefront_size: 64
  - .agpr_count:     0
    .args:
      - .offset:         0
        .size:           184
        .value_kind:     by_value
    .group_segment_fixed_size: 0
    .kernarg_segment_align: 8
    .kernarg_segment_size: 184
    .language:       OpenCL C
    .language_version:
      - 2
      - 0
    .max_flat_workgroup_size: 256
    .name:           _ZN7rocprim17ROCPRIM_400000_NS6detail17trampoline_kernelINS0_13select_configILj256ELj13ELNS0_17block_load_methodE3ELS4_3ELS4_3ELNS0_20block_scan_algorithmE0ELj4294967295EEENS1_25partition_config_selectorILNS1_17partition_subalgoE4EjNS0_10empty_typeEbEEZZNS1_14partition_implILS8_4ELb0ES6_15HIP_vector_typeIjLj2EENS0_17counting_iteratorIjlEEPS9_SG_NS0_5tupleIJPjSI_NS0_16reverse_iteratorISI_EEEEENSH_IJSG_SG_SG_EEES9_SI_JZNS1_25segmented_radix_sort_implINS0_14default_configELb1EPKiPiPKlPlN2at6native12_GLOBAL__N_18offset_tEEE10hipError_tPvRmT1_PNSt15iterator_traitsIS12_E10value_typeET2_T3_PNS13_IS18_E10value_typeET4_jRbjT5_S1E_jjP12ihipStream_tbEUljE_ZNSN_ISO_Lb1ESQ_SR_ST_SU_SY_EESZ_S10_S11_S12_S16_S17_S18_S1B_S1C_jS1D_jS1E_S1E_jjS1G_bEUljE0_EEESZ_S10_S11_S18_S1C_S1E_T6_T7_T9_mT8_S1G_bDpT10_ENKUlT_T0_E_clISt17integral_constantIbLb0EES1T_IbLb1EEEEDaS1P_S1Q_EUlS1P_E_NS1_11comp_targetILNS1_3genE8ELNS1_11target_archE1030ELNS1_3gpuE2ELNS1_3repE0EEENS1_30default_config_static_selectorELNS0_4arch9wavefront6targetE1EEEvS12_
    .private_segment_fixed_size: 0
    .sgpr_count:     4
    .sgpr_spill_count: 0
    .symbol:         _ZN7rocprim17ROCPRIM_400000_NS6detail17trampoline_kernelINS0_13select_configILj256ELj13ELNS0_17block_load_methodE3ELS4_3ELS4_3ELNS0_20block_scan_algorithmE0ELj4294967295EEENS1_25partition_config_selectorILNS1_17partition_subalgoE4EjNS0_10empty_typeEbEEZZNS1_14partition_implILS8_4ELb0ES6_15HIP_vector_typeIjLj2EENS0_17counting_iteratorIjlEEPS9_SG_NS0_5tupleIJPjSI_NS0_16reverse_iteratorISI_EEEEENSH_IJSG_SG_SG_EEES9_SI_JZNS1_25segmented_radix_sort_implINS0_14default_configELb1EPKiPiPKlPlN2at6native12_GLOBAL__N_18offset_tEEE10hipError_tPvRmT1_PNSt15iterator_traitsIS12_E10value_typeET2_T3_PNS13_IS18_E10value_typeET4_jRbjT5_S1E_jjP12ihipStream_tbEUljE_ZNSN_ISO_Lb1ESQ_SR_ST_SU_SY_EESZ_S10_S11_S12_S16_S17_S18_S1B_S1C_jS1D_jS1E_S1E_jjS1G_bEUljE0_EEESZ_S10_S11_S18_S1C_S1E_T6_T7_T9_mT8_S1G_bDpT10_ENKUlT_T0_E_clISt17integral_constantIbLb0EES1T_IbLb1EEEEDaS1P_S1Q_EUlS1P_E_NS1_11comp_targetILNS1_3genE8ELNS1_11target_archE1030ELNS1_3gpuE2ELNS1_3repE0EEENS1_30default_config_static_selectorELNS0_4arch9wavefront6targetE1EEEvS12_.kd
    .uniform_work_group_size: 1
    .uses_dynamic_stack: false
    .vgpr_count:     0
    .vgpr_spill_count: 0
    .wavefront_size: 64
  - .agpr_count:     0
    .args:
      - .offset:         0
        .size:           144
        .value_kind:     by_value
    .group_segment_fixed_size: 0
    .kernarg_segment_align: 8
    .kernarg_segment_size: 144
    .language:       OpenCL C
    .language_version:
      - 2
      - 0
    .max_flat_workgroup_size: 256
    .name:           _ZN7rocprim17ROCPRIM_400000_NS6detail17trampoline_kernelINS0_13select_configILj256ELj13ELNS0_17block_load_methodE3ELS4_3ELS4_3ELNS0_20block_scan_algorithmE0ELj4294967295EEENS1_25partition_config_selectorILNS1_17partition_subalgoE3EjNS0_10empty_typeEbEEZZNS1_14partition_implILS8_3ELb0ES6_jNS0_17counting_iteratorIjlEEPS9_SE_NS0_5tupleIJPjSE_EEENSF_IJSE_SE_EEES9_SG_JZNS1_25segmented_radix_sort_implINS0_14default_configELb1EPKiPiPKlPlN2at6native12_GLOBAL__N_18offset_tEEE10hipError_tPvRmT1_PNSt15iterator_traitsISY_E10value_typeET2_T3_PNSZ_IS14_E10value_typeET4_jRbjT5_S1A_jjP12ihipStream_tbEUljE_EEESV_SW_SX_S14_S18_S1A_T6_T7_T9_mT8_S1C_bDpT10_ENKUlT_T0_E_clISt17integral_constantIbLb0EES1P_EEDaS1K_S1L_EUlS1K_E_NS1_11comp_targetILNS1_3genE0ELNS1_11target_archE4294967295ELNS1_3gpuE0ELNS1_3repE0EEENS1_30default_config_static_selectorELNS0_4arch9wavefront6targetE1EEEvSY_
    .private_segment_fixed_size: 0
    .sgpr_count:     4
    .sgpr_spill_count: 0
    .symbol:         _ZN7rocprim17ROCPRIM_400000_NS6detail17trampoline_kernelINS0_13select_configILj256ELj13ELNS0_17block_load_methodE3ELS4_3ELS4_3ELNS0_20block_scan_algorithmE0ELj4294967295EEENS1_25partition_config_selectorILNS1_17partition_subalgoE3EjNS0_10empty_typeEbEEZZNS1_14partition_implILS8_3ELb0ES6_jNS0_17counting_iteratorIjlEEPS9_SE_NS0_5tupleIJPjSE_EEENSF_IJSE_SE_EEES9_SG_JZNS1_25segmented_radix_sort_implINS0_14default_configELb1EPKiPiPKlPlN2at6native12_GLOBAL__N_18offset_tEEE10hipError_tPvRmT1_PNSt15iterator_traitsISY_E10value_typeET2_T3_PNSZ_IS14_E10value_typeET4_jRbjT5_S1A_jjP12ihipStream_tbEUljE_EEESV_SW_SX_S14_S18_S1A_T6_T7_T9_mT8_S1C_bDpT10_ENKUlT_T0_E_clISt17integral_constantIbLb0EES1P_EEDaS1K_S1L_EUlS1K_E_NS1_11comp_targetILNS1_3genE0ELNS1_11target_archE4294967295ELNS1_3gpuE0ELNS1_3repE0EEENS1_30default_config_static_selectorELNS0_4arch9wavefront6targetE1EEEvSY_.kd
    .uniform_work_group_size: 1
    .uses_dynamic_stack: false
    .vgpr_count:     0
    .vgpr_spill_count: 0
    .wavefront_size: 64
  - .agpr_count:     0
    .args:
      - .offset:         0
        .size:           144
        .value_kind:     by_value
    .group_segment_fixed_size: 0
    .kernarg_segment_align: 8
    .kernarg_segment_size: 144
    .language:       OpenCL C
    .language_version:
      - 2
      - 0
    .max_flat_workgroup_size: 256
    .name:           _ZN7rocprim17ROCPRIM_400000_NS6detail17trampoline_kernelINS0_13select_configILj256ELj13ELNS0_17block_load_methodE3ELS4_3ELS4_3ELNS0_20block_scan_algorithmE0ELj4294967295EEENS1_25partition_config_selectorILNS1_17partition_subalgoE3EjNS0_10empty_typeEbEEZZNS1_14partition_implILS8_3ELb0ES6_jNS0_17counting_iteratorIjlEEPS9_SE_NS0_5tupleIJPjSE_EEENSF_IJSE_SE_EEES9_SG_JZNS1_25segmented_radix_sort_implINS0_14default_configELb1EPKiPiPKlPlN2at6native12_GLOBAL__N_18offset_tEEE10hipError_tPvRmT1_PNSt15iterator_traitsISY_E10value_typeET2_T3_PNSZ_IS14_E10value_typeET4_jRbjT5_S1A_jjP12ihipStream_tbEUljE_EEESV_SW_SX_S14_S18_S1A_T6_T7_T9_mT8_S1C_bDpT10_ENKUlT_T0_E_clISt17integral_constantIbLb0EES1P_EEDaS1K_S1L_EUlS1K_E_NS1_11comp_targetILNS1_3genE5ELNS1_11target_archE942ELNS1_3gpuE9ELNS1_3repE0EEENS1_30default_config_static_selectorELNS0_4arch9wavefront6targetE1EEEvSY_
    .private_segment_fixed_size: 0
    .sgpr_count:     4
    .sgpr_spill_count: 0
    .symbol:         _ZN7rocprim17ROCPRIM_400000_NS6detail17trampoline_kernelINS0_13select_configILj256ELj13ELNS0_17block_load_methodE3ELS4_3ELS4_3ELNS0_20block_scan_algorithmE0ELj4294967295EEENS1_25partition_config_selectorILNS1_17partition_subalgoE3EjNS0_10empty_typeEbEEZZNS1_14partition_implILS8_3ELb0ES6_jNS0_17counting_iteratorIjlEEPS9_SE_NS0_5tupleIJPjSE_EEENSF_IJSE_SE_EEES9_SG_JZNS1_25segmented_radix_sort_implINS0_14default_configELb1EPKiPiPKlPlN2at6native12_GLOBAL__N_18offset_tEEE10hipError_tPvRmT1_PNSt15iterator_traitsISY_E10value_typeET2_T3_PNSZ_IS14_E10value_typeET4_jRbjT5_S1A_jjP12ihipStream_tbEUljE_EEESV_SW_SX_S14_S18_S1A_T6_T7_T9_mT8_S1C_bDpT10_ENKUlT_T0_E_clISt17integral_constantIbLb0EES1P_EEDaS1K_S1L_EUlS1K_E_NS1_11comp_targetILNS1_3genE5ELNS1_11target_archE942ELNS1_3gpuE9ELNS1_3repE0EEENS1_30default_config_static_selectorELNS0_4arch9wavefront6targetE1EEEvSY_.kd
    .uniform_work_group_size: 1
    .uses_dynamic_stack: false
    .vgpr_count:     0
    .vgpr_spill_count: 0
    .wavefront_size: 64
  - .agpr_count:     0
    .args:
      - .offset:         0
        .size:           144
        .value_kind:     by_value
    .group_segment_fixed_size: 13324
    .kernarg_segment_align: 8
    .kernarg_segment_size: 144
    .language:       OpenCL C
    .language_version:
      - 2
      - 0
    .max_flat_workgroup_size: 256
    .name:           _ZN7rocprim17ROCPRIM_400000_NS6detail17trampoline_kernelINS0_13select_configILj256ELj13ELNS0_17block_load_methodE3ELS4_3ELS4_3ELNS0_20block_scan_algorithmE0ELj4294967295EEENS1_25partition_config_selectorILNS1_17partition_subalgoE3EjNS0_10empty_typeEbEEZZNS1_14partition_implILS8_3ELb0ES6_jNS0_17counting_iteratorIjlEEPS9_SE_NS0_5tupleIJPjSE_EEENSF_IJSE_SE_EEES9_SG_JZNS1_25segmented_radix_sort_implINS0_14default_configELb1EPKiPiPKlPlN2at6native12_GLOBAL__N_18offset_tEEE10hipError_tPvRmT1_PNSt15iterator_traitsISY_E10value_typeET2_T3_PNSZ_IS14_E10value_typeET4_jRbjT5_S1A_jjP12ihipStream_tbEUljE_EEESV_SW_SX_S14_S18_S1A_T6_T7_T9_mT8_S1C_bDpT10_ENKUlT_T0_E_clISt17integral_constantIbLb0EES1P_EEDaS1K_S1L_EUlS1K_E_NS1_11comp_targetILNS1_3genE4ELNS1_11target_archE910ELNS1_3gpuE8ELNS1_3repE0EEENS1_30default_config_static_selectorELNS0_4arch9wavefront6targetE1EEEvSY_
    .private_segment_fixed_size: 0
    .sgpr_count:     50
    .sgpr_spill_count: 0
    .symbol:         _ZN7rocprim17ROCPRIM_400000_NS6detail17trampoline_kernelINS0_13select_configILj256ELj13ELNS0_17block_load_methodE3ELS4_3ELS4_3ELNS0_20block_scan_algorithmE0ELj4294967295EEENS1_25partition_config_selectorILNS1_17partition_subalgoE3EjNS0_10empty_typeEbEEZZNS1_14partition_implILS8_3ELb0ES6_jNS0_17counting_iteratorIjlEEPS9_SE_NS0_5tupleIJPjSE_EEENSF_IJSE_SE_EEES9_SG_JZNS1_25segmented_radix_sort_implINS0_14default_configELb1EPKiPiPKlPlN2at6native12_GLOBAL__N_18offset_tEEE10hipError_tPvRmT1_PNSt15iterator_traitsISY_E10value_typeET2_T3_PNSZ_IS14_E10value_typeET4_jRbjT5_S1A_jjP12ihipStream_tbEUljE_EEESV_SW_SX_S14_S18_S1A_T6_T7_T9_mT8_S1C_bDpT10_ENKUlT_T0_E_clISt17integral_constantIbLb0EES1P_EEDaS1K_S1L_EUlS1K_E_NS1_11comp_targetILNS1_3genE4ELNS1_11target_archE910ELNS1_3gpuE8ELNS1_3repE0EEENS1_30default_config_static_selectorELNS0_4arch9wavefront6targetE1EEEvSY_.kd
    .uniform_work_group_size: 1
    .uses_dynamic_stack: false
    .vgpr_count:     61
    .vgpr_spill_count: 0
    .wavefront_size: 64
  - .agpr_count:     0
    .args:
      - .offset:         0
        .size:           144
        .value_kind:     by_value
    .group_segment_fixed_size: 0
    .kernarg_segment_align: 8
    .kernarg_segment_size: 144
    .language:       OpenCL C
    .language_version:
      - 2
      - 0
    .max_flat_workgroup_size: 256
    .name:           _ZN7rocprim17ROCPRIM_400000_NS6detail17trampoline_kernelINS0_13select_configILj256ELj13ELNS0_17block_load_methodE3ELS4_3ELS4_3ELNS0_20block_scan_algorithmE0ELj4294967295EEENS1_25partition_config_selectorILNS1_17partition_subalgoE3EjNS0_10empty_typeEbEEZZNS1_14partition_implILS8_3ELb0ES6_jNS0_17counting_iteratorIjlEEPS9_SE_NS0_5tupleIJPjSE_EEENSF_IJSE_SE_EEES9_SG_JZNS1_25segmented_radix_sort_implINS0_14default_configELb1EPKiPiPKlPlN2at6native12_GLOBAL__N_18offset_tEEE10hipError_tPvRmT1_PNSt15iterator_traitsISY_E10value_typeET2_T3_PNSZ_IS14_E10value_typeET4_jRbjT5_S1A_jjP12ihipStream_tbEUljE_EEESV_SW_SX_S14_S18_S1A_T6_T7_T9_mT8_S1C_bDpT10_ENKUlT_T0_E_clISt17integral_constantIbLb0EES1P_EEDaS1K_S1L_EUlS1K_E_NS1_11comp_targetILNS1_3genE3ELNS1_11target_archE908ELNS1_3gpuE7ELNS1_3repE0EEENS1_30default_config_static_selectorELNS0_4arch9wavefront6targetE1EEEvSY_
    .private_segment_fixed_size: 0
    .sgpr_count:     4
    .sgpr_spill_count: 0
    .symbol:         _ZN7rocprim17ROCPRIM_400000_NS6detail17trampoline_kernelINS0_13select_configILj256ELj13ELNS0_17block_load_methodE3ELS4_3ELS4_3ELNS0_20block_scan_algorithmE0ELj4294967295EEENS1_25partition_config_selectorILNS1_17partition_subalgoE3EjNS0_10empty_typeEbEEZZNS1_14partition_implILS8_3ELb0ES6_jNS0_17counting_iteratorIjlEEPS9_SE_NS0_5tupleIJPjSE_EEENSF_IJSE_SE_EEES9_SG_JZNS1_25segmented_radix_sort_implINS0_14default_configELb1EPKiPiPKlPlN2at6native12_GLOBAL__N_18offset_tEEE10hipError_tPvRmT1_PNSt15iterator_traitsISY_E10value_typeET2_T3_PNSZ_IS14_E10value_typeET4_jRbjT5_S1A_jjP12ihipStream_tbEUljE_EEESV_SW_SX_S14_S18_S1A_T6_T7_T9_mT8_S1C_bDpT10_ENKUlT_T0_E_clISt17integral_constantIbLb0EES1P_EEDaS1K_S1L_EUlS1K_E_NS1_11comp_targetILNS1_3genE3ELNS1_11target_archE908ELNS1_3gpuE7ELNS1_3repE0EEENS1_30default_config_static_selectorELNS0_4arch9wavefront6targetE1EEEvSY_.kd
    .uniform_work_group_size: 1
    .uses_dynamic_stack: false
    .vgpr_count:     0
    .vgpr_spill_count: 0
    .wavefront_size: 64
  - .agpr_count:     0
    .args:
      - .offset:         0
        .size:           144
        .value_kind:     by_value
    .group_segment_fixed_size: 0
    .kernarg_segment_align: 8
    .kernarg_segment_size: 144
    .language:       OpenCL C
    .language_version:
      - 2
      - 0
    .max_flat_workgroup_size: 256
    .name:           _ZN7rocprim17ROCPRIM_400000_NS6detail17trampoline_kernelINS0_13select_configILj256ELj13ELNS0_17block_load_methodE3ELS4_3ELS4_3ELNS0_20block_scan_algorithmE0ELj4294967295EEENS1_25partition_config_selectorILNS1_17partition_subalgoE3EjNS0_10empty_typeEbEEZZNS1_14partition_implILS8_3ELb0ES6_jNS0_17counting_iteratorIjlEEPS9_SE_NS0_5tupleIJPjSE_EEENSF_IJSE_SE_EEES9_SG_JZNS1_25segmented_radix_sort_implINS0_14default_configELb1EPKiPiPKlPlN2at6native12_GLOBAL__N_18offset_tEEE10hipError_tPvRmT1_PNSt15iterator_traitsISY_E10value_typeET2_T3_PNSZ_IS14_E10value_typeET4_jRbjT5_S1A_jjP12ihipStream_tbEUljE_EEESV_SW_SX_S14_S18_S1A_T6_T7_T9_mT8_S1C_bDpT10_ENKUlT_T0_E_clISt17integral_constantIbLb0EES1P_EEDaS1K_S1L_EUlS1K_E_NS1_11comp_targetILNS1_3genE2ELNS1_11target_archE906ELNS1_3gpuE6ELNS1_3repE0EEENS1_30default_config_static_selectorELNS0_4arch9wavefront6targetE1EEEvSY_
    .private_segment_fixed_size: 0
    .sgpr_count:     4
    .sgpr_spill_count: 0
    .symbol:         _ZN7rocprim17ROCPRIM_400000_NS6detail17trampoline_kernelINS0_13select_configILj256ELj13ELNS0_17block_load_methodE3ELS4_3ELS4_3ELNS0_20block_scan_algorithmE0ELj4294967295EEENS1_25partition_config_selectorILNS1_17partition_subalgoE3EjNS0_10empty_typeEbEEZZNS1_14partition_implILS8_3ELb0ES6_jNS0_17counting_iteratorIjlEEPS9_SE_NS0_5tupleIJPjSE_EEENSF_IJSE_SE_EEES9_SG_JZNS1_25segmented_radix_sort_implINS0_14default_configELb1EPKiPiPKlPlN2at6native12_GLOBAL__N_18offset_tEEE10hipError_tPvRmT1_PNSt15iterator_traitsISY_E10value_typeET2_T3_PNSZ_IS14_E10value_typeET4_jRbjT5_S1A_jjP12ihipStream_tbEUljE_EEESV_SW_SX_S14_S18_S1A_T6_T7_T9_mT8_S1C_bDpT10_ENKUlT_T0_E_clISt17integral_constantIbLb0EES1P_EEDaS1K_S1L_EUlS1K_E_NS1_11comp_targetILNS1_3genE2ELNS1_11target_archE906ELNS1_3gpuE6ELNS1_3repE0EEENS1_30default_config_static_selectorELNS0_4arch9wavefront6targetE1EEEvSY_.kd
    .uniform_work_group_size: 1
    .uses_dynamic_stack: false
    .vgpr_count:     0
    .vgpr_spill_count: 0
    .wavefront_size: 64
  - .agpr_count:     0
    .args:
      - .offset:         0
        .size:           144
        .value_kind:     by_value
    .group_segment_fixed_size: 0
    .kernarg_segment_align: 8
    .kernarg_segment_size: 144
    .language:       OpenCL C
    .language_version:
      - 2
      - 0
    .max_flat_workgroup_size: 256
    .name:           _ZN7rocprim17ROCPRIM_400000_NS6detail17trampoline_kernelINS0_13select_configILj256ELj13ELNS0_17block_load_methodE3ELS4_3ELS4_3ELNS0_20block_scan_algorithmE0ELj4294967295EEENS1_25partition_config_selectorILNS1_17partition_subalgoE3EjNS0_10empty_typeEbEEZZNS1_14partition_implILS8_3ELb0ES6_jNS0_17counting_iteratorIjlEEPS9_SE_NS0_5tupleIJPjSE_EEENSF_IJSE_SE_EEES9_SG_JZNS1_25segmented_radix_sort_implINS0_14default_configELb1EPKiPiPKlPlN2at6native12_GLOBAL__N_18offset_tEEE10hipError_tPvRmT1_PNSt15iterator_traitsISY_E10value_typeET2_T3_PNSZ_IS14_E10value_typeET4_jRbjT5_S1A_jjP12ihipStream_tbEUljE_EEESV_SW_SX_S14_S18_S1A_T6_T7_T9_mT8_S1C_bDpT10_ENKUlT_T0_E_clISt17integral_constantIbLb0EES1P_EEDaS1K_S1L_EUlS1K_E_NS1_11comp_targetILNS1_3genE10ELNS1_11target_archE1200ELNS1_3gpuE4ELNS1_3repE0EEENS1_30default_config_static_selectorELNS0_4arch9wavefront6targetE1EEEvSY_
    .private_segment_fixed_size: 0
    .sgpr_count:     4
    .sgpr_spill_count: 0
    .symbol:         _ZN7rocprim17ROCPRIM_400000_NS6detail17trampoline_kernelINS0_13select_configILj256ELj13ELNS0_17block_load_methodE3ELS4_3ELS4_3ELNS0_20block_scan_algorithmE0ELj4294967295EEENS1_25partition_config_selectorILNS1_17partition_subalgoE3EjNS0_10empty_typeEbEEZZNS1_14partition_implILS8_3ELb0ES6_jNS0_17counting_iteratorIjlEEPS9_SE_NS0_5tupleIJPjSE_EEENSF_IJSE_SE_EEES9_SG_JZNS1_25segmented_radix_sort_implINS0_14default_configELb1EPKiPiPKlPlN2at6native12_GLOBAL__N_18offset_tEEE10hipError_tPvRmT1_PNSt15iterator_traitsISY_E10value_typeET2_T3_PNSZ_IS14_E10value_typeET4_jRbjT5_S1A_jjP12ihipStream_tbEUljE_EEESV_SW_SX_S14_S18_S1A_T6_T7_T9_mT8_S1C_bDpT10_ENKUlT_T0_E_clISt17integral_constantIbLb0EES1P_EEDaS1K_S1L_EUlS1K_E_NS1_11comp_targetILNS1_3genE10ELNS1_11target_archE1200ELNS1_3gpuE4ELNS1_3repE0EEENS1_30default_config_static_selectorELNS0_4arch9wavefront6targetE1EEEvSY_.kd
    .uniform_work_group_size: 1
    .uses_dynamic_stack: false
    .vgpr_count:     0
    .vgpr_spill_count: 0
    .wavefront_size: 64
  - .agpr_count:     0
    .args:
      - .offset:         0
        .size:           144
        .value_kind:     by_value
    .group_segment_fixed_size: 0
    .kernarg_segment_align: 8
    .kernarg_segment_size: 144
    .language:       OpenCL C
    .language_version:
      - 2
      - 0
    .max_flat_workgroup_size: 256
    .name:           _ZN7rocprim17ROCPRIM_400000_NS6detail17trampoline_kernelINS0_13select_configILj256ELj13ELNS0_17block_load_methodE3ELS4_3ELS4_3ELNS0_20block_scan_algorithmE0ELj4294967295EEENS1_25partition_config_selectorILNS1_17partition_subalgoE3EjNS0_10empty_typeEbEEZZNS1_14partition_implILS8_3ELb0ES6_jNS0_17counting_iteratorIjlEEPS9_SE_NS0_5tupleIJPjSE_EEENSF_IJSE_SE_EEES9_SG_JZNS1_25segmented_radix_sort_implINS0_14default_configELb1EPKiPiPKlPlN2at6native12_GLOBAL__N_18offset_tEEE10hipError_tPvRmT1_PNSt15iterator_traitsISY_E10value_typeET2_T3_PNSZ_IS14_E10value_typeET4_jRbjT5_S1A_jjP12ihipStream_tbEUljE_EEESV_SW_SX_S14_S18_S1A_T6_T7_T9_mT8_S1C_bDpT10_ENKUlT_T0_E_clISt17integral_constantIbLb0EES1P_EEDaS1K_S1L_EUlS1K_E_NS1_11comp_targetILNS1_3genE9ELNS1_11target_archE1100ELNS1_3gpuE3ELNS1_3repE0EEENS1_30default_config_static_selectorELNS0_4arch9wavefront6targetE1EEEvSY_
    .private_segment_fixed_size: 0
    .sgpr_count:     4
    .sgpr_spill_count: 0
    .symbol:         _ZN7rocprim17ROCPRIM_400000_NS6detail17trampoline_kernelINS0_13select_configILj256ELj13ELNS0_17block_load_methodE3ELS4_3ELS4_3ELNS0_20block_scan_algorithmE0ELj4294967295EEENS1_25partition_config_selectorILNS1_17partition_subalgoE3EjNS0_10empty_typeEbEEZZNS1_14partition_implILS8_3ELb0ES6_jNS0_17counting_iteratorIjlEEPS9_SE_NS0_5tupleIJPjSE_EEENSF_IJSE_SE_EEES9_SG_JZNS1_25segmented_radix_sort_implINS0_14default_configELb1EPKiPiPKlPlN2at6native12_GLOBAL__N_18offset_tEEE10hipError_tPvRmT1_PNSt15iterator_traitsISY_E10value_typeET2_T3_PNSZ_IS14_E10value_typeET4_jRbjT5_S1A_jjP12ihipStream_tbEUljE_EEESV_SW_SX_S14_S18_S1A_T6_T7_T9_mT8_S1C_bDpT10_ENKUlT_T0_E_clISt17integral_constantIbLb0EES1P_EEDaS1K_S1L_EUlS1K_E_NS1_11comp_targetILNS1_3genE9ELNS1_11target_archE1100ELNS1_3gpuE3ELNS1_3repE0EEENS1_30default_config_static_selectorELNS0_4arch9wavefront6targetE1EEEvSY_.kd
    .uniform_work_group_size: 1
    .uses_dynamic_stack: false
    .vgpr_count:     0
    .vgpr_spill_count: 0
    .wavefront_size: 64
  - .agpr_count:     0
    .args:
      - .offset:         0
        .size:           144
        .value_kind:     by_value
    .group_segment_fixed_size: 0
    .kernarg_segment_align: 8
    .kernarg_segment_size: 144
    .language:       OpenCL C
    .language_version:
      - 2
      - 0
    .max_flat_workgroup_size: 256
    .name:           _ZN7rocprim17ROCPRIM_400000_NS6detail17trampoline_kernelINS0_13select_configILj256ELj13ELNS0_17block_load_methodE3ELS4_3ELS4_3ELNS0_20block_scan_algorithmE0ELj4294967295EEENS1_25partition_config_selectorILNS1_17partition_subalgoE3EjNS0_10empty_typeEbEEZZNS1_14partition_implILS8_3ELb0ES6_jNS0_17counting_iteratorIjlEEPS9_SE_NS0_5tupleIJPjSE_EEENSF_IJSE_SE_EEES9_SG_JZNS1_25segmented_radix_sort_implINS0_14default_configELb1EPKiPiPKlPlN2at6native12_GLOBAL__N_18offset_tEEE10hipError_tPvRmT1_PNSt15iterator_traitsISY_E10value_typeET2_T3_PNSZ_IS14_E10value_typeET4_jRbjT5_S1A_jjP12ihipStream_tbEUljE_EEESV_SW_SX_S14_S18_S1A_T6_T7_T9_mT8_S1C_bDpT10_ENKUlT_T0_E_clISt17integral_constantIbLb0EES1P_EEDaS1K_S1L_EUlS1K_E_NS1_11comp_targetILNS1_3genE8ELNS1_11target_archE1030ELNS1_3gpuE2ELNS1_3repE0EEENS1_30default_config_static_selectorELNS0_4arch9wavefront6targetE1EEEvSY_
    .private_segment_fixed_size: 0
    .sgpr_count:     4
    .sgpr_spill_count: 0
    .symbol:         _ZN7rocprim17ROCPRIM_400000_NS6detail17trampoline_kernelINS0_13select_configILj256ELj13ELNS0_17block_load_methodE3ELS4_3ELS4_3ELNS0_20block_scan_algorithmE0ELj4294967295EEENS1_25partition_config_selectorILNS1_17partition_subalgoE3EjNS0_10empty_typeEbEEZZNS1_14partition_implILS8_3ELb0ES6_jNS0_17counting_iteratorIjlEEPS9_SE_NS0_5tupleIJPjSE_EEENSF_IJSE_SE_EEES9_SG_JZNS1_25segmented_radix_sort_implINS0_14default_configELb1EPKiPiPKlPlN2at6native12_GLOBAL__N_18offset_tEEE10hipError_tPvRmT1_PNSt15iterator_traitsISY_E10value_typeET2_T3_PNSZ_IS14_E10value_typeET4_jRbjT5_S1A_jjP12ihipStream_tbEUljE_EEESV_SW_SX_S14_S18_S1A_T6_T7_T9_mT8_S1C_bDpT10_ENKUlT_T0_E_clISt17integral_constantIbLb0EES1P_EEDaS1K_S1L_EUlS1K_E_NS1_11comp_targetILNS1_3genE8ELNS1_11target_archE1030ELNS1_3gpuE2ELNS1_3repE0EEENS1_30default_config_static_selectorELNS0_4arch9wavefront6targetE1EEEvSY_.kd
    .uniform_work_group_size: 1
    .uses_dynamic_stack: false
    .vgpr_count:     0
    .vgpr_spill_count: 0
    .wavefront_size: 64
  - .agpr_count:     0
    .args:
      - .offset:         0
        .size:           152
        .value_kind:     by_value
    .group_segment_fixed_size: 0
    .kernarg_segment_align: 8
    .kernarg_segment_size: 152
    .language:       OpenCL C
    .language_version:
      - 2
      - 0
    .max_flat_workgroup_size: 256
    .name:           _ZN7rocprim17ROCPRIM_400000_NS6detail17trampoline_kernelINS0_13select_configILj256ELj13ELNS0_17block_load_methodE3ELS4_3ELS4_3ELNS0_20block_scan_algorithmE0ELj4294967295EEENS1_25partition_config_selectorILNS1_17partition_subalgoE3EjNS0_10empty_typeEbEEZZNS1_14partition_implILS8_3ELb0ES6_jNS0_17counting_iteratorIjlEEPS9_SE_NS0_5tupleIJPjSE_EEENSF_IJSE_SE_EEES9_SG_JZNS1_25segmented_radix_sort_implINS0_14default_configELb1EPKiPiPKlPlN2at6native12_GLOBAL__N_18offset_tEEE10hipError_tPvRmT1_PNSt15iterator_traitsISY_E10value_typeET2_T3_PNSZ_IS14_E10value_typeET4_jRbjT5_S1A_jjP12ihipStream_tbEUljE_EEESV_SW_SX_S14_S18_S1A_T6_T7_T9_mT8_S1C_bDpT10_ENKUlT_T0_E_clISt17integral_constantIbLb1EES1P_EEDaS1K_S1L_EUlS1K_E_NS1_11comp_targetILNS1_3genE0ELNS1_11target_archE4294967295ELNS1_3gpuE0ELNS1_3repE0EEENS1_30default_config_static_selectorELNS0_4arch9wavefront6targetE1EEEvSY_
    .private_segment_fixed_size: 0
    .sgpr_count:     4
    .sgpr_spill_count: 0
    .symbol:         _ZN7rocprim17ROCPRIM_400000_NS6detail17trampoline_kernelINS0_13select_configILj256ELj13ELNS0_17block_load_methodE3ELS4_3ELS4_3ELNS0_20block_scan_algorithmE0ELj4294967295EEENS1_25partition_config_selectorILNS1_17partition_subalgoE3EjNS0_10empty_typeEbEEZZNS1_14partition_implILS8_3ELb0ES6_jNS0_17counting_iteratorIjlEEPS9_SE_NS0_5tupleIJPjSE_EEENSF_IJSE_SE_EEES9_SG_JZNS1_25segmented_radix_sort_implINS0_14default_configELb1EPKiPiPKlPlN2at6native12_GLOBAL__N_18offset_tEEE10hipError_tPvRmT1_PNSt15iterator_traitsISY_E10value_typeET2_T3_PNSZ_IS14_E10value_typeET4_jRbjT5_S1A_jjP12ihipStream_tbEUljE_EEESV_SW_SX_S14_S18_S1A_T6_T7_T9_mT8_S1C_bDpT10_ENKUlT_T0_E_clISt17integral_constantIbLb1EES1P_EEDaS1K_S1L_EUlS1K_E_NS1_11comp_targetILNS1_3genE0ELNS1_11target_archE4294967295ELNS1_3gpuE0ELNS1_3repE0EEENS1_30default_config_static_selectorELNS0_4arch9wavefront6targetE1EEEvSY_.kd
    .uniform_work_group_size: 1
    .uses_dynamic_stack: false
    .vgpr_count:     0
    .vgpr_spill_count: 0
    .wavefront_size: 64
  - .agpr_count:     0
    .args:
      - .offset:         0
        .size:           152
        .value_kind:     by_value
    .group_segment_fixed_size: 0
    .kernarg_segment_align: 8
    .kernarg_segment_size: 152
    .language:       OpenCL C
    .language_version:
      - 2
      - 0
    .max_flat_workgroup_size: 256
    .name:           _ZN7rocprim17ROCPRIM_400000_NS6detail17trampoline_kernelINS0_13select_configILj256ELj13ELNS0_17block_load_methodE3ELS4_3ELS4_3ELNS0_20block_scan_algorithmE0ELj4294967295EEENS1_25partition_config_selectorILNS1_17partition_subalgoE3EjNS0_10empty_typeEbEEZZNS1_14partition_implILS8_3ELb0ES6_jNS0_17counting_iteratorIjlEEPS9_SE_NS0_5tupleIJPjSE_EEENSF_IJSE_SE_EEES9_SG_JZNS1_25segmented_radix_sort_implINS0_14default_configELb1EPKiPiPKlPlN2at6native12_GLOBAL__N_18offset_tEEE10hipError_tPvRmT1_PNSt15iterator_traitsISY_E10value_typeET2_T3_PNSZ_IS14_E10value_typeET4_jRbjT5_S1A_jjP12ihipStream_tbEUljE_EEESV_SW_SX_S14_S18_S1A_T6_T7_T9_mT8_S1C_bDpT10_ENKUlT_T0_E_clISt17integral_constantIbLb1EES1P_EEDaS1K_S1L_EUlS1K_E_NS1_11comp_targetILNS1_3genE5ELNS1_11target_archE942ELNS1_3gpuE9ELNS1_3repE0EEENS1_30default_config_static_selectorELNS0_4arch9wavefront6targetE1EEEvSY_
    .private_segment_fixed_size: 0
    .sgpr_count:     4
    .sgpr_spill_count: 0
    .symbol:         _ZN7rocprim17ROCPRIM_400000_NS6detail17trampoline_kernelINS0_13select_configILj256ELj13ELNS0_17block_load_methodE3ELS4_3ELS4_3ELNS0_20block_scan_algorithmE0ELj4294967295EEENS1_25partition_config_selectorILNS1_17partition_subalgoE3EjNS0_10empty_typeEbEEZZNS1_14partition_implILS8_3ELb0ES6_jNS0_17counting_iteratorIjlEEPS9_SE_NS0_5tupleIJPjSE_EEENSF_IJSE_SE_EEES9_SG_JZNS1_25segmented_radix_sort_implINS0_14default_configELb1EPKiPiPKlPlN2at6native12_GLOBAL__N_18offset_tEEE10hipError_tPvRmT1_PNSt15iterator_traitsISY_E10value_typeET2_T3_PNSZ_IS14_E10value_typeET4_jRbjT5_S1A_jjP12ihipStream_tbEUljE_EEESV_SW_SX_S14_S18_S1A_T6_T7_T9_mT8_S1C_bDpT10_ENKUlT_T0_E_clISt17integral_constantIbLb1EES1P_EEDaS1K_S1L_EUlS1K_E_NS1_11comp_targetILNS1_3genE5ELNS1_11target_archE942ELNS1_3gpuE9ELNS1_3repE0EEENS1_30default_config_static_selectorELNS0_4arch9wavefront6targetE1EEEvSY_.kd
    .uniform_work_group_size: 1
    .uses_dynamic_stack: false
    .vgpr_count:     0
    .vgpr_spill_count: 0
    .wavefront_size: 64
  - .agpr_count:     0
    .args:
      - .offset:         0
        .size:           152
        .value_kind:     by_value
    .group_segment_fixed_size: 13324
    .kernarg_segment_align: 8
    .kernarg_segment_size: 152
    .language:       OpenCL C
    .language_version:
      - 2
      - 0
    .max_flat_workgroup_size: 256
    .name:           _ZN7rocprim17ROCPRIM_400000_NS6detail17trampoline_kernelINS0_13select_configILj256ELj13ELNS0_17block_load_methodE3ELS4_3ELS4_3ELNS0_20block_scan_algorithmE0ELj4294967295EEENS1_25partition_config_selectorILNS1_17partition_subalgoE3EjNS0_10empty_typeEbEEZZNS1_14partition_implILS8_3ELb0ES6_jNS0_17counting_iteratorIjlEEPS9_SE_NS0_5tupleIJPjSE_EEENSF_IJSE_SE_EEES9_SG_JZNS1_25segmented_radix_sort_implINS0_14default_configELb1EPKiPiPKlPlN2at6native12_GLOBAL__N_18offset_tEEE10hipError_tPvRmT1_PNSt15iterator_traitsISY_E10value_typeET2_T3_PNSZ_IS14_E10value_typeET4_jRbjT5_S1A_jjP12ihipStream_tbEUljE_EEESV_SW_SX_S14_S18_S1A_T6_T7_T9_mT8_S1C_bDpT10_ENKUlT_T0_E_clISt17integral_constantIbLb1EES1P_EEDaS1K_S1L_EUlS1K_E_NS1_11comp_targetILNS1_3genE4ELNS1_11target_archE910ELNS1_3gpuE8ELNS1_3repE0EEENS1_30default_config_static_selectorELNS0_4arch9wavefront6targetE1EEEvSY_
    .private_segment_fixed_size: 0
    .sgpr_count:     48
    .sgpr_spill_count: 0
    .symbol:         _ZN7rocprim17ROCPRIM_400000_NS6detail17trampoline_kernelINS0_13select_configILj256ELj13ELNS0_17block_load_methodE3ELS4_3ELS4_3ELNS0_20block_scan_algorithmE0ELj4294967295EEENS1_25partition_config_selectorILNS1_17partition_subalgoE3EjNS0_10empty_typeEbEEZZNS1_14partition_implILS8_3ELb0ES6_jNS0_17counting_iteratorIjlEEPS9_SE_NS0_5tupleIJPjSE_EEENSF_IJSE_SE_EEES9_SG_JZNS1_25segmented_radix_sort_implINS0_14default_configELb1EPKiPiPKlPlN2at6native12_GLOBAL__N_18offset_tEEE10hipError_tPvRmT1_PNSt15iterator_traitsISY_E10value_typeET2_T3_PNSZ_IS14_E10value_typeET4_jRbjT5_S1A_jjP12ihipStream_tbEUljE_EEESV_SW_SX_S14_S18_S1A_T6_T7_T9_mT8_S1C_bDpT10_ENKUlT_T0_E_clISt17integral_constantIbLb1EES1P_EEDaS1K_S1L_EUlS1K_E_NS1_11comp_targetILNS1_3genE4ELNS1_11target_archE910ELNS1_3gpuE8ELNS1_3repE0EEENS1_30default_config_static_selectorELNS0_4arch9wavefront6targetE1EEEvSY_.kd
    .uniform_work_group_size: 1
    .uses_dynamic_stack: false
    .vgpr_count:     64
    .vgpr_spill_count: 0
    .wavefront_size: 64
  - .agpr_count:     0
    .args:
      - .offset:         0
        .size:           152
        .value_kind:     by_value
    .group_segment_fixed_size: 0
    .kernarg_segment_align: 8
    .kernarg_segment_size: 152
    .language:       OpenCL C
    .language_version:
      - 2
      - 0
    .max_flat_workgroup_size: 256
    .name:           _ZN7rocprim17ROCPRIM_400000_NS6detail17trampoline_kernelINS0_13select_configILj256ELj13ELNS0_17block_load_methodE3ELS4_3ELS4_3ELNS0_20block_scan_algorithmE0ELj4294967295EEENS1_25partition_config_selectorILNS1_17partition_subalgoE3EjNS0_10empty_typeEbEEZZNS1_14partition_implILS8_3ELb0ES6_jNS0_17counting_iteratorIjlEEPS9_SE_NS0_5tupleIJPjSE_EEENSF_IJSE_SE_EEES9_SG_JZNS1_25segmented_radix_sort_implINS0_14default_configELb1EPKiPiPKlPlN2at6native12_GLOBAL__N_18offset_tEEE10hipError_tPvRmT1_PNSt15iterator_traitsISY_E10value_typeET2_T3_PNSZ_IS14_E10value_typeET4_jRbjT5_S1A_jjP12ihipStream_tbEUljE_EEESV_SW_SX_S14_S18_S1A_T6_T7_T9_mT8_S1C_bDpT10_ENKUlT_T0_E_clISt17integral_constantIbLb1EES1P_EEDaS1K_S1L_EUlS1K_E_NS1_11comp_targetILNS1_3genE3ELNS1_11target_archE908ELNS1_3gpuE7ELNS1_3repE0EEENS1_30default_config_static_selectorELNS0_4arch9wavefront6targetE1EEEvSY_
    .private_segment_fixed_size: 0
    .sgpr_count:     4
    .sgpr_spill_count: 0
    .symbol:         _ZN7rocprim17ROCPRIM_400000_NS6detail17trampoline_kernelINS0_13select_configILj256ELj13ELNS0_17block_load_methodE3ELS4_3ELS4_3ELNS0_20block_scan_algorithmE0ELj4294967295EEENS1_25partition_config_selectorILNS1_17partition_subalgoE3EjNS0_10empty_typeEbEEZZNS1_14partition_implILS8_3ELb0ES6_jNS0_17counting_iteratorIjlEEPS9_SE_NS0_5tupleIJPjSE_EEENSF_IJSE_SE_EEES9_SG_JZNS1_25segmented_radix_sort_implINS0_14default_configELb1EPKiPiPKlPlN2at6native12_GLOBAL__N_18offset_tEEE10hipError_tPvRmT1_PNSt15iterator_traitsISY_E10value_typeET2_T3_PNSZ_IS14_E10value_typeET4_jRbjT5_S1A_jjP12ihipStream_tbEUljE_EEESV_SW_SX_S14_S18_S1A_T6_T7_T9_mT8_S1C_bDpT10_ENKUlT_T0_E_clISt17integral_constantIbLb1EES1P_EEDaS1K_S1L_EUlS1K_E_NS1_11comp_targetILNS1_3genE3ELNS1_11target_archE908ELNS1_3gpuE7ELNS1_3repE0EEENS1_30default_config_static_selectorELNS0_4arch9wavefront6targetE1EEEvSY_.kd
    .uniform_work_group_size: 1
    .uses_dynamic_stack: false
    .vgpr_count:     0
    .vgpr_spill_count: 0
    .wavefront_size: 64
  - .agpr_count:     0
    .args:
      - .offset:         0
        .size:           152
        .value_kind:     by_value
    .group_segment_fixed_size: 0
    .kernarg_segment_align: 8
    .kernarg_segment_size: 152
    .language:       OpenCL C
    .language_version:
      - 2
      - 0
    .max_flat_workgroup_size: 256
    .name:           _ZN7rocprim17ROCPRIM_400000_NS6detail17trampoline_kernelINS0_13select_configILj256ELj13ELNS0_17block_load_methodE3ELS4_3ELS4_3ELNS0_20block_scan_algorithmE0ELj4294967295EEENS1_25partition_config_selectorILNS1_17partition_subalgoE3EjNS0_10empty_typeEbEEZZNS1_14partition_implILS8_3ELb0ES6_jNS0_17counting_iteratorIjlEEPS9_SE_NS0_5tupleIJPjSE_EEENSF_IJSE_SE_EEES9_SG_JZNS1_25segmented_radix_sort_implINS0_14default_configELb1EPKiPiPKlPlN2at6native12_GLOBAL__N_18offset_tEEE10hipError_tPvRmT1_PNSt15iterator_traitsISY_E10value_typeET2_T3_PNSZ_IS14_E10value_typeET4_jRbjT5_S1A_jjP12ihipStream_tbEUljE_EEESV_SW_SX_S14_S18_S1A_T6_T7_T9_mT8_S1C_bDpT10_ENKUlT_T0_E_clISt17integral_constantIbLb1EES1P_EEDaS1K_S1L_EUlS1K_E_NS1_11comp_targetILNS1_3genE2ELNS1_11target_archE906ELNS1_3gpuE6ELNS1_3repE0EEENS1_30default_config_static_selectorELNS0_4arch9wavefront6targetE1EEEvSY_
    .private_segment_fixed_size: 0
    .sgpr_count:     4
    .sgpr_spill_count: 0
    .symbol:         _ZN7rocprim17ROCPRIM_400000_NS6detail17trampoline_kernelINS0_13select_configILj256ELj13ELNS0_17block_load_methodE3ELS4_3ELS4_3ELNS0_20block_scan_algorithmE0ELj4294967295EEENS1_25partition_config_selectorILNS1_17partition_subalgoE3EjNS0_10empty_typeEbEEZZNS1_14partition_implILS8_3ELb0ES6_jNS0_17counting_iteratorIjlEEPS9_SE_NS0_5tupleIJPjSE_EEENSF_IJSE_SE_EEES9_SG_JZNS1_25segmented_radix_sort_implINS0_14default_configELb1EPKiPiPKlPlN2at6native12_GLOBAL__N_18offset_tEEE10hipError_tPvRmT1_PNSt15iterator_traitsISY_E10value_typeET2_T3_PNSZ_IS14_E10value_typeET4_jRbjT5_S1A_jjP12ihipStream_tbEUljE_EEESV_SW_SX_S14_S18_S1A_T6_T7_T9_mT8_S1C_bDpT10_ENKUlT_T0_E_clISt17integral_constantIbLb1EES1P_EEDaS1K_S1L_EUlS1K_E_NS1_11comp_targetILNS1_3genE2ELNS1_11target_archE906ELNS1_3gpuE6ELNS1_3repE0EEENS1_30default_config_static_selectorELNS0_4arch9wavefront6targetE1EEEvSY_.kd
    .uniform_work_group_size: 1
    .uses_dynamic_stack: false
    .vgpr_count:     0
    .vgpr_spill_count: 0
    .wavefront_size: 64
  - .agpr_count:     0
    .args:
      - .offset:         0
        .size:           152
        .value_kind:     by_value
    .group_segment_fixed_size: 0
    .kernarg_segment_align: 8
    .kernarg_segment_size: 152
    .language:       OpenCL C
    .language_version:
      - 2
      - 0
    .max_flat_workgroup_size: 256
    .name:           _ZN7rocprim17ROCPRIM_400000_NS6detail17trampoline_kernelINS0_13select_configILj256ELj13ELNS0_17block_load_methodE3ELS4_3ELS4_3ELNS0_20block_scan_algorithmE0ELj4294967295EEENS1_25partition_config_selectorILNS1_17partition_subalgoE3EjNS0_10empty_typeEbEEZZNS1_14partition_implILS8_3ELb0ES6_jNS0_17counting_iteratorIjlEEPS9_SE_NS0_5tupleIJPjSE_EEENSF_IJSE_SE_EEES9_SG_JZNS1_25segmented_radix_sort_implINS0_14default_configELb1EPKiPiPKlPlN2at6native12_GLOBAL__N_18offset_tEEE10hipError_tPvRmT1_PNSt15iterator_traitsISY_E10value_typeET2_T3_PNSZ_IS14_E10value_typeET4_jRbjT5_S1A_jjP12ihipStream_tbEUljE_EEESV_SW_SX_S14_S18_S1A_T6_T7_T9_mT8_S1C_bDpT10_ENKUlT_T0_E_clISt17integral_constantIbLb1EES1P_EEDaS1K_S1L_EUlS1K_E_NS1_11comp_targetILNS1_3genE10ELNS1_11target_archE1200ELNS1_3gpuE4ELNS1_3repE0EEENS1_30default_config_static_selectorELNS0_4arch9wavefront6targetE1EEEvSY_
    .private_segment_fixed_size: 0
    .sgpr_count:     4
    .sgpr_spill_count: 0
    .symbol:         _ZN7rocprim17ROCPRIM_400000_NS6detail17trampoline_kernelINS0_13select_configILj256ELj13ELNS0_17block_load_methodE3ELS4_3ELS4_3ELNS0_20block_scan_algorithmE0ELj4294967295EEENS1_25partition_config_selectorILNS1_17partition_subalgoE3EjNS0_10empty_typeEbEEZZNS1_14partition_implILS8_3ELb0ES6_jNS0_17counting_iteratorIjlEEPS9_SE_NS0_5tupleIJPjSE_EEENSF_IJSE_SE_EEES9_SG_JZNS1_25segmented_radix_sort_implINS0_14default_configELb1EPKiPiPKlPlN2at6native12_GLOBAL__N_18offset_tEEE10hipError_tPvRmT1_PNSt15iterator_traitsISY_E10value_typeET2_T3_PNSZ_IS14_E10value_typeET4_jRbjT5_S1A_jjP12ihipStream_tbEUljE_EEESV_SW_SX_S14_S18_S1A_T6_T7_T9_mT8_S1C_bDpT10_ENKUlT_T0_E_clISt17integral_constantIbLb1EES1P_EEDaS1K_S1L_EUlS1K_E_NS1_11comp_targetILNS1_3genE10ELNS1_11target_archE1200ELNS1_3gpuE4ELNS1_3repE0EEENS1_30default_config_static_selectorELNS0_4arch9wavefront6targetE1EEEvSY_.kd
    .uniform_work_group_size: 1
    .uses_dynamic_stack: false
    .vgpr_count:     0
    .vgpr_spill_count: 0
    .wavefront_size: 64
  - .agpr_count:     0
    .args:
      - .offset:         0
        .size:           152
        .value_kind:     by_value
    .group_segment_fixed_size: 0
    .kernarg_segment_align: 8
    .kernarg_segment_size: 152
    .language:       OpenCL C
    .language_version:
      - 2
      - 0
    .max_flat_workgroup_size: 256
    .name:           _ZN7rocprim17ROCPRIM_400000_NS6detail17trampoline_kernelINS0_13select_configILj256ELj13ELNS0_17block_load_methodE3ELS4_3ELS4_3ELNS0_20block_scan_algorithmE0ELj4294967295EEENS1_25partition_config_selectorILNS1_17partition_subalgoE3EjNS0_10empty_typeEbEEZZNS1_14partition_implILS8_3ELb0ES6_jNS0_17counting_iteratorIjlEEPS9_SE_NS0_5tupleIJPjSE_EEENSF_IJSE_SE_EEES9_SG_JZNS1_25segmented_radix_sort_implINS0_14default_configELb1EPKiPiPKlPlN2at6native12_GLOBAL__N_18offset_tEEE10hipError_tPvRmT1_PNSt15iterator_traitsISY_E10value_typeET2_T3_PNSZ_IS14_E10value_typeET4_jRbjT5_S1A_jjP12ihipStream_tbEUljE_EEESV_SW_SX_S14_S18_S1A_T6_T7_T9_mT8_S1C_bDpT10_ENKUlT_T0_E_clISt17integral_constantIbLb1EES1P_EEDaS1K_S1L_EUlS1K_E_NS1_11comp_targetILNS1_3genE9ELNS1_11target_archE1100ELNS1_3gpuE3ELNS1_3repE0EEENS1_30default_config_static_selectorELNS0_4arch9wavefront6targetE1EEEvSY_
    .private_segment_fixed_size: 0
    .sgpr_count:     4
    .sgpr_spill_count: 0
    .symbol:         _ZN7rocprim17ROCPRIM_400000_NS6detail17trampoline_kernelINS0_13select_configILj256ELj13ELNS0_17block_load_methodE3ELS4_3ELS4_3ELNS0_20block_scan_algorithmE0ELj4294967295EEENS1_25partition_config_selectorILNS1_17partition_subalgoE3EjNS0_10empty_typeEbEEZZNS1_14partition_implILS8_3ELb0ES6_jNS0_17counting_iteratorIjlEEPS9_SE_NS0_5tupleIJPjSE_EEENSF_IJSE_SE_EEES9_SG_JZNS1_25segmented_radix_sort_implINS0_14default_configELb1EPKiPiPKlPlN2at6native12_GLOBAL__N_18offset_tEEE10hipError_tPvRmT1_PNSt15iterator_traitsISY_E10value_typeET2_T3_PNSZ_IS14_E10value_typeET4_jRbjT5_S1A_jjP12ihipStream_tbEUljE_EEESV_SW_SX_S14_S18_S1A_T6_T7_T9_mT8_S1C_bDpT10_ENKUlT_T0_E_clISt17integral_constantIbLb1EES1P_EEDaS1K_S1L_EUlS1K_E_NS1_11comp_targetILNS1_3genE9ELNS1_11target_archE1100ELNS1_3gpuE3ELNS1_3repE0EEENS1_30default_config_static_selectorELNS0_4arch9wavefront6targetE1EEEvSY_.kd
    .uniform_work_group_size: 1
    .uses_dynamic_stack: false
    .vgpr_count:     0
    .vgpr_spill_count: 0
    .wavefront_size: 64
  - .agpr_count:     0
    .args:
      - .offset:         0
        .size:           152
        .value_kind:     by_value
    .group_segment_fixed_size: 0
    .kernarg_segment_align: 8
    .kernarg_segment_size: 152
    .language:       OpenCL C
    .language_version:
      - 2
      - 0
    .max_flat_workgroup_size: 256
    .name:           _ZN7rocprim17ROCPRIM_400000_NS6detail17trampoline_kernelINS0_13select_configILj256ELj13ELNS0_17block_load_methodE3ELS4_3ELS4_3ELNS0_20block_scan_algorithmE0ELj4294967295EEENS1_25partition_config_selectorILNS1_17partition_subalgoE3EjNS0_10empty_typeEbEEZZNS1_14partition_implILS8_3ELb0ES6_jNS0_17counting_iteratorIjlEEPS9_SE_NS0_5tupleIJPjSE_EEENSF_IJSE_SE_EEES9_SG_JZNS1_25segmented_radix_sort_implINS0_14default_configELb1EPKiPiPKlPlN2at6native12_GLOBAL__N_18offset_tEEE10hipError_tPvRmT1_PNSt15iterator_traitsISY_E10value_typeET2_T3_PNSZ_IS14_E10value_typeET4_jRbjT5_S1A_jjP12ihipStream_tbEUljE_EEESV_SW_SX_S14_S18_S1A_T6_T7_T9_mT8_S1C_bDpT10_ENKUlT_T0_E_clISt17integral_constantIbLb1EES1P_EEDaS1K_S1L_EUlS1K_E_NS1_11comp_targetILNS1_3genE8ELNS1_11target_archE1030ELNS1_3gpuE2ELNS1_3repE0EEENS1_30default_config_static_selectorELNS0_4arch9wavefront6targetE1EEEvSY_
    .private_segment_fixed_size: 0
    .sgpr_count:     4
    .sgpr_spill_count: 0
    .symbol:         _ZN7rocprim17ROCPRIM_400000_NS6detail17trampoline_kernelINS0_13select_configILj256ELj13ELNS0_17block_load_methodE3ELS4_3ELS4_3ELNS0_20block_scan_algorithmE0ELj4294967295EEENS1_25partition_config_selectorILNS1_17partition_subalgoE3EjNS0_10empty_typeEbEEZZNS1_14partition_implILS8_3ELb0ES6_jNS0_17counting_iteratorIjlEEPS9_SE_NS0_5tupleIJPjSE_EEENSF_IJSE_SE_EEES9_SG_JZNS1_25segmented_radix_sort_implINS0_14default_configELb1EPKiPiPKlPlN2at6native12_GLOBAL__N_18offset_tEEE10hipError_tPvRmT1_PNSt15iterator_traitsISY_E10value_typeET2_T3_PNSZ_IS14_E10value_typeET4_jRbjT5_S1A_jjP12ihipStream_tbEUljE_EEESV_SW_SX_S14_S18_S1A_T6_T7_T9_mT8_S1C_bDpT10_ENKUlT_T0_E_clISt17integral_constantIbLb1EES1P_EEDaS1K_S1L_EUlS1K_E_NS1_11comp_targetILNS1_3genE8ELNS1_11target_archE1030ELNS1_3gpuE2ELNS1_3repE0EEENS1_30default_config_static_selectorELNS0_4arch9wavefront6targetE1EEEvSY_.kd
    .uniform_work_group_size: 1
    .uses_dynamic_stack: false
    .vgpr_count:     0
    .vgpr_spill_count: 0
    .wavefront_size: 64
  - .agpr_count:     0
    .args:
      - .offset:         0
        .size:           144
        .value_kind:     by_value
    .group_segment_fixed_size: 0
    .kernarg_segment_align: 8
    .kernarg_segment_size: 144
    .language:       OpenCL C
    .language_version:
      - 2
      - 0
    .max_flat_workgroup_size: 256
    .name:           _ZN7rocprim17ROCPRIM_400000_NS6detail17trampoline_kernelINS0_13select_configILj256ELj13ELNS0_17block_load_methodE3ELS4_3ELS4_3ELNS0_20block_scan_algorithmE0ELj4294967295EEENS1_25partition_config_selectorILNS1_17partition_subalgoE3EjNS0_10empty_typeEbEEZZNS1_14partition_implILS8_3ELb0ES6_jNS0_17counting_iteratorIjlEEPS9_SE_NS0_5tupleIJPjSE_EEENSF_IJSE_SE_EEES9_SG_JZNS1_25segmented_radix_sort_implINS0_14default_configELb1EPKiPiPKlPlN2at6native12_GLOBAL__N_18offset_tEEE10hipError_tPvRmT1_PNSt15iterator_traitsISY_E10value_typeET2_T3_PNSZ_IS14_E10value_typeET4_jRbjT5_S1A_jjP12ihipStream_tbEUljE_EEESV_SW_SX_S14_S18_S1A_T6_T7_T9_mT8_S1C_bDpT10_ENKUlT_T0_E_clISt17integral_constantIbLb1EES1O_IbLb0EEEEDaS1K_S1L_EUlS1K_E_NS1_11comp_targetILNS1_3genE0ELNS1_11target_archE4294967295ELNS1_3gpuE0ELNS1_3repE0EEENS1_30default_config_static_selectorELNS0_4arch9wavefront6targetE1EEEvSY_
    .private_segment_fixed_size: 0
    .sgpr_count:     4
    .sgpr_spill_count: 0
    .symbol:         _ZN7rocprim17ROCPRIM_400000_NS6detail17trampoline_kernelINS0_13select_configILj256ELj13ELNS0_17block_load_methodE3ELS4_3ELS4_3ELNS0_20block_scan_algorithmE0ELj4294967295EEENS1_25partition_config_selectorILNS1_17partition_subalgoE3EjNS0_10empty_typeEbEEZZNS1_14partition_implILS8_3ELb0ES6_jNS0_17counting_iteratorIjlEEPS9_SE_NS0_5tupleIJPjSE_EEENSF_IJSE_SE_EEES9_SG_JZNS1_25segmented_radix_sort_implINS0_14default_configELb1EPKiPiPKlPlN2at6native12_GLOBAL__N_18offset_tEEE10hipError_tPvRmT1_PNSt15iterator_traitsISY_E10value_typeET2_T3_PNSZ_IS14_E10value_typeET4_jRbjT5_S1A_jjP12ihipStream_tbEUljE_EEESV_SW_SX_S14_S18_S1A_T6_T7_T9_mT8_S1C_bDpT10_ENKUlT_T0_E_clISt17integral_constantIbLb1EES1O_IbLb0EEEEDaS1K_S1L_EUlS1K_E_NS1_11comp_targetILNS1_3genE0ELNS1_11target_archE4294967295ELNS1_3gpuE0ELNS1_3repE0EEENS1_30default_config_static_selectorELNS0_4arch9wavefront6targetE1EEEvSY_.kd
    .uniform_work_group_size: 1
    .uses_dynamic_stack: false
    .vgpr_count:     0
    .vgpr_spill_count: 0
    .wavefront_size: 64
  - .agpr_count:     0
    .args:
      - .offset:         0
        .size:           144
        .value_kind:     by_value
    .group_segment_fixed_size: 0
    .kernarg_segment_align: 8
    .kernarg_segment_size: 144
    .language:       OpenCL C
    .language_version:
      - 2
      - 0
    .max_flat_workgroup_size: 256
    .name:           _ZN7rocprim17ROCPRIM_400000_NS6detail17trampoline_kernelINS0_13select_configILj256ELj13ELNS0_17block_load_methodE3ELS4_3ELS4_3ELNS0_20block_scan_algorithmE0ELj4294967295EEENS1_25partition_config_selectorILNS1_17partition_subalgoE3EjNS0_10empty_typeEbEEZZNS1_14partition_implILS8_3ELb0ES6_jNS0_17counting_iteratorIjlEEPS9_SE_NS0_5tupleIJPjSE_EEENSF_IJSE_SE_EEES9_SG_JZNS1_25segmented_radix_sort_implINS0_14default_configELb1EPKiPiPKlPlN2at6native12_GLOBAL__N_18offset_tEEE10hipError_tPvRmT1_PNSt15iterator_traitsISY_E10value_typeET2_T3_PNSZ_IS14_E10value_typeET4_jRbjT5_S1A_jjP12ihipStream_tbEUljE_EEESV_SW_SX_S14_S18_S1A_T6_T7_T9_mT8_S1C_bDpT10_ENKUlT_T0_E_clISt17integral_constantIbLb1EES1O_IbLb0EEEEDaS1K_S1L_EUlS1K_E_NS1_11comp_targetILNS1_3genE5ELNS1_11target_archE942ELNS1_3gpuE9ELNS1_3repE0EEENS1_30default_config_static_selectorELNS0_4arch9wavefront6targetE1EEEvSY_
    .private_segment_fixed_size: 0
    .sgpr_count:     4
    .sgpr_spill_count: 0
    .symbol:         _ZN7rocprim17ROCPRIM_400000_NS6detail17trampoline_kernelINS0_13select_configILj256ELj13ELNS0_17block_load_methodE3ELS4_3ELS4_3ELNS0_20block_scan_algorithmE0ELj4294967295EEENS1_25partition_config_selectorILNS1_17partition_subalgoE3EjNS0_10empty_typeEbEEZZNS1_14partition_implILS8_3ELb0ES6_jNS0_17counting_iteratorIjlEEPS9_SE_NS0_5tupleIJPjSE_EEENSF_IJSE_SE_EEES9_SG_JZNS1_25segmented_radix_sort_implINS0_14default_configELb1EPKiPiPKlPlN2at6native12_GLOBAL__N_18offset_tEEE10hipError_tPvRmT1_PNSt15iterator_traitsISY_E10value_typeET2_T3_PNSZ_IS14_E10value_typeET4_jRbjT5_S1A_jjP12ihipStream_tbEUljE_EEESV_SW_SX_S14_S18_S1A_T6_T7_T9_mT8_S1C_bDpT10_ENKUlT_T0_E_clISt17integral_constantIbLb1EES1O_IbLb0EEEEDaS1K_S1L_EUlS1K_E_NS1_11comp_targetILNS1_3genE5ELNS1_11target_archE942ELNS1_3gpuE9ELNS1_3repE0EEENS1_30default_config_static_selectorELNS0_4arch9wavefront6targetE1EEEvSY_.kd
    .uniform_work_group_size: 1
    .uses_dynamic_stack: false
    .vgpr_count:     0
    .vgpr_spill_count: 0
    .wavefront_size: 64
  - .agpr_count:     0
    .args:
      - .offset:         0
        .size:           144
        .value_kind:     by_value
    .group_segment_fixed_size: 13324
    .kernarg_segment_align: 8
    .kernarg_segment_size: 144
    .language:       OpenCL C
    .language_version:
      - 2
      - 0
    .max_flat_workgroup_size: 256
    .name:           _ZN7rocprim17ROCPRIM_400000_NS6detail17trampoline_kernelINS0_13select_configILj256ELj13ELNS0_17block_load_methodE3ELS4_3ELS4_3ELNS0_20block_scan_algorithmE0ELj4294967295EEENS1_25partition_config_selectorILNS1_17partition_subalgoE3EjNS0_10empty_typeEbEEZZNS1_14partition_implILS8_3ELb0ES6_jNS0_17counting_iteratorIjlEEPS9_SE_NS0_5tupleIJPjSE_EEENSF_IJSE_SE_EEES9_SG_JZNS1_25segmented_radix_sort_implINS0_14default_configELb1EPKiPiPKlPlN2at6native12_GLOBAL__N_18offset_tEEE10hipError_tPvRmT1_PNSt15iterator_traitsISY_E10value_typeET2_T3_PNSZ_IS14_E10value_typeET4_jRbjT5_S1A_jjP12ihipStream_tbEUljE_EEESV_SW_SX_S14_S18_S1A_T6_T7_T9_mT8_S1C_bDpT10_ENKUlT_T0_E_clISt17integral_constantIbLb1EES1O_IbLb0EEEEDaS1K_S1L_EUlS1K_E_NS1_11comp_targetILNS1_3genE4ELNS1_11target_archE910ELNS1_3gpuE8ELNS1_3repE0EEENS1_30default_config_static_selectorELNS0_4arch9wavefront6targetE1EEEvSY_
    .private_segment_fixed_size: 0
    .sgpr_count:     50
    .sgpr_spill_count: 0
    .symbol:         _ZN7rocprim17ROCPRIM_400000_NS6detail17trampoline_kernelINS0_13select_configILj256ELj13ELNS0_17block_load_methodE3ELS4_3ELS4_3ELNS0_20block_scan_algorithmE0ELj4294967295EEENS1_25partition_config_selectorILNS1_17partition_subalgoE3EjNS0_10empty_typeEbEEZZNS1_14partition_implILS8_3ELb0ES6_jNS0_17counting_iteratorIjlEEPS9_SE_NS0_5tupleIJPjSE_EEENSF_IJSE_SE_EEES9_SG_JZNS1_25segmented_radix_sort_implINS0_14default_configELb1EPKiPiPKlPlN2at6native12_GLOBAL__N_18offset_tEEE10hipError_tPvRmT1_PNSt15iterator_traitsISY_E10value_typeET2_T3_PNSZ_IS14_E10value_typeET4_jRbjT5_S1A_jjP12ihipStream_tbEUljE_EEESV_SW_SX_S14_S18_S1A_T6_T7_T9_mT8_S1C_bDpT10_ENKUlT_T0_E_clISt17integral_constantIbLb1EES1O_IbLb0EEEEDaS1K_S1L_EUlS1K_E_NS1_11comp_targetILNS1_3genE4ELNS1_11target_archE910ELNS1_3gpuE8ELNS1_3repE0EEENS1_30default_config_static_selectorELNS0_4arch9wavefront6targetE1EEEvSY_.kd
    .uniform_work_group_size: 1
    .uses_dynamic_stack: false
    .vgpr_count:     61
    .vgpr_spill_count: 0
    .wavefront_size: 64
  - .agpr_count:     0
    .args:
      - .offset:         0
        .size:           144
        .value_kind:     by_value
    .group_segment_fixed_size: 0
    .kernarg_segment_align: 8
    .kernarg_segment_size: 144
    .language:       OpenCL C
    .language_version:
      - 2
      - 0
    .max_flat_workgroup_size: 256
    .name:           _ZN7rocprim17ROCPRIM_400000_NS6detail17trampoline_kernelINS0_13select_configILj256ELj13ELNS0_17block_load_methodE3ELS4_3ELS4_3ELNS0_20block_scan_algorithmE0ELj4294967295EEENS1_25partition_config_selectorILNS1_17partition_subalgoE3EjNS0_10empty_typeEbEEZZNS1_14partition_implILS8_3ELb0ES6_jNS0_17counting_iteratorIjlEEPS9_SE_NS0_5tupleIJPjSE_EEENSF_IJSE_SE_EEES9_SG_JZNS1_25segmented_radix_sort_implINS0_14default_configELb1EPKiPiPKlPlN2at6native12_GLOBAL__N_18offset_tEEE10hipError_tPvRmT1_PNSt15iterator_traitsISY_E10value_typeET2_T3_PNSZ_IS14_E10value_typeET4_jRbjT5_S1A_jjP12ihipStream_tbEUljE_EEESV_SW_SX_S14_S18_S1A_T6_T7_T9_mT8_S1C_bDpT10_ENKUlT_T0_E_clISt17integral_constantIbLb1EES1O_IbLb0EEEEDaS1K_S1L_EUlS1K_E_NS1_11comp_targetILNS1_3genE3ELNS1_11target_archE908ELNS1_3gpuE7ELNS1_3repE0EEENS1_30default_config_static_selectorELNS0_4arch9wavefront6targetE1EEEvSY_
    .private_segment_fixed_size: 0
    .sgpr_count:     4
    .sgpr_spill_count: 0
    .symbol:         _ZN7rocprim17ROCPRIM_400000_NS6detail17trampoline_kernelINS0_13select_configILj256ELj13ELNS0_17block_load_methodE3ELS4_3ELS4_3ELNS0_20block_scan_algorithmE0ELj4294967295EEENS1_25partition_config_selectorILNS1_17partition_subalgoE3EjNS0_10empty_typeEbEEZZNS1_14partition_implILS8_3ELb0ES6_jNS0_17counting_iteratorIjlEEPS9_SE_NS0_5tupleIJPjSE_EEENSF_IJSE_SE_EEES9_SG_JZNS1_25segmented_radix_sort_implINS0_14default_configELb1EPKiPiPKlPlN2at6native12_GLOBAL__N_18offset_tEEE10hipError_tPvRmT1_PNSt15iterator_traitsISY_E10value_typeET2_T3_PNSZ_IS14_E10value_typeET4_jRbjT5_S1A_jjP12ihipStream_tbEUljE_EEESV_SW_SX_S14_S18_S1A_T6_T7_T9_mT8_S1C_bDpT10_ENKUlT_T0_E_clISt17integral_constantIbLb1EES1O_IbLb0EEEEDaS1K_S1L_EUlS1K_E_NS1_11comp_targetILNS1_3genE3ELNS1_11target_archE908ELNS1_3gpuE7ELNS1_3repE0EEENS1_30default_config_static_selectorELNS0_4arch9wavefront6targetE1EEEvSY_.kd
    .uniform_work_group_size: 1
    .uses_dynamic_stack: false
    .vgpr_count:     0
    .vgpr_spill_count: 0
    .wavefront_size: 64
  - .agpr_count:     0
    .args:
      - .offset:         0
        .size:           144
        .value_kind:     by_value
    .group_segment_fixed_size: 0
    .kernarg_segment_align: 8
    .kernarg_segment_size: 144
    .language:       OpenCL C
    .language_version:
      - 2
      - 0
    .max_flat_workgroup_size: 256
    .name:           _ZN7rocprim17ROCPRIM_400000_NS6detail17trampoline_kernelINS0_13select_configILj256ELj13ELNS0_17block_load_methodE3ELS4_3ELS4_3ELNS0_20block_scan_algorithmE0ELj4294967295EEENS1_25partition_config_selectorILNS1_17partition_subalgoE3EjNS0_10empty_typeEbEEZZNS1_14partition_implILS8_3ELb0ES6_jNS0_17counting_iteratorIjlEEPS9_SE_NS0_5tupleIJPjSE_EEENSF_IJSE_SE_EEES9_SG_JZNS1_25segmented_radix_sort_implINS0_14default_configELb1EPKiPiPKlPlN2at6native12_GLOBAL__N_18offset_tEEE10hipError_tPvRmT1_PNSt15iterator_traitsISY_E10value_typeET2_T3_PNSZ_IS14_E10value_typeET4_jRbjT5_S1A_jjP12ihipStream_tbEUljE_EEESV_SW_SX_S14_S18_S1A_T6_T7_T9_mT8_S1C_bDpT10_ENKUlT_T0_E_clISt17integral_constantIbLb1EES1O_IbLb0EEEEDaS1K_S1L_EUlS1K_E_NS1_11comp_targetILNS1_3genE2ELNS1_11target_archE906ELNS1_3gpuE6ELNS1_3repE0EEENS1_30default_config_static_selectorELNS0_4arch9wavefront6targetE1EEEvSY_
    .private_segment_fixed_size: 0
    .sgpr_count:     4
    .sgpr_spill_count: 0
    .symbol:         _ZN7rocprim17ROCPRIM_400000_NS6detail17trampoline_kernelINS0_13select_configILj256ELj13ELNS0_17block_load_methodE3ELS4_3ELS4_3ELNS0_20block_scan_algorithmE0ELj4294967295EEENS1_25partition_config_selectorILNS1_17partition_subalgoE3EjNS0_10empty_typeEbEEZZNS1_14partition_implILS8_3ELb0ES6_jNS0_17counting_iteratorIjlEEPS9_SE_NS0_5tupleIJPjSE_EEENSF_IJSE_SE_EEES9_SG_JZNS1_25segmented_radix_sort_implINS0_14default_configELb1EPKiPiPKlPlN2at6native12_GLOBAL__N_18offset_tEEE10hipError_tPvRmT1_PNSt15iterator_traitsISY_E10value_typeET2_T3_PNSZ_IS14_E10value_typeET4_jRbjT5_S1A_jjP12ihipStream_tbEUljE_EEESV_SW_SX_S14_S18_S1A_T6_T7_T9_mT8_S1C_bDpT10_ENKUlT_T0_E_clISt17integral_constantIbLb1EES1O_IbLb0EEEEDaS1K_S1L_EUlS1K_E_NS1_11comp_targetILNS1_3genE2ELNS1_11target_archE906ELNS1_3gpuE6ELNS1_3repE0EEENS1_30default_config_static_selectorELNS0_4arch9wavefront6targetE1EEEvSY_.kd
    .uniform_work_group_size: 1
    .uses_dynamic_stack: false
    .vgpr_count:     0
    .vgpr_spill_count: 0
    .wavefront_size: 64
  - .agpr_count:     0
    .args:
      - .offset:         0
        .size:           144
        .value_kind:     by_value
    .group_segment_fixed_size: 0
    .kernarg_segment_align: 8
    .kernarg_segment_size: 144
    .language:       OpenCL C
    .language_version:
      - 2
      - 0
    .max_flat_workgroup_size: 256
    .name:           _ZN7rocprim17ROCPRIM_400000_NS6detail17trampoline_kernelINS0_13select_configILj256ELj13ELNS0_17block_load_methodE3ELS4_3ELS4_3ELNS0_20block_scan_algorithmE0ELj4294967295EEENS1_25partition_config_selectorILNS1_17partition_subalgoE3EjNS0_10empty_typeEbEEZZNS1_14partition_implILS8_3ELb0ES6_jNS0_17counting_iteratorIjlEEPS9_SE_NS0_5tupleIJPjSE_EEENSF_IJSE_SE_EEES9_SG_JZNS1_25segmented_radix_sort_implINS0_14default_configELb1EPKiPiPKlPlN2at6native12_GLOBAL__N_18offset_tEEE10hipError_tPvRmT1_PNSt15iterator_traitsISY_E10value_typeET2_T3_PNSZ_IS14_E10value_typeET4_jRbjT5_S1A_jjP12ihipStream_tbEUljE_EEESV_SW_SX_S14_S18_S1A_T6_T7_T9_mT8_S1C_bDpT10_ENKUlT_T0_E_clISt17integral_constantIbLb1EES1O_IbLb0EEEEDaS1K_S1L_EUlS1K_E_NS1_11comp_targetILNS1_3genE10ELNS1_11target_archE1200ELNS1_3gpuE4ELNS1_3repE0EEENS1_30default_config_static_selectorELNS0_4arch9wavefront6targetE1EEEvSY_
    .private_segment_fixed_size: 0
    .sgpr_count:     4
    .sgpr_spill_count: 0
    .symbol:         _ZN7rocprim17ROCPRIM_400000_NS6detail17trampoline_kernelINS0_13select_configILj256ELj13ELNS0_17block_load_methodE3ELS4_3ELS4_3ELNS0_20block_scan_algorithmE0ELj4294967295EEENS1_25partition_config_selectorILNS1_17partition_subalgoE3EjNS0_10empty_typeEbEEZZNS1_14partition_implILS8_3ELb0ES6_jNS0_17counting_iteratorIjlEEPS9_SE_NS0_5tupleIJPjSE_EEENSF_IJSE_SE_EEES9_SG_JZNS1_25segmented_radix_sort_implINS0_14default_configELb1EPKiPiPKlPlN2at6native12_GLOBAL__N_18offset_tEEE10hipError_tPvRmT1_PNSt15iterator_traitsISY_E10value_typeET2_T3_PNSZ_IS14_E10value_typeET4_jRbjT5_S1A_jjP12ihipStream_tbEUljE_EEESV_SW_SX_S14_S18_S1A_T6_T7_T9_mT8_S1C_bDpT10_ENKUlT_T0_E_clISt17integral_constantIbLb1EES1O_IbLb0EEEEDaS1K_S1L_EUlS1K_E_NS1_11comp_targetILNS1_3genE10ELNS1_11target_archE1200ELNS1_3gpuE4ELNS1_3repE0EEENS1_30default_config_static_selectorELNS0_4arch9wavefront6targetE1EEEvSY_.kd
    .uniform_work_group_size: 1
    .uses_dynamic_stack: false
    .vgpr_count:     0
    .vgpr_spill_count: 0
    .wavefront_size: 64
  - .agpr_count:     0
    .args:
      - .offset:         0
        .size:           144
        .value_kind:     by_value
    .group_segment_fixed_size: 0
    .kernarg_segment_align: 8
    .kernarg_segment_size: 144
    .language:       OpenCL C
    .language_version:
      - 2
      - 0
    .max_flat_workgroup_size: 256
    .name:           _ZN7rocprim17ROCPRIM_400000_NS6detail17trampoline_kernelINS0_13select_configILj256ELj13ELNS0_17block_load_methodE3ELS4_3ELS4_3ELNS0_20block_scan_algorithmE0ELj4294967295EEENS1_25partition_config_selectorILNS1_17partition_subalgoE3EjNS0_10empty_typeEbEEZZNS1_14partition_implILS8_3ELb0ES6_jNS0_17counting_iteratorIjlEEPS9_SE_NS0_5tupleIJPjSE_EEENSF_IJSE_SE_EEES9_SG_JZNS1_25segmented_radix_sort_implINS0_14default_configELb1EPKiPiPKlPlN2at6native12_GLOBAL__N_18offset_tEEE10hipError_tPvRmT1_PNSt15iterator_traitsISY_E10value_typeET2_T3_PNSZ_IS14_E10value_typeET4_jRbjT5_S1A_jjP12ihipStream_tbEUljE_EEESV_SW_SX_S14_S18_S1A_T6_T7_T9_mT8_S1C_bDpT10_ENKUlT_T0_E_clISt17integral_constantIbLb1EES1O_IbLb0EEEEDaS1K_S1L_EUlS1K_E_NS1_11comp_targetILNS1_3genE9ELNS1_11target_archE1100ELNS1_3gpuE3ELNS1_3repE0EEENS1_30default_config_static_selectorELNS0_4arch9wavefront6targetE1EEEvSY_
    .private_segment_fixed_size: 0
    .sgpr_count:     4
    .sgpr_spill_count: 0
    .symbol:         _ZN7rocprim17ROCPRIM_400000_NS6detail17trampoline_kernelINS0_13select_configILj256ELj13ELNS0_17block_load_methodE3ELS4_3ELS4_3ELNS0_20block_scan_algorithmE0ELj4294967295EEENS1_25partition_config_selectorILNS1_17partition_subalgoE3EjNS0_10empty_typeEbEEZZNS1_14partition_implILS8_3ELb0ES6_jNS0_17counting_iteratorIjlEEPS9_SE_NS0_5tupleIJPjSE_EEENSF_IJSE_SE_EEES9_SG_JZNS1_25segmented_radix_sort_implINS0_14default_configELb1EPKiPiPKlPlN2at6native12_GLOBAL__N_18offset_tEEE10hipError_tPvRmT1_PNSt15iterator_traitsISY_E10value_typeET2_T3_PNSZ_IS14_E10value_typeET4_jRbjT5_S1A_jjP12ihipStream_tbEUljE_EEESV_SW_SX_S14_S18_S1A_T6_T7_T9_mT8_S1C_bDpT10_ENKUlT_T0_E_clISt17integral_constantIbLb1EES1O_IbLb0EEEEDaS1K_S1L_EUlS1K_E_NS1_11comp_targetILNS1_3genE9ELNS1_11target_archE1100ELNS1_3gpuE3ELNS1_3repE0EEENS1_30default_config_static_selectorELNS0_4arch9wavefront6targetE1EEEvSY_.kd
    .uniform_work_group_size: 1
    .uses_dynamic_stack: false
    .vgpr_count:     0
    .vgpr_spill_count: 0
    .wavefront_size: 64
  - .agpr_count:     0
    .args:
      - .offset:         0
        .size:           144
        .value_kind:     by_value
    .group_segment_fixed_size: 0
    .kernarg_segment_align: 8
    .kernarg_segment_size: 144
    .language:       OpenCL C
    .language_version:
      - 2
      - 0
    .max_flat_workgroup_size: 256
    .name:           _ZN7rocprim17ROCPRIM_400000_NS6detail17trampoline_kernelINS0_13select_configILj256ELj13ELNS0_17block_load_methodE3ELS4_3ELS4_3ELNS0_20block_scan_algorithmE0ELj4294967295EEENS1_25partition_config_selectorILNS1_17partition_subalgoE3EjNS0_10empty_typeEbEEZZNS1_14partition_implILS8_3ELb0ES6_jNS0_17counting_iteratorIjlEEPS9_SE_NS0_5tupleIJPjSE_EEENSF_IJSE_SE_EEES9_SG_JZNS1_25segmented_radix_sort_implINS0_14default_configELb1EPKiPiPKlPlN2at6native12_GLOBAL__N_18offset_tEEE10hipError_tPvRmT1_PNSt15iterator_traitsISY_E10value_typeET2_T3_PNSZ_IS14_E10value_typeET4_jRbjT5_S1A_jjP12ihipStream_tbEUljE_EEESV_SW_SX_S14_S18_S1A_T6_T7_T9_mT8_S1C_bDpT10_ENKUlT_T0_E_clISt17integral_constantIbLb1EES1O_IbLb0EEEEDaS1K_S1L_EUlS1K_E_NS1_11comp_targetILNS1_3genE8ELNS1_11target_archE1030ELNS1_3gpuE2ELNS1_3repE0EEENS1_30default_config_static_selectorELNS0_4arch9wavefront6targetE1EEEvSY_
    .private_segment_fixed_size: 0
    .sgpr_count:     4
    .sgpr_spill_count: 0
    .symbol:         _ZN7rocprim17ROCPRIM_400000_NS6detail17trampoline_kernelINS0_13select_configILj256ELj13ELNS0_17block_load_methodE3ELS4_3ELS4_3ELNS0_20block_scan_algorithmE0ELj4294967295EEENS1_25partition_config_selectorILNS1_17partition_subalgoE3EjNS0_10empty_typeEbEEZZNS1_14partition_implILS8_3ELb0ES6_jNS0_17counting_iteratorIjlEEPS9_SE_NS0_5tupleIJPjSE_EEENSF_IJSE_SE_EEES9_SG_JZNS1_25segmented_radix_sort_implINS0_14default_configELb1EPKiPiPKlPlN2at6native12_GLOBAL__N_18offset_tEEE10hipError_tPvRmT1_PNSt15iterator_traitsISY_E10value_typeET2_T3_PNSZ_IS14_E10value_typeET4_jRbjT5_S1A_jjP12ihipStream_tbEUljE_EEESV_SW_SX_S14_S18_S1A_T6_T7_T9_mT8_S1C_bDpT10_ENKUlT_T0_E_clISt17integral_constantIbLb1EES1O_IbLb0EEEEDaS1K_S1L_EUlS1K_E_NS1_11comp_targetILNS1_3genE8ELNS1_11target_archE1030ELNS1_3gpuE2ELNS1_3repE0EEENS1_30default_config_static_selectorELNS0_4arch9wavefront6targetE1EEEvSY_.kd
    .uniform_work_group_size: 1
    .uses_dynamic_stack: false
    .vgpr_count:     0
    .vgpr_spill_count: 0
    .wavefront_size: 64
  - .agpr_count:     0
    .args:
      - .offset:         0
        .size:           152
        .value_kind:     by_value
    .group_segment_fixed_size: 0
    .kernarg_segment_align: 8
    .kernarg_segment_size: 152
    .language:       OpenCL C
    .language_version:
      - 2
      - 0
    .max_flat_workgroup_size: 256
    .name:           _ZN7rocprim17ROCPRIM_400000_NS6detail17trampoline_kernelINS0_13select_configILj256ELj13ELNS0_17block_load_methodE3ELS4_3ELS4_3ELNS0_20block_scan_algorithmE0ELj4294967295EEENS1_25partition_config_selectorILNS1_17partition_subalgoE3EjNS0_10empty_typeEbEEZZNS1_14partition_implILS8_3ELb0ES6_jNS0_17counting_iteratorIjlEEPS9_SE_NS0_5tupleIJPjSE_EEENSF_IJSE_SE_EEES9_SG_JZNS1_25segmented_radix_sort_implINS0_14default_configELb1EPKiPiPKlPlN2at6native12_GLOBAL__N_18offset_tEEE10hipError_tPvRmT1_PNSt15iterator_traitsISY_E10value_typeET2_T3_PNSZ_IS14_E10value_typeET4_jRbjT5_S1A_jjP12ihipStream_tbEUljE_EEESV_SW_SX_S14_S18_S1A_T6_T7_T9_mT8_S1C_bDpT10_ENKUlT_T0_E_clISt17integral_constantIbLb0EES1O_IbLb1EEEEDaS1K_S1L_EUlS1K_E_NS1_11comp_targetILNS1_3genE0ELNS1_11target_archE4294967295ELNS1_3gpuE0ELNS1_3repE0EEENS1_30default_config_static_selectorELNS0_4arch9wavefront6targetE1EEEvSY_
    .private_segment_fixed_size: 0
    .sgpr_count:     4
    .sgpr_spill_count: 0
    .symbol:         _ZN7rocprim17ROCPRIM_400000_NS6detail17trampoline_kernelINS0_13select_configILj256ELj13ELNS0_17block_load_methodE3ELS4_3ELS4_3ELNS0_20block_scan_algorithmE0ELj4294967295EEENS1_25partition_config_selectorILNS1_17partition_subalgoE3EjNS0_10empty_typeEbEEZZNS1_14partition_implILS8_3ELb0ES6_jNS0_17counting_iteratorIjlEEPS9_SE_NS0_5tupleIJPjSE_EEENSF_IJSE_SE_EEES9_SG_JZNS1_25segmented_radix_sort_implINS0_14default_configELb1EPKiPiPKlPlN2at6native12_GLOBAL__N_18offset_tEEE10hipError_tPvRmT1_PNSt15iterator_traitsISY_E10value_typeET2_T3_PNSZ_IS14_E10value_typeET4_jRbjT5_S1A_jjP12ihipStream_tbEUljE_EEESV_SW_SX_S14_S18_S1A_T6_T7_T9_mT8_S1C_bDpT10_ENKUlT_T0_E_clISt17integral_constantIbLb0EES1O_IbLb1EEEEDaS1K_S1L_EUlS1K_E_NS1_11comp_targetILNS1_3genE0ELNS1_11target_archE4294967295ELNS1_3gpuE0ELNS1_3repE0EEENS1_30default_config_static_selectorELNS0_4arch9wavefront6targetE1EEEvSY_.kd
    .uniform_work_group_size: 1
    .uses_dynamic_stack: false
    .vgpr_count:     0
    .vgpr_spill_count: 0
    .wavefront_size: 64
  - .agpr_count:     0
    .args:
      - .offset:         0
        .size:           152
        .value_kind:     by_value
    .group_segment_fixed_size: 0
    .kernarg_segment_align: 8
    .kernarg_segment_size: 152
    .language:       OpenCL C
    .language_version:
      - 2
      - 0
    .max_flat_workgroup_size: 256
    .name:           _ZN7rocprim17ROCPRIM_400000_NS6detail17trampoline_kernelINS0_13select_configILj256ELj13ELNS0_17block_load_methodE3ELS4_3ELS4_3ELNS0_20block_scan_algorithmE0ELj4294967295EEENS1_25partition_config_selectorILNS1_17partition_subalgoE3EjNS0_10empty_typeEbEEZZNS1_14partition_implILS8_3ELb0ES6_jNS0_17counting_iteratorIjlEEPS9_SE_NS0_5tupleIJPjSE_EEENSF_IJSE_SE_EEES9_SG_JZNS1_25segmented_radix_sort_implINS0_14default_configELb1EPKiPiPKlPlN2at6native12_GLOBAL__N_18offset_tEEE10hipError_tPvRmT1_PNSt15iterator_traitsISY_E10value_typeET2_T3_PNSZ_IS14_E10value_typeET4_jRbjT5_S1A_jjP12ihipStream_tbEUljE_EEESV_SW_SX_S14_S18_S1A_T6_T7_T9_mT8_S1C_bDpT10_ENKUlT_T0_E_clISt17integral_constantIbLb0EES1O_IbLb1EEEEDaS1K_S1L_EUlS1K_E_NS1_11comp_targetILNS1_3genE5ELNS1_11target_archE942ELNS1_3gpuE9ELNS1_3repE0EEENS1_30default_config_static_selectorELNS0_4arch9wavefront6targetE1EEEvSY_
    .private_segment_fixed_size: 0
    .sgpr_count:     4
    .sgpr_spill_count: 0
    .symbol:         _ZN7rocprim17ROCPRIM_400000_NS6detail17trampoline_kernelINS0_13select_configILj256ELj13ELNS0_17block_load_methodE3ELS4_3ELS4_3ELNS0_20block_scan_algorithmE0ELj4294967295EEENS1_25partition_config_selectorILNS1_17partition_subalgoE3EjNS0_10empty_typeEbEEZZNS1_14partition_implILS8_3ELb0ES6_jNS0_17counting_iteratorIjlEEPS9_SE_NS0_5tupleIJPjSE_EEENSF_IJSE_SE_EEES9_SG_JZNS1_25segmented_radix_sort_implINS0_14default_configELb1EPKiPiPKlPlN2at6native12_GLOBAL__N_18offset_tEEE10hipError_tPvRmT1_PNSt15iterator_traitsISY_E10value_typeET2_T3_PNSZ_IS14_E10value_typeET4_jRbjT5_S1A_jjP12ihipStream_tbEUljE_EEESV_SW_SX_S14_S18_S1A_T6_T7_T9_mT8_S1C_bDpT10_ENKUlT_T0_E_clISt17integral_constantIbLb0EES1O_IbLb1EEEEDaS1K_S1L_EUlS1K_E_NS1_11comp_targetILNS1_3genE5ELNS1_11target_archE942ELNS1_3gpuE9ELNS1_3repE0EEENS1_30default_config_static_selectorELNS0_4arch9wavefront6targetE1EEEvSY_.kd
    .uniform_work_group_size: 1
    .uses_dynamic_stack: false
    .vgpr_count:     0
    .vgpr_spill_count: 0
    .wavefront_size: 64
  - .agpr_count:     0
    .args:
      - .offset:         0
        .size:           152
        .value_kind:     by_value
    .group_segment_fixed_size: 13324
    .kernarg_segment_align: 8
    .kernarg_segment_size: 152
    .language:       OpenCL C
    .language_version:
      - 2
      - 0
    .max_flat_workgroup_size: 256
    .name:           _ZN7rocprim17ROCPRIM_400000_NS6detail17trampoline_kernelINS0_13select_configILj256ELj13ELNS0_17block_load_methodE3ELS4_3ELS4_3ELNS0_20block_scan_algorithmE0ELj4294967295EEENS1_25partition_config_selectorILNS1_17partition_subalgoE3EjNS0_10empty_typeEbEEZZNS1_14partition_implILS8_3ELb0ES6_jNS0_17counting_iteratorIjlEEPS9_SE_NS0_5tupleIJPjSE_EEENSF_IJSE_SE_EEES9_SG_JZNS1_25segmented_radix_sort_implINS0_14default_configELb1EPKiPiPKlPlN2at6native12_GLOBAL__N_18offset_tEEE10hipError_tPvRmT1_PNSt15iterator_traitsISY_E10value_typeET2_T3_PNSZ_IS14_E10value_typeET4_jRbjT5_S1A_jjP12ihipStream_tbEUljE_EEESV_SW_SX_S14_S18_S1A_T6_T7_T9_mT8_S1C_bDpT10_ENKUlT_T0_E_clISt17integral_constantIbLb0EES1O_IbLb1EEEEDaS1K_S1L_EUlS1K_E_NS1_11comp_targetILNS1_3genE4ELNS1_11target_archE910ELNS1_3gpuE8ELNS1_3repE0EEENS1_30default_config_static_selectorELNS0_4arch9wavefront6targetE1EEEvSY_
    .private_segment_fixed_size: 0
    .sgpr_count:     48
    .sgpr_spill_count: 0
    .symbol:         _ZN7rocprim17ROCPRIM_400000_NS6detail17trampoline_kernelINS0_13select_configILj256ELj13ELNS0_17block_load_methodE3ELS4_3ELS4_3ELNS0_20block_scan_algorithmE0ELj4294967295EEENS1_25partition_config_selectorILNS1_17partition_subalgoE3EjNS0_10empty_typeEbEEZZNS1_14partition_implILS8_3ELb0ES6_jNS0_17counting_iteratorIjlEEPS9_SE_NS0_5tupleIJPjSE_EEENSF_IJSE_SE_EEES9_SG_JZNS1_25segmented_radix_sort_implINS0_14default_configELb1EPKiPiPKlPlN2at6native12_GLOBAL__N_18offset_tEEE10hipError_tPvRmT1_PNSt15iterator_traitsISY_E10value_typeET2_T3_PNSZ_IS14_E10value_typeET4_jRbjT5_S1A_jjP12ihipStream_tbEUljE_EEESV_SW_SX_S14_S18_S1A_T6_T7_T9_mT8_S1C_bDpT10_ENKUlT_T0_E_clISt17integral_constantIbLb0EES1O_IbLb1EEEEDaS1K_S1L_EUlS1K_E_NS1_11comp_targetILNS1_3genE4ELNS1_11target_archE910ELNS1_3gpuE8ELNS1_3repE0EEENS1_30default_config_static_selectorELNS0_4arch9wavefront6targetE1EEEvSY_.kd
    .uniform_work_group_size: 1
    .uses_dynamic_stack: false
    .vgpr_count:     64
    .vgpr_spill_count: 0
    .wavefront_size: 64
  - .agpr_count:     0
    .args:
      - .offset:         0
        .size:           152
        .value_kind:     by_value
    .group_segment_fixed_size: 0
    .kernarg_segment_align: 8
    .kernarg_segment_size: 152
    .language:       OpenCL C
    .language_version:
      - 2
      - 0
    .max_flat_workgroup_size: 256
    .name:           _ZN7rocprim17ROCPRIM_400000_NS6detail17trampoline_kernelINS0_13select_configILj256ELj13ELNS0_17block_load_methodE3ELS4_3ELS4_3ELNS0_20block_scan_algorithmE0ELj4294967295EEENS1_25partition_config_selectorILNS1_17partition_subalgoE3EjNS0_10empty_typeEbEEZZNS1_14partition_implILS8_3ELb0ES6_jNS0_17counting_iteratorIjlEEPS9_SE_NS0_5tupleIJPjSE_EEENSF_IJSE_SE_EEES9_SG_JZNS1_25segmented_radix_sort_implINS0_14default_configELb1EPKiPiPKlPlN2at6native12_GLOBAL__N_18offset_tEEE10hipError_tPvRmT1_PNSt15iterator_traitsISY_E10value_typeET2_T3_PNSZ_IS14_E10value_typeET4_jRbjT5_S1A_jjP12ihipStream_tbEUljE_EEESV_SW_SX_S14_S18_S1A_T6_T7_T9_mT8_S1C_bDpT10_ENKUlT_T0_E_clISt17integral_constantIbLb0EES1O_IbLb1EEEEDaS1K_S1L_EUlS1K_E_NS1_11comp_targetILNS1_3genE3ELNS1_11target_archE908ELNS1_3gpuE7ELNS1_3repE0EEENS1_30default_config_static_selectorELNS0_4arch9wavefront6targetE1EEEvSY_
    .private_segment_fixed_size: 0
    .sgpr_count:     4
    .sgpr_spill_count: 0
    .symbol:         _ZN7rocprim17ROCPRIM_400000_NS6detail17trampoline_kernelINS0_13select_configILj256ELj13ELNS0_17block_load_methodE3ELS4_3ELS4_3ELNS0_20block_scan_algorithmE0ELj4294967295EEENS1_25partition_config_selectorILNS1_17partition_subalgoE3EjNS0_10empty_typeEbEEZZNS1_14partition_implILS8_3ELb0ES6_jNS0_17counting_iteratorIjlEEPS9_SE_NS0_5tupleIJPjSE_EEENSF_IJSE_SE_EEES9_SG_JZNS1_25segmented_radix_sort_implINS0_14default_configELb1EPKiPiPKlPlN2at6native12_GLOBAL__N_18offset_tEEE10hipError_tPvRmT1_PNSt15iterator_traitsISY_E10value_typeET2_T3_PNSZ_IS14_E10value_typeET4_jRbjT5_S1A_jjP12ihipStream_tbEUljE_EEESV_SW_SX_S14_S18_S1A_T6_T7_T9_mT8_S1C_bDpT10_ENKUlT_T0_E_clISt17integral_constantIbLb0EES1O_IbLb1EEEEDaS1K_S1L_EUlS1K_E_NS1_11comp_targetILNS1_3genE3ELNS1_11target_archE908ELNS1_3gpuE7ELNS1_3repE0EEENS1_30default_config_static_selectorELNS0_4arch9wavefront6targetE1EEEvSY_.kd
    .uniform_work_group_size: 1
    .uses_dynamic_stack: false
    .vgpr_count:     0
    .vgpr_spill_count: 0
    .wavefront_size: 64
  - .agpr_count:     0
    .args:
      - .offset:         0
        .size:           152
        .value_kind:     by_value
    .group_segment_fixed_size: 0
    .kernarg_segment_align: 8
    .kernarg_segment_size: 152
    .language:       OpenCL C
    .language_version:
      - 2
      - 0
    .max_flat_workgroup_size: 256
    .name:           _ZN7rocprim17ROCPRIM_400000_NS6detail17trampoline_kernelINS0_13select_configILj256ELj13ELNS0_17block_load_methodE3ELS4_3ELS4_3ELNS0_20block_scan_algorithmE0ELj4294967295EEENS1_25partition_config_selectorILNS1_17partition_subalgoE3EjNS0_10empty_typeEbEEZZNS1_14partition_implILS8_3ELb0ES6_jNS0_17counting_iteratorIjlEEPS9_SE_NS0_5tupleIJPjSE_EEENSF_IJSE_SE_EEES9_SG_JZNS1_25segmented_radix_sort_implINS0_14default_configELb1EPKiPiPKlPlN2at6native12_GLOBAL__N_18offset_tEEE10hipError_tPvRmT1_PNSt15iterator_traitsISY_E10value_typeET2_T3_PNSZ_IS14_E10value_typeET4_jRbjT5_S1A_jjP12ihipStream_tbEUljE_EEESV_SW_SX_S14_S18_S1A_T6_T7_T9_mT8_S1C_bDpT10_ENKUlT_T0_E_clISt17integral_constantIbLb0EES1O_IbLb1EEEEDaS1K_S1L_EUlS1K_E_NS1_11comp_targetILNS1_3genE2ELNS1_11target_archE906ELNS1_3gpuE6ELNS1_3repE0EEENS1_30default_config_static_selectorELNS0_4arch9wavefront6targetE1EEEvSY_
    .private_segment_fixed_size: 0
    .sgpr_count:     4
    .sgpr_spill_count: 0
    .symbol:         _ZN7rocprim17ROCPRIM_400000_NS6detail17trampoline_kernelINS0_13select_configILj256ELj13ELNS0_17block_load_methodE3ELS4_3ELS4_3ELNS0_20block_scan_algorithmE0ELj4294967295EEENS1_25partition_config_selectorILNS1_17partition_subalgoE3EjNS0_10empty_typeEbEEZZNS1_14partition_implILS8_3ELb0ES6_jNS0_17counting_iteratorIjlEEPS9_SE_NS0_5tupleIJPjSE_EEENSF_IJSE_SE_EEES9_SG_JZNS1_25segmented_radix_sort_implINS0_14default_configELb1EPKiPiPKlPlN2at6native12_GLOBAL__N_18offset_tEEE10hipError_tPvRmT1_PNSt15iterator_traitsISY_E10value_typeET2_T3_PNSZ_IS14_E10value_typeET4_jRbjT5_S1A_jjP12ihipStream_tbEUljE_EEESV_SW_SX_S14_S18_S1A_T6_T7_T9_mT8_S1C_bDpT10_ENKUlT_T0_E_clISt17integral_constantIbLb0EES1O_IbLb1EEEEDaS1K_S1L_EUlS1K_E_NS1_11comp_targetILNS1_3genE2ELNS1_11target_archE906ELNS1_3gpuE6ELNS1_3repE0EEENS1_30default_config_static_selectorELNS0_4arch9wavefront6targetE1EEEvSY_.kd
    .uniform_work_group_size: 1
    .uses_dynamic_stack: false
    .vgpr_count:     0
    .vgpr_spill_count: 0
    .wavefront_size: 64
  - .agpr_count:     0
    .args:
      - .offset:         0
        .size:           152
        .value_kind:     by_value
    .group_segment_fixed_size: 0
    .kernarg_segment_align: 8
    .kernarg_segment_size: 152
    .language:       OpenCL C
    .language_version:
      - 2
      - 0
    .max_flat_workgroup_size: 256
    .name:           _ZN7rocprim17ROCPRIM_400000_NS6detail17trampoline_kernelINS0_13select_configILj256ELj13ELNS0_17block_load_methodE3ELS4_3ELS4_3ELNS0_20block_scan_algorithmE0ELj4294967295EEENS1_25partition_config_selectorILNS1_17partition_subalgoE3EjNS0_10empty_typeEbEEZZNS1_14partition_implILS8_3ELb0ES6_jNS0_17counting_iteratorIjlEEPS9_SE_NS0_5tupleIJPjSE_EEENSF_IJSE_SE_EEES9_SG_JZNS1_25segmented_radix_sort_implINS0_14default_configELb1EPKiPiPKlPlN2at6native12_GLOBAL__N_18offset_tEEE10hipError_tPvRmT1_PNSt15iterator_traitsISY_E10value_typeET2_T3_PNSZ_IS14_E10value_typeET4_jRbjT5_S1A_jjP12ihipStream_tbEUljE_EEESV_SW_SX_S14_S18_S1A_T6_T7_T9_mT8_S1C_bDpT10_ENKUlT_T0_E_clISt17integral_constantIbLb0EES1O_IbLb1EEEEDaS1K_S1L_EUlS1K_E_NS1_11comp_targetILNS1_3genE10ELNS1_11target_archE1200ELNS1_3gpuE4ELNS1_3repE0EEENS1_30default_config_static_selectorELNS0_4arch9wavefront6targetE1EEEvSY_
    .private_segment_fixed_size: 0
    .sgpr_count:     4
    .sgpr_spill_count: 0
    .symbol:         _ZN7rocprim17ROCPRIM_400000_NS6detail17trampoline_kernelINS0_13select_configILj256ELj13ELNS0_17block_load_methodE3ELS4_3ELS4_3ELNS0_20block_scan_algorithmE0ELj4294967295EEENS1_25partition_config_selectorILNS1_17partition_subalgoE3EjNS0_10empty_typeEbEEZZNS1_14partition_implILS8_3ELb0ES6_jNS0_17counting_iteratorIjlEEPS9_SE_NS0_5tupleIJPjSE_EEENSF_IJSE_SE_EEES9_SG_JZNS1_25segmented_radix_sort_implINS0_14default_configELb1EPKiPiPKlPlN2at6native12_GLOBAL__N_18offset_tEEE10hipError_tPvRmT1_PNSt15iterator_traitsISY_E10value_typeET2_T3_PNSZ_IS14_E10value_typeET4_jRbjT5_S1A_jjP12ihipStream_tbEUljE_EEESV_SW_SX_S14_S18_S1A_T6_T7_T9_mT8_S1C_bDpT10_ENKUlT_T0_E_clISt17integral_constantIbLb0EES1O_IbLb1EEEEDaS1K_S1L_EUlS1K_E_NS1_11comp_targetILNS1_3genE10ELNS1_11target_archE1200ELNS1_3gpuE4ELNS1_3repE0EEENS1_30default_config_static_selectorELNS0_4arch9wavefront6targetE1EEEvSY_.kd
    .uniform_work_group_size: 1
    .uses_dynamic_stack: false
    .vgpr_count:     0
    .vgpr_spill_count: 0
    .wavefront_size: 64
  - .agpr_count:     0
    .args:
      - .offset:         0
        .size:           152
        .value_kind:     by_value
    .group_segment_fixed_size: 0
    .kernarg_segment_align: 8
    .kernarg_segment_size: 152
    .language:       OpenCL C
    .language_version:
      - 2
      - 0
    .max_flat_workgroup_size: 256
    .name:           _ZN7rocprim17ROCPRIM_400000_NS6detail17trampoline_kernelINS0_13select_configILj256ELj13ELNS0_17block_load_methodE3ELS4_3ELS4_3ELNS0_20block_scan_algorithmE0ELj4294967295EEENS1_25partition_config_selectorILNS1_17partition_subalgoE3EjNS0_10empty_typeEbEEZZNS1_14partition_implILS8_3ELb0ES6_jNS0_17counting_iteratorIjlEEPS9_SE_NS0_5tupleIJPjSE_EEENSF_IJSE_SE_EEES9_SG_JZNS1_25segmented_radix_sort_implINS0_14default_configELb1EPKiPiPKlPlN2at6native12_GLOBAL__N_18offset_tEEE10hipError_tPvRmT1_PNSt15iterator_traitsISY_E10value_typeET2_T3_PNSZ_IS14_E10value_typeET4_jRbjT5_S1A_jjP12ihipStream_tbEUljE_EEESV_SW_SX_S14_S18_S1A_T6_T7_T9_mT8_S1C_bDpT10_ENKUlT_T0_E_clISt17integral_constantIbLb0EES1O_IbLb1EEEEDaS1K_S1L_EUlS1K_E_NS1_11comp_targetILNS1_3genE9ELNS1_11target_archE1100ELNS1_3gpuE3ELNS1_3repE0EEENS1_30default_config_static_selectorELNS0_4arch9wavefront6targetE1EEEvSY_
    .private_segment_fixed_size: 0
    .sgpr_count:     4
    .sgpr_spill_count: 0
    .symbol:         _ZN7rocprim17ROCPRIM_400000_NS6detail17trampoline_kernelINS0_13select_configILj256ELj13ELNS0_17block_load_methodE3ELS4_3ELS4_3ELNS0_20block_scan_algorithmE0ELj4294967295EEENS1_25partition_config_selectorILNS1_17partition_subalgoE3EjNS0_10empty_typeEbEEZZNS1_14partition_implILS8_3ELb0ES6_jNS0_17counting_iteratorIjlEEPS9_SE_NS0_5tupleIJPjSE_EEENSF_IJSE_SE_EEES9_SG_JZNS1_25segmented_radix_sort_implINS0_14default_configELb1EPKiPiPKlPlN2at6native12_GLOBAL__N_18offset_tEEE10hipError_tPvRmT1_PNSt15iterator_traitsISY_E10value_typeET2_T3_PNSZ_IS14_E10value_typeET4_jRbjT5_S1A_jjP12ihipStream_tbEUljE_EEESV_SW_SX_S14_S18_S1A_T6_T7_T9_mT8_S1C_bDpT10_ENKUlT_T0_E_clISt17integral_constantIbLb0EES1O_IbLb1EEEEDaS1K_S1L_EUlS1K_E_NS1_11comp_targetILNS1_3genE9ELNS1_11target_archE1100ELNS1_3gpuE3ELNS1_3repE0EEENS1_30default_config_static_selectorELNS0_4arch9wavefront6targetE1EEEvSY_.kd
    .uniform_work_group_size: 1
    .uses_dynamic_stack: false
    .vgpr_count:     0
    .vgpr_spill_count: 0
    .wavefront_size: 64
  - .agpr_count:     0
    .args:
      - .offset:         0
        .size:           152
        .value_kind:     by_value
    .group_segment_fixed_size: 0
    .kernarg_segment_align: 8
    .kernarg_segment_size: 152
    .language:       OpenCL C
    .language_version:
      - 2
      - 0
    .max_flat_workgroup_size: 256
    .name:           _ZN7rocprim17ROCPRIM_400000_NS6detail17trampoline_kernelINS0_13select_configILj256ELj13ELNS0_17block_load_methodE3ELS4_3ELS4_3ELNS0_20block_scan_algorithmE0ELj4294967295EEENS1_25partition_config_selectorILNS1_17partition_subalgoE3EjNS0_10empty_typeEbEEZZNS1_14partition_implILS8_3ELb0ES6_jNS0_17counting_iteratorIjlEEPS9_SE_NS0_5tupleIJPjSE_EEENSF_IJSE_SE_EEES9_SG_JZNS1_25segmented_radix_sort_implINS0_14default_configELb1EPKiPiPKlPlN2at6native12_GLOBAL__N_18offset_tEEE10hipError_tPvRmT1_PNSt15iterator_traitsISY_E10value_typeET2_T3_PNSZ_IS14_E10value_typeET4_jRbjT5_S1A_jjP12ihipStream_tbEUljE_EEESV_SW_SX_S14_S18_S1A_T6_T7_T9_mT8_S1C_bDpT10_ENKUlT_T0_E_clISt17integral_constantIbLb0EES1O_IbLb1EEEEDaS1K_S1L_EUlS1K_E_NS1_11comp_targetILNS1_3genE8ELNS1_11target_archE1030ELNS1_3gpuE2ELNS1_3repE0EEENS1_30default_config_static_selectorELNS0_4arch9wavefront6targetE1EEEvSY_
    .private_segment_fixed_size: 0
    .sgpr_count:     4
    .sgpr_spill_count: 0
    .symbol:         _ZN7rocprim17ROCPRIM_400000_NS6detail17trampoline_kernelINS0_13select_configILj256ELj13ELNS0_17block_load_methodE3ELS4_3ELS4_3ELNS0_20block_scan_algorithmE0ELj4294967295EEENS1_25partition_config_selectorILNS1_17partition_subalgoE3EjNS0_10empty_typeEbEEZZNS1_14partition_implILS8_3ELb0ES6_jNS0_17counting_iteratorIjlEEPS9_SE_NS0_5tupleIJPjSE_EEENSF_IJSE_SE_EEES9_SG_JZNS1_25segmented_radix_sort_implINS0_14default_configELb1EPKiPiPKlPlN2at6native12_GLOBAL__N_18offset_tEEE10hipError_tPvRmT1_PNSt15iterator_traitsISY_E10value_typeET2_T3_PNSZ_IS14_E10value_typeET4_jRbjT5_S1A_jjP12ihipStream_tbEUljE_EEESV_SW_SX_S14_S18_S1A_T6_T7_T9_mT8_S1C_bDpT10_ENKUlT_T0_E_clISt17integral_constantIbLb0EES1O_IbLb1EEEEDaS1K_S1L_EUlS1K_E_NS1_11comp_targetILNS1_3genE8ELNS1_11target_archE1030ELNS1_3gpuE2ELNS1_3repE0EEENS1_30default_config_static_selectorELNS0_4arch9wavefront6targetE1EEEvSY_.kd
    .uniform_work_group_size: 1
    .uses_dynamic_stack: false
    .vgpr_count:     0
    .vgpr_spill_count: 0
    .wavefront_size: 64
  - .agpr_count:     0
    .args:
      - .offset:         0
        .size:           96
        .value_kind:     by_value
    .group_segment_fixed_size: 0
    .kernarg_segment_align: 8
    .kernarg_segment_size: 96
    .language:       OpenCL C
    .language_version:
      - 2
      - 0
    .max_flat_workgroup_size: 256
    .name:           _ZN7rocprim17ROCPRIM_400000_NS6detail17trampoline_kernelINS0_14default_configENS1_36segmented_radix_sort_config_selectorIilEEZNS1_25segmented_radix_sort_implIS3_Lb1EPKiPiPKlPlN2at6native12_GLOBAL__N_18offset_tEEE10hipError_tPvRmT1_PNSt15iterator_traitsISK_E10value_typeET2_T3_PNSL_ISQ_E10value_typeET4_jRbjT5_SW_jjP12ihipStream_tbEUlT_E_NS1_11comp_targetILNS1_3genE0ELNS1_11target_archE4294967295ELNS1_3gpuE0ELNS1_3repE0EEENS1_30default_config_static_selectorELNS0_4arch9wavefront6targetE1EEEvSK_
    .private_segment_fixed_size: 0
    .sgpr_count:     4
    .sgpr_spill_count: 0
    .symbol:         _ZN7rocprim17ROCPRIM_400000_NS6detail17trampoline_kernelINS0_14default_configENS1_36segmented_radix_sort_config_selectorIilEEZNS1_25segmented_radix_sort_implIS3_Lb1EPKiPiPKlPlN2at6native12_GLOBAL__N_18offset_tEEE10hipError_tPvRmT1_PNSt15iterator_traitsISK_E10value_typeET2_T3_PNSL_ISQ_E10value_typeET4_jRbjT5_SW_jjP12ihipStream_tbEUlT_E_NS1_11comp_targetILNS1_3genE0ELNS1_11target_archE4294967295ELNS1_3gpuE0ELNS1_3repE0EEENS1_30default_config_static_selectorELNS0_4arch9wavefront6targetE1EEEvSK_.kd
    .uniform_work_group_size: 1
    .uses_dynamic_stack: false
    .vgpr_count:     0
    .vgpr_spill_count: 0
    .wavefront_size: 64
  - .agpr_count:     0
    .args:
      - .offset:         0
        .size:           96
        .value_kind:     by_value
    .group_segment_fixed_size: 0
    .kernarg_segment_align: 8
    .kernarg_segment_size: 96
    .language:       OpenCL C
    .language_version:
      - 2
      - 0
    .max_flat_workgroup_size: 256
    .name:           _ZN7rocprim17ROCPRIM_400000_NS6detail17trampoline_kernelINS0_14default_configENS1_36segmented_radix_sort_config_selectorIilEEZNS1_25segmented_radix_sort_implIS3_Lb1EPKiPiPKlPlN2at6native12_GLOBAL__N_18offset_tEEE10hipError_tPvRmT1_PNSt15iterator_traitsISK_E10value_typeET2_T3_PNSL_ISQ_E10value_typeET4_jRbjT5_SW_jjP12ihipStream_tbEUlT_E_NS1_11comp_targetILNS1_3genE5ELNS1_11target_archE942ELNS1_3gpuE9ELNS1_3repE0EEENS1_30default_config_static_selectorELNS0_4arch9wavefront6targetE1EEEvSK_
    .private_segment_fixed_size: 0
    .sgpr_count:     4
    .sgpr_spill_count: 0
    .symbol:         _ZN7rocprim17ROCPRIM_400000_NS6detail17trampoline_kernelINS0_14default_configENS1_36segmented_radix_sort_config_selectorIilEEZNS1_25segmented_radix_sort_implIS3_Lb1EPKiPiPKlPlN2at6native12_GLOBAL__N_18offset_tEEE10hipError_tPvRmT1_PNSt15iterator_traitsISK_E10value_typeET2_T3_PNSL_ISQ_E10value_typeET4_jRbjT5_SW_jjP12ihipStream_tbEUlT_E_NS1_11comp_targetILNS1_3genE5ELNS1_11target_archE942ELNS1_3gpuE9ELNS1_3repE0EEENS1_30default_config_static_selectorELNS0_4arch9wavefront6targetE1EEEvSK_.kd
    .uniform_work_group_size: 1
    .uses_dynamic_stack: false
    .vgpr_count:     0
    .vgpr_spill_count: 0
    .wavefront_size: 64
  - .agpr_count:     32
    .args:
      - .offset:         0
        .size:           96
        .value_kind:     by_value
      - .offset:         96
        .size:           4
        .value_kind:     hidden_block_count_x
      - .offset:         100
        .size:           4
        .value_kind:     hidden_block_count_y
      - .offset:         104
        .size:           4
        .value_kind:     hidden_block_count_z
      - .offset:         108
        .size:           2
        .value_kind:     hidden_group_size_x
      - .offset:         110
        .size:           2
        .value_kind:     hidden_group_size_y
      - .offset:         112
        .size:           2
        .value_kind:     hidden_group_size_z
      - .offset:         114
        .size:           2
        .value_kind:     hidden_remainder_x
      - .offset:         116
        .size:           2
        .value_kind:     hidden_remainder_y
      - .offset:         118
        .size:           2
        .value_kind:     hidden_remainder_z
      - .offset:         136
        .size:           8
        .value_kind:     hidden_global_offset_x
      - .offset:         144
        .size:           8
        .value_kind:     hidden_global_offset_y
      - .offset:         152
        .size:           8
        .value_kind:     hidden_global_offset_z
      - .offset:         160
        .size:           2
        .value_kind:     hidden_grid_dims
      - .offset:         176
        .size:           8
        .value_kind:     hidden_hostcall_buffer
      - .offset:         184
        .size:           8
        .value_kind:     hidden_multigrid_sync_arg
      - .offset:         192
        .size:           8
        .value_kind:     hidden_heap_v1
      - .offset:         200
        .size:           8
        .value_kind:     hidden_default_queue
      - .offset:         208
        .size:           8
        .value_kind:     hidden_completion_action
      - .offset:         296
        .size:           8
        .value_kind:     hidden_queue_ptr
    .group_segment_fixed_size: 33808
    .kernarg_segment_align: 8
    .kernarg_segment_size: 352
    .language:       OpenCL C
    .language_version:
      - 2
      - 0
    .max_flat_workgroup_size: 256
    .name:           _ZN7rocprim17ROCPRIM_400000_NS6detail17trampoline_kernelINS0_14default_configENS1_36segmented_radix_sort_config_selectorIilEEZNS1_25segmented_radix_sort_implIS3_Lb1EPKiPiPKlPlN2at6native12_GLOBAL__N_18offset_tEEE10hipError_tPvRmT1_PNSt15iterator_traitsISK_E10value_typeET2_T3_PNSL_ISQ_E10value_typeET4_jRbjT5_SW_jjP12ihipStream_tbEUlT_E_NS1_11comp_targetILNS1_3genE4ELNS1_11target_archE910ELNS1_3gpuE8ELNS1_3repE0EEENS1_30default_config_static_selectorELNS0_4arch9wavefront6targetE1EEEvSK_
    .private_segment_fixed_size: 264
    .sgpr_count:     103
    .sgpr_spill_count: 0
    .symbol:         _ZN7rocprim17ROCPRIM_400000_NS6detail17trampoline_kernelINS0_14default_configENS1_36segmented_radix_sort_config_selectorIilEEZNS1_25segmented_radix_sort_implIS3_Lb1EPKiPiPKlPlN2at6native12_GLOBAL__N_18offset_tEEE10hipError_tPvRmT1_PNSt15iterator_traitsISK_E10value_typeET2_T3_PNSL_ISQ_E10value_typeET4_jRbjT5_SW_jjP12ihipStream_tbEUlT_E_NS1_11comp_targetILNS1_3genE4ELNS1_11target_archE910ELNS1_3gpuE8ELNS1_3repE0EEENS1_30default_config_static_selectorELNS0_4arch9wavefront6targetE1EEEvSK_.kd
    .uniform_work_group_size: 1
    .uses_dynamic_stack: false
    .vgpr_count:     280
    .vgpr_spill_count: 0
    .wavefront_size: 64
  - .agpr_count:     0
    .args:
      - .offset:         0
        .size:           96
        .value_kind:     by_value
    .group_segment_fixed_size: 0
    .kernarg_segment_align: 8
    .kernarg_segment_size: 96
    .language:       OpenCL C
    .language_version:
      - 2
      - 0
    .max_flat_workgroup_size: 256
    .name:           _ZN7rocprim17ROCPRIM_400000_NS6detail17trampoline_kernelINS0_14default_configENS1_36segmented_radix_sort_config_selectorIilEEZNS1_25segmented_radix_sort_implIS3_Lb1EPKiPiPKlPlN2at6native12_GLOBAL__N_18offset_tEEE10hipError_tPvRmT1_PNSt15iterator_traitsISK_E10value_typeET2_T3_PNSL_ISQ_E10value_typeET4_jRbjT5_SW_jjP12ihipStream_tbEUlT_E_NS1_11comp_targetILNS1_3genE3ELNS1_11target_archE908ELNS1_3gpuE7ELNS1_3repE0EEENS1_30default_config_static_selectorELNS0_4arch9wavefront6targetE1EEEvSK_
    .private_segment_fixed_size: 0
    .sgpr_count:     4
    .sgpr_spill_count: 0
    .symbol:         _ZN7rocprim17ROCPRIM_400000_NS6detail17trampoline_kernelINS0_14default_configENS1_36segmented_radix_sort_config_selectorIilEEZNS1_25segmented_radix_sort_implIS3_Lb1EPKiPiPKlPlN2at6native12_GLOBAL__N_18offset_tEEE10hipError_tPvRmT1_PNSt15iterator_traitsISK_E10value_typeET2_T3_PNSL_ISQ_E10value_typeET4_jRbjT5_SW_jjP12ihipStream_tbEUlT_E_NS1_11comp_targetILNS1_3genE3ELNS1_11target_archE908ELNS1_3gpuE7ELNS1_3repE0EEENS1_30default_config_static_selectorELNS0_4arch9wavefront6targetE1EEEvSK_.kd
    .uniform_work_group_size: 1
    .uses_dynamic_stack: false
    .vgpr_count:     0
    .vgpr_spill_count: 0
    .wavefront_size: 64
  - .agpr_count:     0
    .args:
      - .offset:         0
        .size:           96
        .value_kind:     by_value
    .group_segment_fixed_size: 0
    .kernarg_segment_align: 8
    .kernarg_segment_size: 96
    .language:       OpenCL C
    .language_version:
      - 2
      - 0
    .max_flat_workgroup_size: 256
    .name:           _ZN7rocprim17ROCPRIM_400000_NS6detail17trampoline_kernelINS0_14default_configENS1_36segmented_radix_sort_config_selectorIilEEZNS1_25segmented_radix_sort_implIS3_Lb1EPKiPiPKlPlN2at6native12_GLOBAL__N_18offset_tEEE10hipError_tPvRmT1_PNSt15iterator_traitsISK_E10value_typeET2_T3_PNSL_ISQ_E10value_typeET4_jRbjT5_SW_jjP12ihipStream_tbEUlT_E_NS1_11comp_targetILNS1_3genE2ELNS1_11target_archE906ELNS1_3gpuE6ELNS1_3repE0EEENS1_30default_config_static_selectorELNS0_4arch9wavefront6targetE1EEEvSK_
    .private_segment_fixed_size: 0
    .sgpr_count:     4
    .sgpr_spill_count: 0
    .symbol:         _ZN7rocprim17ROCPRIM_400000_NS6detail17trampoline_kernelINS0_14default_configENS1_36segmented_radix_sort_config_selectorIilEEZNS1_25segmented_radix_sort_implIS3_Lb1EPKiPiPKlPlN2at6native12_GLOBAL__N_18offset_tEEE10hipError_tPvRmT1_PNSt15iterator_traitsISK_E10value_typeET2_T3_PNSL_ISQ_E10value_typeET4_jRbjT5_SW_jjP12ihipStream_tbEUlT_E_NS1_11comp_targetILNS1_3genE2ELNS1_11target_archE906ELNS1_3gpuE6ELNS1_3repE0EEENS1_30default_config_static_selectorELNS0_4arch9wavefront6targetE1EEEvSK_.kd
    .uniform_work_group_size: 1
    .uses_dynamic_stack: false
    .vgpr_count:     0
    .vgpr_spill_count: 0
    .wavefront_size: 64
  - .agpr_count:     0
    .args:
      - .offset:         0
        .size:           96
        .value_kind:     by_value
    .group_segment_fixed_size: 0
    .kernarg_segment_align: 8
    .kernarg_segment_size: 96
    .language:       OpenCL C
    .language_version:
      - 2
      - 0
    .max_flat_workgroup_size: 256
    .name:           _ZN7rocprim17ROCPRIM_400000_NS6detail17trampoline_kernelINS0_14default_configENS1_36segmented_radix_sort_config_selectorIilEEZNS1_25segmented_radix_sort_implIS3_Lb1EPKiPiPKlPlN2at6native12_GLOBAL__N_18offset_tEEE10hipError_tPvRmT1_PNSt15iterator_traitsISK_E10value_typeET2_T3_PNSL_ISQ_E10value_typeET4_jRbjT5_SW_jjP12ihipStream_tbEUlT_E_NS1_11comp_targetILNS1_3genE10ELNS1_11target_archE1201ELNS1_3gpuE5ELNS1_3repE0EEENS1_30default_config_static_selectorELNS0_4arch9wavefront6targetE1EEEvSK_
    .private_segment_fixed_size: 0
    .sgpr_count:     4
    .sgpr_spill_count: 0
    .symbol:         _ZN7rocprim17ROCPRIM_400000_NS6detail17trampoline_kernelINS0_14default_configENS1_36segmented_radix_sort_config_selectorIilEEZNS1_25segmented_radix_sort_implIS3_Lb1EPKiPiPKlPlN2at6native12_GLOBAL__N_18offset_tEEE10hipError_tPvRmT1_PNSt15iterator_traitsISK_E10value_typeET2_T3_PNSL_ISQ_E10value_typeET4_jRbjT5_SW_jjP12ihipStream_tbEUlT_E_NS1_11comp_targetILNS1_3genE10ELNS1_11target_archE1201ELNS1_3gpuE5ELNS1_3repE0EEENS1_30default_config_static_selectorELNS0_4arch9wavefront6targetE1EEEvSK_.kd
    .uniform_work_group_size: 1
    .uses_dynamic_stack: false
    .vgpr_count:     0
    .vgpr_spill_count: 0
    .wavefront_size: 64
  - .agpr_count:     0
    .args:
      - .offset:         0
        .size:           96
        .value_kind:     by_value
    .group_segment_fixed_size: 0
    .kernarg_segment_align: 8
    .kernarg_segment_size: 96
    .language:       OpenCL C
    .language_version:
      - 2
      - 0
    .max_flat_workgroup_size: 128
    .name:           _ZN7rocprim17ROCPRIM_400000_NS6detail17trampoline_kernelINS0_14default_configENS1_36segmented_radix_sort_config_selectorIilEEZNS1_25segmented_radix_sort_implIS3_Lb1EPKiPiPKlPlN2at6native12_GLOBAL__N_18offset_tEEE10hipError_tPvRmT1_PNSt15iterator_traitsISK_E10value_typeET2_T3_PNSL_ISQ_E10value_typeET4_jRbjT5_SW_jjP12ihipStream_tbEUlT_E_NS1_11comp_targetILNS1_3genE10ELNS1_11target_archE1200ELNS1_3gpuE4ELNS1_3repE0EEENS1_30default_config_static_selectorELNS0_4arch9wavefront6targetE1EEEvSK_
    .private_segment_fixed_size: 0
    .sgpr_count:     4
    .sgpr_spill_count: 0
    .symbol:         _ZN7rocprim17ROCPRIM_400000_NS6detail17trampoline_kernelINS0_14default_configENS1_36segmented_radix_sort_config_selectorIilEEZNS1_25segmented_radix_sort_implIS3_Lb1EPKiPiPKlPlN2at6native12_GLOBAL__N_18offset_tEEE10hipError_tPvRmT1_PNSt15iterator_traitsISK_E10value_typeET2_T3_PNSL_ISQ_E10value_typeET4_jRbjT5_SW_jjP12ihipStream_tbEUlT_E_NS1_11comp_targetILNS1_3genE10ELNS1_11target_archE1200ELNS1_3gpuE4ELNS1_3repE0EEENS1_30default_config_static_selectorELNS0_4arch9wavefront6targetE1EEEvSK_.kd
    .uniform_work_group_size: 1
    .uses_dynamic_stack: false
    .vgpr_count:     0
    .vgpr_spill_count: 0
    .wavefront_size: 64
  - .agpr_count:     0
    .args:
      - .offset:         0
        .size:           96
        .value_kind:     by_value
    .group_segment_fixed_size: 0
    .kernarg_segment_align: 8
    .kernarg_segment_size: 96
    .language:       OpenCL C
    .language_version:
      - 2
      - 0
    .max_flat_workgroup_size: 256
    .name:           _ZN7rocprim17ROCPRIM_400000_NS6detail17trampoline_kernelINS0_14default_configENS1_36segmented_radix_sort_config_selectorIilEEZNS1_25segmented_radix_sort_implIS3_Lb1EPKiPiPKlPlN2at6native12_GLOBAL__N_18offset_tEEE10hipError_tPvRmT1_PNSt15iterator_traitsISK_E10value_typeET2_T3_PNSL_ISQ_E10value_typeET4_jRbjT5_SW_jjP12ihipStream_tbEUlT_E_NS1_11comp_targetILNS1_3genE9ELNS1_11target_archE1100ELNS1_3gpuE3ELNS1_3repE0EEENS1_30default_config_static_selectorELNS0_4arch9wavefront6targetE1EEEvSK_
    .private_segment_fixed_size: 0
    .sgpr_count:     4
    .sgpr_spill_count: 0
    .symbol:         _ZN7rocprim17ROCPRIM_400000_NS6detail17trampoline_kernelINS0_14default_configENS1_36segmented_radix_sort_config_selectorIilEEZNS1_25segmented_radix_sort_implIS3_Lb1EPKiPiPKlPlN2at6native12_GLOBAL__N_18offset_tEEE10hipError_tPvRmT1_PNSt15iterator_traitsISK_E10value_typeET2_T3_PNSL_ISQ_E10value_typeET4_jRbjT5_SW_jjP12ihipStream_tbEUlT_E_NS1_11comp_targetILNS1_3genE9ELNS1_11target_archE1100ELNS1_3gpuE3ELNS1_3repE0EEENS1_30default_config_static_selectorELNS0_4arch9wavefront6targetE1EEEvSK_.kd
    .uniform_work_group_size: 1
    .uses_dynamic_stack: false
    .vgpr_count:     0
    .vgpr_spill_count: 0
    .wavefront_size: 64
  - .agpr_count:     0
    .args:
      - .offset:         0
        .size:           96
        .value_kind:     by_value
    .group_segment_fixed_size: 0
    .kernarg_segment_align: 8
    .kernarg_segment_size: 96
    .language:       OpenCL C
    .language_version:
      - 2
      - 0
    .max_flat_workgroup_size: 256
    .name:           _ZN7rocprim17ROCPRIM_400000_NS6detail17trampoline_kernelINS0_14default_configENS1_36segmented_radix_sort_config_selectorIilEEZNS1_25segmented_radix_sort_implIS3_Lb1EPKiPiPKlPlN2at6native12_GLOBAL__N_18offset_tEEE10hipError_tPvRmT1_PNSt15iterator_traitsISK_E10value_typeET2_T3_PNSL_ISQ_E10value_typeET4_jRbjT5_SW_jjP12ihipStream_tbEUlT_E_NS1_11comp_targetILNS1_3genE8ELNS1_11target_archE1030ELNS1_3gpuE2ELNS1_3repE0EEENS1_30default_config_static_selectorELNS0_4arch9wavefront6targetE1EEEvSK_
    .private_segment_fixed_size: 0
    .sgpr_count:     4
    .sgpr_spill_count: 0
    .symbol:         _ZN7rocprim17ROCPRIM_400000_NS6detail17trampoline_kernelINS0_14default_configENS1_36segmented_radix_sort_config_selectorIilEEZNS1_25segmented_radix_sort_implIS3_Lb1EPKiPiPKlPlN2at6native12_GLOBAL__N_18offset_tEEE10hipError_tPvRmT1_PNSt15iterator_traitsISK_E10value_typeET2_T3_PNSL_ISQ_E10value_typeET4_jRbjT5_SW_jjP12ihipStream_tbEUlT_E_NS1_11comp_targetILNS1_3genE8ELNS1_11target_archE1030ELNS1_3gpuE2ELNS1_3repE0EEENS1_30default_config_static_selectorELNS0_4arch9wavefront6targetE1EEEvSK_.kd
    .uniform_work_group_size: 1
    .uses_dynamic_stack: false
    .vgpr_count:     0
    .vgpr_spill_count: 0
    .wavefront_size: 64
  - .agpr_count:     0
    .args:
      - .offset:         0
        .size:           88
        .value_kind:     by_value
    .group_segment_fixed_size: 0
    .kernarg_segment_align: 8
    .kernarg_segment_size: 88
    .language:       OpenCL C
    .language_version:
      - 2
      - 0
    .max_flat_workgroup_size: 256
    .name:           _ZN7rocprim17ROCPRIM_400000_NS6detail17trampoline_kernelINS0_14default_configENS1_36segmented_radix_sort_config_selectorIilEEZNS1_25segmented_radix_sort_implIS3_Lb1EPKiPiPKlPlN2at6native12_GLOBAL__N_18offset_tEEE10hipError_tPvRmT1_PNSt15iterator_traitsISK_E10value_typeET2_T3_PNSL_ISQ_E10value_typeET4_jRbjT5_SW_jjP12ihipStream_tbEUlT_E0_NS1_11comp_targetILNS1_3genE0ELNS1_11target_archE4294967295ELNS1_3gpuE0ELNS1_3repE0EEENS1_60segmented_radix_sort_warp_sort_medium_config_static_selectorELNS0_4arch9wavefront6targetE1EEEvSK_
    .private_segment_fixed_size: 0
    .sgpr_count:     4
    .sgpr_spill_count: 0
    .symbol:         _ZN7rocprim17ROCPRIM_400000_NS6detail17trampoline_kernelINS0_14default_configENS1_36segmented_radix_sort_config_selectorIilEEZNS1_25segmented_radix_sort_implIS3_Lb1EPKiPiPKlPlN2at6native12_GLOBAL__N_18offset_tEEE10hipError_tPvRmT1_PNSt15iterator_traitsISK_E10value_typeET2_T3_PNSL_ISQ_E10value_typeET4_jRbjT5_SW_jjP12ihipStream_tbEUlT_E0_NS1_11comp_targetILNS1_3genE0ELNS1_11target_archE4294967295ELNS1_3gpuE0ELNS1_3repE0EEENS1_60segmented_radix_sort_warp_sort_medium_config_static_selectorELNS0_4arch9wavefront6targetE1EEEvSK_.kd
    .uniform_work_group_size: 1
    .uses_dynamic_stack: false
    .vgpr_count:     0
    .vgpr_spill_count: 0
    .wavefront_size: 64
  - .agpr_count:     0
    .args:
      - .offset:         0
        .size:           88
        .value_kind:     by_value
    .group_segment_fixed_size: 0
    .kernarg_segment_align: 8
    .kernarg_segment_size: 88
    .language:       OpenCL C
    .language_version:
      - 2
      - 0
    .max_flat_workgroup_size: 256
    .name:           _ZN7rocprim17ROCPRIM_400000_NS6detail17trampoline_kernelINS0_14default_configENS1_36segmented_radix_sort_config_selectorIilEEZNS1_25segmented_radix_sort_implIS3_Lb1EPKiPiPKlPlN2at6native12_GLOBAL__N_18offset_tEEE10hipError_tPvRmT1_PNSt15iterator_traitsISK_E10value_typeET2_T3_PNSL_ISQ_E10value_typeET4_jRbjT5_SW_jjP12ihipStream_tbEUlT_E0_NS1_11comp_targetILNS1_3genE5ELNS1_11target_archE942ELNS1_3gpuE9ELNS1_3repE0EEENS1_60segmented_radix_sort_warp_sort_medium_config_static_selectorELNS0_4arch9wavefront6targetE1EEEvSK_
    .private_segment_fixed_size: 0
    .sgpr_count:     4
    .sgpr_spill_count: 0
    .symbol:         _ZN7rocprim17ROCPRIM_400000_NS6detail17trampoline_kernelINS0_14default_configENS1_36segmented_radix_sort_config_selectorIilEEZNS1_25segmented_radix_sort_implIS3_Lb1EPKiPiPKlPlN2at6native12_GLOBAL__N_18offset_tEEE10hipError_tPvRmT1_PNSt15iterator_traitsISK_E10value_typeET2_T3_PNSL_ISQ_E10value_typeET4_jRbjT5_SW_jjP12ihipStream_tbEUlT_E0_NS1_11comp_targetILNS1_3genE5ELNS1_11target_archE942ELNS1_3gpuE9ELNS1_3repE0EEENS1_60segmented_radix_sort_warp_sort_medium_config_static_selectorELNS0_4arch9wavefront6targetE1EEEvSK_.kd
    .uniform_work_group_size: 1
    .uses_dynamic_stack: false
    .vgpr_count:     0
    .vgpr_spill_count: 0
    .wavefront_size: 64
  - .agpr_count:     0
    .args:
      - .offset:         0
        .size:           88
        .value_kind:     by_value
      - .offset:         88
        .size:           4
        .value_kind:     hidden_block_count_x
      - .offset:         92
        .size:           4
        .value_kind:     hidden_block_count_y
      - .offset:         96
        .size:           4
        .value_kind:     hidden_block_count_z
      - .offset:         100
        .size:           2
        .value_kind:     hidden_group_size_x
      - .offset:         102
        .size:           2
        .value_kind:     hidden_group_size_y
      - .offset:         104
        .size:           2
        .value_kind:     hidden_group_size_z
      - .offset:         106
        .size:           2
        .value_kind:     hidden_remainder_x
      - .offset:         108
        .size:           2
        .value_kind:     hidden_remainder_y
      - .offset:         110
        .size:           2
        .value_kind:     hidden_remainder_z
      - .offset:         128
        .size:           8
        .value_kind:     hidden_global_offset_x
      - .offset:         136
        .size:           8
        .value_kind:     hidden_global_offset_y
      - .offset:         144
        .size:           8
        .value_kind:     hidden_global_offset_z
      - .offset:         152
        .size:           2
        .value_kind:     hidden_grid_dims
      - .offset:         168
        .size:           8
        .value_kind:     hidden_hostcall_buffer
      - .offset:         176
        .size:           8
        .value_kind:     hidden_multigrid_sync_arg
      - .offset:         184
        .size:           8
        .value_kind:     hidden_heap_v1
      - .offset:         192
        .size:           8
        .value_kind:     hidden_default_queue
      - .offset:         200
        .size:           8
        .value_kind:     hidden_completion_action
      - .offset:         288
        .size:           8
        .value_kind:     hidden_queue_ptr
    .group_segment_fixed_size: 24576
    .kernarg_segment_align: 8
    .kernarg_segment_size: 344
    .language:       OpenCL C
    .language_version:
      - 2
      - 0
    .max_flat_workgroup_size: 256
    .name:           _ZN7rocprim17ROCPRIM_400000_NS6detail17trampoline_kernelINS0_14default_configENS1_36segmented_radix_sort_config_selectorIilEEZNS1_25segmented_radix_sort_implIS3_Lb1EPKiPiPKlPlN2at6native12_GLOBAL__N_18offset_tEEE10hipError_tPvRmT1_PNSt15iterator_traitsISK_E10value_typeET2_T3_PNSL_ISQ_E10value_typeET4_jRbjT5_SW_jjP12ihipStream_tbEUlT_E0_NS1_11comp_targetILNS1_3genE4ELNS1_11target_archE910ELNS1_3gpuE8ELNS1_3repE0EEENS1_60segmented_radix_sort_warp_sort_medium_config_static_selectorELNS0_4arch9wavefront6targetE1EEEvSK_
    .private_segment_fixed_size: 8
    .sgpr_count:     68
    .sgpr_spill_count: 0
    .symbol:         _ZN7rocprim17ROCPRIM_400000_NS6detail17trampoline_kernelINS0_14default_configENS1_36segmented_radix_sort_config_selectorIilEEZNS1_25segmented_radix_sort_implIS3_Lb1EPKiPiPKlPlN2at6native12_GLOBAL__N_18offset_tEEE10hipError_tPvRmT1_PNSt15iterator_traitsISK_E10value_typeET2_T3_PNSL_ISQ_E10value_typeET4_jRbjT5_SW_jjP12ihipStream_tbEUlT_E0_NS1_11comp_targetILNS1_3genE4ELNS1_11target_archE910ELNS1_3gpuE8ELNS1_3repE0EEENS1_60segmented_radix_sort_warp_sort_medium_config_static_selectorELNS0_4arch9wavefront6targetE1EEEvSK_.kd
    .uniform_work_group_size: 1
    .uses_dynamic_stack: false
    .vgpr_count:     87
    .vgpr_spill_count: 0
    .wavefront_size: 64
  - .agpr_count:     0
    .args:
      - .offset:         0
        .size:           88
        .value_kind:     by_value
    .group_segment_fixed_size: 0
    .kernarg_segment_align: 8
    .kernarg_segment_size: 88
    .language:       OpenCL C
    .language_version:
      - 2
      - 0
    .max_flat_workgroup_size: 256
    .name:           _ZN7rocprim17ROCPRIM_400000_NS6detail17trampoline_kernelINS0_14default_configENS1_36segmented_radix_sort_config_selectorIilEEZNS1_25segmented_radix_sort_implIS3_Lb1EPKiPiPKlPlN2at6native12_GLOBAL__N_18offset_tEEE10hipError_tPvRmT1_PNSt15iterator_traitsISK_E10value_typeET2_T3_PNSL_ISQ_E10value_typeET4_jRbjT5_SW_jjP12ihipStream_tbEUlT_E0_NS1_11comp_targetILNS1_3genE3ELNS1_11target_archE908ELNS1_3gpuE7ELNS1_3repE0EEENS1_60segmented_radix_sort_warp_sort_medium_config_static_selectorELNS0_4arch9wavefront6targetE1EEEvSK_
    .private_segment_fixed_size: 0
    .sgpr_count:     4
    .sgpr_spill_count: 0
    .symbol:         _ZN7rocprim17ROCPRIM_400000_NS6detail17trampoline_kernelINS0_14default_configENS1_36segmented_radix_sort_config_selectorIilEEZNS1_25segmented_radix_sort_implIS3_Lb1EPKiPiPKlPlN2at6native12_GLOBAL__N_18offset_tEEE10hipError_tPvRmT1_PNSt15iterator_traitsISK_E10value_typeET2_T3_PNSL_ISQ_E10value_typeET4_jRbjT5_SW_jjP12ihipStream_tbEUlT_E0_NS1_11comp_targetILNS1_3genE3ELNS1_11target_archE908ELNS1_3gpuE7ELNS1_3repE0EEENS1_60segmented_radix_sort_warp_sort_medium_config_static_selectorELNS0_4arch9wavefront6targetE1EEEvSK_.kd
    .uniform_work_group_size: 1
    .uses_dynamic_stack: false
    .vgpr_count:     0
    .vgpr_spill_count: 0
    .wavefront_size: 64
  - .agpr_count:     0
    .args:
      - .offset:         0
        .size:           88
        .value_kind:     by_value
    .group_segment_fixed_size: 0
    .kernarg_segment_align: 8
    .kernarg_segment_size: 88
    .language:       OpenCL C
    .language_version:
      - 2
      - 0
    .max_flat_workgroup_size: 256
    .name:           _ZN7rocprim17ROCPRIM_400000_NS6detail17trampoline_kernelINS0_14default_configENS1_36segmented_radix_sort_config_selectorIilEEZNS1_25segmented_radix_sort_implIS3_Lb1EPKiPiPKlPlN2at6native12_GLOBAL__N_18offset_tEEE10hipError_tPvRmT1_PNSt15iterator_traitsISK_E10value_typeET2_T3_PNSL_ISQ_E10value_typeET4_jRbjT5_SW_jjP12ihipStream_tbEUlT_E0_NS1_11comp_targetILNS1_3genE2ELNS1_11target_archE906ELNS1_3gpuE6ELNS1_3repE0EEENS1_60segmented_radix_sort_warp_sort_medium_config_static_selectorELNS0_4arch9wavefront6targetE1EEEvSK_
    .private_segment_fixed_size: 0
    .sgpr_count:     4
    .sgpr_spill_count: 0
    .symbol:         _ZN7rocprim17ROCPRIM_400000_NS6detail17trampoline_kernelINS0_14default_configENS1_36segmented_radix_sort_config_selectorIilEEZNS1_25segmented_radix_sort_implIS3_Lb1EPKiPiPKlPlN2at6native12_GLOBAL__N_18offset_tEEE10hipError_tPvRmT1_PNSt15iterator_traitsISK_E10value_typeET2_T3_PNSL_ISQ_E10value_typeET4_jRbjT5_SW_jjP12ihipStream_tbEUlT_E0_NS1_11comp_targetILNS1_3genE2ELNS1_11target_archE906ELNS1_3gpuE6ELNS1_3repE0EEENS1_60segmented_radix_sort_warp_sort_medium_config_static_selectorELNS0_4arch9wavefront6targetE1EEEvSK_.kd
    .uniform_work_group_size: 1
    .uses_dynamic_stack: false
    .vgpr_count:     0
    .vgpr_spill_count: 0
    .wavefront_size: 64
  - .agpr_count:     0
    .args:
      - .offset:         0
        .size:           88
        .value_kind:     by_value
    .group_segment_fixed_size: 0
    .kernarg_segment_align: 8
    .kernarg_segment_size: 88
    .language:       OpenCL C
    .language_version:
      - 2
      - 0
    .max_flat_workgroup_size: 256
    .name:           _ZN7rocprim17ROCPRIM_400000_NS6detail17trampoline_kernelINS0_14default_configENS1_36segmented_radix_sort_config_selectorIilEEZNS1_25segmented_radix_sort_implIS3_Lb1EPKiPiPKlPlN2at6native12_GLOBAL__N_18offset_tEEE10hipError_tPvRmT1_PNSt15iterator_traitsISK_E10value_typeET2_T3_PNSL_ISQ_E10value_typeET4_jRbjT5_SW_jjP12ihipStream_tbEUlT_E0_NS1_11comp_targetILNS1_3genE10ELNS1_11target_archE1201ELNS1_3gpuE5ELNS1_3repE0EEENS1_60segmented_radix_sort_warp_sort_medium_config_static_selectorELNS0_4arch9wavefront6targetE1EEEvSK_
    .private_segment_fixed_size: 0
    .sgpr_count:     4
    .sgpr_spill_count: 0
    .symbol:         _ZN7rocprim17ROCPRIM_400000_NS6detail17trampoline_kernelINS0_14default_configENS1_36segmented_radix_sort_config_selectorIilEEZNS1_25segmented_radix_sort_implIS3_Lb1EPKiPiPKlPlN2at6native12_GLOBAL__N_18offset_tEEE10hipError_tPvRmT1_PNSt15iterator_traitsISK_E10value_typeET2_T3_PNSL_ISQ_E10value_typeET4_jRbjT5_SW_jjP12ihipStream_tbEUlT_E0_NS1_11comp_targetILNS1_3genE10ELNS1_11target_archE1201ELNS1_3gpuE5ELNS1_3repE0EEENS1_60segmented_radix_sort_warp_sort_medium_config_static_selectorELNS0_4arch9wavefront6targetE1EEEvSK_.kd
    .uniform_work_group_size: 1
    .uses_dynamic_stack: false
    .vgpr_count:     0
    .vgpr_spill_count: 0
    .wavefront_size: 64
  - .agpr_count:     0
    .args:
      - .offset:         0
        .size:           88
        .value_kind:     by_value
    .group_segment_fixed_size: 0
    .kernarg_segment_align: 8
    .kernarg_segment_size: 88
    .language:       OpenCL C
    .language_version:
      - 2
      - 0
    .max_flat_workgroup_size: 256
    .name:           _ZN7rocprim17ROCPRIM_400000_NS6detail17trampoline_kernelINS0_14default_configENS1_36segmented_radix_sort_config_selectorIilEEZNS1_25segmented_radix_sort_implIS3_Lb1EPKiPiPKlPlN2at6native12_GLOBAL__N_18offset_tEEE10hipError_tPvRmT1_PNSt15iterator_traitsISK_E10value_typeET2_T3_PNSL_ISQ_E10value_typeET4_jRbjT5_SW_jjP12ihipStream_tbEUlT_E0_NS1_11comp_targetILNS1_3genE10ELNS1_11target_archE1200ELNS1_3gpuE4ELNS1_3repE0EEENS1_60segmented_radix_sort_warp_sort_medium_config_static_selectorELNS0_4arch9wavefront6targetE1EEEvSK_
    .private_segment_fixed_size: 0
    .sgpr_count:     4
    .sgpr_spill_count: 0
    .symbol:         _ZN7rocprim17ROCPRIM_400000_NS6detail17trampoline_kernelINS0_14default_configENS1_36segmented_radix_sort_config_selectorIilEEZNS1_25segmented_radix_sort_implIS3_Lb1EPKiPiPKlPlN2at6native12_GLOBAL__N_18offset_tEEE10hipError_tPvRmT1_PNSt15iterator_traitsISK_E10value_typeET2_T3_PNSL_ISQ_E10value_typeET4_jRbjT5_SW_jjP12ihipStream_tbEUlT_E0_NS1_11comp_targetILNS1_3genE10ELNS1_11target_archE1200ELNS1_3gpuE4ELNS1_3repE0EEENS1_60segmented_radix_sort_warp_sort_medium_config_static_selectorELNS0_4arch9wavefront6targetE1EEEvSK_.kd
    .uniform_work_group_size: 1
    .uses_dynamic_stack: false
    .vgpr_count:     0
    .vgpr_spill_count: 0
    .wavefront_size: 64
  - .agpr_count:     0
    .args:
      - .offset:         0
        .size:           88
        .value_kind:     by_value
    .group_segment_fixed_size: 0
    .kernarg_segment_align: 8
    .kernarg_segment_size: 88
    .language:       OpenCL C
    .language_version:
      - 2
      - 0
    .max_flat_workgroup_size: 256
    .name:           _ZN7rocprim17ROCPRIM_400000_NS6detail17trampoline_kernelINS0_14default_configENS1_36segmented_radix_sort_config_selectorIilEEZNS1_25segmented_radix_sort_implIS3_Lb1EPKiPiPKlPlN2at6native12_GLOBAL__N_18offset_tEEE10hipError_tPvRmT1_PNSt15iterator_traitsISK_E10value_typeET2_T3_PNSL_ISQ_E10value_typeET4_jRbjT5_SW_jjP12ihipStream_tbEUlT_E0_NS1_11comp_targetILNS1_3genE9ELNS1_11target_archE1100ELNS1_3gpuE3ELNS1_3repE0EEENS1_60segmented_radix_sort_warp_sort_medium_config_static_selectorELNS0_4arch9wavefront6targetE1EEEvSK_
    .private_segment_fixed_size: 0
    .sgpr_count:     4
    .sgpr_spill_count: 0
    .symbol:         _ZN7rocprim17ROCPRIM_400000_NS6detail17trampoline_kernelINS0_14default_configENS1_36segmented_radix_sort_config_selectorIilEEZNS1_25segmented_radix_sort_implIS3_Lb1EPKiPiPKlPlN2at6native12_GLOBAL__N_18offset_tEEE10hipError_tPvRmT1_PNSt15iterator_traitsISK_E10value_typeET2_T3_PNSL_ISQ_E10value_typeET4_jRbjT5_SW_jjP12ihipStream_tbEUlT_E0_NS1_11comp_targetILNS1_3genE9ELNS1_11target_archE1100ELNS1_3gpuE3ELNS1_3repE0EEENS1_60segmented_radix_sort_warp_sort_medium_config_static_selectorELNS0_4arch9wavefront6targetE1EEEvSK_.kd
    .uniform_work_group_size: 1
    .uses_dynamic_stack: false
    .vgpr_count:     0
    .vgpr_spill_count: 0
    .wavefront_size: 64
  - .agpr_count:     0
    .args:
      - .offset:         0
        .size:           88
        .value_kind:     by_value
    .group_segment_fixed_size: 0
    .kernarg_segment_align: 8
    .kernarg_segment_size: 88
    .language:       OpenCL C
    .language_version:
      - 2
      - 0
    .max_flat_workgroup_size: 256
    .name:           _ZN7rocprim17ROCPRIM_400000_NS6detail17trampoline_kernelINS0_14default_configENS1_36segmented_radix_sort_config_selectorIilEEZNS1_25segmented_radix_sort_implIS3_Lb1EPKiPiPKlPlN2at6native12_GLOBAL__N_18offset_tEEE10hipError_tPvRmT1_PNSt15iterator_traitsISK_E10value_typeET2_T3_PNSL_ISQ_E10value_typeET4_jRbjT5_SW_jjP12ihipStream_tbEUlT_E0_NS1_11comp_targetILNS1_3genE8ELNS1_11target_archE1030ELNS1_3gpuE2ELNS1_3repE0EEENS1_60segmented_radix_sort_warp_sort_medium_config_static_selectorELNS0_4arch9wavefront6targetE1EEEvSK_
    .private_segment_fixed_size: 0
    .sgpr_count:     4
    .sgpr_spill_count: 0
    .symbol:         _ZN7rocprim17ROCPRIM_400000_NS6detail17trampoline_kernelINS0_14default_configENS1_36segmented_radix_sort_config_selectorIilEEZNS1_25segmented_radix_sort_implIS3_Lb1EPKiPiPKlPlN2at6native12_GLOBAL__N_18offset_tEEE10hipError_tPvRmT1_PNSt15iterator_traitsISK_E10value_typeET2_T3_PNSL_ISQ_E10value_typeET4_jRbjT5_SW_jjP12ihipStream_tbEUlT_E0_NS1_11comp_targetILNS1_3genE8ELNS1_11target_archE1030ELNS1_3gpuE2ELNS1_3repE0EEENS1_60segmented_radix_sort_warp_sort_medium_config_static_selectorELNS0_4arch9wavefront6targetE1EEEvSK_.kd
    .uniform_work_group_size: 1
    .uses_dynamic_stack: false
    .vgpr_count:     0
    .vgpr_spill_count: 0
    .wavefront_size: 64
  - .agpr_count:     0
    .args:
      - .offset:         0
        .size:           88
        .value_kind:     by_value
    .group_segment_fixed_size: 0
    .kernarg_segment_align: 8
    .kernarg_segment_size: 88
    .language:       OpenCL C
    .language_version:
      - 2
      - 0
    .max_flat_workgroup_size: 256
    .name:           _ZN7rocprim17ROCPRIM_400000_NS6detail17trampoline_kernelINS0_14default_configENS1_36segmented_radix_sort_config_selectorIilEEZNS1_25segmented_radix_sort_implIS3_Lb1EPKiPiPKlPlN2at6native12_GLOBAL__N_18offset_tEEE10hipError_tPvRmT1_PNSt15iterator_traitsISK_E10value_typeET2_T3_PNSL_ISQ_E10value_typeET4_jRbjT5_SW_jjP12ihipStream_tbEUlT_E1_NS1_11comp_targetILNS1_3genE0ELNS1_11target_archE4294967295ELNS1_3gpuE0ELNS1_3repE0EEENS1_59segmented_radix_sort_warp_sort_small_config_static_selectorELNS0_4arch9wavefront6targetE1EEEvSK_
    .private_segment_fixed_size: 0
    .sgpr_count:     4
    .sgpr_spill_count: 0
    .symbol:         _ZN7rocprim17ROCPRIM_400000_NS6detail17trampoline_kernelINS0_14default_configENS1_36segmented_radix_sort_config_selectorIilEEZNS1_25segmented_radix_sort_implIS3_Lb1EPKiPiPKlPlN2at6native12_GLOBAL__N_18offset_tEEE10hipError_tPvRmT1_PNSt15iterator_traitsISK_E10value_typeET2_T3_PNSL_ISQ_E10value_typeET4_jRbjT5_SW_jjP12ihipStream_tbEUlT_E1_NS1_11comp_targetILNS1_3genE0ELNS1_11target_archE4294967295ELNS1_3gpuE0ELNS1_3repE0EEENS1_59segmented_radix_sort_warp_sort_small_config_static_selectorELNS0_4arch9wavefront6targetE1EEEvSK_.kd
    .uniform_work_group_size: 1
    .uses_dynamic_stack: false
    .vgpr_count:     0
    .vgpr_spill_count: 0
    .wavefront_size: 64
  - .agpr_count:     0
    .args:
      - .offset:         0
        .size:           88
        .value_kind:     by_value
    .group_segment_fixed_size: 0
    .kernarg_segment_align: 8
    .kernarg_segment_size: 88
    .language:       OpenCL C
    .language_version:
      - 2
      - 0
    .max_flat_workgroup_size: 256
    .name:           _ZN7rocprim17ROCPRIM_400000_NS6detail17trampoline_kernelINS0_14default_configENS1_36segmented_radix_sort_config_selectorIilEEZNS1_25segmented_radix_sort_implIS3_Lb1EPKiPiPKlPlN2at6native12_GLOBAL__N_18offset_tEEE10hipError_tPvRmT1_PNSt15iterator_traitsISK_E10value_typeET2_T3_PNSL_ISQ_E10value_typeET4_jRbjT5_SW_jjP12ihipStream_tbEUlT_E1_NS1_11comp_targetILNS1_3genE5ELNS1_11target_archE942ELNS1_3gpuE9ELNS1_3repE0EEENS1_59segmented_radix_sort_warp_sort_small_config_static_selectorELNS0_4arch9wavefront6targetE1EEEvSK_
    .private_segment_fixed_size: 0
    .sgpr_count:     4
    .sgpr_spill_count: 0
    .symbol:         _ZN7rocprim17ROCPRIM_400000_NS6detail17trampoline_kernelINS0_14default_configENS1_36segmented_radix_sort_config_selectorIilEEZNS1_25segmented_radix_sort_implIS3_Lb1EPKiPiPKlPlN2at6native12_GLOBAL__N_18offset_tEEE10hipError_tPvRmT1_PNSt15iterator_traitsISK_E10value_typeET2_T3_PNSL_ISQ_E10value_typeET4_jRbjT5_SW_jjP12ihipStream_tbEUlT_E1_NS1_11comp_targetILNS1_3genE5ELNS1_11target_archE942ELNS1_3gpuE9ELNS1_3repE0EEENS1_59segmented_radix_sort_warp_sort_small_config_static_selectorELNS0_4arch9wavefront6targetE1EEEvSK_.kd
    .uniform_work_group_size: 1
    .uses_dynamic_stack: false
    .vgpr_count:     0
    .vgpr_spill_count: 0
    .wavefront_size: 64
  - .agpr_count:     0
    .args:
      - .offset:         0
        .size:           88
        .value_kind:     by_value
      - .offset:         88
        .size:           4
        .value_kind:     hidden_block_count_x
      - .offset:         92
        .size:           4
        .value_kind:     hidden_block_count_y
      - .offset:         96
        .size:           4
        .value_kind:     hidden_block_count_z
      - .offset:         100
        .size:           2
        .value_kind:     hidden_group_size_x
      - .offset:         102
        .size:           2
        .value_kind:     hidden_group_size_y
      - .offset:         104
        .size:           2
        .value_kind:     hidden_group_size_z
      - .offset:         106
        .size:           2
        .value_kind:     hidden_remainder_x
      - .offset:         108
        .size:           2
        .value_kind:     hidden_remainder_y
      - .offset:         110
        .size:           2
        .value_kind:     hidden_remainder_z
      - .offset:         128
        .size:           8
        .value_kind:     hidden_global_offset_x
      - .offset:         136
        .size:           8
        .value_kind:     hidden_global_offset_y
      - .offset:         144
        .size:           8
        .value_kind:     hidden_global_offset_z
      - .offset:         152
        .size:           2
        .value_kind:     hidden_grid_dims
      - .offset:         168
        .size:           8
        .value_kind:     hidden_hostcall_buffer
      - .offset:         176
        .size:           8
        .value_kind:     hidden_multigrid_sync_arg
      - .offset:         184
        .size:           8
        .value_kind:     hidden_heap_v1
      - .offset:         192
        .size:           8
        .value_kind:     hidden_default_queue
      - .offset:         200
        .size:           8
        .value_kind:     hidden_completion_action
      - .offset:         288
        .size:           8
        .value_kind:     hidden_queue_ptr
    .group_segment_fixed_size: 12288
    .kernarg_segment_align: 8
    .kernarg_segment_size: 344
    .language:       OpenCL C
    .language_version:
      - 2
      - 0
    .max_flat_workgroup_size: 256
    .name:           _ZN7rocprim17ROCPRIM_400000_NS6detail17trampoline_kernelINS0_14default_configENS1_36segmented_radix_sort_config_selectorIilEEZNS1_25segmented_radix_sort_implIS3_Lb1EPKiPiPKlPlN2at6native12_GLOBAL__N_18offset_tEEE10hipError_tPvRmT1_PNSt15iterator_traitsISK_E10value_typeET2_T3_PNSL_ISQ_E10value_typeET4_jRbjT5_SW_jjP12ihipStream_tbEUlT_E1_NS1_11comp_targetILNS1_3genE4ELNS1_11target_archE910ELNS1_3gpuE8ELNS1_3repE0EEENS1_59segmented_radix_sort_warp_sort_small_config_static_selectorELNS0_4arch9wavefront6targetE1EEEvSK_
    .private_segment_fixed_size: 0
    .sgpr_count:     56
    .sgpr_spill_count: 0
    .symbol:         _ZN7rocprim17ROCPRIM_400000_NS6detail17trampoline_kernelINS0_14default_configENS1_36segmented_radix_sort_config_selectorIilEEZNS1_25segmented_radix_sort_implIS3_Lb1EPKiPiPKlPlN2at6native12_GLOBAL__N_18offset_tEEE10hipError_tPvRmT1_PNSt15iterator_traitsISK_E10value_typeET2_T3_PNSL_ISQ_E10value_typeET4_jRbjT5_SW_jjP12ihipStream_tbEUlT_E1_NS1_11comp_targetILNS1_3genE4ELNS1_11target_archE910ELNS1_3gpuE8ELNS1_3repE0EEENS1_59segmented_radix_sort_warp_sort_small_config_static_selectorELNS0_4arch9wavefront6targetE1EEEvSK_.kd
    .uniform_work_group_size: 1
    .uses_dynamic_stack: false
    .vgpr_count:     99
    .vgpr_spill_count: 0
    .wavefront_size: 64
  - .agpr_count:     0
    .args:
      - .offset:         0
        .size:           88
        .value_kind:     by_value
    .group_segment_fixed_size: 0
    .kernarg_segment_align: 8
    .kernarg_segment_size: 88
    .language:       OpenCL C
    .language_version:
      - 2
      - 0
    .max_flat_workgroup_size: 256
    .name:           _ZN7rocprim17ROCPRIM_400000_NS6detail17trampoline_kernelINS0_14default_configENS1_36segmented_radix_sort_config_selectorIilEEZNS1_25segmented_radix_sort_implIS3_Lb1EPKiPiPKlPlN2at6native12_GLOBAL__N_18offset_tEEE10hipError_tPvRmT1_PNSt15iterator_traitsISK_E10value_typeET2_T3_PNSL_ISQ_E10value_typeET4_jRbjT5_SW_jjP12ihipStream_tbEUlT_E1_NS1_11comp_targetILNS1_3genE3ELNS1_11target_archE908ELNS1_3gpuE7ELNS1_3repE0EEENS1_59segmented_radix_sort_warp_sort_small_config_static_selectorELNS0_4arch9wavefront6targetE1EEEvSK_
    .private_segment_fixed_size: 0
    .sgpr_count:     4
    .sgpr_spill_count: 0
    .symbol:         _ZN7rocprim17ROCPRIM_400000_NS6detail17trampoline_kernelINS0_14default_configENS1_36segmented_radix_sort_config_selectorIilEEZNS1_25segmented_radix_sort_implIS3_Lb1EPKiPiPKlPlN2at6native12_GLOBAL__N_18offset_tEEE10hipError_tPvRmT1_PNSt15iterator_traitsISK_E10value_typeET2_T3_PNSL_ISQ_E10value_typeET4_jRbjT5_SW_jjP12ihipStream_tbEUlT_E1_NS1_11comp_targetILNS1_3genE3ELNS1_11target_archE908ELNS1_3gpuE7ELNS1_3repE0EEENS1_59segmented_radix_sort_warp_sort_small_config_static_selectorELNS0_4arch9wavefront6targetE1EEEvSK_.kd
    .uniform_work_group_size: 1
    .uses_dynamic_stack: false
    .vgpr_count:     0
    .vgpr_spill_count: 0
    .wavefront_size: 64
  - .agpr_count:     0
    .args:
      - .offset:         0
        .size:           88
        .value_kind:     by_value
    .group_segment_fixed_size: 0
    .kernarg_segment_align: 8
    .kernarg_segment_size: 88
    .language:       OpenCL C
    .language_version:
      - 2
      - 0
    .max_flat_workgroup_size: 256
    .name:           _ZN7rocprim17ROCPRIM_400000_NS6detail17trampoline_kernelINS0_14default_configENS1_36segmented_radix_sort_config_selectorIilEEZNS1_25segmented_radix_sort_implIS3_Lb1EPKiPiPKlPlN2at6native12_GLOBAL__N_18offset_tEEE10hipError_tPvRmT1_PNSt15iterator_traitsISK_E10value_typeET2_T3_PNSL_ISQ_E10value_typeET4_jRbjT5_SW_jjP12ihipStream_tbEUlT_E1_NS1_11comp_targetILNS1_3genE2ELNS1_11target_archE906ELNS1_3gpuE6ELNS1_3repE0EEENS1_59segmented_radix_sort_warp_sort_small_config_static_selectorELNS0_4arch9wavefront6targetE1EEEvSK_
    .private_segment_fixed_size: 0
    .sgpr_count:     4
    .sgpr_spill_count: 0
    .symbol:         _ZN7rocprim17ROCPRIM_400000_NS6detail17trampoline_kernelINS0_14default_configENS1_36segmented_radix_sort_config_selectorIilEEZNS1_25segmented_radix_sort_implIS3_Lb1EPKiPiPKlPlN2at6native12_GLOBAL__N_18offset_tEEE10hipError_tPvRmT1_PNSt15iterator_traitsISK_E10value_typeET2_T3_PNSL_ISQ_E10value_typeET4_jRbjT5_SW_jjP12ihipStream_tbEUlT_E1_NS1_11comp_targetILNS1_3genE2ELNS1_11target_archE906ELNS1_3gpuE6ELNS1_3repE0EEENS1_59segmented_radix_sort_warp_sort_small_config_static_selectorELNS0_4arch9wavefront6targetE1EEEvSK_.kd
    .uniform_work_group_size: 1
    .uses_dynamic_stack: false
    .vgpr_count:     0
    .vgpr_spill_count: 0
    .wavefront_size: 64
  - .agpr_count:     0
    .args:
      - .offset:         0
        .size:           88
        .value_kind:     by_value
    .group_segment_fixed_size: 0
    .kernarg_segment_align: 8
    .kernarg_segment_size: 88
    .language:       OpenCL C
    .language_version:
      - 2
      - 0
    .max_flat_workgroup_size: 256
    .name:           _ZN7rocprim17ROCPRIM_400000_NS6detail17trampoline_kernelINS0_14default_configENS1_36segmented_radix_sort_config_selectorIilEEZNS1_25segmented_radix_sort_implIS3_Lb1EPKiPiPKlPlN2at6native12_GLOBAL__N_18offset_tEEE10hipError_tPvRmT1_PNSt15iterator_traitsISK_E10value_typeET2_T3_PNSL_ISQ_E10value_typeET4_jRbjT5_SW_jjP12ihipStream_tbEUlT_E1_NS1_11comp_targetILNS1_3genE10ELNS1_11target_archE1201ELNS1_3gpuE5ELNS1_3repE0EEENS1_59segmented_radix_sort_warp_sort_small_config_static_selectorELNS0_4arch9wavefront6targetE1EEEvSK_
    .private_segment_fixed_size: 0
    .sgpr_count:     4
    .sgpr_spill_count: 0
    .symbol:         _ZN7rocprim17ROCPRIM_400000_NS6detail17trampoline_kernelINS0_14default_configENS1_36segmented_radix_sort_config_selectorIilEEZNS1_25segmented_radix_sort_implIS3_Lb1EPKiPiPKlPlN2at6native12_GLOBAL__N_18offset_tEEE10hipError_tPvRmT1_PNSt15iterator_traitsISK_E10value_typeET2_T3_PNSL_ISQ_E10value_typeET4_jRbjT5_SW_jjP12ihipStream_tbEUlT_E1_NS1_11comp_targetILNS1_3genE10ELNS1_11target_archE1201ELNS1_3gpuE5ELNS1_3repE0EEENS1_59segmented_radix_sort_warp_sort_small_config_static_selectorELNS0_4arch9wavefront6targetE1EEEvSK_.kd
    .uniform_work_group_size: 1
    .uses_dynamic_stack: false
    .vgpr_count:     0
    .vgpr_spill_count: 0
    .wavefront_size: 64
  - .agpr_count:     0
    .args:
      - .offset:         0
        .size:           88
        .value_kind:     by_value
    .group_segment_fixed_size: 0
    .kernarg_segment_align: 8
    .kernarg_segment_size: 88
    .language:       OpenCL C
    .language_version:
      - 2
      - 0
    .max_flat_workgroup_size: 256
    .name:           _ZN7rocprim17ROCPRIM_400000_NS6detail17trampoline_kernelINS0_14default_configENS1_36segmented_radix_sort_config_selectorIilEEZNS1_25segmented_radix_sort_implIS3_Lb1EPKiPiPKlPlN2at6native12_GLOBAL__N_18offset_tEEE10hipError_tPvRmT1_PNSt15iterator_traitsISK_E10value_typeET2_T3_PNSL_ISQ_E10value_typeET4_jRbjT5_SW_jjP12ihipStream_tbEUlT_E1_NS1_11comp_targetILNS1_3genE10ELNS1_11target_archE1200ELNS1_3gpuE4ELNS1_3repE0EEENS1_59segmented_radix_sort_warp_sort_small_config_static_selectorELNS0_4arch9wavefront6targetE1EEEvSK_
    .private_segment_fixed_size: 0
    .sgpr_count:     4
    .sgpr_spill_count: 0
    .symbol:         _ZN7rocprim17ROCPRIM_400000_NS6detail17trampoline_kernelINS0_14default_configENS1_36segmented_radix_sort_config_selectorIilEEZNS1_25segmented_radix_sort_implIS3_Lb1EPKiPiPKlPlN2at6native12_GLOBAL__N_18offset_tEEE10hipError_tPvRmT1_PNSt15iterator_traitsISK_E10value_typeET2_T3_PNSL_ISQ_E10value_typeET4_jRbjT5_SW_jjP12ihipStream_tbEUlT_E1_NS1_11comp_targetILNS1_3genE10ELNS1_11target_archE1200ELNS1_3gpuE4ELNS1_3repE0EEENS1_59segmented_radix_sort_warp_sort_small_config_static_selectorELNS0_4arch9wavefront6targetE1EEEvSK_.kd
    .uniform_work_group_size: 1
    .uses_dynamic_stack: false
    .vgpr_count:     0
    .vgpr_spill_count: 0
    .wavefront_size: 64
  - .agpr_count:     0
    .args:
      - .offset:         0
        .size:           88
        .value_kind:     by_value
    .group_segment_fixed_size: 0
    .kernarg_segment_align: 8
    .kernarg_segment_size: 88
    .language:       OpenCL C
    .language_version:
      - 2
      - 0
    .max_flat_workgroup_size: 256
    .name:           _ZN7rocprim17ROCPRIM_400000_NS6detail17trampoline_kernelINS0_14default_configENS1_36segmented_radix_sort_config_selectorIilEEZNS1_25segmented_radix_sort_implIS3_Lb1EPKiPiPKlPlN2at6native12_GLOBAL__N_18offset_tEEE10hipError_tPvRmT1_PNSt15iterator_traitsISK_E10value_typeET2_T3_PNSL_ISQ_E10value_typeET4_jRbjT5_SW_jjP12ihipStream_tbEUlT_E1_NS1_11comp_targetILNS1_3genE9ELNS1_11target_archE1100ELNS1_3gpuE3ELNS1_3repE0EEENS1_59segmented_radix_sort_warp_sort_small_config_static_selectorELNS0_4arch9wavefront6targetE1EEEvSK_
    .private_segment_fixed_size: 0
    .sgpr_count:     4
    .sgpr_spill_count: 0
    .symbol:         _ZN7rocprim17ROCPRIM_400000_NS6detail17trampoline_kernelINS0_14default_configENS1_36segmented_radix_sort_config_selectorIilEEZNS1_25segmented_radix_sort_implIS3_Lb1EPKiPiPKlPlN2at6native12_GLOBAL__N_18offset_tEEE10hipError_tPvRmT1_PNSt15iterator_traitsISK_E10value_typeET2_T3_PNSL_ISQ_E10value_typeET4_jRbjT5_SW_jjP12ihipStream_tbEUlT_E1_NS1_11comp_targetILNS1_3genE9ELNS1_11target_archE1100ELNS1_3gpuE3ELNS1_3repE0EEENS1_59segmented_radix_sort_warp_sort_small_config_static_selectorELNS0_4arch9wavefront6targetE1EEEvSK_.kd
    .uniform_work_group_size: 1
    .uses_dynamic_stack: false
    .vgpr_count:     0
    .vgpr_spill_count: 0
    .wavefront_size: 64
  - .agpr_count:     0
    .args:
      - .offset:         0
        .size:           88
        .value_kind:     by_value
    .group_segment_fixed_size: 0
    .kernarg_segment_align: 8
    .kernarg_segment_size: 88
    .language:       OpenCL C
    .language_version:
      - 2
      - 0
    .max_flat_workgroup_size: 256
    .name:           _ZN7rocprim17ROCPRIM_400000_NS6detail17trampoline_kernelINS0_14default_configENS1_36segmented_radix_sort_config_selectorIilEEZNS1_25segmented_radix_sort_implIS3_Lb1EPKiPiPKlPlN2at6native12_GLOBAL__N_18offset_tEEE10hipError_tPvRmT1_PNSt15iterator_traitsISK_E10value_typeET2_T3_PNSL_ISQ_E10value_typeET4_jRbjT5_SW_jjP12ihipStream_tbEUlT_E1_NS1_11comp_targetILNS1_3genE8ELNS1_11target_archE1030ELNS1_3gpuE2ELNS1_3repE0EEENS1_59segmented_radix_sort_warp_sort_small_config_static_selectorELNS0_4arch9wavefront6targetE1EEEvSK_
    .private_segment_fixed_size: 0
    .sgpr_count:     4
    .sgpr_spill_count: 0
    .symbol:         _ZN7rocprim17ROCPRIM_400000_NS6detail17trampoline_kernelINS0_14default_configENS1_36segmented_radix_sort_config_selectorIilEEZNS1_25segmented_radix_sort_implIS3_Lb1EPKiPiPKlPlN2at6native12_GLOBAL__N_18offset_tEEE10hipError_tPvRmT1_PNSt15iterator_traitsISK_E10value_typeET2_T3_PNSL_ISQ_E10value_typeET4_jRbjT5_SW_jjP12ihipStream_tbEUlT_E1_NS1_11comp_targetILNS1_3genE8ELNS1_11target_archE1030ELNS1_3gpuE2ELNS1_3repE0EEENS1_59segmented_radix_sort_warp_sort_small_config_static_selectorELNS0_4arch9wavefront6targetE1EEEvSK_.kd
    .uniform_work_group_size: 1
    .uses_dynamic_stack: false
    .vgpr_count:     0
    .vgpr_spill_count: 0
    .wavefront_size: 64
  - .agpr_count:     0
    .args:
      - .offset:         0
        .size:           80
        .value_kind:     by_value
    .group_segment_fixed_size: 0
    .kernarg_segment_align: 8
    .kernarg_segment_size: 80
    .language:       OpenCL C
    .language_version:
      - 2
      - 0
    .max_flat_workgroup_size: 256
    .name:           _ZN7rocprim17ROCPRIM_400000_NS6detail17trampoline_kernelINS0_14default_configENS1_36segmented_radix_sort_config_selectorIilEEZNS1_25segmented_radix_sort_implIS3_Lb1EPKiPiPKlPlN2at6native12_GLOBAL__N_18offset_tEEE10hipError_tPvRmT1_PNSt15iterator_traitsISK_E10value_typeET2_T3_PNSL_ISQ_E10value_typeET4_jRbjT5_SW_jjP12ihipStream_tbEUlT_E2_NS1_11comp_targetILNS1_3genE0ELNS1_11target_archE4294967295ELNS1_3gpuE0ELNS1_3repE0EEENS1_30default_config_static_selectorELNS0_4arch9wavefront6targetE1EEEvSK_
    .private_segment_fixed_size: 0
    .sgpr_count:     4
    .sgpr_spill_count: 0
    .symbol:         _ZN7rocprim17ROCPRIM_400000_NS6detail17trampoline_kernelINS0_14default_configENS1_36segmented_radix_sort_config_selectorIilEEZNS1_25segmented_radix_sort_implIS3_Lb1EPKiPiPKlPlN2at6native12_GLOBAL__N_18offset_tEEE10hipError_tPvRmT1_PNSt15iterator_traitsISK_E10value_typeET2_T3_PNSL_ISQ_E10value_typeET4_jRbjT5_SW_jjP12ihipStream_tbEUlT_E2_NS1_11comp_targetILNS1_3genE0ELNS1_11target_archE4294967295ELNS1_3gpuE0ELNS1_3repE0EEENS1_30default_config_static_selectorELNS0_4arch9wavefront6targetE1EEEvSK_.kd
    .uniform_work_group_size: 1
    .uses_dynamic_stack: false
    .vgpr_count:     0
    .vgpr_spill_count: 0
    .wavefront_size: 64
  - .agpr_count:     0
    .args:
      - .offset:         0
        .size:           80
        .value_kind:     by_value
    .group_segment_fixed_size: 0
    .kernarg_segment_align: 8
    .kernarg_segment_size: 80
    .language:       OpenCL C
    .language_version:
      - 2
      - 0
    .max_flat_workgroup_size: 256
    .name:           _ZN7rocprim17ROCPRIM_400000_NS6detail17trampoline_kernelINS0_14default_configENS1_36segmented_radix_sort_config_selectorIilEEZNS1_25segmented_radix_sort_implIS3_Lb1EPKiPiPKlPlN2at6native12_GLOBAL__N_18offset_tEEE10hipError_tPvRmT1_PNSt15iterator_traitsISK_E10value_typeET2_T3_PNSL_ISQ_E10value_typeET4_jRbjT5_SW_jjP12ihipStream_tbEUlT_E2_NS1_11comp_targetILNS1_3genE5ELNS1_11target_archE942ELNS1_3gpuE9ELNS1_3repE0EEENS1_30default_config_static_selectorELNS0_4arch9wavefront6targetE1EEEvSK_
    .private_segment_fixed_size: 0
    .sgpr_count:     4
    .sgpr_spill_count: 0
    .symbol:         _ZN7rocprim17ROCPRIM_400000_NS6detail17trampoline_kernelINS0_14default_configENS1_36segmented_radix_sort_config_selectorIilEEZNS1_25segmented_radix_sort_implIS3_Lb1EPKiPiPKlPlN2at6native12_GLOBAL__N_18offset_tEEE10hipError_tPvRmT1_PNSt15iterator_traitsISK_E10value_typeET2_T3_PNSL_ISQ_E10value_typeET4_jRbjT5_SW_jjP12ihipStream_tbEUlT_E2_NS1_11comp_targetILNS1_3genE5ELNS1_11target_archE942ELNS1_3gpuE9ELNS1_3repE0EEENS1_30default_config_static_selectorELNS0_4arch9wavefront6targetE1EEEvSK_.kd
    .uniform_work_group_size: 1
    .uses_dynamic_stack: false
    .vgpr_count:     0
    .vgpr_spill_count: 0
    .wavefront_size: 64
  - .agpr_count:     32
    .args:
      - .offset:         0
        .size:           80
        .value_kind:     by_value
      - .offset:         80
        .size:           4
        .value_kind:     hidden_block_count_x
      - .offset:         84
        .size:           4
        .value_kind:     hidden_block_count_y
      - .offset:         88
        .size:           4
        .value_kind:     hidden_block_count_z
      - .offset:         92
        .size:           2
        .value_kind:     hidden_group_size_x
      - .offset:         94
        .size:           2
        .value_kind:     hidden_group_size_y
      - .offset:         96
        .size:           2
        .value_kind:     hidden_group_size_z
      - .offset:         98
        .size:           2
        .value_kind:     hidden_remainder_x
      - .offset:         100
        .size:           2
        .value_kind:     hidden_remainder_y
      - .offset:         102
        .size:           2
        .value_kind:     hidden_remainder_z
      - .offset:         120
        .size:           8
        .value_kind:     hidden_global_offset_x
      - .offset:         128
        .size:           8
        .value_kind:     hidden_global_offset_y
      - .offset:         136
        .size:           8
        .value_kind:     hidden_global_offset_z
      - .offset:         144
        .size:           2
        .value_kind:     hidden_grid_dims
      - .offset:         160
        .size:           8
        .value_kind:     hidden_hostcall_buffer
      - .offset:         168
        .size:           8
        .value_kind:     hidden_multigrid_sync_arg
      - .offset:         176
        .size:           8
        .value_kind:     hidden_heap_v1
      - .offset:         184
        .size:           8
        .value_kind:     hidden_default_queue
      - .offset:         192
        .size:           8
        .value_kind:     hidden_completion_action
      - .offset:         280
        .size:           8
        .value_kind:     hidden_queue_ptr
    .group_segment_fixed_size: 33808
    .kernarg_segment_align: 8
    .kernarg_segment_size: 336
    .language:       OpenCL C
    .language_version:
      - 2
      - 0
    .max_flat_workgroup_size: 256
    .name:           _ZN7rocprim17ROCPRIM_400000_NS6detail17trampoline_kernelINS0_14default_configENS1_36segmented_radix_sort_config_selectorIilEEZNS1_25segmented_radix_sort_implIS3_Lb1EPKiPiPKlPlN2at6native12_GLOBAL__N_18offset_tEEE10hipError_tPvRmT1_PNSt15iterator_traitsISK_E10value_typeET2_T3_PNSL_ISQ_E10value_typeET4_jRbjT5_SW_jjP12ihipStream_tbEUlT_E2_NS1_11comp_targetILNS1_3genE4ELNS1_11target_archE910ELNS1_3gpuE8ELNS1_3repE0EEENS1_30default_config_static_selectorELNS0_4arch9wavefront6targetE1EEEvSK_
    .private_segment_fixed_size: 264
    .sgpr_count:     103
    .sgpr_spill_count: 0
    .symbol:         _ZN7rocprim17ROCPRIM_400000_NS6detail17trampoline_kernelINS0_14default_configENS1_36segmented_radix_sort_config_selectorIilEEZNS1_25segmented_radix_sort_implIS3_Lb1EPKiPiPKlPlN2at6native12_GLOBAL__N_18offset_tEEE10hipError_tPvRmT1_PNSt15iterator_traitsISK_E10value_typeET2_T3_PNSL_ISQ_E10value_typeET4_jRbjT5_SW_jjP12ihipStream_tbEUlT_E2_NS1_11comp_targetILNS1_3genE4ELNS1_11target_archE910ELNS1_3gpuE8ELNS1_3repE0EEENS1_30default_config_static_selectorELNS0_4arch9wavefront6targetE1EEEvSK_.kd
    .uniform_work_group_size: 1
    .uses_dynamic_stack: false
    .vgpr_count:     280
    .vgpr_spill_count: 0
    .wavefront_size: 64
  - .agpr_count:     0
    .args:
      - .offset:         0
        .size:           80
        .value_kind:     by_value
    .group_segment_fixed_size: 0
    .kernarg_segment_align: 8
    .kernarg_segment_size: 80
    .language:       OpenCL C
    .language_version:
      - 2
      - 0
    .max_flat_workgroup_size: 256
    .name:           _ZN7rocprim17ROCPRIM_400000_NS6detail17trampoline_kernelINS0_14default_configENS1_36segmented_radix_sort_config_selectorIilEEZNS1_25segmented_radix_sort_implIS3_Lb1EPKiPiPKlPlN2at6native12_GLOBAL__N_18offset_tEEE10hipError_tPvRmT1_PNSt15iterator_traitsISK_E10value_typeET2_T3_PNSL_ISQ_E10value_typeET4_jRbjT5_SW_jjP12ihipStream_tbEUlT_E2_NS1_11comp_targetILNS1_3genE3ELNS1_11target_archE908ELNS1_3gpuE7ELNS1_3repE0EEENS1_30default_config_static_selectorELNS0_4arch9wavefront6targetE1EEEvSK_
    .private_segment_fixed_size: 0
    .sgpr_count:     4
    .sgpr_spill_count: 0
    .symbol:         _ZN7rocprim17ROCPRIM_400000_NS6detail17trampoline_kernelINS0_14default_configENS1_36segmented_radix_sort_config_selectorIilEEZNS1_25segmented_radix_sort_implIS3_Lb1EPKiPiPKlPlN2at6native12_GLOBAL__N_18offset_tEEE10hipError_tPvRmT1_PNSt15iterator_traitsISK_E10value_typeET2_T3_PNSL_ISQ_E10value_typeET4_jRbjT5_SW_jjP12ihipStream_tbEUlT_E2_NS1_11comp_targetILNS1_3genE3ELNS1_11target_archE908ELNS1_3gpuE7ELNS1_3repE0EEENS1_30default_config_static_selectorELNS0_4arch9wavefront6targetE1EEEvSK_.kd
    .uniform_work_group_size: 1
    .uses_dynamic_stack: false
    .vgpr_count:     0
    .vgpr_spill_count: 0
    .wavefront_size: 64
  - .agpr_count:     0
    .args:
      - .offset:         0
        .size:           80
        .value_kind:     by_value
    .group_segment_fixed_size: 0
    .kernarg_segment_align: 8
    .kernarg_segment_size: 80
    .language:       OpenCL C
    .language_version:
      - 2
      - 0
    .max_flat_workgroup_size: 256
    .name:           _ZN7rocprim17ROCPRIM_400000_NS6detail17trampoline_kernelINS0_14default_configENS1_36segmented_radix_sort_config_selectorIilEEZNS1_25segmented_radix_sort_implIS3_Lb1EPKiPiPKlPlN2at6native12_GLOBAL__N_18offset_tEEE10hipError_tPvRmT1_PNSt15iterator_traitsISK_E10value_typeET2_T3_PNSL_ISQ_E10value_typeET4_jRbjT5_SW_jjP12ihipStream_tbEUlT_E2_NS1_11comp_targetILNS1_3genE2ELNS1_11target_archE906ELNS1_3gpuE6ELNS1_3repE0EEENS1_30default_config_static_selectorELNS0_4arch9wavefront6targetE1EEEvSK_
    .private_segment_fixed_size: 0
    .sgpr_count:     4
    .sgpr_spill_count: 0
    .symbol:         _ZN7rocprim17ROCPRIM_400000_NS6detail17trampoline_kernelINS0_14default_configENS1_36segmented_radix_sort_config_selectorIilEEZNS1_25segmented_radix_sort_implIS3_Lb1EPKiPiPKlPlN2at6native12_GLOBAL__N_18offset_tEEE10hipError_tPvRmT1_PNSt15iterator_traitsISK_E10value_typeET2_T3_PNSL_ISQ_E10value_typeET4_jRbjT5_SW_jjP12ihipStream_tbEUlT_E2_NS1_11comp_targetILNS1_3genE2ELNS1_11target_archE906ELNS1_3gpuE6ELNS1_3repE0EEENS1_30default_config_static_selectorELNS0_4arch9wavefront6targetE1EEEvSK_.kd
    .uniform_work_group_size: 1
    .uses_dynamic_stack: false
    .vgpr_count:     0
    .vgpr_spill_count: 0
    .wavefront_size: 64
  - .agpr_count:     0
    .args:
      - .offset:         0
        .size:           80
        .value_kind:     by_value
    .group_segment_fixed_size: 0
    .kernarg_segment_align: 8
    .kernarg_segment_size: 80
    .language:       OpenCL C
    .language_version:
      - 2
      - 0
    .max_flat_workgroup_size: 256
    .name:           _ZN7rocprim17ROCPRIM_400000_NS6detail17trampoline_kernelINS0_14default_configENS1_36segmented_radix_sort_config_selectorIilEEZNS1_25segmented_radix_sort_implIS3_Lb1EPKiPiPKlPlN2at6native12_GLOBAL__N_18offset_tEEE10hipError_tPvRmT1_PNSt15iterator_traitsISK_E10value_typeET2_T3_PNSL_ISQ_E10value_typeET4_jRbjT5_SW_jjP12ihipStream_tbEUlT_E2_NS1_11comp_targetILNS1_3genE10ELNS1_11target_archE1201ELNS1_3gpuE5ELNS1_3repE0EEENS1_30default_config_static_selectorELNS0_4arch9wavefront6targetE1EEEvSK_
    .private_segment_fixed_size: 0
    .sgpr_count:     4
    .sgpr_spill_count: 0
    .symbol:         _ZN7rocprim17ROCPRIM_400000_NS6detail17trampoline_kernelINS0_14default_configENS1_36segmented_radix_sort_config_selectorIilEEZNS1_25segmented_radix_sort_implIS3_Lb1EPKiPiPKlPlN2at6native12_GLOBAL__N_18offset_tEEE10hipError_tPvRmT1_PNSt15iterator_traitsISK_E10value_typeET2_T3_PNSL_ISQ_E10value_typeET4_jRbjT5_SW_jjP12ihipStream_tbEUlT_E2_NS1_11comp_targetILNS1_3genE10ELNS1_11target_archE1201ELNS1_3gpuE5ELNS1_3repE0EEENS1_30default_config_static_selectorELNS0_4arch9wavefront6targetE1EEEvSK_.kd
    .uniform_work_group_size: 1
    .uses_dynamic_stack: false
    .vgpr_count:     0
    .vgpr_spill_count: 0
    .wavefront_size: 64
  - .agpr_count:     0
    .args:
      - .offset:         0
        .size:           80
        .value_kind:     by_value
    .group_segment_fixed_size: 0
    .kernarg_segment_align: 8
    .kernarg_segment_size: 80
    .language:       OpenCL C
    .language_version:
      - 2
      - 0
    .max_flat_workgroup_size: 128
    .name:           _ZN7rocprim17ROCPRIM_400000_NS6detail17trampoline_kernelINS0_14default_configENS1_36segmented_radix_sort_config_selectorIilEEZNS1_25segmented_radix_sort_implIS3_Lb1EPKiPiPKlPlN2at6native12_GLOBAL__N_18offset_tEEE10hipError_tPvRmT1_PNSt15iterator_traitsISK_E10value_typeET2_T3_PNSL_ISQ_E10value_typeET4_jRbjT5_SW_jjP12ihipStream_tbEUlT_E2_NS1_11comp_targetILNS1_3genE10ELNS1_11target_archE1200ELNS1_3gpuE4ELNS1_3repE0EEENS1_30default_config_static_selectorELNS0_4arch9wavefront6targetE1EEEvSK_
    .private_segment_fixed_size: 0
    .sgpr_count:     4
    .sgpr_spill_count: 0
    .symbol:         _ZN7rocprim17ROCPRIM_400000_NS6detail17trampoline_kernelINS0_14default_configENS1_36segmented_radix_sort_config_selectorIilEEZNS1_25segmented_radix_sort_implIS3_Lb1EPKiPiPKlPlN2at6native12_GLOBAL__N_18offset_tEEE10hipError_tPvRmT1_PNSt15iterator_traitsISK_E10value_typeET2_T3_PNSL_ISQ_E10value_typeET4_jRbjT5_SW_jjP12ihipStream_tbEUlT_E2_NS1_11comp_targetILNS1_3genE10ELNS1_11target_archE1200ELNS1_3gpuE4ELNS1_3repE0EEENS1_30default_config_static_selectorELNS0_4arch9wavefront6targetE1EEEvSK_.kd
    .uniform_work_group_size: 1
    .uses_dynamic_stack: false
    .vgpr_count:     0
    .vgpr_spill_count: 0
    .wavefront_size: 64
  - .agpr_count:     0
    .args:
      - .offset:         0
        .size:           80
        .value_kind:     by_value
    .group_segment_fixed_size: 0
    .kernarg_segment_align: 8
    .kernarg_segment_size: 80
    .language:       OpenCL C
    .language_version:
      - 2
      - 0
    .max_flat_workgroup_size: 256
    .name:           _ZN7rocprim17ROCPRIM_400000_NS6detail17trampoline_kernelINS0_14default_configENS1_36segmented_radix_sort_config_selectorIilEEZNS1_25segmented_radix_sort_implIS3_Lb1EPKiPiPKlPlN2at6native12_GLOBAL__N_18offset_tEEE10hipError_tPvRmT1_PNSt15iterator_traitsISK_E10value_typeET2_T3_PNSL_ISQ_E10value_typeET4_jRbjT5_SW_jjP12ihipStream_tbEUlT_E2_NS1_11comp_targetILNS1_3genE9ELNS1_11target_archE1100ELNS1_3gpuE3ELNS1_3repE0EEENS1_30default_config_static_selectorELNS0_4arch9wavefront6targetE1EEEvSK_
    .private_segment_fixed_size: 0
    .sgpr_count:     4
    .sgpr_spill_count: 0
    .symbol:         _ZN7rocprim17ROCPRIM_400000_NS6detail17trampoline_kernelINS0_14default_configENS1_36segmented_radix_sort_config_selectorIilEEZNS1_25segmented_radix_sort_implIS3_Lb1EPKiPiPKlPlN2at6native12_GLOBAL__N_18offset_tEEE10hipError_tPvRmT1_PNSt15iterator_traitsISK_E10value_typeET2_T3_PNSL_ISQ_E10value_typeET4_jRbjT5_SW_jjP12ihipStream_tbEUlT_E2_NS1_11comp_targetILNS1_3genE9ELNS1_11target_archE1100ELNS1_3gpuE3ELNS1_3repE0EEENS1_30default_config_static_selectorELNS0_4arch9wavefront6targetE1EEEvSK_.kd
    .uniform_work_group_size: 1
    .uses_dynamic_stack: false
    .vgpr_count:     0
    .vgpr_spill_count: 0
    .wavefront_size: 64
  - .agpr_count:     0
    .args:
      - .offset:         0
        .size:           80
        .value_kind:     by_value
    .group_segment_fixed_size: 0
    .kernarg_segment_align: 8
    .kernarg_segment_size: 80
    .language:       OpenCL C
    .language_version:
      - 2
      - 0
    .max_flat_workgroup_size: 256
    .name:           _ZN7rocprim17ROCPRIM_400000_NS6detail17trampoline_kernelINS0_14default_configENS1_36segmented_radix_sort_config_selectorIilEEZNS1_25segmented_radix_sort_implIS3_Lb1EPKiPiPKlPlN2at6native12_GLOBAL__N_18offset_tEEE10hipError_tPvRmT1_PNSt15iterator_traitsISK_E10value_typeET2_T3_PNSL_ISQ_E10value_typeET4_jRbjT5_SW_jjP12ihipStream_tbEUlT_E2_NS1_11comp_targetILNS1_3genE8ELNS1_11target_archE1030ELNS1_3gpuE2ELNS1_3repE0EEENS1_30default_config_static_selectorELNS0_4arch9wavefront6targetE1EEEvSK_
    .private_segment_fixed_size: 0
    .sgpr_count:     4
    .sgpr_spill_count: 0
    .symbol:         _ZN7rocprim17ROCPRIM_400000_NS6detail17trampoline_kernelINS0_14default_configENS1_36segmented_radix_sort_config_selectorIilEEZNS1_25segmented_radix_sort_implIS3_Lb1EPKiPiPKlPlN2at6native12_GLOBAL__N_18offset_tEEE10hipError_tPvRmT1_PNSt15iterator_traitsISK_E10value_typeET2_T3_PNSL_ISQ_E10value_typeET4_jRbjT5_SW_jjP12ihipStream_tbEUlT_E2_NS1_11comp_targetILNS1_3genE8ELNS1_11target_archE1030ELNS1_3gpuE2ELNS1_3repE0EEENS1_30default_config_static_selectorELNS0_4arch9wavefront6targetE1EEEvSK_.kd
    .uniform_work_group_size: 1
    .uses_dynamic_stack: false
    .vgpr_count:     0
    .vgpr_spill_count: 0
    .wavefront_size: 64
  - .agpr_count:     0
    .args:
      - .offset:         0
        .size:           176
        .value_kind:     by_value
    .group_segment_fixed_size: 0
    .kernarg_segment_align: 8
    .kernarg_segment_size: 176
    .language:       OpenCL C
    .language_version:
      - 2
      - 0
    .max_flat_workgroup_size: 256
    .name:           _ZN7rocprim17ROCPRIM_400000_NS6detail17trampoline_kernelINS0_13select_configILj256ELj13ELNS0_17block_load_methodE3ELS4_3ELS4_3ELNS0_20block_scan_algorithmE0ELj4294967295EEENS1_25partition_config_selectorILNS1_17partition_subalgoE4EjNS0_10empty_typeEbEEZZNS1_14partition_implILS8_4ELb0ES6_15HIP_vector_typeIjLj2EENS0_17counting_iteratorIjlEEPS9_SG_NS0_5tupleIJPjSI_NS0_16reverse_iteratorISI_EEEEENSH_IJSG_SG_SG_EEES9_SI_JZNS1_25segmented_radix_sort_implINS0_14default_configELb0EPKiPiPKlPlN2at6native12_GLOBAL__N_18offset_tEEE10hipError_tPvRmT1_PNSt15iterator_traitsIS12_E10value_typeET2_T3_PNS13_IS18_E10value_typeET4_jRbjT5_S1E_jjP12ihipStream_tbEUljE_ZNSN_ISO_Lb0ESQ_SR_ST_SU_SY_EESZ_S10_S11_S12_S16_S17_S18_S1B_S1C_jS1D_jS1E_S1E_jjS1G_bEUljE0_EEESZ_S10_S11_S18_S1C_S1E_T6_T7_T9_mT8_S1G_bDpT10_ENKUlT_T0_E_clISt17integral_constantIbLb0EES1U_EEDaS1P_S1Q_EUlS1P_E_NS1_11comp_targetILNS1_3genE0ELNS1_11target_archE4294967295ELNS1_3gpuE0ELNS1_3repE0EEENS1_30default_config_static_selectorELNS0_4arch9wavefront6targetE1EEEvS12_
    .private_segment_fixed_size: 0
    .sgpr_count:     4
    .sgpr_spill_count: 0
    .symbol:         _ZN7rocprim17ROCPRIM_400000_NS6detail17trampoline_kernelINS0_13select_configILj256ELj13ELNS0_17block_load_methodE3ELS4_3ELS4_3ELNS0_20block_scan_algorithmE0ELj4294967295EEENS1_25partition_config_selectorILNS1_17partition_subalgoE4EjNS0_10empty_typeEbEEZZNS1_14partition_implILS8_4ELb0ES6_15HIP_vector_typeIjLj2EENS0_17counting_iteratorIjlEEPS9_SG_NS0_5tupleIJPjSI_NS0_16reverse_iteratorISI_EEEEENSH_IJSG_SG_SG_EEES9_SI_JZNS1_25segmented_radix_sort_implINS0_14default_configELb0EPKiPiPKlPlN2at6native12_GLOBAL__N_18offset_tEEE10hipError_tPvRmT1_PNSt15iterator_traitsIS12_E10value_typeET2_T3_PNS13_IS18_E10value_typeET4_jRbjT5_S1E_jjP12ihipStream_tbEUljE_ZNSN_ISO_Lb0ESQ_SR_ST_SU_SY_EESZ_S10_S11_S12_S16_S17_S18_S1B_S1C_jS1D_jS1E_S1E_jjS1G_bEUljE0_EEESZ_S10_S11_S18_S1C_S1E_T6_T7_T9_mT8_S1G_bDpT10_ENKUlT_T0_E_clISt17integral_constantIbLb0EES1U_EEDaS1P_S1Q_EUlS1P_E_NS1_11comp_targetILNS1_3genE0ELNS1_11target_archE4294967295ELNS1_3gpuE0ELNS1_3repE0EEENS1_30default_config_static_selectorELNS0_4arch9wavefront6targetE1EEEvS12_.kd
    .uniform_work_group_size: 1
    .uses_dynamic_stack: false
    .vgpr_count:     0
    .vgpr_spill_count: 0
    .wavefront_size: 64
  - .agpr_count:     0
    .args:
      - .offset:         0
        .size:           176
        .value_kind:     by_value
    .group_segment_fixed_size: 0
    .kernarg_segment_align: 8
    .kernarg_segment_size: 176
    .language:       OpenCL C
    .language_version:
      - 2
      - 0
    .max_flat_workgroup_size: 256
    .name:           _ZN7rocprim17ROCPRIM_400000_NS6detail17trampoline_kernelINS0_13select_configILj256ELj13ELNS0_17block_load_methodE3ELS4_3ELS4_3ELNS0_20block_scan_algorithmE0ELj4294967295EEENS1_25partition_config_selectorILNS1_17partition_subalgoE4EjNS0_10empty_typeEbEEZZNS1_14partition_implILS8_4ELb0ES6_15HIP_vector_typeIjLj2EENS0_17counting_iteratorIjlEEPS9_SG_NS0_5tupleIJPjSI_NS0_16reverse_iteratorISI_EEEEENSH_IJSG_SG_SG_EEES9_SI_JZNS1_25segmented_radix_sort_implINS0_14default_configELb0EPKiPiPKlPlN2at6native12_GLOBAL__N_18offset_tEEE10hipError_tPvRmT1_PNSt15iterator_traitsIS12_E10value_typeET2_T3_PNS13_IS18_E10value_typeET4_jRbjT5_S1E_jjP12ihipStream_tbEUljE_ZNSN_ISO_Lb0ESQ_SR_ST_SU_SY_EESZ_S10_S11_S12_S16_S17_S18_S1B_S1C_jS1D_jS1E_S1E_jjS1G_bEUljE0_EEESZ_S10_S11_S18_S1C_S1E_T6_T7_T9_mT8_S1G_bDpT10_ENKUlT_T0_E_clISt17integral_constantIbLb0EES1U_EEDaS1P_S1Q_EUlS1P_E_NS1_11comp_targetILNS1_3genE5ELNS1_11target_archE942ELNS1_3gpuE9ELNS1_3repE0EEENS1_30default_config_static_selectorELNS0_4arch9wavefront6targetE1EEEvS12_
    .private_segment_fixed_size: 0
    .sgpr_count:     4
    .sgpr_spill_count: 0
    .symbol:         _ZN7rocprim17ROCPRIM_400000_NS6detail17trampoline_kernelINS0_13select_configILj256ELj13ELNS0_17block_load_methodE3ELS4_3ELS4_3ELNS0_20block_scan_algorithmE0ELj4294967295EEENS1_25partition_config_selectorILNS1_17partition_subalgoE4EjNS0_10empty_typeEbEEZZNS1_14partition_implILS8_4ELb0ES6_15HIP_vector_typeIjLj2EENS0_17counting_iteratorIjlEEPS9_SG_NS0_5tupleIJPjSI_NS0_16reverse_iteratorISI_EEEEENSH_IJSG_SG_SG_EEES9_SI_JZNS1_25segmented_radix_sort_implINS0_14default_configELb0EPKiPiPKlPlN2at6native12_GLOBAL__N_18offset_tEEE10hipError_tPvRmT1_PNSt15iterator_traitsIS12_E10value_typeET2_T3_PNS13_IS18_E10value_typeET4_jRbjT5_S1E_jjP12ihipStream_tbEUljE_ZNSN_ISO_Lb0ESQ_SR_ST_SU_SY_EESZ_S10_S11_S12_S16_S17_S18_S1B_S1C_jS1D_jS1E_S1E_jjS1G_bEUljE0_EEESZ_S10_S11_S18_S1C_S1E_T6_T7_T9_mT8_S1G_bDpT10_ENKUlT_T0_E_clISt17integral_constantIbLb0EES1U_EEDaS1P_S1Q_EUlS1P_E_NS1_11comp_targetILNS1_3genE5ELNS1_11target_archE942ELNS1_3gpuE9ELNS1_3repE0EEENS1_30default_config_static_selectorELNS0_4arch9wavefront6targetE1EEEvS12_.kd
    .uniform_work_group_size: 1
    .uses_dynamic_stack: false
    .vgpr_count:     0
    .vgpr_spill_count: 0
    .wavefront_size: 64
  - .agpr_count:     0
    .args:
      - .offset:         0
        .size:           176
        .value_kind:     by_value
    .group_segment_fixed_size: 13340
    .kernarg_segment_align: 8
    .kernarg_segment_size: 176
    .language:       OpenCL C
    .language_version:
      - 2
      - 0
    .max_flat_workgroup_size: 256
    .name:           _ZN7rocprim17ROCPRIM_400000_NS6detail17trampoline_kernelINS0_13select_configILj256ELj13ELNS0_17block_load_methodE3ELS4_3ELS4_3ELNS0_20block_scan_algorithmE0ELj4294967295EEENS1_25partition_config_selectorILNS1_17partition_subalgoE4EjNS0_10empty_typeEbEEZZNS1_14partition_implILS8_4ELb0ES6_15HIP_vector_typeIjLj2EENS0_17counting_iteratorIjlEEPS9_SG_NS0_5tupleIJPjSI_NS0_16reverse_iteratorISI_EEEEENSH_IJSG_SG_SG_EEES9_SI_JZNS1_25segmented_radix_sort_implINS0_14default_configELb0EPKiPiPKlPlN2at6native12_GLOBAL__N_18offset_tEEE10hipError_tPvRmT1_PNSt15iterator_traitsIS12_E10value_typeET2_T3_PNS13_IS18_E10value_typeET4_jRbjT5_S1E_jjP12ihipStream_tbEUljE_ZNSN_ISO_Lb0ESQ_SR_ST_SU_SY_EESZ_S10_S11_S12_S16_S17_S18_S1B_S1C_jS1D_jS1E_S1E_jjS1G_bEUljE0_EEESZ_S10_S11_S18_S1C_S1E_T6_T7_T9_mT8_S1G_bDpT10_ENKUlT_T0_E_clISt17integral_constantIbLb0EES1U_EEDaS1P_S1Q_EUlS1P_E_NS1_11comp_targetILNS1_3genE4ELNS1_11target_archE910ELNS1_3gpuE8ELNS1_3repE0EEENS1_30default_config_static_selectorELNS0_4arch9wavefront6targetE1EEEvS12_
    .private_segment_fixed_size: 0
    .sgpr_count:     94
    .sgpr_spill_count: 0
    .symbol:         _ZN7rocprim17ROCPRIM_400000_NS6detail17trampoline_kernelINS0_13select_configILj256ELj13ELNS0_17block_load_methodE3ELS4_3ELS4_3ELNS0_20block_scan_algorithmE0ELj4294967295EEENS1_25partition_config_selectorILNS1_17partition_subalgoE4EjNS0_10empty_typeEbEEZZNS1_14partition_implILS8_4ELb0ES6_15HIP_vector_typeIjLj2EENS0_17counting_iteratorIjlEEPS9_SG_NS0_5tupleIJPjSI_NS0_16reverse_iteratorISI_EEEEENSH_IJSG_SG_SG_EEES9_SI_JZNS1_25segmented_radix_sort_implINS0_14default_configELb0EPKiPiPKlPlN2at6native12_GLOBAL__N_18offset_tEEE10hipError_tPvRmT1_PNSt15iterator_traitsIS12_E10value_typeET2_T3_PNS13_IS18_E10value_typeET4_jRbjT5_S1E_jjP12ihipStream_tbEUljE_ZNSN_ISO_Lb0ESQ_SR_ST_SU_SY_EESZ_S10_S11_S12_S16_S17_S18_S1B_S1C_jS1D_jS1E_S1E_jjS1G_bEUljE0_EEESZ_S10_S11_S18_S1C_S1E_T6_T7_T9_mT8_S1G_bDpT10_ENKUlT_T0_E_clISt17integral_constantIbLb0EES1U_EEDaS1P_S1Q_EUlS1P_E_NS1_11comp_targetILNS1_3genE4ELNS1_11target_archE910ELNS1_3gpuE8ELNS1_3repE0EEENS1_30default_config_static_selectorELNS0_4arch9wavefront6targetE1EEEvS12_.kd
    .uniform_work_group_size: 1
    .uses_dynamic_stack: false
    .vgpr_count:     102
    .vgpr_spill_count: 0
    .wavefront_size: 64
  - .agpr_count:     0
    .args:
      - .offset:         0
        .size:           176
        .value_kind:     by_value
    .group_segment_fixed_size: 0
    .kernarg_segment_align: 8
    .kernarg_segment_size: 176
    .language:       OpenCL C
    .language_version:
      - 2
      - 0
    .max_flat_workgroup_size: 256
    .name:           _ZN7rocprim17ROCPRIM_400000_NS6detail17trampoline_kernelINS0_13select_configILj256ELj13ELNS0_17block_load_methodE3ELS4_3ELS4_3ELNS0_20block_scan_algorithmE0ELj4294967295EEENS1_25partition_config_selectorILNS1_17partition_subalgoE4EjNS0_10empty_typeEbEEZZNS1_14partition_implILS8_4ELb0ES6_15HIP_vector_typeIjLj2EENS0_17counting_iteratorIjlEEPS9_SG_NS0_5tupleIJPjSI_NS0_16reverse_iteratorISI_EEEEENSH_IJSG_SG_SG_EEES9_SI_JZNS1_25segmented_radix_sort_implINS0_14default_configELb0EPKiPiPKlPlN2at6native12_GLOBAL__N_18offset_tEEE10hipError_tPvRmT1_PNSt15iterator_traitsIS12_E10value_typeET2_T3_PNS13_IS18_E10value_typeET4_jRbjT5_S1E_jjP12ihipStream_tbEUljE_ZNSN_ISO_Lb0ESQ_SR_ST_SU_SY_EESZ_S10_S11_S12_S16_S17_S18_S1B_S1C_jS1D_jS1E_S1E_jjS1G_bEUljE0_EEESZ_S10_S11_S18_S1C_S1E_T6_T7_T9_mT8_S1G_bDpT10_ENKUlT_T0_E_clISt17integral_constantIbLb0EES1U_EEDaS1P_S1Q_EUlS1P_E_NS1_11comp_targetILNS1_3genE3ELNS1_11target_archE908ELNS1_3gpuE7ELNS1_3repE0EEENS1_30default_config_static_selectorELNS0_4arch9wavefront6targetE1EEEvS12_
    .private_segment_fixed_size: 0
    .sgpr_count:     4
    .sgpr_spill_count: 0
    .symbol:         _ZN7rocprim17ROCPRIM_400000_NS6detail17trampoline_kernelINS0_13select_configILj256ELj13ELNS0_17block_load_methodE3ELS4_3ELS4_3ELNS0_20block_scan_algorithmE0ELj4294967295EEENS1_25partition_config_selectorILNS1_17partition_subalgoE4EjNS0_10empty_typeEbEEZZNS1_14partition_implILS8_4ELb0ES6_15HIP_vector_typeIjLj2EENS0_17counting_iteratorIjlEEPS9_SG_NS0_5tupleIJPjSI_NS0_16reverse_iteratorISI_EEEEENSH_IJSG_SG_SG_EEES9_SI_JZNS1_25segmented_radix_sort_implINS0_14default_configELb0EPKiPiPKlPlN2at6native12_GLOBAL__N_18offset_tEEE10hipError_tPvRmT1_PNSt15iterator_traitsIS12_E10value_typeET2_T3_PNS13_IS18_E10value_typeET4_jRbjT5_S1E_jjP12ihipStream_tbEUljE_ZNSN_ISO_Lb0ESQ_SR_ST_SU_SY_EESZ_S10_S11_S12_S16_S17_S18_S1B_S1C_jS1D_jS1E_S1E_jjS1G_bEUljE0_EEESZ_S10_S11_S18_S1C_S1E_T6_T7_T9_mT8_S1G_bDpT10_ENKUlT_T0_E_clISt17integral_constantIbLb0EES1U_EEDaS1P_S1Q_EUlS1P_E_NS1_11comp_targetILNS1_3genE3ELNS1_11target_archE908ELNS1_3gpuE7ELNS1_3repE0EEENS1_30default_config_static_selectorELNS0_4arch9wavefront6targetE1EEEvS12_.kd
    .uniform_work_group_size: 1
    .uses_dynamic_stack: false
    .vgpr_count:     0
    .vgpr_spill_count: 0
    .wavefront_size: 64
  - .agpr_count:     0
    .args:
      - .offset:         0
        .size:           176
        .value_kind:     by_value
    .group_segment_fixed_size: 0
    .kernarg_segment_align: 8
    .kernarg_segment_size: 176
    .language:       OpenCL C
    .language_version:
      - 2
      - 0
    .max_flat_workgroup_size: 256
    .name:           _ZN7rocprim17ROCPRIM_400000_NS6detail17trampoline_kernelINS0_13select_configILj256ELj13ELNS0_17block_load_methodE3ELS4_3ELS4_3ELNS0_20block_scan_algorithmE0ELj4294967295EEENS1_25partition_config_selectorILNS1_17partition_subalgoE4EjNS0_10empty_typeEbEEZZNS1_14partition_implILS8_4ELb0ES6_15HIP_vector_typeIjLj2EENS0_17counting_iteratorIjlEEPS9_SG_NS0_5tupleIJPjSI_NS0_16reverse_iteratorISI_EEEEENSH_IJSG_SG_SG_EEES9_SI_JZNS1_25segmented_radix_sort_implINS0_14default_configELb0EPKiPiPKlPlN2at6native12_GLOBAL__N_18offset_tEEE10hipError_tPvRmT1_PNSt15iterator_traitsIS12_E10value_typeET2_T3_PNS13_IS18_E10value_typeET4_jRbjT5_S1E_jjP12ihipStream_tbEUljE_ZNSN_ISO_Lb0ESQ_SR_ST_SU_SY_EESZ_S10_S11_S12_S16_S17_S18_S1B_S1C_jS1D_jS1E_S1E_jjS1G_bEUljE0_EEESZ_S10_S11_S18_S1C_S1E_T6_T7_T9_mT8_S1G_bDpT10_ENKUlT_T0_E_clISt17integral_constantIbLb0EES1U_EEDaS1P_S1Q_EUlS1P_E_NS1_11comp_targetILNS1_3genE2ELNS1_11target_archE906ELNS1_3gpuE6ELNS1_3repE0EEENS1_30default_config_static_selectorELNS0_4arch9wavefront6targetE1EEEvS12_
    .private_segment_fixed_size: 0
    .sgpr_count:     4
    .sgpr_spill_count: 0
    .symbol:         _ZN7rocprim17ROCPRIM_400000_NS6detail17trampoline_kernelINS0_13select_configILj256ELj13ELNS0_17block_load_methodE3ELS4_3ELS4_3ELNS0_20block_scan_algorithmE0ELj4294967295EEENS1_25partition_config_selectorILNS1_17partition_subalgoE4EjNS0_10empty_typeEbEEZZNS1_14partition_implILS8_4ELb0ES6_15HIP_vector_typeIjLj2EENS0_17counting_iteratorIjlEEPS9_SG_NS0_5tupleIJPjSI_NS0_16reverse_iteratorISI_EEEEENSH_IJSG_SG_SG_EEES9_SI_JZNS1_25segmented_radix_sort_implINS0_14default_configELb0EPKiPiPKlPlN2at6native12_GLOBAL__N_18offset_tEEE10hipError_tPvRmT1_PNSt15iterator_traitsIS12_E10value_typeET2_T3_PNS13_IS18_E10value_typeET4_jRbjT5_S1E_jjP12ihipStream_tbEUljE_ZNSN_ISO_Lb0ESQ_SR_ST_SU_SY_EESZ_S10_S11_S12_S16_S17_S18_S1B_S1C_jS1D_jS1E_S1E_jjS1G_bEUljE0_EEESZ_S10_S11_S18_S1C_S1E_T6_T7_T9_mT8_S1G_bDpT10_ENKUlT_T0_E_clISt17integral_constantIbLb0EES1U_EEDaS1P_S1Q_EUlS1P_E_NS1_11comp_targetILNS1_3genE2ELNS1_11target_archE906ELNS1_3gpuE6ELNS1_3repE0EEENS1_30default_config_static_selectorELNS0_4arch9wavefront6targetE1EEEvS12_.kd
    .uniform_work_group_size: 1
    .uses_dynamic_stack: false
    .vgpr_count:     0
    .vgpr_spill_count: 0
    .wavefront_size: 64
  - .agpr_count:     0
    .args:
      - .offset:         0
        .size:           176
        .value_kind:     by_value
    .group_segment_fixed_size: 0
    .kernarg_segment_align: 8
    .kernarg_segment_size: 176
    .language:       OpenCL C
    .language_version:
      - 2
      - 0
    .max_flat_workgroup_size: 256
    .name:           _ZN7rocprim17ROCPRIM_400000_NS6detail17trampoline_kernelINS0_13select_configILj256ELj13ELNS0_17block_load_methodE3ELS4_3ELS4_3ELNS0_20block_scan_algorithmE0ELj4294967295EEENS1_25partition_config_selectorILNS1_17partition_subalgoE4EjNS0_10empty_typeEbEEZZNS1_14partition_implILS8_4ELb0ES6_15HIP_vector_typeIjLj2EENS0_17counting_iteratorIjlEEPS9_SG_NS0_5tupleIJPjSI_NS0_16reverse_iteratorISI_EEEEENSH_IJSG_SG_SG_EEES9_SI_JZNS1_25segmented_radix_sort_implINS0_14default_configELb0EPKiPiPKlPlN2at6native12_GLOBAL__N_18offset_tEEE10hipError_tPvRmT1_PNSt15iterator_traitsIS12_E10value_typeET2_T3_PNS13_IS18_E10value_typeET4_jRbjT5_S1E_jjP12ihipStream_tbEUljE_ZNSN_ISO_Lb0ESQ_SR_ST_SU_SY_EESZ_S10_S11_S12_S16_S17_S18_S1B_S1C_jS1D_jS1E_S1E_jjS1G_bEUljE0_EEESZ_S10_S11_S18_S1C_S1E_T6_T7_T9_mT8_S1G_bDpT10_ENKUlT_T0_E_clISt17integral_constantIbLb0EES1U_EEDaS1P_S1Q_EUlS1P_E_NS1_11comp_targetILNS1_3genE10ELNS1_11target_archE1200ELNS1_3gpuE4ELNS1_3repE0EEENS1_30default_config_static_selectorELNS0_4arch9wavefront6targetE1EEEvS12_
    .private_segment_fixed_size: 0
    .sgpr_count:     4
    .sgpr_spill_count: 0
    .symbol:         _ZN7rocprim17ROCPRIM_400000_NS6detail17trampoline_kernelINS0_13select_configILj256ELj13ELNS0_17block_load_methodE3ELS4_3ELS4_3ELNS0_20block_scan_algorithmE0ELj4294967295EEENS1_25partition_config_selectorILNS1_17partition_subalgoE4EjNS0_10empty_typeEbEEZZNS1_14partition_implILS8_4ELb0ES6_15HIP_vector_typeIjLj2EENS0_17counting_iteratorIjlEEPS9_SG_NS0_5tupleIJPjSI_NS0_16reverse_iteratorISI_EEEEENSH_IJSG_SG_SG_EEES9_SI_JZNS1_25segmented_radix_sort_implINS0_14default_configELb0EPKiPiPKlPlN2at6native12_GLOBAL__N_18offset_tEEE10hipError_tPvRmT1_PNSt15iterator_traitsIS12_E10value_typeET2_T3_PNS13_IS18_E10value_typeET4_jRbjT5_S1E_jjP12ihipStream_tbEUljE_ZNSN_ISO_Lb0ESQ_SR_ST_SU_SY_EESZ_S10_S11_S12_S16_S17_S18_S1B_S1C_jS1D_jS1E_S1E_jjS1G_bEUljE0_EEESZ_S10_S11_S18_S1C_S1E_T6_T7_T9_mT8_S1G_bDpT10_ENKUlT_T0_E_clISt17integral_constantIbLb0EES1U_EEDaS1P_S1Q_EUlS1P_E_NS1_11comp_targetILNS1_3genE10ELNS1_11target_archE1200ELNS1_3gpuE4ELNS1_3repE0EEENS1_30default_config_static_selectorELNS0_4arch9wavefront6targetE1EEEvS12_.kd
    .uniform_work_group_size: 1
    .uses_dynamic_stack: false
    .vgpr_count:     0
    .vgpr_spill_count: 0
    .wavefront_size: 64
  - .agpr_count:     0
    .args:
      - .offset:         0
        .size:           176
        .value_kind:     by_value
    .group_segment_fixed_size: 0
    .kernarg_segment_align: 8
    .kernarg_segment_size: 176
    .language:       OpenCL C
    .language_version:
      - 2
      - 0
    .max_flat_workgroup_size: 256
    .name:           _ZN7rocprim17ROCPRIM_400000_NS6detail17trampoline_kernelINS0_13select_configILj256ELj13ELNS0_17block_load_methodE3ELS4_3ELS4_3ELNS0_20block_scan_algorithmE0ELj4294967295EEENS1_25partition_config_selectorILNS1_17partition_subalgoE4EjNS0_10empty_typeEbEEZZNS1_14partition_implILS8_4ELb0ES6_15HIP_vector_typeIjLj2EENS0_17counting_iteratorIjlEEPS9_SG_NS0_5tupleIJPjSI_NS0_16reverse_iteratorISI_EEEEENSH_IJSG_SG_SG_EEES9_SI_JZNS1_25segmented_radix_sort_implINS0_14default_configELb0EPKiPiPKlPlN2at6native12_GLOBAL__N_18offset_tEEE10hipError_tPvRmT1_PNSt15iterator_traitsIS12_E10value_typeET2_T3_PNS13_IS18_E10value_typeET4_jRbjT5_S1E_jjP12ihipStream_tbEUljE_ZNSN_ISO_Lb0ESQ_SR_ST_SU_SY_EESZ_S10_S11_S12_S16_S17_S18_S1B_S1C_jS1D_jS1E_S1E_jjS1G_bEUljE0_EEESZ_S10_S11_S18_S1C_S1E_T6_T7_T9_mT8_S1G_bDpT10_ENKUlT_T0_E_clISt17integral_constantIbLb0EES1U_EEDaS1P_S1Q_EUlS1P_E_NS1_11comp_targetILNS1_3genE9ELNS1_11target_archE1100ELNS1_3gpuE3ELNS1_3repE0EEENS1_30default_config_static_selectorELNS0_4arch9wavefront6targetE1EEEvS12_
    .private_segment_fixed_size: 0
    .sgpr_count:     4
    .sgpr_spill_count: 0
    .symbol:         _ZN7rocprim17ROCPRIM_400000_NS6detail17trampoline_kernelINS0_13select_configILj256ELj13ELNS0_17block_load_methodE3ELS4_3ELS4_3ELNS0_20block_scan_algorithmE0ELj4294967295EEENS1_25partition_config_selectorILNS1_17partition_subalgoE4EjNS0_10empty_typeEbEEZZNS1_14partition_implILS8_4ELb0ES6_15HIP_vector_typeIjLj2EENS0_17counting_iteratorIjlEEPS9_SG_NS0_5tupleIJPjSI_NS0_16reverse_iteratorISI_EEEEENSH_IJSG_SG_SG_EEES9_SI_JZNS1_25segmented_radix_sort_implINS0_14default_configELb0EPKiPiPKlPlN2at6native12_GLOBAL__N_18offset_tEEE10hipError_tPvRmT1_PNSt15iterator_traitsIS12_E10value_typeET2_T3_PNS13_IS18_E10value_typeET4_jRbjT5_S1E_jjP12ihipStream_tbEUljE_ZNSN_ISO_Lb0ESQ_SR_ST_SU_SY_EESZ_S10_S11_S12_S16_S17_S18_S1B_S1C_jS1D_jS1E_S1E_jjS1G_bEUljE0_EEESZ_S10_S11_S18_S1C_S1E_T6_T7_T9_mT8_S1G_bDpT10_ENKUlT_T0_E_clISt17integral_constantIbLb0EES1U_EEDaS1P_S1Q_EUlS1P_E_NS1_11comp_targetILNS1_3genE9ELNS1_11target_archE1100ELNS1_3gpuE3ELNS1_3repE0EEENS1_30default_config_static_selectorELNS0_4arch9wavefront6targetE1EEEvS12_.kd
    .uniform_work_group_size: 1
    .uses_dynamic_stack: false
    .vgpr_count:     0
    .vgpr_spill_count: 0
    .wavefront_size: 64
  - .agpr_count:     0
    .args:
      - .offset:         0
        .size:           176
        .value_kind:     by_value
    .group_segment_fixed_size: 0
    .kernarg_segment_align: 8
    .kernarg_segment_size: 176
    .language:       OpenCL C
    .language_version:
      - 2
      - 0
    .max_flat_workgroup_size: 256
    .name:           _ZN7rocprim17ROCPRIM_400000_NS6detail17trampoline_kernelINS0_13select_configILj256ELj13ELNS0_17block_load_methodE3ELS4_3ELS4_3ELNS0_20block_scan_algorithmE0ELj4294967295EEENS1_25partition_config_selectorILNS1_17partition_subalgoE4EjNS0_10empty_typeEbEEZZNS1_14partition_implILS8_4ELb0ES6_15HIP_vector_typeIjLj2EENS0_17counting_iteratorIjlEEPS9_SG_NS0_5tupleIJPjSI_NS0_16reverse_iteratorISI_EEEEENSH_IJSG_SG_SG_EEES9_SI_JZNS1_25segmented_radix_sort_implINS0_14default_configELb0EPKiPiPKlPlN2at6native12_GLOBAL__N_18offset_tEEE10hipError_tPvRmT1_PNSt15iterator_traitsIS12_E10value_typeET2_T3_PNS13_IS18_E10value_typeET4_jRbjT5_S1E_jjP12ihipStream_tbEUljE_ZNSN_ISO_Lb0ESQ_SR_ST_SU_SY_EESZ_S10_S11_S12_S16_S17_S18_S1B_S1C_jS1D_jS1E_S1E_jjS1G_bEUljE0_EEESZ_S10_S11_S18_S1C_S1E_T6_T7_T9_mT8_S1G_bDpT10_ENKUlT_T0_E_clISt17integral_constantIbLb0EES1U_EEDaS1P_S1Q_EUlS1P_E_NS1_11comp_targetILNS1_3genE8ELNS1_11target_archE1030ELNS1_3gpuE2ELNS1_3repE0EEENS1_30default_config_static_selectorELNS0_4arch9wavefront6targetE1EEEvS12_
    .private_segment_fixed_size: 0
    .sgpr_count:     4
    .sgpr_spill_count: 0
    .symbol:         _ZN7rocprim17ROCPRIM_400000_NS6detail17trampoline_kernelINS0_13select_configILj256ELj13ELNS0_17block_load_methodE3ELS4_3ELS4_3ELNS0_20block_scan_algorithmE0ELj4294967295EEENS1_25partition_config_selectorILNS1_17partition_subalgoE4EjNS0_10empty_typeEbEEZZNS1_14partition_implILS8_4ELb0ES6_15HIP_vector_typeIjLj2EENS0_17counting_iteratorIjlEEPS9_SG_NS0_5tupleIJPjSI_NS0_16reverse_iteratorISI_EEEEENSH_IJSG_SG_SG_EEES9_SI_JZNS1_25segmented_radix_sort_implINS0_14default_configELb0EPKiPiPKlPlN2at6native12_GLOBAL__N_18offset_tEEE10hipError_tPvRmT1_PNSt15iterator_traitsIS12_E10value_typeET2_T3_PNS13_IS18_E10value_typeET4_jRbjT5_S1E_jjP12ihipStream_tbEUljE_ZNSN_ISO_Lb0ESQ_SR_ST_SU_SY_EESZ_S10_S11_S12_S16_S17_S18_S1B_S1C_jS1D_jS1E_S1E_jjS1G_bEUljE0_EEESZ_S10_S11_S18_S1C_S1E_T6_T7_T9_mT8_S1G_bDpT10_ENKUlT_T0_E_clISt17integral_constantIbLb0EES1U_EEDaS1P_S1Q_EUlS1P_E_NS1_11comp_targetILNS1_3genE8ELNS1_11target_archE1030ELNS1_3gpuE2ELNS1_3repE0EEENS1_30default_config_static_selectorELNS0_4arch9wavefront6targetE1EEEvS12_.kd
    .uniform_work_group_size: 1
    .uses_dynamic_stack: false
    .vgpr_count:     0
    .vgpr_spill_count: 0
    .wavefront_size: 64
  - .agpr_count:     0
    .args:
      - .offset:         0
        .size:           184
        .value_kind:     by_value
    .group_segment_fixed_size: 0
    .kernarg_segment_align: 8
    .kernarg_segment_size: 184
    .language:       OpenCL C
    .language_version:
      - 2
      - 0
    .max_flat_workgroup_size: 256
    .name:           _ZN7rocprim17ROCPRIM_400000_NS6detail17trampoline_kernelINS0_13select_configILj256ELj13ELNS0_17block_load_methodE3ELS4_3ELS4_3ELNS0_20block_scan_algorithmE0ELj4294967295EEENS1_25partition_config_selectorILNS1_17partition_subalgoE4EjNS0_10empty_typeEbEEZZNS1_14partition_implILS8_4ELb0ES6_15HIP_vector_typeIjLj2EENS0_17counting_iteratorIjlEEPS9_SG_NS0_5tupleIJPjSI_NS0_16reverse_iteratorISI_EEEEENSH_IJSG_SG_SG_EEES9_SI_JZNS1_25segmented_radix_sort_implINS0_14default_configELb0EPKiPiPKlPlN2at6native12_GLOBAL__N_18offset_tEEE10hipError_tPvRmT1_PNSt15iterator_traitsIS12_E10value_typeET2_T3_PNS13_IS18_E10value_typeET4_jRbjT5_S1E_jjP12ihipStream_tbEUljE_ZNSN_ISO_Lb0ESQ_SR_ST_SU_SY_EESZ_S10_S11_S12_S16_S17_S18_S1B_S1C_jS1D_jS1E_S1E_jjS1G_bEUljE0_EEESZ_S10_S11_S18_S1C_S1E_T6_T7_T9_mT8_S1G_bDpT10_ENKUlT_T0_E_clISt17integral_constantIbLb1EES1U_EEDaS1P_S1Q_EUlS1P_E_NS1_11comp_targetILNS1_3genE0ELNS1_11target_archE4294967295ELNS1_3gpuE0ELNS1_3repE0EEENS1_30default_config_static_selectorELNS0_4arch9wavefront6targetE1EEEvS12_
    .private_segment_fixed_size: 0
    .sgpr_count:     4
    .sgpr_spill_count: 0
    .symbol:         _ZN7rocprim17ROCPRIM_400000_NS6detail17trampoline_kernelINS0_13select_configILj256ELj13ELNS0_17block_load_methodE3ELS4_3ELS4_3ELNS0_20block_scan_algorithmE0ELj4294967295EEENS1_25partition_config_selectorILNS1_17partition_subalgoE4EjNS0_10empty_typeEbEEZZNS1_14partition_implILS8_4ELb0ES6_15HIP_vector_typeIjLj2EENS0_17counting_iteratorIjlEEPS9_SG_NS0_5tupleIJPjSI_NS0_16reverse_iteratorISI_EEEEENSH_IJSG_SG_SG_EEES9_SI_JZNS1_25segmented_radix_sort_implINS0_14default_configELb0EPKiPiPKlPlN2at6native12_GLOBAL__N_18offset_tEEE10hipError_tPvRmT1_PNSt15iterator_traitsIS12_E10value_typeET2_T3_PNS13_IS18_E10value_typeET4_jRbjT5_S1E_jjP12ihipStream_tbEUljE_ZNSN_ISO_Lb0ESQ_SR_ST_SU_SY_EESZ_S10_S11_S12_S16_S17_S18_S1B_S1C_jS1D_jS1E_S1E_jjS1G_bEUljE0_EEESZ_S10_S11_S18_S1C_S1E_T6_T7_T9_mT8_S1G_bDpT10_ENKUlT_T0_E_clISt17integral_constantIbLb1EES1U_EEDaS1P_S1Q_EUlS1P_E_NS1_11comp_targetILNS1_3genE0ELNS1_11target_archE4294967295ELNS1_3gpuE0ELNS1_3repE0EEENS1_30default_config_static_selectorELNS0_4arch9wavefront6targetE1EEEvS12_.kd
    .uniform_work_group_size: 1
    .uses_dynamic_stack: false
    .vgpr_count:     0
    .vgpr_spill_count: 0
    .wavefront_size: 64
  - .agpr_count:     0
    .args:
      - .offset:         0
        .size:           184
        .value_kind:     by_value
    .group_segment_fixed_size: 0
    .kernarg_segment_align: 8
    .kernarg_segment_size: 184
    .language:       OpenCL C
    .language_version:
      - 2
      - 0
    .max_flat_workgroup_size: 256
    .name:           _ZN7rocprim17ROCPRIM_400000_NS6detail17trampoline_kernelINS0_13select_configILj256ELj13ELNS0_17block_load_methodE3ELS4_3ELS4_3ELNS0_20block_scan_algorithmE0ELj4294967295EEENS1_25partition_config_selectorILNS1_17partition_subalgoE4EjNS0_10empty_typeEbEEZZNS1_14partition_implILS8_4ELb0ES6_15HIP_vector_typeIjLj2EENS0_17counting_iteratorIjlEEPS9_SG_NS0_5tupleIJPjSI_NS0_16reverse_iteratorISI_EEEEENSH_IJSG_SG_SG_EEES9_SI_JZNS1_25segmented_radix_sort_implINS0_14default_configELb0EPKiPiPKlPlN2at6native12_GLOBAL__N_18offset_tEEE10hipError_tPvRmT1_PNSt15iterator_traitsIS12_E10value_typeET2_T3_PNS13_IS18_E10value_typeET4_jRbjT5_S1E_jjP12ihipStream_tbEUljE_ZNSN_ISO_Lb0ESQ_SR_ST_SU_SY_EESZ_S10_S11_S12_S16_S17_S18_S1B_S1C_jS1D_jS1E_S1E_jjS1G_bEUljE0_EEESZ_S10_S11_S18_S1C_S1E_T6_T7_T9_mT8_S1G_bDpT10_ENKUlT_T0_E_clISt17integral_constantIbLb1EES1U_EEDaS1P_S1Q_EUlS1P_E_NS1_11comp_targetILNS1_3genE5ELNS1_11target_archE942ELNS1_3gpuE9ELNS1_3repE0EEENS1_30default_config_static_selectorELNS0_4arch9wavefront6targetE1EEEvS12_
    .private_segment_fixed_size: 0
    .sgpr_count:     4
    .sgpr_spill_count: 0
    .symbol:         _ZN7rocprim17ROCPRIM_400000_NS6detail17trampoline_kernelINS0_13select_configILj256ELj13ELNS0_17block_load_methodE3ELS4_3ELS4_3ELNS0_20block_scan_algorithmE0ELj4294967295EEENS1_25partition_config_selectorILNS1_17partition_subalgoE4EjNS0_10empty_typeEbEEZZNS1_14partition_implILS8_4ELb0ES6_15HIP_vector_typeIjLj2EENS0_17counting_iteratorIjlEEPS9_SG_NS0_5tupleIJPjSI_NS0_16reverse_iteratorISI_EEEEENSH_IJSG_SG_SG_EEES9_SI_JZNS1_25segmented_radix_sort_implINS0_14default_configELb0EPKiPiPKlPlN2at6native12_GLOBAL__N_18offset_tEEE10hipError_tPvRmT1_PNSt15iterator_traitsIS12_E10value_typeET2_T3_PNS13_IS18_E10value_typeET4_jRbjT5_S1E_jjP12ihipStream_tbEUljE_ZNSN_ISO_Lb0ESQ_SR_ST_SU_SY_EESZ_S10_S11_S12_S16_S17_S18_S1B_S1C_jS1D_jS1E_S1E_jjS1G_bEUljE0_EEESZ_S10_S11_S18_S1C_S1E_T6_T7_T9_mT8_S1G_bDpT10_ENKUlT_T0_E_clISt17integral_constantIbLb1EES1U_EEDaS1P_S1Q_EUlS1P_E_NS1_11comp_targetILNS1_3genE5ELNS1_11target_archE942ELNS1_3gpuE9ELNS1_3repE0EEENS1_30default_config_static_selectorELNS0_4arch9wavefront6targetE1EEEvS12_.kd
    .uniform_work_group_size: 1
    .uses_dynamic_stack: false
    .vgpr_count:     0
    .vgpr_spill_count: 0
    .wavefront_size: 64
  - .agpr_count:     0
    .args:
      - .offset:         0
        .size:           184
        .value_kind:     by_value
    .group_segment_fixed_size: 13340
    .kernarg_segment_align: 8
    .kernarg_segment_size: 184
    .language:       OpenCL C
    .language_version:
      - 2
      - 0
    .max_flat_workgroup_size: 256
    .name:           _ZN7rocprim17ROCPRIM_400000_NS6detail17trampoline_kernelINS0_13select_configILj256ELj13ELNS0_17block_load_methodE3ELS4_3ELS4_3ELNS0_20block_scan_algorithmE0ELj4294967295EEENS1_25partition_config_selectorILNS1_17partition_subalgoE4EjNS0_10empty_typeEbEEZZNS1_14partition_implILS8_4ELb0ES6_15HIP_vector_typeIjLj2EENS0_17counting_iteratorIjlEEPS9_SG_NS0_5tupleIJPjSI_NS0_16reverse_iteratorISI_EEEEENSH_IJSG_SG_SG_EEES9_SI_JZNS1_25segmented_radix_sort_implINS0_14default_configELb0EPKiPiPKlPlN2at6native12_GLOBAL__N_18offset_tEEE10hipError_tPvRmT1_PNSt15iterator_traitsIS12_E10value_typeET2_T3_PNS13_IS18_E10value_typeET4_jRbjT5_S1E_jjP12ihipStream_tbEUljE_ZNSN_ISO_Lb0ESQ_SR_ST_SU_SY_EESZ_S10_S11_S12_S16_S17_S18_S1B_S1C_jS1D_jS1E_S1E_jjS1G_bEUljE0_EEESZ_S10_S11_S18_S1C_S1E_T6_T7_T9_mT8_S1G_bDpT10_ENKUlT_T0_E_clISt17integral_constantIbLb1EES1U_EEDaS1P_S1Q_EUlS1P_E_NS1_11comp_targetILNS1_3genE4ELNS1_11target_archE910ELNS1_3gpuE8ELNS1_3repE0EEENS1_30default_config_static_selectorELNS0_4arch9wavefront6targetE1EEEvS12_
    .private_segment_fixed_size: 0
    .sgpr_count:     91
    .sgpr_spill_count: 0
    .symbol:         _ZN7rocprim17ROCPRIM_400000_NS6detail17trampoline_kernelINS0_13select_configILj256ELj13ELNS0_17block_load_methodE3ELS4_3ELS4_3ELNS0_20block_scan_algorithmE0ELj4294967295EEENS1_25partition_config_selectorILNS1_17partition_subalgoE4EjNS0_10empty_typeEbEEZZNS1_14partition_implILS8_4ELb0ES6_15HIP_vector_typeIjLj2EENS0_17counting_iteratorIjlEEPS9_SG_NS0_5tupleIJPjSI_NS0_16reverse_iteratorISI_EEEEENSH_IJSG_SG_SG_EEES9_SI_JZNS1_25segmented_radix_sort_implINS0_14default_configELb0EPKiPiPKlPlN2at6native12_GLOBAL__N_18offset_tEEE10hipError_tPvRmT1_PNSt15iterator_traitsIS12_E10value_typeET2_T3_PNS13_IS18_E10value_typeET4_jRbjT5_S1E_jjP12ihipStream_tbEUljE_ZNSN_ISO_Lb0ESQ_SR_ST_SU_SY_EESZ_S10_S11_S12_S16_S17_S18_S1B_S1C_jS1D_jS1E_S1E_jjS1G_bEUljE0_EEESZ_S10_S11_S18_S1C_S1E_T6_T7_T9_mT8_S1G_bDpT10_ENKUlT_T0_E_clISt17integral_constantIbLb1EES1U_EEDaS1P_S1Q_EUlS1P_E_NS1_11comp_targetILNS1_3genE4ELNS1_11target_archE910ELNS1_3gpuE8ELNS1_3repE0EEENS1_30default_config_static_selectorELNS0_4arch9wavefront6targetE1EEEvS12_.kd
    .uniform_work_group_size: 1
    .uses_dynamic_stack: false
    .vgpr_count:     107
    .vgpr_spill_count: 0
    .wavefront_size: 64
  - .agpr_count:     0
    .args:
      - .offset:         0
        .size:           184
        .value_kind:     by_value
    .group_segment_fixed_size: 0
    .kernarg_segment_align: 8
    .kernarg_segment_size: 184
    .language:       OpenCL C
    .language_version:
      - 2
      - 0
    .max_flat_workgroup_size: 256
    .name:           _ZN7rocprim17ROCPRIM_400000_NS6detail17trampoline_kernelINS0_13select_configILj256ELj13ELNS0_17block_load_methodE3ELS4_3ELS4_3ELNS0_20block_scan_algorithmE0ELj4294967295EEENS1_25partition_config_selectorILNS1_17partition_subalgoE4EjNS0_10empty_typeEbEEZZNS1_14partition_implILS8_4ELb0ES6_15HIP_vector_typeIjLj2EENS0_17counting_iteratorIjlEEPS9_SG_NS0_5tupleIJPjSI_NS0_16reverse_iteratorISI_EEEEENSH_IJSG_SG_SG_EEES9_SI_JZNS1_25segmented_radix_sort_implINS0_14default_configELb0EPKiPiPKlPlN2at6native12_GLOBAL__N_18offset_tEEE10hipError_tPvRmT1_PNSt15iterator_traitsIS12_E10value_typeET2_T3_PNS13_IS18_E10value_typeET4_jRbjT5_S1E_jjP12ihipStream_tbEUljE_ZNSN_ISO_Lb0ESQ_SR_ST_SU_SY_EESZ_S10_S11_S12_S16_S17_S18_S1B_S1C_jS1D_jS1E_S1E_jjS1G_bEUljE0_EEESZ_S10_S11_S18_S1C_S1E_T6_T7_T9_mT8_S1G_bDpT10_ENKUlT_T0_E_clISt17integral_constantIbLb1EES1U_EEDaS1P_S1Q_EUlS1P_E_NS1_11comp_targetILNS1_3genE3ELNS1_11target_archE908ELNS1_3gpuE7ELNS1_3repE0EEENS1_30default_config_static_selectorELNS0_4arch9wavefront6targetE1EEEvS12_
    .private_segment_fixed_size: 0
    .sgpr_count:     4
    .sgpr_spill_count: 0
    .symbol:         _ZN7rocprim17ROCPRIM_400000_NS6detail17trampoline_kernelINS0_13select_configILj256ELj13ELNS0_17block_load_methodE3ELS4_3ELS4_3ELNS0_20block_scan_algorithmE0ELj4294967295EEENS1_25partition_config_selectorILNS1_17partition_subalgoE4EjNS0_10empty_typeEbEEZZNS1_14partition_implILS8_4ELb0ES6_15HIP_vector_typeIjLj2EENS0_17counting_iteratorIjlEEPS9_SG_NS0_5tupleIJPjSI_NS0_16reverse_iteratorISI_EEEEENSH_IJSG_SG_SG_EEES9_SI_JZNS1_25segmented_radix_sort_implINS0_14default_configELb0EPKiPiPKlPlN2at6native12_GLOBAL__N_18offset_tEEE10hipError_tPvRmT1_PNSt15iterator_traitsIS12_E10value_typeET2_T3_PNS13_IS18_E10value_typeET4_jRbjT5_S1E_jjP12ihipStream_tbEUljE_ZNSN_ISO_Lb0ESQ_SR_ST_SU_SY_EESZ_S10_S11_S12_S16_S17_S18_S1B_S1C_jS1D_jS1E_S1E_jjS1G_bEUljE0_EEESZ_S10_S11_S18_S1C_S1E_T6_T7_T9_mT8_S1G_bDpT10_ENKUlT_T0_E_clISt17integral_constantIbLb1EES1U_EEDaS1P_S1Q_EUlS1P_E_NS1_11comp_targetILNS1_3genE3ELNS1_11target_archE908ELNS1_3gpuE7ELNS1_3repE0EEENS1_30default_config_static_selectorELNS0_4arch9wavefront6targetE1EEEvS12_.kd
    .uniform_work_group_size: 1
    .uses_dynamic_stack: false
    .vgpr_count:     0
    .vgpr_spill_count: 0
    .wavefront_size: 64
  - .agpr_count:     0
    .args:
      - .offset:         0
        .size:           184
        .value_kind:     by_value
    .group_segment_fixed_size: 0
    .kernarg_segment_align: 8
    .kernarg_segment_size: 184
    .language:       OpenCL C
    .language_version:
      - 2
      - 0
    .max_flat_workgroup_size: 256
    .name:           _ZN7rocprim17ROCPRIM_400000_NS6detail17trampoline_kernelINS0_13select_configILj256ELj13ELNS0_17block_load_methodE3ELS4_3ELS4_3ELNS0_20block_scan_algorithmE0ELj4294967295EEENS1_25partition_config_selectorILNS1_17partition_subalgoE4EjNS0_10empty_typeEbEEZZNS1_14partition_implILS8_4ELb0ES6_15HIP_vector_typeIjLj2EENS0_17counting_iteratorIjlEEPS9_SG_NS0_5tupleIJPjSI_NS0_16reverse_iteratorISI_EEEEENSH_IJSG_SG_SG_EEES9_SI_JZNS1_25segmented_radix_sort_implINS0_14default_configELb0EPKiPiPKlPlN2at6native12_GLOBAL__N_18offset_tEEE10hipError_tPvRmT1_PNSt15iterator_traitsIS12_E10value_typeET2_T3_PNS13_IS18_E10value_typeET4_jRbjT5_S1E_jjP12ihipStream_tbEUljE_ZNSN_ISO_Lb0ESQ_SR_ST_SU_SY_EESZ_S10_S11_S12_S16_S17_S18_S1B_S1C_jS1D_jS1E_S1E_jjS1G_bEUljE0_EEESZ_S10_S11_S18_S1C_S1E_T6_T7_T9_mT8_S1G_bDpT10_ENKUlT_T0_E_clISt17integral_constantIbLb1EES1U_EEDaS1P_S1Q_EUlS1P_E_NS1_11comp_targetILNS1_3genE2ELNS1_11target_archE906ELNS1_3gpuE6ELNS1_3repE0EEENS1_30default_config_static_selectorELNS0_4arch9wavefront6targetE1EEEvS12_
    .private_segment_fixed_size: 0
    .sgpr_count:     4
    .sgpr_spill_count: 0
    .symbol:         _ZN7rocprim17ROCPRIM_400000_NS6detail17trampoline_kernelINS0_13select_configILj256ELj13ELNS0_17block_load_methodE3ELS4_3ELS4_3ELNS0_20block_scan_algorithmE0ELj4294967295EEENS1_25partition_config_selectorILNS1_17partition_subalgoE4EjNS0_10empty_typeEbEEZZNS1_14partition_implILS8_4ELb0ES6_15HIP_vector_typeIjLj2EENS0_17counting_iteratorIjlEEPS9_SG_NS0_5tupleIJPjSI_NS0_16reverse_iteratorISI_EEEEENSH_IJSG_SG_SG_EEES9_SI_JZNS1_25segmented_radix_sort_implINS0_14default_configELb0EPKiPiPKlPlN2at6native12_GLOBAL__N_18offset_tEEE10hipError_tPvRmT1_PNSt15iterator_traitsIS12_E10value_typeET2_T3_PNS13_IS18_E10value_typeET4_jRbjT5_S1E_jjP12ihipStream_tbEUljE_ZNSN_ISO_Lb0ESQ_SR_ST_SU_SY_EESZ_S10_S11_S12_S16_S17_S18_S1B_S1C_jS1D_jS1E_S1E_jjS1G_bEUljE0_EEESZ_S10_S11_S18_S1C_S1E_T6_T7_T9_mT8_S1G_bDpT10_ENKUlT_T0_E_clISt17integral_constantIbLb1EES1U_EEDaS1P_S1Q_EUlS1P_E_NS1_11comp_targetILNS1_3genE2ELNS1_11target_archE906ELNS1_3gpuE6ELNS1_3repE0EEENS1_30default_config_static_selectorELNS0_4arch9wavefront6targetE1EEEvS12_.kd
    .uniform_work_group_size: 1
    .uses_dynamic_stack: false
    .vgpr_count:     0
    .vgpr_spill_count: 0
    .wavefront_size: 64
  - .agpr_count:     0
    .args:
      - .offset:         0
        .size:           184
        .value_kind:     by_value
    .group_segment_fixed_size: 0
    .kernarg_segment_align: 8
    .kernarg_segment_size: 184
    .language:       OpenCL C
    .language_version:
      - 2
      - 0
    .max_flat_workgroup_size: 256
    .name:           _ZN7rocprim17ROCPRIM_400000_NS6detail17trampoline_kernelINS0_13select_configILj256ELj13ELNS0_17block_load_methodE3ELS4_3ELS4_3ELNS0_20block_scan_algorithmE0ELj4294967295EEENS1_25partition_config_selectorILNS1_17partition_subalgoE4EjNS0_10empty_typeEbEEZZNS1_14partition_implILS8_4ELb0ES6_15HIP_vector_typeIjLj2EENS0_17counting_iteratorIjlEEPS9_SG_NS0_5tupleIJPjSI_NS0_16reverse_iteratorISI_EEEEENSH_IJSG_SG_SG_EEES9_SI_JZNS1_25segmented_radix_sort_implINS0_14default_configELb0EPKiPiPKlPlN2at6native12_GLOBAL__N_18offset_tEEE10hipError_tPvRmT1_PNSt15iterator_traitsIS12_E10value_typeET2_T3_PNS13_IS18_E10value_typeET4_jRbjT5_S1E_jjP12ihipStream_tbEUljE_ZNSN_ISO_Lb0ESQ_SR_ST_SU_SY_EESZ_S10_S11_S12_S16_S17_S18_S1B_S1C_jS1D_jS1E_S1E_jjS1G_bEUljE0_EEESZ_S10_S11_S18_S1C_S1E_T6_T7_T9_mT8_S1G_bDpT10_ENKUlT_T0_E_clISt17integral_constantIbLb1EES1U_EEDaS1P_S1Q_EUlS1P_E_NS1_11comp_targetILNS1_3genE10ELNS1_11target_archE1200ELNS1_3gpuE4ELNS1_3repE0EEENS1_30default_config_static_selectorELNS0_4arch9wavefront6targetE1EEEvS12_
    .private_segment_fixed_size: 0
    .sgpr_count:     4
    .sgpr_spill_count: 0
    .symbol:         _ZN7rocprim17ROCPRIM_400000_NS6detail17trampoline_kernelINS0_13select_configILj256ELj13ELNS0_17block_load_methodE3ELS4_3ELS4_3ELNS0_20block_scan_algorithmE0ELj4294967295EEENS1_25partition_config_selectorILNS1_17partition_subalgoE4EjNS0_10empty_typeEbEEZZNS1_14partition_implILS8_4ELb0ES6_15HIP_vector_typeIjLj2EENS0_17counting_iteratorIjlEEPS9_SG_NS0_5tupleIJPjSI_NS0_16reverse_iteratorISI_EEEEENSH_IJSG_SG_SG_EEES9_SI_JZNS1_25segmented_radix_sort_implINS0_14default_configELb0EPKiPiPKlPlN2at6native12_GLOBAL__N_18offset_tEEE10hipError_tPvRmT1_PNSt15iterator_traitsIS12_E10value_typeET2_T3_PNS13_IS18_E10value_typeET4_jRbjT5_S1E_jjP12ihipStream_tbEUljE_ZNSN_ISO_Lb0ESQ_SR_ST_SU_SY_EESZ_S10_S11_S12_S16_S17_S18_S1B_S1C_jS1D_jS1E_S1E_jjS1G_bEUljE0_EEESZ_S10_S11_S18_S1C_S1E_T6_T7_T9_mT8_S1G_bDpT10_ENKUlT_T0_E_clISt17integral_constantIbLb1EES1U_EEDaS1P_S1Q_EUlS1P_E_NS1_11comp_targetILNS1_3genE10ELNS1_11target_archE1200ELNS1_3gpuE4ELNS1_3repE0EEENS1_30default_config_static_selectorELNS0_4arch9wavefront6targetE1EEEvS12_.kd
    .uniform_work_group_size: 1
    .uses_dynamic_stack: false
    .vgpr_count:     0
    .vgpr_spill_count: 0
    .wavefront_size: 64
  - .agpr_count:     0
    .args:
      - .offset:         0
        .size:           184
        .value_kind:     by_value
    .group_segment_fixed_size: 0
    .kernarg_segment_align: 8
    .kernarg_segment_size: 184
    .language:       OpenCL C
    .language_version:
      - 2
      - 0
    .max_flat_workgroup_size: 256
    .name:           _ZN7rocprim17ROCPRIM_400000_NS6detail17trampoline_kernelINS0_13select_configILj256ELj13ELNS0_17block_load_methodE3ELS4_3ELS4_3ELNS0_20block_scan_algorithmE0ELj4294967295EEENS1_25partition_config_selectorILNS1_17partition_subalgoE4EjNS0_10empty_typeEbEEZZNS1_14partition_implILS8_4ELb0ES6_15HIP_vector_typeIjLj2EENS0_17counting_iteratorIjlEEPS9_SG_NS0_5tupleIJPjSI_NS0_16reverse_iteratorISI_EEEEENSH_IJSG_SG_SG_EEES9_SI_JZNS1_25segmented_radix_sort_implINS0_14default_configELb0EPKiPiPKlPlN2at6native12_GLOBAL__N_18offset_tEEE10hipError_tPvRmT1_PNSt15iterator_traitsIS12_E10value_typeET2_T3_PNS13_IS18_E10value_typeET4_jRbjT5_S1E_jjP12ihipStream_tbEUljE_ZNSN_ISO_Lb0ESQ_SR_ST_SU_SY_EESZ_S10_S11_S12_S16_S17_S18_S1B_S1C_jS1D_jS1E_S1E_jjS1G_bEUljE0_EEESZ_S10_S11_S18_S1C_S1E_T6_T7_T9_mT8_S1G_bDpT10_ENKUlT_T0_E_clISt17integral_constantIbLb1EES1U_EEDaS1P_S1Q_EUlS1P_E_NS1_11comp_targetILNS1_3genE9ELNS1_11target_archE1100ELNS1_3gpuE3ELNS1_3repE0EEENS1_30default_config_static_selectorELNS0_4arch9wavefront6targetE1EEEvS12_
    .private_segment_fixed_size: 0
    .sgpr_count:     4
    .sgpr_spill_count: 0
    .symbol:         _ZN7rocprim17ROCPRIM_400000_NS6detail17trampoline_kernelINS0_13select_configILj256ELj13ELNS0_17block_load_methodE3ELS4_3ELS4_3ELNS0_20block_scan_algorithmE0ELj4294967295EEENS1_25partition_config_selectorILNS1_17partition_subalgoE4EjNS0_10empty_typeEbEEZZNS1_14partition_implILS8_4ELb0ES6_15HIP_vector_typeIjLj2EENS0_17counting_iteratorIjlEEPS9_SG_NS0_5tupleIJPjSI_NS0_16reverse_iteratorISI_EEEEENSH_IJSG_SG_SG_EEES9_SI_JZNS1_25segmented_radix_sort_implINS0_14default_configELb0EPKiPiPKlPlN2at6native12_GLOBAL__N_18offset_tEEE10hipError_tPvRmT1_PNSt15iterator_traitsIS12_E10value_typeET2_T3_PNS13_IS18_E10value_typeET4_jRbjT5_S1E_jjP12ihipStream_tbEUljE_ZNSN_ISO_Lb0ESQ_SR_ST_SU_SY_EESZ_S10_S11_S12_S16_S17_S18_S1B_S1C_jS1D_jS1E_S1E_jjS1G_bEUljE0_EEESZ_S10_S11_S18_S1C_S1E_T6_T7_T9_mT8_S1G_bDpT10_ENKUlT_T0_E_clISt17integral_constantIbLb1EES1U_EEDaS1P_S1Q_EUlS1P_E_NS1_11comp_targetILNS1_3genE9ELNS1_11target_archE1100ELNS1_3gpuE3ELNS1_3repE0EEENS1_30default_config_static_selectorELNS0_4arch9wavefront6targetE1EEEvS12_.kd
    .uniform_work_group_size: 1
    .uses_dynamic_stack: false
    .vgpr_count:     0
    .vgpr_spill_count: 0
    .wavefront_size: 64
  - .agpr_count:     0
    .args:
      - .offset:         0
        .size:           184
        .value_kind:     by_value
    .group_segment_fixed_size: 0
    .kernarg_segment_align: 8
    .kernarg_segment_size: 184
    .language:       OpenCL C
    .language_version:
      - 2
      - 0
    .max_flat_workgroup_size: 256
    .name:           _ZN7rocprim17ROCPRIM_400000_NS6detail17trampoline_kernelINS0_13select_configILj256ELj13ELNS0_17block_load_methodE3ELS4_3ELS4_3ELNS0_20block_scan_algorithmE0ELj4294967295EEENS1_25partition_config_selectorILNS1_17partition_subalgoE4EjNS0_10empty_typeEbEEZZNS1_14partition_implILS8_4ELb0ES6_15HIP_vector_typeIjLj2EENS0_17counting_iteratorIjlEEPS9_SG_NS0_5tupleIJPjSI_NS0_16reverse_iteratorISI_EEEEENSH_IJSG_SG_SG_EEES9_SI_JZNS1_25segmented_radix_sort_implINS0_14default_configELb0EPKiPiPKlPlN2at6native12_GLOBAL__N_18offset_tEEE10hipError_tPvRmT1_PNSt15iterator_traitsIS12_E10value_typeET2_T3_PNS13_IS18_E10value_typeET4_jRbjT5_S1E_jjP12ihipStream_tbEUljE_ZNSN_ISO_Lb0ESQ_SR_ST_SU_SY_EESZ_S10_S11_S12_S16_S17_S18_S1B_S1C_jS1D_jS1E_S1E_jjS1G_bEUljE0_EEESZ_S10_S11_S18_S1C_S1E_T6_T7_T9_mT8_S1G_bDpT10_ENKUlT_T0_E_clISt17integral_constantIbLb1EES1U_EEDaS1P_S1Q_EUlS1P_E_NS1_11comp_targetILNS1_3genE8ELNS1_11target_archE1030ELNS1_3gpuE2ELNS1_3repE0EEENS1_30default_config_static_selectorELNS0_4arch9wavefront6targetE1EEEvS12_
    .private_segment_fixed_size: 0
    .sgpr_count:     4
    .sgpr_spill_count: 0
    .symbol:         _ZN7rocprim17ROCPRIM_400000_NS6detail17trampoline_kernelINS0_13select_configILj256ELj13ELNS0_17block_load_methodE3ELS4_3ELS4_3ELNS0_20block_scan_algorithmE0ELj4294967295EEENS1_25partition_config_selectorILNS1_17partition_subalgoE4EjNS0_10empty_typeEbEEZZNS1_14partition_implILS8_4ELb0ES6_15HIP_vector_typeIjLj2EENS0_17counting_iteratorIjlEEPS9_SG_NS0_5tupleIJPjSI_NS0_16reverse_iteratorISI_EEEEENSH_IJSG_SG_SG_EEES9_SI_JZNS1_25segmented_radix_sort_implINS0_14default_configELb0EPKiPiPKlPlN2at6native12_GLOBAL__N_18offset_tEEE10hipError_tPvRmT1_PNSt15iterator_traitsIS12_E10value_typeET2_T3_PNS13_IS18_E10value_typeET4_jRbjT5_S1E_jjP12ihipStream_tbEUljE_ZNSN_ISO_Lb0ESQ_SR_ST_SU_SY_EESZ_S10_S11_S12_S16_S17_S18_S1B_S1C_jS1D_jS1E_S1E_jjS1G_bEUljE0_EEESZ_S10_S11_S18_S1C_S1E_T6_T7_T9_mT8_S1G_bDpT10_ENKUlT_T0_E_clISt17integral_constantIbLb1EES1U_EEDaS1P_S1Q_EUlS1P_E_NS1_11comp_targetILNS1_3genE8ELNS1_11target_archE1030ELNS1_3gpuE2ELNS1_3repE0EEENS1_30default_config_static_selectorELNS0_4arch9wavefront6targetE1EEEvS12_.kd
    .uniform_work_group_size: 1
    .uses_dynamic_stack: false
    .vgpr_count:     0
    .vgpr_spill_count: 0
    .wavefront_size: 64
  - .agpr_count:     0
    .args:
      - .offset:         0
        .size:           176
        .value_kind:     by_value
    .group_segment_fixed_size: 0
    .kernarg_segment_align: 8
    .kernarg_segment_size: 176
    .language:       OpenCL C
    .language_version:
      - 2
      - 0
    .max_flat_workgroup_size: 256
    .name:           _ZN7rocprim17ROCPRIM_400000_NS6detail17trampoline_kernelINS0_13select_configILj256ELj13ELNS0_17block_load_methodE3ELS4_3ELS4_3ELNS0_20block_scan_algorithmE0ELj4294967295EEENS1_25partition_config_selectorILNS1_17partition_subalgoE4EjNS0_10empty_typeEbEEZZNS1_14partition_implILS8_4ELb0ES6_15HIP_vector_typeIjLj2EENS0_17counting_iteratorIjlEEPS9_SG_NS0_5tupleIJPjSI_NS0_16reverse_iteratorISI_EEEEENSH_IJSG_SG_SG_EEES9_SI_JZNS1_25segmented_radix_sort_implINS0_14default_configELb0EPKiPiPKlPlN2at6native12_GLOBAL__N_18offset_tEEE10hipError_tPvRmT1_PNSt15iterator_traitsIS12_E10value_typeET2_T3_PNS13_IS18_E10value_typeET4_jRbjT5_S1E_jjP12ihipStream_tbEUljE_ZNSN_ISO_Lb0ESQ_SR_ST_SU_SY_EESZ_S10_S11_S12_S16_S17_S18_S1B_S1C_jS1D_jS1E_S1E_jjS1G_bEUljE0_EEESZ_S10_S11_S18_S1C_S1E_T6_T7_T9_mT8_S1G_bDpT10_ENKUlT_T0_E_clISt17integral_constantIbLb1EES1T_IbLb0EEEEDaS1P_S1Q_EUlS1P_E_NS1_11comp_targetILNS1_3genE0ELNS1_11target_archE4294967295ELNS1_3gpuE0ELNS1_3repE0EEENS1_30default_config_static_selectorELNS0_4arch9wavefront6targetE1EEEvS12_
    .private_segment_fixed_size: 0
    .sgpr_count:     4
    .sgpr_spill_count: 0
    .symbol:         _ZN7rocprim17ROCPRIM_400000_NS6detail17trampoline_kernelINS0_13select_configILj256ELj13ELNS0_17block_load_methodE3ELS4_3ELS4_3ELNS0_20block_scan_algorithmE0ELj4294967295EEENS1_25partition_config_selectorILNS1_17partition_subalgoE4EjNS0_10empty_typeEbEEZZNS1_14partition_implILS8_4ELb0ES6_15HIP_vector_typeIjLj2EENS0_17counting_iteratorIjlEEPS9_SG_NS0_5tupleIJPjSI_NS0_16reverse_iteratorISI_EEEEENSH_IJSG_SG_SG_EEES9_SI_JZNS1_25segmented_radix_sort_implINS0_14default_configELb0EPKiPiPKlPlN2at6native12_GLOBAL__N_18offset_tEEE10hipError_tPvRmT1_PNSt15iterator_traitsIS12_E10value_typeET2_T3_PNS13_IS18_E10value_typeET4_jRbjT5_S1E_jjP12ihipStream_tbEUljE_ZNSN_ISO_Lb0ESQ_SR_ST_SU_SY_EESZ_S10_S11_S12_S16_S17_S18_S1B_S1C_jS1D_jS1E_S1E_jjS1G_bEUljE0_EEESZ_S10_S11_S18_S1C_S1E_T6_T7_T9_mT8_S1G_bDpT10_ENKUlT_T0_E_clISt17integral_constantIbLb1EES1T_IbLb0EEEEDaS1P_S1Q_EUlS1P_E_NS1_11comp_targetILNS1_3genE0ELNS1_11target_archE4294967295ELNS1_3gpuE0ELNS1_3repE0EEENS1_30default_config_static_selectorELNS0_4arch9wavefront6targetE1EEEvS12_.kd
    .uniform_work_group_size: 1
    .uses_dynamic_stack: false
    .vgpr_count:     0
    .vgpr_spill_count: 0
    .wavefront_size: 64
  - .agpr_count:     0
    .args:
      - .offset:         0
        .size:           176
        .value_kind:     by_value
    .group_segment_fixed_size: 0
    .kernarg_segment_align: 8
    .kernarg_segment_size: 176
    .language:       OpenCL C
    .language_version:
      - 2
      - 0
    .max_flat_workgroup_size: 256
    .name:           _ZN7rocprim17ROCPRIM_400000_NS6detail17trampoline_kernelINS0_13select_configILj256ELj13ELNS0_17block_load_methodE3ELS4_3ELS4_3ELNS0_20block_scan_algorithmE0ELj4294967295EEENS1_25partition_config_selectorILNS1_17partition_subalgoE4EjNS0_10empty_typeEbEEZZNS1_14partition_implILS8_4ELb0ES6_15HIP_vector_typeIjLj2EENS0_17counting_iteratorIjlEEPS9_SG_NS0_5tupleIJPjSI_NS0_16reverse_iteratorISI_EEEEENSH_IJSG_SG_SG_EEES9_SI_JZNS1_25segmented_radix_sort_implINS0_14default_configELb0EPKiPiPKlPlN2at6native12_GLOBAL__N_18offset_tEEE10hipError_tPvRmT1_PNSt15iterator_traitsIS12_E10value_typeET2_T3_PNS13_IS18_E10value_typeET4_jRbjT5_S1E_jjP12ihipStream_tbEUljE_ZNSN_ISO_Lb0ESQ_SR_ST_SU_SY_EESZ_S10_S11_S12_S16_S17_S18_S1B_S1C_jS1D_jS1E_S1E_jjS1G_bEUljE0_EEESZ_S10_S11_S18_S1C_S1E_T6_T7_T9_mT8_S1G_bDpT10_ENKUlT_T0_E_clISt17integral_constantIbLb1EES1T_IbLb0EEEEDaS1P_S1Q_EUlS1P_E_NS1_11comp_targetILNS1_3genE5ELNS1_11target_archE942ELNS1_3gpuE9ELNS1_3repE0EEENS1_30default_config_static_selectorELNS0_4arch9wavefront6targetE1EEEvS12_
    .private_segment_fixed_size: 0
    .sgpr_count:     4
    .sgpr_spill_count: 0
    .symbol:         _ZN7rocprim17ROCPRIM_400000_NS6detail17trampoline_kernelINS0_13select_configILj256ELj13ELNS0_17block_load_methodE3ELS4_3ELS4_3ELNS0_20block_scan_algorithmE0ELj4294967295EEENS1_25partition_config_selectorILNS1_17partition_subalgoE4EjNS0_10empty_typeEbEEZZNS1_14partition_implILS8_4ELb0ES6_15HIP_vector_typeIjLj2EENS0_17counting_iteratorIjlEEPS9_SG_NS0_5tupleIJPjSI_NS0_16reverse_iteratorISI_EEEEENSH_IJSG_SG_SG_EEES9_SI_JZNS1_25segmented_radix_sort_implINS0_14default_configELb0EPKiPiPKlPlN2at6native12_GLOBAL__N_18offset_tEEE10hipError_tPvRmT1_PNSt15iterator_traitsIS12_E10value_typeET2_T3_PNS13_IS18_E10value_typeET4_jRbjT5_S1E_jjP12ihipStream_tbEUljE_ZNSN_ISO_Lb0ESQ_SR_ST_SU_SY_EESZ_S10_S11_S12_S16_S17_S18_S1B_S1C_jS1D_jS1E_S1E_jjS1G_bEUljE0_EEESZ_S10_S11_S18_S1C_S1E_T6_T7_T9_mT8_S1G_bDpT10_ENKUlT_T0_E_clISt17integral_constantIbLb1EES1T_IbLb0EEEEDaS1P_S1Q_EUlS1P_E_NS1_11comp_targetILNS1_3genE5ELNS1_11target_archE942ELNS1_3gpuE9ELNS1_3repE0EEENS1_30default_config_static_selectorELNS0_4arch9wavefront6targetE1EEEvS12_.kd
    .uniform_work_group_size: 1
    .uses_dynamic_stack: false
    .vgpr_count:     0
    .vgpr_spill_count: 0
    .wavefront_size: 64
  - .agpr_count:     0
    .args:
      - .offset:         0
        .size:           176
        .value_kind:     by_value
    .group_segment_fixed_size: 13340
    .kernarg_segment_align: 8
    .kernarg_segment_size: 176
    .language:       OpenCL C
    .language_version:
      - 2
      - 0
    .max_flat_workgroup_size: 256
    .name:           _ZN7rocprim17ROCPRIM_400000_NS6detail17trampoline_kernelINS0_13select_configILj256ELj13ELNS0_17block_load_methodE3ELS4_3ELS4_3ELNS0_20block_scan_algorithmE0ELj4294967295EEENS1_25partition_config_selectorILNS1_17partition_subalgoE4EjNS0_10empty_typeEbEEZZNS1_14partition_implILS8_4ELb0ES6_15HIP_vector_typeIjLj2EENS0_17counting_iteratorIjlEEPS9_SG_NS0_5tupleIJPjSI_NS0_16reverse_iteratorISI_EEEEENSH_IJSG_SG_SG_EEES9_SI_JZNS1_25segmented_radix_sort_implINS0_14default_configELb0EPKiPiPKlPlN2at6native12_GLOBAL__N_18offset_tEEE10hipError_tPvRmT1_PNSt15iterator_traitsIS12_E10value_typeET2_T3_PNS13_IS18_E10value_typeET4_jRbjT5_S1E_jjP12ihipStream_tbEUljE_ZNSN_ISO_Lb0ESQ_SR_ST_SU_SY_EESZ_S10_S11_S12_S16_S17_S18_S1B_S1C_jS1D_jS1E_S1E_jjS1G_bEUljE0_EEESZ_S10_S11_S18_S1C_S1E_T6_T7_T9_mT8_S1G_bDpT10_ENKUlT_T0_E_clISt17integral_constantIbLb1EES1T_IbLb0EEEEDaS1P_S1Q_EUlS1P_E_NS1_11comp_targetILNS1_3genE4ELNS1_11target_archE910ELNS1_3gpuE8ELNS1_3repE0EEENS1_30default_config_static_selectorELNS0_4arch9wavefront6targetE1EEEvS12_
    .private_segment_fixed_size: 0
    .sgpr_count:     94
    .sgpr_spill_count: 0
    .symbol:         _ZN7rocprim17ROCPRIM_400000_NS6detail17trampoline_kernelINS0_13select_configILj256ELj13ELNS0_17block_load_methodE3ELS4_3ELS4_3ELNS0_20block_scan_algorithmE0ELj4294967295EEENS1_25partition_config_selectorILNS1_17partition_subalgoE4EjNS0_10empty_typeEbEEZZNS1_14partition_implILS8_4ELb0ES6_15HIP_vector_typeIjLj2EENS0_17counting_iteratorIjlEEPS9_SG_NS0_5tupleIJPjSI_NS0_16reverse_iteratorISI_EEEEENSH_IJSG_SG_SG_EEES9_SI_JZNS1_25segmented_radix_sort_implINS0_14default_configELb0EPKiPiPKlPlN2at6native12_GLOBAL__N_18offset_tEEE10hipError_tPvRmT1_PNSt15iterator_traitsIS12_E10value_typeET2_T3_PNS13_IS18_E10value_typeET4_jRbjT5_S1E_jjP12ihipStream_tbEUljE_ZNSN_ISO_Lb0ESQ_SR_ST_SU_SY_EESZ_S10_S11_S12_S16_S17_S18_S1B_S1C_jS1D_jS1E_S1E_jjS1G_bEUljE0_EEESZ_S10_S11_S18_S1C_S1E_T6_T7_T9_mT8_S1G_bDpT10_ENKUlT_T0_E_clISt17integral_constantIbLb1EES1T_IbLb0EEEEDaS1P_S1Q_EUlS1P_E_NS1_11comp_targetILNS1_3genE4ELNS1_11target_archE910ELNS1_3gpuE8ELNS1_3repE0EEENS1_30default_config_static_selectorELNS0_4arch9wavefront6targetE1EEEvS12_.kd
    .uniform_work_group_size: 1
    .uses_dynamic_stack: false
    .vgpr_count:     102
    .vgpr_spill_count: 0
    .wavefront_size: 64
  - .agpr_count:     0
    .args:
      - .offset:         0
        .size:           176
        .value_kind:     by_value
    .group_segment_fixed_size: 0
    .kernarg_segment_align: 8
    .kernarg_segment_size: 176
    .language:       OpenCL C
    .language_version:
      - 2
      - 0
    .max_flat_workgroup_size: 256
    .name:           _ZN7rocprim17ROCPRIM_400000_NS6detail17trampoline_kernelINS0_13select_configILj256ELj13ELNS0_17block_load_methodE3ELS4_3ELS4_3ELNS0_20block_scan_algorithmE0ELj4294967295EEENS1_25partition_config_selectorILNS1_17partition_subalgoE4EjNS0_10empty_typeEbEEZZNS1_14partition_implILS8_4ELb0ES6_15HIP_vector_typeIjLj2EENS0_17counting_iteratorIjlEEPS9_SG_NS0_5tupleIJPjSI_NS0_16reverse_iteratorISI_EEEEENSH_IJSG_SG_SG_EEES9_SI_JZNS1_25segmented_radix_sort_implINS0_14default_configELb0EPKiPiPKlPlN2at6native12_GLOBAL__N_18offset_tEEE10hipError_tPvRmT1_PNSt15iterator_traitsIS12_E10value_typeET2_T3_PNS13_IS18_E10value_typeET4_jRbjT5_S1E_jjP12ihipStream_tbEUljE_ZNSN_ISO_Lb0ESQ_SR_ST_SU_SY_EESZ_S10_S11_S12_S16_S17_S18_S1B_S1C_jS1D_jS1E_S1E_jjS1G_bEUljE0_EEESZ_S10_S11_S18_S1C_S1E_T6_T7_T9_mT8_S1G_bDpT10_ENKUlT_T0_E_clISt17integral_constantIbLb1EES1T_IbLb0EEEEDaS1P_S1Q_EUlS1P_E_NS1_11comp_targetILNS1_3genE3ELNS1_11target_archE908ELNS1_3gpuE7ELNS1_3repE0EEENS1_30default_config_static_selectorELNS0_4arch9wavefront6targetE1EEEvS12_
    .private_segment_fixed_size: 0
    .sgpr_count:     4
    .sgpr_spill_count: 0
    .symbol:         _ZN7rocprim17ROCPRIM_400000_NS6detail17trampoline_kernelINS0_13select_configILj256ELj13ELNS0_17block_load_methodE3ELS4_3ELS4_3ELNS0_20block_scan_algorithmE0ELj4294967295EEENS1_25partition_config_selectorILNS1_17partition_subalgoE4EjNS0_10empty_typeEbEEZZNS1_14partition_implILS8_4ELb0ES6_15HIP_vector_typeIjLj2EENS0_17counting_iteratorIjlEEPS9_SG_NS0_5tupleIJPjSI_NS0_16reverse_iteratorISI_EEEEENSH_IJSG_SG_SG_EEES9_SI_JZNS1_25segmented_radix_sort_implINS0_14default_configELb0EPKiPiPKlPlN2at6native12_GLOBAL__N_18offset_tEEE10hipError_tPvRmT1_PNSt15iterator_traitsIS12_E10value_typeET2_T3_PNS13_IS18_E10value_typeET4_jRbjT5_S1E_jjP12ihipStream_tbEUljE_ZNSN_ISO_Lb0ESQ_SR_ST_SU_SY_EESZ_S10_S11_S12_S16_S17_S18_S1B_S1C_jS1D_jS1E_S1E_jjS1G_bEUljE0_EEESZ_S10_S11_S18_S1C_S1E_T6_T7_T9_mT8_S1G_bDpT10_ENKUlT_T0_E_clISt17integral_constantIbLb1EES1T_IbLb0EEEEDaS1P_S1Q_EUlS1P_E_NS1_11comp_targetILNS1_3genE3ELNS1_11target_archE908ELNS1_3gpuE7ELNS1_3repE0EEENS1_30default_config_static_selectorELNS0_4arch9wavefront6targetE1EEEvS12_.kd
    .uniform_work_group_size: 1
    .uses_dynamic_stack: false
    .vgpr_count:     0
    .vgpr_spill_count: 0
    .wavefront_size: 64
  - .agpr_count:     0
    .args:
      - .offset:         0
        .size:           176
        .value_kind:     by_value
    .group_segment_fixed_size: 0
    .kernarg_segment_align: 8
    .kernarg_segment_size: 176
    .language:       OpenCL C
    .language_version:
      - 2
      - 0
    .max_flat_workgroup_size: 256
    .name:           _ZN7rocprim17ROCPRIM_400000_NS6detail17trampoline_kernelINS0_13select_configILj256ELj13ELNS0_17block_load_methodE3ELS4_3ELS4_3ELNS0_20block_scan_algorithmE0ELj4294967295EEENS1_25partition_config_selectorILNS1_17partition_subalgoE4EjNS0_10empty_typeEbEEZZNS1_14partition_implILS8_4ELb0ES6_15HIP_vector_typeIjLj2EENS0_17counting_iteratorIjlEEPS9_SG_NS0_5tupleIJPjSI_NS0_16reverse_iteratorISI_EEEEENSH_IJSG_SG_SG_EEES9_SI_JZNS1_25segmented_radix_sort_implINS0_14default_configELb0EPKiPiPKlPlN2at6native12_GLOBAL__N_18offset_tEEE10hipError_tPvRmT1_PNSt15iterator_traitsIS12_E10value_typeET2_T3_PNS13_IS18_E10value_typeET4_jRbjT5_S1E_jjP12ihipStream_tbEUljE_ZNSN_ISO_Lb0ESQ_SR_ST_SU_SY_EESZ_S10_S11_S12_S16_S17_S18_S1B_S1C_jS1D_jS1E_S1E_jjS1G_bEUljE0_EEESZ_S10_S11_S18_S1C_S1E_T6_T7_T9_mT8_S1G_bDpT10_ENKUlT_T0_E_clISt17integral_constantIbLb1EES1T_IbLb0EEEEDaS1P_S1Q_EUlS1P_E_NS1_11comp_targetILNS1_3genE2ELNS1_11target_archE906ELNS1_3gpuE6ELNS1_3repE0EEENS1_30default_config_static_selectorELNS0_4arch9wavefront6targetE1EEEvS12_
    .private_segment_fixed_size: 0
    .sgpr_count:     4
    .sgpr_spill_count: 0
    .symbol:         _ZN7rocprim17ROCPRIM_400000_NS6detail17trampoline_kernelINS0_13select_configILj256ELj13ELNS0_17block_load_methodE3ELS4_3ELS4_3ELNS0_20block_scan_algorithmE0ELj4294967295EEENS1_25partition_config_selectorILNS1_17partition_subalgoE4EjNS0_10empty_typeEbEEZZNS1_14partition_implILS8_4ELb0ES6_15HIP_vector_typeIjLj2EENS0_17counting_iteratorIjlEEPS9_SG_NS0_5tupleIJPjSI_NS0_16reverse_iteratorISI_EEEEENSH_IJSG_SG_SG_EEES9_SI_JZNS1_25segmented_radix_sort_implINS0_14default_configELb0EPKiPiPKlPlN2at6native12_GLOBAL__N_18offset_tEEE10hipError_tPvRmT1_PNSt15iterator_traitsIS12_E10value_typeET2_T3_PNS13_IS18_E10value_typeET4_jRbjT5_S1E_jjP12ihipStream_tbEUljE_ZNSN_ISO_Lb0ESQ_SR_ST_SU_SY_EESZ_S10_S11_S12_S16_S17_S18_S1B_S1C_jS1D_jS1E_S1E_jjS1G_bEUljE0_EEESZ_S10_S11_S18_S1C_S1E_T6_T7_T9_mT8_S1G_bDpT10_ENKUlT_T0_E_clISt17integral_constantIbLb1EES1T_IbLb0EEEEDaS1P_S1Q_EUlS1P_E_NS1_11comp_targetILNS1_3genE2ELNS1_11target_archE906ELNS1_3gpuE6ELNS1_3repE0EEENS1_30default_config_static_selectorELNS0_4arch9wavefront6targetE1EEEvS12_.kd
    .uniform_work_group_size: 1
    .uses_dynamic_stack: false
    .vgpr_count:     0
    .vgpr_spill_count: 0
    .wavefront_size: 64
  - .agpr_count:     0
    .args:
      - .offset:         0
        .size:           176
        .value_kind:     by_value
    .group_segment_fixed_size: 0
    .kernarg_segment_align: 8
    .kernarg_segment_size: 176
    .language:       OpenCL C
    .language_version:
      - 2
      - 0
    .max_flat_workgroup_size: 256
    .name:           _ZN7rocprim17ROCPRIM_400000_NS6detail17trampoline_kernelINS0_13select_configILj256ELj13ELNS0_17block_load_methodE3ELS4_3ELS4_3ELNS0_20block_scan_algorithmE0ELj4294967295EEENS1_25partition_config_selectorILNS1_17partition_subalgoE4EjNS0_10empty_typeEbEEZZNS1_14partition_implILS8_4ELb0ES6_15HIP_vector_typeIjLj2EENS0_17counting_iteratorIjlEEPS9_SG_NS0_5tupleIJPjSI_NS0_16reverse_iteratorISI_EEEEENSH_IJSG_SG_SG_EEES9_SI_JZNS1_25segmented_radix_sort_implINS0_14default_configELb0EPKiPiPKlPlN2at6native12_GLOBAL__N_18offset_tEEE10hipError_tPvRmT1_PNSt15iterator_traitsIS12_E10value_typeET2_T3_PNS13_IS18_E10value_typeET4_jRbjT5_S1E_jjP12ihipStream_tbEUljE_ZNSN_ISO_Lb0ESQ_SR_ST_SU_SY_EESZ_S10_S11_S12_S16_S17_S18_S1B_S1C_jS1D_jS1E_S1E_jjS1G_bEUljE0_EEESZ_S10_S11_S18_S1C_S1E_T6_T7_T9_mT8_S1G_bDpT10_ENKUlT_T0_E_clISt17integral_constantIbLb1EES1T_IbLb0EEEEDaS1P_S1Q_EUlS1P_E_NS1_11comp_targetILNS1_3genE10ELNS1_11target_archE1200ELNS1_3gpuE4ELNS1_3repE0EEENS1_30default_config_static_selectorELNS0_4arch9wavefront6targetE1EEEvS12_
    .private_segment_fixed_size: 0
    .sgpr_count:     4
    .sgpr_spill_count: 0
    .symbol:         _ZN7rocprim17ROCPRIM_400000_NS6detail17trampoline_kernelINS0_13select_configILj256ELj13ELNS0_17block_load_methodE3ELS4_3ELS4_3ELNS0_20block_scan_algorithmE0ELj4294967295EEENS1_25partition_config_selectorILNS1_17partition_subalgoE4EjNS0_10empty_typeEbEEZZNS1_14partition_implILS8_4ELb0ES6_15HIP_vector_typeIjLj2EENS0_17counting_iteratorIjlEEPS9_SG_NS0_5tupleIJPjSI_NS0_16reverse_iteratorISI_EEEEENSH_IJSG_SG_SG_EEES9_SI_JZNS1_25segmented_radix_sort_implINS0_14default_configELb0EPKiPiPKlPlN2at6native12_GLOBAL__N_18offset_tEEE10hipError_tPvRmT1_PNSt15iterator_traitsIS12_E10value_typeET2_T3_PNS13_IS18_E10value_typeET4_jRbjT5_S1E_jjP12ihipStream_tbEUljE_ZNSN_ISO_Lb0ESQ_SR_ST_SU_SY_EESZ_S10_S11_S12_S16_S17_S18_S1B_S1C_jS1D_jS1E_S1E_jjS1G_bEUljE0_EEESZ_S10_S11_S18_S1C_S1E_T6_T7_T9_mT8_S1G_bDpT10_ENKUlT_T0_E_clISt17integral_constantIbLb1EES1T_IbLb0EEEEDaS1P_S1Q_EUlS1P_E_NS1_11comp_targetILNS1_3genE10ELNS1_11target_archE1200ELNS1_3gpuE4ELNS1_3repE0EEENS1_30default_config_static_selectorELNS0_4arch9wavefront6targetE1EEEvS12_.kd
    .uniform_work_group_size: 1
    .uses_dynamic_stack: false
    .vgpr_count:     0
    .vgpr_spill_count: 0
    .wavefront_size: 64
  - .agpr_count:     0
    .args:
      - .offset:         0
        .size:           176
        .value_kind:     by_value
    .group_segment_fixed_size: 0
    .kernarg_segment_align: 8
    .kernarg_segment_size: 176
    .language:       OpenCL C
    .language_version:
      - 2
      - 0
    .max_flat_workgroup_size: 256
    .name:           _ZN7rocprim17ROCPRIM_400000_NS6detail17trampoline_kernelINS0_13select_configILj256ELj13ELNS0_17block_load_methodE3ELS4_3ELS4_3ELNS0_20block_scan_algorithmE0ELj4294967295EEENS1_25partition_config_selectorILNS1_17partition_subalgoE4EjNS0_10empty_typeEbEEZZNS1_14partition_implILS8_4ELb0ES6_15HIP_vector_typeIjLj2EENS0_17counting_iteratorIjlEEPS9_SG_NS0_5tupleIJPjSI_NS0_16reverse_iteratorISI_EEEEENSH_IJSG_SG_SG_EEES9_SI_JZNS1_25segmented_radix_sort_implINS0_14default_configELb0EPKiPiPKlPlN2at6native12_GLOBAL__N_18offset_tEEE10hipError_tPvRmT1_PNSt15iterator_traitsIS12_E10value_typeET2_T3_PNS13_IS18_E10value_typeET4_jRbjT5_S1E_jjP12ihipStream_tbEUljE_ZNSN_ISO_Lb0ESQ_SR_ST_SU_SY_EESZ_S10_S11_S12_S16_S17_S18_S1B_S1C_jS1D_jS1E_S1E_jjS1G_bEUljE0_EEESZ_S10_S11_S18_S1C_S1E_T6_T7_T9_mT8_S1G_bDpT10_ENKUlT_T0_E_clISt17integral_constantIbLb1EES1T_IbLb0EEEEDaS1P_S1Q_EUlS1P_E_NS1_11comp_targetILNS1_3genE9ELNS1_11target_archE1100ELNS1_3gpuE3ELNS1_3repE0EEENS1_30default_config_static_selectorELNS0_4arch9wavefront6targetE1EEEvS12_
    .private_segment_fixed_size: 0
    .sgpr_count:     4
    .sgpr_spill_count: 0
    .symbol:         _ZN7rocprim17ROCPRIM_400000_NS6detail17trampoline_kernelINS0_13select_configILj256ELj13ELNS0_17block_load_methodE3ELS4_3ELS4_3ELNS0_20block_scan_algorithmE0ELj4294967295EEENS1_25partition_config_selectorILNS1_17partition_subalgoE4EjNS0_10empty_typeEbEEZZNS1_14partition_implILS8_4ELb0ES6_15HIP_vector_typeIjLj2EENS0_17counting_iteratorIjlEEPS9_SG_NS0_5tupleIJPjSI_NS0_16reverse_iteratorISI_EEEEENSH_IJSG_SG_SG_EEES9_SI_JZNS1_25segmented_radix_sort_implINS0_14default_configELb0EPKiPiPKlPlN2at6native12_GLOBAL__N_18offset_tEEE10hipError_tPvRmT1_PNSt15iterator_traitsIS12_E10value_typeET2_T3_PNS13_IS18_E10value_typeET4_jRbjT5_S1E_jjP12ihipStream_tbEUljE_ZNSN_ISO_Lb0ESQ_SR_ST_SU_SY_EESZ_S10_S11_S12_S16_S17_S18_S1B_S1C_jS1D_jS1E_S1E_jjS1G_bEUljE0_EEESZ_S10_S11_S18_S1C_S1E_T6_T7_T9_mT8_S1G_bDpT10_ENKUlT_T0_E_clISt17integral_constantIbLb1EES1T_IbLb0EEEEDaS1P_S1Q_EUlS1P_E_NS1_11comp_targetILNS1_3genE9ELNS1_11target_archE1100ELNS1_3gpuE3ELNS1_3repE0EEENS1_30default_config_static_selectorELNS0_4arch9wavefront6targetE1EEEvS12_.kd
    .uniform_work_group_size: 1
    .uses_dynamic_stack: false
    .vgpr_count:     0
    .vgpr_spill_count: 0
    .wavefront_size: 64
  - .agpr_count:     0
    .args:
      - .offset:         0
        .size:           176
        .value_kind:     by_value
    .group_segment_fixed_size: 0
    .kernarg_segment_align: 8
    .kernarg_segment_size: 176
    .language:       OpenCL C
    .language_version:
      - 2
      - 0
    .max_flat_workgroup_size: 256
    .name:           _ZN7rocprim17ROCPRIM_400000_NS6detail17trampoline_kernelINS0_13select_configILj256ELj13ELNS0_17block_load_methodE3ELS4_3ELS4_3ELNS0_20block_scan_algorithmE0ELj4294967295EEENS1_25partition_config_selectorILNS1_17partition_subalgoE4EjNS0_10empty_typeEbEEZZNS1_14partition_implILS8_4ELb0ES6_15HIP_vector_typeIjLj2EENS0_17counting_iteratorIjlEEPS9_SG_NS0_5tupleIJPjSI_NS0_16reverse_iteratorISI_EEEEENSH_IJSG_SG_SG_EEES9_SI_JZNS1_25segmented_radix_sort_implINS0_14default_configELb0EPKiPiPKlPlN2at6native12_GLOBAL__N_18offset_tEEE10hipError_tPvRmT1_PNSt15iterator_traitsIS12_E10value_typeET2_T3_PNS13_IS18_E10value_typeET4_jRbjT5_S1E_jjP12ihipStream_tbEUljE_ZNSN_ISO_Lb0ESQ_SR_ST_SU_SY_EESZ_S10_S11_S12_S16_S17_S18_S1B_S1C_jS1D_jS1E_S1E_jjS1G_bEUljE0_EEESZ_S10_S11_S18_S1C_S1E_T6_T7_T9_mT8_S1G_bDpT10_ENKUlT_T0_E_clISt17integral_constantIbLb1EES1T_IbLb0EEEEDaS1P_S1Q_EUlS1P_E_NS1_11comp_targetILNS1_3genE8ELNS1_11target_archE1030ELNS1_3gpuE2ELNS1_3repE0EEENS1_30default_config_static_selectorELNS0_4arch9wavefront6targetE1EEEvS12_
    .private_segment_fixed_size: 0
    .sgpr_count:     4
    .sgpr_spill_count: 0
    .symbol:         _ZN7rocprim17ROCPRIM_400000_NS6detail17trampoline_kernelINS0_13select_configILj256ELj13ELNS0_17block_load_methodE3ELS4_3ELS4_3ELNS0_20block_scan_algorithmE0ELj4294967295EEENS1_25partition_config_selectorILNS1_17partition_subalgoE4EjNS0_10empty_typeEbEEZZNS1_14partition_implILS8_4ELb0ES6_15HIP_vector_typeIjLj2EENS0_17counting_iteratorIjlEEPS9_SG_NS0_5tupleIJPjSI_NS0_16reverse_iteratorISI_EEEEENSH_IJSG_SG_SG_EEES9_SI_JZNS1_25segmented_radix_sort_implINS0_14default_configELb0EPKiPiPKlPlN2at6native12_GLOBAL__N_18offset_tEEE10hipError_tPvRmT1_PNSt15iterator_traitsIS12_E10value_typeET2_T3_PNS13_IS18_E10value_typeET4_jRbjT5_S1E_jjP12ihipStream_tbEUljE_ZNSN_ISO_Lb0ESQ_SR_ST_SU_SY_EESZ_S10_S11_S12_S16_S17_S18_S1B_S1C_jS1D_jS1E_S1E_jjS1G_bEUljE0_EEESZ_S10_S11_S18_S1C_S1E_T6_T7_T9_mT8_S1G_bDpT10_ENKUlT_T0_E_clISt17integral_constantIbLb1EES1T_IbLb0EEEEDaS1P_S1Q_EUlS1P_E_NS1_11comp_targetILNS1_3genE8ELNS1_11target_archE1030ELNS1_3gpuE2ELNS1_3repE0EEENS1_30default_config_static_selectorELNS0_4arch9wavefront6targetE1EEEvS12_.kd
    .uniform_work_group_size: 1
    .uses_dynamic_stack: false
    .vgpr_count:     0
    .vgpr_spill_count: 0
    .wavefront_size: 64
  - .agpr_count:     0
    .args:
      - .offset:         0
        .size:           184
        .value_kind:     by_value
    .group_segment_fixed_size: 0
    .kernarg_segment_align: 8
    .kernarg_segment_size: 184
    .language:       OpenCL C
    .language_version:
      - 2
      - 0
    .max_flat_workgroup_size: 256
    .name:           _ZN7rocprim17ROCPRIM_400000_NS6detail17trampoline_kernelINS0_13select_configILj256ELj13ELNS0_17block_load_methodE3ELS4_3ELS4_3ELNS0_20block_scan_algorithmE0ELj4294967295EEENS1_25partition_config_selectorILNS1_17partition_subalgoE4EjNS0_10empty_typeEbEEZZNS1_14partition_implILS8_4ELb0ES6_15HIP_vector_typeIjLj2EENS0_17counting_iteratorIjlEEPS9_SG_NS0_5tupleIJPjSI_NS0_16reverse_iteratorISI_EEEEENSH_IJSG_SG_SG_EEES9_SI_JZNS1_25segmented_radix_sort_implINS0_14default_configELb0EPKiPiPKlPlN2at6native12_GLOBAL__N_18offset_tEEE10hipError_tPvRmT1_PNSt15iterator_traitsIS12_E10value_typeET2_T3_PNS13_IS18_E10value_typeET4_jRbjT5_S1E_jjP12ihipStream_tbEUljE_ZNSN_ISO_Lb0ESQ_SR_ST_SU_SY_EESZ_S10_S11_S12_S16_S17_S18_S1B_S1C_jS1D_jS1E_S1E_jjS1G_bEUljE0_EEESZ_S10_S11_S18_S1C_S1E_T6_T7_T9_mT8_S1G_bDpT10_ENKUlT_T0_E_clISt17integral_constantIbLb0EES1T_IbLb1EEEEDaS1P_S1Q_EUlS1P_E_NS1_11comp_targetILNS1_3genE0ELNS1_11target_archE4294967295ELNS1_3gpuE0ELNS1_3repE0EEENS1_30default_config_static_selectorELNS0_4arch9wavefront6targetE1EEEvS12_
    .private_segment_fixed_size: 0
    .sgpr_count:     4
    .sgpr_spill_count: 0
    .symbol:         _ZN7rocprim17ROCPRIM_400000_NS6detail17trampoline_kernelINS0_13select_configILj256ELj13ELNS0_17block_load_methodE3ELS4_3ELS4_3ELNS0_20block_scan_algorithmE0ELj4294967295EEENS1_25partition_config_selectorILNS1_17partition_subalgoE4EjNS0_10empty_typeEbEEZZNS1_14partition_implILS8_4ELb0ES6_15HIP_vector_typeIjLj2EENS0_17counting_iteratorIjlEEPS9_SG_NS0_5tupleIJPjSI_NS0_16reverse_iteratorISI_EEEEENSH_IJSG_SG_SG_EEES9_SI_JZNS1_25segmented_radix_sort_implINS0_14default_configELb0EPKiPiPKlPlN2at6native12_GLOBAL__N_18offset_tEEE10hipError_tPvRmT1_PNSt15iterator_traitsIS12_E10value_typeET2_T3_PNS13_IS18_E10value_typeET4_jRbjT5_S1E_jjP12ihipStream_tbEUljE_ZNSN_ISO_Lb0ESQ_SR_ST_SU_SY_EESZ_S10_S11_S12_S16_S17_S18_S1B_S1C_jS1D_jS1E_S1E_jjS1G_bEUljE0_EEESZ_S10_S11_S18_S1C_S1E_T6_T7_T9_mT8_S1G_bDpT10_ENKUlT_T0_E_clISt17integral_constantIbLb0EES1T_IbLb1EEEEDaS1P_S1Q_EUlS1P_E_NS1_11comp_targetILNS1_3genE0ELNS1_11target_archE4294967295ELNS1_3gpuE0ELNS1_3repE0EEENS1_30default_config_static_selectorELNS0_4arch9wavefront6targetE1EEEvS12_.kd
    .uniform_work_group_size: 1
    .uses_dynamic_stack: false
    .vgpr_count:     0
    .vgpr_spill_count: 0
    .wavefront_size: 64
  - .agpr_count:     0
    .args:
      - .offset:         0
        .size:           184
        .value_kind:     by_value
    .group_segment_fixed_size: 0
    .kernarg_segment_align: 8
    .kernarg_segment_size: 184
    .language:       OpenCL C
    .language_version:
      - 2
      - 0
    .max_flat_workgroup_size: 256
    .name:           _ZN7rocprim17ROCPRIM_400000_NS6detail17trampoline_kernelINS0_13select_configILj256ELj13ELNS0_17block_load_methodE3ELS4_3ELS4_3ELNS0_20block_scan_algorithmE0ELj4294967295EEENS1_25partition_config_selectorILNS1_17partition_subalgoE4EjNS0_10empty_typeEbEEZZNS1_14partition_implILS8_4ELb0ES6_15HIP_vector_typeIjLj2EENS0_17counting_iteratorIjlEEPS9_SG_NS0_5tupleIJPjSI_NS0_16reverse_iteratorISI_EEEEENSH_IJSG_SG_SG_EEES9_SI_JZNS1_25segmented_radix_sort_implINS0_14default_configELb0EPKiPiPKlPlN2at6native12_GLOBAL__N_18offset_tEEE10hipError_tPvRmT1_PNSt15iterator_traitsIS12_E10value_typeET2_T3_PNS13_IS18_E10value_typeET4_jRbjT5_S1E_jjP12ihipStream_tbEUljE_ZNSN_ISO_Lb0ESQ_SR_ST_SU_SY_EESZ_S10_S11_S12_S16_S17_S18_S1B_S1C_jS1D_jS1E_S1E_jjS1G_bEUljE0_EEESZ_S10_S11_S18_S1C_S1E_T6_T7_T9_mT8_S1G_bDpT10_ENKUlT_T0_E_clISt17integral_constantIbLb0EES1T_IbLb1EEEEDaS1P_S1Q_EUlS1P_E_NS1_11comp_targetILNS1_3genE5ELNS1_11target_archE942ELNS1_3gpuE9ELNS1_3repE0EEENS1_30default_config_static_selectorELNS0_4arch9wavefront6targetE1EEEvS12_
    .private_segment_fixed_size: 0
    .sgpr_count:     4
    .sgpr_spill_count: 0
    .symbol:         _ZN7rocprim17ROCPRIM_400000_NS6detail17trampoline_kernelINS0_13select_configILj256ELj13ELNS0_17block_load_methodE3ELS4_3ELS4_3ELNS0_20block_scan_algorithmE0ELj4294967295EEENS1_25partition_config_selectorILNS1_17partition_subalgoE4EjNS0_10empty_typeEbEEZZNS1_14partition_implILS8_4ELb0ES6_15HIP_vector_typeIjLj2EENS0_17counting_iteratorIjlEEPS9_SG_NS0_5tupleIJPjSI_NS0_16reverse_iteratorISI_EEEEENSH_IJSG_SG_SG_EEES9_SI_JZNS1_25segmented_radix_sort_implINS0_14default_configELb0EPKiPiPKlPlN2at6native12_GLOBAL__N_18offset_tEEE10hipError_tPvRmT1_PNSt15iterator_traitsIS12_E10value_typeET2_T3_PNS13_IS18_E10value_typeET4_jRbjT5_S1E_jjP12ihipStream_tbEUljE_ZNSN_ISO_Lb0ESQ_SR_ST_SU_SY_EESZ_S10_S11_S12_S16_S17_S18_S1B_S1C_jS1D_jS1E_S1E_jjS1G_bEUljE0_EEESZ_S10_S11_S18_S1C_S1E_T6_T7_T9_mT8_S1G_bDpT10_ENKUlT_T0_E_clISt17integral_constantIbLb0EES1T_IbLb1EEEEDaS1P_S1Q_EUlS1P_E_NS1_11comp_targetILNS1_3genE5ELNS1_11target_archE942ELNS1_3gpuE9ELNS1_3repE0EEENS1_30default_config_static_selectorELNS0_4arch9wavefront6targetE1EEEvS12_.kd
    .uniform_work_group_size: 1
    .uses_dynamic_stack: false
    .vgpr_count:     0
    .vgpr_spill_count: 0
    .wavefront_size: 64
  - .agpr_count:     0
    .args:
      - .offset:         0
        .size:           184
        .value_kind:     by_value
    .group_segment_fixed_size: 13340
    .kernarg_segment_align: 8
    .kernarg_segment_size: 184
    .language:       OpenCL C
    .language_version:
      - 2
      - 0
    .max_flat_workgroup_size: 256
    .name:           _ZN7rocprim17ROCPRIM_400000_NS6detail17trampoline_kernelINS0_13select_configILj256ELj13ELNS0_17block_load_methodE3ELS4_3ELS4_3ELNS0_20block_scan_algorithmE0ELj4294967295EEENS1_25partition_config_selectorILNS1_17partition_subalgoE4EjNS0_10empty_typeEbEEZZNS1_14partition_implILS8_4ELb0ES6_15HIP_vector_typeIjLj2EENS0_17counting_iteratorIjlEEPS9_SG_NS0_5tupleIJPjSI_NS0_16reverse_iteratorISI_EEEEENSH_IJSG_SG_SG_EEES9_SI_JZNS1_25segmented_radix_sort_implINS0_14default_configELb0EPKiPiPKlPlN2at6native12_GLOBAL__N_18offset_tEEE10hipError_tPvRmT1_PNSt15iterator_traitsIS12_E10value_typeET2_T3_PNS13_IS18_E10value_typeET4_jRbjT5_S1E_jjP12ihipStream_tbEUljE_ZNSN_ISO_Lb0ESQ_SR_ST_SU_SY_EESZ_S10_S11_S12_S16_S17_S18_S1B_S1C_jS1D_jS1E_S1E_jjS1G_bEUljE0_EEESZ_S10_S11_S18_S1C_S1E_T6_T7_T9_mT8_S1G_bDpT10_ENKUlT_T0_E_clISt17integral_constantIbLb0EES1T_IbLb1EEEEDaS1P_S1Q_EUlS1P_E_NS1_11comp_targetILNS1_3genE4ELNS1_11target_archE910ELNS1_3gpuE8ELNS1_3repE0EEENS1_30default_config_static_selectorELNS0_4arch9wavefront6targetE1EEEvS12_
    .private_segment_fixed_size: 0
    .sgpr_count:     91
    .sgpr_spill_count: 0
    .symbol:         _ZN7rocprim17ROCPRIM_400000_NS6detail17trampoline_kernelINS0_13select_configILj256ELj13ELNS0_17block_load_methodE3ELS4_3ELS4_3ELNS0_20block_scan_algorithmE0ELj4294967295EEENS1_25partition_config_selectorILNS1_17partition_subalgoE4EjNS0_10empty_typeEbEEZZNS1_14partition_implILS8_4ELb0ES6_15HIP_vector_typeIjLj2EENS0_17counting_iteratorIjlEEPS9_SG_NS0_5tupleIJPjSI_NS0_16reverse_iteratorISI_EEEEENSH_IJSG_SG_SG_EEES9_SI_JZNS1_25segmented_radix_sort_implINS0_14default_configELb0EPKiPiPKlPlN2at6native12_GLOBAL__N_18offset_tEEE10hipError_tPvRmT1_PNSt15iterator_traitsIS12_E10value_typeET2_T3_PNS13_IS18_E10value_typeET4_jRbjT5_S1E_jjP12ihipStream_tbEUljE_ZNSN_ISO_Lb0ESQ_SR_ST_SU_SY_EESZ_S10_S11_S12_S16_S17_S18_S1B_S1C_jS1D_jS1E_S1E_jjS1G_bEUljE0_EEESZ_S10_S11_S18_S1C_S1E_T6_T7_T9_mT8_S1G_bDpT10_ENKUlT_T0_E_clISt17integral_constantIbLb0EES1T_IbLb1EEEEDaS1P_S1Q_EUlS1P_E_NS1_11comp_targetILNS1_3genE4ELNS1_11target_archE910ELNS1_3gpuE8ELNS1_3repE0EEENS1_30default_config_static_selectorELNS0_4arch9wavefront6targetE1EEEvS12_.kd
    .uniform_work_group_size: 1
    .uses_dynamic_stack: false
    .vgpr_count:     107
    .vgpr_spill_count: 0
    .wavefront_size: 64
  - .agpr_count:     0
    .args:
      - .offset:         0
        .size:           184
        .value_kind:     by_value
    .group_segment_fixed_size: 0
    .kernarg_segment_align: 8
    .kernarg_segment_size: 184
    .language:       OpenCL C
    .language_version:
      - 2
      - 0
    .max_flat_workgroup_size: 256
    .name:           _ZN7rocprim17ROCPRIM_400000_NS6detail17trampoline_kernelINS0_13select_configILj256ELj13ELNS0_17block_load_methodE3ELS4_3ELS4_3ELNS0_20block_scan_algorithmE0ELj4294967295EEENS1_25partition_config_selectorILNS1_17partition_subalgoE4EjNS0_10empty_typeEbEEZZNS1_14partition_implILS8_4ELb0ES6_15HIP_vector_typeIjLj2EENS0_17counting_iteratorIjlEEPS9_SG_NS0_5tupleIJPjSI_NS0_16reverse_iteratorISI_EEEEENSH_IJSG_SG_SG_EEES9_SI_JZNS1_25segmented_radix_sort_implINS0_14default_configELb0EPKiPiPKlPlN2at6native12_GLOBAL__N_18offset_tEEE10hipError_tPvRmT1_PNSt15iterator_traitsIS12_E10value_typeET2_T3_PNS13_IS18_E10value_typeET4_jRbjT5_S1E_jjP12ihipStream_tbEUljE_ZNSN_ISO_Lb0ESQ_SR_ST_SU_SY_EESZ_S10_S11_S12_S16_S17_S18_S1B_S1C_jS1D_jS1E_S1E_jjS1G_bEUljE0_EEESZ_S10_S11_S18_S1C_S1E_T6_T7_T9_mT8_S1G_bDpT10_ENKUlT_T0_E_clISt17integral_constantIbLb0EES1T_IbLb1EEEEDaS1P_S1Q_EUlS1P_E_NS1_11comp_targetILNS1_3genE3ELNS1_11target_archE908ELNS1_3gpuE7ELNS1_3repE0EEENS1_30default_config_static_selectorELNS0_4arch9wavefront6targetE1EEEvS12_
    .private_segment_fixed_size: 0
    .sgpr_count:     4
    .sgpr_spill_count: 0
    .symbol:         _ZN7rocprim17ROCPRIM_400000_NS6detail17trampoline_kernelINS0_13select_configILj256ELj13ELNS0_17block_load_methodE3ELS4_3ELS4_3ELNS0_20block_scan_algorithmE0ELj4294967295EEENS1_25partition_config_selectorILNS1_17partition_subalgoE4EjNS0_10empty_typeEbEEZZNS1_14partition_implILS8_4ELb0ES6_15HIP_vector_typeIjLj2EENS0_17counting_iteratorIjlEEPS9_SG_NS0_5tupleIJPjSI_NS0_16reverse_iteratorISI_EEEEENSH_IJSG_SG_SG_EEES9_SI_JZNS1_25segmented_radix_sort_implINS0_14default_configELb0EPKiPiPKlPlN2at6native12_GLOBAL__N_18offset_tEEE10hipError_tPvRmT1_PNSt15iterator_traitsIS12_E10value_typeET2_T3_PNS13_IS18_E10value_typeET4_jRbjT5_S1E_jjP12ihipStream_tbEUljE_ZNSN_ISO_Lb0ESQ_SR_ST_SU_SY_EESZ_S10_S11_S12_S16_S17_S18_S1B_S1C_jS1D_jS1E_S1E_jjS1G_bEUljE0_EEESZ_S10_S11_S18_S1C_S1E_T6_T7_T9_mT8_S1G_bDpT10_ENKUlT_T0_E_clISt17integral_constantIbLb0EES1T_IbLb1EEEEDaS1P_S1Q_EUlS1P_E_NS1_11comp_targetILNS1_3genE3ELNS1_11target_archE908ELNS1_3gpuE7ELNS1_3repE0EEENS1_30default_config_static_selectorELNS0_4arch9wavefront6targetE1EEEvS12_.kd
    .uniform_work_group_size: 1
    .uses_dynamic_stack: false
    .vgpr_count:     0
    .vgpr_spill_count: 0
    .wavefront_size: 64
  - .agpr_count:     0
    .args:
      - .offset:         0
        .size:           184
        .value_kind:     by_value
    .group_segment_fixed_size: 0
    .kernarg_segment_align: 8
    .kernarg_segment_size: 184
    .language:       OpenCL C
    .language_version:
      - 2
      - 0
    .max_flat_workgroup_size: 256
    .name:           _ZN7rocprim17ROCPRIM_400000_NS6detail17trampoline_kernelINS0_13select_configILj256ELj13ELNS0_17block_load_methodE3ELS4_3ELS4_3ELNS0_20block_scan_algorithmE0ELj4294967295EEENS1_25partition_config_selectorILNS1_17partition_subalgoE4EjNS0_10empty_typeEbEEZZNS1_14partition_implILS8_4ELb0ES6_15HIP_vector_typeIjLj2EENS0_17counting_iteratorIjlEEPS9_SG_NS0_5tupleIJPjSI_NS0_16reverse_iteratorISI_EEEEENSH_IJSG_SG_SG_EEES9_SI_JZNS1_25segmented_radix_sort_implINS0_14default_configELb0EPKiPiPKlPlN2at6native12_GLOBAL__N_18offset_tEEE10hipError_tPvRmT1_PNSt15iterator_traitsIS12_E10value_typeET2_T3_PNS13_IS18_E10value_typeET4_jRbjT5_S1E_jjP12ihipStream_tbEUljE_ZNSN_ISO_Lb0ESQ_SR_ST_SU_SY_EESZ_S10_S11_S12_S16_S17_S18_S1B_S1C_jS1D_jS1E_S1E_jjS1G_bEUljE0_EEESZ_S10_S11_S18_S1C_S1E_T6_T7_T9_mT8_S1G_bDpT10_ENKUlT_T0_E_clISt17integral_constantIbLb0EES1T_IbLb1EEEEDaS1P_S1Q_EUlS1P_E_NS1_11comp_targetILNS1_3genE2ELNS1_11target_archE906ELNS1_3gpuE6ELNS1_3repE0EEENS1_30default_config_static_selectorELNS0_4arch9wavefront6targetE1EEEvS12_
    .private_segment_fixed_size: 0
    .sgpr_count:     4
    .sgpr_spill_count: 0
    .symbol:         _ZN7rocprim17ROCPRIM_400000_NS6detail17trampoline_kernelINS0_13select_configILj256ELj13ELNS0_17block_load_methodE3ELS4_3ELS4_3ELNS0_20block_scan_algorithmE0ELj4294967295EEENS1_25partition_config_selectorILNS1_17partition_subalgoE4EjNS0_10empty_typeEbEEZZNS1_14partition_implILS8_4ELb0ES6_15HIP_vector_typeIjLj2EENS0_17counting_iteratorIjlEEPS9_SG_NS0_5tupleIJPjSI_NS0_16reverse_iteratorISI_EEEEENSH_IJSG_SG_SG_EEES9_SI_JZNS1_25segmented_radix_sort_implINS0_14default_configELb0EPKiPiPKlPlN2at6native12_GLOBAL__N_18offset_tEEE10hipError_tPvRmT1_PNSt15iterator_traitsIS12_E10value_typeET2_T3_PNS13_IS18_E10value_typeET4_jRbjT5_S1E_jjP12ihipStream_tbEUljE_ZNSN_ISO_Lb0ESQ_SR_ST_SU_SY_EESZ_S10_S11_S12_S16_S17_S18_S1B_S1C_jS1D_jS1E_S1E_jjS1G_bEUljE0_EEESZ_S10_S11_S18_S1C_S1E_T6_T7_T9_mT8_S1G_bDpT10_ENKUlT_T0_E_clISt17integral_constantIbLb0EES1T_IbLb1EEEEDaS1P_S1Q_EUlS1P_E_NS1_11comp_targetILNS1_3genE2ELNS1_11target_archE906ELNS1_3gpuE6ELNS1_3repE0EEENS1_30default_config_static_selectorELNS0_4arch9wavefront6targetE1EEEvS12_.kd
    .uniform_work_group_size: 1
    .uses_dynamic_stack: false
    .vgpr_count:     0
    .vgpr_spill_count: 0
    .wavefront_size: 64
  - .agpr_count:     0
    .args:
      - .offset:         0
        .size:           184
        .value_kind:     by_value
    .group_segment_fixed_size: 0
    .kernarg_segment_align: 8
    .kernarg_segment_size: 184
    .language:       OpenCL C
    .language_version:
      - 2
      - 0
    .max_flat_workgroup_size: 256
    .name:           _ZN7rocprim17ROCPRIM_400000_NS6detail17trampoline_kernelINS0_13select_configILj256ELj13ELNS0_17block_load_methodE3ELS4_3ELS4_3ELNS0_20block_scan_algorithmE0ELj4294967295EEENS1_25partition_config_selectorILNS1_17partition_subalgoE4EjNS0_10empty_typeEbEEZZNS1_14partition_implILS8_4ELb0ES6_15HIP_vector_typeIjLj2EENS0_17counting_iteratorIjlEEPS9_SG_NS0_5tupleIJPjSI_NS0_16reverse_iteratorISI_EEEEENSH_IJSG_SG_SG_EEES9_SI_JZNS1_25segmented_radix_sort_implINS0_14default_configELb0EPKiPiPKlPlN2at6native12_GLOBAL__N_18offset_tEEE10hipError_tPvRmT1_PNSt15iterator_traitsIS12_E10value_typeET2_T3_PNS13_IS18_E10value_typeET4_jRbjT5_S1E_jjP12ihipStream_tbEUljE_ZNSN_ISO_Lb0ESQ_SR_ST_SU_SY_EESZ_S10_S11_S12_S16_S17_S18_S1B_S1C_jS1D_jS1E_S1E_jjS1G_bEUljE0_EEESZ_S10_S11_S18_S1C_S1E_T6_T7_T9_mT8_S1G_bDpT10_ENKUlT_T0_E_clISt17integral_constantIbLb0EES1T_IbLb1EEEEDaS1P_S1Q_EUlS1P_E_NS1_11comp_targetILNS1_3genE10ELNS1_11target_archE1200ELNS1_3gpuE4ELNS1_3repE0EEENS1_30default_config_static_selectorELNS0_4arch9wavefront6targetE1EEEvS12_
    .private_segment_fixed_size: 0
    .sgpr_count:     4
    .sgpr_spill_count: 0
    .symbol:         _ZN7rocprim17ROCPRIM_400000_NS6detail17trampoline_kernelINS0_13select_configILj256ELj13ELNS0_17block_load_methodE3ELS4_3ELS4_3ELNS0_20block_scan_algorithmE0ELj4294967295EEENS1_25partition_config_selectorILNS1_17partition_subalgoE4EjNS0_10empty_typeEbEEZZNS1_14partition_implILS8_4ELb0ES6_15HIP_vector_typeIjLj2EENS0_17counting_iteratorIjlEEPS9_SG_NS0_5tupleIJPjSI_NS0_16reverse_iteratorISI_EEEEENSH_IJSG_SG_SG_EEES9_SI_JZNS1_25segmented_radix_sort_implINS0_14default_configELb0EPKiPiPKlPlN2at6native12_GLOBAL__N_18offset_tEEE10hipError_tPvRmT1_PNSt15iterator_traitsIS12_E10value_typeET2_T3_PNS13_IS18_E10value_typeET4_jRbjT5_S1E_jjP12ihipStream_tbEUljE_ZNSN_ISO_Lb0ESQ_SR_ST_SU_SY_EESZ_S10_S11_S12_S16_S17_S18_S1B_S1C_jS1D_jS1E_S1E_jjS1G_bEUljE0_EEESZ_S10_S11_S18_S1C_S1E_T6_T7_T9_mT8_S1G_bDpT10_ENKUlT_T0_E_clISt17integral_constantIbLb0EES1T_IbLb1EEEEDaS1P_S1Q_EUlS1P_E_NS1_11comp_targetILNS1_3genE10ELNS1_11target_archE1200ELNS1_3gpuE4ELNS1_3repE0EEENS1_30default_config_static_selectorELNS0_4arch9wavefront6targetE1EEEvS12_.kd
    .uniform_work_group_size: 1
    .uses_dynamic_stack: false
    .vgpr_count:     0
    .vgpr_spill_count: 0
    .wavefront_size: 64
  - .agpr_count:     0
    .args:
      - .offset:         0
        .size:           184
        .value_kind:     by_value
    .group_segment_fixed_size: 0
    .kernarg_segment_align: 8
    .kernarg_segment_size: 184
    .language:       OpenCL C
    .language_version:
      - 2
      - 0
    .max_flat_workgroup_size: 256
    .name:           _ZN7rocprim17ROCPRIM_400000_NS6detail17trampoline_kernelINS0_13select_configILj256ELj13ELNS0_17block_load_methodE3ELS4_3ELS4_3ELNS0_20block_scan_algorithmE0ELj4294967295EEENS1_25partition_config_selectorILNS1_17partition_subalgoE4EjNS0_10empty_typeEbEEZZNS1_14partition_implILS8_4ELb0ES6_15HIP_vector_typeIjLj2EENS0_17counting_iteratorIjlEEPS9_SG_NS0_5tupleIJPjSI_NS0_16reverse_iteratorISI_EEEEENSH_IJSG_SG_SG_EEES9_SI_JZNS1_25segmented_radix_sort_implINS0_14default_configELb0EPKiPiPKlPlN2at6native12_GLOBAL__N_18offset_tEEE10hipError_tPvRmT1_PNSt15iterator_traitsIS12_E10value_typeET2_T3_PNS13_IS18_E10value_typeET4_jRbjT5_S1E_jjP12ihipStream_tbEUljE_ZNSN_ISO_Lb0ESQ_SR_ST_SU_SY_EESZ_S10_S11_S12_S16_S17_S18_S1B_S1C_jS1D_jS1E_S1E_jjS1G_bEUljE0_EEESZ_S10_S11_S18_S1C_S1E_T6_T7_T9_mT8_S1G_bDpT10_ENKUlT_T0_E_clISt17integral_constantIbLb0EES1T_IbLb1EEEEDaS1P_S1Q_EUlS1P_E_NS1_11comp_targetILNS1_3genE9ELNS1_11target_archE1100ELNS1_3gpuE3ELNS1_3repE0EEENS1_30default_config_static_selectorELNS0_4arch9wavefront6targetE1EEEvS12_
    .private_segment_fixed_size: 0
    .sgpr_count:     4
    .sgpr_spill_count: 0
    .symbol:         _ZN7rocprim17ROCPRIM_400000_NS6detail17trampoline_kernelINS0_13select_configILj256ELj13ELNS0_17block_load_methodE3ELS4_3ELS4_3ELNS0_20block_scan_algorithmE0ELj4294967295EEENS1_25partition_config_selectorILNS1_17partition_subalgoE4EjNS0_10empty_typeEbEEZZNS1_14partition_implILS8_4ELb0ES6_15HIP_vector_typeIjLj2EENS0_17counting_iteratorIjlEEPS9_SG_NS0_5tupleIJPjSI_NS0_16reverse_iteratorISI_EEEEENSH_IJSG_SG_SG_EEES9_SI_JZNS1_25segmented_radix_sort_implINS0_14default_configELb0EPKiPiPKlPlN2at6native12_GLOBAL__N_18offset_tEEE10hipError_tPvRmT1_PNSt15iterator_traitsIS12_E10value_typeET2_T3_PNS13_IS18_E10value_typeET4_jRbjT5_S1E_jjP12ihipStream_tbEUljE_ZNSN_ISO_Lb0ESQ_SR_ST_SU_SY_EESZ_S10_S11_S12_S16_S17_S18_S1B_S1C_jS1D_jS1E_S1E_jjS1G_bEUljE0_EEESZ_S10_S11_S18_S1C_S1E_T6_T7_T9_mT8_S1G_bDpT10_ENKUlT_T0_E_clISt17integral_constantIbLb0EES1T_IbLb1EEEEDaS1P_S1Q_EUlS1P_E_NS1_11comp_targetILNS1_3genE9ELNS1_11target_archE1100ELNS1_3gpuE3ELNS1_3repE0EEENS1_30default_config_static_selectorELNS0_4arch9wavefront6targetE1EEEvS12_.kd
    .uniform_work_group_size: 1
    .uses_dynamic_stack: false
    .vgpr_count:     0
    .vgpr_spill_count: 0
    .wavefront_size: 64
  - .agpr_count:     0
    .args:
      - .offset:         0
        .size:           184
        .value_kind:     by_value
    .group_segment_fixed_size: 0
    .kernarg_segment_align: 8
    .kernarg_segment_size: 184
    .language:       OpenCL C
    .language_version:
      - 2
      - 0
    .max_flat_workgroup_size: 256
    .name:           _ZN7rocprim17ROCPRIM_400000_NS6detail17trampoline_kernelINS0_13select_configILj256ELj13ELNS0_17block_load_methodE3ELS4_3ELS4_3ELNS0_20block_scan_algorithmE0ELj4294967295EEENS1_25partition_config_selectorILNS1_17partition_subalgoE4EjNS0_10empty_typeEbEEZZNS1_14partition_implILS8_4ELb0ES6_15HIP_vector_typeIjLj2EENS0_17counting_iteratorIjlEEPS9_SG_NS0_5tupleIJPjSI_NS0_16reverse_iteratorISI_EEEEENSH_IJSG_SG_SG_EEES9_SI_JZNS1_25segmented_radix_sort_implINS0_14default_configELb0EPKiPiPKlPlN2at6native12_GLOBAL__N_18offset_tEEE10hipError_tPvRmT1_PNSt15iterator_traitsIS12_E10value_typeET2_T3_PNS13_IS18_E10value_typeET4_jRbjT5_S1E_jjP12ihipStream_tbEUljE_ZNSN_ISO_Lb0ESQ_SR_ST_SU_SY_EESZ_S10_S11_S12_S16_S17_S18_S1B_S1C_jS1D_jS1E_S1E_jjS1G_bEUljE0_EEESZ_S10_S11_S18_S1C_S1E_T6_T7_T9_mT8_S1G_bDpT10_ENKUlT_T0_E_clISt17integral_constantIbLb0EES1T_IbLb1EEEEDaS1P_S1Q_EUlS1P_E_NS1_11comp_targetILNS1_3genE8ELNS1_11target_archE1030ELNS1_3gpuE2ELNS1_3repE0EEENS1_30default_config_static_selectorELNS0_4arch9wavefront6targetE1EEEvS12_
    .private_segment_fixed_size: 0
    .sgpr_count:     4
    .sgpr_spill_count: 0
    .symbol:         _ZN7rocprim17ROCPRIM_400000_NS6detail17trampoline_kernelINS0_13select_configILj256ELj13ELNS0_17block_load_methodE3ELS4_3ELS4_3ELNS0_20block_scan_algorithmE0ELj4294967295EEENS1_25partition_config_selectorILNS1_17partition_subalgoE4EjNS0_10empty_typeEbEEZZNS1_14partition_implILS8_4ELb0ES6_15HIP_vector_typeIjLj2EENS0_17counting_iteratorIjlEEPS9_SG_NS0_5tupleIJPjSI_NS0_16reverse_iteratorISI_EEEEENSH_IJSG_SG_SG_EEES9_SI_JZNS1_25segmented_radix_sort_implINS0_14default_configELb0EPKiPiPKlPlN2at6native12_GLOBAL__N_18offset_tEEE10hipError_tPvRmT1_PNSt15iterator_traitsIS12_E10value_typeET2_T3_PNS13_IS18_E10value_typeET4_jRbjT5_S1E_jjP12ihipStream_tbEUljE_ZNSN_ISO_Lb0ESQ_SR_ST_SU_SY_EESZ_S10_S11_S12_S16_S17_S18_S1B_S1C_jS1D_jS1E_S1E_jjS1G_bEUljE0_EEESZ_S10_S11_S18_S1C_S1E_T6_T7_T9_mT8_S1G_bDpT10_ENKUlT_T0_E_clISt17integral_constantIbLb0EES1T_IbLb1EEEEDaS1P_S1Q_EUlS1P_E_NS1_11comp_targetILNS1_3genE8ELNS1_11target_archE1030ELNS1_3gpuE2ELNS1_3repE0EEENS1_30default_config_static_selectorELNS0_4arch9wavefront6targetE1EEEvS12_.kd
    .uniform_work_group_size: 1
    .uses_dynamic_stack: false
    .vgpr_count:     0
    .vgpr_spill_count: 0
    .wavefront_size: 64
  - .agpr_count:     0
    .args:
      - .offset:         0
        .size:           144
        .value_kind:     by_value
    .group_segment_fixed_size: 0
    .kernarg_segment_align: 8
    .kernarg_segment_size: 144
    .language:       OpenCL C
    .language_version:
      - 2
      - 0
    .max_flat_workgroup_size: 256
    .name:           _ZN7rocprim17ROCPRIM_400000_NS6detail17trampoline_kernelINS0_13select_configILj256ELj13ELNS0_17block_load_methodE3ELS4_3ELS4_3ELNS0_20block_scan_algorithmE0ELj4294967295EEENS1_25partition_config_selectorILNS1_17partition_subalgoE3EjNS0_10empty_typeEbEEZZNS1_14partition_implILS8_3ELb0ES6_jNS0_17counting_iteratorIjlEEPS9_SE_NS0_5tupleIJPjSE_EEENSF_IJSE_SE_EEES9_SG_JZNS1_25segmented_radix_sort_implINS0_14default_configELb0EPKiPiPKlPlN2at6native12_GLOBAL__N_18offset_tEEE10hipError_tPvRmT1_PNSt15iterator_traitsISY_E10value_typeET2_T3_PNSZ_IS14_E10value_typeET4_jRbjT5_S1A_jjP12ihipStream_tbEUljE_EEESV_SW_SX_S14_S18_S1A_T6_T7_T9_mT8_S1C_bDpT10_ENKUlT_T0_E_clISt17integral_constantIbLb0EES1P_EEDaS1K_S1L_EUlS1K_E_NS1_11comp_targetILNS1_3genE0ELNS1_11target_archE4294967295ELNS1_3gpuE0ELNS1_3repE0EEENS1_30default_config_static_selectorELNS0_4arch9wavefront6targetE1EEEvSY_
    .private_segment_fixed_size: 0
    .sgpr_count:     4
    .sgpr_spill_count: 0
    .symbol:         _ZN7rocprim17ROCPRIM_400000_NS6detail17trampoline_kernelINS0_13select_configILj256ELj13ELNS0_17block_load_methodE3ELS4_3ELS4_3ELNS0_20block_scan_algorithmE0ELj4294967295EEENS1_25partition_config_selectorILNS1_17partition_subalgoE3EjNS0_10empty_typeEbEEZZNS1_14partition_implILS8_3ELb0ES6_jNS0_17counting_iteratorIjlEEPS9_SE_NS0_5tupleIJPjSE_EEENSF_IJSE_SE_EEES9_SG_JZNS1_25segmented_radix_sort_implINS0_14default_configELb0EPKiPiPKlPlN2at6native12_GLOBAL__N_18offset_tEEE10hipError_tPvRmT1_PNSt15iterator_traitsISY_E10value_typeET2_T3_PNSZ_IS14_E10value_typeET4_jRbjT5_S1A_jjP12ihipStream_tbEUljE_EEESV_SW_SX_S14_S18_S1A_T6_T7_T9_mT8_S1C_bDpT10_ENKUlT_T0_E_clISt17integral_constantIbLb0EES1P_EEDaS1K_S1L_EUlS1K_E_NS1_11comp_targetILNS1_3genE0ELNS1_11target_archE4294967295ELNS1_3gpuE0ELNS1_3repE0EEENS1_30default_config_static_selectorELNS0_4arch9wavefront6targetE1EEEvSY_.kd
    .uniform_work_group_size: 1
    .uses_dynamic_stack: false
    .vgpr_count:     0
    .vgpr_spill_count: 0
    .wavefront_size: 64
  - .agpr_count:     0
    .args:
      - .offset:         0
        .size:           144
        .value_kind:     by_value
    .group_segment_fixed_size: 0
    .kernarg_segment_align: 8
    .kernarg_segment_size: 144
    .language:       OpenCL C
    .language_version:
      - 2
      - 0
    .max_flat_workgroup_size: 256
    .name:           _ZN7rocprim17ROCPRIM_400000_NS6detail17trampoline_kernelINS0_13select_configILj256ELj13ELNS0_17block_load_methodE3ELS4_3ELS4_3ELNS0_20block_scan_algorithmE0ELj4294967295EEENS1_25partition_config_selectorILNS1_17partition_subalgoE3EjNS0_10empty_typeEbEEZZNS1_14partition_implILS8_3ELb0ES6_jNS0_17counting_iteratorIjlEEPS9_SE_NS0_5tupleIJPjSE_EEENSF_IJSE_SE_EEES9_SG_JZNS1_25segmented_radix_sort_implINS0_14default_configELb0EPKiPiPKlPlN2at6native12_GLOBAL__N_18offset_tEEE10hipError_tPvRmT1_PNSt15iterator_traitsISY_E10value_typeET2_T3_PNSZ_IS14_E10value_typeET4_jRbjT5_S1A_jjP12ihipStream_tbEUljE_EEESV_SW_SX_S14_S18_S1A_T6_T7_T9_mT8_S1C_bDpT10_ENKUlT_T0_E_clISt17integral_constantIbLb0EES1P_EEDaS1K_S1L_EUlS1K_E_NS1_11comp_targetILNS1_3genE5ELNS1_11target_archE942ELNS1_3gpuE9ELNS1_3repE0EEENS1_30default_config_static_selectorELNS0_4arch9wavefront6targetE1EEEvSY_
    .private_segment_fixed_size: 0
    .sgpr_count:     4
    .sgpr_spill_count: 0
    .symbol:         _ZN7rocprim17ROCPRIM_400000_NS6detail17trampoline_kernelINS0_13select_configILj256ELj13ELNS0_17block_load_methodE3ELS4_3ELS4_3ELNS0_20block_scan_algorithmE0ELj4294967295EEENS1_25partition_config_selectorILNS1_17partition_subalgoE3EjNS0_10empty_typeEbEEZZNS1_14partition_implILS8_3ELb0ES6_jNS0_17counting_iteratorIjlEEPS9_SE_NS0_5tupleIJPjSE_EEENSF_IJSE_SE_EEES9_SG_JZNS1_25segmented_radix_sort_implINS0_14default_configELb0EPKiPiPKlPlN2at6native12_GLOBAL__N_18offset_tEEE10hipError_tPvRmT1_PNSt15iterator_traitsISY_E10value_typeET2_T3_PNSZ_IS14_E10value_typeET4_jRbjT5_S1A_jjP12ihipStream_tbEUljE_EEESV_SW_SX_S14_S18_S1A_T6_T7_T9_mT8_S1C_bDpT10_ENKUlT_T0_E_clISt17integral_constantIbLb0EES1P_EEDaS1K_S1L_EUlS1K_E_NS1_11comp_targetILNS1_3genE5ELNS1_11target_archE942ELNS1_3gpuE9ELNS1_3repE0EEENS1_30default_config_static_selectorELNS0_4arch9wavefront6targetE1EEEvSY_.kd
    .uniform_work_group_size: 1
    .uses_dynamic_stack: false
    .vgpr_count:     0
    .vgpr_spill_count: 0
    .wavefront_size: 64
  - .agpr_count:     0
    .args:
      - .offset:         0
        .size:           144
        .value_kind:     by_value
    .group_segment_fixed_size: 13324
    .kernarg_segment_align: 8
    .kernarg_segment_size: 144
    .language:       OpenCL C
    .language_version:
      - 2
      - 0
    .max_flat_workgroup_size: 256
    .name:           _ZN7rocprim17ROCPRIM_400000_NS6detail17trampoline_kernelINS0_13select_configILj256ELj13ELNS0_17block_load_methodE3ELS4_3ELS4_3ELNS0_20block_scan_algorithmE0ELj4294967295EEENS1_25partition_config_selectorILNS1_17partition_subalgoE3EjNS0_10empty_typeEbEEZZNS1_14partition_implILS8_3ELb0ES6_jNS0_17counting_iteratorIjlEEPS9_SE_NS0_5tupleIJPjSE_EEENSF_IJSE_SE_EEES9_SG_JZNS1_25segmented_radix_sort_implINS0_14default_configELb0EPKiPiPKlPlN2at6native12_GLOBAL__N_18offset_tEEE10hipError_tPvRmT1_PNSt15iterator_traitsISY_E10value_typeET2_T3_PNSZ_IS14_E10value_typeET4_jRbjT5_S1A_jjP12ihipStream_tbEUljE_EEESV_SW_SX_S14_S18_S1A_T6_T7_T9_mT8_S1C_bDpT10_ENKUlT_T0_E_clISt17integral_constantIbLb0EES1P_EEDaS1K_S1L_EUlS1K_E_NS1_11comp_targetILNS1_3genE4ELNS1_11target_archE910ELNS1_3gpuE8ELNS1_3repE0EEENS1_30default_config_static_selectorELNS0_4arch9wavefront6targetE1EEEvSY_
    .private_segment_fixed_size: 0
    .sgpr_count:     50
    .sgpr_spill_count: 0
    .symbol:         _ZN7rocprim17ROCPRIM_400000_NS6detail17trampoline_kernelINS0_13select_configILj256ELj13ELNS0_17block_load_methodE3ELS4_3ELS4_3ELNS0_20block_scan_algorithmE0ELj4294967295EEENS1_25partition_config_selectorILNS1_17partition_subalgoE3EjNS0_10empty_typeEbEEZZNS1_14partition_implILS8_3ELb0ES6_jNS0_17counting_iteratorIjlEEPS9_SE_NS0_5tupleIJPjSE_EEENSF_IJSE_SE_EEES9_SG_JZNS1_25segmented_radix_sort_implINS0_14default_configELb0EPKiPiPKlPlN2at6native12_GLOBAL__N_18offset_tEEE10hipError_tPvRmT1_PNSt15iterator_traitsISY_E10value_typeET2_T3_PNSZ_IS14_E10value_typeET4_jRbjT5_S1A_jjP12ihipStream_tbEUljE_EEESV_SW_SX_S14_S18_S1A_T6_T7_T9_mT8_S1C_bDpT10_ENKUlT_T0_E_clISt17integral_constantIbLb0EES1P_EEDaS1K_S1L_EUlS1K_E_NS1_11comp_targetILNS1_3genE4ELNS1_11target_archE910ELNS1_3gpuE8ELNS1_3repE0EEENS1_30default_config_static_selectorELNS0_4arch9wavefront6targetE1EEEvSY_.kd
    .uniform_work_group_size: 1
    .uses_dynamic_stack: false
    .vgpr_count:     61
    .vgpr_spill_count: 0
    .wavefront_size: 64
  - .agpr_count:     0
    .args:
      - .offset:         0
        .size:           144
        .value_kind:     by_value
    .group_segment_fixed_size: 0
    .kernarg_segment_align: 8
    .kernarg_segment_size: 144
    .language:       OpenCL C
    .language_version:
      - 2
      - 0
    .max_flat_workgroup_size: 256
    .name:           _ZN7rocprim17ROCPRIM_400000_NS6detail17trampoline_kernelINS0_13select_configILj256ELj13ELNS0_17block_load_methodE3ELS4_3ELS4_3ELNS0_20block_scan_algorithmE0ELj4294967295EEENS1_25partition_config_selectorILNS1_17partition_subalgoE3EjNS0_10empty_typeEbEEZZNS1_14partition_implILS8_3ELb0ES6_jNS0_17counting_iteratorIjlEEPS9_SE_NS0_5tupleIJPjSE_EEENSF_IJSE_SE_EEES9_SG_JZNS1_25segmented_radix_sort_implINS0_14default_configELb0EPKiPiPKlPlN2at6native12_GLOBAL__N_18offset_tEEE10hipError_tPvRmT1_PNSt15iterator_traitsISY_E10value_typeET2_T3_PNSZ_IS14_E10value_typeET4_jRbjT5_S1A_jjP12ihipStream_tbEUljE_EEESV_SW_SX_S14_S18_S1A_T6_T7_T9_mT8_S1C_bDpT10_ENKUlT_T0_E_clISt17integral_constantIbLb0EES1P_EEDaS1K_S1L_EUlS1K_E_NS1_11comp_targetILNS1_3genE3ELNS1_11target_archE908ELNS1_3gpuE7ELNS1_3repE0EEENS1_30default_config_static_selectorELNS0_4arch9wavefront6targetE1EEEvSY_
    .private_segment_fixed_size: 0
    .sgpr_count:     4
    .sgpr_spill_count: 0
    .symbol:         _ZN7rocprim17ROCPRIM_400000_NS6detail17trampoline_kernelINS0_13select_configILj256ELj13ELNS0_17block_load_methodE3ELS4_3ELS4_3ELNS0_20block_scan_algorithmE0ELj4294967295EEENS1_25partition_config_selectorILNS1_17partition_subalgoE3EjNS0_10empty_typeEbEEZZNS1_14partition_implILS8_3ELb0ES6_jNS0_17counting_iteratorIjlEEPS9_SE_NS0_5tupleIJPjSE_EEENSF_IJSE_SE_EEES9_SG_JZNS1_25segmented_radix_sort_implINS0_14default_configELb0EPKiPiPKlPlN2at6native12_GLOBAL__N_18offset_tEEE10hipError_tPvRmT1_PNSt15iterator_traitsISY_E10value_typeET2_T3_PNSZ_IS14_E10value_typeET4_jRbjT5_S1A_jjP12ihipStream_tbEUljE_EEESV_SW_SX_S14_S18_S1A_T6_T7_T9_mT8_S1C_bDpT10_ENKUlT_T0_E_clISt17integral_constantIbLb0EES1P_EEDaS1K_S1L_EUlS1K_E_NS1_11comp_targetILNS1_3genE3ELNS1_11target_archE908ELNS1_3gpuE7ELNS1_3repE0EEENS1_30default_config_static_selectorELNS0_4arch9wavefront6targetE1EEEvSY_.kd
    .uniform_work_group_size: 1
    .uses_dynamic_stack: false
    .vgpr_count:     0
    .vgpr_spill_count: 0
    .wavefront_size: 64
  - .agpr_count:     0
    .args:
      - .offset:         0
        .size:           144
        .value_kind:     by_value
    .group_segment_fixed_size: 0
    .kernarg_segment_align: 8
    .kernarg_segment_size: 144
    .language:       OpenCL C
    .language_version:
      - 2
      - 0
    .max_flat_workgroup_size: 256
    .name:           _ZN7rocprim17ROCPRIM_400000_NS6detail17trampoline_kernelINS0_13select_configILj256ELj13ELNS0_17block_load_methodE3ELS4_3ELS4_3ELNS0_20block_scan_algorithmE0ELj4294967295EEENS1_25partition_config_selectorILNS1_17partition_subalgoE3EjNS0_10empty_typeEbEEZZNS1_14partition_implILS8_3ELb0ES6_jNS0_17counting_iteratorIjlEEPS9_SE_NS0_5tupleIJPjSE_EEENSF_IJSE_SE_EEES9_SG_JZNS1_25segmented_radix_sort_implINS0_14default_configELb0EPKiPiPKlPlN2at6native12_GLOBAL__N_18offset_tEEE10hipError_tPvRmT1_PNSt15iterator_traitsISY_E10value_typeET2_T3_PNSZ_IS14_E10value_typeET4_jRbjT5_S1A_jjP12ihipStream_tbEUljE_EEESV_SW_SX_S14_S18_S1A_T6_T7_T9_mT8_S1C_bDpT10_ENKUlT_T0_E_clISt17integral_constantIbLb0EES1P_EEDaS1K_S1L_EUlS1K_E_NS1_11comp_targetILNS1_3genE2ELNS1_11target_archE906ELNS1_3gpuE6ELNS1_3repE0EEENS1_30default_config_static_selectorELNS0_4arch9wavefront6targetE1EEEvSY_
    .private_segment_fixed_size: 0
    .sgpr_count:     4
    .sgpr_spill_count: 0
    .symbol:         _ZN7rocprim17ROCPRIM_400000_NS6detail17trampoline_kernelINS0_13select_configILj256ELj13ELNS0_17block_load_methodE3ELS4_3ELS4_3ELNS0_20block_scan_algorithmE0ELj4294967295EEENS1_25partition_config_selectorILNS1_17partition_subalgoE3EjNS0_10empty_typeEbEEZZNS1_14partition_implILS8_3ELb0ES6_jNS0_17counting_iteratorIjlEEPS9_SE_NS0_5tupleIJPjSE_EEENSF_IJSE_SE_EEES9_SG_JZNS1_25segmented_radix_sort_implINS0_14default_configELb0EPKiPiPKlPlN2at6native12_GLOBAL__N_18offset_tEEE10hipError_tPvRmT1_PNSt15iterator_traitsISY_E10value_typeET2_T3_PNSZ_IS14_E10value_typeET4_jRbjT5_S1A_jjP12ihipStream_tbEUljE_EEESV_SW_SX_S14_S18_S1A_T6_T7_T9_mT8_S1C_bDpT10_ENKUlT_T0_E_clISt17integral_constantIbLb0EES1P_EEDaS1K_S1L_EUlS1K_E_NS1_11comp_targetILNS1_3genE2ELNS1_11target_archE906ELNS1_3gpuE6ELNS1_3repE0EEENS1_30default_config_static_selectorELNS0_4arch9wavefront6targetE1EEEvSY_.kd
    .uniform_work_group_size: 1
    .uses_dynamic_stack: false
    .vgpr_count:     0
    .vgpr_spill_count: 0
    .wavefront_size: 64
  - .agpr_count:     0
    .args:
      - .offset:         0
        .size:           144
        .value_kind:     by_value
    .group_segment_fixed_size: 0
    .kernarg_segment_align: 8
    .kernarg_segment_size: 144
    .language:       OpenCL C
    .language_version:
      - 2
      - 0
    .max_flat_workgroup_size: 256
    .name:           _ZN7rocprim17ROCPRIM_400000_NS6detail17trampoline_kernelINS0_13select_configILj256ELj13ELNS0_17block_load_methodE3ELS4_3ELS4_3ELNS0_20block_scan_algorithmE0ELj4294967295EEENS1_25partition_config_selectorILNS1_17partition_subalgoE3EjNS0_10empty_typeEbEEZZNS1_14partition_implILS8_3ELb0ES6_jNS0_17counting_iteratorIjlEEPS9_SE_NS0_5tupleIJPjSE_EEENSF_IJSE_SE_EEES9_SG_JZNS1_25segmented_radix_sort_implINS0_14default_configELb0EPKiPiPKlPlN2at6native12_GLOBAL__N_18offset_tEEE10hipError_tPvRmT1_PNSt15iterator_traitsISY_E10value_typeET2_T3_PNSZ_IS14_E10value_typeET4_jRbjT5_S1A_jjP12ihipStream_tbEUljE_EEESV_SW_SX_S14_S18_S1A_T6_T7_T9_mT8_S1C_bDpT10_ENKUlT_T0_E_clISt17integral_constantIbLb0EES1P_EEDaS1K_S1L_EUlS1K_E_NS1_11comp_targetILNS1_3genE10ELNS1_11target_archE1200ELNS1_3gpuE4ELNS1_3repE0EEENS1_30default_config_static_selectorELNS0_4arch9wavefront6targetE1EEEvSY_
    .private_segment_fixed_size: 0
    .sgpr_count:     4
    .sgpr_spill_count: 0
    .symbol:         _ZN7rocprim17ROCPRIM_400000_NS6detail17trampoline_kernelINS0_13select_configILj256ELj13ELNS0_17block_load_methodE3ELS4_3ELS4_3ELNS0_20block_scan_algorithmE0ELj4294967295EEENS1_25partition_config_selectorILNS1_17partition_subalgoE3EjNS0_10empty_typeEbEEZZNS1_14partition_implILS8_3ELb0ES6_jNS0_17counting_iteratorIjlEEPS9_SE_NS0_5tupleIJPjSE_EEENSF_IJSE_SE_EEES9_SG_JZNS1_25segmented_radix_sort_implINS0_14default_configELb0EPKiPiPKlPlN2at6native12_GLOBAL__N_18offset_tEEE10hipError_tPvRmT1_PNSt15iterator_traitsISY_E10value_typeET2_T3_PNSZ_IS14_E10value_typeET4_jRbjT5_S1A_jjP12ihipStream_tbEUljE_EEESV_SW_SX_S14_S18_S1A_T6_T7_T9_mT8_S1C_bDpT10_ENKUlT_T0_E_clISt17integral_constantIbLb0EES1P_EEDaS1K_S1L_EUlS1K_E_NS1_11comp_targetILNS1_3genE10ELNS1_11target_archE1200ELNS1_3gpuE4ELNS1_3repE0EEENS1_30default_config_static_selectorELNS0_4arch9wavefront6targetE1EEEvSY_.kd
    .uniform_work_group_size: 1
    .uses_dynamic_stack: false
    .vgpr_count:     0
    .vgpr_spill_count: 0
    .wavefront_size: 64
  - .agpr_count:     0
    .args:
      - .offset:         0
        .size:           144
        .value_kind:     by_value
    .group_segment_fixed_size: 0
    .kernarg_segment_align: 8
    .kernarg_segment_size: 144
    .language:       OpenCL C
    .language_version:
      - 2
      - 0
    .max_flat_workgroup_size: 256
    .name:           _ZN7rocprim17ROCPRIM_400000_NS6detail17trampoline_kernelINS0_13select_configILj256ELj13ELNS0_17block_load_methodE3ELS4_3ELS4_3ELNS0_20block_scan_algorithmE0ELj4294967295EEENS1_25partition_config_selectorILNS1_17partition_subalgoE3EjNS0_10empty_typeEbEEZZNS1_14partition_implILS8_3ELb0ES6_jNS0_17counting_iteratorIjlEEPS9_SE_NS0_5tupleIJPjSE_EEENSF_IJSE_SE_EEES9_SG_JZNS1_25segmented_radix_sort_implINS0_14default_configELb0EPKiPiPKlPlN2at6native12_GLOBAL__N_18offset_tEEE10hipError_tPvRmT1_PNSt15iterator_traitsISY_E10value_typeET2_T3_PNSZ_IS14_E10value_typeET4_jRbjT5_S1A_jjP12ihipStream_tbEUljE_EEESV_SW_SX_S14_S18_S1A_T6_T7_T9_mT8_S1C_bDpT10_ENKUlT_T0_E_clISt17integral_constantIbLb0EES1P_EEDaS1K_S1L_EUlS1K_E_NS1_11comp_targetILNS1_3genE9ELNS1_11target_archE1100ELNS1_3gpuE3ELNS1_3repE0EEENS1_30default_config_static_selectorELNS0_4arch9wavefront6targetE1EEEvSY_
    .private_segment_fixed_size: 0
    .sgpr_count:     4
    .sgpr_spill_count: 0
    .symbol:         _ZN7rocprim17ROCPRIM_400000_NS6detail17trampoline_kernelINS0_13select_configILj256ELj13ELNS0_17block_load_methodE3ELS4_3ELS4_3ELNS0_20block_scan_algorithmE0ELj4294967295EEENS1_25partition_config_selectorILNS1_17partition_subalgoE3EjNS0_10empty_typeEbEEZZNS1_14partition_implILS8_3ELb0ES6_jNS0_17counting_iteratorIjlEEPS9_SE_NS0_5tupleIJPjSE_EEENSF_IJSE_SE_EEES9_SG_JZNS1_25segmented_radix_sort_implINS0_14default_configELb0EPKiPiPKlPlN2at6native12_GLOBAL__N_18offset_tEEE10hipError_tPvRmT1_PNSt15iterator_traitsISY_E10value_typeET2_T3_PNSZ_IS14_E10value_typeET4_jRbjT5_S1A_jjP12ihipStream_tbEUljE_EEESV_SW_SX_S14_S18_S1A_T6_T7_T9_mT8_S1C_bDpT10_ENKUlT_T0_E_clISt17integral_constantIbLb0EES1P_EEDaS1K_S1L_EUlS1K_E_NS1_11comp_targetILNS1_3genE9ELNS1_11target_archE1100ELNS1_3gpuE3ELNS1_3repE0EEENS1_30default_config_static_selectorELNS0_4arch9wavefront6targetE1EEEvSY_.kd
    .uniform_work_group_size: 1
    .uses_dynamic_stack: false
    .vgpr_count:     0
    .vgpr_spill_count: 0
    .wavefront_size: 64
  - .agpr_count:     0
    .args:
      - .offset:         0
        .size:           144
        .value_kind:     by_value
    .group_segment_fixed_size: 0
    .kernarg_segment_align: 8
    .kernarg_segment_size: 144
    .language:       OpenCL C
    .language_version:
      - 2
      - 0
    .max_flat_workgroup_size: 256
    .name:           _ZN7rocprim17ROCPRIM_400000_NS6detail17trampoline_kernelINS0_13select_configILj256ELj13ELNS0_17block_load_methodE3ELS4_3ELS4_3ELNS0_20block_scan_algorithmE0ELj4294967295EEENS1_25partition_config_selectorILNS1_17partition_subalgoE3EjNS0_10empty_typeEbEEZZNS1_14partition_implILS8_3ELb0ES6_jNS0_17counting_iteratorIjlEEPS9_SE_NS0_5tupleIJPjSE_EEENSF_IJSE_SE_EEES9_SG_JZNS1_25segmented_radix_sort_implINS0_14default_configELb0EPKiPiPKlPlN2at6native12_GLOBAL__N_18offset_tEEE10hipError_tPvRmT1_PNSt15iterator_traitsISY_E10value_typeET2_T3_PNSZ_IS14_E10value_typeET4_jRbjT5_S1A_jjP12ihipStream_tbEUljE_EEESV_SW_SX_S14_S18_S1A_T6_T7_T9_mT8_S1C_bDpT10_ENKUlT_T0_E_clISt17integral_constantIbLb0EES1P_EEDaS1K_S1L_EUlS1K_E_NS1_11comp_targetILNS1_3genE8ELNS1_11target_archE1030ELNS1_3gpuE2ELNS1_3repE0EEENS1_30default_config_static_selectorELNS0_4arch9wavefront6targetE1EEEvSY_
    .private_segment_fixed_size: 0
    .sgpr_count:     4
    .sgpr_spill_count: 0
    .symbol:         _ZN7rocprim17ROCPRIM_400000_NS6detail17trampoline_kernelINS0_13select_configILj256ELj13ELNS0_17block_load_methodE3ELS4_3ELS4_3ELNS0_20block_scan_algorithmE0ELj4294967295EEENS1_25partition_config_selectorILNS1_17partition_subalgoE3EjNS0_10empty_typeEbEEZZNS1_14partition_implILS8_3ELb0ES6_jNS0_17counting_iteratorIjlEEPS9_SE_NS0_5tupleIJPjSE_EEENSF_IJSE_SE_EEES9_SG_JZNS1_25segmented_radix_sort_implINS0_14default_configELb0EPKiPiPKlPlN2at6native12_GLOBAL__N_18offset_tEEE10hipError_tPvRmT1_PNSt15iterator_traitsISY_E10value_typeET2_T3_PNSZ_IS14_E10value_typeET4_jRbjT5_S1A_jjP12ihipStream_tbEUljE_EEESV_SW_SX_S14_S18_S1A_T6_T7_T9_mT8_S1C_bDpT10_ENKUlT_T0_E_clISt17integral_constantIbLb0EES1P_EEDaS1K_S1L_EUlS1K_E_NS1_11comp_targetILNS1_3genE8ELNS1_11target_archE1030ELNS1_3gpuE2ELNS1_3repE0EEENS1_30default_config_static_selectorELNS0_4arch9wavefront6targetE1EEEvSY_.kd
    .uniform_work_group_size: 1
    .uses_dynamic_stack: false
    .vgpr_count:     0
    .vgpr_spill_count: 0
    .wavefront_size: 64
  - .agpr_count:     0
    .args:
      - .offset:         0
        .size:           152
        .value_kind:     by_value
    .group_segment_fixed_size: 0
    .kernarg_segment_align: 8
    .kernarg_segment_size: 152
    .language:       OpenCL C
    .language_version:
      - 2
      - 0
    .max_flat_workgroup_size: 256
    .name:           _ZN7rocprim17ROCPRIM_400000_NS6detail17trampoline_kernelINS0_13select_configILj256ELj13ELNS0_17block_load_methodE3ELS4_3ELS4_3ELNS0_20block_scan_algorithmE0ELj4294967295EEENS1_25partition_config_selectorILNS1_17partition_subalgoE3EjNS0_10empty_typeEbEEZZNS1_14partition_implILS8_3ELb0ES6_jNS0_17counting_iteratorIjlEEPS9_SE_NS0_5tupleIJPjSE_EEENSF_IJSE_SE_EEES9_SG_JZNS1_25segmented_radix_sort_implINS0_14default_configELb0EPKiPiPKlPlN2at6native12_GLOBAL__N_18offset_tEEE10hipError_tPvRmT1_PNSt15iterator_traitsISY_E10value_typeET2_T3_PNSZ_IS14_E10value_typeET4_jRbjT5_S1A_jjP12ihipStream_tbEUljE_EEESV_SW_SX_S14_S18_S1A_T6_T7_T9_mT8_S1C_bDpT10_ENKUlT_T0_E_clISt17integral_constantIbLb1EES1P_EEDaS1K_S1L_EUlS1K_E_NS1_11comp_targetILNS1_3genE0ELNS1_11target_archE4294967295ELNS1_3gpuE0ELNS1_3repE0EEENS1_30default_config_static_selectorELNS0_4arch9wavefront6targetE1EEEvSY_
    .private_segment_fixed_size: 0
    .sgpr_count:     4
    .sgpr_spill_count: 0
    .symbol:         _ZN7rocprim17ROCPRIM_400000_NS6detail17trampoline_kernelINS0_13select_configILj256ELj13ELNS0_17block_load_methodE3ELS4_3ELS4_3ELNS0_20block_scan_algorithmE0ELj4294967295EEENS1_25partition_config_selectorILNS1_17partition_subalgoE3EjNS0_10empty_typeEbEEZZNS1_14partition_implILS8_3ELb0ES6_jNS0_17counting_iteratorIjlEEPS9_SE_NS0_5tupleIJPjSE_EEENSF_IJSE_SE_EEES9_SG_JZNS1_25segmented_radix_sort_implINS0_14default_configELb0EPKiPiPKlPlN2at6native12_GLOBAL__N_18offset_tEEE10hipError_tPvRmT1_PNSt15iterator_traitsISY_E10value_typeET2_T3_PNSZ_IS14_E10value_typeET4_jRbjT5_S1A_jjP12ihipStream_tbEUljE_EEESV_SW_SX_S14_S18_S1A_T6_T7_T9_mT8_S1C_bDpT10_ENKUlT_T0_E_clISt17integral_constantIbLb1EES1P_EEDaS1K_S1L_EUlS1K_E_NS1_11comp_targetILNS1_3genE0ELNS1_11target_archE4294967295ELNS1_3gpuE0ELNS1_3repE0EEENS1_30default_config_static_selectorELNS0_4arch9wavefront6targetE1EEEvSY_.kd
    .uniform_work_group_size: 1
    .uses_dynamic_stack: false
    .vgpr_count:     0
    .vgpr_spill_count: 0
    .wavefront_size: 64
  - .agpr_count:     0
    .args:
      - .offset:         0
        .size:           152
        .value_kind:     by_value
    .group_segment_fixed_size: 0
    .kernarg_segment_align: 8
    .kernarg_segment_size: 152
    .language:       OpenCL C
    .language_version:
      - 2
      - 0
    .max_flat_workgroup_size: 256
    .name:           _ZN7rocprim17ROCPRIM_400000_NS6detail17trampoline_kernelINS0_13select_configILj256ELj13ELNS0_17block_load_methodE3ELS4_3ELS4_3ELNS0_20block_scan_algorithmE0ELj4294967295EEENS1_25partition_config_selectorILNS1_17partition_subalgoE3EjNS0_10empty_typeEbEEZZNS1_14partition_implILS8_3ELb0ES6_jNS0_17counting_iteratorIjlEEPS9_SE_NS0_5tupleIJPjSE_EEENSF_IJSE_SE_EEES9_SG_JZNS1_25segmented_radix_sort_implINS0_14default_configELb0EPKiPiPKlPlN2at6native12_GLOBAL__N_18offset_tEEE10hipError_tPvRmT1_PNSt15iterator_traitsISY_E10value_typeET2_T3_PNSZ_IS14_E10value_typeET4_jRbjT5_S1A_jjP12ihipStream_tbEUljE_EEESV_SW_SX_S14_S18_S1A_T6_T7_T9_mT8_S1C_bDpT10_ENKUlT_T0_E_clISt17integral_constantIbLb1EES1P_EEDaS1K_S1L_EUlS1K_E_NS1_11comp_targetILNS1_3genE5ELNS1_11target_archE942ELNS1_3gpuE9ELNS1_3repE0EEENS1_30default_config_static_selectorELNS0_4arch9wavefront6targetE1EEEvSY_
    .private_segment_fixed_size: 0
    .sgpr_count:     4
    .sgpr_spill_count: 0
    .symbol:         _ZN7rocprim17ROCPRIM_400000_NS6detail17trampoline_kernelINS0_13select_configILj256ELj13ELNS0_17block_load_methodE3ELS4_3ELS4_3ELNS0_20block_scan_algorithmE0ELj4294967295EEENS1_25partition_config_selectorILNS1_17partition_subalgoE3EjNS0_10empty_typeEbEEZZNS1_14partition_implILS8_3ELb0ES6_jNS0_17counting_iteratorIjlEEPS9_SE_NS0_5tupleIJPjSE_EEENSF_IJSE_SE_EEES9_SG_JZNS1_25segmented_radix_sort_implINS0_14default_configELb0EPKiPiPKlPlN2at6native12_GLOBAL__N_18offset_tEEE10hipError_tPvRmT1_PNSt15iterator_traitsISY_E10value_typeET2_T3_PNSZ_IS14_E10value_typeET4_jRbjT5_S1A_jjP12ihipStream_tbEUljE_EEESV_SW_SX_S14_S18_S1A_T6_T7_T9_mT8_S1C_bDpT10_ENKUlT_T0_E_clISt17integral_constantIbLb1EES1P_EEDaS1K_S1L_EUlS1K_E_NS1_11comp_targetILNS1_3genE5ELNS1_11target_archE942ELNS1_3gpuE9ELNS1_3repE0EEENS1_30default_config_static_selectorELNS0_4arch9wavefront6targetE1EEEvSY_.kd
    .uniform_work_group_size: 1
    .uses_dynamic_stack: false
    .vgpr_count:     0
    .vgpr_spill_count: 0
    .wavefront_size: 64
  - .agpr_count:     0
    .args:
      - .offset:         0
        .size:           152
        .value_kind:     by_value
    .group_segment_fixed_size: 13324
    .kernarg_segment_align: 8
    .kernarg_segment_size: 152
    .language:       OpenCL C
    .language_version:
      - 2
      - 0
    .max_flat_workgroup_size: 256
    .name:           _ZN7rocprim17ROCPRIM_400000_NS6detail17trampoline_kernelINS0_13select_configILj256ELj13ELNS0_17block_load_methodE3ELS4_3ELS4_3ELNS0_20block_scan_algorithmE0ELj4294967295EEENS1_25partition_config_selectorILNS1_17partition_subalgoE3EjNS0_10empty_typeEbEEZZNS1_14partition_implILS8_3ELb0ES6_jNS0_17counting_iteratorIjlEEPS9_SE_NS0_5tupleIJPjSE_EEENSF_IJSE_SE_EEES9_SG_JZNS1_25segmented_radix_sort_implINS0_14default_configELb0EPKiPiPKlPlN2at6native12_GLOBAL__N_18offset_tEEE10hipError_tPvRmT1_PNSt15iterator_traitsISY_E10value_typeET2_T3_PNSZ_IS14_E10value_typeET4_jRbjT5_S1A_jjP12ihipStream_tbEUljE_EEESV_SW_SX_S14_S18_S1A_T6_T7_T9_mT8_S1C_bDpT10_ENKUlT_T0_E_clISt17integral_constantIbLb1EES1P_EEDaS1K_S1L_EUlS1K_E_NS1_11comp_targetILNS1_3genE4ELNS1_11target_archE910ELNS1_3gpuE8ELNS1_3repE0EEENS1_30default_config_static_selectorELNS0_4arch9wavefront6targetE1EEEvSY_
    .private_segment_fixed_size: 0
    .sgpr_count:     48
    .sgpr_spill_count: 0
    .symbol:         _ZN7rocprim17ROCPRIM_400000_NS6detail17trampoline_kernelINS0_13select_configILj256ELj13ELNS0_17block_load_methodE3ELS4_3ELS4_3ELNS0_20block_scan_algorithmE0ELj4294967295EEENS1_25partition_config_selectorILNS1_17partition_subalgoE3EjNS0_10empty_typeEbEEZZNS1_14partition_implILS8_3ELb0ES6_jNS0_17counting_iteratorIjlEEPS9_SE_NS0_5tupleIJPjSE_EEENSF_IJSE_SE_EEES9_SG_JZNS1_25segmented_radix_sort_implINS0_14default_configELb0EPKiPiPKlPlN2at6native12_GLOBAL__N_18offset_tEEE10hipError_tPvRmT1_PNSt15iterator_traitsISY_E10value_typeET2_T3_PNSZ_IS14_E10value_typeET4_jRbjT5_S1A_jjP12ihipStream_tbEUljE_EEESV_SW_SX_S14_S18_S1A_T6_T7_T9_mT8_S1C_bDpT10_ENKUlT_T0_E_clISt17integral_constantIbLb1EES1P_EEDaS1K_S1L_EUlS1K_E_NS1_11comp_targetILNS1_3genE4ELNS1_11target_archE910ELNS1_3gpuE8ELNS1_3repE0EEENS1_30default_config_static_selectorELNS0_4arch9wavefront6targetE1EEEvSY_.kd
    .uniform_work_group_size: 1
    .uses_dynamic_stack: false
    .vgpr_count:     64
    .vgpr_spill_count: 0
    .wavefront_size: 64
  - .agpr_count:     0
    .args:
      - .offset:         0
        .size:           152
        .value_kind:     by_value
    .group_segment_fixed_size: 0
    .kernarg_segment_align: 8
    .kernarg_segment_size: 152
    .language:       OpenCL C
    .language_version:
      - 2
      - 0
    .max_flat_workgroup_size: 256
    .name:           _ZN7rocprim17ROCPRIM_400000_NS6detail17trampoline_kernelINS0_13select_configILj256ELj13ELNS0_17block_load_methodE3ELS4_3ELS4_3ELNS0_20block_scan_algorithmE0ELj4294967295EEENS1_25partition_config_selectorILNS1_17partition_subalgoE3EjNS0_10empty_typeEbEEZZNS1_14partition_implILS8_3ELb0ES6_jNS0_17counting_iteratorIjlEEPS9_SE_NS0_5tupleIJPjSE_EEENSF_IJSE_SE_EEES9_SG_JZNS1_25segmented_radix_sort_implINS0_14default_configELb0EPKiPiPKlPlN2at6native12_GLOBAL__N_18offset_tEEE10hipError_tPvRmT1_PNSt15iterator_traitsISY_E10value_typeET2_T3_PNSZ_IS14_E10value_typeET4_jRbjT5_S1A_jjP12ihipStream_tbEUljE_EEESV_SW_SX_S14_S18_S1A_T6_T7_T9_mT8_S1C_bDpT10_ENKUlT_T0_E_clISt17integral_constantIbLb1EES1P_EEDaS1K_S1L_EUlS1K_E_NS1_11comp_targetILNS1_3genE3ELNS1_11target_archE908ELNS1_3gpuE7ELNS1_3repE0EEENS1_30default_config_static_selectorELNS0_4arch9wavefront6targetE1EEEvSY_
    .private_segment_fixed_size: 0
    .sgpr_count:     4
    .sgpr_spill_count: 0
    .symbol:         _ZN7rocprim17ROCPRIM_400000_NS6detail17trampoline_kernelINS0_13select_configILj256ELj13ELNS0_17block_load_methodE3ELS4_3ELS4_3ELNS0_20block_scan_algorithmE0ELj4294967295EEENS1_25partition_config_selectorILNS1_17partition_subalgoE3EjNS0_10empty_typeEbEEZZNS1_14partition_implILS8_3ELb0ES6_jNS0_17counting_iteratorIjlEEPS9_SE_NS0_5tupleIJPjSE_EEENSF_IJSE_SE_EEES9_SG_JZNS1_25segmented_radix_sort_implINS0_14default_configELb0EPKiPiPKlPlN2at6native12_GLOBAL__N_18offset_tEEE10hipError_tPvRmT1_PNSt15iterator_traitsISY_E10value_typeET2_T3_PNSZ_IS14_E10value_typeET4_jRbjT5_S1A_jjP12ihipStream_tbEUljE_EEESV_SW_SX_S14_S18_S1A_T6_T7_T9_mT8_S1C_bDpT10_ENKUlT_T0_E_clISt17integral_constantIbLb1EES1P_EEDaS1K_S1L_EUlS1K_E_NS1_11comp_targetILNS1_3genE3ELNS1_11target_archE908ELNS1_3gpuE7ELNS1_3repE0EEENS1_30default_config_static_selectorELNS0_4arch9wavefront6targetE1EEEvSY_.kd
    .uniform_work_group_size: 1
    .uses_dynamic_stack: false
    .vgpr_count:     0
    .vgpr_spill_count: 0
    .wavefront_size: 64
  - .agpr_count:     0
    .args:
      - .offset:         0
        .size:           152
        .value_kind:     by_value
    .group_segment_fixed_size: 0
    .kernarg_segment_align: 8
    .kernarg_segment_size: 152
    .language:       OpenCL C
    .language_version:
      - 2
      - 0
    .max_flat_workgroup_size: 256
    .name:           _ZN7rocprim17ROCPRIM_400000_NS6detail17trampoline_kernelINS0_13select_configILj256ELj13ELNS0_17block_load_methodE3ELS4_3ELS4_3ELNS0_20block_scan_algorithmE0ELj4294967295EEENS1_25partition_config_selectorILNS1_17partition_subalgoE3EjNS0_10empty_typeEbEEZZNS1_14partition_implILS8_3ELb0ES6_jNS0_17counting_iteratorIjlEEPS9_SE_NS0_5tupleIJPjSE_EEENSF_IJSE_SE_EEES9_SG_JZNS1_25segmented_radix_sort_implINS0_14default_configELb0EPKiPiPKlPlN2at6native12_GLOBAL__N_18offset_tEEE10hipError_tPvRmT1_PNSt15iterator_traitsISY_E10value_typeET2_T3_PNSZ_IS14_E10value_typeET4_jRbjT5_S1A_jjP12ihipStream_tbEUljE_EEESV_SW_SX_S14_S18_S1A_T6_T7_T9_mT8_S1C_bDpT10_ENKUlT_T0_E_clISt17integral_constantIbLb1EES1P_EEDaS1K_S1L_EUlS1K_E_NS1_11comp_targetILNS1_3genE2ELNS1_11target_archE906ELNS1_3gpuE6ELNS1_3repE0EEENS1_30default_config_static_selectorELNS0_4arch9wavefront6targetE1EEEvSY_
    .private_segment_fixed_size: 0
    .sgpr_count:     4
    .sgpr_spill_count: 0
    .symbol:         _ZN7rocprim17ROCPRIM_400000_NS6detail17trampoline_kernelINS0_13select_configILj256ELj13ELNS0_17block_load_methodE3ELS4_3ELS4_3ELNS0_20block_scan_algorithmE0ELj4294967295EEENS1_25partition_config_selectorILNS1_17partition_subalgoE3EjNS0_10empty_typeEbEEZZNS1_14partition_implILS8_3ELb0ES6_jNS0_17counting_iteratorIjlEEPS9_SE_NS0_5tupleIJPjSE_EEENSF_IJSE_SE_EEES9_SG_JZNS1_25segmented_radix_sort_implINS0_14default_configELb0EPKiPiPKlPlN2at6native12_GLOBAL__N_18offset_tEEE10hipError_tPvRmT1_PNSt15iterator_traitsISY_E10value_typeET2_T3_PNSZ_IS14_E10value_typeET4_jRbjT5_S1A_jjP12ihipStream_tbEUljE_EEESV_SW_SX_S14_S18_S1A_T6_T7_T9_mT8_S1C_bDpT10_ENKUlT_T0_E_clISt17integral_constantIbLb1EES1P_EEDaS1K_S1L_EUlS1K_E_NS1_11comp_targetILNS1_3genE2ELNS1_11target_archE906ELNS1_3gpuE6ELNS1_3repE0EEENS1_30default_config_static_selectorELNS0_4arch9wavefront6targetE1EEEvSY_.kd
    .uniform_work_group_size: 1
    .uses_dynamic_stack: false
    .vgpr_count:     0
    .vgpr_spill_count: 0
    .wavefront_size: 64
  - .agpr_count:     0
    .args:
      - .offset:         0
        .size:           152
        .value_kind:     by_value
    .group_segment_fixed_size: 0
    .kernarg_segment_align: 8
    .kernarg_segment_size: 152
    .language:       OpenCL C
    .language_version:
      - 2
      - 0
    .max_flat_workgroup_size: 256
    .name:           _ZN7rocprim17ROCPRIM_400000_NS6detail17trampoline_kernelINS0_13select_configILj256ELj13ELNS0_17block_load_methodE3ELS4_3ELS4_3ELNS0_20block_scan_algorithmE0ELj4294967295EEENS1_25partition_config_selectorILNS1_17partition_subalgoE3EjNS0_10empty_typeEbEEZZNS1_14partition_implILS8_3ELb0ES6_jNS0_17counting_iteratorIjlEEPS9_SE_NS0_5tupleIJPjSE_EEENSF_IJSE_SE_EEES9_SG_JZNS1_25segmented_radix_sort_implINS0_14default_configELb0EPKiPiPKlPlN2at6native12_GLOBAL__N_18offset_tEEE10hipError_tPvRmT1_PNSt15iterator_traitsISY_E10value_typeET2_T3_PNSZ_IS14_E10value_typeET4_jRbjT5_S1A_jjP12ihipStream_tbEUljE_EEESV_SW_SX_S14_S18_S1A_T6_T7_T9_mT8_S1C_bDpT10_ENKUlT_T0_E_clISt17integral_constantIbLb1EES1P_EEDaS1K_S1L_EUlS1K_E_NS1_11comp_targetILNS1_3genE10ELNS1_11target_archE1200ELNS1_3gpuE4ELNS1_3repE0EEENS1_30default_config_static_selectorELNS0_4arch9wavefront6targetE1EEEvSY_
    .private_segment_fixed_size: 0
    .sgpr_count:     4
    .sgpr_spill_count: 0
    .symbol:         _ZN7rocprim17ROCPRIM_400000_NS6detail17trampoline_kernelINS0_13select_configILj256ELj13ELNS0_17block_load_methodE3ELS4_3ELS4_3ELNS0_20block_scan_algorithmE0ELj4294967295EEENS1_25partition_config_selectorILNS1_17partition_subalgoE3EjNS0_10empty_typeEbEEZZNS1_14partition_implILS8_3ELb0ES6_jNS0_17counting_iteratorIjlEEPS9_SE_NS0_5tupleIJPjSE_EEENSF_IJSE_SE_EEES9_SG_JZNS1_25segmented_radix_sort_implINS0_14default_configELb0EPKiPiPKlPlN2at6native12_GLOBAL__N_18offset_tEEE10hipError_tPvRmT1_PNSt15iterator_traitsISY_E10value_typeET2_T3_PNSZ_IS14_E10value_typeET4_jRbjT5_S1A_jjP12ihipStream_tbEUljE_EEESV_SW_SX_S14_S18_S1A_T6_T7_T9_mT8_S1C_bDpT10_ENKUlT_T0_E_clISt17integral_constantIbLb1EES1P_EEDaS1K_S1L_EUlS1K_E_NS1_11comp_targetILNS1_3genE10ELNS1_11target_archE1200ELNS1_3gpuE4ELNS1_3repE0EEENS1_30default_config_static_selectorELNS0_4arch9wavefront6targetE1EEEvSY_.kd
    .uniform_work_group_size: 1
    .uses_dynamic_stack: false
    .vgpr_count:     0
    .vgpr_spill_count: 0
    .wavefront_size: 64
  - .agpr_count:     0
    .args:
      - .offset:         0
        .size:           152
        .value_kind:     by_value
    .group_segment_fixed_size: 0
    .kernarg_segment_align: 8
    .kernarg_segment_size: 152
    .language:       OpenCL C
    .language_version:
      - 2
      - 0
    .max_flat_workgroup_size: 256
    .name:           _ZN7rocprim17ROCPRIM_400000_NS6detail17trampoline_kernelINS0_13select_configILj256ELj13ELNS0_17block_load_methodE3ELS4_3ELS4_3ELNS0_20block_scan_algorithmE0ELj4294967295EEENS1_25partition_config_selectorILNS1_17partition_subalgoE3EjNS0_10empty_typeEbEEZZNS1_14partition_implILS8_3ELb0ES6_jNS0_17counting_iteratorIjlEEPS9_SE_NS0_5tupleIJPjSE_EEENSF_IJSE_SE_EEES9_SG_JZNS1_25segmented_radix_sort_implINS0_14default_configELb0EPKiPiPKlPlN2at6native12_GLOBAL__N_18offset_tEEE10hipError_tPvRmT1_PNSt15iterator_traitsISY_E10value_typeET2_T3_PNSZ_IS14_E10value_typeET4_jRbjT5_S1A_jjP12ihipStream_tbEUljE_EEESV_SW_SX_S14_S18_S1A_T6_T7_T9_mT8_S1C_bDpT10_ENKUlT_T0_E_clISt17integral_constantIbLb1EES1P_EEDaS1K_S1L_EUlS1K_E_NS1_11comp_targetILNS1_3genE9ELNS1_11target_archE1100ELNS1_3gpuE3ELNS1_3repE0EEENS1_30default_config_static_selectorELNS0_4arch9wavefront6targetE1EEEvSY_
    .private_segment_fixed_size: 0
    .sgpr_count:     4
    .sgpr_spill_count: 0
    .symbol:         _ZN7rocprim17ROCPRIM_400000_NS6detail17trampoline_kernelINS0_13select_configILj256ELj13ELNS0_17block_load_methodE3ELS4_3ELS4_3ELNS0_20block_scan_algorithmE0ELj4294967295EEENS1_25partition_config_selectorILNS1_17partition_subalgoE3EjNS0_10empty_typeEbEEZZNS1_14partition_implILS8_3ELb0ES6_jNS0_17counting_iteratorIjlEEPS9_SE_NS0_5tupleIJPjSE_EEENSF_IJSE_SE_EEES9_SG_JZNS1_25segmented_radix_sort_implINS0_14default_configELb0EPKiPiPKlPlN2at6native12_GLOBAL__N_18offset_tEEE10hipError_tPvRmT1_PNSt15iterator_traitsISY_E10value_typeET2_T3_PNSZ_IS14_E10value_typeET4_jRbjT5_S1A_jjP12ihipStream_tbEUljE_EEESV_SW_SX_S14_S18_S1A_T6_T7_T9_mT8_S1C_bDpT10_ENKUlT_T0_E_clISt17integral_constantIbLb1EES1P_EEDaS1K_S1L_EUlS1K_E_NS1_11comp_targetILNS1_3genE9ELNS1_11target_archE1100ELNS1_3gpuE3ELNS1_3repE0EEENS1_30default_config_static_selectorELNS0_4arch9wavefront6targetE1EEEvSY_.kd
    .uniform_work_group_size: 1
    .uses_dynamic_stack: false
    .vgpr_count:     0
    .vgpr_spill_count: 0
    .wavefront_size: 64
  - .agpr_count:     0
    .args:
      - .offset:         0
        .size:           152
        .value_kind:     by_value
    .group_segment_fixed_size: 0
    .kernarg_segment_align: 8
    .kernarg_segment_size: 152
    .language:       OpenCL C
    .language_version:
      - 2
      - 0
    .max_flat_workgroup_size: 256
    .name:           _ZN7rocprim17ROCPRIM_400000_NS6detail17trampoline_kernelINS0_13select_configILj256ELj13ELNS0_17block_load_methodE3ELS4_3ELS4_3ELNS0_20block_scan_algorithmE0ELj4294967295EEENS1_25partition_config_selectorILNS1_17partition_subalgoE3EjNS0_10empty_typeEbEEZZNS1_14partition_implILS8_3ELb0ES6_jNS0_17counting_iteratorIjlEEPS9_SE_NS0_5tupleIJPjSE_EEENSF_IJSE_SE_EEES9_SG_JZNS1_25segmented_radix_sort_implINS0_14default_configELb0EPKiPiPKlPlN2at6native12_GLOBAL__N_18offset_tEEE10hipError_tPvRmT1_PNSt15iterator_traitsISY_E10value_typeET2_T3_PNSZ_IS14_E10value_typeET4_jRbjT5_S1A_jjP12ihipStream_tbEUljE_EEESV_SW_SX_S14_S18_S1A_T6_T7_T9_mT8_S1C_bDpT10_ENKUlT_T0_E_clISt17integral_constantIbLb1EES1P_EEDaS1K_S1L_EUlS1K_E_NS1_11comp_targetILNS1_3genE8ELNS1_11target_archE1030ELNS1_3gpuE2ELNS1_3repE0EEENS1_30default_config_static_selectorELNS0_4arch9wavefront6targetE1EEEvSY_
    .private_segment_fixed_size: 0
    .sgpr_count:     4
    .sgpr_spill_count: 0
    .symbol:         _ZN7rocprim17ROCPRIM_400000_NS6detail17trampoline_kernelINS0_13select_configILj256ELj13ELNS0_17block_load_methodE3ELS4_3ELS4_3ELNS0_20block_scan_algorithmE0ELj4294967295EEENS1_25partition_config_selectorILNS1_17partition_subalgoE3EjNS0_10empty_typeEbEEZZNS1_14partition_implILS8_3ELb0ES6_jNS0_17counting_iteratorIjlEEPS9_SE_NS0_5tupleIJPjSE_EEENSF_IJSE_SE_EEES9_SG_JZNS1_25segmented_radix_sort_implINS0_14default_configELb0EPKiPiPKlPlN2at6native12_GLOBAL__N_18offset_tEEE10hipError_tPvRmT1_PNSt15iterator_traitsISY_E10value_typeET2_T3_PNSZ_IS14_E10value_typeET4_jRbjT5_S1A_jjP12ihipStream_tbEUljE_EEESV_SW_SX_S14_S18_S1A_T6_T7_T9_mT8_S1C_bDpT10_ENKUlT_T0_E_clISt17integral_constantIbLb1EES1P_EEDaS1K_S1L_EUlS1K_E_NS1_11comp_targetILNS1_3genE8ELNS1_11target_archE1030ELNS1_3gpuE2ELNS1_3repE0EEENS1_30default_config_static_selectorELNS0_4arch9wavefront6targetE1EEEvSY_.kd
    .uniform_work_group_size: 1
    .uses_dynamic_stack: false
    .vgpr_count:     0
    .vgpr_spill_count: 0
    .wavefront_size: 64
  - .agpr_count:     0
    .args:
      - .offset:         0
        .size:           144
        .value_kind:     by_value
    .group_segment_fixed_size: 0
    .kernarg_segment_align: 8
    .kernarg_segment_size: 144
    .language:       OpenCL C
    .language_version:
      - 2
      - 0
    .max_flat_workgroup_size: 256
    .name:           _ZN7rocprim17ROCPRIM_400000_NS6detail17trampoline_kernelINS0_13select_configILj256ELj13ELNS0_17block_load_methodE3ELS4_3ELS4_3ELNS0_20block_scan_algorithmE0ELj4294967295EEENS1_25partition_config_selectorILNS1_17partition_subalgoE3EjNS0_10empty_typeEbEEZZNS1_14partition_implILS8_3ELb0ES6_jNS0_17counting_iteratorIjlEEPS9_SE_NS0_5tupleIJPjSE_EEENSF_IJSE_SE_EEES9_SG_JZNS1_25segmented_radix_sort_implINS0_14default_configELb0EPKiPiPKlPlN2at6native12_GLOBAL__N_18offset_tEEE10hipError_tPvRmT1_PNSt15iterator_traitsISY_E10value_typeET2_T3_PNSZ_IS14_E10value_typeET4_jRbjT5_S1A_jjP12ihipStream_tbEUljE_EEESV_SW_SX_S14_S18_S1A_T6_T7_T9_mT8_S1C_bDpT10_ENKUlT_T0_E_clISt17integral_constantIbLb1EES1O_IbLb0EEEEDaS1K_S1L_EUlS1K_E_NS1_11comp_targetILNS1_3genE0ELNS1_11target_archE4294967295ELNS1_3gpuE0ELNS1_3repE0EEENS1_30default_config_static_selectorELNS0_4arch9wavefront6targetE1EEEvSY_
    .private_segment_fixed_size: 0
    .sgpr_count:     4
    .sgpr_spill_count: 0
    .symbol:         _ZN7rocprim17ROCPRIM_400000_NS6detail17trampoline_kernelINS0_13select_configILj256ELj13ELNS0_17block_load_methodE3ELS4_3ELS4_3ELNS0_20block_scan_algorithmE0ELj4294967295EEENS1_25partition_config_selectorILNS1_17partition_subalgoE3EjNS0_10empty_typeEbEEZZNS1_14partition_implILS8_3ELb0ES6_jNS0_17counting_iteratorIjlEEPS9_SE_NS0_5tupleIJPjSE_EEENSF_IJSE_SE_EEES9_SG_JZNS1_25segmented_radix_sort_implINS0_14default_configELb0EPKiPiPKlPlN2at6native12_GLOBAL__N_18offset_tEEE10hipError_tPvRmT1_PNSt15iterator_traitsISY_E10value_typeET2_T3_PNSZ_IS14_E10value_typeET4_jRbjT5_S1A_jjP12ihipStream_tbEUljE_EEESV_SW_SX_S14_S18_S1A_T6_T7_T9_mT8_S1C_bDpT10_ENKUlT_T0_E_clISt17integral_constantIbLb1EES1O_IbLb0EEEEDaS1K_S1L_EUlS1K_E_NS1_11comp_targetILNS1_3genE0ELNS1_11target_archE4294967295ELNS1_3gpuE0ELNS1_3repE0EEENS1_30default_config_static_selectorELNS0_4arch9wavefront6targetE1EEEvSY_.kd
    .uniform_work_group_size: 1
    .uses_dynamic_stack: false
    .vgpr_count:     0
    .vgpr_spill_count: 0
    .wavefront_size: 64
  - .agpr_count:     0
    .args:
      - .offset:         0
        .size:           144
        .value_kind:     by_value
    .group_segment_fixed_size: 0
    .kernarg_segment_align: 8
    .kernarg_segment_size: 144
    .language:       OpenCL C
    .language_version:
      - 2
      - 0
    .max_flat_workgroup_size: 256
    .name:           _ZN7rocprim17ROCPRIM_400000_NS6detail17trampoline_kernelINS0_13select_configILj256ELj13ELNS0_17block_load_methodE3ELS4_3ELS4_3ELNS0_20block_scan_algorithmE0ELj4294967295EEENS1_25partition_config_selectorILNS1_17partition_subalgoE3EjNS0_10empty_typeEbEEZZNS1_14partition_implILS8_3ELb0ES6_jNS0_17counting_iteratorIjlEEPS9_SE_NS0_5tupleIJPjSE_EEENSF_IJSE_SE_EEES9_SG_JZNS1_25segmented_radix_sort_implINS0_14default_configELb0EPKiPiPKlPlN2at6native12_GLOBAL__N_18offset_tEEE10hipError_tPvRmT1_PNSt15iterator_traitsISY_E10value_typeET2_T3_PNSZ_IS14_E10value_typeET4_jRbjT5_S1A_jjP12ihipStream_tbEUljE_EEESV_SW_SX_S14_S18_S1A_T6_T7_T9_mT8_S1C_bDpT10_ENKUlT_T0_E_clISt17integral_constantIbLb1EES1O_IbLb0EEEEDaS1K_S1L_EUlS1K_E_NS1_11comp_targetILNS1_3genE5ELNS1_11target_archE942ELNS1_3gpuE9ELNS1_3repE0EEENS1_30default_config_static_selectorELNS0_4arch9wavefront6targetE1EEEvSY_
    .private_segment_fixed_size: 0
    .sgpr_count:     4
    .sgpr_spill_count: 0
    .symbol:         _ZN7rocprim17ROCPRIM_400000_NS6detail17trampoline_kernelINS0_13select_configILj256ELj13ELNS0_17block_load_methodE3ELS4_3ELS4_3ELNS0_20block_scan_algorithmE0ELj4294967295EEENS1_25partition_config_selectorILNS1_17partition_subalgoE3EjNS0_10empty_typeEbEEZZNS1_14partition_implILS8_3ELb0ES6_jNS0_17counting_iteratorIjlEEPS9_SE_NS0_5tupleIJPjSE_EEENSF_IJSE_SE_EEES9_SG_JZNS1_25segmented_radix_sort_implINS0_14default_configELb0EPKiPiPKlPlN2at6native12_GLOBAL__N_18offset_tEEE10hipError_tPvRmT1_PNSt15iterator_traitsISY_E10value_typeET2_T3_PNSZ_IS14_E10value_typeET4_jRbjT5_S1A_jjP12ihipStream_tbEUljE_EEESV_SW_SX_S14_S18_S1A_T6_T7_T9_mT8_S1C_bDpT10_ENKUlT_T0_E_clISt17integral_constantIbLb1EES1O_IbLb0EEEEDaS1K_S1L_EUlS1K_E_NS1_11comp_targetILNS1_3genE5ELNS1_11target_archE942ELNS1_3gpuE9ELNS1_3repE0EEENS1_30default_config_static_selectorELNS0_4arch9wavefront6targetE1EEEvSY_.kd
    .uniform_work_group_size: 1
    .uses_dynamic_stack: false
    .vgpr_count:     0
    .vgpr_spill_count: 0
    .wavefront_size: 64
  - .agpr_count:     0
    .args:
      - .offset:         0
        .size:           144
        .value_kind:     by_value
    .group_segment_fixed_size: 13324
    .kernarg_segment_align: 8
    .kernarg_segment_size: 144
    .language:       OpenCL C
    .language_version:
      - 2
      - 0
    .max_flat_workgroup_size: 256
    .name:           _ZN7rocprim17ROCPRIM_400000_NS6detail17trampoline_kernelINS0_13select_configILj256ELj13ELNS0_17block_load_methodE3ELS4_3ELS4_3ELNS0_20block_scan_algorithmE0ELj4294967295EEENS1_25partition_config_selectorILNS1_17partition_subalgoE3EjNS0_10empty_typeEbEEZZNS1_14partition_implILS8_3ELb0ES6_jNS0_17counting_iteratorIjlEEPS9_SE_NS0_5tupleIJPjSE_EEENSF_IJSE_SE_EEES9_SG_JZNS1_25segmented_radix_sort_implINS0_14default_configELb0EPKiPiPKlPlN2at6native12_GLOBAL__N_18offset_tEEE10hipError_tPvRmT1_PNSt15iterator_traitsISY_E10value_typeET2_T3_PNSZ_IS14_E10value_typeET4_jRbjT5_S1A_jjP12ihipStream_tbEUljE_EEESV_SW_SX_S14_S18_S1A_T6_T7_T9_mT8_S1C_bDpT10_ENKUlT_T0_E_clISt17integral_constantIbLb1EES1O_IbLb0EEEEDaS1K_S1L_EUlS1K_E_NS1_11comp_targetILNS1_3genE4ELNS1_11target_archE910ELNS1_3gpuE8ELNS1_3repE0EEENS1_30default_config_static_selectorELNS0_4arch9wavefront6targetE1EEEvSY_
    .private_segment_fixed_size: 0
    .sgpr_count:     50
    .sgpr_spill_count: 0
    .symbol:         _ZN7rocprim17ROCPRIM_400000_NS6detail17trampoline_kernelINS0_13select_configILj256ELj13ELNS0_17block_load_methodE3ELS4_3ELS4_3ELNS0_20block_scan_algorithmE0ELj4294967295EEENS1_25partition_config_selectorILNS1_17partition_subalgoE3EjNS0_10empty_typeEbEEZZNS1_14partition_implILS8_3ELb0ES6_jNS0_17counting_iteratorIjlEEPS9_SE_NS0_5tupleIJPjSE_EEENSF_IJSE_SE_EEES9_SG_JZNS1_25segmented_radix_sort_implINS0_14default_configELb0EPKiPiPKlPlN2at6native12_GLOBAL__N_18offset_tEEE10hipError_tPvRmT1_PNSt15iterator_traitsISY_E10value_typeET2_T3_PNSZ_IS14_E10value_typeET4_jRbjT5_S1A_jjP12ihipStream_tbEUljE_EEESV_SW_SX_S14_S18_S1A_T6_T7_T9_mT8_S1C_bDpT10_ENKUlT_T0_E_clISt17integral_constantIbLb1EES1O_IbLb0EEEEDaS1K_S1L_EUlS1K_E_NS1_11comp_targetILNS1_3genE4ELNS1_11target_archE910ELNS1_3gpuE8ELNS1_3repE0EEENS1_30default_config_static_selectorELNS0_4arch9wavefront6targetE1EEEvSY_.kd
    .uniform_work_group_size: 1
    .uses_dynamic_stack: false
    .vgpr_count:     61
    .vgpr_spill_count: 0
    .wavefront_size: 64
  - .agpr_count:     0
    .args:
      - .offset:         0
        .size:           144
        .value_kind:     by_value
    .group_segment_fixed_size: 0
    .kernarg_segment_align: 8
    .kernarg_segment_size: 144
    .language:       OpenCL C
    .language_version:
      - 2
      - 0
    .max_flat_workgroup_size: 256
    .name:           _ZN7rocprim17ROCPRIM_400000_NS6detail17trampoline_kernelINS0_13select_configILj256ELj13ELNS0_17block_load_methodE3ELS4_3ELS4_3ELNS0_20block_scan_algorithmE0ELj4294967295EEENS1_25partition_config_selectorILNS1_17partition_subalgoE3EjNS0_10empty_typeEbEEZZNS1_14partition_implILS8_3ELb0ES6_jNS0_17counting_iteratorIjlEEPS9_SE_NS0_5tupleIJPjSE_EEENSF_IJSE_SE_EEES9_SG_JZNS1_25segmented_radix_sort_implINS0_14default_configELb0EPKiPiPKlPlN2at6native12_GLOBAL__N_18offset_tEEE10hipError_tPvRmT1_PNSt15iterator_traitsISY_E10value_typeET2_T3_PNSZ_IS14_E10value_typeET4_jRbjT5_S1A_jjP12ihipStream_tbEUljE_EEESV_SW_SX_S14_S18_S1A_T6_T7_T9_mT8_S1C_bDpT10_ENKUlT_T0_E_clISt17integral_constantIbLb1EES1O_IbLb0EEEEDaS1K_S1L_EUlS1K_E_NS1_11comp_targetILNS1_3genE3ELNS1_11target_archE908ELNS1_3gpuE7ELNS1_3repE0EEENS1_30default_config_static_selectorELNS0_4arch9wavefront6targetE1EEEvSY_
    .private_segment_fixed_size: 0
    .sgpr_count:     4
    .sgpr_spill_count: 0
    .symbol:         _ZN7rocprim17ROCPRIM_400000_NS6detail17trampoline_kernelINS0_13select_configILj256ELj13ELNS0_17block_load_methodE3ELS4_3ELS4_3ELNS0_20block_scan_algorithmE0ELj4294967295EEENS1_25partition_config_selectorILNS1_17partition_subalgoE3EjNS0_10empty_typeEbEEZZNS1_14partition_implILS8_3ELb0ES6_jNS0_17counting_iteratorIjlEEPS9_SE_NS0_5tupleIJPjSE_EEENSF_IJSE_SE_EEES9_SG_JZNS1_25segmented_radix_sort_implINS0_14default_configELb0EPKiPiPKlPlN2at6native12_GLOBAL__N_18offset_tEEE10hipError_tPvRmT1_PNSt15iterator_traitsISY_E10value_typeET2_T3_PNSZ_IS14_E10value_typeET4_jRbjT5_S1A_jjP12ihipStream_tbEUljE_EEESV_SW_SX_S14_S18_S1A_T6_T7_T9_mT8_S1C_bDpT10_ENKUlT_T0_E_clISt17integral_constantIbLb1EES1O_IbLb0EEEEDaS1K_S1L_EUlS1K_E_NS1_11comp_targetILNS1_3genE3ELNS1_11target_archE908ELNS1_3gpuE7ELNS1_3repE0EEENS1_30default_config_static_selectorELNS0_4arch9wavefront6targetE1EEEvSY_.kd
    .uniform_work_group_size: 1
    .uses_dynamic_stack: false
    .vgpr_count:     0
    .vgpr_spill_count: 0
    .wavefront_size: 64
  - .agpr_count:     0
    .args:
      - .offset:         0
        .size:           144
        .value_kind:     by_value
    .group_segment_fixed_size: 0
    .kernarg_segment_align: 8
    .kernarg_segment_size: 144
    .language:       OpenCL C
    .language_version:
      - 2
      - 0
    .max_flat_workgroup_size: 256
    .name:           _ZN7rocprim17ROCPRIM_400000_NS6detail17trampoline_kernelINS0_13select_configILj256ELj13ELNS0_17block_load_methodE3ELS4_3ELS4_3ELNS0_20block_scan_algorithmE0ELj4294967295EEENS1_25partition_config_selectorILNS1_17partition_subalgoE3EjNS0_10empty_typeEbEEZZNS1_14partition_implILS8_3ELb0ES6_jNS0_17counting_iteratorIjlEEPS9_SE_NS0_5tupleIJPjSE_EEENSF_IJSE_SE_EEES9_SG_JZNS1_25segmented_radix_sort_implINS0_14default_configELb0EPKiPiPKlPlN2at6native12_GLOBAL__N_18offset_tEEE10hipError_tPvRmT1_PNSt15iterator_traitsISY_E10value_typeET2_T3_PNSZ_IS14_E10value_typeET4_jRbjT5_S1A_jjP12ihipStream_tbEUljE_EEESV_SW_SX_S14_S18_S1A_T6_T7_T9_mT8_S1C_bDpT10_ENKUlT_T0_E_clISt17integral_constantIbLb1EES1O_IbLb0EEEEDaS1K_S1L_EUlS1K_E_NS1_11comp_targetILNS1_3genE2ELNS1_11target_archE906ELNS1_3gpuE6ELNS1_3repE0EEENS1_30default_config_static_selectorELNS0_4arch9wavefront6targetE1EEEvSY_
    .private_segment_fixed_size: 0
    .sgpr_count:     4
    .sgpr_spill_count: 0
    .symbol:         _ZN7rocprim17ROCPRIM_400000_NS6detail17trampoline_kernelINS0_13select_configILj256ELj13ELNS0_17block_load_methodE3ELS4_3ELS4_3ELNS0_20block_scan_algorithmE0ELj4294967295EEENS1_25partition_config_selectorILNS1_17partition_subalgoE3EjNS0_10empty_typeEbEEZZNS1_14partition_implILS8_3ELb0ES6_jNS0_17counting_iteratorIjlEEPS9_SE_NS0_5tupleIJPjSE_EEENSF_IJSE_SE_EEES9_SG_JZNS1_25segmented_radix_sort_implINS0_14default_configELb0EPKiPiPKlPlN2at6native12_GLOBAL__N_18offset_tEEE10hipError_tPvRmT1_PNSt15iterator_traitsISY_E10value_typeET2_T3_PNSZ_IS14_E10value_typeET4_jRbjT5_S1A_jjP12ihipStream_tbEUljE_EEESV_SW_SX_S14_S18_S1A_T6_T7_T9_mT8_S1C_bDpT10_ENKUlT_T0_E_clISt17integral_constantIbLb1EES1O_IbLb0EEEEDaS1K_S1L_EUlS1K_E_NS1_11comp_targetILNS1_3genE2ELNS1_11target_archE906ELNS1_3gpuE6ELNS1_3repE0EEENS1_30default_config_static_selectorELNS0_4arch9wavefront6targetE1EEEvSY_.kd
    .uniform_work_group_size: 1
    .uses_dynamic_stack: false
    .vgpr_count:     0
    .vgpr_spill_count: 0
    .wavefront_size: 64
  - .agpr_count:     0
    .args:
      - .offset:         0
        .size:           144
        .value_kind:     by_value
    .group_segment_fixed_size: 0
    .kernarg_segment_align: 8
    .kernarg_segment_size: 144
    .language:       OpenCL C
    .language_version:
      - 2
      - 0
    .max_flat_workgroup_size: 256
    .name:           _ZN7rocprim17ROCPRIM_400000_NS6detail17trampoline_kernelINS0_13select_configILj256ELj13ELNS0_17block_load_methodE3ELS4_3ELS4_3ELNS0_20block_scan_algorithmE0ELj4294967295EEENS1_25partition_config_selectorILNS1_17partition_subalgoE3EjNS0_10empty_typeEbEEZZNS1_14partition_implILS8_3ELb0ES6_jNS0_17counting_iteratorIjlEEPS9_SE_NS0_5tupleIJPjSE_EEENSF_IJSE_SE_EEES9_SG_JZNS1_25segmented_radix_sort_implINS0_14default_configELb0EPKiPiPKlPlN2at6native12_GLOBAL__N_18offset_tEEE10hipError_tPvRmT1_PNSt15iterator_traitsISY_E10value_typeET2_T3_PNSZ_IS14_E10value_typeET4_jRbjT5_S1A_jjP12ihipStream_tbEUljE_EEESV_SW_SX_S14_S18_S1A_T6_T7_T9_mT8_S1C_bDpT10_ENKUlT_T0_E_clISt17integral_constantIbLb1EES1O_IbLb0EEEEDaS1K_S1L_EUlS1K_E_NS1_11comp_targetILNS1_3genE10ELNS1_11target_archE1200ELNS1_3gpuE4ELNS1_3repE0EEENS1_30default_config_static_selectorELNS0_4arch9wavefront6targetE1EEEvSY_
    .private_segment_fixed_size: 0
    .sgpr_count:     4
    .sgpr_spill_count: 0
    .symbol:         _ZN7rocprim17ROCPRIM_400000_NS6detail17trampoline_kernelINS0_13select_configILj256ELj13ELNS0_17block_load_methodE3ELS4_3ELS4_3ELNS0_20block_scan_algorithmE0ELj4294967295EEENS1_25partition_config_selectorILNS1_17partition_subalgoE3EjNS0_10empty_typeEbEEZZNS1_14partition_implILS8_3ELb0ES6_jNS0_17counting_iteratorIjlEEPS9_SE_NS0_5tupleIJPjSE_EEENSF_IJSE_SE_EEES9_SG_JZNS1_25segmented_radix_sort_implINS0_14default_configELb0EPKiPiPKlPlN2at6native12_GLOBAL__N_18offset_tEEE10hipError_tPvRmT1_PNSt15iterator_traitsISY_E10value_typeET2_T3_PNSZ_IS14_E10value_typeET4_jRbjT5_S1A_jjP12ihipStream_tbEUljE_EEESV_SW_SX_S14_S18_S1A_T6_T7_T9_mT8_S1C_bDpT10_ENKUlT_T0_E_clISt17integral_constantIbLb1EES1O_IbLb0EEEEDaS1K_S1L_EUlS1K_E_NS1_11comp_targetILNS1_3genE10ELNS1_11target_archE1200ELNS1_3gpuE4ELNS1_3repE0EEENS1_30default_config_static_selectorELNS0_4arch9wavefront6targetE1EEEvSY_.kd
    .uniform_work_group_size: 1
    .uses_dynamic_stack: false
    .vgpr_count:     0
    .vgpr_spill_count: 0
    .wavefront_size: 64
  - .agpr_count:     0
    .args:
      - .offset:         0
        .size:           144
        .value_kind:     by_value
    .group_segment_fixed_size: 0
    .kernarg_segment_align: 8
    .kernarg_segment_size: 144
    .language:       OpenCL C
    .language_version:
      - 2
      - 0
    .max_flat_workgroup_size: 256
    .name:           _ZN7rocprim17ROCPRIM_400000_NS6detail17trampoline_kernelINS0_13select_configILj256ELj13ELNS0_17block_load_methodE3ELS4_3ELS4_3ELNS0_20block_scan_algorithmE0ELj4294967295EEENS1_25partition_config_selectorILNS1_17partition_subalgoE3EjNS0_10empty_typeEbEEZZNS1_14partition_implILS8_3ELb0ES6_jNS0_17counting_iteratorIjlEEPS9_SE_NS0_5tupleIJPjSE_EEENSF_IJSE_SE_EEES9_SG_JZNS1_25segmented_radix_sort_implINS0_14default_configELb0EPKiPiPKlPlN2at6native12_GLOBAL__N_18offset_tEEE10hipError_tPvRmT1_PNSt15iterator_traitsISY_E10value_typeET2_T3_PNSZ_IS14_E10value_typeET4_jRbjT5_S1A_jjP12ihipStream_tbEUljE_EEESV_SW_SX_S14_S18_S1A_T6_T7_T9_mT8_S1C_bDpT10_ENKUlT_T0_E_clISt17integral_constantIbLb1EES1O_IbLb0EEEEDaS1K_S1L_EUlS1K_E_NS1_11comp_targetILNS1_3genE9ELNS1_11target_archE1100ELNS1_3gpuE3ELNS1_3repE0EEENS1_30default_config_static_selectorELNS0_4arch9wavefront6targetE1EEEvSY_
    .private_segment_fixed_size: 0
    .sgpr_count:     4
    .sgpr_spill_count: 0
    .symbol:         _ZN7rocprim17ROCPRIM_400000_NS6detail17trampoline_kernelINS0_13select_configILj256ELj13ELNS0_17block_load_methodE3ELS4_3ELS4_3ELNS0_20block_scan_algorithmE0ELj4294967295EEENS1_25partition_config_selectorILNS1_17partition_subalgoE3EjNS0_10empty_typeEbEEZZNS1_14partition_implILS8_3ELb0ES6_jNS0_17counting_iteratorIjlEEPS9_SE_NS0_5tupleIJPjSE_EEENSF_IJSE_SE_EEES9_SG_JZNS1_25segmented_radix_sort_implINS0_14default_configELb0EPKiPiPKlPlN2at6native12_GLOBAL__N_18offset_tEEE10hipError_tPvRmT1_PNSt15iterator_traitsISY_E10value_typeET2_T3_PNSZ_IS14_E10value_typeET4_jRbjT5_S1A_jjP12ihipStream_tbEUljE_EEESV_SW_SX_S14_S18_S1A_T6_T7_T9_mT8_S1C_bDpT10_ENKUlT_T0_E_clISt17integral_constantIbLb1EES1O_IbLb0EEEEDaS1K_S1L_EUlS1K_E_NS1_11comp_targetILNS1_3genE9ELNS1_11target_archE1100ELNS1_3gpuE3ELNS1_3repE0EEENS1_30default_config_static_selectorELNS0_4arch9wavefront6targetE1EEEvSY_.kd
    .uniform_work_group_size: 1
    .uses_dynamic_stack: false
    .vgpr_count:     0
    .vgpr_spill_count: 0
    .wavefront_size: 64
  - .agpr_count:     0
    .args:
      - .offset:         0
        .size:           144
        .value_kind:     by_value
    .group_segment_fixed_size: 0
    .kernarg_segment_align: 8
    .kernarg_segment_size: 144
    .language:       OpenCL C
    .language_version:
      - 2
      - 0
    .max_flat_workgroup_size: 256
    .name:           _ZN7rocprim17ROCPRIM_400000_NS6detail17trampoline_kernelINS0_13select_configILj256ELj13ELNS0_17block_load_methodE3ELS4_3ELS4_3ELNS0_20block_scan_algorithmE0ELj4294967295EEENS1_25partition_config_selectorILNS1_17partition_subalgoE3EjNS0_10empty_typeEbEEZZNS1_14partition_implILS8_3ELb0ES6_jNS0_17counting_iteratorIjlEEPS9_SE_NS0_5tupleIJPjSE_EEENSF_IJSE_SE_EEES9_SG_JZNS1_25segmented_radix_sort_implINS0_14default_configELb0EPKiPiPKlPlN2at6native12_GLOBAL__N_18offset_tEEE10hipError_tPvRmT1_PNSt15iterator_traitsISY_E10value_typeET2_T3_PNSZ_IS14_E10value_typeET4_jRbjT5_S1A_jjP12ihipStream_tbEUljE_EEESV_SW_SX_S14_S18_S1A_T6_T7_T9_mT8_S1C_bDpT10_ENKUlT_T0_E_clISt17integral_constantIbLb1EES1O_IbLb0EEEEDaS1K_S1L_EUlS1K_E_NS1_11comp_targetILNS1_3genE8ELNS1_11target_archE1030ELNS1_3gpuE2ELNS1_3repE0EEENS1_30default_config_static_selectorELNS0_4arch9wavefront6targetE1EEEvSY_
    .private_segment_fixed_size: 0
    .sgpr_count:     4
    .sgpr_spill_count: 0
    .symbol:         _ZN7rocprim17ROCPRIM_400000_NS6detail17trampoline_kernelINS0_13select_configILj256ELj13ELNS0_17block_load_methodE3ELS4_3ELS4_3ELNS0_20block_scan_algorithmE0ELj4294967295EEENS1_25partition_config_selectorILNS1_17partition_subalgoE3EjNS0_10empty_typeEbEEZZNS1_14partition_implILS8_3ELb0ES6_jNS0_17counting_iteratorIjlEEPS9_SE_NS0_5tupleIJPjSE_EEENSF_IJSE_SE_EEES9_SG_JZNS1_25segmented_radix_sort_implINS0_14default_configELb0EPKiPiPKlPlN2at6native12_GLOBAL__N_18offset_tEEE10hipError_tPvRmT1_PNSt15iterator_traitsISY_E10value_typeET2_T3_PNSZ_IS14_E10value_typeET4_jRbjT5_S1A_jjP12ihipStream_tbEUljE_EEESV_SW_SX_S14_S18_S1A_T6_T7_T9_mT8_S1C_bDpT10_ENKUlT_T0_E_clISt17integral_constantIbLb1EES1O_IbLb0EEEEDaS1K_S1L_EUlS1K_E_NS1_11comp_targetILNS1_3genE8ELNS1_11target_archE1030ELNS1_3gpuE2ELNS1_3repE0EEENS1_30default_config_static_selectorELNS0_4arch9wavefront6targetE1EEEvSY_.kd
    .uniform_work_group_size: 1
    .uses_dynamic_stack: false
    .vgpr_count:     0
    .vgpr_spill_count: 0
    .wavefront_size: 64
  - .agpr_count:     0
    .args:
      - .offset:         0
        .size:           152
        .value_kind:     by_value
    .group_segment_fixed_size: 0
    .kernarg_segment_align: 8
    .kernarg_segment_size: 152
    .language:       OpenCL C
    .language_version:
      - 2
      - 0
    .max_flat_workgroup_size: 256
    .name:           _ZN7rocprim17ROCPRIM_400000_NS6detail17trampoline_kernelINS0_13select_configILj256ELj13ELNS0_17block_load_methodE3ELS4_3ELS4_3ELNS0_20block_scan_algorithmE0ELj4294967295EEENS1_25partition_config_selectorILNS1_17partition_subalgoE3EjNS0_10empty_typeEbEEZZNS1_14partition_implILS8_3ELb0ES6_jNS0_17counting_iteratorIjlEEPS9_SE_NS0_5tupleIJPjSE_EEENSF_IJSE_SE_EEES9_SG_JZNS1_25segmented_radix_sort_implINS0_14default_configELb0EPKiPiPKlPlN2at6native12_GLOBAL__N_18offset_tEEE10hipError_tPvRmT1_PNSt15iterator_traitsISY_E10value_typeET2_T3_PNSZ_IS14_E10value_typeET4_jRbjT5_S1A_jjP12ihipStream_tbEUljE_EEESV_SW_SX_S14_S18_S1A_T6_T7_T9_mT8_S1C_bDpT10_ENKUlT_T0_E_clISt17integral_constantIbLb0EES1O_IbLb1EEEEDaS1K_S1L_EUlS1K_E_NS1_11comp_targetILNS1_3genE0ELNS1_11target_archE4294967295ELNS1_3gpuE0ELNS1_3repE0EEENS1_30default_config_static_selectorELNS0_4arch9wavefront6targetE1EEEvSY_
    .private_segment_fixed_size: 0
    .sgpr_count:     4
    .sgpr_spill_count: 0
    .symbol:         _ZN7rocprim17ROCPRIM_400000_NS6detail17trampoline_kernelINS0_13select_configILj256ELj13ELNS0_17block_load_methodE3ELS4_3ELS4_3ELNS0_20block_scan_algorithmE0ELj4294967295EEENS1_25partition_config_selectorILNS1_17partition_subalgoE3EjNS0_10empty_typeEbEEZZNS1_14partition_implILS8_3ELb0ES6_jNS0_17counting_iteratorIjlEEPS9_SE_NS0_5tupleIJPjSE_EEENSF_IJSE_SE_EEES9_SG_JZNS1_25segmented_radix_sort_implINS0_14default_configELb0EPKiPiPKlPlN2at6native12_GLOBAL__N_18offset_tEEE10hipError_tPvRmT1_PNSt15iterator_traitsISY_E10value_typeET2_T3_PNSZ_IS14_E10value_typeET4_jRbjT5_S1A_jjP12ihipStream_tbEUljE_EEESV_SW_SX_S14_S18_S1A_T6_T7_T9_mT8_S1C_bDpT10_ENKUlT_T0_E_clISt17integral_constantIbLb0EES1O_IbLb1EEEEDaS1K_S1L_EUlS1K_E_NS1_11comp_targetILNS1_3genE0ELNS1_11target_archE4294967295ELNS1_3gpuE0ELNS1_3repE0EEENS1_30default_config_static_selectorELNS0_4arch9wavefront6targetE1EEEvSY_.kd
    .uniform_work_group_size: 1
    .uses_dynamic_stack: false
    .vgpr_count:     0
    .vgpr_spill_count: 0
    .wavefront_size: 64
  - .agpr_count:     0
    .args:
      - .offset:         0
        .size:           152
        .value_kind:     by_value
    .group_segment_fixed_size: 0
    .kernarg_segment_align: 8
    .kernarg_segment_size: 152
    .language:       OpenCL C
    .language_version:
      - 2
      - 0
    .max_flat_workgroup_size: 256
    .name:           _ZN7rocprim17ROCPRIM_400000_NS6detail17trampoline_kernelINS0_13select_configILj256ELj13ELNS0_17block_load_methodE3ELS4_3ELS4_3ELNS0_20block_scan_algorithmE0ELj4294967295EEENS1_25partition_config_selectorILNS1_17partition_subalgoE3EjNS0_10empty_typeEbEEZZNS1_14partition_implILS8_3ELb0ES6_jNS0_17counting_iteratorIjlEEPS9_SE_NS0_5tupleIJPjSE_EEENSF_IJSE_SE_EEES9_SG_JZNS1_25segmented_radix_sort_implINS0_14default_configELb0EPKiPiPKlPlN2at6native12_GLOBAL__N_18offset_tEEE10hipError_tPvRmT1_PNSt15iterator_traitsISY_E10value_typeET2_T3_PNSZ_IS14_E10value_typeET4_jRbjT5_S1A_jjP12ihipStream_tbEUljE_EEESV_SW_SX_S14_S18_S1A_T6_T7_T9_mT8_S1C_bDpT10_ENKUlT_T0_E_clISt17integral_constantIbLb0EES1O_IbLb1EEEEDaS1K_S1L_EUlS1K_E_NS1_11comp_targetILNS1_3genE5ELNS1_11target_archE942ELNS1_3gpuE9ELNS1_3repE0EEENS1_30default_config_static_selectorELNS0_4arch9wavefront6targetE1EEEvSY_
    .private_segment_fixed_size: 0
    .sgpr_count:     4
    .sgpr_spill_count: 0
    .symbol:         _ZN7rocprim17ROCPRIM_400000_NS6detail17trampoline_kernelINS0_13select_configILj256ELj13ELNS0_17block_load_methodE3ELS4_3ELS4_3ELNS0_20block_scan_algorithmE0ELj4294967295EEENS1_25partition_config_selectorILNS1_17partition_subalgoE3EjNS0_10empty_typeEbEEZZNS1_14partition_implILS8_3ELb0ES6_jNS0_17counting_iteratorIjlEEPS9_SE_NS0_5tupleIJPjSE_EEENSF_IJSE_SE_EEES9_SG_JZNS1_25segmented_radix_sort_implINS0_14default_configELb0EPKiPiPKlPlN2at6native12_GLOBAL__N_18offset_tEEE10hipError_tPvRmT1_PNSt15iterator_traitsISY_E10value_typeET2_T3_PNSZ_IS14_E10value_typeET4_jRbjT5_S1A_jjP12ihipStream_tbEUljE_EEESV_SW_SX_S14_S18_S1A_T6_T7_T9_mT8_S1C_bDpT10_ENKUlT_T0_E_clISt17integral_constantIbLb0EES1O_IbLb1EEEEDaS1K_S1L_EUlS1K_E_NS1_11comp_targetILNS1_3genE5ELNS1_11target_archE942ELNS1_3gpuE9ELNS1_3repE0EEENS1_30default_config_static_selectorELNS0_4arch9wavefront6targetE1EEEvSY_.kd
    .uniform_work_group_size: 1
    .uses_dynamic_stack: false
    .vgpr_count:     0
    .vgpr_spill_count: 0
    .wavefront_size: 64
  - .agpr_count:     0
    .args:
      - .offset:         0
        .size:           152
        .value_kind:     by_value
    .group_segment_fixed_size: 13324
    .kernarg_segment_align: 8
    .kernarg_segment_size: 152
    .language:       OpenCL C
    .language_version:
      - 2
      - 0
    .max_flat_workgroup_size: 256
    .name:           _ZN7rocprim17ROCPRIM_400000_NS6detail17trampoline_kernelINS0_13select_configILj256ELj13ELNS0_17block_load_methodE3ELS4_3ELS4_3ELNS0_20block_scan_algorithmE0ELj4294967295EEENS1_25partition_config_selectorILNS1_17partition_subalgoE3EjNS0_10empty_typeEbEEZZNS1_14partition_implILS8_3ELb0ES6_jNS0_17counting_iteratorIjlEEPS9_SE_NS0_5tupleIJPjSE_EEENSF_IJSE_SE_EEES9_SG_JZNS1_25segmented_radix_sort_implINS0_14default_configELb0EPKiPiPKlPlN2at6native12_GLOBAL__N_18offset_tEEE10hipError_tPvRmT1_PNSt15iterator_traitsISY_E10value_typeET2_T3_PNSZ_IS14_E10value_typeET4_jRbjT5_S1A_jjP12ihipStream_tbEUljE_EEESV_SW_SX_S14_S18_S1A_T6_T7_T9_mT8_S1C_bDpT10_ENKUlT_T0_E_clISt17integral_constantIbLb0EES1O_IbLb1EEEEDaS1K_S1L_EUlS1K_E_NS1_11comp_targetILNS1_3genE4ELNS1_11target_archE910ELNS1_3gpuE8ELNS1_3repE0EEENS1_30default_config_static_selectorELNS0_4arch9wavefront6targetE1EEEvSY_
    .private_segment_fixed_size: 0
    .sgpr_count:     48
    .sgpr_spill_count: 0
    .symbol:         _ZN7rocprim17ROCPRIM_400000_NS6detail17trampoline_kernelINS0_13select_configILj256ELj13ELNS0_17block_load_methodE3ELS4_3ELS4_3ELNS0_20block_scan_algorithmE0ELj4294967295EEENS1_25partition_config_selectorILNS1_17partition_subalgoE3EjNS0_10empty_typeEbEEZZNS1_14partition_implILS8_3ELb0ES6_jNS0_17counting_iteratorIjlEEPS9_SE_NS0_5tupleIJPjSE_EEENSF_IJSE_SE_EEES9_SG_JZNS1_25segmented_radix_sort_implINS0_14default_configELb0EPKiPiPKlPlN2at6native12_GLOBAL__N_18offset_tEEE10hipError_tPvRmT1_PNSt15iterator_traitsISY_E10value_typeET2_T3_PNSZ_IS14_E10value_typeET4_jRbjT5_S1A_jjP12ihipStream_tbEUljE_EEESV_SW_SX_S14_S18_S1A_T6_T7_T9_mT8_S1C_bDpT10_ENKUlT_T0_E_clISt17integral_constantIbLb0EES1O_IbLb1EEEEDaS1K_S1L_EUlS1K_E_NS1_11comp_targetILNS1_3genE4ELNS1_11target_archE910ELNS1_3gpuE8ELNS1_3repE0EEENS1_30default_config_static_selectorELNS0_4arch9wavefront6targetE1EEEvSY_.kd
    .uniform_work_group_size: 1
    .uses_dynamic_stack: false
    .vgpr_count:     64
    .vgpr_spill_count: 0
    .wavefront_size: 64
  - .agpr_count:     0
    .args:
      - .offset:         0
        .size:           152
        .value_kind:     by_value
    .group_segment_fixed_size: 0
    .kernarg_segment_align: 8
    .kernarg_segment_size: 152
    .language:       OpenCL C
    .language_version:
      - 2
      - 0
    .max_flat_workgroup_size: 256
    .name:           _ZN7rocprim17ROCPRIM_400000_NS6detail17trampoline_kernelINS0_13select_configILj256ELj13ELNS0_17block_load_methodE3ELS4_3ELS4_3ELNS0_20block_scan_algorithmE0ELj4294967295EEENS1_25partition_config_selectorILNS1_17partition_subalgoE3EjNS0_10empty_typeEbEEZZNS1_14partition_implILS8_3ELb0ES6_jNS0_17counting_iteratorIjlEEPS9_SE_NS0_5tupleIJPjSE_EEENSF_IJSE_SE_EEES9_SG_JZNS1_25segmented_radix_sort_implINS0_14default_configELb0EPKiPiPKlPlN2at6native12_GLOBAL__N_18offset_tEEE10hipError_tPvRmT1_PNSt15iterator_traitsISY_E10value_typeET2_T3_PNSZ_IS14_E10value_typeET4_jRbjT5_S1A_jjP12ihipStream_tbEUljE_EEESV_SW_SX_S14_S18_S1A_T6_T7_T9_mT8_S1C_bDpT10_ENKUlT_T0_E_clISt17integral_constantIbLb0EES1O_IbLb1EEEEDaS1K_S1L_EUlS1K_E_NS1_11comp_targetILNS1_3genE3ELNS1_11target_archE908ELNS1_3gpuE7ELNS1_3repE0EEENS1_30default_config_static_selectorELNS0_4arch9wavefront6targetE1EEEvSY_
    .private_segment_fixed_size: 0
    .sgpr_count:     4
    .sgpr_spill_count: 0
    .symbol:         _ZN7rocprim17ROCPRIM_400000_NS6detail17trampoline_kernelINS0_13select_configILj256ELj13ELNS0_17block_load_methodE3ELS4_3ELS4_3ELNS0_20block_scan_algorithmE0ELj4294967295EEENS1_25partition_config_selectorILNS1_17partition_subalgoE3EjNS0_10empty_typeEbEEZZNS1_14partition_implILS8_3ELb0ES6_jNS0_17counting_iteratorIjlEEPS9_SE_NS0_5tupleIJPjSE_EEENSF_IJSE_SE_EEES9_SG_JZNS1_25segmented_radix_sort_implINS0_14default_configELb0EPKiPiPKlPlN2at6native12_GLOBAL__N_18offset_tEEE10hipError_tPvRmT1_PNSt15iterator_traitsISY_E10value_typeET2_T3_PNSZ_IS14_E10value_typeET4_jRbjT5_S1A_jjP12ihipStream_tbEUljE_EEESV_SW_SX_S14_S18_S1A_T6_T7_T9_mT8_S1C_bDpT10_ENKUlT_T0_E_clISt17integral_constantIbLb0EES1O_IbLb1EEEEDaS1K_S1L_EUlS1K_E_NS1_11comp_targetILNS1_3genE3ELNS1_11target_archE908ELNS1_3gpuE7ELNS1_3repE0EEENS1_30default_config_static_selectorELNS0_4arch9wavefront6targetE1EEEvSY_.kd
    .uniform_work_group_size: 1
    .uses_dynamic_stack: false
    .vgpr_count:     0
    .vgpr_spill_count: 0
    .wavefront_size: 64
  - .agpr_count:     0
    .args:
      - .offset:         0
        .size:           152
        .value_kind:     by_value
    .group_segment_fixed_size: 0
    .kernarg_segment_align: 8
    .kernarg_segment_size: 152
    .language:       OpenCL C
    .language_version:
      - 2
      - 0
    .max_flat_workgroup_size: 256
    .name:           _ZN7rocprim17ROCPRIM_400000_NS6detail17trampoline_kernelINS0_13select_configILj256ELj13ELNS0_17block_load_methodE3ELS4_3ELS4_3ELNS0_20block_scan_algorithmE0ELj4294967295EEENS1_25partition_config_selectorILNS1_17partition_subalgoE3EjNS0_10empty_typeEbEEZZNS1_14partition_implILS8_3ELb0ES6_jNS0_17counting_iteratorIjlEEPS9_SE_NS0_5tupleIJPjSE_EEENSF_IJSE_SE_EEES9_SG_JZNS1_25segmented_radix_sort_implINS0_14default_configELb0EPKiPiPKlPlN2at6native12_GLOBAL__N_18offset_tEEE10hipError_tPvRmT1_PNSt15iterator_traitsISY_E10value_typeET2_T3_PNSZ_IS14_E10value_typeET4_jRbjT5_S1A_jjP12ihipStream_tbEUljE_EEESV_SW_SX_S14_S18_S1A_T6_T7_T9_mT8_S1C_bDpT10_ENKUlT_T0_E_clISt17integral_constantIbLb0EES1O_IbLb1EEEEDaS1K_S1L_EUlS1K_E_NS1_11comp_targetILNS1_3genE2ELNS1_11target_archE906ELNS1_3gpuE6ELNS1_3repE0EEENS1_30default_config_static_selectorELNS0_4arch9wavefront6targetE1EEEvSY_
    .private_segment_fixed_size: 0
    .sgpr_count:     4
    .sgpr_spill_count: 0
    .symbol:         _ZN7rocprim17ROCPRIM_400000_NS6detail17trampoline_kernelINS0_13select_configILj256ELj13ELNS0_17block_load_methodE3ELS4_3ELS4_3ELNS0_20block_scan_algorithmE0ELj4294967295EEENS1_25partition_config_selectorILNS1_17partition_subalgoE3EjNS0_10empty_typeEbEEZZNS1_14partition_implILS8_3ELb0ES6_jNS0_17counting_iteratorIjlEEPS9_SE_NS0_5tupleIJPjSE_EEENSF_IJSE_SE_EEES9_SG_JZNS1_25segmented_radix_sort_implINS0_14default_configELb0EPKiPiPKlPlN2at6native12_GLOBAL__N_18offset_tEEE10hipError_tPvRmT1_PNSt15iterator_traitsISY_E10value_typeET2_T3_PNSZ_IS14_E10value_typeET4_jRbjT5_S1A_jjP12ihipStream_tbEUljE_EEESV_SW_SX_S14_S18_S1A_T6_T7_T9_mT8_S1C_bDpT10_ENKUlT_T0_E_clISt17integral_constantIbLb0EES1O_IbLb1EEEEDaS1K_S1L_EUlS1K_E_NS1_11comp_targetILNS1_3genE2ELNS1_11target_archE906ELNS1_3gpuE6ELNS1_3repE0EEENS1_30default_config_static_selectorELNS0_4arch9wavefront6targetE1EEEvSY_.kd
    .uniform_work_group_size: 1
    .uses_dynamic_stack: false
    .vgpr_count:     0
    .vgpr_spill_count: 0
    .wavefront_size: 64
  - .agpr_count:     0
    .args:
      - .offset:         0
        .size:           152
        .value_kind:     by_value
    .group_segment_fixed_size: 0
    .kernarg_segment_align: 8
    .kernarg_segment_size: 152
    .language:       OpenCL C
    .language_version:
      - 2
      - 0
    .max_flat_workgroup_size: 256
    .name:           _ZN7rocprim17ROCPRIM_400000_NS6detail17trampoline_kernelINS0_13select_configILj256ELj13ELNS0_17block_load_methodE3ELS4_3ELS4_3ELNS0_20block_scan_algorithmE0ELj4294967295EEENS1_25partition_config_selectorILNS1_17partition_subalgoE3EjNS0_10empty_typeEbEEZZNS1_14partition_implILS8_3ELb0ES6_jNS0_17counting_iteratorIjlEEPS9_SE_NS0_5tupleIJPjSE_EEENSF_IJSE_SE_EEES9_SG_JZNS1_25segmented_radix_sort_implINS0_14default_configELb0EPKiPiPKlPlN2at6native12_GLOBAL__N_18offset_tEEE10hipError_tPvRmT1_PNSt15iterator_traitsISY_E10value_typeET2_T3_PNSZ_IS14_E10value_typeET4_jRbjT5_S1A_jjP12ihipStream_tbEUljE_EEESV_SW_SX_S14_S18_S1A_T6_T7_T9_mT8_S1C_bDpT10_ENKUlT_T0_E_clISt17integral_constantIbLb0EES1O_IbLb1EEEEDaS1K_S1L_EUlS1K_E_NS1_11comp_targetILNS1_3genE10ELNS1_11target_archE1200ELNS1_3gpuE4ELNS1_3repE0EEENS1_30default_config_static_selectorELNS0_4arch9wavefront6targetE1EEEvSY_
    .private_segment_fixed_size: 0
    .sgpr_count:     4
    .sgpr_spill_count: 0
    .symbol:         _ZN7rocprim17ROCPRIM_400000_NS6detail17trampoline_kernelINS0_13select_configILj256ELj13ELNS0_17block_load_methodE3ELS4_3ELS4_3ELNS0_20block_scan_algorithmE0ELj4294967295EEENS1_25partition_config_selectorILNS1_17partition_subalgoE3EjNS0_10empty_typeEbEEZZNS1_14partition_implILS8_3ELb0ES6_jNS0_17counting_iteratorIjlEEPS9_SE_NS0_5tupleIJPjSE_EEENSF_IJSE_SE_EEES9_SG_JZNS1_25segmented_radix_sort_implINS0_14default_configELb0EPKiPiPKlPlN2at6native12_GLOBAL__N_18offset_tEEE10hipError_tPvRmT1_PNSt15iterator_traitsISY_E10value_typeET2_T3_PNSZ_IS14_E10value_typeET4_jRbjT5_S1A_jjP12ihipStream_tbEUljE_EEESV_SW_SX_S14_S18_S1A_T6_T7_T9_mT8_S1C_bDpT10_ENKUlT_T0_E_clISt17integral_constantIbLb0EES1O_IbLb1EEEEDaS1K_S1L_EUlS1K_E_NS1_11comp_targetILNS1_3genE10ELNS1_11target_archE1200ELNS1_3gpuE4ELNS1_3repE0EEENS1_30default_config_static_selectorELNS0_4arch9wavefront6targetE1EEEvSY_.kd
    .uniform_work_group_size: 1
    .uses_dynamic_stack: false
    .vgpr_count:     0
    .vgpr_spill_count: 0
    .wavefront_size: 64
  - .agpr_count:     0
    .args:
      - .offset:         0
        .size:           152
        .value_kind:     by_value
    .group_segment_fixed_size: 0
    .kernarg_segment_align: 8
    .kernarg_segment_size: 152
    .language:       OpenCL C
    .language_version:
      - 2
      - 0
    .max_flat_workgroup_size: 256
    .name:           _ZN7rocprim17ROCPRIM_400000_NS6detail17trampoline_kernelINS0_13select_configILj256ELj13ELNS0_17block_load_methodE3ELS4_3ELS4_3ELNS0_20block_scan_algorithmE0ELj4294967295EEENS1_25partition_config_selectorILNS1_17partition_subalgoE3EjNS0_10empty_typeEbEEZZNS1_14partition_implILS8_3ELb0ES6_jNS0_17counting_iteratorIjlEEPS9_SE_NS0_5tupleIJPjSE_EEENSF_IJSE_SE_EEES9_SG_JZNS1_25segmented_radix_sort_implINS0_14default_configELb0EPKiPiPKlPlN2at6native12_GLOBAL__N_18offset_tEEE10hipError_tPvRmT1_PNSt15iterator_traitsISY_E10value_typeET2_T3_PNSZ_IS14_E10value_typeET4_jRbjT5_S1A_jjP12ihipStream_tbEUljE_EEESV_SW_SX_S14_S18_S1A_T6_T7_T9_mT8_S1C_bDpT10_ENKUlT_T0_E_clISt17integral_constantIbLb0EES1O_IbLb1EEEEDaS1K_S1L_EUlS1K_E_NS1_11comp_targetILNS1_3genE9ELNS1_11target_archE1100ELNS1_3gpuE3ELNS1_3repE0EEENS1_30default_config_static_selectorELNS0_4arch9wavefront6targetE1EEEvSY_
    .private_segment_fixed_size: 0
    .sgpr_count:     4
    .sgpr_spill_count: 0
    .symbol:         _ZN7rocprim17ROCPRIM_400000_NS6detail17trampoline_kernelINS0_13select_configILj256ELj13ELNS0_17block_load_methodE3ELS4_3ELS4_3ELNS0_20block_scan_algorithmE0ELj4294967295EEENS1_25partition_config_selectorILNS1_17partition_subalgoE3EjNS0_10empty_typeEbEEZZNS1_14partition_implILS8_3ELb0ES6_jNS0_17counting_iteratorIjlEEPS9_SE_NS0_5tupleIJPjSE_EEENSF_IJSE_SE_EEES9_SG_JZNS1_25segmented_radix_sort_implINS0_14default_configELb0EPKiPiPKlPlN2at6native12_GLOBAL__N_18offset_tEEE10hipError_tPvRmT1_PNSt15iterator_traitsISY_E10value_typeET2_T3_PNSZ_IS14_E10value_typeET4_jRbjT5_S1A_jjP12ihipStream_tbEUljE_EEESV_SW_SX_S14_S18_S1A_T6_T7_T9_mT8_S1C_bDpT10_ENKUlT_T0_E_clISt17integral_constantIbLb0EES1O_IbLb1EEEEDaS1K_S1L_EUlS1K_E_NS1_11comp_targetILNS1_3genE9ELNS1_11target_archE1100ELNS1_3gpuE3ELNS1_3repE0EEENS1_30default_config_static_selectorELNS0_4arch9wavefront6targetE1EEEvSY_.kd
    .uniform_work_group_size: 1
    .uses_dynamic_stack: false
    .vgpr_count:     0
    .vgpr_spill_count: 0
    .wavefront_size: 64
  - .agpr_count:     0
    .args:
      - .offset:         0
        .size:           152
        .value_kind:     by_value
    .group_segment_fixed_size: 0
    .kernarg_segment_align: 8
    .kernarg_segment_size: 152
    .language:       OpenCL C
    .language_version:
      - 2
      - 0
    .max_flat_workgroup_size: 256
    .name:           _ZN7rocprim17ROCPRIM_400000_NS6detail17trampoline_kernelINS0_13select_configILj256ELj13ELNS0_17block_load_methodE3ELS4_3ELS4_3ELNS0_20block_scan_algorithmE0ELj4294967295EEENS1_25partition_config_selectorILNS1_17partition_subalgoE3EjNS0_10empty_typeEbEEZZNS1_14partition_implILS8_3ELb0ES6_jNS0_17counting_iteratorIjlEEPS9_SE_NS0_5tupleIJPjSE_EEENSF_IJSE_SE_EEES9_SG_JZNS1_25segmented_radix_sort_implINS0_14default_configELb0EPKiPiPKlPlN2at6native12_GLOBAL__N_18offset_tEEE10hipError_tPvRmT1_PNSt15iterator_traitsISY_E10value_typeET2_T3_PNSZ_IS14_E10value_typeET4_jRbjT5_S1A_jjP12ihipStream_tbEUljE_EEESV_SW_SX_S14_S18_S1A_T6_T7_T9_mT8_S1C_bDpT10_ENKUlT_T0_E_clISt17integral_constantIbLb0EES1O_IbLb1EEEEDaS1K_S1L_EUlS1K_E_NS1_11comp_targetILNS1_3genE8ELNS1_11target_archE1030ELNS1_3gpuE2ELNS1_3repE0EEENS1_30default_config_static_selectorELNS0_4arch9wavefront6targetE1EEEvSY_
    .private_segment_fixed_size: 0
    .sgpr_count:     4
    .sgpr_spill_count: 0
    .symbol:         _ZN7rocprim17ROCPRIM_400000_NS6detail17trampoline_kernelINS0_13select_configILj256ELj13ELNS0_17block_load_methodE3ELS4_3ELS4_3ELNS0_20block_scan_algorithmE0ELj4294967295EEENS1_25partition_config_selectorILNS1_17partition_subalgoE3EjNS0_10empty_typeEbEEZZNS1_14partition_implILS8_3ELb0ES6_jNS0_17counting_iteratorIjlEEPS9_SE_NS0_5tupleIJPjSE_EEENSF_IJSE_SE_EEES9_SG_JZNS1_25segmented_radix_sort_implINS0_14default_configELb0EPKiPiPKlPlN2at6native12_GLOBAL__N_18offset_tEEE10hipError_tPvRmT1_PNSt15iterator_traitsISY_E10value_typeET2_T3_PNSZ_IS14_E10value_typeET4_jRbjT5_S1A_jjP12ihipStream_tbEUljE_EEESV_SW_SX_S14_S18_S1A_T6_T7_T9_mT8_S1C_bDpT10_ENKUlT_T0_E_clISt17integral_constantIbLb0EES1O_IbLb1EEEEDaS1K_S1L_EUlS1K_E_NS1_11comp_targetILNS1_3genE8ELNS1_11target_archE1030ELNS1_3gpuE2ELNS1_3repE0EEENS1_30default_config_static_selectorELNS0_4arch9wavefront6targetE1EEEvSY_.kd
    .uniform_work_group_size: 1
    .uses_dynamic_stack: false
    .vgpr_count:     0
    .vgpr_spill_count: 0
    .wavefront_size: 64
  - .agpr_count:     0
    .args:
      - .offset:         0
        .size:           96
        .value_kind:     by_value
    .group_segment_fixed_size: 0
    .kernarg_segment_align: 8
    .kernarg_segment_size: 96
    .language:       OpenCL C
    .language_version:
      - 2
      - 0
    .max_flat_workgroup_size: 256
    .name:           _ZN7rocprim17ROCPRIM_400000_NS6detail17trampoline_kernelINS0_14default_configENS1_36segmented_radix_sort_config_selectorIilEEZNS1_25segmented_radix_sort_implIS3_Lb0EPKiPiPKlPlN2at6native12_GLOBAL__N_18offset_tEEE10hipError_tPvRmT1_PNSt15iterator_traitsISK_E10value_typeET2_T3_PNSL_ISQ_E10value_typeET4_jRbjT5_SW_jjP12ihipStream_tbEUlT_E_NS1_11comp_targetILNS1_3genE0ELNS1_11target_archE4294967295ELNS1_3gpuE0ELNS1_3repE0EEENS1_30default_config_static_selectorELNS0_4arch9wavefront6targetE1EEEvSK_
    .private_segment_fixed_size: 0
    .sgpr_count:     4
    .sgpr_spill_count: 0
    .symbol:         _ZN7rocprim17ROCPRIM_400000_NS6detail17trampoline_kernelINS0_14default_configENS1_36segmented_radix_sort_config_selectorIilEEZNS1_25segmented_radix_sort_implIS3_Lb0EPKiPiPKlPlN2at6native12_GLOBAL__N_18offset_tEEE10hipError_tPvRmT1_PNSt15iterator_traitsISK_E10value_typeET2_T3_PNSL_ISQ_E10value_typeET4_jRbjT5_SW_jjP12ihipStream_tbEUlT_E_NS1_11comp_targetILNS1_3genE0ELNS1_11target_archE4294967295ELNS1_3gpuE0ELNS1_3repE0EEENS1_30default_config_static_selectorELNS0_4arch9wavefront6targetE1EEEvSK_.kd
    .uniform_work_group_size: 1
    .uses_dynamic_stack: false
    .vgpr_count:     0
    .vgpr_spill_count: 0
    .wavefront_size: 64
  - .agpr_count:     0
    .args:
      - .offset:         0
        .size:           96
        .value_kind:     by_value
    .group_segment_fixed_size: 0
    .kernarg_segment_align: 8
    .kernarg_segment_size: 96
    .language:       OpenCL C
    .language_version:
      - 2
      - 0
    .max_flat_workgroup_size: 256
    .name:           _ZN7rocprim17ROCPRIM_400000_NS6detail17trampoline_kernelINS0_14default_configENS1_36segmented_radix_sort_config_selectorIilEEZNS1_25segmented_radix_sort_implIS3_Lb0EPKiPiPKlPlN2at6native12_GLOBAL__N_18offset_tEEE10hipError_tPvRmT1_PNSt15iterator_traitsISK_E10value_typeET2_T3_PNSL_ISQ_E10value_typeET4_jRbjT5_SW_jjP12ihipStream_tbEUlT_E_NS1_11comp_targetILNS1_3genE5ELNS1_11target_archE942ELNS1_3gpuE9ELNS1_3repE0EEENS1_30default_config_static_selectorELNS0_4arch9wavefront6targetE1EEEvSK_
    .private_segment_fixed_size: 0
    .sgpr_count:     4
    .sgpr_spill_count: 0
    .symbol:         _ZN7rocprim17ROCPRIM_400000_NS6detail17trampoline_kernelINS0_14default_configENS1_36segmented_radix_sort_config_selectorIilEEZNS1_25segmented_radix_sort_implIS3_Lb0EPKiPiPKlPlN2at6native12_GLOBAL__N_18offset_tEEE10hipError_tPvRmT1_PNSt15iterator_traitsISK_E10value_typeET2_T3_PNSL_ISQ_E10value_typeET4_jRbjT5_SW_jjP12ihipStream_tbEUlT_E_NS1_11comp_targetILNS1_3genE5ELNS1_11target_archE942ELNS1_3gpuE9ELNS1_3repE0EEENS1_30default_config_static_selectorELNS0_4arch9wavefront6targetE1EEEvSK_.kd
    .uniform_work_group_size: 1
    .uses_dynamic_stack: false
    .vgpr_count:     0
    .vgpr_spill_count: 0
    .wavefront_size: 64
  - .agpr_count:     32
    .args:
      - .offset:         0
        .size:           96
        .value_kind:     by_value
      - .offset:         96
        .size:           4
        .value_kind:     hidden_block_count_x
      - .offset:         100
        .size:           4
        .value_kind:     hidden_block_count_y
      - .offset:         104
        .size:           4
        .value_kind:     hidden_block_count_z
      - .offset:         108
        .size:           2
        .value_kind:     hidden_group_size_x
      - .offset:         110
        .size:           2
        .value_kind:     hidden_group_size_y
      - .offset:         112
        .size:           2
        .value_kind:     hidden_group_size_z
      - .offset:         114
        .size:           2
        .value_kind:     hidden_remainder_x
      - .offset:         116
        .size:           2
        .value_kind:     hidden_remainder_y
      - .offset:         118
        .size:           2
        .value_kind:     hidden_remainder_z
      - .offset:         136
        .size:           8
        .value_kind:     hidden_global_offset_x
      - .offset:         144
        .size:           8
        .value_kind:     hidden_global_offset_y
      - .offset:         152
        .size:           8
        .value_kind:     hidden_global_offset_z
      - .offset:         160
        .size:           2
        .value_kind:     hidden_grid_dims
      - .offset:         176
        .size:           8
        .value_kind:     hidden_hostcall_buffer
      - .offset:         184
        .size:           8
        .value_kind:     hidden_multigrid_sync_arg
      - .offset:         192
        .size:           8
        .value_kind:     hidden_heap_v1
      - .offset:         200
        .size:           8
        .value_kind:     hidden_default_queue
      - .offset:         208
        .size:           8
        .value_kind:     hidden_completion_action
      - .offset:         296
        .size:           8
        .value_kind:     hidden_queue_ptr
    .group_segment_fixed_size: 33808
    .kernarg_segment_align: 8
    .kernarg_segment_size: 352
    .language:       OpenCL C
    .language_version:
      - 2
      - 0
    .max_flat_workgroup_size: 256
    .name:           _ZN7rocprim17ROCPRIM_400000_NS6detail17trampoline_kernelINS0_14default_configENS1_36segmented_radix_sort_config_selectorIilEEZNS1_25segmented_radix_sort_implIS3_Lb0EPKiPiPKlPlN2at6native12_GLOBAL__N_18offset_tEEE10hipError_tPvRmT1_PNSt15iterator_traitsISK_E10value_typeET2_T3_PNSL_ISQ_E10value_typeET4_jRbjT5_SW_jjP12ihipStream_tbEUlT_E_NS1_11comp_targetILNS1_3genE4ELNS1_11target_archE910ELNS1_3gpuE8ELNS1_3repE0EEENS1_30default_config_static_selectorELNS0_4arch9wavefront6targetE1EEEvSK_
    .private_segment_fixed_size: 264
    .sgpr_count:     103
    .sgpr_spill_count: 0
    .symbol:         _ZN7rocprim17ROCPRIM_400000_NS6detail17trampoline_kernelINS0_14default_configENS1_36segmented_radix_sort_config_selectorIilEEZNS1_25segmented_radix_sort_implIS3_Lb0EPKiPiPKlPlN2at6native12_GLOBAL__N_18offset_tEEE10hipError_tPvRmT1_PNSt15iterator_traitsISK_E10value_typeET2_T3_PNSL_ISQ_E10value_typeET4_jRbjT5_SW_jjP12ihipStream_tbEUlT_E_NS1_11comp_targetILNS1_3genE4ELNS1_11target_archE910ELNS1_3gpuE8ELNS1_3repE0EEENS1_30default_config_static_selectorELNS0_4arch9wavefront6targetE1EEEvSK_.kd
    .uniform_work_group_size: 1
    .uses_dynamic_stack: false
    .vgpr_count:     280
    .vgpr_spill_count: 0
    .wavefront_size: 64
  - .agpr_count:     0
    .args:
      - .offset:         0
        .size:           96
        .value_kind:     by_value
    .group_segment_fixed_size: 0
    .kernarg_segment_align: 8
    .kernarg_segment_size: 96
    .language:       OpenCL C
    .language_version:
      - 2
      - 0
    .max_flat_workgroup_size: 256
    .name:           _ZN7rocprim17ROCPRIM_400000_NS6detail17trampoline_kernelINS0_14default_configENS1_36segmented_radix_sort_config_selectorIilEEZNS1_25segmented_radix_sort_implIS3_Lb0EPKiPiPKlPlN2at6native12_GLOBAL__N_18offset_tEEE10hipError_tPvRmT1_PNSt15iterator_traitsISK_E10value_typeET2_T3_PNSL_ISQ_E10value_typeET4_jRbjT5_SW_jjP12ihipStream_tbEUlT_E_NS1_11comp_targetILNS1_3genE3ELNS1_11target_archE908ELNS1_3gpuE7ELNS1_3repE0EEENS1_30default_config_static_selectorELNS0_4arch9wavefront6targetE1EEEvSK_
    .private_segment_fixed_size: 0
    .sgpr_count:     4
    .sgpr_spill_count: 0
    .symbol:         _ZN7rocprim17ROCPRIM_400000_NS6detail17trampoline_kernelINS0_14default_configENS1_36segmented_radix_sort_config_selectorIilEEZNS1_25segmented_radix_sort_implIS3_Lb0EPKiPiPKlPlN2at6native12_GLOBAL__N_18offset_tEEE10hipError_tPvRmT1_PNSt15iterator_traitsISK_E10value_typeET2_T3_PNSL_ISQ_E10value_typeET4_jRbjT5_SW_jjP12ihipStream_tbEUlT_E_NS1_11comp_targetILNS1_3genE3ELNS1_11target_archE908ELNS1_3gpuE7ELNS1_3repE0EEENS1_30default_config_static_selectorELNS0_4arch9wavefront6targetE1EEEvSK_.kd
    .uniform_work_group_size: 1
    .uses_dynamic_stack: false
    .vgpr_count:     0
    .vgpr_spill_count: 0
    .wavefront_size: 64
  - .agpr_count:     0
    .args:
      - .offset:         0
        .size:           96
        .value_kind:     by_value
    .group_segment_fixed_size: 0
    .kernarg_segment_align: 8
    .kernarg_segment_size: 96
    .language:       OpenCL C
    .language_version:
      - 2
      - 0
    .max_flat_workgroup_size: 256
    .name:           _ZN7rocprim17ROCPRIM_400000_NS6detail17trampoline_kernelINS0_14default_configENS1_36segmented_radix_sort_config_selectorIilEEZNS1_25segmented_radix_sort_implIS3_Lb0EPKiPiPKlPlN2at6native12_GLOBAL__N_18offset_tEEE10hipError_tPvRmT1_PNSt15iterator_traitsISK_E10value_typeET2_T3_PNSL_ISQ_E10value_typeET4_jRbjT5_SW_jjP12ihipStream_tbEUlT_E_NS1_11comp_targetILNS1_3genE2ELNS1_11target_archE906ELNS1_3gpuE6ELNS1_3repE0EEENS1_30default_config_static_selectorELNS0_4arch9wavefront6targetE1EEEvSK_
    .private_segment_fixed_size: 0
    .sgpr_count:     4
    .sgpr_spill_count: 0
    .symbol:         _ZN7rocprim17ROCPRIM_400000_NS6detail17trampoline_kernelINS0_14default_configENS1_36segmented_radix_sort_config_selectorIilEEZNS1_25segmented_radix_sort_implIS3_Lb0EPKiPiPKlPlN2at6native12_GLOBAL__N_18offset_tEEE10hipError_tPvRmT1_PNSt15iterator_traitsISK_E10value_typeET2_T3_PNSL_ISQ_E10value_typeET4_jRbjT5_SW_jjP12ihipStream_tbEUlT_E_NS1_11comp_targetILNS1_3genE2ELNS1_11target_archE906ELNS1_3gpuE6ELNS1_3repE0EEENS1_30default_config_static_selectorELNS0_4arch9wavefront6targetE1EEEvSK_.kd
    .uniform_work_group_size: 1
    .uses_dynamic_stack: false
    .vgpr_count:     0
    .vgpr_spill_count: 0
    .wavefront_size: 64
  - .agpr_count:     0
    .args:
      - .offset:         0
        .size:           96
        .value_kind:     by_value
    .group_segment_fixed_size: 0
    .kernarg_segment_align: 8
    .kernarg_segment_size: 96
    .language:       OpenCL C
    .language_version:
      - 2
      - 0
    .max_flat_workgroup_size: 256
    .name:           _ZN7rocprim17ROCPRIM_400000_NS6detail17trampoline_kernelINS0_14default_configENS1_36segmented_radix_sort_config_selectorIilEEZNS1_25segmented_radix_sort_implIS3_Lb0EPKiPiPKlPlN2at6native12_GLOBAL__N_18offset_tEEE10hipError_tPvRmT1_PNSt15iterator_traitsISK_E10value_typeET2_T3_PNSL_ISQ_E10value_typeET4_jRbjT5_SW_jjP12ihipStream_tbEUlT_E_NS1_11comp_targetILNS1_3genE10ELNS1_11target_archE1201ELNS1_3gpuE5ELNS1_3repE0EEENS1_30default_config_static_selectorELNS0_4arch9wavefront6targetE1EEEvSK_
    .private_segment_fixed_size: 0
    .sgpr_count:     4
    .sgpr_spill_count: 0
    .symbol:         _ZN7rocprim17ROCPRIM_400000_NS6detail17trampoline_kernelINS0_14default_configENS1_36segmented_radix_sort_config_selectorIilEEZNS1_25segmented_radix_sort_implIS3_Lb0EPKiPiPKlPlN2at6native12_GLOBAL__N_18offset_tEEE10hipError_tPvRmT1_PNSt15iterator_traitsISK_E10value_typeET2_T3_PNSL_ISQ_E10value_typeET4_jRbjT5_SW_jjP12ihipStream_tbEUlT_E_NS1_11comp_targetILNS1_3genE10ELNS1_11target_archE1201ELNS1_3gpuE5ELNS1_3repE0EEENS1_30default_config_static_selectorELNS0_4arch9wavefront6targetE1EEEvSK_.kd
    .uniform_work_group_size: 1
    .uses_dynamic_stack: false
    .vgpr_count:     0
    .vgpr_spill_count: 0
    .wavefront_size: 64
  - .agpr_count:     0
    .args:
      - .offset:         0
        .size:           96
        .value_kind:     by_value
    .group_segment_fixed_size: 0
    .kernarg_segment_align: 8
    .kernarg_segment_size: 96
    .language:       OpenCL C
    .language_version:
      - 2
      - 0
    .max_flat_workgroup_size: 128
    .name:           _ZN7rocprim17ROCPRIM_400000_NS6detail17trampoline_kernelINS0_14default_configENS1_36segmented_radix_sort_config_selectorIilEEZNS1_25segmented_radix_sort_implIS3_Lb0EPKiPiPKlPlN2at6native12_GLOBAL__N_18offset_tEEE10hipError_tPvRmT1_PNSt15iterator_traitsISK_E10value_typeET2_T3_PNSL_ISQ_E10value_typeET4_jRbjT5_SW_jjP12ihipStream_tbEUlT_E_NS1_11comp_targetILNS1_3genE10ELNS1_11target_archE1200ELNS1_3gpuE4ELNS1_3repE0EEENS1_30default_config_static_selectorELNS0_4arch9wavefront6targetE1EEEvSK_
    .private_segment_fixed_size: 0
    .sgpr_count:     4
    .sgpr_spill_count: 0
    .symbol:         _ZN7rocprim17ROCPRIM_400000_NS6detail17trampoline_kernelINS0_14default_configENS1_36segmented_radix_sort_config_selectorIilEEZNS1_25segmented_radix_sort_implIS3_Lb0EPKiPiPKlPlN2at6native12_GLOBAL__N_18offset_tEEE10hipError_tPvRmT1_PNSt15iterator_traitsISK_E10value_typeET2_T3_PNSL_ISQ_E10value_typeET4_jRbjT5_SW_jjP12ihipStream_tbEUlT_E_NS1_11comp_targetILNS1_3genE10ELNS1_11target_archE1200ELNS1_3gpuE4ELNS1_3repE0EEENS1_30default_config_static_selectorELNS0_4arch9wavefront6targetE1EEEvSK_.kd
    .uniform_work_group_size: 1
    .uses_dynamic_stack: false
    .vgpr_count:     0
    .vgpr_spill_count: 0
    .wavefront_size: 64
  - .agpr_count:     0
    .args:
      - .offset:         0
        .size:           96
        .value_kind:     by_value
    .group_segment_fixed_size: 0
    .kernarg_segment_align: 8
    .kernarg_segment_size: 96
    .language:       OpenCL C
    .language_version:
      - 2
      - 0
    .max_flat_workgroup_size: 256
    .name:           _ZN7rocprim17ROCPRIM_400000_NS6detail17trampoline_kernelINS0_14default_configENS1_36segmented_radix_sort_config_selectorIilEEZNS1_25segmented_radix_sort_implIS3_Lb0EPKiPiPKlPlN2at6native12_GLOBAL__N_18offset_tEEE10hipError_tPvRmT1_PNSt15iterator_traitsISK_E10value_typeET2_T3_PNSL_ISQ_E10value_typeET4_jRbjT5_SW_jjP12ihipStream_tbEUlT_E_NS1_11comp_targetILNS1_3genE9ELNS1_11target_archE1100ELNS1_3gpuE3ELNS1_3repE0EEENS1_30default_config_static_selectorELNS0_4arch9wavefront6targetE1EEEvSK_
    .private_segment_fixed_size: 0
    .sgpr_count:     4
    .sgpr_spill_count: 0
    .symbol:         _ZN7rocprim17ROCPRIM_400000_NS6detail17trampoline_kernelINS0_14default_configENS1_36segmented_radix_sort_config_selectorIilEEZNS1_25segmented_radix_sort_implIS3_Lb0EPKiPiPKlPlN2at6native12_GLOBAL__N_18offset_tEEE10hipError_tPvRmT1_PNSt15iterator_traitsISK_E10value_typeET2_T3_PNSL_ISQ_E10value_typeET4_jRbjT5_SW_jjP12ihipStream_tbEUlT_E_NS1_11comp_targetILNS1_3genE9ELNS1_11target_archE1100ELNS1_3gpuE3ELNS1_3repE0EEENS1_30default_config_static_selectorELNS0_4arch9wavefront6targetE1EEEvSK_.kd
    .uniform_work_group_size: 1
    .uses_dynamic_stack: false
    .vgpr_count:     0
    .vgpr_spill_count: 0
    .wavefront_size: 64
  - .agpr_count:     0
    .args:
      - .offset:         0
        .size:           96
        .value_kind:     by_value
    .group_segment_fixed_size: 0
    .kernarg_segment_align: 8
    .kernarg_segment_size: 96
    .language:       OpenCL C
    .language_version:
      - 2
      - 0
    .max_flat_workgroup_size: 256
    .name:           _ZN7rocprim17ROCPRIM_400000_NS6detail17trampoline_kernelINS0_14default_configENS1_36segmented_radix_sort_config_selectorIilEEZNS1_25segmented_radix_sort_implIS3_Lb0EPKiPiPKlPlN2at6native12_GLOBAL__N_18offset_tEEE10hipError_tPvRmT1_PNSt15iterator_traitsISK_E10value_typeET2_T3_PNSL_ISQ_E10value_typeET4_jRbjT5_SW_jjP12ihipStream_tbEUlT_E_NS1_11comp_targetILNS1_3genE8ELNS1_11target_archE1030ELNS1_3gpuE2ELNS1_3repE0EEENS1_30default_config_static_selectorELNS0_4arch9wavefront6targetE1EEEvSK_
    .private_segment_fixed_size: 0
    .sgpr_count:     4
    .sgpr_spill_count: 0
    .symbol:         _ZN7rocprim17ROCPRIM_400000_NS6detail17trampoline_kernelINS0_14default_configENS1_36segmented_radix_sort_config_selectorIilEEZNS1_25segmented_radix_sort_implIS3_Lb0EPKiPiPKlPlN2at6native12_GLOBAL__N_18offset_tEEE10hipError_tPvRmT1_PNSt15iterator_traitsISK_E10value_typeET2_T3_PNSL_ISQ_E10value_typeET4_jRbjT5_SW_jjP12ihipStream_tbEUlT_E_NS1_11comp_targetILNS1_3genE8ELNS1_11target_archE1030ELNS1_3gpuE2ELNS1_3repE0EEENS1_30default_config_static_selectorELNS0_4arch9wavefront6targetE1EEEvSK_.kd
    .uniform_work_group_size: 1
    .uses_dynamic_stack: false
    .vgpr_count:     0
    .vgpr_spill_count: 0
    .wavefront_size: 64
  - .agpr_count:     0
    .args:
      - .offset:         0
        .size:           88
        .value_kind:     by_value
    .group_segment_fixed_size: 0
    .kernarg_segment_align: 8
    .kernarg_segment_size: 88
    .language:       OpenCL C
    .language_version:
      - 2
      - 0
    .max_flat_workgroup_size: 256
    .name:           _ZN7rocprim17ROCPRIM_400000_NS6detail17trampoline_kernelINS0_14default_configENS1_36segmented_radix_sort_config_selectorIilEEZNS1_25segmented_radix_sort_implIS3_Lb0EPKiPiPKlPlN2at6native12_GLOBAL__N_18offset_tEEE10hipError_tPvRmT1_PNSt15iterator_traitsISK_E10value_typeET2_T3_PNSL_ISQ_E10value_typeET4_jRbjT5_SW_jjP12ihipStream_tbEUlT_E0_NS1_11comp_targetILNS1_3genE0ELNS1_11target_archE4294967295ELNS1_3gpuE0ELNS1_3repE0EEENS1_60segmented_radix_sort_warp_sort_medium_config_static_selectorELNS0_4arch9wavefront6targetE1EEEvSK_
    .private_segment_fixed_size: 0
    .sgpr_count:     4
    .sgpr_spill_count: 0
    .symbol:         _ZN7rocprim17ROCPRIM_400000_NS6detail17trampoline_kernelINS0_14default_configENS1_36segmented_radix_sort_config_selectorIilEEZNS1_25segmented_radix_sort_implIS3_Lb0EPKiPiPKlPlN2at6native12_GLOBAL__N_18offset_tEEE10hipError_tPvRmT1_PNSt15iterator_traitsISK_E10value_typeET2_T3_PNSL_ISQ_E10value_typeET4_jRbjT5_SW_jjP12ihipStream_tbEUlT_E0_NS1_11comp_targetILNS1_3genE0ELNS1_11target_archE4294967295ELNS1_3gpuE0ELNS1_3repE0EEENS1_60segmented_radix_sort_warp_sort_medium_config_static_selectorELNS0_4arch9wavefront6targetE1EEEvSK_.kd
    .uniform_work_group_size: 1
    .uses_dynamic_stack: false
    .vgpr_count:     0
    .vgpr_spill_count: 0
    .wavefront_size: 64
  - .agpr_count:     0
    .args:
      - .offset:         0
        .size:           88
        .value_kind:     by_value
    .group_segment_fixed_size: 0
    .kernarg_segment_align: 8
    .kernarg_segment_size: 88
    .language:       OpenCL C
    .language_version:
      - 2
      - 0
    .max_flat_workgroup_size: 256
    .name:           _ZN7rocprim17ROCPRIM_400000_NS6detail17trampoline_kernelINS0_14default_configENS1_36segmented_radix_sort_config_selectorIilEEZNS1_25segmented_radix_sort_implIS3_Lb0EPKiPiPKlPlN2at6native12_GLOBAL__N_18offset_tEEE10hipError_tPvRmT1_PNSt15iterator_traitsISK_E10value_typeET2_T3_PNSL_ISQ_E10value_typeET4_jRbjT5_SW_jjP12ihipStream_tbEUlT_E0_NS1_11comp_targetILNS1_3genE5ELNS1_11target_archE942ELNS1_3gpuE9ELNS1_3repE0EEENS1_60segmented_radix_sort_warp_sort_medium_config_static_selectorELNS0_4arch9wavefront6targetE1EEEvSK_
    .private_segment_fixed_size: 0
    .sgpr_count:     4
    .sgpr_spill_count: 0
    .symbol:         _ZN7rocprim17ROCPRIM_400000_NS6detail17trampoline_kernelINS0_14default_configENS1_36segmented_radix_sort_config_selectorIilEEZNS1_25segmented_radix_sort_implIS3_Lb0EPKiPiPKlPlN2at6native12_GLOBAL__N_18offset_tEEE10hipError_tPvRmT1_PNSt15iterator_traitsISK_E10value_typeET2_T3_PNSL_ISQ_E10value_typeET4_jRbjT5_SW_jjP12ihipStream_tbEUlT_E0_NS1_11comp_targetILNS1_3genE5ELNS1_11target_archE942ELNS1_3gpuE9ELNS1_3repE0EEENS1_60segmented_radix_sort_warp_sort_medium_config_static_selectorELNS0_4arch9wavefront6targetE1EEEvSK_.kd
    .uniform_work_group_size: 1
    .uses_dynamic_stack: false
    .vgpr_count:     0
    .vgpr_spill_count: 0
    .wavefront_size: 64
  - .agpr_count:     0
    .args:
      - .offset:         0
        .size:           88
        .value_kind:     by_value
      - .offset:         88
        .size:           4
        .value_kind:     hidden_block_count_x
      - .offset:         92
        .size:           4
        .value_kind:     hidden_block_count_y
      - .offset:         96
        .size:           4
        .value_kind:     hidden_block_count_z
      - .offset:         100
        .size:           2
        .value_kind:     hidden_group_size_x
      - .offset:         102
        .size:           2
        .value_kind:     hidden_group_size_y
      - .offset:         104
        .size:           2
        .value_kind:     hidden_group_size_z
      - .offset:         106
        .size:           2
        .value_kind:     hidden_remainder_x
      - .offset:         108
        .size:           2
        .value_kind:     hidden_remainder_y
      - .offset:         110
        .size:           2
        .value_kind:     hidden_remainder_z
      - .offset:         128
        .size:           8
        .value_kind:     hidden_global_offset_x
      - .offset:         136
        .size:           8
        .value_kind:     hidden_global_offset_y
      - .offset:         144
        .size:           8
        .value_kind:     hidden_global_offset_z
      - .offset:         152
        .size:           2
        .value_kind:     hidden_grid_dims
      - .offset:         168
        .size:           8
        .value_kind:     hidden_hostcall_buffer
      - .offset:         176
        .size:           8
        .value_kind:     hidden_multigrid_sync_arg
      - .offset:         184
        .size:           8
        .value_kind:     hidden_heap_v1
      - .offset:         192
        .size:           8
        .value_kind:     hidden_default_queue
      - .offset:         200
        .size:           8
        .value_kind:     hidden_completion_action
      - .offset:         288
        .size:           8
        .value_kind:     hidden_queue_ptr
    .group_segment_fixed_size: 24576
    .kernarg_segment_align: 8
    .kernarg_segment_size: 344
    .language:       OpenCL C
    .language_version:
      - 2
      - 0
    .max_flat_workgroup_size: 256
    .name:           _ZN7rocprim17ROCPRIM_400000_NS6detail17trampoline_kernelINS0_14default_configENS1_36segmented_radix_sort_config_selectorIilEEZNS1_25segmented_radix_sort_implIS3_Lb0EPKiPiPKlPlN2at6native12_GLOBAL__N_18offset_tEEE10hipError_tPvRmT1_PNSt15iterator_traitsISK_E10value_typeET2_T3_PNSL_ISQ_E10value_typeET4_jRbjT5_SW_jjP12ihipStream_tbEUlT_E0_NS1_11comp_targetILNS1_3genE4ELNS1_11target_archE910ELNS1_3gpuE8ELNS1_3repE0EEENS1_60segmented_radix_sort_warp_sort_medium_config_static_selectorELNS0_4arch9wavefront6targetE1EEEvSK_
    .private_segment_fixed_size: 8
    .sgpr_count:     68
    .sgpr_spill_count: 0
    .symbol:         _ZN7rocprim17ROCPRIM_400000_NS6detail17trampoline_kernelINS0_14default_configENS1_36segmented_radix_sort_config_selectorIilEEZNS1_25segmented_radix_sort_implIS3_Lb0EPKiPiPKlPlN2at6native12_GLOBAL__N_18offset_tEEE10hipError_tPvRmT1_PNSt15iterator_traitsISK_E10value_typeET2_T3_PNSL_ISQ_E10value_typeET4_jRbjT5_SW_jjP12ihipStream_tbEUlT_E0_NS1_11comp_targetILNS1_3genE4ELNS1_11target_archE910ELNS1_3gpuE8ELNS1_3repE0EEENS1_60segmented_radix_sort_warp_sort_medium_config_static_selectorELNS0_4arch9wavefront6targetE1EEEvSK_.kd
    .uniform_work_group_size: 1
    .uses_dynamic_stack: false
    .vgpr_count:     87
    .vgpr_spill_count: 0
    .wavefront_size: 64
  - .agpr_count:     0
    .args:
      - .offset:         0
        .size:           88
        .value_kind:     by_value
    .group_segment_fixed_size: 0
    .kernarg_segment_align: 8
    .kernarg_segment_size: 88
    .language:       OpenCL C
    .language_version:
      - 2
      - 0
    .max_flat_workgroup_size: 256
    .name:           _ZN7rocprim17ROCPRIM_400000_NS6detail17trampoline_kernelINS0_14default_configENS1_36segmented_radix_sort_config_selectorIilEEZNS1_25segmented_radix_sort_implIS3_Lb0EPKiPiPKlPlN2at6native12_GLOBAL__N_18offset_tEEE10hipError_tPvRmT1_PNSt15iterator_traitsISK_E10value_typeET2_T3_PNSL_ISQ_E10value_typeET4_jRbjT5_SW_jjP12ihipStream_tbEUlT_E0_NS1_11comp_targetILNS1_3genE3ELNS1_11target_archE908ELNS1_3gpuE7ELNS1_3repE0EEENS1_60segmented_radix_sort_warp_sort_medium_config_static_selectorELNS0_4arch9wavefront6targetE1EEEvSK_
    .private_segment_fixed_size: 0
    .sgpr_count:     4
    .sgpr_spill_count: 0
    .symbol:         _ZN7rocprim17ROCPRIM_400000_NS6detail17trampoline_kernelINS0_14default_configENS1_36segmented_radix_sort_config_selectorIilEEZNS1_25segmented_radix_sort_implIS3_Lb0EPKiPiPKlPlN2at6native12_GLOBAL__N_18offset_tEEE10hipError_tPvRmT1_PNSt15iterator_traitsISK_E10value_typeET2_T3_PNSL_ISQ_E10value_typeET4_jRbjT5_SW_jjP12ihipStream_tbEUlT_E0_NS1_11comp_targetILNS1_3genE3ELNS1_11target_archE908ELNS1_3gpuE7ELNS1_3repE0EEENS1_60segmented_radix_sort_warp_sort_medium_config_static_selectorELNS0_4arch9wavefront6targetE1EEEvSK_.kd
    .uniform_work_group_size: 1
    .uses_dynamic_stack: false
    .vgpr_count:     0
    .vgpr_spill_count: 0
    .wavefront_size: 64
  - .agpr_count:     0
    .args:
      - .offset:         0
        .size:           88
        .value_kind:     by_value
    .group_segment_fixed_size: 0
    .kernarg_segment_align: 8
    .kernarg_segment_size: 88
    .language:       OpenCL C
    .language_version:
      - 2
      - 0
    .max_flat_workgroup_size: 256
    .name:           _ZN7rocprim17ROCPRIM_400000_NS6detail17trampoline_kernelINS0_14default_configENS1_36segmented_radix_sort_config_selectorIilEEZNS1_25segmented_radix_sort_implIS3_Lb0EPKiPiPKlPlN2at6native12_GLOBAL__N_18offset_tEEE10hipError_tPvRmT1_PNSt15iterator_traitsISK_E10value_typeET2_T3_PNSL_ISQ_E10value_typeET4_jRbjT5_SW_jjP12ihipStream_tbEUlT_E0_NS1_11comp_targetILNS1_3genE2ELNS1_11target_archE906ELNS1_3gpuE6ELNS1_3repE0EEENS1_60segmented_radix_sort_warp_sort_medium_config_static_selectorELNS0_4arch9wavefront6targetE1EEEvSK_
    .private_segment_fixed_size: 0
    .sgpr_count:     4
    .sgpr_spill_count: 0
    .symbol:         _ZN7rocprim17ROCPRIM_400000_NS6detail17trampoline_kernelINS0_14default_configENS1_36segmented_radix_sort_config_selectorIilEEZNS1_25segmented_radix_sort_implIS3_Lb0EPKiPiPKlPlN2at6native12_GLOBAL__N_18offset_tEEE10hipError_tPvRmT1_PNSt15iterator_traitsISK_E10value_typeET2_T3_PNSL_ISQ_E10value_typeET4_jRbjT5_SW_jjP12ihipStream_tbEUlT_E0_NS1_11comp_targetILNS1_3genE2ELNS1_11target_archE906ELNS1_3gpuE6ELNS1_3repE0EEENS1_60segmented_radix_sort_warp_sort_medium_config_static_selectorELNS0_4arch9wavefront6targetE1EEEvSK_.kd
    .uniform_work_group_size: 1
    .uses_dynamic_stack: false
    .vgpr_count:     0
    .vgpr_spill_count: 0
    .wavefront_size: 64
  - .agpr_count:     0
    .args:
      - .offset:         0
        .size:           88
        .value_kind:     by_value
    .group_segment_fixed_size: 0
    .kernarg_segment_align: 8
    .kernarg_segment_size: 88
    .language:       OpenCL C
    .language_version:
      - 2
      - 0
    .max_flat_workgroup_size: 256
    .name:           _ZN7rocprim17ROCPRIM_400000_NS6detail17trampoline_kernelINS0_14default_configENS1_36segmented_radix_sort_config_selectorIilEEZNS1_25segmented_radix_sort_implIS3_Lb0EPKiPiPKlPlN2at6native12_GLOBAL__N_18offset_tEEE10hipError_tPvRmT1_PNSt15iterator_traitsISK_E10value_typeET2_T3_PNSL_ISQ_E10value_typeET4_jRbjT5_SW_jjP12ihipStream_tbEUlT_E0_NS1_11comp_targetILNS1_3genE10ELNS1_11target_archE1201ELNS1_3gpuE5ELNS1_3repE0EEENS1_60segmented_radix_sort_warp_sort_medium_config_static_selectorELNS0_4arch9wavefront6targetE1EEEvSK_
    .private_segment_fixed_size: 0
    .sgpr_count:     4
    .sgpr_spill_count: 0
    .symbol:         _ZN7rocprim17ROCPRIM_400000_NS6detail17trampoline_kernelINS0_14default_configENS1_36segmented_radix_sort_config_selectorIilEEZNS1_25segmented_radix_sort_implIS3_Lb0EPKiPiPKlPlN2at6native12_GLOBAL__N_18offset_tEEE10hipError_tPvRmT1_PNSt15iterator_traitsISK_E10value_typeET2_T3_PNSL_ISQ_E10value_typeET4_jRbjT5_SW_jjP12ihipStream_tbEUlT_E0_NS1_11comp_targetILNS1_3genE10ELNS1_11target_archE1201ELNS1_3gpuE5ELNS1_3repE0EEENS1_60segmented_radix_sort_warp_sort_medium_config_static_selectorELNS0_4arch9wavefront6targetE1EEEvSK_.kd
    .uniform_work_group_size: 1
    .uses_dynamic_stack: false
    .vgpr_count:     0
    .vgpr_spill_count: 0
    .wavefront_size: 64
  - .agpr_count:     0
    .args:
      - .offset:         0
        .size:           88
        .value_kind:     by_value
    .group_segment_fixed_size: 0
    .kernarg_segment_align: 8
    .kernarg_segment_size: 88
    .language:       OpenCL C
    .language_version:
      - 2
      - 0
    .max_flat_workgroup_size: 256
    .name:           _ZN7rocprim17ROCPRIM_400000_NS6detail17trampoline_kernelINS0_14default_configENS1_36segmented_radix_sort_config_selectorIilEEZNS1_25segmented_radix_sort_implIS3_Lb0EPKiPiPKlPlN2at6native12_GLOBAL__N_18offset_tEEE10hipError_tPvRmT1_PNSt15iterator_traitsISK_E10value_typeET2_T3_PNSL_ISQ_E10value_typeET4_jRbjT5_SW_jjP12ihipStream_tbEUlT_E0_NS1_11comp_targetILNS1_3genE10ELNS1_11target_archE1200ELNS1_3gpuE4ELNS1_3repE0EEENS1_60segmented_radix_sort_warp_sort_medium_config_static_selectorELNS0_4arch9wavefront6targetE1EEEvSK_
    .private_segment_fixed_size: 0
    .sgpr_count:     4
    .sgpr_spill_count: 0
    .symbol:         _ZN7rocprim17ROCPRIM_400000_NS6detail17trampoline_kernelINS0_14default_configENS1_36segmented_radix_sort_config_selectorIilEEZNS1_25segmented_radix_sort_implIS3_Lb0EPKiPiPKlPlN2at6native12_GLOBAL__N_18offset_tEEE10hipError_tPvRmT1_PNSt15iterator_traitsISK_E10value_typeET2_T3_PNSL_ISQ_E10value_typeET4_jRbjT5_SW_jjP12ihipStream_tbEUlT_E0_NS1_11comp_targetILNS1_3genE10ELNS1_11target_archE1200ELNS1_3gpuE4ELNS1_3repE0EEENS1_60segmented_radix_sort_warp_sort_medium_config_static_selectorELNS0_4arch9wavefront6targetE1EEEvSK_.kd
    .uniform_work_group_size: 1
    .uses_dynamic_stack: false
    .vgpr_count:     0
    .vgpr_spill_count: 0
    .wavefront_size: 64
  - .agpr_count:     0
    .args:
      - .offset:         0
        .size:           88
        .value_kind:     by_value
    .group_segment_fixed_size: 0
    .kernarg_segment_align: 8
    .kernarg_segment_size: 88
    .language:       OpenCL C
    .language_version:
      - 2
      - 0
    .max_flat_workgroup_size: 256
    .name:           _ZN7rocprim17ROCPRIM_400000_NS6detail17trampoline_kernelINS0_14default_configENS1_36segmented_radix_sort_config_selectorIilEEZNS1_25segmented_radix_sort_implIS3_Lb0EPKiPiPKlPlN2at6native12_GLOBAL__N_18offset_tEEE10hipError_tPvRmT1_PNSt15iterator_traitsISK_E10value_typeET2_T3_PNSL_ISQ_E10value_typeET4_jRbjT5_SW_jjP12ihipStream_tbEUlT_E0_NS1_11comp_targetILNS1_3genE9ELNS1_11target_archE1100ELNS1_3gpuE3ELNS1_3repE0EEENS1_60segmented_radix_sort_warp_sort_medium_config_static_selectorELNS0_4arch9wavefront6targetE1EEEvSK_
    .private_segment_fixed_size: 0
    .sgpr_count:     4
    .sgpr_spill_count: 0
    .symbol:         _ZN7rocprim17ROCPRIM_400000_NS6detail17trampoline_kernelINS0_14default_configENS1_36segmented_radix_sort_config_selectorIilEEZNS1_25segmented_radix_sort_implIS3_Lb0EPKiPiPKlPlN2at6native12_GLOBAL__N_18offset_tEEE10hipError_tPvRmT1_PNSt15iterator_traitsISK_E10value_typeET2_T3_PNSL_ISQ_E10value_typeET4_jRbjT5_SW_jjP12ihipStream_tbEUlT_E0_NS1_11comp_targetILNS1_3genE9ELNS1_11target_archE1100ELNS1_3gpuE3ELNS1_3repE0EEENS1_60segmented_radix_sort_warp_sort_medium_config_static_selectorELNS0_4arch9wavefront6targetE1EEEvSK_.kd
    .uniform_work_group_size: 1
    .uses_dynamic_stack: false
    .vgpr_count:     0
    .vgpr_spill_count: 0
    .wavefront_size: 64
  - .agpr_count:     0
    .args:
      - .offset:         0
        .size:           88
        .value_kind:     by_value
    .group_segment_fixed_size: 0
    .kernarg_segment_align: 8
    .kernarg_segment_size: 88
    .language:       OpenCL C
    .language_version:
      - 2
      - 0
    .max_flat_workgroup_size: 256
    .name:           _ZN7rocprim17ROCPRIM_400000_NS6detail17trampoline_kernelINS0_14default_configENS1_36segmented_radix_sort_config_selectorIilEEZNS1_25segmented_radix_sort_implIS3_Lb0EPKiPiPKlPlN2at6native12_GLOBAL__N_18offset_tEEE10hipError_tPvRmT1_PNSt15iterator_traitsISK_E10value_typeET2_T3_PNSL_ISQ_E10value_typeET4_jRbjT5_SW_jjP12ihipStream_tbEUlT_E0_NS1_11comp_targetILNS1_3genE8ELNS1_11target_archE1030ELNS1_3gpuE2ELNS1_3repE0EEENS1_60segmented_radix_sort_warp_sort_medium_config_static_selectorELNS0_4arch9wavefront6targetE1EEEvSK_
    .private_segment_fixed_size: 0
    .sgpr_count:     4
    .sgpr_spill_count: 0
    .symbol:         _ZN7rocprim17ROCPRIM_400000_NS6detail17trampoline_kernelINS0_14default_configENS1_36segmented_radix_sort_config_selectorIilEEZNS1_25segmented_radix_sort_implIS3_Lb0EPKiPiPKlPlN2at6native12_GLOBAL__N_18offset_tEEE10hipError_tPvRmT1_PNSt15iterator_traitsISK_E10value_typeET2_T3_PNSL_ISQ_E10value_typeET4_jRbjT5_SW_jjP12ihipStream_tbEUlT_E0_NS1_11comp_targetILNS1_3genE8ELNS1_11target_archE1030ELNS1_3gpuE2ELNS1_3repE0EEENS1_60segmented_radix_sort_warp_sort_medium_config_static_selectorELNS0_4arch9wavefront6targetE1EEEvSK_.kd
    .uniform_work_group_size: 1
    .uses_dynamic_stack: false
    .vgpr_count:     0
    .vgpr_spill_count: 0
    .wavefront_size: 64
  - .agpr_count:     0
    .args:
      - .offset:         0
        .size:           88
        .value_kind:     by_value
    .group_segment_fixed_size: 0
    .kernarg_segment_align: 8
    .kernarg_segment_size: 88
    .language:       OpenCL C
    .language_version:
      - 2
      - 0
    .max_flat_workgroup_size: 256
    .name:           _ZN7rocprim17ROCPRIM_400000_NS6detail17trampoline_kernelINS0_14default_configENS1_36segmented_radix_sort_config_selectorIilEEZNS1_25segmented_radix_sort_implIS3_Lb0EPKiPiPKlPlN2at6native12_GLOBAL__N_18offset_tEEE10hipError_tPvRmT1_PNSt15iterator_traitsISK_E10value_typeET2_T3_PNSL_ISQ_E10value_typeET4_jRbjT5_SW_jjP12ihipStream_tbEUlT_E1_NS1_11comp_targetILNS1_3genE0ELNS1_11target_archE4294967295ELNS1_3gpuE0ELNS1_3repE0EEENS1_59segmented_radix_sort_warp_sort_small_config_static_selectorELNS0_4arch9wavefront6targetE1EEEvSK_
    .private_segment_fixed_size: 0
    .sgpr_count:     4
    .sgpr_spill_count: 0
    .symbol:         _ZN7rocprim17ROCPRIM_400000_NS6detail17trampoline_kernelINS0_14default_configENS1_36segmented_radix_sort_config_selectorIilEEZNS1_25segmented_radix_sort_implIS3_Lb0EPKiPiPKlPlN2at6native12_GLOBAL__N_18offset_tEEE10hipError_tPvRmT1_PNSt15iterator_traitsISK_E10value_typeET2_T3_PNSL_ISQ_E10value_typeET4_jRbjT5_SW_jjP12ihipStream_tbEUlT_E1_NS1_11comp_targetILNS1_3genE0ELNS1_11target_archE4294967295ELNS1_3gpuE0ELNS1_3repE0EEENS1_59segmented_radix_sort_warp_sort_small_config_static_selectorELNS0_4arch9wavefront6targetE1EEEvSK_.kd
    .uniform_work_group_size: 1
    .uses_dynamic_stack: false
    .vgpr_count:     0
    .vgpr_spill_count: 0
    .wavefront_size: 64
  - .agpr_count:     0
    .args:
      - .offset:         0
        .size:           88
        .value_kind:     by_value
    .group_segment_fixed_size: 0
    .kernarg_segment_align: 8
    .kernarg_segment_size: 88
    .language:       OpenCL C
    .language_version:
      - 2
      - 0
    .max_flat_workgroup_size: 256
    .name:           _ZN7rocprim17ROCPRIM_400000_NS6detail17trampoline_kernelINS0_14default_configENS1_36segmented_radix_sort_config_selectorIilEEZNS1_25segmented_radix_sort_implIS3_Lb0EPKiPiPKlPlN2at6native12_GLOBAL__N_18offset_tEEE10hipError_tPvRmT1_PNSt15iterator_traitsISK_E10value_typeET2_T3_PNSL_ISQ_E10value_typeET4_jRbjT5_SW_jjP12ihipStream_tbEUlT_E1_NS1_11comp_targetILNS1_3genE5ELNS1_11target_archE942ELNS1_3gpuE9ELNS1_3repE0EEENS1_59segmented_radix_sort_warp_sort_small_config_static_selectorELNS0_4arch9wavefront6targetE1EEEvSK_
    .private_segment_fixed_size: 0
    .sgpr_count:     4
    .sgpr_spill_count: 0
    .symbol:         _ZN7rocprim17ROCPRIM_400000_NS6detail17trampoline_kernelINS0_14default_configENS1_36segmented_radix_sort_config_selectorIilEEZNS1_25segmented_radix_sort_implIS3_Lb0EPKiPiPKlPlN2at6native12_GLOBAL__N_18offset_tEEE10hipError_tPvRmT1_PNSt15iterator_traitsISK_E10value_typeET2_T3_PNSL_ISQ_E10value_typeET4_jRbjT5_SW_jjP12ihipStream_tbEUlT_E1_NS1_11comp_targetILNS1_3genE5ELNS1_11target_archE942ELNS1_3gpuE9ELNS1_3repE0EEENS1_59segmented_radix_sort_warp_sort_small_config_static_selectorELNS0_4arch9wavefront6targetE1EEEvSK_.kd
    .uniform_work_group_size: 1
    .uses_dynamic_stack: false
    .vgpr_count:     0
    .vgpr_spill_count: 0
    .wavefront_size: 64
  - .agpr_count:     0
    .args:
      - .offset:         0
        .size:           88
        .value_kind:     by_value
      - .offset:         88
        .size:           4
        .value_kind:     hidden_block_count_x
      - .offset:         92
        .size:           4
        .value_kind:     hidden_block_count_y
      - .offset:         96
        .size:           4
        .value_kind:     hidden_block_count_z
      - .offset:         100
        .size:           2
        .value_kind:     hidden_group_size_x
      - .offset:         102
        .size:           2
        .value_kind:     hidden_group_size_y
      - .offset:         104
        .size:           2
        .value_kind:     hidden_group_size_z
      - .offset:         106
        .size:           2
        .value_kind:     hidden_remainder_x
      - .offset:         108
        .size:           2
        .value_kind:     hidden_remainder_y
      - .offset:         110
        .size:           2
        .value_kind:     hidden_remainder_z
      - .offset:         128
        .size:           8
        .value_kind:     hidden_global_offset_x
      - .offset:         136
        .size:           8
        .value_kind:     hidden_global_offset_y
      - .offset:         144
        .size:           8
        .value_kind:     hidden_global_offset_z
      - .offset:         152
        .size:           2
        .value_kind:     hidden_grid_dims
      - .offset:         168
        .size:           8
        .value_kind:     hidden_hostcall_buffer
      - .offset:         176
        .size:           8
        .value_kind:     hidden_multigrid_sync_arg
      - .offset:         184
        .size:           8
        .value_kind:     hidden_heap_v1
      - .offset:         192
        .size:           8
        .value_kind:     hidden_default_queue
      - .offset:         200
        .size:           8
        .value_kind:     hidden_completion_action
      - .offset:         288
        .size:           8
        .value_kind:     hidden_queue_ptr
    .group_segment_fixed_size: 12288
    .kernarg_segment_align: 8
    .kernarg_segment_size: 344
    .language:       OpenCL C
    .language_version:
      - 2
      - 0
    .max_flat_workgroup_size: 256
    .name:           _ZN7rocprim17ROCPRIM_400000_NS6detail17trampoline_kernelINS0_14default_configENS1_36segmented_radix_sort_config_selectorIilEEZNS1_25segmented_radix_sort_implIS3_Lb0EPKiPiPKlPlN2at6native12_GLOBAL__N_18offset_tEEE10hipError_tPvRmT1_PNSt15iterator_traitsISK_E10value_typeET2_T3_PNSL_ISQ_E10value_typeET4_jRbjT5_SW_jjP12ihipStream_tbEUlT_E1_NS1_11comp_targetILNS1_3genE4ELNS1_11target_archE910ELNS1_3gpuE8ELNS1_3repE0EEENS1_59segmented_radix_sort_warp_sort_small_config_static_selectorELNS0_4arch9wavefront6targetE1EEEvSK_
    .private_segment_fixed_size: 0
    .sgpr_count:     56
    .sgpr_spill_count: 0
    .symbol:         _ZN7rocprim17ROCPRIM_400000_NS6detail17trampoline_kernelINS0_14default_configENS1_36segmented_radix_sort_config_selectorIilEEZNS1_25segmented_radix_sort_implIS3_Lb0EPKiPiPKlPlN2at6native12_GLOBAL__N_18offset_tEEE10hipError_tPvRmT1_PNSt15iterator_traitsISK_E10value_typeET2_T3_PNSL_ISQ_E10value_typeET4_jRbjT5_SW_jjP12ihipStream_tbEUlT_E1_NS1_11comp_targetILNS1_3genE4ELNS1_11target_archE910ELNS1_3gpuE8ELNS1_3repE0EEENS1_59segmented_radix_sort_warp_sort_small_config_static_selectorELNS0_4arch9wavefront6targetE1EEEvSK_.kd
    .uniform_work_group_size: 1
    .uses_dynamic_stack: false
    .vgpr_count:     99
    .vgpr_spill_count: 0
    .wavefront_size: 64
  - .agpr_count:     0
    .args:
      - .offset:         0
        .size:           88
        .value_kind:     by_value
    .group_segment_fixed_size: 0
    .kernarg_segment_align: 8
    .kernarg_segment_size: 88
    .language:       OpenCL C
    .language_version:
      - 2
      - 0
    .max_flat_workgroup_size: 256
    .name:           _ZN7rocprim17ROCPRIM_400000_NS6detail17trampoline_kernelINS0_14default_configENS1_36segmented_radix_sort_config_selectorIilEEZNS1_25segmented_radix_sort_implIS3_Lb0EPKiPiPKlPlN2at6native12_GLOBAL__N_18offset_tEEE10hipError_tPvRmT1_PNSt15iterator_traitsISK_E10value_typeET2_T3_PNSL_ISQ_E10value_typeET4_jRbjT5_SW_jjP12ihipStream_tbEUlT_E1_NS1_11comp_targetILNS1_3genE3ELNS1_11target_archE908ELNS1_3gpuE7ELNS1_3repE0EEENS1_59segmented_radix_sort_warp_sort_small_config_static_selectorELNS0_4arch9wavefront6targetE1EEEvSK_
    .private_segment_fixed_size: 0
    .sgpr_count:     4
    .sgpr_spill_count: 0
    .symbol:         _ZN7rocprim17ROCPRIM_400000_NS6detail17trampoline_kernelINS0_14default_configENS1_36segmented_radix_sort_config_selectorIilEEZNS1_25segmented_radix_sort_implIS3_Lb0EPKiPiPKlPlN2at6native12_GLOBAL__N_18offset_tEEE10hipError_tPvRmT1_PNSt15iterator_traitsISK_E10value_typeET2_T3_PNSL_ISQ_E10value_typeET4_jRbjT5_SW_jjP12ihipStream_tbEUlT_E1_NS1_11comp_targetILNS1_3genE3ELNS1_11target_archE908ELNS1_3gpuE7ELNS1_3repE0EEENS1_59segmented_radix_sort_warp_sort_small_config_static_selectorELNS0_4arch9wavefront6targetE1EEEvSK_.kd
    .uniform_work_group_size: 1
    .uses_dynamic_stack: false
    .vgpr_count:     0
    .vgpr_spill_count: 0
    .wavefront_size: 64
  - .agpr_count:     0
    .args:
      - .offset:         0
        .size:           88
        .value_kind:     by_value
    .group_segment_fixed_size: 0
    .kernarg_segment_align: 8
    .kernarg_segment_size: 88
    .language:       OpenCL C
    .language_version:
      - 2
      - 0
    .max_flat_workgroup_size: 256
    .name:           _ZN7rocprim17ROCPRIM_400000_NS6detail17trampoline_kernelINS0_14default_configENS1_36segmented_radix_sort_config_selectorIilEEZNS1_25segmented_radix_sort_implIS3_Lb0EPKiPiPKlPlN2at6native12_GLOBAL__N_18offset_tEEE10hipError_tPvRmT1_PNSt15iterator_traitsISK_E10value_typeET2_T3_PNSL_ISQ_E10value_typeET4_jRbjT5_SW_jjP12ihipStream_tbEUlT_E1_NS1_11comp_targetILNS1_3genE2ELNS1_11target_archE906ELNS1_3gpuE6ELNS1_3repE0EEENS1_59segmented_radix_sort_warp_sort_small_config_static_selectorELNS0_4arch9wavefront6targetE1EEEvSK_
    .private_segment_fixed_size: 0
    .sgpr_count:     4
    .sgpr_spill_count: 0
    .symbol:         _ZN7rocprim17ROCPRIM_400000_NS6detail17trampoline_kernelINS0_14default_configENS1_36segmented_radix_sort_config_selectorIilEEZNS1_25segmented_radix_sort_implIS3_Lb0EPKiPiPKlPlN2at6native12_GLOBAL__N_18offset_tEEE10hipError_tPvRmT1_PNSt15iterator_traitsISK_E10value_typeET2_T3_PNSL_ISQ_E10value_typeET4_jRbjT5_SW_jjP12ihipStream_tbEUlT_E1_NS1_11comp_targetILNS1_3genE2ELNS1_11target_archE906ELNS1_3gpuE6ELNS1_3repE0EEENS1_59segmented_radix_sort_warp_sort_small_config_static_selectorELNS0_4arch9wavefront6targetE1EEEvSK_.kd
    .uniform_work_group_size: 1
    .uses_dynamic_stack: false
    .vgpr_count:     0
    .vgpr_spill_count: 0
    .wavefront_size: 64
  - .agpr_count:     0
    .args:
      - .offset:         0
        .size:           88
        .value_kind:     by_value
    .group_segment_fixed_size: 0
    .kernarg_segment_align: 8
    .kernarg_segment_size: 88
    .language:       OpenCL C
    .language_version:
      - 2
      - 0
    .max_flat_workgroup_size: 256
    .name:           _ZN7rocprim17ROCPRIM_400000_NS6detail17trampoline_kernelINS0_14default_configENS1_36segmented_radix_sort_config_selectorIilEEZNS1_25segmented_radix_sort_implIS3_Lb0EPKiPiPKlPlN2at6native12_GLOBAL__N_18offset_tEEE10hipError_tPvRmT1_PNSt15iterator_traitsISK_E10value_typeET2_T3_PNSL_ISQ_E10value_typeET4_jRbjT5_SW_jjP12ihipStream_tbEUlT_E1_NS1_11comp_targetILNS1_3genE10ELNS1_11target_archE1201ELNS1_3gpuE5ELNS1_3repE0EEENS1_59segmented_radix_sort_warp_sort_small_config_static_selectorELNS0_4arch9wavefront6targetE1EEEvSK_
    .private_segment_fixed_size: 0
    .sgpr_count:     4
    .sgpr_spill_count: 0
    .symbol:         _ZN7rocprim17ROCPRIM_400000_NS6detail17trampoline_kernelINS0_14default_configENS1_36segmented_radix_sort_config_selectorIilEEZNS1_25segmented_radix_sort_implIS3_Lb0EPKiPiPKlPlN2at6native12_GLOBAL__N_18offset_tEEE10hipError_tPvRmT1_PNSt15iterator_traitsISK_E10value_typeET2_T3_PNSL_ISQ_E10value_typeET4_jRbjT5_SW_jjP12ihipStream_tbEUlT_E1_NS1_11comp_targetILNS1_3genE10ELNS1_11target_archE1201ELNS1_3gpuE5ELNS1_3repE0EEENS1_59segmented_radix_sort_warp_sort_small_config_static_selectorELNS0_4arch9wavefront6targetE1EEEvSK_.kd
    .uniform_work_group_size: 1
    .uses_dynamic_stack: false
    .vgpr_count:     0
    .vgpr_spill_count: 0
    .wavefront_size: 64
  - .agpr_count:     0
    .args:
      - .offset:         0
        .size:           88
        .value_kind:     by_value
    .group_segment_fixed_size: 0
    .kernarg_segment_align: 8
    .kernarg_segment_size: 88
    .language:       OpenCL C
    .language_version:
      - 2
      - 0
    .max_flat_workgroup_size: 256
    .name:           _ZN7rocprim17ROCPRIM_400000_NS6detail17trampoline_kernelINS0_14default_configENS1_36segmented_radix_sort_config_selectorIilEEZNS1_25segmented_radix_sort_implIS3_Lb0EPKiPiPKlPlN2at6native12_GLOBAL__N_18offset_tEEE10hipError_tPvRmT1_PNSt15iterator_traitsISK_E10value_typeET2_T3_PNSL_ISQ_E10value_typeET4_jRbjT5_SW_jjP12ihipStream_tbEUlT_E1_NS1_11comp_targetILNS1_3genE10ELNS1_11target_archE1200ELNS1_3gpuE4ELNS1_3repE0EEENS1_59segmented_radix_sort_warp_sort_small_config_static_selectorELNS0_4arch9wavefront6targetE1EEEvSK_
    .private_segment_fixed_size: 0
    .sgpr_count:     4
    .sgpr_spill_count: 0
    .symbol:         _ZN7rocprim17ROCPRIM_400000_NS6detail17trampoline_kernelINS0_14default_configENS1_36segmented_radix_sort_config_selectorIilEEZNS1_25segmented_radix_sort_implIS3_Lb0EPKiPiPKlPlN2at6native12_GLOBAL__N_18offset_tEEE10hipError_tPvRmT1_PNSt15iterator_traitsISK_E10value_typeET2_T3_PNSL_ISQ_E10value_typeET4_jRbjT5_SW_jjP12ihipStream_tbEUlT_E1_NS1_11comp_targetILNS1_3genE10ELNS1_11target_archE1200ELNS1_3gpuE4ELNS1_3repE0EEENS1_59segmented_radix_sort_warp_sort_small_config_static_selectorELNS0_4arch9wavefront6targetE1EEEvSK_.kd
    .uniform_work_group_size: 1
    .uses_dynamic_stack: false
    .vgpr_count:     0
    .vgpr_spill_count: 0
    .wavefront_size: 64
  - .agpr_count:     0
    .args:
      - .offset:         0
        .size:           88
        .value_kind:     by_value
    .group_segment_fixed_size: 0
    .kernarg_segment_align: 8
    .kernarg_segment_size: 88
    .language:       OpenCL C
    .language_version:
      - 2
      - 0
    .max_flat_workgroup_size: 256
    .name:           _ZN7rocprim17ROCPRIM_400000_NS6detail17trampoline_kernelINS0_14default_configENS1_36segmented_radix_sort_config_selectorIilEEZNS1_25segmented_radix_sort_implIS3_Lb0EPKiPiPKlPlN2at6native12_GLOBAL__N_18offset_tEEE10hipError_tPvRmT1_PNSt15iterator_traitsISK_E10value_typeET2_T3_PNSL_ISQ_E10value_typeET4_jRbjT5_SW_jjP12ihipStream_tbEUlT_E1_NS1_11comp_targetILNS1_3genE9ELNS1_11target_archE1100ELNS1_3gpuE3ELNS1_3repE0EEENS1_59segmented_radix_sort_warp_sort_small_config_static_selectorELNS0_4arch9wavefront6targetE1EEEvSK_
    .private_segment_fixed_size: 0
    .sgpr_count:     4
    .sgpr_spill_count: 0
    .symbol:         _ZN7rocprim17ROCPRIM_400000_NS6detail17trampoline_kernelINS0_14default_configENS1_36segmented_radix_sort_config_selectorIilEEZNS1_25segmented_radix_sort_implIS3_Lb0EPKiPiPKlPlN2at6native12_GLOBAL__N_18offset_tEEE10hipError_tPvRmT1_PNSt15iterator_traitsISK_E10value_typeET2_T3_PNSL_ISQ_E10value_typeET4_jRbjT5_SW_jjP12ihipStream_tbEUlT_E1_NS1_11comp_targetILNS1_3genE9ELNS1_11target_archE1100ELNS1_3gpuE3ELNS1_3repE0EEENS1_59segmented_radix_sort_warp_sort_small_config_static_selectorELNS0_4arch9wavefront6targetE1EEEvSK_.kd
    .uniform_work_group_size: 1
    .uses_dynamic_stack: false
    .vgpr_count:     0
    .vgpr_spill_count: 0
    .wavefront_size: 64
  - .agpr_count:     0
    .args:
      - .offset:         0
        .size:           88
        .value_kind:     by_value
    .group_segment_fixed_size: 0
    .kernarg_segment_align: 8
    .kernarg_segment_size: 88
    .language:       OpenCL C
    .language_version:
      - 2
      - 0
    .max_flat_workgroup_size: 256
    .name:           _ZN7rocprim17ROCPRIM_400000_NS6detail17trampoline_kernelINS0_14default_configENS1_36segmented_radix_sort_config_selectorIilEEZNS1_25segmented_radix_sort_implIS3_Lb0EPKiPiPKlPlN2at6native12_GLOBAL__N_18offset_tEEE10hipError_tPvRmT1_PNSt15iterator_traitsISK_E10value_typeET2_T3_PNSL_ISQ_E10value_typeET4_jRbjT5_SW_jjP12ihipStream_tbEUlT_E1_NS1_11comp_targetILNS1_3genE8ELNS1_11target_archE1030ELNS1_3gpuE2ELNS1_3repE0EEENS1_59segmented_radix_sort_warp_sort_small_config_static_selectorELNS0_4arch9wavefront6targetE1EEEvSK_
    .private_segment_fixed_size: 0
    .sgpr_count:     4
    .sgpr_spill_count: 0
    .symbol:         _ZN7rocprim17ROCPRIM_400000_NS6detail17trampoline_kernelINS0_14default_configENS1_36segmented_radix_sort_config_selectorIilEEZNS1_25segmented_radix_sort_implIS3_Lb0EPKiPiPKlPlN2at6native12_GLOBAL__N_18offset_tEEE10hipError_tPvRmT1_PNSt15iterator_traitsISK_E10value_typeET2_T3_PNSL_ISQ_E10value_typeET4_jRbjT5_SW_jjP12ihipStream_tbEUlT_E1_NS1_11comp_targetILNS1_3genE8ELNS1_11target_archE1030ELNS1_3gpuE2ELNS1_3repE0EEENS1_59segmented_radix_sort_warp_sort_small_config_static_selectorELNS0_4arch9wavefront6targetE1EEEvSK_.kd
    .uniform_work_group_size: 1
    .uses_dynamic_stack: false
    .vgpr_count:     0
    .vgpr_spill_count: 0
    .wavefront_size: 64
  - .agpr_count:     0
    .args:
      - .offset:         0
        .size:           80
        .value_kind:     by_value
    .group_segment_fixed_size: 0
    .kernarg_segment_align: 8
    .kernarg_segment_size: 80
    .language:       OpenCL C
    .language_version:
      - 2
      - 0
    .max_flat_workgroup_size: 256
    .name:           _ZN7rocprim17ROCPRIM_400000_NS6detail17trampoline_kernelINS0_14default_configENS1_36segmented_radix_sort_config_selectorIilEEZNS1_25segmented_radix_sort_implIS3_Lb0EPKiPiPKlPlN2at6native12_GLOBAL__N_18offset_tEEE10hipError_tPvRmT1_PNSt15iterator_traitsISK_E10value_typeET2_T3_PNSL_ISQ_E10value_typeET4_jRbjT5_SW_jjP12ihipStream_tbEUlT_E2_NS1_11comp_targetILNS1_3genE0ELNS1_11target_archE4294967295ELNS1_3gpuE0ELNS1_3repE0EEENS1_30default_config_static_selectorELNS0_4arch9wavefront6targetE1EEEvSK_
    .private_segment_fixed_size: 0
    .sgpr_count:     4
    .sgpr_spill_count: 0
    .symbol:         _ZN7rocprim17ROCPRIM_400000_NS6detail17trampoline_kernelINS0_14default_configENS1_36segmented_radix_sort_config_selectorIilEEZNS1_25segmented_radix_sort_implIS3_Lb0EPKiPiPKlPlN2at6native12_GLOBAL__N_18offset_tEEE10hipError_tPvRmT1_PNSt15iterator_traitsISK_E10value_typeET2_T3_PNSL_ISQ_E10value_typeET4_jRbjT5_SW_jjP12ihipStream_tbEUlT_E2_NS1_11comp_targetILNS1_3genE0ELNS1_11target_archE4294967295ELNS1_3gpuE0ELNS1_3repE0EEENS1_30default_config_static_selectorELNS0_4arch9wavefront6targetE1EEEvSK_.kd
    .uniform_work_group_size: 1
    .uses_dynamic_stack: false
    .vgpr_count:     0
    .vgpr_spill_count: 0
    .wavefront_size: 64
  - .agpr_count:     0
    .args:
      - .offset:         0
        .size:           80
        .value_kind:     by_value
    .group_segment_fixed_size: 0
    .kernarg_segment_align: 8
    .kernarg_segment_size: 80
    .language:       OpenCL C
    .language_version:
      - 2
      - 0
    .max_flat_workgroup_size: 256
    .name:           _ZN7rocprim17ROCPRIM_400000_NS6detail17trampoline_kernelINS0_14default_configENS1_36segmented_radix_sort_config_selectorIilEEZNS1_25segmented_radix_sort_implIS3_Lb0EPKiPiPKlPlN2at6native12_GLOBAL__N_18offset_tEEE10hipError_tPvRmT1_PNSt15iterator_traitsISK_E10value_typeET2_T3_PNSL_ISQ_E10value_typeET4_jRbjT5_SW_jjP12ihipStream_tbEUlT_E2_NS1_11comp_targetILNS1_3genE5ELNS1_11target_archE942ELNS1_3gpuE9ELNS1_3repE0EEENS1_30default_config_static_selectorELNS0_4arch9wavefront6targetE1EEEvSK_
    .private_segment_fixed_size: 0
    .sgpr_count:     4
    .sgpr_spill_count: 0
    .symbol:         _ZN7rocprim17ROCPRIM_400000_NS6detail17trampoline_kernelINS0_14default_configENS1_36segmented_radix_sort_config_selectorIilEEZNS1_25segmented_radix_sort_implIS3_Lb0EPKiPiPKlPlN2at6native12_GLOBAL__N_18offset_tEEE10hipError_tPvRmT1_PNSt15iterator_traitsISK_E10value_typeET2_T3_PNSL_ISQ_E10value_typeET4_jRbjT5_SW_jjP12ihipStream_tbEUlT_E2_NS1_11comp_targetILNS1_3genE5ELNS1_11target_archE942ELNS1_3gpuE9ELNS1_3repE0EEENS1_30default_config_static_selectorELNS0_4arch9wavefront6targetE1EEEvSK_.kd
    .uniform_work_group_size: 1
    .uses_dynamic_stack: false
    .vgpr_count:     0
    .vgpr_spill_count: 0
    .wavefront_size: 64
  - .agpr_count:     32
    .args:
      - .offset:         0
        .size:           80
        .value_kind:     by_value
      - .offset:         80
        .size:           4
        .value_kind:     hidden_block_count_x
      - .offset:         84
        .size:           4
        .value_kind:     hidden_block_count_y
      - .offset:         88
        .size:           4
        .value_kind:     hidden_block_count_z
      - .offset:         92
        .size:           2
        .value_kind:     hidden_group_size_x
      - .offset:         94
        .size:           2
        .value_kind:     hidden_group_size_y
      - .offset:         96
        .size:           2
        .value_kind:     hidden_group_size_z
      - .offset:         98
        .size:           2
        .value_kind:     hidden_remainder_x
      - .offset:         100
        .size:           2
        .value_kind:     hidden_remainder_y
      - .offset:         102
        .size:           2
        .value_kind:     hidden_remainder_z
      - .offset:         120
        .size:           8
        .value_kind:     hidden_global_offset_x
      - .offset:         128
        .size:           8
        .value_kind:     hidden_global_offset_y
      - .offset:         136
        .size:           8
        .value_kind:     hidden_global_offset_z
      - .offset:         144
        .size:           2
        .value_kind:     hidden_grid_dims
      - .offset:         160
        .size:           8
        .value_kind:     hidden_hostcall_buffer
      - .offset:         168
        .size:           8
        .value_kind:     hidden_multigrid_sync_arg
      - .offset:         176
        .size:           8
        .value_kind:     hidden_heap_v1
      - .offset:         184
        .size:           8
        .value_kind:     hidden_default_queue
      - .offset:         192
        .size:           8
        .value_kind:     hidden_completion_action
      - .offset:         280
        .size:           8
        .value_kind:     hidden_queue_ptr
    .group_segment_fixed_size: 33808
    .kernarg_segment_align: 8
    .kernarg_segment_size: 336
    .language:       OpenCL C
    .language_version:
      - 2
      - 0
    .max_flat_workgroup_size: 256
    .name:           _ZN7rocprim17ROCPRIM_400000_NS6detail17trampoline_kernelINS0_14default_configENS1_36segmented_radix_sort_config_selectorIilEEZNS1_25segmented_radix_sort_implIS3_Lb0EPKiPiPKlPlN2at6native12_GLOBAL__N_18offset_tEEE10hipError_tPvRmT1_PNSt15iterator_traitsISK_E10value_typeET2_T3_PNSL_ISQ_E10value_typeET4_jRbjT5_SW_jjP12ihipStream_tbEUlT_E2_NS1_11comp_targetILNS1_3genE4ELNS1_11target_archE910ELNS1_3gpuE8ELNS1_3repE0EEENS1_30default_config_static_selectorELNS0_4arch9wavefront6targetE1EEEvSK_
    .private_segment_fixed_size: 264
    .sgpr_count:     103
    .sgpr_spill_count: 0
    .symbol:         _ZN7rocprim17ROCPRIM_400000_NS6detail17trampoline_kernelINS0_14default_configENS1_36segmented_radix_sort_config_selectorIilEEZNS1_25segmented_radix_sort_implIS3_Lb0EPKiPiPKlPlN2at6native12_GLOBAL__N_18offset_tEEE10hipError_tPvRmT1_PNSt15iterator_traitsISK_E10value_typeET2_T3_PNSL_ISQ_E10value_typeET4_jRbjT5_SW_jjP12ihipStream_tbEUlT_E2_NS1_11comp_targetILNS1_3genE4ELNS1_11target_archE910ELNS1_3gpuE8ELNS1_3repE0EEENS1_30default_config_static_selectorELNS0_4arch9wavefront6targetE1EEEvSK_.kd
    .uniform_work_group_size: 1
    .uses_dynamic_stack: false
    .vgpr_count:     280
    .vgpr_spill_count: 0
    .wavefront_size: 64
  - .agpr_count:     0
    .args:
      - .offset:         0
        .size:           80
        .value_kind:     by_value
    .group_segment_fixed_size: 0
    .kernarg_segment_align: 8
    .kernarg_segment_size: 80
    .language:       OpenCL C
    .language_version:
      - 2
      - 0
    .max_flat_workgroup_size: 256
    .name:           _ZN7rocprim17ROCPRIM_400000_NS6detail17trampoline_kernelINS0_14default_configENS1_36segmented_radix_sort_config_selectorIilEEZNS1_25segmented_radix_sort_implIS3_Lb0EPKiPiPKlPlN2at6native12_GLOBAL__N_18offset_tEEE10hipError_tPvRmT1_PNSt15iterator_traitsISK_E10value_typeET2_T3_PNSL_ISQ_E10value_typeET4_jRbjT5_SW_jjP12ihipStream_tbEUlT_E2_NS1_11comp_targetILNS1_3genE3ELNS1_11target_archE908ELNS1_3gpuE7ELNS1_3repE0EEENS1_30default_config_static_selectorELNS0_4arch9wavefront6targetE1EEEvSK_
    .private_segment_fixed_size: 0
    .sgpr_count:     4
    .sgpr_spill_count: 0
    .symbol:         _ZN7rocprim17ROCPRIM_400000_NS6detail17trampoline_kernelINS0_14default_configENS1_36segmented_radix_sort_config_selectorIilEEZNS1_25segmented_radix_sort_implIS3_Lb0EPKiPiPKlPlN2at6native12_GLOBAL__N_18offset_tEEE10hipError_tPvRmT1_PNSt15iterator_traitsISK_E10value_typeET2_T3_PNSL_ISQ_E10value_typeET4_jRbjT5_SW_jjP12ihipStream_tbEUlT_E2_NS1_11comp_targetILNS1_3genE3ELNS1_11target_archE908ELNS1_3gpuE7ELNS1_3repE0EEENS1_30default_config_static_selectorELNS0_4arch9wavefront6targetE1EEEvSK_.kd
    .uniform_work_group_size: 1
    .uses_dynamic_stack: false
    .vgpr_count:     0
    .vgpr_spill_count: 0
    .wavefront_size: 64
  - .agpr_count:     0
    .args:
      - .offset:         0
        .size:           80
        .value_kind:     by_value
    .group_segment_fixed_size: 0
    .kernarg_segment_align: 8
    .kernarg_segment_size: 80
    .language:       OpenCL C
    .language_version:
      - 2
      - 0
    .max_flat_workgroup_size: 256
    .name:           _ZN7rocprim17ROCPRIM_400000_NS6detail17trampoline_kernelINS0_14default_configENS1_36segmented_radix_sort_config_selectorIilEEZNS1_25segmented_radix_sort_implIS3_Lb0EPKiPiPKlPlN2at6native12_GLOBAL__N_18offset_tEEE10hipError_tPvRmT1_PNSt15iterator_traitsISK_E10value_typeET2_T3_PNSL_ISQ_E10value_typeET4_jRbjT5_SW_jjP12ihipStream_tbEUlT_E2_NS1_11comp_targetILNS1_3genE2ELNS1_11target_archE906ELNS1_3gpuE6ELNS1_3repE0EEENS1_30default_config_static_selectorELNS0_4arch9wavefront6targetE1EEEvSK_
    .private_segment_fixed_size: 0
    .sgpr_count:     4
    .sgpr_spill_count: 0
    .symbol:         _ZN7rocprim17ROCPRIM_400000_NS6detail17trampoline_kernelINS0_14default_configENS1_36segmented_radix_sort_config_selectorIilEEZNS1_25segmented_radix_sort_implIS3_Lb0EPKiPiPKlPlN2at6native12_GLOBAL__N_18offset_tEEE10hipError_tPvRmT1_PNSt15iterator_traitsISK_E10value_typeET2_T3_PNSL_ISQ_E10value_typeET4_jRbjT5_SW_jjP12ihipStream_tbEUlT_E2_NS1_11comp_targetILNS1_3genE2ELNS1_11target_archE906ELNS1_3gpuE6ELNS1_3repE0EEENS1_30default_config_static_selectorELNS0_4arch9wavefront6targetE1EEEvSK_.kd
    .uniform_work_group_size: 1
    .uses_dynamic_stack: false
    .vgpr_count:     0
    .vgpr_spill_count: 0
    .wavefront_size: 64
  - .agpr_count:     0
    .args:
      - .offset:         0
        .size:           80
        .value_kind:     by_value
    .group_segment_fixed_size: 0
    .kernarg_segment_align: 8
    .kernarg_segment_size: 80
    .language:       OpenCL C
    .language_version:
      - 2
      - 0
    .max_flat_workgroup_size: 256
    .name:           _ZN7rocprim17ROCPRIM_400000_NS6detail17trampoline_kernelINS0_14default_configENS1_36segmented_radix_sort_config_selectorIilEEZNS1_25segmented_radix_sort_implIS3_Lb0EPKiPiPKlPlN2at6native12_GLOBAL__N_18offset_tEEE10hipError_tPvRmT1_PNSt15iterator_traitsISK_E10value_typeET2_T3_PNSL_ISQ_E10value_typeET4_jRbjT5_SW_jjP12ihipStream_tbEUlT_E2_NS1_11comp_targetILNS1_3genE10ELNS1_11target_archE1201ELNS1_3gpuE5ELNS1_3repE0EEENS1_30default_config_static_selectorELNS0_4arch9wavefront6targetE1EEEvSK_
    .private_segment_fixed_size: 0
    .sgpr_count:     4
    .sgpr_spill_count: 0
    .symbol:         _ZN7rocprim17ROCPRIM_400000_NS6detail17trampoline_kernelINS0_14default_configENS1_36segmented_radix_sort_config_selectorIilEEZNS1_25segmented_radix_sort_implIS3_Lb0EPKiPiPKlPlN2at6native12_GLOBAL__N_18offset_tEEE10hipError_tPvRmT1_PNSt15iterator_traitsISK_E10value_typeET2_T3_PNSL_ISQ_E10value_typeET4_jRbjT5_SW_jjP12ihipStream_tbEUlT_E2_NS1_11comp_targetILNS1_3genE10ELNS1_11target_archE1201ELNS1_3gpuE5ELNS1_3repE0EEENS1_30default_config_static_selectorELNS0_4arch9wavefront6targetE1EEEvSK_.kd
    .uniform_work_group_size: 1
    .uses_dynamic_stack: false
    .vgpr_count:     0
    .vgpr_spill_count: 0
    .wavefront_size: 64
  - .agpr_count:     0
    .args:
      - .offset:         0
        .size:           80
        .value_kind:     by_value
    .group_segment_fixed_size: 0
    .kernarg_segment_align: 8
    .kernarg_segment_size: 80
    .language:       OpenCL C
    .language_version:
      - 2
      - 0
    .max_flat_workgroup_size: 128
    .name:           _ZN7rocprim17ROCPRIM_400000_NS6detail17trampoline_kernelINS0_14default_configENS1_36segmented_radix_sort_config_selectorIilEEZNS1_25segmented_radix_sort_implIS3_Lb0EPKiPiPKlPlN2at6native12_GLOBAL__N_18offset_tEEE10hipError_tPvRmT1_PNSt15iterator_traitsISK_E10value_typeET2_T3_PNSL_ISQ_E10value_typeET4_jRbjT5_SW_jjP12ihipStream_tbEUlT_E2_NS1_11comp_targetILNS1_3genE10ELNS1_11target_archE1200ELNS1_3gpuE4ELNS1_3repE0EEENS1_30default_config_static_selectorELNS0_4arch9wavefront6targetE1EEEvSK_
    .private_segment_fixed_size: 0
    .sgpr_count:     4
    .sgpr_spill_count: 0
    .symbol:         _ZN7rocprim17ROCPRIM_400000_NS6detail17trampoline_kernelINS0_14default_configENS1_36segmented_radix_sort_config_selectorIilEEZNS1_25segmented_radix_sort_implIS3_Lb0EPKiPiPKlPlN2at6native12_GLOBAL__N_18offset_tEEE10hipError_tPvRmT1_PNSt15iterator_traitsISK_E10value_typeET2_T3_PNSL_ISQ_E10value_typeET4_jRbjT5_SW_jjP12ihipStream_tbEUlT_E2_NS1_11comp_targetILNS1_3genE10ELNS1_11target_archE1200ELNS1_3gpuE4ELNS1_3repE0EEENS1_30default_config_static_selectorELNS0_4arch9wavefront6targetE1EEEvSK_.kd
    .uniform_work_group_size: 1
    .uses_dynamic_stack: false
    .vgpr_count:     0
    .vgpr_spill_count: 0
    .wavefront_size: 64
  - .agpr_count:     0
    .args:
      - .offset:         0
        .size:           80
        .value_kind:     by_value
    .group_segment_fixed_size: 0
    .kernarg_segment_align: 8
    .kernarg_segment_size: 80
    .language:       OpenCL C
    .language_version:
      - 2
      - 0
    .max_flat_workgroup_size: 256
    .name:           _ZN7rocprim17ROCPRIM_400000_NS6detail17trampoline_kernelINS0_14default_configENS1_36segmented_radix_sort_config_selectorIilEEZNS1_25segmented_radix_sort_implIS3_Lb0EPKiPiPKlPlN2at6native12_GLOBAL__N_18offset_tEEE10hipError_tPvRmT1_PNSt15iterator_traitsISK_E10value_typeET2_T3_PNSL_ISQ_E10value_typeET4_jRbjT5_SW_jjP12ihipStream_tbEUlT_E2_NS1_11comp_targetILNS1_3genE9ELNS1_11target_archE1100ELNS1_3gpuE3ELNS1_3repE0EEENS1_30default_config_static_selectorELNS0_4arch9wavefront6targetE1EEEvSK_
    .private_segment_fixed_size: 0
    .sgpr_count:     4
    .sgpr_spill_count: 0
    .symbol:         _ZN7rocprim17ROCPRIM_400000_NS6detail17trampoline_kernelINS0_14default_configENS1_36segmented_radix_sort_config_selectorIilEEZNS1_25segmented_radix_sort_implIS3_Lb0EPKiPiPKlPlN2at6native12_GLOBAL__N_18offset_tEEE10hipError_tPvRmT1_PNSt15iterator_traitsISK_E10value_typeET2_T3_PNSL_ISQ_E10value_typeET4_jRbjT5_SW_jjP12ihipStream_tbEUlT_E2_NS1_11comp_targetILNS1_3genE9ELNS1_11target_archE1100ELNS1_3gpuE3ELNS1_3repE0EEENS1_30default_config_static_selectorELNS0_4arch9wavefront6targetE1EEEvSK_.kd
    .uniform_work_group_size: 1
    .uses_dynamic_stack: false
    .vgpr_count:     0
    .vgpr_spill_count: 0
    .wavefront_size: 64
  - .agpr_count:     0
    .args:
      - .offset:         0
        .size:           80
        .value_kind:     by_value
    .group_segment_fixed_size: 0
    .kernarg_segment_align: 8
    .kernarg_segment_size: 80
    .language:       OpenCL C
    .language_version:
      - 2
      - 0
    .max_flat_workgroup_size: 256
    .name:           _ZN7rocprim17ROCPRIM_400000_NS6detail17trampoline_kernelINS0_14default_configENS1_36segmented_radix_sort_config_selectorIilEEZNS1_25segmented_radix_sort_implIS3_Lb0EPKiPiPKlPlN2at6native12_GLOBAL__N_18offset_tEEE10hipError_tPvRmT1_PNSt15iterator_traitsISK_E10value_typeET2_T3_PNSL_ISQ_E10value_typeET4_jRbjT5_SW_jjP12ihipStream_tbEUlT_E2_NS1_11comp_targetILNS1_3genE8ELNS1_11target_archE1030ELNS1_3gpuE2ELNS1_3repE0EEENS1_30default_config_static_selectorELNS0_4arch9wavefront6targetE1EEEvSK_
    .private_segment_fixed_size: 0
    .sgpr_count:     4
    .sgpr_spill_count: 0
    .symbol:         _ZN7rocprim17ROCPRIM_400000_NS6detail17trampoline_kernelINS0_14default_configENS1_36segmented_radix_sort_config_selectorIilEEZNS1_25segmented_radix_sort_implIS3_Lb0EPKiPiPKlPlN2at6native12_GLOBAL__N_18offset_tEEE10hipError_tPvRmT1_PNSt15iterator_traitsISK_E10value_typeET2_T3_PNSL_ISQ_E10value_typeET4_jRbjT5_SW_jjP12ihipStream_tbEUlT_E2_NS1_11comp_targetILNS1_3genE8ELNS1_11target_archE1030ELNS1_3gpuE2ELNS1_3repE0EEENS1_30default_config_static_selectorELNS0_4arch9wavefront6targetE1EEEvSK_.kd
    .uniform_work_group_size: 1
    .uses_dynamic_stack: false
    .vgpr_count:     0
    .vgpr_spill_count: 0
    .wavefront_size: 64
  - .agpr_count:     0
    .args:
      - .address_space:  global
        .offset:         0
        .size:           8
        .value_kind:     global_buffer
      - .address_space:  global
        .offset:         8
        .size:           8
        .value_kind:     global_buffer
      - .address_space:  global
        .offset:         16
        .size:           8
        .value_kind:     global_buffer
      - .address_space:  global
        .offset:         24
        .size:           8
        .value_kind:     global_buffer
      - .offset:         32
        .size:           4
        .value_kind:     by_value
      - .offset:         36
        .size:           4
        .value_kind:     by_value
      - .offset:         40
        .size:           4
        .value_kind:     hidden_block_count_x
      - .offset:         44
        .size:           4
        .value_kind:     hidden_block_count_y
      - .offset:         48
        .size:           4
        .value_kind:     hidden_block_count_z
      - .offset:         52
        .size:           2
        .value_kind:     hidden_group_size_x
      - .offset:         54
        .size:           2
        .value_kind:     hidden_group_size_y
      - .offset:         56
        .size:           2
        .value_kind:     hidden_group_size_z
      - .offset:         58
        .size:           2
        .value_kind:     hidden_remainder_x
      - .offset:         60
        .size:           2
        .value_kind:     hidden_remainder_y
      - .offset:         62
        .size:           2
        .value_kind:     hidden_remainder_z
      - .offset:         80
        .size:           8
        .value_kind:     hidden_global_offset_x
      - .offset:         88
        .size:           8
        .value_kind:     hidden_global_offset_y
      - .offset:         96
        .size:           8
        .value_kind:     hidden_global_offset_z
      - .offset:         104
        .size:           2
        .value_kind:     hidden_grid_dims
    .group_segment_fixed_size: 0
    .kernarg_segment_align: 8
    .kernarg_segment_size: 296
    .language:       OpenCL C
    .language_version:
      - 2
      - 0
    .max_flat_workgroup_size: 1024
    .name:           _ZN2at6native12_GLOBAL__N_123sort_postprocess_kernelIlEEvPKT_PS3_PlPK15HIP_vector_typeIiLj2EEii
    .private_segment_fixed_size: 0
    .sgpr_count:     22
    .sgpr_spill_count: 0
    .symbol:         _ZN2at6native12_GLOBAL__N_123sort_postprocess_kernelIlEEvPKT_PS3_PlPK15HIP_vector_typeIiLj2EEii.kd
    .uniform_work_group_size: 1
    .uses_dynamic_stack: false
    .vgpr_count:     18
    .vgpr_spill_count: 0
    .wavefront_size: 64
  - .agpr_count:     0
    .args:
      - .offset:         0
        .size:           176
        .value_kind:     by_value
    .group_segment_fixed_size: 0
    .kernarg_segment_align: 8
    .kernarg_segment_size: 176
    .language:       OpenCL C
    .language_version:
      - 2
      - 0
    .max_flat_workgroup_size: 256
    .name:           _ZN7rocprim17ROCPRIM_400000_NS6detail17trampoline_kernelINS0_13select_configILj256ELj13ELNS0_17block_load_methodE3ELS4_3ELS4_3ELNS0_20block_scan_algorithmE0ELj4294967295EEENS1_25partition_config_selectorILNS1_17partition_subalgoE4EjNS0_10empty_typeEbEEZZNS1_14partition_implILS8_4ELb0ES6_15HIP_vector_typeIjLj2EENS0_17counting_iteratorIjlEEPS9_SG_NS0_5tupleIJPjSI_NS0_16reverse_iteratorISI_EEEEENSH_IJSG_SG_SG_EEES9_SI_JZNS1_25segmented_radix_sort_implINS0_14default_configELb1EPKlPlSQ_SR_N2at6native12_GLOBAL__N_18offset_tEEE10hipError_tPvRmT1_PNSt15iterator_traitsISZ_E10value_typeET2_T3_PNS10_IS15_E10value_typeET4_jRbjT5_S1B_jjP12ihipStream_tbEUljE_ZNSN_ISO_Lb1ESQ_SR_SQ_SR_SV_EESW_SX_SY_SZ_S13_S14_S15_S18_S19_jS1A_jS1B_S1B_jjS1D_bEUljE0_EEESW_SX_SY_S15_S19_S1B_T6_T7_T9_mT8_S1D_bDpT10_ENKUlT_T0_E_clISt17integral_constantIbLb0EES1R_EEDaS1M_S1N_EUlS1M_E_NS1_11comp_targetILNS1_3genE0ELNS1_11target_archE4294967295ELNS1_3gpuE0ELNS1_3repE0EEENS1_30default_config_static_selectorELNS0_4arch9wavefront6targetE1EEEvSZ_
    .private_segment_fixed_size: 0
    .sgpr_count:     4
    .sgpr_spill_count: 0
    .symbol:         _ZN7rocprim17ROCPRIM_400000_NS6detail17trampoline_kernelINS0_13select_configILj256ELj13ELNS0_17block_load_methodE3ELS4_3ELS4_3ELNS0_20block_scan_algorithmE0ELj4294967295EEENS1_25partition_config_selectorILNS1_17partition_subalgoE4EjNS0_10empty_typeEbEEZZNS1_14partition_implILS8_4ELb0ES6_15HIP_vector_typeIjLj2EENS0_17counting_iteratorIjlEEPS9_SG_NS0_5tupleIJPjSI_NS0_16reverse_iteratorISI_EEEEENSH_IJSG_SG_SG_EEES9_SI_JZNS1_25segmented_radix_sort_implINS0_14default_configELb1EPKlPlSQ_SR_N2at6native12_GLOBAL__N_18offset_tEEE10hipError_tPvRmT1_PNSt15iterator_traitsISZ_E10value_typeET2_T3_PNS10_IS15_E10value_typeET4_jRbjT5_S1B_jjP12ihipStream_tbEUljE_ZNSN_ISO_Lb1ESQ_SR_SQ_SR_SV_EESW_SX_SY_SZ_S13_S14_S15_S18_S19_jS1A_jS1B_S1B_jjS1D_bEUljE0_EEESW_SX_SY_S15_S19_S1B_T6_T7_T9_mT8_S1D_bDpT10_ENKUlT_T0_E_clISt17integral_constantIbLb0EES1R_EEDaS1M_S1N_EUlS1M_E_NS1_11comp_targetILNS1_3genE0ELNS1_11target_archE4294967295ELNS1_3gpuE0ELNS1_3repE0EEENS1_30default_config_static_selectorELNS0_4arch9wavefront6targetE1EEEvSZ_.kd
    .uniform_work_group_size: 1
    .uses_dynamic_stack: false
    .vgpr_count:     0
    .vgpr_spill_count: 0
    .wavefront_size: 64
  - .agpr_count:     0
    .args:
      - .offset:         0
        .size:           176
        .value_kind:     by_value
    .group_segment_fixed_size: 0
    .kernarg_segment_align: 8
    .kernarg_segment_size: 176
    .language:       OpenCL C
    .language_version:
      - 2
      - 0
    .max_flat_workgroup_size: 256
    .name:           _ZN7rocprim17ROCPRIM_400000_NS6detail17trampoline_kernelINS0_13select_configILj256ELj13ELNS0_17block_load_methodE3ELS4_3ELS4_3ELNS0_20block_scan_algorithmE0ELj4294967295EEENS1_25partition_config_selectorILNS1_17partition_subalgoE4EjNS0_10empty_typeEbEEZZNS1_14partition_implILS8_4ELb0ES6_15HIP_vector_typeIjLj2EENS0_17counting_iteratorIjlEEPS9_SG_NS0_5tupleIJPjSI_NS0_16reverse_iteratorISI_EEEEENSH_IJSG_SG_SG_EEES9_SI_JZNS1_25segmented_radix_sort_implINS0_14default_configELb1EPKlPlSQ_SR_N2at6native12_GLOBAL__N_18offset_tEEE10hipError_tPvRmT1_PNSt15iterator_traitsISZ_E10value_typeET2_T3_PNS10_IS15_E10value_typeET4_jRbjT5_S1B_jjP12ihipStream_tbEUljE_ZNSN_ISO_Lb1ESQ_SR_SQ_SR_SV_EESW_SX_SY_SZ_S13_S14_S15_S18_S19_jS1A_jS1B_S1B_jjS1D_bEUljE0_EEESW_SX_SY_S15_S19_S1B_T6_T7_T9_mT8_S1D_bDpT10_ENKUlT_T0_E_clISt17integral_constantIbLb0EES1R_EEDaS1M_S1N_EUlS1M_E_NS1_11comp_targetILNS1_3genE5ELNS1_11target_archE942ELNS1_3gpuE9ELNS1_3repE0EEENS1_30default_config_static_selectorELNS0_4arch9wavefront6targetE1EEEvSZ_
    .private_segment_fixed_size: 0
    .sgpr_count:     4
    .sgpr_spill_count: 0
    .symbol:         _ZN7rocprim17ROCPRIM_400000_NS6detail17trampoline_kernelINS0_13select_configILj256ELj13ELNS0_17block_load_methodE3ELS4_3ELS4_3ELNS0_20block_scan_algorithmE0ELj4294967295EEENS1_25partition_config_selectorILNS1_17partition_subalgoE4EjNS0_10empty_typeEbEEZZNS1_14partition_implILS8_4ELb0ES6_15HIP_vector_typeIjLj2EENS0_17counting_iteratorIjlEEPS9_SG_NS0_5tupleIJPjSI_NS0_16reverse_iteratorISI_EEEEENSH_IJSG_SG_SG_EEES9_SI_JZNS1_25segmented_radix_sort_implINS0_14default_configELb1EPKlPlSQ_SR_N2at6native12_GLOBAL__N_18offset_tEEE10hipError_tPvRmT1_PNSt15iterator_traitsISZ_E10value_typeET2_T3_PNS10_IS15_E10value_typeET4_jRbjT5_S1B_jjP12ihipStream_tbEUljE_ZNSN_ISO_Lb1ESQ_SR_SQ_SR_SV_EESW_SX_SY_SZ_S13_S14_S15_S18_S19_jS1A_jS1B_S1B_jjS1D_bEUljE0_EEESW_SX_SY_S15_S19_S1B_T6_T7_T9_mT8_S1D_bDpT10_ENKUlT_T0_E_clISt17integral_constantIbLb0EES1R_EEDaS1M_S1N_EUlS1M_E_NS1_11comp_targetILNS1_3genE5ELNS1_11target_archE942ELNS1_3gpuE9ELNS1_3repE0EEENS1_30default_config_static_selectorELNS0_4arch9wavefront6targetE1EEEvSZ_.kd
    .uniform_work_group_size: 1
    .uses_dynamic_stack: false
    .vgpr_count:     0
    .vgpr_spill_count: 0
    .wavefront_size: 64
  - .agpr_count:     0
    .args:
      - .offset:         0
        .size:           176
        .value_kind:     by_value
    .group_segment_fixed_size: 13340
    .kernarg_segment_align: 8
    .kernarg_segment_size: 176
    .language:       OpenCL C
    .language_version:
      - 2
      - 0
    .max_flat_workgroup_size: 256
    .name:           _ZN7rocprim17ROCPRIM_400000_NS6detail17trampoline_kernelINS0_13select_configILj256ELj13ELNS0_17block_load_methodE3ELS4_3ELS4_3ELNS0_20block_scan_algorithmE0ELj4294967295EEENS1_25partition_config_selectorILNS1_17partition_subalgoE4EjNS0_10empty_typeEbEEZZNS1_14partition_implILS8_4ELb0ES6_15HIP_vector_typeIjLj2EENS0_17counting_iteratorIjlEEPS9_SG_NS0_5tupleIJPjSI_NS0_16reverse_iteratorISI_EEEEENSH_IJSG_SG_SG_EEES9_SI_JZNS1_25segmented_radix_sort_implINS0_14default_configELb1EPKlPlSQ_SR_N2at6native12_GLOBAL__N_18offset_tEEE10hipError_tPvRmT1_PNSt15iterator_traitsISZ_E10value_typeET2_T3_PNS10_IS15_E10value_typeET4_jRbjT5_S1B_jjP12ihipStream_tbEUljE_ZNSN_ISO_Lb1ESQ_SR_SQ_SR_SV_EESW_SX_SY_SZ_S13_S14_S15_S18_S19_jS1A_jS1B_S1B_jjS1D_bEUljE0_EEESW_SX_SY_S15_S19_S1B_T6_T7_T9_mT8_S1D_bDpT10_ENKUlT_T0_E_clISt17integral_constantIbLb0EES1R_EEDaS1M_S1N_EUlS1M_E_NS1_11comp_targetILNS1_3genE4ELNS1_11target_archE910ELNS1_3gpuE8ELNS1_3repE0EEENS1_30default_config_static_selectorELNS0_4arch9wavefront6targetE1EEEvSZ_
    .private_segment_fixed_size: 0
    .sgpr_count:     94
    .sgpr_spill_count: 0
    .symbol:         _ZN7rocprim17ROCPRIM_400000_NS6detail17trampoline_kernelINS0_13select_configILj256ELj13ELNS0_17block_load_methodE3ELS4_3ELS4_3ELNS0_20block_scan_algorithmE0ELj4294967295EEENS1_25partition_config_selectorILNS1_17partition_subalgoE4EjNS0_10empty_typeEbEEZZNS1_14partition_implILS8_4ELb0ES6_15HIP_vector_typeIjLj2EENS0_17counting_iteratorIjlEEPS9_SG_NS0_5tupleIJPjSI_NS0_16reverse_iteratorISI_EEEEENSH_IJSG_SG_SG_EEES9_SI_JZNS1_25segmented_radix_sort_implINS0_14default_configELb1EPKlPlSQ_SR_N2at6native12_GLOBAL__N_18offset_tEEE10hipError_tPvRmT1_PNSt15iterator_traitsISZ_E10value_typeET2_T3_PNS10_IS15_E10value_typeET4_jRbjT5_S1B_jjP12ihipStream_tbEUljE_ZNSN_ISO_Lb1ESQ_SR_SQ_SR_SV_EESW_SX_SY_SZ_S13_S14_S15_S18_S19_jS1A_jS1B_S1B_jjS1D_bEUljE0_EEESW_SX_SY_S15_S19_S1B_T6_T7_T9_mT8_S1D_bDpT10_ENKUlT_T0_E_clISt17integral_constantIbLb0EES1R_EEDaS1M_S1N_EUlS1M_E_NS1_11comp_targetILNS1_3genE4ELNS1_11target_archE910ELNS1_3gpuE8ELNS1_3repE0EEENS1_30default_config_static_selectorELNS0_4arch9wavefront6targetE1EEEvSZ_.kd
    .uniform_work_group_size: 1
    .uses_dynamic_stack: false
    .vgpr_count:     102
    .vgpr_spill_count: 0
    .wavefront_size: 64
  - .agpr_count:     0
    .args:
      - .offset:         0
        .size:           176
        .value_kind:     by_value
    .group_segment_fixed_size: 0
    .kernarg_segment_align: 8
    .kernarg_segment_size: 176
    .language:       OpenCL C
    .language_version:
      - 2
      - 0
    .max_flat_workgroup_size: 256
    .name:           _ZN7rocprim17ROCPRIM_400000_NS6detail17trampoline_kernelINS0_13select_configILj256ELj13ELNS0_17block_load_methodE3ELS4_3ELS4_3ELNS0_20block_scan_algorithmE0ELj4294967295EEENS1_25partition_config_selectorILNS1_17partition_subalgoE4EjNS0_10empty_typeEbEEZZNS1_14partition_implILS8_4ELb0ES6_15HIP_vector_typeIjLj2EENS0_17counting_iteratorIjlEEPS9_SG_NS0_5tupleIJPjSI_NS0_16reverse_iteratorISI_EEEEENSH_IJSG_SG_SG_EEES9_SI_JZNS1_25segmented_radix_sort_implINS0_14default_configELb1EPKlPlSQ_SR_N2at6native12_GLOBAL__N_18offset_tEEE10hipError_tPvRmT1_PNSt15iterator_traitsISZ_E10value_typeET2_T3_PNS10_IS15_E10value_typeET4_jRbjT5_S1B_jjP12ihipStream_tbEUljE_ZNSN_ISO_Lb1ESQ_SR_SQ_SR_SV_EESW_SX_SY_SZ_S13_S14_S15_S18_S19_jS1A_jS1B_S1B_jjS1D_bEUljE0_EEESW_SX_SY_S15_S19_S1B_T6_T7_T9_mT8_S1D_bDpT10_ENKUlT_T0_E_clISt17integral_constantIbLb0EES1R_EEDaS1M_S1N_EUlS1M_E_NS1_11comp_targetILNS1_3genE3ELNS1_11target_archE908ELNS1_3gpuE7ELNS1_3repE0EEENS1_30default_config_static_selectorELNS0_4arch9wavefront6targetE1EEEvSZ_
    .private_segment_fixed_size: 0
    .sgpr_count:     4
    .sgpr_spill_count: 0
    .symbol:         _ZN7rocprim17ROCPRIM_400000_NS6detail17trampoline_kernelINS0_13select_configILj256ELj13ELNS0_17block_load_methodE3ELS4_3ELS4_3ELNS0_20block_scan_algorithmE0ELj4294967295EEENS1_25partition_config_selectorILNS1_17partition_subalgoE4EjNS0_10empty_typeEbEEZZNS1_14partition_implILS8_4ELb0ES6_15HIP_vector_typeIjLj2EENS0_17counting_iteratorIjlEEPS9_SG_NS0_5tupleIJPjSI_NS0_16reverse_iteratorISI_EEEEENSH_IJSG_SG_SG_EEES9_SI_JZNS1_25segmented_radix_sort_implINS0_14default_configELb1EPKlPlSQ_SR_N2at6native12_GLOBAL__N_18offset_tEEE10hipError_tPvRmT1_PNSt15iterator_traitsISZ_E10value_typeET2_T3_PNS10_IS15_E10value_typeET4_jRbjT5_S1B_jjP12ihipStream_tbEUljE_ZNSN_ISO_Lb1ESQ_SR_SQ_SR_SV_EESW_SX_SY_SZ_S13_S14_S15_S18_S19_jS1A_jS1B_S1B_jjS1D_bEUljE0_EEESW_SX_SY_S15_S19_S1B_T6_T7_T9_mT8_S1D_bDpT10_ENKUlT_T0_E_clISt17integral_constantIbLb0EES1R_EEDaS1M_S1N_EUlS1M_E_NS1_11comp_targetILNS1_3genE3ELNS1_11target_archE908ELNS1_3gpuE7ELNS1_3repE0EEENS1_30default_config_static_selectorELNS0_4arch9wavefront6targetE1EEEvSZ_.kd
    .uniform_work_group_size: 1
    .uses_dynamic_stack: false
    .vgpr_count:     0
    .vgpr_spill_count: 0
    .wavefront_size: 64
  - .agpr_count:     0
    .args:
      - .offset:         0
        .size:           176
        .value_kind:     by_value
    .group_segment_fixed_size: 0
    .kernarg_segment_align: 8
    .kernarg_segment_size: 176
    .language:       OpenCL C
    .language_version:
      - 2
      - 0
    .max_flat_workgroup_size: 256
    .name:           _ZN7rocprim17ROCPRIM_400000_NS6detail17trampoline_kernelINS0_13select_configILj256ELj13ELNS0_17block_load_methodE3ELS4_3ELS4_3ELNS0_20block_scan_algorithmE0ELj4294967295EEENS1_25partition_config_selectorILNS1_17partition_subalgoE4EjNS0_10empty_typeEbEEZZNS1_14partition_implILS8_4ELb0ES6_15HIP_vector_typeIjLj2EENS0_17counting_iteratorIjlEEPS9_SG_NS0_5tupleIJPjSI_NS0_16reverse_iteratorISI_EEEEENSH_IJSG_SG_SG_EEES9_SI_JZNS1_25segmented_radix_sort_implINS0_14default_configELb1EPKlPlSQ_SR_N2at6native12_GLOBAL__N_18offset_tEEE10hipError_tPvRmT1_PNSt15iterator_traitsISZ_E10value_typeET2_T3_PNS10_IS15_E10value_typeET4_jRbjT5_S1B_jjP12ihipStream_tbEUljE_ZNSN_ISO_Lb1ESQ_SR_SQ_SR_SV_EESW_SX_SY_SZ_S13_S14_S15_S18_S19_jS1A_jS1B_S1B_jjS1D_bEUljE0_EEESW_SX_SY_S15_S19_S1B_T6_T7_T9_mT8_S1D_bDpT10_ENKUlT_T0_E_clISt17integral_constantIbLb0EES1R_EEDaS1M_S1N_EUlS1M_E_NS1_11comp_targetILNS1_3genE2ELNS1_11target_archE906ELNS1_3gpuE6ELNS1_3repE0EEENS1_30default_config_static_selectorELNS0_4arch9wavefront6targetE1EEEvSZ_
    .private_segment_fixed_size: 0
    .sgpr_count:     4
    .sgpr_spill_count: 0
    .symbol:         _ZN7rocprim17ROCPRIM_400000_NS6detail17trampoline_kernelINS0_13select_configILj256ELj13ELNS0_17block_load_methodE3ELS4_3ELS4_3ELNS0_20block_scan_algorithmE0ELj4294967295EEENS1_25partition_config_selectorILNS1_17partition_subalgoE4EjNS0_10empty_typeEbEEZZNS1_14partition_implILS8_4ELb0ES6_15HIP_vector_typeIjLj2EENS0_17counting_iteratorIjlEEPS9_SG_NS0_5tupleIJPjSI_NS0_16reverse_iteratorISI_EEEEENSH_IJSG_SG_SG_EEES9_SI_JZNS1_25segmented_radix_sort_implINS0_14default_configELb1EPKlPlSQ_SR_N2at6native12_GLOBAL__N_18offset_tEEE10hipError_tPvRmT1_PNSt15iterator_traitsISZ_E10value_typeET2_T3_PNS10_IS15_E10value_typeET4_jRbjT5_S1B_jjP12ihipStream_tbEUljE_ZNSN_ISO_Lb1ESQ_SR_SQ_SR_SV_EESW_SX_SY_SZ_S13_S14_S15_S18_S19_jS1A_jS1B_S1B_jjS1D_bEUljE0_EEESW_SX_SY_S15_S19_S1B_T6_T7_T9_mT8_S1D_bDpT10_ENKUlT_T0_E_clISt17integral_constantIbLb0EES1R_EEDaS1M_S1N_EUlS1M_E_NS1_11comp_targetILNS1_3genE2ELNS1_11target_archE906ELNS1_3gpuE6ELNS1_3repE0EEENS1_30default_config_static_selectorELNS0_4arch9wavefront6targetE1EEEvSZ_.kd
    .uniform_work_group_size: 1
    .uses_dynamic_stack: false
    .vgpr_count:     0
    .vgpr_spill_count: 0
    .wavefront_size: 64
  - .agpr_count:     0
    .args:
      - .offset:         0
        .size:           176
        .value_kind:     by_value
    .group_segment_fixed_size: 0
    .kernarg_segment_align: 8
    .kernarg_segment_size: 176
    .language:       OpenCL C
    .language_version:
      - 2
      - 0
    .max_flat_workgroup_size: 256
    .name:           _ZN7rocprim17ROCPRIM_400000_NS6detail17trampoline_kernelINS0_13select_configILj256ELj13ELNS0_17block_load_methodE3ELS4_3ELS4_3ELNS0_20block_scan_algorithmE0ELj4294967295EEENS1_25partition_config_selectorILNS1_17partition_subalgoE4EjNS0_10empty_typeEbEEZZNS1_14partition_implILS8_4ELb0ES6_15HIP_vector_typeIjLj2EENS0_17counting_iteratorIjlEEPS9_SG_NS0_5tupleIJPjSI_NS0_16reverse_iteratorISI_EEEEENSH_IJSG_SG_SG_EEES9_SI_JZNS1_25segmented_radix_sort_implINS0_14default_configELb1EPKlPlSQ_SR_N2at6native12_GLOBAL__N_18offset_tEEE10hipError_tPvRmT1_PNSt15iterator_traitsISZ_E10value_typeET2_T3_PNS10_IS15_E10value_typeET4_jRbjT5_S1B_jjP12ihipStream_tbEUljE_ZNSN_ISO_Lb1ESQ_SR_SQ_SR_SV_EESW_SX_SY_SZ_S13_S14_S15_S18_S19_jS1A_jS1B_S1B_jjS1D_bEUljE0_EEESW_SX_SY_S15_S19_S1B_T6_T7_T9_mT8_S1D_bDpT10_ENKUlT_T0_E_clISt17integral_constantIbLb0EES1R_EEDaS1M_S1N_EUlS1M_E_NS1_11comp_targetILNS1_3genE10ELNS1_11target_archE1200ELNS1_3gpuE4ELNS1_3repE0EEENS1_30default_config_static_selectorELNS0_4arch9wavefront6targetE1EEEvSZ_
    .private_segment_fixed_size: 0
    .sgpr_count:     4
    .sgpr_spill_count: 0
    .symbol:         _ZN7rocprim17ROCPRIM_400000_NS6detail17trampoline_kernelINS0_13select_configILj256ELj13ELNS0_17block_load_methodE3ELS4_3ELS4_3ELNS0_20block_scan_algorithmE0ELj4294967295EEENS1_25partition_config_selectorILNS1_17partition_subalgoE4EjNS0_10empty_typeEbEEZZNS1_14partition_implILS8_4ELb0ES6_15HIP_vector_typeIjLj2EENS0_17counting_iteratorIjlEEPS9_SG_NS0_5tupleIJPjSI_NS0_16reverse_iteratorISI_EEEEENSH_IJSG_SG_SG_EEES9_SI_JZNS1_25segmented_radix_sort_implINS0_14default_configELb1EPKlPlSQ_SR_N2at6native12_GLOBAL__N_18offset_tEEE10hipError_tPvRmT1_PNSt15iterator_traitsISZ_E10value_typeET2_T3_PNS10_IS15_E10value_typeET4_jRbjT5_S1B_jjP12ihipStream_tbEUljE_ZNSN_ISO_Lb1ESQ_SR_SQ_SR_SV_EESW_SX_SY_SZ_S13_S14_S15_S18_S19_jS1A_jS1B_S1B_jjS1D_bEUljE0_EEESW_SX_SY_S15_S19_S1B_T6_T7_T9_mT8_S1D_bDpT10_ENKUlT_T0_E_clISt17integral_constantIbLb0EES1R_EEDaS1M_S1N_EUlS1M_E_NS1_11comp_targetILNS1_3genE10ELNS1_11target_archE1200ELNS1_3gpuE4ELNS1_3repE0EEENS1_30default_config_static_selectorELNS0_4arch9wavefront6targetE1EEEvSZ_.kd
    .uniform_work_group_size: 1
    .uses_dynamic_stack: false
    .vgpr_count:     0
    .vgpr_spill_count: 0
    .wavefront_size: 64
  - .agpr_count:     0
    .args:
      - .offset:         0
        .size:           176
        .value_kind:     by_value
    .group_segment_fixed_size: 0
    .kernarg_segment_align: 8
    .kernarg_segment_size: 176
    .language:       OpenCL C
    .language_version:
      - 2
      - 0
    .max_flat_workgroup_size: 256
    .name:           _ZN7rocprim17ROCPRIM_400000_NS6detail17trampoline_kernelINS0_13select_configILj256ELj13ELNS0_17block_load_methodE3ELS4_3ELS4_3ELNS0_20block_scan_algorithmE0ELj4294967295EEENS1_25partition_config_selectorILNS1_17partition_subalgoE4EjNS0_10empty_typeEbEEZZNS1_14partition_implILS8_4ELb0ES6_15HIP_vector_typeIjLj2EENS0_17counting_iteratorIjlEEPS9_SG_NS0_5tupleIJPjSI_NS0_16reverse_iteratorISI_EEEEENSH_IJSG_SG_SG_EEES9_SI_JZNS1_25segmented_radix_sort_implINS0_14default_configELb1EPKlPlSQ_SR_N2at6native12_GLOBAL__N_18offset_tEEE10hipError_tPvRmT1_PNSt15iterator_traitsISZ_E10value_typeET2_T3_PNS10_IS15_E10value_typeET4_jRbjT5_S1B_jjP12ihipStream_tbEUljE_ZNSN_ISO_Lb1ESQ_SR_SQ_SR_SV_EESW_SX_SY_SZ_S13_S14_S15_S18_S19_jS1A_jS1B_S1B_jjS1D_bEUljE0_EEESW_SX_SY_S15_S19_S1B_T6_T7_T9_mT8_S1D_bDpT10_ENKUlT_T0_E_clISt17integral_constantIbLb0EES1R_EEDaS1M_S1N_EUlS1M_E_NS1_11comp_targetILNS1_3genE9ELNS1_11target_archE1100ELNS1_3gpuE3ELNS1_3repE0EEENS1_30default_config_static_selectorELNS0_4arch9wavefront6targetE1EEEvSZ_
    .private_segment_fixed_size: 0
    .sgpr_count:     4
    .sgpr_spill_count: 0
    .symbol:         _ZN7rocprim17ROCPRIM_400000_NS6detail17trampoline_kernelINS0_13select_configILj256ELj13ELNS0_17block_load_methodE3ELS4_3ELS4_3ELNS0_20block_scan_algorithmE0ELj4294967295EEENS1_25partition_config_selectorILNS1_17partition_subalgoE4EjNS0_10empty_typeEbEEZZNS1_14partition_implILS8_4ELb0ES6_15HIP_vector_typeIjLj2EENS0_17counting_iteratorIjlEEPS9_SG_NS0_5tupleIJPjSI_NS0_16reverse_iteratorISI_EEEEENSH_IJSG_SG_SG_EEES9_SI_JZNS1_25segmented_radix_sort_implINS0_14default_configELb1EPKlPlSQ_SR_N2at6native12_GLOBAL__N_18offset_tEEE10hipError_tPvRmT1_PNSt15iterator_traitsISZ_E10value_typeET2_T3_PNS10_IS15_E10value_typeET4_jRbjT5_S1B_jjP12ihipStream_tbEUljE_ZNSN_ISO_Lb1ESQ_SR_SQ_SR_SV_EESW_SX_SY_SZ_S13_S14_S15_S18_S19_jS1A_jS1B_S1B_jjS1D_bEUljE0_EEESW_SX_SY_S15_S19_S1B_T6_T7_T9_mT8_S1D_bDpT10_ENKUlT_T0_E_clISt17integral_constantIbLb0EES1R_EEDaS1M_S1N_EUlS1M_E_NS1_11comp_targetILNS1_3genE9ELNS1_11target_archE1100ELNS1_3gpuE3ELNS1_3repE0EEENS1_30default_config_static_selectorELNS0_4arch9wavefront6targetE1EEEvSZ_.kd
    .uniform_work_group_size: 1
    .uses_dynamic_stack: false
    .vgpr_count:     0
    .vgpr_spill_count: 0
    .wavefront_size: 64
  - .agpr_count:     0
    .args:
      - .offset:         0
        .size:           176
        .value_kind:     by_value
    .group_segment_fixed_size: 0
    .kernarg_segment_align: 8
    .kernarg_segment_size: 176
    .language:       OpenCL C
    .language_version:
      - 2
      - 0
    .max_flat_workgroup_size: 256
    .name:           _ZN7rocprim17ROCPRIM_400000_NS6detail17trampoline_kernelINS0_13select_configILj256ELj13ELNS0_17block_load_methodE3ELS4_3ELS4_3ELNS0_20block_scan_algorithmE0ELj4294967295EEENS1_25partition_config_selectorILNS1_17partition_subalgoE4EjNS0_10empty_typeEbEEZZNS1_14partition_implILS8_4ELb0ES6_15HIP_vector_typeIjLj2EENS0_17counting_iteratorIjlEEPS9_SG_NS0_5tupleIJPjSI_NS0_16reverse_iteratorISI_EEEEENSH_IJSG_SG_SG_EEES9_SI_JZNS1_25segmented_radix_sort_implINS0_14default_configELb1EPKlPlSQ_SR_N2at6native12_GLOBAL__N_18offset_tEEE10hipError_tPvRmT1_PNSt15iterator_traitsISZ_E10value_typeET2_T3_PNS10_IS15_E10value_typeET4_jRbjT5_S1B_jjP12ihipStream_tbEUljE_ZNSN_ISO_Lb1ESQ_SR_SQ_SR_SV_EESW_SX_SY_SZ_S13_S14_S15_S18_S19_jS1A_jS1B_S1B_jjS1D_bEUljE0_EEESW_SX_SY_S15_S19_S1B_T6_T7_T9_mT8_S1D_bDpT10_ENKUlT_T0_E_clISt17integral_constantIbLb0EES1R_EEDaS1M_S1N_EUlS1M_E_NS1_11comp_targetILNS1_3genE8ELNS1_11target_archE1030ELNS1_3gpuE2ELNS1_3repE0EEENS1_30default_config_static_selectorELNS0_4arch9wavefront6targetE1EEEvSZ_
    .private_segment_fixed_size: 0
    .sgpr_count:     4
    .sgpr_spill_count: 0
    .symbol:         _ZN7rocprim17ROCPRIM_400000_NS6detail17trampoline_kernelINS0_13select_configILj256ELj13ELNS0_17block_load_methodE3ELS4_3ELS4_3ELNS0_20block_scan_algorithmE0ELj4294967295EEENS1_25partition_config_selectorILNS1_17partition_subalgoE4EjNS0_10empty_typeEbEEZZNS1_14partition_implILS8_4ELb0ES6_15HIP_vector_typeIjLj2EENS0_17counting_iteratorIjlEEPS9_SG_NS0_5tupleIJPjSI_NS0_16reverse_iteratorISI_EEEEENSH_IJSG_SG_SG_EEES9_SI_JZNS1_25segmented_radix_sort_implINS0_14default_configELb1EPKlPlSQ_SR_N2at6native12_GLOBAL__N_18offset_tEEE10hipError_tPvRmT1_PNSt15iterator_traitsISZ_E10value_typeET2_T3_PNS10_IS15_E10value_typeET4_jRbjT5_S1B_jjP12ihipStream_tbEUljE_ZNSN_ISO_Lb1ESQ_SR_SQ_SR_SV_EESW_SX_SY_SZ_S13_S14_S15_S18_S19_jS1A_jS1B_S1B_jjS1D_bEUljE0_EEESW_SX_SY_S15_S19_S1B_T6_T7_T9_mT8_S1D_bDpT10_ENKUlT_T0_E_clISt17integral_constantIbLb0EES1R_EEDaS1M_S1N_EUlS1M_E_NS1_11comp_targetILNS1_3genE8ELNS1_11target_archE1030ELNS1_3gpuE2ELNS1_3repE0EEENS1_30default_config_static_selectorELNS0_4arch9wavefront6targetE1EEEvSZ_.kd
    .uniform_work_group_size: 1
    .uses_dynamic_stack: false
    .vgpr_count:     0
    .vgpr_spill_count: 0
    .wavefront_size: 64
  - .agpr_count:     0
    .args:
      - .offset:         0
        .size:           184
        .value_kind:     by_value
    .group_segment_fixed_size: 0
    .kernarg_segment_align: 8
    .kernarg_segment_size: 184
    .language:       OpenCL C
    .language_version:
      - 2
      - 0
    .max_flat_workgroup_size: 256
    .name:           _ZN7rocprim17ROCPRIM_400000_NS6detail17trampoline_kernelINS0_13select_configILj256ELj13ELNS0_17block_load_methodE3ELS4_3ELS4_3ELNS0_20block_scan_algorithmE0ELj4294967295EEENS1_25partition_config_selectorILNS1_17partition_subalgoE4EjNS0_10empty_typeEbEEZZNS1_14partition_implILS8_4ELb0ES6_15HIP_vector_typeIjLj2EENS0_17counting_iteratorIjlEEPS9_SG_NS0_5tupleIJPjSI_NS0_16reverse_iteratorISI_EEEEENSH_IJSG_SG_SG_EEES9_SI_JZNS1_25segmented_radix_sort_implINS0_14default_configELb1EPKlPlSQ_SR_N2at6native12_GLOBAL__N_18offset_tEEE10hipError_tPvRmT1_PNSt15iterator_traitsISZ_E10value_typeET2_T3_PNS10_IS15_E10value_typeET4_jRbjT5_S1B_jjP12ihipStream_tbEUljE_ZNSN_ISO_Lb1ESQ_SR_SQ_SR_SV_EESW_SX_SY_SZ_S13_S14_S15_S18_S19_jS1A_jS1B_S1B_jjS1D_bEUljE0_EEESW_SX_SY_S15_S19_S1B_T6_T7_T9_mT8_S1D_bDpT10_ENKUlT_T0_E_clISt17integral_constantIbLb1EES1R_EEDaS1M_S1N_EUlS1M_E_NS1_11comp_targetILNS1_3genE0ELNS1_11target_archE4294967295ELNS1_3gpuE0ELNS1_3repE0EEENS1_30default_config_static_selectorELNS0_4arch9wavefront6targetE1EEEvSZ_
    .private_segment_fixed_size: 0
    .sgpr_count:     4
    .sgpr_spill_count: 0
    .symbol:         _ZN7rocprim17ROCPRIM_400000_NS6detail17trampoline_kernelINS0_13select_configILj256ELj13ELNS0_17block_load_methodE3ELS4_3ELS4_3ELNS0_20block_scan_algorithmE0ELj4294967295EEENS1_25partition_config_selectorILNS1_17partition_subalgoE4EjNS0_10empty_typeEbEEZZNS1_14partition_implILS8_4ELb0ES6_15HIP_vector_typeIjLj2EENS0_17counting_iteratorIjlEEPS9_SG_NS0_5tupleIJPjSI_NS0_16reverse_iteratorISI_EEEEENSH_IJSG_SG_SG_EEES9_SI_JZNS1_25segmented_radix_sort_implINS0_14default_configELb1EPKlPlSQ_SR_N2at6native12_GLOBAL__N_18offset_tEEE10hipError_tPvRmT1_PNSt15iterator_traitsISZ_E10value_typeET2_T3_PNS10_IS15_E10value_typeET4_jRbjT5_S1B_jjP12ihipStream_tbEUljE_ZNSN_ISO_Lb1ESQ_SR_SQ_SR_SV_EESW_SX_SY_SZ_S13_S14_S15_S18_S19_jS1A_jS1B_S1B_jjS1D_bEUljE0_EEESW_SX_SY_S15_S19_S1B_T6_T7_T9_mT8_S1D_bDpT10_ENKUlT_T0_E_clISt17integral_constantIbLb1EES1R_EEDaS1M_S1N_EUlS1M_E_NS1_11comp_targetILNS1_3genE0ELNS1_11target_archE4294967295ELNS1_3gpuE0ELNS1_3repE0EEENS1_30default_config_static_selectorELNS0_4arch9wavefront6targetE1EEEvSZ_.kd
    .uniform_work_group_size: 1
    .uses_dynamic_stack: false
    .vgpr_count:     0
    .vgpr_spill_count: 0
    .wavefront_size: 64
  - .agpr_count:     0
    .args:
      - .offset:         0
        .size:           184
        .value_kind:     by_value
    .group_segment_fixed_size: 0
    .kernarg_segment_align: 8
    .kernarg_segment_size: 184
    .language:       OpenCL C
    .language_version:
      - 2
      - 0
    .max_flat_workgroup_size: 256
    .name:           _ZN7rocprim17ROCPRIM_400000_NS6detail17trampoline_kernelINS0_13select_configILj256ELj13ELNS0_17block_load_methodE3ELS4_3ELS4_3ELNS0_20block_scan_algorithmE0ELj4294967295EEENS1_25partition_config_selectorILNS1_17partition_subalgoE4EjNS0_10empty_typeEbEEZZNS1_14partition_implILS8_4ELb0ES6_15HIP_vector_typeIjLj2EENS0_17counting_iteratorIjlEEPS9_SG_NS0_5tupleIJPjSI_NS0_16reverse_iteratorISI_EEEEENSH_IJSG_SG_SG_EEES9_SI_JZNS1_25segmented_radix_sort_implINS0_14default_configELb1EPKlPlSQ_SR_N2at6native12_GLOBAL__N_18offset_tEEE10hipError_tPvRmT1_PNSt15iterator_traitsISZ_E10value_typeET2_T3_PNS10_IS15_E10value_typeET4_jRbjT5_S1B_jjP12ihipStream_tbEUljE_ZNSN_ISO_Lb1ESQ_SR_SQ_SR_SV_EESW_SX_SY_SZ_S13_S14_S15_S18_S19_jS1A_jS1B_S1B_jjS1D_bEUljE0_EEESW_SX_SY_S15_S19_S1B_T6_T7_T9_mT8_S1D_bDpT10_ENKUlT_T0_E_clISt17integral_constantIbLb1EES1R_EEDaS1M_S1N_EUlS1M_E_NS1_11comp_targetILNS1_3genE5ELNS1_11target_archE942ELNS1_3gpuE9ELNS1_3repE0EEENS1_30default_config_static_selectorELNS0_4arch9wavefront6targetE1EEEvSZ_
    .private_segment_fixed_size: 0
    .sgpr_count:     4
    .sgpr_spill_count: 0
    .symbol:         _ZN7rocprim17ROCPRIM_400000_NS6detail17trampoline_kernelINS0_13select_configILj256ELj13ELNS0_17block_load_methodE3ELS4_3ELS4_3ELNS0_20block_scan_algorithmE0ELj4294967295EEENS1_25partition_config_selectorILNS1_17partition_subalgoE4EjNS0_10empty_typeEbEEZZNS1_14partition_implILS8_4ELb0ES6_15HIP_vector_typeIjLj2EENS0_17counting_iteratorIjlEEPS9_SG_NS0_5tupleIJPjSI_NS0_16reverse_iteratorISI_EEEEENSH_IJSG_SG_SG_EEES9_SI_JZNS1_25segmented_radix_sort_implINS0_14default_configELb1EPKlPlSQ_SR_N2at6native12_GLOBAL__N_18offset_tEEE10hipError_tPvRmT1_PNSt15iterator_traitsISZ_E10value_typeET2_T3_PNS10_IS15_E10value_typeET4_jRbjT5_S1B_jjP12ihipStream_tbEUljE_ZNSN_ISO_Lb1ESQ_SR_SQ_SR_SV_EESW_SX_SY_SZ_S13_S14_S15_S18_S19_jS1A_jS1B_S1B_jjS1D_bEUljE0_EEESW_SX_SY_S15_S19_S1B_T6_T7_T9_mT8_S1D_bDpT10_ENKUlT_T0_E_clISt17integral_constantIbLb1EES1R_EEDaS1M_S1N_EUlS1M_E_NS1_11comp_targetILNS1_3genE5ELNS1_11target_archE942ELNS1_3gpuE9ELNS1_3repE0EEENS1_30default_config_static_selectorELNS0_4arch9wavefront6targetE1EEEvSZ_.kd
    .uniform_work_group_size: 1
    .uses_dynamic_stack: false
    .vgpr_count:     0
    .vgpr_spill_count: 0
    .wavefront_size: 64
  - .agpr_count:     0
    .args:
      - .offset:         0
        .size:           184
        .value_kind:     by_value
    .group_segment_fixed_size: 13340
    .kernarg_segment_align: 8
    .kernarg_segment_size: 184
    .language:       OpenCL C
    .language_version:
      - 2
      - 0
    .max_flat_workgroup_size: 256
    .name:           _ZN7rocprim17ROCPRIM_400000_NS6detail17trampoline_kernelINS0_13select_configILj256ELj13ELNS0_17block_load_methodE3ELS4_3ELS4_3ELNS0_20block_scan_algorithmE0ELj4294967295EEENS1_25partition_config_selectorILNS1_17partition_subalgoE4EjNS0_10empty_typeEbEEZZNS1_14partition_implILS8_4ELb0ES6_15HIP_vector_typeIjLj2EENS0_17counting_iteratorIjlEEPS9_SG_NS0_5tupleIJPjSI_NS0_16reverse_iteratorISI_EEEEENSH_IJSG_SG_SG_EEES9_SI_JZNS1_25segmented_radix_sort_implINS0_14default_configELb1EPKlPlSQ_SR_N2at6native12_GLOBAL__N_18offset_tEEE10hipError_tPvRmT1_PNSt15iterator_traitsISZ_E10value_typeET2_T3_PNS10_IS15_E10value_typeET4_jRbjT5_S1B_jjP12ihipStream_tbEUljE_ZNSN_ISO_Lb1ESQ_SR_SQ_SR_SV_EESW_SX_SY_SZ_S13_S14_S15_S18_S19_jS1A_jS1B_S1B_jjS1D_bEUljE0_EEESW_SX_SY_S15_S19_S1B_T6_T7_T9_mT8_S1D_bDpT10_ENKUlT_T0_E_clISt17integral_constantIbLb1EES1R_EEDaS1M_S1N_EUlS1M_E_NS1_11comp_targetILNS1_3genE4ELNS1_11target_archE910ELNS1_3gpuE8ELNS1_3repE0EEENS1_30default_config_static_selectorELNS0_4arch9wavefront6targetE1EEEvSZ_
    .private_segment_fixed_size: 0
    .sgpr_count:     91
    .sgpr_spill_count: 0
    .symbol:         _ZN7rocprim17ROCPRIM_400000_NS6detail17trampoline_kernelINS0_13select_configILj256ELj13ELNS0_17block_load_methodE3ELS4_3ELS4_3ELNS0_20block_scan_algorithmE0ELj4294967295EEENS1_25partition_config_selectorILNS1_17partition_subalgoE4EjNS0_10empty_typeEbEEZZNS1_14partition_implILS8_4ELb0ES6_15HIP_vector_typeIjLj2EENS0_17counting_iteratorIjlEEPS9_SG_NS0_5tupleIJPjSI_NS0_16reverse_iteratorISI_EEEEENSH_IJSG_SG_SG_EEES9_SI_JZNS1_25segmented_radix_sort_implINS0_14default_configELb1EPKlPlSQ_SR_N2at6native12_GLOBAL__N_18offset_tEEE10hipError_tPvRmT1_PNSt15iterator_traitsISZ_E10value_typeET2_T3_PNS10_IS15_E10value_typeET4_jRbjT5_S1B_jjP12ihipStream_tbEUljE_ZNSN_ISO_Lb1ESQ_SR_SQ_SR_SV_EESW_SX_SY_SZ_S13_S14_S15_S18_S19_jS1A_jS1B_S1B_jjS1D_bEUljE0_EEESW_SX_SY_S15_S19_S1B_T6_T7_T9_mT8_S1D_bDpT10_ENKUlT_T0_E_clISt17integral_constantIbLb1EES1R_EEDaS1M_S1N_EUlS1M_E_NS1_11comp_targetILNS1_3genE4ELNS1_11target_archE910ELNS1_3gpuE8ELNS1_3repE0EEENS1_30default_config_static_selectorELNS0_4arch9wavefront6targetE1EEEvSZ_.kd
    .uniform_work_group_size: 1
    .uses_dynamic_stack: false
    .vgpr_count:     107
    .vgpr_spill_count: 0
    .wavefront_size: 64
  - .agpr_count:     0
    .args:
      - .offset:         0
        .size:           184
        .value_kind:     by_value
    .group_segment_fixed_size: 0
    .kernarg_segment_align: 8
    .kernarg_segment_size: 184
    .language:       OpenCL C
    .language_version:
      - 2
      - 0
    .max_flat_workgroup_size: 256
    .name:           _ZN7rocprim17ROCPRIM_400000_NS6detail17trampoline_kernelINS0_13select_configILj256ELj13ELNS0_17block_load_methodE3ELS4_3ELS4_3ELNS0_20block_scan_algorithmE0ELj4294967295EEENS1_25partition_config_selectorILNS1_17partition_subalgoE4EjNS0_10empty_typeEbEEZZNS1_14partition_implILS8_4ELb0ES6_15HIP_vector_typeIjLj2EENS0_17counting_iteratorIjlEEPS9_SG_NS0_5tupleIJPjSI_NS0_16reverse_iteratorISI_EEEEENSH_IJSG_SG_SG_EEES9_SI_JZNS1_25segmented_radix_sort_implINS0_14default_configELb1EPKlPlSQ_SR_N2at6native12_GLOBAL__N_18offset_tEEE10hipError_tPvRmT1_PNSt15iterator_traitsISZ_E10value_typeET2_T3_PNS10_IS15_E10value_typeET4_jRbjT5_S1B_jjP12ihipStream_tbEUljE_ZNSN_ISO_Lb1ESQ_SR_SQ_SR_SV_EESW_SX_SY_SZ_S13_S14_S15_S18_S19_jS1A_jS1B_S1B_jjS1D_bEUljE0_EEESW_SX_SY_S15_S19_S1B_T6_T7_T9_mT8_S1D_bDpT10_ENKUlT_T0_E_clISt17integral_constantIbLb1EES1R_EEDaS1M_S1N_EUlS1M_E_NS1_11comp_targetILNS1_3genE3ELNS1_11target_archE908ELNS1_3gpuE7ELNS1_3repE0EEENS1_30default_config_static_selectorELNS0_4arch9wavefront6targetE1EEEvSZ_
    .private_segment_fixed_size: 0
    .sgpr_count:     4
    .sgpr_spill_count: 0
    .symbol:         _ZN7rocprim17ROCPRIM_400000_NS6detail17trampoline_kernelINS0_13select_configILj256ELj13ELNS0_17block_load_methodE3ELS4_3ELS4_3ELNS0_20block_scan_algorithmE0ELj4294967295EEENS1_25partition_config_selectorILNS1_17partition_subalgoE4EjNS0_10empty_typeEbEEZZNS1_14partition_implILS8_4ELb0ES6_15HIP_vector_typeIjLj2EENS0_17counting_iteratorIjlEEPS9_SG_NS0_5tupleIJPjSI_NS0_16reverse_iteratorISI_EEEEENSH_IJSG_SG_SG_EEES9_SI_JZNS1_25segmented_radix_sort_implINS0_14default_configELb1EPKlPlSQ_SR_N2at6native12_GLOBAL__N_18offset_tEEE10hipError_tPvRmT1_PNSt15iterator_traitsISZ_E10value_typeET2_T3_PNS10_IS15_E10value_typeET4_jRbjT5_S1B_jjP12ihipStream_tbEUljE_ZNSN_ISO_Lb1ESQ_SR_SQ_SR_SV_EESW_SX_SY_SZ_S13_S14_S15_S18_S19_jS1A_jS1B_S1B_jjS1D_bEUljE0_EEESW_SX_SY_S15_S19_S1B_T6_T7_T9_mT8_S1D_bDpT10_ENKUlT_T0_E_clISt17integral_constantIbLb1EES1R_EEDaS1M_S1N_EUlS1M_E_NS1_11comp_targetILNS1_3genE3ELNS1_11target_archE908ELNS1_3gpuE7ELNS1_3repE0EEENS1_30default_config_static_selectorELNS0_4arch9wavefront6targetE1EEEvSZ_.kd
    .uniform_work_group_size: 1
    .uses_dynamic_stack: false
    .vgpr_count:     0
    .vgpr_spill_count: 0
    .wavefront_size: 64
  - .agpr_count:     0
    .args:
      - .offset:         0
        .size:           184
        .value_kind:     by_value
    .group_segment_fixed_size: 0
    .kernarg_segment_align: 8
    .kernarg_segment_size: 184
    .language:       OpenCL C
    .language_version:
      - 2
      - 0
    .max_flat_workgroup_size: 256
    .name:           _ZN7rocprim17ROCPRIM_400000_NS6detail17trampoline_kernelINS0_13select_configILj256ELj13ELNS0_17block_load_methodE3ELS4_3ELS4_3ELNS0_20block_scan_algorithmE0ELj4294967295EEENS1_25partition_config_selectorILNS1_17partition_subalgoE4EjNS0_10empty_typeEbEEZZNS1_14partition_implILS8_4ELb0ES6_15HIP_vector_typeIjLj2EENS0_17counting_iteratorIjlEEPS9_SG_NS0_5tupleIJPjSI_NS0_16reverse_iteratorISI_EEEEENSH_IJSG_SG_SG_EEES9_SI_JZNS1_25segmented_radix_sort_implINS0_14default_configELb1EPKlPlSQ_SR_N2at6native12_GLOBAL__N_18offset_tEEE10hipError_tPvRmT1_PNSt15iterator_traitsISZ_E10value_typeET2_T3_PNS10_IS15_E10value_typeET4_jRbjT5_S1B_jjP12ihipStream_tbEUljE_ZNSN_ISO_Lb1ESQ_SR_SQ_SR_SV_EESW_SX_SY_SZ_S13_S14_S15_S18_S19_jS1A_jS1B_S1B_jjS1D_bEUljE0_EEESW_SX_SY_S15_S19_S1B_T6_T7_T9_mT8_S1D_bDpT10_ENKUlT_T0_E_clISt17integral_constantIbLb1EES1R_EEDaS1M_S1N_EUlS1M_E_NS1_11comp_targetILNS1_3genE2ELNS1_11target_archE906ELNS1_3gpuE6ELNS1_3repE0EEENS1_30default_config_static_selectorELNS0_4arch9wavefront6targetE1EEEvSZ_
    .private_segment_fixed_size: 0
    .sgpr_count:     4
    .sgpr_spill_count: 0
    .symbol:         _ZN7rocprim17ROCPRIM_400000_NS6detail17trampoline_kernelINS0_13select_configILj256ELj13ELNS0_17block_load_methodE3ELS4_3ELS4_3ELNS0_20block_scan_algorithmE0ELj4294967295EEENS1_25partition_config_selectorILNS1_17partition_subalgoE4EjNS0_10empty_typeEbEEZZNS1_14partition_implILS8_4ELb0ES6_15HIP_vector_typeIjLj2EENS0_17counting_iteratorIjlEEPS9_SG_NS0_5tupleIJPjSI_NS0_16reverse_iteratorISI_EEEEENSH_IJSG_SG_SG_EEES9_SI_JZNS1_25segmented_radix_sort_implINS0_14default_configELb1EPKlPlSQ_SR_N2at6native12_GLOBAL__N_18offset_tEEE10hipError_tPvRmT1_PNSt15iterator_traitsISZ_E10value_typeET2_T3_PNS10_IS15_E10value_typeET4_jRbjT5_S1B_jjP12ihipStream_tbEUljE_ZNSN_ISO_Lb1ESQ_SR_SQ_SR_SV_EESW_SX_SY_SZ_S13_S14_S15_S18_S19_jS1A_jS1B_S1B_jjS1D_bEUljE0_EEESW_SX_SY_S15_S19_S1B_T6_T7_T9_mT8_S1D_bDpT10_ENKUlT_T0_E_clISt17integral_constantIbLb1EES1R_EEDaS1M_S1N_EUlS1M_E_NS1_11comp_targetILNS1_3genE2ELNS1_11target_archE906ELNS1_3gpuE6ELNS1_3repE0EEENS1_30default_config_static_selectorELNS0_4arch9wavefront6targetE1EEEvSZ_.kd
    .uniform_work_group_size: 1
    .uses_dynamic_stack: false
    .vgpr_count:     0
    .vgpr_spill_count: 0
    .wavefront_size: 64
  - .agpr_count:     0
    .args:
      - .offset:         0
        .size:           184
        .value_kind:     by_value
    .group_segment_fixed_size: 0
    .kernarg_segment_align: 8
    .kernarg_segment_size: 184
    .language:       OpenCL C
    .language_version:
      - 2
      - 0
    .max_flat_workgroup_size: 256
    .name:           _ZN7rocprim17ROCPRIM_400000_NS6detail17trampoline_kernelINS0_13select_configILj256ELj13ELNS0_17block_load_methodE3ELS4_3ELS4_3ELNS0_20block_scan_algorithmE0ELj4294967295EEENS1_25partition_config_selectorILNS1_17partition_subalgoE4EjNS0_10empty_typeEbEEZZNS1_14partition_implILS8_4ELb0ES6_15HIP_vector_typeIjLj2EENS0_17counting_iteratorIjlEEPS9_SG_NS0_5tupleIJPjSI_NS0_16reverse_iteratorISI_EEEEENSH_IJSG_SG_SG_EEES9_SI_JZNS1_25segmented_radix_sort_implINS0_14default_configELb1EPKlPlSQ_SR_N2at6native12_GLOBAL__N_18offset_tEEE10hipError_tPvRmT1_PNSt15iterator_traitsISZ_E10value_typeET2_T3_PNS10_IS15_E10value_typeET4_jRbjT5_S1B_jjP12ihipStream_tbEUljE_ZNSN_ISO_Lb1ESQ_SR_SQ_SR_SV_EESW_SX_SY_SZ_S13_S14_S15_S18_S19_jS1A_jS1B_S1B_jjS1D_bEUljE0_EEESW_SX_SY_S15_S19_S1B_T6_T7_T9_mT8_S1D_bDpT10_ENKUlT_T0_E_clISt17integral_constantIbLb1EES1R_EEDaS1M_S1N_EUlS1M_E_NS1_11comp_targetILNS1_3genE10ELNS1_11target_archE1200ELNS1_3gpuE4ELNS1_3repE0EEENS1_30default_config_static_selectorELNS0_4arch9wavefront6targetE1EEEvSZ_
    .private_segment_fixed_size: 0
    .sgpr_count:     4
    .sgpr_spill_count: 0
    .symbol:         _ZN7rocprim17ROCPRIM_400000_NS6detail17trampoline_kernelINS0_13select_configILj256ELj13ELNS0_17block_load_methodE3ELS4_3ELS4_3ELNS0_20block_scan_algorithmE0ELj4294967295EEENS1_25partition_config_selectorILNS1_17partition_subalgoE4EjNS0_10empty_typeEbEEZZNS1_14partition_implILS8_4ELb0ES6_15HIP_vector_typeIjLj2EENS0_17counting_iteratorIjlEEPS9_SG_NS0_5tupleIJPjSI_NS0_16reverse_iteratorISI_EEEEENSH_IJSG_SG_SG_EEES9_SI_JZNS1_25segmented_radix_sort_implINS0_14default_configELb1EPKlPlSQ_SR_N2at6native12_GLOBAL__N_18offset_tEEE10hipError_tPvRmT1_PNSt15iterator_traitsISZ_E10value_typeET2_T3_PNS10_IS15_E10value_typeET4_jRbjT5_S1B_jjP12ihipStream_tbEUljE_ZNSN_ISO_Lb1ESQ_SR_SQ_SR_SV_EESW_SX_SY_SZ_S13_S14_S15_S18_S19_jS1A_jS1B_S1B_jjS1D_bEUljE0_EEESW_SX_SY_S15_S19_S1B_T6_T7_T9_mT8_S1D_bDpT10_ENKUlT_T0_E_clISt17integral_constantIbLb1EES1R_EEDaS1M_S1N_EUlS1M_E_NS1_11comp_targetILNS1_3genE10ELNS1_11target_archE1200ELNS1_3gpuE4ELNS1_3repE0EEENS1_30default_config_static_selectorELNS0_4arch9wavefront6targetE1EEEvSZ_.kd
    .uniform_work_group_size: 1
    .uses_dynamic_stack: false
    .vgpr_count:     0
    .vgpr_spill_count: 0
    .wavefront_size: 64
  - .agpr_count:     0
    .args:
      - .offset:         0
        .size:           184
        .value_kind:     by_value
    .group_segment_fixed_size: 0
    .kernarg_segment_align: 8
    .kernarg_segment_size: 184
    .language:       OpenCL C
    .language_version:
      - 2
      - 0
    .max_flat_workgroup_size: 256
    .name:           _ZN7rocprim17ROCPRIM_400000_NS6detail17trampoline_kernelINS0_13select_configILj256ELj13ELNS0_17block_load_methodE3ELS4_3ELS4_3ELNS0_20block_scan_algorithmE0ELj4294967295EEENS1_25partition_config_selectorILNS1_17partition_subalgoE4EjNS0_10empty_typeEbEEZZNS1_14partition_implILS8_4ELb0ES6_15HIP_vector_typeIjLj2EENS0_17counting_iteratorIjlEEPS9_SG_NS0_5tupleIJPjSI_NS0_16reverse_iteratorISI_EEEEENSH_IJSG_SG_SG_EEES9_SI_JZNS1_25segmented_radix_sort_implINS0_14default_configELb1EPKlPlSQ_SR_N2at6native12_GLOBAL__N_18offset_tEEE10hipError_tPvRmT1_PNSt15iterator_traitsISZ_E10value_typeET2_T3_PNS10_IS15_E10value_typeET4_jRbjT5_S1B_jjP12ihipStream_tbEUljE_ZNSN_ISO_Lb1ESQ_SR_SQ_SR_SV_EESW_SX_SY_SZ_S13_S14_S15_S18_S19_jS1A_jS1B_S1B_jjS1D_bEUljE0_EEESW_SX_SY_S15_S19_S1B_T6_T7_T9_mT8_S1D_bDpT10_ENKUlT_T0_E_clISt17integral_constantIbLb1EES1R_EEDaS1M_S1N_EUlS1M_E_NS1_11comp_targetILNS1_3genE9ELNS1_11target_archE1100ELNS1_3gpuE3ELNS1_3repE0EEENS1_30default_config_static_selectorELNS0_4arch9wavefront6targetE1EEEvSZ_
    .private_segment_fixed_size: 0
    .sgpr_count:     4
    .sgpr_spill_count: 0
    .symbol:         _ZN7rocprim17ROCPRIM_400000_NS6detail17trampoline_kernelINS0_13select_configILj256ELj13ELNS0_17block_load_methodE3ELS4_3ELS4_3ELNS0_20block_scan_algorithmE0ELj4294967295EEENS1_25partition_config_selectorILNS1_17partition_subalgoE4EjNS0_10empty_typeEbEEZZNS1_14partition_implILS8_4ELb0ES6_15HIP_vector_typeIjLj2EENS0_17counting_iteratorIjlEEPS9_SG_NS0_5tupleIJPjSI_NS0_16reverse_iteratorISI_EEEEENSH_IJSG_SG_SG_EEES9_SI_JZNS1_25segmented_radix_sort_implINS0_14default_configELb1EPKlPlSQ_SR_N2at6native12_GLOBAL__N_18offset_tEEE10hipError_tPvRmT1_PNSt15iterator_traitsISZ_E10value_typeET2_T3_PNS10_IS15_E10value_typeET4_jRbjT5_S1B_jjP12ihipStream_tbEUljE_ZNSN_ISO_Lb1ESQ_SR_SQ_SR_SV_EESW_SX_SY_SZ_S13_S14_S15_S18_S19_jS1A_jS1B_S1B_jjS1D_bEUljE0_EEESW_SX_SY_S15_S19_S1B_T6_T7_T9_mT8_S1D_bDpT10_ENKUlT_T0_E_clISt17integral_constantIbLb1EES1R_EEDaS1M_S1N_EUlS1M_E_NS1_11comp_targetILNS1_3genE9ELNS1_11target_archE1100ELNS1_3gpuE3ELNS1_3repE0EEENS1_30default_config_static_selectorELNS0_4arch9wavefront6targetE1EEEvSZ_.kd
    .uniform_work_group_size: 1
    .uses_dynamic_stack: false
    .vgpr_count:     0
    .vgpr_spill_count: 0
    .wavefront_size: 64
  - .agpr_count:     0
    .args:
      - .offset:         0
        .size:           184
        .value_kind:     by_value
    .group_segment_fixed_size: 0
    .kernarg_segment_align: 8
    .kernarg_segment_size: 184
    .language:       OpenCL C
    .language_version:
      - 2
      - 0
    .max_flat_workgroup_size: 256
    .name:           _ZN7rocprim17ROCPRIM_400000_NS6detail17trampoline_kernelINS0_13select_configILj256ELj13ELNS0_17block_load_methodE3ELS4_3ELS4_3ELNS0_20block_scan_algorithmE0ELj4294967295EEENS1_25partition_config_selectorILNS1_17partition_subalgoE4EjNS0_10empty_typeEbEEZZNS1_14partition_implILS8_4ELb0ES6_15HIP_vector_typeIjLj2EENS0_17counting_iteratorIjlEEPS9_SG_NS0_5tupleIJPjSI_NS0_16reverse_iteratorISI_EEEEENSH_IJSG_SG_SG_EEES9_SI_JZNS1_25segmented_radix_sort_implINS0_14default_configELb1EPKlPlSQ_SR_N2at6native12_GLOBAL__N_18offset_tEEE10hipError_tPvRmT1_PNSt15iterator_traitsISZ_E10value_typeET2_T3_PNS10_IS15_E10value_typeET4_jRbjT5_S1B_jjP12ihipStream_tbEUljE_ZNSN_ISO_Lb1ESQ_SR_SQ_SR_SV_EESW_SX_SY_SZ_S13_S14_S15_S18_S19_jS1A_jS1B_S1B_jjS1D_bEUljE0_EEESW_SX_SY_S15_S19_S1B_T6_T7_T9_mT8_S1D_bDpT10_ENKUlT_T0_E_clISt17integral_constantIbLb1EES1R_EEDaS1M_S1N_EUlS1M_E_NS1_11comp_targetILNS1_3genE8ELNS1_11target_archE1030ELNS1_3gpuE2ELNS1_3repE0EEENS1_30default_config_static_selectorELNS0_4arch9wavefront6targetE1EEEvSZ_
    .private_segment_fixed_size: 0
    .sgpr_count:     4
    .sgpr_spill_count: 0
    .symbol:         _ZN7rocprim17ROCPRIM_400000_NS6detail17trampoline_kernelINS0_13select_configILj256ELj13ELNS0_17block_load_methodE3ELS4_3ELS4_3ELNS0_20block_scan_algorithmE0ELj4294967295EEENS1_25partition_config_selectorILNS1_17partition_subalgoE4EjNS0_10empty_typeEbEEZZNS1_14partition_implILS8_4ELb0ES6_15HIP_vector_typeIjLj2EENS0_17counting_iteratorIjlEEPS9_SG_NS0_5tupleIJPjSI_NS0_16reverse_iteratorISI_EEEEENSH_IJSG_SG_SG_EEES9_SI_JZNS1_25segmented_radix_sort_implINS0_14default_configELb1EPKlPlSQ_SR_N2at6native12_GLOBAL__N_18offset_tEEE10hipError_tPvRmT1_PNSt15iterator_traitsISZ_E10value_typeET2_T3_PNS10_IS15_E10value_typeET4_jRbjT5_S1B_jjP12ihipStream_tbEUljE_ZNSN_ISO_Lb1ESQ_SR_SQ_SR_SV_EESW_SX_SY_SZ_S13_S14_S15_S18_S19_jS1A_jS1B_S1B_jjS1D_bEUljE0_EEESW_SX_SY_S15_S19_S1B_T6_T7_T9_mT8_S1D_bDpT10_ENKUlT_T0_E_clISt17integral_constantIbLb1EES1R_EEDaS1M_S1N_EUlS1M_E_NS1_11comp_targetILNS1_3genE8ELNS1_11target_archE1030ELNS1_3gpuE2ELNS1_3repE0EEENS1_30default_config_static_selectorELNS0_4arch9wavefront6targetE1EEEvSZ_.kd
    .uniform_work_group_size: 1
    .uses_dynamic_stack: false
    .vgpr_count:     0
    .vgpr_spill_count: 0
    .wavefront_size: 64
  - .agpr_count:     0
    .args:
      - .offset:         0
        .size:           176
        .value_kind:     by_value
    .group_segment_fixed_size: 0
    .kernarg_segment_align: 8
    .kernarg_segment_size: 176
    .language:       OpenCL C
    .language_version:
      - 2
      - 0
    .max_flat_workgroup_size: 256
    .name:           _ZN7rocprim17ROCPRIM_400000_NS6detail17trampoline_kernelINS0_13select_configILj256ELj13ELNS0_17block_load_methodE3ELS4_3ELS4_3ELNS0_20block_scan_algorithmE0ELj4294967295EEENS1_25partition_config_selectorILNS1_17partition_subalgoE4EjNS0_10empty_typeEbEEZZNS1_14partition_implILS8_4ELb0ES6_15HIP_vector_typeIjLj2EENS0_17counting_iteratorIjlEEPS9_SG_NS0_5tupleIJPjSI_NS0_16reverse_iteratorISI_EEEEENSH_IJSG_SG_SG_EEES9_SI_JZNS1_25segmented_radix_sort_implINS0_14default_configELb1EPKlPlSQ_SR_N2at6native12_GLOBAL__N_18offset_tEEE10hipError_tPvRmT1_PNSt15iterator_traitsISZ_E10value_typeET2_T3_PNS10_IS15_E10value_typeET4_jRbjT5_S1B_jjP12ihipStream_tbEUljE_ZNSN_ISO_Lb1ESQ_SR_SQ_SR_SV_EESW_SX_SY_SZ_S13_S14_S15_S18_S19_jS1A_jS1B_S1B_jjS1D_bEUljE0_EEESW_SX_SY_S15_S19_S1B_T6_T7_T9_mT8_S1D_bDpT10_ENKUlT_T0_E_clISt17integral_constantIbLb1EES1Q_IbLb0EEEEDaS1M_S1N_EUlS1M_E_NS1_11comp_targetILNS1_3genE0ELNS1_11target_archE4294967295ELNS1_3gpuE0ELNS1_3repE0EEENS1_30default_config_static_selectorELNS0_4arch9wavefront6targetE1EEEvSZ_
    .private_segment_fixed_size: 0
    .sgpr_count:     4
    .sgpr_spill_count: 0
    .symbol:         _ZN7rocprim17ROCPRIM_400000_NS6detail17trampoline_kernelINS0_13select_configILj256ELj13ELNS0_17block_load_methodE3ELS4_3ELS4_3ELNS0_20block_scan_algorithmE0ELj4294967295EEENS1_25partition_config_selectorILNS1_17partition_subalgoE4EjNS0_10empty_typeEbEEZZNS1_14partition_implILS8_4ELb0ES6_15HIP_vector_typeIjLj2EENS0_17counting_iteratorIjlEEPS9_SG_NS0_5tupleIJPjSI_NS0_16reverse_iteratorISI_EEEEENSH_IJSG_SG_SG_EEES9_SI_JZNS1_25segmented_radix_sort_implINS0_14default_configELb1EPKlPlSQ_SR_N2at6native12_GLOBAL__N_18offset_tEEE10hipError_tPvRmT1_PNSt15iterator_traitsISZ_E10value_typeET2_T3_PNS10_IS15_E10value_typeET4_jRbjT5_S1B_jjP12ihipStream_tbEUljE_ZNSN_ISO_Lb1ESQ_SR_SQ_SR_SV_EESW_SX_SY_SZ_S13_S14_S15_S18_S19_jS1A_jS1B_S1B_jjS1D_bEUljE0_EEESW_SX_SY_S15_S19_S1B_T6_T7_T9_mT8_S1D_bDpT10_ENKUlT_T0_E_clISt17integral_constantIbLb1EES1Q_IbLb0EEEEDaS1M_S1N_EUlS1M_E_NS1_11comp_targetILNS1_3genE0ELNS1_11target_archE4294967295ELNS1_3gpuE0ELNS1_3repE0EEENS1_30default_config_static_selectorELNS0_4arch9wavefront6targetE1EEEvSZ_.kd
    .uniform_work_group_size: 1
    .uses_dynamic_stack: false
    .vgpr_count:     0
    .vgpr_spill_count: 0
    .wavefront_size: 64
  - .agpr_count:     0
    .args:
      - .offset:         0
        .size:           176
        .value_kind:     by_value
    .group_segment_fixed_size: 0
    .kernarg_segment_align: 8
    .kernarg_segment_size: 176
    .language:       OpenCL C
    .language_version:
      - 2
      - 0
    .max_flat_workgroup_size: 256
    .name:           _ZN7rocprim17ROCPRIM_400000_NS6detail17trampoline_kernelINS0_13select_configILj256ELj13ELNS0_17block_load_methodE3ELS4_3ELS4_3ELNS0_20block_scan_algorithmE0ELj4294967295EEENS1_25partition_config_selectorILNS1_17partition_subalgoE4EjNS0_10empty_typeEbEEZZNS1_14partition_implILS8_4ELb0ES6_15HIP_vector_typeIjLj2EENS0_17counting_iteratorIjlEEPS9_SG_NS0_5tupleIJPjSI_NS0_16reverse_iteratorISI_EEEEENSH_IJSG_SG_SG_EEES9_SI_JZNS1_25segmented_radix_sort_implINS0_14default_configELb1EPKlPlSQ_SR_N2at6native12_GLOBAL__N_18offset_tEEE10hipError_tPvRmT1_PNSt15iterator_traitsISZ_E10value_typeET2_T3_PNS10_IS15_E10value_typeET4_jRbjT5_S1B_jjP12ihipStream_tbEUljE_ZNSN_ISO_Lb1ESQ_SR_SQ_SR_SV_EESW_SX_SY_SZ_S13_S14_S15_S18_S19_jS1A_jS1B_S1B_jjS1D_bEUljE0_EEESW_SX_SY_S15_S19_S1B_T6_T7_T9_mT8_S1D_bDpT10_ENKUlT_T0_E_clISt17integral_constantIbLb1EES1Q_IbLb0EEEEDaS1M_S1N_EUlS1M_E_NS1_11comp_targetILNS1_3genE5ELNS1_11target_archE942ELNS1_3gpuE9ELNS1_3repE0EEENS1_30default_config_static_selectorELNS0_4arch9wavefront6targetE1EEEvSZ_
    .private_segment_fixed_size: 0
    .sgpr_count:     4
    .sgpr_spill_count: 0
    .symbol:         _ZN7rocprim17ROCPRIM_400000_NS6detail17trampoline_kernelINS0_13select_configILj256ELj13ELNS0_17block_load_methodE3ELS4_3ELS4_3ELNS0_20block_scan_algorithmE0ELj4294967295EEENS1_25partition_config_selectorILNS1_17partition_subalgoE4EjNS0_10empty_typeEbEEZZNS1_14partition_implILS8_4ELb0ES6_15HIP_vector_typeIjLj2EENS0_17counting_iteratorIjlEEPS9_SG_NS0_5tupleIJPjSI_NS0_16reverse_iteratorISI_EEEEENSH_IJSG_SG_SG_EEES9_SI_JZNS1_25segmented_radix_sort_implINS0_14default_configELb1EPKlPlSQ_SR_N2at6native12_GLOBAL__N_18offset_tEEE10hipError_tPvRmT1_PNSt15iterator_traitsISZ_E10value_typeET2_T3_PNS10_IS15_E10value_typeET4_jRbjT5_S1B_jjP12ihipStream_tbEUljE_ZNSN_ISO_Lb1ESQ_SR_SQ_SR_SV_EESW_SX_SY_SZ_S13_S14_S15_S18_S19_jS1A_jS1B_S1B_jjS1D_bEUljE0_EEESW_SX_SY_S15_S19_S1B_T6_T7_T9_mT8_S1D_bDpT10_ENKUlT_T0_E_clISt17integral_constantIbLb1EES1Q_IbLb0EEEEDaS1M_S1N_EUlS1M_E_NS1_11comp_targetILNS1_3genE5ELNS1_11target_archE942ELNS1_3gpuE9ELNS1_3repE0EEENS1_30default_config_static_selectorELNS0_4arch9wavefront6targetE1EEEvSZ_.kd
    .uniform_work_group_size: 1
    .uses_dynamic_stack: false
    .vgpr_count:     0
    .vgpr_spill_count: 0
    .wavefront_size: 64
  - .agpr_count:     0
    .args:
      - .offset:         0
        .size:           176
        .value_kind:     by_value
    .group_segment_fixed_size: 13340
    .kernarg_segment_align: 8
    .kernarg_segment_size: 176
    .language:       OpenCL C
    .language_version:
      - 2
      - 0
    .max_flat_workgroup_size: 256
    .name:           _ZN7rocprim17ROCPRIM_400000_NS6detail17trampoline_kernelINS0_13select_configILj256ELj13ELNS0_17block_load_methodE3ELS4_3ELS4_3ELNS0_20block_scan_algorithmE0ELj4294967295EEENS1_25partition_config_selectorILNS1_17partition_subalgoE4EjNS0_10empty_typeEbEEZZNS1_14partition_implILS8_4ELb0ES6_15HIP_vector_typeIjLj2EENS0_17counting_iteratorIjlEEPS9_SG_NS0_5tupleIJPjSI_NS0_16reverse_iteratorISI_EEEEENSH_IJSG_SG_SG_EEES9_SI_JZNS1_25segmented_radix_sort_implINS0_14default_configELb1EPKlPlSQ_SR_N2at6native12_GLOBAL__N_18offset_tEEE10hipError_tPvRmT1_PNSt15iterator_traitsISZ_E10value_typeET2_T3_PNS10_IS15_E10value_typeET4_jRbjT5_S1B_jjP12ihipStream_tbEUljE_ZNSN_ISO_Lb1ESQ_SR_SQ_SR_SV_EESW_SX_SY_SZ_S13_S14_S15_S18_S19_jS1A_jS1B_S1B_jjS1D_bEUljE0_EEESW_SX_SY_S15_S19_S1B_T6_T7_T9_mT8_S1D_bDpT10_ENKUlT_T0_E_clISt17integral_constantIbLb1EES1Q_IbLb0EEEEDaS1M_S1N_EUlS1M_E_NS1_11comp_targetILNS1_3genE4ELNS1_11target_archE910ELNS1_3gpuE8ELNS1_3repE0EEENS1_30default_config_static_selectorELNS0_4arch9wavefront6targetE1EEEvSZ_
    .private_segment_fixed_size: 0
    .sgpr_count:     94
    .sgpr_spill_count: 0
    .symbol:         _ZN7rocprim17ROCPRIM_400000_NS6detail17trampoline_kernelINS0_13select_configILj256ELj13ELNS0_17block_load_methodE3ELS4_3ELS4_3ELNS0_20block_scan_algorithmE0ELj4294967295EEENS1_25partition_config_selectorILNS1_17partition_subalgoE4EjNS0_10empty_typeEbEEZZNS1_14partition_implILS8_4ELb0ES6_15HIP_vector_typeIjLj2EENS0_17counting_iteratorIjlEEPS9_SG_NS0_5tupleIJPjSI_NS0_16reverse_iteratorISI_EEEEENSH_IJSG_SG_SG_EEES9_SI_JZNS1_25segmented_radix_sort_implINS0_14default_configELb1EPKlPlSQ_SR_N2at6native12_GLOBAL__N_18offset_tEEE10hipError_tPvRmT1_PNSt15iterator_traitsISZ_E10value_typeET2_T3_PNS10_IS15_E10value_typeET4_jRbjT5_S1B_jjP12ihipStream_tbEUljE_ZNSN_ISO_Lb1ESQ_SR_SQ_SR_SV_EESW_SX_SY_SZ_S13_S14_S15_S18_S19_jS1A_jS1B_S1B_jjS1D_bEUljE0_EEESW_SX_SY_S15_S19_S1B_T6_T7_T9_mT8_S1D_bDpT10_ENKUlT_T0_E_clISt17integral_constantIbLb1EES1Q_IbLb0EEEEDaS1M_S1N_EUlS1M_E_NS1_11comp_targetILNS1_3genE4ELNS1_11target_archE910ELNS1_3gpuE8ELNS1_3repE0EEENS1_30default_config_static_selectorELNS0_4arch9wavefront6targetE1EEEvSZ_.kd
    .uniform_work_group_size: 1
    .uses_dynamic_stack: false
    .vgpr_count:     102
    .vgpr_spill_count: 0
    .wavefront_size: 64
  - .agpr_count:     0
    .args:
      - .offset:         0
        .size:           176
        .value_kind:     by_value
    .group_segment_fixed_size: 0
    .kernarg_segment_align: 8
    .kernarg_segment_size: 176
    .language:       OpenCL C
    .language_version:
      - 2
      - 0
    .max_flat_workgroup_size: 256
    .name:           _ZN7rocprim17ROCPRIM_400000_NS6detail17trampoline_kernelINS0_13select_configILj256ELj13ELNS0_17block_load_methodE3ELS4_3ELS4_3ELNS0_20block_scan_algorithmE0ELj4294967295EEENS1_25partition_config_selectorILNS1_17partition_subalgoE4EjNS0_10empty_typeEbEEZZNS1_14partition_implILS8_4ELb0ES6_15HIP_vector_typeIjLj2EENS0_17counting_iteratorIjlEEPS9_SG_NS0_5tupleIJPjSI_NS0_16reverse_iteratorISI_EEEEENSH_IJSG_SG_SG_EEES9_SI_JZNS1_25segmented_radix_sort_implINS0_14default_configELb1EPKlPlSQ_SR_N2at6native12_GLOBAL__N_18offset_tEEE10hipError_tPvRmT1_PNSt15iterator_traitsISZ_E10value_typeET2_T3_PNS10_IS15_E10value_typeET4_jRbjT5_S1B_jjP12ihipStream_tbEUljE_ZNSN_ISO_Lb1ESQ_SR_SQ_SR_SV_EESW_SX_SY_SZ_S13_S14_S15_S18_S19_jS1A_jS1B_S1B_jjS1D_bEUljE0_EEESW_SX_SY_S15_S19_S1B_T6_T7_T9_mT8_S1D_bDpT10_ENKUlT_T0_E_clISt17integral_constantIbLb1EES1Q_IbLb0EEEEDaS1M_S1N_EUlS1M_E_NS1_11comp_targetILNS1_3genE3ELNS1_11target_archE908ELNS1_3gpuE7ELNS1_3repE0EEENS1_30default_config_static_selectorELNS0_4arch9wavefront6targetE1EEEvSZ_
    .private_segment_fixed_size: 0
    .sgpr_count:     4
    .sgpr_spill_count: 0
    .symbol:         _ZN7rocprim17ROCPRIM_400000_NS6detail17trampoline_kernelINS0_13select_configILj256ELj13ELNS0_17block_load_methodE3ELS4_3ELS4_3ELNS0_20block_scan_algorithmE0ELj4294967295EEENS1_25partition_config_selectorILNS1_17partition_subalgoE4EjNS0_10empty_typeEbEEZZNS1_14partition_implILS8_4ELb0ES6_15HIP_vector_typeIjLj2EENS0_17counting_iteratorIjlEEPS9_SG_NS0_5tupleIJPjSI_NS0_16reverse_iteratorISI_EEEEENSH_IJSG_SG_SG_EEES9_SI_JZNS1_25segmented_radix_sort_implINS0_14default_configELb1EPKlPlSQ_SR_N2at6native12_GLOBAL__N_18offset_tEEE10hipError_tPvRmT1_PNSt15iterator_traitsISZ_E10value_typeET2_T3_PNS10_IS15_E10value_typeET4_jRbjT5_S1B_jjP12ihipStream_tbEUljE_ZNSN_ISO_Lb1ESQ_SR_SQ_SR_SV_EESW_SX_SY_SZ_S13_S14_S15_S18_S19_jS1A_jS1B_S1B_jjS1D_bEUljE0_EEESW_SX_SY_S15_S19_S1B_T6_T7_T9_mT8_S1D_bDpT10_ENKUlT_T0_E_clISt17integral_constantIbLb1EES1Q_IbLb0EEEEDaS1M_S1N_EUlS1M_E_NS1_11comp_targetILNS1_3genE3ELNS1_11target_archE908ELNS1_3gpuE7ELNS1_3repE0EEENS1_30default_config_static_selectorELNS0_4arch9wavefront6targetE1EEEvSZ_.kd
    .uniform_work_group_size: 1
    .uses_dynamic_stack: false
    .vgpr_count:     0
    .vgpr_spill_count: 0
    .wavefront_size: 64
  - .agpr_count:     0
    .args:
      - .offset:         0
        .size:           176
        .value_kind:     by_value
    .group_segment_fixed_size: 0
    .kernarg_segment_align: 8
    .kernarg_segment_size: 176
    .language:       OpenCL C
    .language_version:
      - 2
      - 0
    .max_flat_workgroup_size: 256
    .name:           _ZN7rocprim17ROCPRIM_400000_NS6detail17trampoline_kernelINS0_13select_configILj256ELj13ELNS0_17block_load_methodE3ELS4_3ELS4_3ELNS0_20block_scan_algorithmE0ELj4294967295EEENS1_25partition_config_selectorILNS1_17partition_subalgoE4EjNS0_10empty_typeEbEEZZNS1_14partition_implILS8_4ELb0ES6_15HIP_vector_typeIjLj2EENS0_17counting_iteratorIjlEEPS9_SG_NS0_5tupleIJPjSI_NS0_16reverse_iteratorISI_EEEEENSH_IJSG_SG_SG_EEES9_SI_JZNS1_25segmented_radix_sort_implINS0_14default_configELb1EPKlPlSQ_SR_N2at6native12_GLOBAL__N_18offset_tEEE10hipError_tPvRmT1_PNSt15iterator_traitsISZ_E10value_typeET2_T3_PNS10_IS15_E10value_typeET4_jRbjT5_S1B_jjP12ihipStream_tbEUljE_ZNSN_ISO_Lb1ESQ_SR_SQ_SR_SV_EESW_SX_SY_SZ_S13_S14_S15_S18_S19_jS1A_jS1B_S1B_jjS1D_bEUljE0_EEESW_SX_SY_S15_S19_S1B_T6_T7_T9_mT8_S1D_bDpT10_ENKUlT_T0_E_clISt17integral_constantIbLb1EES1Q_IbLb0EEEEDaS1M_S1N_EUlS1M_E_NS1_11comp_targetILNS1_3genE2ELNS1_11target_archE906ELNS1_3gpuE6ELNS1_3repE0EEENS1_30default_config_static_selectorELNS0_4arch9wavefront6targetE1EEEvSZ_
    .private_segment_fixed_size: 0
    .sgpr_count:     4
    .sgpr_spill_count: 0
    .symbol:         _ZN7rocprim17ROCPRIM_400000_NS6detail17trampoline_kernelINS0_13select_configILj256ELj13ELNS0_17block_load_methodE3ELS4_3ELS4_3ELNS0_20block_scan_algorithmE0ELj4294967295EEENS1_25partition_config_selectorILNS1_17partition_subalgoE4EjNS0_10empty_typeEbEEZZNS1_14partition_implILS8_4ELb0ES6_15HIP_vector_typeIjLj2EENS0_17counting_iteratorIjlEEPS9_SG_NS0_5tupleIJPjSI_NS0_16reverse_iteratorISI_EEEEENSH_IJSG_SG_SG_EEES9_SI_JZNS1_25segmented_radix_sort_implINS0_14default_configELb1EPKlPlSQ_SR_N2at6native12_GLOBAL__N_18offset_tEEE10hipError_tPvRmT1_PNSt15iterator_traitsISZ_E10value_typeET2_T3_PNS10_IS15_E10value_typeET4_jRbjT5_S1B_jjP12ihipStream_tbEUljE_ZNSN_ISO_Lb1ESQ_SR_SQ_SR_SV_EESW_SX_SY_SZ_S13_S14_S15_S18_S19_jS1A_jS1B_S1B_jjS1D_bEUljE0_EEESW_SX_SY_S15_S19_S1B_T6_T7_T9_mT8_S1D_bDpT10_ENKUlT_T0_E_clISt17integral_constantIbLb1EES1Q_IbLb0EEEEDaS1M_S1N_EUlS1M_E_NS1_11comp_targetILNS1_3genE2ELNS1_11target_archE906ELNS1_3gpuE6ELNS1_3repE0EEENS1_30default_config_static_selectorELNS0_4arch9wavefront6targetE1EEEvSZ_.kd
    .uniform_work_group_size: 1
    .uses_dynamic_stack: false
    .vgpr_count:     0
    .vgpr_spill_count: 0
    .wavefront_size: 64
  - .agpr_count:     0
    .args:
      - .offset:         0
        .size:           176
        .value_kind:     by_value
    .group_segment_fixed_size: 0
    .kernarg_segment_align: 8
    .kernarg_segment_size: 176
    .language:       OpenCL C
    .language_version:
      - 2
      - 0
    .max_flat_workgroup_size: 256
    .name:           _ZN7rocprim17ROCPRIM_400000_NS6detail17trampoline_kernelINS0_13select_configILj256ELj13ELNS0_17block_load_methodE3ELS4_3ELS4_3ELNS0_20block_scan_algorithmE0ELj4294967295EEENS1_25partition_config_selectorILNS1_17partition_subalgoE4EjNS0_10empty_typeEbEEZZNS1_14partition_implILS8_4ELb0ES6_15HIP_vector_typeIjLj2EENS0_17counting_iteratorIjlEEPS9_SG_NS0_5tupleIJPjSI_NS0_16reverse_iteratorISI_EEEEENSH_IJSG_SG_SG_EEES9_SI_JZNS1_25segmented_radix_sort_implINS0_14default_configELb1EPKlPlSQ_SR_N2at6native12_GLOBAL__N_18offset_tEEE10hipError_tPvRmT1_PNSt15iterator_traitsISZ_E10value_typeET2_T3_PNS10_IS15_E10value_typeET4_jRbjT5_S1B_jjP12ihipStream_tbEUljE_ZNSN_ISO_Lb1ESQ_SR_SQ_SR_SV_EESW_SX_SY_SZ_S13_S14_S15_S18_S19_jS1A_jS1B_S1B_jjS1D_bEUljE0_EEESW_SX_SY_S15_S19_S1B_T6_T7_T9_mT8_S1D_bDpT10_ENKUlT_T0_E_clISt17integral_constantIbLb1EES1Q_IbLb0EEEEDaS1M_S1N_EUlS1M_E_NS1_11comp_targetILNS1_3genE10ELNS1_11target_archE1200ELNS1_3gpuE4ELNS1_3repE0EEENS1_30default_config_static_selectorELNS0_4arch9wavefront6targetE1EEEvSZ_
    .private_segment_fixed_size: 0
    .sgpr_count:     4
    .sgpr_spill_count: 0
    .symbol:         _ZN7rocprim17ROCPRIM_400000_NS6detail17trampoline_kernelINS0_13select_configILj256ELj13ELNS0_17block_load_methodE3ELS4_3ELS4_3ELNS0_20block_scan_algorithmE0ELj4294967295EEENS1_25partition_config_selectorILNS1_17partition_subalgoE4EjNS0_10empty_typeEbEEZZNS1_14partition_implILS8_4ELb0ES6_15HIP_vector_typeIjLj2EENS0_17counting_iteratorIjlEEPS9_SG_NS0_5tupleIJPjSI_NS0_16reverse_iteratorISI_EEEEENSH_IJSG_SG_SG_EEES9_SI_JZNS1_25segmented_radix_sort_implINS0_14default_configELb1EPKlPlSQ_SR_N2at6native12_GLOBAL__N_18offset_tEEE10hipError_tPvRmT1_PNSt15iterator_traitsISZ_E10value_typeET2_T3_PNS10_IS15_E10value_typeET4_jRbjT5_S1B_jjP12ihipStream_tbEUljE_ZNSN_ISO_Lb1ESQ_SR_SQ_SR_SV_EESW_SX_SY_SZ_S13_S14_S15_S18_S19_jS1A_jS1B_S1B_jjS1D_bEUljE0_EEESW_SX_SY_S15_S19_S1B_T6_T7_T9_mT8_S1D_bDpT10_ENKUlT_T0_E_clISt17integral_constantIbLb1EES1Q_IbLb0EEEEDaS1M_S1N_EUlS1M_E_NS1_11comp_targetILNS1_3genE10ELNS1_11target_archE1200ELNS1_3gpuE4ELNS1_3repE0EEENS1_30default_config_static_selectorELNS0_4arch9wavefront6targetE1EEEvSZ_.kd
    .uniform_work_group_size: 1
    .uses_dynamic_stack: false
    .vgpr_count:     0
    .vgpr_spill_count: 0
    .wavefront_size: 64
  - .agpr_count:     0
    .args:
      - .offset:         0
        .size:           176
        .value_kind:     by_value
    .group_segment_fixed_size: 0
    .kernarg_segment_align: 8
    .kernarg_segment_size: 176
    .language:       OpenCL C
    .language_version:
      - 2
      - 0
    .max_flat_workgroup_size: 256
    .name:           _ZN7rocprim17ROCPRIM_400000_NS6detail17trampoline_kernelINS0_13select_configILj256ELj13ELNS0_17block_load_methodE3ELS4_3ELS4_3ELNS0_20block_scan_algorithmE0ELj4294967295EEENS1_25partition_config_selectorILNS1_17partition_subalgoE4EjNS0_10empty_typeEbEEZZNS1_14partition_implILS8_4ELb0ES6_15HIP_vector_typeIjLj2EENS0_17counting_iteratorIjlEEPS9_SG_NS0_5tupleIJPjSI_NS0_16reverse_iteratorISI_EEEEENSH_IJSG_SG_SG_EEES9_SI_JZNS1_25segmented_radix_sort_implINS0_14default_configELb1EPKlPlSQ_SR_N2at6native12_GLOBAL__N_18offset_tEEE10hipError_tPvRmT1_PNSt15iterator_traitsISZ_E10value_typeET2_T3_PNS10_IS15_E10value_typeET4_jRbjT5_S1B_jjP12ihipStream_tbEUljE_ZNSN_ISO_Lb1ESQ_SR_SQ_SR_SV_EESW_SX_SY_SZ_S13_S14_S15_S18_S19_jS1A_jS1B_S1B_jjS1D_bEUljE0_EEESW_SX_SY_S15_S19_S1B_T6_T7_T9_mT8_S1D_bDpT10_ENKUlT_T0_E_clISt17integral_constantIbLb1EES1Q_IbLb0EEEEDaS1M_S1N_EUlS1M_E_NS1_11comp_targetILNS1_3genE9ELNS1_11target_archE1100ELNS1_3gpuE3ELNS1_3repE0EEENS1_30default_config_static_selectorELNS0_4arch9wavefront6targetE1EEEvSZ_
    .private_segment_fixed_size: 0
    .sgpr_count:     4
    .sgpr_spill_count: 0
    .symbol:         _ZN7rocprim17ROCPRIM_400000_NS6detail17trampoline_kernelINS0_13select_configILj256ELj13ELNS0_17block_load_methodE3ELS4_3ELS4_3ELNS0_20block_scan_algorithmE0ELj4294967295EEENS1_25partition_config_selectorILNS1_17partition_subalgoE4EjNS0_10empty_typeEbEEZZNS1_14partition_implILS8_4ELb0ES6_15HIP_vector_typeIjLj2EENS0_17counting_iteratorIjlEEPS9_SG_NS0_5tupleIJPjSI_NS0_16reverse_iteratorISI_EEEEENSH_IJSG_SG_SG_EEES9_SI_JZNS1_25segmented_radix_sort_implINS0_14default_configELb1EPKlPlSQ_SR_N2at6native12_GLOBAL__N_18offset_tEEE10hipError_tPvRmT1_PNSt15iterator_traitsISZ_E10value_typeET2_T3_PNS10_IS15_E10value_typeET4_jRbjT5_S1B_jjP12ihipStream_tbEUljE_ZNSN_ISO_Lb1ESQ_SR_SQ_SR_SV_EESW_SX_SY_SZ_S13_S14_S15_S18_S19_jS1A_jS1B_S1B_jjS1D_bEUljE0_EEESW_SX_SY_S15_S19_S1B_T6_T7_T9_mT8_S1D_bDpT10_ENKUlT_T0_E_clISt17integral_constantIbLb1EES1Q_IbLb0EEEEDaS1M_S1N_EUlS1M_E_NS1_11comp_targetILNS1_3genE9ELNS1_11target_archE1100ELNS1_3gpuE3ELNS1_3repE0EEENS1_30default_config_static_selectorELNS0_4arch9wavefront6targetE1EEEvSZ_.kd
    .uniform_work_group_size: 1
    .uses_dynamic_stack: false
    .vgpr_count:     0
    .vgpr_spill_count: 0
    .wavefront_size: 64
  - .agpr_count:     0
    .args:
      - .offset:         0
        .size:           176
        .value_kind:     by_value
    .group_segment_fixed_size: 0
    .kernarg_segment_align: 8
    .kernarg_segment_size: 176
    .language:       OpenCL C
    .language_version:
      - 2
      - 0
    .max_flat_workgroup_size: 256
    .name:           _ZN7rocprim17ROCPRIM_400000_NS6detail17trampoline_kernelINS0_13select_configILj256ELj13ELNS0_17block_load_methodE3ELS4_3ELS4_3ELNS0_20block_scan_algorithmE0ELj4294967295EEENS1_25partition_config_selectorILNS1_17partition_subalgoE4EjNS0_10empty_typeEbEEZZNS1_14partition_implILS8_4ELb0ES6_15HIP_vector_typeIjLj2EENS0_17counting_iteratorIjlEEPS9_SG_NS0_5tupleIJPjSI_NS0_16reverse_iteratorISI_EEEEENSH_IJSG_SG_SG_EEES9_SI_JZNS1_25segmented_radix_sort_implINS0_14default_configELb1EPKlPlSQ_SR_N2at6native12_GLOBAL__N_18offset_tEEE10hipError_tPvRmT1_PNSt15iterator_traitsISZ_E10value_typeET2_T3_PNS10_IS15_E10value_typeET4_jRbjT5_S1B_jjP12ihipStream_tbEUljE_ZNSN_ISO_Lb1ESQ_SR_SQ_SR_SV_EESW_SX_SY_SZ_S13_S14_S15_S18_S19_jS1A_jS1B_S1B_jjS1D_bEUljE0_EEESW_SX_SY_S15_S19_S1B_T6_T7_T9_mT8_S1D_bDpT10_ENKUlT_T0_E_clISt17integral_constantIbLb1EES1Q_IbLb0EEEEDaS1M_S1N_EUlS1M_E_NS1_11comp_targetILNS1_3genE8ELNS1_11target_archE1030ELNS1_3gpuE2ELNS1_3repE0EEENS1_30default_config_static_selectorELNS0_4arch9wavefront6targetE1EEEvSZ_
    .private_segment_fixed_size: 0
    .sgpr_count:     4
    .sgpr_spill_count: 0
    .symbol:         _ZN7rocprim17ROCPRIM_400000_NS6detail17trampoline_kernelINS0_13select_configILj256ELj13ELNS0_17block_load_methodE3ELS4_3ELS4_3ELNS0_20block_scan_algorithmE0ELj4294967295EEENS1_25partition_config_selectorILNS1_17partition_subalgoE4EjNS0_10empty_typeEbEEZZNS1_14partition_implILS8_4ELb0ES6_15HIP_vector_typeIjLj2EENS0_17counting_iteratorIjlEEPS9_SG_NS0_5tupleIJPjSI_NS0_16reverse_iteratorISI_EEEEENSH_IJSG_SG_SG_EEES9_SI_JZNS1_25segmented_radix_sort_implINS0_14default_configELb1EPKlPlSQ_SR_N2at6native12_GLOBAL__N_18offset_tEEE10hipError_tPvRmT1_PNSt15iterator_traitsISZ_E10value_typeET2_T3_PNS10_IS15_E10value_typeET4_jRbjT5_S1B_jjP12ihipStream_tbEUljE_ZNSN_ISO_Lb1ESQ_SR_SQ_SR_SV_EESW_SX_SY_SZ_S13_S14_S15_S18_S19_jS1A_jS1B_S1B_jjS1D_bEUljE0_EEESW_SX_SY_S15_S19_S1B_T6_T7_T9_mT8_S1D_bDpT10_ENKUlT_T0_E_clISt17integral_constantIbLb1EES1Q_IbLb0EEEEDaS1M_S1N_EUlS1M_E_NS1_11comp_targetILNS1_3genE8ELNS1_11target_archE1030ELNS1_3gpuE2ELNS1_3repE0EEENS1_30default_config_static_selectorELNS0_4arch9wavefront6targetE1EEEvSZ_.kd
    .uniform_work_group_size: 1
    .uses_dynamic_stack: false
    .vgpr_count:     0
    .vgpr_spill_count: 0
    .wavefront_size: 64
  - .agpr_count:     0
    .args:
      - .offset:         0
        .size:           184
        .value_kind:     by_value
    .group_segment_fixed_size: 0
    .kernarg_segment_align: 8
    .kernarg_segment_size: 184
    .language:       OpenCL C
    .language_version:
      - 2
      - 0
    .max_flat_workgroup_size: 256
    .name:           _ZN7rocprim17ROCPRIM_400000_NS6detail17trampoline_kernelINS0_13select_configILj256ELj13ELNS0_17block_load_methodE3ELS4_3ELS4_3ELNS0_20block_scan_algorithmE0ELj4294967295EEENS1_25partition_config_selectorILNS1_17partition_subalgoE4EjNS0_10empty_typeEbEEZZNS1_14partition_implILS8_4ELb0ES6_15HIP_vector_typeIjLj2EENS0_17counting_iteratorIjlEEPS9_SG_NS0_5tupleIJPjSI_NS0_16reverse_iteratorISI_EEEEENSH_IJSG_SG_SG_EEES9_SI_JZNS1_25segmented_radix_sort_implINS0_14default_configELb1EPKlPlSQ_SR_N2at6native12_GLOBAL__N_18offset_tEEE10hipError_tPvRmT1_PNSt15iterator_traitsISZ_E10value_typeET2_T3_PNS10_IS15_E10value_typeET4_jRbjT5_S1B_jjP12ihipStream_tbEUljE_ZNSN_ISO_Lb1ESQ_SR_SQ_SR_SV_EESW_SX_SY_SZ_S13_S14_S15_S18_S19_jS1A_jS1B_S1B_jjS1D_bEUljE0_EEESW_SX_SY_S15_S19_S1B_T6_T7_T9_mT8_S1D_bDpT10_ENKUlT_T0_E_clISt17integral_constantIbLb0EES1Q_IbLb1EEEEDaS1M_S1N_EUlS1M_E_NS1_11comp_targetILNS1_3genE0ELNS1_11target_archE4294967295ELNS1_3gpuE0ELNS1_3repE0EEENS1_30default_config_static_selectorELNS0_4arch9wavefront6targetE1EEEvSZ_
    .private_segment_fixed_size: 0
    .sgpr_count:     4
    .sgpr_spill_count: 0
    .symbol:         _ZN7rocprim17ROCPRIM_400000_NS6detail17trampoline_kernelINS0_13select_configILj256ELj13ELNS0_17block_load_methodE3ELS4_3ELS4_3ELNS0_20block_scan_algorithmE0ELj4294967295EEENS1_25partition_config_selectorILNS1_17partition_subalgoE4EjNS0_10empty_typeEbEEZZNS1_14partition_implILS8_4ELb0ES6_15HIP_vector_typeIjLj2EENS0_17counting_iteratorIjlEEPS9_SG_NS0_5tupleIJPjSI_NS0_16reverse_iteratorISI_EEEEENSH_IJSG_SG_SG_EEES9_SI_JZNS1_25segmented_radix_sort_implINS0_14default_configELb1EPKlPlSQ_SR_N2at6native12_GLOBAL__N_18offset_tEEE10hipError_tPvRmT1_PNSt15iterator_traitsISZ_E10value_typeET2_T3_PNS10_IS15_E10value_typeET4_jRbjT5_S1B_jjP12ihipStream_tbEUljE_ZNSN_ISO_Lb1ESQ_SR_SQ_SR_SV_EESW_SX_SY_SZ_S13_S14_S15_S18_S19_jS1A_jS1B_S1B_jjS1D_bEUljE0_EEESW_SX_SY_S15_S19_S1B_T6_T7_T9_mT8_S1D_bDpT10_ENKUlT_T0_E_clISt17integral_constantIbLb0EES1Q_IbLb1EEEEDaS1M_S1N_EUlS1M_E_NS1_11comp_targetILNS1_3genE0ELNS1_11target_archE4294967295ELNS1_3gpuE0ELNS1_3repE0EEENS1_30default_config_static_selectorELNS0_4arch9wavefront6targetE1EEEvSZ_.kd
    .uniform_work_group_size: 1
    .uses_dynamic_stack: false
    .vgpr_count:     0
    .vgpr_spill_count: 0
    .wavefront_size: 64
  - .agpr_count:     0
    .args:
      - .offset:         0
        .size:           184
        .value_kind:     by_value
    .group_segment_fixed_size: 0
    .kernarg_segment_align: 8
    .kernarg_segment_size: 184
    .language:       OpenCL C
    .language_version:
      - 2
      - 0
    .max_flat_workgroup_size: 256
    .name:           _ZN7rocprim17ROCPRIM_400000_NS6detail17trampoline_kernelINS0_13select_configILj256ELj13ELNS0_17block_load_methodE3ELS4_3ELS4_3ELNS0_20block_scan_algorithmE0ELj4294967295EEENS1_25partition_config_selectorILNS1_17partition_subalgoE4EjNS0_10empty_typeEbEEZZNS1_14partition_implILS8_4ELb0ES6_15HIP_vector_typeIjLj2EENS0_17counting_iteratorIjlEEPS9_SG_NS0_5tupleIJPjSI_NS0_16reverse_iteratorISI_EEEEENSH_IJSG_SG_SG_EEES9_SI_JZNS1_25segmented_radix_sort_implINS0_14default_configELb1EPKlPlSQ_SR_N2at6native12_GLOBAL__N_18offset_tEEE10hipError_tPvRmT1_PNSt15iterator_traitsISZ_E10value_typeET2_T3_PNS10_IS15_E10value_typeET4_jRbjT5_S1B_jjP12ihipStream_tbEUljE_ZNSN_ISO_Lb1ESQ_SR_SQ_SR_SV_EESW_SX_SY_SZ_S13_S14_S15_S18_S19_jS1A_jS1B_S1B_jjS1D_bEUljE0_EEESW_SX_SY_S15_S19_S1B_T6_T7_T9_mT8_S1D_bDpT10_ENKUlT_T0_E_clISt17integral_constantIbLb0EES1Q_IbLb1EEEEDaS1M_S1N_EUlS1M_E_NS1_11comp_targetILNS1_3genE5ELNS1_11target_archE942ELNS1_3gpuE9ELNS1_3repE0EEENS1_30default_config_static_selectorELNS0_4arch9wavefront6targetE1EEEvSZ_
    .private_segment_fixed_size: 0
    .sgpr_count:     4
    .sgpr_spill_count: 0
    .symbol:         _ZN7rocprim17ROCPRIM_400000_NS6detail17trampoline_kernelINS0_13select_configILj256ELj13ELNS0_17block_load_methodE3ELS4_3ELS4_3ELNS0_20block_scan_algorithmE0ELj4294967295EEENS1_25partition_config_selectorILNS1_17partition_subalgoE4EjNS0_10empty_typeEbEEZZNS1_14partition_implILS8_4ELb0ES6_15HIP_vector_typeIjLj2EENS0_17counting_iteratorIjlEEPS9_SG_NS0_5tupleIJPjSI_NS0_16reverse_iteratorISI_EEEEENSH_IJSG_SG_SG_EEES9_SI_JZNS1_25segmented_radix_sort_implINS0_14default_configELb1EPKlPlSQ_SR_N2at6native12_GLOBAL__N_18offset_tEEE10hipError_tPvRmT1_PNSt15iterator_traitsISZ_E10value_typeET2_T3_PNS10_IS15_E10value_typeET4_jRbjT5_S1B_jjP12ihipStream_tbEUljE_ZNSN_ISO_Lb1ESQ_SR_SQ_SR_SV_EESW_SX_SY_SZ_S13_S14_S15_S18_S19_jS1A_jS1B_S1B_jjS1D_bEUljE0_EEESW_SX_SY_S15_S19_S1B_T6_T7_T9_mT8_S1D_bDpT10_ENKUlT_T0_E_clISt17integral_constantIbLb0EES1Q_IbLb1EEEEDaS1M_S1N_EUlS1M_E_NS1_11comp_targetILNS1_3genE5ELNS1_11target_archE942ELNS1_3gpuE9ELNS1_3repE0EEENS1_30default_config_static_selectorELNS0_4arch9wavefront6targetE1EEEvSZ_.kd
    .uniform_work_group_size: 1
    .uses_dynamic_stack: false
    .vgpr_count:     0
    .vgpr_spill_count: 0
    .wavefront_size: 64
  - .agpr_count:     0
    .args:
      - .offset:         0
        .size:           184
        .value_kind:     by_value
    .group_segment_fixed_size: 13340
    .kernarg_segment_align: 8
    .kernarg_segment_size: 184
    .language:       OpenCL C
    .language_version:
      - 2
      - 0
    .max_flat_workgroup_size: 256
    .name:           _ZN7rocprim17ROCPRIM_400000_NS6detail17trampoline_kernelINS0_13select_configILj256ELj13ELNS0_17block_load_methodE3ELS4_3ELS4_3ELNS0_20block_scan_algorithmE0ELj4294967295EEENS1_25partition_config_selectorILNS1_17partition_subalgoE4EjNS0_10empty_typeEbEEZZNS1_14partition_implILS8_4ELb0ES6_15HIP_vector_typeIjLj2EENS0_17counting_iteratorIjlEEPS9_SG_NS0_5tupleIJPjSI_NS0_16reverse_iteratorISI_EEEEENSH_IJSG_SG_SG_EEES9_SI_JZNS1_25segmented_radix_sort_implINS0_14default_configELb1EPKlPlSQ_SR_N2at6native12_GLOBAL__N_18offset_tEEE10hipError_tPvRmT1_PNSt15iterator_traitsISZ_E10value_typeET2_T3_PNS10_IS15_E10value_typeET4_jRbjT5_S1B_jjP12ihipStream_tbEUljE_ZNSN_ISO_Lb1ESQ_SR_SQ_SR_SV_EESW_SX_SY_SZ_S13_S14_S15_S18_S19_jS1A_jS1B_S1B_jjS1D_bEUljE0_EEESW_SX_SY_S15_S19_S1B_T6_T7_T9_mT8_S1D_bDpT10_ENKUlT_T0_E_clISt17integral_constantIbLb0EES1Q_IbLb1EEEEDaS1M_S1N_EUlS1M_E_NS1_11comp_targetILNS1_3genE4ELNS1_11target_archE910ELNS1_3gpuE8ELNS1_3repE0EEENS1_30default_config_static_selectorELNS0_4arch9wavefront6targetE1EEEvSZ_
    .private_segment_fixed_size: 0
    .sgpr_count:     91
    .sgpr_spill_count: 0
    .symbol:         _ZN7rocprim17ROCPRIM_400000_NS6detail17trampoline_kernelINS0_13select_configILj256ELj13ELNS0_17block_load_methodE3ELS4_3ELS4_3ELNS0_20block_scan_algorithmE0ELj4294967295EEENS1_25partition_config_selectorILNS1_17partition_subalgoE4EjNS0_10empty_typeEbEEZZNS1_14partition_implILS8_4ELb0ES6_15HIP_vector_typeIjLj2EENS0_17counting_iteratorIjlEEPS9_SG_NS0_5tupleIJPjSI_NS0_16reverse_iteratorISI_EEEEENSH_IJSG_SG_SG_EEES9_SI_JZNS1_25segmented_radix_sort_implINS0_14default_configELb1EPKlPlSQ_SR_N2at6native12_GLOBAL__N_18offset_tEEE10hipError_tPvRmT1_PNSt15iterator_traitsISZ_E10value_typeET2_T3_PNS10_IS15_E10value_typeET4_jRbjT5_S1B_jjP12ihipStream_tbEUljE_ZNSN_ISO_Lb1ESQ_SR_SQ_SR_SV_EESW_SX_SY_SZ_S13_S14_S15_S18_S19_jS1A_jS1B_S1B_jjS1D_bEUljE0_EEESW_SX_SY_S15_S19_S1B_T6_T7_T9_mT8_S1D_bDpT10_ENKUlT_T0_E_clISt17integral_constantIbLb0EES1Q_IbLb1EEEEDaS1M_S1N_EUlS1M_E_NS1_11comp_targetILNS1_3genE4ELNS1_11target_archE910ELNS1_3gpuE8ELNS1_3repE0EEENS1_30default_config_static_selectorELNS0_4arch9wavefront6targetE1EEEvSZ_.kd
    .uniform_work_group_size: 1
    .uses_dynamic_stack: false
    .vgpr_count:     107
    .vgpr_spill_count: 0
    .wavefront_size: 64
  - .agpr_count:     0
    .args:
      - .offset:         0
        .size:           184
        .value_kind:     by_value
    .group_segment_fixed_size: 0
    .kernarg_segment_align: 8
    .kernarg_segment_size: 184
    .language:       OpenCL C
    .language_version:
      - 2
      - 0
    .max_flat_workgroup_size: 256
    .name:           _ZN7rocprim17ROCPRIM_400000_NS6detail17trampoline_kernelINS0_13select_configILj256ELj13ELNS0_17block_load_methodE3ELS4_3ELS4_3ELNS0_20block_scan_algorithmE0ELj4294967295EEENS1_25partition_config_selectorILNS1_17partition_subalgoE4EjNS0_10empty_typeEbEEZZNS1_14partition_implILS8_4ELb0ES6_15HIP_vector_typeIjLj2EENS0_17counting_iteratorIjlEEPS9_SG_NS0_5tupleIJPjSI_NS0_16reverse_iteratorISI_EEEEENSH_IJSG_SG_SG_EEES9_SI_JZNS1_25segmented_radix_sort_implINS0_14default_configELb1EPKlPlSQ_SR_N2at6native12_GLOBAL__N_18offset_tEEE10hipError_tPvRmT1_PNSt15iterator_traitsISZ_E10value_typeET2_T3_PNS10_IS15_E10value_typeET4_jRbjT5_S1B_jjP12ihipStream_tbEUljE_ZNSN_ISO_Lb1ESQ_SR_SQ_SR_SV_EESW_SX_SY_SZ_S13_S14_S15_S18_S19_jS1A_jS1B_S1B_jjS1D_bEUljE0_EEESW_SX_SY_S15_S19_S1B_T6_T7_T9_mT8_S1D_bDpT10_ENKUlT_T0_E_clISt17integral_constantIbLb0EES1Q_IbLb1EEEEDaS1M_S1N_EUlS1M_E_NS1_11comp_targetILNS1_3genE3ELNS1_11target_archE908ELNS1_3gpuE7ELNS1_3repE0EEENS1_30default_config_static_selectorELNS0_4arch9wavefront6targetE1EEEvSZ_
    .private_segment_fixed_size: 0
    .sgpr_count:     4
    .sgpr_spill_count: 0
    .symbol:         _ZN7rocprim17ROCPRIM_400000_NS6detail17trampoline_kernelINS0_13select_configILj256ELj13ELNS0_17block_load_methodE3ELS4_3ELS4_3ELNS0_20block_scan_algorithmE0ELj4294967295EEENS1_25partition_config_selectorILNS1_17partition_subalgoE4EjNS0_10empty_typeEbEEZZNS1_14partition_implILS8_4ELb0ES6_15HIP_vector_typeIjLj2EENS0_17counting_iteratorIjlEEPS9_SG_NS0_5tupleIJPjSI_NS0_16reverse_iteratorISI_EEEEENSH_IJSG_SG_SG_EEES9_SI_JZNS1_25segmented_radix_sort_implINS0_14default_configELb1EPKlPlSQ_SR_N2at6native12_GLOBAL__N_18offset_tEEE10hipError_tPvRmT1_PNSt15iterator_traitsISZ_E10value_typeET2_T3_PNS10_IS15_E10value_typeET4_jRbjT5_S1B_jjP12ihipStream_tbEUljE_ZNSN_ISO_Lb1ESQ_SR_SQ_SR_SV_EESW_SX_SY_SZ_S13_S14_S15_S18_S19_jS1A_jS1B_S1B_jjS1D_bEUljE0_EEESW_SX_SY_S15_S19_S1B_T6_T7_T9_mT8_S1D_bDpT10_ENKUlT_T0_E_clISt17integral_constantIbLb0EES1Q_IbLb1EEEEDaS1M_S1N_EUlS1M_E_NS1_11comp_targetILNS1_3genE3ELNS1_11target_archE908ELNS1_3gpuE7ELNS1_3repE0EEENS1_30default_config_static_selectorELNS0_4arch9wavefront6targetE1EEEvSZ_.kd
    .uniform_work_group_size: 1
    .uses_dynamic_stack: false
    .vgpr_count:     0
    .vgpr_spill_count: 0
    .wavefront_size: 64
  - .agpr_count:     0
    .args:
      - .offset:         0
        .size:           184
        .value_kind:     by_value
    .group_segment_fixed_size: 0
    .kernarg_segment_align: 8
    .kernarg_segment_size: 184
    .language:       OpenCL C
    .language_version:
      - 2
      - 0
    .max_flat_workgroup_size: 256
    .name:           _ZN7rocprim17ROCPRIM_400000_NS6detail17trampoline_kernelINS0_13select_configILj256ELj13ELNS0_17block_load_methodE3ELS4_3ELS4_3ELNS0_20block_scan_algorithmE0ELj4294967295EEENS1_25partition_config_selectorILNS1_17partition_subalgoE4EjNS0_10empty_typeEbEEZZNS1_14partition_implILS8_4ELb0ES6_15HIP_vector_typeIjLj2EENS0_17counting_iteratorIjlEEPS9_SG_NS0_5tupleIJPjSI_NS0_16reverse_iteratorISI_EEEEENSH_IJSG_SG_SG_EEES9_SI_JZNS1_25segmented_radix_sort_implINS0_14default_configELb1EPKlPlSQ_SR_N2at6native12_GLOBAL__N_18offset_tEEE10hipError_tPvRmT1_PNSt15iterator_traitsISZ_E10value_typeET2_T3_PNS10_IS15_E10value_typeET4_jRbjT5_S1B_jjP12ihipStream_tbEUljE_ZNSN_ISO_Lb1ESQ_SR_SQ_SR_SV_EESW_SX_SY_SZ_S13_S14_S15_S18_S19_jS1A_jS1B_S1B_jjS1D_bEUljE0_EEESW_SX_SY_S15_S19_S1B_T6_T7_T9_mT8_S1D_bDpT10_ENKUlT_T0_E_clISt17integral_constantIbLb0EES1Q_IbLb1EEEEDaS1M_S1N_EUlS1M_E_NS1_11comp_targetILNS1_3genE2ELNS1_11target_archE906ELNS1_3gpuE6ELNS1_3repE0EEENS1_30default_config_static_selectorELNS0_4arch9wavefront6targetE1EEEvSZ_
    .private_segment_fixed_size: 0
    .sgpr_count:     4
    .sgpr_spill_count: 0
    .symbol:         _ZN7rocprim17ROCPRIM_400000_NS6detail17trampoline_kernelINS0_13select_configILj256ELj13ELNS0_17block_load_methodE3ELS4_3ELS4_3ELNS0_20block_scan_algorithmE0ELj4294967295EEENS1_25partition_config_selectorILNS1_17partition_subalgoE4EjNS0_10empty_typeEbEEZZNS1_14partition_implILS8_4ELb0ES6_15HIP_vector_typeIjLj2EENS0_17counting_iteratorIjlEEPS9_SG_NS0_5tupleIJPjSI_NS0_16reverse_iteratorISI_EEEEENSH_IJSG_SG_SG_EEES9_SI_JZNS1_25segmented_radix_sort_implINS0_14default_configELb1EPKlPlSQ_SR_N2at6native12_GLOBAL__N_18offset_tEEE10hipError_tPvRmT1_PNSt15iterator_traitsISZ_E10value_typeET2_T3_PNS10_IS15_E10value_typeET4_jRbjT5_S1B_jjP12ihipStream_tbEUljE_ZNSN_ISO_Lb1ESQ_SR_SQ_SR_SV_EESW_SX_SY_SZ_S13_S14_S15_S18_S19_jS1A_jS1B_S1B_jjS1D_bEUljE0_EEESW_SX_SY_S15_S19_S1B_T6_T7_T9_mT8_S1D_bDpT10_ENKUlT_T0_E_clISt17integral_constantIbLb0EES1Q_IbLb1EEEEDaS1M_S1N_EUlS1M_E_NS1_11comp_targetILNS1_3genE2ELNS1_11target_archE906ELNS1_3gpuE6ELNS1_3repE0EEENS1_30default_config_static_selectorELNS0_4arch9wavefront6targetE1EEEvSZ_.kd
    .uniform_work_group_size: 1
    .uses_dynamic_stack: false
    .vgpr_count:     0
    .vgpr_spill_count: 0
    .wavefront_size: 64
  - .agpr_count:     0
    .args:
      - .offset:         0
        .size:           184
        .value_kind:     by_value
    .group_segment_fixed_size: 0
    .kernarg_segment_align: 8
    .kernarg_segment_size: 184
    .language:       OpenCL C
    .language_version:
      - 2
      - 0
    .max_flat_workgroup_size: 256
    .name:           _ZN7rocprim17ROCPRIM_400000_NS6detail17trampoline_kernelINS0_13select_configILj256ELj13ELNS0_17block_load_methodE3ELS4_3ELS4_3ELNS0_20block_scan_algorithmE0ELj4294967295EEENS1_25partition_config_selectorILNS1_17partition_subalgoE4EjNS0_10empty_typeEbEEZZNS1_14partition_implILS8_4ELb0ES6_15HIP_vector_typeIjLj2EENS0_17counting_iteratorIjlEEPS9_SG_NS0_5tupleIJPjSI_NS0_16reverse_iteratorISI_EEEEENSH_IJSG_SG_SG_EEES9_SI_JZNS1_25segmented_radix_sort_implINS0_14default_configELb1EPKlPlSQ_SR_N2at6native12_GLOBAL__N_18offset_tEEE10hipError_tPvRmT1_PNSt15iterator_traitsISZ_E10value_typeET2_T3_PNS10_IS15_E10value_typeET4_jRbjT5_S1B_jjP12ihipStream_tbEUljE_ZNSN_ISO_Lb1ESQ_SR_SQ_SR_SV_EESW_SX_SY_SZ_S13_S14_S15_S18_S19_jS1A_jS1B_S1B_jjS1D_bEUljE0_EEESW_SX_SY_S15_S19_S1B_T6_T7_T9_mT8_S1D_bDpT10_ENKUlT_T0_E_clISt17integral_constantIbLb0EES1Q_IbLb1EEEEDaS1M_S1N_EUlS1M_E_NS1_11comp_targetILNS1_3genE10ELNS1_11target_archE1200ELNS1_3gpuE4ELNS1_3repE0EEENS1_30default_config_static_selectorELNS0_4arch9wavefront6targetE1EEEvSZ_
    .private_segment_fixed_size: 0
    .sgpr_count:     4
    .sgpr_spill_count: 0
    .symbol:         _ZN7rocprim17ROCPRIM_400000_NS6detail17trampoline_kernelINS0_13select_configILj256ELj13ELNS0_17block_load_methodE3ELS4_3ELS4_3ELNS0_20block_scan_algorithmE0ELj4294967295EEENS1_25partition_config_selectorILNS1_17partition_subalgoE4EjNS0_10empty_typeEbEEZZNS1_14partition_implILS8_4ELb0ES6_15HIP_vector_typeIjLj2EENS0_17counting_iteratorIjlEEPS9_SG_NS0_5tupleIJPjSI_NS0_16reverse_iteratorISI_EEEEENSH_IJSG_SG_SG_EEES9_SI_JZNS1_25segmented_radix_sort_implINS0_14default_configELb1EPKlPlSQ_SR_N2at6native12_GLOBAL__N_18offset_tEEE10hipError_tPvRmT1_PNSt15iterator_traitsISZ_E10value_typeET2_T3_PNS10_IS15_E10value_typeET4_jRbjT5_S1B_jjP12ihipStream_tbEUljE_ZNSN_ISO_Lb1ESQ_SR_SQ_SR_SV_EESW_SX_SY_SZ_S13_S14_S15_S18_S19_jS1A_jS1B_S1B_jjS1D_bEUljE0_EEESW_SX_SY_S15_S19_S1B_T6_T7_T9_mT8_S1D_bDpT10_ENKUlT_T0_E_clISt17integral_constantIbLb0EES1Q_IbLb1EEEEDaS1M_S1N_EUlS1M_E_NS1_11comp_targetILNS1_3genE10ELNS1_11target_archE1200ELNS1_3gpuE4ELNS1_3repE0EEENS1_30default_config_static_selectorELNS0_4arch9wavefront6targetE1EEEvSZ_.kd
    .uniform_work_group_size: 1
    .uses_dynamic_stack: false
    .vgpr_count:     0
    .vgpr_spill_count: 0
    .wavefront_size: 64
  - .agpr_count:     0
    .args:
      - .offset:         0
        .size:           184
        .value_kind:     by_value
    .group_segment_fixed_size: 0
    .kernarg_segment_align: 8
    .kernarg_segment_size: 184
    .language:       OpenCL C
    .language_version:
      - 2
      - 0
    .max_flat_workgroup_size: 256
    .name:           _ZN7rocprim17ROCPRIM_400000_NS6detail17trampoline_kernelINS0_13select_configILj256ELj13ELNS0_17block_load_methodE3ELS4_3ELS4_3ELNS0_20block_scan_algorithmE0ELj4294967295EEENS1_25partition_config_selectorILNS1_17partition_subalgoE4EjNS0_10empty_typeEbEEZZNS1_14partition_implILS8_4ELb0ES6_15HIP_vector_typeIjLj2EENS0_17counting_iteratorIjlEEPS9_SG_NS0_5tupleIJPjSI_NS0_16reverse_iteratorISI_EEEEENSH_IJSG_SG_SG_EEES9_SI_JZNS1_25segmented_radix_sort_implINS0_14default_configELb1EPKlPlSQ_SR_N2at6native12_GLOBAL__N_18offset_tEEE10hipError_tPvRmT1_PNSt15iterator_traitsISZ_E10value_typeET2_T3_PNS10_IS15_E10value_typeET4_jRbjT5_S1B_jjP12ihipStream_tbEUljE_ZNSN_ISO_Lb1ESQ_SR_SQ_SR_SV_EESW_SX_SY_SZ_S13_S14_S15_S18_S19_jS1A_jS1B_S1B_jjS1D_bEUljE0_EEESW_SX_SY_S15_S19_S1B_T6_T7_T9_mT8_S1D_bDpT10_ENKUlT_T0_E_clISt17integral_constantIbLb0EES1Q_IbLb1EEEEDaS1M_S1N_EUlS1M_E_NS1_11comp_targetILNS1_3genE9ELNS1_11target_archE1100ELNS1_3gpuE3ELNS1_3repE0EEENS1_30default_config_static_selectorELNS0_4arch9wavefront6targetE1EEEvSZ_
    .private_segment_fixed_size: 0
    .sgpr_count:     4
    .sgpr_spill_count: 0
    .symbol:         _ZN7rocprim17ROCPRIM_400000_NS6detail17trampoline_kernelINS0_13select_configILj256ELj13ELNS0_17block_load_methodE3ELS4_3ELS4_3ELNS0_20block_scan_algorithmE0ELj4294967295EEENS1_25partition_config_selectorILNS1_17partition_subalgoE4EjNS0_10empty_typeEbEEZZNS1_14partition_implILS8_4ELb0ES6_15HIP_vector_typeIjLj2EENS0_17counting_iteratorIjlEEPS9_SG_NS0_5tupleIJPjSI_NS0_16reverse_iteratorISI_EEEEENSH_IJSG_SG_SG_EEES9_SI_JZNS1_25segmented_radix_sort_implINS0_14default_configELb1EPKlPlSQ_SR_N2at6native12_GLOBAL__N_18offset_tEEE10hipError_tPvRmT1_PNSt15iterator_traitsISZ_E10value_typeET2_T3_PNS10_IS15_E10value_typeET4_jRbjT5_S1B_jjP12ihipStream_tbEUljE_ZNSN_ISO_Lb1ESQ_SR_SQ_SR_SV_EESW_SX_SY_SZ_S13_S14_S15_S18_S19_jS1A_jS1B_S1B_jjS1D_bEUljE0_EEESW_SX_SY_S15_S19_S1B_T6_T7_T9_mT8_S1D_bDpT10_ENKUlT_T0_E_clISt17integral_constantIbLb0EES1Q_IbLb1EEEEDaS1M_S1N_EUlS1M_E_NS1_11comp_targetILNS1_3genE9ELNS1_11target_archE1100ELNS1_3gpuE3ELNS1_3repE0EEENS1_30default_config_static_selectorELNS0_4arch9wavefront6targetE1EEEvSZ_.kd
    .uniform_work_group_size: 1
    .uses_dynamic_stack: false
    .vgpr_count:     0
    .vgpr_spill_count: 0
    .wavefront_size: 64
  - .agpr_count:     0
    .args:
      - .offset:         0
        .size:           184
        .value_kind:     by_value
    .group_segment_fixed_size: 0
    .kernarg_segment_align: 8
    .kernarg_segment_size: 184
    .language:       OpenCL C
    .language_version:
      - 2
      - 0
    .max_flat_workgroup_size: 256
    .name:           _ZN7rocprim17ROCPRIM_400000_NS6detail17trampoline_kernelINS0_13select_configILj256ELj13ELNS0_17block_load_methodE3ELS4_3ELS4_3ELNS0_20block_scan_algorithmE0ELj4294967295EEENS1_25partition_config_selectorILNS1_17partition_subalgoE4EjNS0_10empty_typeEbEEZZNS1_14partition_implILS8_4ELb0ES6_15HIP_vector_typeIjLj2EENS0_17counting_iteratorIjlEEPS9_SG_NS0_5tupleIJPjSI_NS0_16reverse_iteratorISI_EEEEENSH_IJSG_SG_SG_EEES9_SI_JZNS1_25segmented_radix_sort_implINS0_14default_configELb1EPKlPlSQ_SR_N2at6native12_GLOBAL__N_18offset_tEEE10hipError_tPvRmT1_PNSt15iterator_traitsISZ_E10value_typeET2_T3_PNS10_IS15_E10value_typeET4_jRbjT5_S1B_jjP12ihipStream_tbEUljE_ZNSN_ISO_Lb1ESQ_SR_SQ_SR_SV_EESW_SX_SY_SZ_S13_S14_S15_S18_S19_jS1A_jS1B_S1B_jjS1D_bEUljE0_EEESW_SX_SY_S15_S19_S1B_T6_T7_T9_mT8_S1D_bDpT10_ENKUlT_T0_E_clISt17integral_constantIbLb0EES1Q_IbLb1EEEEDaS1M_S1N_EUlS1M_E_NS1_11comp_targetILNS1_3genE8ELNS1_11target_archE1030ELNS1_3gpuE2ELNS1_3repE0EEENS1_30default_config_static_selectorELNS0_4arch9wavefront6targetE1EEEvSZ_
    .private_segment_fixed_size: 0
    .sgpr_count:     4
    .sgpr_spill_count: 0
    .symbol:         _ZN7rocprim17ROCPRIM_400000_NS6detail17trampoline_kernelINS0_13select_configILj256ELj13ELNS0_17block_load_methodE3ELS4_3ELS4_3ELNS0_20block_scan_algorithmE0ELj4294967295EEENS1_25partition_config_selectorILNS1_17partition_subalgoE4EjNS0_10empty_typeEbEEZZNS1_14partition_implILS8_4ELb0ES6_15HIP_vector_typeIjLj2EENS0_17counting_iteratorIjlEEPS9_SG_NS0_5tupleIJPjSI_NS0_16reverse_iteratorISI_EEEEENSH_IJSG_SG_SG_EEES9_SI_JZNS1_25segmented_radix_sort_implINS0_14default_configELb1EPKlPlSQ_SR_N2at6native12_GLOBAL__N_18offset_tEEE10hipError_tPvRmT1_PNSt15iterator_traitsISZ_E10value_typeET2_T3_PNS10_IS15_E10value_typeET4_jRbjT5_S1B_jjP12ihipStream_tbEUljE_ZNSN_ISO_Lb1ESQ_SR_SQ_SR_SV_EESW_SX_SY_SZ_S13_S14_S15_S18_S19_jS1A_jS1B_S1B_jjS1D_bEUljE0_EEESW_SX_SY_S15_S19_S1B_T6_T7_T9_mT8_S1D_bDpT10_ENKUlT_T0_E_clISt17integral_constantIbLb0EES1Q_IbLb1EEEEDaS1M_S1N_EUlS1M_E_NS1_11comp_targetILNS1_3genE8ELNS1_11target_archE1030ELNS1_3gpuE2ELNS1_3repE0EEENS1_30default_config_static_selectorELNS0_4arch9wavefront6targetE1EEEvSZ_.kd
    .uniform_work_group_size: 1
    .uses_dynamic_stack: false
    .vgpr_count:     0
    .vgpr_spill_count: 0
    .wavefront_size: 64
  - .agpr_count:     0
    .args:
      - .offset:         0
        .size:           144
        .value_kind:     by_value
    .group_segment_fixed_size: 0
    .kernarg_segment_align: 8
    .kernarg_segment_size: 144
    .language:       OpenCL C
    .language_version:
      - 2
      - 0
    .max_flat_workgroup_size: 256
    .name:           _ZN7rocprim17ROCPRIM_400000_NS6detail17trampoline_kernelINS0_13select_configILj256ELj13ELNS0_17block_load_methodE3ELS4_3ELS4_3ELNS0_20block_scan_algorithmE0ELj4294967295EEENS1_25partition_config_selectorILNS1_17partition_subalgoE3EjNS0_10empty_typeEbEEZZNS1_14partition_implILS8_3ELb0ES6_jNS0_17counting_iteratorIjlEEPS9_SE_NS0_5tupleIJPjSE_EEENSF_IJSE_SE_EEES9_SG_JZNS1_25segmented_radix_sort_implINS0_14default_configELb1EPKlPlSM_SN_N2at6native12_GLOBAL__N_18offset_tEEE10hipError_tPvRmT1_PNSt15iterator_traitsISV_E10value_typeET2_T3_PNSW_IS11_E10value_typeET4_jRbjT5_S17_jjP12ihipStream_tbEUljE_EEESS_ST_SU_S11_S15_S17_T6_T7_T9_mT8_S19_bDpT10_ENKUlT_T0_E_clISt17integral_constantIbLb0EES1M_EEDaS1H_S1I_EUlS1H_E_NS1_11comp_targetILNS1_3genE0ELNS1_11target_archE4294967295ELNS1_3gpuE0ELNS1_3repE0EEENS1_30default_config_static_selectorELNS0_4arch9wavefront6targetE1EEEvSV_
    .private_segment_fixed_size: 0
    .sgpr_count:     4
    .sgpr_spill_count: 0
    .symbol:         _ZN7rocprim17ROCPRIM_400000_NS6detail17trampoline_kernelINS0_13select_configILj256ELj13ELNS0_17block_load_methodE3ELS4_3ELS4_3ELNS0_20block_scan_algorithmE0ELj4294967295EEENS1_25partition_config_selectorILNS1_17partition_subalgoE3EjNS0_10empty_typeEbEEZZNS1_14partition_implILS8_3ELb0ES6_jNS0_17counting_iteratorIjlEEPS9_SE_NS0_5tupleIJPjSE_EEENSF_IJSE_SE_EEES9_SG_JZNS1_25segmented_radix_sort_implINS0_14default_configELb1EPKlPlSM_SN_N2at6native12_GLOBAL__N_18offset_tEEE10hipError_tPvRmT1_PNSt15iterator_traitsISV_E10value_typeET2_T3_PNSW_IS11_E10value_typeET4_jRbjT5_S17_jjP12ihipStream_tbEUljE_EEESS_ST_SU_S11_S15_S17_T6_T7_T9_mT8_S19_bDpT10_ENKUlT_T0_E_clISt17integral_constantIbLb0EES1M_EEDaS1H_S1I_EUlS1H_E_NS1_11comp_targetILNS1_3genE0ELNS1_11target_archE4294967295ELNS1_3gpuE0ELNS1_3repE0EEENS1_30default_config_static_selectorELNS0_4arch9wavefront6targetE1EEEvSV_.kd
    .uniform_work_group_size: 1
    .uses_dynamic_stack: false
    .vgpr_count:     0
    .vgpr_spill_count: 0
    .wavefront_size: 64
  - .agpr_count:     0
    .args:
      - .offset:         0
        .size:           144
        .value_kind:     by_value
    .group_segment_fixed_size: 0
    .kernarg_segment_align: 8
    .kernarg_segment_size: 144
    .language:       OpenCL C
    .language_version:
      - 2
      - 0
    .max_flat_workgroup_size: 256
    .name:           _ZN7rocprim17ROCPRIM_400000_NS6detail17trampoline_kernelINS0_13select_configILj256ELj13ELNS0_17block_load_methodE3ELS4_3ELS4_3ELNS0_20block_scan_algorithmE0ELj4294967295EEENS1_25partition_config_selectorILNS1_17partition_subalgoE3EjNS0_10empty_typeEbEEZZNS1_14partition_implILS8_3ELb0ES6_jNS0_17counting_iteratorIjlEEPS9_SE_NS0_5tupleIJPjSE_EEENSF_IJSE_SE_EEES9_SG_JZNS1_25segmented_radix_sort_implINS0_14default_configELb1EPKlPlSM_SN_N2at6native12_GLOBAL__N_18offset_tEEE10hipError_tPvRmT1_PNSt15iterator_traitsISV_E10value_typeET2_T3_PNSW_IS11_E10value_typeET4_jRbjT5_S17_jjP12ihipStream_tbEUljE_EEESS_ST_SU_S11_S15_S17_T6_T7_T9_mT8_S19_bDpT10_ENKUlT_T0_E_clISt17integral_constantIbLb0EES1M_EEDaS1H_S1I_EUlS1H_E_NS1_11comp_targetILNS1_3genE5ELNS1_11target_archE942ELNS1_3gpuE9ELNS1_3repE0EEENS1_30default_config_static_selectorELNS0_4arch9wavefront6targetE1EEEvSV_
    .private_segment_fixed_size: 0
    .sgpr_count:     4
    .sgpr_spill_count: 0
    .symbol:         _ZN7rocprim17ROCPRIM_400000_NS6detail17trampoline_kernelINS0_13select_configILj256ELj13ELNS0_17block_load_methodE3ELS4_3ELS4_3ELNS0_20block_scan_algorithmE0ELj4294967295EEENS1_25partition_config_selectorILNS1_17partition_subalgoE3EjNS0_10empty_typeEbEEZZNS1_14partition_implILS8_3ELb0ES6_jNS0_17counting_iteratorIjlEEPS9_SE_NS0_5tupleIJPjSE_EEENSF_IJSE_SE_EEES9_SG_JZNS1_25segmented_radix_sort_implINS0_14default_configELb1EPKlPlSM_SN_N2at6native12_GLOBAL__N_18offset_tEEE10hipError_tPvRmT1_PNSt15iterator_traitsISV_E10value_typeET2_T3_PNSW_IS11_E10value_typeET4_jRbjT5_S17_jjP12ihipStream_tbEUljE_EEESS_ST_SU_S11_S15_S17_T6_T7_T9_mT8_S19_bDpT10_ENKUlT_T0_E_clISt17integral_constantIbLb0EES1M_EEDaS1H_S1I_EUlS1H_E_NS1_11comp_targetILNS1_3genE5ELNS1_11target_archE942ELNS1_3gpuE9ELNS1_3repE0EEENS1_30default_config_static_selectorELNS0_4arch9wavefront6targetE1EEEvSV_.kd
    .uniform_work_group_size: 1
    .uses_dynamic_stack: false
    .vgpr_count:     0
    .vgpr_spill_count: 0
    .wavefront_size: 64
  - .agpr_count:     0
    .args:
      - .offset:         0
        .size:           144
        .value_kind:     by_value
    .group_segment_fixed_size: 13324
    .kernarg_segment_align: 8
    .kernarg_segment_size: 144
    .language:       OpenCL C
    .language_version:
      - 2
      - 0
    .max_flat_workgroup_size: 256
    .name:           _ZN7rocprim17ROCPRIM_400000_NS6detail17trampoline_kernelINS0_13select_configILj256ELj13ELNS0_17block_load_methodE3ELS4_3ELS4_3ELNS0_20block_scan_algorithmE0ELj4294967295EEENS1_25partition_config_selectorILNS1_17partition_subalgoE3EjNS0_10empty_typeEbEEZZNS1_14partition_implILS8_3ELb0ES6_jNS0_17counting_iteratorIjlEEPS9_SE_NS0_5tupleIJPjSE_EEENSF_IJSE_SE_EEES9_SG_JZNS1_25segmented_radix_sort_implINS0_14default_configELb1EPKlPlSM_SN_N2at6native12_GLOBAL__N_18offset_tEEE10hipError_tPvRmT1_PNSt15iterator_traitsISV_E10value_typeET2_T3_PNSW_IS11_E10value_typeET4_jRbjT5_S17_jjP12ihipStream_tbEUljE_EEESS_ST_SU_S11_S15_S17_T6_T7_T9_mT8_S19_bDpT10_ENKUlT_T0_E_clISt17integral_constantIbLb0EES1M_EEDaS1H_S1I_EUlS1H_E_NS1_11comp_targetILNS1_3genE4ELNS1_11target_archE910ELNS1_3gpuE8ELNS1_3repE0EEENS1_30default_config_static_selectorELNS0_4arch9wavefront6targetE1EEEvSV_
    .private_segment_fixed_size: 0
    .sgpr_count:     50
    .sgpr_spill_count: 0
    .symbol:         _ZN7rocprim17ROCPRIM_400000_NS6detail17trampoline_kernelINS0_13select_configILj256ELj13ELNS0_17block_load_methodE3ELS4_3ELS4_3ELNS0_20block_scan_algorithmE0ELj4294967295EEENS1_25partition_config_selectorILNS1_17partition_subalgoE3EjNS0_10empty_typeEbEEZZNS1_14partition_implILS8_3ELb0ES6_jNS0_17counting_iteratorIjlEEPS9_SE_NS0_5tupleIJPjSE_EEENSF_IJSE_SE_EEES9_SG_JZNS1_25segmented_radix_sort_implINS0_14default_configELb1EPKlPlSM_SN_N2at6native12_GLOBAL__N_18offset_tEEE10hipError_tPvRmT1_PNSt15iterator_traitsISV_E10value_typeET2_T3_PNSW_IS11_E10value_typeET4_jRbjT5_S17_jjP12ihipStream_tbEUljE_EEESS_ST_SU_S11_S15_S17_T6_T7_T9_mT8_S19_bDpT10_ENKUlT_T0_E_clISt17integral_constantIbLb0EES1M_EEDaS1H_S1I_EUlS1H_E_NS1_11comp_targetILNS1_3genE4ELNS1_11target_archE910ELNS1_3gpuE8ELNS1_3repE0EEENS1_30default_config_static_selectorELNS0_4arch9wavefront6targetE1EEEvSV_.kd
    .uniform_work_group_size: 1
    .uses_dynamic_stack: false
    .vgpr_count:     61
    .vgpr_spill_count: 0
    .wavefront_size: 64
  - .agpr_count:     0
    .args:
      - .offset:         0
        .size:           144
        .value_kind:     by_value
    .group_segment_fixed_size: 0
    .kernarg_segment_align: 8
    .kernarg_segment_size: 144
    .language:       OpenCL C
    .language_version:
      - 2
      - 0
    .max_flat_workgroup_size: 256
    .name:           _ZN7rocprim17ROCPRIM_400000_NS6detail17trampoline_kernelINS0_13select_configILj256ELj13ELNS0_17block_load_methodE3ELS4_3ELS4_3ELNS0_20block_scan_algorithmE0ELj4294967295EEENS1_25partition_config_selectorILNS1_17partition_subalgoE3EjNS0_10empty_typeEbEEZZNS1_14partition_implILS8_3ELb0ES6_jNS0_17counting_iteratorIjlEEPS9_SE_NS0_5tupleIJPjSE_EEENSF_IJSE_SE_EEES9_SG_JZNS1_25segmented_radix_sort_implINS0_14default_configELb1EPKlPlSM_SN_N2at6native12_GLOBAL__N_18offset_tEEE10hipError_tPvRmT1_PNSt15iterator_traitsISV_E10value_typeET2_T3_PNSW_IS11_E10value_typeET4_jRbjT5_S17_jjP12ihipStream_tbEUljE_EEESS_ST_SU_S11_S15_S17_T6_T7_T9_mT8_S19_bDpT10_ENKUlT_T0_E_clISt17integral_constantIbLb0EES1M_EEDaS1H_S1I_EUlS1H_E_NS1_11comp_targetILNS1_3genE3ELNS1_11target_archE908ELNS1_3gpuE7ELNS1_3repE0EEENS1_30default_config_static_selectorELNS0_4arch9wavefront6targetE1EEEvSV_
    .private_segment_fixed_size: 0
    .sgpr_count:     4
    .sgpr_spill_count: 0
    .symbol:         _ZN7rocprim17ROCPRIM_400000_NS6detail17trampoline_kernelINS0_13select_configILj256ELj13ELNS0_17block_load_methodE3ELS4_3ELS4_3ELNS0_20block_scan_algorithmE0ELj4294967295EEENS1_25partition_config_selectorILNS1_17partition_subalgoE3EjNS0_10empty_typeEbEEZZNS1_14partition_implILS8_3ELb0ES6_jNS0_17counting_iteratorIjlEEPS9_SE_NS0_5tupleIJPjSE_EEENSF_IJSE_SE_EEES9_SG_JZNS1_25segmented_radix_sort_implINS0_14default_configELb1EPKlPlSM_SN_N2at6native12_GLOBAL__N_18offset_tEEE10hipError_tPvRmT1_PNSt15iterator_traitsISV_E10value_typeET2_T3_PNSW_IS11_E10value_typeET4_jRbjT5_S17_jjP12ihipStream_tbEUljE_EEESS_ST_SU_S11_S15_S17_T6_T7_T9_mT8_S19_bDpT10_ENKUlT_T0_E_clISt17integral_constantIbLb0EES1M_EEDaS1H_S1I_EUlS1H_E_NS1_11comp_targetILNS1_3genE3ELNS1_11target_archE908ELNS1_3gpuE7ELNS1_3repE0EEENS1_30default_config_static_selectorELNS0_4arch9wavefront6targetE1EEEvSV_.kd
    .uniform_work_group_size: 1
    .uses_dynamic_stack: false
    .vgpr_count:     0
    .vgpr_spill_count: 0
    .wavefront_size: 64
  - .agpr_count:     0
    .args:
      - .offset:         0
        .size:           144
        .value_kind:     by_value
    .group_segment_fixed_size: 0
    .kernarg_segment_align: 8
    .kernarg_segment_size: 144
    .language:       OpenCL C
    .language_version:
      - 2
      - 0
    .max_flat_workgroup_size: 256
    .name:           _ZN7rocprim17ROCPRIM_400000_NS6detail17trampoline_kernelINS0_13select_configILj256ELj13ELNS0_17block_load_methodE3ELS4_3ELS4_3ELNS0_20block_scan_algorithmE0ELj4294967295EEENS1_25partition_config_selectorILNS1_17partition_subalgoE3EjNS0_10empty_typeEbEEZZNS1_14partition_implILS8_3ELb0ES6_jNS0_17counting_iteratorIjlEEPS9_SE_NS0_5tupleIJPjSE_EEENSF_IJSE_SE_EEES9_SG_JZNS1_25segmented_radix_sort_implINS0_14default_configELb1EPKlPlSM_SN_N2at6native12_GLOBAL__N_18offset_tEEE10hipError_tPvRmT1_PNSt15iterator_traitsISV_E10value_typeET2_T3_PNSW_IS11_E10value_typeET4_jRbjT5_S17_jjP12ihipStream_tbEUljE_EEESS_ST_SU_S11_S15_S17_T6_T7_T9_mT8_S19_bDpT10_ENKUlT_T0_E_clISt17integral_constantIbLb0EES1M_EEDaS1H_S1I_EUlS1H_E_NS1_11comp_targetILNS1_3genE2ELNS1_11target_archE906ELNS1_3gpuE6ELNS1_3repE0EEENS1_30default_config_static_selectorELNS0_4arch9wavefront6targetE1EEEvSV_
    .private_segment_fixed_size: 0
    .sgpr_count:     4
    .sgpr_spill_count: 0
    .symbol:         _ZN7rocprim17ROCPRIM_400000_NS6detail17trampoline_kernelINS0_13select_configILj256ELj13ELNS0_17block_load_methodE3ELS4_3ELS4_3ELNS0_20block_scan_algorithmE0ELj4294967295EEENS1_25partition_config_selectorILNS1_17partition_subalgoE3EjNS0_10empty_typeEbEEZZNS1_14partition_implILS8_3ELb0ES6_jNS0_17counting_iteratorIjlEEPS9_SE_NS0_5tupleIJPjSE_EEENSF_IJSE_SE_EEES9_SG_JZNS1_25segmented_radix_sort_implINS0_14default_configELb1EPKlPlSM_SN_N2at6native12_GLOBAL__N_18offset_tEEE10hipError_tPvRmT1_PNSt15iterator_traitsISV_E10value_typeET2_T3_PNSW_IS11_E10value_typeET4_jRbjT5_S17_jjP12ihipStream_tbEUljE_EEESS_ST_SU_S11_S15_S17_T6_T7_T9_mT8_S19_bDpT10_ENKUlT_T0_E_clISt17integral_constantIbLb0EES1M_EEDaS1H_S1I_EUlS1H_E_NS1_11comp_targetILNS1_3genE2ELNS1_11target_archE906ELNS1_3gpuE6ELNS1_3repE0EEENS1_30default_config_static_selectorELNS0_4arch9wavefront6targetE1EEEvSV_.kd
    .uniform_work_group_size: 1
    .uses_dynamic_stack: false
    .vgpr_count:     0
    .vgpr_spill_count: 0
    .wavefront_size: 64
  - .agpr_count:     0
    .args:
      - .offset:         0
        .size:           144
        .value_kind:     by_value
    .group_segment_fixed_size: 0
    .kernarg_segment_align: 8
    .kernarg_segment_size: 144
    .language:       OpenCL C
    .language_version:
      - 2
      - 0
    .max_flat_workgroup_size: 256
    .name:           _ZN7rocprim17ROCPRIM_400000_NS6detail17trampoline_kernelINS0_13select_configILj256ELj13ELNS0_17block_load_methodE3ELS4_3ELS4_3ELNS0_20block_scan_algorithmE0ELj4294967295EEENS1_25partition_config_selectorILNS1_17partition_subalgoE3EjNS0_10empty_typeEbEEZZNS1_14partition_implILS8_3ELb0ES6_jNS0_17counting_iteratorIjlEEPS9_SE_NS0_5tupleIJPjSE_EEENSF_IJSE_SE_EEES9_SG_JZNS1_25segmented_radix_sort_implINS0_14default_configELb1EPKlPlSM_SN_N2at6native12_GLOBAL__N_18offset_tEEE10hipError_tPvRmT1_PNSt15iterator_traitsISV_E10value_typeET2_T3_PNSW_IS11_E10value_typeET4_jRbjT5_S17_jjP12ihipStream_tbEUljE_EEESS_ST_SU_S11_S15_S17_T6_T7_T9_mT8_S19_bDpT10_ENKUlT_T0_E_clISt17integral_constantIbLb0EES1M_EEDaS1H_S1I_EUlS1H_E_NS1_11comp_targetILNS1_3genE10ELNS1_11target_archE1200ELNS1_3gpuE4ELNS1_3repE0EEENS1_30default_config_static_selectorELNS0_4arch9wavefront6targetE1EEEvSV_
    .private_segment_fixed_size: 0
    .sgpr_count:     4
    .sgpr_spill_count: 0
    .symbol:         _ZN7rocprim17ROCPRIM_400000_NS6detail17trampoline_kernelINS0_13select_configILj256ELj13ELNS0_17block_load_methodE3ELS4_3ELS4_3ELNS0_20block_scan_algorithmE0ELj4294967295EEENS1_25partition_config_selectorILNS1_17partition_subalgoE3EjNS0_10empty_typeEbEEZZNS1_14partition_implILS8_3ELb0ES6_jNS0_17counting_iteratorIjlEEPS9_SE_NS0_5tupleIJPjSE_EEENSF_IJSE_SE_EEES9_SG_JZNS1_25segmented_radix_sort_implINS0_14default_configELb1EPKlPlSM_SN_N2at6native12_GLOBAL__N_18offset_tEEE10hipError_tPvRmT1_PNSt15iterator_traitsISV_E10value_typeET2_T3_PNSW_IS11_E10value_typeET4_jRbjT5_S17_jjP12ihipStream_tbEUljE_EEESS_ST_SU_S11_S15_S17_T6_T7_T9_mT8_S19_bDpT10_ENKUlT_T0_E_clISt17integral_constantIbLb0EES1M_EEDaS1H_S1I_EUlS1H_E_NS1_11comp_targetILNS1_3genE10ELNS1_11target_archE1200ELNS1_3gpuE4ELNS1_3repE0EEENS1_30default_config_static_selectorELNS0_4arch9wavefront6targetE1EEEvSV_.kd
    .uniform_work_group_size: 1
    .uses_dynamic_stack: false
    .vgpr_count:     0
    .vgpr_spill_count: 0
    .wavefront_size: 64
  - .agpr_count:     0
    .args:
      - .offset:         0
        .size:           144
        .value_kind:     by_value
    .group_segment_fixed_size: 0
    .kernarg_segment_align: 8
    .kernarg_segment_size: 144
    .language:       OpenCL C
    .language_version:
      - 2
      - 0
    .max_flat_workgroup_size: 256
    .name:           _ZN7rocprim17ROCPRIM_400000_NS6detail17trampoline_kernelINS0_13select_configILj256ELj13ELNS0_17block_load_methodE3ELS4_3ELS4_3ELNS0_20block_scan_algorithmE0ELj4294967295EEENS1_25partition_config_selectorILNS1_17partition_subalgoE3EjNS0_10empty_typeEbEEZZNS1_14partition_implILS8_3ELb0ES6_jNS0_17counting_iteratorIjlEEPS9_SE_NS0_5tupleIJPjSE_EEENSF_IJSE_SE_EEES9_SG_JZNS1_25segmented_radix_sort_implINS0_14default_configELb1EPKlPlSM_SN_N2at6native12_GLOBAL__N_18offset_tEEE10hipError_tPvRmT1_PNSt15iterator_traitsISV_E10value_typeET2_T3_PNSW_IS11_E10value_typeET4_jRbjT5_S17_jjP12ihipStream_tbEUljE_EEESS_ST_SU_S11_S15_S17_T6_T7_T9_mT8_S19_bDpT10_ENKUlT_T0_E_clISt17integral_constantIbLb0EES1M_EEDaS1H_S1I_EUlS1H_E_NS1_11comp_targetILNS1_3genE9ELNS1_11target_archE1100ELNS1_3gpuE3ELNS1_3repE0EEENS1_30default_config_static_selectorELNS0_4arch9wavefront6targetE1EEEvSV_
    .private_segment_fixed_size: 0
    .sgpr_count:     4
    .sgpr_spill_count: 0
    .symbol:         _ZN7rocprim17ROCPRIM_400000_NS6detail17trampoline_kernelINS0_13select_configILj256ELj13ELNS0_17block_load_methodE3ELS4_3ELS4_3ELNS0_20block_scan_algorithmE0ELj4294967295EEENS1_25partition_config_selectorILNS1_17partition_subalgoE3EjNS0_10empty_typeEbEEZZNS1_14partition_implILS8_3ELb0ES6_jNS0_17counting_iteratorIjlEEPS9_SE_NS0_5tupleIJPjSE_EEENSF_IJSE_SE_EEES9_SG_JZNS1_25segmented_radix_sort_implINS0_14default_configELb1EPKlPlSM_SN_N2at6native12_GLOBAL__N_18offset_tEEE10hipError_tPvRmT1_PNSt15iterator_traitsISV_E10value_typeET2_T3_PNSW_IS11_E10value_typeET4_jRbjT5_S17_jjP12ihipStream_tbEUljE_EEESS_ST_SU_S11_S15_S17_T6_T7_T9_mT8_S19_bDpT10_ENKUlT_T0_E_clISt17integral_constantIbLb0EES1M_EEDaS1H_S1I_EUlS1H_E_NS1_11comp_targetILNS1_3genE9ELNS1_11target_archE1100ELNS1_3gpuE3ELNS1_3repE0EEENS1_30default_config_static_selectorELNS0_4arch9wavefront6targetE1EEEvSV_.kd
    .uniform_work_group_size: 1
    .uses_dynamic_stack: false
    .vgpr_count:     0
    .vgpr_spill_count: 0
    .wavefront_size: 64
  - .agpr_count:     0
    .args:
      - .offset:         0
        .size:           144
        .value_kind:     by_value
    .group_segment_fixed_size: 0
    .kernarg_segment_align: 8
    .kernarg_segment_size: 144
    .language:       OpenCL C
    .language_version:
      - 2
      - 0
    .max_flat_workgroup_size: 256
    .name:           _ZN7rocprim17ROCPRIM_400000_NS6detail17trampoline_kernelINS0_13select_configILj256ELj13ELNS0_17block_load_methodE3ELS4_3ELS4_3ELNS0_20block_scan_algorithmE0ELj4294967295EEENS1_25partition_config_selectorILNS1_17partition_subalgoE3EjNS0_10empty_typeEbEEZZNS1_14partition_implILS8_3ELb0ES6_jNS0_17counting_iteratorIjlEEPS9_SE_NS0_5tupleIJPjSE_EEENSF_IJSE_SE_EEES9_SG_JZNS1_25segmented_radix_sort_implINS0_14default_configELb1EPKlPlSM_SN_N2at6native12_GLOBAL__N_18offset_tEEE10hipError_tPvRmT1_PNSt15iterator_traitsISV_E10value_typeET2_T3_PNSW_IS11_E10value_typeET4_jRbjT5_S17_jjP12ihipStream_tbEUljE_EEESS_ST_SU_S11_S15_S17_T6_T7_T9_mT8_S19_bDpT10_ENKUlT_T0_E_clISt17integral_constantIbLb0EES1M_EEDaS1H_S1I_EUlS1H_E_NS1_11comp_targetILNS1_3genE8ELNS1_11target_archE1030ELNS1_3gpuE2ELNS1_3repE0EEENS1_30default_config_static_selectorELNS0_4arch9wavefront6targetE1EEEvSV_
    .private_segment_fixed_size: 0
    .sgpr_count:     4
    .sgpr_spill_count: 0
    .symbol:         _ZN7rocprim17ROCPRIM_400000_NS6detail17trampoline_kernelINS0_13select_configILj256ELj13ELNS0_17block_load_methodE3ELS4_3ELS4_3ELNS0_20block_scan_algorithmE0ELj4294967295EEENS1_25partition_config_selectorILNS1_17partition_subalgoE3EjNS0_10empty_typeEbEEZZNS1_14partition_implILS8_3ELb0ES6_jNS0_17counting_iteratorIjlEEPS9_SE_NS0_5tupleIJPjSE_EEENSF_IJSE_SE_EEES9_SG_JZNS1_25segmented_radix_sort_implINS0_14default_configELb1EPKlPlSM_SN_N2at6native12_GLOBAL__N_18offset_tEEE10hipError_tPvRmT1_PNSt15iterator_traitsISV_E10value_typeET2_T3_PNSW_IS11_E10value_typeET4_jRbjT5_S17_jjP12ihipStream_tbEUljE_EEESS_ST_SU_S11_S15_S17_T6_T7_T9_mT8_S19_bDpT10_ENKUlT_T0_E_clISt17integral_constantIbLb0EES1M_EEDaS1H_S1I_EUlS1H_E_NS1_11comp_targetILNS1_3genE8ELNS1_11target_archE1030ELNS1_3gpuE2ELNS1_3repE0EEENS1_30default_config_static_selectorELNS0_4arch9wavefront6targetE1EEEvSV_.kd
    .uniform_work_group_size: 1
    .uses_dynamic_stack: false
    .vgpr_count:     0
    .vgpr_spill_count: 0
    .wavefront_size: 64
  - .agpr_count:     0
    .args:
      - .offset:         0
        .size:           152
        .value_kind:     by_value
    .group_segment_fixed_size: 0
    .kernarg_segment_align: 8
    .kernarg_segment_size: 152
    .language:       OpenCL C
    .language_version:
      - 2
      - 0
    .max_flat_workgroup_size: 256
    .name:           _ZN7rocprim17ROCPRIM_400000_NS6detail17trampoline_kernelINS0_13select_configILj256ELj13ELNS0_17block_load_methodE3ELS4_3ELS4_3ELNS0_20block_scan_algorithmE0ELj4294967295EEENS1_25partition_config_selectorILNS1_17partition_subalgoE3EjNS0_10empty_typeEbEEZZNS1_14partition_implILS8_3ELb0ES6_jNS0_17counting_iteratorIjlEEPS9_SE_NS0_5tupleIJPjSE_EEENSF_IJSE_SE_EEES9_SG_JZNS1_25segmented_radix_sort_implINS0_14default_configELb1EPKlPlSM_SN_N2at6native12_GLOBAL__N_18offset_tEEE10hipError_tPvRmT1_PNSt15iterator_traitsISV_E10value_typeET2_T3_PNSW_IS11_E10value_typeET4_jRbjT5_S17_jjP12ihipStream_tbEUljE_EEESS_ST_SU_S11_S15_S17_T6_T7_T9_mT8_S19_bDpT10_ENKUlT_T0_E_clISt17integral_constantIbLb1EES1M_EEDaS1H_S1I_EUlS1H_E_NS1_11comp_targetILNS1_3genE0ELNS1_11target_archE4294967295ELNS1_3gpuE0ELNS1_3repE0EEENS1_30default_config_static_selectorELNS0_4arch9wavefront6targetE1EEEvSV_
    .private_segment_fixed_size: 0
    .sgpr_count:     4
    .sgpr_spill_count: 0
    .symbol:         _ZN7rocprim17ROCPRIM_400000_NS6detail17trampoline_kernelINS0_13select_configILj256ELj13ELNS0_17block_load_methodE3ELS4_3ELS4_3ELNS0_20block_scan_algorithmE0ELj4294967295EEENS1_25partition_config_selectorILNS1_17partition_subalgoE3EjNS0_10empty_typeEbEEZZNS1_14partition_implILS8_3ELb0ES6_jNS0_17counting_iteratorIjlEEPS9_SE_NS0_5tupleIJPjSE_EEENSF_IJSE_SE_EEES9_SG_JZNS1_25segmented_radix_sort_implINS0_14default_configELb1EPKlPlSM_SN_N2at6native12_GLOBAL__N_18offset_tEEE10hipError_tPvRmT1_PNSt15iterator_traitsISV_E10value_typeET2_T3_PNSW_IS11_E10value_typeET4_jRbjT5_S17_jjP12ihipStream_tbEUljE_EEESS_ST_SU_S11_S15_S17_T6_T7_T9_mT8_S19_bDpT10_ENKUlT_T0_E_clISt17integral_constantIbLb1EES1M_EEDaS1H_S1I_EUlS1H_E_NS1_11comp_targetILNS1_3genE0ELNS1_11target_archE4294967295ELNS1_3gpuE0ELNS1_3repE0EEENS1_30default_config_static_selectorELNS0_4arch9wavefront6targetE1EEEvSV_.kd
    .uniform_work_group_size: 1
    .uses_dynamic_stack: false
    .vgpr_count:     0
    .vgpr_spill_count: 0
    .wavefront_size: 64
  - .agpr_count:     0
    .args:
      - .offset:         0
        .size:           152
        .value_kind:     by_value
    .group_segment_fixed_size: 0
    .kernarg_segment_align: 8
    .kernarg_segment_size: 152
    .language:       OpenCL C
    .language_version:
      - 2
      - 0
    .max_flat_workgroup_size: 256
    .name:           _ZN7rocprim17ROCPRIM_400000_NS6detail17trampoline_kernelINS0_13select_configILj256ELj13ELNS0_17block_load_methodE3ELS4_3ELS4_3ELNS0_20block_scan_algorithmE0ELj4294967295EEENS1_25partition_config_selectorILNS1_17partition_subalgoE3EjNS0_10empty_typeEbEEZZNS1_14partition_implILS8_3ELb0ES6_jNS0_17counting_iteratorIjlEEPS9_SE_NS0_5tupleIJPjSE_EEENSF_IJSE_SE_EEES9_SG_JZNS1_25segmented_radix_sort_implINS0_14default_configELb1EPKlPlSM_SN_N2at6native12_GLOBAL__N_18offset_tEEE10hipError_tPvRmT1_PNSt15iterator_traitsISV_E10value_typeET2_T3_PNSW_IS11_E10value_typeET4_jRbjT5_S17_jjP12ihipStream_tbEUljE_EEESS_ST_SU_S11_S15_S17_T6_T7_T9_mT8_S19_bDpT10_ENKUlT_T0_E_clISt17integral_constantIbLb1EES1M_EEDaS1H_S1I_EUlS1H_E_NS1_11comp_targetILNS1_3genE5ELNS1_11target_archE942ELNS1_3gpuE9ELNS1_3repE0EEENS1_30default_config_static_selectorELNS0_4arch9wavefront6targetE1EEEvSV_
    .private_segment_fixed_size: 0
    .sgpr_count:     4
    .sgpr_spill_count: 0
    .symbol:         _ZN7rocprim17ROCPRIM_400000_NS6detail17trampoline_kernelINS0_13select_configILj256ELj13ELNS0_17block_load_methodE3ELS4_3ELS4_3ELNS0_20block_scan_algorithmE0ELj4294967295EEENS1_25partition_config_selectorILNS1_17partition_subalgoE3EjNS0_10empty_typeEbEEZZNS1_14partition_implILS8_3ELb0ES6_jNS0_17counting_iteratorIjlEEPS9_SE_NS0_5tupleIJPjSE_EEENSF_IJSE_SE_EEES9_SG_JZNS1_25segmented_radix_sort_implINS0_14default_configELb1EPKlPlSM_SN_N2at6native12_GLOBAL__N_18offset_tEEE10hipError_tPvRmT1_PNSt15iterator_traitsISV_E10value_typeET2_T3_PNSW_IS11_E10value_typeET4_jRbjT5_S17_jjP12ihipStream_tbEUljE_EEESS_ST_SU_S11_S15_S17_T6_T7_T9_mT8_S19_bDpT10_ENKUlT_T0_E_clISt17integral_constantIbLb1EES1M_EEDaS1H_S1I_EUlS1H_E_NS1_11comp_targetILNS1_3genE5ELNS1_11target_archE942ELNS1_3gpuE9ELNS1_3repE0EEENS1_30default_config_static_selectorELNS0_4arch9wavefront6targetE1EEEvSV_.kd
    .uniform_work_group_size: 1
    .uses_dynamic_stack: false
    .vgpr_count:     0
    .vgpr_spill_count: 0
    .wavefront_size: 64
  - .agpr_count:     0
    .args:
      - .offset:         0
        .size:           152
        .value_kind:     by_value
    .group_segment_fixed_size: 13324
    .kernarg_segment_align: 8
    .kernarg_segment_size: 152
    .language:       OpenCL C
    .language_version:
      - 2
      - 0
    .max_flat_workgroup_size: 256
    .name:           _ZN7rocprim17ROCPRIM_400000_NS6detail17trampoline_kernelINS0_13select_configILj256ELj13ELNS0_17block_load_methodE3ELS4_3ELS4_3ELNS0_20block_scan_algorithmE0ELj4294967295EEENS1_25partition_config_selectorILNS1_17partition_subalgoE3EjNS0_10empty_typeEbEEZZNS1_14partition_implILS8_3ELb0ES6_jNS0_17counting_iteratorIjlEEPS9_SE_NS0_5tupleIJPjSE_EEENSF_IJSE_SE_EEES9_SG_JZNS1_25segmented_radix_sort_implINS0_14default_configELb1EPKlPlSM_SN_N2at6native12_GLOBAL__N_18offset_tEEE10hipError_tPvRmT1_PNSt15iterator_traitsISV_E10value_typeET2_T3_PNSW_IS11_E10value_typeET4_jRbjT5_S17_jjP12ihipStream_tbEUljE_EEESS_ST_SU_S11_S15_S17_T6_T7_T9_mT8_S19_bDpT10_ENKUlT_T0_E_clISt17integral_constantIbLb1EES1M_EEDaS1H_S1I_EUlS1H_E_NS1_11comp_targetILNS1_3genE4ELNS1_11target_archE910ELNS1_3gpuE8ELNS1_3repE0EEENS1_30default_config_static_selectorELNS0_4arch9wavefront6targetE1EEEvSV_
    .private_segment_fixed_size: 0
    .sgpr_count:     48
    .sgpr_spill_count: 0
    .symbol:         _ZN7rocprim17ROCPRIM_400000_NS6detail17trampoline_kernelINS0_13select_configILj256ELj13ELNS0_17block_load_methodE3ELS4_3ELS4_3ELNS0_20block_scan_algorithmE0ELj4294967295EEENS1_25partition_config_selectorILNS1_17partition_subalgoE3EjNS0_10empty_typeEbEEZZNS1_14partition_implILS8_3ELb0ES6_jNS0_17counting_iteratorIjlEEPS9_SE_NS0_5tupleIJPjSE_EEENSF_IJSE_SE_EEES9_SG_JZNS1_25segmented_radix_sort_implINS0_14default_configELb1EPKlPlSM_SN_N2at6native12_GLOBAL__N_18offset_tEEE10hipError_tPvRmT1_PNSt15iterator_traitsISV_E10value_typeET2_T3_PNSW_IS11_E10value_typeET4_jRbjT5_S17_jjP12ihipStream_tbEUljE_EEESS_ST_SU_S11_S15_S17_T6_T7_T9_mT8_S19_bDpT10_ENKUlT_T0_E_clISt17integral_constantIbLb1EES1M_EEDaS1H_S1I_EUlS1H_E_NS1_11comp_targetILNS1_3genE4ELNS1_11target_archE910ELNS1_3gpuE8ELNS1_3repE0EEENS1_30default_config_static_selectorELNS0_4arch9wavefront6targetE1EEEvSV_.kd
    .uniform_work_group_size: 1
    .uses_dynamic_stack: false
    .vgpr_count:     64
    .vgpr_spill_count: 0
    .wavefront_size: 64
  - .agpr_count:     0
    .args:
      - .offset:         0
        .size:           152
        .value_kind:     by_value
    .group_segment_fixed_size: 0
    .kernarg_segment_align: 8
    .kernarg_segment_size: 152
    .language:       OpenCL C
    .language_version:
      - 2
      - 0
    .max_flat_workgroup_size: 256
    .name:           _ZN7rocprim17ROCPRIM_400000_NS6detail17trampoline_kernelINS0_13select_configILj256ELj13ELNS0_17block_load_methodE3ELS4_3ELS4_3ELNS0_20block_scan_algorithmE0ELj4294967295EEENS1_25partition_config_selectorILNS1_17partition_subalgoE3EjNS0_10empty_typeEbEEZZNS1_14partition_implILS8_3ELb0ES6_jNS0_17counting_iteratorIjlEEPS9_SE_NS0_5tupleIJPjSE_EEENSF_IJSE_SE_EEES9_SG_JZNS1_25segmented_radix_sort_implINS0_14default_configELb1EPKlPlSM_SN_N2at6native12_GLOBAL__N_18offset_tEEE10hipError_tPvRmT1_PNSt15iterator_traitsISV_E10value_typeET2_T3_PNSW_IS11_E10value_typeET4_jRbjT5_S17_jjP12ihipStream_tbEUljE_EEESS_ST_SU_S11_S15_S17_T6_T7_T9_mT8_S19_bDpT10_ENKUlT_T0_E_clISt17integral_constantIbLb1EES1M_EEDaS1H_S1I_EUlS1H_E_NS1_11comp_targetILNS1_3genE3ELNS1_11target_archE908ELNS1_3gpuE7ELNS1_3repE0EEENS1_30default_config_static_selectorELNS0_4arch9wavefront6targetE1EEEvSV_
    .private_segment_fixed_size: 0
    .sgpr_count:     4
    .sgpr_spill_count: 0
    .symbol:         _ZN7rocprim17ROCPRIM_400000_NS6detail17trampoline_kernelINS0_13select_configILj256ELj13ELNS0_17block_load_methodE3ELS4_3ELS4_3ELNS0_20block_scan_algorithmE0ELj4294967295EEENS1_25partition_config_selectorILNS1_17partition_subalgoE3EjNS0_10empty_typeEbEEZZNS1_14partition_implILS8_3ELb0ES6_jNS0_17counting_iteratorIjlEEPS9_SE_NS0_5tupleIJPjSE_EEENSF_IJSE_SE_EEES9_SG_JZNS1_25segmented_radix_sort_implINS0_14default_configELb1EPKlPlSM_SN_N2at6native12_GLOBAL__N_18offset_tEEE10hipError_tPvRmT1_PNSt15iterator_traitsISV_E10value_typeET2_T3_PNSW_IS11_E10value_typeET4_jRbjT5_S17_jjP12ihipStream_tbEUljE_EEESS_ST_SU_S11_S15_S17_T6_T7_T9_mT8_S19_bDpT10_ENKUlT_T0_E_clISt17integral_constantIbLb1EES1M_EEDaS1H_S1I_EUlS1H_E_NS1_11comp_targetILNS1_3genE3ELNS1_11target_archE908ELNS1_3gpuE7ELNS1_3repE0EEENS1_30default_config_static_selectorELNS0_4arch9wavefront6targetE1EEEvSV_.kd
    .uniform_work_group_size: 1
    .uses_dynamic_stack: false
    .vgpr_count:     0
    .vgpr_spill_count: 0
    .wavefront_size: 64
  - .agpr_count:     0
    .args:
      - .offset:         0
        .size:           152
        .value_kind:     by_value
    .group_segment_fixed_size: 0
    .kernarg_segment_align: 8
    .kernarg_segment_size: 152
    .language:       OpenCL C
    .language_version:
      - 2
      - 0
    .max_flat_workgroup_size: 256
    .name:           _ZN7rocprim17ROCPRIM_400000_NS6detail17trampoline_kernelINS0_13select_configILj256ELj13ELNS0_17block_load_methodE3ELS4_3ELS4_3ELNS0_20block_scan_algorithmE0ELj4294967295EEENS1_25partition_config_selectorILNS1_17partition_subalgoE3EjNS0_10empty_typeEbEEZZNS1_14partition_implILS8_3ELb0ES6_jNS0_17counting_iteratorIjlEEPS9_SE_NS0_5tupleIJPjSE_EEENSF_IJSE_SE_EEES9_SG_JZNS1_25segmented_radix_sort_implINS0_14default_configELb1EPKlPlSM_SN_N2at6native12_GLOBAL__N_18offset_tEEE10hipError_tPvRmT1_PNSt15iterator_traitsISV_E10value_typeET2_T3_PNSW_IS11_E10value_typeET4_jRbjT5_S17_jjP12ihipStream_tbEUljE_EEESS_ST_SU_S11_S15_S17_T6_T7_T9_mT8_S19_bDpT10_ENKUlT_T0_E_clISt17integral_constantIbLb1EES1M_EEDaS1H_S1I_EUlS1H_E_NS1_11comp_targetILNS1_3genE2ELNS1_11target_archE906ELNS1_3gpuE6ELNS1_3repE0EEENS1_30default_config_static_selectorELNS0_4arch9wavefront6targetE1EEEvSV_
    .private_segment_fixed_size: 0
    .sgpr_count:     4
    .sgpr_spill_count: 0
    .symbol:         _ZN7rocprim17ROCPRIM_400000_NS6detail17trampoline_kernelINS0_13select_configILj256ELj13ELNS0_17block_load_methodE3ELS4_3ELS4_3ELNS0_20block_scan_algorithmE0ELj4294967295EEENS1_25partition_config_selectorILNS1_17partition_subalgoE3EjNS0_10empty_typeEbEEZZNS1_14partition_implILS8_3ELb0ES6_jNS0_17counting_iteratorIjlEEPS9_SE_NS0_5tupleIJPjSE_EEENSF_IJSE_SE_EEES9_SG_JZNS1_25segmented_radix_sort_implINS0_14default_configELb1EPKlPlSM_SN_N2at6native12_GLOBAL__N_18offset_tEEE10hipError_tPvRmT1_PNSt15iterator_traitsISV_E10value_typeET2_T3_PNSW_IS11_E10value_typeET4_jRbjT5_S17_jjP12ihipStream_tbEUljE_EEESS_ST_SU_S11_S15_S17_T6_T7_T9_mT8_S19_bDpT10_ENKUlT_T0_E_clISt17integral_constantIbLb1EES1M_EEDaS1H_S1I_EUlS1H_E_NS1_11comp_targetILNS1_3genE2ELNS1_11target_archE906ELNS1_3gpuE6ELNS1_3repE0EEENS1_30default_config_static_selectorELNS0_4arch9wavefront6targetE1EEEvSV_.kd
    .uniform_work_group_size: 1
    .uses_dynamic_stack: false
    .vgpr_count:     0
    .vgpr_spill_count: 0
    .wavefront_size: 64
  - .agpr_count:     0
    .args:
      - .offset:         0
        .size:           152
        .value_kind:     by_value
    .group_segment_fixed_size: 0
    .kernarg_segment_align: 8
    .kernarg_segment_size: 152
    .language:       OpenCL C
    .language_version:
      - 2
      - 0
    .max_flat_workgroup_size: 256
    .name:           _ZN7rocprim17ROCPRIM_400000_NS6detail17trampoline_kernelINS0_13select_configILj256ELj13ELNS0_17block_load_methodE3ELS4_3ELS4_3ELNS0_20block_scan_algorithmE0ELj4294967295EEENS1_25partition_config_selectorILNS1_17partition_subalgoE3EjNS0_10empty_typeEbEEZZNS1_14partition_implILS8_3ELb0ES6_jNS0_17counting_iteratorIjlEEPS9_SE_NS0_5tupleIJPjSE_EEENSF_IJSE_SE_EEES9_SG_JZNS1_25segmented_radix_sort_implINS0_14default_configELb1EPKlPlSM_SN_N2at6native12_GLOBAL__N_18offset_tEEE10hipError_tPvRmT1_PNSt15iterator_traitsISV_E10value_typeET2_T3_PNSW_IS11_E10value_typeET4_jRbjT5_S17_jjP12ihipStream_tbEUljE_EEESS_ST_SU_S11_S15_S17_T6_T7_T9_mT8_S19_bDpT10_ENKUlT_T0_E_clISt17integral_constantIbLb1EES1M_EEDaS1H_S1I_EUlS1H_E_NS1_11comp_targetILNS1_3genE10ELNS1_11target_archE1200ELNS1_3gpuE4ELNS1_3repE0EEENS1_30default_config_static_selectorELNS0_4arch9wavefront6targetE1EEEvSV_
    .private_segment_fixed_size: 0
    .sgpr_count:     4
    .sgpr_spill_count: 0
    .symbol:         _ZN7rocprim17ROCPRIM_400000_NS6detail17trampoline_kernelINS0_13select_configILj256ELj13ELNS0_17block_load_methodE3ELS4_3ELS4_3ELNS0_20block_scan_algorithmE0ELj4294967295EEENS1_25partition_config_selectorILNS1_17partition_subalgoE3EjNS0_10empty_typeEbEEZZNS1_14partition_implILS8_3ELb0ES6_jNS0_17counting_iteratorIjlEEPS9_SE_NS0_5tupleIJPjSE_EEENSF_IJSE_SE_EEES9_SG_JZNS1_25segmented_radix_sort_implINS0_14default_configELb1EPKlPlSM_SN_N2at6native12_GLOBAL__N_18offset_tEEE10hipError_tPvRmT1_PNSt15iterator_traitsISV_E10value_typeET2_T3_PNSW_IS11_E10value_typeET4_jRbjT5_S17_jjP12ihipStream_tbEUljE_EEESS_ST_SU_S11_S15_S17_T6_T7_T9_mT8_S19_bDpT10_ENKUlT_T0_E_clISt17integral_constantIbLb1EES1M_EEDaS1H_S1I_EUlS1H_E_NS1_11comp_targetILNS1_3genE10ELNS1_11target_archE1200ELNS1_3gpuE4ELNS1_3repE0EEENS1_30default_config_static_selectorELNS0_4arch9wavefront6targetE1EEEvSV_.kd
    .uniform_work_group_size: 1
    .uses_dynamic_stack: false
    .vgpr_count:     0
    .vgpr_spill_count: 0
    .wavefront_size: 64
  - .agpr_count:     0
    .args:
      - .offset:         0
        .size:           152
        .value_kind:     by_value
    .group_segment_fixed_size: 0
    .kernarg_segment_align: 8
    .kernarg_segment_size: 152
    .language:       OpenCL C
    .language_version:
      - 2
      - 0
    .max_flat_workgroup_size: 256
    .name:           _ZN7rocprim17ROCPRIM_400000_NS6detail17trampoline_kernelINS0_13select_configILj256ELj13ELNS0_17block_load_methodE3ELS4_3ELS4_3ELNS0_20block_scan_algorithmE0ELj4294967295EEENS1_25partition_config_selectorILNS1_17partition_subalgoE3EjNS0_10empty_typeEbEEZZNS1_14partition_implILS8_3ELb0ES6_jNS0_17counting_iteratorIjlEEPS9_SE_NS0_5tupleIJPjSE_EEENSF_IJSE_SE_EEES9_SG_JZNS1_25segmented_radix_sort_implINS0_14default_configELb1EPKlPlSM_SN_N2at6native12_GLOBAL__N_18offset_tEEE10hipError_tPvRmT1_PNSt15iterator_traitsISV_E10value_typeET2_T3_PNSW_IS11_E10value_typeET4_jRbjT5_S17_jjP12ihipStream_tbEUljE_EEESS_ST_SU_S11_S15_S17_T6_T7_T9_mT8_S19_bDpT10_ENKUlT_T0_E_clISt17integral_constantIbLb1EES1M_EEDaS1H_S1I_EUlS1H_E_NS1_11comp_targetILNS1_3genE9ELNS1_11target_archE1100ELNS1_3gpuE3ELNS1_3repE0EEENS1_30default_config_static_selectorELNS0_4arch9wavefront6targetE1EEEvSV_
    .private_segment_fixed_size: 0
    .sgpr_count:     4
    .sgpr_spill_count: 0
    .symbol:         _ZN7rocprim17ROCPRIM_400000_NS6detail17trampoline_kernelINS0_13select_configILj256ELj13ELNS0_17block_load_methodE3ELS4_3ELS4_3ELNS0_20block_scan_algorithmE0ELj4294967295EEENS1_25partition_config_selectorILNS1_17partition_subalgoE3EjNS0_10empty_typeEbEEZZNS1_14partition_implILS8_3ELb0ES6_jNS0_17counting_iteratorIjlEEPS9_SE_NS0_5tupleIJPjSE_EEENSF_IJSE_SE_EEES9_SG_JZNS1_25segmented_radix_sort_implINS0_14default_configELb1EPKlPlSM_SN_N2at6native12_GLOBAL__N_18offset_tEEE10hipError_tPvRmT1_PNSt15iterator_traitsISV_E10value_typeET2_T3_PNSW_IS11_E10value_typeET4_jRbjT5_S17_jjP12ihipStream_tbEUljE_EEESS_ST_SU_S11_S15_S17_T6_T7_T9_mT8_S19_bDpT10_ENKUlT_T0_E_clISt17integral_constantIbLb1EES1M_EEDaS1H_S1I_EUlS1H_E_NS1_11comp_targetILNS1_3genE9ELNS1_11target_archE1100ELNS1_3gpuE3ELNS1_3repE0EEENS1_30default_config_static_selectorELNS0_4arch9wavefront6targetE1EEEvSV_.kd
    .uniform_work_group_size: 1
    .uses_dynamic_stack: false
    .vgpr_count:     0
    .vgpr_spill_count: 0
    .wavefront_size: 64
  - .agpr_count:     0
    .args:
      - .offset:         0
        .size:           152
        .value_kind:     by_value
    .group_segment_fixed_size: 0
    .kernarg_segment_align: 8
    .kernarg_segment_size: 152
    .language:       OpenCL C
    .language_version:
      - 2
      - 0
    .max_flat_workgroup_size: 256
    .name:           _ZN7rocprim17ROCPRIM_400000_NS6detail17trampoline_kernelINS0_13select_configILj256ELj13ELNS0_17block_load_methodE3ELS4_3ELS4_3ELNS0_20block_scan_algorithmE0ELj4294967295EEENS1_25partition_config_selectorILNS1_17partition_subalgoE3EjNS0_10empty_typeEbEEZZNS1_14partition_implILS8_3ELb0ES6_jNS0_17counting_iteratorIjlEEPS9_SE_NS0_5tupleIJPjSE_EEENSF_IJSE_SE_EEES9_SG_JZNS1_25segmented_radix_sort_implINS0_14default_configELb1EPKlPlSM_SN_N2at6native12_GLOBAL__N_18offset_tEEE10hipError_tPvRmT1_PNSt15iterator_traitsISV_E10value_typeET2_T3_PNSW_IS11_E10value_typeET4_jRbjT5_S17_jjP12ihipStream_tbEUljE_EEESS_ST_SU_S11_S15_S17_T6_T7_T9_mT8_S19_bDpT10_ENKUlT_T0_E_clISt17integral_constantIbLb1EES1M_EEDaS1H_S1I_EUlS1H_E_NS1_11comp_targetILNS1_3genE8ELNS1_11target_archE1030ELNS1_3gpuE2ELNS1_3repE0EEENS1_30default_config_static_selectorELNS0_4arch9wavefront6targetE1EEEvSV_
    .private_segment_fixed_size: 0
    .sgpr_count:     4
    .sgpr_spill_count: 0
    .symbol:         _ZN7rocprim17ROCPRIM_400000_NS6detail17trampoline_kernelINS0_13select_configILj256ELj13ELNS0_17block_load_methodE3ELS4_3ELS4_3ELNS0_20block_scan_algorithmE0ELj4294967295EEENS1_25partition_config_selectorILNS1_17partition_subalgoE3EjNS0_10empty_typeEbEEZZNS1_14partition_implILS8_3ELb0ES6_jNS0_17counting_iteratorIjlEEPS9_SE_NS0_5tupleIJPjSE_EEENSF_IJSE_SE_EEES9_SG_JZNS1_25segmented_radix_sort_implINS0_14default_configELb1EPKlPlSM_SN_N2at6native12_GLOBAL__N_18offset_tEEE10hipError_tPvRmT1_PNSt15iterator_traitsISV_E10value_typeET2_T3_PNSW_IS11_E10value_typeET4_jRbjT5_S17_jjP12ihipStream_tbEUljE_EEESS_ST_SU_S11_S15_S17_T6_T7_T9_mT8_S19_bDpT10_ENKUlT_T0_E_clISt17integral_constantIbLb1EES1M_EEDaS1H_S1I_EUlS1H_E_NS1_11comp_targetILNS1_3genE8ELNS1_11target_archE1030ELNS1_3gpuE2ELNS1_3repE0EEENS1_30default_config_static_selectorELNS0_4arch9wavefront6targetE1EEEvSV_.kd
    .uniform_work_group_size: 1
    .uses_dynamic_stack: false
    .vgpr_count:     0
    .vgpr_spill_count: 0
    .wavefront_size: 64
  - .agpr_count:     0
    .args:
      - .offset:         0
        .size:           144
        .value_kind:     by_value
    .group_segment_fixed_size: 0
    .kernarg_segment_align: 8
    .kernarg_segment_size: 144
    .language:       OpenCL C
    .language_version:
      - 2
      - 0
    .max_flat_workgroup_size: 256
    .name:           _ZN7rocprim17ROCPRIM_400000_NS6detail17trampoline_kernelINS0_13select_configILj256ELj13ELNS0_17block_load_methodE3ELS4_3ELS4_3ELNS0_20block_scan_algorithmE0ELj4294967295EEENS1_25partition_config_selectorILNS1_17partition_subalgoE3EjNS0_10empty_typeEbEEZZNS1_14partition_implILS8_3ELb0ES6_jNS0_17counting_iteratorIjlEEPS9_SE_NS0_5tupleIJPjSE_EEENSF_IJSE_SE_EEES9_SG_JZNS1_25segmented_radix_sort_implINS0_14default_configELb1EPKlPlSM_SN_N2at6native12_GLOBAL__N_18offset_tEEE10hipError_tPvRmT1_PNSt15iterator_traitsISV_E10value_typeET2_T3_PNSW_IS11_E10value_typeET4_jRbjT5_S17_jjP12ihipStream_tbEUljE_EEESS_ST_SU_S11_S15_S17_T6_T7_T9_mT8_S19_bDpT10_ENKUlT_T0_E_clISt17integral_constantIbLb1EES1L_IbLb0EEEEDaS1H_S1I_EUlS1H_E_NS1_11comp_targetILNS1_3genE0ELNS1_11target_archE4294967295ELNS1_3gpuE0ELNS1_3repE0EEENS1_30default_config_static_selectorELNS0_4arch9wavefront6targetE1EEEvSV_
    .private_segment_fixed_size: 0
    .sgpr_count:     4
    .sgpr_spill_count: 0
    .symbol:         _ZN7rocprim17ROCPRIM_400000_NS6detail17trampoline_kernelINS0_13select_configILj256ELj13ELNS0_17block_load_methodE3ELS4_3ELS4_3ELNS0_20block_scan_algorithmE0ELj4294967295EEENS1_25partition_config_selectorILNS1_17partition_subalgoE3EjNS0_10empty_typeEbEEZZNS1_14partition_implILS8_3ELb0ES6_jNS0_17counting_iteratorIjlEEPS9_SE_NS0_5tupleIJPjSE_EEENSF_IJSE_SE_EEES9_SG_JZNS1_25segmented_radix_sort_implINS0_14default_configELb1EPKlPlSM_SN_N2at6native12_GLOBAL__N_18offset_tEEE10hipError_tPvRmT1_PNSt15iterator_traitsISV_E10value_typeET2_T3_PNSW_IS11_E10value_typeET4_jRbjT5_S17_jjP12ihipStream_tbEUljE_EEESS_ST_SU_S11_S15_S17_T6_T7_T9_mT8_S19_bDpT10_ENKUlT_T0_E_clISt17integral_constantIbLb1EES1L_IbLb0EEEEDaS1H_S1I_EUlS1H_E_NS1_11comp_targetILNS1_3genE0ELNS1_11target_archE4294967295ELNS1_3gpuE0ELNS1_3repE0EEENS1_30default_config_static_selectorELNS0_4arch9wavefront6targetE1EEEvSV_.kd
    .uniform_work_group_size: 1
    .uses_dynamic_stack: false
    .vgpr_count:     0
    .vgpr_spill_count: 0
    .wavefront_size: 64
  - .agpr_count:     0
    .args:
      - .offset:         0
        .size:           144
        .value_kind:     by_value
    .group_segment_fixed_size: 0
    .kernarg_segment_align: 8
    .kernarg_segment_size: 144
    .language:       OpenCL C
    .language_version:
      - 2
      - 0
    .max_flat_workgroup_size: 256
    .name:           _ZN7rocprim17ROCPRIM_400000_NS6detail17trampoline_kernelINS0_13select_configILj256ELj13ELNS0_17block_load_methodE3ELS4_3ELS4_3ELNS0_20block_scan_algorithmE0ELj4294967295EEENS1_25partition_config_selectorILNS1_17partition_subalgoE3EjNS0_10empty_typeEbEEZZNS1_14partition_implILS8_3ELb0ES6_jNS0_17counting_iteratorIjlEEPS9_SE_NS0_5tupleIJPjSE_EEENSF_IJSE_SE_EEES9_SG_JZNS1_25segmented_radix_sort_implINS0_14default_configELb1EPKlPlSM_SN_N2at6native12_GLOBAL__N_18offset_tEEE10hipError_tPvRmT1_PNSt15iterator_traitsISV_E10value_typeET2_T3_PNSW_IS11_E10value_typeET4_jRbjT5_S17_jjP12ihipStream_tbEUljE_EEESS_ST_SU_S11_S15_S17_T6_T7_T9_mT8_S19_bDpT10_ENKUlT_T0_E_clISt17integral_constantIbLb1EES1L_IbLb0EEEEDaS1H_S1I_EUlS1H_E_NS1_11comp_targetILNS1_3genE5ELNS1_11target_archE942ELNS1_3gpuE9ELNS1_3repE0EEENS1_30default_config_static_selectorELNS0_4arch9wavefront6targetE1EEEvSV_
    .private_segment_fixed_size: 0
    .sgpr_count:     4
    .sgpr_spill_count: 0
    .symbol:         _ZN7rocprim17ROCPRIM_400000_NS6detail17trampoline_kernelINS0_13select_configILj256ELj13ELNS0_17block_load_methodE3ELS4_3ELS4_3ELNS0_20block_scan_algorithmE0ELj4294967295EEENS1_25partition_config_selectorILNS1_17partition_subalgoE3EjNS0_10empty_typeEbEEZZNS1_14partition_implILS8_3ELb0ES6_jNS0_17counting_iteratorIjlEEPS9_SE_NS0_5tupleIJPjSE_EEENSF_IJSE_SE_EEES9_SG_JZNS1_25segmented_radix_sort_implINS0_14default_configELb1EPKlPlSM_SN_N2at6native12_GLOBAL__N_18offset_tEEE10hipError_tPvRmT1_PNSt15iterator_traitsISV_E10value_typeET2_T3_PNSW_IS11_E10value_typeET4_jRbjT5_S17_jjP12ihipStream_tbEUljE_EEESS_ST_SU_S11_S15_S17_T6_T7_T9_mT8_S19_bDpT10_ENKUlT_T0_E_clISt17integral_constantIbLb1EES1L_IbLb0EEEEDaS1H_S1I_EUlS1H_E_NS1_11comp_targetILNS1_3genE5ELNS1_11target_archE942ELNS1_3gpuE9ELNS1_3repE0EEENS1_30default_config_static_selectorELNS0_4arch9wavefront6targetE1EEEvSV_.kd
    .uniform_work_group_size: 1
    .uses_dynamic_stack: false
    .vgpr_count:     0
    .vgpr_spill_count: 0
    .wavefront_size: 64
  - .agpr_count:     0
    .args:
      - .offset:         0
        .size:           144
        .value_kind:     by_value
    .group_segment_fixed_size: 13324
    .kernarg_segment_align: 8
    .kernarg_segment_size: 144
    .language:       OpenCL C
    .language_version:
      - 2
      - 0
    .max_flat_workgroup_size: 256
    .name:           _ZN7rocprim17ROCPRIM_400000_NS6detail17trampoline_kernelINS0_13select_configILj256ELj13ELNS0_17block_load_methodE3ELS4_3ELS4_3ELNS0_20block_scan_algorithmE0ELj4294967295EEENS1_25partition_config_selectorILNS1_17partition_subalgoE3EjNS0_10empty_typeEbEEZZNS1_14partition_implILS8_3ELb0ES6_jNS0_17counting_iteratorIjlEEPS9_SE_NS0_5tupleIJPjSE_EEENSF_IJSE_SE_EEES9_SG_JZNS1_25segmented_radix_sort_implINS0_14default_configELb1EPKlPlSM_SN_N2at6native12_GLOBAL__N_18offset_tEEE10hipError_tPvRmT1_PNSt15iterator_traitsISV_E10value_typeET2_T3_PNSW_IS11_E10value_typeET4_jRbjT5_S17_jjP12ihipStream_tbEUljE_EEESS_ST_SU_S11_S15_S17_T6_T7_T9_mT8_S19_bDpT10_ENKUlT_T0_E_clISt17integral_constantIbLb1EES1L_IbLb0EEEEDaS1H_S1I_EUlS1H_E_NS1_11comp_targetILNS1_3genE4ELNS1_11target_archE910ELNS1_3gpuE8ELNS1_3repE0EEENS1_30default_config_static_selectorELNS0_4arch9wavefront6targetE1EEEvSV_
    .private_segment_fixed_size: 0
    .sgpr_count:     50
    .sgpr_spill_count: 0
    .symbol:         _ZN7rocprim17ROCPRIM_400000_NS6detail17trampoline_kernelINS0_13select_configILj256ELj13ELNS0_17block_load_methodE3ELS4_3ELS4_3ELNS0_20block_scan_algorithmE0ELj4294967295EEENS1_25partition_config_selectorILNS1_17partition_subalgoE3EjNS0_10empty_typeEbEEZZNS1_14partition_implILS8_3ELb0ES6_jNS0_17counting_iteratorIjlEEPS9_SE_NS0_5tupleIJPjSE_EEENSF_IJSE_SE_EEES9_SG_JZNS1_25segmented_radix_sort_implINS0_14default_configELb1EPKlPlSM_SN_N2at6native12_GLOBAL__N_18offset_tEEE10hipError_tPvRmT1_PNSt15iterator_traitsISV_E10value_typeET2_T3_PNSW_IS11_E10value_typeET4_jRbjT5_S17_jjP12ihipStream_tbEUljE_EEESS_ST_SU_S11_S15_S17_T6_T7_T9_mT8_S19_bDpT10_ENKUlT_T0_E_clISt17integral_constantIbLb1EES1L_IbLb0EEEEDaS1H_S1I_EUlS1H_E_NS1_11comp_targetILNS1_3genE4ELNS1_11target_archE910ELNS1_3gpuE8ELNS1_3repE0EEENS1_30default_config_static_selectorELNS0_4arch9wavefront6targetE1EEEvSV_.kd
    .uniform_work_group_size: 1
    .uses_dynamic_stack: false
    .vgpr_count:     61
    .vgpr_spill_count: 0
    .wavefront_size: 64
  - .agpr_count:     0
    .args:
      - .offset:         0
        .size:           144
        .value_kind:     by_value
    .group_segment_fixed_size: 0
    .kernarg_segment_align: 8
    .kernarg_segment_size: 144
    .language:       OpenCL C
    .language_version:
      - 2
      - 0
    .max_flat_workgroup_size: 256
    .name:           _ZN7rocprim17ROCPRIM_400000_NS6detail17trampoline_kernelINS0_13select_configILj256ELj13ELNS0_17block_load_methodE3ELS4_3ELS4_3ELNS0_20block_scan_algorithmE0ELj4294967295EEENS1_25partition_config_selectorILNS1_17partition_subalgoE3EjNS0_10empty_typeEbEEZZNS1_14partition_implILS8_3ELb0ES6_jNS0_17counting_iteratorIjlEEPS9_SE_NS0_5tupleIJPjSE_EEENSF_IJSE_SE_EEES9_SG_JZNS1_25segmented_radix_sort_implINS0_14default_configELb1EPKlPlSM_SN_N2at6native12_GLOBAL__N_18offset_tEEE10hipError_tPvRmT1_PNSt15iterator_traitsISV_E10value_typeET2_T3_PNSW_IS11_E10value_typeET4_jRbjT5_S17_jjP12ihipStream_tbEUljE_EEESS_ST_SU_S11_S15_S17_T6_T7_T9_mT8_S19_bDpT10_ENKUlT_T0_E_clISt17integral_constantIbLb1EES1L_IbLb0EEEEDaS1H_S1I_EUlS1H_E_NS1_11comp_targetILNS1_3genE3ELNS1_11target_archE908ELNS1_3gpuE7ELNS1_3repE0EEENS1_30default_config_static_selectorELNS0_4arch9wavefront6targetE1EEEvSV_
    .private_segment_fixed_size: 0
    .sgpr_count:     4
    .sgpr_spill_count: 0
    .symbol:         _ZN7rocprim17ROCPRIM_400000_NS6detail17trampoline_kernelINS0_13select_configILj256ELj13ELNS0_17block_load_methodE3ELS4_3ELS4_3ELNS0_20block_scan_algorithmE0ELj4294967295EEENS1_25partition_config_selectorILNS1_17partition_subalgoE3EjNS0_10empty_typeEbEEZZNS1_14partition_implILS8_3ELb0ES6_jNS0_17counting_iteratorIjlEEPS9_SE_NS0_5tupleIJPjSE_EEENSF_IJSE_SE_EEES9_SG_JZNS1_25segmented_radix_sort_implINS0_14default_configELb1EPKlPlSM_SN_N2at6native12_GLOBAL__N_18offset_tEEE10hipError_tPvRmT1_PNSt15iterator_traitsISV_E10value_typeET2_T3_PNSW_IS11_E10value_typeET4_jRbjT5_S17_jjP12ihipStream_tbEUljE_EEESS_ST_SU_S11_S15_S17_T6_T7_T9_mT8_S19_bDpT10_ENKUlT_T0_E_clISt17integral_constantIbLb1EES1L_IbLb0EEEEDaS1H_S1I_EUlS1H_E_NS1_11comp_targetILNS1_3genE3ELNS1_11target_archE908ELNS1_3gpuE7ELNS1_3repE0EEENS1_30default_config_static_selectorELNS0_4arch9wavefront6targetE1EEEvSV_.kd
    .uniform_work_group_size: 1
    .uses_dynamic_stack: false
    .vgpr_count:     0
    .vgpr_spill_count: 0
    .wavefront_size: 64
  - .agpr_count:     0
    .args:
      - .offset:         0
        .size:           144
        .value_kind:     by_value
    .group_segment_fixed_size: 0
    .kernarg_segment_align: 8
    .kernarg_segment_size: 144
    .language:       OpenCL C
    .language_version:
      - 2
      - 0
    .max_flat_workgroup_size: 256
    .name:           _ZN7rocprim17ROCPRIM_400000_NS6detail17trampoline_kernelINS0_13select_configILj256ELj13ELNS0_17block_load_methodE3ELS4_3ELS4_3ELNS0_20block_scan_algorithmE0ELj4294967295EEENS1_25partition_config_selectorILNS1_17partition_subalgoE3EjNS0_10empty_typeEbEEZZNS1_14partition_implILS8_3ELb0ES6_jNS0_17counting_iteratorIjlEEPS9_SE_NS0_5tupleIJPjSE_EEENSF_IJSE_SE_EEES9_SG_JZNS1_25segmented_radix_sort_implINS0_14default_configELb1EPKlPlSM_SN_N2at6native12_GLOBAL__N_18offset_tEEE10hipError_tPvRmT1_PNSt15iterator_traitsISV_E10value_typeET2_T3_PNSW_IS11_E10value_typeET4_jRbjT5_S17_jjP12ihipStream_tbEUljE_EEESS_ST_SU_S11_S15_S17_T6_T7_T9_mT8_S19_bDpT10_ENKUlT_T0_E_clISt17integral_constantIbLb1EES1L_IbLb0EEEEDaS1H_S1I_EUlS1H_E_NS1_11comp_targetILNS1_3genE2ELNS1_11target_archE906ELNS1_3gpuE6ELNS1_3repE0EEENS1_30default_config_static_selectorELNS0_4arch9wavefront6targetE1EEEvSV_
    .private_segment_fixed_size: 0
    .sgpr_count:     4
    .sgpr_spill_count: 0
    .symbol:         _ZN7rocprim17ROCPRIM_400000_NS6detail17trampoline_kernelINS0_13select_configILj256ELj13ELNS0_17block_load_methodE3ELS4_3ELS4_3ELNS0_20block_scan_algorithmE0ELj4294967295EEENS1_25partition_config_selectorILNS1_17partition_subalgoE3EjNS0_10empty_typeEbEEZZNS1_14partition_implILS8_3ELb0ES6_jNS0_17counting_iteratorIjlEEPS9_SE_NS0_5tupleIJPjSE_EEENSF_IJSE_SE_EEES9_SG_JZNS1_25segmented_radix_sort_implINS0_14default_configELb1EPKlPlSM_SN_N2at6native12_GLOBAL__N_18offset_tEEE10hipError_tPvRmT1_PNSt15iterator_traitsISV_E10value_typeET2_T3_PNSW_IS11_E10value_typeET4_jRbjT5_S17_jjP12ihipStream_tbEUljE_EEESS_ST_SU_S11_S15_S17_T6_T7_T9_mT8_S19_bDpT10_ENKUlT_T0_E_clISt17integral_constantIbLb1EES1L_IbLb0EEEEDaS1H_S1I_EUlS1H_E_NS1_11comp_targetILNS1_3genE2ELNS1_11target_archE906ELNS1_3gpuE6ELNS1_3repE0EEENS1_30default_config_static_selectorELNS0_4arch9wavefront6targetE1EEEvSV_.kd
    .uniform_work_group_size: 1
    .uses_dynamic_stack: false
    .vgpr_count:     0
    .vgpr_spill_count: 0
    .wavefront_size: 64
  - .agpr_count:     0
    .args:
      - .offset:         0
        .size:           144
        .value_kind:     by_value
    .group_segment_fixed_size: 0
    .kernarg_segment_align: 8
    .kernarg_segment_size: 144
    .language:       OpenCL C
    .language_version:
      - 2
      - 0
    .max_flat_workgroup_size: 256
    .name:           _ZN7rocprim17ROCPRIM_400000_NS6detail17trampoline_kernelINS0_13select_configILj256ELj13ELNS0_17block_load_methodE3ELS4_3ELS4_3ELNS0_20block_scan_algorithmE0ELj4294967295EEENS1_25partition_config_selectorILNS1_17partition_subalgoE3EjNS0_10empty_typeEbEEZZNS1_14partition_implILS8_3ELb0ES6_jNS0_17counting_iteratorIjlEEPS9_SE_NS0_5tupleIJPjSE_EEENSF_IJSE_SE_EEES9_SG_JZNS1_25segmented_radix_sort_implINS0_14default_configELb1EPKlPlSM_SN_N2at6native12_GLOBAL__N_18offset_tEEE10hipError_tPvRmT1_PNSt15iterator_traitsISV_E10value_typeET2_T3_PNSW_IS11_E10value_typeET4_jRbjT5_S17_jjP12ihipStream_tbEUljE_EEESS_ST_SU_S11_S15_S17_T6_T7_T9_mT8_S19_bDpT10_ENKUlT_T0_E_clISt17integral_constantIbLb1EES1L_IbLb0EEEEDaS1H_S1I_EUlS1H_E_NS1_11comp_targetILNS1_3genE10ELNS1_11target_archE1200ELNS1_3gpuE4ELNS1_3repE0EEENS1_30default_config_static_selectorELNS0_4arch9wavefront6targetE1EEEvSV_
    .private_segment_fixed_size: 0
    .sgpr_count:     4
    .sgpr_spill_count: 0
    .symbol:         _ZN7rocprim17ROCPRIM_400000_NS6detail17trampoline_kernelINS0_13select_configILj256ELj13ELNS0_17block_load_methodE3ELS4_3ELS4_3ELNS0_20block_scan_algorithmE0ELj4294967295EEENS1_25partition_config_selectorILNS1_17partition_subalgoE3EjNS0_10empty_typeEbEEZZNS1_14partition_implILS8_3ELb0ES6_jNS0_17counting_iteratorIjlEEPS9_SE_NS0_5tupleIJPjSE_EEENSF_IJSE_SE_EEES9_SG_JZNS1_25segmented_radix_sort_implINS0_14default_configELb1EPKlPlSM_SN_N2at6native12_GLOBAL__N_18offset_tEEE10hipError_tPvRmT1_PNSt15iterator_traitsISV_E10value_typeET2_T3_PNSW_IS11_E10value_typeET4_jRbjT5_S17_jjP12ihipStream_tbEUljE_EEESS_ST_SU_S11_S15_S17_T6_T7_T9_mT8_S19_bDpT10_ENKUlT_T0_E_clISt17integral_constantIbLb1EES1L_IbLb0EEEEDaS1H_S1I_EUlS1H_E_NS1_11comp_targetILNS1_3genE10ELNS1_11target_archE1200ELNS1_3gpuE4ELNS1_3repE0EEENS1_30default_config_static_selectorELNS0_4arch9wavefront6targetE1EEEvSV_.kd
    .uniform_work_group_size: 1
    .uses_dynamic_stack: false
    .vgpr_count:     0
    .vgpr_spill_count: 0
    .wavefront_size: 64
  - .agpr_count:     0
    .args:
      - .offset:         0
        .size:           144
        .value_kind:     by_value
    .group_segment_fixed_size: 0
    .kernarg_segment_align: 8
    .kernarg_segment_size: 144
    .language:       OpenCL C
    .language_version:
      - 2
      - 0
    .max_flat_workgroup_size: 256
    .name:           _ZN7rocprim17ROCPRIM_400000_NS6detail17trampoline_kernelINS0_13select_configILj256ELj13ELNS0_17block_load_methodE3ELS4_3ELS4_3ELNS0_20block_scan_algorithmE0ELj4294967295EEENS1_25partition_config_selectorILNS1_17partition_subalgoE3EjNS0_10empty_typeEbEEZZNS1_14partition_implILS8_3ELb0ES6_jNS0_17counting_iteratorIjlEEPS9_SE_NS0_5tupleIJPjSE_EEENSF_IJSE_SE_EEES9_SG_JZNS1_25segmented_radix_sort_implINS0_14default_configELb1EPKlPlSM_SN_N2at6native12_GLOBAL__N_18offset_tEEE10hipError_tPvRmT1_PNSt15iterator_traitsISV_E10value_typeET2_T3_PNSW_IS11_E10value_typeET4_jRbjT5_S17_jjP12ihipStream_tbEUljE_EEESS_ST_SU_S11_S15_S17_T6_T7_T9_mT8_S19_bDpT10_ENKUlT_T0_E_clISt17integral_constantIbLb1EES1L_IbLb0EEEEDaS1H_S1I_EUlS1H_E_NS1_11comp_targetILNS1_3genE9ELNS1_11target_archE1100ELNS1_3gpuE3ELNS1_3repE0EEENS1_30default_config_static_selectorELNS0_4arch9wavefront6targetE1EEEvSV_
    .private_segment_fixed_size: 0
    .sgpr_count:     4
    .sgpr_spill_count: 0
    .symbol:         _ZN7rocprim17ROCPRIM_400000_NS6detail17trampoline_kernelINS0_13select_configILj256ELj13ELNS0_17block_load_methodE3ELS4_3ELS4_3ELNS0_20block_scan_algorithmE0ELj4294967295EEENS1_25partition_config_selectorILNS1_17partition_subalgoE3EjNS0_10empty_typeEbEEZZNS1_14partition_implILS8_3ELb0ES6_jNS0_17counting_iteratorIjlEEPS9_SE_NS0_5tupleIJPjSE_EEENSF_IJSE_SE_EEES9_SG_JZNS1_25segmented_radix_sort_implINS0_14default_configELb1EPKlPlSM_SN_N2at6native12_GLOBAL__N_18offset_tEEE10hipError_tPvRmT1_PNSt15iterator_traitsISV_E10value_typeET2_T3_PNSW_IS11_E10value_typeET4_jRbjT5_S17_jjP12ihipStream_tbEUljE_EEESS_ST_SU_S11_S15_S17_T6_T7_T9_mT8_S19_bDpT10_ENKUlT_T0_E_clISt17integral_constantIbLb1EES1L_IbLb0EEEEDaS1H_S1I_EUlS1H_E_NS1_11comp_targetILNS1_3genE9ELNS1_11target_archE1100ELNS1_3gpuE3ELNS1_3repE0EEENS1_30default_config_static_selectorELNS0_4arch9wavefront6targetE1EEEvSV_.kd
    .uniform_work_group_size: 1
    .uses_dynamic_stack: false
    .vgpr_count:     0
    .vgpr_spill_count: 0
    .wavefront_size: 64
  - .agpr_count:     0
    .args:
      - .offset:         0
        .size:           144
        .value_kind:     by_value
    .group_segment_fixed_size: 0
    .kernarg_segment_align: 8
    .kernarg_segment_size: 144
    .language:       OpenCL C
    .language_version:
      - 2
      - 0
    .max_flat_workgroup_size: 256
    .name:           _ZN7rocprim17ROCPRIM_400000_NS6detail17trampoline_kernelINS0_13select_configILj256ELj13ELNS0_17block_load_methodE3ELS4_3ELS4_3ELNS0_20block_scan_algorithmE0ELj4294967295EEENS1_25partition_config_selectorILNS1_17partition_subalgoE3EjNS0_10empty_typeEbEEZZNS1_14partition_implILS8_3ELb0ES6_jNS0_17counting_iteratorIjlEEPS9_SE_NS0_5tupleIJPjSE_EEENSF_IJSE_SE_EEES9_SG_JZNS1_25segmented_radix_sort_implINS0_14default_configELb1EPKlPlSM_SN_N2at6native12_GLOBAL__N_18offset_tEEE10hipError_tPvRmT1_PNSt15iterator_traitsISV_E10value_typeET2_T3_PNSW_IS11_E10value_typeET4_jRbjT5_S17_jjP12ihipStream_tbEUljE_EEESS_ST_SU_S11_S15_S17_T6_T7_T9_mT8_S19_bDpT10_ENKUlT_T0_E_clISt17integral_constantIbLb1EES1L_IbLb0EEEEDaS1H_S1I_EUlS1H_E_NS1_11comp_targetILNS1_3genE8ELNS1_11target_archE1030ELNS1_3gpuE2ELNS1_3repE0EEENS1_30default_config_static_selectorELNS0_4arch9wavefront6targetE1EEEvSV_
    .private_segment_fixed_size: 0
    .sgpr_count:     4
    .sgpr_spill_count: 0
    .symbol:         _ZN7rocprim17ROCPRIM_400000_NS6detail17trampoline_kernelINS0_13select_configILj256ELj13ELNS0_17block_load_methodE3ELS4_3ELS4_3ELNS0_20block_scan_algorithmE0ELj4294967295EEENS1_25partition_config_selectorILNS1_17partition_subalgoE3EjNS0_10empty_typeEbEEZZNS1_14partition_implILS8_3ELb0ES6_jNS0_17counting_iteratorIjlEEPS9_SE_NS0_5tupleIJPjSE_EEENSF_IJSE_SE_EEES9_SG_JZNS1_25segmented_radix_sort_implINS0_14default_configELb1EPKlPlSM_SN_N2at6native12_GLOBAL__N_18offset_tEEE10hipError_tPvRmT1_PNSt15iterator_traitsISV_E10value_typeET2_T3_PNSW_IS11_E10value_typeET4_jRbjT5_S17_jjP12ihipStream_tbEUljE_EEESS_ST_SU_S11_S15_S17_T6_T7_T9_mT8_S19_bDpT10_ENKUlT_T0_E_clISt17integral_constantIbLb1EES1L_IbLb0EEEEDaS1H_S1I_EUlS1H_E_NS1_11comp_targetILNS1_3genE8ELNS1_11target_archE1030ELNS1_3gpuE2ELNS1_3repE0EEENS1_30default_config_static_selectorELNS0_4arch9wavefront6targetE1EEEvSV_.kd
    .uniform_work_group_size: 1
    .uses_dynamic_stack: false
    .vgpr_count:     0
    .vgpr_spill_count: 0
    .wavefront_size: 64
  - .agpr_count:     0
    .args:
      - .offset:         0
        .size:           152
        .value_kind:     by_value
    .group_segment_fixed_size: 0
    .kernarg_segment_align: 8
    .kernarg_segment_size: 152
    .language:       OpenCL C
    .language_version:
      - 2
      - 0
    .max_flat_workgroup_size: 256
    .name:           _ZN7rocprim17ROCPRIM_400000_NS6detail17trampoline_kernelINS0_13select_configILj256ELj13ELNS0_17block_load_methodE3ELS4_3ELS4_3ELNS0_20block_scan_algorithmE0ELj4294967295EEENS1_25partition_config_selectorILNS1_17partition_subalgoE3EjNS0_10empty_typeEbEEZZNS1_14partition_implILS8_3ELb0ES6_jNS0_17counting_iteratorIjlEEPS9_SE_NS0_5tupleIJPjSE_EEENSF_IJSE_SE_EEES9_SG_JZNS1_25segmented_radix_sort_implINS0_14default_configELb1EPKlPlSM_SN_N2at6native12_GLOBAL__N_18offset_tEEE10hipError_tPvRmT1_PNSt15iterator_traitsISV_E10value_typeET2_T3_PNSW_IS11_E10value_typeET4_jRbjT5_S17_jjP12ihipStream_tbEUljE_EEESS_ST_SU_S11_S15_S17_T6_T7_T9_mT8_S19_bDpT10_ENKUlT_T0_E_clISt17integral_constantIbLb0EES1L_IbLb1EEEEDaS1H_S1I_EUlS1H_E_NS1_11comp_targetILNS1_3genE0ELNS1_11target_archE4294967295ELNS1_3gpuE0ELNS1_3repE0EEENS1_30default_config_static_selectorELNS0_4arch9wavefront6targetE1EEEvSV_
    .private_segment_fixed_size: 0
    .sgpr_count:     4
    .sgpr_spill_count: 0
    .symbol:         _ZN7rocprim17ROCPRIM_400000_NS6detail17trampoline_kernelINS0_13select_configILj256ELj13ELNS0_17block_load_methodE3ELS4_3ELS4_3ELNS0_20block_scan_algorithmE0ELj4294967295EEENS1_25partition_config_selectorILNS1_17partition_subalgoE3EjNS0_10empty_typeEbEEZZNS1_14partition_implILS8_3ELb0ES6_jNS0_17counting_iteratorIjlEEPS9_SE_NS0_5tupleIJPjSE_EEENSF_IJSE_SE_EEES9_SG_JZNS1_25segmented_radix_sort_implINS0_14default_configELb1EPKlPlSM_SN_N2at6native12_GLOBAL__N_18offset_tEEE10hipError_tPvRmT1_PNSt15iterator_traitsISV_E10value_typeET2_T3_PNSW_IS11_E10value_typeET4_jRbjT5_S17_jjP12ihipStream_tbEUljE_EEESS_ST_SU_S11_S15_S17_T6_T7_T9_mT8_S19_bDpT10_ENKUlT_T0_E_clISt17integral_constantIbLb0EES1L_IbLb1EEEEDaS1H_S1I_EUlS1H_E_NS1_11comp_targetILNS1_3genE0ELNS1_11target_archE4294967295ELNS1_3gpuE0ELNS1_3repE0EEENS1_30default_config_static_selectorELNS0_4arch9wavefront6targetE1EEEvSV_.kd
    .uniform_work_group_size: 1
    .uses_dynamic_stack: false
    .vgpr_count:     0
    .vgpr_spill_count: 0
    .wavefront_size: 64
  - .agpr_count:     0
    .args:
      - .offset:         0
        .size:           152
        .value_kind:     by_value
    .group_segment_fixed_size: 0
    .kernarg_segment_align: 8
    .kernarg_segment_size: 152
    .language:       OpenCL C
    .language_version:
      - 2
      - 0
    .max_flat_workgroup_size: 256
    .name:           _ZN7rocprim17ROCPRIM_400000_NS6detail17trampoline_kernelINS0_13select_configILj256ELj13ELNS0_17block_load_methodE3ELS4_3ELS4_3ELNS0_20block_scan_algorithmE0ELj4294967295EEENS1_25partition_config_selectorILNS1_17partition_subalgoE3EjNS0_10empty_typeEbEEZZNS1_14partition_implILS8_3ELb0ES6_jNS0_17counting_iteratorIjlEEPS9_SE_NS0_5tupleIJPjSE_EEENSF_IJSE_SE_EEES9_SG_JZNS1_25segmented_radix_sort_implINS0_14default_configELb1EPKlPlSM_SN_N2at6native12_GLOBAL__N_18offset_tEEE10hipError_tPvRmT1_PNSt15iterator_traitsISV_E10value_typeET2_T3_PNSW_IS11_E10value_typeET4_jRbjT5_S17_jjP12ihipStream_tbEUljE_EEESS_ST_SU_S11_S15_S17_T6_T7_T9_mT8_S19_bDpT10_ENKUlT_T0_E_clISt17integral_constantIbLb0EES1L_IbLb1EEEEDaS1H_S1I_EUlS1H_E_NS1_11comp_targetILNS1_3genE5ELNS1_11target_archE942ELNS1_3gpuE9ELNS1_3repE0EEENS1_30default_config_static_selectorELNS0_4arch9wavefront6targetE1EEEvSV_
    .private_segment_fixed_size: 0
    .sgpr_count:     4
    .sgpr_spill_count: 0
    .symbol:         _ZN7rocprim17ROCPRIM_400000_NS6detail17trampoline_kernelINS0_13select_configILj256ELj13ELNS0_17block_load_methodE3ELS4_3ELS4_3ELNS0_20block_scan_algorithmE0ELj4294967295EEENS1_25partition_config_selectorILNS1_17partition_subalgoE3EjNS0_10empty_typeEbEEZZNS1_14partition_implILS8_3ELb0ES6_jNS0_17counting_iteratorIjlEEPS9_SE_NS0_5tupleIJPjSE_EEENSF_IJSE_SE_EEES9_SG_JZNS1_25segmented_radix_sort_implINS0_14default_configELb1EPKlPlSM_SN_N2at6native12_GLOBAL__N_18offset_tEEE10hipError_tPvRmT1_PNSt15iterator_traitsISV_E10value_typeET2_T3_PNSW_IS11_E10value_typeET4_jRbjT5_S17_jjP12ihipStream_tbEUljE_EEESS_ST_SU_S11_S15_S17_T6_T7_T9_mT8_S19_bDpT10_ENKUlT_T0_E_clISt17integral_constantIbLb0EES1L_IbLb1EEEEDaS1H_S1I_EUlS1H_E_NS1_11comp_targetILNS1_3genE5ELNS1_11target_archE942ELNS1_3gpuE9ELNS1_3repE0EEENS1_30default_config_static_selectorELNS0_4arch9wavefront6targetE1EEEvSV_.kd
    .uniform_work_group_size: 1
    .uses_dynamic_stack: false
    .vgpr_count:     0
    .vgpr_spill_count: 0
    .wavefront_size: 64
  - .agpr_count:     0
    .args:
      - .offset:         0
        .size:           152
        .value_kind:     by_value
    .group_segment_fixed_size: 13324
    .kernarg_segment_align: 8
    .kernarg_segment_size: 152
    .language:       OpenCL C
    .language_version:
      - 2
      - 0
    .max_flat_workgroup_size: 256
    .name:           _ZN7rocprim17ROCPRIM_400000_NS6detail17trampoline_kernelINS0_13select_configILj256ELj13ELNS0_17block_load_methodE3ELS4_3ELS4_3ELNS0_20block_scan_algorithmE0ELj4294967295EEENS1_25partition_config_selectorILNS1_17partition_subalgoE3EjNS0_10empty_typeEbEEZZNS1_14partition_implILS8_3ELb0ES6_jNS0_17counting_iteratorIjlEEPS9_SE_NS0_5tupleIJPjSE_EEENSF_IJSE_SE_EEES9_SG_JZNS1_25segmented_radix_sort_implINS0_14default_configELb1EPKlPlSM_SN_N2at6native12_GLOBAL__N_18offset_tEEE10hipError_tPvRmT1_PNSt15iterator_traitsISV_E10value_typeET2_T3_PNSW_IS11_E10value_typeET4_jRbjT5_S17_jjP12ihipStream_tbEUljE_EEESS_ST_SU_S11_S15_S17_T6_T7_T9_mT8_S19_bDpT10_ENKUlT_T0_E_clISt17integral_constantIbLb0EES1L_IbLb1EEEEDaS1H_S1I_EUlS1H_E_NS1_11comp_targetILNS1_3genE4ELNS1_11target_archE910ELNS1_3gpuE8ELNS1_3repE0EEENS1_30default_config_static_selectorELNS0_4arch9wavefront6targetE1EEEvSV_
    .private_segment_fixed_size: 0
    .sgpr_count:     48
    .sgpr_spill_count: 0
    .symbol:         _ZN7rocprim17ROCPRIM_400000_NS6detail17trampoline_kernelINS0_13select_configILj256ELj13ELNS0_17block_load_methodE3ELS4_3ELS4_3ELNS0_20block_scan_algorithmE0ELj4294967295EEENS1_25partition_config_selectorILNS1_17partition_subalgoE3EjNS0_10empty_typeEbEEZZNS1_14partition_implILS8_3ELb0ES6_jNS0_17counting_iteratorIjlEEPS9_SE_NS0_5tupleIJPjSE_EEENSF_IJSE_SE_EEES9_SG_JZNS1_25segmented_radix_sort_implINS0_14default_configELb1EPKlPlSM_SN_N2at6native12_GLOBAL__N_18offset_tEEE10hipError_tPvRmT1_PNSt15iterator_traitsISV_E10value_typeET2_T3_PNSW_IS11_E10value_typeET4_jRbjT5_S17_jjP12ihipStream_tbEUljE_EEESS_ST_SU_S11_S15_S17_T6_T7_T9_mT8_S19_bDpT10_ENKUlT_T0_E_clISt17integral_constantIbLb0EES1L_IbLb1EEEEDaS1H_S1I_EUlS1H_E_NS1_11comp_targetILNS1_3genE4ELNS1_11target_archE910ELNS1_3gpuE8ELNS1_3repE0EEENS1_30default_config_static_selectorELNS0_4arch9wavefront6targetE1EEEvSV_.kd
    .uniform_work_group_size: 1
    .uses_dynamic_stack: false
    .vgpr_count:     64
    .vgpr_spill_count: 0
    .wavefront_size: 64
  - .agpr_count:     0
    .args:
      - .offset:         0
        .size:           152
        .value_kind:     by_value
    .group_segment_fixed_size: 0
    .kernarg_segment_align: 8
    .kernarg_segment_size: 152
    .language:       OpenCL C
    .language_version:
      - 2
      - 0
    .max_flat_workgroup_size: 256
    .name:           _ZN7rocprim17ROCPRIM_400000_NS6detail17trampoline_kernelINS0_13select_configILj256ELj13ELNS0_17block_load_methodE3ELS4_3ELS4_3ELNS0_20block_scan_algorithmE0ELj4294967295EEENS1_25partition_config_selectorILNS1_17partition_subalgoE3EjNS0_10empty_typeEbEEZZNS1_14partition_implILS8_3ELb0ES6_jNS0_17counting_iteratorIjlEEPS9_SE_NS0_5tupleIJPjSE_EEENSF_IJSE_SE_EEES9_SG_JZNS1_25segmented_radix_sort_implINS0_14default_configELb1EPKlPlSM_SN_N2at6native12_GLOBAL__N_18offset_tEEE10hipError_tPvRmT1_PNSt15iterator_traitsISV_E10value_typeET2_T3_PNSW_IS11_E10value_typeET4_jRbjT5_S17_jjP12ihipStream_tbEUljE_EEESS_ST_SU_S11_S15_S17_T6_T7_T9_mT8_S19_bDpT10_ENKUlT_T0_E_clISt17integral_constantIbLb0EES1L_IbLb1EEEEDaS1H_S1I_EUlS1H_E_NS1_11comp_targetILNS1_3genE3ELNS1_11target_archE908ELNS1_3gpuE7ELNS1_3repE0EEENS1_30default_config_static_selectorELNS0_4arch9wavefront6targetE1EEEvSV_
    .private_segment_fixed_size: 0
    .sgpr_count:     4
    .sgpr_spill_count: 0
    .symbol:         _ZN7rocprim17ROCPRIM_400000_NS6detail17trampoline_kernelINS0_13select_configILj256ELj13ELNS0_17block_load_methodE3ELS4_3ELS4_3ELNS0_20block_scan_algorithmE0ELj4294967295EEENS1_25partition_config_selectorILNS1_17partition_subalgoE3EjNS0_10empty_typeEbEEZZNS1_14partition_implILS8_3ELb0ES6_jNS0_17counting_iteratorIjlEEPS9_SE_NS0_5tupleIJPjSE_EEENSF_IJSE_SE_EEES9_SG_JZNS1_25segmented_radix_sort_implINS0_14default_configELb1EPKlPlSM_SN_N2at6native12_GLOBAL__N_18offset_tEEE10hipError_tPvRmT1_PNSt15iterator_traitsISV_E10value_typeET2_T3_PNSW_IS11_E10value_typeET4_jRbjT5_S17_jjP12ihipStream_tbEUljE_EEESS_ST_SU_S11_S15_S17_T6_T7_T9_mT8_S19_bDpT10_ENKUlT_T0_E_clISt17integral_constantIbLb0EES1L_IbLb1EEEEDaS1H_S1I_EUlS1H_E_NS1_11comp_targetILNS1_3genE3ELNS1_11target_archE908ELNS1_3gpuE7ELNS1_3repE0EEENS1_30default_config_static_selectorELNS0_4arch9wavefront6targetE1EEEvSV_.kd
    .uniform_work_group_size: 1
    .uses_dynamic_stack: false
    .vgpr_count:     0
    .vgpr_spill_count: 0
    .wavefront_size: 64
  - .agpr_count:     0
    .args:
      - .offset:         0
        .size:           152
        .value_kind:     by_value
    .group_segment_fixed_size: 0
    .kernarg_segment_align: 8
    .kernarg_segment_size: 152
    .language:       OpenCL C
    .language_version:
      - 2
      - 0
    .max_flat_workgroup_size: 256
    .name:           _ZN7rocprim17ROCPRIM_400000_NS6detail17trampoline_kernelINS0_13select_configILj256ELj13ELNS0_17block_load_methodE3ELS4_3ELS4_3ELNS0_20block_scan_algorithmE0ELj4294967295EEENS1_25partition_config_selectorILNS1_17partition_subalgoE3EjNS0_10empty_typeEbEEZZNS1_14partition_implILS8_3ELb0ES6_jNS0_17counting_iteratorIjlEEPS9_SE_NS0_5tupleIJPjSE_EEENSF_IJSE_SE_EEES9_SG_JZNS1_25segmented_radix_sort_implINS0_14default_configELb1EPKlPlSM_SN_N2at6native12_GLOBAL__N_18offset_tEEE10hipError_tPvRmT1_PNSt15iterator_traitsISV_E10value_typeET2_T3_PNSW_IS11_E10value_typeET4_jRbjT5_S17_jjP12ihipStream_tbEUljE_EEESS_ST_SU_S11_S15_S17_T6_T7_T9_mT8_S19_bDpT10_ENKUlT_T0_E_clISt17integral_constantIbLb0EES1L_IbLb1EEEEDaS1H_S1I_EUlS1H_E_NS1_11comp_targetILNS1_3genE2ELNS1_11target_archE906ELNS1_3gpuE6ELNS1_3repE0EEENS1_30default_config_static_selectorELNS0_4arch9wavefront6targetE1EEEvSV_
    .private_segment_fixed_size: 0
    .sgpr_count:     4
    .sgpr_spill_count: 0
    .symbol:         _ZN7rocprim17ROCPRIM_400000_NS6detail17trampoline_kernelINS0_13select_configILj256ELj13ELNS0_17block_load_methodE3ELS4_3ELS4_3ELNS0_20block_scan_algorithmE0ELj4294967295EEENS1_25partition_config_selectorILNS1_17partition_subalgoE3EjNS0_10empty_typeEbEEZZNS1_14partition_implILS8_3ELb0ES6_jNS0_17counting_iteratorIjlEEPS9_SE_NS0_5tupleIJPjSE_EEENSF_IJSE_SE_EEES9_SG_JZNS1_25segmented_radix_sort_implINS0_14default_configELb1EPKlPlSM_SN_N2at6native12_GLOBAL__N_18offset_tEEE10hipError_tPvRmT1_PNSt15iterator_traitsISV_E10value_typeET2_T3_PNSW_IS11_E10value_typeET4_jRbjT5_S17_jjP12ihipStream_tbEUljE_EEESS_ST_SU_S11_S15_S17_T6_T7_T9_mT8_S19_bDpT10_ENKUlT_T0_E_clISt17integral_constantIbLb0EES1L_IbLb1EEEEDaS1H_S1I_EUlS1H_E_NS1_11comp_targetILNS1_3genE2ELNS1_11target_archE906ELNS1_3gpuE6ELNS1_3repE0EEENS1_30default_config_static_selectorELNS0_4arch9wavefront6targetE1EEEvSV_.kd
    .uniform_work_group_size: 1
    .uses_dynamic_stack: false
    .vgpr_count:     0
    .vgpr_spill_count: 0
    .wavefront_size: 64
  - .agpr_count:     0
    .args:
      - .offset:         0
        .size:           152
        .value_kind:     by_value
    .group_segment_fixed_size: 0
    .kernarg_segment_align: 8
    .kernarg_segment_size: 152
    .language:       OpenCL C
    .language_version:
      - 2
      - 0
    .max_flat_workgroup_size: 256
    .name:           _ZN7rocprim17ROCPRIM_400000_NS6detail17trampoline_kernelINS0_13select_configILj256ELj13ELNS0_17block_load_methodE3ELS4_3ELS4_3ELNS0_20block_scan_algorithmE0ELj4294967295EEENS1_25partition_config_selectorILNS1_17partition_subalgoE3EjNS0_10empty_typeEbEEZZNS1_14partition_implILS8_3ELb0ES6_jNS0_17counting_iteratorIjlEEPS9_SE_NS0_5tupleIJPjSE_EEENSF_IJSE_SE_EEES9_SG_JZNS1_25segmented_radix_sort_implINS0_14default_configELb1EPKlPlSM_SN_N2at6native12_GLOBAL__N_18offset_tEEE10hipError_tPvRmT1_PNSt15iterator_traitsISV_E10value_typeET2_T3_PNSW_IS11_E10value_typeET4_jRbjT5_S17_jjP12ihipStream_tbEUljE_EEESS_ST_SU_S11_S15_S17_T6_T7_T9_mT8_S19_bDpT10_ENKUlT_T0_E_clISt17integral_constantIbLb0EES1L_IbLb1EEEEDaS1H_S1I_EUlS1H_E_NS1_11comp_targetILNS1_3genE10ELNS1_11target_archE1200ELNS1_3gpuE4ELNS1_3repE0EEENS1_30default_config_static_selectorELNS0_4arch9wavefront6targetE1EEEvSV_
    .private_segment_fixed_size: 0
    .sgpr_count:     4
    .sgpr_spill_count: 0
    .symbol:         _ZN7rocprim17ROCPRIM_400000_NS6detail17trampoline_kernelINS0_13select_configILj256ELj13ELNS0_17block_load_methodE3ELS4_3ELS4_3ELNS0_20block_scan_algorithmE0ELj4294967295EEENS1_25partition_config_selectorILNS1_17partition_subalgoE3EjNS0_10empty_typeEbEEZZNS1_14partition_implILS8_3ELb0ES6_jNS0_17counting_iteratorIjlEEPS9_SE_NS0_5tupleIJPjSE_EEENSF_IJSE_SE_EEES9_SG_JZNS1_25segmented_radix_sort_implINS0_14default_configELb1EPKlPlSM_SN_N2at6native12_GLOBAL__N_18offset_tEEE10hipError_tPvRmT1_PNSt15iterator_traitsISV_E10value_typeET2_T3_PNSW_IS11_E10value_typeET4_jRbjT5_S17_jjP12ihipStream_tbEUljE_EEESS_ST_SU_S11_S15_S17_T6_T7_T9_mT8_S19_bDpT10_ENKUlT_T0_E_clISt17integral_constantIbLb0EES1L_IbLb1EEEEDaS1H_S1I_EUlS1H_E_NS1_11comp_targetILNS1_3genE10ELNS1_11target_archE1200ELNS1_3gpuE4ELNS1_3repE0EEENS1_30default_config_static_selectorELNS0_4arch9wavefront6targetE1EEEvSV_.kd
    .uniform_work_group_size: 1
    .uses_dynamic_stack: false
    .vgpr_count:     0
    .vgpr_spill_count: 0
    .wavefront_size: 64
  - .agpr_count:     0
    .args:
      - .offset:         0
        .size:           152
        .value_kind:     by_value
    .group_segment_fixed_size: 0
    .kernarg_segment_align: 8
    .kernarg_segment_size: 152
    .language:       OpenCL C
    .language_version:
      - 2
      - 0
    .max_flat_workgroup_size: 256
    .name:           _ZN7rocprim17ROCPRIM_400000_NS6detail17trampoline_kernelINS0_13select_configILj256ELj13ELNS0_17block_load_methodE3ELS4_3ELS4_3ELNS0_20block_scan_algorithmE0ELj4294967295EEENS1_25partition_config_selectorILNS1_17partition_subalgoE3EjNS0_10empty_typeEbEEZZNS1_14partition_implILS8_3ELb0ES6_jNS0_17counting_iteratorIjlEEPS9_SE_NS0_5tupleIJPjSE_EEENSF_IJSE_SE_EEES9_SG_JZNS1_25segmented_radix_sort_implINS0_14default_configELb1EPKlPlSM_SN_N2at6native12_GLOBAL__N_18offset_tEEE10hipError_tPvRmT1_PNSt15iterator_traitsISV_E10value_typeET2_T3_PNSW_IS11_E10value_typeET4_jRbjT5_S17_jjP12ihipStream_tbEUljE_EEESS_ST_SU_S11_S15_S17_T6_T7_T9_mT8_S19_bDpT10_ENKUlT_T0_E_clISt17integral_constantIbLb0EES1L_IbLb1EEEEDaS1H_S1I_EUlS1H_E_NS1_11comp_targetILNS1_3genE9ELNS1_11target_archE1100ELNS1_3gpuE3ELNS1_3repE0EEENS1_30default_config_static_selectorELNS0_4arch9wavefront6targetE1EEEvSV_
    .private_segment_fixed_size: 0
    .sgpr_count:     4
    .sgpr_spill_count: 0
    .symbol:         _ZN7rocprim17ROCPRIM_400000_NS6detail17trampoline_kernelINS0_13select_configILj256ELj13ELNS0_17block_load_methodE3ELS4_3ELS4_3ELNS0_20block_scan_algorithmE0ELj4294967295EEENS1_25partition_config_selectorILNS1_17partition_subalgoE3EjNS0_10empty_typeEbEEZZNS1_14partition_implILS8_3ELb0ES6_jNS0_17counting_iteratorIjlEEPS9_SE_NS0_5tupleIJPjSE_EEENSF_IJSE_SE_EEES9_SG_JZNS1_25segmented_radix_sort_implINS0_14default_configELb1EPKlPlSM_SN_N2at6native12_GLOBAL__N_18offset_tEEE10hipError_tPvRmT1_PNSt15iterator_traitsISV_E10value_typeET2_T3_PNSW_IS11_E10value_typeET4_jRbjT5_S17_jjP12ihipStream_tbEUljE_EEESS_ST_SU_S11_S15_S17_T6_T7_T9_mT8_S19_bDpT10_ENKUlT_T0_E_clISt17integral_constantIbLb0EES1L_IbLb1EEEEDaS1H_S1I_EUlS1H_E_NS1_11comp_targetILNS1_3genE9ELNS1_11target_archE1100ELNS1_3gpuE3ELNS1_3repE0EEENS1_30default_config_static_selectorELNS0_4arch9wavefront6targetE1EEEvSV_.kd
    .uniform_work_group_size: 1
    .uses_dynamic_stack: false
    .vgpr_count:     0
    .vgpr_spill_count: 0
    .wavefront_size: 64
  - .agpr_count:     0
    .args:
      - .offset:         0
        .size:           152
        .value_kind:     by_value
    .group_segment_fixed_size: 0
    .kernarg_segment_align: 8
    .kernarg_segment_size: 152
    .language:       OpenCL C
    .language_version:
      - 2
      - 0
    .max_flat_workgroup_size: 256
    .name:           _ZN7rocprim17ROCPRIM_400000_NS6detail17trampoline_kernelINS0_13select_configILj256ELj13ELNS0_17block_load_methodE3ELS4_3ELS4_3ELNS0_20block_scan_algorithmE0ELj4294967295EEENS1_25partition_config_selectorILNS1_17partition_subalgoE3EjNS0_10empty_typeEbEEZZNS1_14partition_implILS8_3ELb0ES6_jNS0_17counting_iteratorIjlEEPS9_SE_NS0_5tupleIJPjSE_EEENSF_IJSE_SE_EEES9_SG_JZNS1_25segmented_radix_sort_implINS0_14default_configELb1EPKlPlSM_SN_N2at6native12_GLOBAL__N_18offset_tEEE10hipError_tPvRmT1_PNSt15iterator_traitsISV_E10value_typeET2_T3_PNSW_IS11_E10value_typeET4_jRbjT5_S17_jjP12ihipStream_tbEUljE_EEESS_ST_SU_S11_S15_S17_T6_T7_T9_mT8_S19_bDpT10_ENKUlT_T0_E_clISt17integral_constantIbLb0EES1L_IbLb1EEEEDaS1H_S1I_EUlS1H_E_NS1_11comp_targetILNS1_3genE8ELNS1_11target_archE1030ELNS1_3gpuE2ELNS1_3repE0EEENS1_30default_config_static_selectorELNS0_4arch9wavefront6targetE1EEEvSV_
    .private_segment_fixed_size: 0
    .sgpr_count:     4
    .sgpr_spill_count: 0
    .symbol:         _ZN7rocprim17ROCPRIM_400000_NS6detail17trampoline_kernelINS0_13select_configILj256ELj13ELNS0_17block_load_methodE3ELS4_3ELS4_3ELNS0_20block_scan_algorithmE0ELj4294967295EEENS1_25partition_config_selectorILNS1_17partition_subalgoE3EjNS0_10empty_typeEbEEZZNS1_14partition_implILS8_3ELb0ES6_jNS0_17counting_iteratorIjlEEPS9_SE_NS0_5tupleIJPjSE_EEENSF_IJSE_SE_EEES9_SG_JZNS1_25segmented_radix_sort_implINS0_14default_configELb1EPKlPlSM_SN_N2at6native12_GLOBAL__N_18offset_tEEE10hipError_tPvRmT1_PNSt15iterator_traitsISV_E10value_typeET2_T3_PNSW_IS11_E10value_typeET4_jRbjT5_S17_jjP12ihipStream_tbEUljE_EEESS_ST_SU_S11_S15_S17_T6_T7_T9_mT8_S19_bDpT10_ENKUlT_T0_E_clISt17integral_constantIbLb0EES1L_IbLb1EEEEDaS1H_S1I_EUlS1H_E_NS1_11comp_targetILNS1_3genE8ELNS1_11target_archE1030ELNS1_3gpuE2ELNS1_3repE0EEENS1_30default_config_static_selectorELNS0_4arch9wavefront6targetE1EEEvSV_.kd
    .uniform_work_group_size: 1
    .uses_dynamic_stack: false
    .vgpr_count:     0
    .vgpr_spill_count: 0
    .wavefront_size: 64
  - .agpr_count:     0
    .args:
      - .offset:         0
        .size:           96
        .value_kind:     by_value
    .group_segment_fixed_size: 0
    .kernarg_segment_align: 8
    .kernarg_segment_size: 96
    .language:       OpenCL C
    .language_version:
      - 2
      - 0
    .max_flat_workgroup_size: 256
    .name:           _ZN7rocprim17ROCPRIM_400000_NS6detail17trampoline_kernelINS0_14default_configENS1_36segmented_radix_sort_config_selectorIllEEZNS1_25segmented_radix_sort_implIS3_Lb1EPKlPlS8_S9_N2at6native12_GLOBAL__N_18offset_tEEE10hipError_tPvRmT1_PNSt15iterator_traitsISH_E10value_typeET2_T3_PNSI_ISN_E10value_typeET4_jRbjT5_ST_jjP12ihipStream_tbEUlT_E_NS1_11comp_targetILNS1_3genE0ELNS1_11target_archE4294967295ELNS1_3gpuE0ELNS1_3repE0EEENS1_30default_config_static_selectorELNS0_4arch9wavefront6targetE1EEEvSH_
    .private_segment_fixed_size: 0
    .sgpr_count:     4
    .sgpr_spill_count: 0
    .symbol:         _ZN7rocprim17ROCPRIM_400000_NS6detail17trampoline_kernelINS0_14default_configENS1_36segmented_radix_sort_config_selectorIllEEZNS1_25segmented_radix_sort_implIS3_Lb1EPKlPlS8_S9_N2at6native12_GLOBAL__N_18offset_tEEE10hipError_tPvRmT1_PNSt15iterator_traitsISH_E10value_typeET2_T3_PNSI_ISN_E10value_typeET4_jRbjT5_ST_jjP12ihipStream_tbEUlT_E_NS1_11comp_targetILNS1_3genE0ELNS1_11target_archE4294967295ELNS1_3gpuE0ELNS1_3repE0EEENS1_30default_config_static_selectorELNS0_4arch9wavefront6targetE1EEEvSH_.kd
    .uniform_work_group_size: 1
    .uses_dynamic_stack: false
    .vgpr_count:     0
    .vgpr_spill_count: 0
    .wavefront_size: 64
  - .agpr_count:     0
    .args:
      - .offset:         0
        .size:           96
        .value_kind:     by_value
    .group_segment_fixed_size: 0
    .kernarg_segment_align: 8
    .kernarg_segment_size: 96
    .language:       OpenCL C
    .language_version:
      - 2
      - 0
    .max_flat_workgroup_size: 256
    .name:           _ZN7rocprim17ROCPRIM_400000_NS6detail17trampoline_kernelINS0_14default_configENS1_36segmented_radix_sort_config_selectorIllEEZNS1_25segmented_radix_sort_implIS3_Lb1EPKlPlS8_S9_N2at6native12_GLOBAL__N_18offset_tEEE10hipError_tPvRmT1_PNSt15iterator_traitsISH_E10value_typeET2_T3_PNSI_ISN_E10value_typeET4_jRbjT5_ST_jjP12ihipStream_tbEUlT_E_NS1_11comp_targetILNS1_3genE5ELNS1_11target_archE942ELNS1_3gpuE9ELNS1_3repE0EEENS1_30default_config_static_selectorELNS0_4arch9wavefront6targetE1EEEvSH_
    .private_segment_fixed_size: 0
    .sgpr_count:     4
    .sgpr_spill_count: 0
    .symbol:         _ZN7rocprim17ROCPRIM_400000_NS6detail17trampoline_kernelINS0_14default_configENS1_36segmented_radix_sort_config_selectorIllEEZNS1_25segmented_radix_sort_implIS3_Lb1EPKlPlS8_S9_N2at6native12_GLOBAL__N_18offset_tEEE10hipError_tPvRmT1_PNSt15iterator_traitsISH_E10value_typeET2_T3_PNSI_ISN_E10value_typeET4_jRbjT5_ST_jjP12ihipStream_tbEUlT_E_NS1_11comp_targetILNS1_3genE5ELNS1_11target_archE942ELNS1_3gpuE9ELNS1_3repE0EEENS1_30default_config_static_selectorELNS0_4arch9wavefront6targetE1EEEvSH_.kd
    .uniform_work_group_size: 1
    .uses_dynamic_stack: false
    .vgpr_count:     0
    .vgpr_spill_count: 0
    .wavefront_size: 64
  - .agpr_count:     32
    .args:
      - .offset:         0
        .size:           96
        .value_kind:     by_value
      - .offset:         96
        .size:           4
        .value_kind:     hidden_block_count_x
      - .offset:         100
        .size:           4
        .value_kind:     hidden_block_count_y
      - .offset:         104
        .size:           4
        .value_kind:     hidden_block_count_z
      - .offset:         108
        .size:           2
        .value_kind:     hidden_group_size_x
      - .offset:         110
        .size:           2
        .value_kind:     hidden_group_size_y
      - .offset:         112
        .size:           2
        .value_kind:     hidden_group_size_z
      - .offset:         114
        .size:           2
        .value_kind:     hidden_remainder_x
      - .offset:         116
        .size:           2
        .value_kind:     hidden_remainder_y
      - .offset:         118
        .size:           2
        .value_kind:     hidden_remainder_z
      - .offset:         136
        .size:           8
        .value_kind:     hidden_global_offset_x
      - .offset:         144
        .size:           8
        .value_kind:     hidden_global_offset_y
      - .offset:         152
        .size:           8
        .value_kind:     hidden_global_offset_z
      - .offset:         160
        .size:           2
        .value_kind:     hidden_grid_dims
      - .offset:         176
        .size:           8
        .value_kind:     hidden_hostcall_buffer
      - .offset:         184
        .size:           8
        .value_kind:     hidden_multigrid_sync_arg
      - .offset:         192
        .size:           8
        .value_kind:     hidden_heap_v1
      - .offset:         200
        .size:           8
        .value_kind:     hidden_default_queue
      - .offset:         208
        .size:           8
        .value_kind:     hidden_completion_action
      - .offset:         296
        .size:           8
        .value_kind:     hidden_queue_ptr
    .group_segment_fixed_size: 33808
    .kernarg_segment_align: 8
    .kernarg_segment_size: 352
    .language:       OpenCL C
    .language_version:
      - 2
      - 0
    .max_flat_workgroup_size: 256
    .name:           _ZN7rocprim17ROCPRIM_400000_NS6detail17trampoline_kernelINS0_14default_configENS1_36segmented_radix_sort_config_selectorIllEEZNS1_25segmented_radix_sort_implIS3_Lb1EPKlPlS8_S9_N2at6native12_GLOBAL__N_18offset_tEEE10hipError_tPvRmT1_PNSt15iterator_traitsISH_E10value_typeET2_T3_PNSI_ISN_E10value_typeET4_jRbjT5_ST_jjP12ihipStream_tbEUlT_E_NS1_11comp_targetILNS1_3genE4ELNS1_11target_archE910ELNS1_3gpuE8ELNS1_3repE0EEENS1_30default_config_static_selectorELNS0_4arch9wavefront6targetE1EEEvSH_
    .private_segment_fixed_size: 128
    .sgpr_count:     106
    .sgpr_spill_count: 7
    .symbol:         _ZN7rocprim17ROCPRIM_400000_NS6detail17trampoline_kernelINS0_14default_configENS1_36segmented_radix_sort_config_selectorIllEEZNS1_25segmented_radix_sort_implIS3_Lb1EPKlPlS8_S9_N2at6native12_GLOBAL__N_18offset_tEEE10hipError_tPvRmT1_PNSt15iterator_traitsISH_E10value_typeET2_T3_PNSI_ISN_E10value_typeET4_jRbjT5_ST_jjP12ihipStream_tbEUlT_E_NS1_11comp_targetILNS1_3genE4ELNS1_11target_archE910ELNS1_3gpuE8ELNS1_3repE0EEENS1_30default_config_static_selectorELNS0_4arch9wavefront6targetE1EEEvSH_.kd
    .uniform_work_group_size: 1
    .uses_dynamic_stack: false
    .vgpr_count:     280
    .vgpr_spill_count: 0
    .wavefront_size: 64
  - .agpr_count:     0
    .args:
      - .offset:         0
        .size:           96
        .value_kind:     by_value
    .group_segment_fixed_size: 0
    .kernarg_segment_align: 8
    .kernarg_segment_size: 96
    .language:       OpenCL C
    .language_version:
      - 2
      - 0
    .max_flat_workgroup_size: 256
    .name:           _ZN7rocprim17ROCPRIM_400000_NS6detail17trampoline_kernelINS0_14default_configENS1_36segmented_radix_sort_config_selectorIllEEZNS1_25segmented_radix_sort_implIS3_Lb1EPKlPlS8_S9_N2at6native12_GLOBAL__N_18offset_tEEE10hipError_tPvRmT1_PNSt15iterator_traitsISH_E10value_typeET2_T3_PNSI_ISN_E10value_typeET4_jRbjT5_ST_jjP12ihipStream_tbEUlT_E_NS1_11comp_targetILNS1_3genE3ELNS1_11target_archE908ELNS1_3gpuE7ELNS1_3repE0EEENS1_30default_config_static_selectorELNS0_4arch9wavefront6targetE1EEEvSH_
    .private_segment_fixed_size: 0
    .sgpr_count:     4
    .sgpr_spill_count: 0
    .symbol:         _ZN7rocprim17ROCPRIM_400000_NS6detail17trampoline_kernelINS0_14default_configENS1_36segmented_radix_sort_config_selectorIllEEZNS1_25segmented_radix_sort_implIS3_Lb1EPKlPlS8_S9_N2at6native12_GLOBAL__N_18offset_tEEE10hipError_tPvRmT1_PNSt15iterator_traitsISH_E10value_typeET2_T3_PNSI_ISN_E10value_typeET4_jRbjT5_ST_jjP12ihipStream_tbEUlT_E_NS1_11comp_targetILNS1_3genE3ELNS1_11target_archE908ELNS1_3gpuE7ELNS1_3repE0EEENS1_30default_config_static_selectorELNS0_4arch9wavefront6targetE1EEEvSH_.kd
    .uniform_work_group_size: 1
    .uses_dynamic_stack: false
    .vgpr_count:     0
    .vgpr_spill_count: 0
    .wavefront_size: 64
  - .agpr_count:     0
    .args:
      - .offset:         0
        .size:           96
        .value_kind:     by_value
    .group_segment_fixed_size: 0
    .kernarg_segment_align: 8
    .kernarg_segment_size: 96
    .language:       OpenCL C
    .language_version:
      - 2
      - 0
    .max_flat_workgroup_size: 256
    .name:           _ZN7rocprim17ROCPRIM_400000_NS6detail17trampoline_kernelINS0_14default_configENS1_36segmented_radix_sort_config_selectorIllEEZNS1_25segmented_radix_sort_implIS3_Lb1EPKlPlS8_S9_N2at6native12_GLOBAL__N_18offset_tEEE10hipError_tPvRmT1_PNSt15iterator_traitsISH_E10value_typeET2_T3_PNSI_ISN_E10value_typeET4_jRbjT5_ST_jjP12ihipStream_tbEUlT_E_NS1_11comp_targetILNS1_3genE2ELNS1_11target_archE906ELNS1_3gpuE6ELNS1_3repE0EEENS1_30default_config_static_selectorELNS0_4arch9wavefront6targetE1EEEvSH_
    .private_segment_fixed_size: 0
    .sgpr_count:     4
    .sgpr_spill_count: 0
    .symbol:         _ZN7rocprim17ROCPRIM_400000_NS6detail17trampoline_kernelINS0_14default_configENS1_36segmented_radix_sort_config_selectorIllEEZNS1_25segmented_radix_sort_implIS3_Lb1EPKlPlS8_S9_N2at6native12_GLOBAL__N_18offset_tEEE10hipError_tPvRmT1_PNSt15iterator_traitsISH_E10value_typeET2_T3_PNSI_ISN_E10value_typeET4_jRbjT5_ST_jjP12ihipStream_tbEUlT_E_NS1_11comp_targetILNS1_3genE2ELNS1_11target_archE906ELNS1_3gpuE6ELNS1_3repE0EEENS1_30default_config_static_selectorELNS0_4arch9wavefront6targetE1EEEvSH_.kd
    .uniform_work_group_size: 1
    .uses_dynamic_stack: false
    .vgpr_count:     0
    .vgpr_spill_count: 0
    .wavefront_size: 64
  - .agpr_count:     0
    .args:
      - .offset:         0
        .size:           96
        .value_kind:     by_value
    .group_segment_fixed_size: 0
    .kernarg_segment_align: 8
    .kernarg_segment_size: 96
    .language:       OpenCL C
    .language_version:
      - 2
      - 0
    .max_flat_workgroup_size: 256
    .name:           _ZN7rocprim17ROCPRIM_400000_NS6detail17trampoline_kernelINS0_14default_configENS1_36segmented_radix_sort_config_selectorIllEEZNS1_25segmented_radix_sort_implIS3_Lb1EPKlPlS8_S9_N2at6native12_GLOBAL__N_18offset_tEEE10hipError_tPvRmT1_PNSt15iterator_traitsISH_E10value_typeET2_T3_PNSI_ISN_E10value_typeET4_jRbjT5_ST_jjP12ihipStream_tbEUlT_E_NS1_11comp_targetILNS1_3genE10ELNS1_11target_archE1201ELNS1_3gpuE5ELNS1_3repE0EEENS1_30default_config_static_selectorELNS0_4arch9wavefront6targetE1EEEvSH_
    .private_segment_fixed_size: 0
    .sgpr_count:     4
    .sgpr_spill_count: 0
    .symbol:         _ZN7rocprim17ROCPRIM_400000_NS6detail17trampoline_kernelINS0_14default_configENS1_36segmented_radix_sort_config_selectorIllEEZNS1_25segmented_radix_sort_implIS3_Lb1EPKlPlS8_S9_N2at6native12_GLOBAL__N_18offset_tEEE10hipError_tPvRmT1_PNSt15iterator_traitsISH_E10value_typeET2_T3_PNSI_ISN_E10value_typeET4_jRbjT5_ST_jjP12ihipStream_tbEUlT_E_NS1_11comp_targetILNS1_3genE10ELNS1_11target_archE1201ELNS1_3gpuE5ELNS1_3repE0EEENS1_30default_config_static_selectorELNS0_4arch9wavefront6targetE1EEEvSH_.kd
    .uniform_work_group_size: 1
    .uses_dynamic_stack: false
    .vgpr_count:     0
    .vgpr_spill_count: 0
    .wavefront_size: 64
  - .agpr_count:     0
    .args:
      - .offset:         0
        .size:           96
        .value_kind:     by_value
    .group_segment_fixed_size: 0
    .kernarg_segment_align: 8
    .kernarg_segment_size: 96
    .language:       OpenCL C
    .language_version:
      - 2
      - 0
    .max_flat_workgroup_size: 128
    .name:           _ZN7rocprim17ROCPRIM_400000_NS6detail17trampoline_kernelINS0_14default_configENS1_36segmented_radix_sort_config_selectorIllEEZNS1_25segmented_radix_sort_implIS3_Lb1EPKlPlS8_S9_N2at6native12_GLOBAL__N_18offset_tEEE10hipError_tPvRmT1_PNSt15iterator_traitsISH_E10value_typeET2_T3_PNSI_ISN_E10value_typeET4_jRbjT5_ST_jjP12ihipStream_tbEUlT_E_NS1_11comp_targetILNS1_3genE10ELNS1_11target_archE1200ELNS1_3gpuE4ELNS1_3repE0EEENS1_30default_config_static_selectorELNS0_4arch9wavefront6targetE1EEEvSH_
    .private_segment_fixed_size: 0
    .sgpr_count:     4
    .sgpr_spill_count: 0
    .symbol:         _ZN7rocprim17ROCPRIM_400000_NS6detail17trampoline_kernelINS0_14default_configENS1_36segmented_radix_sort_config_selectorIllEEZNS1_25segmented_radix_sort_implIS3_Lb1EPKlPlS8_S9_N2at6native12_GLOBAL__N_18offset_tEEE10hipError_tPvRmT1_PNSt15iterator_traitsISH_E10value_typeET2_T3_PNSI_ISN_E10value_typeET4_jRbjT5_ST_jjP12ihipStream_tbEUlT_E_NS1_11comp_targetILNS1_3genE10ELNS1_11target_archE1200ELNS1_3gpuE4ELNS1_3repE0EEENS1_30default_config_static_selectorELNS0_4arch9wavefront6targetE1EEEvSH_.kd
    .uniform_work_group_size: 1
    .uses_dynamic_stack: false
    .vgpr_count:     0
    .vgpr_spill_count: 0
    .wavefront_size: 64
  - .agpr_count:     0
    .args:
      - .offset:         0
        .size:           96
        .value_kind:     by_value
    .group_segment_fixed_size: 0
    .kernarg_segment_align: 8
    .kernarg_segment_size: 96
    .language:       OpenCL C
    .language_version:
      - 2
      - 0
    .max_flat_workgroup_size: 256
    .name:           _ZN7rocprim17ROCPRIM_400000_NS6detail17trampoline_kernelINS0_14default_configENS1_36segmented_radix_sort_config_selectorIllEEZNS1_25segmented_radix_sort_implIS3_Lb1EPKlPlS8_S9_N2at6native12_GLOBAL__N_18offset_tEEE10hipError_tPvRmT1_PNSt15iterator_traitsISH_E10value_typeET2_T3_PNSI_ISN_E10value_typeET4_jRbjT5_ST_jjP12ihipStream_tbEUlT_E_NS1_11comp_targetILNS1_3genE9ELNS1_11target_archE1100ELNS1_3gpuE3ELNS1_3repE0EEENS1_30default_config_static_selectorELNS0_4arch9wavefront6targetE1EEEvSH_
    .private_segment_fixed_size: 0
    .sgpr_count:     4
    .sgpr_spill_count: 0
    .symbol:         _ZN7rocprim17ROCPRIM_400000_NS6detail17trampoline_kernelINS0_14default_configENS1_36segmented_radix_sort_config_selectorIllEEZNS1_25segmented_radix_sort_implIS3_Lb1EPKlPlS8_S9_N2at6native12_GLOBAL__N_18offset_tEEE10hipError_tPvRmT1_PNSt15iterator_traitsISH_E10value_typeET2_T3_PNSI_ISN_E10value_typeET4_jRbjT5_ST_jjP12ihipStream_tbEUlT_E_NS1_11comp_targetILNS1_3genE9ELNS1_11target_archE1100ELNS1_3gpuE3ELNS1_3repE0EEENS1_30default_config_static_selectorELNS0_4arch9wavefront6targetE1EEEvSH_.kd
    .uniform_work_group_size: 1
    .uses_dynamic_stack: false
    .vgpr_count:     0
    .vgpr_spill_count: 0
    .wavefront_size: 64
  - .agpr_count:     0
    .args:
      - .offset:         0
        .size:           96
        .value_kind:     by_value
    .group_segment_fixed_size: 0
    .kernarg_segment_align: 8
    .kernarg_segment_size: 96
    .language:       OpenCL C
    .language_version:
      - 2
      - 0
    .max_flat_workgroup_size: 256
    .name:           _ZN7rocprim17ROCPRIM_400000_NS6detail17trampoline_kernelINS0_14default_configENS1_36segmented_radix_sort_config_selectorIllEEZNS1_25segmented_radix_sort_implIS3_Lb1EPKlPlS8_S9_N2at6native12_GLOBAL__N_18offset_tEEE10hipError_tPvRmT1_PNSt15iterator_traitsISH_E10value_typeET2_T3_PNSI_ISN_E10value_typeET4_jRbjT5_ST_jjP12ihipStream_tbEUlT_E_NS1_11comp_targetILNS1_3genE8ELNS1_11target_archE1030ELNS1_3gpuE2ELNS1_3repE0EEENS1_30default_config_static_selectorELNS0_4arch9wavefront6targetE1EEEvSH_
    .private_segment_fixed_size: 0
    .sgpr_count:     4
    .sgpr_spill_count: 0
    .symbol:         _ZN7rocprim17ROCPRIM_400000_NS6detail17trampoline_kernelINS0_14default_configENS1_36segmented_radix_sort_config_selectorIllEEZNS1_25segmented_radix_sort_implIS3_Lb1EPKlPlS8_S9_N2at6native12_GLOBAL__N_18offset_tEEE10hipError_tPvRmT1_PNSt15iterator_traitsISH_E10value_typeET2_T3_PNSI_ISN_E10value_typeET4_jRbjT5_ST_jjP12ihipStream_tbEUlT_E_NS1_11comp_targetILNS1_3genE8ELNS1_11target_archE1030ELNS1_3gpuE2ELNS1_3repE0EEENS1_30default_config_static_selectorELNS0_4arch9wavefront6targetE1EEEvSH_.kd
    .uniform_work_group_size: 1
    .uses_dynamic_stack: false
    .vgpr_count:     0
    .vgpr_spill_count: 0
    .wavefront_size: 64
  - .agpr_count:     0
    .args:
      - .offset:         0
        .size:           88
        .value_kind:     by_value
    .group_segment_fixed_size: 0
    .kernarg_segment_align: 8
    .kernarg_segment_size: 88
    .language:       OpenCL C
    .language_version:
      - 2
      - 0
    .max_flat_workgroup_size: 256
    .name:           _ZN7rocprim17ROCPRIM_400000_NS6detail17trampoline_kernelINS0_14default_configENS1_36segmented_radix_sort_config_selectorIllEEZNS1_25segmented_radix_sort_implIS3_Lb1EPKlPlS8_S9_N2at6native12_GLOBAL__N_18offset_tEEE10hipError_tPvRmT1_PNSt15iterator_traitsISH_E10value_typeET2_T3_PNSI_ISN_E10value_typeET4_jRbjT5_ST_jjP12ihipStream_tbEUlT_E0_NS1_11comp_targetILNS1_3genE0ELNS1_11target_archE4294967295ELNS1_3gpuE0ELNS1_3repE0EEENS1_60segmented_radix_sort_warp_sort_medium_config_static_selectorELNS0_4arch9wavefront6targetE1EEEvSH_
    .private_segment_fixed_size: 0
    .sgpr_count:     4
    .sgpr_spill_count: 0
    .symbol:         _ZN7rocprim17ROCPRIM_400000_NS6detail17trampoline_kernelINS0_14default_configENS1_36segmented_radix_sort_config_selectorIllEEZNS1_25segmented_radix_sort_implIS3_Lb1EPKlPlS8_S9_N2at6native12_GLOBAL__N_18offset_tEEE10hipError_tPvRmT1_PNSt15iterator_traitsISH_E10value_typeET2_T3_PNSI_ISN_E10value_typeET4_jRbjT5_ST_jjP12ihipStream_tbEUlT_E0_NS1_11comp_targetILNS1_3genE0ELNS1_11target_archE4294967295ELNS1_3gpuE0ELNS1_3repE0EEENS1_60segmented_radix_sort_warp_sort_medium_config_static_selectorELNS0_4arch9wavefront6targetE1EEEvSH_.kd
    .uniform_work_group_size: 1
    .uses_dynamic_stack: false
    .vgpr_count:     0
    .vgpr_spill_count: 0
    .wavefront_size: 64
  - .agpr_count:     0
    .args:
      - .offset:         0
        .size:           88
        .value_kind:     by_value
    .group_segment_fixed_size: 0
    .kernarg_segment_align: 8
    .kernarg_segment_size: 88
    .language:       OpenCL C
    .language_version:
      - 2
      - 0
    .max_flat_workgroup_size: 256
    .name:           _ZN7rocprim17ROCPRIM_400000_NS6detail17trampoline_kernelINS0_14default_configENS1_36segmented_radix_sort_config_selectorIllEEZNS1_25segmented_radix_sort_implIS3_Lb1EPKlPlS8_S9_N2at6native12_GLOBAL__N_18offset_tEEE10hipError_tPvRmT1_PNSt15iterator_traitsISH_E10value_typeET2_T3_PNSI_ISN_E10value_typeET4_jRbjT5_ST_jjP12ihipStream_tbEUlT_E0_NS1_11comp_targetILNS1_3genE5ELNS1_11target_archE942ELNS1_3gpuE9ELNS1_3repE0EEENS1_60segmented_radix_sort_warp_sort_medium_config_static_selectorELNS0_4arch9wavefront6targetE1EEEvSH_
    .private_segment_fixed_size: 0
    .sgpr_count:     4
    .sgpr_spill_count: 0
    .symbol:         _ZN7rocprim17ROCPRIM_400000_NS6detail17trampoline_kernelINS0_14default_configENS1_36segmented_radix_sort_config_selectorIllEEZNS1_25segmented_radix_sort_implIS3_Lb1EPKlPlS8_S9_N2at6native12_GLOBAL__N_18offset_tEEE10hipError_tPvRmT1_PNSt15iterator_traitsISH_E10value_typeET2_T3_PNSI_ISN_E10value_typeET4_jRbjT5_ST_jjP12ihipStream_tbEUlT_E0_NS1_11comp_targetILNS1_3genE5ELNS1_11target_archE942ELNS1_3gpuE9ELNS1_3repE0EEENS1_60segmented_radix_sort_warp_sort_medium_config_static_selectorELNS0_4arch9wavefront6targetE1EEEvSH_.kd
    .uniform_work_group_size: 1
    .uses_dynamic_stack: false
    .vgpr_count:     0
    .vgpr_spill_count: 0
    .wavefront_size: 64
  - .agpr_count:     0
    .args:
      - .offset:         0
        .size:           88
        .value_kind:     by_value
      - .offset:         88
        .size:           4
        .value_kind:     hidden_block_count_x
      - .offset:         92
        .size:           4
        .value_kind:     hidden_block_count_y
      - .offset:         96
        .size:           4
        .value_kind:     hidden_block_count_z
      - .offset:         100
        .size:           2
        .value_kind:     hidden_group_size_x
      - .offset:         102
        .size:           2
        .value_kind:     hidden_group_size_y
      - .offset:         104
        .size:           2
        .value_kind:     hidden_group_size_z
      - .offset:         106
        .size:           2
        .value_kind:     hidden_remainder_x
      - .offset:         108
        .size:           2
        .value_kind:     hidden_remainder_y
      - .offset:         110
        .size:           2
        .value_kind:     hidden_remainder_z
      - .offset:         128
        .size:           8
        .value_kind:     hidden_global_offset_x
      - .offset:         136
        .size:           8
        .value_kind:     hidden_global_offset_y
      - .offset:         144
        .size:           8
        .value_kind:     hidden_global_offset_z
      - .offset:         152
        .size:           2
        .value_kind:     hidden_grid_dims
      - .offset:         168
        .size:           8
        .value_kind:     hidden_hostcall_buffer
      - .offset:         176
        .size:           8
        .value_kind:     hidden_multigrid_sync_arg
      - .offset:         184
        .size:           8
        .value_kind:     hidden_heap_v1
      - .offset:         192
        .size:           8
        .value_kind:     hidden_default_queue
      - .offset:         200
        .size:           8
        .value_kind:     hidden_completion_action
      - .offset:         288
        .size:           8
        .value_kind:     hidden_queue_ptr
    .group_segment_fixed_size: 32768
    .kernarg_segment_align: 8
    .kernarg_segment_size: 344
    .language:       OpenCL C
    .language_version:
      - 2
      - 0
    .max_flat_workgroup_size: 256
    .name:           _ZN7rocprim17ROCPRIM_400000_NS6detail17trampoline_kernelINS0_14default_configENS1_36segmented_radix_sort_config_selectorIllEEZNS1_25segmented_radix_sort_implIS3_Lb1EPKlPlS8_S9_N2at6native12_GLOBAL__N_18offset_tEEE10hipError_tPvRmT1_PNSt15iterator_traitsISH_E10value_typeET2_T3_PNSI_ISN_E10value_typeET4_jRbjT5_ST_jjP12ihipStream_tbEUlT_E0_NS1_11comp_targetILNS1_3genE4ELNS1_11target_archE910ELNS1_3gpuE8ELNS1_3repE0EEENS1_60segmented_radix_sort_warp_sort_medium_config_static_selectorELNS0_4arch9wavefront6targetE1EEEvSH_
    .private_segment_fixed_size: 8
    .sgpr_count:     64
    .sgpr_spill_count: 0
    .symbol:         _ZN7rocprim17ROCPRIM_400000_NS6detail17trampoline_kernelINS0_14default_configENS1_36segmented_radix_sort_config_selectorIllEEZNS1_25segmented_radix_sort_implIS3_Lb1EPKlPlS8_S9_N2at6native12_GLOBAL__N_18offset_tEEE10hipError_tPvRmT1_PNSt15iterator_traitsISH_E10value_typeET2_T3_PNSI_ISN_E10value_typeET4_jRbjT5_ST_jjP12ihipStream_tbEUlT_E0_NS1_11comp_targetILNS1_3genE4ELNS1_11target_archE910ELNS1_3gpuE8ELNS1_3repE0EEENS1_60segmented_radix_sort_warp_sort_medium_config_static_selectorELNS0_4arch9wavefront6targetE1EEEvSH_.kd
    .uniform_work_group_size: 1
    .uses_dynamic_stack: false
    .vgpr_count:     85
    .vgpr_spill_count: 0
    .wavefront_size: 64
  - .agpr_count:     0
    .args:
      - .offset:         0
        .size:           88
        .value_kind:     by_value
    .group_segment_fixed_size: 0
    .kernarg_segment_align: 8
    .kernarg_segment_size: 88
    .language:       OpenCL C
    .language_version:
      - 2
      - 0
    .max_flat_workgroup_size: 256
    .name:           _ZN7rocprim17ROCPRIM_400000_NS6detail17trampoline_kernelINS0_14default_configENS1_36segmented_radix_sort_config_selectorIllEEZNS1_25segmented_radix_sort_implIS3_Lb1EPKlPlS8_S9_N2at6native12_GLOBAL__N_18offset_tEEE10hipError_tPvRmT1_PNSt15iterator_traitsISH_E10value_typeET2_T3_PNSI_ISN_E10value_typeET4_jRbjT5_ST_jjP12ihipStream_tbEUlT_E0_NS1_11comp_targetILNS1_3genE3ELNS1_11target_archE908ELNS1_3gpuE7ELNS1_3repE0EEENS1_60segmented_radix_sort_warp_sort_medium_config_static_selectorELNS0_4arch9wavefront6targetE1EEEvSH_
    .private_segment_fixed_size: 0
    .sgpr_count:     4
    .sgpr_spill_count: 0
    .symbol:         _ZN7rocprim17ROCPRIM_400000_NS6detail17trampoline_kernelINS0_14default_configENS1_36segmented_radix_sort_config_selectorIllEEZNS1_25segmented_radix_sort_implIS3_Lb1EPKlPlS8_S9_N2at6native12_GLOBAL__N_18offset_tEEE10hipError_tPvRmT1_PNSt15iterator_traitsISH_E10value_typeET2_T3_PNSI_ISN_E10value_typeET4_jRbjT5_ST_jjP12ihipStream_tbEUlT_E0_NS1_11comp_targetILNS1_3genE3ELNS1_11target_archE908ELNS1_3gpuE7ELNS1_3repE0EEENS1_60segmented_radix_sort_warp_sort_medium_config_static_selectorELNS0_4arch9wavefront6targetE1EEEvSH_.kd
    .uniform_work_group_size: 1
    .uses_dynamic_stack: false
    .vgpr_count:     0
    .vgpr_spill_count: 0
    .wavefront_size: 64
  - .agpr_count:     0
    .args:
      - .offset:         0
        .size:           88
        .value_kind:     by_value
    .group_segment_fixed_size: 0
    .kernarg_segment_align: 8
    .kernarg_segment_size: 88
    .language:       OpenCL C
    .language_version:
      - 2
      - 0
    .max_flat_workgroup_size: 256
    .name:           _ZN7rocprim17ROCPRIM_400000_NS6detail17trampoline_kernelINS0_14default_configENS1_36segmented_radix_sort_config_selectorIllEEZNS1_25segmented_radix_sort_implIS3_Lb1EPKlPlS8_S9_N2at6native12_GLOBAL__N_18offset_tEEE10hipError_tPvRmT1_PNSt15iterator_traitsISH_E10value_typeET2_T3_PNSI_ISN_E10value_typeET4_jRbjT5_ST_jjP12ihipStream_tbEUlT_E0_NS1_11comp_targetILNS1_3genE2ELNS1_11target_archE906ELNS1_3gpuE6ELNS1_3repE0EEENS1_60segmented_radix_sort_warp_sort_medium_config_static_selectorELNS0_4arch9wavefront6targetE1EEEvSH_
    .private_segment_fixed_size: 0
    .sgpr_count:     4
    .sgpr_spill_count: 0
    .symbol:         _ZN7rocprim17ROCPRIM_400000_NS6detail17trampoline_kernelINS0_14default_configENS1_36segmented_radix_sort_config_selectorIllEEZNS1_25segmented_radix_sort_implIS3_Lb1EPKlPlS8_S9_N2at6native12_GLOBAL__N_18offset_tEEE10hipError_tPvRmT1_PNSt15iterator_traitsISH_E10value_typeET2_T3_PNSI_ISN_E10value_typeET4_jRbjT5_ST_jjP12ihipStream_tbEUlT_E0_NS1_11comp_targetILNS1_3genE2ELNS1_11target_archE906ELNS1_3gpuE6ELNS1_3repE0EEENS1_60segmented_radix_sort_warp_sort_medium_config_static_selectorELNS0_4arch9wavefront6targetE1EEEvSH_.kd
    .uniform_work_group_size: 1
    .uses_dynamic_stack: false
    .vgpr_count:     0
    .vgpr_spill_count: 0
    .wavefront_size: 64
  - .agpr_count:     0
    .args:
      - .offset:         0
        .size:           88
        .value_kind:     by_value
    .group_segment_fixed_size: 0
    .kernarg_segment_align: 8
    .kernarg_segment_size: 88
    .language:       OpenCL C
    .language_version:
      - 2
      - 0
    .max_flat_workgroup_size: 256
    .name:           _ZN7rocprim17ROCPRIM_400000_NS6detail17trampoline_kernelINS0_14default_configENS1_36segmented_radix_sort_config_selectorIllEEZNS1_25segmented_radix_sort_implIS3_Lb1EPKlPlS8_S9_N2at6native12_GLOBAL__N_18offset_tEEE10hipError_tPvRmT1_PNSt15iterator_traitsISH_E10value_typeET2_T3_PNSI_ISN_E10value_typeET4_jRbjT5_ST_jjP12ihipStream_tbEUlT_E0_NS1_11comp_targetILNS1_3genE10ELNS1_11target_archE1201ELNS1_3gpuE5ELNS1_3repE0EEENS1_60segmented_radix_sort_warp_sort_medium_config_static_selectorELNS0_4arch9wavefront6targetE1EEEvSH_
    .private_segment_fixed_size: 0
    .sgpr_count:     4
    .sgpr_spill_count: 0
    .symbol:         _ZN7rocprim17ROCPRIM_400000_NS6detail17trampoline_kernelINS0_14default_configENS1_36segmented_radix_sort_config_selectorIllEEZNS1_25segmented_radix_sort_implIS3_Lb1EPKlPlS8_S9_N2at6native12_GLOBAL__N_18offset_tEEE10hipError_tPvRmT1_PNSt15iterator_traitsISH_E10value_typeET2_T3_PNSI_ISN_E10value_typeET4_jRbjT5_ST_jjP12ihipStream_tbEUlT_E0_NS1_11comp_targetILNS1_3genE10ELNS1_11target_archE1201ELNS1_3gpuE5ELNS1_3repE0EEENS1_60segmented_radix_sort_warp_sort_medium_config_static_selectorELNS0_4arch9wavefront6targetE1EEEvSH_.kd
    .uniform_work_group_size: 1
    .uses_dynamic_stack: false
    .vgpr_count:     0
    .vgpr_spill_count: 0
    .wavefront_size: 64
  - .agpr_count:     0
    .args:
      - .offset:         0
        .size:           88
        .value_kind:     by_value
    .group_segment_fixed_size: 0
    .kernarg_segment_align: 8
    .kernarg_segment_size: 88
    .language:       OpenCL C
    .language_version:
      - 2
      - 0
    .max_flat_workgroup_size: 256
    .name:           _ZN7rocprim17ROCPRIM_400000_NS6detail17trampoline_kernelINS0_14default_configENS1_36segmented_radix_sort_config_selectorIllEEZNS1_25segmented_radix_sort_implIS3_Lb1EPKlPlS8_S9_N2at6native12_GLOBAL__N_18offset_tEEE10hipError_tPvRmT1_PNSt15iterator_traitsISH_E10value_typeET2_T3_PNSI_ISN_E10value_typeET4_jRbjT5_ST_jjP12ihipStream_tbEUlT_E0_NS1_11comp_targetILNS1_3genE10ELNS1_11target_archE1200ELNS1_3gpuE4ELNS1_3repE0EEENS1_60segmented_radix_sort_warp_sort_medium_config_static_selectorELNS0_4arch9wavefront6targetE1EEEvSH_
    .private_segment_fixed_size: 0
    .sgpr_count:     4
    .sgpr_spill_count: 0
    .symbol:         _ZN7rocprim17ROCPRIM_400000_NS6detail17trampoline_kernelINS0_14default_configENS1_36segmented_radix_sort_config_selectorIllEEZNS1_25segmented_radix_sort_implIS3_Lb1EPKlPlS8_S9_N2at6native12_GLOBAL__N_18offset_tEEE10hipError_tPvRmT1_PNSt15iterator_traitsISH_E10value_typeET2_T3_PNSI_ISN_E10value_typeET4_jRbjT5_ST_jjP12ihipStream_tbEUlT_E0_NS1_11comp_targetILNS1_3genE10ELNS1_11target_archE1200ELNS1_3gpuE4ELNS1_3repE0EEENS1_60segmented_radix_sort_warp_sort_medium_config_static_selectorELNS0_4arch9wavefront6targetE1EEEvSH_.kd
    .uniform_work_group_size: 1
    .uses_dynamic_stack: false
    .vgpr_count:     0
    .vgpr_spill_count: 0
    .wavefront_size: 64
  - .agpr_count:     0
    .args:
      - .offset:         0
        .size:           88
        .value_kind:     by_value
    .group_segment_fixed_size: 0
    .kernarg_segment_align: 8
    .kernarg_segment_size: 88
    .language:       OpenCL C
    .language_version:
      - 2
      - 0
    .max_flat_workgroup_size: 256
    .name:           _ZN7rocprim17ROCPRIM_400000_NS6detail17trampoline_kernelINS0_14default_configENS1_36segmented_radix_sort_config_selectorIllEEZNS1_25segmented_radix_sort_implIS3_Lb1EPKlPlS8_S9_N2at6native12_GLOBAL__N_18offset_tEEE10hipError_tPvRmT1_PNSt15iterator_traitsISH_E10value_typeET2_T3_PNSI_ISN_E10value_typeET4_jRbjT5_ST_jjP12ihipStream_tbEUlT_E0_NS1_11comp_targetILNS1_3genE9ELNS1_11target_archE1100ELNS1_3gpuE3ELNS1_3repE0EEENS1_60segmented_radix_sort_warp_sort_medium_config_static_selectorELNS0_4arch9wavefront6targetE1EEEvSH_
    .private_segment_fixed_size: 0
    .sgpr_count:     4
    .sgpr_spill_count: 0
    .symbol:         _ZN7rocprim17ROCPRIM_400000_NS6detail17trampoline_kernelINS0_14default_configENS1_36segmented_radix_sort_config_selectorIllEEZNS1_25segmented_radix_sort_implIS3_Lb1EPKlPlS8_S9_N2at6native12_GLOBAL__N_18offset_tEEE10hipError_tPvRmT1_PNSt15iterator_traitsISH_E10value_typeET2_T3_PNSI_ISN_E10value_typeET4_jRbjT5_ST_jjP12ihipStream_tbEUlT_E0_NS1_11comp_targetILNS1_3genE9ELNS1_11target_archE1100ELNS1_3gpuE3ELNS1_3repE0EEENS1_60segmented_radix_sort_warp_sort_medium_config_static_selectorELNS0_4arch9wavefront6targetE1EEEvSH_.kd
    .uniform_work_group_size: 1
    .uses_dynamic_stack: false
    .vgpr_count:     0
    .vgpr_spill_count: 0
    .wavefront_size: 64
  - .agpr_count:     0
    .args:
      - .offset:         0
        .size:           88
        .value_kind:     by_value
    .group_segment_fixed_size: 0
    .kernarg_segment_align: 8
    .kernarg_segment_size: 88
    .language:       OpenCL C
    .language_version:
      - 2
      - 0
    .max_flat_workgroup_size: 256
    .name:           _ZN7rocprim17ROCPRIM_400000_NS6detail17trampoline_kernelINS0_14default_configENS1_36segmented_radix_sort_config_selectorIllEEZNS1_25segmented_radix_sort_implIS3_Lb1EPKlPlS8_S9_N2at6native12_GLOBAL__N_18offset_tEEE10hipError_tPvRmT1_PNSt15iterator_traitsISH_E10value_typeET2_T3_PNSI_ISN_E10value_typeET4_jRbjT5_ST_jjP12ihipStream_tbEUlT_E0_NS1_11comp_targetILNS1_3genE8ELNS1_11target_archE1030ELNS1_3gpuE2ELNS1_3repE0EEENS1_60segmented_radix_sort_warp_sort_medium_config_static_selectorELNS0_4arch9wavefront6targetE1EEEvSH_
    .private_segment_fixed_size: 0
    .sgpr_count:     4
    .sgpr_spill_count: 0
    .symbol:         _ZN7rocprim17ROCPRIM_400000_NS6detail17trampoline_kernelINS0_14default_configENS1_36segmented_radix_sort_config_selectorIllEEZNS1_25segmented_radix_sort_implIS3_Lb1EPKlPlS8_S9_N2at6native12_GLOBAL__N_18offset_tEEE10hipError_tPvRmT1_PNSt15iterator_traitsISH_E10value_typeET2_T3_PNSI_ISN_E10value_typeET4_jRbjT5_ST_jjP12ihipStream_tbEUlT_E0_NS1_11comp_targetILNS1_3genE8ELNS1_11target_archE1030ELNS1_3gpuE2ELNS1_3repE0EEENS1_60segmented_radix_sort_warp_sort_medium_config_static_selectorELNS0_4arch9wavefront6targetE1EEEvSH_.kd
    .uniform_work_group_size: 1
    .uses_dynamic_stack: false
    .vgpr_count:     0
    .vgpr_spill_count: 0
    .wavefront_size: 64
  - .agpr_count:     0
    .args:
      - .offset:         0
        .size:           88
        .value_kind:     by_value
    .group_segment_fixed_size: 0
    .kernarg_segment_align: 8
    .kernarg_segment_size: 88
    .language:       OpenCL C
    .language_version:
      - 2
      - 0
    .max_flat_workgroup_size: 256
    .name:           _ZN7rocprim17ROCPRIM_400000_NS6detail17trampoline_kernelINS0_14default_configENS1_36segmented_radix_sort_config_selectorIllEEZNS1_25segmented_radix_sort_implIS3_Lb1EPKlPlS8_S9_N2at6native12_GLOBAL__N_18offset_tEEE10hipError_tPvRmT1_PNSt15iterator_traitsISH_E10value_typeET2_T3_PNSI_ISN_E10value_typeET4_jRbjT5_ST_jjP12ihipStream_tbEUlT_E1_NS1_11comp_targetILNS1_3genE0ELNS1_11target_archE4294967295ELNS1_3gpuE0ELNS1_3repE0EEENS1_59segmented_radix_sort_warp_sort_small_config_static_selectorELNS0_4arch9wavefront6targetE1EEEvSH_
    .private_segment_fixed_size: 0
    .sgpr_count:     4
    .sgpr_spill_count: 0
    .symbol:         _ZN7rocprim17ROCPRIM_400000_NS6detail17trampoline_kernelINS0_14default_configENS1_36segmented_radix_sort_config_selectorIllEEZNS1_25segmented_radix_sort_implIS3_Lb1EPKlPlS8_S9_N2at6native12_GLOBAL__N_18offset_tEEE10hipError_tPvRmT1_PNSt15iterator_traitsISH_E10value_typeET2_T3_PNSI_ISN_E10value_typeET4_jRbjT5_ST_jjP12ihipStream_tbEUlT_E1_NS1_11comp_targetILNS1_3genE0ELNS1_11target_archE4294967295ELNS1_3gpuE0ELNS1_3repE0EEENS1_59segmented_radix_sort_warp_sort_small_config_static_selectorELNS0_4arch9wavefront6targetE1EEEvSH_.kd
    .uniform_work_group_size: 1
    .uses_dynamic_stack: false
    .vgpr_count:     0
    .vgpr_spill_count: 0
    .wavefront_size: 64
  - .agpr_count:     0
    .args:
      - .offset:         0
        .size:           88
        .value_kind:     by_value
    .group_segment_fixed_size: 0
    .kernarg_segment_align: 8
    .kernarg_segment_size: 88
    .language:       OpenCL C
    .language_version:
      - 2
      - 0
    .max_flat_workgroup_size: 256
    .name:           _ZN7rocprim17ROCPRIM_400000_NS6detail17trampoline_kernelINS0_14default_configENS1_36segmented_radix_sort_config_selectorIllEEZNS1_25segmented_radix_sort_implIS3_Lb1EPKlPlS8_S9_N2at6native12_GLOBAL__N_18offset_tEEE10hipError_tPvRmT1_PNSt15iterator_traitsISH_E10value_typeET2_T3_PNSI_ISN_E10value_typeET4_jRbjT5_ST_jjP12ihipStream_tbEUlT_E1_NS1_11comp_targetILNS1_3genE5ELNS1_11target_archE942ELNS1_3gpuE9ELNS1_3repE0EEENS1_59segmented_radix_sort_warp_sort_small_config_static_selectorELNS0_4arch9wavefront6targetE1EEEvSH_
    .private_segment_fixed_size: 0
    .sgpr_count:     4
    .sgpr_spill_count: 0
    .symbol:         _ZN7rocprim17ROCPRIM_400000_NS6detail17trampoline_kernelINS0_14default_configENS1_36segmented_radix_sort_config_selectorIllEEZNS1_25segmented_radix_sort_implIS3_Lb1EPKlPlS8_S9_N2at6native12_GLOBAL__N_18offset_tEEE10hipError_tPvRmT1_PNSt15iterator_traitsISH_E10value_typeET2_T3_PNSI_ISN_E10value_typeET4_jRbjT5_ST_jjP12ihipStream_tbEUlT_E1_NS1_11comp_targetILNS1_3genE5ELNS1_11target_archE942ELNS1_3gpuE9ELNS1_3repE0EEENS1_59segmented_radix_sort_warp_sort_small_config_static_selectorELNS0_4arch9wavefront6targetE1EEEvSH_.kd
    .uniform_work_group_size: 1
    .uses_dynamic_stack: false
    .vgpr_count:     0
    .vgpr_spill_count: 0
    .wavefront_size: 64
  - .agpr_count:     0
    .args:
      - .offset:         0
        .size:           88
        .value_kind:     by_value
      - .offset:         88
        .size:           4
        .value_kind:     hidden_block_count_x
      - .offset:         92
        .size:           4
        .value_kind:     hidden_block_count_y
      - .offset:         96
        .size:           4
        .value_kind:     hidden_block_count_z
      - .offset:         100
        .size:           2
        .value_kind:     hidden_group_size_x
      - .offset:         102
        .size:           2
        .value_kind:     hidden_group_size_y
      - .offset:         104
        .size:           2
        .value_kind:     hidden_group_size_z
      - .offset:         106
        .size:           2
        .value_kind:     hidden_remainder_x
      - .offset:         108
        .size:           2
        .value_kind:     hidden_remainder_y
      - .offset:         110
        .size:           2
        .value_kind:     hidden_remainder_z
      - .offset:         128
        .size:           8
        .value_kind:     hidden_global_offset_x
      - .offset:         136
        .size:           8
        .value_kind:     hidden_global_offset_y
      - .offset:         144
        .size:           8
        .value_kind:     hidden_global_offset_z
      - .offset:         152
        .size:           2
        .value_kind:     hidden_grid_dims
      - .offset:         168
        .size:           8
        .value_kind:     hidden_hostcall_buffer
      - .offset:         176
        .size:           8
        .value_kind:     hidden_multigrid_sync_arg
      - .offset:         184
        .size:           8
        .value_kind:     hidden_heap_v1
      - .offset:         192
        .size:           8
        .value_kind:     hidden_default_queue
      - .offset:         200
        .size:           8
        .value_kind:     hidden_completion_action
      - .offset:         288
        .size:           8
        .value_kind:     hidden_queue_ptr
    .group_segment_fixed_size: 16384
    .kernarg_segment_align: 8
    .kernarg_segment_size: 344
    .language:       OpenCL C
    .language_version:
      - 2
      - 0
    .max_flat_workgroup_size: 256
    .name:           _ZN7rocprim17ROCPRIM_400000_NS6detail17trampoline_kernelINS0_14default_configENS1_36segmented_radix_sort_config_selectorIllEEZNS1_25segmented_radix_sort_implIS3_Lb1EPKlPlS8_S9_N2at6native12_GLOBAL__N_18offset_tEEE10hipError_tPvRmT1_PNSt15iterator_traitsISH_E10value_typeET2_T3_PNSI_ISN_E10value_typeET4_jRbjT5_ST_jjP12ihipStream_tbEUlT_E1_NS1_11comp_targetILNS1_3genE4ELNS1_11target_archE910ELNS1_3gpuE8ELNS1_3repE0EEENS1_59segmented_radix_sort_warp_sort_small_config_static_selectorELNS0_4arch9wavefront6targetE1EEEvSH_
    .private_segment_fixed_size: 0
    .sgpr_count:     56
    .sgpr_spill_count: 0
    .symbol:         _ZN7rocprim17ROCPRIM_400000_NS6detail17trampoline_kernelINS0_14default_configENS1_36segmented_radix_sort_config_selectorIllEEZNS1_25segmented_radix_sort_implIS3_Lb1EPKlPlS8_S9_N2at6native12_GLOBAL__N_18offset_tEEE10hipError_tPvRmT1_PNSt15iterator_traitsISH_E10value_typeET2_T3_PNSI_ISN_E10value_typeET4_jRbjT5_ST_jjP12ihipStream_tbEUlT_E1_NS1_11comp_targetILNS1_3genE4ELNS1_11target_archE910ELNS1_3gpuE8ELNS1_3repE0EEENS1_59segmented_radix_sort_warp_sort_small_config_static_selectorELNS0_4arch9wavefront6targetE1EEEvSH_.kd
    .uniform_work_group_size: 1
    .uses_dynamic_stack: false
    .vgpr_count:     85
    .vgpr_spill_count: 0
    .wavefront_size: 64
  - .agpr_count:     0
    .args:
      - .offset:         0
        .size:           88
        .value_kind:     by_value
    .group_segment_fixed_size: 0
    .kernarg_segment_align: 8
    .kernarg_segment_size: 88
    .language:       OpenCL C
    .language_version:
      - 2
      - 0
    .max_flat_workgroup_size: 256
    .name:           _ZN7rocprim17ROCPRIM_400000_NS6detail17trampoline_kernelINS0_14default_configENS1_36segmented_radix_sort_config_selectorIllEEZNS1_25segmented_radix_sort_implIS3_Lb1EPKlPlS8_S9_N2at6native12_GLOBAL__N_18offset_tEEE10hipError_tPvRmT1_PNSt15iterator_traitsISH_E10value_typeET2_T3_PNSI_ISN_E10value_typeET4_jRbjT5_ST_jjP12ihipStream_tbEUlT_E1_NS1_11comp_targetILNS1_3genE3ELNS1_11target_archE908ELNS1_3gpuE7ELNS1_3repE0EEENS1_59segmented_radix_sort_warp_sort_small_config_static_selectorELNS0_4arch9wavefront6targetE1EEEvSH_
    .private_segment_fixed_size: 0
    .sgpr_count:     4
    .sgpr_spill_count: 0
    .symbol:         _ZN7rocprim17ROCPRIM_400000_NS6detail17trampoline_kernelINS0_14default_configENS1_36segmented_radix_sort_config_selectorIllEEZNS1_25segmented_radix_sort_implIS3_Lb1EPKlPlS8_S9_N2at6native12_GLOBAL__N_18offset_tEEE10hipError_tPvRmT1_PNSt15iterator_traitsISH_E10value_typeET2_T3_PNSI_ISN_E10value_typeET4_jRbjT5_ST_jjP12ihipStream_tbEUlT_E1_NS1_11comp_targetILNS1_3genE3ELNS1_11target_archE908ELNS1_3gpuE7ELNS1_3repE0EEENS1_59segmented_radix_sort_warp_sort_small_config_static_selectorELNS0_4arch9wavefront6targetE1EEEvSH_.kd
    .uniform_work_group_size: 1
    .uses_dynamic_stack: false
    .vgpr_count:     0
    .vgpr_spill_count: 0
    .wavefront_size: 64
  - .agpr_count:     0
    .args:
      - .offset:         0
        .size:           88
        .value_kind:     by_value
    .group_segment_fixed_size: 0
    .kernarg_segment_align: 8
    .kernarg_segment_size: 88
    .language:       OpenCL C
    .language_version:
      - 2
      - 0
    .max_flat_workgroup_size: 256
    .name:           _ZN7rocprim17ROCPRIM_400000_NS6detail17trampoline_kernelINS0_14default_configENS1_36segmented_radix_sort_config_selectorIllEEZNS1_25segmented_radix_sort_implIS3_Lb1EPKlPlS8_S9_N2at6native12_GLOBAL__N_18offset_tEEE10hipError_tPvRmT1_PNSt15iterator_traitsISH_E10value_typeET2_T3_PNSI_ISN_E10value_typeET4_jRbjT5_ST_jjP12ihipStream_tbEUlT_E1_NS1_11comp_targetILNS1_3genE2ELNS1_11target_archE906ELNS1_3gpuE6ELNS1_3repE0EEENS1_59segmented_radix_sort_warp_sort_small_config_static_selectorELNS0_4arch9wavefront6targetE1EEEvSH_
    .private_segment_fixed_size: 0
    .sgpr_count:     4
    .sgpr_spill_count: 0
    .symbol:         _ZN7rocprim17ROCPRIM_400000_NS6detail17trampoline_kernelINS0_14default_configENS1_36segmented_radix_sort_config_selectorIllEEZNS1_25segmented_radix_sort_implIS3_Lb1EPKlPlS8_S9_N2at6native12_GLOBAL__N_18offset_tEEE10hipError_tPvRmT1_PNSt15iterator_traitsISH_E10value_typeET2_T3_PNSI_ISN_E10value_typeET4_jRbjT5_ST_jjP12ihipStream_tbEUlT_E1_NS1_11comp_targetILNS1_3genE2ELNS1_11target_archE906ELNS1_3gpuE6ELNS1_3repE0EEENS1_59segmented_radix_sort_warp_sort_small_config_static_selectorELNS0_4arch9wavefront6targetE1EEEvSH_.kd
    .uniform_work_group_size: 1
    .uses_dynamic_stack: false
    .vgpr_count:     0
    .vgpr_spill_count: 0
    .wavefront_size: 64
  - .agpr_count:     0
    .args:
      - .offset:         0
        .size:           88
        .value_kind:     by_value
    .group_segment_fixed_size: 0
    .kernarg_segment_align: 8
    .kernarg_segment_size: 88
    .language:       OpenCL C
    .language_version:
      - 2
      - 0
    .max_flat_workgroup_size: 256
    .name:           _ZN7rocprim17ROCPRIM_400000_NS6detail17trampoline_kernelINS0_14default_configENS1_36segmented_radix_sort_config_selectorIllEEZNS1_25segmented_radix_sort_implIS3_Lb1EPKlPlS8_S9_N2at6native12_GLOBAL__N_18offset_tEEE10hipError_tPvRmT1_PNSt15iterator_traitsISH_E10value_typeET2_T3_PNSI_ISN_E10value_typeET4_jRbjT5_ST_jjP12ihipStream_tbEUlT_E1_NS1_11comp_targetILNS1_3genE10ELNS1_11target_archE1201ELNS1_3gpuE5ELNS1_3repE0EEENS1_59segmented_radix_sort_warp_sort_small_config_static_selectorELNS0_4arch9wavefront6targetE1EEEvSH_
    .private_segment_fixed_size: 0
    .sgpr_count:     4
    .sgpr_spill_count: 0
    .symbol:         _ZN7rocprim17ROCPRIM_400000_NS6detail17trampoline_kernelINS0_14default_configENS1_36segmented_radix_sort_config_selectorIllEEZNS1_25segmented_radix_sort_implIS3_Lb1EPKlPlS8_S9_N2at6native12_GLOBAL__N_18offset_tEEE10hipError_tPvRmT1_PNSt15iterator_traitsISH_E10value_typeET2_T3_PNSI_ISN_E10value_typeET4_jRbjT5_ST_jjP12ihipStream_tbEUlT_E1_NS1_11comp_targetILNS1_3genE10ELNS1_11target_archE1201ELNS1_3gpuE5ELNS1_3repE0EEENS1_59segmented_radix_sort_warp_sort_small_config_static_selectorELNS0_4arch9wavefront6targetE1EEEvSH_.kd
    .uniform_work_group_size: 1
    .uses_dynamic_stack: false
    .vgpr_count:     0
    .vgpr_spill_count: 0
    .wavefront_size: 64
  - .agpr_count:     0
    .args:
      - .offset:         0
        .size:           88
        .value_kind:     by_value
    .group_segment_fixed_size: 0
    .kernarg_segment_align: 8
    .kernarg_segment_size: 88
    .language:       OpenCL C
    .language_version:
      - 2
      - 0
    .max_flat_workgroup_size: 256
    .name:           _ZN7rocprim17ROCPRIM_400000_NS6detail17trampoline_kernelINS0_14default_configENS1_36segmented_radix_sort_config_selectorIllEEZNS1_25segmented_radix_sort_implIS3_Lb1EPKlPlS8_S9_N2at6native12_GLOBAL__N_18offset_tEEE10hipError_tPvRmT1_PNSt15iterator_traitsISH_E10value_typeET2_T3_PNSI_ISN_E10value_typeET4_jRbjT5_ST_jjP12ihipStream_tbEUlT_E1_NS1_11comp_targetILNS1_3genE10ELNS1_11target_archE1200ELNS1_3gpuE4ELNS1_3repE0EEENS1_59segmented_radix_sort_warp_sort_small_config_static_selectorELNS0_4arch9wavefront6targetE1EEEvSH_
    .private_segment_fixed_size: 0
    .sgpr_count:     4
    .sgpr_spill_count: 0
    .symbol:         _ZN7rocprim17ROCPRIM_400000_NS6detail17trampoline_kernelINS0_14default_configENS1_36segmented_radix_sort_config_selectorIllEEZNS1_25segmented_radix_sort_implIS3_Lb1EPKlPlS8_S9_N2at6native12_GLOBAL__N_18offset_tEEE10hipError_tPvRmT1_PNSt15iterator_traitsISH_E10value_typeET2_T3_PNSI_ISN_E10value_typeET4_jRbjT5_ST_jjP12ihipStream_tbEUlT_E1_NS1_11comp_targetILNS1_3genE10ELNS1_11target_archE1200ELNS1_3gpuE4ELNS1_3repE0EEENS1_59segmented_radix_sort_warp_sort_small_config_static_selectorELNS0_4arch9wavefront6targetE1EEEvSH_.kd
    .uniform_work_group_size: 1
    .uses_dynamic_stack: false
    .vgpr_count:     0
    .vgpr_spill_count: 0
    .wavefront_size: 64
  - .agpr_count:     0
    .args:
      - .offset:         0
        .size:           88
        .value_kind:     by_value
    .group_segment_fixed_size: 0
    .kernarg_segment_align: 8
    .kernarg_segment_size: 88
    .language:       OpenCL C
    .language_version:
      - 2
      - 0
    .max_flat_workgroup_size: 256
    .name:           _ZN7rocprim17ROCPRIM_400000_NS6detail17trampoline_kernelINS0_14default_configENS1_36segmented_radix_sort_config_selectorIllEEZNS1_25segmented_radix_sort_implIS3_Lb1EPKlPlS8_S9_N2at6native12_GLOBAL__N_18offset_tEEE10hipError_tPvRmT1_PNSt15iterator_traitsISH_E10value_typeET2_T3_PNSI_ISN_E10value_typeET4_jRbjT5_ST_jjP12ihipStream_tbEUlT_E1_NS1_11comp_targetILNS1_3genE9ELNS1_11target_archE1100ELNS1_3gpuE3ELNS1_3repE0EEENS1_59segmented_radix_sort_warp_sort_small_config_static_selectorELNS0_4arch9wavefront6targetE1EEEvSH_
    .private_segment_fixed_size: 0
    .sgpr_count:     4
    .sgpr_spill_count: 0
    .symbol:         _ZN7rocprim17ROCPRIM_400000_NS6detail17trampoline_kernelINS0_14default_configENS1_36segmented_radix_sort_config_selectorIllEEZNS1_25segmented_radix_sort_implIS3_Lb1EPKlPlS8_S9_N2at6native12_GLOBAL__N_18offset_tEEE10hipError_tPvRmT1_PNSt15iterator_traitsISH_E10value_typeET2_T3_PNSI_ISN_E10value_typeET4_jRbjT5_ST_jjP12ihipStream_tbEUlT_E1_NS1_11comp_targetILNS1_3genE9ELNS1_11target_archE1100ELNS1_3gpuE3ELNS1_3repE0EEENS1_59segmented_radix_sort_warp_sort_small_config_static_selectorELNS0_4arch9wavefront6targetE1EEEvSH_.kd
    .uniform_work_group_size: 1
    .uses_dynamic_stack: false
    .vgpr_count:     0
    .vgpr_spill_count: 0
    .wavefront_size: 64
  - .agpr_count:     0
    .args:
      - .offset:         0
        .size:           88
        .value_kind:     by_value
    .group_segment_fixed_size: 0
    .kernarg_segment_align: 8
    .kernarg_segment_size: 88
    .language:       OpenCL C
    .language_version:
      - 2
      - 0
    .max_flat_workgroup_size: 256
    .name:           _ZN7rocprim17ROCPRIM_400000_NS6detail17trampoline_kernelINS0_14default_configENS1_36segmented_radix_sort_config_selectorIllEEZNS1_25segmented_radix_sort_implIS3_Lb1EPKlPlS8_S9_N2at6native12_GLOBAL__N_18offset_tEEE10hipError_tPvRmT1_PNSt15iterator_traitsISH_E10value_typeET2_T3_PNSI_ISN_E10value_typeET4_jRbjT5_ST_jjP12ihipStream_tbEUlT_E1_NS1_11comp_targetILNS1_3genE8ELNS1_11target_archE1030ELNS1_3gpuE2ELNS1_3repE0EEENS1_59segmented_radix_sort_warp_sort_small_config_static_selectorELNS0_4arch9wavefront6targetE1EEEvSH_
    .private_segment_fixed_size: 0
    .sgpr_count:     4
    .sgpr_spill_count: 0
    .symbol:         _ZN7rocprim17ROCPRIM_400000_NS6detail17trampoline_kernelINS0_14default_configENS1_36segmented_radix_sort_config_selectorIllEEZNS1_25segmented_radix_sort_implIS3_Lb1EPKlPlS8_S9_N2at6native12_GLOBAL__N_18offset_tEEE10hipError_tPvRmT1_PNSt15iterator_traitsISH_E10value_typeET2_T3_PNSI_ISN_E10value_typeET4_jRbjT5_ST_jjP12ihipStream_tbEUlT_E1_NS1_11comp_targetILNS1_3genE8ELNS1_11target_archE1030ELNS1_3gpuE2ELNS1_3repE0EEENS1_59segmented_radix_sort_warp_sort_small_config_static_selectorELNS0_4arch9wavefront6targetE1EEEvSH_.kd
    .uniform_work_group_size: 1
    .uses_dynamic_stack: false
    .vgpr_count:     0
    .vgpr_spill_count: 0
    .wavefront_size: 64
  - .agpr_count:     0
    .args:
      - .offset:         0
        .size:           80
        .value_kind:     by_value
    .group_segment_fixed_size: 0
    .kernarg_segment_align: 8
    .kernarg_segment_size: 80
    .language:       OpenCL C
    .language_version:
      - 2
      - 0
    .max_flat_workgroup_size: 256
    .name:           _ZN7rocprim17ROCPRIM_400000_NS6detail17trampoline_kernelINS0_14default_configENS1_36segmented_radix_sort_config_selectorIllEEZNS1_25segmented_radix_sort_implIS3_Lb1EPKlPlS8_S9_N2at6native12_GLOBAL__N_18offset_tEEE10hipError_tPvRmT1_PNSt15iterator_traitsISH_E10value_typeET2_T3_PNSI_ISN_E10value_typeET4_jRbjT5_ST_jjP12ihipStream_tbEUlT_E2_NS1_11comp_targetILNS1_3genE0ELNS1_11target_archE4294967295ELNS1_3gpuE0ELNS1_3repE0EEENS1_30default_config_static_selectorELNS0_4arch9wavefront6targetE1EEEvSH_
    .private_segment_fixed_size: 0
    .sgpr_count:     4
    .sgpr_spill_count: 0
    .symbol:         _ZN7rocprim17ROCPRIM_400000_NS6detail17trampoline_kernelINS0_14default_configENS1_36segmented_radix_sort_config_selectorIllEEZNS1_25segmented_radix_sort_implIS3_Lb1EPKlPlS8_S9_N2at6native12_GLOBAL__N_18offset_tEEE10hipError_tPvRmT1_PNSt15iterator_traitsISH_E10value_typeET2_T3_PNSI_ISN_E10value_typeET4_jRbjT5_ST_jjP12ihipStream_tbEUlT_E2_NS1_11comp_targetILNS1_3genE0ELNS1_11target_archE4294967295ELNS1_3gpuE0ELNS1_3repE0EEENS1_30default_config_static_selectorELNS0_4arch9wavefront6targetE1EEEvSH_.kd
    .uniform_work_group_size: 1
    .uses_dynamic_stack: false
    .vgpr_count:     0
    .vgpr_spill_count: 0
    .wavefront_size: 64
  - .agpr_count:     0
    .args:
      - .offset:         0
        .size:           80
        .value_kind:     by_value
    .group_segment_fixed_size: 0
    .kernarg_segment_align: 8
    .kernarg_segment_size: 80
    .language:       OpenCL C
    .language_version:
      - 2
      - 0
    .max_flat_workgroup_size: 256
    .name:           _ZN7rocprim17ROCPRIM_400000_NS6detail17trampoline_kernelINS0_14default_configENS1_36segmented_radix_sort_config_selectorIllEEZNS1_25segmented_radix_sort_implIS3_Lb1EPKlPlS8_S9_N2at6native12_GLOBAL__N_18offset_tEEE10hipError_tPvRmT1_PNSt15iterator_traitsISH_E10value_typeET2_T3_PNSI_ISN_E10value_typeET4_jRbjT5_ST_jjP12ihipStream_tbEUlT_E2_NS1_11comp_targetILNS1_3genE5ELNS1_11target_archE942ELNS1_3gpuE9ELNS1_3repE0EEENS1_30default_config_static_selectorELNS0_4arch9wavefront6targetE1EEEvSH_
    .private_segment_fixed_size: 0
    .sgpr_count:     4
    .sgpr_spill_count: 0
    .symbol:         _ZN7rocprim17ROCPRIM_400000_NS6detail17trampoline_kernelINS0_14default_configENS1_36segmented_radix_sort_config_selectorIllEEZNS1_25segmented_radix_sort_implIS3_Lb1EPKlPlS8_S9_N2at6native12_GLOBAL__N_18offset_tEEE10hipError_tPvRmT1_PNSt15iterator_traitsISH_E10value_typeET2_T3_PNSI_ISN_E10value_typeET4_jRbjT5_ST_jjP12ihipStream_tbEUlT_E2_NS1_11comp_targetILNS1_3genE5ELNS1_11target_archE942ELNS1_3gpuE9ELNS1_3repE0EEENS1_30default_config_static_selectorELNS0_4arch9wavefront6targetE1EEEvSH_.kd
    .uniform_work_group_size: 1
    .uses_dynamic_stack: false
    .vgpr_count:     0
    .vgpr_spill_count: 0
    .wavefront_size: 64
  - .agpr_count:     32
    .args:
      - .offset:         0
        .size:           80
        .value_kind:     by_value
      - .offset:         80
        .size:           4
        .value_kind:     hidden_block_count_x
      - .offset:         84
        .size:           4
        .value_kind:     hidden_block_count_y
      - .offset:         88
        .size:           4
        .value_kind:     hidden_block_count_z
      - .offset:         92
        .size:           2
        .value_kind:     hidden_group_size_x
      - .offset:         94
        .size:           2
        .value_kind:     hidden_group_size_y
      - .offset:         96
        .size:           2
        .value_kind:     hidden_group_size_z
      - .offset:         98
        .size:           2
        .value_kind:     hidden_remainder_x
      - .offset:         100
        .size:           2
        .value_kind:     hidden_remainder_y
      - .offset:         102
        .size:           2
        .value_kind:     hidden_remainder_z
      - .offset:         120
        .size:           8
        .value_kind:     hidden_global_offset_x
      - .offset:         128
        .size:           8
        .value_kind:     hidden_global_offset_y
      - .offset:         136
        .size:           8
        .value_kind:     hidden_global_offset_z
      - .offset:         144
        .size:           2
        .value_kind:     hidden_grid_dims
      - .offset:         160
        .size:           8
        .value_kind:     hidden_hostcall_buffer
      - .offset:         168
        .size:           8
        .value_kind:     hidden_multigrid_sync_arg
      - .offset:         176
        .size:           8
        .value_kind:     hidden_heap_v1
      - .offset:         184
        .size:           8
        .value_kind:     hidden_default_queue
      - .offset:         192
        .size:           8
        .value_kind:     hidden_completion_action
      - .offset:         280
        .size:           8
        .value_kind:     hidden_queue_ptr
    .group_segment_fixed_size: 33808
    .kernarg_segment_align: 8
    .kernarg_segment_size: 336
    .language:       OpenCL C
    .language_version:
      - 2
      - 0
    .max_flat_workgroup_size: 256
    .name:           _ZN7rocprim17ROCPRIM_400000_NS6detail17trampoline_kernelINS0_14default_configENS1_36segmented_radix_sort_config_selectorIllEEZNS1_25segmented_radix_sort_implIS3_Lb1EPKlPlS8_S9_N2at6native12_GLOBAL__N_18offset_tEEE10hipError_tPvRmT1_PNSt15iterator_traitsISH_E10value_typeET2_T3_PNSI_ISN_E10value_typeET4_jRbjT5_ST_jjP12ihipStream_tbEUlT_E2_NS1_11comp_targetILNS1_3genE4ELNS1_11target_archE910ELNS1_3gpuE8ELNS1_3repE0EEENS1_30default_config_static_selectorELNS0_4arch9wavefront6targetE1EEEvSH_
    .private_segment_fixed_size: 128
    .sgpr_count:     106
    .sgpr_spill_count: 7
    .symbol:         _ZN7rocprim17ROCPRIM_400000_NS6detail17trampoline_kernelINS0_14default_configENS1_36segmented_radix_sort_config_selectorIllEEZNS1_25segmented_radix_sort_implIS3_Lb1EPKlPlS8_S9_N2at6native12_GLOBAL__N_18offset_tEEE10hipError_tPvRmT1_PNSt15iterator_traitsISH_E10value_typeET2_T3_PNSI_ISN_E10value_typeET4_jRbjT5_ST_jjP12ihipStream_tbEUlT_E2_NS1_11comp_targetILNS1_3genE4ELNS1_11target_archE910ELNS1_3gpuE8ELNS1_3repE0EEENS1_30default_config_static_selectorELNS0_4arch9wavefront6targetE1EEEvSH_.kd
    .uniform_work_group_size: 1
    .uses_dynamic_stack: false
    .vgpr_count:     280
    .vgpr_spill_count: 0
    .wavefront_size: 64
  - .agpr_count:     0
    .args:
      - .offset:         0
        .size:           80
        .value_kind:     by_value
    .group_segment_fixed_size: 0
    .kernarg_segment_align: 8
    .kernarg_segment_size: 80
    .language:       OpenCL C
    .language_version:
      - 2
      - 0
    .max_flat_workgroup_size: 256
    .name:           _ZN7rocprim17ROCPRIM_400000_NS6detail17trampoline_kernelINS0_14default_configENS1_36segmented_radix_sort_config_selectorIllEEZNS1_25segmented_radix_sort_implIS3_Lb1EPKlPlS8_S9_N2at6native12_GLOBAL__N_18offset_tEEE10hipError_tPvRmT1_PNSt15iterator_traitsISH_E10value_typeET2_T3_PNSI_ISN_E10value_typeET4_jRbjT5_ST_jjP12ihipStream_tbEUlT_E2_NS1_11comp_targetILNS1_3genE3ELNS1_11target_archE908ELNS1_3gpuE7ELNS1_3repE0EEENS1_30default_config_static_selectorELNS0_4arch9wavefront6targetE1EEEvSH_
    .private_segment_fixed_size: 0
    .sgpr_count:     4
    .sgpr_spill_count: 0
    .symbol:         _ZN7rocprim17ROCPRIM_400000_NS6detail17trampoline_kernelINS0_14default_configENS1_36segmented_radix_sort_config_selectorIllEEZNS1_25segmented_radix_sort_implIS3_Lb1EPKlPlS8_S9_N2at6native12_GLOBAL__N_18offset_tEEE10hipError_tPvRmT1_PNSt15iterator_traitsISH_E10value_typeET2_T3_PNSI_ISN_E10value_typeET4_jRbjT5_ST_jjP12ihipStream_tbEUlT_E2_NS1_11comp_targetILNS1_3genE3ELNS1_11target_archE908ELNS1_3gpuE7ELNS1_3repE0EEENS1_30default_config_static_selectorELNS0_4arch9wavefront6targetE1EEEvSH_.kd
    .uniform_work_group_size: 1
    .uses_dynamic_stack: false
    .vgpr_count:     0
    .vgpr_spill_count: 0
    .wavefront_size: 64
  - .agpr_count:     0
    .args:
      - .offset:         0
        .size:           80
        .value_kind:     by_value
    .group_segment_fixed_size: 0
    .kernarg_segment_align: 8
    .kernarg_segment_size: 80
    .language:       OpenCL C
    .language_version:
      - 2
      - 0
    .max_flat_workgroup_size: 256
    .name:           _ZN7rocprim17ROCPRIM_400000_NS6detail17trampoline_kernelINS0_14default_configENS1_36segmented_radix_sort_config_selectorIllEEZNS1_25segmented_radix_sort_implIS3_Lb1EPKlPlS8_S9_N2at6native12_GLOBAL__N_18offset_tEEE10hipError_tPvRmT1_PNSt15iterator_traitsISH_E10value_typeET2_T3_PNSI_ISN_E10value_typeET4_jRbjT5_ST_jjP12ihipStream_tbEUlT_E2_NS1_11comp_targetILNS1_3genE2ELNS1_11target_archE906ELNS1_3gpuE6ELNS1_3repE0EEENS1_30default_config_static_selectorELNS0_4arch9wavefront6targetE1EEEvSH_
    .private_segment_fixed_size: 0
    .sgpr_count:     4
    .sgpr_spill_count: 0
    .symbol:         _ZN7rocprim17ROCPRIM_400000_NS6detail17trampoline_kernelINS0_14default_configENS1_36segmented_radix_sort_config_selectorIllEEZNS1_25segmented_radix_sort_implIS3_Lb1EPKlPlS8_S9_N2at6native12_GLOBAL__N_18offset_tEEE10hipError_tPvRmT1_PNSt15iterator_traitsISH_E10value_typeET2_T3_PNSI_ISN_E10value_typeET4_jRbjT5_ST_jjP12ihipStream_tbEUlT_E2_NS1_11comp_targetILNS1_3genE2ELNS1_11target_archE906ELNS1_3gpuE6ELNS1_3repE0EEENS1_30default_config_static_selectorELNS0_4arch9wavefront6targetE1EEEvSH_.kd
    .uniform_work_group_size: 1
    .uses_dynamic_stack: false
    .vgpr_count:     0
    .vgpr_spill_count: 0
    .wavefront_size: 64
  - .agpr_count:     0
    .args:
      - .offset:         0
        .size:           80
        .value_kind:     by_value
    .group_segment_fixed_size: 0
    .kernarg_segment_align: 8
    .kernarg_segment_size: 80
    .language:       OpenCL C
    .language_version:
      - 2
      - 0
    .max_flat_workgroup_size: 256
    .name:           _ZN7rocprim17ROCPRIM_400000_NS6detail17trampoline_kernelINS0_14default_configENS1_36segmented_radix_sort_config_selectorIllEEZNS1_25segmented_radix_sort_implIS3_Lb1EPKlPlS8_S9_N2at6native12_GLOBAL__N_18offset_tEEE10hipError_tPvRmT1_PNSt15iterator_traitsISH_E10value_typeET2_T3_PNSI_ISN_E10value_typeET4_jRbjT5_ST_jjP12ihipStream_tbEUlT_E2_NS1_11comp_targetILNS1_3genE10ELNS1_11target_archE1201ELNS1_3gpuE5ELNS1_3repE0EEENS1_30default_config_static_selectorELNS0_4arch9wavefront6targetE1EEEvSH_
    .private_segment_fixed_size: 0
    .sgpr_count:     4
    .sgpr_spill_count: 0
    .symbol:         _ZN7rocprim17ROCPRIM_400000_NS6detail17trampoline_kernelINS0_14default_configENS1_36segmented_radix_sort_config_selectorIllEEZNS1_25segmented_radix_sort_implIS3_Lb1EPKlPlS8_S9_N2at6native12_GLOBAL__N_18offset_tEEE10hipError_tPvRmT1_PNSt15iterator_traitsISH_E10value_typeET2_T3_PNSI_ISN_E10value_typeET4_jRbjT5_ST_jjP12ihipStream_tbEUlT_E2_NS1_11comp_targetILNS1_3genE10ELNS1_11target_archE1201ELNS1_3gpuE5ELNS1_3repE0EEENS1_30default_config_static_selectorELNS0_4arch9wavefront6targetE1EEEvSH_.kd
    .uniform_work_group_size: 1
    .uses_dynamic_stack: false
    .vgpr_count:     0
    .vgpr_spill_count: 0
    .wavefront_size: 64
  - .agpr_count:     0
    .args:
      - .offset:         0
        .size:           80
        .value_kind:     by_value
    .group_segment_fixed_size: 0
    .kernarg_segment_align: 8
    .kernarg_segment_size: 80
    .language:       OpenCL C
    .language_version:
      - 2
      - 0
    .max_flat_workgroup_size: 128
    .name:           _ZN7rocprim17ROCPRIM_400000_NS6detail17trampoline_kernelINS0_14default_configENS1_36segmented_radix_sort_config_selectorIllEEZNS1_25segmented_radix_sort_implIS3_Lb1EPKlPlS8_S9_N2at6native12_GLOBAL__N_18offset_tEEE10hipError_tPvRmT1_PNSt15iterator_traitsISH_E10value_typeET2_T3_PNSI_ISN_E10value_typeET4_jRbjT5_ST_jjP12ihipStream_tbEUlT_E2_NS1_11comp_targetILNS1_3genE10ELNS1_11target_archE1200ELNS1_3gpuE4ELNS1_3repE0EEENS1_30default_config_static_selectorELNS0_4arch9wavefront6targetE1EEEvSH_
    .private_segment_fixed_size: 0
    .sgpr_count:     4
    .sgpr_spill_count: 0
    .symbol:         _ZN7rocprim17ROCPRIM_400000_NS6detail17trampoline_kernelINS0_14default_configENS1_36segmented_radix_sort_config_selectorIllEEZNS1_25segmented_radix_sort_implIS3_Lb1EPKlPlS8_S9_N2at6native12_GLOBAL__N_18offset_tEEE10hipError_tPvRmT1_PNSt15iterator_traitsISH_E10value_typeET2_T3_PNSI_ISN_E10value_typeET4_jRbjT5_ST_jjP12ihipStream_tbEUlT_E2_NS1_11comp_targetILNS1_3genE10ELNS1_11target_archE1200ELNS1_3gpuE4ELNS1_3repE0EEENS1_30default_config_static_selectorELNS0_4arch9wavefront6targetE1EEEvSH_.kd
    .uniform_work_group_size: 1
    .uses_dynamic_stack: false
    .vgpr_count:     0
    .vgpr_spill_count: 0
    .wavefront_size: 64
  - .agpr_count:     0
    .args:
      - .offset:         0
        .size:           80
        .value_kind:     by_value
    .group_segment_fixed_size: 0
    .kernarg_segment_align: 8
    .kernarg_segment_size: 80
    .language:       OpenCL C
    .language_version:
      - 2
      - 0
    .max_flat_workgroup_size: 256
    .name:           _ZN7rocprim17ROCPRIM_400000_NS6detail17trampoline_kernelINS0_14default_configENS1_36segmented_radix_sort_config_selectorIllEEZNS1_25segmented_radix_sort_implIS3_Lb1EPKlPlS8_S9_N2at6native12_GLOBAL__N_18offset_tEEE10hipError_tPvRmT1_PNSt15iterator_traitsISH_E10value_typeET2_T3_PNSI_ISN_E10value_typeET4_jRbjT5_ST_jjP12ihipStream_tbEUlT_E2_NS1_11comp_targetILNS1_3genE9ELNS1_11target_archE1100ELNS1_3gpuE3ELNS1_3repE0EEENS1_30default_config_static_selectorELNS0_4arch9wavefront6targetE1EEEvSH_
    .private_segment_fixed_size: 0
    .sgpr_count:     4
    .sgpr_spill_count: 0
    .symbol:         _ZN7rocprim17ROCPRIM_400000_NS6detail17trampoline_kernelINS0_14default_configENS1_36segmented_radix_sort_config_selectorIllEEZNS1_25segmented_radix_sort_implIS3_Lb1EPKlPlS8_S9_N2at6native12_GLOBAL__N_18offset_tEEE10hipError_tPvRmT1_PNSt15iterator_traitsISH_E10value_typeET2_T3_PNSI_ISN_E10value_typeET4_jRbjT5_ST_jjP12ihipStream_tbEUlT_E2_NS1_11comp_targetILNS1_3genE9ELNS1_11target_archE1100ELNS1_3gpuE3ELNS1_3repE0EEENS1_30default_config_static_selectorELNS0_4arch9wavefront6targetE1EEEvSH_.kd
    .uniform_work_group_size: 1
    .uses_dynamic_stack: false
    .vgpr_count:     0
    .vgpr_spill_count: 0
    .wavefront_size: 64
  - .agpr_count:     0
    .args:
      - .offset:         0
        .size:           80
        .value_kind:     by_value
    .group_segment_fixed_size: 0
    .kernarg_segment_align: 8
    .kernarg_segment_size: 80
    .language:       OpenCL C
    .language_version:
      - 2
      - 0
    .max_flat_workgroup_size: 256
    .name:           _ZN7rocprim17ROCPRIM_400000_NS6detail17trampoline_kernelINS0_14default_configENS1_36segmented_radix_sort_config_selectorIllEEZNS1_25segmented_radix_sort_implIS3_Lb1EPKlPlS8_S9_N2at6native12_GLOBAL__N_18offset_tEEE10hipError_tPvRmT1_PNSt15iterator_traitsISH_E10value_typeET2_T3_PNSI_ISN_E10value_typeET4_jRbjT5_ST_jjP12ihipStream_tbEUlT_E2_NS1_11comp_targetILNS1_3genE8ELNS1_11target_archE1030ELNS1_3gpuE2ELNS1_3repE0EEENS1_30default_config_static_selectorELNS0_4arch9wavefront6targetE1EEEvSH_
    .private_segment_fixed_size: 0
    .sgpr_count:     4
    .sgpr_spill_count: 0
    .symbol:         _ZN7rocprim17ROCPRIM_400000_NS6detail17trampoline_kernelINS0_14default_configENS1_36segmented_radix_sort_config_selectorIllEEZNS1_25segmented_radix_sort_implIS3_Lb1EPKlPlS8_S9_N2at6native12_GLOBAL__N_18offset_tEEE10hipError_tPvRmT1_PNSt15iterator_traitsISH_E10value_typeET2_T3_PNSI_ISN_E10value_typeET4_jRbjT5_ST_jjP12ihipStream_tbEUlT_E2_NS1_11comp_targetILNS1_3genE8ELNS1_11target_archE1030ELNS1_3gpuE2ELNS1_3repE0EEENS1_30default_config_static_selectorELNS0_4arch9wavefront6targetE1EEEvSH_.kd
    .uniform_work_group_size: 1
    .uses_dynamic_stack: false
    .vgpr_count:     0
    .vgpr_spill_count: 0
    .wavefront_size: 64
  - .agpr_count:     0
    .args:
      - .offset:         0
        .size:           176
        .value_kind:     by_value
    .group_segment_fixed_size: 0
    .kernarg_segment_align: 8
    .kernarg_segment_size: 176
    .language:       OpenCL C
    .language_version:
      - 2
      - 0
    .max_flat_workgroup_size: 256
    .name:           _ZN7rocprim17ROCPRIM_400000_NS6detail17trampoline_kernelINS0_13select_configILj256ELj13ELNS0_17block_load_methodE3ELS4_3ELS4_3ELNS0_20block_scan_algorithmE0ELj4294967295EEENS1_25partition_config_selectorILNS1_17partition_subalgoE4EjNS0_10empty_typeEbEEZZNS1_14partition_implILS8_4ELb0ES6_15HIP_vector_typeIjLj2EENS0_17counting_iteratorIjlEEPS9_SG_NS0_5tupleIJPjSI_NS0_16reverse_iteratorISI_EEEEENSH_IJSG_SG_SG_EEES9_SI_JZNS1_25segmented_radix_sort_implINS0_14default_configELb0EPKlPlSQ_SR_N2at6native12_GLOBAL__N_18offset_tEEE10hipError_tPvRmT1_PNSt15iterator_traitsISZ_E10value_typeET2_T3_PNS10_IS15_E10value_typeET4_jRbjT5_S1B_jjP12ihipStream_tbEUljE_ZNSN_ISO_Lb0ESQ_SR_SQ_SR_SV_EESW_SX_SY_SZ_S13_S14_S15_S18_S19_jS1A_jS1B_S1B_jjS1D_bEUljE0_EEESW_SX_SY_S15_S19_S1B_T6_T7_T9_mT8_S1D_bDpT10_ENKUlT_T0_E_clISt17integral_constantIbLb0EES1R_EEDaS1M_S1N_EUlS1M_E_NS1_11comp_targetILNS1_3genE0ELNS1_11target_archE4294967295ELNS1_3gpuE0ELNS1_3repE0EEENS1_30default_config_static_selectorELNS0_4arch9wavefront6targetE1EEEvSZ_
    .private_segment_fixed_size: 0
    .sgpr_count:     4
    .sgpr_spill_count: 0
    .symbol:         _ZN7rocprim17ROCPRIM_400000_NS6detail17trampoline_kernelINS0_13select_configILj256ELj13ELNS0_17block_load_methodE3ELS4_3ELS4_3ELNS0_20block_scan_algorithmE0ELj4294967295EEENS1_25partition_config_selectorILNS1_17partition_subalgoE4EjNS0_10empty_typeEbEEZZNS1_14partition_implILS8_4ELb0ES6_15HIP_vector_typeIjLj2EENS0_17counting_iteratorIjlEEPS9_SG_NS0_5tupleIJPjSI_NS0_16reverse_iteratorISI_EEEEENSH_IJSG_SG_SG_EEES9_SI_JZNS1_25segmented_radix_sort_implINS0_14default_configELb0EPKlPlSQ_SR_N2at6native12_GLOBAL__N_18offset_tEEE10hipError_tPvRmT1_PNSt15iterator_traitsISZ_E10value_typeET2_T3_PNS10_IS15_E10value_typeET4_jRbjT5_S1B_jjP12ihipStream_tbEUljE_ZNSN_ISO_Lb0ESQ_SR_SQ_SR_SV_EESW_SX_SY_SZ_S13_S14_S15_S18_S19_jS1A_jS1B_S1B_jjS1D_bEUljE0_EEESW_SX_SY_S15_S19_S1B_T6_T7_T9_mT8_S1D_bDpT10_ENKUlT_T0_E_clISt17integral_constantIbLb0EES1R_EEDaS1M_S1N_EUlS1M_E_NS1_11comp_targetILNS1_3genE0ELNS1_11target_archE4294967295ELNS1_3gpuE0ELNS1_3repE0EEENS1_30default_config_static_selectorELNS0_4arch9wavefront6targetE1EEEvSZ_.kd
    .uniform_work_group_size: 1
    .uses_dynamic_stack: false
    .vgpr_count:     0
    .vgpr_spill_count: 0
    .wavefront_size: 64
  - .agpr_count:     0
    .args:
      - .offset:         0
        .size:           176
        .value_kind:     by_value
    .group_segment_fixed_size: 0
    .kernarg_segment_align: 8
    .kernarg_segment_size: 176
    .language:       OpenCL C
    .language_version:
      - 2
      - 0
    .max_flat_workgroup_size: 256
    .name:           _ZN7rocprim17ROCPRIM_400000_NS6detail17trampoline_kernelINS0_13select_configILj256ELj13ELNS0_17block_load_methodE3ELS4_3ELS4_3ELNS0_20block_scan_algorithmE0ELj4294967295EEENS1_25partition_config_selectorILNS1_17partition_subalgoE4EjNS0_10empty_typeEbEEZZNS1_14partition_implILS8_4ELb0ES6_15HIP_vector_typeIjLj2EENS0_17counting_iteratorIjlEEPS9_SG_NS0_5tupleIJPjSI_NS0_16reverse_iteratorISI_EEEEENSH_IJSG_SG_SG_EEES9_SI_JZNS1_25segmented_radix_sort_implINS0_14default_configELb0EPKlPlSQ_SR_N2at6native12_GLOBAL__N_18offset_tEEE10hipError_tPvRmT1_PNSt15iterator_traitsISZ_E10value_typeET2_T3_PNS10_IS15_E10value_typeET4_jRbjT5_S1B_jjP12ihipStream_tbEUljE_ZNSN_ISO_Lb0ESQ_SR_SQ_SR_SV_EESW_SX_SY_SZ_S13_S14_S15_S18_S19_jS1A_jS1B_S1B_jjS1D_bEUljE0_EEESW_SX_SY_S15_S19_S1B_T6_T7_T9_mT8_S1D_bDpT10_ENKUlT_T0_E_clISt17integral_constantIbLb0EES1R_EEDaS1M_S1N_EUlS1M_E_NS1_11comp_targetILNS1_3genE5ELNS1_11target_archE942ELNS1_3gpuE9ELNS1_3repE0EEENS1_30default_config_static_selectorELNS0_4arch9wavefront6targetE1EEEvSZ_
    .private_segment_fixed_size: 0
    .sgpr_count:     4
    .sgpr_spill_count: 0
    .symbol:         _ZN7rocprim17ROCPRIM_400000_NS6detail17trampoline_kernelINS0_13select_configILj256ELj13ELNS0_17block_load_methodE3ELS4_3ELS4_3ELNS0_20block_scan_algorithmE0ELj4294967295EEENS1_25partition_config_selectorILNS1_17partition_subalgoE4EjNS0_10empty_typeEbEEZZNS1_14partition_implILS8_4ELb0ES6_15HIP_vector_typeIjLj2EENS0_17counting_iteratorIjlEEPS9_SG_NS0_5tupleIJPjSI_NS0_16reverse_iteratorISI_EEEEENSH_IJSG_SG_SG_EEES9_SI_JZNS1_25segmented_radix_sort_implINS0_14default_configELb0EPKlPlSQ_SR_N2at6native12_GLOBAL__N_18offset_tEEE10hipError_tPvRmT1_PNSt15iterator_traitsISZ_E10value_typeET2_T3_PNS10_IS15_E10value_typeET4_jRbjT5_S1B_jjP12ihipStream_tbEUljE_ZNSN_ISO_Lb0ESQ_SR_SQ_SR_SV_EESW_SX_SY_SZ_S13_S14_S15_S18_S19_jS1A_jS1B_S1B_jjS1D_bEUljE0_EEESW_SX_SY_S15_S19_S1B_T6_T7_T9_mT8_S1D_bDpT10_ENKUlT_T0_E_clISt17integral_constantIbLb0EES1R_EEDaS1M_S1N_EUlS1M_E_NS1_11comp_targetILNS1_3genE5ELNS1_11target_archE942ELNS1_3gpuE9ELNS1_3repE0EEENS1_30default_config_static_selectorELNS0_4arch9wavefront6targetE1EEEvSZ_.kd
    .uniform_work_group_size: 1
    .uses_dynamic_stack: false
    .vgpr_count:     0
    .vgpr_spill_count: 0
    .wavefront_size: 64
  - .agpr_count:     0
    .args:
      - .offset:         0
        .size:           176
        .value_kind:     by_value
    .group_segment_fixed_size: 13340
    .kernarg_segment_align: 8
    .kernarg_segment_size: 176
    .language:       OpenCL C
    .language_version:
      - 2
      - 0
    .max_flat_workgroup_size: 256
    .name:           _ZN7rocprim17ROCPRIM_400000_NS6detail17trampoline_kernelINS0_13select_configILj256ELj13ELNS0_17block_load_methodE3ELS4_3ELS4_3ELNS0_20block_scan_algorithmE0ELj4294967295EEENS1_25partition_config_selectorILNS1_17partition_subalgoE4EjNS0_10empty_typeEbEEZZNS1_14partition_implILS8_4ELb0ES6_15HIP_vector_typeIjLj2EENS0_17counting_iteratorIjlEEPS9_SG_NS0_5tupleIJPjSI_NS0_16reverse_iteratorISI_EEEEENSH_IJSG_SG_SG_EEES9_SI_JZNS1_25segmented_radix_sort_implINS0_14default_configELb0EPKlPlSQ_SR_N2at6native12_GLOBAL__N_18offset_tEEE10hipError_tPvRmT1_PNSt15iterator_traitsISZ_E10value_typeET2_T3_PNS10_IS15_E10value_typeET4_jRbjT5_S1B_jjP12ihipStream_tbEUljE_ZNSN_ISO_Lb0ESQ_SR_SQ_SR_SV_EESW_SX_SY_SZ_S13_S14_S15_S18_S19_jS1A_jS1B_S1B_jjS1D_bEUljE0_EEESW_SX_SY_S15_S19_S1B_T6_T7_T9_mT8_S1D_bDpT10_ENKUlT_T0_E_clISt17integral_constantIbLb0EES1R_EEDaS1M_S1N_EUlS1M_E_NS1_11comp_targetILNS1_3genE4ELNS1_11target_archE910ELNS1_3gpuE8ELNS1_3repE0EEENS1_30default_config_static_selectorELNS0_4arch9wavefront6targetE1EEEvSZ_
    .private_segment_fixed_size: 0
    .sgpr_count:     94
    .sgpr_spill_count: 0
    .symbol:         _ZN7rocprim17ROCPRIM_400000_NS6detail17trampoline_kernelINS0_13select_configILj256ELj13ELNS0_17block_load_methodE3ELS4_3ELS4_3ELNS0_20block_scan_algorithmE0ELj4294967295EEENS1_25partition_config_selectorILNS1_17partition_subalgoE4EjNS0_10empty_typeEbEEZZNS1_14partition_implILS8_4ELb0ES6_15HIP_vector_typeIjLj2EENS0_17counting_iteratorIjlEEPS9_SG_NS0_5tupleIJPjSI_NS0_16reverse_iteratorISI_EEEEENSH_IJSG_SG_SG_EEES9_SI_JZNS1_25segmented_radix_sort_implINS0_14default_configELb0EPKlPlSQ_SR_N2at6native12_GLOBAL__N_18offset_tEEE10hipError_tPvRmT1_PNSt15iterator_traitsISZ_E10value_typeET2_T3_PNS10_IS15_E10value_typeET4_jRbjT5_S1B_jjP12ihipStream_tbEUljE_ZNSN_ISO_Lb0ESQ_SR_SQ_SR_SV_EESW_SX_SY_SZ_S13_S14_S15_S18_S19_jS1A_jS1B_S1B_jjS1D_bEUljE0_EEESW_SX_SY_S15_S19_S1B_T6_T7_T9_mT8_S1D_bDpT10_ENKUlT_T0_E_clISt17integral_constantIbLb0EES1R_EEDaS1M_S1N_EUlS1M_E_NS1_11comp_targetILNS1_3genE4ELNS1_11target_archE910ELNS1_3gpuE8ELNS1_3repE0EEENS1_30default_config_static_selectorELNS0_4arch9wavefront6targetE1EEEvSZ_.kd
    .uniform_work_group_size: 1
    .uses_dynamic_stack: false
    .vgpr_count:     102
    .vgpr_spill_count: 0
    .wavefront_size: 64
  - .agpr_count:     0
    .args:
      - .offset:         0
        .size:           176
        .value_kind:     by_value
    .group_segment_fixed_size: 0
    .kernarg_segment_align: 8
    .kernarg_segment_size: 176
    .language:       OpenCL C
    .language_version:
      - 2
      - 0
    .max_flat_workgroup_size: 256
    .name:           _ZN7rocprim17ROCPRIM_400000_NS6detail17trampoline_kernelINS0_13select_configILj256ELj13ELNS0_17block_load_methodE3ELS4_3ELS4_3ELNS0_20block_scan_algorithmE0ELj4294967295EEENS1_25partition_config_selectorILNS1_17partition_subalgoE4EjNS0_10empty_typeEbEEZZNS1_14partition_implILS8_4ELb0ES6_15HIP_vector_typeIjLj2EENS0_17counting_iteratorIjlEEPS9_SG_NS0_5tupleIJPjSI_NS0_16reverse_iteratorISI_EEEEENSH_IJSG_SG_SG_EEES9_SI_JZNS1_25segmented_radix_sort_implINS0_14default_configELb0EPKlPlSQ_SR_N2at6native12_GLOBAL__N_18offset_tEEE10hipError_tPvRmT1_PNSt15iterator_traitsISZ_E10value_typeET2_T3_PNS10_IS15_E10value_typeET4_jRbjT5_S1B_jjP12ihipStream_tbEUljE_ZNSN_ISO_Lb0ESQ_SR_SQ_SR_SV_EESW_SX_SY_SZ_S13_S14_S15_S18_S19_jS1A_jS1B_S1B_jjS1D_bEUljE0_EEESW_SX_SY_S15_S19_S1B_T6_T7_T9_mT8_S1D_bDpT10_ENKUlT_T0_E_clISt17integral_constantIbLb0EES1R_EEDaS1M_S1N_EUlS1M_E_NS1_11comp_targetILNS1_3genE3ELNS1_11target_archE908ELNS1_3gpuE7ELNS1_3repE0EEENS1_30default_config_static_selectorELNS0_4arch9wavefront6targetE1EEEvSZ_
    .private_segment_fixed_size: 0
    .sgpr_count:     4
    .sgpr_spill_count: 0
    .symbol:         _ZN7rocprim17ROCPRIM_400000_NS6detail17trampoline_kernelINS0_13select_configILj256ELj13ELNS0_17block_load_methodE3ELS4_3ELS4_3ELNS0_20block_scan_algorithmE0ELj4294967295EEENS1_25partition_config_selectorILNS1_17partition_subalgoE4EjNS0_10empty_typeEbEEZZNS1_14partition_implILS8_4ELb0ES6_15HIP_vector_typeIjLj2EENS0_17counting_iteratorIjlEEPS9_SG_NS0_5tupleIJPjSI_NS0_16reverse_iteratorISI_EEEEENSH_IJSG_SG_SG_EEES9_SI_JZNS1_25segmented_radix_sort_implINS0_14default_configELb0EPKlPlSQ_SR_N2at6native12_GLOBAL__N_18offset_tEEE10hipError_tPvRmT1_PNSt15iterator_traitsISZ_E10value_typeET2_T3_PNS10_IS15_E10value_typeET4_jRbjT5_S1B_jjP12ihipStream_tbEUljE_ZNSN_ISO_Lb0ESQ_SR_SQ_SR_SV_EESW_SX_SY_SZ_S13_S14_S15_S18_S19_jS1A_jS1B_S1B_jjS1D_bEUljE0_EEESW_SX_SY_S15_S19_S1B_T6_T7_T9_mT8_S1D_bDpT10_ENKUlT_T0_E_clISt17integral_constantIbLb0EES1R_EEDaS1M_S1N_EUlS1M_E_NS1_11comp_targetILNS1_3genE3ELNS1_11target_archE908ELNS1_3gpuE7ELNS1_3repE0EEENS1_30default_config_static_selectorELNS0_4arch9wavefront6targetE1EEEvSZ_.kd
    .uniform_work_group_size: 1
    .uses_dynamic_stack: false
    .vgpr_count:     0
    .vgpr_spill_count: 0
    .wavefront_size: 64
  - .agpr_count:     0
    .args:
      - .offset:         0
        .size:           176
        .value_kind:     by_value
    .group_segment_fixed_size: 0
    .kernarg_segment_align: 8
    .kernarg_segment_size: 176
    .language:       OpenCL C
    .language_version:
      - 2
      - 0
    .max_flat_workgroup_size: 256
    .name:           _ZN7rocprim17ROCPRIM_400000_NS6detail17trampoline_kernelINS0_13select_configILj256ELj13ELNS0_17block_load_methodE3ELS4_3ELS4_3ELNS0_20block_scan_algorithmE0ELj4294967295EEENS1_25partition_config_selectorILNS1_17partition_subalgoE4EjNS0_10empty_typeEbEEZZNS1_14partition_implILS8_4ELb0ES6_15HIP_vector_typeIjLj2EENS0_17counting_iteratorIjlEEPS9_SG_NS0_5tupleIJPjSI_NS0_16reverse_iteratorISI_EEEEENSH_IJSG_SG_SG_EEES9_SI_JZNS1_25segmented_radix_sort_implINS0_14default_configELb0EPKlPlSQ_SR_N2at6native12_GLOBAL__N_18offset_tEEE10hipError_tPvRmT1_PNSt15iterator_traitsISZ_E10value_typeET2_T3_PNS10_IS15_E10value_typeET4_jRbjT5_S1B_jjP12ihipStream_tbEUljE_ZNSN_ISO_Lb0ESQ_SR_SQ_SR_SV_EESW_SX_SY_SZ_S13_S14_S15_S18_S19_jS1A_jS1B_S1B_jjS1D_bEUljE0_EEESW_SX_SY_S15_S19_S1B_T6_T7_T9_mT8_S1D_bDpT10_ENKUlT_T0_E_clISt17integral_constantIbLb0EES1R_EEDaS1M_S1N_EUlS1M_E_NS1_11comp_targetILNS1_3genE2ELNS1_11target_archE906ELNS1_3gpuE6ELNS1_3repE0EEENS1_30default_config_static_selectorELNS0_4arch9wavefront6targetE1EEEvSZ_
    .private_segment_fixed_size: 0
    .sgpr_count:     4
    .sgpr_spill_count: 0
    .symbol:         _ZN7rocprim17ROCPRIM_400000_NS6detail17trampoline_kernelINS0_13select_configILj256ELj13ELNS0_17block_load_methodE3ELS4_3ELS4_3ELNS0_20block_scan_algorithmE0ELj4294967295EEENS1_25partition_config_selectorILNS1_17partition_subalgoE4EjNS0_10empty_typeEbEEZZNS1_14partition_implILS8_4ELb0ES6_15HIP_vector_typeIjLj2EENS0_17counting_iteratorIjlEEPS9_SG_NS0_5tupleIJPjSI_NS0_16reverse_iteratorISI_EEEEENSH_IJSG_SG_SG_EEES9_SI_JZNS1_25segmented_radix_sort_implINS0_14default_configELb0EPKlPlSQ_SR_N2at6native12_GLOBAL__N_18offset_tEEE10hipError_tPvRmT1_PNSt15iterator_traitsISZ_E10value_typeET2_T3_PNS10_IS15_E10value_typeET4_jRbjT5_S1B_jjP12ihipStream_tbEUljE_ZNSN_ISO_Lb0ESQ_SR_SQ_SR_SV_EESW_SX_SY_SZ_S13_S14_S15_S18_S19_jS1A_jS1B_S1B_jjS1D_bEUljE0_EEESW_SX_SY_S15_S19_S1B_T6_T7_T9_mT8_S1D_bDpT10_ENKUlT_T0_E_clISt17integral_constantIbLb0EES1R_EEDaS1M_S1N_EUlS1M_E_NS1_11comp_targetILNS1_3genE2ELNS1_11target_archE906ELNS1_3gpuE6ELNS1_3repE0EEENS1_30default_config_static_selectorELNS0_4arch9wavefront6targetE1EEEvSZ_.kd
    .uniform_work_group_size: 1
    .uses_dynamic_stack: false
    .vgpr_count:     0
    .vgpr_spill_count: 0
    .wavefront_size: 64
  - .agpr_count:     0
    .args:
      - .offset:         0
        .size:           176
        .value_kind:     by_value
    .group_segment_fixed_size: 0
    .kernarg_segment_align: 8
    .kernarg_segment_size: 176
    .language:       OpenCL C
    .language_version:
      - 2
      - 0
    .max_flat_workgroup_size: 256
    .name:           _ZN7rocprim17ROCPRIM_400000_NS6detail17trampoline_kernelINS0_13select_configILj256ELj13ELNS0_17block_load_methodE3ELS4_3ELS4_3ELNS0_20block_scan_algorithmE0ELj4294967295EEENS1_25partition_config_selectorILNS1_17partition_subalgoE4EjNS0_10empty_typeEbEEZZNS1_14partition_implILS8_4ELb0ES6_15HIP_vector_typeIjLj2EENS0_17counting_iteratorIjlEEPS9_SG_NS0_5tupleIJPjSI_NS0_16reverse_iteratorISI_EEEEENSH_IJSG_SG_SG_EEES9_SI_JZNS1_25segmented_radix_sort_implINS0_14default_configELb0EPKlPlSQ_SR_N2at6native12_GLOBAL__N_18offset_tEEE10hipError_tPvRmT1_PNSt15iterator_traitsISZ_E10value_typeET2_T3_PNS10_IS15_E10value_typeET4_jRbjT5_S1B_jjP12ihipStream_tbEUljE_ZNSN_ISO_Lb0ESQ_SR_SQ_SR_SV_EESW_SX_SY_SZ_S13_S14_S15_S18_S19_jS1A_jS1B_S1B_jjS1D_bEUljE0_EEESW_SX_SY_S15_S19_S1B_T6_T7_T9_mT8_S1D_bDpT10_ENKUlT_T0_E_clISt17integral_constantIbLb0EES1R_EEDaS1M_S1N_EUlS1M_E_NS1_11comp_targetILNS1_3genE10ELNS1_11target_archE1200ELNS1_3gpuE4ELNS1_3repE0EEENS1_30default_config_static_selectorELNS0_4arch9wavefront6targetE1EEEvSZ_
    .private_segment_fixed_size: 0
    .sgpr_count:     4
    .sgpr_spill_count: 0
    .symbol:         _ZN7rocprim17ROCPRIM_400000_NS6detail17trampoline_kernelINS0_13select_configILj256ELj13ELNS0_17block_load_methodE3ELS4_3ELS4_3ELNS0_20block_scan_algorithmE0ELj4294967295EEENS1_25partition_config_selectorILNS1_17partition_subalgoE4EjNS0_10empty_typeEbEEZZNS1_14partition_implILS8_4ELb0ES6_15HIP_vector_typeIjLj2EENS0_17counting_iteratorIjlEEPS9_SG_NS0_5tupleIJPjSI_NS0_16reverse_iteratorISI_EEEEENSH_IJSG_SG_SG_EEES9_SI_JZNS1_25segmented_radix_sort_implINS0_14default_configELb0EPKlPlSQ_SR_N2at6native12_GLOBAL__N_18offset_tEEE10hipError_tPvRmT1_PNSt15iterator_traitsISZ_E10value_typeET2_T3_PNS10_IS15_E10value_typeET4_jRbjT5_S1B_jjP12ihipStream_tbEUljE_ZNSN_ISO_Lb0ESQ_SR_SQ_SR_SV_EESW_SX_SY_SZ_S13_S14_S15_S18_S19_jS1A_jS1B_S1B_jjS1D_bEUljE0_EEESW_SX_SY_S15_S19_S1B_T6_T7_T9_mT8_S1D_bDpT10_ENKUlT_T0_E_clISt17integral_constantIbLb0EES1R_EEDaS1M_S1N_EUlS1M_E_NS1_11comp_targetILNS1_3genE10ELNS1_11target_archE1200ELNS1_3gpuE4ELNS1_3repE0EEENS1_30default_config_static_selectorELNS0_4arch9wavefront6targetE1EEEvSZ_.kd
    .uniform_work_group_size: 1
    .uses_dynamic_stack: false
    .vgpr_count:     0
    .vgpr_spill_count: 0
    .wavefront_size: 64
  - .agpr_count:     0
    .args:
      - .offset:         0
        .size:           176
        .value_kind:     by_value
    .group_segment_fixed_size: 0
    .kernarg_segment_align: 8
    .kernarg_segment_size: 176
    .language:       OpenCL C
    .language_version:
      - 2
      - 0
    .max_flat_workgroup_size: 256
    .name:           _ZN7rocprim17ROCPRIM_400000_NS6detail17trampoline_kernelINS0_13select_configILj256ELj13ELNS0_17block_load_methodE3ELS4_3ELS4_3ELNS0_20block_scan_algorithmE0ELj4294967295EEENS1_25partition_config_selectorILNS1_17partition_subalgoE4EjNS0_10empty_typeEbEEZZNS1_14partition_implILS8_4ELb0ES6_15HIP_vector_typeIjLj2EENS0_17counting_iteratorIjlEEPS9_SG_NS0_5tupleIJPjSI_NS0_16reverse_iteratorISI_EEEEENSH_IJSG_SG_SG_EEES9_SI_JZNS1_25segmented_radix_sort_implINS0_14default_configELb0EPKlPlSQ_SR_N2at6native12_GLOBAL__N_18offset_tEEE10hipError_tPvRmT1_PNSt15iterator_traitsISZ_E10value_typeET2_T3_PNS10_IS15_E10value_typeET4_jRbjT5_S1B_jjP12ihipStream_tbEUljE_ZNSN_ISO_Lb0ESQ_SR_SQ_SR_SV_EESW_SX_SY_SZ_S13_S14_S15_S18_S19_jS1A_jS1B_S1B_jjS1D_bEUljE0_EEESW_SX_SY_S15_S19_S1B_T6_T7_T9_mT8_S1D_bDpT10_ENKUlT_T0_E_clISt17integral_constantIbLb0EES1R_EEDaS1M_S1N_EUlS1M_E_NS1_11comp_targetILNS1_3genE9ELNS1_11target_archE1100ELNS1_3gpuE3ELNS1_3repE0EEENS1_30default_config_static_selectorELNS0_4arch9wavefront6targetE1EEEvSZ_
    .private_segment_fixed_size: 0
    .sgpr_count:     4
    .sgpr_spill_count: 0
    .symbol:         _ZN7rocprim17ROCPRIM_400000_NS6detail17trampoline_kernelINS0_13select_configILj256ELj13ELNS0_17block_load_methodE3ELS4_3ELS4_3ELNS0_20block_scan_algorithmE0ELj4294967295EEENS1_25partition_config_selectorILNS1_17partition_subalgoE4EjNS0_10empty_typeEbEEZZNS1_14partition_implILS8_4ELb0ES6_15HIP_vector_typeIjLj2EENS0_17counting_iteratorIjlEEPS9_SG_NS0_5tupleIJPjSI_NS0_16reverse_iteratorISI_EEEEENSH_IJSG_SG_SG_EEES9_SI_JZNS1_25segmented_radix_sort_implINS0_14default_configELb0EPKlPlSQ_SR_N2at6native12_GLOBAL__N_18offset_tEEE10hipError_tPvRmT1_PNSt15iterator_traitsISZ_E10value_typeET2_T3_PNS10_IS15_E10value_typeET4_jRbjT5_S1B_jjP12ihipStream_tbEUljE_ZNSN_ISO_Lb0ESQ_SR_SQ_SR_SV_EESW_SX_SY_SZ_S13_S14_S15_S18_S19_jS1A_jS1B_S1B_jjS1D_bEUljE0_EEESW_SX_SY_S15_S19_S1B_T6_T7_T9_mT8_S1D_bDpT10_ENKUlT_T0_E_clISt17integral_constantIbLb0EES1R_EEDaS1M_S1N_EUlS1M_E_NS1_11comp_targetILNS1_3genE9ELNS1_11target_archE1100ELNS1_3gpuE3ELNS1_3repE0EEENS1_30default_config_static_selectorELNS0_4arch9wavefront6targetE1EEEvSZ_.kd
    .uniform_work_group_size: 1
    .uses_dynamic_stack: false
    .vgpr_count:     0
    .vgpr_spill_count: 0
    .wavefront_size: 64
  - .agpr_count:     0
    .args:
      - .offset:         0
        .size:           176
        .value_kind:     by_value
    .group_segment_fixed_size: 0
    .kernarg_segment_align: 8
    .kernarg_segment_size: 176
    .language:       OpenCL C
    .language_version:
      - 2
      - 0
    .max_flat_workgroup_size: 256
    .name:           _ZN7rocprim17ROCPRIM_400000_NS6detail17trampoline_kernelINS0_13select_configILj256ELj13ELNS0_17block_load_methodE3ELS4_3ELS4_3ELNS0_20block_scan_algorithmE0ELj4294967295EEENS1_25partition_config_selectorILNS1_17partition_subalgoE4EjNS0_10empty_typeEbEEZZNS1_14partition_implILS8_4ELb0ES6_15HIP_vector_typeIjLj2EENS0_17counting_iteratorIjlEEPS9_SG_NS0_5tupleIJPjSI_NS0_16reverse_iteratorISI_EEEEENSH_IJSG_SG_SG_EEES9_SI_JZNS1_25segmented_radix_sort_implINS0_14default_configELb0EPKlPlSQ_SR_N2at6native12_GLOBAL__N_18offset_tEEE10hipError_tPvRmT1_PNSt15iterator_traitsISZ_E10value_typeET2_T3_PNS10_IS15_E10value_typeET4_jRbjT5_S1B_jjP12ihipStream_tbEUljE_ZNSN_ISO_Lb0ESQ_SR_SQ_SR_SV_EESW_SX_SY_SZ_S13_S14_S15_S18_S19_jS1A_jS1B_S1B_jjS1D_bEUljE0_EEESW_SX_SY_S15_S19_S1B_T6_T7_T9_mT8_S1D_bDpT10_ENKUlT_T0_E_clISt17integral_constantIbLb0EES1R_EEDaS1M_S1N_EUlS1M_E_NS1_11comp_targetILNS1_3genE8ELNS1_11target_archE1030ELNS1_3gpuE2ELNS1_3repE0EEENS1_30default_config_static_selectorELNS0_4arch9wavefront6targetE1EEEvSZ_
    .private_segment_fixed_size: 0
    .sgpr_count:     4
    .sgpr_spill_count: 0
    .symbol:         _ZN7rocprim17ROCPRIM_400000_NS6detail17trampoline_kernelINS0_13select_configILj256ELj13ELNS0_17block_load_methodE3ELS4_3ELS4_3ELNS0_20block_scan_algorithmE0ELj4294967295EEENS1_25partition_config_selectorILNS1_17partition_subalgoE4EjNS0_10empty_typeEbEEZZNS1_14partition_implILS8_4ELb0ES6_15HIP_vector_typeIjLj2EENS0_17counting_iteratorIjlEEPS9_SG_NS0_5tupleIJPjSI_NS0_16reverse_iteratorISI_EEEEENSH_IJSG_SG_SG_EEES9_SI_JZNS1_25segmented_radix_sort_implINS0_14default_configELb0EPKlPlSQ_SR_N2at6native12_GLOBAL__N_18offset_tEEE10hipError_tPvRmT1_PNSt15iterator_traitsISZ_E10value_typeET2_T3_PNS10_IS15_E10value_typeET4_jRbjT5_S1B_jjP12ihipStream_tbEUljE_ZNSN_ISO_Lb0ESQ_SR_SQ_SR_SV_EESW_SX_SY_SZ_S13_S14_S15_S18_S19_jS1A_jS1B_S1B_jjS1D_bEUljE0_EEESW_SX_SY_S15_S19_S1B_T6_T7_T9_mT8_S1D_bDpT10_ENKUlT_T0_E_clISt17integral_constantIbLb0EES1R_EEDaS1M_S1N_EUlS1M_E_NS1_11comp_targetILNS1_3genE8ELNS1_11target_archE1030ELNS1_3gpuE2ELNS1_3repE0EEENS1_30default_config_static_selectorELNS0_4arch9wavefront6targetE1EEEvSZ_.kd
    .uniform_work_group_size: 1
    .uses_dynamic_stack: false
    .vgpr_count:     0
    .vgpr_spill_count: 0
    .wavefront_size: 64
  - .agpr_count:     0
    .args:
      - .offset:         0
        .size:           184
        .value_kind:     by_value
    .group_segment_fixed_size: 0
    .kernarg_segment_align: 8
    .kernarg_segment_size: 184
    .language:       OpenCL C
    .language_version:
      - 2
      - 0
    .max_flat_workgroup_size: 256
    .name:           _ZN7rocprim17ROCPRIM_400000_NS6detail17trampoline_kernelINS0_13select_configILj256ELj13ELNS0_17block_load_methodE3ELS4_3ELS4_3ELNS0_20block_scan_algorithmE0ELj4294967295EEENS1_25partition_config_selectorILNS1_17partition_subalgoE4EjNS0_10empty_typeEbEEZZNS1_14partition_implILS8_4ELb0ES6_15HIP_vector_typeIjLj2EENS0_17counting_iteratorIjlEEPS9_SG_NS0_5tupleIJPjSI_NS0_16reverse_iteratorISI_EEEEENSH_IJSG_SG_SG_EEES9_SI_JZNS1_25segmented_radix_sort_implINS0_14default_configELb0EPKlPlSQ_SR_N2at6native12_GLOBAL__N_18offset_tEEE10hipError_tPvRmT1_PNSt15iterator_traitsISZ_E10value_typeET2_T3_PNS10_IS15_E10value_typeET4_jRbjT5_S1B_jjP12ihipStream_tbEUljE_ZNSN_ISO_Lb0ESQ_SR_SQ_SR_SV_EESW_SX_SY_SZ_S13_S14_S15_S18_S19_jS1A_jS1B_S1B_jjS1D_bEUljE0_EEESW_SX_SY_S15_S19_S1B_T6_T7_T9_mT8_S1D_bDpT10_ENKUlT_T0_E_clISt17integral_constantIbLb1EES1R_EEDaS1M_S1N_EUlS1M_E_NS1_11comp_targetILNS1_3genE0ELNS1_11target_archE4294967295ELNS1_3gpuE0ELNS1_3repE0EEENS1_30default_config_static_selectorELNS0_4arch9wavefront6targetE1EEEvSZ_
    .private_segment_fixed_size: 0
    .sgpr_count:     4
    .sgpr_spill_count: 0
    .symbol:         _ZN7rocprim17ROCPRIM_400000_NS6detail17trampoline_kernelINS0_13select_configILj256ELj13ELNS0_17block_load_methodE3ELS4_3ELS4_3ELNS0_20block_scan_algorithmE0ELj4294967295EEENS1_25partition_config_selectorILNS1_17partition_subalgoE4EjNS0_10empty_typeEbEEZZNS1_14partition_implILS8_4ELb0ES6_15HIP_vector_typeIjLj2EENS0_17counting_iteratorIjlEEPS9_SG_NS0_5tupleIJPjSI_NS0_16reverse_iteratorISI_EEEEENSH_IJSG_SG_SG_EEES9_SI_JZNS1_25segmented_radix_sort_implINS0_14default_configELb0EPKlPlSQ_SR_N2at6native12_GLOBAL__N_18offset_tEEE10hipError_tPvRmT1_PNSt15iterator_traitsISZ_E10value_typeET2_T3_PNS10_IS15_E10value_typeET4_jRbjT5_S1B_jjP12ihipStream_tbEUljE_ZNSN_ISO_Lb0ESQ_SR_SQ_SR_SV_EESW_SX_SY_SZ_S13_S14_S15_S18_S19_jS1A_jS1B_S1B_jjS1D_bEUljE0_EEESW_SX_SY_S15_S19_S1B_T6_T7_T9_mT8_S1D_bDpT10_ENKUlT_T0_E_clISt17integral_constantIbLb1EES1R_EEDaS1M_S1N_EUlS1M_E_NS1_11comp_targetILNS1_3genE0ELNS1_11target_archE4294967295ELNS1_3gpuE0ELNS1_3repE0EEENS1_30default_config_static_selectorELNS0_4arch9wavefront6targetE1EEEvSZ_.kd
    .uniform_work_group_size: 1
    .uses_dynamic_stack: false
    .vgpr_count:     0
    .vgpr_spill_count: 0
    .wavefront_size: 64
  - .agpr_count:     0
    .args:
      - .offset:         0
        .size:           184
        .value_kind:     by_value
    .group_segment_fixed_size: 0
    .kernarg_segment_align: 8
    .kernarg_segment_size: 184
    .language:       OpenCL C
    .language_version:
      - 2
      - 0
    .max_flat_workgroup_size: 256
    .name:           _ZN7rocprim17ROCPRIM_400000_NS6detail17trampoline_kernelINS0_13select_configILj256ELj13ELNS0_17block_load_methodE3ELS4_3ELS4_3ELNS0_20block_scan_algorithmE0ELj4294967295EEENS1_25partition_config_selectorILNS1_17partition_subalgoE4EjNS0_10empty_typeEbEEZZNS1_14partition_implILS8_4ELb0ES6_15HIP_vector_typeIjLj2EENS0_17counting_iteratorIjlEEPS9_SG_NS0_5tupleIJPjSI_NS0_16reverse_iteratorISI_EEEEENSH_IJSG_SG_SG_EEES9_SI_JZNS1_25segmented_radix_sort_implINS0_14default_configELb0EPKlPlSQ_SR_N2at6native12_GLOBAL__N_18offset_tEEE10hipError_tPvRmT1_PNSt15iterator_traitsISZ_E10value_typeET2_T3_PNS10_IS15_E10value_typeET4_jRbjT5_S1B_jjP12ihipStream_tbEUljE_ZNSN_ISO_Lb0ESQ_SR_SQ_SR_SV_EESW_SX_SY_SZ_S13_S14_S15_S18_S19_jS1A_jS1B_S1B_jjS1D_bEUljE0_EEESW_SX_SY_S15_S19_S1B_T6_T7_T9_mT8_S1D_bDpT10_ENKUlT_T0_E_clISt17integral_constantIbLb1EES1R_EEDaS1M_S1N_EUlS1M_E_NS1_11comp_targetILNS1_3genE5ELNS1_11target_archE942ELNS1_3gpuE9ELNS1_3repE0EEENS1_30default_config_static_selectorELNS0_4arch9wavefront6targetE1EEEvSZ_
    .private_segment_fixed_size: 0
    .sgpr_count:     4
    .sgpr_spill_count: 0
    .symbol:         _ZN7rocprim17ROCPRIM_400000_NS6detail17trampoline_kernelINS0_13select_configILj256ELj13ELNS0_17block_load_methodE3ELS4_3ELS4_3ELNS0_20block_scan_algorithmE0ELj4294967295EEENS1_25partition_config_selectorILNS1_17partition_subalgoE4EjNS0_10empty_typeEbEEZZNS1_14partition_implILS8_4ELb0ES6_15HIP_vector_typeIjLj2EENS0_17counting_iteratorIjlEEPS9_SG_NS0_5tupleIJPjSI_NS0_16reverse_iteratorISI_EEEEENSH_IJSG_SG_SG_EEES9_SI_JZNS1_25segmented_radix_sort_implINS0_14default_configELb0EPKlPlSQ_SR_N2at6native12_GLOBAL__N_18offset_tEEE10hipError_tPvRmT1_PNSt15iterator_traitsISZ_E10value_typeET2_T3_PNS10_IS15_E10value_typeET4_jRbjT5_S1B_jjP12ihipStream_tbEUljE_ZNSN_ISO_Lb0ESQ_SR_SQ_SR_SV_EESW_SX_SY_SZ_S13_S14_S15_S18_S19_jS1A_jS1B_S1B_jjS1D_bEUljE0_EEESW_SX_SY_S15_S19_S1B_T6_T7_T9_mT8_S1D_bDpT10_ENKUlT_T0_E_clISt17integral_constantIbLb1EES1R_EEDaS1M_S1N_EUlS1M_E_NS1_11comp_targetILNS1_3genE5ELNS1_11target_archE942ELNS1_3gpuE9ELNS1_3repE0EEENS1_30default_config_static_selectorELNS0_4arch9wavefront6targetE1EEEvSZ_.kd
    .uniform_work_group_size: 1
    .uses_dynamic_stack: false
    .vgpr_count:     0
    .vgpr_spill_count: 0
    .wavefront_size: 64
  - .agpr_count:     0
    .args:
      - .offset:         0
        .size:           184
        .value_kind:     by_value
    .group_segment_fixed_size: 13340
    .kernarg_segment_align: 8
    .kernarg_segment_size: 184
    .language:       OpenCL C
    .language_version:
      - 2
      - 0
    .max_flat_workgroup_size: 256
    .name:           _ZN7rocprim17ROCPRIM_400000_NS6detail17trampoline_kernelINS0_13select_configILj256ELj13ELNS0_17block_load_methodE3ELS4_3ELS4_3ELNS0_20block_scan_algorithmE0ELj4294967295EEENS1_25partition_config_selectorILNS1_17partition_subalgoE4EjNS0_10empty_typeEbEEZZNS1_14partition_implILS8_4ELb0ES6_15HIP_vector_typeIjLj2EENS0_17counting_iteratorIjlEEPS9_SG_NS0_5tupleIJPjSI_NS0_16reverse_iteratorISI_EEEEENSH_IJSG_SG_SG_EEES9_SI_JZNS1_25segmented_radix_sort_implINS0_14default_configELb0EPKlPlSQ_SR_N2at6native12_GLOBAL__N_18offset_tEEE10hipError_tPvRmT1_PNSt15iterator_traitsISZ_E10value_typeET2_T3_PNS10_IS15_E10value_typeET4_jRbjT5_S1B_jjP12ihipStream_tbEUljE_ZNSN_ISO_Lb0ESQ_SR_SQ_SR_SV_EESW_SX_SY_SZ_S13_S14_S15_S18_S19_jS1A_jS1B_S1B_jjS1D_bEUljE0_EEESW_SX_SY_S15_S19_S1B_T6_T7_T9_mT8_S1D_bDpT10_ENKUlT_T0_E_clISt17integral_constantIbLb1EES1R_EEDaS1M_S1N_EUlS1M_E_NS1_11comp_targetILNS1_3genE4ELNS1_11target_archE910ELNS1_3gpuE8ELNS1_3repE0EEENS1_30default_config_static_selectorELNS0_4arch9wavefront6targetE1EEEvSZ_
    .private_segment_fixed_size: 0
    .sgpr_count:     91
    .sgpr_spill_count: 0
    .symbol:         _ZN7rocprim17ROCPRIM_400000_NS6detail17trampoline_kernelINS0_13select_configILj256ELj13ELNS0_17block_load_methodE3ELS4_3ELS4_3ELNS0_20block_scan_algorithmE0ELj4294967295EEENS1_25partition_config_selectorILNS1_17partition_subalgoE4EjNS0_10empty_typeEbEEZZNS1_14partition_implILS8_4ELb0ES6_15HIP_vector_typeIjLj2EENS0_17counting_iteratorIjlEEPS9_SG_NS0_5tupleIJPjSI_NS0_16reverse_iteratorISI_EEEEENSH_IJSG_SG_SG_EEES9_SI_JZNS1_25segmented_radix_sort_implINS0_14default_configELb0EPKlPlSQ_SR_N2at6native12_GLOBAL__N_18offset_tEEE10hipError_tPvRmT1_PNSt15iterator_traitsISZ_E10value_typeET2_T3_PNS10_IS15_E10value_typeET4_jRbjT5_S1B_jjP12ihipStream_tbEUljE_ZNSN_ISO_Lb0ESQ_SR_SQ_SR_SV_EESW_SX_SY_SZ_S13_S14_S15_S18_S19_jS1A_jS1B_S1B_jjS1D_bEUljE0_EEESW_SX_SY_S15_S19_S1B_T6_T7_T9_mT8_S1D_bDpT10_ENKUlT_T0_E_clISt17integral_constantIbLb1EES1R_EEDaS1M_S1N_EUlS1M_E_NS1_11comp_targetILNS1_3genE4ELNS1_11target_archE910ELNS1_3gpuE8ELNS1_3repE0EEENS1_30default_config_static_selectorELNS0_4arch9wavefront6targetE1EEEvSZ_.kd
    .uniform_work_group_size: 1
    .uses_dynamic_stack: false
    .vgpr_count:     107
    .vgpr_spill_count: 0
    .wavefront_size: 64
  - .agpr_count:     0
    .args:
      - .offset:         0
        .size:           184
        .value_kind:     by_value
    .group_segment_fixed_size: 0
    .kernarg_segment_align: 8
    .kernarg_segment_size: 184
    .language:       OpenCL C
    .language_version:
      - 2
      - 0
    .max_flat_workgroup_size: 256
    .name:           _ZN7rocprim17ROCPRIM_400000_NS6detail17trampoline_kernelINS0_13select_configILj256ELj13ELNS0_17block_load_methodE3ELS4_3ELS4_3ELNS0_20block_scan_algorithmE0ELj4294967295EEENS1_25partition_config_selectorILNS1_17partition_subalgoE4EjNS0_10empty_typeEbEEZZNS1_14partition_implILS8_4ELb0ES6_15HIP_vector_typeIjLj2EENS0_17counting_iteratorIjlEEPS9_SG_NS0_5tupleIJPjSI_NS0_16reverse_iteratorISI_EEEEENSH_IJSG_SG_SG_EEES9_SI_JZNS1_25segmented_radix_sort_implINS0_14default_configELb0EPKlPlSQ_SR_N2at6native12_GLOBAL__N_18offset_tEEE10hipError_tPvRmT1_PNSt15iterator_traitsISZ_E10value_typeET2_T3_PNS10_IS15_E10value_typeET4_jRbjT5_S1B_jjP12ihipStream_tbEUljE_ZNSN_ISO_Lb0ESQ_SR_SQ_SR_SV_EESW_SX_SY_SZ_S13_S14_S15_S18_S19_jS1A_jS1B_S1B_jjS1D_bEUljE0_EEESW_SX_SY_S15_S19_S1B_T6_T7_T9_mT8_S1D_bDpT10_ENKUlT_T0_E_clISt17integral_constantIbLb1EES1R_EEDaS1M_S1N_EUlS1M_E_NS1_11comp_targetILNS1_3genE3ELNS1_11target_archE908ELNS1_3gpuE7ELNS1_3repE0EEENS1_30default_config_static_selectorELNS0_4arch9wavefront6targetE1EEEvSZ_
    .private_segment_fixed_size: 0
    .sgpr_count:     4
    .sgpr_spill_count: 0
    .symbol:         _ZN7rocprim17ROCPRIM_400000_NS6detail17trampoline_kernelINS0_13select_configILj256ELj13ELNS0_17block_load_methodE3ELS4_3ELS4_3ELNS0_20block_scan_algorithmE0ELj4294967295EEENS1_25partition_config_selectorILNS1_17partition_subalgoE4EjNS0_10empty_typeEbEEZZNS1_14partition_implILS8_4ELb0ES6_15HIP_vector_typeIjLj2EENS0_17counting_iteratorIjlEEPS9_SG_NS0_5tupleIJPjSI_NS0_16reverse_iteratorISI_EEEEENSH_IJSG_SG_SG_EEES9_SI_JZNS1_25segmented_radix_sort_implINS0_14default_configELb0EPKlPlSQ_SR_N2at6native12_GLOBAL__N_18offset_tEEE10hipError_tPvRmT1_PNSt15iterator_traitsISZ_E10value_typeET2_T3_PNS10_IS15_E10value_typeET4_jRbjT5_S1B_jjP12ihipStream_tbEUljE_ZNSN_ISO_Lb0ESQ_SR_SQ_SR_SV_EESW_SX_SY_SZ_S13_S14_S15_S18_S19_jS1A_jS1B_S1B_jjS1D_bEUljE0_EEESW_SX_SY_S15_S19_S1B_T6_T7_T9_mT8_S1D_bDpT10_ENKUlT_T0_E_clISt17integral_constantIbLb1EES1R_EEDaS1M_S1N_EUlS1M_E_NS1_11comp_targetILNS1_3genE3ELNS1_11target_archE908ELNS1_3gpuE7ELNS1_3repE0EEENS1_30default_config_static_selectorELNS0_4arch9wavefront6targetE1EEEvSZ_.kd
    .uniform_work_group_size: 1
    .uses_dynamic_stack: false
    .vgpr_count:     0
    .vgpr_spill_count: 0
    .wavefront_size: 64
  - .agpr_count:     0
    .args:
      - .offset:         0
        .size:           184
        .value_kind:     by_value
    .group_segment_fixed_size: 0
    .kernarg_segment_align: 8
    .kernarg_segment_size: 184
    .language:       OpenCL C
    .language_version:
      - 2
      - 0
    .max_flat_workgroup_size: 256
    .name:           _ZN7rocprim17ROCPRIM_400000_NS6detail17trampoline_kernelINS0_13select_configILj256ELj13ELNS0_17block_load_methodE3ELS4_3ELS4_3ELNS0_20block_scan_algorithmE0ELj4294967295EEENS1_25partition_config_selectorILNS1_17partition_subalgoE4EjNS0_10empty_typeEbEEZZNS1_14partition_implILS8_4ELb0ES6_15HIP_vector_typeIjLj2EENS0_17counting_iteratorIjlEEPS9_SG_NS0_5tupleIJPjSI_NS0_16reverse_iteratorISI_EEEEENSH_IJSG_SG_SG_EEES9_SI_JZNS1_25segmented_radix_sort_implINS0_14default_configELb0EPKlPlSQ_SR_N2at6native12_GLOBAL__N_18offset_tEEE10hipError_tPvRmT1_PNSt15iterator_traitsISZ_E10value_typeET2_T3_PNS10_IS15_E10value_typeET4_jRbjT5_S1B_jjP12ihipStream_tbEUljE_ZNSN_ISO_Lb0ESQ_SR_SQ_SR_SV_EESW_SX_SY_SZ_S13_S14_S15_S18_S19_jS1A_jS1B_S1B_jjS1D_bEUljE0_EEESW_SX_SY_S15_S19_S1B_T6_T7_T9_mT8_S1D_bDpT10_ENKUlT_T0_E_clISt17integral_constantIbLb1EES1R_EEDaS1M_S1N_EUlS1M_E_NS1_11comp_targetILNS1_3genE2ELNS1_11target_archE906ELNS1_3gpuE6ELNS1_3repE0EEENS1_30default_config_static_selectorELNS0_4arch9wavefront6targetE1EEEvSZ_
    .private_segment_fixed_size: 0
    .sgpr_count:     4
    .sgpr_spill_count: 0
    .symbol:         _ZN7rocprim17ROCPRIM_400000_NS6detail17trampoline_kernelINS0_13select_configILj256ELj13ELNS0_17block_load_methodE3ELS4_3ELS4_3ELNS0_20block_scan_algorithmE0ELj4294967295EEENS1_25partition_config_selectorILNS1_17partition_subalgoE4EjNS0_10empty_typeEbEEZZNS1_14partition_implILS8_4ELb0ES6_15HIP_vector_typeIjLj2EENS0_17counting_iteratorIjlEEPS9_SG_NS0_5tupleIJPjSI_NS0_16reverse_iteratorISI_EEEEENSH_IJSG_SG_SG_EEES9_SI_JZNS1_25segmented_radix_sort_implINS0_14default_configELb0EPKlPlSQ_SR_N2at6native12_GLOBAL__N_18offset_tEEE10hipError_tPvRmT1_PNSt15iterator_traitsISZ_E10value_typeET2_T3_PNS10_IS15_E10value_typeET4_jRbjT5_S1B_jjP12ihipStream_tbEUljE_ZNSN_ISO_Lb0ESQ_SR_SQ_SR_SV_EESW_SX_SY_SZ_S13_S14_S15_S18_S19_jS1A_jS1B_S1B_jjS1D_bEUljE0_EEESW_SX_SY_S15_S19_S1B_T6_T7_T9_mT8_S1D_bDpT10_ENKUlT_T0_E_clISt17integral_constantIbLb1EES1R_EEDaS1M_S1N_EUlS1M_E_NS1_11comp_targetILNS1_3genE2ELNS1_11target_archE906ELNS1_3gpuE6ELNS1_3repE0EEENS1_30default_config_static_selectorELNS0_4arch9wavefront6targetE1EEEvSZ_.kd
    .uniform_work_group_size: 1
    .uses_dynamic_stack: false
    .vgpr_count:     0
    .vgpr_spill_count: 0
    .wavefront_size: 64
  - .agpr_count:     0
    .args:
      - .offset:         0
        .size:           184
        .value_kind:     by_value
    .group_segment_fixed_size: 0
    .kernarg_segment_align: 8
    .kernarg_segment_size: 184
    .language:       OpenCL C
    .language_version:
      - 2
      - 0
    .max_flat_workgroup_size: 256
    .name:           _ZN7rocprim17ROCPRIM_400000_NS6detail17trampoline_kernelINS0_13select_configILj256ELj13ELNS0_17block_load_methodE3ELS4_3ELS4_3ELNS0_20block_scan_algorithmE0ELj4294967295EEENS1_25partition_config_selectorILNS1_17partition_subalgoE4EjNS0_10empty_typeEbEEZZNS1_14partition_implILS8_4ELb0ES6_15HIP_vector_typeIjLj2EENS0_17counting_iteratorIjlEEPS9_SG_NS0_5tupleIJPjSI_NS0_16reverse_iteratorISI_EEEEENSH_IJSG_SG_SG_EEES9_SI_JZNS1_25segmented_radix_sort_implINS0_14default_configELb0EPKlPlSQ_SR_N2at6native12_GLOBAL__N_18offset_tEEE10hipError_tPvRmT1_PNSt15iterator_traitsISZ_E10value_typeET2_T3_PNS10_IS15_E10value_typeET4_jRbjT5_S1B_jjP12ihipStream_tbEUljE_ZNSN_ISO_Lb0ESQ_SR_SQ_SR_SV_EESW_SX_SY_SZ_S13_S14_S15_S18_S19_jS1A_jS1B_S1B_jjS1D_bEUljE0_EEESW_SX_SY_S15_S19_S1B_T6_T7_T9_mT8_S1D_bDpT10_ENKUlT_T0_E_clISt17integral_constantIbLb1EES1R_EEDaS1M_S1N_EUlS1M_E_NS1_11comp_targetILNS1_3genE10ELNS1_11target_archE1200ELNS1_3gpuE4ELNS1_3repE0EEENS1_30default_config_static_selectorELNS0_4arch9wavefront6targetE1EEEvSZ_
    .private_segment_fixed_size: 0
    .sgpr_count:     4
    .sgpr_spill_count: 0
    .symbol:         _ZN7rocprim17ROCPRIM_400000_NS6detail17trampoline_kernelINS0_13select_configILj256ELj13ELNS0_17block_load_methodE3ELS4_3ELS4_3ELNS0_20block_scan_algorithmE0ELj4294967295EEENS1_25partition_config_selectorILNS1_17partition_subalgoE4EjNS0_10empty_typeEbEEZZNS1_14partition_implILS8_4ELb0ES6_15HIP_vector_typeIjLj2EENS0_17counting_iteratorIjlEEPS9_SG_NS0_5tupleIJPjSI_NS0_16reverse_iteratorISI_EEEEENSH_IJSG_SG_SG_EEES9_SI_JZNS1_25segmented_radix_sort_implINS0_14default_configELb0EPKlPlSQ_SR_N2at6native12_GLOBAL__N_18offset_tEEE10hipError_tPvRmT1_PNSt15iterator_traitsISZ_E10value_typeET2_T3_PNS10_IS15_E10value_typeET4_jRbjT5_S1B_jjP12ihipStream_tbEUljE_ZNSN_ISO_Lb0ESQ_SR_SQ_SR_SV_EESW_SX_SY_SZ_S13_S14_S15_S18_S19_jS1A_jS1B_S1B_jjS1D_bEUljE0_EEESW_SX_SY_S15_S19_S1B_T6_T7_T9_mT8_S1D_bDpT10_ENKUlT_T0_E_clISt17integral_constantIbLb1EES1R_EEDaS1M_S1N_EUlS1M_E_NS1_11comp_targetILNS1_3genE10ELNS1_11target_archE1200ELNS1_3gpuE4ELNS1_3repE0EEENS1_30default_config_static_selectorELNS0_4arch9wavefront6targetE1EEEvSZ_.kd
    .uniform_work_group_size: 1
    .uses_dynamic_stack: false
    .vgpr_count:     0
    .vgpr_spill_count: 0
    .wavefront_size: 64
  - .agpr_count:     0
    .args:
      - .offset:         0
        .size:           184
        .value_kind:     by_value
    .group_segment_fixed_size: 0
    .kernarg_segment_align: 8
    .kernarg_segment_size: 184
    .language:       OpenCL C
    .language_version:
      - 2
      - 0
    .max_flat_workgroup_size: 256
    .name:           _ZN7rocprim17ROCPRIM_400000_NS6detail17trampoline_kernelINS0_13select_configILj256ELj13ELNS0_17block_load_methodE3ELS4_3ELS4_3ELNS0_20block_scan_algorithmE0ELj4294967295EEENS1_25partition_config_selectorILNS1_17partition_subalgoE4EjNS0_10empty_typeEbEEZZNS1_14partition_implILS8_4ELb0ES6_15HIP_vector_typeIjLj2EENS0_17counting_iteratorIjlEEPS9_SG_NS0_5tupleIJPjSI_NS0_16reverse_iteratorISI_EEEEENSH_IJSG_SG_SG_EEES9_SI_JZNS1_25segmented_radix_sort_implINS0_14default_configELb0EPKlPlSQ_SR_N2at6native12_GLOBAL__N_18offset_tEEE10hipError_tPvRmT1_PNSt15iterator_traitsISZ_E10value_typeET2_T3_PNS10_IS15_E10value_typeET4_jRbjT5_S1B_jjP12ihipStream_tbEUljE_ZNSN_ISO_Lb0ESQ_SR_SQ_SR_SV_EESW_SX_SY_SZ_S13_S14_S15_S18_S19_jS1A_jS1B_S1B_jjS1D_bEUljE0_EEESW_SX_SY_S15_S19_S1B_T6_T7_T9_mT8_S1D_bDpT10_ENKUlT_T0_E_clISt17integral_constantIbLb1EES1R_EEDaS1M_S1N_EUlS1M_E_NS1_11comp_targetILNS1_3genE9ELNS1_11target_archE1100ELNS1_3gpuE3ELNS1_3repE0EEENS1_30default_config_static_selectorELNS0_4arch9wavefront6targetE1EEEvSZ_
    .private_segment_fixed_size: 0
    .sgpr_count:     4
    .sgpr_spill_count: 0
    .symbol:         _ZN7rocprim17ROCPRIM_400000_NS6detail17trampoline_kernelINS0_13select_configILj256ELj13ELNS0_17block_load_methodE3ELS4_3ELS4_3ELNS0_20block_scan_algorithmE0ELj4294967295EEENS1_25partition_config_selectorILNS1_17partition_subalgoE4EjNS0_10empty_typeEbEEZZNS1_14partition_implILS8_4ELb0ES6_15HIP_vector_typeIjLj2EENS0_17counting_iteratorIjlEEPS9_SG_NS0_5tupleIJPjSI_NS0_16reverse_iteratorISI_EEEEENSH_IJSG_SG_SG_EEES9_SI_JZNS1_25segmented_radix_sort_implINS0_14default_configELb0EPKlPlSQ_SR_N2at6native12_GLOBAL__N_18offset_tEEE10hipError_tPvRmT1_PNSt15iterator_traitsISZ_E10value_typeET2_T3_PNS10_IS15_E10value_typeET4_jRbjT5_S1B_jjP12ihipStream_tbEUljE_ZNSN_ISO_Lb0ESQ_SR_SQ_SR_SV_EESW_SX_SY_SZ_S13_S14_S15_S18_S19_jS1A_jS1B_S1B_jjS1D_bEUljE0_EEESW_SX_SY_S15_S19_S1B_T6_T7_T9_mT8_S1D_bDpT10_ENKUlT_T0_E_clISt17integral_constantIbLb1EES1R_EEDaS1M_S1N_EUlS1M_E_NS1_11comp_targetILNS1_3genE9ELNS1_11target_archE1100ELNS1_3gpuE3ELNS1_3repE0EEENS1_30default_config_static_selectorELNS0_4arch9wavefront6targetE1EEEvSZ_.kd
    .uniform_work_group_size: 1
    .uses_dynamic_stack: false
    .vgpr_count:     0
    .vgpr_spill_count: 0
    .wavefront_size: 64
  - .agpr_count:     0
    .args:
      - .offset:         0
        .size:           184
        .value_kind:     by_value
    .group_segment_fixed_size: 0
    .kernarg_segment_align: 8
    .kernarg_segment_size: 184
    .language:       OpenCL C
    .language_version:
      - 2
      - 0
    .max_flat_workgroup_size: 256
    .name:           _ZN7rocprim17ROCPRIM_400000_NS6detail17trampoline_kernelINS0_13select_configILj256ELj13ELNS0_17block_load_methodE3ELS4_3ELS4_3ELNS0_20block_scan_algorithmE0ELj4294967295EEENS1_25partition_config_selectorILNS1_17partition_subalgoE4EjNS0_10empty_typeEbEEZZNS1_14partition_implILS8_4ELb0ES6_15HIP_vector_typeIjLj2EENS0_17counting_iteratorIjlEEPS9_SG_NS0_5tupleIJPjSI_NS0_16reverse_iteratorISI_EEEEENSH_IJSG_SG_SG_EEES9_SI_JZNS1_25segmented_radix_sort_implINS0_14default_configELb0EPKlPlSQ_SR_N2at6native12_GLOBAL__N_18offset_tEEE10hipError_tPvRmT1_PNSt15iterator_traitsISZ_E10value_typeET2_T3_PNS10_IS15_E10value_typeET4_jRbjT5_S1B_jjP12ihipStream_tbEUljE_ZNSN_ISO_Lb0ESQ_SR_SQ_SR_SV_EESW_SX_SY_SZ_S13_S14_S15_S18_S19_jS1A_jS1B_S1B_jjS1D_bEUljE0_EEESW_SX_SY_S15_S19_S1B_T6_T7_T9_mT8_S1D_bDpT10_ENKUlT_T0_E_clISt17integral_constantIbLb1EES1R_EEDaS1M_S1N_EUlS1M_E_NS1_11comp_targetILNS1_3genE8ELNS1_11target_archE1030ELNS1_3gpuE2ELNS1_3repE0EEENS1_30default_config_static_selectorELNS0_4arch9wavefront6targetE1EEEvSZ_
    .private_segment_fixed_size: 0
    .sgpr_count:     4
    .sgpr_spill_count: 0
    .symbol:         _ZN7rocprim17ROCPRIM_400000_NS6detail17trampoline_kernelINS0_13select_configILj256ELj13ELNS0_17block_load_methodE3ELS4_3ELS4_3ELNS0_20block_scan_algorithmE0ELj4294967295EEENS1_25partition_config_selectorILNS1_17partition_subalgoE4EjNS0_10empty_typeEbEEZZNS1_14partition_implILS8_4ELb0ES6_15HIP_vector_typeIjLj2EENS0_17counting_iteratorIjlEEPS9_SG_NS0_5tupleIJPjSI_NS0_16reverse_iteratorISI_EEEEENSH_IJSG_SG_SG_EEES9_SI_JZNS1_25segmented_radix_sort_implINS0_14default_configELb0EPKlPlSQ_SR_N2at6native12_GLOBAL__N_18offset_tEEE10hipError_tPvRmT1_PNSt15iterator_traitsISZ_E10value_typeET2_T3_PNS10_IS15_E10value_typeET4_jRbjT5_S1B_jjP12ihipStream_tbEUljE_ZNSN_ISO_Lb0ESQ_SR_SQ_SR_SV_EESW_SX_SY_SZ_S13_S14_S15_S18_S19_jS1A_jS1B_S1B_jjS1D_bEUljE0_EEESW_SX_SY_S15_S19_S1B_T6_T7_T9_mT8_S1D_bDpT10_ENKUlT_T0_E_clISt17integral_constantIbLb1EES1R_EEDaS1M_S1N_EUlS1M_E_NS1_11comp_targetILNS1_3genE8ELNS1_11target_archE1030ELNS1_3gpuE2ELNS1_3repE0EEENS1_30default_config_static_selectorELNS0_4arch9wavefront6targetE1EEEvSZ_.kd
    .uniform_work_group_size: 1
    .uses_dynamic_stack: false
    .vgpr_count:     0
    .vgpr_spill_count: 0
    .wavefront_size: 64
  - .agpr_count:     0
    .args:
      - .offset:         0
        .size:           176
        .value_kind:     by_value
    .group_segment_fixed_size: 0
    .kernarg_segment_align: 8
    .kernarg_segment_size: 176
    .language:       OpenCL C
    .language_version:
      - 2
      - 0
    .max_flat_workgroup_size: 256
    .name:           _ZN7rocprim17ROCPRIM_400000_NS6detail17trampoline_kernelINS0_13select_configILj256ELj13ELNS0_17block_load_methodE3ELS4_3ELS4_3ELNS0_20block_scan_algorithmE0ELj4294967295EEENS1_25partition_config_selectorILNS1_17partition_subalgoE4EjNS0_10empty_typeEbEEZZNS1_14partition_implILS8_4ELb0ES6_15HIP_vector_typeIjLj2EENS0_17counting_iteratorIjlEEPS9_SG_NS0_5tupleIJPjSI_NS0_16reverse_iteratorISI_EEEEENSH_IJSG_SG_SG_EEES9_SI_JZNS1_25segmented_radix_sort_implINS0_14default_configELb0EPKlPlSQ_SR_N2at6native12_GLOBAL__N_18offset_tEEE10hipError_tPvRmT1_PNSt15iterator_traitsISZ_E10value_typeET2_T3_PNS10_IS15_E10value_typeET4_jRbjT5_S1B_jjP12ihipStream_tbEUljE_ZNSN_ISO_Lb0ESQ_SR_SQ_SR_SV_EESW_SX_SY_SZ_S13_S14_S15_S18_S19_jS1A_jS1B_S1B_jjS1D_bEUljE0_EEESW_SX_SY_S15_S19_S1B_T6_T7_T9_mT8_S1D_bDpT10_ENKUlT_T0_E_clISt17integral_constantIbLb1EES1Q_IbLb0EEEEDaS1M_S1N_EUlS1M_E_NS1_11comp_targetILNS1_3genE0ELNS1_11target_archE4294967295ELNS1_3gpuE0ELNS1_3repE0EEENS1_30default_config_static_selectorELNS0_4arch9wavefront6targetE1EEEvSZ_
    .private_segment_fixed_size: 0
    .sgpr_count:     4
    .sgpr_spill_count: 0
    .symbol:         _ZN7rocprim17ROCPRIM_400000_NS6detail17trampoline_kernelINS0_13select_configILj256ELj13ELNS0_17block_load_methodE3ELS4_3ELS4_3ELNS0_20block_scan_algorithmE0ELj4294967295EEENS1_25partition_config_selectorILNS1_17partition_subalgoE4EjNS0_10empty_typeEbEEZZNS1_14partition_implILS8_4ELb0ES6_15HIP_vector_typeIjLj2EENS0_17counting_iteratorIjlEEPS9_SG_NS0_5tupleIJPjSI_NS0_16reverse_iteratorISI_EEEEENSH_IJSG_SG_SG_EEES9_SI_JZNS1_25segmented_radix_sort_implINS0_14default_configELb0EPKlPlSQ_SR_N2at6native12_GLOBAL__N_18offset_tEEE10hipError_tPvRmT1_PNSt15iterator_traitsISZ_E10value_typeET2_T3_PNS10_IS15_E10value_typeET4_jRbjT5_S1B_jjP12ihipStream_tbEUljE_ZNSN_ISO_Lb0ESQ_SR_SQ_SR_SV_EESW_SX_SY_SZ_S13_S14_S15_S18_S19_jS1A_jS1B_S1B_jjS1D_bEUljE0_EEESW_SX_SY_S15_S19_S1B_T6_T7_T9_mT8_S1D_bDpT10_ENKUlT_T0_E_clISt17integral_constantIbLb1EES1Q_IbLb0EEEEDaS1M_S1N_EUlS1M_E_NS1_11comp_targetILNS1_3genE0ELNS1_11target_archE4294967295ELNS1_3gpuE0ELNS1_3repE0EEENS1_30default_config_static_selectorELNS0_4arch9wavefront6targetE1EEEvSZ_.kd
    .uniform_work_group_size: 1
    .uses_dynamic_stack: false
    .vgpr_count:     0
    .vgpr_spill_count: 0
    .wavefront_size: 64
  - .agpr_count:     0
    .args:
      - .offset:         0
        .size:           176
        .value_kind:     by_value
    .group_segment_fixed_size: 0
    .kernarg_segment_align: 8
    .kernarg_segment_size: 176
    .language:       OpenCL C
    .language_version:
      - 2
      - 0
    .max_flat_workgroup_size: 256
    .name:           _ZN7rocprim17ROCPRIM_400000_NS6detail17trampoline_kernelINS0_13select_configILj256ELj13ELNS0_17block_load_methodE3ELS4_3ELS4_3ELNS0_20block_scan_algorithmE0ELj4294967295EEENS1_25partition_config_selectorILNS1_17partition_subalgoE4EjNS0_10empty_typeEbEEZZNS1_14partition_implILS8_4ELb0ES6_15HIP_vector_typeIjLj2EENS0_17counting_iteratorIjlEEPS9_SG_NS0_5tupleIJPjSI_NS0_16reverse_iteratorISI_EEEEENSH_IJSG_SG_SG_EEES9_SI_JZNS1_25segmented_radix_sort_implINS0_14default_configELb0EPKlPlSQ_SR_N2at6native12_GLOBAL__N_18offset_tEEE10hipError_tPvRmT1_PNSt15iterator_traitsISZ_E10value_typeET2_T3_PNS10_IS15_E10value_typeET4_jRbjT5_S1B_jjP12ihipStream_tbEUljE_ZNSN_ISO_Lb0ESQ_SR_SQ_SR_SV_EESW_SX_SY_SZ_S13_S14_S15_S18_S19_jS1A_jS1B_S1B_jjS1D_bEUljE0_EEESW_SX_SY_S15_S19_S1B_T6_T7_T9_mT8_S1D_bDpT10_ENKUlT_T0_E_clISt17integral_constantIbLb1EES1Q_IbLb0EEEEDaS1M_S1N_EUlS1M_E_NS1_11comp_targetILNS1_3genE5ELNS1_11target_archE942ELNS1_3gpuE9ELNS1_3repE0EEENS1_30default_config_static_selectorELNS0_4arch9wavefront6targetE1EEEvSZ_
    .private_segment_fixed_size: 0
    .sgpr_count:     4
    .sgpr_spill_count: 0
    .symbol:         _ZN7rocprim17ROCPRIM_400000_NS6detail17trampoline_kernelINS0_13select_configILj256ELj13ELNS0_17block_load_methodE3ELS4_3ELS4_3ELNS0_20block_scan_algorithmE0ELj4294967295EEENS1_25partition_config_selectorILNS1_17partition_subalgoE4EjNS0_10empty_typeEbEEZZNS1_14partition_implILS8_4ELb0ES6_15HIP_vector_typeIjLj2EENS0_17counting_iteratorIjlEEPS9_SG_NS0_5tupleIJPjSI_NS0_16reverse_iteratorISI_EEEEENSH_IJSG_SG_SG_EEES9_SI_JZNS1_25segmented_radix_sort_implINS0_14default_configELb0EPKlPlSQ_SR_N2at6native12_GLOBAL__N_18offset_tEEE10hipError_tPvRmT1_PNSt15iterator_traitsISZ_E10value_typeET2_T3_PNS10_IS15_E10value_typeET4_jRbjT5_S1B_jjP12ihipStream_tbEUljE_ZNSN_ISO_Lb0ESQ_SR_SQ_SR_SV_EESW_SX_SY_SZ_S13_S14_S15_S18_S19_jS1A_jS1B_S1B_jjS1D_bEUljE0_EEESW_SX_SY_S15_S19_S1B_T6_T7_T9_mT8_S1D_bDpT10_ENKUlT_T0_E_clISt17integral_constantIbLb1EES1Q_IbLb0EEEEDaS1M_S1N_EUlS1M_E_NS1_11comp_targetILNS1_3genE5ELNS1_11target_archE942ELNS1_3gpuE9ELNS1_3repE0EEENS1_30default_config_static_selectorELNS0_4arch9wavefront6targetE1EEEvSZ_.kd
    .uniform_work_group_size: 1
    .uses_dynamic_stack: false
    .vgpr_count:     0
    .vgpr_spill_count: 0
    .wavefront_size: 64
  - .agpr_count:     0
    .args:
      - .offset:         0
        .size:           176
        .value_kind:     by_value
    .group_segment_fixed_size: 13340
    .kernarg_segment_align: 8
    .kernarg_segment_size: 176
    .language:       OpenCL C
    .language_version:
      - 2
      - 0
    .max_flat_workgroup_size: 256
    .name:           _ZN7rocprim17ROCPRIM_400000_NS6detail17trampoline_kernelINS0_13select_configILj256ELj13ELNS0_17block_load_methodE3ELS4_3ELS4_3ELNS0_20block_scan_algorithmE0ELj4294967295EEENS1_25partition_config_selectorILNS1_17partition_subalgoE4EjNS0_10empty_typeEbEEZZNS1_14partition_implILS8_4ELb0ES6_15HIP_vector_typeIjLj2EENS0_17counting_iteratorIjlEEPS9_SG_NS0_5tupleIJPjSI_NS0_16reverse_iteratorISI_EEEEENSH_IJSG_SG_SG_EEES9_SI_JZNS1_25segmented_radix_sort_implINS0_14default_configELb0EPKlPlSQ_SR_N2at6native12_GLOBAL__N_18offset_tEEE10hipError_tPvRmT1_PNSt15iterator_traitsISZ_E10value_typeET2_T3_PNS10_IS15_E10value_typeET4_jRbjT5_S1B_jjP12ihipStream_tbEUljE_ZNSN_ISO_Lb0ESQ_SR_SQ_SR_SV_EESW_SX_SY_SZ_S13_S14_S15_S18_S19_jS1A_jS1B_S1B_jjS1D_bEUljE0_EEESW_SX_SY_S15_S19_S1B_T6_T7_T9_mT8_S1D_bDpT10_ENKUlT_T0_E_clISt17integral_constantIbLb1EES1Q_IbLb0EEEEDaS1M_S1N_EUlS1M_E_NS1_11comp_targetILNS1_3genE4ELNS1_11target_archE910ELNS1_3gpuE8ELNS1_3repE0EEENS1_30default_config_static_selectorELNS0_4arch9wavefront6targetE1EEEvSZ_
    .private_segment_fixed_size: 0
    .sgpr_count:     94
    .sgpr_spill_count: 0
    .symbol:         _ZN7rocprim17ROCPRIM_400000_NS6detail17trampoline_kernelINS0_13select_configILj256ELj13ELNS0_17block_load_methodE3ELS4_3ELS4_3ELNS0_20block_scan_algorithmE0ELj4294967295EEENS1_25partition_config_selectorILNS1_17partition_subalgoE4EjNS0_10empty_typeEbEEZZNS1_14partition_implILS8_4ELb0ES6_15HIP_vector_typeIjLj2EENS0_17counting_iteratorIjlEEPS9_SG_NS0_5tupleIJPjSI_NS0_16reverse_iteratorISI_EEEEENSH_IJSG_SG_SG_EEES9_SI_JZNS1_25segmented_radix_sort_implINS0_14default_configELb0EPKlPlSQ_SR_N2at6native12_GLOBAL__N_18offset_tEEE10hipError_tPvRmT1_PNSt15iterator_traitsISZ_E10value_typeET2_T3_PNS10_IS15_E10value_typeET4_jRbjT5_S1B_jjP12ihipStream_tbEUljE_ZNSN_ISO_Lb0ESQ_SR_SQ_SR_SV_EESW_SX_SY_SZ_S13_S14_S15_S18_S19_jS1A_jS1B_S1B_jjS1D_bEUljE0_EEESW_SX_SY_S15_S19_S1B_T6_T7_T9_mT8_S1D_bDpT10_ENKUlT_T0_E_clISt17integral_constantIbLb1EES1Q_IbLb0EEEEDaS1M_S1N_EUlS1M_E_NS1_11comp_targetILNS1_3genE4ELNS1_11target_archE910ELNS1_3gpuE8ELNS1_3repE0EEENS1_30default_config_static_selectorELNS0_4arch9wavefront6targetE1EEEvSZ_.kd
    .uniform_work_group_size: 1
    .uses_dynamic_stack: false
    .vgpr_count:     102
    .vgpr_spill_count: 0
    .wavefront_size: 64
  - .agpr_count:     0
    .args:
      - .offset:         0
        .size:           176
        .value_kind:     by_value
    .group_segment_fixed_size: 0
    .kernarg_segment_align: 8
    .kernarg_segment_size: 176
    .language:       OpenCL C
    .language_version:
      - 2
      - 0
    .max_flat_workgroup_size: 256
    .name:           _ZN7rocprim17ROCPRIM_400000_NS6detail17trampoline_kernelINS0_13select_configILj256ELj13ELNS0_17block_load_methodE3ELS4_3ELS4_3ELNS0_20block_scan_algorithmE0ELj4294967295EEENS1_25partition_config_selectorILNS1_17partition_subalgoE4EjNS0_10empty_typeEbEEZZNS1_14partition_implILS8_4ELb0ES6_15HIP_vector_typeIjLj2EENS0_17counting_iteratorIjlEEPS9_SG_NS0_5tupleIJPjSI_NS0_16reverse_iteratorISI_EEEEENSH_IJSG_SG_SG_EEES9_SI_JZNS1_25segmented_radix_sort_implINS0_14default_configELb0EPKlPlSQ_SR_N2at6native12_GLOBAL__N_18offset_tEEE10hipError_tPvRmT1_PNSt15iterator_traitsISZ_E10value_typeET2_T3_PNS10_IS15_E10value_typeET4_jRbjT5_S1B_jjP12ihipStream_tbEUljE_ZNSN_ISO_Lb0ESQ_SR_SQ_SR_SV_EESW_SX_SY_SZ_S13_S14_S15_S18_S19_jS1A_jS1B_S1B_jjS1D_bEUljE0_EEESW_SX_SY_S15_S19_S1B_T6_T7_T9_mT8_S1D_bDpT10_ENKUlT_T0_E_clISt17integral_constantIbLb1EES1Q_IbLb0EEEEDaS1M_S1N_EUlS1M_E_NS1_11comp_targetILNS1_3genE3ELNS1_11target_archE908ELNS1_3gpuE7ELNS1_3repE0EEENS1_30default_config_static_selectorELNS0_4arch9wavefront6targetE1EEEvSZ_
    .private_segment_fixed_size: 0
    .sgpr_count:     4
    .sgpr_spill_count: 0
    .symbol:         _ZN7rocprim17ROCPRIM_400000_NS6detail17trampoline_kernelINS0_13select_configILj256ELj13ELNS0_17block_load_methodE3ELS4_3ELS4_3ELNS0_20block_scan_algorithmE0ELj4294967295EEENS1_25partition_config_selectorILNS1_17partition_subalgoE4EjNS0_10empty_typeEbEEZZNS1_14partition_implILS8_4ELb0ES6_15HIP_vector_typeIjLj2EENS0_17counting_iteratorIjlEEPS9_SG_NS0_5tupleIJPjSI_NS0_16reverse_iteratorISI_EEEEENSH_IJSG_SG_SG_EEES9_SI_JZNS1_25segmented_radix_sort_implINS0_14default_configELb0EPKlPlSQ_SR_N2at6native12_GLOBAL__N_18offset_tEEE10hipError_tPvRmT1_PNSt15iterator_traitsISZ_E10value_typeET2_T3_PNS10_IS15_E10value_typeET4_jRbjT5_S1B_jjP12ihipStream_tbEUljE_ZNSN_ISO_Lb0ESQ_SR_SQ_SR_SV_EESW_SX_SY_SZ_S13_S14_S15_S18_S19_jS1A_jS1B_S1B_jjS1D_bEUljE0_EEESW_SX_SY_S15_S19_S1B_T6_T7_T9_mT8_S1D_bDpT10_ENKUlT_T0_E_clISt17integral_constantIbLb1EES1Q_IbLb0EEEEDaS1M_S1N_EUlS1M_E_NS1_11comp_targetILNS1_3genE3ELNS1_11target_archE908ELNS1_3gpuE7ELNS1_3repE0EEENS1_30default_config_static_selectorELNS0_4arch9wavefront6targetE1EEEvSZ_.kd
    .uniform_work_group_size: 1
    .uses_dynamic_stack: false
    .vgpr_count:     0
    .vgpr_spill_count: 0
    .wavefront_size: 64
  - .agpr_count:     0
    .args:
      - .offset:         0
        .size:           176
        .value_kind:     by_value
    .group_segment_fixed_size: 0
    .kernarg_segment_align: 8
    .kernarg_segment_size: 176
    .language:       OpenCL C
    .language_version:
      - 2
      - 0
    .max_flat_workgroup_size: 256
    .name:           _ZN7rocprim17ROCPRIM_400000_NS6detail17trampoline_kernelINS0_13select_configILj256ELj13ELNS0_17block_load_methodE3ELS4_3ELS4_3ELNS0_20block_scan_algorithmE0ELj4294967295EEENS1_25partition_config_selectorILNS1_17partition_subalgoE4EjNS0_10empty_typeEbEEZZNS1_14partition_implILS8_4ELb0ES6_15HIP_vector_typeIjLj2EENS0_17counting_iteratorIjlEEPS9_SG_NS0_5tupleIJPjSI_NS0_16reverse_iteratorISI_EEEEENSH_IJSG_SG_SG_EEES9_SI_JZNS1_25segmented_radix_sort_implINS0_14default_configELb0EPKlPlSQ_SR_N2at6native12_GLOBAL__N_18offset_tEEE10hipError_tPvRmT1_PNSt15iterator_traitsISZ_E10value_typeET2_T3_PNS10_IS15_E10value_typeET4_jRbjT5_S1B_jjP12ihipStream_tbEUljE_ZNSN_ISO_Lb0ESQ_SR_SQ_SR_SV_EESW_SX_SY_SZ_S13_S14_S15_S18_S19_jS1A_jS1B_S1B_jjS1D_bEUljE0_EEESW_SX_SY_S15_S19_S1B_T6_T7_T9_mT8_S1D_bDpT10_ENKUlT_T0_E_clISt17integral_constantIbLb1EES1Q_IbLb0EEEEDaS1M_S1N_EUlS1M_E_NS1_11comp_targetILNS1_3genE2ELNS1_11target_archE906ELNS1_3gpuE6ELNS1_3repE0EEENS1_30default_config_static_selectorELNS0_4arch9wavefront6targetE1EEEvSZ_
    .private_segment_fixed_size: 0
    .sgpr_count:     4
    .sgpr_spill_count: 0
    .symbol:         _ZN7rocprim17ROCPRIM_400000_NS6detail17trampoline_kernelINS0_13select_configILj256ELj13ELNS0_17block_load_methodE3ELS4_3ELS4_3ELNS0_20block_scan_algorithmE0ELj4294967295EEENS1_25partition_config_selectorILNS1_17partition_subalgoE4EjNS0_10empty_typeEbEEZZNS1_14partition_implILS8_4ELb0ES6_15HIP_vector_typeIjLj2EENS0_17counting_iteratorIjlEEPS9_SG_NS0_5tupleIJPjSI_NS0_16reverse_iteratorISI_EEEEENSH_IJSG_SG_SG_EEES9_SI_JZNS1_25segmented_radix_sort_implINS0_14default_configELb0EPKlPlSQ_SR_N2at6native12_GLOBAL__N_18offset_tEEE10hipError_tPvRmT1_PNSt15iterator_traitsISZ_E10value_typeET2_T3_PNS10_IS15_E10value_typeET4_jRbjT5_S1B_jjP12ihipStream_tbEUljE_ZNSN_ISO_Lb0ESQ_SR_SQ_SR_SV_EESW_SX_SY_SZ_S13_S14_S15_S18_S19_jS1A_jS1B_S1B_jjS1D_bEUljE0_EEESW_SX_SY_S15_S19_S1B_T6_T7_T9_mT8_S1D_bDpT10_ENKUlT_T0_E_clISt17integral_constantIbLb1EES1Q_IbLb0EEEEDaS1M_S1N_EUlS1M_E_NS1_11comp_targetILNS1_3genE2ELNS1_11target_archE906ELNS1_3gpuE6ELNS1_3repE0EEENS1_30default_config_static_selectorELNS0_4arch9wavefront6targetE1EEEvSZ_.kd
    .uniform_work_group_size: 1
    .uses_dynamic_stack: false
    .vgpr_count:     0
    .vgpr_spill_count: 0
    .wavefront_size: 64
  - .agpr_count:     0
    .args:
      - .offset:         0
        .size:           176
        .value_kind:     by_value
    .group_segment_fixed_size: 0
    .kernarg_segment_align: 8
    .kernarg_segment_size: 176
    .language:       OpenCL C
    .language_version:
      - 2
      - 0
    .max_flat_workgroup_size: 256
    .name:           _ZN7rocprim17ROCPRIM_400000_NS6detail17trampoline_kernelINS0_13select_configILj256ELj13ELNS0_17block_load_methodE3ELS4_3ELS4_3ELNS0_20block_scan_algorithmE0ELj4294967295EEENS1_25partition_config_selectorILNS1_17partition_subalgoE4EjNS0_10empty_typeEbEEZZNS1_14partition_implILS8_4ELb0ES6_15HIP_vector_typeIjLj2EENS0_17counting_iteratorIjlEEPS9_SG_NS0_5tupleIJPjSI_NS0_16reverse_iteratorISI_EEEEENSH_IJSG_SG_SG_EEES9_SI_JZNS1_25segmented_radix_sort_implINS0_14default_configELb0EPKlPlSQ_SR_N2at6native12_GLOBAL__N_18offset_tEEE10hipError_tPvRmT1_PNSt15iterator_traitsISZ_E10value_typeET2_T3_PNS10_IS15_E10value_typeET4_jRbjT5_S1B_jjP12ihipStream_tbEUljE_ZNSN_ISO_Lb0ESQ_SR_SQ_SR_SV_EESW_SX_SY_SZ_S13_S14_S15_S18_S19_jS1A_jS1B_S1B_jjS1D_bEUljE0_EEESW_SX_SY_S15_S19_S1B_T6_T7_T9_mT8_S1D_bDpT10_ENKUlT_T0_E_clISt17integral_constantIbLb1EES1Q_IbLb0EEEEDaS1M_S1N_EUlS1M_E_NS1_11comp_targetILNS1_3genE10ELNS1_11target_archE1200ELNS1_3gpuE4ELNS1_3repE0EEENS1_30default_config_static_selectorELNS0_4arch9wavefront6targetE1EEEvSZ_
    .private_segment_fixed_size: 0
    .sgpr_count:     4
    .sgpr_spill_count: 0
    .symbol:         _ZN7rocprim17ROCPRIM_400000_NS6detail17trampoline_kernelINS0_13select_configILj256ELj13ELNS0_17block_load_methodE3ELS4_3ELS4_3ELNS0_20block_scan_algorithmE0ELj4294967295EEENS1_25partition_config_selectorILNS1_17partition_subalgoE4EjNS0_10empty_typeEbEEZZNS1_14partition_implILS8_4ELb0ES6_15HIP_vector_typeIjLj2EENS0_17counting_iteratorIjlEEPS9_SG_NS0_5tupleIJPjSI_NS0_16reverse_iteratorISI_EEEEENSH_IJSG_SG_SG_EEES9_SI_JZNS1_25segmented_radix_sort_implINS0_14default_configELb0EPKlPlSQ_SR_N2at6native12_GLOBAL__N_18offset_tEEE10hipError_tPvRmT1_PNSt15iterator_traitsISZ_E10value_typeET2_T3_PNS10_IS15_E10value_typeET4_jRbjT5_S1B_jjP12ihipStream_tbEUljE_ZNSN_ISO_Lb0ESQ_SR_SQ_SR_SV_EESW_SX_SY_SZ_S13_S14_S15_S18_S19_jS1A_jS1B_S1B_jjS1D_bEUljE0_EEESW_SX_SY_S15_S19_S1B_T6_T7_T9_mT8_S1D_bDpT10_ENKUlT_T0_E_clISt17integral_constantIbLb1EES1Q_IbLb0EEEEDaS1M_S1N_EUlS1M_E_NS1_11comp_targetILNS1_3genE10ELNS1_11target_archE1200ELNS1_3gpuE4ELNS1_3repE0EEENS1_30default_config_static_selectorELNS0_4arch9wavefront6targetE1EEEvSZ_.kd
    .uniform_work_group_size: 1
    .uses_dynamic_stack: false
    .vgpr_count:     0
    .vgpr_spill_count: 0
    .wavefront_size: 64
  - .agpr_count:     0
    .args:
      - .offset:         0
        .size:           176
        .value_kind:     by_value
    .group_segment_fixed_size: 0
    .kernarg_segment_align: 8
    .kernarg_segment_size: 176
    .language:       OpenCL C
    .language_version:
      - 2
      - 0
    .max_flat_workgroup_size: 256
    .name:           _ZN7rocprim17ROCPRIM_400000_NS6detail17trampoline_kernelINS0_13select_configILj256ELj13ELNS0_17block_load_methodE3ELS4_3ELS4_3ELNS0_20block_scan_algorithmE0ELj4294967295EEENS1_25partition_config_selectorILNS1_17partition_subalgoE4EjNS0_10empty_typeEbEEZZNS1_14partition_implILS8_4ELb0ES6_15HIP_vector_typeIjLj2EENS0_17counting_iteratorIjlEEPS9_SG_NS0_5tupleIJPjSI_NS0_16reverse_iteratorISI_EEEEENSH_IJSG_SG_SG_EEES9_SI_JZNS1_25segmented_radix_sort_implINS0_14default_configELb0EPKlPlSQ_SR_N2at6native12_GLOBAL__N_18offset_tEEE10hipError_tPvRmT1_PNSt15iterator_traitsISZ_E10value_typeET2_T3_PNS10_IS15_E10value_typeET4_jRbjT5_S1B_jjP12ihipStream_tbEUljE_ZNSN_ISO_Lb0ESQ_SR_SQ_SR_SV_EESW_SX_SY_SZ_S13_S14_S15_S18_S19_jS1A_jS1B_S1B_jjS1D_bEUljE0_EEESW_SX_SY_S15_S19_S1B_T6_T7_T9_mT8_S1D_bDpT10_ENKUlT_T0_E_clISt17integral_constantIbLb1EES1Q_IbLb0EEEEDaS1M_S1N_EUlS1M_E_NS1_11comp_targetILNS1_3genE9ELNS1_11target_archE1100ELNS1_3gpuE3ELNS1_3repE0EEENS1_30default_config_static_selectorELNS0_4arch9wavefront6targetE1EEEvSZ_
    .private_segment_fixed_size: 0
    .sgpr_count:     4
    .sgpr_spill_count: 0
    .symbol:         _ZN7rocprim17ROCPRIM_400000_NS6detail17trampoline_kernelINS0_13select_configILj256ELj13ELNS0_17block_load_methodE3ELS4_3ELS4_3ELNS0_20block_scan_algorithmE0ELj4294967295EEENS1_25partition_config_selectorILNS1_17partition_subalgoE4EjNS0_10empty_typeEbEEZZNS1_14partition_implILS8_4ELb0ES6_15HIP_vector_typeIjLj2EENS0_17counting_iteratorIjlEEPS9_SG_NS0_5tupleIJPjSI_NS0_16reverse_iteratorISI_EEEEENSH_IJSG_SG_SG_EEES9_SI_JZNS1_25segmented_radix_sort_implINS0_14default_configELb0EPKlPlSQ_SR_N2at6native12_GLOBAL__N_18offset_tEEE10hipError_tPvRmT1_PNSt15iterator_traitsISZ_E10value_typeET2_T3_PNS10_IS15_E10value_typeET4_jRbjT5_S1B_jjP12ihipStream_tbEUljE_ZNSN_ISO_Lb0ESQ_SR_SQ_SR_SV_EESW_SX_SY_SZ_S13_S14_S15_S18_S19_jS1A_jS1B_S1B_jjS1D_bEUljE0_EEESW_SX_SY_S15_S19_S1B_T6_T7_T9_mT8_S1D_bDpT10_ENKUlT_T0_E_clISt17integral_constantIbLb1EES1Q_IbLb0EEEEDaS1M_S1N_EUlS1M_E_NS1_11comp_targetILNS1_3genE9ELNS1_11target_archE1100ELNS1_3gpuE3ELNS1_3repE0EEENS1_30default_config_static_selectorELNS0_4arch9wavefront6targetE1EEEvSZ_.kd
    .uniform_work_group_size: 1
    .uses_dynamic_stack: false
    .vgpr_count:     0
    .vgpr_spill_count: 0
    .wavefront_size: 64
  - .agpr_count:     0
    .args:
      - .offset:         0
        .size:           176
        .value_kind:     by_value
    .group_segment_fixed_size: 0
    .kernarg_segment_align: 8
    .kernarg_segment_size: 176
    .language:       OpenCL C
    .language_version:
      - 2
      - 0
    .max_flat_workgroup_size: 256
    .name:           _ZN7rocprim17ROCPRIM_400000_NS6detail17trampoline_kernelINS0_13select_configILj256ELj13ELNS0_17block_load_methodE3ELS4_3ELS4_3ELNS0_20block_scan_algorithmE0ELj4294967295EEENS1_25partition_config_selectorILNS1_17partition_subalgoE4EjNS0_10empty_typeEbEEZZNS1_14partition_implILS8_4ELb0ES6_15HIP_vector_typeIjLj2EENS0_17counting_iteratorIjlEEPS9_SG_NS0_5tupleIJPjSI_NS0_16reverse_iteratorISI_EEEEENSH_IJSG_SG_SG_EEES9_SI_JZNS1_25segmented_radix_sort_implINS0_14default_configELb0EPKlPlSQ_SR_N2at6native12_GLOBAL__N_18offset_tEEE10hipError_tPvRmT1_PNSt15iterator_traitsISZ_E10value_typeET2_T3_PNS10_IS15_E10value_typeET4_jRbjT5_S1B_jjP12ihipStream_tbEUljE_ZNSN_ISO_Lb0ESQ_SR_SQ_SR_SV_EESW_SX_SY_SZ_S13_S14_S15_S18_S19_jS1A_jS1B_S1B_jjS1D_bEUljE0_EEESW_SX_SY_S15_S19_S1B_T6_T7_T9_mT8_S1D_bDpT10_ENKUlT_T0_E_clISt17integral_constantIbLb1EES1Q_IbLb0EEEEDaS1M_S1N_EUlS1M_E_NS1_11comp_targetILNS1_3genE8ELNS1_11target_archE1030ELNS1_3gpuE2ELNS1_3repE0EEENS1_30default_config_static_selectorELNS0_4arch9wavefront6targetE1EEEvSZ_
    .private_segment_fixed_size: 0
    .sgpr_count:     4
    .sgpr_spill_count: 0
    .symbol:         _ZN7rocprim17ROCPRIM_400000_NS6detail17trampoline_kernelINS0_13select_configILj256ELj13ELNS0_17block_load_methodE3ELS4_3ELS4_3ELNS0_20block_scan_algorithmE0ELj4294967295EEENS1_25partition_config_selectorILNS1_17partition_subalgoE4EjNS0_10empty_typeEbEEZZNS1_14partition_implILS8_4ELb0ES6_15HIP_vector_typeIjLj2EENS0_17counting_iteratorIjlEEPS9_SG_NS0_5tupleIJPjSI_NS0_16reverse_iteratorISI_EEEEENSH_IJSG_SG_SG_EEES9_SI_JZNS1_25segmented_radix_sort_implINS0_14default_configELb0EPKlPlSQ_SR_N2at6native12_GLOBAL__N_18offset_tEEE10hipError_tPvRmT1_PNSt15iterator_traitsISZ_E10value_typeET2_T3_PNS10_IS15_E10value_typeET4_jRbjT5_S1B_jjP12ihipStream_tbEUljE_ZNSN_ISO_Lb0ESQ_SR_SQ_SR_SV_EESW_SX_SY_SZ_S13_S14_S15_S18_S19_jS1A_jS1B_S1B_jjS1D_bEUljE0_EEESW_SX_SY_S15_S19_S1B_T6_T7_T9_mT8_S1D_bDpT10_ENKUlT_T0_E_clISt17integral_constantIbLb1EES1Q_IbLb0EEEEDaS1M_S1N_EUlS1M_E_NS1_11comp_targetILNS1_3genE8ELNS1_11target_archE1030ELNS1_3gpuE2ELNS1_3repE0EEENS1_30default_config_static_selectorELNS0_4arch9wavefront6targetE1EEEvSZ_.kd
    .uniform_work_group_size: 1
    .uses_dynamic_stack: false
    .vgpr_count:     0
    .vgpr_spill_count: 0
    .wavefront_size: 64
  - .agpr_count:     0
    .args:
      - .offset:         0
        .size:           184
        .value_kind:     by_value
    .group_segment_fixed_size: 0
    .kernarg_segment_align: 8
    .kernarg_segment_size: 184
    .language:       OpenCL C
    .language_version:
      - 2
      - 0
    .max_flat_workgroup_size: 256
    .name:           _ZN7rocprim17ROCPRIM_400000_NS6detail17trampoline_kernelINS0_13select_configILj256ELj13ELNS0_17block_load_methodE3ELS4_3ELS4_3ELNS0_20block_scan_algorithmE0ELj4294967295EEENS1_25partition_config_selectorILNS1_17partition_subalgoE4EjNS0_10empty_typeEbEEZZNS1_14partition_implILS8_4ELb0ES6_15HIP_vector_typeIjLj2EENS0_17counting_iteratorIjlEEPS9_SG_NS0_5tupleIJPjSI_NS0_16reverse_iteratorISI_EEEEENSH_IJSG_SG_SG_EEES9_SI_JZNS1_25segmented_radix_sort_implINS0_14default_configELb0EPKlPlSQ_SR_N2at6native12_GLOBAL__N_18offset_tEEE10hipError_tPvRmT1_PNSt15iterator_traitsISZ_E10value_typeET2_T3_PNS10_IS15_E10value_typeET4_jRbjT5_S1B_jjP12ihipStream_tbEUljE_ZNSN_ISO_Lb0ESQ_SR_SQ_SR_SV_EESW_SX_SY_SZ_S13_S14_S15_S18_S19_jS1A_jS1B_S1B_jjS1D_bEUljE0_EEESW_SX_SY_S15_S19_S1B_T6_T7_T9_mT8_S1D_bDpT10_ENKUlT_T0_E_clISt17integral_constantIbLb0EES1Q_IbLb1EEEEDaS1M_S1N_EUlS1M_E_NS1_11comp_targetILNS1_3genE0ELNS1_11target_archE4294967295ELNS1_3gpuE0ELNS1_3repE0EEENS1_30default_config_static_selectorELNS0_4arch9wavefront6targetE1EEEvSZ_
    .private_segment_fixed_size: 0
    .sgpr_count:     4
    .sgpr_spill_count: 0
    .symbol:         _ZN7rocprim17ROCPRIM_400000_NS6detail17trampoline_kernelINS0_13select_configILj256ELj13ELNS0_17block_load_methodE3ELS4_3ELS4_3ELNS0_20block_scan_algorithmE0ELj4294967295EEENS1_25partition_config_selectorILNS1_17partition_subalgoE4EjNS0_10empty_typeEbEEZZNS1_14partition_implILS8_4ELb0ES6_15HIP_vector_typeIjLj2EENS0_17counting_iteratorIjlEEPS9_SG_NS0_5tupleIJPjSI_NS0_16reverse_iteratorISI_EEEEENSH_IJSG_SG_SG_EEES9_SI_JZNS1_25segmented_radix_sort_implINS0_14default_configELb0EPKlPlSQ_SR_N2at6native12_GLOBAL__N_18offset_tEEE10hipError_tPvRmT1_PNSt15iterator_traitsISZ_E10value_typeET2_T3_PNS10_IS15_E10value_typeET4_jRbjT5_S1B_jjP12ihipStream_tbEUljE_ZNSN_ISO_Lb0ESQ_SR_SQ_SR_SV_EESW_SX_SY_SZ_S13_S14_S15_S18_S19_jS1A_jS1B_S1B_jjS1D_bEUljE0_EEESW_SX_SY_S15_S19_S1B_T6_T7_T9_mT8_S1D_bDpT10_ENKUlT_T0_E_clISt17integral_constantIbLb0EES1Q_IbLb1EEEEDaS1M_S1N_EUlS1M_E_NS1_11comp_targetILNS1_3genE0ELNS1_11target_archE4294967295ELNS1_3gpuE0ELNS1_3repE0EEENS1_30default_config_static_selectorELNS0_4arch9wavefront6targetE1EEEvSZ_.kd
    .uniform_work_group_size: 1
    .uses_dynamic_stack: false
    .vgpr_count:     0
    .vgpr_spill_count: 0
    .wavefront_size: 64
  - .agpr_count:     0
    .args:
      - .offset:         0
        .size:           184
        .value_kind:     by_value
    .group_segment_fixed_size: 0
    .kernarg_segment_align: 8
    .kernarg_segment_size: 184
    .language:       OpenCL C
    .language_version:
      - 2
      - 0
    .max_flat_workgroup_size: 256
    .name:           _ZN7rocprim17ROCPRIM_400000_NS6detail17trampoline_kernelINS0_13select_configILj256ELj13ELNS0_17block_load_methodE3ELS4_3ELS4_3ELNS0_20block_scan_algorithmE0ELj4294967295EEENS1_25partition_config_selectorILNS1_17partition_subalgoE4EjNS0_10empty_typeEbEEZZNS1_14partition_implILS8_4ELb0ES6_15HIP_vector_typeIjLj2EENS0_17counting_iteratorIjlEEPS9_SG_NS0_5tupleIJPjSI_NS0_16reverse_iteratorISI_EEEEENSH_IJSG_SG_SG_EEES9_SI_JZNS1_25segmented_radix_sort_implINS0_14default_configELb0EPKlPlSQ_SR_N2at6native12_GLOBAL__N_18offset_tEEE10hipError_tPvRmT1_PNSt15iterator_traitsISZ_E10value_typeET2_T3_PNS10_IS15_E10value_typeET4_jRbjT5_S1B_jjP12ihipStream_tbEUljE_ZNSN_ISO_Lb0ESQ_SR_SQ_SR_SV_EESW_SX_SY_SZ_S13_S14_S15_S18_S19_jS1A_jS1B_S1B_jjS1D_bEUljE0_EEESW_SX_SY_S15_S19_S1B_T6_T7_T9_mT8_S1D_bDpT10_ENKUlT_T0_E_clISt17integral_constantIbLb0EES1Q_IbLb1EEEEDaS1M_S1N_EUlS1M_E_NS1_11comp_targetILNS1_3genE5ELNS1_11target_archE942ELNS1_3gpuE9ELNS1_3repE0EEENS1_30default_config_static_selectorELNS0_4arch9wavefront6targetE1EEEvSZ_
    .private_segment_fixed_size: 0
    .sgpr_count:     4
    .sgpr_spill_count: 0
    .symbol:         _ZN7rocprim17ROCPRIM_400000_NS6detail17trampoline_kernelINS0_13select_configILj256ELj13ELNS0_17block_load_methodE3ELS4_3ELS4_3ELNS0_20block_scan_algorithmE0ELj4294967295EEENS1_25partition_config_selectorILNS1_17partition_subalgoE4EjNS0_10empty_typeEbEEZZNS1_14partition_implILS8_4ELb0ES6_15HIP_vector_typeIjLj2EENS0_17counting_iteratorIjlEEPS9_SG_NS0_5tupleIJPjSI_NS0_16reverse_iteratorISI_EEEEENSH_IJSG_SG_SG_EEES9_SI_JZNS1_25segmented_radix_sort_implINS0_14default_configELb0EPKlPlSQ_SR_N2at6native12_GLOBAL__N_18offset_tEEE10hipError_tPvRmT1_PNSt15iterator_traitsISZ_E10value_typeET2_T3_PNS10_IS15_E10value_typeET4_jRbjT5_S1B_jjP12ihipStream_tbEUljE_ZNSN_ISO_Lb0ESQ_SR_SQ_SR_SV_EESW_SX_SY_SZ_S13_S14_S15_S18_S19_jS1A_jS1B_S1B_jjS1D_bEUljE0_EEESW_SX_SY_S15_S19_S1B_T6_T7_T9_mT8_S1D_bDpT10_ENKUlT_T0_E_clISt17integral_constantIbLb0EES1Q_IbLb1EEEEDaS1M_S1N_EUlS1M_E_NS1_11comp_targetILNS1_3genE5ELNS1_11target_archE942ELNS1_3gpuE9ELNS1_3repE0EEENS1_30default_config_static_selectorELNS0_4arch9wavefront6targetE1EEEvSZ_.kd
    .uniform_work_group_size: 1
    .uses_dynamic_stack: false
    .vgpr_count:     0
    .vgpr_spill_count: 0
    .wavefront_size: 64
  - .agpr_count:     0
    .args:
      - .offset:         0
        .size:           184
        .value_kind:     by_value
    .group_segment_fixed_size: 13340
    .kernarg_segment_align: 8
    .kernarg_segment_size: 184
    .language:       OpenCL C
    .language_version:
      - 2
      - 0
    .max_flat_workgroup_size: 256
    .name:           _ZN7rocprim17ROCPRIM_400000_NS6detail17trampoline_kernelINS0_13select_configILj256ELj13ELNS0_17block_load_methodE3ELS4_3ELS4_3ELNS0_20block_scan_algorithmE0ELj4294967295EEENS1_25partition_config_selectorILNS1_17partition_subalgoE4EjNS0_10empty_typeEbEEZZNS1_14partition_implILS8_4ELb0ES6_15HIP_vector_typeIjLj2EENS0_17counting_iteratorIjlEEPS9_SG_NS0_5tupleIJPjSI_NS0_16reverse_iteratorISI_EEEEENSH_IJSG_SG_SG_EEES9_SI_JZNS1_25segmented_radix_sort_implINS0_14default_configELb0EPKlPlSQ_SR_N2at6native12_GLOBAL__N_18offset_tEEE10hipError_tPvRmT1_PNSt15iterator_traitsISZ_E10value_typeET2_T3_PNS10_IS15_E10value_typeET4_jRbjT5_S1B_jjP12ihipStream_tbEUljE_ZNSN_ISO_Lb0ESQ_SR_SQ_SR_SV_EESW_SX_SY_SZ_S13_S14_S15_S18_S19_jS1A_jS1B_S1B_jjS1D_bEUljE0_EEESW_SX_SY_S15_S19_S1B_T6_T7_T9_mT8_S1D_bDpT10_ENKUlT_T0_E_clISt17integral_constantIbLb0EES1Q_IbLb1EEEEDaS1M_S1N_EUlS1M_E_NS1_11comp_targetILNS1_3genE4ELNS1_11target_archE910ELNS1_3gpuE8ELNS1_3repE0EEENS1_30default_config_static_selectorELNS0_4arch9wavefront6targetE1EEEvSZ_
    .private_segment_fixed_size: 0
    .sgpr_count:     91
    .sgpr_spill_count: 0
    .symbol:         _ZN7rocprim17ROCPRIM_400000_NS6detail17trampoline_kernelINS0_13select_configILj256ELj13ELNS0_17block_load_methodE3ELS4_3ELS4_3ELNS0_20block_scan_algorithmE0ELj4294967295EEENS1_25partition_config_selectorILNS1_17partition_subalgoE4EjNS0_10empty_typeEbEEZZNS1_14partition_implILS8_4ELb0ES6_15HIP_vector_typeIjLj2EENS0_17counting_iteratorIjlEEPS9_SG_NS0_5tupleIJPjSI_NS0_16reverse_iteratorISI_EEEEENSH_IJSG_SG_SG_EEES9_SI_JZNS1_25segmented_radix_sort_implINS0_14default_configELb0EPKlPlSQ_SR_N2at6native12_GLOBAL__N_18offset_tEEE10hipError_tPvRmT1_PNSt15iterator_traitsISZ_E10value_typeET2_T3_PNS10_IS15_E10value_typeET4_jRbjT5_S1B_jjP12ihipStream_tbEUljE_ZNSN_ISO_Lb0ESQ_SR_SQ_SR_SV_EESW_SX_SY_SZ_S13_S14_S15_S18_S19_jS1A_jS1B_S1B_jjS1D_bEUljE0_EEESW_SX_SY_S15_S19_S1B_T6_T7_T9_mT8_S1D_bDpT10_ENKUlT_T0_E_clISt17integral_constantIbLb0EES1Q_IbLb1EEEEDaS1M_S1N_EUlS1M_E_NS1_11comp_targetILNS1_3genE4ELNS1_11target_archE910ELNS1_3gpuE8ELNS1_3repE0EEENS1_30default_config_static_selectorELNS0_4arch9wavefront6targetE1EEEvSZ_.kd
    .uniform_work_group_size: 1
    .uses_dynamic_stack: false
    .vgpr_count:     107
    .vgpr_spill_count: 0
    .wavefront_size: 64
  - .agpr_count:     0
    .args:
      - .offset:         0
        .size:           184
        .value_kind:     by_value
    .group_segment_fixed_size: 0
    .kernarg_segment_align: 8
    .kernarg_segment_size: 184
    .language:       OpenCL C
    .language_version:
      - 2
      - 0
    .max_flat_workgroup_size: 256
    .name:           _ZN7rocprim17ROCPRIM_400000_NS6detail17trampoline_kernelINS0_13select_configILj256ELj13ELNS0_17block_load_methodE3ELS4_3ELS4_3ELNS0_20block_scan_algorithmE0ELj4294967295EEENS1_25partition_config_selectorILNS1_17partition_subalgoE4EjNS0_10empty_typeEbEEZZNS1_14partition_implILS8_4ELb0ES6_15HIP_vector_typeIjLj2EENS0_17counting_iteratorIjlEEPS9_SG_NS0_5tupleIJPjSI_NS0_16reverse_iteratorISI_EEEEENSH_IJSG_SG_SG_EEES9_SI_JZNS1_25segmented_radix_sort_implINS0_14default_configELb0EPKlPlSQ_SR_N2at6native12_GLOBAL__N_18offset_tEEE10hipError_tPvRmT1_PNSt15iterator_traitsISZ_E10value_typeET2_T3_PNS10_IS15_E10value_typeET4_jRbjT5_S1B_jjP12ihipStream_tbEUljE_ZNSN_ISO_Lb0ESQ_SR_SQ_SR_SV_EESW_SX_SY_SZ_S13_S14_S15_S18_S19_jS1A_jS1B_S1B_jjS1D_bEUljE0_EEESW_SX_SY_S15_S19_S1B_T6_T7_T9_mT8_S1D_bDpT10_ENKUlT_T0_E_clISt17integral_constantIbLb0EES1Q_IbLb1EEEEDaS1M_S1N_EUlS1M_E_NS1_11comp_targetILNS1_3genE3ELNS1_11target_archE908ELNS1_3gpuE7ELNS1_3repE0EEENS1_30default_config_static_selectorELNS0_4arch9wavefront6targetE1EEEvSZ_
    .private_segment_fixed_size: 0
    .sgpr_count:     4
    .sgpr_spill_count: 0
    .symbol:         _ZN7rocprim17ROCPRIM_400000_NS6detail17trampoline_kernelINS0_13select_configILj256ELj13ELNS0_17block_load_methodE3ELS4_3ELS4_3ELNS0_20block_scan_algorithmE0ELj4294967295EEENS1_25partition_config_selectorILNS1_17partition_subalgoE4EjNS0_10empty_typeEbEEZZNS1_14partition_implILS8_4ELb0ES6_15HIP_vector_typeIjLj2EENS0_17counting_iteratorIjlEEPS9_SG_NS0_5tupleIJPjSI_NS0_16reverse_iteratorISI_EEEEENSH_IJSG_SG_SG_EEES9_SI_JZNS1_25segmented_radix_sort_implINS0_14default_configELb0EPKlPlSQ_SR_N2at6native12_GLOBAL__N_18offset_tEEE10hipError_tPvRmT1_PNSt15iterator_traitsISZ_E10value_typeET2_T3_PNS10_IS15_E10value_typeET4_jRbjT5_S1B_jjP12ihipStream_tbEUljE_ZNSN_ISO_Lb0ESQ_SR_SQ_SR_SV_EESW_SX_SY_SZ_S13_S14_S15_S18_S19_jS1A_jS1B_S1B_jjS1D_bEUljE0_EEESW_SX_SY_S15_S19_S1B_T6_T7_T9_mT8_S1D_bDpT10_ENKUlT_T0_E_clISt17integral_constantIbLb0EES1Q_IbLb1EEEEDaS1M_S1N_EUlS1M_E_NS1_11comp_targetILNS1_3genE3ELNS1_11target_archE908ELNS1_3gpuE7ELNS1_3repE0EEENS1_30default_config_static_selectorELNS0_4arch9wavefront6targetE1EEEvSZ_.kd
    .uniform_work_group_size: 1
    .uses_dynamic_stack: false
    .vgpr_count:     0
    .vgpr_spill_count: 0
    .wavefront_size: 64
  - .agpr_count:     0
    .args:
      - .offset:         0
        .size:           184
        .value_kind:     by_value
    .group_segment_fixed_size: 0
    .kernarg_segment_align: 8
    .kernarg_segment_size: 184
    .language:       OpenCL C
    .language_version:
      - 2
      - 0
    .max_flat_workgroup_size: 256
    .name:           _ZN7rocprim17ROCPRIM_400000_NS6detail17trampoline_kernelINS0_13select_configILj256ELj13ELNS0_17block_load_methodE3ELS4_3ELS4_3ELNS0_20block_scan_algorithmE0ELj4294967295EEENS1_25partition_config_selectorILNS1_17partition_subalgoE4EjNS0_10empty_typeEbEEZZNS1_14partition_implILS8_4ELb0ES6_15HIP_vector_typeIjLj2EENS0_17counting_iteratorIjlEEPS9_SG_NS0_5tupleIJPjSI_NS0_16reverse_iteratorISI_EEEEENSH_IJSG_SG_SG_EEES9_SI_JZNS1_25segmented_radix_sort_implINS0_14default_configELb0EPKlPlSQ_SR_N2at6native12_GLOBAL__N_18offset_tEEE10hipError_tPvRmT1_PNSt15iterator_traitsISZ_E10value_typeET2_T3_PNS10_IS15_E10value_typeET4_jRbjT5_S1B_jjP12ihipStream_tbEUljE_ZNSN_ISO_Lb0ESQ_SR_SQ_SR_SV_EESW_SX_SY_SZ_S13_S14_S15_S18_S19_jS1A_jS1B_S1B_jjS1D_bEUljE0_EEESW_SX_SY_S15_S19_S1B_T6_T7_T9_mT8_S1D_bDpT10_ENKUlT_T0_E_clISt17integral_constantIbLb0EES1Q_IbLb1EEEEDaS1M_S1N_EUlS1M_E_NS1_11comp_targetILNS1_3genE2ELNS1_11target_archE906ELNS1_3gpuE6ELNS1_3repE0EEENS1_30default_config_static_selectorELNS0_4arch9wavefront6targetE1EEEvSZ_
    .private_segment_fixed_size: 0
    .sgpr_count:     4
    .sgpr_spill_count: 0
    .symbol:         _ZN7rocprim17ROCPRIM_400000_NS6detail17trampoline_kernelINS0_13select_configILj256ELj13ELNS0_17block_load_methodE3ELS4_3ELS4_3ELNS0_20block_scan_algorithmE0ELj4294967295EEENS1_25partition_config_selectorILNS1_17partition_subalgoE4EjNS0_10empty_typeEbEEZZNS1_14partition_implILS8_4ELb0ES6_15HIP_vector_typeIjLj2EENS0_17counting_iteratorIjlEEPS9_SG_NS0_5tupleIJPjSI_NS0_16reverse_iteratorISI_EEEEENSH_IJSG_SG_SG_EEES9_SI_JZNS1_25segmented_radix_sort_implINS0_14default_configELb0EPKlPlSQ_SR_N2at6native12_GLOBAL__N_18offset_tEEE10hipError_tPvRmT1_PNSt15iterator_traitsISZ_E10value_typeET2_T3_PNS10_IS15_E10value_typeET4_jRbjT5_S1B_jjP12ihipStream_tbEUljE_ZNSN_ISO_Lb0ESQ_SR_SQ_SR_SV_EESW_SX_SY_SZ_S13_S14_S15_S18_S19_jS1A_jS1B_S1B_jjS1D_bEUljE0_EEESW_SX_SY_S15_S19_S1B_T6_T7_T9_mT8_S1D_bDpT10_ENKUlT_T0_E_clISt17integral_constantIbLb0EES1Q_IbLb1EEEEDaS1M_S1N_EUlS1M_E_NS1_11comp_targetILNS1_3genE2ELNS1_11target_archE906ELNS1_3gpuE6ELNS1_3repE0EEENS1_30default_config_static_selectorELNS0_4arch9wavefront6targetE1EEEvSZ_.kd
    .uniform_work_group_size: 1
    .uses_dynamic_stack: false
    .vgpr_count:     0
    .vgpr_spill_count: 0
    .wavefront_size: 64
  - .agpr_count:     0
    .args:
      - .offset:         0
        .size:           184
        .value_kind:     by_value
    .group_segment_fixed_size: 0
    .kernarg_segment_align: 8
    .kernarg_segment_size: 184
    .language:       OpenCL C
    .language_version:
      - 2
      - 0
    .max_flat_workgroup_size: 256
    .name:           _ZN7rocprim17ROCPRIM_400000_NS6detail17trampoline_kernelINS0_13select_configILj256ELj13ELNS0_17block_load_methodE3ELS4_3ELS4_3ELNS0_20block_scan_algorithmE0ELj4294967295EEENS1_25partition_config_selectorILNS1_17partition_subalgoE4EjNS0_10empty_typeEbEEZZNS1_14partition_implILS8_4ELb0ES6_15HIP_vector_typeIjLj2EENS0_17counting_iteratorIjlEEPS9_SG_NS0_5tupleIJPjSI_NS0_16reverse_iteratorISI_EEEEENSH_IJSG_SG_SG_EEES9_SI_JZNS1_25segmented_radix_sort_implINS0_14default_configELb0EPKlPlSQ_SR_N2at6native12_GLOBAL__N_18offset_tEEE10hipError_tPvRmT1_PNSt15iterator_traitsISZ_E10value_typeET2_T3_PNS10_IS15_E10value_typeET4_jRbjT5_S1B_jjP12ihipStream_tbEUljE_ZNSN_ISO_Lb0ESQ_SR_SQ_SR_SV_EESW_SX_SY_SZ_S13_S14_S15_S18_S19_jS1A_jS1B_S1B_jjS1D_bEUljE0_EEESW_SX_SY_S15_S19_S1B_T6_T7_T9_mT8_S1D_bDpT10_ENKUlT_T0_E_clISt17integral_constantIbLb0EES1Q_IbLb1EEEEDaS1M_S1N_EUlS1M_E_NS1_11comp_targetILNS1_3genE10ELNS1_11target_archE1200ELNS1_3gpuE4ELNS1_3repE0EEENS1_30default_config_static_selectorELNS0_4arch9wavefront6targetE1EEEvSZ_
    .private_segment_fixed_size: 0
    .sgpr_count:     4
    .sgpr_spill_count: 0
    .symbol:         _ZN7rocprim17ROCPRIM_400000_NS6detail17trampoline_kernelINS0_13select_configILj256ELj13ELNS0_17block_load_methodE3ELS4_3ELS4_3ELNS0_20block_scan_algorithmE0ELj4294967295EEENS1_25partition_config_selectorILNS1_17partition_subalgoE4EjNS0_10empty_typeEbEEZZNS1_14partition_implILS8_4ELb0ES6_15HIP_vector_typeIjLj2EENS0_17counting_iteratorIjlEEPS9_SG_NS0_5tupleIJPjSI_NS0_16reverse_iteratorISI_EEEEENSH_IJSG_SG_SG_EEES9_SI_JZNS1_25segmented_radix_sort_implINS0_14default_configELb0EPKlPlSQ_SR_N2at6native12_GLOBAL__N_18offset_tEEE10hipError_tPvRmT1_PNSt15iterator_traitsISZ_E10value_typeET2_T3_PNS10_IS15_E10value_typeET4_jRbjT5_S1B_jjP12ihipStream_tbEUljE_ZNSN_ISO_Lb0ESQ_SR_SQ_SR_SV_EESW_SX_SY_SZ_S13_S14_S15_S18_S19_jS1A_jS1B_S1B_jjS1D_bEUljE0_EEESW_SX_SY_S15_S19_S1B_T6_T7_T9_mT8_S1D_bDpT10_ENKUlT_T0_E_clISt17integral_constantIbLb0EES1Q_IbLb1EEEEDaS1M_S1N_EUlS1M_E_NS1_11comp_targetILNS1_3genE10ELNS1_11target_archE1200ELNS1_3gpuE4ELNS1_3repE0EEENS1_30default_config_static_selectorELNS0_4arch9wavefront6targetE1EEEvSZ_.kd
    .uniform_work_group_size: 1
    .uses_dynamic_stack: false
    .vgpr_count:     0
    .vgpr_spill_count: 0
    .wavefront_size: 64
  - .agpr_count:     0
    .args:
      - .offset:         0
        .size:           184
        .value_kind:     by_value
    .group_segment_fixed_size: 0
    .kernarg_segment_align: 8
    .kernarg_segment_size: 184
    .language:       OpenCL C
    .language_version:
      - 2
      - 0
    .max_flat_workgroup_size: 256
    .name:           _ZN7rocprim17ROCPRIM_400000_NS6detail17trampoline_kernelINS0_13select_configILj256ELj13ELNS0_17block_load_methodE3ELS4_3ELS4_3ELNS0_20block_scan_algorithmE0ELj4294967295EEENS1_25partition_config_selectorILNS1_17partition_subalgoE4EjNS0_10empty_typeEbEEZZNS1_14partition_implILS8_4ELb0ES6_15HIP_vector_typeIjLj2EENS0_17counting_iteratorIjlEEPS9_SG_NS0_5tupleIJPjSI_NS0_16reverse_iteratorISI_EEEEENSH_IJSG_SG_SG_EEES9_SI_JZNS1_25segmented_radix_sort_implINS0_14default_configELb0EPKlPlSQ_SR_N2at6native12_GLOBAL__N_18offset_tEEE10hipError_tPvRmT1_PNSt15iterator_traitsISZ_E10value_typeET2_T3_PNS10_IS15_E10value_typeET4_jRbjT5_S1B_jjP12ihipStream_tbEUljE_ZNSN_ISO_Lb0ESQ_SR_SQ_SR_SV_EESW_SX_SY_SZ_S13_S14_S15_S18_S19_jS1A_jS1B_S1B_jjS1D_bEUljE0_EEESW_SX_SY_S15_S19_S1B_T6_T7_T9_mT8_S1D_bDpT10_ENKUlT_T0_E_clISt17integral_constantIbLb0EES1Q_IbLb1EEEEDaS1M_S1N_EUlS1M_E_NS1_11comp_targetILNS1_3genE9ELNS1_11target_archE1100ELNS1_3gpuE3ELNS1_3repE0EEENS1_30default_config_static_selectorELNS0_4arch9wavefront6targetE1EEEvSZ_
    .private_segment_fixed_size: 0
    .sgpr_count:     4
    .sgpr_spill_count: 0
    .symbol:         _ZN7rocprim17ROCPRIM_400000_NS6detail17trampoline_kernelINS0_13select_configILj256ELj13ELNS0_17block_load_methodE3ELS4_3ELS4_3ELNS0_20block_scan_algorithmE0ELj4294967295EEENS1_25partition_config_selectorILNS1_17partition_subalgoE4EjNS0_10empty_typeEbEEZZNS1_14partition_implILS8_4ELb0ES6_15HIP_vector_typeIjLj2EENS0_17counting_iteratorIjlEEPS9_SG_NS0_5tupleIJPjSI_NS0_16reverse_iteratorISI_EEEEENSH_IJSG_SG_SG_EEES9_SI_JZNS1_25segmented_radix_sort_implINS0_14default_configELb0EPKlPlSQ_SR_N2at6native12_GLOBAL__N_18offset_tEEE10hipError_tPvRmT1_PNSt15iterator_traitsISZ_E10value_typeET2_T3_PNS10_IS15_E10value_typeET4_jRbjT5_S1B_jjP12ihipStream_tbEUljE_ZNSN_ISO_Lb0ESQ_SR_SQ_SR_SV_EESW_SX_SY_SZ_S13_S14_S15_S18_S19_jS1A_jS1B_S1B_jjS1D_bEUljE0_EEESW_SX_SY_S15_S19_S1B_T6_T7_T9_mT8_S1D_bDpT10_ENKUlT_T0_E_clISt17integral_constantIbLb0EES1Q_IbLb1EEEEDaS1M_S1N_EUlS1M_E_NS1_11comp_targetILNS1_3genE9ELNS1_11target_archE1100ELNS1_3gpuE3ELNS1_3repE0EEENS1_30default_config_static_selectorELNS0_4arch9wavefront6targetE1EEEvSZ_.kd
    .uniform_work_group_size: 1
    .uses_dynamic_stack: false
    .vgpr_count:     0
    .vgpr_spill_count: 0
    .wavefront_size: 64
  - .agpr_count:     0
    .args:
      - .offset:         0
        .size:           184
        .value_kind:     by_value
    .group_segment_fixed_size: 0
    .kernarg_segment_align: 8
    .kernarg_segment_size: 184
    .language:       OpenCL C
    .language_version:
      - 2
      - 0
    .max_flat_workgroup_size: 256
    .name:           _ZN7rocprim17ROCPRIM_400000_NS6detail17trampoline_kernelINS0_13select_configILj256ELj13ELNS0_17block_load_methodE3ELS4_3ELS4_3ELNS0_20block_scan_algorithmE0ELj4294967295EEENS1_25partition_config_selectorILNS1_17partition_subalgoE4EjNS0_10empty_typeEbEEZZNS1_14partition_implILS8_4ELb0ES6_15HIP_vector_typeIjLj2EENS0_17counting_iteratorIjlEEPS9_SG_NS0_5tupleIJPjSI_NS0_16reverse_iteratorISI_EEEEENSH_IJSG_SG_SG_EEES9_SI_JZNS1_25segmented_radix_sort_implINS0_14default_configELb0EPKlPlSQ_SR_N2at6native12_GLOBAL__N_18offset_tEEE10hipError_tPvRmT1_PNSt15iterator_traitsISZ_E10value_typeET2_T3_PNS10_IS15_E10value_typeET4_jRbjT5_S1B_jjP12ihipStream_tbEUljE_ZNSN_ISO_Lb0ESQ_SR_SQ_SR_SV_EESW_SX_SY_SZ_S13_S14_S15_S18_S19_jS1A_jS1B_S1B_jjS1D_bEUljE0_EEESW_SX_SY_S15_S19_S1B_T6_T7_T9_mT8_S1D_bDpT10_ENKUlT_T0_E_clISt17integral_constantIbLb0EES1Q_IbLb1EEEEDaS1M_S1N_EUlS1M_E_NS1_11comp_targetILNS1_3genE8ELNS1_11target_archE1030ELNS1_3gpuE2ELNS1_3repE0EEENS1_30default_config_static_selectorELNS0_4arch9wavefront6targetE1EEEvSZ_
    .private_segment_fixed_size: 0
    .sgpr_count:     4
    .sgpr_spill_count: 0
    .symbol:         _ZN7rocprim17ROCPRIM_400000_NS6detail17trampoline_kernelINS0_13select_configILj256ELj13ELNS0_17block_load_methodE3ELS4_3ELS4_3ELNS0_20block_scan_algorithmE0ELj4294967295EEENS1_25partition_config_selectorILNS1_17partition_subalgoE4EjNS0_10empty_typeEbEEZZNS1_14partition_implILS8_4ELb0ES6_15HIP_vector_typeIjLj2EENS0_17counting_iteratorIjlEEPS9_SG_NS0_5tupleIJPjSI_NS0_16reverse_iteratorISI_EEEEENSH_IJSG_SG_SG_EEES9_SI_JZNS1_25segmented_radix_sort_implINS0_14default_configELb0EPKlPlSQ_SR_N2at6native12_GLOBAL__N_18offset_tEEE10hipError_tPvRmT1_PNSt15iterator_traitsISZ_E10value_typeET2_T3_PNS10_IS15_E10value_typeET4_jRbjT5_S1B_jjP12ihipStream_tbEUljE_ZNSN_ISO_Lb0ESQ_SR_SQ_SR_SV_EESW_SX_SY_SZ_S13_S14_S15_S18_S19_jS1A_jS1B_S1B_jjS1D_bEUljE0_EEESW_SX_SY_S15_S19_S1B_T6_T7_T9_mT8_S1D_bDpT10_ENKUlT_T0_E_clISt17integral_constantIbLb0EES1Q_IbLb1EEEEDaS1M_S1N_EUlS1M_E_NS1_11comp_targetILNS1_3genE8ELNS1_11target_archE1030ELNS1_3gpuE2ELNS1_3repE0EEENS1_30default_config_static_selectorELNS0_4arch9wavefront6targetE1EEEvSZ_.kd
    .uniform_work_group_size: 1
    .uses_dynamic_stack: false
    .vgpr_count:     0
    .vgpr_spill_count: 0
    .wavefront_size: 64
  - .agpr_count:     0
    .args:
      - .offset:         0
        .size:           144
        .value_kind:     by_value
    .group_segment_fixed_size: 0
    .kernarg_segment_align: 8
    .kernarg_segment_size: 144
    .language:       OpenCL C
    .language_version:
      - 2
      - 0
    .max_flat_workgroup_size: 256
    .name:           _ZN7rocprim17ROCPRIM_400000_NS6detail17trampoline_kernelINS0_13select_configILj256ELj13ELNS0_17block_load_methodE3ELS4_3ELS4_3ELNS0_20block_scan_algorithmE0ELj4294967295EEENS1_25partition_config_selectorILNS1_17partition_subalgoE3EjNS0_10empty_typeEbEEZZNS1_14partition_implILS8_3ELb0ES6_jNS0_17counting_iteratorIjlEEPS9_SE_NS0_5tupleIJPjSE_EEENSF_IJSE_SE_EEES9_SG_JZNS1_25segmented_radix_sort_implINS0_14default_configELb0EPKlPlSM_SN_N2at6native12_GLOBAL__N_18offset_tEEE10hipError_tPvRmT1_PNSt15iterator_traitsISV_E10value_typeET2_T3_PNSW_IS11_E10value_typeET4_jRbjT5_S17_jjP12ihipStream_tbEUljE_EEESS_ST_SU_S11_S15_S17_T6_T7_T9_mT8_S19_bDpT10_ENKUlT_T0_E_clISt17integral_constantIbLb0EES1M_EEDaS1H_S1I_EUlS1H_E_NS1_11comp_targetILNS1_3genE0ELNS1_11target_archE4294967295ELNS1_3gpuE0ELNS1_3repE0EEENS1_30default_config_static_selectorELNS0_4arch9wavefront6targetE1EEEvSV_
    .private_segment_fixed_size: 0
    .sgpr_count:     4
    .sgpr_spill_count: 0
    .symbol:         _ZN7rocprim17ROCPRIM_400000_NS6detail17trampoline_kernelINS0_13select_configILj256ELj13ELNS0_17block_load_methodE3ELS4_3ELS4_3ELNS0_20block_scan_algorithmE0ELj4294967295EEENS1_25partition_config_selectorILNS1_17partition_subalgoE3EjNS0_10empty_typeEbEEZZNS1_14partition_implILS8_3ELb0ES6_jNS0_17counting_iteratorIjlEEPS9_SE_NS0_5tupleIJPjSE_EEENSF_IJSE_SE_EEES9_SG_JZNS1_25segmented_radix_sort_implINS0_14default_configELb0EPKlPlSM_SN_N2at6native12_GLOBAL__N_18offset_tEEE10hipError_tPvRmT1_PNSt15iterator_traitsISV_E10value_typeET2_T3_PNSW_IS11_E10value_typeET4_jRbjT5_S17_jjP12ihipStream_tbEUljE_EEESS_ST_SU_S11_S15_S17_T6_T7_T9_mT8_S19_bDpT10_ENKUlT_T0_E_clISt17integral_constantIbLb0EES1M_EEDaS1H_S1I_EUlS1H_E_NS1_11comp_targetILNS1_3genE0ELNS1_11target_archE4294967295ELNS1_3gpuE0ELNS1_3repE0EEENS1_30default_config_static_selectorELNS0_4arch9wavefront6targetE1EEEvSV_.kd
    .uniform_work_group_size: 1
    .uses_dynamic_stack: false
    .vgpr_count:     0
    .vgpr_spill_count: 0
    .wavefront_size: 64
  - .agpr_count:     0
    .args:
      - .offset:         0
        .size:           144
        .value_kind:     by_value
    .group_segment_fixed_size: 0
    .kernarg_segment_align: 8
    .kernarg_segment_size: 144
    .language:       OpenCL C
    .language_version:
      - 2
      - 0
    .max_flat_workgroup_size: 256
    .name:           _ZN7rocprim17ROCPRIM_400000_NS6detail17trampoline_kernelINS0_13select_configILj256ELj13ELNS0_17block_load_methodE3ELS4_3ELS4_3ELNS0_20block_scan_algorithmE0ELj4294967295EEENS1_25partition_config_selectorILNS1_17partition_subalgoE3EjNS0_10empty_typeEbEEZZNS1_14partition_implILS8_3ELb0ES6_jNS0_17counting_iteratorIjlEEPS9_SE_NS0_5tupleIJPjSE_EEENSF_IJSE_SE_EEES9_SG_JZNS1_25segmented_radix_sort_implINS0_14default_configELb0EPKlPlSM_SN_N2at6native12_GLOBAL__N_18offset_tEEE10hipError_tPvRmT1_PNSt15iterator_traitsISV_E10value_typeET2_T3_PNSW_IS11_E10value_typeET4_jRbjT5_S17_jjP12ihipStream_tbEUljE_EEESS_ST_SU_S11_S15_S17_T6_T7_T9_mT8_S19_bDpT10_ENKUlT_T0_E_clISt17integral_constantIbLb0EES1M_EEDaS1H_S1I_EUlS1H_E_NS1_11comp_targetILNS1_3genE5ELNS1_11target_archE942ELNS1_3gpuE9ELNS1_3repE0EEENS1_30default_config_static_selectorELNS0_4arch9wavefront6targetE1EEEvSV_
    .private_segment_fixed_size: 0
    .sgpr_count:     4
    .sgpr_spill_count: 0
    .symbol:         _ZN7rocprim17ROCPRIM_400000_NS6detail17trampoline_kernelINS0_13select_configILj256ELj13ELNS0_17block_load_methodE3ELS4_3ELS4_3ELNS0_20block_scan_algorithmE0ELj4294967295EEENS1_25partition_config_selectorILNS1_17partition_subalgoE3EjNS0_10empty_typeEbEEZZNS1_14partition_implILS8_3ELb0ES6_jNS0_17counting_iteratorIjlEEPS9_SE_NS0_5tupleIJPjSE_EEENSF_IJSE_SE_EEES9_SG_JZNS1_25segmented_radix_sort_implINS0_14default_configELb0EPKlPlSM_SN_N2at6native12_GLOBAL__N_18offset_tEEE10hipError_tPvRmT1_PNSt15iterator_traitsISV_E10value_typeET2_T3_PNSW_IS11_E10value_typeET4_jRbjT5_S17_jjP12ihipStream_tbEUljE_EEESS_ST_SU_S11_S15_S17_T6_T7_T9_mT8_S19_bDpT10_ENKUlT_T0_E_clISt17integral_constantIbLb0EES1M_EEDaS1H_S1I_EUlS1H_E_NS1_11comp_targetILNS1_3genE5ELNS1_11target_archE942ELNS1_3gpuE9ELNS1_3repE0EEENS1_30default_config_static_selectorELNS0_4arch9wavefront6targetE1EEEvSV_.kd
    .uniform_work_group_size: 1
    .uses_dynamic_stack: false
    .vgpr_count:     0
    .vgpr_spill_count: 0
    .wavefront_size: 64
  - .agpr_count:     0
    .args:
      - .offset:         0
        .size:           144
        .value_kind:     by_value
    .group_segment_fixed_size: 13324
    .kernarg_segment_align: 8
    .kernarg_segment_size: 144
    .language:       OpenCL C
    .language_version:
      - 2
      - 0
    .max_flat_workgroup_size: 256
    .name:           _ZN7rocprim17ROCPRIM_400000_NS6detail17trampoline_kernelINS0_13select_configILj256ELj13ELNS0_17block_load_methodE3ELS4_3ELS4_3ELNS0_20block_scan_algorithmE0ELj4294967295EEENS1_25partition_config_selectorILNS1_17partition_subalgoE3EjNS0_10empty_typeEbEEZZNS1_14partition_implILS8_3ELb0ES6_jNS0_17counting_iteratorIjlEEPS9_SE_NS0_5tupleIJPjSE_EEENSF_IJSE_SE_EEES9_SG_JZNS1_25segmented_radix_sort_implINS0_14default_configELb0EPKlPlSM_SN_N2at6native12_GLOBAL__N_18offset_tEEE10hipError_tPvRmT1_PNSt15iterator_traitsISV_E10value_typeET2_T3_PNSW_IS11_E10value_typeET4_jRbjT5_S17_jjP12ihipStream_tbEUljE_EEESS_ST_SU_S11_S15_S17_T6_T7_T9_mT8_S19_bDpT10_ENKUlT_T0_E_clISt17integral_constantIbLb0EES1M_EEDaS1H_S1I_EUlS1H_E_NS1_11comp_targetILNS1_3genE4ELNS1_11target_archE910ELNS1_3gpuE8ELNS1_3repE0EEENS1_30default_config_static_selectorELNS0_4arch9wavefront6targetE1EEEvSV_
    .private_segment_fixed_size: 0
    .sgpr_count:     50
    .sgpr_spill_count: 0
    .symbol:         _ZN7rocprim17ROCPRIM_400000_NS6detail17trampoline_kernelINS0_13select_configILj256ELj13ELNS0_17block_load_methodE3ELS4_3ELS4_3ELNS0_20block_scan_algorithmE0ELj4294967295EEENS1_25partition_config_selectorILNS1_17partition_subalgoE3EjNS0_10empty_typeEbEEZZNS1_14partition_implILS8_3ELb0ES6_jNS0_17counting_iteratorIjlEEPS9_SE_NS0_5tupleIJPjSE_EEENSF_IJSE_SE_EEES9_SG_JZNS1_25segmented_radix_sort_implINS0_14default_configELb0EPKlPlSM_SN_N2at6native12_GLOBAL__N_18offset_tEEE10hipError_tPvRmT1_PNSt15iterator_traitsISV_E10value_typeET2_T3_PNSW_IS11_E10value_typeET4_jRbjT5_S17_jjP12ihipStream_tbEUljE_EEESS_ST_SU_S11_S15_S17_T6_T7_T9_mT8_S19_bDpT10_ENKUlT_T0_E_clISt17integral_constantIbLb0EES1M_EEDaS1H_S1I_EUlS1H_E_NS1_11comp_targetILNS1_3genE4ELNS1_11target_archE910ELNS1_3gpuE8ELNS1_3repE0EEENS1_30default_config_static_selectorELNS0_4arch9wavefront6targetE1EEEvSV_.kd
    .uniform_work_group_size: 1
    .uses_dynamic_stack: false
    .vgpr_count:     61
    .vgpr_spill_count: 0
    .wavefront_size: 64
  - .agpr_count:     0
    .args:
      - .offset:         0
        .size:           144
        .value_kind:     by_value
    .group_segment_fixed_size: 0
    .kernarg_segment_align: 8
    .kernarg_segment_size: 144
    .language:       OpenCL C
    .language_version:
      - 2
      - 0
    .max_flat_workgroup_size: 256
    .name:           _ZN7rocprim17ROCPRIM_400000_NS6detail17trampoline_kernelINS0_13select_configILj256ELj13ELNS0_17block_load_methodE3ELS4_3ELS4_3ELNS0_20block_scan_algorithmE0ELj4294967295EEENS1_25partition_config_selectorILNS1_17partition_subalgoE3EjNS0_10empty_typeEbEEZZNS1_14partition_implILS8_3ELb0ES6_jNS0_17counting_iteratorIjlEEPS9_SE_NS0_5tupleIJPjSE_EEENSF_IJSE_SE_EEES9_SG_JZNS1_25segmented_radix_sort_implINS0_14default_configELb0EPKlPlSM_SN_N2at6native12_GLOBAL__N_18offset_tEEE10hipError_tPvRmT1_PNSt15iterator_traitsISV_E10value_typeET2_T3_PNSW_IS11_E10value_typeET4_jRbjT5_S17_jjP12ihipStream_tbEUljE_EEESS_ST_SU_S11_S15_S17_T6_T7_T9_mT8_S19_bDpT10_ENKUlT_T0_E_clISt17integral_constantIbLb0EES1M_EEDaS1H_S1I_EUlS1H_E_NS1_11comp_targetILNS1_3genE3ELNS1_11target_archE908ELNS1_3gpuE7ELNS1_3repE0EEENS1_30default_config_static_selectorELNS0_4arch9wavefront6targetE1EEEvSV_
    .private_segment_fixed_size: 0
    .sgpr_count:     4
    .sgpr_spill_count: 0
    .symbol:         _ZN7rocprim17ROCPRIM_400000_NS6detail17trampoline_kernelINS0_13select_configILj256ELj13ELNS0_17block_load_methodE3ELS4_3ELS4_3ELNS0_20block_scan_algorithmE0ELj4294967295EEENS1_25partition_config_selectorILNS1_17partition_subalgoE3EjNS0_10empty_typeEbEEZZNS1_14partition_implILS8_3ELb0ES6_jNS0_17counting_iteratorIjlEEPS9_SE_NS0_5tupleIJPjSE_EEENSF_IJSE_SE_EEES9_SG_JZNS1_25segmented_radix_sort_implINS0_14default_configELb0EPKlPlSM_SN_N2at6native12_GLOBAL__N_18offset_tEEE10hipError_tPvRmT1_PNSt15iterator_traitsISV_E10value_typeET2_T3_PNSW_IS11_E10value_typeET4_jRbjT5_S17_jjP12ihipStream_tbEUljE_EEESS_ST_SU_S11_S15_S17_T6_T7_T9_mT8_S19_bDpT10_ENKUlT_T0_E_clISt17integral_constantIbLb0EES1M_EEDaS1H_S1I_EUlS1H_E_NS1_11comp_targetILNS1_3genE3ELNS1_11target_archE908ELNS1_3gpuE7ELNS1_3repE0EEENS1_30default_config_static_selectorELNS0_4arch9wavefront6targetE1EEEvSV_.kd
    .uniform_work_group_size: 1
    .uses_dynamic_stack: false
    .vgpr_count:     0
    .vgpr_spill_count: 0
    .wavefront_size: 64
  - .agpr_count:     0
    .args:
      - .offset:         0
        .size:           144
        .value_kind:     by_value
    .group_segment_fixed_size: 0
    .kernarg_segment_align: 8
    .kernarg_segment_size: 144
    .language:       OpenCL C
    .language_version:
      - 2
      - 0
    .max_flat_workgroup_size: 256
    .name:           _ZN7rocprim17ROCPRIM_400000_NS6detail17trampoline_kernelINS0_13select_configILj256ELj13ELNS0_17block_load_methodE3ELS4_3ELS4_3ELNS0_20block_scan_algorithmE0ELj4294967295EEENS1_25partition_config_selectorILNS1_17partition_subalgoE3EjNS0_10empty_typeEbEEZZNS1_14partition_implILS8_3ELb0ES6_jNS0_17counting_iteratorIjlEEPS9_SE_NS0_5tupleIJPjSE_EEENSF_IJSE_SE_EEES9_SG_JZNS1_25segmented_radix_sort_implINS0_14default_configELb0EPKlPlSM_SN_N2at6native12_GLOBAL__N_18offset_tEEE10hipError_tPvRmT1_PNSt15iterator_traitsISV_E10value_typeET2_T3_PNSW_IS11_E10value_typeET4_jRbjT5_S17_jjP12ihipStream_tbEUljE_EEESS_ST_SU_S11_S15_S17_T6_T7_T9_mT8_S19_bDpT10_ENKUlT_T0_E_clISt17integral_constantIbLb0EES1M_EEDaS1H_S1I_EUlS1H_E_NS1_11comp_targetILNS1_3genE2ELNS1_11target_archE906ELNS1_3gpuE6ELNS1_3repE0EEENS1_30default_config_static_selectorELNS0_4arch9wavefront6targetE1EEEvSV_
    .private_segment_fixed_size: 0
    .sgpr_count:     4
    .sgpr_spill_count: 0
    .symbol:         _ZN7rocprim17ROCPRIM_400000_NS6detail17trampoline_kernelINS0_13select_configILj256ELj13ELNS0_17block_load_methodE3ELS4_3ELS4_3ELNS0_20block_scan_algorithmE0ELj4294967295EEENS1_25partition_config_selectorILNS1_17partition_subalgoE3EjNS0_10empty_typeEbEEZZNS1_14partition_implILS8_3ELb0ES6_jNS0_17counting_iteratorIjlEEPS9_SE_NS0_5tupleIJPjSE_EEENSF_IJSE_SE_EEES9_SG_JZNS1_25segmented_radix_sort_implINS0_14default_configELb0EPKlPlSM_SN_N2at6native12_GLOBAL__N_18offset_tEEE10hipError_tPvRmT1_PNSt15iterator_traitsISV_E10value_typeET2_T3_PNSW_IS11_E10value_typeET4_jRbjT5_S17_jjP12ihipStream_tbEUljE_EEESS_ST_SU_S11_S15_S17_T6_T7_T9_mT8_S19_bDpT10_ENKUlT_T0_E_clISt17integral_constantIbLb0EES1M_EEDaS1H_S1I_EUlS1H_E_NS1_11comp_targetILNS1_3genE2ELNS1_11target_archE906ELNS1_3gpuE6ELNS1_3repE0EEENS1_30default_config_static_selectorELNS0_4arch9wavefront6targetE1EEEvSV_.kd
    .uniform_work_group_size: 1
    .uses_dynamic_stack: false
    .vgpr_count:     0
    .vgpr_spill_count: 0
    .wavefront_size: 64
  - .agpr_count:     0
    .args:
      - .offset:         0
        .size:           144
        .value_kind:     by_value
    .group_segment_fixed_size: 0
    .kernarg_segment_align: 8
    .kernarg_segment_size: 144
    .language:       OpenCL C
    .language_version:
      - 2
      - 0
    .max_flat_workgroup_size: 256
    .name:           _ZN7rocprim17ROCPRIM_400000_NS6detail17trampoline_kernelINS0_13select_configILj256ELj13ELNS0_17block_load_methodE3ELS4_3ELS4_3ELNS0_20block_scan_algorithmE0ELj4294967295EEENS1_25partition_config_selectorILNS1_17partition_subalgoE3EjNS0_10empty_typeEbEEZZNS1_14partition_implILS8_3ELb0ES6_jNS0_17counting_iteratorIjlEEPS9_SE_NS0_5tupleIJPjSE_EEENSF_IJSE_SE_EEES9_SG_JZNS1_25segmented_radix_sort_implINS0_14default_configELb0EPKlPlSM_SN_N2at6native12_GLOBAL__N_18offset_tEEE10hipError_tPvRmT1_PNSt15iterator_traitsISV_E10value_typeET2_T3_PNSW_IS11_E10value_typeET4_jRbjT5_S17_jjP12ihipStream_tbEUljE_EEESS_ST_SU_S11_S15_S17_T6_T7_T9_mT8_S19_bDpT10_ENKUlT_T0_E_clISt17integral_constantIbLb0EES1M_EEDaS1H_S1I_EUlS1H_E_NS1_11comp_targetILNS1_3genE10ELNS1_11target_archE1200ELNS1_3gpuE4ELNS1_3repE0EEENS1_30default_config_static_selectorELNS0_4arch9wavefront6targetE1EEEvSV_
    .private_segment_fixed_size: 0
    .sgpr_count:     4
    .sgpr_spill_count: 0
    .symbol:         _ZN7rocprim17ROCPRIM_400000_NS6detail17trampoline_kernelINS0_13select_configILj256ELj13ELNS0_17block_load_methodE3ELS4_3ELS4_3ELNS0_20block_scan_algorithmE0ELj4294967295EEENS1_25partition_config_selectorILNS1_17partition_subalgoE3EjNS0_10empty_typeEbEEZZNS1_14partition_implILS8_3ELb0ES6_jNS0_17counting_iteratorIjlEEPS9_SE_NS0_5tupleIJPjSE_EEENSF_IJSE_SE_EEES9_SG_JZNS1_25segmented_radix_sort_implINS0_14default_configELb0EPKlPlSM_SN_N2at6native12_GLOBAL__N_18offset_tEEE10hipError_tPvRmT1_PNSt15iterator_traitsISV_E10value_typeET2_T3_PNSW_IS11_E10value_typeET4_jRbjT5_S17_jjP12ihipStream_tbEUljE_EEESS_ST_SU_S11_S15_S17_T6_T7_T9_mT8_S19_bDpT10_ENKUlT_T0_E_clISt17integral_constantIbLb0EES1M_EEDaS1H_S1I_EUlS1H_E_NS1_11comp_targetILNS1_3genE10ELNS1_11target_archE1200ELNS1_3gpuE4ELNS1_3repE0EEENS1_30default_config_static_selectorELNS0_4arch9wavefront6targetE1EEEvSV_.kd
    .uniform_work_group_size: 1
    .uses_dynamic_stack: false
    .vgpr_count:     0
    .vgpr_spill_count: 0
    .wavefront_size: 64
  - .agpr_count:     0
    .args:
      - .offset:         0
        .size:           144
        .value_kind:     by_value
    .group_segment_fixed_size: 0
    .kernarg_segment_align: 8
    .kernarg_segment_size: 144
    .language:       OpenCL C
    .language_version:
      - 2
      - 0
    .max_flat_workgroup_size: 256
    .name:           _ZN7rocprim17ROCPRIM_400000_NS6detail17trampoline_kernelINS0_13select_configILj256ELj13ELNS0_17block_load_methodE3ELS4_3ELS4_3ELNS0_20block_scan_algorithmE0ELj4294967295EEENS1_25partition_config_selectorILNS1_17partition_subalgoE3EjNS0_10empty_typeEbEEZZNS1_14partition_implILS8_3ELb0ES6_jNS0_17counting_iteratorIjlEEPS9_SE_NS0_5tupleIJPjSE_EEENSF_IJSE_SE_EEES9_SG_JZNS1_25segmented_radix_sort_implINS0_14default_configELb0EPKlPlSM_SN_N2at6native12_GLOBAL__N_18offset_tEEE10hipError_tPvRmT1_PNSt15iterator_traitsISV_E10value_typeET2_T3_PNSW_IS11_E10value_typeET4_jRbjT5_S17_jjP12ihipStream_tbEUljE_EEESS_ST_SU_S11_S15_S17_T6_T7_T9_mT8_S19_bDpT10_ENKUlT_T0_E_clISt17integral_constantIbLb0EES1M_EEDaS1H_S1I_EUlS1H_E_NS1_11comp_targetILNS1_3genE9ELNS1_11target_archE1100ELNS1_3gpuE3ELNS1_3repE0EEENS1_30default_config_static_selectorELNS0_4arch9wavefront6targetE1EEEvSV_
    .private_segment_fixed_size: 0
    .sgpr_count:     4
    .sgpr_spill_count: 0
    .symbol:         _ZN7rocprim17ROCPRIM_400000_NS6detail17trampoline_kernelINS0_13select_configILj256ELj13ELNS0_17block_load_methodE3ELS4_3ELS4_3ELNS0_20block_scan_algorithmE0ELj4294967295EEENS1_25partition_config_selectorILNS1_17partition_subalgoE3EjNS0_10empty_typeEbEEZZNS1_14partition_implILS8_3ELb0ES6_jNS0_17counting_iteratorIjlEEPS9_SE_NS0_5tupleIJPjSE_EEENSF_IJSE_SE_EEES9_SG_JZNS1_25segmented_radix_sort_implINS0_14default_configELb0EPKlPlSM_SN_N2at6native12_GLOBAL__N_18offset_tEEE10hipError_tPvRmT1_PNSt15iterator_traitsISV_E10value_typeET2_T3_PNSW_IS11_E10value_typeET4_jRbjT5_S17_jjP12ihipStream_tbEUljE_EEESS_ST_SU_S11_S15_S17_T6_T7_T9_mT8_S19_bDpT10_ENKUlT_T0_E_clISt17integral_constantIbLb0EES1M_EEDaS1H_S1I_EUlS1H_E_NS1_11comp_targetILNS1_3genE9ELNS1_11target_archE1100ELNS1_3gpuE3ELNS1_3repE0EEENS1_30default_config_static_selectorELNS0_4arch9wavefront6targetE1EEEvSV_.kd
    .uniform_work_group_size: 1
    .uses_dynamic_stack: false
    .vgpr_count:     0
    .vgpr_spill_count: 0
    .wavefront_size: 64
  - .agpr_count:     0
    .args:
      - .offset:         0
        .size:           144
        .value_kind:     by_value
    .group_segment_fixed_size: 0
    .kernarg_segment_align: 8
    .kernarg_segment_size: 144
    .language:       OpenCL C
    .language_version:
      - 2
      - 0
    .max_flat_workgroup_size: 256
    .name:           _ZN7rocprim17ROCPRIM_400000_NS6detail17trampoline_kernelINS0_13select_configILj256ELj13ELNS0_17block_load_methodE3ELS4_3ELS4_3ELNS0_20block_scan_algorithmE0ELj4294967295EEENS1_25partition_config_selectorILNS1_17partition_subalgoE3EjNS0_10empty_typeEbEEZZNS1_14partition_implILS8_3ELb0ES6_jNS0_17counting_iteratorIjlEEPS9_SE_NS0_5tupleIJPjSE_EEENSF_IJSE_SE_EEES9_SG_JZNS1_25segmented_radix_sort_implINS0_14default_configELb0EPKlPlSM_SN_N2at6native12_GLOBAL__N_18offset_tEEE10hipError_tPvRmT1_PNSt15iterator_traitsISV_E10value_typeET2_T3_PNSW_IS11_E10value_typeET4_jRbjT5_S17_jjP12ihipStream_tbEUljE_EEESS_ST_SU_S11_S15_S17_T6_T7_T9_mT8_S19_bDpT10_ENKUlT_T0_E_clISt17integral_constantIbLb0EES1M_EEDaS1H_S1I_EUlS1H_E_NS1_11comp_targetILNS1_3genE8ELNS1_11target_archE1030ELNS1_3gpuE2ELNS1_3repE0EEENS1_30default_config_static_selectorELNS0_4arch9wavefront6targetE1EEEvSV_
    .private_segment_fixed_size: 0
    .sgpr_count:     4
    .sgpr_spill_count: 0
    .symbol:         _ZN7rocprim17ROCPRIM_400000_NS6detail17trampoline_kernelINS0_13select_configILj256ELj13ELNS0_17block_load_methodE3ELS4_3ELS4_3ELNS0_20block_scan_algorithmE0ELj4294967295EEENS1_25partition_config_selectorILNS1_17partition_subalgoE3EjNS0_10empty_typeEbEEZZNS1_14partition_implILS8_3ELb0ES6_jNS0_17counting_iteratorIjlEEPS9_SE_NS0_5tupleIJPjSE_EEENSF_IJSE_SE_EEES9_SG_JZNS1_25segmented_radix_sort_implINS0_14default_configELb0EPKlPlSM_SN_N2at6native12_GLOBAL__N_18offset_tEEE10hipError_tPvRmT1_PNSt15iterator_traitsISV_E10value_typeET2_T3_PNSW_IS11_E10value_typeET4_jRbjT5_S17_jjP12ihipStream_tbEUljE_EEESS_ST_SU_S11_S15_S17_T6_T7_T9_mT8_S19_bDpT10_ENKUlT_T0_E_clISt17integral_constantIbLb0EES1M_EEDaS1H_S1I_EUlS1H_E_NS1_11comp_targetILNS1_3genE8ELNS1_11target_archE1030ELNS1_3gpuE2ELNS1_3repE0EEENS1_30default_config_static_selectorELNS0_4arch9wavefront6targetE1EEEvSV_.kd
    .uniform_work_group_size: 1
    .uses_dynamic_stack: false
    .vgpr_count:     0
    .vgpr_spill_count: 0
    .wavefront_size: 64
  - .agpr_count:     0
    .args:
      - .offset:         0
        .size:           152
        .value_kind:     by_value
    .group_segment_fixed_size: 0
    .kernarg_segment_align: 8
    .kernarg_segment_size: 152
    .language:       OpenCL C
    .language_version:
      - 2
      - 0
    .max_flat_workgroup_size: 256
    .name:           _ZN7rocprim17ROCPRIM_400000_NS6detail17trampoline_kernelINS0_13select_configILj256ELj13ELNS0_17block_load_methodE3ELS4_3ELS4_3ELNS0_20block_scan_algorithmE0ELj4294967295EEENS1_25partition_config_selectorILNS1_17partition_subalgoE3EjNS0_10empty_typeEbEEZZNS1_14partition_implILS8_3ELb0ES6_jNS0_17counting_iteratorIjlEEPS9_SE_NS0_5tupleIJPjSE_EEENSF_IJSE_SE_EEES9_SG_JZNS1_25segmented_radix_sort_implINS0_14default_configELb0EPKlPlSM_SN_N2at6native12_GLOBAL__N_18offset_tEEE10hipError_tPvRmT1_PNSt15iterator_traitsISV_E10value_typeET2_T3_PNSW_IS11_E10value_typeET4_jRbjT5_S17_jjP12ihipStream_tbEUljE_EEESS_ST_SU_S11_S15_S17_T6_T7_T9_mT8_S19_bDpT10_ENKUlT_T0_E_clISt17integral_constantIbLb1EES1M_EEDaS1H_S1I_EUlS1H_E_NS1_11comp_targetILNS1_3genE0ELNS1_11target_archE4294967295ELNS1_3gpuE0ELNS1_3repE0EEENS1_30default_config_static_selectorELNS0_4arch9wavefront6targetE1EEEvSV_
    .private_segment_fixed_size: 0
    .sgpr_count:     4
    .sgpr_spill_count: 0
    .symbol:         _ZN7rocprim17ROCPRIM_400000_NS6detail17trampoline_kernelINS0_13select_configILj256ELj13ELNS0_17block_load_methodE3ELS4_3ELS4_3ELNS0_20block_scan_algorithmE0ELj4294967295EEENS1_25partition_config_selectorILNS1_17partition_subalgoE3EjNS0_10empty_typeEbEEZZNS1_14partition_implILS8_3ELb0ES6_jNS0_17counting_iteratorIjlEEPS9_SE_NS0_5tupleIJPjSE_EEENSF_IJSE_SE_EEES9_SG_JZNS1_25segmented_radix_sort_implINS0_14default_configELb0EPKlPlSM_SN_N2at6native12_GLOBAL__N_18offset_tEEE10hipError_tPvRmT1_PNSt15iterator_traitsISV_E10value_typeET2_T3_PNSW_IS11_E10value_typeET4_jRbjT5_S17_jjP12ihipStream_tbEUljE_EEESS_ST_SU_S11_S15_S17_T6_T7_T9_mT8_S19_bDpT10_ENKUlT_T0_E_clISt17integral_constantIbLb1EES1M_EEDaS1H_S1I_EUlS1H_E_NS1_11comp_targetILNS1_3genE0ELNS1_11target_archE4294967295ELNS1_3gpuE0ELNS1_3repE0EEENS1_30default_config_static_selectorELNS0_4arch9wavefront6targetE1EEEvSV_.kd
    .uniform_work_group_size: 1
    .uses_dynamic_stack: false
    .vgpr_count:     0
    .vgpr_spill_count: 0
    .wavefront_size: 64
  - .agpr_count:     0
    .args:
      - .offset:         0
        .size:           152
        .value_kind:     by_value
    .group_segment_fixed_size: 0
    .kernarg_segment_align: 8
    .kernarg_segment_size: 152
    .language:       OpenCL C
    .language_version:
      - 2
      - 0
    .max_flat_workgroup_size: 256
    .name:           _ZN7rocprim17ROCPRIM_400000_NS6detail17trampoline_kernelINS0_13select_configILj256ELj13ELNS0_17block_load_methodE3ELS4_3ELS4_3ELNS0_20block_scan_algorithmE0ELj4294967295EEENS1_25partition_config_selectorILNS1_17partition_subalgoE3EjNS0_10empty_typeEbEEZZNS1_14partition_implILS8_3ELb0ES6_jNS0_17counting_iteratorIjlEEPS9_SE_NS0_5tupleIJPjSE_EEENSF_IJSE_SE_EEES9_SG_JZNS1_25segmented_radix_sort_implINS0_14default_configELb0EPKlPlSM_SN_N2at6native12_GLOBAL__N_18offset_tEEE10hipError_tPvRmT1_PNSt15iterator_traitsISV_E10value_typeET2_T3_PNSW_IS11_E10value_typeET4_jRbjT5_S17_jjP12ihipStream_tbEUljE_EEESS_ST_SU_S11_S15_S17_T6_T7_T9_mT8_S19_bDpT10_ENKUlT_T0_E_clISt17integral_constantIbLb1EES1M_EEDaS1H_S1I_EUlS1H_E_NS1_11comp_targetILNS1_3genE5ELNS1_11target_archE942ELNS1_3gpuE9ELNS1_3repE0EEENS1_30default_config_static_selectorELNS0_4arch9wavefront6targetE1EEEvSV_
    .private_segment_fixed_size: 0
    .sgpr_count:     4
    .sgpr_spill_count: 0
    .symbol:         _ZN7rocprim17ROCPRIM_400000_NS6detail17trampoline_kernelINS0_13select_configILj256ELj13ELNS0_17block_load_methodE3ELS4_3ELS4_3ELNS0_20block_scan_algorithmE0ELj4294967295EEENS1_25partition_config_selectorILNS1_17partition_subalgoE3EjNS0_10empty_typeEbEEZZNS1_14partition_implILS8_3ELb0ES6_jNS0_17counting_iteratorIjlEEPS9_SE_NS0_5tupleIJPjSE_EEENSF_IJSE_SE_EEES9_SG_JZNS1_25segmented_radix_sort_implINS0_14default_configELb0EPKlPlSM_SN_N2at6native12_GLOBAL__N_18offset_tEEE10hipError_tPvRmT1_PNSt15iterator_traitsISV_E10value_typeET2_T3_PNSW_IS11_E10value_typeET4_jRbjT5_S17_jjP12ihipStream_tbEUljE_EEESS_ST_SU_S11_S15_S17_T6_T7_T9_mT8_S19_bDpT10_ENKUlT_T0_E_clISt17integral_constantIbLb1EES1M_EEDaS1H_S1I_EUlS1H_E_NS1_11comp_targetILNS1_3genE5ELNS1_11target_archE942ELNS1_3gpuE9ELNS1_3repE0EEENS1_30default_config_static_selectorELNS0_4arch9wavefront6targetE1EEEvSV_.kd
    .uniform_work_group_size: 1
    .uses_dynamic_stack: false
    .vgpr_count:     0
    .vgpr_spill_count: 0
    .wavefront_size: 64
  - .agpr_count:     0
    .args:
      - .offset:         0
        .size:           152
        .value_kind:     by_value
    .group_segment_fixed_size: 13324
    .kernarg_segment_align: 8
    .kernarg_segment_size: 152
    .language:       OpenCL C
    .language_version:
      - 2
      - 0
    .max_flat_workgroup_size: 256
    .name:           _ZN7rocprim17ROCPRIM_400000_NS6detail17trampoline_kernelINS0_13select_configILj256ELj13ELNS0_17block_load_methodE3ELS4_3ELS4_3ELNS0_20block_scan_algorithmE0ELj4294967295EEENS1_25partition_config_selectorILNS1_17partition_subalgoE3EjNS0_10empty_typeEbEEZZNS1_14partition_implILS8_3ELb0ES6_jNS0_17counting_iteratorIjlEEPS9_SE_NS0_5tupleIJPjSE_EEENSF_IJSE_SE_EEES9_SG_JZNS1_25segmented_radix_sort_implINS0_14default_configELb0EPKlPlSM_SN_N2at6native12_GLOBAL__N_18offset_tEEE10hipError_tPvRmT1_PNSt15iterator_traitsISV_E10value_typeET2_T3_PNSW_IS11_E10value_typeET4_jRbjT5_S17_jjP12ihipStream_tbEUljE_EEESS_ST_SU_S11_S15_S17_T6_T7_T9_mT8_S19_bDpT10_ENKUlT_T0_E_clISt17integral_constantIbLb1EES1M_EEDaS1H_S1I_EUlS1H_E_NS1_11comp_targetILNS1_3genE4ELNS1_11target_archE910ELNS1_3gpuE8ELNS1_3repE0EEENS1_30default_config_static_selectorELNS0_4arch9wavefront6targetE1EEEvSV_
    .private_segment_fixed_size: 0
    .sgpr_count:     48
    .sgpr_spill_count: 0
    .symbol:         _ZN7rocprim17ROCPRIM_400000_NS6detail17trampoline_kernelINS0_13select_configILj256ELj13ELNS0_17block_load_methodE3ELS4_3ELS4_3ELNS0_20block_scan_algorithmE0ELj4294967295EEENS1_25partition_config_selectorILNS1_17partition_subalgoE3EjNS0_10empty_typeEbEEZZNS1_14partition_implILS8_3ELb0ES6_jNS0_17counting_iteratorIjlEEPS9_SE_NS0_5tupleIJPjSE_EEENSF_IJSE_SE_EEES9_SG_JZNS1_25segmented_radix_sort_implINS0_14default_configELb0EPKlPlSM_SN_N2at6native12_GLOBAL__N_18offset_tEEE10hipError_tPvRmT1_PNSt15iterator_traitsISV_E10value_typeET2_T3_PNSW_IS11_E10value_typeET4_jRbjT5_S17_jjP12ihipStream_tbEUljE_EEESS_ST_SU_S11_S15_S17_T6_T7_T9_mT8_S19_bDpT10_ENKUlT_T0_E_clISt17integral_constantIbLb1EES1M_EEDaS1H_S1I_EUlS1H_E_NS1_11comp_targetILNS1_3genE4ELNS1_11target_archE910ELNS1_3gpuE8ELNS1_3repE0EEENS1_30default_config_static_selectorELNS0_4arch9wavefront6targetE1EEEvSV_.kd
    .uniform_work_group_size: 1
    .uses_dynamic_stack: false
    .vgpr_count:     64
    .vgpr_spill_count: 0
    .wavefront_size: 64
  - .agpr_count:     0
    .args:
      - .offset:         0
        .size:           152
        .value_kind:     by_value
    .group_segment_fixed_size: 0
    .kernarg_segment_align: 8
    .kernarg_segment_size: 152
    .language:       OpenCL C
    .language_version:
      - 2
      - 0
    .max_flat_workgroup_size: 256
    .name:           _ZN7rocprim17ROCPRIM_400000_NS6detail17trampoline_kernelINS0_13select_configILj256ELj13ELNS0_17block_load_methodE3ELS4_3ELS4_3ELNS0_20block_scan_algorithmE0ELj4294967295EEENS1_25partition_config_selectorILNS1_17partition_subalgoE3EjNS0_10empty_typeEbEEZZNS1_14partition_implILS8_3ELb0ES6_jNS0_17counting_iteratorIjlEEPS9_SE_NS0_5tupleIJPjSE_EEENSF_IJSE_SE_EEES9_SG_JZNS1_25segmented_radix_sort_implINS0_14default_configELb0EPKlPlSM_SN_N2at6native12_GLOBAL__N_18offset_tEEE10hipError_tPvRmT1_PNSt15iterator_traitsISV_E10value_typeET2_T3_PNSW_IS11_E10value_typeET4_jRbjT5_S17_jjP12ihipStream_tbEUljE_EEESS_ST_SU_S11_S15_S17_T6_T7_T9_mT8_S19_bDpT10_ENKUlT_T0_E_clISt17integral_constantIbLb1EES1M_EEDaS1H_S1I_EUlS1H_E_NS1_11comp_targetILNS1_3genE3ELNS1_11target_archE908ELNS1_3gpuE7ELNS1_3repE0EEENS1_30default_config_static_selectorELNS0_4arch9wavefront6targetE1EEEvSV_
    .private_segment_fixed_size: 0
    .sgpr_count:     4
    .sgpr_spill_count: 0
    .symbol:         _ZN7rocprim17ROCPRIM_400000_NS6detail17trampoline_kernelINS0_13select_configILj256ELj13ELNS0_17block_load_methodE3ELS4_3ELS4_3ELNS0_20block_scan_algorithmE0ELj4294967295EEENS1_25partition_config_selectorILNS1_17partition_subalgoE3EjNS0_10empty_typeEbEEZZNS1_14partition_implILS8_3ELb0ES6_jNS0_17counting_iteratorIjlEEPS9_SE_NS0_5tupleIJPjSE_EEENSF_IJSE_SE_EEES9_SG_JZNS1_25segmented_radix_sort_implINS0_14default_configELb0EPKlPlSM_SN_N2at6native12_GLOBAL__N_18offset_tEEE10hipError_tPvRmT1_PNSt15iterator_traitsISV_E10value_typeET2_T3_PNSW_IS11_E10value_typeET4_jRbjT5_S17_jjP12ihipStream_tbEUljE_EEESS_ST_SU_S11_S15_S17_T6_T7_T9_mT8_S19_bDpT10_ENKUlT_T0_E_clISt17integral_constantIbLb1EES1M_EEDaS1H_S1I_EUlS1H_E_NS1_11comp_targetILNS1_3genE3ELNS1_11target_archE908ELNS1_3gpuE7ELNS1_3repE0EEENS1_30default_config_static_selectorELNS0_4arch9wavefront6targetE1EEEvSV_.kd
    .uniform_work_group_size: 1
    .uses_dynamic_stack: false
    .vgpr_count:     0
    .vgpr_spill_count: 0
    .wavefront_size: 64
  - .agpr_count:     0
    .args:
      - .offset:         0
        .size:           152
        .value_kind:     by_value
    .group_segment_fixed_size: 0
    .kernarg_segment_align: 8
    .kernarg_segment_size: 152
    .language:       OpenCL C
    .language_version:
      - 2
      - 0
    .max_flat_workgroup_size: 256
    .name:           _ZN7rocprim17ROCPRIM_400000_NS6detail17trampoline_kernelINS0_13select_configILj256ELj13ELNS0_17block_load_methodE3ELS4_3ELS4_3ELNS0_20block_scan_algorithmE0ELj4294967295EEENS1_25partition_config_selectorILNS1_17partition_subalgoE3EjNS0_10empty_typeEbEEZZNS1_14partition_implILS8_3ELb0ES6_jNS0_17counting_iteratorIjlEEPS9_SE_NS0_5tupleIJPjSE_EEENSF_IJSE_SE_EEES9_SG_JZNS1_25segmented_radix_sort_implINS0_14default_configELb0EPKlPlSM_SN_N2at6native12_GLOBAL__N_18offset_tEEE10hipError_tPvRmT1_PNSt15iterator_traitsISV_E10value_typeET2_T3_PNSW_IS11_E10value_typeET4_jRbjT5_S17_jjP12ihipStream_tbEUljE_EEESS_ST_SU_S11_S15_S17_T6_T7_T9_mT8_S19_bDpT10_ENKUlT_T0_E_clISt17integral_constantIbLb1EES1M_EEDaS1H_S1I_EUlS1H_E_NS1_11comp_targetILNS1_3genE2ELNS1_11target_archE906ELNS1_3gpuE6ELNS1_3repE0EEENS1_30default_config_static_selectorELNS0_4arch9wavefront6targetE1EEEvSV_
    .private_segment_fixed_size: 0
    .sgpr_count:     4
    .sgpr_spill_count: 0
    .symbol:         _ZN7rocprim17ROCPRIM_400000_NS6detail17trampoline_kernelINS0_13select_configILj256ELj13ELNS0_17block_load_methodE3ELS4_3ELS4_3ELNS0_20block_scan_algorithmE0ELj4294967295EEENS1_25partition_config_selectorILNS1_17partition_subalgoE3EjNS0_10empty_typeEbEEZZNS1_14partition_implILS8_3ELb0ES6_jNS0_17counting_iteratorIjlEEPS9_SE_NS0_5tupleIJPjSE_EEENSF_IJSE_SE_EEES9_SG_JZNS1_25segmented_radix_sort_implINS0_14default_configELb0EPKlPlSM_SN_N2at6native12_GLOBAL__N_18offset_tEEE10hipError_tPvRmT1_PNSt15iterator_traitsISV_E10value_typeET2_T3_PNSW_IS11_E10value_typeET4_jRbjT5_S17_jjP12ihipStream_tbEUljE_EEESS_ST_SU_S11_S15_S17_T6_T7_T9_mT8_S19_bDpT10_ENKUlT_T0_E_clISt17integral_constantIbLb1EES1M_EEDaS1H_S1I_EUlS1H_E_NS1_11comp_targetILNS1_3genE2ELNS1_11target_archE906ELNS1_3gpuE6ELNS1_3repE0EEENS1_30default_config_static_selectorELNS0_4arch9wavefront6targetE1EEEvSV_.kd
    .uniform_work_group_size: 1
    .uses_dynamic_stack: false
    .vgpr_count:     0
    .vgpr_spill_count: 0
    .wavefront_size: 64
  - .agpr_count:     0
    .args:
      - .offset:         0
        .size:           152
        .value_kind:     by_value
    .group_segment_fixed_size: 0
    .kernarg_segment_align: 8
    .kernarg_segment_size: 152
    .language:       OpenCL C
    .language_version:
      - 2
      - 0
    .max_flat_workgroup_size: 256
    .name:           _ZN7rocprim17ROCPRIM_400000_NS6detail17trampoline_kernelINS0_13select_configILj256ELj13ELNS0_17block_load_methodE3ELS4_3ELS4_3ELNS0_20block_scan_algorithmE0ELj4294967295EEENS1_25partition_config_selectorILNS1_17partition_subalgoE3EjNS0_10empty_typeEbEEZZNS1_14partition_implILS8_3ELb0ES6_jNS0_17counting_iteratorIjlEEPS9_SE_NS0_5tupleIJPjSE_EEENSF_IJSE_SE_EEES9_SG_JZNS1_25segmented_radix_sort_implINS0_14default_configELb0EPKlPlSM_SN_N2at6native12_GLOBAL__N_18offset_tEEE10hipError_tPvRmT1_PNSt15iterator_traitsISV_E10value_typeET2_T3_PNSW_IS11_E10value_typeET4_jRbjT5_S17_jjP12ihipStream_tbEUljE_EEESS_ST_SU_S11_S15_S17_T6_T7_T9_mT8_S19_bDpT10_ENKUlT_T0_E_clISt17integral_constantIbLb1EES1M_EEDaS1H_S1I_EUlS1H_E_NS1_11comp_targetILNS1_3genE10ELNS1_11target_archE1200ELNS1_3gpuE4ELNS1_3repE0EEENS1_30default_config_static_selectorELNS0_4arch9wavefront6targetE1EEEvSV_
    .private_segment_fixed_size: 0
    .sgpr_count:     4
    .sgpr_spill_count: 0
    .symbol:         _ZN7rocprim17ROCPRIM_400000_NS6detail17trampoline_kernelINS0_13select_configILj256ELj13ELNS0_17block_load_methodE3ELS4_3ELS4_3ELNS0_20block_scan_algorithmE0ELj4294967295EEENS1_25partition_config_selectorILNS1_17partition_subalgoE3EjNS0_10empty_typeEbEEZZNS1_14partition_implILS8_3ELb0ES6_jNS0_17counting_iteratorIjlEEPS9_SE_NS0_5tupleIJPjSE_EEENSF_IJSE_SE_EEES9_SG_JZNS1_25segmented_radix_sort_implINS0_14default_configELb0EPKlPlSM_SN_N2at6native12_GLOBAL__N_18offset_tEEE10hipError_tPvRmT1_PNSt15iterator_traitsISV_E10value_typeET2_T3_PNSW_IS11_E10value_typeET4_jRbjT5_S17_jjP12ihipStream_tbEUljE_EEESS_ST_SU_S11_S15_S17_T6_T7_T9_mT8_S19_bDpT10_ENKUlT_T0_E_clISt17integral_constantIbLb1EES1M_EEDaS1H_S1I_EUlS1H_E_NS1_11comp_targetILNS1_3genE10ELNS1_11target_archE1200ELNS1_3gpuE4ELNS1_3repE0EEENS1_30default_config_static_selectorELNS0_4arch9wavefront6targetE1EEEvSV_.kd
    .uniform_work_group_size: 1
    .uses_dynamic_stack: false
    .vgpr_count:     0
    .vgpr_spill_count: 0
    .wavefront_size: 64
  - .agpr_count:     0
    .args:
      - .offset:         0
        .size:           152
        .value_kind:     by_value
    .group_segment_fixed_size: 0
    .kernarg_segment_align: 8
    .kernarg_segment_size: 152
    .language:       OpenCL C
    .language_version:
      - 2
      - 0
    .max_flat_workgroup_size: 256
    .name:           _ZN7rocprim17ROCPRIM_400000_NS6detail17trampoline_kernelINS0_13select_configILj256ELj13ELNS0_17block_load_methodE3ELS4_3ELS4_3ELNS0_20block_scan_algorithmE0ELj4294967295EEENS1_25partition_config_selectorILNS1_17partition_subalgoE3EjNS0_10empty_typeEbEEZZNS1_14partition_implILS8_3ELb0ES6_jNS0_17counting_iteratorIjlEEPS9_SE_NS0_5tupleIJPjSE_EEENSF_IJSE_SE_EEES9_SG_JZNS1_25segmented_radix_sort_implINS0_14default_configELb0EPKlPlSM_SN_N2at6native12_GLOBAL__N_18offset_tEEE10hipError_tPvRmT1_PNSt15iterator_traitsISV_E10value_typeET2_T3_PNSW_IS11_E10value_typeET4_jRbjT5_S17_jjP12ihipStream_tbEUljE_EEESS_ST_SU_S11_S15_S17_T6_T7_T9_mT8_S19_bDpT10_ENKUlT_T0_E_clISt17integral_constantIbLb1EES1M_EEDaS1H_S1I_EUlS1H_E_NS1_11comp_targetILNS1_3genE9ELNS1_11target_archE1100ELNS1_3gpuE3ELNS1_3repE0EEENS1_30default_config_static_selectorELNS0_4arch9wavefront6targetE1EEEvSV_
    .private_segment_fixed_size: 0
    .sgpr_count:     4
    .sgpr_spill_count: 0
    .symbol:         _ZN7rocprim17ROCPRIM_400000_NS6detail17trampoline_kernelINS0_13select_configILj256ELj13ELNS0_17block_load_methodE3ELS4_3ELS4_3ELNS0_20block_scan_algorithmE0ELj4294967295EEENS1_25partition_config_selectorILNS1_17partition_subalgoE3EjNS0_10empty_typeEbEEZZNS1_14partition_implILS8_3ELb0ES6_jNS0_17counting_iteratorIjlEEPS9_SE_NS0_5tupleIJPjSE_EEENSF_IJSE_SE_EEES9_SG_JZNS1_25segmented_radix_sort_implINS0_14default_configELb0EPKlPlSM_SN_N2at6native12_GLOBAL__N_18offset_tEEE10hipError_tPvRmT1_PNSt15iterator_traitsISV_E10value_typeET2_T3_PNSW_IS11_E10value_typeET4_jRbjT5_S17_jjP12ihipStream_tbEUljE_EEESS_ST_SU_S11_S15_S17_T6_T7_T9_mT8_S19_bDpT10_ENKUlT_T0_E_clISt17integral_constantIbLb1EES1M_EEDaS1H_S1I_EUlS1H_E_NS1_11comp_targetILNS1_3genE9ELNS1_11target_archE1100ELNS1_3gpuE3ELNS1_3repE0EEENS1_30default_config_static_selectorELNS0_4arch9wavefront6targetE1EEEvSV_.kd
    .uniform_work_group_size: 1
    .uses_dynamic_stack: false
    .vgpr_count:     0
    .vgpr_spill_count: 0
    .wavefront_size: 64
  - .agpr_count:     0
    .args:
      - .offset:         0
        .size:           152
        .value_kind:     by_value
    .group_segment_fixed_size: 0
    .kernarg_segment_align: 8
    .kernarg_segment_size: 152
    .language:       OpenCL C
    .language_version:
      - 2
      - 0
    .max_flat_workgroup_size: 256
    .name:           _ZN7rocprim17ROCPRIM_400000_NS6detail17trampoline_kernelINS0_13select_configILj256ELj13ELNS0_17block_load_methodE3ELS4_3ELS4_3ELNS0_20block_scan_algorithmE0ELj4294967295EEENS1_25partition_config_selectorILNS1_17partition_subalgoE3EjNS0_10empty_typeEbEEZZNS1_14partition_implILS8_3ELb0ES6_jNS0_17counting_iteratorIjlEEPS9_SE_NS0_5tupleIJPjSE_EEENSF_IJSE_SE_EEES9_SG_JZNS1_25segmented_radix_sort_implINS0_14default_configELb0EPKlPlSM_SN_N2at6native12_GLOBAL__N_18offset_tEEE10hipError_tPvRmT1_PNSt15iterator_traitsISV_E10value_typeET2_T3_PNSW_IS11_E10value_typeET4_jRbjT5_S17_jjP12ihipStream_tbEUljE_EEESS_ST_SU_S11_S15_S17_T6_T7_T9_mT8_S19_bDpT10_ENKUlT_T0_E_clISt17integral_constantIbLb1EES1M_EEDaS1H_S1I_EUlS1H_E_NS1_11comp_targetILNS1_3genE8ELNS1_11target_archE1030ELNS1_3gpuE2ELNS1_3repE0EEENS1_30default_config_static_selectorELNS0_4arch9wavefront6targetE1EEEvSV_
    .private_segment_fixed_size: 0
    .sgpr_count:     4
    .sgpr_spill_count: 0
    .symbol:         _ZN7rocprim17ROCPRIM_400000_NS6detail17trampoline_kernelINS0_13select_configILj256ELj13ELNS0_17block_load_methodE3ELS4_3ELS4_3ELNS0_20block_scan_algorithmE0ELj4294967295EEENS1_25partition_config_selectorILNS1_17partition_subalgoE3EjNS0_10empty_typeEbEEZZNS1_14partition_implILS8_3ELb0ES6_jNS0_17counting_iteratorIjlEEPS9_SE_NS0_5tupleIJPjSE_EEENSF_IJSE_SE_EEES9_SG_JZNS1_25segmented_radix_sort_implINS0_14default_configELb0EPKlPlSM_SN_N2at6native12_GLOBAL__N_18offset_tEEE10hipError_tPvRmT1_PNSt15iterator_traitsISV_E10value_typeET2_T3_PNSW_IS11_E10value_typeET4_jRbjT5_S17_jjP12ihipStream_tbEUljE_EEESS_ST_SU_S11_S15_S17_T6_T7_T9_mT8_S19_bDpT10_ENKUlT_T0_E_clISt17integral_constantIbLb1EES1M_EEDaS1H_S1I_EUlS1H_E_NS1_11comp_targetILNS1_3genE8ELNS1_11target_archE1030ELNS1_3gpuE2ELNS1_3repE0EEENS1_30default_config_static_selectorELNS0_4arch9wavefront6targetE1EEEvSV_.kd
    .uniform_work_group_size: 1
    .uses_dynamic_stack: false
    .vgpr_count:     0
    .vgpr_spill_count: 0
    .wavefront_size: 64
  - .agpr_count:     0
    .args:
      - .offset:         0
        .size:           144
        .value_kind:     by_value
    .group_segment_fixed_size: 0
    .kernarg_segment_align: 8
    .kernarg_segment_size: 144
    .language:       OpenCL C
    .language_version:
      - 2
      - 0
    .max_flat_workgroup_size: 256
    .name:           _ZN7rocprim17ROCPRIM_400000_NS6detail17trampoline_kernelINS0_13select_configILj256ELj13ELNS0_17block_load_methodE3ELS4_3ELS4_3ELNS0_20block_scan_algorithmE0ELj4294967295EEENS1_25partition_config_selectorILNS1_17partition_subalgoE3EjNS0_10empty_typeEbEEZZNS1_14partition_implILS8_3ELb0ES6_jNS0_17counting_iteratorIjlEEPS9_SE_NS0_5tupleIJPjSE_EEENSF_IJSE_SE_EEES9_SG_JZNS1_25segmented_radix_sort_implINS0_14default_configELb0EPKlPlSM_SN_N2at6native12_GLOBAL__N_18offset_tEEE10hipError_tPvRmT1_PNSt15iterator_traitsISV_E10value_typeET2_T3_PNSW_IS11_E10value_typeET4_jRbjT5_S17_jjP12ihipStream_tbEUljE_EEESS_ST_SU_S11_S15_S17_T6_T7_T9_mT8_S19_bDpT10_ENKUlT_T0_E_clISt17integral_constantIbLb1EES1L_IbLb0EEEEDaS1H_S1I_EUlS1H_E_NS1_11comp_targetILNS1_3genE0ELNS1_11target_archE4294967295ELNS1_3gpuE0ELNS1_3repE0EEENS1_30default_config_static_selectorELNS0_4arch9wavefront6targetE1EEEvSV_
    .private_segment_fixed_size: 0
    .sgpr_count:     4
    .sgpr_spill_count: 0
    .symbol:         _ZN7rocprim17ROCPRIM_400000_NS6detail17trampoline_kernelINS0_13select_configILj256ELj13ELNS0_17block_load_methodE3ELS4_3ELS4_3ELNS0_20block_scan_algorithmE0ELj4294967295EEENS1_25partition_config_selectorILNS1_17partition_subalgoE3EjNS0_10empty_typeEbEEZZNS1_14partition_implILS8_3ELb0ES6_jNS0_17counting_iteratorIjlEEPS9_SE_NS0_5tupleIJPjSE_EEENSF_IJSE_SE_EEES9_SG_JZNS1_25segmented_radix_sort_implINS0_14default_configELb0EPKlPlSM_SN_N2at6native12_GLOBAL__N_18offset_tEEE10hipError_tPvRmT1_PNSt15iterator_traitsISV_E10value_typeET2_T3_PNSW_IS11_E10value_typeET4_jRbjT5_S17_jjP12ihipStream_tbEUljE_EEESS_ST_SU_S11_S15_S17_T6_T7_T9_mT8_S19_bDpT10_ENKUlT_T0_E_clISt17integral_constantIbLb1EES1L_IbLb0EEEEDaS1H_S1I_EUlS1H_E_NS1_11comp_targetILNS1_3genE0ELNS1_11target_archE4294967295ELNS1_3gpuE0ELNS1_3repE0EEENS1_30default_config_static_selectorELNS0_4arch9wavefront6targetE1EEEvSV_.kd
    .uniform_work_group_size: 1
    .uses_dynamic_stack: false
    .vgpr_count:     0
    .vgpr_spill_count: 0
    .wavefront_size: 64
  - .agpr_count:     0
    .args:
      - .offset:         0
        .size:           144
        .value_kind:     by_value
    .group_segment_fixed_size: 0
    .kernarg_segment_align: 8
    .kernarg_segment_size: 144
    .language:       OpenCL C
    .language_version:
      - 2
      - 0
    .max_flat_workgroup_size: 256
    .name:           _ZN7rocprim17ROCPRIM_400000_NS6detail17trampoline_kernelINS0_13select_configILj256ELj13ELNS0_17block_load_methodE3ELS4_3ELS4_3ELNS0_20block_scan_algorithmE0ELj4294967295EEENS1_25partition_config_selectorILNS1_17partition_subalgoE3EjNS0_10empty_typeEbEEZZNS1_14partition_implILS8_3ELb0ES6_jNS0_17counting_iteratorIjlEEPS9_SE_NS0_5tupleIJPjSE_EEENSF_IJSE_SE_EEES9_SG_JZNS1_25segmented_radix_sort_implINS0_14default_configELb0EPKlPlSM_SN_N2at6native12_GLOBAL__N_18offset_tEEE10hipError_tPvRmT1_PNSt15iterator_traitsISV_E10value_typeET2_T3_PNSW_IS11_E10value_typeET4_jRbjT5_S17_jjP12ihipStream_tbEUljE_EEESS_ST_SU_S11_S15_S17_T6_T7_T9_mT8_S19_bDpT10_ENKUlT_T0_E_clISt17integral_constantIbLb1EES1L_IbLb0EEEEDaS1H_S1I_EUlS1H_E_NS1_11comp_targetILNS1_3genE5ELNS1_11target_archE942ELNS1_3gpuE9ELNS1_3repE0EEENS1_30default_config_static_selectorELNS0_4arch9wavefront6targetE1EEEvSV_
    .private_segment_fixed_size: 0
    .sgpr_count:     4
    .sgpr_spill_count: 0
    .symbol:         _ZN7rocprim17ROCPRIM_400000_NS6detail17trampoline_kernelINS0_13select_configILj256ELj13ELNS0_17block_load_methodE3ELS4_3ELS4_3ELNS0_20block_scan_algorithmE0ELj4294967295EEENS1_25partition_config_selectorILNS1_17partition_subalgoE3EjNS0_10empty_typeEbEEZZNS1_14partition_implILS8_3ELb0ES6_jNS0_17counting_iteratorIjlEEPS9_SE_NS0_5tupleIJPjSE_EEENSF_IJSE_SE_EEES9_SG_JZNS1_25segmented_radix_sort_implINS0_14default_configELb0EPKlPlSM_SN_N2at6native12_GLOBAL__N_18offset_tEEE10hipError_tPvRmT1_PNSt15iterator_traitsISV_E10value_typeET2_T3_PNSW_IS11_E10value_typeET4_jRbjT5_S17_jjP12ihipStream_tbEUljE_EEESS_ST_SU_S11_S15_S17_T6_T7_T9_mT8_S19_bDpT10_ENKUlT_T0_E_clISt17integral_constantIbLb1EES1L_IbLb0EEEEDaS1H_S1I_EUlS1H_E_NS1_11comp_targetILNS1_3genE5ELNS1_11target_archE942ELNS1_3gpuE9ELNS1_3repE0EEENS1_30default_config_static_selectorELNS0_4arch9wavefront6targetE1EEEvSV_.kd
    .uniform_work_group_size: 1
    .uses_dynamic_stack: false
    .vgpr_count:     0
    .vgpr_spill_count: 0
    .wavefront_size: 64
  - .agpr_count:     0
    .args:
      - .offset:         0
        .size:           144
        .value_kind:     by_value
    .group_segment_fixed_size: 13324
    .kernarg_segment_align: 8
    .kernarg_segment_size: 144
    .language:       OpenCL C
    .language_version:
      - 2
      - 0
    .max_flat_workgroup_size: 256
    .name:           _ZN7rocprim17ROCPRIM_400000_NS6detail17trampoline_kernelINS0_13select_configILj256ELj13ELNS0_17block_load_methodE3ELS4_3ELS4_3ELNS0_20block_scan_algorithmE0ELj4294967295EEENS1_25partition_config_selectorILNS1_17partition_subalgoE3EjNS0_10empty_typeEbEEZZNS1_14partition_implILS8_3ELb0ES6_jNS0_17counting_iteratorIjlEEPS9_SE_NS0_5tupleIJPjSE_EEENSF_IJSE_SE_EEES9_SG_JZNS1_25segmented_radix_sort_implINS0_14default_configELb0EPKlPlSM_SN_N2at6native12_GLOBAL__N_18offset_tEEE10hipError_tPvRmT1_PNSt15iterator_traitsISV_E10value_typeET2_T3_PNSW_IS11_E10value_typeET4_jRbjT5_S17_jjP12ihipStream_tbEUljE_EEESS_ST_SU_S11_S15_S17_T6_T7_T9_mT8_S19_bDpT10_ENKUlT_T0_E_clISt17integral_constantIbLb1EES1L_IbLb0EEEEDaS1H_S1I_EUlS1H_E_NS1_11comp_targetILNS1_3genE4ELNS1_11target_archE910ELNS1_3gpuE8ELNS1_3repE0EEENS1_30default_config_static_selectorELNS0_4arch9wavefront6targetE1EEEvSV_
    .private_segment_fixed_size: 0
    .sgpr_count:     50
    .sgpr_spill_count: 0
    .symbol:         _ZN7rocprim17ROCPRIM_400000_NS6detail17trampoline_kernelINS0_13select_configILj256ELj13ELNS0_17block_load_methodE3ELS4_3ELS4_3ELNS0_20block_scan_algorithmE0ELj4294967295EEENS1_25partition_config_selectorILNS1_17partition_subalgoE3EjNS0_10empty_typeEbEEZZNS1_14partition_implILS8_3ELb0ES6_jNS0_17counting_iteratorIjlEEPS9_SE_NS0_5tupleIJPjSE_EEENSF_IJSE_SE_EEES9_SG_JZNS1_25segmented_radix_sort_implINS0_14default_configELb0EPKlPlSM_SN_N2at6native12_GLOBAL__N_18offset_tEEE10hipError_tPvRmT1_PNSt15iterator_traitsISV_E10value_typeET2_T3_PNSW_IS11_E10value_typeET4_jRbjT5_S17_jjP12ihipStream_tbEUljE_EEESS_ST_SU_S11_S15_S17_T6_T7_T9_mT8_S19_bDpT10_ENKUlT_T0_E_clISt17integral_constantIbLb1EES1L_IbLb0EEEEDaS1H_S1I_EUlS1H_E_NS1_11comp_targetILNS1_3genE4ELNS1_11target_archE910ELNS1_3gpuE8ELNS1_3repE0EEENS1_30default_config_static_selectorELNS0_4arch9wavefront6targetE1EEEvSV_.kd
    .uniform_work_group_size: 1
    .uses_dynamic_stack: false
    .vgpr_count:     61
    .vgpr_spill_count: 0
    .wavefront_size: 64
  - .agpr_count:     0
    .args:
      - .offset:         0
        .size:           144
        .value_kind:     by_value
    .group_segment_fixed_size: 0
    .kernarg_segment_align: 8
    .kernarg_segment_size: 144
    .language:       OpenCL C
    .language_version:
      - 2
      - 0
    .max_flat_workgroup_size: 256
    .name:           _ZN7rocprim17ROCPRIM_400000_NS6detail17trampoline_kernelINS0_13select_configILj256ELj13ELNS0_17block_load_methodE3ELS4_3ELS4_3ELNS0_20block_scan_algorithmE0ELj4294967295EEENS1_25partition_config_selectorILNS1_17partition_subalgoE3EjNS0_10empty_typeEbEEZZNS1_14partition_implILS8_3ELb0ES6_jNS0_17counting_iteratorIjlEEPS9_SE_NS0_5tupleIJPjSE_EEENSF_IJSE_SE_EEES9_SG_JZNS1_25segmented_radix_sort_implINS0_14default_configELb0EPKlPlSM_SN_N2at6native12_GLOBAL__N_18offset_tEEE10hipError_tPvRmT1_PNSt15iterator_traitsISV_E10value_typeET2_T3_PNSW_IS11_E10value_typeET4_jRbjT5_S17_jjP12ihipStream_tbEUljE_EEESS_ST_SU_S11_S15_S17_T6_T7_T9_mT8_S19_bDpT10_ENKUlT_T0_E_clISt17integral_constantIbLb1EES1L_IbLb0EEEEDaS1H_S1I_EUlS1H_E_NS1_11comp_targetILNS1_3genE3ELNS1_11target_archE908ELNS1_3gpuE7ELNS1_3repE0EEENS1_30default_config_static_selectorELNS0_4arch9wavefront6targetE1EEEvSV_
    .private_segment_fixed_size: 0
    .sgpr_count:     4
    .sgpr_spill_count: 0
    .symbol:         _ZN7rocprim17ROCPRIM_400000_NS6detail17trampoline_kernelINS0_13select_configILj256ELj13ELNS0_17block_load_methodE3ELS4_3ELS4_3ELNS0_20block_scan_algorithmE0ELj4294967295EEENS1_25partition_config_selectorILNS1_17partition_subalgoE3EjNS0_10empty_typeEbEEZZNS1_14partition_implILS8_3ELb0ES6_jNS0_17counting_iteratorIjlEEPS9_SE_NS0_5tupleIJPjSE_EEENSF_IJSE_SE_EEES9_SG_JZNS1_25segmented_radix_sort_implINS0_14default_configELb0EPKlPlSM_SN_N2at6native12_GLOBAL__N_18offset_tEEE10hipError_tPvRmT1_PNSt15iterator_traitsISV_E10value_typeET2_T3_PNSW_IS11_E10value_typeET4_jRbjT5_S17_jjP12ihipStream_tbEUljE_EEESS_ST_SU_S11_S15_S17_T6_T7_T9_mT8_S19_bDpT10_ENKUlT_T0_E_clISt17integral_constantIbLb1EES1L_IbLb0EEEEDaS1H_S1I_EUlS1H_E_NS1_11comp_targetILNS1_3genE3ELNS1_11target_archE908ELNS1_3gpuE7ELNS1_3repE0EEENS1_30default_config_static_selectorELNS0_4arch9wavefront6targetE1EEEvSV_.kd
    .uniform_work_group_size: 1
    .uses_dynamic_stack: false
    .vgpr_count:     0
    .vgpr_spill_count: 0
    .wavefront_size: 64
  - .agpr_count:     0
    .args:
      - .offset:         0
        .size:           144
        .value_kind:     by_value
    .group_segment_fixed_size: 0
    .kernarg_segment_align: 8
    .kernarg_segment_size: 144
    .language:       OpenCL C
    .language_version:
      - 2
      - 0
    .max_flat_workgroup_size: 256
    .name:           _ZN7rocprim17ROCPRIM_400000_NS6detail17trampoline_kernelINS0_13select_configILj256ELj13ELNS0_17block_load_methodE3ELS4_3ELS4_3ELNS0_20block_scan_algorithmE0ELj4294967295EEENS1_25partition_config_selectorILNS1_17partition_subalgoE3EjNS0_10empty_typeEbEEZZNS1_14partition_implILS8_3ELb0ES6_jNS0_17counting_iteratorIjlEEPS9_SE_NS0_5tupleIJPjSE_EEENSF_IJSE_SE_EEES9_SG_JZNS1_25segmented_radix_sort_implINS0_14default_configELb0EPKlPlSM_SN_N2at6native12_GLOBAL__N_18offset_tEEE10hipError_tPvRmT1_PNSt15iterator_traitsISV_E10value_typeET2_T3_PNSW_IS11_E10value_typeET4_jRbjT5_S17_jjP12ihipStream_tbEUljE_EEESS_ST_SU_S11_S15_S17_T6_T7_T9_mT8_S19_bDpT10_ENKUlT_T0_E_clISt17integral_constantIbLb1EES1L_IbLb0EEEEDaS1H_S1I_EUlS1H_E_NS1_11comp_targetILNS1_3genE2ELNS1_11target_archE906ELNS1_3gpuE6ELNS1_3repE0EEENS1_30default_config_static_selectorELNS0_4arch9wavefront6targetE1EEEvSV_
    .private_segment_fixed_size: 0
    .sgpr_count:     4
    .sgpr_spill_count: 0
    .symbol:         _ZN7rocprim17ROCPRIM_400000_NS6detail17trampoline_kernelINS0_13select_configILj256ELj13ELNS0_17block_load_methodE3ELS4_3ELS4_3ELNS0_20block_scan_algorithmE0ELj4294967295EEENS1_25partition_config_selectorILNS1_17partition_subalgoE3EjNS0_10empty_typeEbEEZZNS1_14partition_implILS8_3ELb0ES6_jNS0_17counting_iteratorIjlEEPS9_SE_NS0_5tupleIJPjSE_EEENSF_IJSE_SE_EEES9_SG_JZNS1_25segmented_radix_sort_implINS0_14default_configELb0EPKlPlSM_SN_N2at6native12_GLOBAL__N_18offset_tEEE10hipError_tPvRmT1_PNSt15iterator_traitsISV_E10value_typeET2_T3_PNSW_IS11_E10value_typeET4_jRbjT5_S17_jjP12ihipStream_tbEUljE_EEESS_ST_SU_S11_S15_S17_T6_T7_T9_mT8_S19_bDpT10_ENKUlT_T0_E_clISt17integral_constantIbLb1EES1L_IbLb0EEEEDaS1H_S1I_EUlS1H_E_NS1_11comp_targetILNS1_3genE2ELNS1_11target_archE906ELNS1_3gpuE6ELNS1_3repE0EEENS1_30default_config_static_selectorELNS0_4arch9wavefront6targetE1EEEvSV_.kd
    .uniform_work_group_size: 1
    .uses_dynamic_stack: false
    .vgpr_count:     0
    .vgpr_spill_count: 0
    .wavefront_size: 64
  - .agpr_count:     0
    .args:
      - .offset:         0
        .size:           144
        .value_kind:     by_value
    .group_segment_fixed_size: 0
    .kernarg_segment_align: 8
    .kernarg_segment_size: 144
    .language:       OpenCL C
    .language_version:
      - 2
      - 0
    .max_flat_workgroup_size: 256
    .name:           _ZN7rocprim17ROCPRIM_400000_NS6detail17trampoline_kernelINS0_13select_configILj256ELj13ELNS0_17block_load_methodE3ELS4_3ELS4_3ELNS0_20block_scan_algorithmE0ELj4294967295EEENS1_25partition_config_selectorILNS1_17partition_subalgoE3EjNS0_10empty_typeEbEEZZNS1_14partition_implILS8_3ELb0ES6_jNS0_17counting_iteratorIjlEEPS9_SE_NS0_5tupleIJPjSE_EEENSF_IJSE_SE_EEES9_SG_JZNS1_25segmented_radix_sort_implINS0_14default_configELb0EPKlPlSM_SN_N2at6native12_GLOBAL__N_18offset_tEEE10hipError_tPvRmT1_PNSt15iterator_traitsISV_E10value_typeET2_T3_PNSW_IS11_E10value_typeET4_jRbjT5_S17_jjP12ihipStream_tbEUljE_EEESS_ST_SU_S11_S15_S17_T6_T7_T9_mT8_S19_bDpT10_ENKUlT_T0_E_clISt17integral_constantIbLb1EES1L_IbLb0EEEEDaS1H_S1I_EUlS1H_E_NS1_11comp_targetILNS1_3genE10ELNS1_11target_archE1200ELNS1_3gpuE4ELNS1_3repE0EEENS1_30default_config_static_selectorELNS0_4arch9wavefront6targetE1EEEvSV_
    .private_segment_fixed_size: 0
    .sgpr_count:     4
    .sgpr_spill_count: 0
    .symbol:         _ZN7rocprim17ROCPRIM_400000_NS6detail17trampoline_kernelINS0_13select_configILj256ELj13ELNS0_17block_load_methodE3ELS4_3ELS4_3ELNS0_20block_scan_algorithmE0ELj4294967295EEENS1_25partition_config_selectorILNS1_17partition_subalgoE3EjNS0_10empty_typeEbEEZZNS1_14partition_implILS8_3ELb0ES6_jNS0_17counting_iteratorIjlEEPS9_SE_NS0_5tupleIJPjSE_EEENSF_IJSE_SE_EEES9_SG_JZNS1_25segmented_radix_sort_implINS0_14default_configELb0EPKlPlSM_SN_N2at6native12_GLOBAL__N_18offset_tEEE10hipError_tPvRmT1_PNSt15iterator_traitsISV_E10value_typeET2_T3_PNSW_IS11_E10value_typeET4_jRbjT5_S17_jjP12ihipStream_tbEUljE_EEESS_ST_SU_S11_S15_S17_T6_T7_T9_mT8_S19_bDpT10_ENKUlT_T0_E_clISt17integral_constantIbLb1EES1L_IbLb0EEEEDaS1H_S1I_EUlS1H_E_NS1_11comp_targetILNS1_3genE10ELNS1_11target_archE1200ELNS1_3gpuE4ELNS1_3repE0EEENS1_30default_config_static_selectorELNS0_4arch9wavefront6targetE1EEEvSV_.kd
    .uniform_work_group_size: 1
    .uses_dynamic_stack: false
    .vgpr_count:     0
    .vgpr_spill_count: 0
    .wavefront_size: 64
  - .agpr_count:     0
    .args:
      - .offset:         0
        .size:           144
        .value_kind:     by_value
    .group_segment_fixed_size: 0
    .kernarg_segment_align: 8
    .kernarg_segment_size: 144
    .language:       OpenCL C
    .language_version:
      - 2
      - 0
    .max_flat_workgroup_size: 256
    .name:           _ZN7rocprim17ROCPRIM_400000_NS6detail17trampoline_kernelINS0_13select_configILj256ELj13ELNS0_17block_load_methodE3ELS4_3ELS4_3ELNS0_20block_scan_algorithmE0ELj4294967295EEENS1_25partition_config_selectorILNS1_17partition_subalgoE3EjNS0_10empty_typeEbEEZZNS1_14partition_implILS8_3ELb0ES6_jNS0_17counting_iteratorIjlEEPS9_SE_NS0_5tupleIJPjSE_EEENSF_IJSE_SE_EEES9_SG_JZNS1_25segmented_radix_sort_implINS0_14default_configELb0EPKlPlSM_SN_N2at6native12_GLOBAL__N_18offset_tEEE10hipError_tPvRmT1_PNSt15iterator_traitsISV_E10value_typeET2_T3_PNSW_IS11_E10value_typeET4_jRbjT5_S17_jjP12ihipStream_tbEUljE_EEESS_ST_SU_S11_S15_S17_T6_T7_T9_mT8_S19_bDpT10_ENKUlT_T0_E_clISt17integral_constantIbLb1EES1L_IbLb0EEEEDaS1H_S1I_EUlS1H_E_NS1_11comp_targetILNS1_3genE9ELNS1_11target_archE1100ELNS1_3gpuE3ELNS1_3repE0EEENS1_30default_config_static_selectorELNS0_4arch9wavefront6targetE1EEEvSV_
    .private_segment_fixed_size: 0
    .sgpr_count:     4
    .sgpr_spill_count: 0
    .symbol:         _ZN7rocprim17ROCPRIM_400000_NS6detail17trampoline_kernelINS0_13select_configILj256ELj13ELNS0_17block_load_methodE3ELS4_3ELS4_3ELNS0_20block_scan_algorithmE0ELj4294967295EEENS1_25partition_config_selectorILNS1_17partition_subalgoE3EjNS0_10empty_typeEbEEZZNS1_14partition_implILS8_3ELb0ES6_jNS0_17counting_iteratorIjlEEPS9_SE_NS0_5tupleIJPjSE_EEENSF_IJSE_SE_EEES9_SG_JZNS1_25segmented_radix_sort_implINS0_14default_configELb0EPKlPlSM_SN_N2at6native12_GLOBAL__N_18offset_tEEE10hipError_tPvRmT1_PNSt15iterator_traitsISV_E10value_typeET2_T3_PNSW_IS11_E10value_typeET4_jRbjT5_S17_jjP12ihipStream_tbEUljE_EEESS_ST_SU_S11_S15_S17_T6_T7_T9_mT8_S19_bDpT10_ENKUlT_T0_E_clISt17integral_constantIbLb1EES1L_IbLb0EEEEDaS1H_S1I_EUlS1H_E_NS1_11comp_targetILNS1_3genE9ELNS1_11target_archE1100ELNS1_3gpuE3ELNS1_3repE0EEENS1_30default_config_static_selectorELNS0_4arch9wavefront6targetE1EEEvSV_.kd
    .uniform_work_group_size: 1
    .uses_dynamic_stack: false
    .vgpr_count:     0
    .vgpr_spill_count: 0
    .wavefront_size: 64
  - .agpr_count:     0
    .args:
      - .offset:         0
        .size:           144
        .value_kind:     by_value
    .group_segment_fixed_size: 0
    .kernarg_segment_align: 8
    .kernarg_segment_size: 144
    .language:       OpenCL C
    .language_version:
      - 2
      - 0
    .max_flat_workgroup_size: 256
    .name:           _ZN7rocprim17ROCPRIM_400000_NS6detail17trampoline_kernelINS0_13select_configILj256ELj13ELNS0_17block_load_methodE3ELS4_3ELS4_3ELNS0_20block_scan_algorithmE0ELj4294967295EEENS1_25partition_config_selectorILNS1_17partition_subalgoE3EjNS0_10empty_typeEbEEZZNS1_14partition_implILS8_3ELb0ES6_jNS0_17counting_iteratorIjlEEPS9_SE_NS0_5tupleIJPjSE_EEENSF_IJSE_SE_EEES9_SG_JZNS1_25segmented_radix_sort_implINS0_14default_configELb0EPKlPlSM_SN_N2at6native12_GLOBAL__N_18offset_tEEE10hipError_tPvRmT1_PNSt15iterator_traitsISV_E10value_typeET2_T3_PNSW_IS11_E10value_typeET4_jRbjT5_S17_jjP12ihipStream_tbEUljE_EEESS_ST_SU_S11_S15_S17_T6_T7_T9_mT8_S19_bDpT10_ENKUlT_T0_E_clISt17integral_constantIbLb1EES1L_IbLb0EEEEDaS1H_S1I_EUlS1H_E_NS1_11comp_targetILNS1_3genE8ELNS1_11target_archE1030ELNS1_3gpuE2ELNS1_3repE0EEENS1_30default_config_static_selectorELNS0_4arch9wavefront6targetE1EEEvSV_
    .private_segment_fixed_size: 0
    .sgpr_count:     4
    .sgpr_spill_count: 0
    .symbol:         _ZN7rocprim17ROCPRIM_400000_NS6detail17trampoline_kernelINS0_13select_configILj256ELj13ELNS0_17block_load_methodE3ELS4_3ELS4_3ELNS0_20block_scan_algorithmE0ELj4294967295EEENS1_25partition_config_selectorILNS1_17partition_subalgoE3EjNS0_10empty_typeEbEEZZNS1_14partition_implILS8_3ELb0ES6_jNS0_17counting_iteratorIjlEEPS9_SE_NS0_5tupleIJPjSE_EEENSF_IJSE_SE_EEES9_SG_JZNS1_25segmented_radix_sort_implINS0_14default_configELb0EPKlPlSM_SN_N2at6native12_GLOBAL__N_18offset_tEEE10hipError_tPvRmT1_PNSt15iterator_traitsISV_E10value_typeET2_T3_PNSW_IS11_E10value_typeET4_jRbjT5_S17_jjP12ihipStream_tbEUljE_EEESS_ST_SU_S11_S15_S17_T6_T7_T9_mT8_S19_bDpT10_ENKUlT_T0_E_clISt17integral_constantIbLb1EES1L_IbLb0EEEEDaS1H_S1I_EUlS1H_E_NS1_11comp_targetILNS1_3genE8ELNS1_11target_archE1030ELNS1_3gpuE2ELNS1_3repE0EEENS1_30default_config_static_selectorELNS0_4arch9wavefront6targetE1EEEvSV_.kd
    .uniform_work_group_size: 1
    .uses_dynamic_stack: false
    .vgpr_count:     0
    .vgpr_spill_count: 0
    .wavefront_size: 64
  - .agpr_count:     0
    .args:
      - .offset:         0
        .size:           152
        .value_kind:     by_value
    .group_segment_fixed_size: 0
    .kernarg_segment_align: 8
    .kernarg_segment_size: 152
    .language:       OpenCL C
    .language_version:
      - 2
      - 0
    .max_flat_workgroup_size: 256
    .name:           _ZN7rocprim17ROCPRIM_400000_NS6detail17trampoline_kernelINS0_13select_configILj256ELj13ELNS0_17block_load_methodE3ELS4_3ELS4_3ELNS0_20block_scan_algorithmE0ELj4294967295EEENS1_25partition_config_selectorILNS1_17partition_subalgoE3EjNS0_10empty_typeEbEEZZNS1_14partition_implILS8_3ELb0ES6_jNS0_17counting_iteratorIjlEEPS9_SE_NS0_5tupleIJPjSE_EEENSF_IJSE_SE_EEES9_SG_JZNS1_25segmented_radix_sort_implINS0_14default_configELb0EPKlPlSM_SN_N2at6native12_GLOBAL__N_18offset_tEEE10hipError_tPvRmT1_PNSt15iterator_traitsISV_E10value_typeET2_T3_PNSW_IS11_E10value_typeET4_jRbjT5_S17_jjP12ihipStream_tbEUljE_EEESS_ST_SU_S11_S15_S17_T6_T7_T9_mT8_S19_bDpT10_ENKUlT_T0_E_clISt17integral_constantIbLb0EES1L_IbLb1EEEEDaS1H_S1I_EUlS1H_E_NS1_11comp_targetILNS1_3genE0ELNS1_11target_archE4294967295ELNS1_3gpuE0ELNS1_3repE0EEENS1_30default_config_static_selectorELNS0_4arch9wavefront6targetE1EEEvSV_
    .private_segment_fixed_size: 0
    .sgpr_count:     4
    .sgpr_spill_count: 0
    .symbol:         _ZN7rocprim17ROCPRIM_400000_NS6detail17trampoline_kernelINS0_13select_configILj256ELj13ELNS0_17block_load_methodE3ELS4_3ELS4_3ELNS0_20block_scan_algorithmE0ELj4294967295EEENS1_25partition_config_selectorILNS1_17partition_subalgoE3EjNS0_10empty_typeEbEEZZNS1_14partition_implILS8_3ELb0ES6_jNS0_17counting_iteratorIjlEEPS9_SE_NS0_5tupleIJPjSE_EEENSF_IJSE_SE_EEES9_SG_JZNS1_25segmented_radix_sort_implINS0_14default_configELb0EPKlPlSM_SN_N2at6native12_GLOBAL__N_18offset_tEEE10hipError_tPvRmT1_PNSt15iterator_traitsISV_E10value_typeET2_T3_PNSW_IS11_E10value_typeET4_jRbjT5_S17_jjP12ihipStream_tbEUljE_EEESS_ST_SU_S11_S15_S17_T6_T7_T9_mT8_S19_bDpT10_ENKUlT_T0_E_clISt17integral_constantIbLb0EES1L_IbLb1EEEEDaS1H_S1I_EUlS1H_E_NS1_11comp_targetILNS1_3genE0ELNS1_11target_archE4294967295ELNS1_3gpuE0ELNS1_3repE0EEENS1_30default_config_static_selectorELNS0_4arch9wavefront6targetE1EEEvSV_.kd
    .uniform_work_group_size: 1
    .uses_dynamic_stack: false
    .vgpr_count:     0
    .vgpr_spill_count: 0
    .wavefront_size: 64
  - .agpr_count:     0
    .args:
      - .offset:         0
        .size:           152
        .value_kind:     by_value
    .group_segment_fixed_size: 0
    .kernarg_segment_align: 8
    .kernarg_segment_size: 152
    .language:       OpenCL C
    .language_version:
      - 2
      - 0
    .max_flat_workgroup_size: 256
    .name:           _ZN7rocprim17ROCPRIM_400000_NS6detail17trampoline_kernelINS0_13select_configILj256ELj13ELNS0_17block_load_methodE3ELS4_3ELS4_3ELNS0_20block_scan_algorithmE0ELj4294967295EEENS1_25partition_config_selectorILNS1_17partition_subalgoE3EjNS0_10empty_typeEbEEZZNS1_14partition_implILS8_3ELb0ES6_jNS0_17counting_iteratorIjlEEPS9_SE_NS0_5tupleIJPjSE_EEENSF_IJSE_SE_EEES9_SG_JZNS1_25segmented_radix_sort_implINS0_14default_configELb0EPKlPlSM_SN_N2at6native12_GLOBAL__N_18offset_tEEE10hipError_tPvRmT1_PNSt15iterator_traitsISV_E10value_typeET2_T3_PNSW_IS11_E10value_typeET4_jRbjT5_S17_jjP12ihipStream_tbEUljE_EEESS_ST_SU_S11_S15_S17_T6_T7_T9_mT8_S19_bDpT10_ENKUlT_T0_E_clISt17integral_constantIbLb0EES1L_IbLb1EEEEDaS1H_S1I_EUlS1H_E_NS1_11comp_targetILNS1_3genE5ELNS1_11target_archE942ELNS1_3gpuE9ELNS1_3repE0EEENS1_30default_config_static_selectorELNS0_4arch9wavefront6targetE1EEEvSV_
    .private_segment_fixed_size: 0
    .sgpr_count:     4
    .sgpr_spill_count: 0
    .symbol:         _ZN7rocprim17ROCPRIM_400000_NS6detail17trampoline_kernelINS0_13select_configILj256ELj13ELNS0_17block_load_methodE3ELS4_3ELS4_3ELNS0_20block_scan_algorithmE0ELj4294967295EEENS1_25partition_config_selectorILNS1_17partition_subalgoE3EjNS0_10empty_typeEbEEZZNS1_14partition_implILS8_3ELb0ES6_jNS0_17counting_iteratorIjlEEPS9_SE_NS0_5tupleIJPjSE_EEENSF_IJSE_SE_EEES9_SG_JZNS1_25segmented_radix_sort_implINS0_14default_configELb0EPKlPlSM_SN_N2at6native12_GLOBAL__N_18offset_tEEE10hipError_tPvRmT1_PNSt15iterator_traitsISV_E10value_typeET2_T3_PNSW_IS11_E10value_typeET4_jRbjT5_S17_jjP12ihipStream_tbEUljE_EEESS_ST_SU_S11_S15_S17_T6_T7_T9_mT8_S19_bDpT10_ENKUlT_T0_E_clISt17integral_constantIbLb0EES1L_IbLb1EEEEDaS1H_S1I_EUlS1H_E_NS1_11comp_targetILNS1_3genE5ELNS1_11target_archE942ELNS1_3gpuE9ELNS1_3repE0EEENS1_30default_config_static_selectorELNS0_4arch9wavefront6targetE1EEEvSV_.kd
    .uniform_work_group_size: 1
    .uses_dynamic_stack: false
    .vgpr_count:     0
    .vgpr_spill_count: 0
    .wavefront_size: 64
  - .agpr_count:     0
    .args:
      - .offset:         0
        .size:           152
        .value_kind:     by_value
    .group_segment_fixed_size: 13324
    .kernarg_segment_align: 8
    .kernarg_segment_size: 152
    .language:       OpenCL C
    .language_version:
      - 2
      - 0
    .max_flat_workgroup_size: 256
    .name:           _ZN7rocprim17ROCPRIM_400000_NS6detail17trampoline_kernelINS0_13select_configILj256ELj13ELNS0_17block_load_methodE3ELS4_3ELS4_3ELNS0_20block_scan_algorithmE0ELj4294967295EEENS1_25partition_config_selectorILNS1_17partition_subalgoE3EjNS0_10empty_typeEbEEZZNS1_14partition_implILS8_3ELb0ES6_jNS0_17counting_iteratorIjlEEPS9_SE_NS0_5tupleIJPjSE_EEENSF_IJSE_SE_EEES9_SG_JZNS1_25segmented_radix_sort_implINS0_14default_configELb0EPKlPlSM_SN_N2at6native12_GLOBAL__N_18offset_tEEE10hipError_tPvRmT1_PNSt15iterator_traitsISV_E10value_typeET2_T3_PNSW_IS11_E10value_typeET4_jRbjT5_S17_jjP12ihipStream_tbEUljE_EEESS_ST_SU_S11_S15_S17_T6_T7_T9_mT8_S19_bDpT10_ENKUlT_T0_E_clISt17integral_constantIbLb0EES1L_IbLb1EEEEDaS1H_S1I_EUlS1H_E_NS1_11comp_targetILNS1_3genE4ELNS1_11target_archE910ELNS1_3gpuE8ELNS1_3repE0EEENS1_30default_config_static_selectorELNS0_4arch9wavefront6targetE1EEEvSV_
    .private_segment_fixed_size: 0
    .sgpr_count:     48
    .sgpr_spill_count: 0
    .symbol:         _ZN7rocprim17ROCPRIM_400000_NS6detail17trampoline_kernelINS0_13select_configILj256ELj13ELNS0_17block_load_methodE3ELS4_3ELS4_3ELNS0_20block_scan_algorithmE0ELj4294967295EEENS1_25partition_config_selectorILNS1_17partition_subalgoE3EjNS0_10empty_typeEbEEZZNS1_14partition_implILS8_3ELb0ES6_jNS0_17counting_iteratorIjlEEPS9_SE_NS0_5tupleIJPjSE_EEENSF_IJSE_SE_EEES9_SG_JZNS1_25segmented_radix_sort_implINS0_14default_configELb0EPKlPlSM_SN_N2at6native12_GLOBAL__N_18offset_tEEE10hipError_tPvRmT1_PNSt15iterator_traitsISV_E10value_typeET2_T3_PNSW_IS11_E10value_typeET4_jRbjT5_S17_jjP12ihipStream_tbEUljE_EEESS_ST_SU_S11_S15_S17_T6_T7_T9_mT8_S19_bDpT10_ENKUlT_T0_E_clISt17integral_constantIbLb0EES1L_IbLb1EEEEDaS1H_S1I_EUlS1H_E_NS1_11comp_targetILNS1_3genE4ELNS1_11target_archE910ELNS1_3gpuE8ELNS1_3repE0EEENS1_30default_config_static_selectorELNS0_4arch9wavefront6targetE1EEEvSV_.kd
    .uniform_work_group_size: 1
    .uses_dynamic_stack: false
    .vgpr_count:     64
    .vgpr_spill_count: 0
    .wavefront_size: 64
  - .agpr_count:     0
    .args:
      - .offset:         0
        .size:           152
        .value_kind:     by_value
    .group_segment_fixed_size: 0
    .kernarg_segment_align: 8
    .kernarg_segment_size: 152
    .language:       OpenCL C
    .language_version:
      - 2
      - 0
    .max_flat_workgroup_size: 256
    .name:           _ZN7rocprim17ROCPRIM_400000_NS6detail17trampoline_kernelINS0_13select_configILj256ELj13ELNS0_17block_load_methodE3ELS4_3ELS4_3ELNS0_20block_scan_algorithmE0ELj4294967295EEENS1_25partition_config_selectorILNS1_17partition_subalgoE3EjNS0_10empty_typeEbEEZZNS1_14partition_implILS8_3ELb0ES6_jNS0_17counting_iteratorIjlEEPS9_SE_NS0_5tupleIJPjSE_EEENSF_IJSE_SE_EEES9_SG_JZNS1_25segmented_radix_sort_implINS0_14default_configELb0EPKlPlSM_SN_N2at6native12_GLOBAL__N_18offset_tEEE10hipError_tPvRmT1_PNSt15iterator_traitsISV_E10value_typeET2_T3_PNSW_IS11_E10value_typeET4_jRbjT5_S17_jjP12ihipStream_tbEUljE_EEESS_ST_SU_S11_S15_S17_T6_T7_T9_mT8_S19_bDpT10_ENKUlT_T0_E_clISt17integral_constantIbLb0EES1L_IbLb1EEEEDaS1H_S1I_EUlS1H_E_NS1_11comp_targetILNS1_3genE3ELNS1_11target_archE908ELNS1_3gpuE7ELNS1_3repE0EEENS1_30default_config_static_selectorELNS0_4arch9wavefront6targetE1EEEvSV_
    .private_segment_fixed_size: 0
    .sgpr_count:     4
    .sgpr_spill_count: 0
    .symbol:         _ZN7rocprim17ROCPRIM_400000_NS6detail17trampoline_kernelINS0_13select_configILj256ELj13ELNS0_17block_load_methodE3ELS4_3ELS4_3ELNS0_20block_scan_algorithmE0ELj4294967295EEENS1_25partition_config_selectorILNS1_17partition_subalgoE3EjNS0_10empty_typeEbEEZZNS1_14partition_implILS8_3ELb0ES6_jNS0_17counting_iteratorIjlEEPS9_SE_NS0_5tupleIJPjSE_EEENSF_IJSE_SE_EEES9_SG_JZNS1_25segmented_radix_sort_implINS0_14default_configELb0EPKlPlSM_SN_N2at6native12_GLOBAL__N_18offset_tEEE10hipError_tPvRmT1_PNSt15iterator_traitsISV_E10value_typeET2_T3_PNSW_IS11_E10value_typeET4_jRbjT5_S17_jjP12ihipStream_tbEUljE_EEESS_ST_SU_S11_S15_S17_T6_T7_T9_mT8_S19_bDpT10_ENKUlT_T0_E_clISt17integral_constantIbLb0EES1L_IbLb1EEEEDaS1H_S1I_EUlS1H_E_NS1_11comp_targetILNS1_3genE3ELNS1_11target_archE908ELNS1_3gpuE7ELNS1_3repE0EEENS1_30default_config_static_selectorELNS0_4arch9wavefront6targetE1EEEvSV_.kd
    .uniform_work_group_size: 1
    .uses_dynamic_stack: false
    .vgpr_count:     0
    .vgpr_spill_count: 0
    .wavefront_size: 64
  - .agpr_count:     0
    .args:
      - .offset:         0
        .size:           152
        .value_kind:     by_value
    .group_segment_fixed_size: 0
    .kernarg_segment_align: 8
    .kernarg_segment_size: 152
    .language:       OpenCL C
    .language_version:
      - 2
      - 0
    .max_flat_workgroup_size: 256
    .name:           _ZN7rocprim17ROCPRIM_400000_NS6detail17trampoline_kernelINS0_13select_configILj256ELj13ELNS0_17block_load_methodE3ELS4_3ELS4_3ELNS0_20block_scan_algorithmE0ELj4294967295EEENS1_25partition_config_selectorILNS1_17partition_subalgoE3EjNS0_10empty_typeEbEEZZNS1_14partition_implILS8_3ELb0ES6_jNS0_17counting_iteratorIjlEEPS9_SE_NS0_5tupleIJPjSE_EEENSF_IJSE_SE_EEES9_SG_JZNS1_25segmented_radix_sort_implINS0_14default_configELb0EPKlPlSM_SN_N2at6native12_GLOBAL__N_18offset_tEEE10hipError_tPvRmT1_PNSt15iterator_traitsISV_E10value_typeET2_T3_PNSW_IS11_E10value_typeET4_jRbjT5_S17_jjP12ihipStream_tbEUljE_EEESS_ST_SU_S11_S15_S17_T6_T7_T9_mT8_S19_bDpT10_ENKUlT_T0_E_clISt17integral_constantIbLb0EES1L_IbLb1EEEEDaS1H_S1I_EUlS1H_E_NS1_11comp_targetILNS1_3genE2ELNS1_11target_archE906ELNS1_3gpuE6ELNS1_3repE0EEENS1_30default_config_static_selectorELNS0_4arch9wavefront6targetE1EEEvSV_
    .private_segment_fixed_size: 0
    .sgpr_count:     4
    .sgpr_spill_count: 0
    .symbol:         _ZN7rocprim17ROCPRIM_400000_NS6detail17trampoline_kernelINS0_13select_configILj256ELj13ELNS0_17block_load_methodE3ELS4_3ELS4_3ELNS0_20block_scan_algorithmE0ELj4294967295EEENS1_25partition_config_selectorILNS1_17partition_subalgoE3EjNS0_10empty_typeEbEEZZNS1_14partition_implILS8_3ELb0ES6_jNS0_17counting_iteratorIjlEEPS9_SE_NS0_5tupleIJPjSE_EEENSF_IJSE_SE_EEES9_SG_JZNS1_25segmented_radix_sort_implINS0_14default_configELb0EPKlPlSM_SN_N2at6native12_GLOBAL__N_18offset_tEEE10hipError_tPvRmT1_PNSt15iterator_traitsISV_E10value_typeET2_T3_PNSW_IS11_E10value_typeET4_jRbjT5_S17_jjP12ihipStream_tbEUljE_EEESS_ST_SU_S11_S15_S17_T6_T7_T9_mT8_S19_bDpT10_ENKUlT_T0_E_clISt17integral_constantIbLb0EES1L_IbLb1EEEEDaS1H_S1I_EUlS1H_E_NS1_11comp_targetILNS1_3genE2ELNS1_11target_archE906ELNS1_3gpuE6ELNS1_3repE0EEENS1_30default_config_static_selectorELNS0_4arch9wavefront6targetE1EEEvSV_.kd
    .uniform_work_group_size: 1
    .uses_dynamic_stack: false
    .vgpr_count:     0
    .vgpr_spill_count: 0
    .wavefront_size: 64
  - .agpr_count:     0
    .args:
      - .offset:         0
        .size:           152
        .value_kind:     by_value
    .group_segment_fixed_size: 0
    .kernarg_segment_align: 8
    .kernarg_segment_size: 152
    .language:       OpenCL C
    .language_version:
      - 2
      - 0
    .max_flat_workgroup_size: 256
    .name:           _ZN7rocprim17ROCPRIM_400000_NS6detail17trampoline_kernelINS0_13select_configILj256ELj13ELNS0_17block_load_methodE3ELS4_3ELS4_3ELNS0_20block_scan_algorithmE0ELj4294967295EEENS1_25partition_config_selectorILNS1_17partition_subalgoE3EjNS0_10empty_typeEbEEZZNS1_14partition_implILS8_3ELb0ES6_jNS0_17counting_iteratorIjlEEPS9_SE_NS0_5tupleIJPjSE_EEENSF_IJSE_SE_EEES9_SG_JZNS1_25segmented_radix_sort_implINS0_14default_configELb0EPKlPlSM_SN_N2at6native12_GLOBAL__N_18offset_tEEE10hipError_tPvRmT1_PNSt15iterator_traitsISV_E10value_typeET2_T3_PNSW_IS11_E10value_typeET4_jRbjT5_S17_jjP12ihipStream_tbEUljE_EEESS_ST_SU_S11_S15_S17_T6_T7_T9_mT8_S19_bDpT10_ENKUlT_T0_E_clISt17integral_constantIbLb0EES1L_IbLb1EEEEDaS1H_S1I_EUlS1H_E_NS1_11comp_targetILNS1_3genE10ELNS1_11target_archE1200ELNS1_3gpuE4ELNS1_3repE0EEENS1_30default_config_static_selectorELNS0_4arch9wavefront6targetE1EEEvSV_
    .private_segment_fixed_size: 0
    .sgpr_count:     4
    .sgpr_spill_count: 0
    .symbol:         _ZN7rocprim17ROCPRIM_400000_NS6detail17trampoline_kernelINS0_13select_configILj256ELj13ELNS0_17block_load_methodE3ELS4_3ELS4_3ELNS0_20block_scan_algorithmE0ELj4294967295EEENS1_25partition_config_selectorILNS1_17partition_subalgoE3EjNS0_10empty_typeEbEEZZNS1_14partition_implILS8_3ELb0ES6_jNS0_17counting_iteratorIjlEEPS9_SE_NS0_5tupleIJPjSE_EEENSF_IJSE_SE_EEES9_SG_JZNS1_25segmented_radix_sort_implINS0_14default_configELb0EPKlPlSM_SN_N2at6native12_GLOBAL__N_18offset_tEEE10hipError_tPvRmT1_PNSt15iterator_traitsISV_E10value_typeET2_T3_PNSW_IS11_E10value_typeET4_jRbjT5_S17_jjP12ihipStream_tbEUljE_EEESS_ST_SU_S11_S15_S17_T6_T7_T9_mT8_S19_bDpT10_ENKUlT_T0_E_clISt17integral_constantIbLb0EES1L_IbLb1EEEEDaS1H_S1I_EUlS1H_E_NS1_11comp_targetILNS1_3genE10ELNS1_11target_archE1200ELNS1_3gpuE4ELNS1_3repE0EEENS1_30default_config_static_selectorELNS0_4arch9wavefront6targetE1EEEvSV_.kd
    .uniform_work_group_size: 1
    .uses_dynamic_stack: false
    .vgpr_count:     0
    .vgpr_spill_count: 0
    .wavefront_size: 64
  - .agpr_count:     0
    .args:
      - .offset:         0
        .size:           152
        .value_kind:     by_value
    .group_segment_fixed_size: 0
    .kernarg_segment_align: 8
    .kernarg_segment_size: 152
    .language:       OpenCL C
    .language_version:
      - 2
      - 0
    .max_flat_workgroup_size: 256
    .name:           _ZN7rocprim17ROCPRIM_400000_NS6detail17trampoline_kernelINS0_13select_configILj256ELj13ELNS0_17block_load_methodE3ELS4_3ELS4_3ELNS0_20block_scan_algorithmE0ELj4294967295EEENS1_25partition_config_selectorILNS1_17partition_subalgoE3EjNS0_10empty_typeEbEEZZNS1_14partition_implILS8_3ELb0ES6_jNS0_17counting_iteratorIjlEEPS9_SE_NS0_5tupleIJPjSE_EEENSF_IJSE_SE_EEES9_SG_JZNS1_25segmented_radix_sort_implINS0_14default_configELb0EPKlPlSM_SN_N2at6native12_GLOBAL__N_18offset_tEEE10hipError_tPvRmT1_PNSt15iterator_traitsISV_E10value_typeET2_T3_PNSW_IS11_E10value_typeET4_jRbjT5_S17_jjP12ihipStream_tbEUljE_EEESS_ST_SU_S11_S15_S17_T6_T7_T9_mT8_S19_bDpT10_ENKUlT_T0_E_clISt17integral_constantIbLb0EES1L_IbLb1EEEEDaS1H_S1I_EUlS1H_E_NS1_11comp_targetILNS1_3genE9ELNS1_11target_archE1100ELNS1_3gpuE3ELNS1_3repE0EEENS1_30default_config_static_selectorELNS0_4arch9wavefront6targetE1EEEvSV_
    .private_segment_fixed_size: 0
    .sgpr_count:     4
    .sgpr_spill_count: 0
    .symbol:         _ZN7rocprim17ROCPRIM_400000_NS6detail17trampoline_kernelINS0_13select_configILj256ELj13ELNS0_17block_load_methodE3ELS4_3ELS4_3ELNS0_20block_scan_algorithmE0ELj4294967295EEENS1_25partition_config_selectorILNS1_17partition_subalgoE3EjNS0_10empty_typeEbEEZZNS1_14partition_implILS8_3ELb0ES6_jNS0_17counting_iteratorIjlEEPS9_SE_NS0_5tupleIJPjSE_EEENSF_IJSE_SE_EEES9_SG_JZNS1_25segmented_radix_sort_implINS0_14default_configELb0EPKlPlSM_SN_N2at6native12_GLOBAL__N_18offset_tEEE10hipError_tPvRmT1_PNSt15iterator_traitsISV_E10value_typeET2_T3_PNSW_IS11_E10value_typeET4_jRbjT5_S17_jjP12ihipStream_tbEUljE_EEESS_ST_SU_S11_S15_S17_T6_T7_T9_mT8_S19_bDpT10_ENKUlT_T0_E_clISt17integral_constantIbLb0EES1L_IbLb1EEEEDaS1H_S1I_EUlS1H_E_NS1_11comp_targetILNS1_3genE9ELNS1_11target_archE1100ELNS1_3gpuE3ELNS1_3repE0EEENS1_30default_config_static_selectorELNS0_4arch9wavefront6targetE1EEEvSV_.kd
    .uniform_work_group_size: 1
    .uses_dynamic_stack: false
    .vgpr_count:     0
    .vgpr_spill_count: 0
    .wavefront_size: 64
  - .agpr_count:     0
    .args:
      - .offset:         0
        .size:           152
        .value_kind:     by_value
    .group_segment_fixed_size: 0
    .kernarg_segment_align: 8
    .kernarg_segment_size: 152
    .language:       OpenCL C
    .language_version:
      - 2
      - 0
    .max_flat_workgroup_size: 256
    .name:           _ZN7rocprim17ROCPRIM_400000_NS6detail17trampoline_kernelINS0_13select_configILj256ELj13ELNS0_17block_load_methodE3ELS4_3ELS4_3ELNS0_20block_scan_algorithmE0ELj4294967295EEENS1_25partition_config_selectorILNS1_17partition_subalgoE3EjNS0_10empty_typeEbEEZZNS1_14partition_implILS8_3ELb0ES6_jNS0_17counting_iteratorIjlEEPS9_SE_NS0_5tupleIJPjSE_EEENSF_IJSE_SE_EEES9_SG_JZNS1_25segmented_radix_sort_implINS0_14default_configELb0EPKlPlSM_SN_N2at6native12_GLOBAL__N_18offset_tEEE10hipError_tPvRmT1_PNSt15iterator_traitsISV_E10value_typeET2_T3_PNSW_IS11_E10value_typeET4_jRbjT5_S17_jjP12ihipStream_tbEUljE_EEESS_ST_SU_S11_S15_S17_T6_T7_T9_mT8_S19_bDpT10_ENKUlT_T0_E_clISt17integral_constantIbLb0EES1L_IbLb1EEEEDaS1H_S1I_EUlS1H_E_NS1_11comp_targetILNS1_3genE8ELNS1_11target_archE1030ELNS1_3gpuE2ELNS1_3repE0EEENS1_30default_config_static_selectorELNS0_4arch9wavefront6targetE1EEEvSV_
    .private_segment_fixed_size: 0
    .sgpr_count:     4
    .sgpr_spill_count: 0
    .symbol:         _ZN7rocprim17ROCPRIM_400000_NS6detail17trampoline_kernelINS0_13select_configILj256ELj13ELNS0_17block_load_methodE3ELS4_3ELS4_3ELNS0_20block_scan_algorithmE0ELj4294967295EEENS1_25partition_config_selectorILNS1_17partition_subalgoE3EjNS0_10empty_typeEbEEZZNS1_14partition_implILS8_3ELb0ES6_jNS0_17counting_iteratorIjlEEPS9_SE_NS0_5tupleIJPjSE_EEENSF_IJSE_SE_EEES9_SG_JZNS1_25segmented_radix_sort_implINS0_14default_configELb0EPKlPlSM_SN_N2at6native12_GLOBAL__N_18offset_tEEE10hipError_tPvRmT1_PNSt15iterator_traitsISV_E10value_typeET2_T3_PNSW_IS11_E10value_typeET4_jRbjT5_S17_jjP12ihipStream_tbEUljE_EEESS_ST_SU_S11_S15_S17_T6_T7_T9_mT8_S19_bDpT10_ENKUlT_T0_E_clISt17integral_constantIbLb0EES1L_IbLb1EEEEDaS1H_S1I_EUlS1H_E_NS1_11comp_targetILNS1_3genE8ELNS1_11target_archE1030ELNS1_3gpuE2ELNS1_3repE0EEENS1_30default_config_static_selectorELNS0_4arch9wavefront6targetE1EEEvSV_.kd
    .uniform_work_group_size: 1
    .uses_dynamic_stack: false
    .vgpr_count:     0
    .vgpr_spill_count: 0
    .wavefront_size: 64
  - .agpr_count:     0
    .args:
      - .offset:         0
        .size:           96
        .value_kind:     by_value
    .group_segment_fixed_size: 0
    .kernarg_segment_align: 8
    .kernarg_segment_size: 96
    .language:       OpenCL C
    .language_version:
      - 2
      - 0
    .max_flat_workgroup_size: 256
    .name:           _ZN7rocprim17ROCPRIM_400000_NS6detail17trampoline_kernelINS0_14default_configENS1_36segmented_radix_sort_config_selectorIllEEZNS1_25segmented_radix_sort_implIS3_Lb0EPKlPlS8_S9_N2at6native12_GLOBAL__N_18offset_tEEE10hipError_tPvRmT1_PNSt15iterator_traitsISH_E10value_typeET2_T3_PNSI_ISN_E10value_typeET4_jRbjT5_ST_jjP12ihipStream_tbEUlT_E_NS1_11comp_targetILNS1_3genE0ELNS1_11target_archE4294967295ELNS1_3gpuE0ELNS1_3repE0EEENS1_30default_config_static_selectorELNS0_4arch9wavefront6targetE1EEEvSH_
    .private_segment_fixed_size: 0
    .sgpr_count:     4
    .sgpr_spill_count: 0
    .symbol:         _ZN7rocprim17ROCPRIM_400000_NS6detail17trampoline_kernelINS0_14default_configENS1_36segmented_radix_sort_config_selectorIllEEZNS1_25segmented_radix_sort_implIS3_Lb0EPKlPlS8_S9_N2at6native12_GLOBAL__N_18offset_tEEE10hipError_tPvRmT1_PNSt15iterator_traitsISH_E10value_typeET2_T3_PNSI_ISN_E10value_typeET4_jRbjT5_ST_jjP12ihipStream_tbEUlT_E_NS1_11comp_targetILNS1_3genE0ELNS1_11target_archE4294967295ELNS1_3gpuE0ELNS1_3repE0EEENS1_30default_config_static_selectorELNS0_4arch9wavefront6targetE1EEEvSH_.kd
    .uniform_work_group_size: 1
    .uses_dynamic_stack: false
    .vgpr_count:     0
    .vgpr_spill_count: 0
    .wavefront_size: 64
  - .agpr_count:     0
    .args:
      - .offset:         0
        .size:           96
        .value_kind:     by_value
    .group_segment_fixed_size: 0
    .kernarg_segment_align: 8
    .kernarg_segment_size: 96
    .language:       OpenCL C
    .language_version:
      - 2
      - 0
    .max_flat_workgroup_size: 256
    .name:           _ZN7rocprim17ROCPRIM_400000_NS6detail17trampoline_kernelINS0_14default_configENS1_36segmented_radix_sort_config_selectorIllEEZNS1_25segmented_radix_sort_implIS3_Lb0EPKlPlS8_S9_N2at6native12_GLOBAL__N_18offset_tEEE10hipError_tPvRmT1_PNSt15iterator_traitsISH_E10value_typeET2_T3_PNSI_ISN_E10value_typeET4_jRbjT5_ST_jjP12ihipStream_tbEUlT_E_NS1_11comp_targetILNS1_3genE5ELNS1_11target_archE942ELNS1_3gpuE9ELNS1_3repE0EEENS1_30default_config_static_selectorELNS0_4arch9wavefront6targetE1EEEvSH_
    .private_segment_fixed_size: 0
    .sgpr_count:     4
    .sgpr_spill_count: 0
    .symbol:         _ZN7rocprim17ROCPRIM_400000_NS6detail17trampoline_kernelINS0_14default_configENS1_36segmented_radix_sort_config_selectorIllEEZNS1_25segmented_radix_sort_implIS3_Lb0EPKlPlS8_S9_N2at6native12_GLOBAL__N_18offset_tEEE10hipError_tPvRmT1_PNSt15iterator_traitsISH_E10value_typeET2_T3_PNSI_ISN_E10value_typeET4_jRbjT5_ST_jjP12ihipStream_tbEUlT_E_NS1_11comp_targetILNS1_3genE5ELNS1_11target_archE942ELNS1_3gpuE9ELNS1_3repE0EEENS1_30default_config_static_selectorELNS0_4arch9wavefront6targetE1EEEvSH_.kd
    .uniform_work_group_size: 1
    .uses_dynamic_stack: false
    .vgpr_count:     0
    .vgpr_spill_count: 0
    .wavefront_size: 64
  - .agpr_count:     32
    .args:
      - .offset:         0
        .size:           96
        .value_kind:     by_value
      - .offset:         96
        .size:           4
        .value_kind:     hidden_block_count_x
      - .offset:         100
        .size:           4
        .value_kind:     hidden_block_count_y
      - .offset:         104
        .size:           4
        .value_kind:     hidden_block_count_z
      - .offset:         108
        .size:           2
        .value_kind:     hidden_group_size_x
      - .offset:         110
        .size:           2
        .value_kind:     hidden_group_size_y
      - .offset:         112
        .size:           2
        .value_kind:     hidden_group_size_z
      - .offset:         114
        .size:           2
        .value_kind:     hidden_remainder_x
      - .offset:         116
        .size:           2
        .value_kind:     hidden_remainder_y
      - .offset:         118
        .size:           2
        .value_kind:     hidden_remainder_z
      - .offset:         136
        .size:           8
        .value_kind:     hidden_global_offset_x
      - .offset:         144
        .size:           8
        .value_kind:     hidden_global_offset_y
      - .offset:         152
        .size:           8
        .value_kind:     hidden_global_offset_z
      - .offset:         160
        .size:           2
        .value_kind:     hidden_grid_dims
      - .offset:         176
        .size:           8
        .value_kind:     hidden_hostcall_buffer
      - .offset:         184
        .size:           8
        .value_kind:     hidden_multigrid_sync_arg
      - .offset:         192
        .size:           8
        .value_kind:     hidden_heap_v1
      - .offset:         200
        .size:           8
        .value_kind:     hidden_default_queue
      - .offset:         208
        .size:           8
        .value_kind:     hidden_completion_action
      - .offset:         296
        .size:           8
        .value_kind:     hidden_queue_ptr
    .group_segment_fixed_size: 33808
    .kernarg_segment_align: 8
    .kernarg_segment_size: 352
    .language:       OpenCL C
    .language_version:
      - 2
      - 0
    .max_flat_workgroup_size: 256
    .name:           _ZN7rocprim17ROCPRIM_400000_NS6detail17trampoline_kernelINS0_14default_configENS1_36segmented_radix_sort_config_selectorIllEEZNS1_25segmented_radix_sort_implIS3_Lb0EPKlPlS8_S9_N2at6native12_GLOBAL__N_18offset_tEEE10hipError_tPvRmT1_PNSt15iterator_traitsISH_E10value_typeET2_T3_PNSI_ISN_E10value_typeET4_jRbjT5_ST_jjP12ihipStream_tbEUlT_E_NS1_11comp_targetILNS1_3genE4ELNS1_11target_archE910ELNS1_3gpuE8ELNS1_3repE0EEENS1_30default_config_static_selectorELNS0_4arch9wavefront6targetE1EEEvSH_
    .private_segment_fixed_size: 128
    .sgpr_count:     106
    .sgpr_spill_count: 7
    .symbol:         _ZN7rocprim17ROCPRIM_400000_NS6detail17trampoline_kernelINS0_14default_configENS1_36segmented_radix_sort_config_selectorIllEEZNS1_25segmented_radix_sort_implIS3_Lb0EPKlPlS8_S9_N2at6native12_GLOBAL__N_18offset_tEEE10hipError_tPvRmT1_PNSt15iterator_traitsISH_E10value_typeET2_T3_PNSI_ISN_E10value_typeET4_jRbjT5_ST_jjP12ihipStream_tbEUlT_E_NS1_11comp_targetILNS1_3genE4ELNS1_11target_archE910ELNS1_3gpuE8ELNS1_3repE0EEENS1_30default_config_static_selectorELNS0_4arch9wavefront6targetE1EEEvSH_.kd
    .uniform_work_group_size: 1
    .uses_dynamic_stack: false
    .vgpr_count:     280
    .vgpr_spill_count: 0
    .wavefront_size: 64
  - .agpr_count:     0
    .args:
      - .offset:         0
        .size:           96
        .value_kind:     by_value
    .group_segment_fixed_size: 0
    .kernarg_segment_align: 8
    .kernarg_segment_size: 96
    .language:       OpenCL C
    .language_version:
      - 2
      - 0
    .max_flat_workgroup_size: 256
    .name:           _ZN7rocprim17ROCPRIM_400000_NS6detail17trampoline_kernelINS0_14default_configENS1_36segmented_radix_sort_config_selectorIllEEZNS1_25segmented_radix_sort_implIS3_Lb0EPKlPlS8_S9_N2at6native12_GLOBAL__N_18offset_tEEE10hipError_tPvRmT1_PNSt15iterator_traitsISH_E10value_typeET2_T3_PNSI_ISN_E10value_typeET4_jRbjT5_ST_jjP12ihipStream_tbEUlT_E_NS1_11comp_targetILNS1_3genE3ELNS1_11target_archE908ELNS1_3gpuE7ELNS1_3repE0EEENS1_30default_config_static_selectorELNS0_4arch9wavefront6targetE1EEEvSH_
    .private_segment_fixed_size: 0
    .sgpr_count:     4
    .sgpr_spill_count: 0
    .symbol:         _ZN7rocprim17ROCPRIM_400000_NS6detail17trampoline_kernelINS0_14default_configENS1_36segmented_radix_sort_config_selectorIllEEZNS1_25segmented_radix_sort_implIS3_Lb0EPKlPlS8_S9_N2at6native12_GLOBAL__N_18offset_tEEE10hipError_tPvRmT1_PNSt15iterator_traitsISH_E10value_typeET2_T3_PNSI_ISN_E10value_typeET4_jRbjT5_ST_jjP12ihipStream_tbEUlT_E_NS1_11comp_targetILNS1_3genE3ELNS1_11target_archE908ELNS1_3gpuE7ELNS1_3repE0EEENS1_30default_config_static_selectorELNS0_4arch9wavefront6targetE1EEEvSH_.kd
    .uniform_work_group_size: 1
    .uses_dynamic_stack: false
    .vgpr_count:     0
    .vgpr_spill_count: 0
    .wavefront_size: 64
  - .agpr_count:     0
    .args:
      - .offset:         0
        .size:           96
        .value_kind:     by_value
    .group_segment_fixed_size: 0
    .kernarg_segment_align: 8
    .kernarg_segment_size: 96
    .language:       OpenCL C
    .language_version:
      - 2
      - 0
    .max_flat_workgroup_size: 256
    .name:           _ZN7rocprim17ROCPRIM_400000_NS6detail17trampoline_kernelINS0_14default_configENS1_36segmented_radix_sort_config_selectorIllEEZNS1_25segmented_radix_sort_implIS3_Lb0EPKlPlS8_S9_N2at6native12_GLOBAL__N_18offset_tEEE10hipError_tPvRmT1_PNSt15iterator_traitsISH_E10value_typeET2_T3_PNSI_ISN_E10value_typeET4_jRbjT5_ST_jjP12ihipStream_tbEUlT_E_NS1_11comp_targetILNS1_3genE2ELNS1_11target_archE906ELNS1_3gpuE6ELNS1_3repE0EEENS1_30default_config_static_selectorELNS0_4arch9wavefront6targetE1EEEvSH_
    .private_segment_fixed_size: 0
    .sgpr_count:     4
    .sgpr_spill_count: 0
    .symbol:         _ZN7rocprim17ROCPRIM_400000_NS6detail17trampoline_kernelINS0_14default_configENS1_36segmented_radix_sort_config_selectorIllEEZNS1_25segmented_radix_sort_implIS3_Lb0EPKlPlS8_S9_N2at6native12_GLOBAL__N_18offset_tEEE10hipError_tPvRmT1_PNSt15iterator_traitsISH_E10value_typeET2_T3_PNSI_ISN_E10value_typeET4_jRbjT5_ST_jjP12ihipStream_tbEUlT_E_NS1_11comp_targetILNS1_3genE2ELNS1_11target_archE906ELNS1_3gpuE6ELNS1_3repE0EEENS1_30default_config_static_selectorELNS0_4arch9wavefront6targetE1EEEvSH_.kd
    .uniform_work_group_size: 1
    .uses_dynamic_stack: false
    .vgpr_count:     0
    .vgpr_spill_count: 0
    .wavefront_size: 64
  - .agpr_count:     0
    .args:
      - .offset:         0
        .size:           96
        .value_kind:     by_value
    .group_segment_fixed_size: 0
    .kernarg_segment_align: 8
    .kernarg_segment_size: 96
    .language:       OpenCL C
    .language_version:
      - 2
      - 0
    .max_flat_workgroup_size: 256
    .name:           _ZN7rocprim17ROCPRIM_400000_NS6detail17trampoline_kernelINS0_14default_configENS1_36segmented_radix_sort_config_selectorIllEEZNS1_25segmented_radix_sort_implIS3_Lb0EPKlPlS8_S9_N2at6native12_GLOBAL__N_18offset_tEEE10hipError_tPvRmT1_PNSt15iterator_traitsISH_E10value_typeET2_T3_PNSI_ISN_E10value_typeET4_jRbjT5_ST_jjP12ihipStream_tbEUlT_E_NS1_11comp_targetILNS1_3genE10ELNS1_11target_archE1201ELNS1_3gpuE5ELNS1_3repE0EEENS1_30default_config_static_selectorELNS0_4arch9wavefront6targetE1EEEvSH_
    .private_segment_fixed_size: 0
    .sgpr_count:     4
    .sgpr_spill_count: 0
    .symbol:         _ZN7rocprim17ROCPRIM_400000_NS6detail17trampoline_kernelINS0_14default_configENS1_36segmented_radix_sort_config_selectorIllEEZNS1_25segmented_radix_sort_implIS3_Lb0EPKlPlS8_S9_N2at6native12_GLOBAL__N_18offset_tEEE10hipError_tPvRmT1_PNSt15iterator_traitsISH_E10value_typeET2_T3_PNSI_ISN_E10value_typeET4_jRbjT5_ST_jjP12ihipStream_tbEUlT_E_NS1_11comp_targetILNS1_3genE10ELNS1_11target_archE1201ELNS1_3gpuE5ELNS1_3repE0EEENS1_30default_config_static_selectorELNS0_4arch9wavefront6targetE1EEEvSH_.kd
    .uniform_work_group_size: 1
    .uses_dynamic_stack: false
    .vgpr_count:     0
    .vgpr_spill_count: 0
    .wavefront_size: 64
  - .agpr_count:     0
    .args:
      - .offset:         0
        .size:           96
        .value_kind:     by_value
    .group_segment_fixed_size: 0
    .kernarg_segment_align: 8
    .kernarg_segment_size: 96
    .language:       OpenCL C
    .language_version:
      - 2
      - 0
    .max_flat_workgroup_size: 128
    .name:           _ZN7rocprim17ROCPRIM_400000_NS6detail17trampoline_kernelINS0_14default_configENS1_36segmented_radix_sort_config_selectorIllEEZNS1_25segmented_radix_sort_implIS3_Lb0EPKlPlS8_S9_N2at6native12_GLOBAL__N_18offset_tEEE10hipError_tPvRmT1_PNSt15iterator_traitsISH_E10value_typeET2_T3_PNSI_ISN_E10value_typeET4_jRbjT5_ST_jjP12ihipStream_tbEUlT_E_NS1_11comp_targetILNS1_3genE10ELNS1_11target_archE1200ELNS1_3gpuE4ELNS1_3repE0EEENS1_30default_config_static_selectorELNS0_4arch9wavefront6targetE1EEEvSH_
    .private_segment_fixed_size: 0
    .sgpr_count:     4
    .sgpr_spill_count: 0
    .symbol:         _ZN7rocprim17ROCPRIM_400000_NS6detail17trampoline_kernelINS0_14default_configENS1_36segmented_radix_sort_config_selectorIllEEZNS1_25segmented_radix_sort_implIS3_Lb0EPKlPlS8_S9_N2at6native12_GLOBAL__N_18offset_tEEE10hipError_tPvRmT1_PNSt15iterator_traitsISH_E10value_typeET2_T3_PNSI_ISN_E10value_typeET4_jRbjT5_ST_jjP12ihipStream_tbEUlT_E_NS1_11comp_targetILNS1_3genE10ELNS1_11target_archE1200ELNS1_3gpuE4ELNS1_3repE0EEENS1_30default_config_static_selectorELNS0_4arch9wavefront6targetE1EEEvSH_.kd
    .uniform_work_group_size: 1
    .uses_dynamic_stack: false
    .vgpr_count:     0
    .vgpr_spill_count: 0
    .wavefront_size: 64
  - .agpr_count:     0
    .args:
      - .offset:         0
        .size:           96
        .value_kind:     by_value
    .group_segment_fixed_size: 0
    .kernarg_segment_align: 8
    .kernarg_segment_size: 96
    .language:       OpenCL C
    .language_version:
      - 2
      - 0
    .max_flat_workgroup_size: 256
    .name:           _ZN7rocprim17ROCPRIM_400000_NS6detail17trampoline_kernelINS0_14default_configENS1_36segmented_radix_sort_config_selectorIllEEZNS1_25segmented_radix_sort_implIS3_Lb0EPKlPlS8_S9_N2at6native12_GLOBAL__N_18offset_tEEE10hipError_tPvRmT1_PNSt15iterator_traitsISH_E10value_typeET2_T3_PNSI_ISN_E10value_typeET4_jRbjT5_ST_jjP12ihipStream_tbEUlT_E_NS1_11comp_targetILNS1_3genE9ELNS1_11target_archE1100ELNS1_3gpuE3ELNS1_3repE0EEENS1_30default_config_static_selectorELNS0_4arch9wavefront6targetE1EEEvSH_
    .private_segment_fixed_size: 0
    .sgpr_count:     4
    .sgpr_spill_count: 0
    .symbol:         _ZN7rocprim17ROCPRIM_400000_NS6detail17trampoline_kernelINS0_14default_configENS1_36segmented_radix_sort_config_selectorIllEEZNS1_25segmented_radix_sort_implIS3_Lb0EPKlPlS8_S9_N2at6native12_GLOBAL__N_18offset_tEEE10hipError_tPvRmT1_PNSt15iterator_traitsISH_E10value_typeET2_T3_PNSI_ISN_E10value_typeET4_jRbjT5_ST_jjP12ihipStream_tbEUlT_E_NS1_11comp_targetILNS1_3genE9ELNS1_11target_archE1100ELNS1_3gpuE3ELNS1_3repE0EEENS1_30default_config_static_selectorELNS0_4arch9wavefront6targetE1EEEvSH_.kd
    .uniform_work_group_size: 1
    .uses_dynamic_stack: false
    .vgpr_count:     0
    .vgpr_spill_count: 0
    .wavefront_size: 64
  - .agpr_count:     0
    .args:
      - .offset:         0
        .size:           96
        .value_kind:     by_value
    .group_segment_fixed_size: 0
    .kernarg_segment_align: 8
    .kernarg_segment_size: 96
    .language:       OpenCL C
    .language_version:
      - 2
      - 0
    .max_flat_workgroup_size: 256
    .name:           _ZN7rocprim17ROCPRIM_400000_NS6detail17trampoline_kernelINS0_14default_configENS1_36segmented_radix_sort_config_selectorIllEEZNS1_25segmented_radix_sort_implIS3_Lb0EPKlPlS8_S9_N2at6native12_GLOBAL__N_18offset_tEEE10hipError_tPvRmT1_PNSt15iterator_traitsISH_E10value_typeET2_T3_PNSI_ISN_E10value_typeET4_jRbjT5_ST_jjP12ihipStream_tbEUlT_E_NS1_11comp_targetILNS1_3genE8ELNS1_11target_archE1030ELNS1_3gpuE2ELNS1_3repE0EEENS1_30default_config_static_selectorELNS0_4arch9wavefront6targetE1EEEvSH_
    .private_segment_fixed_size: 0
    .sgpr_count:     4
    .sgpr_spill_count: 0
    .symbol:         _ZN7rocprim17ROCPRIM_400000_NS6detail17trampoline_kernelINS0_14default_configENS1_36segmented_radix_sort_config_selectorIllEEZNS1_25segmented_radix_sort_implIS3_Lb0EPKlPlS8_S9_N2at6native12_GLOBAL__N_18offset_tEEE10hipError_tPvRmT1_PNSt15iterator_traitsISH_E10value_typeET2_T3_PNSI_ISN_E10value_typeET4_jRbjT5_ST_jjP12ihipStream_tbEUlT_E_NS1_11comp_targetILNS1_3genE8ELNS1_11target_archE1030ELNS1_3gpuE2ELNS1_3repE0EEENS1_30default_config_static_selectorELNS0_4arch9wavefront6targetE1EEEvSH_.kd
    .uniform_work_group_size: 1
    .uses_dynamic_stack: false
    .vgpr_count:     0
    .vgpr_spill_count: 0
    .wavefront_size: 64
  - .agpr_count:     0
    .args:
      - .offset:         0
        .size:           88
        .value_kind:     by_value
    .group_segment_fixed_size: 0
    .kernarg_segment_align: 8
    .kernarg_segment_size: 88
    .language:       OpenCL C
    .language_version:
      - 2
      - 0
    .max_flat_workgroup_size: 256
    .name:           _ZN7rocprim17ROCPRIM_400000_NS6detail17trampoline_kernelINS0_14default_configENS1_36segmented_radix_sort_config_selectorIllEEZNS1_25segmented_radix_sort_implIS3_Lb0EPKlPlS8_S9_N2at6native12_GLOBAL__N_18offset_tEEE10hipError_tPvRmT1_PNSt15iterator_traitsISH_E10value_typeET2_T3_PNSI_ISN_E10value_typeET4_jRbjT5_ST_jjP12ihipStream_tbEUlT_E0_NS1_11comp_targetILNS1_3genE0ELNS1_11target_archE4294967295ELNS1_3gpuE0ELNS1_3repE0EEENS1_60segmented_radix_sort_warp_sort_medium_config_static_selectorELNS0_4arch9wavefront6targetE1EEEvSH_
    .private_segment_fixed_size: 0
    .sgpr_count:     4
    .sgpr_spill_count: 0
    .symbol:         _ZN7rocprim17ROCPRIM_400000_NS6detail17trampoline_kernelINS0_14default_configENS1_36segmented_radix_sort_config_selectorIllEEZNS1_25segmented_radix_sort_implIS3_Lb0EPKlPlS8_S9_N2at6native12_GLOBAL__N_18offset_tEEE10hipError_tPvRmT1_PNSt15iterator_traitsISH_E10value_typeET2_T3_PNSI_ISN_E10value_typeET4_jRbjT5_ST_jjP12ihipStream_tbEUlT_E0_NS1_11comp_targetILNS1_3genE0ELNS1_11target_archE4294967295ELNS1_3gpuE0ELNS1_3repE0EEENS1_60segmented_radix_sort_warp_sort_medium_config_static_selectorELNS0_4arch9wavefront6targetE1EEEvSH_.kd
    .uniform_work_group_size: 1
    .uses_dynamic_stack: false
    .vgpr_count:     0
    .vgpr_spill_count: 0
    .wavefront_size: 64
  - .agpr_count:     0
    .args:
      - .offset:         0
        .size:           88
        .value_kind:     by_value
    .group_segment_fixed_size: 0
    .kernarg_segment_align: 8
    .kernarg_segment_size: 88
    .language:       OpenCL C
    .language_version:
      - 2
      - 0
    .max_flat_workgroup_size: 256
    .name:           _ZN7rocprim17ROCPRIM_400000_NS6detail17trampoline_kernelINS0_14default_configENS1_36segmented_radix_sort_config_selectorIllEEZNS1_25segmented_radix_sort_implIS3_Lb0EPKlPlS8_S9_N2at6native12_GLOBAL__N_18offset_tEEE10hipError_tPvRmT1_PNSt15iterator_traitsISH_E10value_typeET2_T3_PNSI_ISN_E10value_typeET4_jRbjT5_ST_jjP12ihipStream_tbEUlT_E0_NS1_11comp_targetILNS1_3genE5ELNS1_11target_archE942ELNS1_3gpuE9ELNS1_3repE0EEENS1_60segmented_radix_sort_warp_sort_medium_config_static_selectorELNS0_4arch9wavefront6targetE1EEEvSH_
    .private_segment_fixed_size: 0
    .sgpr_count:     4
    .sgpr_spill_count: 0
    .symbol:         _ZN7rocprim17ROCPRIM_400000_NS6detail17trampoline_kernelINS0_14default_configENS1_36segmented_radix_sort_config_selectorIllEEZNS1_25segmented_radix_sort_implIS3_Lb0EPKlPlS8_S9_N2at6native12_GLOBAL__N_18offset_tEEE10hipError_tPvRmT1_PNSt15iterator_traitsISH_E10value_typeET2_T3_PNSI_ISN_E10value_typeET4_jRbjT5_ST_jjP12ihipStream_tbEUlT_E0_NS1_11comp_targetILNS1_3genE5ELNS1_11target_archE942ELNS1_3gpuE9ELNS1_3repE0EEENS1_60segmented_radix_sort_warp_sort_medium_config_static_selectorELNS0_4arch9wavefront6targetE1EEEvSH_.kd
    .uniform_work_group_size: 1
    .uses_dynamic_stack: false
    .vgpr_count:     0
    .vgpr_spill_count: 0
    .wavefront_size: 64
  - .agpr_count:     0
    .args:
      - .offset:         0
        .size:           88
        .value_kind:     by_value
      - .offset:         88
        .size:           4
        .value_kind:     hidden_block_count_x
      - .offset:         92
        .size:           4
        .value_kind:     hidden_block_count_y
      - .offset:         96
        .size:           4
        .value_kind:     hidden_block_count_z
      - .offset:         100
        .size:           2
        .value_kind:     hidden_group_size_x
      - .offset:         102
        .size:           2
        .value_kind:     hidden_group_size_y
      - .offset:         104
        .size:           2
        .value_kind:     hidden_group_size_z
      - .offset:         106
        .size:           2
        .value_kind:     hidden_remainder_x
      - .offset:         108
        .size:           2
        .value_kind:     hidden_remainder_y
      - .offset:         110
        .size:           2
        .value_kind:     hidden_remainder_z
      - .offset:         128
        .size:           8
        .value_kind:     hidden_global_offset_x
      - .offset:         136
        .size:           8
        .value_kind:     hidden_global_offset_y
      - .offset:         144
        .size:           8
        .value_kind:     hidden_global_offset_z
      - .offset:         152
        .size:           2
        .value_kind:     hidden_grid_dims
      - .offset:         168
        .size:           8
        .value_kind:     hidden_hostcall_buffer
      - .offset:         176
        .size:           8
        .value_kind:     hidden_multigrid_sync_arg
      - .offset:         184
        .size:           8
        .value_kind:     hidden_heap_v1
      - .offset:         192
        .size:           8
        .value_kind:     hidden_default_queue
      - .offset:         200
        .size:           8
        .value_kind:     hidden_completion_action
      - .offset:         288
        .size:           8
        .value_kind:     hidden_queue_ptr
    .group_segment_fixed_size: 32768
    .kernarg_segment_align: 8
    .kernarg_segment_size: 344
    .language:       OpenCL C
    .language_version:
      - 2
      - 0
    .max_flat_workgroup_size: 256
    .name:           _ZN7rocprim17ROCPRIM_400000_NS6detail17trampoline_kernelINS0_14default_configENS1_36segmented_radix_sort_config_selectorIllEEZNS1_25segmented_radix_sort_implIS3_Lb0EPKlPlS8_S9_N2at6native12_GLOBAL__N_18offset_tEEE10hipError_tPvRmT1_PNSt15iterator_traitsISH_E10value_typeET2_T3_PNSI_ISN_E10value_typeET4_jRbjT5_ST_jjP12ihipStream_tbEUlT_E0_NS1_11comp_targetILNS1_3genE4ELNS1_11target_archE910ELNS1_3gpuE8ELNS1_3repE0EEENS1_60segmented_radix_sort_warp_sort_medium_config_static_selectorELNS0_4arch9wavefront6targetE1EEEvSH_
    .private_segment_fixed_size: 8
    .sgpr_count:     64
    .sgpr_spill_count: 0
    .symbol:         _ZN7rocprim17ROCPRIM_400000_NS6detail17trampoline_kernelINS0_14default_configENS1_36segmented_radix_sort_config_selectorIllEEZNS1_25segmented_radix_sort_implIS3_Lb0EPKlPlS8_S9_N2at6native12_GLOBAL__N_18offset_tEEE10hipError_tPvRmT1_PNSt15iterator_traitsISH_E10value_typeET2_T3_PNSI_ISN_E10value_typeET4_jRbjT5_ST_jjP12ihipStream_tbEUlT_E0_NS1_11comp_targetILNS1_3genE4ELNS1_11target_archE910ELNS1_3gpuE8ELNS1_3repE0EEENS1_60segmented_radix_sort_warp_sort_medium_config_static_selectorELNS0_4arch9wavefront6targetE1EEEvSH_.kd
    .uniform_work_group_size: 1
    .uses_dynamic_stack: false
    .vgpr_count:     85
    .vgpr_spill_count: 0
    .wavefront_size: 64
  - .agpr_count:     0
    .args:
      - .offset:         0
        .size:           88
        .value_kind:     by_value
    .group_segment_fixed_size: 0
    .kernarg_segment_align: 8
    .kernarg_segment_size: 88
    .language:       OpenCL C
    .language_version:
      - 2
      - 0
    .max_flat_workgroup_size: 256
    .name:           _ZN7rocprim17ROCPRIM_400000_NS6detail17trampoline_kernelINS0_14default_configENS1_36segmented_radix_sort_config_selectorIllEEZNS1_25segmented_radix_sort_implIS3_Lb0EPKlPlS8_S9_N2at6native12_GLOBAL__N_18offset_tEEE10hipError_tPvRmT1_PNSt15iterator_traitsISH_E10value_typeET2_T3_PNSI_ISN_E10value_typeET4_jRbjT5_ST_jjP12ihipStream_tbEUlT_E0_NS1_11comp_targetILNS1_3genE3ELNS1_11target_archE908ELNS1_3gpuE7ELNS1_3repE0EEENS1_60segmented_radix_sort_warp_sort_medium_config_static_selectorELNS0_4arch9wavefront6targetE1EEEvSH_
    .private_segment_fixed_size: 0
    .sgpr_count:     4
    .sgpr_spill_count: 0
    .symbol:         _ZN7rocprim17ROCPRIM_400000_NS6detail17trampoline_kernelINS0_14default_configENS1_36segmented_radix_sort_config_selectorIllEEZNS1_25segmented_radix_sort_implIS3_Lb0EPKlPlS8_S9_N2at6native12_GLOBAL__N_18offset_tEEE10hipError_tPvRmT1_PNSt15iterator_traitsISH_E10value_typeET2_T3_PNSI_ISN_E10value_typeET4_jRbjT5_ST_jjP12ihipStream_tbEUlT_E0_NS1_11comp_targetILNS1_3genE3ELNS1_11target_archE908ELNS1_3gpuE7ELNS1_3repE0EEENS1_60segmented_radix_sort_warp_sort_medium_config_static_selectorELNS0_4arch9wavefront6targetE1EEEvSH_.kd
    .uniform_work_group_size: 1
    .uses_dynamic_stack: false
    .vgpr_count:     0
    .vgpr_spill_count: 0
    .wavefront_size: 64
  - .agpr_count:     0
    .args:
      - .offset:         0
        .size:           88
        .value_kind:     by_value
    .group_segment_fixed_size: 0
    .kernarg_segment_align: 8
    .kernarg_segment_size: 88
    .language:       OpenCL C
    .language_version:
      - 2
      - 0
    .max_flat_workgroup_size: 256
    .name:           _ZN7rocprim17ROCPRIM_400000_NS6detail17trampoline_kernelINS0_14default_configENS1_36segmented_radix_sort_config_selectorIllEEZNS1_25segmented_radix_sort_implIS3_Lb0EPKlPlS8_S9_N2at6native12_GLOBAL__N_18offset_tEEE10hipError_tPvRmT1_PNSt15iterator_traitsISH_E10value_typeET2_T3_PNSI_ISN_E10value_typeET4_jRbjT5_ST_jjP12ihipStream_tbEUlT_E0_NS1_11comp_targetILNS1_3genE2ELNS1_11target_archE906ELNS1_3gpuE6ELNS1_3repE0EEENS1_60segmented_radix_sort_warp_sort_medium_config_static_selectorELNS0_4arch9wavefront6targetE1EEEvSH_
    .private_segment_fixed_size: 0
    .sgpr_count:     4
    .sgpr_spill_count: 0
    .symbol:         _ZN7rocprim17ROCPRIM_400000_NS6detail17trampoline_kernelINS0_14default_configENS1_36segmented_radix_sort_config_selectorIllEEZNS1_25segmented_radix_sort_implIS3_Lb0EPKlPlS8_S9_N2at6native12_GLOBAL__N_18offset_tEEE10hipError_tPvRmT1_PNSt15iterator_traitsISH_E10value_typeET2_T3_PNSI_ISN_E10value_typeET4_jRbjT5_ST_jjP12ihipStream_tbEUlT_E0_NS1_11comp_targetILNS1_3genE2ELNS1_11target_archE906ELNS1_3gpuE6ELNS1_3repE0EEENS1_60segmented_radix_sort_warp_sort_medium_config_static_selectorELNS0_4arch9wavefront6targetE1EEEvSH_.kd
    .uniform_work_group_size: 1
    .uses_dynamic_stack: false
    .vgpr_count:     0
    .vgpr_spill_count: 0
    .wavefront_size: 64
  - .agpr_count:     0
    .args:
      - .offset:         0
        .size:           88
        .value_kind:     by_value
    .group_segment_fixed_size: 0
    .kernarg_segment_align: 8
    .kernarg_segment_size: 88
    .language:       OpenCL C
    .language_version:
      - 2
      - 0
    .max_flat_workgroup_size: 256
    .name:           _ZN7rocprim17ROCPRIM_400000_NS6detail17trampoline_kernelINS0_14default_configENS1_36segmented_radix_sort_config_selectorIllEEZNS1_25segmented_radix_sort_implIS3_Lb0EPKlPlS8_S9_N2at6native12_GLOBAL__N_18offset_tEEE10hipError_tPvRmT1_PNSt15iterator_traitsISH_E10value_typeET2_T3_PNSI_ISN_E10value_typeET4_jRbjT5_ST_jjP12ihipStream_tbEUlT_E0_NS1_11comp_targetILNS1_3genE10ELNS1_11target_archE1201ELNS1_3gpuE5ELNS1_3repE0EEENS1_60segmented_radix_sort_warp_sort_medium_config_static_selectorELNS0_4arch9wavefront6targetE1EEEvSH_
    .private_segment_fixed_size: 0
    .sgpr_count:     4
    .sgpr_spill_count: 0
    .symbol:         _ZN7rocprim17ROCPRIM_400000_NS6detail17trampoline_kernelINS0_14default_configENS1_36segmented_radix_sort_config_selectorIllEEZNS1_25segmented_radix_sort_implIS3_Lb0EPKlPlS8_S9_N2at6native12_GLOBAL__N_18offset_tEEE10hipError_tPvRmT1_PNSt15iterator_traitsISH_E10value_typeET2_T3_PNSI_ISN_E10value_typeET4_jRbjT5_ST_jjP12ihipStream_tbEUlT_E0_NS1_11comp_targetILNS1_3genE10ELNS1_11target_archE1201ELNS1_3gpuE5ELNS1_3repE0EEENS1_60segmented_radix_sort_warp_sort_medium_config_static_selectorELNS0_4arch9wavefront6targetE1EEEvSH_.kd
    .uniform_work_group_size: 1
    .uses_dynamic_stack: false
    .vgpr_count:     0
    .vgpr_spill_count: 0
    .wavefront_size: 64
  - .agpr_count:     0
    .args:
      - .offset:         0
        .size:           88
        .value_kind:     by_value
    .group_segment_fixed_size: 0
    .kernarg_segment_align: 8
    .kernarg_segment_size: 88
    .language:       OpenCL C
    .language_version:
      - 2
      - 0
    .max_flat_workgroup_size: 256
    .name:           _ZN7rocprim17ROCPRIM_400000_NS6detail17trampoline_kernelINS0_14default_configENS1_36segmented_radix_sort_config_selectorIllEEZNS1_25segmented_radix_sort_implIS3_Lb0EPKlPlS8_S9_N2at6native12_GLOBAL__N_18offset_tEEE10hipError_tPvRmT1_PNSt15iterator_traitsISH_E10value_typeET2_T3_PNSI_ISN_E10value_typeET4_jRbjT5_ST_jjP12ihipStream_tbEUlT_E0_NS1_11comp_targetILNS1_3genE10ELNS1_11target_archE1200ELNS1_3gpuE4ELNS1_3repE0EEENS1_60segmented_radix_sort_warp_sort_medium_config_static_selectorELNS0_4arch9wavefront6targetE1EEEvSH_
    .private_segment_fixed_size: 0
    .sgpr_count:     4
    .sgpr_spill_count: 0
    .symbol:         _ZN7rocprim17ROCPRIM_400000_NS6detail17trampoline_kernelINS0_14default_configENS1_36segmented_radix_sort_config_selectorIllEEZNS1_25segmented_radix_sort_implIS3_Lb0EPKlPlS8_S9_N2at6native12_GLOBAL__N_18offset_tEEE10hipError_tPvRmT1_PNSt15iterator_traitsISH_E10value_typeET2_T3_PNSI_ISN_E10value_typeET4_jRbjT5_ST_jjP12ihipStream_tbEUlT_E0_NS1_11comp_targetILNS1_3genE10ELNS1_11target_archE1200ELNS1_3gpuE4ELNS1_3repE0EEENS1_60segmented_radix_sort_warp_sort_medium_config_static_selectorELNS0_4arch9wavefront6targetE1EEEvSH_.kd
    .uniform_work_group_size: 1
    .uses_dynamic_stack: false
    .vgpr_count:     0
    .vgpr_spill_count: 0
    .wavefront_size: 64
  - .agpr_count:     0
    .args:
      - .offset:         0
        .size:           88
        .value_kind:     by_value
    .group_segment_fixed_size: 0
    .kernarg_segment_align: 8
    .kernarg_segment_size: 88
    .language:       OpenCL C
    .language_version:
      - 2
      - 0
    .max_flat_workgroup_size: 256
    .name:           _ZN7rocprim17ROCPRIM_400000_NS6detail17trampoline_kernelINS0_14default_configENS1_36segmented_radix_sort_config_selectorIllEEZNS1_25segmented_radix_sort_implIS3_Lb0EPKlPlS8_S9_N2at6native12_GLOBAL__N_18offset_tEEE10hipError_tPvRmT1_PNSt15iterator_traitsISH_E10value_typeET2_T3_PNSI_ISN_E10value_typeET4_jRbjT5_ST_jjP12ihipStream_tbEUlT_E0_NS1_11comp_targetILNS1_3genE9ELNS1_11target_archE1100ELNS1_3gpuE3ELNS1_3repE0EEENS1_60segmented_radix_sort_warp_sort_medium_config_static_selectorELNS0_4arch9wavefront6targetE1EEEvSH_
    .private_segment_fixed_size: 0
    .sgpr_count:     4
    .sgpr_spill_count: 0
    .symbol:         _ZN7rocprim17ROCPRIM_400000_NS6detail17trampoline_kernelINS0_14default_configENS1_36segmented_radix_sort_config_selectorIllEEZNS1_25segmented_radix_sort_implIS3_Lb0EPKlPlS8_S9_N2at6native12_GLOBAL__N_18offset_tEEE10hipError_tPvRmT1_PNSt15iterator_traitsISH_E10value_typeET2_T3_PNSI_ISN_E10value_typeET4_jRbjT5_ST_jjP12ihipStream_tbEUlT_E0_NS1_11comp_targetILNS1_3genE9ELNS1_11target_archE1100ELNS1_3gpuE3ELNS1_3repE0EEENS1_60segmented_radix_sort_warp_sort_medium_config_static_selectorELNS0_4arch9wavefront6targetE1EEEvSH_.kd
    .uniform_work_group_size: 1
    .uses_dynamic_stack: false
    .vgpr_count:     0
    .vgpr_spill_count: 0
    .wavefront_size: 64
  - .agpr_count:     0
    .args:
      - .offset:         0
        .size:           88
        .value_kind:     by_value
    .group_segment_fixed_size: 0
    .kernarg_segment_align: 8
    .kernarg_segment_size: 88
    .language:       OpenCL C
    .language_version:
      - 2
      - 0
    .max_flat_workgroup_size: 256
    .name:           _ZN7rocprim17ROCPRIM_400000_NS6detail17trampoline_kernelINS0_14default_configENS1_36segmented_radix_sort_config_selectorIllEEZNS1_25segmented_radix_sort_implIS3_Lb0EPKlPlS8_S9_N2at6native12_GLOBAL__N_18offset_tEEE10hipError_tPvRmT1_PNSt15iterator_traitsISH_E10value_typeET2_T3_PNSI_ISN_E10value_typeET4_jRbjT5_ST_jjP12ihipStream_tbEUlT_E0_NS1_11comp_targetILNS1_3genE8ELNS1_11target_archE1030ELNS1_3gpuE2ELNS1_3repE0EEENS1_60segmented_radix_sort_warp_sort_medium_config_static_selectorELNS0_4arch9wavefront6targetE1EEEvSH_
    .private_segment_fixed_size: 0
    .sgpr_count:     4
    .sgpr_spill_count: 0
    .symbol:         _ZN7rocprim17ROCPRIM_400000_NS6detail17trampoline_kernelINS0_14default_configENS1_36segmented_radix_sort_config_selectorIllEEZNS1_25segmented_radix_sort_implIS3_Lb0EPKlPlS8_S9_N2at6native12_GLOBAL__N_18offset_tEEE10hipError_tPvRmT1_PNSt15iterator_traitsISH_E10value_typeET2_T3_PNSI_ISN_E10value_typeET4_jRbjT5_ST_jjP12ihipStream_tbEUlT_E0_NS1_11comp_targetILNS1_3genE8ELNS1_11target_archE1030ELNS1_3gpuE2ELNS1_3repE0EEENS1_60segmented_radix_sort_warp_sort_medium_config_static_selectorELNS0_4arch9wavefront6targetE1EEEvSH_.kd
    .uniform_work_group_size: 1
    .uses_dynamic_stack: false
    .vgpr_count:     0
    .vgpr_spill_count: 0
    .wavefront_size: 64
  - .agpr_count:     0
    .args:
      - .offset:         0
        .size:           88
        .value_kind:     by_value
    .group_segment_fixed_size: 0
    .kernarg_segment_align: 8
    .kernarg_segment_size: 88
    .language:       OpenCL C
    .language_version:
      - 2
      - 0
    .max_flat_workgroup_size: 256
    .name:           _ZN7rocprim17ROCPRIM_400000_NS6detail17trampoline_kernelINS0_14default_configENS1_36segmented_radix_sort_config_selectorIllEEZNS1_25segmented_radix_sort_implIS3_Lb0EPKlPlS8_S9_N2at6native12_GLOBAL__N_18offset_tEEE10hipError_tPvRmT1_PNSt15iterator_traitsISH_E10value_typeET2_T3_PNSI_ISN_E10value_typeET4_jRbjT5_ST_jjP12ihipStream_tbEUlT_E1_NS1_11comp_targetILNS1_3genE0ELNS1_11target_archE4294967295ELNS1_3gpuE0ELNS1_3repE0EEENS1_59segmented_radix_sort_warp_sort_small_config_static_selectorELNS0_4arch9wavefront6targetE1EEEvSH_
    .private_segment_fixed_size: 0
    .sgpr_count:     4
    .sgpr_spill_count: 0
    .symbol:         _ZN7rocprim17ROCPRIM_400000_NS6detail17trampoline_kernelINS0_14default_configENS1_36segmented_radix_sort_config_selectorIllEEZNS1_25segmented_radix_sort_implIS3_Lb0EPKlPlS8_S9_N2at6native12_GLOBAL__N_18offset_tEEE10hipError_tPvRmT1_PNSt15iterator_traitsISH_E10value_typeET2_T3_PNSI_ISN_E10value_typeET4_jRbjT5_ST_jjP12ihipStream_tbEUlT_E1_NS1_11comp_targetILNS1_3genE0ELNS1_11target_archE4294967295ELNS1_3gpuE0ELNS1_3repE0EEENS1_59segmented_radix_sort_warp_sort_small_config_static_selectorELNS0_4arch9wavefront6targetE1EEEvSH_.kd
    .uniform_work_group_size: 1
    .uses_dynamic_stack: false
    .vgpr_count:     0
    .vgpr_spill_count: 0
    .wavefront_size: 64
  - .agpr_count:     0
    .args:
      - .offset:         0
        .size:           88
        .value_kind:     by_value
    .group_segment_fixed_size: 0
    .kernarg_segment_align: 8
    .kernarg_segment_size: 88
    .language:       OpenCL C
    .language_version:
      - 2
      - 0
    .max_flat_workgroup_size: 256
    .name:           _ZN7rocprim17ROCPRIM_400000_NS6detail17trampoline_kernelINS0_14default_configENS1_36segmented_radix_sort_config_selectorIllEEZNS1_25segmented_radix_sort_implIS3_Lb0EPKlPlS8_S9_N2at6native12_GLOBAL__N_18offset_tEEE10hipError_tPvRmT1_PNSt15iterator_traitsISH_E10value_typeET2_T3_PNSI_ISN_E10value_typeET4_jRbjT5_ST_jjP12ihipStream_tbEUlT_E1_NS1_11comp_targetILNS1_3genE5ELNS1_11target_archE942ELNS1_3gpuE9ELNS1_3repE0EEENS1_59segmented_radix_sort_warp_sort_small_config_static_selectorELNS0_4arch9wavefront6targetE1EEEvSH_
    .private_segment_fixed_size: 0
    .sgpr_count:     4
    .sgpr_spill_count: 0
    .symbol:         _ZN7rocprim17ROCPRIM_400000_NS6detail17trampoline_kernelINS0_14default_configENS1_36segmented_radix_sort_config_selectorIllEEZNS1_25segmented_radix_sort_implIS3_Lb0EPKlPlS8_S9_N2at6native12_GLOBAL__N_18offset_tEEE10hipError_tPvRmT1_PNSt15iterator_traitsISH_E10value_typeET2_T3_PNSI_ISN_E10value_typeET4_jRbjT5_ST_jjP12ihipStream_tbEUlT_E1_NS1_11comp_targetILNS1_3genE5ELNS1_11target_archE942ELNS1_3gpuE9ELNS1_3repE0EEENS1_59segmented_radix_sort_warp_sort_small_config_static_selectorELNS0_4arch9wavefront6targetE1EEEvSH_.kd
    .uniform_work_group_size: 1
    .uses_dynamic_stack: false
    .vgpr_count:     0
    .vgpr_spill_count: 0
    .wavefront_size: 64
  - .agpr_count:     0
    .args:
      - .offset:         0
        .size:           88
        .value_kind:     by_value
      - .offset:         88
        .size:           4
        .value_kind:     hidden_block_count_x
      - .offset:         92
        .size:           4
        .value_kind:     hidden_block_count_y
      - .offset:         96
        .size:           4
        .value_kind:     hidden_block_count_z
      - .offset:         100
        .size:           2
        .value_kind:     hidden_group_size_x
      - .offset:         102
        .size:           2
        .value_kind:     hidden_group_size_y
      - .offset:         104
        .size:           2
        .value_kind:     hidden_group_size_z
      - .offset:         106
        .size:           2
        .value_kind:     hidden_remainder_x
      - .offset:         108
        .size:           2
        .value_kind:     hidden_remainder_y
      - .offset:         110
        .size:           2
        .value_kind:     hidden_remainder_z
      - .offset:         128
        .size:           8
        .value_kind:     hidden_global_offset_x
      - .offset:         136
        .size:           8
        .value_kind:     hidden_global_offset_y
      - .offset:         144
        .size:           8
        .value_kind:     hidden_global_offset_z
      - .offset:         152
        .size:           2
        .value_kind:     hidden_grid_dims
      - .offset:         168
        .size:           8
        .value_kind:     hidden_hostcall_buffer
      - .offset:         176
        .size:           8
        .value_kind:     hidden_multigrid_sync_arg
      - .offset:         184
        .size:           8
        .value_kind:     hidden_heap_v1
      - .offset:         192
        .size:           8
        .value_kind:     hidden_default_queue
      - .offset:         200
        .size:           8
        .value_kind:     hidden_completion_action
      - .offset:         288
        .size:           8
        .value_kind:     hidden_queue_ptr
    .group_segment_fixed_size: 16384
    .kernarg_segment_align: 8
    .kernarg_segment_size: 344
    .language:       OpenCL C
    .language_version:
      - 2
      - 0
    .max_flat_workgroup_size: 256
    .name:           _ZN7rocprim17ROCPRIM_400000_NS6detail17trampoline_kernelINS0_14default_configENS1_36segmented_radix_sort_config_selectorIllEEZNS1_25segmented_radix_sort_implIS3_Lb0EPKlPlS8_S9_N2at6native12_GLOBAL__N_18offset_tEEE10hipError_tPvRmT1_PNSt15iterator_traitsISH_E10value_typeET2_T3_PNSI_ISN_E10value_typeET4_jRbjT5_ST_jjP12ihipStream_tbEUlT_E1_NS1_11comp_targetILNS1_3genE4ELNS1_11target_archE910ELNS1_3gpuE8ELNS1_3repE0EEENS1_59segmented_radix_sort_warp_sort_small_config_static_selectorELNS0_4arch9wavefront6targetE1EEEvSH_
    .private_segment_fixed_size: 0
    .sgpr_count:     56
    .sgpr_spill_count: 0
    .symbol:         _ZN7rocprim17ROCPRIM_400000_NS6detail17trampoline_kernelINS0_14default_configENS1_36segmented_radix_sort_config_selectorIllEEZNS1_25segmented_radix_sort_implIS3_Lb0EPKlPlS8_S9_N2at6native12_GLOBAL__N_18offset_tEEE10hipError_tPvRmT1_PNSt15iterator_traitsISH_E10value_typeET2_T3_PNSI_ISN_E10value_typeET4_jRbjT5_ST_jjP12ihipStream_tbEUlT_E1_NS1_11comp_targetILNS1_3genE4ELNS1_11target_archE910ELNS1_3gpuE8ELNS1_3repE0EEENS1_59segmented_radix_sort_warp_sort_small_config_static_selectorELNS0_4arch9wavefront6targetE1EEEvSH_.kd
    .uniform_work_group_size: 1
    .uses_dynamic_stack: false
    .vgpr_count:     85
    .vgpr_spill_count: 0
    .wavefront_size: 64
  - .agpr_count:     0
    .args:
      - .offset:         0
        .size:           88
        .value_kind:     by_value
    .group_segment_fixed_size: 0
    .kernarg_segment_align: 8
    .kernarg_segment_size: 88
    .language:       OpenCL C
    .language_version:
      - 2
      - 0
    .max_flat_workgroup_size: 256
    .name:           _ZN7rocprim17ROCPRIM_400000_NS6detail17trampoline_kernelINS0_14default_configENS1_36segmented_radix_sort_config_selectorIllEEZNS1_25segmented_radix_sort_implIS3_Lb0EPKlPlS8_S9_N2at6native12_GLOBAL__N_18offset_tEEE10hipError_tPvRmT1_PNSt15iterator_traitsISH_E10value_typeET2_T3_PNSI_ISN_E10value_typeET4_jRbjT5_ST_jjP12ihipStream_tbEUlT_E1_NS1_11comp_targetILNS1_3genE3ELNS1_11target_archE908ELNS1_3gpuE7ELNS1_3repE0EEENS1_59segmented_radix_sort_warp_sort_small_config_static_selectorELNS0_4arch9wavefront6targetE1EEEvSH_
    .private_segment_fixed_size: 0
    .sgpr_count:     4
    .sgpr_spill_count: 0
    .symbol:         _ZN7rocprim17ROCPRIM_400000_NS6detail17trampoline_kernelINS0_14default_configENS1_36segmented_radix_sort_config_selectorIllEEZNS1_25segmented_radix_sort_implIS3_Lb0EPKlPlS8_S9_N2at6native12_GLOBAL__N_18offset_tEEE10hipError_tPvRmT1_PNSt15iterator_traitsISH_E10value_typeET2_T3_PNSI_ISN_E10value_typeET4_jRbjT5_ST_jjP12ihipStream_tbEUlT_E1_NS1_11comp_targetILNS1_3genE3ELNS1_11target_archE908ELNS1_3gpuE7ELNS1_3repE0EEENS1_59segmented_radix_sort_warp_sort_small_config_static_selectorELNS0_4arch9wavefront6targetE1EEEvSH_.kd
    .uniform_work_group_size: 1
    .uses_dynamic_stack: false
    .vgpr_count:     0
    .vgpr_spill_count: 0
    .wavefront_size: 64
  - .agpr_count:     0
    .args:
      - .offset:         0
        .size:           88
        .value_kind:     by_value
    .group_segment_fixed_size: 0
    .kernarg_segment_align: 8
    .kernarg_segment_size: 88
    .language:       OpenCL C
    .language_version:
      - 2
      - 0
    .max_flat_workgroup_size: 256
    .name:           _ZN7rocprim17ROCPRIM_400000_NS6detail17trampoline_kernelINS0_14default_configENS1_36segmented_radix_sort_config_selectorIllEEZNS1_25segmented_radix_sort_implIS3_Lb0EPKlPlS8_S9_N2at6native12_GLOBAL__N_18offset_tEEE10hipError_tPvRmT1_PNSt15iterator_traitsISH_E10value_typeET2_T3_PNSI_ISN_E10value_typeET4_jRbjT5_ST_jjP12ihipStream_tbEUlT_E1_NS1_11comp_targetILNS1_3genE2ELNS1_11target_archE906ELNS1_3gpuE6ELNS1_3repE0EEENS1_59segmented_radix_sort_warp_sort_small_config_static_selectorELNS0_4arch9wavefront6targetE1EEEvSH_
    .private_segment_fixed_size: 0
    .sgpr_count:     4
    .sgpr_spill_count: 0
    .symbol:         _ZN7rocprim17ROCPRIM_400000_NS6detail17trampoline_kernelINS0_14default_configENS1_36segmented_radix_sort_config_selectorIllEEZNS1_25segmented_radix_sort_implIS3_Lb0EPKlPlS8_S9_N2at6native12_GLOBAL__N_18offset_tEEE10hipError_tPvRmT1_PNSt15iterator_traitsISH_E10value_typeET2_T3_PNSI_ISN_E10value_typeET4_jRbjT5_ST_jjP12ihipStream_tbEUlT_E1_NS1_11comp_targetILNS1_3genE2ELNS1_11target_archE906ELNS1_3gpuE6ELNS1_3repE0EEENS1_59segmented_radix_sort_warp_sort_small_config_static_selectorELNS0_4arch9wavefront6targetE1EEEvSH_.kd
    .uniform_work_group_size: 1
    .uses_dynamic_stack: false
    .vgpr_count:     0
    .vgpr_spill_count: 0
    .wavefront_size: 64
  - .agpr_count:     0
    .args:
      - .offset:         0
        .size:           88
        .value_kind:     by_value
    .group_segment_fixed_size: 0
    .kernarg_segment_align: 8
    .kernarg_segment_size: 88
    .language:       OpenCL C
    .language_version:
      - 2
      - 0
    .max_flat_workgroup_size: 256
    .name:           _ZN7rocprim17ROCPRIM_400000_NS6detail17trampoline_kernelINS0_14default_configENS1_36segmented_radix_sort_config_selectorIllEEZNS1_25segmented_radix_sort_implIS3_Lb0EPKlPlS8_S9_N2at6native12_GLOBAL__N_18offset_tEEE10hipError_tPvRmT1_PNSt15iterator_traitsISH_E10value_typeET2_T3_PNSI_ISN_E10value_typeET4_jRbjT5_ST_jjP12ihipStream_tbEUlT_E1_NS1_11comp_targetILNS1_3genE10ELNS1_11target_archE1201ELNS1_3gpuE5ELNS1_3repE0EEENS1_59segmented_radix_sort_warp_sort_small_config_static_selectorELNS0_4arch9wavefront6targetE1EEEvSH_
    .private_segment_fixed_size: 0
    .sgpr_count:     4
    .sgpr_spill_count: 0
    .symbol:         _ZN7rocprim17ROCPRIM_400000_NS6detail17trampoline_kernelINS0_14default_configENS1_36segmented_radix_sort_config_selectorIllEEZNS1_25segmented_radix_sort_implIS3_Lb0EPKlPlS8_S9_N2at6native12_GLOBAL__N_18offset_tEEE10hipError_tPvRmT1_PNSt15iterator_traitsISH_E10value_typeET2_T3_PNSI_ISN_E10value_typeET4_jRbjT5_ST_jjP12ihipStream_tbEUlT_E1_NS1_11comp_targetILNS1_3genE10ELNS1_11target_archE1201ELNS1_3gpuE5ELNS1_3repE0EEENS1_59segmented_radix_sort_warp_sort_small_config_static_selectorELNS0_4arch9wavefront6targetE1EEEvSH_.kd
    .uniform_work_group_size: 1
    .uses_dynamic_stack: false
    .vgpr_count:     0
    .vgpr_spill_count: 0
    .wavefront_size: 64
  - .agpr_count:     0
    .args:
      - .offset:         0
        .size:           88
        .value_kind:     by_value
    .group_segment_fixed_size: 0
    .kernarg_segment_align: 8
    .kernarg_segment_size: 88
    .language:       OpenCL C
    .language_version:
      - 2
      - 0
    .max_flat_workgroup_size: 256
    .name:           _ZN7rocprim17ROCPRIM_400000_NS6detail17trampoline_kernelINS0_14default_configENS1_36segmented_radix_sort_config_selectorIllEEZNS1_25segmented_radix_sort_implIS3_Lb0EPKlPlS8_S9_N2at6native12_GLOBAL__N_18offset_tEEE10hipError_tPvRmT1_PNSt15iterator_traitsISH_E10value_typeET2_T3_PNSI_ISN_E10value_typeET4_jRbjT5_ST_jjP12ihipStream_tbEUlT_E1_NS1_11comp_targetILNS1_3genE10ELNS1_11target_archE1200ELNS1_3gpuE4ELNS1_3repE0EEENS1_59segmented_radix_sort_warp_sort_small_config_static_selectorELNS0_4arch9wavefront6targetE1EEEvSH_
    .private_segment_fixed_size: 0
    .sgpr_count:     4
    .sgpr_spill_count: 0
    .symbol:         _ZN7rocprim17ROCPRIM_400000_NS6detail17trampoline_kernelINS0_14default_configENS1_36segmented_radix_sort_config_selectorIllEEZNS1_25segmented_radix_sort_implIS3_Lb0EPKlPlS8_S9_N2at6native12_GLOBAL__N_18offset_tEEE10hipError_tPvRmT1_PNSt15iterator_traitsISH_E10value_typeET2_T3_PNSI_ISN_E10value_typeET4_jRbjT5_ST_jjP12ihipStream_tbEUlT_E1_NS1_11comp_targetILNS1_3genE10ELNS1_11target_archE1200ELNS1_3gpuE4ELNS1_3repE0EEENS1_59segmented_radix_sort_warp_sort_small_config_static_selectorELNS0_4arch9wavefront6targetE1EEEvSH_.kd
    .uniform_work_group_size: 1
    .uses_dynamic_stack: false
    .vgpr_count:     0
    .vgpr_spill_count: 0
    .wavefront_size: 64
  - .agpr_count:     0
    .args:
      - .offset:         0
        .size:           88
        .value_kind:     by_value
    .group_segment_fixed_size: 0
    .kernarg_segment_align: 8
    .kernarg_segment_size: 88
    .language:       OpenCL C
    .language_version:
      - 2
      - 0
    .max_flat_workgroup_size: 256
    .name:           _ZN7rocprim17ROCPRIM_400000_NS6detail17trampoline_kernelINS0_14default_configENS1_36segmented_radix_sort_config_selectorIllEEZNS1_25segmented_radix_sort_implIS3_Lb0EPKlPlS8_S9_N2at6native12_GLOBAL__N_18offset_tEEE10hipError_tPvRmT1_PNSt15iterator_traitsISH_E10value_typeET2_T3_PNSI_ISN_E10value_typeET4_jRbjT5_ST_jjP12ihipStream_tbEUlT_E1_NS1_11comp_targetILNS1_3genE9ELNS1_11target_archE1100ELNS1_3gpuE3ELNS1_3repE0EEENS1_59segmented_radix_sort_warp_sort_small_config_static_selectorELNS0_4arch9wavefront6targetE1EEEvSH_
    .private_segment_fixed_size: 0
    .sgpr_count:     4
    .sgpr_spill_count: 0
    .symbol:         _ZN7rocprim17ROCPRIM_400000_NS6detail17trampoline_kernelINS0_14default_configENS1_36segmented_radix_sort_config_selectorIllEEZNS1_25segmented_radix_sort_implIS3_Lb0EPKlPlS8_S9_N2at6native12_GLOBAL__N_18offset_tEEE10hipError_tPvRmT1_PNSt15iterator_traitsISH_E10value_typeET2_T3_PNSI_ISN_E10value_typeET4_jRbjT5_ST_jjP12ihipStream_tbEUlT_E1_NS1_11comp_targetILNS1_3genE9ELNS1_11target_archE1100ELNS1_3gpuE3ELNS1_3repE0EEENS1_59segmented_radix_sort_warp_sort_small_config_static_selectorELNS0_4arch9wavefront6targetE1EEEvSH_.kd
    .uniform_work_group_size: 1
    .uses_dynamic_stack: false
    .vgpr_count:     0
    .vgpr_spill_count: 0
    .wavefront_size: 64
  - .agpr_count:     0
    .args:
      - .offset:         0
        .size:           88
        .value_kind:     by_value
    .group_segment_fixed_size: 0
    .kernarg_segment_align: 8
    .kernarg_segment_size: 88
    .language:       OpenCL C
    .language_version:
      - 2
      - 0
    .max_flat_workgroup_size: 256
    .name:           _ZN7rocprim17ROCPRIM_400000_NS6detail17trampoline_kernelINS0_14default_configENS1_36segmented_radix_sort_config_selectorIllEEZNS1_25segmented_radix_sort_implIS3_Lb0EPKlPlS8_S9_N2at6native12_GLOBAL__N_18offset_tEEE10hipError_tPvRmT1_PNSt15iterator_traitsISH_E10value_typeET2_T3_PNSI_ISN_E10value_typeET4_jRbjT5_ST_jjP12ihipStream_tbEUlT_E1_NS1_11comp_targetILNS1_3genE8ELNS1_11target_archE1030ELNS1_3gpuE2ELNS1_3repE0EEENS1_59segmented_radix_sort_warp_sort_small_config_static_selectorELNS0_4arch9wavefront6targetE1EEEvSH_
    .private_segment_fixed_size: 0
    .sgpr_count:     4
    .sgpr_spill_count: 0
    .symbol:         _ZN7rocprim17ROCPRIM_400000_NS6detail17trampoline_kernelINS0_14default_configENS1_36segmented_radix_sort_config_selectorIllEEZNS1_25segmented_radix_sort_implIS3_Lb0EPKlPlS8_S9_N2at6native12_GLOBAL__N_18offset_tEEE10hipError_tPvRmT1_PNSt15iterator_traitsISH_E10value_typeET2_T3_PNSI_ISN_E10value_typeET4_jRbjT5_ST_jjP12ihipStream_tbEUlT_E1_NS1_11comp_targetILNS1_3genE8ELNS1_11target_archE1030ELNS1_3gpuE2ELNS1_3repE0EEENS1_59segmented_radix_sort_warp_sort_small_config_static_selectorELNS0_4arch9wavefront6targetE1EEEvSH_.kd
    .uniform_work_group_size: 1
    .uses_dynamic_stack: false
    .vgpr_count:     0
    .vgpr_spill_count: 0
    .wavefront_size: 64
  - .agpr_count:     0
    .args:
      - .offset:         0
        .size:           80
        .value_kind:     by_value
    .group_segment_fixed_size: 0
    .kernarg_segment_align: 8
    .kernarg_segment_size: 80
    .language:       OpenCL C
    .language_version:
      - 2
      - 0
    .max_flat_workgroup_size: 256
    .name:           _ZN7rocprim17ROCPRIM_400000_NS6detail17trampoline_kernelINS0_14default_configENS1_36segmented_radix_sort_config_selectorIllEEZNS1_25segmented_radix_sort_implIS3_Lb0EPKlPlS8_S9_N2at6native12_GLOBAL__N_18offset_tEEE10hipError_tPvRmT1_PNSt15iterator_traitsISH_E10value_typeET2_T3_PNSI_ISN_E10value_typeET4_jRbjT5_ST_jjP12ihipStream_tbEUlT_E2_NS1_11comp_targetILNS1_3genE0ELNS1_11target_archE4294967295ELNS1_3gpuE0ELNS1_3repE0EEENS1_30default_config_static_selectorELNS0_4arch9wavefront6targetE1EEEvSH_
    .private_segment_fixed_size: 0
    .sgpr_count:     4
    .sgpr_spill_count: 0
    .symbol:         _ZN7rocprim17ROCPRIM_400000_NS6detail17trampoline_kernelINS0_14default_configENS1_36segmented_radix_sort_config_selectorIllEEZNS1_25segmented_radix_sort_implIS3_Lb0EPKlPlS8_S9_N2at6native12_GLOBAL__N_18offset_tEEE10hipError_tPvRmT1_PNSt15iterator_traitsISH_E10value_typeET2_T3_PNSI_ISN_E10value_typeET4_jRbjT5_ST_jjP12ihipStream_tbEUlT_E2_NS1_11comp_targetILNS1_3genE0ELNS1_11target_archE4294967295ELNS1_3gpuE0ELNS1_3repE0EEENS1_30default_config_static_selectorELNS0_4arch9wavefront6targetE1EEEvSH_.kd
    .uniform_work_group_size: 1
    .uses_dynamic_stack: false
    .vgpr_count:     0
    .vgpr_spill_count: 0
    .wavefront_size: 64
  - .agpr_count:     0
    .args:
      - .offset:         0
        .size:           80
        .value_kind:     by_value
    .group_segment_fixed_size: 0
    .kernarg_segment_align: 8
    .kernarg_segment_size: 80
    .language:       OpenCL C
    .language_version:
      - 2
      - 0
    .max_flat_workgroup_size: 256
    .name:           _ZN7rocprim17ROCPRIM_400000_NS6detail17trampoline_kernelINS0_14default_configENS1_36segmented_radix_sort_config_selectorIllEEZNS1_25segmented_radix_sort_implIS3_Lb0EPKlPlS8_S9_N2at6native12_GLOBAL__N_18offset_tEEE10hipError_tPvRmT1_PNSt15iterator_traitsISH_E10value_typeET2_T3_PNSI_ISN_E10value_typeET4_jRbjT5_ST_jjP12ihipStream_tbEUlT_E2_NS1_11comp_targetILNS1_3genE5ELNS1_11target_archE942ELNS1_3gpuE9ELNS1_3repE0EEENS1_30default_config_static_selectorELNS0_4arch9wavefront6targetE1EEEvSH_
    .private_segment_fixed_size: 0
    .sgpr_count:     4
    .sgpr_spill_count: 0
    .symbol:         _ZN7rocprim17ROCPRIM_400000_NS6detail17trampoline_kernelINS0_14default_configENS1_36segmented_radix_sort_config_selectorIllEEZNS1_25segmented_radix_sort_implIS3_Lb0EPKlPlS8_S9_N2at6native12_GLOBAL__N_18offset_tEEE10hipError_tPvRmT1_PNSt15iterator_traitsISH_E10value_typeET2_T3_PNSI_ISN_E10value_typeET4_jRbjT5_ST_jjP12ihipStream_tbEUlT_E2_NS1_11comp_targetILNS1_3genE5ELNS1_11target_archE942ELNS1_3gpuE9ELNS1_3repE0EEENS1_30default_config_static_selectorELNS0_4arch9wavefront6targetE1EEEvSH_.kd
    .uniform_work_group_size: 1
    .uses_dynamic_stack: false
    .vgpr_count:     0
    .vgpr_spill_count: 0
    .wavefront_size: 64
  - .agpr_count:     32
    .args:
      - .offset:         0
        .size:           80
        .value_kind:     by_value
      - .offset:         80
        .size:           4
        .value_kind:     hidden_block_count_x
      - .offset:         84
        .size:           4
        .value_kind:     hidden_block_count_y
      - .offset:         88
        .size:           4
        .value_kind:     hidden_block_count_z
      - .offset:         92
        .size:           2
        .value_kind:     hidden_group_size_x
      - .offset:         94
        .size:           2
        .value_kind:     hidden_group_size_y
      - .offset:         96
        .size:           2
        .value_kind:     hidden_group_size_z
      - .offset:         98
        .size:           2
        .value_kind:     hidden_remainder_x
      - .offset:         100
        .size:           2
        .value_kind:     hidden_remainder_y
      - .offset:         102
        .size:           2
        .value_kind:     hidden_remainder_z
      - .offset:         120
        .size:           8
        .value_kind:     hidden_global_offset_x
      - .offset:         128
        .size:           8
        .value_kind:     hidden_global_offset_y
      - .offset:         136
        .size:           8
        .value_kind:     hidden_global_offset_z
      - .offset:         144
        .size:           2
        .value_kind:     hidden_grid_dims
      - .offset:         160
        .size:           8
        .value_kind:     hidden_hostcall_buffer
      - .offset:         168
        .size:           8
        .value_kind:     hidden_multigrid_sync_arg
      - .offset:         176
        .size:           8
        .value_kind:     hidden_heap_v1
      - .offset:         184
        .size:           8
        .value_kind:     hidden_default_queue
      - .offset:         192
        .size:           8
        .value_kind:     hidden_completion_action
      - .offset:         280
        .size:           8
        .value_kind:     hidden_queue_ptr
    .group_segment_fixed_size: 33808
    .kernarg_segment_align: 8
    .kernarg_segment_size: 336
    .language:       OpenCL C
    .language_version:
      - 2
      - 0
    .max_flat_workgroup_size: 256
    .name:           _ZN7rocprim17ROCPRIM_400000_NS6detail17trampoline_kernelINS0_14default_configENS1_36segmented_radix_sort_config_selectorIllEEZNS1_25segmented_radix_sort_implIS3_Lb0EPKlPlS8_S9_N2at6native12_GLOBAL__N_18offset_tEEE10hipError_tPvRmT1_PNSt15iterator_traitsISH_E10value_typeET2_T3_PNSI_ISN_E10value_typeET4_jRbjT5_ST_jjP12ihipStream_tbEUlT_E2_NS1_11comp_targetILNS1_3genE4ELNS1_11target_archE910ELNS1_3gpuE8ELNS1_3repE0EEENS1_30default_config_static_selectorELNS0_4arch9wavefront6targetE1EEEvSH_
    .private_segment_fixed_size: 128
    .sgpr_count:     106
    .sgpr_spill_count: 7
    .symbol:         _ZN7rocprim17ROCPRIM_400000_NS6detail17trampoline_kernelINS0_14default_configENS1_36segmented_radix_sort_config_selectorIllEEZNS1_25segmented_radix_sort_implIS3_Lb0EPKlPlS8_S9_N2at6native12_GLOBAL__N_18offset_tEEE10hipError_tPvRmT1_PNSt15iterator_traitsISH_E10value_typeET2_T3_PNSI_ISN_E10value_typeET4_jRbjT5_ST_jjP12ihipStream_tbEUlT_E2_NS1_11comp_targetILNS1_3genE4ELNS1_11target_archE910ELNS1_3gpuE8ELNS1_3repE0EEENS1_30default_config_static_selectorELNS0_4arch9wavefront6targetE1EEEvSH_.kd
    .uniform_work_group_size: 1
    .uses_dynamic_stack: false
    .vgpr_count:     280
    .vgpr_spill_count: 0
    .wavefront_size: 64
  - .agpr_count:     0
    .args:
      - .offset:         0
        .size:           80
        .value_kind:     by_value
    .group_segment_fixed_size: 0
    .kernarg_segment_align: 8
    .kernarg_segment_size: 80
    .language:       OpenCL C
    .language_version:
      - 2
      - 0
    .max_flat_workgroup_size: 256
    .name:           _ZN7rocprim17ROCPRIM_400000_NS6detail17trampoline_kernelINS0_14default_configENS1_36segmented_radix_sort_config_selectorIllEEZNS1_25segmented_radix_sort_implIS3_Lb0EPKlPlS8_S9_N2at6native12_GLOBAL__N_18offset_tEEE10hipError_tPvRmT1_PNSt15iterator_traitsISH_E10value_typeET2_T3_PNSI_ISN_E10value_typeET4_jRbjT5_ST_jjP12ihipStream_tbEUlT_E2_NS1_11comp_targetILNS1_3genE3ELNS1_11target_archE908ELNS1_3gpuE7ELNS1_3repE0EEENS1_30default_config_static_selectorELNS0_4arch9wavefront6targetE1EEEvSH_
    .private_segment_fixed_size: 0
    .sgpr_count:     4
    .sgpr_spill_count: 0
    .symbol:         _ZN7rocprim17ROCPRIM_400000_NS6detail17trampoline_kernelINS0_14default_configENS1_36segmented_radix_sort_config_selectorIllEEZNS1_25segmented_radix_sort_implIS3_Lb0EPKlPlS8_S9_N2at6native12_GLOBAL__N_18offset_tEEE10hipError_tPvRmT1_PNSt15iterator_traitsISH_E10value_typeET2_T3_PNSI_ISN_E10value_typeET4_jRbjT5_ST_jjP12ihipStream_tbEUlT_E2_NS1_11comp_targetILNS1_3genE3ELNS1_11target_archE908ELNS1_3gpuE7ELNS1_3repE0EEENS1_30default_config_static_selectorELNS0_4arch9wavefront6targetE1EEEvSH_.kd
    .uniform_work_group_size: 1
    .uses_dynamic_stack: false
    .vgpr_count:     0
    .vgpr_spill_count: 0
    .wavefront_size: 64
  - .agpr_count:     0
    .args:
      - .offset:         0
        .size:           80
        .value_kind:     by_value
    .group_segment_fixed_size: 0
    .kernarg_segment_align: 8
    .kernarg_segment_size: 80
    .language:       OpenCL C
    .language_version:
      - 2
      - 0
    .max_flat_workgroup_size: 256
    .name:           _ZN7rocprim17ROCPRIM_400000_NS6detail17trampoline_kernelINS0_14default_configENS1_36segmented_radix_sort_config_selectorIllEEZNS1_25segmented_radix_sort_implIS3_Lb0EPKlPlS8_S9_N2at6native12_GLOBAL__N_18offset_tEEE10hipError_tPvRmT1_PNSt15iterator_traitsISH_E10value_typeET2_T3_PNSI_ISN_E10value_typeET4_jRbjT5_ST_jjP12ihipStream_tbEUlT_E2_NS1_11comp_targetILNS1_3genE2ELNS1_11target_archE906ELNS1_3gpuE6ELNS1_3repE0EEENS1_30default_config_static_selectorELNS0_4arch9wavefront6targetE1EEEvSH_
    .private_segment_fixed_size: 0
    .sgpr_count:     4
    .sgpr_spill_count: 0
    .symbol:         _ZN7rocprim17ROCPRIM_400000_NS6detail17trampoline_kernelINS0_14default_configENS1_36segmented_radix_sort_config_selectorIllEEZNS1_25segmented_radix_sort_implIS3_Lb0EPKlPlS8_S9_N2at6native12_GLOBAL__N_18offset_tEEE10hipError_tPvRmT1_PNSt15iterator_traitsISH_E10value_typeET2_T3_PNSI_ISN_E10value_typeET4_jRbjT5_ST_jjP12ihipStream_tbEUlT_E2_NS1_11comp_targetILNS1_3genE2ELNS1_11target_archE906ELNS1_3gpuE6ELNS1_3repE0EEENS1_30default_config_static_selectorELNS0_4arch9wavefront6targetE1EEEvSH_.kd
    .uniform_work_group_size: 1
    .uses_dynamic_stack: false
    .vgpr_count:     0
    .vgpr_spill_count: 0
    .wavefront_size: 64
  - .agpr_count:     0
    .args:
      - .offset:         0
        .size:           80
        .value_kind:     by_value
    .group_segment_fixed_size: 0
    .kernarg_segment_align: 8
    .kernarg_segment_size: 80
    .language:       OpenCL C
    .language_version:
      - 2
      - 0
    .max_flat_workgroup_size: 256
    .name:           _ZN7rocprim17ROCPRIM_400000_NS6detail17trampoline_kernelINS0_14default_configENS1_36segmented_radix_sort_config_selectorIllEEZNS1_25segmented_radix_sort_implIS3_Lb0EPKlPlS8_S9_N2at6native12_GLOBAL__N_18offset_tEEE10hipError_tPvRmT1_PNSt15iterator_traitsISH_E10value_typeET2_T3_PNSI_ISN_E10value_typeET4_jRbjT5_ST_jjP12ihipStream_tbEUlT_E2_NS1_11comp_targetILNS1_3genE10ELNS1_11target_archE1201ELNS1_3gpuE5ELNS1_3repE0EEENS1_30default_config_static_selectorELNS0_4arch9wavefront6targetE1EEEvSH_
    .private_segment_fixed_size: 0
    .sgpr_count:     4
    .sgpr_spill_count: 0
    .symbol:         _ZN7rocprim17ROCPRIM_400000_NS6detail17trampoline_kernelINS0_14default_configENS1_36segmented_radix_sort_config_selectorIllEEZNS1_25segmented_radix_sort_implIS3_Lb0EPKlPlS8_S9_N2at6native12_GLOBAL__N_18offset_tEEE10hipError_tPvRmT1_PNSt15iterator_traitsISH_E10value_typeET2_T3_PNSI_ISN_E10value_typeET4_jRbjT5_ST_jjP12ihipStream_tbEUlT_E2_NS1_11comp_targetILNS1_3genE10ELNS1_11target_archE1201ELNS1_3gpuE5ELNS1_3repE0EEENS1_30default_config_static_selectorELNS0_4arch9wavefront6targetE1EEEvSH_.kd
    .uniform_work_group_size: 1
    .uses_dynamic_stack: false
    .vgpr_count:     0
    .vgpr_spill_count: 0
    .wavefront_size: 64
  - .agpr_count:     0
    .args:
      - .offset:         0
        .size:           80
        .value_kind:     by_value
    .group_segment_fixed_size: 0
    .kernarg_segment_align: 8
    .kernarg_segment_size: 80
    .language:       OpenCL C
    .language_version:
      - 2
      - 0
    .max_flat_workgroup_size: 128
    .name:           _ZN7rocprim17ROCPRIM_400000_NS6detail17trampoline_kernelINS0_14default_configENS1_36segmented_radix_sort_config_selectorIllEEZNS1_25segmented_radix_sort_implIS3_Lb0EPKlPlS8_S9_N2at6native12_GLOBAL__N_18offset_tEEE10hipError_tPvRmT1_PNSt15iterator_traitsISH_E10value_typeET2_T3_PNSI_ISN_E10value_typeET4_jRbjT5_ST_jjP12ihipStream_tbEUlT_E2_NS1_11comp_targetILNS1_3genE10ELNS1_11target_archE1200ELNS1_3gpuE4ELNS1_3repE0EEENS1_30default_config_static_selectorELNS0_4arch9wavefront6targetE1EEEvSH_
    .private_segment_fixed_size: 0
    .sgpr_count:     4
    .sgpr_spill_count: 0
    .symbol:         _ZN7rocprim17ROCPRIM_400000_NS6detail17trampoline_kernelINS0_14default_configENS1_36segmented_radix_sort_config_selectorIllEEZNS1_25segmented_radix_sort_implIS3_Lb0EPKlPlS8_S9_N2at6native12_GLOBAL__N_18offset_tEEE10hipError_tPvRmT1_PNSt15iterator_traitsISH_E10value_typeET2_T3_PNSI_ISN_E10value_typeET4_jRbjT5_ST_jjP12ihipStream_tbEUlT_E2_NS1_11comp_targetILNS1_3genE10ELNS1_11target_archE1200ELNS1_3gpuE4ELNS1_3repE0EEENS1_30default_config_static_selectorELNS0_4arch9wavefront6targetE1EEEvSH_.kd
    .uniform_work_group_size: 1
    .uses_dynamic_stack: false
    .vgpr_count:     0
    .vgpr_spill_count: 0
    .wavefront_size: 64
  - .agpr_count:     0
    .args:
      - .offset:         0
        .size:           80
        .value_kind:     by_value
    .group_segment_fixed_size: 0
    .kernarg_segment_align: 8
    .kernarg_segment_size: 80
    .language:       OpenCL C
    .language_version:
      - 2
      - 0
    .max_flat_workgroup_size: 256
    .name:           _ZN7rocprim17ROCPRIM_400000_NS6detail17trampoline_kernelINS0_14default_configENS1_36segmented_radix_sort_config_selectorIllEEZNS1_25segmented_radix_sort_implIS3_Lb0EPKlPlS8_S9_N2at6native12_GLOBAL__N_18offset_tEEE10hipError_tPvRmT1_PNSt15iterator_traitsISH_E10value_typeET2_T3_PNSI_ISN_E10value_typeET4_jRbjT5_ST_jjP12ihipStream_tbEUlT_E2_NS1_11comp_targetILNS1_3genE9ELNS1_11target_archE1100ELNS1_3gpuE3ELNS1_3repE0EEENS1_30default_config_static_selectorELNS0_4arch9wavefront6targetE1EEEvSH_
    .private_segment_fixed_size: 0
    .sgpr_count:     4
    .sgpr_spill_count: 0
    .symbol:         _ZN7rocprim17ROCPRIM_400000_NS6detail17trampoline_kernelINS0_14default_configENS1_36segmented_radix_sort_config_selectorIllEEZNS1_25segmented_radix_sort_implIS3_Lb0EPKlPlS8_S9_N2at6native12_GLOBAL__N_18offset_tEEE10hipError_tPvRmT1_PNSt15iterator_traitsISH_E10value_typeET2_T3_PNSI_ISN_E10value_typeET4_jRbjT5_ST_jjP12ihipStream_tbEUlT_E2_NS1_11comp_targetILNS1_3genE9ELNS1_11target_archE1100ELNS1_3gpuE3ELNS1_3repE0EEENS1_30default_config_static_selectorELNS0_4arch9wavefront6targetE1EEEvSH_.kd
    .uniform_work_group_size: 1
    .uses_dynamic_stack: false
    .vgpr_count:     0
    .vgpr_spill_count: 0
    .wavefront_size: 64
  - .agpr_count:     0
    .args:
      - .offset:         0
        .size:           80
        .value_kind:     by_value
    .group_segment_fixed_size: 0
    .kernarg_segment_align: 8
    .kernarg_segment_size: 80
    .language:       OpenCL C
    .language_version:
      - 2
      - 0
    .max_flat_workgroup_size: 256
    .name:           _ZN7rocprim17ROCPRIM_400000_NS6detail17trampoline_kernelINS0_14default_configENS1_36segmented_radix_sort_config_selectorIllEEZNS1_25segmented_radix_sort_implIS3_Lb0EPKlPlS8_S9_N2at6native12_GLOBAL__N_18offset_tEEE10hipError_tPvRmT1_PNSt15iterator_traitsISH_E10value_typeET2_T3_PNSI_ISN_E10value_typeET4_jRbjT5_ST_jjP12ihipStream_tbEUlT_E2_NS1_11comp_targetILNS1_3genE8ELNS1_11target_archE1030ELNS1_3gpuE2ELNS1_3repE0EEENS1_30default_config_static_selectorELNS0_4arch9wavefront6targetE1EEEvSH_
    .private_segment_fixed_size: 0
    .sgpr_count:     4
    .sgpr_spill_count: 0
    .symbol:         _ZN7rocprim17ROCPRIM_400000_NS6detail17trampoline_kernelINS0_14default_configENS1_36segmented_radix_sort_config_selectorIllEEZNS1_25segmented_radix_sort_implIS3_Lb0EPKlPlS8_S9_N2at6native12_GLOBAL__N_18offset_tEEE10hipError_tPvRmT1_PNSt15iterator_traitsISH_E10value_typeET2_T3_PNSI_ISN_E10value_typeET4_jRbjT5_ST_jjP12ihipStream_tbEUlT_E2_NS1_11comp_targetILNS1_3genE8ELNS1_11target_archE1030ELNS1_3gpuE2ELNS1_3repE0EEENS1_30default_config_static_selectorELNS0_4arch9wavefront6targetE1EEEvSH_.kd
    .uniform_work_group_size: 1
    .uses_dynamic_stack: false
    .vgpr_count:     0
    .vgpr_spill_count: 0
    .wavefront_size: 64
  - .agpr_count:     0
    .args:
      - .address_space:  global
        .offset:         0
        .size:           8
        .value_kind:     global_buffer
      - .address_space:  global
        .offset:         8
        .size:           8
        .value_kind:     global_buffer
      - .address_space:  global
        .offset:         16
        .size:           8
        .value_kind:     global_buffer
      - .address_space:  global
        .offset:         24
        .size:           8
        .value_kind:     global_buffer
      - .offset:         32
        .size:           4
        .value_kind:     by_value
      - .offset:         36
        .size:           4
        .value_kind:     by_value
      - .offset:         40
        .size:           4
        .value_kind:     hidden_block_count_x
      - .offset:         44
        .size:           4
        .value_kind:     hidden_block_count_y
      - .offset:         48
        .size:           4
        .value_kind:     hidden_block_count_z
      - .offset:         52
        .size:           2
        .value_kind:     hidden_group_size_x
      - .offset:         54
        .size:           2
        .value_kind:     hidden_group_size_y
      - .offset:         56
        .size:           2
        .value_kind:     hidden_group_size_z
      - .offset:         58
        .size:           2
        .value_kind:     hidden_remainder_x
      - .offset:         60
        .size:           2
        .value_kind:     hidden_remainder_y
      - .offset:         62
        .size:           2
        .value_kind:     hidden_remainder_z
      - .offset:         80
        .size:           8
        .value_kind:     hidden_global_offset_x
      - .offset:         88
        .size:           8
        .value_kind:     hidden_global_offset_y
      - .offset:         96
        .size:           8
        .value_kind:     hidden_global_offset_z
      - .offset:         104
        .size:           2
        .value_kind:     hidden_grid_dims
    .group_segment_fixed_size: 0
    .kernarg_segment_align: 8
    .kernarg_segment_size: 296
    .language:       OpenCL C
    .language_version:
      - 2
      - 0
    .max_flat_workgroup_size: 1024
    .name:           _ZN2at6native12_GLOBAL__N_123sort_postprocess_kernelIsEEvPKT_PS3_PlPK15HIP_vector_typeIiLj2EEii
    .private_segment_fixed_size: 0
    .sgpr_count:     22
    .sgpr_spill_count: 0
    .symbol:         _ZN2at6native12_GLOBAL__N_123sort_postprocess_kernelIsEEvPKT_PS3_PlPK15HIP_vector_typeIiLj2EEii.kd
    .uniform_work_group_size: 1
    .uses_dynamic_stack: false
    .vgpr_count:     22
    .vgpr_spill_count: 0
    .wavefront_size: 64
  - .agpr_count:     0
    .args:
      - .offset:         0
        .size:           176
        .value_kind:     by_value
    .group_segment_fixed_size: 0
    .kernarg_segment_align: 8
    .kernarg_segment_size: 176
    .language:       OpenCL C
    .language_version:
      - 2
      - 0
    .max_flat_workgroup_size: 256
    .name:           _ZN7rocprim17ROCPRIM_400000_NS6detail17trampoline_kernelINS0_13select_configILj256ELj13ELNS0_17block_load_methodE3ELS4_3ELS4_3ELNS0_20block_scan_algorithmE0ELj4294967295EEENS1_25partition_config_selectorILNS1_17partition_subalgoE4EjNS0_10empty_typeEbEEZZNS1_14partition_implILS8_4ELb0ES6_15HIP_vector_typeIjLj2EENS0_17counting_iteratorIjlEEPS9_SG_NS0_5tupleIJPjSI_NS0_16reverse_iteratorISI_EEEEENSH_IJSG_SG_SG_EEES9_SI_JZNS1_25segmented_radix_sort_implINS0_14default_configELb1EPKsPsPKlPlN2at6native12_GLOBAL__N_18offset_tEEE10hipError_tPvRmT1_PNSt15iterator_traitsIS12_E10value_typeET2_T3_PNS13_IS18_E10value_typeET4_jRbjT5_S1E_jjP12ihipStream_tbEUljE_ZNSN_ISO_Lb1ESQ_SR_ST_SU_SY_EESZ_S10_S11_S12_S16_S17_S18_S1B_S1C_jS1D_jS1E_S1E_jjS1G_bEUljE0_EEESZ_S10_S11_S18_S1C_S1E_T6_T7_T9_mT8_S1G_bDpT10_ENKUlT_T0_E_clISt17integral_constantIbLb0EES1U_EEDaS1P_S1Q_EUlS1P_E_NS1_11comp_targetILNS1_3genE0ELNS1_11target_archE4294967295ELNS1_3gpuE0ELNS1_3repE0EEENS1_30default_config_static_selectorELNS0_4arch9wavefront6targetE1EEEvS12_
    .private_segment_fixed_size: 0
    .sgpr_count:     4
    .sgpr_spill_count: 0
    .symbol:         _ZN7rocprim17ROCPRIM_400000_NS6detail17trampoline_kernelINS0_13select_configILj256ELj13ELNS0_17block_load_methodE3ELS4_3ELS4_3ELNS0_20block_scan_algorithmE0ELj4294967295EEENS1_25partition_config_selectorILNS1_17partition_subalgoE4EjNS0_10empty_typeEbEEZZNS1_14partition_implILS8_4ELb0ES6_15HIP_vector_typeIjLj2EENS0_17counting_iteratorIjlEEPS9_SG_NS0_5tupleIJPjSI_NS0_16reverse_iteratorISI_EEEEENSH_IJSG_SG_SG_EEES9_SI_JZNS1_25segmented_radix_sort_implINS0_14default_configELb1EPKsPsPKlPlN2at6native12_GLOBAL__N_18offset_tEEE10hipError_tPvRmT1_PNSt15iterator_traitsIS12_E10value_typeET2_T3_PNS13_IS18_E10value_typeET4_jRbjT5_S1E_jjP12ihipStream_tbEUljE_ZNSN_ISO_Lb1ESQ_SR_ST_SU_SY_EESZ_S10_S11_S12_S16_S17_S18_S1B_S1C_jS1D_jS1E_S1E_jjS1G_bEUljE0_EEESZ_S10_S11_S18_S1C_S1E_T6_T7_T9_mT8_S1G_bDpT10_ENKUlT_T0_E_clISt17integral_constantIbLb0EES1U_EEDaS1P_S1Q_EUlS1P_E_NS1_11comp_targetILNS1_3genE0ELNS1_11target_archE4294967295ELNS1_3gpuE0ELNS1_3repE0EEENS1_30default_config_static_selectorELNS0_4arch9wavefront6targetE1EEEvS12_.kd
    .uniform_work_group_size: 1
    .uses_dynamic_stack: false
    .vgpr_count:     0
    .vgpr_spill_count: 0
    .wavefront_size: 64
  - .agpr_count:     0
    .args:
      - .offset:         0
        .size:           176
        .value_kind:     by_value
    .group_segment_fixed_size: 0
    .kernarg_segment_align: 8
    .kernarg_segment_size: 176
    .language:       OpenCL C
    .language_version:
      - 2
      - 0
    .max_flat_workgroup_size: 256
    .name:           _ZN7rocprim17ROCPRIM_400000_NS6detail17trampoline_kernelINS0_13select_configILj256ELj13ELNS0_17block_load_methodE3ELS4_3ELS4_3ELNS0_20block_scan_algorithmE0ELj4294967295EEENS1_25partition_config_selectorILNS1_17partition_subalgoE4EjNS0_10empty_typeEbEEZZNS1_14partition_implILS8_4ELb0ES6_15HIP_vector_typeIjLj2EENS0_17counting_iteratorIjlEEPS9_SG_NS0_5tupleIJPjSI_NS0_16reverse_iteratorISI_EEEEENSH_IJSG_SG_SG_EEES9_SI_JZNS1_25segmented_radix_sort_implINS0_14default_configELb1EPKsPsPKlPlN2at6native12_GLOBAL__N_18offset_tEEE10hipError_tPvRmT1_PNSt15iterator_traitsIS12_E10value_typeET2_T3_PNS13_IS18_E10value_typeET4_jRbjT5_S1E_jjP12ihipStream_tbEUljE_ZNSN_ISO_Lb1ESQ_SR_ST_SU_SY_EESZ_S10_S11_S12_S16_S17_S18_S1B_S1C_jS1D_jS1E_S1E_jjS1G_bEUljE0_EEESZ_S10_S11_S18_S1C_S1E_T6_T7_T9_mT8_S1G_bDpT10_ENKUlT_T0_E_clISt17integral_constantIbLb0EES1U_EEDaS1P_S1Q_EUlS1P_E_NS1_11comp_targetILNS1_3genE5ELNS1_11target_archE942ELNS1_3gpuE9ELNS1_3repE0EEENS1_30default_config_static_selectorELNS0_4arch9wavefront6targetE1EEEvS12_
    .private_segment_fixed_size: 0
    .sgpr_count:     4
    .sgpr_spill_count: 0
    .symbol:         _ZN7rocprim17ROCPRIM_400000_NS6detail17trampoline_kernelINS0_13select_configILj256ELj13ELNS0_17block_load_methodE3ELS4_3ELS4_3ELNS0_20block_scan_algorithmE0ELj4294967295EEENS1_25partition_config_selectorILNS1_17partition_subalgoE4EjNS0_10empty_typeEbEEZZNS1_14partition_implILS8_4ELb0ES6_15HIP_vector_typeIjLj2EENS0_17counting_iteratorIjlEEPS9_SG_NS0_5tupleIJPjSI_NS0_16reverse_iteratorISI_EEEEENSH_IJSG_SG_SG_EEES9_SI_JZNS1_25segmented_radix_sort_implINS0_14default_configELb1EPKsPsPKlPlN2at6native12_GLOBAL__N_18offset_tEEE10hipError_tPvRmT1_PNSt15iterator_traitsIS12_E10value_typeET2_T3_PNS13_IS18_E10value_typeET4_jRbjT5_S1E_jjP12ihipStream_tbEUljE_ZNSN_ISO_Lb1ESQ_SR_ST_SU_SY_EESZ_S10_S11_S12_S16_S17_S18_S1B_S1C_jS1D_jS1E_S1E_jjS1G_bEUljE0_EEESZ_S10_S11_S18_S1C_S1E_T6_T7_T9_mT8_S1G_bDpT10_ENKUlT_T0_E_clISt17integral_constantIbLb0EES1U_EEDaS1P_S1Q_EUlS1P_E_NS1_11comp_targetILNS1_3genE5ELNS1_11target_archE942ELNS1_3gpuE9ELNS1_3repE0EEENS1_30default_config_static_selectorELNS0_4arch9wavefront6targetE1EEEvS12_.kd
    .uniform_work_group_size: 1
    .uses_dynamic_stack: false
    .vgpr_count:     0
    .vgpr_spill_count: 0
    .wavefront_size: 64
  - .agpr_count:     0
    .args:
      - .offset:         0
        .size:           176
        .value_kind:     by_value
    .group_segment_fixed_size: 13340
    .kernarg_segment_align: 8
    .kernarg_segment_size: 176
    .language:       OpenCL C
    .language_version:
      - 2
      - 0
    .max_flat_workgroup_size: 256
    .name:           _ZN7rocprim17ROCPRIM_400000_NS6detail17trampoline_kernelINS0_13select_configILj256ELj13ELNS0_17block_load_methodE3ELS4_3ELS4_3ELNS0_20block_scan_algorithmE0ELj4294967295EEENS1_25partition_config_selectorILNS1_17partition_subalgoE4EjNS0_10empty_typeEbEEZZNS1_14partition_implILS8_4ELb0ES6_15HIP_vector_typeIjLj2EENS0_17counting_iteratorIjlEEPS9_SG_NS0_5tupleIJPjSI_NS0_16reverse_iteratorISI_EEEEENSH_IJSG_SG_SG_EEES9_SI_JZNS1_25segmented_radix_sort_implINS0_14default_configELb1EPKsPsPKlPlN2at6native12_GLOBAL__N_18offset_tEEE10hipError_tPvRmT1_PNSt15iterator_traitsIS12_E10value_typeET2_T3_PNS13_IS18_E10value_typeET4_jRbjT5_S1E_jjP12ihipStream_tbEUljE_ZNSN_ISO_Lb1ESQ_SR_ST_SU_SY_EESZ_S10_S11_S12_S16_S17_S18_S1B_S1C_jS1D_jS1E_S1E_jjS1G_bEUljE0_EEESZ_S10_S11_S18_S1C_S1E_T6_T7_T9_mT8_S1G_bDpT10_ENKUlT_T0_E_clISt17integral_constantIbLb0EES1U_EEDaS1P_S1Q_EUlS1P_E_NS1_11comp_targetILNS1_3genE4ELNS1_11target_archE910ELNS1_3gpuE8ELNS1_3repE0EEENS1_30default_config_static_selectorELNS0_4arch9wavefront6targetE1EEEvS12_
    .private_segment_fixed_size: 0
    .sgpr_count:     94
    .sgpr_spill_count: 0
    .symbol:         _ZN7rocprim17ROCPRIM_400000_NS6detail17trampoline_kernelINS0_13select_configILj256ELj13ELNS0_17block_load_methodE3ELS4_3ELS4_3ELNS0_20block_scan_algorithmE0ELj4294967295EEENS1_25partition_config_selectorILNS1_17partition_subalgoE4EjNS0_10empty_typeEbEEZZNS1_14partition_implILS8_4ELb0ES6_15HIP_vector_typeIjLj2EENS0_17counting_iteratorIjlEEPS9_SG_NS0_5tupleIJPjSI_NS0_16reverse_iteratorISI_EEEEENSH_IJSG_SG_SG_EEES9_SI_JZNS1_25segmented_radix_sort_implINS0_14default_configELb1EPKsPsPKlPlN2at6native12_GLOBAL__N_18offset_tEEE10hipError_tPvRmT1_PNSt15iterator_traitsIS12_E10value_typeET2_T3_PNS13_IS18_E10value_typeET4_jRbjT5_S1E_jjP12ihipStream_tbEUljE_ZNSN_ISO_Lb1ESQ_SR_ST_SU_SY_EESZ_S10_S11_S12_S16_S17_S18_S1B_S1C_jS1D_jS1E_S1E_jjS1G_bEUljE0_EEESZ_S10_S11_S18_S1C_S1E_T6_T7_T9_mT8_S1G_bDpT10_ENKUlT_T0_E_clISt17integral_constantIbLb0EES1U_EEDaS1P_S1Q_EUlS1P_E_NS1_11comp_targetILNS1_3genE4ELNS1_11target_archE910ELNS1_3gpuE8ELNS1_3repE0EEENS1_30default_config_static_selectorELNS0_4arch9wavefront6targetE1EEEvS12_.kd
    .uniform_work_group_size: 1
    .uses_dynamic_stack: false
    .vgpr_count:     102
    .vgpr_spill_count: 0
    .wavefront_size: 64
  - .agpr_count:     0
    .args:
      - .offset:         0
        .size:           176
        .value_kind:     by_value
    .group_segment_fixed_size: 0
    .kernarg_segment_align: 8
    .kernarg_segment_size: 176
    .language:       OpenCL C
    .language_version:
      - 2
      - 0
    .max_flat_workgroup_size: 256
    .name:           _ZN7rocprim17ROCPRIM_400000_NS6detail17trampoline_kernelINS0_13select_configILj256ELj13ELNS0_17block_load_methodE3ELS4_3ELS4_3ELNS0_20block_scan_algorithmE0ELj4294967295EEENS1_25partition_config_selectorILNS1_17partition_subalgoE4EjNS0_10empty_typeEbEEZZNS1_14partition_implILS8_4ELb0ES6_15HIP_vector_typeIjLj2EENS0_17counting_iteratorIjlEEPS9_SG_NS0_5tupleIJPjSI_NS0_16reverse_iteratorISI_EEEEENSH_IJSG_SG_SG_EEES9_SI_JZNS1_25segmented_radix_sort_implINS0_14default_configELb1EPKsPsPKlPlN2at6native12_GLOBAL__N_18offset_tEEE10hipError_tPvRmT1_PNSt15iterator_traitsIS12_E10value_typeET2_T3_PNS13_IS18_E10value_typeET4_jRbjT5_S1E_jjP12ihipStream_tbEUljE_ZNSN_ISO_Lb1ESQ_SR_ST_SU_SY_EESZ_S10_S11_S12_S16_S17_S18_S1B_S1C_jS1D_jS1E_S1E_jjS1G_bEUljE0_EEESZ_S10_S11_S18_S1C_S1E_T6_T7_T9_mT8_S1G_bDpT10_ENKUlT_T0_E_clISt17integral_constantIbLb0EES1U_EEDaS1P_S1Q_EUlS1P_E_NS1_11comp_targetILNS1_3genE3ELNS1_11target_archE908ELNS1_3gpuE7ELNS1_3repE0EEENS1_30default_config_static_selectorELNS0_4arch9wavefront6targetE1EEEvS12_
    .private_segment_fixed_size: 0
    .sgpr_count:     4
    .sgpr_spill_count: 0
    .symbol:         _ZN7rocprim17ROCPRIM_400000_NS6detail17trampoline_kernelINS0_13select_configILj256ELj13ELNS0_17block_load_methodE3ELS4_3ELS4_3ELNS0_20block_scan_algorithmE0ELj4294967295EEENS1_25partition_config_selectorILNS1_17partition_subalgoE4EjNS0_10empty_typeEbEEZZNS1_14partition_implILS8_4ELb0ES6_15HIP_vector_typeIjLj2EENS0_17counting_iteratorIjlEEPS9_SG_NS0_5tupleIJPjSI_NS0_16reverse_iteratorISI_EEEEENSH_IJSG_SG_SG_EEES9_SI_JZNS1_25segmented_radix_sort_implINS0_14default_configELb1EPKsPsPKlPlN2at6native12_GLOBAL__N_18offset_tEEE10hipError_tPvRmT1_PNSt15iterator_traitsIS12_E10value_typeET2_T3_PNS13_IS18_E10value_typeET4_jRbjT5_S1E_jjP12ihipStream_tbEUljE_ZNSN_ISO_Lb1ESQ_SR_ST_SU_SY_EESZ_S10_S11_S12_S16_S17_S18_S1B_S1C_jS1D_jS1E_S1E_jjS1G_bEUljE0_EEESZ_S10_S11_S18_S1C_S1E_T6_T7_T9_mT8_S1G_bDpT10_ENKUlT_T0_E_clISt17integral_constantIbLb0EES1U_EEDaS1P_S1Q_EUlS1P_E_NS1_11comp_targetILNS1_3genE3ELNS1_11target_archE908ELNS1_3gpuE7ELNS1_3repE0EEENS1_30default_config_static_selectorELNS0_4arch9wavefront6targetE1EEEvS12_.kd
    .uniform_work_group_size: 1
    .uses_dynamic_stack: false
    .vgpr_count:     0
    .vgpr_spill_count: 0
    .wavefront_size: 64
  - .agpr_count:     0
    .args:
      - .offset:         0
        .size:           176
        .value_kind:     by_value
    .group_segment_fixed_size: 0
    .kernarg_segment_align: 8
    .kernarg_segment_size: 176
    .language:       OpenCL C
    .language_version:
      - 2
      - 0
    .max_flat_workgroup_size: 256
    .name:           _ZN7rocprim17ROCPRIM_400000_NS6detail17trampoline_kernelINS0_13select_configILj256ELj13ELNS0_17block_load_methodE3ELS4_3ELS4_3ELNS0_20block_scan_algorithmE0ELj4294967295EEENS1_25partition_config_selectorILNS1_17partition_subalgoE4EjNS0_10empty_typeEbEEZZNS1_14partition_implILS8_4ELb0ES6_15HIP_vector_typeIjLj2EENS0_17counting_iteratorIjlEEPS9_SG_NS0_5tupleIJPjSI_NS0_16reverse_iteratorISI_EEEEENSH_IJSG_SG_SG_EEES9_SI_JZNS1_25segmented_radix_sort_implINS0_14default_configELb1EPKsPsPKlPlN2at6native12_GLOBAL__N_18offset_tEEE10hipError_tPvRmT1_PNSt15iterator_traitsIS12_E10value_typeET2_T3_PNS13_IS18_E10value_typeET4_jRbjT5_S1E_jjP12ihipStream_tbEUljE_ZNSN_ISO_Lb1ESQ_SR_ST_SU_SY_EESZ_S10_S11_S12_S16_S17_S18_S1B_S1C_jS1D_jS1E_S1E_jjS1G_bEUljE0_EEESZ_S10_S11_S18_S1C_S1E_T6_T7_T9_mT8_S1G_bDpT10_ENKUlT_T0_E_clISt17integral_constantIbLb0EES1U_EEDaS1P_S1Q_EUlS1P_E_NS1_11comp_targetILNS1_3genE2ELNS1_11target_archE906ELNS1_3gpuE6ELNS1_3repE0EEENS1_30default_config_static_selectorELNS0_4arch9wavefront6targetE1EEEvS12_
    .private_segment_fixed_size: 0
    .sgpr_count:     4
    .sgpr_spill_count: 0
    .symbol:         _ZN7rocprim17ROCPRIM_400000_NS6detail17trampoline_kernelINS0_13select_configILj256ELj13ELNS0_17block_load_methodE3ELS4_3ELS4_3ELNS0_20block_scan_algorithmE0ELj4294967295EEENS1_25partition_config_selectorILNS1_17partition_subalgoE4EjNS0_10empty_typeEbEEZZNS1_14partition_implILS8_4ELb0ES6_15HIP_vector_typeIjLj2EENS0_17counting_iteratorIjlEEPS9_SG_NS0_5tupleIJPjSI_NS0_16reverse_iteratorISI_EEEEENSH_IJSG_SG_SG_EEES9_SI_JZNS1_25segmented_radix_sort_implINS0_14default_configELb1EPKsPsPKlPlN2at6native12_GLOBAL__N_18offset_tEEE10hipError_tPvRmT1_PNSt15iterator_traitsIS12_E10value_typeET2_T3_PNS13_IS18_E10value_typeET4_jRbjT5_S1E_jjP12ihipStream_tbEUljE_ZNSN_ISO_Lb1ESQ_SR_ST_SU_SY_EESZ_S10_S11_S12_S16_S17_S18_S1B_S1C_jS1D_jS1E_S1E_jjS1G_bEUljE0_EEESZ_S10_S11_S18_S1C_S1E_T6_T7_T9_mT8_S1G_bDpT10_ENKUlT_T0_E_clISt17integral_constantIbLb0EES1U_EEDaS1P_S1Q_EUlS1P_E_NS1_11comp_targetILNS1_3genE2ELNS1_11target_archE906ELNS1_3gpuE6ELNS1_3repE0EEENS1_30default_config_static_selectorELNS0_4arch9wavefront6targetE1EEEvS12_.kd
    .uniform_work_group_size: 1
    .uses_dynamic_stack: false
    .vgpr_count:     0
    .vgpr_spill_count: 0
    .wavefront_size: 64
  - .agpr_count:     0
    .args:
      - .offset:         0
        .size:           176
        .value_kind:     by_value
    .group_segment_fixed_size: 0
    .kernarg_segment_align: 8
    .kernarg_segment_size: 176
    .language:       OpenCL C
    .language_version:
      - 2
      - 0
    .max_flat_workgroup_size: 256
    .name:           _ZN7rocprim17ROCPRIM_400000_NS6detail17trampoline_kernelINS0_13select_configILj256ELj13ELNS0_17block_load_methodE3ELS4_3ELS4_3ELNS0_20block_scan_algorithmE0ELj4294967295EEENS1_25partition_config_selectorILNS1_17partition_subalgoE4EjNS0_10empty_typeEbEEZZNS1_14partition_implILS8_4ELb0ES6_15HIP_vector_typeIjLj2EENS0_17counting_iteratorIjlEEPS9_SG_NS0_5tupleIJPjSI_NS0_16reverse_iteratorISI_EEEEENSH_IJSG_SG_SG_EEES9_SI_JZNS1_25segmented_radix_sort_implINS0_14default_configELb1EPKsPsPKlPlN2at6native12_GLOBAL__N_18offset_tEEE10hipError_tPvRmT1_PNSt15iterator_traitsIS12_E10value_typeET2_T3_PNS13_IS18_E10value_typeET4_jRbjT5_S1E_jjP12ihipStream_tbEUljE_ZNSN_ISO_Lb1ESQ_SR_ST_SU_SY_EESZ_S10_S11_S12_S16_S17_S18_S1B_S1C_jS1D_jS1E_S1E_jjS1G_bEUljE0_EEESZ_S10_S11_S18_S1C_S1E_T6_T7_T9_mT8_S1G_bDpT10_ENKUlT_T0_E_clISt17integral_constantIbLb0EES1U_EEDaS1P_S1Q_EUlS1P_E_NS1_11comp_targetILNS1_3genE10ELNS1_11target_archE1200ELNS1_3gpuE4ELNS1_3repE0EEENS1_30default_config_static_selectorELNS0_4arch9wavefront6targetE1EEEvS12_
    .private_segment_fixed_size: 0
    .sgpr_count:     4
    .sgpr_spill_count: 0
    .symbol:         _ZN7rocprim17ROCPRIM_400000_NS6detail17trampoline_kernelINS0_13select_configILj256ELj13ELNS0_17block_load_methodE3ELS4_3ELS4_3ELNS0_20block_scan_algorithmE0ELj4294967295EEENS1_25partition_config_selectorILNS1_17partition_subalgoE4EjNS0_10empty_typeEbEEZZNS1_14partition_implILS8_4ELb0ES6_15HIP_vector_typeIjLj2EENS0_17counting_iteratorIjlEEPS9_SG_NS0_5tupleIJPjSI_NS0_16reverse_iteratorISI_EEEEENSH_IJSG_SG_SG_EEES9_SI_JZNS1_25segmented_radix_sort_implINS0_14default_configELb1EPKsPsPKlPlN2at6native12_GLOBAL__N_18offset_tEEE10hipError_tPvRmT1_PNSt15iterator_traitsIS12_E10value_typeET2_T3_PNS13_IS18_E10value_typeET4_jRbjT5_S1E_jjP12ihipStream_tbEUljE_ZNSN_ISO_Lb1ESQ_SR_ST_SU_SY_EESZ_S10_S11_S12_S16_S17_S18_S1B_S1C_jS1D_jS1E_S1E_jjS1G_bEUljE0_EEESZ_S10_S11_S18_S1C_S1E_T6_T7_T9_mT8_S1G_bDpT10_ENKUlT_T0_E_clISt17integral_constantIbLb0EES1U_EEDaS1P_S1Q_EUlS1P_E_NS1_11comp_targetILNS1_3genE10ELNS1_11target_archE1200ELNS1_3gpuE4ELNS1_3repE0EEENS1_30default_config_static_selectorELNS0_4arch9wavefront6targetE1EEEvS12_.kd
    .uniform_work_group_size: 1
    .uses_dynamic_stack: false
    .vgpr_count:     0
    .vgpr_spill_count: 0
    .wavefront_size: 64
  - .agpr_count:     0
    .args:
      - .offset:         0
        .size:           176
        .value_kind:     by_value
    .group_segment_fixed_size: 0
    .kernarg_segment_align: 8
    .kernarg_segment_size: 176
    .language:       OpenCL C
    .language_version:
      - 2
      - 0
    .max_flat_workgroup_size: 256
    .name:           _ZN7rocprim17ROCPRIM_400000_NS6detail17trampoline_kernelINS0_13select_configILj256ELj13ELNS0_17block_load_methodE3ELS4_3ELS4_3ELNS0_20block_scan_algorithmE0ELj4294967295EEENS1_25partition_config_selectorILNS1_17partition_subalgoE4EjNS0_10empty_typeEbEEZZNS1_14partition_implILS8_4ELb0ES6_15HIP_vector_typeIjLj2EENS0_17counting_iteratorIjlEEPS9_SG_NS0_5tupleIJPjSI_NS0_16reverse_iteratorISI_EEEEENSH_IJSG_SG_SG_EEES9_SI_JZNS1_25segmented_radix_sort_implINS0_14default_configELb1EPKsPsPKlPlN2at6native12_GLOBAL__N_18offset_tEEE10hipError_tPvRmT1_PNSt15iterator_traitsIS12_E10value_typeET2_T3_PNS13_IS18_E10value_typeET4_jRbjT5_S1E_jjP12ihipStream_tbEUljE_ZNSN_ISO_Lb1ESQ_SR_ST_SU_SY_EESZ_S10_S11_S12_S16_S17_S18_S1B_S1C_jS1D_jS1E_S1E_jjS1G_bEUljE0_EEESZ_S10_S11_S18_S1C_S1E_T6_T7_T9_mT8_S1G_bDpT10_ENKUlT_T0_E_clISt17integral_constantIbLb0EES1U_EEDaS1P_S1Q_EUlS1P_E_NS1_11comp_targetILNS1_3genE9ELNS1_11target_archE1100ELNS1_3gpuE3ELNS1_3repE0EEENS1_30default_config_static_selectorELNS0_4arch9wavefront6targetE1EEEvS12_
    .private_segment_fixed_size: 0
    .sgpr_count:     4
    .sgpr_spill_count: 0
    .symbol:         _ZN7rocprim17ROCPRIM_400000_NS6detail17trampoline_kernelINS0_13select_configILj256ELj13ELNS0_17block_load_methodE3ELS4_3ELS4_3ELNS0_20block_scan_algorithmE0ELj4294967295EEENS1_25partition_config_selectorILNS1_17partition_subalgoE4EjNS0_10empty_typeEbEEZZNS1_14partition_implILS8_4ELb0ES6_15HIP_vector_typeIjLj2EENS0_17counting_iteratorIjlEEPS9_SG_NS0_5tupleIJPjSI_NS0_16reverse_iteratorISI_EEEEENSH_IJSG_SG_SG_EEES9_SI_JZNS1_25segmented_radix_sort_implINS0_14default_configELb1EPKsPsPKlPlN2at6native12_GLOBAL__N_18offset_tEEE10hipError_tPvRmT1_PNSt15iterator_traitsIS12_E10value_typeET2_T3_PNS13_IS18_E10value_typeET4_jRbjT5_S1E_jjP12ihipStream_tbEUljE_ZNSN_ISO_Lb1ESQ_SR_ST_SU_SY_EESZ_S10_S11_S12_S16_S17_S18_S1B_S1C_jS1D_jS1E_S1E_jjS1G_bEUljE0_EEESZ_S10_S11_S18_S1C_S1E_T6_T7_T9_mT8_S1G_bDpT10_ENKUlT_T0_E_clISt17integral_constantIbLb0EES1U_EEDaS1P_S1Q_EUlS1P_E_NS1_11comp_targetILNS1_3genE9ELNS1_11target_archE1100ELNS1_3gpuE3ELNS1_3repE0EEENS1_30default_config_static_selectorELNS0_4arch9wavefront6targetE1EEEvS12_.kd
    .uniform_work_group_size: 1
    .uses_dynamic_stack: false
    .vgpr_count:     0
    .vgpr_spill_count: 0
    .wavefront_size: 64
  - .agpr_count:     0
    .args:
      - .offset:         0
        .size:           176
        .value_kind:     by_value
    .group_segment_fixed_size: 0
    .kernarg_segment_align: 8
    .kernarg_segment_size: 176
    .language:       OpenCL C
    .language_version:
      - 2
      - 0
    .max_flat_workgroup_size: 256
    .name:           _ZN7rocprim17ROCPRIM_400000_NS6detail17trampoline_kernelINS0_13select_configILj256ELj13ELNS0_17block_load_methodE3ELS4_3ELS4_3ELNS0_20block_scan_algorithmE0ELj4294967295EEENS1_25partition_config_selectorILNS1_17partition_subalgoE4EjNS0_10empty_typeEbEEZZNS1_14partition_implILS8_4ELb0ES6_15HIP_vector_typeIjLj2EENS0_17counting_iteratorIjlEEPS9_SG_NS0_5tupleIJPjSI_NS0_16reverse_iteratorISI_EEEEENSH_IJSG_SG_SG_EEES9_SI_JZNS1_25segmented_radix_sort_implINS0_14default_configELb1EPKsPsPKlPlN2at6native12_GLOBAL__N_18offset_tEEE10hipError_tPvRmT1_PNSt15iterator_traitsIS12_E10value_typeET2_T3_PNS13_IS18_E10value_typeET4_jRbjT5_S1E_jjP12ihipStream_tbEUljE_ZNSN_ISO_Lb1ESQ_SR_ST_SU_SY_EESZ_S10_S11_S12_S16_S17_S18_S1B_S1C_jS1D_jS1E_S1E_jjS1G_bEUljE0_EEESZ_S10_S11_S18_S1C_S1E_T6_T7_T9_mT8_S1G_bDpT10_ENKUlT_T0_E_clISt17integral_constantIbLb0EES1U_EEDaS1P_S1Q_EUlS1P_E_NS1_11comp_targetILNS1_3genE8ELNS1_11target_archE1030ELNS1_3gpuE2ELNS1_3repE0EEENS1_30default_config_static_selectorELNS0_4arch9wavefront6targetE1EEEvS12_
    .private_segment_fixed_size: 0
    .sgpr_count:     4
    .sgpr_spill_count: 0
    .symbol:         _ZN7rocprim17ROCPRIM_400000_NS6detail17trampoline_kernelINS0_13select_configILj256ELj13ELNS0_17block_load_methodE3ELS4_3ELS4_3ELNS0_20block_scan_algorithmE0ELj4294967295EEENS1_25partition_config_selectorILNS1_17partition_subalgoE4EjNS0_10empty_typeEbEEZZNS1_14partition_implILS8_4ELb0ES6_15HIP_vector_typeIjLj2EENS0_17counting_iteratorIjlEEPS9_SG_NS0_5tupleIJPjSI_NS0_16reverse_iteratorISI_EEEEENSH_IJSG_SG_SG_EEES9_SI_JZNS1_25segmented_radix_sort_implINS0_14default_configELb1EPKsPsPKlPlN2at6native12_GLOBAL__N_18offset_tEEE10hipError_tPvRmT1_PNSt15iterator_traitsIS12_E10value_typeET2_T3_PNS13_IS18_E10value_typeET4_jRbjT5_S1E_jjP12ihipStream_tbEUljE_ZNSN_ISO_Lb1ESQ_SR_ST_SU_SY_EESZ_S10_S11_S12_S16_S17_S18_S1B_S1C_jS1D_jS1E_S1E_jjS1G_bEUljE0_EEESZ_S10_S11_S18_S1C_S1E_T6_T7_T9_mT8_S1G_bDpT10_ENKUlT_T0_E_clISt17integral_constantIbLb0EES1U_EEDaS1P_S1Q_EUlS1P_E_NS1_11comp_targetILNS1_3genE8ELNS1_11target_archE1030ELNS1_3gpuE2ELNS1_3repE0EEENS1_30default_config_static_selectorELNS0_4arch9wavefront6targetE1EEEvS12_.kd
    .uniform_work_group_size: 1
    .uses_dynamic_stack: false
    .vgpr_count:     0
    .vgpr_spill_count: 0
    .wavefront_size: 64
  - .agpr_count:     0
    .args:
      - .offset:         0
        .size:           184
        .value_kind:     by_value
    .group_segment_fixed_size: 0
    .kernarg_segment_align: 8
    .kernarg_segment_size: 184
    .language:       OpenCL C
    .language_version:
      - 2
      - 0
    .max_flat_workgroup_size: 256
    .name:           _ZN7rocprim17ROCPRIM_400000_NS6detail17trampoline_kernelINS0_13select_configILj256ELj13ELNS0_17block_load_methodE3ELS4_3ELS4_3ELNS0_20block_scan_algorithmE0ELj4294967295EEENS1_25partition_config_selectorILNS1_17partition_subalgoE4EjNS0_10empty_typeEbEEZZNS1_14partition_implILS8_4ELb0ES6_15HIP_vector_typeIjLj2EENS0_17counting_iteratorIjlEEPS9_SG_NS0_5tupleIJPjSI_NS0_16reverse_iteratorISI_EEEEENSH_IJSG_SG_SG_EEES9_SI_JZNS1_25segmented_radix_sort_implINS0_14default_configELb1EPKsPsPKlPlN2at6native12_GLOBAL__N_18offset_tEEE10hipError_tPvRmT1_PNSt15iterator_traitsIS12_E10value_typeET2_T3_PNS13_IS18_E10value_typeET4_jRbjT5_S1E_jjP12ihipStream_tbEUljE_ZNSN_ISO_Lb1ESQ_SR_ST_SU_SY_EESZ_S10_S11_S12_S16_S17_S18_S1B_S1C_jS1D_jS1E_S1E_jjS1G_bEUljE0_EEESZ_S10_S11_S18_S1C_S1E_T6_T7_T9_mT8_S1G_bDpT10_ENKUlT_T0_E_clISt17integral_constantIbLb1EES1U_EEDaS1P_S1Q_EUlS1P_E_NS1_11comp_targetILNS1_3genE0ELNS1_11target_archE4294967295ELNS1_3gpuE0ELNS1_3repE0EEENS1_30default_config_static_selectorELNS0_4arch9wavefront6targetE1EEEvS12_
    .private_segment_fixed_size: 0
    .sgpr_count:     4
    .sgpr_spill_count: 0
    .symbol:         _ZN7rocprim17ROCPRIM_400000_NS6detail17trampoline_kernelINS0_13select_configILj256ELj13ELNS0_17block_load_methodE3ELS4_3ELS4_3ELNS0_20block_scan_algorithmE0ELj4294967295EEENS1_25partition_config_selectorILNS1_17partition_subalgoE4EjNS0_10empty_typeEbEEZZNS1_14partition_implILS8_4ELb0ES6_15HIP_vector_typeIjLj2EENS0_17counting_iteratorIjlEEPS9_SG_NS0_5tupleIJPjSI_NS0_16reverse_iteratorISI_EEEEENSH_IJSG_SG_SG_EEES9_SI_JZNS1_25segmented_radix_sort_implINS0_14default_configELb1EPKsPsPKlPlN2at6native12_GLOBAL__N_18offset_tEEE10hipError_tPvRmT1_PNSt15iterator_traitsIS12_E10value_typeET2_T3_PNS13_IS18_E10value_typeET4_jRbjT5_S1E_jjP12ihipStream_tbEUljE_ZNSN_ISO_Lb1ESQ_SR_ST_SU_SY_EESZ_S10_S11_S12_S16_S17_S18_S1B_S1C_jS1D_jS1E_S1E_jjS1G_bEUljE0_EEESZ_S10_S11_S18_S1C_S1E_T6_T7_T9_mT8_S1G_bDpT10_ENKUlT_T0_E_clISt17integral_constantIbLb1EES1U_EEDaS1P_S1Q_EUlS1P_E_NS1_11comp_targetILNS1_3genE0ELNS1_11target_archE4294967295ELNS1_3gpuE0ELNS1_3repE0EEENS1_30default_config_static_selectorELNS0_4arch9wavefront6targetE1EEEvS12_.kd
    .uniform_work_group_size: 1
    .uses_dynamic_stack: false
    .vgpr_count:     0
    .vgpr_spill_count: 0
    .wavefront_size: 64
  - .agpr_count:     0
    .args:
      - .offset:         0
        .size:           184
        .value_kind:     by_value
    .group_segment_fixed_size: 0
    .kernarg_segment_align: 8
    .kernarg_segment_size: 184
    .language:       OpenCL C
    .language_version:
      - 2
      - 0
    .max_flat_workgroup_size: 256
    .name:           _ZN7rocprim17ROCPRIM_400000_NS6detail17trampoline_kernelINS0_13select_configILj256ELj13ELNS0_17block_load_methodE3ELS4_3ELS4_3ELNS0_20block_scan_algorithmE0ELj4294967295EEENS1_25partition_config_selectorILNS1_17partition_subalgoE4EjNS0_10empty_typeEbEEZZNS1_14partition_implILS8_4ELb0ES6_15HIP_vector_typeIjLj2EENS0_17counting_iteratorIjlEEPS9_SG_NS0_5tupleIJPjSI_NS0_16reverse_iteratorISI_EEEEENSH_IJSG_SG_SG_EEES9_SI_JZNS1_25segmented_radix_sort_implINS0_14default_configELb1EPKsPsPKlPlN2at6native12_GLOBAL__N_18offset_tEEE10hipError_tPvRmT1_PNSt15iterator_traitsIS12_E10value_typeET2_T3_PNS13_IS18_E10value_typeET4_jRbjT5_S1E_jjP12ihipStream_tbEUljE_ZNSN_ISO_Lb1ESQ_SR_ST_SU_SY_EESZ_S10_S11_S12_S16_S17_S18_S1B_S1C_jS1D_jS1E_S1E_jjS1G_bEUljE0_EEESZ_S10_S11_S18_S1C_S1E_T6_T7_T9_mT8_S1G_bDpT10_ENKUlT_T0_E_clISt17integral_constantIbLb1EES1U_EEDaS1P_S1Q_EUlS1P_E_NS1_11comp_targetILNS1_3genE5ELNS1_11target_archE942ELNS1_3gpuE9ELNS1_3repE0EEENS1_30default_config_static_selectorELNS0_4arch9wavefront6targetE1EEEvS12_
    .private_segment_fixed_size: 0
    .sgpr_count:     4
    .sgpr_spill_count: 0
    .symbol:         _ZN7rocprim17ROCPRIM_400000_NS6detail17trampoline_kernelINS0_13select_configILj256ELj13ELNS0_17block_load_methodE3ELS4_3ELS4_3ELNS0_20block_scan_algorithmE0ELj4294967295EEENS1_25partition_config_selectorILNS1_17partition_subalgoE4EjNS0_10empty_typeEbEEZZNS1_14partition_implILS8_4ELb0ES6_15HIP_vector_typeIjLj2EENS0_17counting_iteratorIjlEEPS9_SG_NS0_5tupleIJPjSI_NS0_16reverse_iteratorISI_EEEEENSH_IJSG_SG_SG_EEES9_SI_JZNS1_25segmented_radix_sort_implINS0_14default_configELb1EPKsPsPKlPlN2at6native12_GLOBAL__N_18offset_tEEE10hipError_tPvRmT1_PNSt15iterator_traitsIS12_E10value_typeET2_T3_PNS13_IS18_E10value_typeET4_jRbjT5_S1E_jjP12ihipStream_tbEUljE_ZNSN_ISO_Lb1ESQ_SR_ST_SU_SY_EESZ_S10_S11_S12_S16_S17_S18_S1B_S1C_jS1D_jS1E_S1E_jjS1G_bEUljE0_EEESZ_S10_S11_S18_S1C_S1E_T6_T7_T9_mT8_S1G_bDpT10_ENKUlT_T0_E_clISt17integral_constantIbLb1EES1U_EEDaS1P_S1Q_EUlS1P_E_NS1_11comp_targetILNS1_3genE5ELNS1_11target_archE942ELNS1_3gpuE9ELNS1_3repE0EEENS1_30default_config_static_selectorELNS0_4arch9wavefront6targetE1EEEvS12_.kd
    .uniform_work_group_size: 1
    .uses_dynamic_stack: false
    .vgpr_count:     0
    .vgpr_spill_count: 0
    .wavefront_size: 64
  - .agpr_count:     0
    .args:
      - .offset:         0
        .size:           184
        .value_kind:     by_value
    .group_segment_fixed_size: 13340
    .kernarg_segment_align: 8
    .kernarg_segment_size: 184
    .language:       OpenCL C
    .language_version:
      - 2
      - 0
    .max_flat_workgroup_size: 256
    .name:           _ZN7rocprim17ROCPRIM_400000_NS6detail17trampoline_kernelINS0_13select_configILj256ELj13ELNS0_17block_load_methodE3ELS4_3ELS4_3ELNS0_20block_scan_algorithmE0ELj4294967295EEENS1_25partition_config_selectorILNS1_17partition_subalgoE4EjNS0_10empty_typeEbEEZZNS1_14partition_implILS8_4ELb0ES6_15HIP_vector_typeIjLj2EENS0_17counting_iteratorIjlEEPS9_SG_NS0_5tupleIJPjSI_NS0_16reverse_iteratorISI_EEEEENSH_IJSG_SG_SG_EEES9_SI_JZNS1_25segmented_radix_sort_implINS0_14default_configELb1EPKsPsPKlPlN2at6native12_GLOBAL__N_18offset_tEEE10hipError_tPvRmT1_PNSt15iterator_traitsIS12_E10value_typeET2_T3_PNS13_IS18_E10value_typeET4_jRbjT5_S1E_jjP12ihipStream_tbEUljE_ZNSN_ISO_Lb1ESQ_SR_ST_SU_SY_EESZ_S10_S11_S12_S16_S17_S18_S1B_S1C_jS1D_jS1E_S1E_jjS1G_bEUljE0_EEESZ_S10_S11_S18_S1C_S1E_T6_T7_T9_mT8_S1G_bDpT10_ENKUlT_T0_E_clISt17integral_constantIbLb1EES1U_EEDaS1P_S1Q_EUlS1P_E_NS1_11comp_targetILNS1_3genE4ELNS1_11target_archE910ELNS1_3gpuE8ELNS1_3repE0EEENS1_30default_config_static_selectorELNS0_4arch9wavefront6targetE1EEEvS12_
    .private_segment_fixed_size: 0
    .sgpr_count:     91
    .sgpr_spill_count: 0
    .symbol:         _ZN7rocprim17ROCPRIM_400000_NS6detail17trampoline_kernelINS0_13select_configILj256ELj13ELNS0_17block_load_methodE3ELS4_3ELS4_3ELNS0_20block_scan_algorithmE0ELj4294967295EEENS1_25partition_config_selectorILNS1_17partition_subalgoE4EjNS0_10empty_typeEbEEZZNS1_14partition_implILS8_4ELb0ES6_15HIP_vector_typeIjLj2EENS0_17counting_iteratorIjlEEPS9_SG_NS0_5tupleIJPjSI_NS0_16reverse_iteratorISI_EEEEENSH_IJSG_SG_SG_EEES9_SI_JZNS1_25segmented_radix_sort_implINS0_14default_configELb1EPKsPsPKlPlN2at6native12_GLOBAL__N_18offset_tEEE10hipError_tPvRmT1_PNSt15iterator_traitsIS12_E10value_typeET2_T3_PNS13_IS18_E10value_typeET4_jRbjT5_S1E_jjP12ihipStream_tbEUljE_ZNSN_ISO_Lb1ESQ_SR_ST_SU_SY_EESZ_S10_S11_S12_S16_S17_S18_S1B_S1C_jS1D_jS1E_S1E_jjS1G_bEUljE0_EEESZ_S10_S11_S18_S1C_S1E_T6_T7_T9_mT8_S1G_bDpT10_ENKUlT_T0_E_clISt17integral_constantIbLb1EES1U_EEDaS1P_S1Q_EUlS1P_E_NS1_11comp_targetILNS1_3genE4ELNS1_11target_archE910ELNS1_3gpuE8ELNS1_3repE0EEENS1_30default_config_static_selectorELNS0_4arch9wavefront6targetE1EEEvS12_.kd
    .uniform_work_group_size: 1
    .uses_dynamic_stack: false
    .vgpr_count:     107
    .vgpr_spill_count: 0
    .wavefront_size: 64
  - .agpr_count:     0
    .args:
      - .offset:         0
        .size:           184
        .value_kind:     by_value
    .group_segment_fixed_size: 0
    .kernarg_segment_align: 8
    .kernarg_segment_size: 184
    .language:       OpenCL C
    .language_version:
      - 2
      - 0
    .max_flat_workgroup_size: 256
    .name:           _ZN7rocprim17ROCPRIM_400000_NS6detail17trampoline_kernelINS0_13select_configILj256ELj13ELNS0_17block_load_methodE3ELS4_3ELS4_3ELNS0_20block_scan_algorithmE0ELj4294967295EEENS1_25partition_config_selectorILNS1_17partition_subalgoE4EjNS0_10empty_typeEbEEZZNS1_14partition_implILS8_4ELb0ES6_15HIP_vector_typeIjLj2EENS0_17counting_iteratorIjlEEPS9_SG_NS0_5tupleIJPjSI_NS0_16reverse_iteratorISI_EEEEENSH_IJSG_SG_SG_EEES9_SI_JZNS1_25segmented_radix_sort_implINS0_14default_configELb1EPKsPsPKlPlN2at6native12_GLOBAL__N_18offset_tEEE10hipError_tPvRmT1_PNSt15iterator_traitsIS12_E10value_typeET2_T3_PNS13_IS18_E10value_typeET4_jRbjT5_S1E_jjP12ihipStream_tbEUljE_ZNSN_ISO_Lb1ESQ_SR_ST_SU_SY_EESZ_S10_S11_S12_S16_S17_S18_S1B_S1C_jS1D_jS1E_S1E_jjS1G_bEUljE0_EEESZ_S10_S11_S18_S1C_S1E_T6_T7_T9_mT8_S1G_bDpT10_ENKUlT_T0_E_clISt17integral_constantIbLb1EES1U_EEDaS1P_S1Q_EUlS1P_E_NS1_11comp_targetILNS1_3genE3ELNS1_11target_archE908ELNS1_3gpuE7ELNS1_3repE0EEENS1_30default_config_static_selectorELNS0_4arch9wavefront6targetE1EEEvS12_
    .private_segment_fixed_size: 0
    .sgpr_count:     4
    .sgpr_spill_count: 0
    .symbol:         _ZN7rocprim17ROCPRIM_400000_NS6detail17trampoline_kernelINS0_13select_configILj256ELj13ELNS0_17block_load_methodE3ELS4_3ELS4_3ELNS0_20block_scan_algorithmE0ELj4294967295EEENS1_25partition_config_selectorILNS1_17partition_subalgoE4EjNS0_10empty_typeEbEEZZNS1_14partition_implILS8_4ELb0ES6_15HIP_vector_typeIjLj2EENS0_17counting_iteratorIjlEEPS9_SG_NS0_5tupleIJPjSI_NS0_16reverse_iteratorISI_EEEEENSH_IJSG_SG_SG_EEES9_SI_JZNS1_25segmented_radix_sort_implINS0_14default_configELb1EPKsPsPKlPlN2at6native12_GLOBAL__N_18offset_tEEE10hipError_tPvRmT1_PNSt15iterator_traitsIS12_E10value_typeET2_T3_PNS13_IS18_E10value_typeET4_jRbjT5_S1E_jjP12ihipStream_tbEUljE_ZNSN_ISO_Lb1ESQ_SR_ST_SU_SY_EESZ_S10_S11_S12_S16_S17_S18_S1B_S1C_jS1D_jS1E_S1E_jjS1G_bEUljE0_EEESZ_S10_S11_S18_S1C_S1E_T6_T7_T9_mT8_S1G_bDpT10_ENKUlT_T0_E_clISt17integral_constantIbLb1EES1U_EEDaS1P_S1Q_EUlS1P_E_NS1_11comp_targetILNS1_3genE3ELNS1_11target_archE908ELNS1_3gpuE7ELNS1_3repE0EEENS1_30default_config_static_selectorELNS0_4arch9wavefront6targetE1EEEvS12_.kd
    .uniform_work_group_size: 1
    .uses_dynamic_stack: false
    .vgpr_count:     0
    .vgpr_spill_count: 0
    .wavefront_size: 64
  - .agpr_count:     0
    .args:
      - .offset:         0
        .size:           184
        .value_kind:     by_value
    .group_segment_fixed_size: 0
    .kernarg_segment_align: 8
    .kernarg_segment_size: 184
    .language:       OpenCL C
    .language_version:
      - 2
      - 0
    .max_flat_workgroup_size: 256
    .name:           _ZN7rocprim17ROCPRIM_400000_NS6detail17trampoline_kernelINS0_13select_configILj256ELj13ELNS0_17block_load_methodE3ELS4_3ELS4_3ELNS0_20block_scan_algorithmE0ELj4294967295EEENS1_25partition_config_selectorILNS1_17partition_subalgoE4EjNS0_10empty_typeEbEEZZNS1_14partition_implILS8_4ELb0ES6_15HIP_vector_typeIjLj2EENS0_17counting_iteratorIjlEEPS9_SG_NS0_5tupleIJPjSI_NS0_16reverse_iteratorISI_EEEEENSH_IJSG_SG_SG_EEES9_SI_JZNS1_25segmented_radix_sort_implINS0_14default_configELb1EPKsPsPKlPlN2at6native12_GLOBAL__N_18offset_tEEE10hipError_tPvRmT1_PNSt15iterator_traitsIS12_E10value_typeET2_T3_PNS13_IS18_E10value_typeET4_jRbjT5_S1E_jjP12ihipStream_tbEUljE_ZNSN_ISO_Lb1ESQ_SR_ST_SU_SY_EESZ_S10_S11_S12_S16_S17_S18_S1B_S1C_jS1D_jS1E_S1E_jjS1G_bEUljE0_EEESZ_S10_S11_S18_S1C_S1E_T6_T7_T9_mT8_S1G_bDpT10_ENKUlT_T0_E_clISt17integral_constantIbLb1EES1U_EEDaS1P_S1Q_EUlS1P_E_NS1_11comp_targetILNS1_3genE2ELNS1_11target_archE906ELNS1_3gpuE6ELNS1_3repE0EEENS1_30default_config_static_selectorELNS0_4arch9wavefront6targetE1EEEvS12_
    .private_segment_fixed_size: 0
    .sgpr_count:     4
    .sgpr_spill_count: 0
    .symbol:         _ZN7rocprim17ROCPRIM_400000_NS6detail17trampoline_kernelINS0_13select_configILj256ELj13ELNS0_17block_load_methodE3ELS4_3ELS4_3ELNS0_20block_scan_algorithmE0ELj4294967295EEENS1_25partition_config_selectorILNS1_17partition_subalgoE4EjNS0_10empty_typeEbEEZZNS1_14partition_implILS8_4ELb0ES6_15HIP_vector_typeIjLj2EENS0_17counting_iteratorIjlEEPS9_SG_NS0_5tupleIJPjSI_NS0_16reverse_iteratorISI_EEEEENSH_IJSG_SG_SG_EEES9_SI_JZNS1_25segmented_radix_sort_implINS0_14default_configELb1EPKsPsPKlPlN2at6native12_GLOBAL__N_18offset_tEEE10hipError_tPvRmT1_PNSt15iterator_traitsIS12_E10value_typeET2_T3_PNS13_IS18_E10value_typeET4_jRbjT5_S1E_jjP12ihipStream_tbEUljE_ZNSN_ISO_Lb1ESQ_SR_ST_SU_SY_EESZ_S10_S11_S12_S16_S17_S18_S1B_S1C_jS1D_jS1E_S1E_jjS1G_bEUljE0_EEESZ_S10_S11_S18_S1C_S1E_T6_T7_T9_mT8_S1G_bDpT10_ENKUlT_T0_E_clISt17integral_constantIbLb1EES1U_EEDaS1P_S1Q_EUlS1P_E_NS1_11comp_targetILNS1_3genE2ELNS1_11target_archE906ELNS1_3gpuE6ELNS1_3repE0EEENS1_30default_config_static_selectorELNS0_4arch9wavefront6targetE1EEEvS12_.kd
    .uniform_work_group_size: 1
    .uses_dynamic_stack: false
    .vgpr_count:     0
    .vgpr_spill_count: 0
    .wavefront_size: 64
  - .agpr_count:     0
    .args:
      - .offset:         0
        .size:           184
        .value_kind:     by_value
    .group_segment_fixed_size: 0
    .kernarg_segment_align: 8
    .kernarg_segment_size: 184
    .language:       OpenCL C
    .language_version:
      - 2
      - 0
    .max_flat_workgroup_size: 256
    .name:           _ZN7rocprim17ROCPRIM_400000_NS6detail17trampoline_kernelINS0_13select_configILj256ELj13ELNS0_17block_load_methodE3ELS4_3ELS4_3ELNS0_20block_scan_algorithmE0ELj4294967295EEENS1_25partition_config_selectorILNS1_17partition_subalgoE4EjNS0_10empty_typeEbEEZZNS1_14partition_implILS8_4ELb0ES6_15HIP_vector_typeIjLj2EENS0_17counting_iteratorIjlEEPS9_SG_NS0_5tupleIJPjSI_NS0_16reverse_iteratorISI_EEEEENSH_IJSG_SG_SG_EEES9_SI_JZNS1_25segmented_radix_sort_implINS0_14default_configELb1EPKsPsPKlPlN2at6native12_GLOBAL__N_18offset_tEEE10hipError_tPvRmT1_PNSt15iterator_traitsIS12_E10value_typeET2_T3_PNS13_IS18_E10value_typeET4_jRbjT5_S1E_jjP12ihipStream_tbEUljE_ZNSN_ISO_Lb1ESQ_SR_ST_SU_SY_EESZ_S10_S11_S12_S16_S17_S18_S1B_S1C_jS1D_jS1E_S1E_jjS1G_bEUljE0_EEESZ_S10_S11_S18_S1C_S1E_T6_T7_T9_mT8_S1G_bDpT10_ENKUlT_T0_E_clISt17integral_constantIbLb1EES1U_EEDaS1P_S1Q_EUlS1P_E_NS1_11comp_targetILNS1_3genE10ELNS1_11target_archE1200ELNS1_3gpuE4ELNS1_3repE0EEENS1_30default_config_static_selectorELNS0_4arch9wavefront6targetE1EEEvS12_
    .private_segment_fixed_size: 0
    .sgpr_count:     4
    .sgpr_spill_count: 0
    .symbol:         _ZN7rocprim17ROCPRIM_400000_NS6detail17trampoline_kernelINS0_13select_configILj256ELj13ELNS0_17block_load_methodE3ELS4_3ELS4_3ELNS0_20block_scan_algorithmE0ELj4294967295EEENS1_25partition_config_selectorILNS1_17partition_subalgoE4EjNS0_10empty_typeEbEEZZNS1_14partition_implILS8_4ELb0ES6_15HIP_vector_typeIjLj2EENS0_17counting_iteratorIjlEEPS9_SG_NS0_5tupleIJPjSI_NS0_16reverse_iteratorISI_EEEEENSH_IJSG_SG_SG_EEES9_SI_JZNS1_25segmented_radix_sort_implINS0_14default_configELb1EPKsPsPKlPlN2at6native12_GLOBAL__N_18offset_tEEE10hipError_tPvRmT1_PNSt15iterator_traitsIS12_E10value_typeET2_T3_PNS13_IS18_E10value_typeET4_jRbjT5_S1E_jjP12ihipStream_tbEUljE_ZNSN_ISO_Lb1ESQ_SR_ST_SU_SY_EESZ_S10_S11_S12_S16_S17_S18_S1B_S1C_jS1D_jS1E_S1E_jjS1G_bEUljE0_EEESZ_S10_S11_S18_S1C_S1E_T6_T7_T9_mT8_S1G_bDpT10_ENKUlT_T0_E_clISt17integral_constantIbLb1EES1U_EEDaS1P_S1Q_EUlS1P_E_NS1_11comp_targetILNS1_3genE10ELNS1_11target_archE1200ELNS1_3gpuE4ELNS1_3repE0EEENS1_30default_config_static_selectorELNS0_4arch9wavefront6targetE1EEEvS12_.kd
    .uniform_work_group_size: 1
    .uses_dynamic_stack: false
    .vgpr_count:     0
    .vgpr_spill_count: 0
    .wavefront_size: 64
  - .agpr_count:     0
    .args:
      - .offset:         0
        .size:           184
        .value_kind:     by_value
    .group_segment_fixed_size: 0
    .kernarg_segment_align: 8
    .kernarg_segment_size: 184
    .language:       OpenCL C
    .language_version:
      - 2
      - 0
    .max_flat_workgroup_size: 256
    .name:           _ZN7rocprim17ROCPRIM_400000_NS6detail17trampoline_kernelINS0_13select_configILj256ELj13ELNS0_17block_load_methodE3ELS4_3ELS4_3ELNS0_20block_scan_algorithmE0ELj4294967295EEENS1_25partition_config_selectorILNS1_17partition_subalgoE4EjNS0_10empty_typeEbEEZZNS1_14partition_implILS8_4ELb0ES6_15HIP_vector_typeIjLj2EENS0_17counting_iteratorIjlEEPS9_SG_NS0_5tupleIJPjSI_NS0_16reverse_iteratorISI_EEEEENSH_IJSG_SG_SG_EEES9_SI_JZNS1_25segmented_radix_sort_implINS0_14default_configELb1EPKsPsPKlPlN2at6native12_GLOBAL__N_18offset_tEEE10hipError_tPvRmT1_PNSt15iterator_traitsIS12_E10value_typeET2_T3_PNS13_IS18_E10value_typeET4_jRbjT5_S1E_jjP12ihipStream_tbEUljE_ZNSN_ISO_Lb1ESQ_SR_ST_SU_SY_EESZ_S10_S11_S12_S16_S17_S18_S1B_S1C_jS1D_jS1E_S1E_jjS1G_bEUljE0_EEESZ_S10_S11_S18_S1C_S1E_T6_T7_T9_mT8_S1G_bDpT10_ENKUlT_T0_E_clISt17integral_constantIbLb1EES1U_EEDaS1P_S1Q_EUlS1P_E_NS1_11comp_targetILNS1_3genE9ELNS1_11target_archE1100ELNS1_3gpuE3ELNS1_3repE0EEENS1_30default_config_static_selectorELNS0_4arch9wavefront6targetE1EEEvS12_
    .private_segment_fixed_size: 0
    .sgpr_count:     4
    .sgpr_spill_count: 0
    .symbol:         _ZN7rocprim17ROCPRIM_400000_NS6detail17trampoline_kernelINS0_13select_configILj256ELj13ELNS0_17block_load_methodE3ELS4_3ELS4_3ELNS0_20block_scan_algorithmE0ELj4294967295EEENS1_25partition_config_selectorILNS1_17partition_subalgoE4EjNS0_10empty_typeEbEEZZNS1_14partition_implILS8_4ELb0ES6_15HIP_vector_typeIjLj2EENS0_17counting_iteratorIjlEEPS9_SG_NS0_5tupleIJPjSI_NS0_16reverse_iteratorISI_EEEEENSH_IJSG_SG_SG_EEES9_SI_JZNS1_25segmented_radix_sort_implINS0_14default_configELb1EPKsPsPKlPlN2at6native12_GLOBAL__N_18offset_tEEE10hipError_tPvRmT1_PNSt15iterator_traitsIS12_E10value_typeET2_T3_PNS13_IS18_E10value_typeET4_jRbjT5_S1E_jjP12ihipStream_tbEUljE_ZNSN_ISO_Lb1ESQ_SR_ST_SU_SY_EESZ_S10_S11_S12_S16_S17_S18_S1B_S1C_jS1D_jS1E_S1E_jjS1G_bEUljE0_EEESZ_S10_S11_S18_S1C_S1E_T6_T7_T9_mT8_S1G_bDpT10_ENKUlT_T0_E_clISt17integral_constantIbLb1EES1U_EEDaS1P_S1Q_EUlS1P_E_NS1_11comp_targetILNS1_3genE9ELNS1_11target_archE1100ELNS1_3gpuE3ELNS1_3repE0EEENS1_30default_config_static_selectorELNS0_4arch9wavefront6targetE1EEEvS12_.kd
    .uniform_work_group_size: 1
    .uses_dynamic_stack: false
    .vgpr_count:     0
    .vgpr_spill_count: 0
    .wavefront_size: 64
  - .agpr_count:     0
    .args:
      - .offset:         0
        .size:           184
        .value_kind:     by_value
    .group_segment_fixed_size: 0
    .kernarg_segment_align: 8
    .kernarg_segment_size: 184
    .language:       OpenCL C
    .language_version:
      - 2
      - 0
    .max_flat_workgroup_size: 256
    .name:           _ZN7rocprim17ROCPRIM_400000_NS6detail17trampoline_kernelINS0_13select_configILj256ELj13ELNS0_17block_load_methodE3ELS4_3ELS4_3ELNS0_20block_scan_algorithmE0ELj4294967295EEENS1_25partition_config_selectorILNS1_17partition_subalgoE4EjNS0_10empty_typeEbEEZZNS1_14partition_implILS8_4ELb0ES6_15HIP_vector_typeIjLj2EENS0_17counting_iteratorIjlEEPS9_SG_NS0_5tupleIJPjSI_NS0_16reverse_iteratorISI_EEEEENSH_IJSG_SG_SG_EEES9_SI_JZNS1_25segmented_radix_sort_implINS0_14default_configELb1EPKsPsPKlPlN2at6native12_GLOBAL__N_18offset_tEEE10hipError_tPvRmT1_PNSt15iterator_traitsIS12_E10value_typeET2_T3_PNS13_IS18_E10value_typeET4_jRbjT5_S1E_jjP12ihipStream_tbEUljE_ZNSN_ISO_Lb1ESQ_SR_ST_SU_SY_EESZ_S10_S11_S12_S16_S17_S18_S1B_S1C_jS1D_jS1E_S1E_jjS1G_bEUljE0_EEESZ_S10_S11_S18_S1C_S1E_T6_T7_T9_mT8_S1G_bDpT10_ENKUlT_T0_E_clISt17integral_constantIbLb1EES1U_EEDaS1P_S1Q_EUlS1P_E_NS1_11comp_targetILNS1_3genE8ELNS1_11target_archE1030ELNS1_3gpuE2ELNS1_3repE0EEENS1_30default_config_static_selectorELNS0_4arch9wavefront6targetE1EEEvS12_
    .private_segment_fixed_size: 0
    .sgpr_count:     4
    .sgpr_spill_count: 0
    .symbol:         _ZN7rocprim17ROCPRIM_400000_NS6detail17trampoline_kernelINS0_13select_configILj256ELj13ELNS0_17block_load_methodE3ELS4_3ELS4_3ELNS0_20block_scan_algorithmE0ELj4294967295EEENS1_25partition_config_selectorILNS1_17partition_subalgoE4EjNS0_10empty_typeEbEEZZNS1_14partition_implILS8_4ELb0ES6_15HIP_vector_typeIjLj2EENS0_17counting_iteratorIjlEEPS9_SG_NS0_5tupleIJPjSI_NS0_16reverse_iteratorISI_EEEEENSH_IJSG_SG_SG_EEES9_SI_JZNS1_25segmented_radix_sort_implINS0_14default_configELb1EPKsPsPKlPlN2at6native12_GLOBAL__N_18offset_tEEE10hipError_tPvRmT1_PNSt15iterator_traitsIS12_E10value_typeET2_T3_PNS13_IS18_E10value_typeET4_jRbjT5_S1E_jjP12ihipStream_tbEUljE_ZNSN_ISO_Lb1ESQ_SR_ST_SU_SY_EESZ_S10_S11_S12_S16_S17_S18_S1B_S1C_jS1D_jS1E_S1E_jjS1G_bEUljE0_EEESZ_S10_S11_S18_S1C_S1E_T6_T7_T9_mT8_S1G_bDpT10_ENKUlT_T0_E_clISt17integral_constantIbLb1EES1U_EEDaS1P_S1Q_EUlS1P_E_NS1_11comp_targetILNS1_3genE8ELNS1_11target_archE1030ELNS1_3gpuE2ELNS1_3repE0EEENS1_30default_config_static_selectorELNS0_4arch9wavefront6targetE1EEEvS12_.kd
    .uniform_work_group_size: 1
    .uses_dynamic_stack: false
    .vgpr_count:     0
    .vgpr_spill_count: 0
    .wavefront_size: 64
  - .agpr_count:     0
    .args:
      - .offset:         0
        .size:           176
        .value_kind:     by_value
    .group_segment_fixed_size: 0
    .kernarg_segment_align: 8
    .kernarg_segment_size: 176
    .language:       OpenCL C
    .language_version:
      - 2
      - 0
    .max_flat_workgroup_size: 256
    .name:           _ZN7rocprim17ROCPRIM_400000_NS6detail17trampoline_kernelINS0_13select_configILj256ELj13ELNS0_17block_load_methodE3ELS4_3ELS4_3ELNS0_20block_scan_algorithmE0ELj4294967295EEENS1_25partition_config_selectorILNS1_17partition_subalgoE4EjNS0_10empty_typeEbEEZZNS1_14partition_implILS8_4ELb0ES6_15HIP_vector_typeIjLj2EENS0_17counting_iteratorIjlEEPS9_SG_NS0_5tupleIJPjSI_NS0_16reverse_iteratorISI_EEEEENSH_IJSG_SG_SG_EEES9_SI_JZNS1_25segmented_radix_sort_implINS0_14default_configELb1EPKsPsPKlPlN2at6native12_GLOBAL__N_18offset_tEEE10hipError_tPvRmT1_PNSt15iterator_traitsIS12_E10value_typeET2_T3_PNS13_IS18_E10value_typeET4_jRbjT5_S1E_jjP12ihipStream_tbEUljE_ZNSN_ISO_Lb1ESQ_SR_ST_SU_SY_EESZ_S10_S11_S12_S16_S17_S18_S1B_S1C_jS1D_jS1E_S1E_jjS1G_bEUljE0_EEESZ_S10_S11_S18_S1C_S1E_T6_T7_T9_mT8_S1G_bDpT10_ENKUlT_T0_E_clISt17integral_constantIbLb1EES1T_IbLb0EEEEDaS1P_S1Q_EUlS1P_E_NS1_11comp_targetILNS1_3genE0ELNS1_11target_archE4294967295ELNS1_3gpuE0ELNS1_3repE0EEENS1_30default_config_static_selectorELNS0_4arch9wavefront6targetE1EEEvS12_
    .private_segment_fixed_size: 0
    .sgpr_count:     4
    .sgpr_spill_count: 0
    .symbol:         _ZN7rocprim17ROCPRIM_400000_NS6detail17trampoline_kernelINS0_13select_configILj256ELj13ELNS0_17block_load_methodE3ELS4_3ELS4_3ELNS0_20block_scan_algorithmE0ELj4294967295EEENS1_25partition_config_selectorILNS1_17partition_subalgoE4EjNS0_10empty_typeEbEEZZNS1_14partition_implILS8_4ELb0ES6_15HIP_vector_typeIjLj2EENS0_17counting_iteratorIjlEEPS9_SG_NS0_5tupleIJPjSI_NS0_16reverse_iteratorISI_EEEEENSH_IJSG_SG_SG_EEES9_SI_JZNS1_25segmented_radix_sort_implINS0_14default_configELb1EPKsPsPKlPlN2at6native12_GLOBAL__N_18offset_tEEE10hipError_tPvRmT1_PNSt15iterator_traitsIS12_E10value_typeET2_T3_PNS13_IS18_E10value_typeET4_jRbjT5_S1E_jjP12ihipStream_tbEUljE_ZNSN_ISO_Lb1ESQ_SR_ST_SU_SY_EESZ_S10_S11_S12_S16_S17_S18_S1B_S1C_jS1D_jS1E_S1E_jjS1G_bEUljE0_EEESZ_S10_S11_S18_S1C_S1E_T6_T7_T9_mT8_S1G_bDpT10_ENKUlT_T0_E_clISt17integral_constantIbLb1EES1T_IbLb0EEEEDaS1P_S1Q_EUlS1P_E_NS1_11comp_targetILNS1_3genE0ELNS1_11target_archE4294967295ELNS1_3gpuE0ELNS1_3repE0EEENS1_30default_config_static_selectorELNS0_4arch9wavefront6targetE1EEEvS12_.kd
    .uniform_work_group_size: 1
    .uses_dynamic_stack: false
    .vgpr_count:     0
    .vgpr_spill_count: 0
    .wavefront_size: 64
  - .agpr_count:     0
    .args:
      - .offset:         0
        .size:           176
        .value_kind:     by_value
    .group_segment_fixed_size: 0
    .kernarg_segment_align: 8
    .kernarg_segment_size: 176
    .language:       OpenCL C
    .language_version:
      - 2
      - 0
    .max_flat_workgroup_size: 256
    .name:           _ZN7rocprim17ROCPRIM_400000_NS6detail17trampoline_kernelINS0_13select_configILj256ELj13ELNS0_17block_load_methodE3ELS4_3ELS4_3ELNS0_20block_scan_algorithmE0ELj4294967295EEENS1_25partition_config_selectorILNS1_17partition_subalgoE4EjNS0_10empty_typeEbEEZZNS1_14partition_implILS8_4ELb0ES6_15HIP_vector_typeIjLj2EENS0_17counting_iteratorIjlEEPS9_SG_NS0_5tupleIJPjSI_NS0_16reverse_iteratorISI_EEEEENSH_IJSG_SG_SG_EEES9_SI_JZNS1_25segmented_radix_sort_implINS0_14default_configELb1EPKsPsPKlPlN2at6native12_GLOBAL__N_18offset_tEEE10hipError_tPvRmT1_PNSt15iterator_traitsIS12_E10value_typeET2_T3_PNS13_IS18_E10value_typeET4_jRbjT5_S1E_jjP12ihipStream_tbEUljE_ZNSN_ISO_Lb1ESQ_SR_ST_SU_SY_EESZ_S10_S11_S12_S16_S17_S18_S1B_S1C_jS1D_jS1E_S1E_jjS1G_bEUljE0_EEESZ_S10_S11_S18_S1C_S1E_T6_T7_T9_mT8_S1G_bDpT10_ENKUlT_T0_E_clISt17integral_constantIbLb1EES1T_IbLb0EEEEDaS1P_S1Q_EUlS1P_E_NS1_11comp_targetILNS1_3genE5ELNS1_11target_archE942ELNS1_3gpuE9ELNS1_3repE0EEENS1_30default_config_static_selectorELNS0_4arch9wavefront6targetE1EEEvS12_
    .private_segment_fixed_size: 0
    .sgpr_count:     4
    .sgpr_spill_count: 0
    .symbol:         _ZN7rocprim17ROCPRIM_400000_NS6detail17trampoline_kernelINS0_13select_configILj256ELj13ELNS0_17block_load_methodE3ELS4_3ELS4_3ELNS0_20block_scan_algorithmE0ELj4294967295EEENS1_25partition_config_selectorILNS1_17partition_subalgoE4EjNS0_10empty_typeEbEEZZNS1_14partition_implILS8_4ELb0ES6_15HIP_vector_typeIjLj2EENS0_17counting_iteratorIjlEEPS9_SG_NS0_5tupleIJPjSI_NS0_16reverse_iteratorISI_EEEEENSH_IJSG_SG_SG_EEES9_SI_JZNS1_25segmented_radix_sort_implINS0_14default_configELb1EPKsPsPKlPlN2at6native12_GLOBAL__N_18offset_tEEE10hipError_tPvRmT1_PNSt15iterator_traitsIS12_E10value_typeET2_T3_PNS13_IS18_E10value_typeET4_jRbjT5_S1E_jjP12ihipStream_tbEUljE_ZNSN_ISO_Lb1ESQ_SR_ST_SU_SY_EESZ_S10_S11_S12_S16_S17_S18_S1B_S1C_jS1D_jS1E_S1E_jjS1G_bEUljE0_EEESZ_S10_S11_S18_S1C_S1E_T6_T7_T9_mT8_S1G_bDpT10_ENKUlT_T0_E_clISt17integral_constantIbLb1EES1T_IbLb0EEEEDaS1P_S1Q_EUlS1P_E_NS1_11comp_targetILNS1_3genE5ELNS1_11target_archE942ELNS1_3gpuE9ELNS1_3repE0EEENS1_30default_config_static_selectorELNS0_4arch9wavefront6targetE1EEEvS12_.kd
    .uniform_work_group_size: 1
    .uses_dynamic_stack: false
    .vgpr_count:     0
    .vgpr_spill_count: 0
    .wavefront_size: 64
  - .agpr_count:     0
    .args:
      - .offset:         0
        .size:           176
        .value_kind:     by_value
    .group_segment_fixed_size: 13340
    .kernarg_segment_align: 8
    .kernarg_segment_size: 176
    .language:       OpenCL C
    .language_version:
      - 2
      - 0
    .max_flat_workgroup_size: 256
    .name:           _ZN7rocprim17ROCPRIM_400000_NS6detail17trampoline_kernelINS0_13select_configILj256ELj13ELNS0_17block_load_methodE3ELS4_3ELS4_3ELNS0_20block_scan_algorithmE0ELj4294967295EEENS1_25partition_config_selectorILNS1_17partition_subalgoE4EjNS0_10empty_typeEbEEZZNS1_14partition_implILS8_4ELb0ES6_15HIP_vector_typeIjLj2EENS0_17counting_iteratorIjlEEPS9_SG_NS0_5tupleIJPjSI_NS0_16reverse_iteratorISI_EEEEENSH_IJSG_SG_SG_EEES9_SI_JZNS1_25segmented_radix_sort_implINS0_14default_configELb1EPKsPsPKlPlN2at6native12_GLOBAL__N_18offset_tEEE10hipError_tPvRmT1_PNSt15iterator_traitsIS12_E10value_typeET2_T3_PNS13_IS18_E10value_typeET4_jRbjT5_S1E_jjP12ihipStream_tbEUljE_ZNSN_ISO_Lb1ESQ_SR_ST_SU_SY_EESZ_S10_S11_S12_S16_S17_S18_S1B_S1C_jS1D_jS1E_S1E_jjS1G_bEUljE0_EEESZ_S10_S11_S18_S1C_S1E_T6_T7_T9_mT8_S1G_bDpT10_ENKUlT_T0_E_clISt17integral_constantIbLb1EES1T_IbLb0EEEEDaS1P_S1Q_EUlS1P_E_NS1_11comp_targetILNS1_3genE4ELNS1_11target_archE910ELNS1_3gpuE8ELNS1_3repE0EEENS1_30default_config_static_selectorELNS0_4arch9wavefront6targetE1EEEvS12_
    .private_segment_fixed_size: 0
    .sgpr_count:     94
    .sgpr_spill_count: 0
    .symbol:         _ZN7rocprim17ROCPRIM_400000_NS6detail17trampoline_kernelINS0_13select_configILj256ELj13ELNS0_17block_load_methodE3ELS4_3ELS4_3ELNS0_20block_scan_algorithmE0ELj4294967295EEENS1_25partition_config_selectorILNS1_17partition_subalgoE4EjNS0_10empty_typeEbEEZZNS1_14partition_implILS8_4ELb0ES6_15HIP_vector_typeIjLj2EENS0_17counting_iteratorIjlEEPS9_SG_NS0_5tupleIJPjSI_NS0_16reverse_iteratorISI_EEEEENSH_IJSG_SG_SG_EEES9_SI_JZNS1_25segmented_radix_sort_implINS0_14default_configELb1EPKsPsPKlPlN2at6native12_GLOBAL__N_18offset_tEEE10hipError_tPvRmT1_PNSt15iterator_traitsIS12_E10value_typeET2_T3_PNS13_IS18_E10value_typeET4_jRbjT5_S1E_jjP12ihipStream_tbEUljE_ZNSN_ISO_Lb1ESQ_SR_ST_SU_SY_EESZ_S10_S11_S12_S16_S17_S18_S1B_S1C_jS1D_jS1E_S1E_jjS1G_bEUljE0_EEESZ_S10_S11_S18_S1C_S1E_T6_T7_T9_mT8_S1G_bDpT10_ENKUlT_T0_E_clISt17integral_constantIbLb1EES1T_IbLb0EEEEDaS1P_S1Q_EUlS1P_E_NS1_11comp_targetILNS1_3genE4ELNS1_11target_archE910ELNS1_3gpuE8ELNS1_3repE0EEENS1_30default_config_static_selectorELNS0_4arch9wavefront6targetE1EEEvS12_.kd
    .uniform_work_group_size: 1
    .uses_dynamic_stack: false
    .vgpr_count:     102
    .vgpr_spill_count: 0
    .wavefront_size: 64
  - .agpr_count:     0
    .args:
      - .offset:         0
        .size:           176
        .value_kind:     by_value
    .group_segment_fixed_size: 0
    .kernarg_segment_align: 8
    .kernarg_segment_size: 176
    .language:       OpenCL C
    .language_version:
      - 2
      - 0
    .max_flat_workgroup_size: 256
    .name:           _ZN7rocprim17ROCPRIM_400000_NS6detail17trampoline_kernelINS0_13select_configILj256ELj13ELNS0_17block_load_methodE3ELS4_3ELS4_3ELNS0_20block_scan_algorithmE0ELj4294967295EEENS1_25partition_config_selectorILNS1_17partition_subalgoE4EjNS0_10empty_typeEbEEZZNS1_14partition_implILS8_4ELb0ES6_15HIP_vector_typeIjLj2EENS0_17counting_iteratorIjlEEPS9_SG_NS0_5tupleIJPjSI_NS0_16reverse_iteratorISI_EEEEENSH_IJSG_SG_SG_EEES9_SI_JZNS1_25segmented_radix_sort_implINS0_14default_configELb1EPKsPsPKlPlN2at6native12_GLOBAL__N_18offset_tEEE10hipError_tPvRmT1_PNSt15iterator_traitsIS12_E10value_typeET2_T3_PNS13_IS18_E10value_typeET4_jRbjT5_S1E_jjP12ihipStream_tbEUljE_ZNSN_ISO_Lb1ESQ_SR_ST_SU_SY_EESZ_S10_S11_S12_S16_S17_S18_S1B_S1C_jS1D_jS1E_S1E_jjS1G_bEUljE0_EEESZ_S10_S11_S18_S1C_S1E_T6_T7_T9_mT8_S1G_bDpT10_ENKUlT_T0_E_clISt17integral_constantIbLb1EES1T_IbLb0EEEEDaS1P_S1Q_EUlS1P_E_NS1_11comp_targetILNS1_3genE3ELNS1_11target_archE908ELNS1_3gpuE7ELNS1_3repE0EEENS1_30default_config_static_selectorELNS0_4arch9wavefront6targetE1EEEvS12_
    .private_segment_fixed_size: 0
    .sgpr_count:     4
    .sgpr_spill_count: 0
    .symbol:         _ZN7rocprim17ROCPRIM_400000_NS6detail17trampoline_kernelINS0_13select_configILj256ELj13ELNS0_17block_load_methodE3ELS4_3ELS4_3ELNS0_20block_scan_algorithmE0ELj4294967295EEENS1_25partition_config_selectorILNS1_17partition_subalgoE4EjNS0_10empty_typeEbEEZZNS1_14partition_implILS8_4ELb0ES6_15HIP_vector_typeIjLj2EENS0_17counting_iteratorIjlEEPS9_SG_NS0_5tupleIJPjSI_NS0_16reverse_iteratorISI_EEEEENSH_IJSG_SG_SG_EEES9_SI_JZNS1_25segmented_radix_sort_implINS0_14default_configELb1EPKsPsPKlPlN2at6native12_GLOBAL__N_18offset_tEEE10hipError_tPvRmT1_PNSt15iterator_traitsIS12_E10value_typeET2_T3_PNS13_IS18_E10value_typeET4_jRbjT5_S1E_jjP12ihipStream_tbEUljE_ZNSN_ISO_Lb1ESQ_SR_ST_SU_SY_EESZ_S10_S11_S12_S16_S17_S18_S1B_S1C_jS1D_jS1E_S1E_jjS1G_bEUljE0_EEESZ_S10_S11_S18_S1C_S1E_T6_T7_T9_mT8_S1G_bDpT10_ENKUlT_T0_E_clISt17integral_constantIbLb1EES1T_IbLb0EEEEDaS1P_S1Q_EUlS1P_E_NS1_11comp_targetILNS1_3genE3ELNS1_11target_archE908ELNS1_3gpuE7ELNS1_3repE0EEENS1_30default_config_static_selectorELNS0_4arch9wavefront6targetE1EEEvS12_.kd
    .uniform_work_group_size: 1
    .uses_dynamic_stack: false
    .vgpr_count:     0
    .vgpr_spill_count: 0
    .wavefront_size: 64
  - .agpr_count:     0
    .args:
      - .offset:         0
        .size:           176
        .value_kind:     by_value
    .group_segment_fixed_size: 0
    .kernarg_segment_align: 8
    .kernarg_segment_size: 176
    .language:       OpenCL C
    .language_version:
      - 2
      - 0
    .max_flat_workgroup_size: 256
    .name:           _ZN7rocprim17ROCPRIM_400000_NS6detail17trampoline_kernelINS0_13select_configILj256ELj13ELNS0_17block_load_methodE3ELS4_3ELS4_3ELNS0_20block_scan_algorithmE0ELj4294967295EEENS1_25partition_config_selectorILNS1_17partition_subalgoE4EjNS0_10empty_typeEbEEZZNS1_14partition_implILS8_4ELb0ES6_15HIP_vector_typeIjLj2EENS0_17counting_iteratorIjlEEPS9_SG_NS0_5tupleIJPjSI_NS0_16reverse_iteratorISI_EEEEENSH_IJSG_SG_SG_EEES9_SI_JZNS1_25segmented_radix_sort_implINS0_14default_configELb1EPKsPsPKlPlN2at6native12_GLOBAL__N_18offset_tEEE10hipError_tPvRmT1_PNSt15iterator_traitsIS12_E10value_typeET2_T3_PNS13_IS18_E10value_typeET4_jRbjT5_S1E_jjP12ihipStream_tbEUljE_ZNSN_ISO_Lb1ESQ_SR_ST_SU_SY_EESZ_S10_S11_S12_S16_S17_S18_S1B_S1C_jS1D_jS1E_S1E_jjS1G_bEUljE0_EEESZ_S10_S11_S18_S1C_S1E_T6_T7_T9_mT8_S1G_bDpT10_ENKUlT_T0_E_clISt17integral_constantIbLb1EES1T_IbLb0EEEEDaS1P_S1Q_EUlS1P_E_NS1_11comp_targetILNS1_3genE2ELNS1_11target_archE906ELNS1_3gpuE6ELNS1_3repE0EEENS1_30default_config_static_selectorELNS0_4arch9wavefront6targetE1EEEvS12_
    .private_segment_fixed_size: 0
    .sgpr_count:     4
    .sgpr_spill_count: 0
    .symbol:         _ZN7rocprim17ROCPRIM_400000_NS6detail17trampoline_kernelINS0_13select_configILj256ELj13ELNS0_17block_load_methodE3ELS4_3ELS4_3ELNS0_20block_scan_algorithmE0ELj4294967295EEENS1_25partition_config_selectorILNS1_17partition_subalgoE4EjNS0_10empty_typeEbEEZZNS1_14partition_implILS8_4ELb0ES6_15HIP_vector_typeIjLj2EENS0_17counting_iteratorIjlEEPS9_SG_NS0_5tupleIJPjSI_NS0_16reverse_iteratorISI_EEEEENSH_IJSG_SG_SG_EEES9_SI_JZNS1_25segmented_radix_sort_implINS0_14default_configELb1EPKsPsPKlPlN2at6native12_GLOBAL__N_18offset_tEEE10hipError_tPvRmT1_PNSt15iterator_traitsIS12_E10value_typeET2_T3_PNS13_IS18_E10value_typeET4_jRbjT5_S1E_jjP12ihipStream_tbEUljE_ZNSN_ISO_Lb1ESQ_SR_ST_SU_SY_EESZ_S10_S11_S12_S16_S17_S18_S1B_S1C_jS1D_jS1E_S1E_jjS1G_bEUljE0_EEESZ_S10_S11_S18_S1C_S1E_T6_T7_T9_mT8_S1G_bDpT10_ENKUlT_T0_E_clISt17integral_constantIbLb1EES1T_IbLb0EEEEDaS1P_S1Q_EUlS1P_E_NS1_11comp_targetILNS1_3genE2ELNS1_11target_archE906ELNS1_3gpuE6ELNS1_3repE0EEENS1_30default_config_static_selectorELNS0_4arch9wavefront6targetE1EEEvS12_.kd
    .uniform_work_group_size: 1
    .uses_dynamic_stack: false
    .vgpr_count:     0
    .vgpr_spill_count: 0
    .wavefront_size: 64
  - .agpr_count:     0
    .args:
      - .offset:         0
        .size:           176
        .value_kind:     by_value
    .group_segment_fixed_size: 0
    .kernarg_segment_align: 8
    .kernarg_segment_size: 176
    .language:       OpenCL C
    .language_version:
      - 2
      - 0
    .max_flat_workgroup_size: 256
    .name:           _ZN7rocprim17ROCPRIM_400000_NS6detail17trampoline_kernelINS0_13select_configILj256ELj13ELNS0_17block_load_methodE3ELS4_3ELS4_3ELNS0_20block_scan_algorithmE0ELj4294967295EEENS1_25partition_config_selectorILNS1_17partition_subalgoE4EjNS0_10empty_typeEbEEZZNS1_14partition_implILS8_4ELb0ES6_15HIP_vector_typeIjLj2EENS0_17counting_iteratorIjlEEPS9_SG_NS0_5tupleIJPjSI_NS0_16reverse_iteratorISI_EEEEENSH_IJSG_SG_SG_EEES9_SI_JZNS1_25segmented_radix_sort_implINS0_14default_configELb1EPKsPsPKlPlN2at6native12_GLOBAL__N_18offset_tEEE10hipError_tPvRmT1_PNSt15iterator_traitsIS12_E10value_typeET2_T3_PNS13_IS18_E10value_typeET4_jRbjT5_S1E_jjP12ihipStream_tbEUljE_ZNSN_ISO_Lb1ESQ_SR_ST_SU_SY_EESZ_S10_S11_S12_S16_S17_S18_S1B_S1C_jS1D_jS1E_S1E_jjS1G_bEUljE0_EEESZ_S10_S11_S18_S1C_S1E_T6_T7_T9_mT8_S1G_bDpT10_ENKUlT_T0_E_clISt17integral_constantIbLb1EES1T_IbLb0EEEEDaS1P_S1Q_EUlS1P_E_NS1_11comp_targetILNS1_3genE10ELNS1_11target_archE1200ELNS1_3gpuE4ELNS1_3repE0EEENS1_30default_config_static_selectorELNS0_4arch9wavefront6targetE1EEEvS12_
    .private_segment_fixed_size: 0
    .sgpr_count:     4
    .sgpr_spill_count: 0
    .symbol:         _ZN7rocprim17ROCPRIM_400000_NS6detail17trampoline_kernelINS0_13select_configILj256ELj13ELNS0_17block_load_methodE3ELS4_3ELS4_3ELNS0_20block_scan_algorithmE0ELj4294967295EEENS1_25partition_config_selectorILNS1_17partition_subalgoE4EjNS0_10empty_typeEbEEZZNS1_14partition_implILS8_4ELb0ES6_15HIP_vector_typeIjLj2EENS0_17counting_iteratorIjlEEPS9_SG_NS0_5tupleIJPjSI_NS0_16reverse_iteratorISI_EEEEENSH_IJSG_SG_SG_EEES9_SI_JZNS1_25segmented_radix_sort_implINS0_14default_configELb1EPKsPsPKlPlN2at6native12_GLOBAL__N_18offset_tEEE10hipError_tPvRmT1_PNSt15iterator_traitsIS12_E10value_typeET2_T3_PNS13_IS18_E10value_typeET4_jRbjT5_S1E_jjP12ihipStream_tbEUljE_ZNSN_ISO_Lb1ESQ_SR_ST_SU_SY_EESZ_S10_S11_S12_S16_S17_S18_S1B_S1C_jS1D_jS1E_S1E_jjS1G_bEUljE0_EEESZ_S10_S11_S18_S1C_S1E_T6_T7_T9_mT8_S1G_bDpT10_ENKUlT_T0_E_clISt17integral_constantIbLb1EES1T_IbLb0EEEEDaS1P_S1Q_EUlS1P_E_NS1_11comp_targetILNS1_3genE10ELNS1_11target_archE1200ELNS1_3gpuE4ELNS1_3repE0EEENS1_30default_config_static_selectorELNS0_4arch9wavefront6targetE1EEEvS12_.kd
    .uniform_work_group_size: 1
    .uses_dynamic_stack: false
    .vgpr_count:     0
    .vgpr_spill_count: 0
    .wavefront_size: 64
  - .agpr_count:     0
    .args:
      - .offset:         0
        .size:           176
        .value_kind:     by_value
    .group_segment_fixed_size: 0
    .kernarg_segment_align: 8
    .kernarg_segment_size: 176
    .language:       OpenCL C
    .language_version:
      - 2
      - 0
    .max_flat_workgroup_size: 256
    .name:           _ZN7rocprim17ROCPRIM_400000_NS6detail17trampoline_kernelINS0_13select_configILj256ELj13ELNS0_17block_load_methodE3ELS4_3ELS4_3ELNS0_20block_scan_algorithmE0ELj4294967295EEENS1_25partition_config_selectorILNS1_17partition_subalgoE4EjNS0_10empty_typeEbEEZZNS1_14partition_implILS8_4ELb0ES6_15HIP_vector_typeIjLj2EENS0_17counting_iteratorIjlEEPS9_SG_NS0_5tupleIJPjSI_NS0_16reverse_iteratorISI_EEEEENSH_IJSG_SG_SG_EEES9_SI_JZNS1_25segmented_radix_sort_implINS0_14default_configELb1EPKsPsPKlPlN2at6native12_GLOBAL__N_18offset_tEEE10hipError_tPvRmT1_PNSt15iterator_traitsIS12_E10value_typeET2_T3_PNS13_IS18_E10value_typeET4_jRbjT5_S1E_jjP12ihipStream_tbEUljE_ZNSN_ISO_Lb1ESQ_SR_ST_SU_SY_EESZ_S10_S11_S12_S16_S17_S18_S1B_S1C_jS1D_jS1E_S1E_jjS1G_bEUljE0_EEESZ_S10_S11_S18_S1C_S1E_T6_T7_T9_mT8_S1G_bDpT10_ENKUlT_T0_E_clISt17integral_constantIbLb1EES1T_IbLb0EEEEDaS1P_S1Q_EUlS1P_E_NS1_11comp_targetILNS1_3genE9ELNS1_11target_archE1100ELNS1_3gpuE3ELNS1_3repE0EEENS1_30default_config_static_selectorELNS0_4arch9wavefront6targetE1EEEvS12_
    .private_segment_fixed_size: 0
    .sgpr_count:     4
    .sgpr_spill_count: 0
    .symbol:         _ZN7rocprim17ROCPRIM_400000_NS6detail17trampoline_kernelINS0_13select_configILj256ELj13ELNS0_17block_load_methodE3ELS4_3ELS4_3ELNS0_20block_scan_algorithmE0ELj4294967295EEENS1_25partition_config_selectorILNS1_17partition_subalgoE4EjNS0_10empty_typeEbEEZZNS1_14partition_implILS8_4ELb0ES6_15HIP_vector_typeIjLj2EENS0_17counting_iteratorIjlEEPS9_SG_NS0_5tupleIJPjSI_NS0_16reverse_iteratorISI_EEEEENSH_IJSG_SG_SG_EEES9_SI_JZNS1_25segmented_radix_sort_implINS0_14default_configELb1EPKsPsPKlPlN2at6native12_GLOBAL__N_18offset_tEEE10hipError_tPvRmT1_PNSt15iterator_traitsIS12_E10value_typeET2_T3_PNS13_IS18_E10value_typeET4_jRbjT5_S1E_jjP12ihipStream_tbEUljE_ZNSN_ISO_Lb1ESQ_SR_ST_SU_SY_EESZ_S10_S11_S12_S16_S17_S18_S1B_S1C_jS1D_jS1E_S1E_jjS1G_bEUljE0_EEESZ_S10_S11_S18_S1C_S1E_T6_T7_T9_mT8_S1G_bDpT10_ENKUlT_T0_E_clISt17integral_constantIbLb1EES1T_IbLb0EEEEDaS1P_S1Q_EUlS1P_E_NS1_11comp_targetILNS1_3genE9ELNS1_11target_archE1100ELNS1_3gpuE3ELNS1_3repE0EEENS1_30default_config_static_selectorELNS0_4arch9wavefront6targetE1EEEvS12_.kd
    .uniform_work_group_size: 1
    .uses_dynamic_stack: false
    .vgpr_count:     0
    .vgpr_spill_count: 0
    .wavefront_size: 64
  - .agpr_count:     0
    .args:
      - .offset:         0
        .size:           176
        .value_kind:     by_value
    .group_segment_fixed_size: 0
    .kernarg_segment_align: 8
    .kernarg_segment_size: 176
    .language:       OpenCL C
    .language_version:
      - 2
      - 0
    .max_flat_workgroup_size: 256
    .name:           _ZN7rocprim17ROCPRIM_400000_NS6detail17trampoline_kernelINS0_13select_configILj256ELj13ELNS0_17block_load_methodE3ELS4_3ELS4_3ELNS0_20block_scan_algorithmE0ELj4294967295EEENS1_25partition_config_selectorILNS1_17partition_subalgoE4EjNS0_10empty_typeEbEEZZNS1_14partition_implILS8_4ELb0ES6_15HIP_vector_typeIjLj2EENS0_17counting_iteratorIjlEEPS9_SG_NS0_5tupleIJPjSI_NS0_16reverse_iteratorISI_EEEEENSH_IJSG_SG_SG_EEES9_SI_JZNS1_25segmented_radix_sort_implINS0_14default_configELb1EPKsPsPKlPlN2at6native12_GLOBAL__N_18offset_tEEE10hipError_tPvRmT1_PNSt15iterator_traitsIS12_E10value_typeET2_T3_PNS13_IS18_E10value_typeET4_jRbjT5_S1E_jjP12ihipStream_tbEUljE_ZNSN_ISO_Lb1ESQ_SR_ST_SU_SY_EESZ_S10_S11_S12_S16_S17_S18_S1B_S1C_jS1D_jS1E_S1E_jjS1G_bEUljE0_EEESZ_S10_S11_S18_S1C_S1E_T6_T7_T9_mT8_S1G_bDpT10_ENKUlT_T0_E_clISt17integral_constantIbLb1EES1T_IbLb0EEEEDaS1P_S1Q_EUlS1P_E_NS1_11comp_targetILNS1_3genE8ELNS1_11target_archE1030ELNS1_3gpuE2ELNS1_3repE0EEENS1_30default_config_static_selectorELNS0_4arch9wavefront6targetE1EEEvS12_
    .private_segment_fixed_size: 0
    .sgpr_count:     4
    .sgpr_spill_count: 0
    .symbol:         _ZN7rocprim17ROCPRIM_400000_NS6detail17trampoline_kernelINS0_13select_configILj256ELj13ELNS0_17block_load_methodE3ELS4_3ELS4_3ELNS0_20block_scan_algorithmE0ELj4294967295EEENS1_25partition_config_selectorILNS1_17partition_subalgoE4EjNS0_10empty_typeEbEEZZNS1_14partition_implILS8_4ELb0ES6_15HIP_vector_typeIjLj2EENS0_17counting_iteratorIjlEEPS9_SG_NS0_5tupleIJPjSI_NS0_16reverse_iteratorISI_EEEEENSH_IJSG_SG_SG_EEES9_SI_JZNS1_25segmented_radix_sort_implINS0_14default_configELb1EPKsPsPKlPlN2at6native12_GLOBAL__N_18offset_tEEE10hipError_tPvRmT1_PNSt15iterator_traitsIS12_E10value_typeET2_T3_PNS13_IS18_E10value_typeET4_jRbjT5_S1E_jjP12ihipStream_tbEUljE_ZNSN_ISO_Lb1ESQ_SR_ST_SU_SY_EESZ_S10_S11_S12_S16_S17_S18_S1B_S1C_jS1D_jS1E_S1E_jjS1G_bEUljE0_EEESZ_S10_S11_S18_S1C_S1E_T6_T7_T9_mT8_S1G_bDpT10_ENKUlT_T0_E_clISt17integral_constantIbLb1EES1T_IbLb0EEEEDaS1P_S1Q_EUlS1P_E_NS1_11comp_targetILNS1_3genE8ELNS1_11target_archE1030ELNS1_3gpuE2ELNS1_3repE0EEENS1_30default_config_static_selectorELNS0_4arch9wavefront6targetE1EEEvS12_.kd
    .uniform_work_group_size: 1
    .uses_dynamic_stack: false
    .vgpr_count:     0
    .vgpr_spill_count: 0
    .wavefront_size: 64
  - .agpr_count:     0
    .args:
      - .offset:         0
        .size:           184
        .value_kind:     by_value
    .group_segment_fixed_size: 0
    .kernarg_segment_align: 8
    .kernarg_segment_size: 184
    .language:       OpenCL C
    .language_version:
      - 2
      - 0
    .max_flat_workgroup_size: 256
    .name:           _ZN7rocprim17ROCPRIM_400000_NS6detail17trampoline_kernelINS0_13select_configILj256ELj13ELNS0_17block_load_methodE3ELS4_3ELS4_3ELNS0_20block_scan_algorithmE0ELj4294967295EEENS1_25partition_config_selectorILNS1_17partition_subalgoE4EjNS0_10empty_typeEbEEZZNS1_14partition_implILS8_4ELb0ES6_15HIP_vector_typeIjLj2EENS0_17counting_iteratorIjlEEPS9_SG_NS0_5tupleIJPjSI_NS0_16reverse_iteratorISI_EEEEENSH_IJSG_SG_SG_EEES9_SI_JZNS1_25segmented_radix_sort_implINS0_14default_configELb1EPKsPsPKlPlN2at6native12_GLOBAL__N_18offset_tEEE10hipError_tPvRmT1_PNSt15iterator_traitsIS12_E10value_typeET2_T3_PNS13_IS18_E10value_typeET4_jRbjT5_S1E_jjP12ihipStream_tbEUljE_ZNSN_ISO_Lb1ESQ_SR_ST_SU_SY_EESZ_S10_S11_S12_S16_S17_S18_S1B_S1C_jS1D_jS1E_S1E_jjS1G_bEUljE0_EEESZ_S10_S11_S18_S1C_S1E_T6_T7_T9_mT8_S1G_bDpT10_ENKUlT_T0_E_clISt17integral_constantIbLb0EES1T_IbLb1EEEEDaS1P_S1Q_EUlS1P_E_NS1_11comp_targetILNS1_3genE0ELNS1_11target_archE4294967295ELNS1_3gpuE0ELNS1_3repE0EEENS1_30default_config_static_selectorELNS0_4arch9wavefront6targetE1EEEvS12_
    .private_segment_fixed_size: 0
    .sgpr_count:     4
    .sgpr_spill_count: 0
    .symbol:         _ZN7rocprim17ROCPRIM_400000_NS6detail17trampoline_kernelINS0_13select_configILj256ELj13ELNS0_17block_load_methodE3ELS4_3ELS4_3ELNS0_20block_scan_algorithmE0ELj4294967295EEENS1_25partition_config_selectorILNS1_17partition_subalgoE4EjNS0_10empty_typeEbEEZZNS1_14partition_implILS8_4ELb0ES6_15HIP_vector_typeIjLj2EENS0_17counting_iteratorIjlEEPS9_SG_NS0_5tupleIJPjSI_NS0_16reverse_iteratorISI_EEEEENSH_IJSG_SG_SG_EEES9_SI_JZNS1_25segmented_radix_sort_implINS0_14default_configELb1EPKsPsPKlPlN2at6native12_GLOBAL__N_18offset_tEEE10hipError_tPvRmT1_PNSt15iterator_traitsIS12_E10value_typeET2_T3_PNS13_IS18_E10value_typeET4_jRbjT5_S1E_jjP12ihipStream_tbEUljE_ZNSN_ISO_Lb1ESQ_SR_ST_SU_SY_EESZ_S10_S11_S12_S16_S17_S18_S1B_S1C_jS1D_jS1E_S1E_jjS1G_bEUljE0_EEESZ_S10_S11_S18_S1C_S1E_T6_T7_T9_mT8_S1G_bDpT10_ENKUlT_T0_E_clISt17integral_constantIbLb0EES1T_IbLb1EEEEDaS1P_S1Q_EUlS1P_E_NS1_11comp_targetILNS1_3genE0ELNS1_11target_archE4294967295ELNS1_3gpuE0ELNS1_3repE0EEENS1_30default_config_static_selectorELNS0_4arch9wavefront6targetE1EEEvS12_.kd
    .uniform_work_group_size: 1
    .uses_dynamic_stack: false
    .vgpr_count:     0
    .vgpr_spill_count: 0
    .wavefront_size: 64
  - .agpr_count:     0
    .args:
      - .offset:         0
        .size:           184
        .value_kind:     by_value
    .group_segment_fixed_size: 0
    .kernarg_segment_align: 8
    .kernarg_segment_size: 184
    .language:       OpenCL C
    .language_version:
      - 2
      - 0
    .max_flat_workgroup_size: 256
    .name:           _ZN7rocprim17ROCPRIM_400000_NS6detail17trampoline_kernelINS0_13select_configILj256ELj13ELNS0_17block_load_methodE3ELS4_3ELS4_3ELNS0_20block_scan_algorithmE0ELj4294967295EEENS1_25partition_config_selectorILNS1_17partition_subalgoE4EjNS0_10empty_typeEbEEZZNS1_14partition_implILS8_4ELb0ES6_15HIP_vector_typeIjLj2EENS0_17counting_iteratorIjlEEPS9_SG_NS0_5tupleIJPjSI_NS0_16reverse_iteratorISI_EEEEENSH_IJSG_SG_SG_EEES9_SI_JZNS1_25segmented_radix_sort_implINS0_14default_configELb1EPKsPsPKlPlN2at6native12_GLOBAL__N_18offset_tEEE10hipError_tPvRmT1_PNSt15iterator_traitsIS12_E10value_typeET2_T3_PNS13_IS18_E10value_typeET4_jRbjT5_S1E_jjP12ihipStream_tbEUljE_ZNSN_ISO_Lb1ESQ_SR_ST_SU_SY_EESZ_S10_S11_S12_S16_S17_S18_S1B_S1C_jS1D_jS1E_S1E_jjS1G_bEUljE0_EEESZ_S10_S11_S18_S1C_S1E_T6_T7_T9_mT8_S1G_bDpT10_ENKUlT_T0_E_clISt17integral_constantIbLb0EES1T_IbLb1EEEEDaS1P_S1Q_EUlS1P_E_NS1_11comp_targetILNS1_3genE5ELNS1_11target_archE942ELNS1_3gpuE9ELNS1_3repE0EEENS1_30default_config_static_selectorELNS0_4arch9wavefront6targetE1EEEvS12_
    .private_segment_fixed_size: 0
    .sgpr_count:     4
    .sgpr_spill_count: 0
    .symbol:         _ZN7rocprim17ROCPRIM_400000_NS6detail17trampoline_kernelINS0_13select_configILj256ELj13ELNS0_17block_load_methodE3ELS4_3ELS4_3ELNS0_20block_scan_algorithmE0ELj4294967295EEENS1_25partition_config_selectorILNS1_17partition_subalgoE4EjNS0_10empty_typeEbEEZZNS1_14partition_implILS8_4ELb0ES6_15HIP_vector_typeIjLj2EENS0_17counting_iteratorIjlEEPS9_SG_NS0_5tupleIJPjSI_NS0_16reverse_iteratorISI_EEEEENSH_IJSG_SG_SG_EEES9_SI_JZNS1_25segmented_radix_sort_implINS0_14default_configELb1EPKsPsPKlPlN2at6native12_GLOBAL__N_18offset_tEEE10hipError_tPvRmT1_PNSt15iterator_traitsIS12_E10value_typeET2_T3_PNS13_IS18_E10value_typeET4_jRbjT5_S1E_jjP12ihipStream_tbEUljE_ZNSN_ISO_Lb1ESQ_SR_ST_SU_SY_EESZ_S10_S11_S12_S16_S17_S18_S1B_S1C_jS1D_jS1E_S1E_jjS1G_bEUljE0_EEESZ_S10_S11_S18_S1C_S1E_T6_T7_T9_mT8_S1G_bDpT10_ENKUlT_T0_E_clISt17integral_constantIbLb0EES1T_IbLb1EEEEDaS1P_S1Q_EUlS1P_E_NS1_11comp_targetILNS1_3genE5ELNS1_11target_archE942ELNS1_3gpuE9ELNS1_3repE0EEENS1_30default_config_static_selectorELNS0_4arch9wavefront6targetE1EEEvS12_.kd
    .uniform_work_group_size: 1
    .uses_dynamic_stack: false
    .vgpr_count:     0
    .vgpr_spill_count: 0
    .wavefront_size: 64
  - .agpr_count:     0
    .args:
      - .offset:         0
        .size:           184
        .value_kind:     by_value
    .group_segment_fixed_size: 13340
    .kernarg_segment_align: 8
    .kernarg_segment_size: 184
    .language:       OpenCL C
    .language_version:
      - 2
      - 0
    .max_flat_workgroup_size: 256
    .name:           _ZN7rocprim17ROCPRIM_400000_NS6detail17trampoline_kernelINS0_13select_configILj256ELj13ELNS0_17block_load_methodE3ELS4_3ELS4_3ELNS0_20block_scan_algorithmE0ELj4294967295EEENS1_25partition_config_selectorILNS1_17partition_subalgoE4EjNS0_10empty_typeEbEEZZNS1_14partition_implILS8_4ELb0ES6_15HIP_vector_typeIjLj2EENS0_17counting_iteratorIjlEEPS9_SG_NS0_5tupleIJPjSI_NS0_16reverse_iteratorISI_EEEEENSH_IJSG_SG_SG_EEES9_SI_JZNS1_25segmented_radix_sort_implINS0_14default_configELb1EPKsPsPKlPlN2at6native12_GLOBAL__N_18offset_tEEE10hipError_tPvRmT1_PNSt15iterator_traitsIS12_E10value_typeET2_T3_PNS13_IS18_E10value_typeET4_jRbjT5_S1E_jjP12ihipStream_tbEUljE_ZNSN_ISO_Lb1ESQ_SR_ST_SU_SY_EESZ_S10_S11_S12_S16_S17_S18_S1B_S1C_jS1D_jS1E_S1E_jjS1G_bEUljE0_EEESZ_S10_S11_S18_S1C_S1E_T6_T7_T9_mT8_S1G_bDpT10_ENKUlT_T0_E_clISt17integral_constantIbLb0EES1T_IbLb1EEEEDaS1P_S1Q_EUlS1P_E_NS1_11comp_targetILNS1_3genE4ELNS1_11target_archE910ELNS1_3gpuE8ELNS1_3repE0EEENS1_30default_config_static_selectorELNS0_4arch9wavefront6targetE1EEEvS12_
    .private_segment_fixed_size: 0
    .sgpr_count:     91
    .sgpr_spill_count: 0
    .symbol:         _ZN7rocprim17ROCPRIM_400000_NS6detail17trampoline_kernelINS0_13select_configILj256ELj13ELNS0_17block_load_methodE3ELS4_3ELS4_3ELNS0_20block_scan_algorithmE0ELj4294967295EEENS1_25partition_config_selectorILNS1_17partition_subalgoE4EjNS0_10empty_typeEbEEZZNS1_14partition_implILS8_4ELb0ES6_15HIP_vector_typeIjLj2EENS0_17counting_iteratorIjlEEPS9_SG_NS0_5tupleIJPjSI_NS0_16reverse_iteratorISI_EEEEENSH_IJSG_SG_SG_EEES9_SI_JZNS1_25segmented_radix_sort_implINS0_14default_configELb1EPKsPsPKlPlN2at6native12_GLOBAL__N_18offset_tEEE10hipError_tPvRmT1_PNSt15iterator_traitsIS12_E10value_typeET2_T3_PNS13_IS18_E10value_typeET4_jRbjT5_S1E_jjP12ihipStream_tbEUljE_ZNSN_ISO_Lb1ESQ_SR_ST_SU_SY_EESZ_S10_S11_S12_S16_S17_S18_S1B_S1C_jS1D_jS1E_S1E_jjS1G_bEUljE0_EEESZ_S10_S11_S18_S1C_S1E_T6_T7_T9_mT8_S1G_bDpT10_ENKUlT_T0_E_clISt17integral_constantIbLb0EES1T_IbLb1EEEEDaS1P_S1Q_EUlS1P_E_NS1_11comp_targetILNS1_3genE4ELNS1_11target_archE910ELNS1_3gpuE8ELNS1_3repE0EEENS1_30default_config_static_selectorELNS0_4arch9wavefront6targetE1EEEvS12_.kd
    .uniform_work_group_size: 1
    .uses_dynamic_stack: false
    .vgpr_count:     107
    .vgpr_spill_count: 0
    .wavefront_size: 64
  - .agpr_count:     0
    .args:
      - .offset:         0
        .size:           184
        .value_kind:     by_value
    .group_segment_fixed_size: 0
    .kernarg_segment_align: 8
    .kernarg_segment_size: 184
    .language:       OpenCL C
    .language_version:
      - 2
      - 0
    .max_flat_workgroup_size: 256
    .name:           _ZN7rocprim17ROCPRIM_400000_NS6detail17trampoline_kernelINS0_13select_configILj256ELj13ELNS0_17block_load_methodE3ELS4_3ELS4_3ELNS0_20block_scan_algorithmE0ELj4294967295EEENS1_25partition_config_selectorILNS1_17partition_subalgoE4EjNS0_10empty_typeEbEEZZNS1_14partition_implILS8_4ELb0ES6_15HIP_vector_typeIjLj2EENS0_17counting_iteratorIjlEEPS9_SG_NS0_5tupleIJPjSI_NS0_16reverse_iteratorISI_EEEEENSH_IJSG_SG_SG_EEES9_SI_JZNS1_25segmented_radix_sort_implINS0_14default_configELb1EPKsPsPKlPlN2at6native12_GLOBAL__N_18offset_tEEE10hipError_tPvRmT1_PNSt15iterator_traitsIS12_E10value_typeET2_T3_PNS13_IS18_E10value_typeET4_jRbjT5_S1E_jjP12ihipStream_tbEUljE_ZNSN_ISO_Lb1ESQ_SR_ST_SU_SY_EESZ_S10_S11_S12_S16_S17_S18_S1B_S1C_jS1D_jS1E_S1E_jjS1G_bEUljE0_EEESZ_S10_S11_S18_S1C_S1E_T6_T7_T9_mT8_S1G_bDpT10_ENKUlT_T0_E_clISt17integral_constantIbLb0EES1T_IbLb1EEEEDaS1P_S1Q_EUlS1P_E_NS1_11comp_targetILNS1_3genE3ELNS1_11target_archE908ELNS1_3gpuE7ELNS1_3repE0EEENS1_30default_config_static_selectorELNS0_4arch9wavefront6targetE1EEEvS12_
    .private_segment_fixed_size: 0
    .sgpr_count:     4
    .sgpr_spill_count: 0
    .symbol:         _ZN7rocprim17ROCPRIM_400000_NS6detail17trampoline_kernelINS0_13select_configILj256ELj13ELNS0_17block_load_methodE3ELS4_3ELS4_3ELNS0_20block_scan_algorithmE0ELj4294967295EEENS1_25partition_config_selectorILNS1_17partition_subalgoE4EjNS0_10empty_typeEbEEZZNS1_14partition_implILS8_4ELb0ES6_15HIP_vector_typeIjLj2EENS0_17counting_iteratorIjlEEPS9_SG_NS0_5tupleIJPjSI_NS0_16reverse_iteratorISI_EEEEENSH_IJSG_SG_SG_EEES9_SI_JZNS1_25segmented_radix_sort_implINS0_14default_configELb1EPKsPsPKlPlN2at6native12_GLOBAL__N_18offset_tEEE10hipError_tPvRmT1_PNSt15iterator_traitsIS12_E10value_typeET2_T3_PNS13_IS18_E10value_typeET4_jRbjT5_S1E_jjP12ihipStream_tbEUljE_ZNSN_ISO_Lb1ESQ_SR_ST_SU_SY_EESZ_S10_S11_S12_S16_S17_S18_S1B_S1C_jS1D_jS1E_S1E_jjS1G_bEUljE0_EEESZ_S10_S11_S18_S1C_S1E_T6_T7_T9_mT8_S1G_bDpT10_ENKUlT_T0_E_clISt17integral_constantIbLb0EES1T_IbLb1EEEEDaS1P_S1Q_EUlS1P_E_NS1_11comp_targetILNS1_3genE3ELNS1_11target_archE908ELNS1_3gpuE7ELNS1_3repE0EEENS1_30default_config_static_selectorELNS0_4arch9wavefront6targetE1EEEvS12_.kd
    .uniform_work_group_size: 1
    .uses_dynamic_stack: false
    .vgpr_count:     0
    .vgpr_spill_count: 0
    .wavefront_size: 64
  - .agpr_count:     0
    .args:
      - .offset:         0
        .size:           184
        .value_kind:     by_value
    .group_segment_fixed_size: 0
    .kernarg_segment_align: 8
    .kernarg_segment_size: 184
    .language:       OpenCL C
    .language_version:
      - 2
      - 0
    .max_flat_workgroup_size: 256
    .name:           _ZN7rocprim17ROCPRIM_400000_NS6detail17trampoline_kernelINS0_13select_configILj256ELj13ELNS0_17block_load_methodE3ELS4_3ELS4_3ELNS0_20block_scan_algorithmE0ELj4294967295EEENS1_25partition_config_selectorILNS1_17partition_subalgoE4EjNS0_10empty_typeEbEEZZNS1_14partition_implILS8_4ELb0ES6_15HIP_vector_typeIjLj2EENS0_17counting_iteratorIjlEEPS9_SG_NS0_5tupleIJPjSI_NS0_16reverse_iteratorISI_EEEEENSH_IJSG_SG_SG_EEES9_SI_JZNS1_25segmented_radix_sort_implINS0_14default_configELb1EPKsPsPKlPlN2at6native12_GLOBAL__N_18offset_tEEE10hipError_tPvRmT1_PNSt15iterator_traitsIS12_E10value_typeET2_T3_PNS13_IS18_E10value_typeET4_jRbjT5_S1E_jjP12ihipStream_tbEUljE_ZNSN_ISO_Lb1ESQ_SR_ST_SU_SY_EESZ_S10_S11_S12_S16_S17_S18_S1B_S1C_jS1D_jS1E_S1E_jjS1G_bEUljE0_EEESZ_S10_S11_S18_S1C_S1E_T6_T7_T9_mT8_S1G_bDpT10_ENKUlT_T0_E_clISt17integral_constantIbLb0EES1T_IbLb1EEEEDaS1P_S1Q_EUlS1P_E_NS1_11comp_targetILNS1_3genE2ELNS1_11target_archE906ELNS1_3gpuE6ELNS1_3repE0EEENS1_30default_config_static_selectorELNS0_4arch9wavefront6targetE1EEEvS12_
    .private_segment_fixed_size: 0
    .sgpr_count:     4
    .sgpr_spill_count: 0
    .symbol:         _ZN7rocprim17ROCPRIM_400000_NS6detail17trampoline_kernelINS0_13select_configILj256ELj13ELNS0_17block_load_methodE3ELS4_3ELS4_3ELNS0_20block_scan_algorithmE0ELj4294967295EEENS1_25partition_config_selectorILNS1_17partition_subalgoE4EjNS0_10empty_typeEbEEZZNS1_14partition_implILS8_4ELb0ES6_15HIP_vector_typeIjLj2EENS0_17counting_iteratorIjlEEPS9_SG_NS0_5tupleIJPjSI_NS0_16reverse_iteratorISI_EEEEENSH_IJSG_SG_SG_EEES9_SI_JZNS1_25segmented_radix_sort_implINS0_14default_configELb1EPKsPsPKlPlN2at6native12_GLOBAL__N_18offset_tEEE10hipError_tPvRmT1_PNSt15iterator_traitsIS12_E10value_typeET2_T3_PNS13_IS18_E10value_typeET4_jRbjT5_S1E_jjP12ihipStream_tbEUljE_ZNSN_ISO_Lb1ESQ_SR_ST_SU_SY_EESZ_S10_S11_S12_S16_S17_S18_S1B_S1C_jS1D_jS1E_S1E_jjS1G_bEUljE0_EEESZ_S10_S11_S18_S1C_S1E_T6_T7_T9_mT8_S1G_bDpT10_ENKUlT_T0_E_clISt17integral_constantIbLb0EES1T_IbLb1EEEEDaS1P_S1Q_EUlS1P_E_NS1_11comp_targetILNS1_3genE2ELNS1_11target_archE906ELNS1_3gpuE6ELNS1_3repE0EEENS1_30default_config_static_selectorELNS0_4arch9wavefront6targetE1EEEvS12_.kd
    .uniform_work_group_size: 1
    .uses_dynamic_stack: false
    .vgpr_count:     0
    .vgpr_spill_count: 0
    .wavefront_size: 64
  - .agpr_count:     0
    .args:
      - .offset:         0
        .size:           184
        .value_kind:     by_value
    .group_segment_fixed_size: 0
    .kernarg_segment_align: 8
    .kernarg_segment_size: 184
    .language:       OpenCL C
    .language_version:
      - 2
      - 0
    .max_flat_workgroup_size: 256
    .name:           _ZN7rocprim17ROCPRIM_400000_NS6detail17trampoline_kernelINS0_13select_configILj256ELj13ELNS0_17block_load_methodE3ELS4_3ELS4_3ELNS0_20block_scan_algorithmE0ELj4294967295EEENS1_25partition_config_selectorILNS1_17partition_subalgoE4EjNS0_10empty_typeEbEEZZNS1_14partition_implILS8_4ELb0ES6_15HIP_vector_typeIjLj2EENS0_17counting_iteratorIjlEEPS9_SG_NS0_5tupleIJPjSI_NS0_16reverse_iteratorISI_EEEEENSH_IJSG_SG_SG_EEES9_SI_JZNS1_25segmented_radix_sort_implINS0_14default_configELb1EPKsPsPKlPlN2at6native12_GLOBAL__N_18offset_tEEE10hipError_tPvRmT1_PNSt15iterator_traitsIS12_E10value_typeET2_T3_PNS13_IS18_E10value_typeET4_jRbjT5_S1E_jjP12ihipStream_tbEUljE_ZNSN_ISO_Lb1ESQ_SR_ST_SU_SY_EESZ_S10_S11_S12_S16_S17_S18_S1B_S1C_jS1D_jS1E_S1E_jjS1G_bEUljE0_EEESZ_S10_S11_S18_S1C_S1E_T6_T7_T9_mT8_S1G_bDpT10_ENKUlT_T0_E_clISt17integral_constantIbLb0EES1T_IbLb1EEEEDaS1P_S1Q_EUlS1P_E_NS1_11comp_targetILNS1_3genE10ELNS1_11target_archE1200ELNS1_3gpuE4ELNS1_3repE0EEENS1_30default_config_static_selectorELNS0_4arch9wavefront6targetE1EEEvS12_
    .private_segment_fixed_size: 0
    .sgpr_count:     4
    .sgpr_spill_count: 0
    .symbol:         _ZN7rocprim17ROCPRIM_400000_NS6detail17trampoline_kernelINS0_13select_configILj256ELj13ELNS0_17block_load_methodE3ELS4_3ELS4_3ELNS0_20block_scan_algorithmE0ELj4294967295EEENS1_25partition_config_selectorILNS1_17partition_subalgoE4EjNS0_10empty_typeEbEEZZNS1_14partition_implILS8_4ELb0ES6_15HIP_vector_typeIjLj2EENS0_17counting_iteratorIjlEEPS9_SG_NS0_5tupleIJPjSI_NS0_16reverse_iteratorISI_EEEEENSH_IJSG_SG_SG_EEES9_SI_JZNS1_25segmented_radix_sort_implINS0_14default_configELb1EPKsPsPKlPlN2at6native12_GLOBAL__N_18offset_tEEE10hipError_tPvRmT1_PNSt15iterator_traitsIS12_E10value_typeET2_T3_PNS13_IS18_E10value_typeET4_jRbjT5_S1E_jjP12ihipStream_tbEUljE_ZNSN_ISO_Lb1ESQ_SR_ST_SU_SY_EESZ_S10_S11_S12_S16_S17_S18_S1B_S1C_jS1D_jS1E_S1E_jjS1G_bEUljE0_EEESZ_S10_S11_S18_S1C_S1E_T6_T7_T9_mT8_S1G_bDpT10_ENKUlT_T0_E_clISt17integral_constantIbLb0EES1T_IbLb1EEEEDaS1P_S1Q_EUlS1P_E_NS1_11comp_targetILNS1_3genE10ELNS1_11target_archE1200ELNS1_3gpuE4ELNS1_3repE0EEENS1_30default_config_static_selectorELNS0_4arch9wavefront6targetE1EEEvS12_.kd
    .uniform_work_group_size: 1
    .uses_dynamic_stack: false
    .vgpr_count:     0
    .vgpr_spill_count: 0
    .wavefront_size: 64
  - .agpr_count:     0
    .args:
      - .offset:         0
        .size:           184
        .value_kind:     by_value
    .group_segment_fixed_size: 0
    .kernarg_segment_align: 8
    .kernarg_segment_size: 184
    .language:       OpenCL C
    .language_version:
      - 2
      - 0
    .max_flat_workgroup_size: 256
    .name:           _ZN7rocprim17ROCPRIM_400000_NS6detail17trampoline_kernelINS0_13select_configILj256ELj13ELNS0_17block_load_methodE3ELS4_3ELS4_3ELNS0_20block_scan_algorithmE0ELj4294967295EEENS1_25partition_config_selectorILNS1_17partition_subalgoE4EjNS0_10empty_typeEbEEZZNS1_14partition_implILS8_4ELb0ES6_15HIP_vector_typeIjLj2EENS0_17counting_iteratorIjlEEPS9_SG_NS0_5tupleIJPjSI_NS0_16reverse_iteratorISI_EEEEENSH_IJSG_SG_SG_EEES9_SI_JZNS1_25segmented_radix_sort_implINS0_14default_configELb1EPKsPsPKlPlN2at6native12_GLOBAL__N_18offset_tEEE10hipError_tPvRmT1_PNSt15iterator_traitsIS12_E10value_typeET2_T3_PNS13_IS18_E10value_typeET4_jRbjT5_S1E_jjP12ihipStream_tbEUljE_ZNSN_ISO_Lb1ESQ_SR_ST_SU_SY_EESZ_S10_S11_S12_S16_S17_S18_S1B_S1C_jS1D_jS1E_S1E_jjS1G_bEUljE0_EEESZ_S10_S11_S18_S1C_S1E_T6_T7_T9_mT8_S1G_bDpT10_ENKUlT_T0_E_clISt17integral_constantIbLb0EES1T_IbLb1EEEEDaS1P_S1Q_EUlS1P_E_NS1_11comp_targetILNS1_3genE9ELNS1_11target_archE1100ELNS1_3gpuE3ELNS1_3repE0EEENS1_30default_config_static_selectorELNS0_4arch9wavefront6targetE1EEEvS12_
    .private_segment_fixed_size: 0
    .sgpr_count:     4
    .sgpr_spill_count: 0
    .symbol:         _ZN7rocprim17ROCPRIM_400000_NS6detail17trampoline_kernelINS0_13select_configILj256ELj13ELNS0_17block_load_methodE3ELS4_3ELS4_3ELNS0_20block_scan_algorithmE0ELj4294967295EEENS1_25partition_config_selectorILNS1_17partition_subalgoE4EjNS0_10empty_typeEbEEZZNS1_14partition_implILS8_4ELb0ES6_15HIP_vector_typeIjLj2EENS0_17counting_iteratorIjlEEPS9_SG_NS0_5tupleIJPjSI_NS0_16reverse_iteratorISI_EEEEENSH_IJSG_SG_SG_EEES9_SI_JZNS1_25segmented_radix_sort_implINS0_14default_configELb1EPKsPsPKlPlN2at6native12_GLOBAL__N_18offset_tEEE10hipError_tPvRmT1_PNSt15iterator_traitsIS12_E10value_typeET2_T3_PNS13_IS18_E10value_typeET4_jRbjT5_S1E_jjP12ihipStream_tbEUljE_ZNSN_ISO_Lb1ESQ_SR_ST_SU_SY_EESZ_S10_S11_S12_S16_S17_S18_S1B_S1C_jS1D_jS1E_S1E_jjS1G_bEUljE0_EEESZ_S10_S11_S18_S1C_S1E_T6_T7_T9_mT8_S1G_bDpT10_ENKUlT_T0_E_clISt17integral_constantIbLb0EES1T_IbLb1EEEEDaS1P_S1Q_EUlS1P_E_NS1_11comp_targetILNS1_3genE9ELNS1_11target_archE1100ELNS1_3gpuE3ELNS1_3repE0EEENS1_30default_config_static_selectorELNS0_4arch9wavefront6targetE1EEEvS12_.kd
    .uniform_work_group_size: 1
    .uses_dynamic_stack: false
    .vgpr_count:     0
    .vgpr_spill_count: 0
    .wavefront_size: 64
  - .agpr_count:     0
    .args:
      - .offset:         0
        .size:           184
        .value_kind:     by_value
    .group_segment_fixed_size: 0
    .kernarg_segment_align: 8
    .kernarg_segment_size: 184
    .language:       OpenCL C
    .language_version:
      - 2
      - 0
    .max_flat_workgroup_size: 256
    .name:           _ZN7rocprim17ROCPRIM_400000_NS6detail17trampoline_kernelINS0_13select_configILj256ELj13ELNS0_17block_load_methodE3ELS4_3ELS4_3ELNS0_20block_scan_algorithmE0ELj4294967295EEENS1_25partition_config_selectorILNS1_17partition_subalgoE4EjNS0_10empty_typeEbEEZZNS1_14partition_implILS8_4ELb0ES6_15HIP_vector_typeIjLj2EENS0_17counting_iteratorIjlEEPS9_SG_NS0_5tupleIJPjSI_NS0_16reverse_iteratorISI_EEEEENSH_IJSG_SG_SG_EEES9_SI_JZNS1_25segmented_radix_sort_implINS0_14default_configELb1EPKsPsPKlPlN2at6native12_GLOBAL__N_18offset_tEEE10hipError_tPvRmT1_PNSt15iterator_traitsIS12_E10value_typeET2_T3_PNS13_IS18_E10value_typeET4_jRbjT5_S1E_jjP12ihipStream_tbEUljE_ZNSN_ISO_Lb1ESQ_SR_ST_SU_SY_EESZ_S10_S11_S12_S16_S17_S18_S1B_S1C_jS1D_jS1E_S1E_jjS1G_bEUljE0_EEESZ_S10_S11_S18_S1C_S1E_T6_T7_T9_mT8_S1G_bDpT10_ENKUlT_T0_E_clISt17integral_constantIbLb0EES1T_IbLb1EEEEDaS1P_S1Q_EUlS1P_E_NS1_11comp_targetILNS1_3genE8ELNS1_11target_archE1030ELNS1_3gpuE2ELNS1_3repE0EEENS1_30default_config_static_selectorELNS0_4arch9wavefront6targetE1EEEvS12_
    .private_segment_fixed_size: 0
    .sgpr_count:     4
    .sgpr_spill_count: 0
    .symbol:         _ZN7rocprim17ROCPRIM_400000_NS6detail17trampoline_kernelINS0_13select_configILj256ELj13ELNS0_17block_load_methodE3ELS4_3ELS4_3ELNS0_20block_scan_algorithmE0ELj4294967295EEENS1_25partition_config_selectorILNS1_17partition_subalgoE4EjNS0_10empty_typeEbEEZZNS1_14partition_implILS8_4ELb0ES6_15HIP_vector_typeIjLj2EENS0_17counting_iteratorIjlEEPS9_SG_NS0_5tupleIJPjSI_NS0_16reverse_iteratorISI_EEEEENSH_IJSG_SG_SG_EEES9_SI_JZNS1_25segmented_radix_sort_implINS0_14default_configELb1EPKsPsPKlPlN2at6native12_GLOBAL__N_18offset_tEEE10hipError_tPvRmT1_PNSt15iterator_traitsIS12_E10value_typeET2_T3_PNS13_IS18_E10value_typeET4_jRbjT5_S1E_jjP12ihipStream_tbEUljE_ZNSN_ISO_Lb1ESQ_SR_ST_SU_SY_EESZ_S10_S11_S12_S16_S17_S18_S1B_S1C_jS1D_jS1E_S1E_jjS1G_bEUljE0_EEESZ_S10_S11_S18_S1C_S1E_T6_T7_T9_mT8_S1G_bDpT10_ENKUlT_T0_E_clISt17integral_constantIbLb0EES1T_IbLb1EEEEDaS1P_S1Q_EUlS1P_E_NS1_11comp_targetILNS1_3genE8ELNS1_11target_archE1030ELNS1_3gpuE2ELNS1_3repE0EEENS1_30default_config_static_selectorELNS0_4arch9wavefront6targetE1EEEvS12_.kd
    .uniform_work_group_size: 1
    .uses_dynamic_stack: false
    .vgpr_count:     0
    .vgpr_spill_count: 0
    .wavefront_size: 64
  - .agpr_count:     0
    .args:
      - .offset:         0
        .size:           144
        .value_kind:     by_value
    .group_segment_fixed_size: 0
    .kernarg_segment_align: 8
    .kernarg_segment_size: 144
    .language:       OpenCL C
    .language_version:
      - 2
      - 0
    .max_flat_workgroup_size: 256
    .name:           _ZN7rocprim17ROCPRIM_400000_NS6detail17trampoline_kernelINS0_13select_configILj256ELj13ELNS0_17block_load_methodE3ELS4_3ELS4_3ELNS0_20block_scan_algorithmE0ELj4294967295EEENS1_25partition_config_selectorILNS1_17partition_subalgoE3EjNS0_10empty_typeEbEEZZNS1_14partition_implILS8_3ELb0ES6_jNS0_17counting_iteratorIjlEEPS9_SE_NS0_5tupleIJPjSE_EEENSF_IJSE_SE_EEES9_SG_JZNS1_25segmented_radix_sort_implINS0_14default_configELb1EPKsPsPKlPlN2at6native12_GLOBAL__N_18offset_tEEE10hipError_tPvRmT1_PNSt15iterator_traitsISY_E10value_typeET2_T3_PNSZ_IS14_E10value_typeET4_jRbjT5_S1A_jjP12ihipStream_tbEUljE_EEESV_SW_SX_S14_S18_S1A_T6_T7_T9_mT8_S1C_bDpT10_ENKUlT_T0_E_clISt17integral_constantIbLb0EES1P_EEDaS1K_S1L_EUlS1K_E_NS1_11comp_targetILNS1_3genE0ELNS1_11target_archE4294967295ELNS1_3gpuE0ELNS1_3repE0EEENS1_30default_config_static_selectorELNS0_4arch9wavefront6targetE1EEEvSY_
    .private_segment_fixed_size: 0
    .sgpr_count:     4
    .sgpr_spill_count: 0
    .symbol:         _ZN7rocprim17ROCPRIM_400000_NS6detail17trampoline_kernelINS0_13select_configILj256ELj13ELNS0_17block_load_methodE3ELS4_3ELS4_3ELNS0_20block_scan_algorithmE0ELj4294967295EEENS1_25partition_config_selectorILNS1_17partition_subalgoE3EjNS0_10empty_typeEbEEZZNS1_14partition_implILS8_3ELb0ES6_jNS0_17counting_iteratorIjlEEPS9_SE_NS0_5tupleIJPjSE_EEENSF_IJSE_SE_EEES9_SG_JZNS1_25segmented_radix_sort_implINS0_14default_configELb1EPKsPsPKlPlN2at6native12_GLOBAL__N_18offset_tEEE10hipError_tPvRmT1_PNSt15iterator_traitsISY_E10value_typeET2_T3_PNSZ_IS14_E10value_typeET4_jRbjT5_S1A_jjP12ihipStream_tbEUljE_EEESV_SW_SX_S14_S18_S1A_T6_T7_T9_mT8_S1C_bDpT10_ENKUlT_T0_E_clISt17integral_constantIbLb0EES1P_EEDaS1K_S1L_EUlS1K_E_NS1_11comp_targetILNS1_3genE0ELNS1_11target_archE4294967295ELNS1_3gpuE0ELNS1_3repE0EEENS1_30default_config_static_selectorELNS0_4arch9wavefront6targetE1EEEvSY_.kd
    .uniform_work_group_size: 1
    .uses_dynamic_stack: false
    .vgpr_count:     0
    .vgpr_spill_count: 0
    .wavefront_size: 64
  - .agpr_count:     0
    .args:
      - .offset:         0
        .size:           144
        .value_kind:     by_value
    .group_segment_fixed_size: 0
    .kernarg_segment_align: 8
    .kernarg_segment_size: 144
    .language:       OpenCL C
    .language_version:
      - 2
      - 0
    .max_flat_workgroup_size: 256
    .name:           _ZN7rocprim17ROCPRIM_400000_NS6detail17trampoline_kernelINS0_13select_configILj256ELj13ELNS0_17block_load_methodE3ELS4_3ELS4_3ELNS0_20block_scan_algorithmE0ELj4294967295EEENS1_25partition_config_selectorILNS1_17partition_subalgoE3EjNS0_10empty_typeEbEEZZNS1_14partition_implILS8_3ELb0ES6_jNS0_17counting_iteratorIjlEEPS9_SE_NS0_5tupleIJPjSE_EEENSF_IJSE_SE_EEES9_SG_JZNS1_25segmented_radix_sort_implINS0_14default_configELb1EPKsPsPKlPlN2at6native12_GLOBAL__N_18offset_tEEE10hipError_tPvRmT1_PNSt15iterator_traitsISY_E10value_typeET2_T3_PNSZ_IS14_E10value_typeET4_jRbjT5_S1A_jjP12ihipStream_tbEUljE_EEESV_SW_SX_S14_S18_S1A_T6_T7_T9_mT8_S1C_bDpT10_ENKUlT_T0_E_clISt17integral_constantIbLb0EES1P_EEDaS1K_S1L_EUlS1K_E_NS1_11comp_targetILNS1_3genE5ELNS1_11target_archE942ELNS1_3gpuE9ELNS1_3repE0EEENS1_30default_config_static_selectorELNS0_4arch9wavefront6targetE1EEEvSY_
    .private_segment_fixed_size: 0
    .sgpr_count:     4
    .sgpr_spill_count: 0
    .symbol:         _ZN7rocprim17ROCPRIM_400000_NS6detail17trampoline_kernelINS0_13select_configILj256ELj13ELNS0_17block_load_methodE3ELS4_3ELS4_3ELNS0_20block_scan_algorithmE0ELj4294967295EEENS1_25partition_config_selectorILNS1_17partition_subalgoE3EjNS0_10empty_typeEbEEZZNS1_14partition_implILS8_3ELb0ES6_jNS0_17counting_iteratorIjlEEPS9_SE_NS0_5tupleIJPjSE_EEENSF_IJSE_SE_EEES9_SG_JZNS1_25segmented_radix_sort_implINS0_14default_configELb1EPKsPsPKlPlN2at6native12_GLOBAL__N_18offset_tEEE10hipError_tPvRmT1_PNSt15iterator_traitsISY_E10value_typeET2_T3_PNSZ_IS14_E10value_typeET4_jRbjT5_S1A_jjP12ihipStream_tbEUljE_EEESV_SW_SX_S14_S18_S1A_T6_T7_T9_mT8_S1C_bDpT10_ENKUlT_T0_E_clISt17integral_constantIbLb0EES1P_EEDaS1K_S1L_EUlS1K_E_NS1_11comp_targetILNS1_3genE5ELNS1_11target_archE942ELNS1_3gpuE9ELNS1_3repE0EEENS1_30default_config_static_selectorELNS0_4arch9wavefront6targetE1EEEvSY_.kd
    .uniform_work_group_size: 1
    .uses_dynamic_stack: false
    .vgpr_count:     0
    .vgpr_spill_count: 0
    .wavefront_size: 64
  - .agpr_count:     0
    .args:
      - .offset:         0
        .size:           144
        .value_kind:     by_value
    .group_segment_fixed_size: 13324
    .kernarg_segment_align: 8
    .kernarg_segment_size: 144
    .language:       OpenCL C
    .language_version:
      - 2
      - 0
    .max_flat_workgroup_size: 256
    .name:           _ZN7rocprim17ROCPRIM_400000_NS6detail17trampoline_kernelINS0_13select_configILj256ELj13ELNS0_17block_load_methodE3ELS4_3ELS4_3ELNS0_20block_scan_algorithmE0ELj4294967295EEENS1_25partition_config_selectorILNS1_17partition_subalgoE3EjNS0_10empty_typeEbEEZZNS1_14partition_implILS8_3ELb0ES6_jNS0_17counting_iteratorIjlEEPS9_SE_NS0_5tupleIJPjSE_EEENSF_IJSE_SE_EEES9_SG_JZNS1_25segmented_radix_sort_implINS0_14default_configELb1EPKsPsPKlPlN2at6native12_GLOBAL__N_18offset_tEEE10hipError_tPvRmT1_PNSt15iterator_traitsISY_E10value_typeET2_T3_PNSZ_IS14_E10value_typeET4_jRbjT5_S1A_jjP12ihipStream_tbEUljE_EEESV_SW_SX_S14_S18_S1A_T6_T7_T9_mT8_S1C_bDpT10_ENKUlT_T0_E_clISt17integral_constantIbLb0EES1P_EEDaS1K_S1L_EUlS1K_E_NS1_11comp_targetILNS1_3genE4ELNS1_11target_archE910ELNS1_3gpuE8ELNS1_3repE0EEENS1_30default_config_static_selectorELNS0_4arch9wavefront6targetE1EEEvSY_
    .private_segment_fixed_size: 0
    .sgpr_count:     50
    .sgpr_spill_count: 0
    .symbol:         _ZN7rocprim17ROCPRIM_400000_NS6detail17trampoline_kernelINS0_13select_configILj256ELj13ELNS0_17block_load_methodE3ELS4_3ELS4_3ELNS0_20block_scan_algorithmE0ELj4294967295EEENS1_25partition_config_selectorILNS1_17partition_subalgoE3EjNS0_10empty_typeEbEEZZNS1_14partition_implILS8_3ELb0ES6_jNS0_17counting_iteratorIjlEEPS9_SE_NS0_5tupleIJPjSE_EEENSF_IJSE_SE_EEES9_SG_JZNS1_25segmented_radix_sort_implINS0_14default_configELb1EPKsPsPKlPlN2at6native12_GLOBAL__N_18offset_tEEE10hipError_tPvRmT1_PNSt15iterator_traitsISY_E10value_typeET2_T3_PNSZ_IS14_E10value_typeET4_jRbjT5_S1A_jjP12ihipStream_tbEUljE_EEESV_SW_SX_S14_S18_S1A_T6_T7_T9_mT8_S1C_bDpT10_ENKUlT_T0_E_clISt17integral_constantIbLb0EES1P_EEDaS1K_S1L_EUlS1K_E_NS1_11comp_targetILNS1_3genE4ELNS1_11target_archE910ELNS1_3gpuE8ELNS1_3repE0EEENS1_30default_config_static_selectorELNS0_4arch9wavefront6targetE1EEEvSY_.kd
    .uniform_work_group_size: 1
    .uses_dynamic_stack: false
    .vgpr_count:     61
    .vgpr_spill_count: 0
    .wavefront_size: 64
  - .agpr_count:     0
    .args:
      - .offset:         0
        .size:           144
        .value_kind:     by_value
    .group_segment_fixed_size: 0
    .kernarg_segment_align: 8
    .kernarg_segment_size: 144
    .language:       OpenCL C
    .language_version:
      - 2
      - 0
    .max_flat_workgroup_size: 256
    .name:           _ZN7rocprim17ROCPRIM_400000_NS6detail17trampoline_kernelINS0_13select_configILj256ELj13ELNS0_17block_load_methodE3ELS4_3ELS4_3ELNS0_20block_scan_algorithmE0ELj4294967295EEENS1_25partition_config_selectorILNS1_17partition_subalgoE3EjNS0_10empty_typeEbEEZZNS1_14partition_implILS8_3ELb0ES6_jNS0_17counting_iteratorIjlEEPS9_SE_NS0_5tupleIJPjSE_EEENSF_IJSE_SE_EEES9_SG_JZNS1_25segmented_radix_sort_implINS0_14default_configELb1EPKsPsPKlPlN2at6native12_GLOBAL__N_18offset_tEEE10hipError_tPvRmT1_PNSt15iterator_traitsISY_E10value_typeET2_T3_PNSZ_IS14_E10value_typeET4_jRbjT5_S1A_jjP12ihipStream_tbEUljE_EEESV_SW_SX_S14_S18_S1A_T6_T7_T9_mT8_S1C_bDpT10_ENKUlT_T0_E_clISt17integral_constantIbLb0EES1P_EEDaS1K_S1L_EUlS1K_E_NS1_11comp_targetILNS1_3genE3ELNS1_11target_archE908ELNS1_3gpuE7ELNS1_3repE0EEENS1_30default_config_static_selectorELNS0_4arch9wavefront6targetE1EEEvSY_
    .private_segment_fixed_size: 0
    .sgpr_count:     4
    .sgpr_spill_count: 0
    .symbol:         _ZN7rocprim17ROCPRIM_400000_NS6detail17trampoline_kernelINS0_13select_configILj256ELj13ELNS0_17block_load_methodE3ELS4_3ELS4_3ELNS0_20block_scan_algorithmE0ELj4294967295EEENS1_25partition_config_selectorILNS1_17partition_subalgoE3EjNS0_10empty_typeEbEEZZNS1_14partition_implILS8_3ELb0ES6_jNS0_17counting_iteratorIjlEEPS9_SE_NS0_5tupleIJPjSE_EEENSF_IJSE_SE_EEES9_SG_JZNS1_25segmented_radix_sort_implINS0_14default_configELb1EPKsPsPKlPlN2at6native12_GLOBAL__N_18offset_tEEE10hipError_tPvRmT1_PNSt15iterator_traitsISY_E10value_typeET2_T3_PNSZ_IS14_E10value_typeET4_jRbjT5_S1A_jjP12ihipStream_tbEUljE_EEESV_SW_SX_S14_S18_S1A_T6_T7_T9_mT8_S1C_bDpT10_ENKUlT_T0_E_clISt17integral_constantIbLb0EES1P_EEDaS1K_S1L_EUlS1K_E_NS1_11comp_targetILNS1_3genE3ELNS1_11target_archE908ELNS1_3gpuE7ELNS1_3repE0EEENS1_30default_config_static_selectorELNS0_4arch9wavefront6targetE1EEEvSY_.kd
    .uniform_work_group_size: 1
    .uses_dynamic_stack: false
    .vgpr_count:     0
    .vgpr_spill_count: 0
    .wavefront_size: 64
  - .agpr_count:     0
    .args:
      - .offset:         0
        .size:           144
        .value_kind:     by_value
    .group_segment_fixed_size: 0
    .kernarg_segment_align: 8
    .kernarg_segment_size: 144
    .language:       OpenCL C
    .language_version:
      - 2
      - 0
    .max_flat_workgroup_size: 256
    .name:           _ZN7rocprim17ROCPRIM_400000_NS6detail17trampoline_kernelINS0_13select_configILj256ELj13ELNS0_17block_load_methodE3ELS4_3ELS4_3ELNS0_20block_scan_algorithmE0ELj4294967295EEENS1_25partition_config_selectorILNS1_17partition_subalgoE3EjNS0_10empty_typeEbEEZZNS1_14partition_implILS8_3ELb0ES6_jNS0_17counting_iteratorIjlEEPS9_SE_NS0_5tupleIJPjSE_EEENSF_IJSE_SE_EEES9_SG_JZNS1_25segmented_radix_sort_implINS0_14default_configELb1EPKsPsPKlPlN2at6native12_GLOBAL__N_18offset_tEEE10hipError_tPvRmT1_PNSt15iterator_traitsISY_E10value_typeET2_T3_PNSZ_IS14_E10value_typeET4_jRbjT5_S1A_jjP12ihipStream_tbEUljE_EEESV_SW_SX_S14_S18_S1A_T6_T7_T9_mT8_S1C_bDpT10_ENKUlT_T0_E_clISt17integral_constantIbLb0EES1P_EEDaS1K_S1L_EUlS1K_E_NS1_11comp_targetILNS1_3genE2ELNS1_11target_archE906ELNS1_3gpuE6ELNS1_3repE0EEENS1_30default_config_static_selectorELNS0_4arch9wavefront6targetE1EEEvSY_
    .private_segment_fixed_size: 0
    .sgpr_count:     4
    .sgpr_spill_count: 0
    .symbol:         _ZN7rocprim17ROCPRIM_400000_NS6detail17trampoline_kernelINS0_13select_configILj256ELj13ELNS0_17block_load_methodE3ELS4_3ELS4_3ELNS0_20block_scan_algorithmE0ELj4294967295EEENS1_25partition_config_selectorILNS1_17partition_subalgoE3EjNS0_10empty_typeEbEEZZNS1_14partition_implILS8_3ELb0ES6_jNS0_17counting_iteratorIjlEEPS9_SE_NS0_5tupleIJPjSE_EEENSF_IJSE_SE_EEES9_SG_JZNS1_25segmented_radix_sort_implINS0_14default_configELb1EPKsPsPKlPlN2at6native12_GLOBAL__N_18offset_tEEE10hipError_tPvRmT1_PNSt15iterator_traitsISY_E10value_typeET2_T3_PNSZ_IS14_E10value_typeET4_jRbjT5_S1A_jjP12ihipStream_tbEUljE_EEESV_SW_SX_S14_S18_S1A_T6_T7_T9_mT8_S1C_bDpT10_ENKUlT_T0_E_clISt17integral_constantIbLb0EES1P_EEDaS1K_S1L_EUlS1K_E_NS1_11comp_targetILNS1_3genE2ELNS1_11target_archE906ELNS1_3gpuE6ELNS1_3repE0EEENS1_30default_config_static_selectorELNS0_4arch9wavefront6targetE1EEEvSY_.kd
    .uniform_work_group_size: 1
    .uses_dynamic_stack: false
    .vgpr_count:     0
    .vgpr_spill_count: 0
    .wavefront_size: 64
  - .agpr_count:     0
    .args:
      - .offset:         0
        .size:           144
        .value_kind:     by_value
    .group_segment_fixed_size: 0
    .kernarg_segment_align: 8
    .kernarg_segment_size: 144
    .language:       OpenCL C
    .language_version:
      - 2
      - 0
    .max_flat_workgroup_size: 256
    .name:           _ZN7rocprim17ROCPRIM_400000_NS6detail17trampoline_kernelINS0_13select_configILj256ELj13ELNS0_17block_load_methodE3ELS4_3ELS4_3ELNS0_20block_scan_algorithmE0ELj4294967295EEENS1_25partition_config_selectorILNS1_17partition_subalgoE3EjNS0_10empty_typeEbEEZZNS1_14partition_implILS8_3ELb0ES6_jNS0_17counting_iteratorIjlEEPS9_SE_NS0_5tupleIJPjSE_EEENSF_IJSE_SE_EEES9_SG_JZNS1_25segmented_radix_sort_implINS0_14default_configELb1EPKsPsPKlPlN2at6native12_GLOBAL__N_18offset_tEEE10hipError_tPvRmT1_PNSt15iterator_traitsISY_E10value_typeET2_T3_PNSZ_IS14_E10value_typeET4_jRbjT5_S1A_jjP12ihipStream_tbEUljE_EEESV_SW_SX_S14_S18_S1A_T6_T7_T9_mT8_S1C_bDpT10_ENKUlT_T0_E_clISt17integral_constantIbLb0EES1P_EEDaS1K_S1L_EUlS1K_E_NS1_11comp_targetILNS1_3genE10ELNS1_11target_archE1200ELNS1_3gpuE4ELNS1_3repE0EEENS1_30default_config_static_selectorELNS0_4arch9wavefront6targetE1EEEvSY_
    .private_segment_fixed_size: 0
    .sgpr_count:     4
    .sgpr_spill_count: 0
    .symbol:         _ZN7rocprim17ROCPRIM_400000_NS6detail17trampoline_kernelINS0_13select_configILj256ELj13ELNS0_17block_load_methodE3ELS4_3ELS4_3ELNS0_20block_scan_algorithmE0ELj4294967295EEENS1_25partition_config_selectorILNS1_17partition_subalgoE3EjNS0_10empty_typeEbEEZZNS1_14partition_implILS8_3ELb0ES6_jNS0_17counting_iteratorIjlEEPS9_SE_NS0_5tupleIJPjSE_EEENSF_IJSE_SE_EEES9_SG_JZNS1_25segmented_radix_sort_implINS0_14default_configELb1EPKsPsPKlPlN2at6native12_GLOBAL__N_18offset_tEEE10hipError_tPvRmT1_PNSt15iterator_traitsISY_E10value_typeET2_T3_PNSZ_IS14_E10value_typeET4_jRbjT5_S1A_jjP12ihipStream_tbEUljE_EEESV_SW_SX_S14_S18_S1A_T6_T7_T9_mT8_S1C_bDpT10_ENKUlT_T0_E_clISt17integral_constantIbLb0EES1P_EEDaS1K_S1L_EUlS1K_E_NS1_11comp_targetILNS1_3genE10ELNS1_11target_archE1200ELNS1_3gpuE4ELNS1_3repE0EEENS1_30default_config_static_selectorELNS0_4arch9wavefront6targetE1EEEvSY_.kd
    .uniform_work_group_size: 1
    .uses_dynamic_stack: false
    .vgpr_count:     0
    .vgpr_spill_count: 0
    .wavefront_size: 64
  - .agpr_count:     0
    .args:
      - .offset:         0
        .size:           144
        .value_kind:     by_value
    .group_segment_fixed_size: 0
    .kernarg_segment_align: 8
    .kernarg_segment_size: 144
    .language:       OpenCL C
    .language_version:
      - 2
      - 0
    .max_flat_workgroup_size: 256
    .name:           _ZN7rocprim17ROCPRIM_400000_NS6detail17trampoline_kernelINS0_13select_configILj256ELj13ELNS0_17block_load_methodE3ELS4_3ELS4_3ELNS0_20block_scan_algorithmE0ELj4294967295EEENS1_25partition_config_selectorILNS1_17partition_subalgoE3EjNS0_10empty_typeEbEEZZNS1_14partition_implILS8_3ELb0ES6_jNS0_17counting_iteratorIjlEEPS9_SE_NS0_5tupleIJPjSE_EEENSF_IJSE_SE_EEES9_SG_JZNS1_25segmented_radix_sort_implINS0_14default_configELb1EPKsPsPKlPlN2at6native12_GLOBAL__N_18offset_tEEE10hipError_tPvRmT1_PNSt15iterator_traitsISY_E10value_typeET2_T3_PNSZ_IS14_E10value_typeET4_jRbjT5_S1A_jjP12ihipStream_tbEUljE_EEESV_SW_SX_S14_S18_S1A_T6_T7_T9_mT8_S1C_bDpT10_ENKUlT_T0_E_clISt17integral_constantIbLb0EES1P_EEDaS1K_S1L_EUlS1K_E_NS1_11comp_targetILNS1_3genE9ELNS1_11target_archE1100ELNS1_3gpuE3ELNS1_3repE0EEENS1_30default_config_static_selectorELNS0_4arch9wavefront6targetE1EEEvSY_
    .private_segment_fixed_size: 0
    .sgpr_count:     4
    .sgpr_spill_count: 0
    .symbol:         _ZN7rocprim17ROCPRIM_400000_NS6detail17trampoline_kernelINS0_13select_configILj256ELj13ELNS0_17block_load_methodE3ELS4_3ELS4_3ELNS0_20block_scan_algorithmE0ELj4294967295EEENS1_25partition_config_selectorILNS1_17partition_subalgoE3EjNS0_10empty_typeEbEEZZNS1_14partition_implILS8_3ELb0ES6_jNS0_17counting_iteratorIjlEEPS9_SE_NS0_5tupleIJPjSE_EEENSF_IJSE_SE_EEES9_SG_JZNS1_25segmented_radix_sort_implINS0_14default_configELb1EPKsPsPKlPlN2at6native12_GLOBAL__N_18offset_tEEE10hipError_tPvRmT1_PNSt15iterator_traitsISY_E10value_typeET2_T3_PNSZ_IS14_E10value_typeET4_jRbjT5_S1A_jjP12ihipStream_tbEUljE_EEESV_SW_SX_S14_S18_S1A_T6_T7_T9_mT8_S1C_bDpT10_ENKUlT_T0_E_clISt17integral_constantIbLb0EES1P_EEDaS1K_S1L_EUlS1K_E_NS1_11comp_targetILNS1_3genE9ELNS1_11target_archE1100ELNS1_3gpuE3ELNS1_3repE0EEENS1_30default_config_static_selectorELNS0_4arch9wavefront6targetE1EEEvSY_.kd
    .uniform_work_group_size: 1
    .uses_dynamic_stack: false
    .vgpr_count:     0
    .vgpr_spill_count: 0
    .wavefront_size: 64
  - .agpr_count:     0
    .args:
      - .offset:         0
        .size:           144
        .value_kind:     by_value
    .group_segment_fixed_size: 0
    .kernarg_segment_align: 8
    .kernarg_segment_size: 144
    .language:       OpenCL C
    .language_version:
      - 2
      - 0
    .max_flat_workgroup_size: 256
    .name:           _ZN7rocprim17ROCPRIM_400000_NS6detail17trampoline_kernelINS0_13select_configILj256ELj13ELNS0_17block_load_methodE3ELS4_3ELS4_3ELNS0_20block_scan_algorithmE0ELj4294967295EEENS1_25partition_config_selectorILNS1_17partition_subalgoE3EjNS0_10empty_typeEbEEZZNS1_14partition_implILS8_3ELb0ES6_jNS0_17counting_iteratorIjlEEPS9_SE_NS0_5tupleIJPjSE_EEENSF_IJSE_SE_EEES9_SG_JZNS1_25segmented_radix_sort_implINS0_14default_configELb1EPKsPsPKlPlN2at6native12_GLOBAL__N_18offset_tEEE10hipError_tPvRmT1_PNSt15iterator_traitsISY_E10value_typeET2_T3_PNSZ_IS14_E10value_typeET4_jRbjT5_S1A_jjP12ihipStream_tbEUljE_EEESV_SW_SX_S14_S18_S1A_T6_T7_T9_mT8_S1C_bDpT10_ENKUlT_T0_E_clISt17integral_constantIbLb0EES1P_EEDaS1K_S1L_EUlS1K_E_NS1_11comp_targetILNS1_3genE8ELNS1_11target_archE1030ELNS1_3gpuE2ELNS1_3repE0EEENS1_30default_config_static_selectorELNS0_4arch9wavefront6targetE1EEEvSY_
    .private_segment_fixed_size: 0
    .sgpr_count:     4
    .sgpr_spill_count: 0
    .symbol:         _ZN7rocprim17ROCPRIM_400000_NS6detail17trampoline_kernelINS0_13select_configILj256ELj13ELNS0_17block_load_methodE3ELS4_3ELS4_3ELNS0_20block_scan_algorithmE0ELj4294967295EEENS1_25partition_config_selectorILNS1_17partition_subalgoE3EjNS0_10empty_typeEbEEZZNS1_14partition_implILS8_3ELb0ES6_jNS0_17counting_iteratorIjlEEPS9_SE_NS0_5tupleIJPjSE_EEENSF_IJSE_SE_EEES9_SG_JZNS1_25segmented_radix_sort_implINS0_14default_configELb1EPKsPsPKlPlN2at6native12_GLOBAL__N_18offset_tEEE10hipError_tPvRmT1_PNSt15iterator_traitsISY_E10value_typeET2_T3_PNSZ_IS14_E10value_typeET4_jRbjT5_S1A_jjP12ihipStream_tbEUljE_EEESV_SW_SX_S14_S18_S1A_T6_T7_T9_mT8_S1C_bDpT10_ENKUlT_T0_E_clISt17integral_constantIbLb0EES1P_EEDaS1K_S1L_EUlS1K_E_NS1_11comp_targetILNS1_3genE8ELNS1_11target_archE1030ELNS1_3gpuE2ELNS1_3repE0EEENS1_30default_config_static_selectorELNS0_4arch9wavefront6targetE1EEEvSY_.kd
    .uniform_work_group_size: 1
    .uses_dynamic_stack: false
    .vgpr_count:     0
    .vgpr_spill_count: 0
    .wavefront_size: 64
  - .agpr_count:     0
    .args:
      - .offset:         0
        .size:           152
        .value_kind:     by_value
    .group_segment_fixed_size: 0
    .kernarg_segment_align: 8
    .kernarg_segment_size: 152
    .language:       OpenCL C
    .language_version:
      - 2
      - 0
    .max_flat_workgroup_size: 256
    .name:           _ZN7rocprim17ROCPRIM_400000_NS6detail17trampoline_kernelINS0_13select_configILj256ELj13ELNS0_17block_load_methodE3ELS4_3ELS4_3ELNS0_20block_scan_algorithmE0ELj4294967295EEENS1_25partition_config_selectorILNS1_17partition_subalgoE3EjNS0_10empty_typeEbEEZZNS1_14partition_implILS8_3ELb0ES6_jNS0_17counting_iteratorIjlEEPS9_SE_NS0_5tupleIJPjSE_EEENSF_IJSE_SE_EEES9_SG_JZNS1_25segmented_radix_sort_implINS0_14default_configELb1EPKsPsPKlPlN2at6native12_GLOBAL__N_18offset_tEEE10hipError_tPvRmT1_PNSt15iterator_traitsISY_E10value_typeET2_T3_PNSZ_IS14_E10value_typeET4_jRbjT5_S1A_jjP12ihipStream_tbEUljE_EEESV_SW_SX_S14_S18_S1A_T6_T7_T9_mT8_S1C_bDpT10_ENKUlT_T0_E_clISt17integral_constantIbLb1EES1P_EEDaS1K_S1L_EUlS1K_E_NS1_11comp_targetILNS1_3genE0ELNS1_11target_archE4294967295ELNS1_3gpuE0ELNS1_3repE0EEENS1_30default_config_static_selectorELNS0_4arch9wavefront6targetE1EEEvSY_
    .private_segment_fixed_size: 0
    .sgpr_count:     4
    .sgpr_spill_count: 0
    .symbol:         _ZN7rocprim17ROCPRIM_400000_NS6detail17trampoline_kernelINS0_13select_configILj256ELj13ELNS0_17block_load_methodE3ELS4_3ELS4_3ELNS0_20block_scan_algorithmE0ELj4294967295EEENS1_25partition_config_selectorILNS1_17partition_subalgoE3EjNS0_10empty_typeEbEEZZNS1_14partition_implILS8_3ELb0ES6_jNS0_17counting_iteratorIjlEEPS9_SE_NS0_5tupleIJPjSE_EEENSF_IJSE_SE_EEES9_SG_JZNS1_25segmented_radix_sort_implINS0_14default_configELb1EPKsPsPKlPlN2at6native12_GLOBAL__N_18offset_tEEE10hipError_tPvRmT1_PNSt15iterator_traitsISY_E10value_typeET2_T3_PNSZ_IS14_E10value_typeET4_jRbjT5_S1A_jjP12ihipStream_tbEUljE_EEESV_SW_SX_S14_S18_S1A_T6_T7_T9_mT8_S1C_bDpT10_ENKUlT_T0_E_clISt17integral_constantIbLb1EES1P_EEDaS1K_S1L_EUlS1K_E_NS1_11comp_targetILNS1_3genE0ELNS1_11target_archE4294967295ELNS1_3gpuE0ELNS1_3repE0EEENS1_30default_config_static_selectorELNS0_4arch9wavefront6targetE1EEEvSY_.kd
    .uniform_work_group_size: 1
    .uses_dynamic_stack: false
    .vgpr_count:     0
    .vgpr_spill_count: 0
    .wavefront_size: 64
  - .agpr_count:     0
    .args:
      - .offset:         0
        .size:           152
        .value_kind:     by_value
    .group_segment_fixed_size: 0
    .kernarg_segment_align: 8
    .kernarg_segment_size: 152
    .language:       OpenCL C
    .language_version:
      - 2
      - 0
    .max_flat_workgroup_size: 256
    .name:           _ZN7rocprim17ROCPRIM_400000_NS6detail17trampoline_kernelINS0_13select_configILj256ELj13ELNS0_17block_load_methodE3ELS4_3ELS4_3ELNS0_20block_scan_algorithmE0ELj4294967295EEENS1_25partition_config_selectorILNS1_17partition_subalgoE3EjNS0_10empty_typeEbEEZZNS1_14partition_implILS8_3ELb0ES6_jNS0_17counting_iteratorIjlEEPS9_SE_NS0_5tupleIJPjSE_EEENSF_IJSE_SE_EEES9_SG_JZNS1_25segmented_radix_sort_implINS0_14default_configELb1EPKsPsPKlPlN2at6native12_GLOBAL__N_18offset_tEEE10hipError_tPvRmT1_PNSt15iterator_traitsISY_E10value_typeET2_T3_PNSZ_IS14_E10value_typeET4_jRbjT5_S1A_jjP12ihipStream_tbEUljE_EEESV_SW_SX_S14_S18_S1A_T6_T7_T9_mT8_S1C_bDpT10_ENKUlT_T0_E_clISt17integral_constantIbLb1EES1P_EEDaS1K_S1L_EUlS1K_E_NS1_11comp_targetILNS1_3genE5ELNS1_11target_archE942ELNS1_3gpuE9ELNS1_3repE0EEENS1_30default_config_static_selectorELNS0_4arch9wavefront6targetE1EEEvSY_
    .private_segment_fixed_size: 0
    .sgpr_count:     4
    .sgpr_spill_count: 0
    .symbol:         _ZN7rocprim17ROCPRIM_400000_NS6detail17trampoline_kernelINS0_13select_configILj256ELj13ELNS0_17block_load_methodE3ELS4_3ELS4_3ELNS0_20block_scan_algorithmE0ELj4294967295EEENS1_25partition_config_selectorILNS1_17partition_subalgoE3EjNS0_10empty_typeEbEEZZNS1_14partition_implILS8_3ELb0ES6_jNS0_17counting_iteratorIjlEEPS9_SE_NS0_5tupleIJPjSE_EEENSF_IJSE_SE_EEES9_SG_JZNS1_25segmented_radix_sort_implINS0_14default_configELb1EPKsPsPKlPlN2at6native12_GLOBAL__N_18offset_tEEE10hipError_tPvRmT1_PNSt15iterator_traitsISY_E10value_typeET2_T3_PNSZ_IS14_E10value_typeET4_jRbjT5_S1A_jjP12ihipStream_tbEUljE_EEESV_SW_SX_S14_S18_S1A_T6_T7_T9_mT8_S1C_bDpT10_ENKUlT_T0_E_clISt17integral_constantIbLb1EES1P_EEDaS1K_S1L_EUlS1K_E_NS1_11comp_targetILNS1_3genE5ELNS1_11target_archE942ELNS1_3gpuE9ELNS1_3repE0EEENS1_30default_config_static_selectorELNS0_4arch9wavefront6targetE1EEEvSY_.kd
    .uniform_work_group_size: 1
    .uses_dynamic_stack: false
    .vgpr_count:     0
    .vgpr_spill_count: 0
    .wavefront_size: 64
  - .agpr_count:     0
    .args:
      - .offset:         0
        .size:           152
        .value_kind:     by_value
    .group_segment_fixed_size: 13324
    .kernarg_segment_align: 8
    .kernarg_segment_size: 152
    .language:       OpenCL C
    .language_version:
      - 2
      - 0
    .max_flat_workgroup_size: 256
    .name:           _ZN7rocprim17ROCPRIM_400000_NS6detail17trampoline_kernelINS0_13select_configILj256ELj13ELNS0_17block_load_methodE3ELS4_3ELS4_3ELNS0_20block_scan_algorithmE0ELj4294967295EEENS1_25partition_config_selectorILNS1_17partition_subalgoE3EjNS0_10empty_typeEbEEZZNS1_14partition_implILS8_3ELb0ES6_jNS0_17counting_iteratorIjlEEPS9_SE_NS0_5tupleIJPjSE_EEENSF_IJSE_SE_EEES9_SG_JZNS1_25segmented_radix_sort_implINS0_14default_configELb1EPKsPsPKlPlN2at6native12_GLOBAL__N_18offset_tEEE10hipError_tPvRmT1_PNSt15iterator_traitsISY_E10value_typeET2_T3_PNSZ_IS14_E10value_typeET4_jRbjT5_S1A_jjP12ihipStream_tbEUljE_EEESV_SW_SX_S14_S18_S1A_T6_T7_T9_mT8_S1C_bDpT10_ENKUlT_T0_E_clISt17integral_constantIbLb1EES1P_EEDaS1K_S1L_EUlS1K_E_NS1_11comp_targetILNS1_3genE4ELNS1_11target_archE910ELNS1_3gpuE8ELNS1_3repE0EEENS1_30default_config_static_selectorELNS0_4arch9wavefront6targetE1EEEvSY_
    .private_segment_fixed_size: 0
    .sgpr_count:     48
    .sgpr_spill_count: 0
    .symbol:         _ZN7rocprim17ROCPRIM_400000_NS6detail17trampoline_kernelINS0_13select_configILj256ELj13ELNS0_17block_load_methodE3ELS4_3ELS4_3ELNS0_20block_scan_algorithmE0ELj4294967295EEENS1_25partition_config_selectorILNS1_17partition_subalgoE3EjNS0_10empty_typeEbEEZZNS1_14partition_implILS8_3ELb0ES6_jNS0_17counting_iteratorIjlEEPS9_SE_NS0_5tupleIJPjSE_EEENSF_IJSE_SE_EEES9_SG_JZNS1_25segmented_radix_sort_implINS0_14default_configELb1EPKsPsPKlPlN2at6native12_GLOBAL__N_18offset_tEEE10hipError_tPvRmT1_PNSt15iterator_traitsISY_E10value_typeET2_T3_PNSZ_IS14_E10value_typeET4_jRbjT5_S1A_jjP12ihipStream_tbEUljE_EEESV_SW_SX_S14_S18_S1A_T6_T7_T9_mT8_S1C_bDpT10_ENKUlT_T0_E_clISt17integral_constantIbLb1EES1P_EEDaS1K_S1L_EUlS1K_E_NS1_11comp_targetILNS1_3genE4ELNS1_11target_archE910ELNS1_3gpuE8ELNS1_3repE0EEENS1_30default_config_static_selectorELNS0_4arch9wavefront6targetE1EEEvSY_.kd
    .uniform_work_group_size: 1
    .uses_dynamic_stack: false
    .vgpr_count:     64
    .vgpr_spill_count: 0
    .wavefront_size: 64
  - .agpr_count:     0
    .args:
      - .offset:         0
        .size:           152
        .value_kind:     by_value
    .group_segment_fixed_size: 0
    .kernarg_segment_align: 8
    .kernarg_segment_size: 152
    .language:       OpenCL C
    .language_version:
      - 2
      - 0
    .max_flat_workgroup_size: 256
    .name:           _ZN7rocprim17ROCPRIM_400000_NS6detail17trampoline_kernelINS0_13select_configILj256ELj13ELNS0_17block_load_methodE3ELS4_3ELS4_3ELNS0_20block_scan_algorithmE0ELj4294967295EEENS1_25partition_config_selectorILNS1_17partition_subalgoE3EjNS0_10empty_typeEbEEZZNS1_14partition_implILS8_3ELb0ES6_jNS0_17counting_iteratorIjlEEPS9_SE_NS0_5tupleIJPjSE_EEENSF_IJSE_SE_EEES9_SG_JZNS1_25segmented_radix_sort_implINS0_14default_configELb1EPKsPsPKlPlN2at6native12_GLOBAL__N_18offset_tEEE10hipError_tPvRmT1_PNSt15iterator_traitsISY_E10value_typeET2_T3_PNSZ_IS14_E10value_typeET4_jRbjT5_S1A_jjP12ihipStream_tbEUljE_EEESV_SW_SX_S14_S18_S1A_T6_T7_T9_mT8_S1C_bDpT10_ENKUlT_T0_E_clISt17integral_constantIbLb1EES1P_EEDaS1K_S1L_EUlS1K_E_NS1_11comp_targetILNS1_3genE3ELNS1_11target_archE908ELNS1_3gpuE7ELNS1_3repE0EEENS1_30default_config_static_selectorELNS0_4arch9wavefront6targetE1EEEvSY_
    .private_segment_fixed_size: 0
    .sgpr_count:     4
    .sgpr_spill_count: 0
    .symbol:         _ZN7rocprim17ROCPRIM_400000_NS6detail17trampoline_kernelINS0_13select_configILj256ELj13ELNS0_17block_load_methodE3ELS4_3ELS4_3ELNS0_20block_scan_algorithmE0ELj4294967295EEENS1_25partition_config_selectorILNS1_17partition_subalgoE3EjNS0_10empty_typeEbEEZZNS1_14partition_implILS8_3ELb0ES6_jNS0_17counting_iteratorIjlEEPS9_SE_NS0_5tupleIJPjSE_EEENSF_IJSE_SE_EEES9_SG_JZNS1_25segmented_radix_sort_implINS0_14default_configELb1EPKsPsPKlPlN2at6native12_GLOBAL__N_18offset_tEEE10hipError_tPvRmT1_PNSt15iterator_traitsISY_E10value_typeET2_T3_PNSZ_IS14_E10value_typeET4_jRbjT5_S1A_jjP12ihipStream_tbEUljE_EEESV_SW_SX_S14_S18_S1A_T6_T7_T9_mT8_S1C_bDpT10_ENKUlT_T0_E_clISt17integral_constantIbLb1EES1P_EEDaS1K_S1L_EUlS1K_E_NS1_11comp_targetILNS1_3genE3ELNS1_11target_archE908ELNS1_3gpuE7ELNS1_3repE0EEENS1_30default_config_static_selectorELNS0_4arch9wavefront6targetE1EEEvSY_.kd
    .uniform_work_group_size: 1
    .uses_dynamic_stack: false
    .vgpr_count:     0
    .vgpr_spill_count: 0
    .wavefront_size: 64
  - .agpr_count:     0
    .args:
      - .offset:         0
        .size:           152
        .value_kind:     by_value
    .group_segment_fixed_size: 0
    .kernarg_segment_align: 8
    .kernarg_segment_size: 152
    .language:       OpenCL C
    .language_version:
      - 2
      - 0
    .max_flat_workgroup_size: 256
    .name:           _ZN7rocprim17ROCPRIM_400000_NS6detail17trampoline_kernelINS0_13select_configILj256ELj13ELNS0_17block_load_methodE3ELS4_3ELS4_3ELNS0_20block_scan_algorithmE0ELj4294967295EEENS1_25partition_config_selectorILNS1_17partition_subalgoE3EjNS0_10empty_typeEbEEZZNS1_14partition_implILS8_3ELb0ES6_jNS0_17counting_iteratorIjlEEPS9_SE_NS0_5tupleIJPjSE_EEENSF_IJSE_SE_EEES9_SG_JZNS1_25segmented_radix_sort_implINS0_14default_configELb1EPKsPsPKlPlN2at6native12_GLOBAL__N_18offset_tEEE10hipError_tPvRmT1_PNSt15iterator_traitsISY_E10value_typeET2_T3_PNSZ_IS14_E10value_typeET4_jRbjT5_S1A_jjP12ihipStream_tbEUljE_EEESV_SW_SX_S14_S18_S1A_T6_T7_T9_mT8_S1C_bDpT10_ENKUlT_T0_E_clISt17integral_constantIbLb1EES1P_EEDaS1K_S1L_EUlS1K_E_NS1_11comp_targetILNS1_3genE2ELNS1_11target_archE906ELNS1_3gpuE6ELNS1_3repE0EEENS1_30default_config_static_selectorELNS0_4arch9wavefront6targetE1EEEvSY_
    .private_segment_fixed_size: 0
    .sgpr_count:     4
    .sgpr_spill_count: 0
    .symbol:         _ZN7rocprim17ROCPRIM_400000_NS6detail17trampoline_kernelINS0_13select_configILj256ELj13ELNS0_17block_load_methodE3ELS4_3ELS4_3ELNS0_20block_scan_algorithmE0ELj4294967295EEENS1_25partition_config_selectorILNS1_17partition_subalgoE3EjNS0_10empty_typeEbEEZZNS1_14partition_implILS8_3ELb0ES6_jNS0_17counting_iteratorIjlEEPS9_SE_NS0_5tupleIJPjSE_EEENSF_IJSE_SE_EEES9_SG_JZNS1_25segmented_radix_sort_implINS0_14default_configELb1EPKsPsPKlPlN2at6native12_GLOBAL__N_18offset_tEEE10hipError_tPvRmT1_PNSt15iterator_traitsISY_E10value_typeET2_T3_PNSZ_IS14_E10value_typeET4_jRbjT5_S1A_jjP12ihipStream_tbEUljE_EEESV_SW_SX_S14_S18_S1A_T6_T7_T9_mT8_S1C_bDpT10_ENKUlT_T0_E_clISt17integral_constantIbLb1EES1P_EEDaS1K_S1L_EUlS1K_E_NS1_11comp_targetILNS1_3genE2ELNS1_11target_archE906ELNS1_3gpuE6ELNS1_3repE0EEENS1_30default_config_static_selectorELNS0_4arch9wavefront6targetE1EEEvSY_.kd
    .uniform_work_group_size: 1
    .uses_dynamic_stack: false
    .vgpr_count:     0
    .vgpr_spill_count: 0
    .wavefront_size: 64
  - .agpr_count:     0
    .args:
      - .offset:         0
        .size:           152
        .value_kind:     by_value
    .group_segment_fixed_size: 0
    .kernarg_segment_align: 8
    .kernarg_segment_size: 152
    .language:       OpenCL C
    .language_version:
      - 2
      - 0
    .max_flat_workgroup_size: 256
    .name:           _ZN7rocprim17ROCPRIM_400000_NS6detail17trampoline_kernelINS0_13select_configILj256ELj13ELNS0_17block_load_methodE3ELS4_3ELS4_3ELNS0_20block_scan_algorithmE0ELj4294967295EEENS1_25partition_config_selectorILNS1_17partition_subalgoE3EjNS0_10empty_typeEbEEZZNS1_14partition_implILS8_3ELb0ES6_jNS0_17counting_iteratorIjlEEPS9_SE_NS0_5tupleIJPjSE_EEENSF_IJSE_SE_EEES9_SG_JZNS1_25segmented_radix_sort_implINS0_14default_configELb1EPKsPsPKlPlN2at6native12_GLOBAL__N_18offset_tEEE10hipError_tPvRmT1_PNSt15iterator_traitsISY_E10value_typeET2_T3_PNSZ_IS14_E10value_typeET4_jRbjT5_S1A_jjP12ihipStream_tbEUljE_EEESV_SW_SX_S14_S18_S1A_T6_T7_T9_mT8_S1C_bDpT10_ENKUlT_T0_E_clISt17integral_constantIbLb1EES1P_EEDaS1K_S1L_EUlS1K_E_NS1_11comp_targetILNS1_3genE10ELNS1_11target_archE1200ELNS1_3gpuE4ELNS1_3repE0EEENS1_30default_config_static_selectorELNS0_4arch9wavefront6targetE1EEEvSY_
    .private_segment_fixed_size: 0
    .sgpr_count:     4
    .sgpr_spill_count: 0
    .symbol:         _ZN7rocprim17ROCPRIM_400000_NS6detail17trampoline_kernelINS0_13select_configILj256ELj13ELNS0_17block_load_methodE3ELS4_3ELS4_3ELNS0_20block_scan_algorithmE0ELj4294967295EEENS1_25partition_config_selectorILNS1_17partition_subalgoE3EjNS0_10empty_typeEbEEZZNS1_14partition_implILS8_3ELb0ES6_jNS0_17counting_iteratorIjlEEPS9_SE_NS0_5tupleIJPjSE_EEENSF_IJSE_SE_EEES9_SG_JZNS1_25segmented_radix_sort_implINS0_14default_configELb1EPKsPsPKlPlN2at6native12_GLOBAL__N_18offset_tEEE10hipError_tPvRmT1_PNSt15iterator_traitsISY_E10value_typeET2_T3_PNSZ_IS14_E10value_typeET4_jRbjT5_S1A_jjP12ihipStream_tbEUljE_EEESV_SW_SX_S14_S18_S1A_T6_T7_T9_mT8_S1C_bDpT10_ENKUlT_T0_E_clISt17integral_constantIbLb1EES1P_EEDaS1K_S1L_EUlS1K_E_NS1_11comp_targetILNS1_3genE10ELNS1_11target_archE1200ELNS1_3gpuE4ELNS1_3repE0EEENS1_30default_config_static_selectorELNS0_4arch9wavefront6targetE1EEEvSY_.kd
    .uniform_work_group_size: 1
    .uses_dynamic_stack: false
    .vgpr_count:     0
    .vgpr_spill_count: 0
    .wavefront_size: 64
  - .agpr_count:     0
    .args:
      - .offset:         0
        .size:           152
        .value_kind:     by_value
    .group_segment_fixed_size: 0
    .kernarg_segment_align: 8
    .kernarg_segment_size: 152
    .language:       OpenCL C
    .language_version:
      - 2
      - 0
    .max_flat_workgroup_size: 256
    .name:           _ZN7rocprim17ROCPRIM_400000_NS6detail17trampoline_kernelINS0_13select_configILj256ELj13ELNS0_17block_load_methodE3ELS4_3ELS4_3ELNS0_20block_scan_algorithmE0ELj4294967295EEENS1_25partition_config_selectorILNS1_17partition_subalgoE3EjNS0_10empty_typeEbEEZZNS1_14partition_implILS8_3ELb0ES6_jNS0_17counting_iteratorIjlEEPS9_SE_NS0_5tupleIJPjSE_EEENSF_IJSE_SE_EEES9_SG_JZNS1_25segmented_radix_sort_implINS0_14default_configELb1EPKsPsPKlPlN2at6native12_GLOBAL__N_18offset_tEEE10hipError_tPvRmT1_PNSt15iterator_traitsISY_E10value_typeET2_T3_PNSZ_IS14_E10value_typeET4_jRbjT5_S1A_jjP12ihipStream_tbEUljE_EEESV_SW_SX_S14_S18_S1A_T6_T7_T9_mT8_S1C_bDpT10_ENKUlT_T0_E_clISt17integral_constantIbLb1EES1P_EEDaS1K_S1L_EUlS1K_E_NS1_11comp_targetILNS1_3genE9ELNS1_11target_archE1100ELNS1_3gpuE3ELNS1_3repE0EEENS1_30default_config_static_selectorELNS0_4arch9wavefront6targetE1EEEvSY_
    .private_segment_fixed_size: 0
    .sgpr_count:     4
    .sgpr_spill_count: 0
    .symbol:         _ZN7rocprim17ROCPRIM_400000_NS6detail17trampoline_kernelINS0_13select_configILj256ELj13ELNS0_17block_load_methodE3ELS4_3ELS4_3ELNS0_20block_scan_algorithmE0ELj4294967295EEENS1_25partition_config_selectorILNS1_17partition_subalgoE3EjNS0_10empty_typeEbEEZZNS1_14partition_implILS8_3ELb0ES6_jNS0_17counting_iteratorIjlEEPS9_SE_NS0_5tupleIJPjSE_EEENSF_IJSE_SE_EEES9_SG_JZNS1_25segmented_radix_sort_implINS0_14default_configELb1EPKsPsPKlPlN2at6native12_GLOBAL__N_18offset_tEEE10hipError_tPvRmT1_PNSt15iterator_traitsISY_E10value_typeET2_T3_PNSZ_IS14_E10value_typeET4_jRbjT5_S1A_jjP12ihipStream_tbEUljE_EEESV_SW_SX_S14_S18_S1A_T6_T7_T9_mT8_S1C_bDpT10_ENKUlT_T0_E_clISt17integral_constantIbLb1EES1P_EEDaS1K_S1L_EUlS1K_E_NS1_11comp_targetILNS1_3genE9ELNS1_11target_archE1100ELNS1_3gpuE3ELNS1_3repE0EEENS1_30default_config_static_selectorELNS0_4arch9wavefront6targetE1EEEvSY_.kd
    .uniform_work_group_size: 1
    .uses_dynamic_stack: false
    .vgpr_count:     0
    .vgpr_spill_count: 0
    .wavefront_size: 64
  - .agpr_count:     0
    .args:
      - .offset:         0
        .size:           152
        .value_kind:     by_value
    .group_segment_fixed_size: 0
    .kernarg_segment_align: 8
    .kernarg_segment_size: 152
    .language:       OpenCL C
    .language_version:
      - 2
      - 0
    .max_flat_workgroup_size: 256
    .name:           _ZN7rocprim17ROCPRIM_400000_NS6detail17trampoline_kernelINS0_13select_configILj256ELj13ELNS0_17block_load_methodE3ELS4_3ELS4_3ELNS0_20block_scan_algorithmE0ELj4294967295EEENS1_25partition_config_selectorILNS1_17partition_subalgoE3EjNS0_10empty_typeEbEEZZNS1_14partition_implILS8_3ELb0ES6_jNS0_17counting_iteratorIjlEEPS9_SE_NS0_5tupleIJPjSE_EEENSF_IJSE_SE_EEES9_SG_JZNS1_25segmented_radix_sort_implINS0_14default_configELb1EPKsPsPKlPlN2at6native12_GLOBAL__N_18offset_tEEE10hipError_tPvRmT1_PNSt15iterator_traitsISY_E10value_typeET2_T3_PNSZ_IS14_E10value_typeET4_jRbjT5_S1A_jjP12ihipStream_tbEUljE_EEESV_SW_SX_S14_S18_S1A_T6_T7_T9_mT8_S1C_bDpT10_ENKUlT_T0_E_clISt17integral_constantIbLb1EES1P_EEDaS1K_S1L_EUlS1K_E_NS1_11comp_targetILNS1_3genE8ELNS1_11target_archE1030ELNS1_3gpuE2ELNS1_3repE0EEENS1_30default_config_static_selectorELNS0_4arch9wavefront6targetE1EEEvSY_
    .private_segment_fixed_size: 0
    .sgpr_count:     4
    .sgpr_spill_count: 0
    .symbol:         _ZN7rocprim17ROCPRIM_400000_NS6detail17trampoline_kernelINS0_13select_configILj256ELj13ELNS0_17block_load_methodE3ELS4_3ELS4_3ELNS0_20block_scan_algorithmE0ELj4294967295EEENS1_25partition_config_selectorILNS1_17partition_subalgoE3EjNS0_10empty_typeEbEEZZNS1_14partition_implILS8_3ELb0ES6_jNS0_17counting_iteratorIjlEEPS9_SE_NS0_5tupleIJPjSE_EEENSF_IJSE_SE_EEES9_SG_JZNS1_25segmented_radix_sort_implINS0_14default_configELb1EPKsPsPKlPlN2at6native12_GLOBAL__N_18offset_tEEE10hipError_tPvRmT1_PNSt15iterator_traitsISY_E10value_typeET2_T3_PNSZ_IS14_E10value_typeET4_jRbjT5_S1A_jjP12ihipStream_tbEUljE_EEESV_SW_SX_S14_S18_S1A_T6_T7_T9_mT8_S1C_bDpT10_ENKUlT_T0_E_clISt17integral_constantIbLb1EES1P_EEDaS1K_S1L_EUlS1K_E_NS1_11comp_targetILNS1_3genE8ELNS1_11target_archE1030ELNS1_3gpuE2ELNS1_3repE0EEENS1_30default_config_static_selectorELNS0_4arch9wavefront6targetE1EEEvSY_.kd
    .uniform_work_group_size: 1
    .uses_dynamic_stack: false
    .vgpr_count:     0
    .vgpr_spill_count: 0
    .wavefront_size: 64
  - .agpr_count:     0
    .args:
      - .offset:         0
        .size:           144
        .value_kind:     by_value
    .group_segment_fixed_size: 0
    .kernarg_segment_align: 8
    .kernarg_segment_size: 144
    .language:       OpenCL C
    .language_version:
      - 2
      - 0
    .max_flat_workgroup_size: 256
    .name:           _ZN7rocprim17ROCPRIM_400000_NS6detail17trampoline_kernelINS0_13select_configILj256ELj13ELNS0_17block_load_methodE3ELS4_3ELS4_3ELNS0_20block_scan_algorithmE0ELj4294967295EEENS1_25partition_config_selectorILNS1_17partition_subalgoE3EjNS0_10empty_typeEbEEZZNS1_14partition_implILS8_3ELb0ES6_jNS0_17counting_iteratorIjlEEPS9_SE_NS0_5tupleIJPjSE_EEENSF_IJSE_SE_EEES9_SG_JZNS1_25segmented_radix_sort_implINS0_14default_configELb1EPKsPsPKlPlN2at6native12_GLOBAL__N_18offset_tEEE10hipError_tPvRmT1_PNSt15iterator_traitsISY_E10value_typeET2_T3_PNSZ_IS14_E10value_typeET4_jRbjT5_S1A_jjP12ihipStream_tbEUljE_EEESV_SW_SX_S14_S18_S1A_T6_T7_T9_mT8_S1C_bDpT10_ENKUlT_T0_E_clISt17integral_constantIbLb1EES1O_IbLb0EEEEDaS1K_S1L_EUlS1K_E_NS1_11comp_targetILNS1_3genE0ELNS1_11target_archE4294967295ELNS1_3gpuE0ELNS1_3repE0EEENS1_30default_config_static_selectorELNS0_4arch9wavefront6targetE1EEEvSY_
    .private_segment_fixed_size: 0
    .sgpr_count:     4
    .sgpr_spill_count: 0
    .symbol:         _ZN7rocprim17ROCPRIM_400000_NS6detail17trampoline_kernelINS0_13select_configILj256ELj13ELNS0_17block_load_methodE3ELS4_3ELS4_3ELNS0_20block_scan_algorithmE0ELj4294967295EEENS1_25partition_config_selectorILNS1_17partition_subalgoE3EjNS0_10empty_typeEbEEZZNS1_14partition_implILS8_3ELb0ES6_jNS0_17counting_iteratorIjlEEPS9_SE_NS0_5tupleIJPjSE_EEENSF_IJSE_SE_EEES9_SG_JZNS1_25segmented_radix_sort_implINS0_14default_configELb1EPKsPsPKlPlN2at6native12_GLOBAL__N_18offset_tEEE10hipError_tPvRmT1_PNSt15iterator_traitsISY_E10value_typeET2_T3_PNSZ_IS14_E10value_typeET4_jRbjT5_S1A_jjP12ihipStream_tbEUljE_EEESV_SW_SX_S14_S18_S1A_T6_T7_T9_mT8_S1C_bDpT10_ENKUlT_T0_E_clISt17integral_constantIbLb1EES1O_IbLb0EEEEDaS1K_S1L_EUlS1K_E_NS1_11comp_targetILNS1_3genE0ELNS1_11target_archE4294967295ELNS1_3gpuE0ELNS1_3repE0EEENS1_30default_config_static_selectorELNS0_4arch9wavefront6targetE1EEEvSY_.kd
    .uniform_work_group_size: 1
    .uses_dynamic_stack: false
    .vgpr_count:     0
    .vgpr_spill_count: 0
    .wavefront_size: 64
  - .agpr_count:     0
    .args:
      - .offset:         0
        .size:           144
        .value_kind:     by_value
    .group_segment_fixed_size: 0
    .kernarg_segment_align: 8
    .kernarg_segment_size: 144
    .language:       OpenCL C
    .language_version:
      - 2
      - 0
    .max_flat_workgroup_size: 256
    .name:           _ZN7rocprim17ROCPRIM_400000_NS6detail17trampoline_kernelINS0_13select_configILj256ELj13ELNS0_17block_load_methodE3ELS4_3ELS4_3ELNS0_20block_scan_algorithmE0ELj4294967295EEENS1_25partition_config_selectorILNS1_17partition_subalgoE3EjNS0_10empty_typeEbEEZZNS1_14partition_implILS8_3ELb0ES6_jNS0_17counting_iteratorIjlEEPS9_SE_NS0_5tupleIJPjSE_EEENSF_IJSE_SE_EEES9_SG_JZNS1_25segmented_radix_sort_implINS0_14default_configELb1EPKsPsPKlPlN2at6native12_GLOBAL__N_18offset_tEEE10hipError_tPvRmT1_PNSt15iterator_traitsISY_E10value_typeET2_T3_PNSZ_IS14_E10value_typeET4_jRbjT5_S1A_jjP12ihipStream_tbEUljE_EEESV_SW_SX_S14_S18_S1A_T6_T7_T9_mT8_S1C_bDpT10_ENKUlT_T0_E_clISt17integral_constantIbLb1EES1O_IbLb0EEEEDaS1K_S1L_EUlS1K_E_NS1_11comp_targetILNS1_3genE5ELNS1_11target_archE942ELNS1_3gpuE9ELNS1_3repE0EEENS1_30default_config_static_selectorELNS0_4arch9wavefront6targetE1EEEvSY_
    .private_segment_fixed_size: 0
    .sgpr_count:     4
    .sgpr_spill_count: 0
    .symbol:         _ZN7rocprim17ROCPRIM_400000_NS6detail17trampoline_kernelINS0_13select_configILj256ELj13ELNS0_17block_load_methodE3ELS4_3ELS4_3ELNS0_20block_scan_algorithmE0ELj4294967295EEENS1_25partition_config_selectorILNS1_17partition_subalgoE3EjNS0_10empty_typeEbEEZZNS1_14partition_implILS8_3ELb0ES6_jNS0_17counting_iteratorIjlEEPS9_SE_NS0_5tupleIJPjSE_EEENSF_IJSE_SE_EEES9_SG_JZNS1_25segmented_radix_sort_implINS0_14default_configELb1EPKsPsPKlPlN2at6native12_GLOBAL__N_18offset_tEEE10hipError_tPvRmT1_PNSt15iterator_traitsISY_E10value_typeET2_T3_PNSZ_IS14_E10value_typeET4_jRbjT5_S1A_jjP12ihipStream_tbEUljE_EEESV_SW_SX_S14_S18_S1A_T6_T7_T9_mT8_S1C_bDpT10_ENKUlT_T0_E_clISt17integral_constantIbLb1EES1O_IbLb0EEEEDaS1K_S1L_EUlS1K_E_NS1_11comp_targetILNS1_3genE5ELNS1_11target_archE942ELNS1_3gpuE9ELNS1_3repE0EEENS1_30default_config_static_selectorELNS0_4arch9wavefront6targetE1EEEvSY_.kd
    .uniform_work_group_size: 1
    .uses_dynamic_stack: false
    .vgpr_count:     0
    .vgpr_spill_count: 0
    .wavefront_size: 64
  - .agpr_count:     0
    .args:
      - .offset:         0
        .size:           144
        .value_kind:     by_value
    .group_segment_fixed_size: 13324
    .kernarg_segment_align: 8
    .kernarg_segment_size: 144
    .language:       OpenCL C
    .language_version:
      - 2
      - 0
    .max_flat_workgroup_size: 256
    .name:           _ZN7rocprim17ROCPRIM_400000_NS6detail17trampoline_kernelINS0_13select_configILj256ELj13ELNS0_17block_load_methodE3ELS4_3ELS4_3ELNS0_20block_scan_algorithmE0ELj4294967295EEENS1_25partition_config_selectorILNS1_17partition_subalgoE3EjNS0_10empty_typeEbEEZZNS1_14partition_implILS8_3ELb0ES6_jNS0_17counting_iteratorIjlEEPS9_SE_NS0_5tupleIJPjSE_EEENSF_IJSE_SE_EEES9_SG_JZNS1_25segmented_radix_sort_implINS0_14default_configELb1EPKsPsPKlPlN2at6native12_GLOBAL__N_18offset_tEEE10hipError_tPvRmT1_PNSt15iterator_traitsISY_E10value_typeET2_T3_PNSZ_IS14_E10value_typeET4_jRbjT5_S1A_jjP12ihipStream_tbEUljE_EEESV_SW_SX_S14_S18_S1A_T6_T7_T9_mT8_S1C_bDpT10_ENKUlT_T0_E_clISt17integral_constantIbLb1EES1O_IbLb0EEEEDaS1K_S1L_EUlS1K_E_NS1_11comp_targetILNS1_3genE4ELNS1_11target_archE910ELNS1_3gpuE8ELNS1_3repE0EEENS1_30default_config_static_selectorELNS0_4arch9wavefront6targetE1EEEvSY_
    .private_segment_fixed_size: 0
    .sgpr_count:     50
    .sgpr_spill_count: 0
    .symbol:         _ZN7rocprim17ROCPRIM_400000_NS6detail17trampoline_kernelINS0_13select_configILj256ELj13ELNS0_17block_load_methodE3ELS4_3ELS4_3ELNS0_20block_scan_algorithmE0ELj4294967295EEENS1_25partition_config_selectorILNS1_17partition_subalgoE3EjNS0_10empty_typeEbEEZZNS1_14partition_implILS8_3ELb0ES6_jNS0_17counting_iteratorIjlEEPS9_SE_NS0_5tupleIJPjSE_EEENSF_IJSE_SE_EEES9_SG_JZNS1_25segmented_radix_sort_implINS0_14default_configELb1EPKsPsPKlPlN2at6native12_GLOBAL__N_18offset_tEEE10hipError_tPvRmT1_PNSt15iterator_traitsISY_E10value_typeET2_T3_PNSZ_IS14_E10value_typeET4_jRbjT5_S1A_jjP12ihipStream_tbEUljE_EEESV_SW_SX_S14_S18_S1A_T6_T7_T9_mT8_S1C_bDpT10_ENKUlT_T0_E_clISt17integral_constantIbLb1EES1O_IbLb0EEEEDaS1K_S1L_EUlS1K_E_NS1_11comp_targetILNS1_3genE4ELNS1_11target_archE910ELNS1_3gpuE8ELNS1_3repE0EEENS1_30default_config_static_selectorELNS0_4arch9wavefront6targetE1EEEvSY_.kd
    .uniform_work_group_size: 1
    .uses_dynamic_stack: false
    .vgpr_count:     61
    .vgpr_spill_count: 0
    .wavefront_size: 64
  - .agpr_count:     0
    .args:
      - .offset:         0
        .size:           144
        .value_kind:     by_value
    .group_segment_fixed_size: 0
    .kernarg_segment_align: 8
    .kernarg_segment_size: 144
    .language:       OpenCL C
    .language_version:
      - 2
      - 0
    .max_flat_workgroup_size: 256
    .name:           _ZN7rocprim17ROCPRIM_400000_NS6detail17trampoline_kernelINS0_13select_configILj256ELj13ELNS0_17block_load_methodE3ELS4_3ELS4_3ELNS0_20block_scan_algorithmE0ELj4294967295EEENS1_25partition_config_selectorILNS1_17partition_subalgoE3EjNS0_10empty_typeEbEEZZNS1_14partition_implILS8_3ELb0ES6_jNS0_17counting_iteratorIjlEEPS9_SE_NS0_5tupleIJPjSE_EEENSF_IJSE_SE_EEES9_SG_JZNS1_25segmented_radix_sort_implINS0_14default_configELb1EPKsPsPKlPlN2at6native12_GLOBAL__N_18offset_tEEE10hipError_tPvRmT1_PNSt15iterator_traitsISY_E10value_typeET2_T3_PNSZ_IS14_E10value_typeET4_jRbjT5_S1A_jjP12ihipStream_tbEUljE_EEESV_SW_SX_S14_S18_S1A_T6_T7_T9_mT8_S1C_bDpT10_ENKUlT_T0_E_clISt17integral_constantIbLb1EES1O_IbLb0EEEEDaS1K_S1L_EUlS1K_E_NS1_11comp_targetILNS1_3genE3ELNS1_11target_archE908ELNS1_3gpuE7ELNS1_3repE0EEENS1_30default_config_static_selectorELNS0_4arch9wavefront6targetE1EEEvSY_
    .private_segment_fixed_size: 0
    .sgpr_count:     4
    .sgpr_spill_count: 0
    .symbol:         _ZN7rocprim17ROCPRIM_400000_NS6detail17trampoline_kernelINS0_13select_configILj256ELj13ELNS0_17block_load_methodE3ELS4_3ELS4_3ELNS0_20block_scan_algorithmE0ELj4294967295EEENS1_25partition_config_selectorILNS1_17partition_subalgoE3EjNS0_10empty_typeEbEEZZNS1_14partition_implILS8_3ELb0ES6_jNS0_17counting_iteratorIjlEEPS9_SE_NS0_5tupleIJPjSE_EEENSF_IJSE_SE_EEES9_SG_JZNS1_25segmented_radix_sort_implINS0_14default_configELb1EPKsPsPKlPlN2at6native12_GLOBAL__N_18offset_tEEE10hipError_tPvRmT1_PNSt15iterator_traitsISY_E10value_typeET2_T3_PNSZ_IS14_E10value_typeET4_jRbjT5_S1A_jjP12ihipStream_tbEUljE_EEESV_SW_SX_S14_S18_S1A_T6_T7_T9_mT8_S1C_bDpT10_ENKUlT_T0_E_clISt17integral_constantIbLb1EES1O_IbLb0EEEEDaS1K_S1L_EUlS1K_E_NS1_11comp_targetILNS1_3genE3ELNS1_11target_archE908ELNS1_3gpuE7ELNS1_3repE0EEENS1_30default_config_static_selectorELNS0_4arch9wavefront6targetE1EEEvSY_.kd
    .uniform_work_group_size: 1
    .uses_dynamic_stack: false
    .vgpr_count:     0
    .vgpr_spill_count: 0
    .wavefront_size: 64
  - .agpr_count:     0
    .args:
      - .offset:         0
        .size:           144
        .value_kind:     by_value
    .group_segment_fixed_size: 0
    .kernarg_segment_align: 8
    .kernarg_segment_size: 144
    .language:       OpenCL C
    .language_version:
      - 2
      - 0
    .max_flat_workgroup_size: 256
    .name:           _ZN7rocprim17ROCPRIM_400000_NS6detail17trampoline_kernelINS0_13select_configILj256ELj13ELNS0_17block_load_methodE3ELS4_3ELS4_3ELNS0_20block_scan_algorithmE0ELj4294967295EEENS1_25partition_config_selectorILNS1_17partition_subalgoE3EjNS0_10empty_typeEbEEZZNS1_14partition_implILS8_3ELb0ES6_jNS0_17counting_iteratorIjlEEPS9_SE_NS0_5tupleIJPjSE_EEENSF_IJSE_SE_EEES9_SG_JZNS1_25segmented_radix_sort_implINS0_14default_configELb1EPKsPsPKlPlN2at6native12_GLOBAL__N_18offset_tEEE10hipError_tPvRmT1_PNSt15iterator_traitsISY_E10value_typeET2_T3_PNSZ_IS14_E10value_typeET4_jRbjT5_S1A_jjP12ihipStream_tbEUljE_EEESV_SW_SX_S14_S18_S1A_T6_T7_T9_mT8_S1C_bDpT10_ENKUlT_T0_E_clISt17integral_constantIbLb1EES1O_IbLb0EEEEDaS1K_S1L_EUlS1K_E_NS1_11comp_targetILNS1_3genE2ELNS1_11target_archE906ELNS1_3gpuE6ELNS1_3repE0EEENS1_30default_config_static_selectorELNS0_4arch9wavefront6targetE1EEEvSY_
    .private_segment_fixed_size: 0
    .sgpr_count:     4
    .sgpr_spill_count: 0
    .symbol:         _ZN7rocprim17ROCPRIM_400000_NS6detail17trampoline_kernelINS0_13select_configILj256ELj13ELNS0_17block_load_methodE3ELS4_3ELS4_3ELNS0_20block_scan_algorithmE0ELj4294967295EEENS1_25partition_config_selectorILNS1_17partition_subalgoE3EjNS0_10empty_typeEbEEZZNS1_14partition_implILS8_3ELb0ES6_jNS0_17counting_iteratorIjlEEPS9_SE_NS0_5tupleIJPjSE_EEENSF_IJSE_SE_EEES9_SG_JZNS1_25segmented_radix_sort_implINS0_14default_configELb1EPKsPsPKlPlN2at6native12_GLOBAL__N_18offset_tEEE10hipError_tPvRmT1_PNSt15iterator_traitsISY_E10value_typeET2_T3_PNSZ_IS14_E10value_typeET4_jRbjT5_S1A_jjP12ihipStream_tbEUljE_EEESV_SW_SX_S14_S18_S1A_T6_T7_T9_mT8_S1C_bDpT10_ENKUlT_T0_E_clISt17integral_constantIbLb1EES1O_IbLb0EEEEDaS1K_S1L_EUlS1K_E_NS1_11comp_targetILNS1_3genE2ELNS1_11target_archE906ELNS1_3gpuE6ELNS1_3repE0EEENS1_30default_config_static_selectorELNS0_4arch9wavefront6targetE1EEEvSY_.kd
    .uniform_work_group_size: 1
    .uses_dynamic_stack: false
    .vgpr_count:     0
    .vgpr_spill_count: 0
    .wavefront_size: 64
  - .agpr_count:     0
    .args:
      - .offset:         0
        .size:           144
        .value_kind:     by_value
    .group_segment_fixed_size: 0
    .kernarg_segment_align: 8
    .kernarg_segment_size: 144
    .language:       OpenCL C
    .language_version:
      - 2
      - 0
    .max_flat_workgroup_size: 256
    .name:           _ZN7rocprim17ROCPRIM_400000_NS6detail17trampoline_kernelINS0_13select_configILj256ELj13ELNS0_17block_load_methodE3ELS4_3ELS4_3ELNS0_20block_scan_algorithmE0ELj4294967295EEENS1_25partition_config_selectorILNS1_17partition_subalgoE3EjNS0_10empty_typeEbEEZZNS1_14partition_implILS8_3ELb0ES6_jNS0_17counting_iteratorIjlEEPS9_SE_NS0_5tupleIJPjSE_EEENSF_IJSE_SE_EEES9_SG_JZNS1_25segmented_radix_sort_implINS0_14default_configELb1EPKsPsPKlPlN2at6native12_GLOBAL__N_18offset_tEEE10hipError_tPvRmT1_PNSt15iterator_traitsISY_E10value_typeET2_T3_PNSZ_IS14_E10value_typeET4_jRbjT5_S1A_jjP12ihipStream_tbEUljE_EEESV_SW_SX_S14_S18_S1A_T6_T7_T9_mT8_S1C_bDpT10_ENKUlT_T0_E_clISt17integral_constantIbLb1EES1O_IbLb0EEEEDaS1K_S1L_EUlS1K_E_NS1_11comp_targetILNS1_3genE10ELNS1_11target_archE1200ELNS1_3gpuE4ELNS1_3repE0EEENS1_30default_config_static_selectorELNS0_4arch9wavefront6targetE1EEEvSY_
    .private_segment_fixed_size: 0
    .sgpr_count:     4
    .sgpr_spill_count: 0
    .symbol:         _ZN7rocprim17ROCPRIM_400000_NS6detail17trampoline_kernelINS0_13select_configILj256ELj13ELNS0_17block_load_methodE3ELS4_3ELS4_3ELNS0_20block_scan_algorithmE0ELj4294967295EEENS1_25partition_config_selectorILNS1_17partition_subalgoE3EjNS0_10empty_typeEbEEZZNS1_14partition_implILS8_3ELb0ES6_jNS0_17counting_iteratorIjlEEPS9_SE_NS0_5tupleIJPjSE_EEENSF_IJSE_SE_EEES9_SG_JZNS1_25segmented_radix_sort_implINS0_14default_configELb1EPKsPsPKlPlN2at6native12_GLOBAL__N_18offset_tEEE10hipError_tPvRmT1_PNSt15iterator_traitsISY_E10value_typeET2_T3_PNSZ_IS14_E10value_typeET4_jRbjT5_S1A_jjP12ihipStream_tbEUljE_EEESV_SW_SX_S14_S18_S1A_T6_T7_T9_mT8_S1C_bDpT10_ENKUlT_T0_E_clISt17integral_constantIbLb1EES1O_IbLb0EEEEDaS1K_S1L_EUlS1K_E_NS1_11comp_targetILNS1_3genE10ELNS1_11target_archE1200ELNS1_3gpuE4ELNS1_3repE0EEENS1_30default_config_static_selectorELNS0_4arch9wavefront6targetE1EEEvSY_.kd
    .uniform_work_group_size: 1
    .uses_dynamic_stack: false
    .vgpr_count:     0
    .vgpr_spill_count: 0
    .wavefront_size: 64
  - .agpr_count:     0
    .args:
      - .offset:         0
        .size:           144
        .value_kind:     by_value
    .group_segment_fixed_size: 0
    .kernarg_segment_align: 8
    .kernarg_segment_size: 144
    .language:       OpenCL C
    .language_version:
      - 2
      - 0
    .max_flat_workgroup_size: 256
    .name:           _ZN7rocprim17ROCPRIM_400000_NS6detail17trampoline_kernelINS0_13select_configILj256ELj13ELNS0_17block_load_methodE3ELS4_3ELS4_3ELNS0_20block_scan_algorithmE0ELj4294967295EEENS1_25partition_config_selectorILNS1_17partition_subalgoE3EjNS0_10empty_typeEbEEZZNS1_14partition_implILS8_3ELb0ES6_jNS0_17counting_iteratorIjlEEPS9_SE_NS0_5tupleIJPjSE_EEENSF_IJSE_SE_EEES9_SG_JZNS1_25segmented_radix_sort_implINS0_14default_configELb1EPKsPsPKlPlN2at6native12_GLOBAL__N_18offset_tEEE10hipError_tPvRmT1_PNSt15iterator_traitsISY_E10value_typeET2_T3_PNSZ_IS14_E10value_typeET4_jRbjT5_S1A_jjP12ihipStream_tbEUljE_EEESV_SW_SX_S14_S18_S1A_T6_T7_T9_mT8_S1C_bDpT10_ENKUlT_T0_E_clISt17integral_constantIbLb1EES1O_IbLb0EEEEDaS1K_S1L_EUlS1K_E_NS1_11comp_targetILNS1_3genE9ELNS1_11target_archE1100ELNS1_3gpuE3ELNS1_3repE0EEENS1_30default_config_static_selectorELNS0_4arch9wavefront6targetE1EEEvSY_
    .private_segment_fixed_size: 0
    .sgpr_count:     4
    .sgpr_spill_count: 0
    .symbol:         _ZN7rocprim17ROCPRIM_400000_NS6detail17trampoline_kernelINS0_13select_configILj256ELj13ELNS0_17block_load_methodE3ELS4_3ELS4_3ELNS0_20block_scan_algorithmE0ELj4294967295EEENS1_25partition_config_selectorILNS1_17partition_subalgoE3EjNS0_10empty_typeEbEEZZNS1_14partition_implILS8_3ELb0ES6_jNS0_17counting_iteratorIjlEEPS9_SE_NS0_5tupleIJPjSE_EEENSF_IJSE_SE_EEES9_SG_JZNS1_25segmented_radix_sort_implINS0_14default_configELb1EPKsPsPKlPlN2at6native12_GLOBAL__N_18offset_tEEE10hipError_tPvRmT1_PNSt15iterator_traitsISY_E10value_typeET2_T3_PNSZ_IS14_E10value_typeET4_jRbjT5_S1A_jjP12ihipStream_tbEUljE_EEESV_SW_SX_S14_S18_S1A_T6_T7_T9_mT8_S1C_bDpT10_ENKUlT_T0_E_clISt17integral_constantIbLb1EES1O_IbLb0EEEEDaS1K_S1L_EUlS1K_E_NS1_11comp_targetILNS1_3genE9ELNS1_11target_archE1100ELNS1_3gpuE3ELNS1_3repE0EEENS1_30default_config_static_selectorELNS0_4arch9wavefront6targetE1EEEvSY_.kd
    .uniform_work_group_size: 1
    .uses_dynamic_stack: false
    .vgpr_count:     0
    .vgpr_spill_count: 0
    .wavefront_size: 64
  - .agpr_count:     0
    .args:
      - .offset:         0
        .size:           144
        .value_kind:     by_value
    .group_segment_fixed_size: 0
    .kernarg_segment_align: 8
    .kernarg_segment_size: 144
    .language:       OpenCL C
    .language_version:
      - 2
      - 0
    .max_flat_workgroup_size: 256
    .name:           _ZN7rocprim17ROCPRIM_400000_NS6detail17trampoline_kernelINS0_13select_configILj256ELj13ELNS0_17block_load_methodE3ELS4_3ELS4_3ELNS0_20block_scan_algorithmE0ELj4294967295EEENS1_25partition_config_selectorILNS1_17partition_subalgoE3EjNS0_10empty_typeEbEEZZNS1_14partition_implILS8_3ELb0ES6_jNS0_17counting_iteratorIjlEEPS9_SE_NS0_5tupleIJPjSE_EEENSF_IJSE_SE_EEES9_SG_JZNS1_25segmented_radix_sort_implINS0_14default_configELb1EPKsPsPKlPlN2at6native12_GLOBAL__N_18offset_tEEE10hipError_tPvRmT1_PNSt15iterator_traitsISY_E10value_typeET2_T3_PNSZ_IS14_E10value_typeET4_jRbjT5_S1A_jjP12ihipStream_tbEUljE_EEESV_SW_SX_S14_S18_S1A_T6_T7_T9_mT8_S1C_bDpT10_ENKUlT_T0_E_clISt17integral_constantIbLb1EES1O_IbLb0EEEEDaS1K_S1L_EUlS1K_E_NS1_11comp_targetILNS1_3genE8ELNS1_11target_archE1030ELNS1_3gpuE2ELNS1_3repE0EEENS1_30default_config_static_selectorELNS0_4arch9wavefront6targetE1EEEvSY_
    .private_segment_fixed_size: 0
    .sgpr_count:     4
    .sgpr_spill_count: 0
    .symbol:         _ZN7rocprim17ROCPRIM_400000_NS6detail17trampoline_kernelINS0_13select_configILj256ELj13ELNS0_17block_load_methodE3ELS4_3ELS4_3ELNS0_20block_scan_algorithmE0ELj4294967295EEENS1_25partition_config_selectorILNS1_17partition_subalgoE3EjNS0_10empty_typeEbEEZZNS1_14partition_implILS8_3ELb0ES6_jNS0_17counting_iteratorIjlEEPS9_SE_NS0_5tupleIJPjSE_EEENSF_IJSE_SE_EEES9_SG_JZNS1_25segmented_radix_sort_implINS0_14default_configELb1EPKsPsPKlPlN2at6native12_GLOBAL__N_18offset_tEEE10hipError_tPvRmT1_PNSt15iterator_traitsISY_E10value_typeET2_T3_PNSZ_IS14_E10value_typeET4_jRbjT5_S1A_jjP12ihipStream_tbEUljE_EEESV_SW_SX_S14_S18_S1A_T6_T7_T9_mT8_S1C_bDpT10_ENKUlT_T0_E_clISt17integral_constantIbLb1EES1O_IbLb0EEEEDaS1K_S1L_EUlS1K_E_NS1_11comp_targetILNS1_3genE8ELNS1_11target_archE1030ELNS1_3gpuE2ELNS1_3repE0EEENS1_30default_config_static_selectorELNS0_4arch9wavefront6targetE1EEEvSY_.kd
    .uniform_work_group_size: 1
    .uses_dynamic_stack: false
    .vgpr_count:     0
    .vgpr_spill_count: 0
    .wavefront_size: 64
  - .agpr_count:     0
    .args:
      - .offset:         0
        .size:           152
        .value_kind:     by_value
    .group_segment_fixed_size: 0
    .kernarg_segment_align: 8
    .kernarg_segment_size: 152
    .language:       OpenCL C
    .language_version:
      - 2
      - 0
    .max_flat_workgroup_size: 256
    .name:           _ZN7rocprim17ROCPRIM_400000_NS6detail17trampoline_kernelINS0_13select_configILj256ELj13ELNS0_17block_load_methodE3ELS4_3ELS4_3ELNS0_20block_scan_algorithmE0ELj4294967295EEENS1_25partition_config_selectorILNS1_17partition_subalgoE3EjNS0_10empty_typeEbEEZZNS1_14partition_implILS8_3ELb0ES6_jNS0_17counting_iteratorIjlEEPS9_SE_NS0_5tupleIJPjSE_EEENSF_IJSE_SE_EEES9_SG_JZNS1_25segmented_radix_sort_implINS0_14default_configELb1EPKsPsPKlPlN2at6native12_GLOBAL__N_18offset_tEEE10hipError_tPvRmT1_PNSt15iterator_traitsISY_E10value_typeET2_T3_PNSZ_IS14_E10value_typeET4_jRbjT5_S1A_jjP12ihipStream_tbEUljE_EEESV_SW_SX_S14_S18_S1A_T6_T7_T9_mT8_S1C_bDpT10_ENKUlT_T0_E_clISt17integral_constantIbLb0EES1O_IbLb1EEEEDaS1K_S1L_EUlS1K_E_NS1_11comp_targetILNS1_3genE0ELNS1_11target_archE4294967295ELNS1_3gpuE0ELNS1_3repE0EEENS1_30default_config_static_selectorELNS0_4arch9wavefront6targetE1EEEvSY_
    .private_segment_fixed_size: 0
    .sgpr_count:     4
    .sgpr_spill_count: 0
    .symbol:         _ZN7rocprim17ROCPRIM_400000_NS6detail17trampoline_kernelINS0_13select_configILj256ELj13ELNS0_17block_load_methodE3ELS4_3ELS4_3ELNS0_20block_scan_algorithmE0ELj4294967295EEENS1_25partition_config_selectorILNS1_17partition_subalgoE3EjNS0_10empty_typeEbEEZZNS1_14partition_implILS8_3ELb0ES6_jNS0_17counting_iteratorIjlEEPS9_SE_NS0_5tupleIJPjSE_EEENSF_IJSE_SE_EEES9_SG_JZNS1_25segmented_radix_sort_implINS0_14default_configELb1EPKsPsPKlPlN2at6native12_GLOBAL__N_18offset_tEEE10hipError_tPvRmT1_PNSt15iterator_traitsISY_E10value_typeET2_T3_PNSZ_IS14_E10value_typeET4_jRbjT5_S1A_jjP12ihipStream_tbEUljE_EEESV_SW_SX_S14_S18_S1A_T6_T7_T9_mT8_S1C_bDpT10_ENKUlT_T0_E_clISt17integral_constantIbLb0EES1O_IbLb1EEEEDaS1K_S1L_EUlS1K_E_NS1_11comp_targetILNS1_3genE0ELNS1_11target_archE4294967295ELNS1_3gpuE0ELNS1_3repE0EEENS1_30default_config_static_selectorELNS0_4arch9wavefront6targetE1EEEvSY_.kd
    .uniform_work_group_size: 1
    .uses_dynamic_stack: false
    .vgpr_count:     0
    .vgpr_spill_count: 0
    .wavefront_size: 64
  - .agpr_count:     0
    .args:
      - .offset:         0
        .size:           152
        .value_kind:     by_value
    .group_segment_fixed_size: 0
    .kernarg_segment_align: 8
    .kernarg_segment_size: 152
    .language:       OpenCL C
    .language_version:
      - 2
      - 0
    .max_flat_workgroup_size: 256
    .name:           _ZN7rocprim17ROCPRIM_400000_NS6detail17trampoline_kernelINS0_13select_configILj256ELj13ELNS0_17block_load_methodE3ELS4_3ELS4_3ELNS0_20block_scan_algorithmE0ELj4294967295EEENS1_25partition_config_selectorILNS1_17partition_subalgoE3EjNS0_10empty_typeEbEEZZNS1_14partition_implILS8_3ELb0ES6_jNS0_17counting_iteratorIjlEEPS9_SE_NS0_5tupleIJPjSE_EEENSF_IJSE_SE_EEES9_SG_JZNS1_25segmented_radix_sort_implINS0_14default_configELb1EPKsPsPKlPlN2at6native12_GLOBAL__N_18offset_tEEE10hipError_tPvRmT1_PNSt15iterator_traitsISY_E10value_typeET2_T3_PNSZ_IS14_E10value_typeET4_jRbjT5_S1A_jjP12ihipStream_tbEUljE_EEESV_SW_SX_S14_S18_S1A_T6_T7_T9_mT8_S1C_bDpT10_ENKUlT_T0_E_clISt17integral_constantIbLb0EES1O_IbLb1EEEEDaS1K_S1L_EUlS1K_E_NS1_11comp_targetILNS1_3genE5ELNS1_11target_archE942ELNS1_3gpuE9ELNS1_3repE0EEENS1_30default_config_static_selectorELNS0_4arch9wavefront6targetE1EEEvSY_
    .private_segment_fixed_size: 0
    .sgpr_count:     4
    .sgpr_spill_count: 0
    .symbol:         _ZN7rocprim17ROCPRIM_400000_NS6detail17trampoline_kernelINS0_13select_configILj256ELj13ELNS0_17block_load_methodE3ELS4_3ELS4_3ELNS0_20block_scan_algorithmE0ELj4294967295EEENS1_25partition_config_selectorILNS1_17partition_subalgoE3EjNS0_10empty_typeEbEEZZNS1_14partition_implILS8_3ELb0ES6_jNS0_17counting_iteratorIjlEEPS9_SE_NS0_5tupleIJPjSE_EEENSF_IJSE_SE_EEES9_SG_JZNS1_25segmented_radix_sort_implINS0_14default_configELb1EPKsPsPKlPlN2at6native12_GLOBAL__N_18offset_tEEE10hipError_tPvRmT1_PNSt15iterator_traitsISY_E10value_typeET2_T3_PNSZ_IS14_E10value_typeET4_jRbjT5_S1A_jjP12ihipStream_tbEUljE_EEESV_SW_SX_S14_S18_S1A_T6_T7_T9_mT8_S1C_bDpT10_ENKUlT_T0_E_clISt17integral_constantIbLb0EES1O_IbLb1EEEEDaS1K_S1L_EUlS1K_E_NS1_11comp_targetILNS1_3genE5ELNS1_11target_archE942ELNS1_3gpuE9ELNS1_3repE0EEENS1_30default_config_static_selectorELNS0_4arch9wavefront6targetE1EEEvSY_.kd
    .uniform_work_group_size: 1
    .uses_dynamic_stack: false
    .vgpr_count:     0
    .vgpr_spill_count: 0
    .wavefront_size: 64
  - .agpr_count:     0
    .args:
      - .offset:         0
        .size:           152
        .value_kind:     by_value
    .group_segment_fixed_size: 13324
    .kernarg_segment_align: 8
    .kernarg_segment_size: 152
    .language:       OpenCL C
    .language_version:
      - 2
      - 0
    .max_flat_workgroup_size: 256
    .name:           _ZN7rocprim17ROCPRIM_400000_NS6detail17trampoline_kernelINS0_13select_configILj256ELj13ELNS0_17block_load_methodE3ELS4_3ELS4_3ELNS0_20block_scan_algorithmE0ELj4294967295EEENS1_25partition_config_selectorILNS1_17partition_subalgoE3EjNS0_10empty_typeEbEEZZNS1_14partition_implILS8_3ELb0ES6_jNS0_17counting_iteratorIjlEEPS9_SE_NS0_5tupleIJPjSE_EEENSF_IJSE_SE_EEES9_SG_JZNS1_25segmented_radix_sort_implINS0_14default_configELb1EPKsPsPKlPlN2at6native12_GLOBAL__N_18offset_tEEE10hipError_tPvRmT1_PNSt15iterator_traitsISY_E10value_typeET2_T3_PNSZ_IS14_E10value_typeET4_jRbjT5_S1A_jjP12ihipStream_tbEUljE_EEESV_SW_SX_S14_S18_S1A_T6_T7_T9_mT8_S1C_bDpT10_ENKUlT_T0_E_clISt17integral_constantIbLb0EES1O_IbLb1EEEEDaS1K_S1L_EUlS1K_E_NS1_11comp_targetILNS1_3genE4ELNS1_11target_archE910ELNS1_3gpuE8ELNS1_3repE0EEENS1_30default_config_static_selectorELNS0_4arch9wavefront6targetE1EEEvSY_
    .private_segment_fixed_size: 0
    .sgpr_count:     48
    .sgpr_spill_count: 0
    .symbol:         _ZN7rocprim17ROCPRIM_400000_NS6detail17trampoline_kernelINS0_13select_configILj256ELj13ELNS0_17block_load_methodE3ELS4_3ELS4_3ELNS0_20block_scan_algorithmE0ELj4294967295EEENS1_25partition_config_selectorILNS1_17partition_subalgoE3EjNS0_10empty_typeEbEEZZNS1_14partition_implILS8_3ELb0ES6_jNS0_17counting_iteratorIjlEEPS9_SE_NS0_5tupleIJPjSE_EEENSF_IJSE_SE_EEES9_SG_JZNS1_25segmented_radix_sort_implINS0_14default_configELb1EPKsPsPKlPlN2at6native12_GLOBAL__N_18offset_tEEE10hipError_tPvRmT1_PNSt15iterator_traitsISY_E10value_typeET2_T3_PNSZ_IS14_E10value_typeET4_jRbjT5_S1A_jjP12ihipStream_tbEUljE_EEESV_SW_SX_S14_S18_S1A_T6_T7_T9_mT8_S1C_bDpT10_ENKUlT_T0_E_clISt17integral_constantIbLb0EES1O_IbLb1EEEEDaS1K_S1L_EUlS1K_E_NS1_11comp_targetILNS1_3genE4ELNS1_11target_archE910ELNS1_3gpuE8ELNS1_3repE0EEENS1_30default_config_static_selectorELNS0_4arch9wavefront6targetE1EEEvSY_.kd
    .uniform_work_group_size: 1
    .uses_dynamic_stack: false
    .vgpr_count:     64
    .vgpr_spill_count: 0
    .wavefront_size: 64
  - .agpr_count:     0
    .args:
      - .offset:         0
        .size:           152
        .value_kind:     by_value
    .group_segment_fixed_size: 0
    .kernarg_segment_align: 8
    .kernarg_segment_size: 152
    .language:       OpenCL C
    .language_version:
      - 2
      - 0
    .max_flat_workgroup_size: 256
    .name:           _ZN7rocprim17ROCPRIM_400000_NS6detail17trampoline_kernelINS0_13select_configILj256ELj13ELNS0_17block_load_methodE3ELS4_3ELS4_3ELNS0_20block_scan_algorithmE0ELj4294967295EEENS1_25partition_config_selectorILNS1_17partition_subalgoE3EjNS0_10empty_typeEbEEZZNS1_14partition_implILS8_3ELb0ES6_jNS0_17counting_iteratorIjlEEPS9_SE_NS0_5tupleIJPjSE_EEENSF_IJSE_SE_EEES9_SG_JZNS1_25segmented_radix_sort_implINS0_14default_configELb1EPKsPsPKlPlN2at6native12_GLOBAL__N_18offset_tEEE10hipError_tPvRmT1_PNSt15iterator_traitsISY_E10value_typeET2_T3_PNSZ_IS14_E10value_typeET4_jRbjT5_S1A_jjP12ihipStream_tbEUljE_EEESV_SW_SX_S14_S18_S1A_T6_T7_T9_mT8_S1C_bDpT10_ENKUlT_T0_E_clISt17integral_constantIbLb0EES1O_IbLb1EEEEDaS1K_S1L_EUlS1K_E_NS1_11comp_targetILNS1_3genE3ELNS1_11target_archE908ELNS1_3gpuE7ELNS1_3repE0EEENS1_30default_config_static_selectorELNS0_4arch9wavefront6targetE1EEEvSY_
    .private_segment_fixed_size: 0
    .sgpr_count:     4
    .sgpr_spill_count: 0
    .symbol:         _ZN7rocprim17ROCPRIM_400000_NS6detail17trampoline_kernelINS0_13select_configILj256ELj13ELNS0_17block_load_methodE3ELS4_3ELS4_3ELNS0_20block_scan_algorithmE0ELj4294967295EEENS1_25partition_config_selectorILNS1_17partition_subalgoE3EjNS0_10empty_typeEbEEZZNS1_14partition_implILS8_3ELb0ES6_jNS0_17counting_iteratorIjlEEPS9_SE_NS0_5tupleIJPjSE_EEENSF_IJSE_SE_EEES9_SG_JZNS1_25segmented_radix_sort_implINS0_14default_configELb1EPKsPsPKlPlN2at6native12_GLOBAL__N_18offset_tEEE10hipError_tPvRmT1_PNSt15iterator_traitsISY_E10value_typeET2_T3_PNSZ_IS14_E10value_typeET4_jRbjT5_S1A_jjP12ihipStream_tbEUljE_EEESV_SW_SX_S14_S18_S1A_T6_T7_T9_mT8_S1C_bDpT10_ENKUlT_T0_E_clISt17integral_constantIbLb0EES1O_IbLb1EEEEDaS1K_S1L_EUlS1K_E_NS1_11comp_targetILNS1_3genE3ELNS1_11target_archE908ELNS1_3gpuE7ELNS1_3repE0EEENS1_30default_config_static_selectorELNS0_4arch9wavefront6targetE1EEEvSY_.kd
    .uniform_work_group_size: 1
    .uses_dynamic_stack: false
    .vgpr_count:     0
    .vgpr_spill_count: 0
    .wavefront_size: 64
  - .agpr_count:     0
    .args:
      - .offset:         0
        .size:           152
        .value_kind:     by_value
    .group_segment_fixed_size: 0
    .kernarg_segment_align: 8
    .kernarg_segment_size: 152
    .language:       OpenCL C
    .language_version:
      - 2
      - 0
    .max_flat_workgroup_size: 256
    .name:           _ZN7rocprim17ROCPRIM_400000_NS6detail17trampoline_kernelINS0_13select_configILj256ELj13ELNS0_17block_load_methodE3ELS4_3ELS4_3ELNS0_20block_scan_algorithmE0ELj4294967295EEENS1_25partition_config_selectorILNS1_17partition_subalgoE3EjNS0_10empty_typeEbEEZZNS1_14partition_implILS8_3ELb0ES6_jNS0_17counting_iteratorIjlEEPS9_SE_NS0_5tupleIJPjSE_EEENSF_IJSE_SE_EEES9_SG_JZNS1_25segmented_radix_sort_implINS0_14default_configELb1EPKsPsPKlPlN2at6native12_GLOBAL__N_18offset_tEEE10hipError_tPvRmT1_PNSt15iterator_traitsISY_E10value_typeET2_T3_PNSZ_IS14_E10value_typeET4_jRbjT5_S1A_jjP12ihipStream_tbEUljE_EEESV_SW_SX_S14_S18_S1A_T6_T7_T9_mT8_S1C_bDpT10_ENKUlT_T0_E_clISt17integral_constantIbLb0EES1O_IbLb1EEEEDaS1K_S1L_EUlS1K_E_NS1_11comp_targetILNS1_3genE2ELNS1_11target_archE906ELNS1_3gpuE6ELNS1_3repE0EEENS1_30default_config_static_selectorELNS0_4arch9wavefront6targetE1EEEvSY_
    .private_segment_fixed_size: 0
    .sgpr_count:     4
    .sgpr_spill_count: 0
    .symbol:         _ZN7rocprim17ROCPRIM_400000_NS6detail17trampoline_kernelINS0_13select_configILj256ELj13ELNS0_17block_load_methodE3ELS4_3ELS4_3ELNS0_20block_scan_algorithmE0ELj4294967295EEENS1_25partition_config_selectorILNS1_17partition_subalgoE3EjNS0_10empty_typeEbEEZZNS1_14partition_implILS8_3ELb0ES6_jNS0_17counting_iteratorIjlEEPS9_SE_NS0_5tupleIJPjSE_EEENSF_IJSE_SE_EEES9_SG_JZNS1_25segmented_radix_sort_implINS0_14default_configELb1EPKsPsPKlPlN2at6native12_GLOBAL__N_18offset_tEEE10hipError_tPvRmT1_PNSt15iterator_traitsISY_E10value_typeET2_T3_PNSZ_IS14_E10value_typeET4_jRbjT5_S1A_jjP12ihipStream_tbEUljE_EEESV_SW_SX_S14_S18_S1A_T6_T7_T9_mT8_S1C_bDpT10_ENKUlT_T0_E_clISt17integral_constantIbLb0EES1O_IbLb1EEEEDaS1K_S1L_EUlS1K_E_NS1_11comp_targetILNS1_3genE2ELNS1_11target_archE906ELNS1_3gpuE6ELNS1_3repE0EEENS1_30default_config_static_selectorELNS0_4arch9wavefront6targetE1EEEvSY_.kd
    .uniform_work_group_size: 1
    .uses_dynamic_stack: false
    .vgpr_count:     0
    .vgpr_spill_count: 0
    .wavefront_size: 64
  - .agpr_count:     0
    .args:
      - .offset:         0
        .size:           152
        .value_kind:     by_value
    .group_segment_fixed_size: 0
    .kernarg_segment_align: 8
    .kernarg_segment_size: 152
    .language:       OpenCL C
    .language_version:
      - 2
      - 0
    .max_flat_workgroup_size: 256
    .name:           _ZN7rocprim17ROCPRIM_400000_NS6detail17trampoline_kernelINS0_13select_configILj256ELj13ELNS0_17block_load_methodE3ELS4_3ELS4_3ELNS0_20block_scan_algorithmE0ELj4294967295EEENS1_25partition_config_selectorILNS1_17partition_subalgoE3EjNS0_10empty_typeEbEEZZNS1_14partition_implILS8_3ELb0ES6_jNS0_17counting_iteratorIjlEEPS9_SE_NS0_5tupleIJPjSE_EEENSF_IJSE_SE_EEES9_SG_JZNS1_25segmented_radix_sort_implINS0_14default_configELb1EPKsPsPKlPlN2at6native12_GLOBAL__N_18offset_tEEE10hipError_tPvRmT1_PNSt15iterator_traitsISY_E10value_typeET2_T3_PNSZ_IS14_E10value_typeET4_jRbjT5_S1A_jjP12ihipStream_tbEUljE_EEESV_SW_SX_S14_S18_S1A_T6_T7_T9_mT8_S1C_bDpT10_ENKUlT_T0_E_clISt17integral_constantIbLb0EES1O_IbLb1EEEEDaS1K_S1L_EUlS1K_E_NS1_11comp_targetILNS1_3genE10ELNS1_11target_archE1200ELNS1_3gpuE4ELNS1_3repE0EEENS1_30default_config_static_selectorELNS0_4arch9wavefront6targetE1EEEvSY_
    .private_segment_fixed_size: 0
    .sgpr_count:     4
    .sgpr_spill_count: 0
    .symbol:         _ZN7rocprim17ROCPRIM_400000_NS6detail17trampoline_kernelINS0_13select_configILj256ELj13ELNS0_17block_load_methodE3ELS4_3ELS4_3ELNS0_20block_scan_algorithmE0ELj4294967295EEENS1_25partition_config_selectorILNS1_17partition_subalgoE3EjNS0_10empty_typeEbEEZZNS1_14partition_implILS8_3ELb0ES6_jNS0_17counting_iteratorIjlEEPS9_SE_NS0_5tupleIJPjSE_EEENSF_IJSE_SE_EEES9_SG_JZNS1_25segmented_radix_sort_implINS0_14default_configELb1EPKsPsPKlPlN2at6native12_GLOBAL__N_18offset_tEEE10hipError_tPvRmT1_PNSt15iterator_traitsISY_E10value_typeET2_T3_PNSZ_IS14_E10value_typeET4_jRbjT5_S1A_jjP12ihipStream_tbEUljE_EEESV_SW_SX_S14_S18_S1A_T6_T7_T9_mT8_S1C_bDpT10_ENKUlT_T0_E_clISt17integral_constantIbLb0EES1O_IbLb1EEEEDaS1K_S1L_EUlS1K_E_NS1_11comp_targetILNS1_3genE10ELNS1_11target_archE1200ELNS1_3gpuE4ELNS1_3repE0EEENS1_30default_config_static_selectorELNS0_4arch9wavefront6targetE1EEEvSY_.kd
    .uniform_work_group_size: 1
    .uses_dynamic_stack: false
    .vgpr_count:     0
    .vgpr_spill_count: 0
    .wavefront_size: 64
  - .agpr_count:     0
    .args:
      - .offset:         0
        .size:           152
        .value_kind:     by_value
    .group_segment_fixed_size: 0
    .kernarg_segment_align: 8
    .kernarg_segment_size: 152
    .language:       OpenCL C
    .language_version:
      - 2
      - 0
    .max_flat_workgroup_size: 256
    .name:           _ZN7rocprim17ROCPRIM_400000_NS6detail17trampoline_kernelINS0_13select_configILj256ELj13ELNS0_17block_load_methodE3ELS4_3ELS4_3ELNS0_20block_scan_algorithmE0ELj4294967295EEENS1_25partition_config_selectorILNS1_17partition_subalgoE3EjNS0_10empty_typeEbEEZZNS1_14partition_implILS8_3ELb0ES6_jNS0_17counting_iteratorIjlEEPS9_SE_NS0_5tupleIJPjSE_EEENSF_IJSE_SE_EEES9_SG_JZNS1_25segmented_radix_sort_implINS0_14default_configELb1EPKsPsPKlPlN2at6native12_GLOBAL__N_18offset_tEEE10hipError_tPvRmT1_PNSt15iterator_traitsISY_E10value_typeET2_T3_PNSZ_IS14_E10value_typeET4_jRbjT5_S1A_jjP12ihipStream_tbEUljE_EEESV_SW_SX_S14_S18_S1A_T6_T7_T9_mT8_S1C_bDpT10_ENKUlT_T0_E_clISt17integral_constantIbLb0EES1O_IbLb1EEEEDaS1K_S1L_EUlS1K_E_NS1_11comp_targetILNS1_3genE9ELNS1_11target_archE1100ELNS1_3gpuE3ELNS1_3repE0EEENS1_30default_config_static_selectorELNS0_4arch9wavefront6targetE1EEEvSY_
    .private_segment_fixed_size: 0
    .sgpr_count:     4
    .sgpr_spill_count: 0
    .symbol:         _ZN7rocprim17ROCPRIM_400000_NS6detail17trampoline_kernelINS0_13select_configILj256ELj13ELNS0_17block_load_methodE3ELS4_3ELS4_3ELNS0_20block_scan_algorithmE0ELj4294967295EEENS1_25partition_config_selectorILNS1_17partition_subalgoE3EjNS0_10empty_typeEbEEZZNS1_14partition_implILS8_3ELb0ES6_jNS0_17counting_iteratorIjlEEPS9_SE_NS0_5tupleIJPjSE_EEENSF_IJSE_SE_EEES9_SG_JZNS1_25segmented_radix_sort_implINS0_14default_configELb1EPKsPsPKlPlN2at6native12_GLOBAL__N_18offset_tEEE10hipError_tPvRmT1_PNSt15iterator_traitsISY_E10value_typeET2_T3_PNSZ_IS14_E10value_typeET4_jRbjT5_S1A_jjP12ihipStream_tbEUljE_EEESV_SW_SX_S14_S18_S1A_T6_T7_T9_mT8_S1C_bDpT10_ENKUlT_T0_E_clISt17integral_constantIbLb0EES1O_IbLb1EEEEDaS1K_S1L_EUlS1K_E_NS1_11comp_targetILNS1_3genE9ELNS1_11target_archE1100ELNS1_3gpuE3ELNS1_3repE0EEENS1_30default_config_static_selectorELNS0_4arch9wavefront6targetE1EEEvSY_.kd
    .uniform_work_group_size: 1
    .uses_dynamic_stack: false
    .vgpr_count:     0
    .vgpr_spill_count: 0
    .wavefront_size: 64
  - .agpr_count:     0
    .args:
      - .offset:         0
        .size:           152
        .value_kind:     by_value
    .group_segment_fixed_size: 0
    .kernarg_segment_align: 8
    .kernarg_segment_size: 152
    .language:       OpenCL C
    .language_version:
      - 2
      - 0
    .max_flat_workgroup_size: 256
    .name:           _ZN7rocprim17ROCPRIM_400000_NS6detail17trampoline_kernelINS0_13select_configILj256ELj13ELNS0_17block_load_methodE3ELS4_3ELS4_3ELNS0_20block_scan_algorithmE0ELj4294967295EEENS1_25partition_config_selectorILNS1_17partition_subalgoE3EjNS0_10empty_typeEbEEZZNS1_14partition_implILS8_3ELb0ES6_jNS0_17counting_iteratorIjlEEPS9_SE_NS0_5tupleIJPjSE_EEENSF_IJSE_SE_EEES9_SG_JZNS1_25segmented_radix_sort_implINS0_14default_configELb1EPKsPsPKlPlN2at6native12_GLOBAL__N_18offset_tEEE10hipError_tPvRmT1_PNSt15iterator_traitsISY_E10value_typeET2_T3_PNSZ_IS14_E10value_typeET4_jRbjT5_S1A_jjP12ihipStream_tbEUljE_EEESV_SW_SX_S14_S18_S1A_T6_T7_T9_mT8_S1C_bDpT10_ENKUlT_T0_E_clISt17integral_constantIbLb0EES1O_IbLb1EEEEDaS1K_S1L_EUlS1K_E_NS1_11comp_targetILNS1_3genE8ELNS1_11target_archE1030ELNS1_3gpuE2ELNS1_3repE0EEENS1_30default_config_static_selectorELNS0_4arch9wavefront6targetE1EEEvSY_
    .private_segment_fixed_size: 0
    .sgpr_count:     4
    .sgpr_spill_count: 0
    .symbol:         _ZN7rocprim17ROCPRIM_400000_NS6detail17trampoline_kernelINS0_13select_configILj256ELj13ELNS0_17block_load_methodE3ELS4_3ELS4_3ELNS0_20block_scan_algorithmE0ELj4294967295EEENS1_25partition_config_selectorILNS1_17partition_subalgoE3EjNS0_10empty_typeEbEEZZNS1_14partition_implILS8_3ELb0ES6_jNS0_17counting_iteratorIjlEEPS9_SE_NS0_5tupleIJPjSE_EEENSF_IJSE_SE_EEES9_SG_JZNS1_25segmented_radix_sort_implINS0_14default_configELb1EPKsPsPKlPlN2at6native12_GLOBAL__N_18offset_tEEE10hipError_tPvRmT1_PNSt15iterator_traitsISY_E10value_typeET2_T3_PNSZ_IS14_E10value_typeET4_jRbjT5_S1A_jjP12ihipStream_tbEUljE_EEESV_SW_SX_S14_S18_S1A_T6_T7_T9_mT8_S1C_bDpT10_ENKUlT_T0_E_clISt17integral_constantIbLb0EES1O_IbLb1EEEEDaS1K_S1L_EUlS1K_E_NS1_11comp_targetILNS1_3genE8ELNS1_11target_archE1030ELNS1_3gpuE2ELNS1_3repE0EEENS1_30default_config_static_selectorELNS0_4arch9wavefront6targetE1EEEvSY_.kd
    .uniform_work_group_size: 1
    .uses_dynamic_stack: false
    .vgpr_count:     0
    .vgpr_spill_count: 0
    .wavefront_size: 64
  - .agpr_count:     0
    .args:
      - .offset:         0
        .size:           96
        .value_kind:     by_value
    .group_segment_fixed_size: 0
    .kernarg_segment_align: 8
    .kernarg_segment_size: 96
    .language:       OpenCL C
    .language_version:
      - 2
      - 0
    .max_flat_workgroup_size: 256
    .name:           _ZN7rocprim17ROCPRIM_400000_NS6detail17trampoline_kernelINS0_14default_configENS1_36segmented_radix_sort_config_selectorIslEEZNS1_25segmented_radix_sort_implIS3_Lb1EPKsPsPKlPlN2at6native12_GLOBAL__N_18offset_tEEE10hipError_tPvRmT1_PNSt15iterator_traitsISK_E10value_typeET2_T3_PNSL_ISQ_E10value_typeET4_jRbjT5_SW_jjP12ihipStream_tbEUlT_E_NS1_11comp_targetILNS1_3genE0ELNS1_11target_archE4294967295ELNS1_3gpuE0ELNS1_3repE0EEENS1_30default_config_static_selectorELNS0_4arch9wavefront6targetE1EEEvSK_
    .private_segment_fixed_size: 0
    .sgpr_count:     4
    .sgpr_spill_count: 0
    .symbol:         _ZN7rocprim17ROCPRIM_400000_NS6detail17trampoline_kernelINS0_14default_configENS1_36segmented_radix_sort_config_selectorIslEEZNS1_25segmented_radix_sort_implIS3_Lb1EPKsPsPKlPlN2at6native12_GLOBAL__N_18offset_tEEE10hipError_tPvRmT1_PNSt15iterator_traitsISK_E10value_typeET2_T3_PNSL_ISQ_E10value_typeET4_jRbjT5_SW_jjP12ihipStream_tbEUlT_E_NS1_11comp_targetILNS1_3genE0ELNS1_11target_archE4294967295ELNS1_3gpuE0ELNS1_3repE0EEENS1_30default_config_static_selectorELNS0_4arch9wavefront6targetE1EEEvSK_.kd
    .uniform_work_group_size: 1
    .uses_dynamic_stack: false
    .vgpr_count:     0
    .vgpr_spill_count: 0
    .wavefront_size: 64
  - .agpr_count:     0
    .args:
      - .offset:         0
        .size:           96
        .value_kind:     by_value
    .group_segment_fixed_size: 0
    .kernarg_segment_align: 8
    .kernarg_segment_size: 96
    .language:       OpenCL C
    .language_version:
      - 2
      - 0
    .max_flat_workgroup_size: 256
    .name:           _ZN7rocprim17ROCPRIM_400000_NS6detail17trampoline_kernelINS0_14default_configENS1_36segmented_radix_sort_config_selectorIslEEZNS1_25segmented_radix_sort_implIS3_Lb1EPKsPsPKlPlN2at6native12_GLOBAL__N_18offset_tEEE10hipError_tPvRmT1_PNSt15iterator_traitsISK_E10value_typeET2_T3_PNSL_ISQ_E10value_typeET4_jRbjT5_SW_jjP12ihipStream_tbEUlT_E_NS1_11comp_targetILNS1_3genE5ELNS1_11target_archE942ELNS1_3gpuE9ELNS1_3repE0EEENS1_30default_config_static_selectorELNS0_4arch9wavefront6targetE1EEEvSK_
    .private_segment_fixed_size: 0
    .sgpr_count:     4
    .sgpr_spill_count: 0
    .symbol:         _ZN7rocprim17ROCPRIM_400000_NS6detail17trampoline_kernelINS0_14default_configENS1_36segmented_radix_sort_config_selectorIslEEZNS1_25segmented_radix_sort_implIS3_Lb1EPKsPsPKlPlN2at6native12_GLOBAL__N_18offset_tEEE10hipError_tPvRmT1_PNSt15iterator_traitsISK_E10value_typeET2_T3_PNSL_ISQ_E10value_typeET4_jRbjT5_SW_jjP12ihipStream_tbEUlT_E_NS1_11comp_targetILNS1_3genE5ELNS1_11target_archE942ELNS1_3gpuE9ELNS1_3repE0EEENS1_30default_config_static_selectorELNS0_4arch9wavefront6targetE1EEEvSK_.kd
    .uniform_work_group_size: 1
    .uses_dynamic_stack: false
    .vgpr_count:     0
    .vgpr_spill_count: 0
    .wavefront_size: 64
  - .agpr_count:     32
    .args:
      - .offset:         0
        .size:           96
        .value_kind:     by_value
      - .offset:         96
        .size:           4
        .value_kind:     hidden_block_count_x
      - .offset:         100
        .size:           4
        .value_kind:     hidden_block_count_y
      - .offset:         104
        .size:           4
        .value_kind:     hidden_block_count_z
      - .offset:         108
        .size:           2
        .value_kind:     hidden_group_size_x
      - .offset:         110
        .size:           2
        .value_kind:     hidden_group_size_y
      - .offset:         112
        .size:           2
        .value_kind:     hidden_group_size_z
      - .offset:         114
        .size:           2
        .value_kind:     hidden_remainder_x
      - .offset:         116
        .size:           2
        .value_kind:     hidden_remainder_y
      - .offset:         118
        .size:           2
        .value_kind:     hidden_remainder_z
      - .offset:         136
        .size:           8
        .value_kind:     hidden_global_offset_x
      - .offset:         144
        .size:           8
        .value_kind:     hidden_global_offset_y
      - .offset:         152
        .size:           8
        .value_kind:     hidden_global_offset_z
      - .offset:         160
        .size:           2
        .value_kind:     hidden_grid_dims
      - .offset:         176
        .size:           8
        .value_kind:     hidden_hostcall_buffer
      - .offset:         184
        .size:           8
        .value_kind:     hidden_multigrid_sync_arg
      - .offset:         192
        .size:           8
        .value_kind:     hidden_heap_v1
      - .offset:         200
        .size:           8
        .value_kind:     hidden_default_queue
      - .offset:         208
        .size:           8
        .value_kind:     hidden_completion_action
      - .offset:         296
        .size:           8
        .value_kind:     hidden_queue_ptr
    .group_segment_fixed_size: 35336
    .kernarg_segment_align: 8
    .kernarg_segment_size: 352
    .language:       OpenCL C
    .language_version:
      - 2
      - 0
    .max_flat_workgroup_size: 256
    .name:           _ZN7rocprim17ROCPRIM_400000_NS6detail17trampoline_kernelINS0_14default_configENS1_36segmented_radix_sort_config_selectorIslEEZNS1_25segmented_radix_sort_implIS3_Lb1EPKsPsPKlPlN2at6native12_GLOBAL__N_18offset_tEEE10hipError_tPvRmT1_PNSt15iterator_traitsISK_E10value_typeET2_T3_PNSL_ISQ_E10value_typeET4_jRbjT5_SW_jjP12ihipStream_tbEUlT_E_NS1_11comp_targetILNS1_3genE4ELNS1_11target_archE910ELNS1_3gpuE8ELNS1_3repE0EEENS1_30default_config_static_selectorELNS0_4arch9wavefront6targetE1EEEvSK_
    .private_segment_fixed_size: 184
    .sgpr_count:     106
    .sgpr_spill_count: 4
    .symbol:         _ZN7rocprim17ROCPRIM_400000_NS6detail17trampoline_kernelINS0_14default_configENS1_36segmented_radix_sort_config_selectorIslEEZNS1_25segmented_radix_sort_implIS3_Lb1EPKsPsPKlPlN2at6native12_GLOBAL__N_18offset_tEEE10hipError_tPvRmT1_PNSt15iterator_traitsISK_E10value_typeET2_T3_PNSL_ISQ_E10value_typeET4_jRbjT5_SW_jjP12ihipStream_tbEUlT_E_NS1_11comp_targetILNS1_3genE4ELNS1_11target_archE910ELNS1_3gpuE8ELNS1_3repE0EEENS1_30default_config_static_selectorELNS0_4arch9wavefront6targetE1EEEvSK_.kd
    .uniform_work_group_size: 1
    .uses_dynamic_stack: false
    .vgpr_count:     280
    .vgpr_spill_count: 0
    .wavefront_size: 64
  - .agpr_count:     0
    .args:
      - .offset:         0
        .size:           96
        .value_kind:     by_value
    .group_segment_fixed_size: 0
    .kernarg_segment_align: 8
    .kernarg_segment_size: 96
    .language:       OpenCL C
    .language_version:
      - 2
      - 0
    .max_flat_workgroup_size: 256
    .name:           _ZN7rocprim17ROCPRIM_400000_NS6detail17trampoline_kernelINS0_14default_configENS1_36segmented_radix_sort_config_selectorIslEEZNS1_25segmented_radix_sort_implIS3_Lb1EPKsPsPKlPlN2at6native12_GLOBAL__N_18offset_tEEE10hipError_tPvRmT1_PNSt15iterator_traitsISK_E10value_typeET2_T3_PNSL_ISQ_E10value_typeET4_jRbjT5_SW_jjP12ihipStream_tbEUlT_E_NS1_11comp_targetILNS1_3genE3ELNS1_11target_archE908ELNS1_3gpuE7ELNS1_3repE0EEENS1_30default_config_static_selectorELNS0_4arch9wavefront6targetE1EEEvSK_
    .private_segment_fixed_size: 0
    .sgpr_count:     4
    .sgpr_spill_count: 0
    .symbol:         _ZN7rocprim17ROCPRIM_400000_NS6detail17trampoline_kernelINS0_14default_configENS1_36segmented_radix_sort_config_selectorIslEEZNS1_25segmented_radix_sort_implIS3_Lb1EPKsPsPKlPlN2at6native12_GLOBAL__N_18offset_tEEE10hipError_tPvRmT1_PNSt15iterator_traitsISK_E10value_typeET2_T3_PNSL_ISQ_E10value_typeET4_jRbjT5_SW_jjP12ihipStream_tbEUlT_E_NS1_11comp_targetILNS1_3genE3ELNS1_11target_archE908ELNS1_3gpuE7ELNS1_3repE0EEENS1_30default_config_static_selectorELNS0_4arch9wavefront6targetE1EEEvSK_.kd
    .uniform_work_group_size: 1
    .uses_dynamic_stack: false
    .vgpr_count:     0
    .vgpr_spill_count: 0
    .wavefront_size: 64
  - .agpr_count:     0
    .args:
      - .offset:         0
        .size:           96
        .value_kind:     by_value
    .group_segment_fixed_size: 0
    .kernarg_segment_align: 8
    .kernarg_segment_size: 96
    .language:       OpenCL C
    .language_version:
      - 2
      - 0
    .max_flat_workgroup_size: 256
    .name:           _ZN7rocprim17ROCPRIM_400000_NS6detail17trampoline_kernelINS0_14default_configENS1_36segmented_radix_sort_config_selectorIslEEZNS1_25segmented_radix_sort_implIS3_Lb1EPKsPsPKlPlN2at6native12_GLOBAL__N_18offset_tEEE10hipError_tPvRmT1_PNSt15iterator_traitsISK_E10value_typeET2_T3_PNSL_ISQ_E10value_typeET4_jRbjT5_SW_jjP12ihipStream_tbEUlT_E_NS1_11comp_targetILNS1_3genE2ELNS1_11target_archE906ELNS1_3gpuE6ELNS1_3repE0EEENS1_30default_config_static_selectorELNS0_4arch9wavefront6targetE1EEEvSK_
    .private_segment_fixed_size: 0
    .sgpr_count:     4
    .sgpr_spill_count: 0
    .symbol:         _ZN7rocprim17ROCPRIM_400000_NS6detail17trampoline_kernelINS0_14default_configENS1_36segmented_radix_sort_config_selectorIslEEZNS1_25segmented_radix_sort_implIS3_Lb1EPKsPsPKlPlN2at6native12_GLOBAL__N_18offset_tEEE10hipError_tPvRmT1_PNSt15iterator_traitsISK_E10value_typeET2_T3_PNSL_ISQ_E10value_typeET4_jRbjT5_SW_jjP12ihipStream_tbEUlT_E_NS1_11comp_targetILNS1_3genE2ELNS1_11target_archE906ELNS1_3gpuE6ELNS1_3repE0EEENS1_30default_config_static_selectorELNS0_4arch9wavefront6targetE1EEEvSK_.kd
    .uniform_work_group_size: 1
    .uses_dynamic_stack: false
    .vgpr_count:     0
    .vgpr_spill_count: 0
    .wavefront_size: 64
  - .agpr_count:     0
    .args:
      - .offset:         0
        .size:           96
        .value_kind:     by_value
    .group_segment_fixed_size: 0
    .kernarg_segment_align: 8
    .kernarg_segment_size: 96
    .language:       OpenCL C
    .language_version:
      - 2
      - 0
    .max_flat_workgroup_size: 256
    .name:           _ZN7rocprim17ROCPRIM_400000_NS6detail17trampoline_kernelINS0_14default_configENS1_36segmented_radix_sort_config_selectorIslEEZNS1_25segmented_radix_sort_implIS3_Lb1EPKsPsPKlPlN2at6native12_GLOBAL__N_18offset_tEEE10hipError_tPvRmT1_PNSt15iterator_traitsISK_E10value_typeET2_T3_PNSL_ISQ_E10value_typeET4_jRbjT5_SW_jjP12ihipStream_tbEUlT_E_NS1_11comp_targetILNS1_3genE10ELNS1_11target_archE1201ELNS1_3gpuE5ELNS1_3repE0EEENS1_30default_config_static_selectorELNS0_4arch9wavefront6targetE1EEEvSK_
    .private_segment_fixed_size: 0
    .sgpr_count:     4
    .sgpr_spill_count: 0
    .symbol:         _ZN7rocprim17ROCPRIM_400000_NS6detail17trampoline_kernelINS0_14default_configENS1_36segmented_radix_sort_config_selectorIslEEZNS1_25segmented_radix_sort_implIS3_Lb1EPKsPsPKlPlN2at6native12_GLOBAL__N_18offset_tEEE10hipError_tPvRmT1_PNSt15iterator_traitsISK_E10value_typeET2_T3_PNSL_ISQ_E10value_typeET4_jRbjT5_SW_jjP12ihipStream_tbEUlT_E_NS1_11comp_targetILNS1_3genE10ELNS1_11target_archE1201ELNS1_3gpuE5ELNS1_3repE0EEENS1_30default_config_static_selectorELNS0_4arch9wavefront6targetE1EEEvSK_.kd
    .uniform_work_group_size: 1
    .uses_dynamic_stack: false
    .vgpr_count:     0
    .vgpr_spill_count: 0
    .wavefront_size: 64
  - .agpr_count:     0
    .args:
      - .offset:         0
        .size:           96
        .value_kind:     by_value
    .group_segment_fixed_size: 0
    .kernarg_segment_align: 8
    .kernarg_segment_size: 96
    .language:       OpenCL C
    .language_version:
      - 2
      - 0
    .max_flat_workgroup_size: 128
    .name:           _ZN7rocprim17ROCPRIM_400000_NS6detail17trampoline_kernelINS0_14default_configENS1_36segmented_radix_sort_config_selectorIslEEZNS1_25segmented_radix_sort_implIS3_Lb1EPKsPsPKlPlN2at6native12_GLOBAL__N_18offset_tEEE10hipError_tPvRmT1_PNSt15iterator_traitsISK_E10value_typeET2_T3_PNSL_ISQ_E10value_typeET4_jRbjT5_SW_jjP12ihipStream_tbEUlT_E_NS1_11comp_targetILNS1_3genE10ELNS1_11target_archE1200ELNS1_3gpuE4ELNS1_3repE0EEENS1_30default_config_static_selectorELNS0_4arch9wavefront6targetE1EEEvSK_
    .private_segment_fixed_size: 0
    .sgpr_count:     4
    .sgpr_spill_count: 0
    .symbol:         _ZN7rocprim17ROCPRIM_400000_NS6detail17trampoline_kernelINS0_14default_configENS1_36segmented_radix_sort_config_selectorIslEEZNS1_25segmented_radix_sort_implIS3_Lb1EPKsPsPKlPlN2at6native12_GLOBAL__N_18offset_tEEE10hipError_tPvRmT1_PNSt15iterator_traitsISK_E10value_typeET2_T3_PNSL_ISQ_E10value_typeET4_jRbjT5_SW_jjP12ihipStream_tbEUlT_E_NS1_11comp_targetILNS1_3genE10ELNS1_11target_archE1200ELNS1_3gpuE4ELNS1_3repE0EEENS1_30default_config_static_selectorELNS0_4arch9wavefront6targetE1EEEvSK_.kd
    .uniform_work_group_size: 1
    .uses_dynamic_stack: false
    .vgpr_count:     0
    .vgpr_spill_count: 0
    .wavefront_size: 64
  - .agpr_count:     0
    .args:
      - .offset:         0
        .size:           96
        .value_kind:     by_value
    .group_segment_fixed_size: 0
    .kernarg_segment_align: 8
    .kernarg_segment_size: 96
    .language:       OpenCL C
    .language_version:
      - 2
      - 0
    .max_flat_workgroup_size: 256
    .name:           _ZN7rocprim17ROCPRIM_400000_NS6detail17trampoline_kernelINS0_14default_configENS1_36segmented_radix_sort_config_selectorIslEEZNS1_25segmented_radix_sort_implIS3_Lb1EPKsPsPKlPlN2at6native12_GLOBAL__N_18offset_tEEE10hipError_tPvRmT1_PNSt15iterator_traitsISK_E10value_typeET2_T3_PNSL_ISQ_E10value_typeET4_jRbjT5_SW_jjP12ihipStream_tbEUlT_E_NS1_11comp_targetILNS1_3genE9ELNS1_11target_archE1100ELNS1_3gpuE3ELNS1_3repE0EEENS1_30default_config_static_selectorELNS0_4arch9wavefront6targetE1EEEvSK_
    .private_segment_fixed_size: 0
    .sgpr_count:     4
    .sgpr_spill_count: 0
    .symbol:         _ZN7rocprim17ROCPRIM_400000_NS6detail17trampoline_kernelINS0_14default_configENS1_36segmented_radix_sort_config_selectorIslEEZNS1_25segmented_radix_sort_implIS3_Lb1EPKsPsPKlPlN2at6native12_GLOBAL__N_18offset_tEEE10hipError_tPvRmT1_PNSt15iterator_traitsISK_E10value_typeET2_T3_PNSL_ISQ_E10value_typeET4_jRbjT5_SW_jjP12ihipStream_tbEUlT_E_NS1_11comp_targetILNS1_3genE9ELNS1_11target_archE1100ELNS1_3gpuE3ELNS1_3repE0EEENS1_30default_config_static_selectorELNS0_4arch9wavefront6targetE1EEEvSK_.kd
    .uniform_work_group_size: 1
    .uses_dynamic_stack: false
    .vgpr_count:     0
    .vgpr_spill_count: 0
    .wavefront_size: 64
  - .agpr_count:     0
    .args:
      - .offset:         0
        .size:           96
        .value_kind:     by_value
    .group_segment_fixed_size: 0
    .kernarg_segment_align: 8
    .kernarg_segment_size: 96
    .language:       OpenCL C
    .language_version:
      - 2
      - 0
    .max_flat_workgroup_size: 256
    .name:           _ZN7rocprim17ROCPRIM_400000_NS6detail17trampoline_kernelINS0_14default_configENS1_36segmented_radix_sort_config_selectorIslEEZNS1_25segmented_radix_sort_implIS3_Lb1EPKsPsPKlPlN2at6native12_GLOBAL__N_18offset_tEEE10hipError_tPvRmT1_PNSt15iterator_traitsISK_E10value_typeET2_T3_PNSL_ISQ_E10value_typeET4_jRbjT5_SW_jjP12ihipStream_tbEUlT_E_NS1_11comp_targetILNS1_3genE8ELNS1_11target_archE1030ELNS1_3gpuE2ELNS1_3repE0EEENS1_30default_config_static_selectorELNS0_4arch9wavefront6targetE1EEEvSK_
    .private_segment_fixed_size: 0
    .sgpr_count:     4
    .sgpr_spill_count: 0
    .symbol:         _ZN7rocprim17ROCPRIM_400000_NS6detail17trampoline_kernelINS0_14default_configENS1_36segmented_radix_sort_config_selectorIslEEZNS1_25segmented_radix_sort_implIS3_Lb1EPKsPsPKlPlN2at6native12_GLOBAL__N_18offset_tEEE10hipError_tPvRmT1_PNSt15iterator_traitsISK_E10value_typeET2_T3_PNSL_ISQ_E10value_typeET4_jRbjT5_SW_jjP12ihipStream_tbEUlT_E_NS1_11comp_targetILNS1_3genE8ELNS1_11target_archE1030ELNS1_3gpuE2ELNS1_3repE0EEENS1_30default_config_static_selectorELNS0_4arch9wavefront6targetE1EEEvSK_.kd
    .uniform_work_group_size: 1
    .uses_dynamic_stack: false
    .vgpr_count:     0
    .vgpr_spill_count: 0
    .wavefront_size: 64
  - .agpr_count:     0
    .args:
      - .offset:         0
        .size:           88
        .value_kind:     by_value
    .group_segment_fixed_size: 0
    .kernarg_segment_align: 8
    .kernarg_segment_size: 88
    .language:       OpenCL C
    .language_version:
      - 2
      - 0
    .max_flat_workgroup_size: 256
    .name:           _ZN7rocprim17ROCPRIM_400000_NS6detail17trampoline_kernelINS0_14default_configENS1_36segmented_radix_sort_config_selectorIslEEZNS1_25segmented_radix_sort_implIS3_Lb1EPKsPsPKlPlN2at6native12_GLOBAL__N_18offset_tEEE10hipError_tPvRmT1_PNSt15iterator_traitsISK_E10value_typeET2_T3_PNSL_ISQ_E10value_typeET4_jRbjT5_SW_jjP12ihipStream_tbEUlT_E0_NS1_11comp_targetILNS1_3genE0ELNS1_11target_archE4294967295ELNS1_3gpuE0ELNS1_3repE0EEENS1_60segmented_radix_sort_warp_sort_medium_config_static_selectorELNS0_4arch9wavefront6targetE1EEEvSK_
    .private_segment_fixed_size: 0
    .sgpr_count:     4
    .sgpr_spill_count: 0
    .symbol:         _ZN7rocprim17ROCPRIM_400000_NS6detail17trampoline_kernelINS0_14default_configENS1_36segmented_radix_sort_config_selectorIslEEZNS1_25segmented_radix_sort_implIS3_Lb1EPKsPsPKlPlN2at6native12_GLOBAL__N_18offset_tEEE10hipError_tPvRmT1_PNSt15iterator_traitsISK_E10value_typeET2_T3_PNSL_ISQ_E10value_typeET4_jRbjT5_SW_jjP12ihipStream_tbEUlT_E0_NS1_11comp_targetILNS1_3genE0ELNS1_11target_archE4294967295ELNS1_3gpuE0ELNS1_3repE0EEENS1_60segmented_radix_sort_warp_sort_medium_config_static_selectorELNS0_4arch9wavefront6targetE1EEEvSK_.kd
    .uniform_work_group_size: 1
    .uses_dynamic_stack: false
    .vgpr_count:     0
    .vgpr_spill_count: 0
    .wavefront_size: 64
  - .agpr_count:     0
    .args:
      - .offset:         0
        .size:           88
        .value_kind:     by_value
    .group_segment_fixed_size: 0
    .kernarg_segment_align: 8
    .kernarg_segment_size: 88
    .language:       OpenCL C
    .language_version:
      - 2
      - 0
    .max_flat_workgroup_size: 256
    .name:           _ZN7rocprim17ROCPRIM_400000_NS6detail17trampoline_kernelINS0_14default_configENS1_36segmented_radix_sort_config_selectorIslEEZNS1_25segmented_radix_sort_implIS3_Lb1EPKsPsPKlPlN2at6native12_GLOBAL__N_18offset_tEEE10hipError_tPvRmT1_PNSt15iterator_traitsISK_E10value_typeET2_T3_PNSL_ISQ_E10value_typeET4_jRbjT5_SW_jjP12ihipStream_tbEUlT_E0_NS1_11comp_targetILNS1_3genE5ELNS1_11target_archE942ELNS1_3gpuE9ELNS1_3repE0EEENS1_60segmented_radix_sort_warp_sort_medium_config_static_selectorELNS0_4arch9wavefront6targetE1EEEvSK_
    .private_segment_fixed_size: 0
    .sgpr_count:     4
    .sgpr_spill_count: 0
    .symbol:         _ZN7rocprim17ROCPRIM_400000_NS6detail17trampoline_kernelINS0_14default_configENS1_36segmented_radix_sort_config_selectorIslEEZNS1_25segmented_radix_sort_implIS3_Lb1EPKsPsPKlPlN2at6native12_GLOBAL__N_18offset_tEEE10hipError_tPvRmT1_PNSt15iterator_traitsISK_E10value_typeET2_T3_PNSL_ISQ_E10value_typeET4_jRbjT5_SW_jjP12ihipStream_tbEUlT_E0_NS1_11comp_targetILNS1_3genE5ELNS1_11target_archE942ELNS1_3gpuE9ELNS1_3repE0EEENS1_60segmented_radix_sort_warp_sort_medium_config_static_selectorELNS0_4arch9wavefront6targetE1EEEvSK_.kd
    .uniform_work_group_size: 1
    .uses_dynamic_stack: false
    .vgpr_count:     0
    .vgpr_spill_count: 0
    .wavefront_size: 64
  - .agpr_count:     0
    .args:
      - .offset:         0
        .size:           88
        .value_kind:     by_value
      - .offset:         88
        .size:           4
        .value_kind:     hidden_block_count_x
      - .offset:         92
        .size:           4
        .value_kind:     hidden_block_count_y
      - .offset:         96
        .size:           4
        .value_kind:     hidden_block_count_z
      - .offset:         100
        .size:           2
        .value_kind:     hidden_group_size_x
      - .offset:         102
        .size:           2
        .value_kind:     hidden_group_size_y
      - .offset:         104
        .size:           2
        .value_kind:     hidden_group_size_z
      - .offset:         106
        .size:           2
        .value_kind:     hidden_remainder_x
      - .offset:         108
        .size:           2
        .value_kind:     hidden_remainder_y
      - .offset:         110
        .size:           2
        .value_kind:     hidden_remainder_z
      - .offset:         128
        .size:           8
        .value_kind:     hidden_global_offset_x
      - .offset:         136
        .size:           8
        .value_kind:     hidden_global_offset_y
      - .offset:         144
        .size:           8
        .value_kind:     hidden_global_offset_z
      - .offset:         152
        .size:           2
        .value_kind:     hidden_grid_dims
      - .offset:         168
        .size:           8
        .value_kind:     hidden_hostcall_buffer
      - .offset:         176
        .size:           8
        .value_kind:     hidden_multigrid_sync_arg
      - .offset:         184
        .size:           8
        .value_kind:     hidden_heap_v1
      - .offset:         192
        .size:           8
        .value_kind:     hidden_default_queue
      - .offset:         200
        .size:           8
        .value_kind:     hidden_completion_action
      - .offset:         288
        .size:           8
        .value_kind:     hidden_queue_ptr
    .group_segment_fixed_size: 10240
    .kernarg_segment_align: 8
    .kernarg_segment_size: 344
    .language:       OpenCL C
    .language_version:
      - 2
      - 0
    .max_flat_workgroup_size: 256
    .name:           _ZN7rocprim17ROCPRIM_400000_NS6detail17trampoline_kernelINS0_14default_configENS1_36segmented_radix_sort_config_selectorIslEEZNS1_25segmented_radix_sort_implIS3_Lb1EPKsPsPKlPlN2at6native12_GLOBAL__N_18offset_tEEE10hipError_tPvRmT1_PNSt15iterator_traitsISK_E10value_typeET2_T3_PNSL_ISQ_E10value_typeET4_jRbjT5_SW_jjP12ihipStream_tbEUlT_E0_NS1_11comp_targetILNS1_3genE4ELNS1_11target_archE910ELNS1_3gpuE8ELNS1_3repE0EEENS1_60segmented_radix_sort_warp_sort_medium_config_static_selectorELNS0_4arch9wavefront6targetE1EEEvSK_
    .private_segment_fixed_size: 0
    .sgpr_count:     56
    .sgpr_spill_count: 0
    .symbol:         _ZN7rocprim17ROCPRIM_400000_NS6detail17trampoline_kernelINS0_14default_configENS1_36segmented_radix_sort_config_selectorIslEEZNS1_25segmented_radix_sort_implIS3_Lb1EPKsPsPKlPlN2at6native12_GLOBAL__N_18offset_tEEE10hipError_tPvRmT1_PNSt15iterator_traitsISK_E10value_typeET2_T3_PNSL_ISQ_E10value_typeET4_jRbjT5_SW_jjP12ihipStream_tbEUlT_E0_NS1_11comp_targetILNS1_3genE4ELNS1_11target_archE910ELNS1_3gpuE8ELNS1_3repE0EEENS1_60segmented_radix_sort_warp_sort_medium_config_static_selectorELNS0_4arch9wavefront6targetE1EEEvSK_.kd
    .uniform_work_group_size: 1
    .uses_dynamic_stack: false
    .vgpr_count:     88
    .vgpr_spill_count: 0
    .wavefront_size: 64
  - .agpr_count:     0
    .args:
      - .offset:         0
        .size:           88
        .value_kind:     by_value
    .group_segment_fixed_size: 0
    .kernarg_segment_align: 8
    .kernarg_segment_size: 88
    .language:       OpenCL C
    .language_version:
      - 2
      - 0
    .max_flat_workgroup_size: 256
    .name:           _ZN7rocprim17ROCPRIM_400000_NS6detail17trampoline_kernelINS0_14default_configENS1_36segmented_radix_sort_config_selectorIslEEZNS1_25segmented_radix_sort_implIS3_Lb1EPKsPsPKlPlN2at6native12_GLOBAL__N_18offset_tEEE10hipError_tPvRmT1_PNSt15iterator_traitsISK_E10value_typeET2_T3_PNSL_ISQ_E10value_typeET4_jRbjT5_SW_jjP12ihipStream_tbEUlT_E0_NS1_11comp_targetILNS1_3genE3ELNS1_11target_archE908ELNS1_3gpuE7ELNS1_3repE0EEENS1_60segmented_radix_sort_warp_sort_medium_config_static_selectorELNS0_4arch9wavefront6targetE1EEEvSK_
    .private_segment_fixed_size: 0
    .sgpr_count:     4
    .sgpr_spill_count: 0
    .symbol:         _ZN7rocprim17ROCPRIM_400000_NS6detail17trampoline_kernelINS0_14default_configENS1_36segmented_radix_sort_config_selectorIslEEZNS1_25segmented_radix_sort_implIS3_Lb1EPKsPsPKlPlN2at6native12_GLOBAL__N_18offset_tEEE10hipError_tPvRmT1_PNSt15iterator_traitsISK_E10value_typeET2_T3_PNSL_ISQ_E10value_typeET4_jRbjT5_SW_jjP12ihipStream_tbEUlT_E0_NS1_11comp_targetILNS1_3genE3ELNS1_11target_archE908ELNS1_3gpuE7ELNS1_3repE0EEENS1_60segmented_radix_sort_warp_sort_medium_config_static_selectorELNS0_4arch9wavefront6targetE1EEEvSK_.kd
    .uniform_work_group_size: 1
    .uses_dynamic_stack: false
    .vgpr_count:     0
    .vgpr_spill_count: 0
    .wavefront_size: 64
  - .agpr_count:     0
    .args:
      - .offset:         0
        .size:           88
        .value_kind:     by_value
    .group_segment_fixed_size: 0
    .kernarg_segment_align: 8
    .kernarg_segment_size: 88
    .language:       OpenCL C
    .language_version:
      - 2
      - 0
    .max_flat_workgroup_size: 256
    .name:           _ZN7rocprim17ROCPRIM_400000_NS6detail17trampoline_kernelINS0_14default_configENS1_36segmented_radix_sort_config_selectorIslEEZNS1_25segmented_radix_sort_implIS3_Lb1EPKsPsPKlPlN2at6native12_GLOBAL__N_18offset_tEEE10hipError_tPvRmT1_PNSt15iterator_traitsISK_E10value_typeET2_T3_PNSL_ISQ_E10value_typeET4_jRbjT5_SW_jjP12ihipStream_tbEUlT_E0_NS1_11comp_targetILNS1_3genE2ELNS1_11target_archE906ELNS1_3gpuE6ELNS1_3repE0EEENS1_60segmented_radix_sort_warp_sort_medium_config_static_selectorELNS0_4arch9wavefront6targetE1EEEvSK_
    .private_segment_fixed_size: 0
    .sgpr_count:     4
    .sgpr_spill_count: 0
    .symbol:         _ZN7rocprim17ROCPRIM_400000_NS6detail17trampoline_kernelINS0_14default_configENS1_36segmented_radix_sort_config_selectorIslEEZNS1_25segmented_radix_sort_implIS3_Lb1EPKsPsPKlPlN2at6native12_GLOBAL__N_18offset_tEEE10hipError_tPvRmT1_PNSt15iterator_traitsISK_E10value_typeET2_T3_PNSL_ISQ_E10value_typeET4_jRbjT5_SW_jjP12ihipStream_tbEUlT_E0_NS1_11comp_targetILNS1_3genE2ELNS1_11target_archE906ELNS1_3gpuE6ELNS1_3repE0EEENS1_60segmented_radix_sort_warp_sort_medium_config_static_selectorELNS0_4arch9wavefront6targetE1EEEvSK_.kd
    .uniform_work_group_size: 1
    .uses_dynamic_stack: false
    .vgpr_count:     0
    .vgpr_spill_count: 0
    .wavefront_size: 64
  - .agpr_count:     0
    .args:
      - .offset:         0
        .size:           88
        .value_kind:     by_value
    .group_segment_fixed_size: 0
    .kernarg_segment_align: 8
    .kernarg_segment_size: 88
    .language:       OpenCL C
    .language_version:
      - 2
      - 0
    .max_flat_workgroup_size: 256
    .name:           _ZN7rocprim17ROCPRIM_400000_NS6detail17trampoline_kernelINS0_14default_configENS1_36segmented_radix_sort_config_selectorIslEEZNS1_25segmented_radix_sort_implIS3_Lb1EPKsPsPKlPlN2at6native12_GLOBAL__N_18offset_tEEE10hipError_tPvRmT1_PNSt15iterator_traitsISK_E10value_typeET2_T3_PNSL_ISQ_E10value_typeET4_jRbjT5_SW_jjP12ihipStream_tbEUlT_E0_NS1_11comp_targetILNS1_3genE10ELNS1_11target_archE1201ELNS1_3gpuE5ELNS1_3repE0EEENS1_60segmented_radix_sort_warp_sort_medium_config_static_selectorELNS0_4arch9wavefront6targetE1EEEvSK_
    .private_segment_fixed_size: 0
    .sgpr_count:     4
    .sgpr_spill_count: 0
    .symbol:         _ZN7rocprim17ROCPRIM_400000_NS6detail17trampoline_kernelINS0_14default_configENS1_36segmented_radix_sort_config_selectorIslEEZNS1_25segmented_radix_sort_implIS3_Lb1EPKsPsPKlPlN2at6native12_GLOBAL__N_18offset_tEEE10hipError_tPvRmT1_PNSt15iterator_traitsISK_E10value_typeET2_T3_PNSL_ISQ_E10value_typeET4_jRbjT5_SW_jjP12ihipStream_tbEUlT_E0_NS1_11comp_targetILNS1_3genE10ELNS1_11target_archE1201ELNS1_3gpuE5ELNS1_3repE0EEENS1_60segmented_radix_sort_warp_sort_medium_config_static_selectorELNS0_4arch9wavefront6targetE1EEEvSK_.kd
    .uniform_work_group_size: 1
    .uses_dynamic_stack: false
    .vgpr_count:     0
    .vgpr_spill_count: 0
    .wavefront_size: 64
  - .agpr_count:     0
    .args:
      - .offset:         0
        .size:           88
        .value_kind:     by_value
    .group_segment_fixed_size: 0
    .kernarg_segment_align: 8
    .kernarg_segment_size: 88
    .language:       OpenCL C
    .language_version:
      - 2
      - 0
    .max_flat_workgroup_size: 256
    .name:           _ZN7rocprim17ROCPRIM_400000_NS6detail17trampoline_kernelINS0_14default_configENS1_36segmented_radix_sort_config_selectorIslEEZNS1_25segmented_radix_sort_implIS3_Lb1EPKsPsPKlPlN2at6native12_GLOBAL__N_18offset_tEEE10hipError_tPvRmT1_PNSt15iterator_traitsISK_E10value_typeET2_T3_PNSL_ISQ_E10value_typeET4_jRbjT5_SW_jjP12ihipStream_tbEUlT_E0_NS1_11comp_targetILNS1_3genE10ELNS1_11target_archE1200ELNS1_3gpuE4ELNS1_3repE0EEENS1_60segmented_radix_sort_warp_sort_medium_config_static_selectorELNS0_4arch9wavefront6targetE1EEEvSK_
    .private_segment_fixed_size: 0
    .sgpr_count:     4
    .sgpr_spill_count: 0
    .symbol:         _ZN7rocprim17ROCPRIM_400000_NS6detail17trampoline_kernelINS0_14default_configENS1_36segmented_radix_sort_config_selectorIslEEZNS1_25segmented_radix_sort_implIS3_Lb1EPKsPsPKlPlN2at6native12_GLOBAL__N_18offset_tEEE10hipError_tPvRmT1_PNSt15iterator_traitsISK_E10value_typeET2_T3_PNSL_ISQ_E10value_typeET4_jRbjT5_SW_jjP12ihipStream_tbEUlT_E0_NS1_11comp_targetILNS1_3genE10ELNS1_11target_archE1200ELNS1_3gpuE4ELNS1_3repE0EEENS1_60segmented_radix_sort_warp_sort_medium_config_static_selectorELNS0_4arch9wavefront6targetE1EEEvSK_.kd
    .uniform_work_group_size: 1
    .uses_dynamic_stack: false
    .vgpr_count:     0
    .vgpr_spill_count: 0
    .wavefront_size: 64
  - .agpr_count:     0
    .args:
      - .offset:         0
        .size:           88
        .value_kind:     by_value
    .group_segment_fixed_size: 0
    .kernarg_segment_align: 8
    .kernarg_segment_size: 88
    .language:       OpenCL C
    .language_version:
      - 2
      - 0
    .max_flat_workgroup_size: 256
    .name:           _ZN7rocprim17ROCPRIM_400000_NS6detail17trampoline_kernelINS0_14default_configENS1_36segmented_radix_sort_config_selectorIslEEZNS1_25segmented_radix_sort_implIS3_Lb1EPKsPsPKlPlN2at6native12_GLOBAL__N_18offset_tEEE10hipError_tPvRmT1_PNSt15iterator_traitsISK_E10value_typeET2_T3_PNSL_ISQ_E10value_typeET4_jRbjT5_SW_jjP12ihipStream_tbEUlT_E0_NS1_11comp_targetILNS1_3genE9ELNS1_11target_archE1100ELNS1_3gpuE3ELNS1_3repE0EEENS1_60segmented_radix_sort_warp_sort_medium_config_static_selectorELNS0_4arch9wavefront6targetE1EEEvSK_
    .private_segment_fixed_size: 0
    .sgpr_count:     4
    .sgpr_spill_count: 0
    .symbol:         _ZN7rocprim17ROCPRIM_400000_NS6detail17trampoline_kernelINS0_14default_configENS1_36segmented_radix_sort_config_selectorIslEEZNS1_25segmented_radix_sort_implIS3_Lb1EPKsPsPKlPlN2at6native12_GLOBAL__N_18offset_tEEE10hipError_tPvRmT1_PNSt15iterator_traitsISK_E10value_typeET2_T3_PNSL_ISQ_E10value_typeET4_jRbjT5_SW_jjP12ihipStream_tbEUlT_E0_NS1_11comp_targetILNS1_3genE9ELNS1_11target_archE1100ELNS1_3gpuE3ELNS1_3repE0EEENS1_60segmented_radix_sort_warp_sort_medium_config_static_selectorELNS0_4arch9wavefront6targetE1EEEvSK_.kd
    .uniform_work_group_size: 1
    .uses_dynamic_stack: false
    .vgpr_count:     0
    .vgpr_spill_count: 0
    .wavefront_size: 64
  - .agpr_count:     0
    .args:
      - .offset:         0
        .size:           88
        .value_kind:     by_value
    .group_segment_fixed_size: 0
    .kernarg_segment_align: 8
    .kernarg_segment_size: 88
    .language:       OpenCL C
    .language_version:
      - 2
      - 0
    .max_flat_workgroup_size: 256
    .name:           _ZN7rocprim17ROCPRIM_400000_NS6detail17trampoline_kernelINS0_14default_configENS1_36segmented_radix_sort_config_selectorIslEEZNS1_25segmented_radix_sort_implIS3_Lb1EPKsPsPKlPlN2at6native12_GLOBAL__N_18offset_tEEE10hipError_tPvRmT1_PNSt15iterator_traitsISK_E10value_typeET2_T3_PNSL_ISQ_E10value_typeET4_jRbjT5_SW_jjP12ihipStream_tbEUlT_E0_NS1_11comp_targetILNS1_3genE8ELNS1_11target_archE1030ELNS1_3gpuE2ELNS1_3repE0EEENS1_60segmented_radix_sort_warp_sort_medium_config_static_selectorELNS0_4arch9wavefront6targetE1EEEvSK_
    .private_segment_fixed_size: 0
    .sgpr_count:     4
    .sgpr_spill_count: 0
    .symbol:         _ZN7rocprim17ROCPRIM_400000_NS6detail17trampoline_kernelINS0_14default_configENS1_36segmented_radix_sort_config_selectorIslEEZNS1_25segmented_radix_sort_implIS3_Lb1EPKsPsPKlPlN2at6native12_GLOBAL__N_18offset_tEEE10hipError_tPvRmT1_PNSt15iterator_traitsISK_E10value_typeET2_T3_PNSL_ISQ_E10value_typeET4_jRbjT5_SW_jjP12ihipStream_tbEUlT_E0_NS1_11comp_targetILNS1_3genE8ELNS1_11target_archE1030ELNS1_3gpuE2ELNS1_3repE0EEENS1_60segmented_radix_sort_warp_sort_medium_config_static_selectorELNS0_4arch9wavefront6targetE1EEEvSK_.kd
    .uniform_work_group_size: 1
    .uses_dynamic_stack: false
    .vgpr_count:     0
    .vgpr_spill_count: 0
    .wavefront_size: 64
  - .agpr_count:     0
    .args:
      - .offset:         0
        .size:           88
        .value_kind:     by_value
    .group_segment_fixed_size: 0
    .kernarg_segment_align: 8
    .kernarg_segment_size: 88
    .language:       OpenCL C
    .language_version:
      - 2
      - 0
    .max_flat_workgroup_size: 256
    .name:           _ZN7rocprim17ROCPRIM_400000_NS6detail17trampoline_kernelINS0_14default_configENS1_36segmented_radix_sort_config_selectorIslEEZNS1_25segmented_radix_sort_implIS3_Lb1EPKsPsPKlPlN2at6native12_GLOBAL__N_18offset_tEEE10hipError_tPvRmT1_PNSt15iterator_traitsISK_E10value_typeET2_T3_PNSL_ISQ_E10value_typeET4_jRbjT5_SW_jjP12ihipStream_tbEUlT_E1_NS1_11comp_targetILNS1_3genE0ELNS1_11target_archE4294967295ELNS1_3gpuE0ELNS1_3repE0EEENS1_59segmented_radix_sort_warp_sort_small_config_static_selectorELNS0_4arch9wavefront6targetE1EEEvSK_
    .private_segment_fixed_size: 0
    .sgpr_count:     4
    .sgpr_spill_count: 0
    .symbol:         _ZN7rocprim17ROCPRIM_400000_NS6detail17trampoline_kernelINS0_14default_configENS1_36segmented_radix_sort_config_selectorIslEEZNS1_25segmented_radix_sort_implIS3_Lb1EPKsPsPKlPlN2at6native12_GLOBAL__N_18offset_tEEE10hipError_tPvRmT1_PNSt15iterator_traitsISK_E10value_typeET2_T3_PNSL_ISQ_E10value_typeET4_jRbjT5_SW_jjP12ihipStream_tbEUlT_E1_NS1_11comp_targetILNS1_3genE0ELNS1_11target_archE4294967295ELNS1_3gpuE0ELNS1_3repE0EEENS1_59segmented_radix_sort_warp_sort_small_config_static_selectorELNS0_4arch9wavefront6targetE1EEEvSK_.kd
    .uniform_work_group_size: 1
    .uses_dynamic_stack: false
    .vgpr_count:     0
    .vgpr_spill_count: 0
    .wavefront_size: 64
  - .agpr_count:     0
    .args:
      - .offset:         0
        .size:           88
        .value_kind:     by_value
    .group_segment_fixed_size: 0
    .kernarg_segment_align: 8
    .kernarg_segment_size: 88
    .language:       OpenCL C
    .language_version:
      - 2
      - 0
    .max_flat_workgroup_size: 256
    .name:           _ZN7rocprim17ROCPRIM_400000_NS6detail17trampoline_kernelINS0_14default_configENS1_36segmented_radix_sort_config_selectorIslEEZNS1_25segmented_radix_sort_implIS3_Lb1EPKsPsPKlPlN2at6native12_GLOBAL__N_18offset_tEEE10hipError_tPvRmT1_PNSt15iterator_traitsISK_E10value_typeET2_T3_PNSL_ISQ_E10value_typeET4_jRbjT5_SW_jjP12ihipStream_tbEUlT_E1_NS1_11comp_targetILNS1_3genE5ELNS1_11target_archE942ELNS1_3gpuE9ELNS1_3repE0EEENS1_59segmented_radix_sort_warp_sort_small_config_static_selectorELNS0_4arch9wavefront6targetE1EEEvSK_
    .private_segment_fixed_size: 0
    .sgpr_count:     4
    .sgpr_spill_count: 0
    .symbol:         _ZN7rocprim17ROCPRIM_400000_NS6detail17trampoline_kernelINS0_14default_configENS1_36segmented_radix_sort_config_selectorIslEEZNS1_25segmented_radix_sort_implIS3_Lb1EPKsPsPKlPlN2at6native12_GLOBAL__N_18offset_tEEE10hipError_tPvRmT1_PNSt15iterator_traitsISK_E10value_typeET2_T3_PNSL_ISQ_E10value_typeET4_jRbjT5_SW_jjP12ihipStream_tbEUlT_E1_NS1_11comp_targetILNS1_3genE5ELNS1_11target_archE942ELNS1_3gpuE9ELNS1_3repE0EEENS1_59segmented_radix_sort_warp_sort_small_config_static_selectorELNS0_4arch9wavefront6targetE1EEEvSK_.kd
    .uniform_work_group_size: 1
    .uses_dynamic_stack: false
    .vgpr_count:     0
    .vgpr_spill_count: 0
    .wavefront_size: 64
  - .agpr_count:     0
    .args:
      - .offset:         0
        .size:           88
        .value_kind:     by_value
      - .offset:         88
        .size:           4
        .value_kind:     hidden_block_count_x
      - .offset:         92
        .size:           4
        .value_kind:     hidden_block_count_y
      - .offset:         96
        .size:           4
        .value_kind:     hidden_block_count_z
      - .offset:         100
        .size:           2
        .value_kind:     hidden_group_size_x
      - .offset:         102
        .size:           2
        .value_kind:     hidden_group_size_y
      - .offset:         104
        .size:           2
        .value_kind:     hidden_group_size_z
      - .offset:         106
        .size:           2
        .value_kind:     hidden_remainder_x
      - .offset:         108
        .size:           2
        .value_kind:     hidden_remainder_y
      - .offset:         110
        .size:           2
        .value_kind:     hidden_remainder_z
      - .offset:         128
        .size:           8
        .value_kind:     hidden_global_offset_x
      - .offset:         136
        .size:           8
        .value_kind:     hidden_global_offset_y
      - .offset:         144
        .size:           8
        .value_kind:     hidden_global_offset_z
      - .offset:         152
        .size:           2
        .value_kind:     hidden_grid_dims
      - .offset:         168
        .size:           8
        .value_kind:     hidden_hostcall_buffer
      - .offset:         176
        .size:           8
        .value_kind:     hidden_multigrid_sync_arg
      - .offset:         184
        .size:           8
        .value_kind:     hidden_heap_v1
      - .offset:         192
        .size:           8
        .value_kind:     hidden_default_queue
      - .offset:         200
        .size:           8
        .value_kind:     hidden_completion_action
      - .offset:         288
        .size:           8
        .value_kind:     hidden_queue_ptr
    .group_segment_fixed_size: 10240
    .kernarg_segment_align: 8
    .kernarg_segment_size: 344
    .language:       OpenCL C
    .language_version:
      - 2
      - 0
    .max_flat_workgroup_size: 256
    .name:           _ZN7rocprim17ROCPRIM_400000_NS6detail17trampoline_kernelINS0_14default_configENS1_36segmented_radix_sort_config_selectorIslEEZNS1_25segmented_radix_sort_implIS3_Lb1EPKsPsPKlPlN2at6native12_GLOBAL__N_18offset_tEEE10hipError_tPvRmT1_PNSt15iterator_traitsISK_E10value_typeET2_T3_PNSL_ISQ_E10value_typeET4_jRbjT5_SW_jjP12ihipStream_tbEUlT_E1_NS1_11comp_targetILNS1_3genE4ELNS1_11target_archE910ELNS1_3gpuE8ELNS1_3repE0EEENS1_59segmented_radix_sort_warp_sort_small_config_static_selectorELNS0_4arch9wavefront6targetE1EEEvSK_
    .private_segment_fixed_size: 0
    .sgpr_count:     56
    .sgpr_spill_count: 0
    .symbol:         _ZN7rocprim17ROCPRIM_400000_NS6detail17trampoline_kernelINS0_14default_configENS1_36segmented_radix_sort_config_selectorIslEEZNS1_25segmented_radix_sort_implIS3_Lb1EPKsPsPKlPlN2at6native12_GLOBAL__N_18offset_tEEE10hipError_tPvRmT1_PNSt15iterator_traitsISK_E10value_typeET2_T3_PNSL_ISQ_E10value_typeET4_jRbjT5_SW_jjP12ihipStream_tbEUlT_E1_NS1_11comp_targetILNS1_3genE4ELNS1_11target_archE910ELNS1_3gpuE8ELNS1_3repE0EEENS1_59segmented_radix_sort_warp_sort_small_config_static_selectorELNS0_4arch9wavefront6targetE1EEEvSK_.kd
    .uniform_work_group_size: 1
    .uses_dynamic_stack: false
    .vgpr_count:     88
    .vgpr_spill_count: 0
    .wavefront_size: 64
  - .agpr_count:     0
    .args:
      - .offset:         0
        .size:           88
        .value_kind:     by_value
    .group_segment_fixed_size: 0
    .kernarg_segment_align: 8
    .kernarg_segment_size: 88
    .language:       OpenCL C
    .language_version:
      - 2
      - 0
    .max_flat_workgroup_size: 256
    .name:           _ZN7rocprim17ROCPRIM_400000_NS6detail17trampoline_kernelINS0_14default_configENS1_36segmented_radix_sort_config_selectorIslEEZNS1_25segmented_radix_sort_implIS3_Lb1EPKsPsPKlPlN2at6native12_GLOBAL__N_18offset_tEEE10hipError_tPvRmT1_PNSt15iterator_traitsISK_E10value_typeET2_T3_PNSL_ISQ_E10value_typeET4_jRbjT5_SW_jjP12ihipStream_tbEUlT_E1_NS1_11comp_targetILNS1_3genE3ELNS1_11target_archE908ELNS1_3gpuE7ELNS1_3repE0EEENS1_59segmented_radix_sort_warp_sort_small_config_static_selectorELNS0_4arch9wavefront6targetE1EEEvSK_
    .private_segment_fixed_size: 0
    .sgpr_count:     4
    .sgpr_spill_count: 0
    .symbol:         _ZN7rocprim17ROCPRIM_400000_NS6detail17trampoline_kernelINS0_14default_configENS1_36segmented_radix_sort_config_selectorIslEEZNS1_25segmented_radix_sort_implIS3_Lb1EPKsPsPKlPlN2at6native12_GLOBAL__N_18offset_tEEE10hipError_tPvRmT1_PNSt15iterator_traitsISK_E10value_typeET2_T3_PNSL_ISQ_E10value_typeET4_jRbjT5_SW_jjP12ihipStream_tbEUlT_E1_NS1_11comp_targetILNS1_3genE3ELNS1_11target_archE908ELNS1_3gpuE7ELNS1_3repE0EEENS1_59segmented_radix_sort_warp_sort_small_config_static_selectorELNS0_4arch9wavefront6targetE1EEEvSK_.kd
    .uniform_work_group_size: 1
    .uses_dynamic_stack: false
    .vgpr_count:     0
    .vgpr_spill_count: 0
    .wavefront_size: 64
  - .agpr_count:     0
    .args:
      - .offset:         0
        .size:           88
        .value_kind:     by_value
    .group_segment_fixed_size: 0
    .kernarg_segment_align: 8
    .kernarg_segment_size: 88
    .language:       OpenCL C
    .language_version:
      - 2
      - 0
    .max_flat_workgroup_size: 256
    .name:           _ZN7rocprim17ROCPRIM_400000_NS6detail17trampoline_kernelINS0_14default_configENS1_36segmented_radix_sort_config_selectorIslEEZNS1_25segmented_radix_sort_implIS3_Lb1EPKsPsPKlPlN2at6native12_GLOBAL__N_18offset_tEEE10hipError_tPvRmT1_PNSt15iterator_traitsISK_E10value_typeET2_T3_PNSL_ISQ_E10value_typeET4_jRbjT5_SW_jjP12ihipStream_tbEUlT_E1_NS1_11comp_targetILNS1_3genE2ELNS1_11target_archE906ELNS1_3gpuE6ELNS1_3repE0EEENS1_59segmented_radix_sort_warp_sort_small_config_static_selectorELNS0_4arch9wavefront6targetE1EEEvSK_
    .private_segment_fixed_size: 0
    .sgpr_count:     4
    .sgpr_spill_count: 0
    .symbol:         _ZN7rocprim17ROCPRIM_400000_NS6detail17trampoline_kernelINS0_14default_configENS1_36segmented_radix_sort_config_selectorIslEEZNS1_25segmented_radix_sort_implIS3_Lb1EPKsPsPKlPlN2at6native12_GLOBAL__N_18offset_tEEE10hipError_tPvRmT1_PNSt15iterator_traitsISK_E10value_typeET2_T3_PNSL_ISQ_E10value_typeET4_jRbjT5_SW_jjP12ihipStream_tbEUlT_E1_NS1_11comp_targetILNS1_3genE2ELNS1_11target_archE906ELNS1_3gpuE6ELNS1_3repE0EEENS1_59segmented_radix_sort_warp_sort_small_config_static_selectorELNS0_4arch9wavefront6targetE1EEEvSK_.kd
    .uniform_work_group_size: 1
    .uses_dynamic_stack: false
    .vgpr_count:     0
    .vgpr_spill_count: 0
    .wavefront_size: 64
  - .agpr_count:     0
    .args:
      - .offset:         0
        .size:           88
        .value_kind:     by_value
    .group_segment_fixed_size: 0
    .kernarg_segment_align: 8
    .kernarg_segment_size: 88
    .language:       OpenCL C
    .language_version:
      - 2
      - 0
    .max_flat_workgroup_size: 256
    .name:           _ZN7rocprim17ROCPRIM_400000_NS6detail17trampoline_kernelINS0_14default_configENS1_36segmented_radix_sort_config_selectorIslEEZNS1_25segmented_radix_sort_implIS3_Lb1EPKsPsPKlPlN2at6native12_GLOBAL__N_18offset_tEEE10hipError_tPvRmT1_PNSt15iterator_traitsISK_E10value_typeET2_T3_PNSL_ISQ_E10value_typeET4_jRbjT5_SW_jjP12ihipStream_tbEUlT_E1_NS1_11comp_targetILNS1_3genE10ELNS1_11target_archE1201ELNS1_3gpuE5ELNS1_3repE0EEENS1_59segmented_radix_sort_warp_sort_small_config_static_selectorELNS0_4arch9wavefront6targetE1EEEvSK_
    .private_segment_fixed_size: 0
    .sgpr_count:     4
    .sgpr_spill_count: 0
    .symbol:         _ZN7rocprim17ROCPRIM_400000_NS6detail17trampoline_kernelINS0_14default_configENS1_36segmented_radix_sort_config_selectorIslEEZNS1_25segmented_radix_sort_implIS3_Lb1EPKsPsPKlPlN2at6native12_GLOBAL__N_18offset_tEEE10hipError_tPvRmT1_PNSt15iterator_traitsISK_E10value_typeET2_T3_PNSL_ISQ_E10value_typeET4_jRbjT5_SW_jjP12ihipStream_tbEUlT_E1_NS1_11comp_targetILNS1_3genE10ELNS1_11target_archE1201ELNS1_3gpuE5ELNS1_3repE0EEENS1_59segmented_radix_sort_warp_sort_small_config_static_selectorELNS0_4arch9wavefront6targetE1EEEvSK_.kd
    .uniform_work_group_size: 1
    .uses_dynamic_stack: false
    .vgpr_count:     0
    .vgpr_spill_count: 0
    .wavefront_size: 64
  - .agpr_count:     0
    .args:
      - .offset:         0
        .size:           88
        .value_kind:     by_value
    .group_segment_fixed_size: 0
    .kernarg_segment_align: 8
    .kernarg_segment_size: 88
    .language:       OpenCL C
    .language_version:
      - 2
      - 0
    .max_flat_workgroup_size: 256
    .name:           _ZN7rocprim17ROCPRIM_400000_NS6detail17trampoline_kernelINS0_14default_configENS1_36segmented_radix_sort_config_selectorIslEEZNS1_25segmented_radix_sort_implIS3_Lb1EPKsPsPKlPlN2at6native12_GLOBAL__N_18offset_tEEE10hipError_tPvRmT1_PNSt15iterator_traitsISK_E10value_typeET2_T3_PNSL_ISQ_E10value_typeET4_jRbjT5_SW_jjP12ihipStream_tbEUlT_E1_NS1_11comp_targetILNS1_3genE10ELNS1_11target_archE1200ELNS1_3gpuE4ELNS1_3repE0EEENS1_59segmented_radix_sort_warp_sort_small_config_static_selectorELNS0_4arch9wavefront6targetE1EEEvSK_
    .private_segment_fixed_size: 0
    .sgpr_count:     4
    .sgpr_spill_count: 0
    .symbol:         _ZN7rocprim17ROCPRIM_400000_NS6detail17trampoline_kernelINS0_14default_configENS1_36segmented_radix_sort_config_selectorIslEEZNS1_25segmented_radix_sort_implIS3_Lb1EPKsPsPKlPlN2at6native12_GLOBAL__N_18offset_tEEE10hipError_tPvRmT1_PNSt15iterator_traitsISK_E10value_typeET2_T3_PNSL_ISQ_E10value_typeET4_jRbjT5_SW_jjP12ihipStream_tbEUlT_E1_NS1_11comp_targetILNS1_3genE10ELNS1_11target_archE1200ELNS1_3gpuE4ELNS1_3repE0EEENS1_59segmented_radix_sort_warp_sort_small_config_static_selectorELNS0_4arch9wavefront6targetE1EEEvSK_.kd
    .uniform_work_group_size: 1
    .uses_dynamic_stack: false
    .vgpr_count:     0
    .vgpr_spill_count: 0
    .wavefront_size: 64
  - .agpr_count:     0
    .args:
      - .offset:         0
        .size:           88
        .value_kind:     by_value
    .group_segment_fixed_size: 0
    .kernarg_segment_align: 8
    .kernarg_segment_size: 88
    .language:       OpenCL C
    .language_version:
      - 2
      - 0
    .max_flat_workgroup_size: 256
    .name:           _ZN7rocprim17ROCPRIM_400000_NS6detail17trampoline_kernelINS0_14default_configENS1_36segmented_radix_sort_config_selectorIslEEZNS1_25segmented_radix_sort_implIS3_Lb1EPKsPsPKlPlN2at6native12_GLOBAL__N_18offset_tEEE10hipError_tPvRmT1_PNSt15iterator_traitsISK_E10value_typeET2_T3_PNSL_ISQ_E10value_typeET4_jRbjT5_SW_jjP12ihipStream_tbEUlT_E1_NS1_11comp_targetILNS1_3genE9ELNS1_11target_archE1100ELNS1_3gpuE3ELNS1_3repE0EEENS1_59segmented_radix_sort_warp_sort_small_config_static_selectorELNS0_4arch9wavefront6targetE1EEEvSK_
    .private_segment_fixed_size: 0
    .sgpr_count:     4
    .sgpr_spill_count: 0
    .symbol:         _ZN7rocprim17ROCPRIM_400000_NS6detail17trampoline_kernelINS0_14default_configENS1_36segmented_radix_sort_config_selectorIslEEZNS1_25segmented_radix_sort_implIS3_Lb1EPKsPsPKlPlN2at6native12_GLOBAL__N_18offset_tEEE10hipError_tPvRmT1_PNSt15iterator_traitsISK_E10value_typeET2_T3_PNSL_ISQ_E10value_typeET4_jRbjT5_SW_jjP12ihipStream_tbEUlT_E1_NS1_11comp_targetILNS1_3genE9ELNS1_11target_archE1100ELNS1_3gpuE3ELNS1_3repE0EEENS1_59segmented_radix_sort_warp_sort_small_config_static_selectorELNS0_4arch9wavefront6targetE1EEEvSK_.kd
    .uniform_work_group_size: 1
    .uses_dynamic_stack: false
    .vgpr_count:     0
    .vgpr_spill_count: 0
    .wavefront_size: 64
  - .agpr_count:     0
    .args:
      - .offset:         0
        .size:           88
        .value_kind:     by_value
    .group_segment_fixed_size: 0
    .kernarg_segment_align: 8
    .kernarg_segment_size: 88
    .language:       OpenCL C
    .language_version:
      - 2
      - 0
    .max_flat_workgroup_size: 256
    .name:           _ZN7rocprim17ROCPRIM_400000_NS6detail17trampoline_kernelINS0_14default_configENS1_36segmented_radix_sort_config_selectorIslEEZNS1_25segmented_radix_sort_implIS3_Lb1EPKsPsPKlPlN2at6native12_GLOBAL__N_18offset_tEEE10hipError_tPvRmT1_PNSt15iterator_traitsISK_E10value_typeET2_T3_PNSL_ISQ_E10value_typeET4_jRbjT5_SW_jjP12ihipStream_tbEUlT_E1_NS1_11comp_targetILNS1_3genE8ELNS1_11target_archE1030ELNS1_3gpuE2ELNS1_3repE0EEENS1_59segmented_radix_sort_warp_sort_small_config_static_selectorELNS0_4arch9wavefront6targetE1EEEvSK_
    .private_segment_fixed_size: 0
    .sgpr_count:     4
    .sgpr_spill_count: 0
    .symbol:         _ZN7rocprim17ROCPRIM_400000_NS6detail17trampoline_kernelINS0_14default_configENS1_36segmented_radix_sort_config_selectorIslEEZNS1_25segmented_radix_sort_implIS3_Lb1EPKsPsPKlPlN2at6native12_GLOBAL__N_18offset_tEEE10hipError_tPvRmT1_PNSt15iterator_traitsISK_E10value_typeET2_T3_PNSL_ISQ_E10value_typeET4_jRbjT5_SW_jjP12ihipStream_tbEUlT_E1_NS1_11comp_targetILNS1_3genE8ELNS1_11target_archE1030ELNS1_3gpuE2ELNS1_3repE0EEENS1_59segmented_radix_sort_warp_sort_small_config_static_selectorELNS0_4arch9wavefront6targetE1EEEvSK_.kd
    .uniform_work_group_size: 1
    .uses_dynamic_stack: false
    .vgpr_count:     0
    .vgpr_spill_count: 0
    .wavefront_size: 64
  - .agpr_count:     0
    .args:
      - .offset:         0
        .size:           80
        .value_kind:     by_value
    .group_segment_fixed_size: 0
    .kernarg_segment_align: 8
    .kernarg_segment_size: 80
    .language:       OpenCL C
    .language_version:
      - 2
      - 0
    .max_flat_workgroup_size: 256
    .name:           _ZN7rocprim17ROCPRIM_400000_NS6detail17trampoline_kernelINS0_14default_configENS1_36segmented_radix_sort_config_selectorIslEEZNS1_25segmented_radix_sort_implIS3_Lb1EPKsPsPKlPlN2at6native12_GLOBAL__N_18offset_tEEE10hipError_tPvRmT1_PNSt15iterator_traitsISK_E10value_typeET2_T3_PNSL_ISQ_E10value_typeET4_jRbjT5_SW_jjP12ihipStream_tbEUlT_E2_NS1_11comp_targetILNS1_3genE0ELNS1_11target_archE4294967295ELNS1_3gpuE0ELNS1_3repE0EEENS1_30default_config_static_selectorELNS0_4arch9wavefront6targetE1EEEvSK_
    .private_segment_fixed_size: 0
    .sgpr_count:     4
    .sgpr_spill_count: 0
    .symbol:         _ZN7rocprim17ROCPRIM_400000_NS6detail17trampoline_kernelINS0_14default_configENS1_36segmented_radix_sort_config_selectorIslEEZNS1_25segmented_radix_sort_implIS3_Lb1EPKsPsPKlPlN2at6native12_GLOBAL__N_18offset_tEEE10hipError_tPvRmT1_PNSt15iterator_traitsISK_E10value_typeET2_T3_PNSL_ISQ_E10value_typeET4_jRbjT5_SW_jjP12ihipStream_tbEUlT_E2_NS1_11comp_targetILNS1_3genE0ELNS1_11target_archE4294967295ELNS1_3gpuE0ELNS1_3repE0EEENS1_30default_config_static_selectorELNS0_4arch9wavefront6targetE1EEEvSK_.kd
    .uniform_work_group_size: 1
    .uses_dynamic_stack: false
    .vgpr_count:     0
    .vgpr_spill_count: 0
    .wavefront_size: 64
  - .agpr_count:     0
    .args:
      - .offset:         0
        .size:           80
        .value_kind:     by_value
    .group_segment_fixed_size: 0
    .kernarg_segment_align: 8
    .kernarg_segment_size: 80
    .language:       OpenCL C
    .language_version:
      - 2
      - 0
    .max_flat_workgroup_size: 256
    .name:           _ZN7rocprim17ROCPRIM_400000_NS6detail17trampoline_kernelINS0_14default_configENS1_36segmented_radix_sort_config_selectorIslEEZNS1_25segmented_radix_sort_implIS3_Lb1EPKsPsPKlPlN2at6native12_GLOBAL__N_18offset_tEEE10hipError_tPvRmT1_PNSt15iterator_traitsISK_E10value_typeET2_T3_PNSL_ISQ_E10value_typeET4_jRbjT5_SW_jjP12ihipStream_tbEUlT_E2_NS1_11comp_targetILNS1_3genE5ELNS1_11target_archE942ELNS1_3gpuE9ELNS1_3repE0EEENS1_30default_config_static_selectorELNS0_4arch9wavefront6targetE1EEEvSK_
    .private_segment_fixed_size: 0
    .sgpr_count:     4
    .sgpr_spill_count: 0
    .symbol:         _ZN7rocprim17ROCPRIM_400000_NS6detail17trampoline_kernelINS0_14default_configENS1_36segmented_radix_sort_config_selectorIslEEZNS1_25segmented_radix_sort_implIS3_Lb1EPKsPsPKlPlN2at6native12_GLOBAL__N_18offset_tEEE10hipError_tPvRmT1_PNSt15iterator_traitsISK_E10value_typeET2_T3_PNSL_ISQ_E10value_typeET4_jRbjT5_SW_jjP12ihipStream_tbEUlT_E2_NS1_11comp_targetILNS1_3genE5ELNS1_11target_archE942ELNS1_3gpuE9ELNS1_3repE0EEENS1_30default_config_static_selectorELNS0_4arch9wavefront6targetE1EEEvSK_.kd
    .uniform_work_group_size: 1
    .uses_dynamic_stack: false
    .vgpr_count:     0
    .vgpr_spill_count: 0
    .wavefront_size: 64
  - .agpr_count:     32
    .args:
      - .offset:         0
        .size:           80
        .value_kind:     by_value
      - .offset:         80
        .size:           4
        .value_kind:     hidden_block_count_x
      - .offset:         84
        .size:           4
        .value_kind:     hidden_block_count_y
      - .offset:         88
        .size:           4
        .value_kind:     hidden_block_count_z
      - .offset:         92
        .size:           2
        .value_kind:     hidden_group_size_x
      - .offset:         94
        .size:           2
        .value_kind:     hidden_group_size_y
      - .offset:         96
        .size:           2
        .value_kind:     hidden_group_size_z
      - .offset:         98
        .size:           2
        .value_kind:     hidden_remainder_x
      - .offset:         100
        .size:           2
        .value_kind:     hidden_remainder_y
      - .offset:         102
        .size:           2
        .value_kind:     hidden_remainder_z
      - .offset:         120
        .size:           8
        .value_kind:     hidden_global_offset_x
      - .offset:         128
        .size:           8
        .value_kind:     hidden_global_offset_y
      - .offset:         136
        .size:           8
        .value_kind:     hidden_global_offset_z
      - .offset:         144
        .size:           2
        .value_kind:     hidden_grid_dims
      - .offset:         160
        .size:           8
        .value_kind:     hidden_hostcall_buffer
      - .offset:         168
        .size:           8
        .value_kind:     hidden_multigrid_sync_arg
      - .offset:         176
        .size:           8
        .value_kind:     hidden_heap_v1
      - .offset:         184
        .size:           8
        .value_kind:     hidden_default_queue
      - .offset:         192
        .size:           8
        .value_kind:     hidden_completion_action
      - .offset:         280
        .size:           8
        .value_kind:     hidden_queue_ptr
    .group_segment_fixed_size: 35336
    .kernarg_segment_align: 8
    .kernarg_segment_size: 336
    .language:       OpenCL C
    .language_version:
      - 2
      - 0
    .max_flat_workgroup_size: 256
    .name:           _ZN7rocprim17ROCPRIM_400000_NS6detail17trampoline_kernelINS0_14default_configENS1_36segmented_radix_sort_config_selectorIslEEZNS1_25segmented_radix_sort_implIS3_Lb1EPKsPsPKlPlN2at6native12_GLOBAL__N_18offset_tEEE10hipError_tPvRmT1_PNSt15iterator_traitsISK_E10value_typeET2_T3_PNSL_ISQ_E10value_typeET4_jRbjT5_SW_jjP12ihipStream_tbEUlT_E2_NS1_11comp_targetILNS1_3genE4ELNS1_11target_archE910ELNS1_3gpuE8ELNS1_3repE0EEENS1_30default_config_static_selectorELNS0_4arch9wavefront6targetE1EEEvSK_
    .private_segment_fixed_size: 184
    .sgpr_count:     106
    .sgpr_spill_count: 4
    .symbol:         _ZN7rocprim17ROCPRIM_400000_NS6detail17trampoline_kernelINS0_14default_configENS1_36segmented_radix_sort_config_selectorIslEEZNS1_25segmented_radix_sort_implIS3_Lb1EPKsPsPKlPlN2at6native12_GLOBAL__N_18offset_tEEE10hipError_tPvRmT1_PNSt15iterator_traitsISK_E10value_typeET2_T3_PNSL_ISQ_E10value_typeET4_jRbjT5_SW_jjP12ihipStream_tbEUlT_E2_NS1_11comp_targetILNS1_3genE4ELNS1_11target_archE910ELNS1_3gpuE8ELNS1_3repE0EEENS1_30default_config_static_selectorELNS0_4arch9wavefront6targetE1EEEvSK_.kd
    .uniform_work_group_size: 1
    .uses_dynamic_stack: false
    .vgpr_count:     280
    .vgpr_spill_count: 0
    .wavefront_size: 64
  - .agpr_count:     0
    .args:
      - .offset:         0
        .size:           80
        .value_kind:     by_value
    .group_segment_fixed_size: 0
    .kernarg_segment_align: 8
    .kernarg_segment_size: 80
    .language:       OpenCL C
    .language_version:
      - 2
      - 0
    .max_flat_workgroup_size: 256
    .name:           _ZN7rocprim17ROCPRIM_400000_NS6detail17trampoline_kernelINS0_14default_configENS1_36segmented_radix_sort_config_selectorIslEEZNS1_25segmented_radix_sort_implIS3_Lb1EPKsPsPKlPlN2at6native12_GLOBAL__N_18offset_tEEE10hipError_tPvRmT1_PNSt15iterator_traitsISK_E10value_typeET2_T3_PNSL_ISQ_E10value_typeET4_jRbjT5_SW_jjP12ihipStream_tbEUlT_E2_NS1_11comp_targetILNS1_3genE3ELNS1_11target_archE908ELNS1_3gpuE7ELNS1_3repE0EEENS1_30default_config_static_selectorELNS0_4arch9wavefront6targetE1EEEvSK_
    .private_segment_fixed_size: 0
    .sgpr_count:     4
    .sgpr_spill_count: 0
    .symbol:         _ZN7rocprim17ROCPRIM_400000_NS6detail17trampoline_kernelINS0_14default_configENS1_36segmented_radix_sort_config_selectorIslEEZNS1_25segmented_radix_sort_implIS3_Lb1EPKsPsPKlPlN2at6native12_GLOBAL__N_18offset_tEEE10hipError_tPvRmT1_PNSt15iterator_traitsISK_E10value_typeET2_T3_PNSL_ISQ_E10value_typeET4_jRbjT5_SW_jjP12ihipStream_tbEUlT_E2_NS1_11comp_targetILNS1_3genE3ELNS1_11target_archE908ELNS1_3gpuE7ELNS1_3repE0EEENS1_30default_config_static_selectorELNS0_4arch9wavefront6targetE1EEEvSK_.kd
    .uniform_work_group_size: 1
    .uses_dynamic_stack: false
    .vgpr_count:     0
    .vgpr_spill_count: 0
    .wavefront_size: 64
  - .agpr_count:     0
    .args:
      - .offset:         0
        .size:           80
        .value_kind:     by_value
    .group_segment_fixed_size: 0
    .kernarg_segment_align: 8
    .kernarg_segment_size: 80
    .language:       OpenCL C
    .language_version:
      - 2
      - 0
    .max_flat_workgroup_size: 256
    .name:           _ZN7rocprim17ROCPRIM_400000_NS6detail17trampoline_kernelINS0_14default_configENS1_36segmented_radix_sort_config_selectorIslEEZNS1_25segmented_radix_sort_implIS3_Lb1EPKsPsPKlPlN2at6native12_GLOBAL__N_18offset_tEEE10hipError_tPvRmT1_PNSt15iterator_traitsISK_E10value_typeET2_T3_PNSL_ISQ_E10value_typeET4_jRbjT5_SW_jjP12ihipStream_tbEUlT_E2_NS1_11comp_targetILNS1_3genE2ELNS1_11target_archE906ELNS1_3gpuE6ELNS1_3repE0EEENS1_30default_config_static_selectorELNS0_4arch9wavefront6targetE1EEEvSK_
    .private_segment_fixed_size: 0
    .sgpr_count:     4
    .sgpr_spill_count: 0
    .symbol:         _ZN7rocprim17ROCPRIM_400000_NS6detail17trampoline_kernelINS0_14default_configENS1_36segmented_radix_sort_config_selectorIslEEZNS1_25segmented_radix_sort_implIS3_Lb1EPKsPsPKlPlN2at6native12_GLOBAL__N_18offset_tEEE10hipError_tPvRmT1_PNSt15iterator_traitsISK_E10value_typeET2_T3_PNSL_ISQ_E10value_typeET4_jRbjT5_SW_jjP12ihipStream_tbEUlT_E2_NS1_11comp_targetILNS1_3genE2ELNS1_11target_archE906ELNS1_3gpuE6ELNS1_3repE0EEENS1_30default_config_static_selectorELNS0_4arch9wavefront6targetE1EEEvSK_.kd
    .uniform_work_group_size: 1
    .uses_dynamic_stack: false
    .vgpr_count:     0
    .vgpr_spill_count: 0
    .wavefront_size: 64
  - .agpr_count:     0
    .args:
      - .offset:         0
        .size:           80
        .value_kind:     by_value
    .group_segment_fixed_size: 0
    .kernarg_segment_align: 8
    .kernarg_segment_size: 80
    .language:       OpenCL C
    .language_version:
      - 2
      - 0
    .max_flat_workgroup_size: 256
    .name:           _ZN7rocprim17ROCPRIM_400000_NS6detail17trampoline_kernelINS0_14default_configENS1_36segmented_radix_sort_config_selectorIslEEZNS1_25segmented_radix_sort_implIS3_Lb1EPKsPsPKlPlN2at6native12_GLOBAL__N_18offset_tEEE10hipError_tPvRmT1_PNSt15iterator_traitsISK_E10value_typeET2_T3_PNSL_ISQ_E10value_typeET4_jRbjT5_SW_jjP12ihipStream_tbEUlT_E2_NS1_11comp_targetILNS1_3genE10ELNS1_11target_archE1201ELNS1_3gpuE5ELNS1_3repE0EEENS1_30default_config_static_selectorELNS0_4arch9wavefront6targetE1EEEvSK_
    .private_segment_fixed_size: 0
    .sgpr_count:     4
    .sgpr_spill_count: 0
    .symbol:         _ZN7rocprim17ROCPRIM_400000_NS6detail17trampoline_kernelINS0_14default_configENS1_36segmented_radix_sort_config_selectorIslEEZNS1_25segmented_radix_sort_implIS3_Lb1EPKsPsPKlPlN2at6native12_GLOBAL__N_18offset_tEEE10hipError_tPvRmT1_PNSt15iterator_traitsISK_E10value_typeET2_T3_PNSL_ISQ_E10value_typeET4_jRbjT5_SW_jjP12ihipStream_tbEUlT_E2_NS1_11comp_targetILNS1_3genE10ELNS1_11target_archE1201ELNS1_3gpuE5ELNS1_3repE0EEENS1_30default_config_static_selectorELNS0_4arch9wavefront6targetE1EEEvSK_.kd
    .uniform_work_group_size: 1
    .uses_dynamic_stack: false
    .vgpr_count:     0
    .vgpr_spill_count: 0
    .wavefront_size: 64
  - .agpr_count:     0
    .args:
      - .offset:         0
        .size:           80
        .value_kind:     by_value
    .group_segment_fixed_size: 0
    .kernarg_segment_align: 8
    .kernarg_segment_size: 80
    .language:       OpenCL C
    .language_version:
      - 2
      - 0
    .max_flat_workgroup_size: 128
    .name:           _ZN7rocprim17ROCPRIM_400000_NS6detail17trampoline_kernelINS0_14default_configENS1_36segmented_radix_sort_config_selectorIslEEZNS1_25segmented_radix_sort_implIS3_Lb1EPKsPsPKlPlN2at6native12_GLOBAL__N_18offset_tEEE10hipError_tPvRmT1_PNSt15iterator_traitsISK_E10value_typeET2_T3_PNSL_ISQ_E10value_typeET4_jRbjT5_SW_jjP12ihipStream_tbEUlT_E2_NS1_11comp_targetILNS1_3genE10ELNS1_11target_archE1200ELNS1_3gpuE4ELNS1_3repE0EEENS1_30default_config_static_selectorELNS0_4arch9wavefront6targetE1EEEvSK_
    .private_segment_fixed_size: 0
    .sgpr_count:     4
    .sgpr_spill_count: 0
    .symbol:         _ZN7rocprim17ROCPRIM_400000_NS6detail17trampoline_kernelINS0_14default_configENS1_36segmented_radix_sort_config_selectorIslEEZNS1_25segmented_radix_sort_implIS3_Lb1EPKsPsPKlPlN2at6native12_GLOBAL__N_18offset_tEEE10hipError_tPvRmT1_PNSt15iterator_traitsISK_E10value_typeET2_T3_PNSL_ISQ_E10value_typeET4_jRbjT5_SW_jjP12ihipStream_tbEUlT_E2_NS1_11comp_targetILNS1_3genE10ELNS1_11target_archE1200ELNS1_3gpuE4ELNS1_3repE0EEENS1_30default_config_static_selectorELNS0_4arch9wavefront6targetE1EEEvSK_.kd
    .uniform_work_group_size: 1
    .uses_dynamic_stack: false
    .vgpr_count:     0
    .vgpr_spill_count: 0
    .wavefront_size: 64
  - .agpr_count:     0
    .args:
      - .offset:         0
        .size:           80
        .value_kind:     by_value
    .group_segment_fixed_size: 0
    .kernarg_segment_align: 8
    .kernarg_segment_size: 80
    .language:       OpenCL C
    .language_version:
      - 2
      - 0
    .max_flat_workgroup_size: 256
    .name:           _ZN7rocprim17ROCPRIM_400000_NS6detail17trampoline_kernelINS0_14default_configENS1_36segmented_radix_sort_config_selectorIslEEZNS1_25segmented_radix_sort_implIS3_Lb1EPKsPsPKlPlN2at6native12_GLOBAL__N_18offset_tEEE10hipError_tPvRmT1_PNSt15iterator_traitsISK_E10value_typeET2_T3_PNSL_ISQ_E10value_typeET4_jRbjT5_SW_jjP12ihipStream_tbEUlT_E2_NS1_11comp_targetILNS1_3genE9ELNS1_11target_archE1100ELNS1_3gpuE3ELNS1_3repE0EEENS1_30default_config_static_selectorELNS0_4arch9wavefront6targetE1EEEvSK_
    .private_segment_fixed_size: 0
    .sgpr_count:     4
    .sgpr_spill_count: 0
    .symbol:         _ZN7rocprim17ROCPRIM_400000_NS6detail17trampoline_kernelINS0_14default_configENS1_36segmented_radix_sort_config_selectorIslEEZNS1_25segmented_radix_sort_implIS3_Lb1EPKsPsPKlPlN2at6native12_GLOBAL__N_18offset_tEEE10hipError_tPvRmT1_PNSt15iterator_traitsISK_E10value_typeET2_T3_PNSL_ISQ_E10value_typeET4_jRbjT5_SW_jjP12ihipStream_tbEUlT_E2_NS1_11comp_targetILNS1_3genE9ELNS1_11target_archE1100ELNS1_3gpuE3ELNS1_3repE0EEENS1_30default_config_static_selectorELNS0_4arch9wavefront6targetE1EEEvSK_.kd
    .uniform_work_group_size: 1
    .uses_dynamic_stack: false
    .vgpr_count:     0
    .vgpr_spill_count: 0
    .wavefront_size: 64
  - .agpr_count:     0
    .args:
      - .offset:         0
        .size:           80
        .value_kind:     by_value
    .group_segment_fixed_size: 0
    .kernarg_segment_align: 8
    .kernarg_segment_size: 80
    .language:       OpenCL C
    .language_version:
      - 2
      - 0
    .max_flat_workgroup_size: 256
    .name:           _ZN7rocprim17ROCPRIM_400000_NS6detail17trampoline_kernelINS0_14default_configENS1_36segmented_radix_sort_config_selectorIslEEZNS1_25segmented_radix_sort_implIS3_Lb1EPKsPsPKlPlN2at6native12_GLOBAL__N_18offset_tEEE10hipError_tPvRmT1_PNSt15iterator_traitsISK_E10value_typeET2_T3_PNSL_ISQ_E10value_typeET4_jRbjT5_SW_jjP12ihipStream_tbEUlT_E2_NS1_11comp_targetILNS1_3genE8ELNS1_11target_archE1030ELNS1_3gpuE2ELNS1_3repE0EEENS1_30default_config_static_selectorELNS0_4arch9wavefront6targetE1EEEvSK_
    .private_segment_fixed_size: 0
    .sgpr_count:     4
    .sgpr_spill_count: 0
    .symbol:         _ZN7rocprim17ROCPRIM_400000_NS6detail17trampoline_kernelINS0_14default_configENS1_36segmented_radix_sort_config_selectorIslEEZNS1_25segmented_radix_sort_implIS3_Lb1EPKsPsPKlPlN2at6native12_GLOBAL__N_18offset_tEEE10hipError_tPvRmT1_PNSt15iterator_traitsISK_E10value_typeET2_T3_PNSL_ISQ_E10value_typeET4_jRbjT5_SW_jjP12ihipStream_tbEUlT_E2_NS1_11comp_targetILNS1_3genE8ELNS1_11target_archE1030ELNS1_3gpuE2ELNS1_3repE0EEENS1_30default_config_static_selectorELNS0_4arch9wavefront6targetE1EEEvSK_.kd
    .uniform_work_group_size: 1
    .uses_dynamic_stack: false
    .vgpr_count:     0
    .vgpr_spill_count: 0
    .wavefront_size: 64
  - .agpr_count:     0
    .args:
      - .offset:         0
        .size:           176
        .value_kind:     by_value
    .group_segment_fixed_size: 0
    .kernarg_segment_align: 8
    .kernarg_segment_size: 176
    .language:       OpenCL C
    .language_version:
      - 2
      - 0
    .max_flat_workgroup_size: 256
    .name:           _ZN7rocprim17ROCPRIM_400000_NS6detail17trampoline_kernelINS0_13select_configILj256ELj13ELNS0_17block_load_methodE3ELS4_3ELS4_3ELNS0_20block_scan_algorithmE0ELj4294967295EEENS1_25partition_config_selectorILNS1_17partition_subalgoE4EjNS0_10empty_typeEbEEZZNS1_14partition_implILS8_4ELb0ES6_15HIP_vector_typeIjLj2EENS0_17counting_iteratorIjlEEPS9_SG_NS0_5tupleIJPjSI_NS0_16reverse_iteratorISI_EEEEENSH_IJSG_SG_SG_EEES9_SI_JZNS1_25segmented_radix_sort_implINS0_14default_configELb0EPKsPsPKlPlN2at6native12_GLOBAL__N_18offset_tEEE10hipError_tPvRmT1_PNSt15iterator_traitsIS12_E10value_typeET2_T3_PNS13_IS18_E10value_typeET4_jRbjT5_S1E_jjP12ihipStream_tbEUljE_ZNSN_ISO_Lb0ESQ_SR_ST_SU_SY_EESZ_S10_S11_S12_S16_S17_S18_S1B_S1C_jS1D_jS1E_S1E_jjS1G_bEUljE0_EEESZ_S10_S11_S18_S1C_S1E_T6_T7_T9_mT8_S1G_bDpT10_ENKUlT_T0_E_clISt17integral_constantIbLb0EES1U_EEDaS1P_S1Q_EUlS1P_E_NS1_11comp_targetILNS1_3genE0ELNS1_11target_archE4294967295ELNS1_3gpuE0ELNS1_3repE0EEENS1_30default_config_static_selectorELNS0_4arch9wavefront6targetE1EEEvS12_
    .private_segment_fixed_size: 0
    .sgpr_count:     4
    .sgpr_spill_count: 0
    .symbol:         _ZN7rocprim17ROCPRIM_400000_NS6detail17trampoline_kernelINS0_13select_configILj256ELj13ELNS0_17block_load_methodE3ELS4_3ELS4_3ELNS0_20block_scan_algorithmE0ELj4294967295EEENS1_25partition_config_selectorILNS1_17partition_subalgoE4EjNS0_10empty_typeEbEEZZNS1_14partition_implILS8_4ELb0ES6_15HIP_vector_typeIjLj2EENS0_17counting_iteratorIjlEEPS9_SG_NS0_5tupleIJPjSI_NS0_16reverse_iteratorISI_EEEEENSH_IJSG_SG_SG_EEES9_SI_JZNS1_25segmented_radix_sort_implINS0_14default_configELb0EPKsPsPKlPlN2at6native12_GLOBAL__N_18offset_tEEE10hipError_tPvRmT1_PNSt15iterator_traitsIS12_E10value_typeET2_T3_PNS13_IS18_E10value_typeET4_jRbjT5_S1E_jjP12ihipStream_tbEUljE_ZNSN_ISO_Lb0ESQ_SR_ST_SU_SY_EESZ_S10_S11_S12_S16_S17_S18_S1B_S1C_jS1D_jS1E_S1E_jjS1G_bEUljE0_EEESZ_S10_S11_S18_S1C_S1E_T6_T7_T9_mT8_S1G_bDpT10_ENKUlT_T0_E_clISt17integral_constantIbLb0EES1U_EEDaS1P_S1Q_EUlS1P_E_NS1_11comp_targetILNS1_3genE0ELNS1_11target_archE4294967295ELNS1_3gpuE0ELNS1_3repE0EEENS1_30default_config_static_selectorELNS0_4arch9wavefront6targetE1EEEvS12_.kd
    .uniform_work_group_size: 1
    .uses_dynamic_stack: false
    .vgpr_count:     0
    .vgpr_spill_count: 0
    .wavefront_size: 64
  - .agpr_count:     0
    .args:
      - .offset:         0
        .size:           176
        .value_kind:     by_value
    .group_segment_fixed_size: 0
    .kernarg_segment_align: 8
    .kernarg_segment_size: 176
    .language:       OpenCL C
    .language_version:
      - 2
      - 0
    .max_flat_workgroup_size: 256
    .name:           _ZN7rocprim17ROCPRIM_400000_NS6detail17trampoline_kernelINS0_13select_configILj256ELj13ELNS0_17block_load_methodE3ELS4_3ELS4_3ELNS0_20block_scan_algorithmE0ELj4294967295EEENS1_25partition_config_selectorILNS1_17partition_subalgoE4EjNS0_10empty_typeEbEEZZNS1_14partition_implILS8_4ELb0ES6_15HIP_vector_typeIjLj2EENS0_17counting_iteratorIjlEEPS9_SG_NS0_5tupleIJPjSI_NS0_16reverse_iteratorISI_EEEEENSH_IJSG_SG_SG_EEES9_SI_JZNS1_25segmented_radix_sort_implINS0_14default_configELb0EPKsPsPKlPlN2at6native12_GLOBAL__N_18offset_tEEE10hipError_tPvRmT1_PNSt15iterator_traitsIS12_E10value_typeET2_T3_PNS13_IS18_E10value_typeET4_jRbjT5_S1E_jjP12ihipStream_tbEUljE_ZNSN_ISO_Lb0ESQ_SR_ST_SU_SY_EESZ_S10_S11_S12_S16_S17_S18_S1B_S1C_jS1D_jS1E_S1E_jjS1G_bEUljE0_EEESZ_S10_S11_S18_S1C_S1E_T6_T7_T9_mT8_S1G_bDpT10_ENKUlT_T0_E_clISt17integral_constantIbLb0EES1U_EEDaS1P_S1Q_EUlS1P_E_NS1_11comp_targetILNS1_3genE5ELNS1_11target_archE942ELNS1_3gpuE9ELNS1_3repE0EEENS1_30default_config_static_selectorELNS0_4arch9wavefront6targetE1EEEvS12_
    .private_segment_fixed_size: 0
    .sgpr_count:     4
    .sgpr_spill_count: 0
    .symbol:         _ZN7rocprim17ROCPRIM_400000_NS6detail17trampoline_kernelINS0_13select_configILj256ELj13ELNS0_17block_load_methodE3ELS4_3ELS4_3ELNS0_20block_scan_algorithmE0ELj4294967295EEENS1_25partition_config_selectorILNS1_17partition_subalgoE4EjNS0_10empty_typeEbEEZZNS1_14partition_implILS8_4ELb0ES6_15HIP_vector_typeIjLj2EENS0_17counting_iteratorIjlEEPS9_SG_NS0_5tupleIJPjSI_NS0_16reverse_iteratorISI_EEEEENSH_IJSG_SG_SG_EEES9_SI_JZNS1_25segmented_radix_sort_implINS0_14default_configELb0EPKsPsPKlPlN2at6native12_GLOBAL__N_18offset_tEEE10hipError_tPvRmT1_PNSt15iterator_traitsIS12_E10value_typeET2_T3_PNS13_IS18_E10value_typeET4_jRbjT5_S1E_jjP12ihipStream_tbEUljE_ZNSN_ISO_Lb0ESQ_SR_ST_SU_SY_EESZ_S10_S11_S12_S16_S17_S18_S1B_S1C_jS1D_jS1E_S1E_jjS1G_bEUljE0_EEESZ_S10_S11_S18_S1C_S1E_T6_T7_T9_mT8_S1G_bDpT10_ENKUlT_T0_E_clISt17integral_constantIbLb0EES1U_EEDaS1P_S1Q_EUlS1P_E_NS1_11comp_targetILNS1_3genE5ELNS1_11target_archE942ELNS1_3gpuE9ELNS1_3repE0EEENS1_30default_config_static_selectorELNS0_4arch9wavefront6targetE1EEEvS12_.kd
    .uniform_work_group_size: 1
    .uses_dynamic_stack: false
    .vgpr_count:     0
    .vgpr_spill_count: 0
    .wavefront_size: 64
  - .agpr_count:     0
    .args:
      - .offset:         0
        .size:           176
        .value_kind:     by_value
    .group_segment_fixed_size: 13340
    .kernarg_segment_align: 8
    .kernarg_segment_size: 176
    .language:       OpenCL C
    .language_version:
      - 2
      - 0
    .max_flat_workgroup_size: 256
    .name:           _ZN7rocprim17ROCPRIM_400000_NS6detail17trampoline_kernelINS0_13select_configILj256ELj13ELNS0_17block_load_methodE3ELS4_3ELS4_3ELNS0_20block_scan_algorithmE0ELj4294967295EEENS1_25partition_config_selectorILNS1_17partition_subalgoE4EjNS0_10empty_typeEbEEZZNS1_14partition_implILS8_4ELb0ES6_15HIP_vector_typeIjLj2EENS0_17counting_iteratorIjlEEPS9_SG_NS0_5tupleIJPjSI_NS0_16reverse_iteratorISI_EEEEENSH_IJSG_SG_SG_EEES9_SI_JZNS1_25segmented_radix_sort_implINS0_14default_configELb0EPKsPsPKlPlN2at6native12_GLOBAL__N_18offset_tEEE10hipError_tPvRmT1_PNSt15iterator_traitsIS12_E10value_typeET2_T3_PNS13_IS18_E10value_typeET4_jRbjT5_S1E_jjP12ihipStream_tbEUljE_ZNSN_ISO_Lb0ESQ_SR_ST_SU_SY_EESZ_S10_S11_S12_S16_S17_S18_S1B_S1C_jS1D_jS1E_S1E_jjS1G_bEUljE0_EEESZ_S10_S11_S18_S1C_S1E_T6_T7_T9_mT8_S1G_bDpT10_ENKUlT_T0_E_clISt17integral_constantIbLb0EES1U_EEDaS1P_S1Q_EUlS1P_E_NS1_11comp_targetILNS1_3genE4ELNS1_11target_archE910ELNS1_3gpuE8ELNS1_3repE0EEENS1_30default_config_static_selectorELNS0_4arch9wavefront6targetE1EEEvS12_
    .private_segment_fixed_size: 0
    .sgpr_count:     94
    .sgpr_spill_count: 0
    .symbol:         _ZN7rocprim17ROCPRIM_400000_NS6detail17trampoline_kernelINS0_13select_configILj256ELj13ELNS0_17block_load_methodE3ELS4_3ELS4_3ELNS0_20block_scan_algorithmE0ELj4294967295EEENS1_25partition_config_selectorILNS1_17partition_subalgoE4EjNS0_10empty_typeEbEEZZNS1_14partition_implILS8_4ELb0ES6_15HIP_vector_typeIjLj2EENS0_17counting_iteratorIjlEEPS9_SG_NS0_5tupleIJPjSI_NS0_16reverse_iteratorISI_EEEEENSH_IJSG_SG_SG_EEES9_SI_JZNS1_25segmented_radix_sort_implINS0_14default_configELb0EPKsPsPKlPlN2at6native12_GLOBAL__N_18offset_tEEE10hipError_tPvRmT1_PNSt15iterator_traitsIS12_E10value_typeET2_T3_PNS13_IS18_E10value_typeET4_jRbjT5_S1E_jjP12ihipStream_tbEUljE_ZNSN_ISO_Lb0ESQ_SR_ST_SU_SY_EESZ_S10_S11_S12_S16_S17_S18_S1B_S1C_jS1D_jS1E_S1E_jjS1G_bEUljE0_EEESZ_S10_S11_S18_S1C_S1E_T6_T7_T9_mT8_S1G_bDpT10_ENKUlT_T0_E_clISt17integral_constantIbLb0EES1U_EEDaS1P_S1Q_EUlS1P_E_NS1_11comp_targetILNS1_3genE4ELNS1_11target_archE910ELNS1_3gpuE8ELNS1_3repE0EEENS1_30default_config_static_selectorELNS0_4arch9wavefront6targetE1EEEvS12_.kd
    .uniform_work_group_size: 1
    .uses_dynamic_stack: false
    .vgpr_count:     102
    .vgpr_spill_count: 0
    .wavefront_size: 64
  - .agpr_count:     0
    .args:
      - .offset:         0
        .size:           176
        .value_kind:     by_value
    .group_segment_fixed_size: 0
    .kernarg_segment_align: 8
    .kernarg_segment_size: 176
    .language:       OpenCL C
    .language_version:
      - 2
      - 0
    .max_flat_workgroup_size: 256
    .name:           _ZN7rocprim17ROCPRIM_400000_NS6detail17trampoline_kernelINS0_13select_configILj256ELj13ELNS0_17block_load_methodE3ELS4_3ELS4_3ELNS0_20block_scan_algorithmE0ELj4294967295EEENS1_25partition_config_selectorILNS1_17partition_subalgoE4EjNS0_10empty_typeEbEEZZNS1_14partition_implILS8_4ELb0ES6_15HIP_vector_typeIjLj2EENS0_17counting_iteratorIjlEEPS9_SG_NS0_5tupleIJPjSI_NS0_16reverse_iteratorISI_EEEEENSH_IJSG_SG_SG_EEES9_SI_JZNS1_25segmented_radix_sort_implINS0_14default_configELb0EPKsPsPKlPlN2at6native12_GLOBAL__N_18offset_tEEE10hipError_tPvRmT1_PNSt15iterator_traitsIS12_E10value_typeET2_T3_PNS13_IS18_E10value_typeET4_jRbjT5_S1E_jjP12ihipStream_tbEUljE_ZNSN_ISO_Lb0ESQ_SR_ST_SU_SY_EESZ_S10_S11_S12_S16_S17_S18_S1B_S1C_jS1D_jS1E_S1E_jjS1G_bEUljE0_EEESZ_S10_S11_S18_S1C_S1E_T6_T7_T9_mT8_S1G_bDpT10_ENKUlT_T0_E_clISt17integral_constantIbLb0EES1U_EEDaS1P_S1Q_EUlS1P_E_NS1_11comp_targetILNS1_3genE3ELNS1_11target_archE908ELNS1_3gpuE7ELNS1_3repE0EEENS1_30default_config_static_selectorELNS0_4arch9wavefront6targetE1EEEvS12_
    .private_segment_fixed_size: 0
    .sgpr_count:     4
    .sgpr_spill_count: 0
    .symbol:         _ZN7rocprim17ROCPRIM_400000_NS6detail17trampoline_kernelINS0_13select_configILj256ELj13ELNS0_17block_load_methodE3ELS4_3ELS4_3ELNS0_20block_scan_algorithmE0ELj4294967295EEENS1_25partition_config_selectorILNS1_17partition_subalgoE4EjNS0_10empty_typeEbEEZZNS1_14partition_implILS8_4ELb0ES6_15HIP_vector_typeIjLj2EENS0_17counting_iteratorIjlEEPS9_SG_NS0_5tupleIJPjSI_NS0_16reverse_iteratorISI_EEEEENSH_IJSG_SG_SG_EEES9_SI_JZNS1_25segmented_radix_sort_implINS0_14default_configELb0EPKsPsPKlPlN2at6native12_GLOBAL__N_18offset_tEEE10hipError_tPvRmT1_PNSt15iterator_traitsIS12_E10value_typeET2_T3_PNS13_IS18_E10value_typeET4_jRbjT5_S1E_jjP12ihipStream_tbEUljE_ZNSN_ISO_Lb0ESQ_SR_ST_SU_SY_EESZ_S10_S11_S12_S16_S17_S18_S1B_S1C_jS1D_jS1E_S1E_jjS1G_bEUljE0_EEESZ_S10_S11_S18_S1C_S1E_T6_T7_T9_mT8_S1G_bDpT10_ENKUlT_T0_E_clISt17integral_constantIbLb0EES1U_EEDaS1P_S1Q_EUlS1P_E_NS1_11comp_targetILNS1_3genE3ELNS1_11target_archE908ELNS1_3gpuE7ELNS1_3repE0EEENS1_30default_config_static_selectorELNS0_4arch9wavefront6targetE1EEEvS12_.kd
    .uniform_work_group_size: 1
    .uses_dynamic_stack: false
    .vgpr_count:     0
    .vgpr_spill_count: 0
    .wavefront_size: 64
  - .agpr_count:     0
    .args:
      - .offset:         0
        .size:           176
        .value_kind:     by_value
    .group_segment_fixed_size: 0
    .kernarg_segment_align: 8
    .kernarg_segment_size: 176
    .language:       OpenCL C
    .language_version:
      - 2
      - 0
    .max_flat_workgroup_size: 256
    .name:           _ZN7rocprim17ROCPRIM_400000_NS6detail17trampoline_kernelINS0_13select_configILj256ELj13ELNS0_17block_load_methodE3ELS4_3ELS4_3ELNS0_20block_scan_algorithmE0ELj4294967295EEENS1_25partition_config_selectorILNS1_17partition_subalgoE4EjNS0_10empty_typeEbEEZZNS1_14partition_implILS8_4ELb0ES6_15HIP_vector_typeIjLj2EENS0_17counting_iteratorIjlEEPS9_SG_NS0_5tupleIJPjSI_NS0_16reverse_iteratorISI_EEEEENSH_IJSG_SG_SG_EEES9_SI_JZNS1_25segmented_radix_sort_implINS0_14default_configELb0EPKsPsPKlPlN2at6native12_GLOBAL__N_18offset_tEEE10hipError_tPvRmT1_PNSt15iterator_traitsIS12_E10value_typeET2_T3_PNS13_IS18_E10value_typeET4_jRbjT5_S1E_jjP12ihipStream_tbEUljE_ZNSN_ISO_Lb0ESQ_SR_ST_SU_SY_EESZ_S10_S11_S12_S16_S17_S18_S1B_S1C_jS1D_jS1E_S1E_jjS1G_bEUljE0_EEESZ_S10_S11_S18_S1C_S1E_T6_T7_T9_mT8_S1G_bDpT10_ENKUlT_T0_E_clISt17integral_constantIbLb0EES1U_EEDaS1P_S1Q_EUlS1P_E_NS1_11comp_targetILNS1_3genE2ELNS1_11target_archE906ELNS1_3gpuE6ELNS1_3repE0EEENS1_30default_config_static_selectorELNS0_4arch9wavefront6targetE1EEEvS12_
    .private_segment_fixed_size: 0
    .sgpr_count:     4
    .sgpr_spill_count: 0
    .symbol:         _ZN7rocprim17ROCPRIM_400000_NS6detail17trampoline_kernelINS0_13select_configILj256ELj13ELNS0_17block_load_methodE3ELS4_3ELS4_3ELNS0_20block_scan_algorithmE0ELj4294967295EEENS1_25partition_config_selectorILNS1_17partition_subalgoE4EjNS0_10empty_typeEbEEZZNS1_14partition_implILS8_4ELb0ES6_15HIP_vector_typeIjLj2EENS0_17counting_iteratorIjlEEPS9_SG_NS0_5tupleIJPjSI_NS0_16reverse_iteratorISI_EEEEENSH_IJSG_SG_SG_EEES9_SI_JZNS1_25segmented_radix_sort_implINS0_14default_configELb0EPKsPsPKlPlN2at6native12_GLOBAL__N_18offset_tEEE10hipError_tPvRmT1_PNSt15iterator_traitsIS12_E10value_typeET2_T3_PNS13_IS18_E10value_typeET4_jRbjT5_S1E_jjP12ihipStream_tbEUljE_ZNSN_ISO_Lb0ESQ_SR_ST_SU_SY_EESZ_S10_S11_S12_S16_S17_S18_S1B_S1C_jS1D_jS1E_S1E_jjS1G_bEUljE0_EEESZ_S10_S11_S18_S1C_S1E_T6_T7_T9_mT8_S1G_bDpT10_ENKUlT_T0_E_clISt17integral_constantIbLb0EES1U_EEDaS1P_S1Q_EUlS1P_E_NS1_11comp_targetILNS1_3genE2ELNS1_11target_archE906ELNS1_3gpuE6ELNS1_3repE0EEENS1_30default_config_static_selectorELNS0_4arch9wavefront6targetE1EEEvS12_.kd
    .uniform_work_group_size: 1
    .uses_dynamic_stack: false
    .vgpr_count:     0
    .vgpr_spill_count: 0
    .wavefront_size: 64
  - .agpr_count:     0
    .args:
      - .offset:         0
        .size:           176
        .value_kind:     by_value
    .group_segment_fixed_size: 0
    .kernarg_segment_align: 8
    .kernarg_segment_size: 176
    .language:       OpenCL C
    .language_version:
      - 2
      - 0
    .max_flat_workgroup_size: 256
    .name:           _ZN7rocprim17ROCPRIM_400000_NS6detail17trampoline_kernelINS0_13select_configILj256ELj13ELNS0_17block_load_methodE3ELS4_3ELS4_3ELNS0_20block_scan_algorithmE0ELj4294967295EEENS1_25partition_config_selectorILNS1_17partition_subalgoE4EjNS0_10empty_typeEbEEZZNS1_14partition_implILS8_4ELb0ES6_15HIP_vector_typeIjLj2EENS0_17counting_iteratorIjlEEPS9_SG_NS0_5tupleIJPjSI_NS0_16reverse_iteratorISI_EEEEENSH_IJSG_SG_SG_EEES9_SI_JZNS1_25segmented_radix_sort_implINS0_14default_configELb0EPKsPsPKlPlN2at6native12_GLOBAL__N_18offset_tEEE10hipError_tPvRmT1_PNSt15iterator_traitsIS12_E10value_typeET2_T3_PNS13_IS18_E10value_typeET4_jRbjT5_S1E_jjP12ihipStream_tbEUljE_ZNSN_ISO_Lb0ESQ_SR_ST_SU_SY_EESZ_S10_S11_S12_S16_S17_S18_S1B_S1C_jS1D_jS1E_S1E_jjS1G_bEUljE0_EEESZ_S10_S11_S18_S1C_S1E_T6_T7_T9_mT8_S1G_bDpT10_ENKUlT_T0_E_clISt17integral_constantIbLb0EES1U_EEDaS1P_S1Q_EUlS1P_E_NS1_11comp_targetILNS1_3genE10ELNS1_11target_archE1200ELNS1_3gpuE4ELNS1_3repE0EEENS1_30default_config_static_selectorELNS0_4arch9wavefront6targetE1EEEvS12_
    .private_segment_fixed_size: 0
    .sgpr_count:     4
    .sgpr_spill_count: 0
    .symbol:         _ZN7rocprim17ROCPRIM_400000_NS6detail17trampoline_kernelINS0_13select_configILj256ELj13ELNS0_17block_load_methodE3ELS4_3ELS4_3ELNS0_20block_scan_algorithmE0ELj4294967295EEENS1_25partition_config_selectorILNS1_17partition_subalgoE4EjNS0_10empty_typeEbEEZZNS1_14partition_implILS8_4ELb0ES6_15HIP_vector_typeIjLj2EENS0_17counting_iteratorIjlEEPS9_SG_NS0_5tupleIJPjSI_NS0_16reverse_iteratorISI_EEEEENSH_IJSG_SG_SG_EEES9_SI_JZNS1_25segmented_radix_sort_implINS0_14default_configELb0EPKsPsPKlPlN2at6native12_GLOBAL__N_18offset_tEEE10hipError_tPvRmT1_PNSt15iterator_traitsIS12_E10value_typeET2_T3_PNS13_IS18_E10value_typeET4_jRbjT5_S1E_jjP12ihipStream_tbEUljE_ZNSN_ISO_Lb0ESQ_SR_ST_SU_SY_EESZ_S10_S11_S12_S16_S17_S18_S1B_S1C_jS1D_jS1E_S1E_jjS1G_bEUljE0_EEESZ_S10_S11_S18_S1C_S1E_T6_T7_T9_mT8_S1G_bDpT10_ENKUlT_T0_E_clISt17integral_constantIbLb0EES1U_EEDaS1P_S1Q_EUlS1P_E_NS1_11comp_targetILNS1_3genE10ELNS1_11target_archE1200ELNS1_3gpuE4ELNS1_3repE0EEENS1_30default_config_static_selectorELNS0_4arch9wavefront6targetE1EEEvS12_.kd
    .uniform_work_group_size: 1
    .uses_dynamic_stack: false
    .vgpr_count:     0
    .vgpr_spill_count: 0
    .wavefront_size: 64
  - .agpr_count:     0
    .args:
      - .offset:         0
        .size:           176
        .value_kind:     by_value
    .group_segment_fixed_size: 0
    .kernarg_segment_align: 8
    .kernarg_segment_size: 176
    .language:       OpenCL C
    .language_version:
      - 2
      - 0
    .max_flat_workgroup_size: 256
    .name:           _ZN7rocprim17ROCPRIM_400000_NS6detail17trampoline_kernelINS0_13select_configILj256ELj13ELNS0_17block_load_methodE3ELS4_3ELS4_3ELNS0_20block_scan_algorithmE0ELj4294967295EEENS1_25partition_config_selectorILNS1_17partition_subalgoE4EjNS0_10empty_typeEbEEZZNS1_14partition_implILS8_4ELb0ES6_15HIP_vector_typeIjLj2EENS0_17counting_iteratorIjlEEPS9_SG_NS0_5tupleIJPjSI_NS0_16reverse_iteratorISI_EEEEENSH_IJSG_SG_SG_EEES9_SI_JZNS1_25segmented_radix_sort_implINS0_14default_configELb0EPKsPsPKlPlN2at6native12_GLOBAL__N_18offset_tEEE10hipError_tPvRmT1_PNSt15iterator_traitsIS12_E10value_typeET2_T3_PNS13_IS18_E10value_typeET4_jRbjT5_S1E_jjP12ihipStream_tbEUljE_ZNSN_ISO_Lb0ESQ_SR_ST_SU_SY_EESZ_S10_S11_S12_S16_S17_S18_S1B_S1C_jS1D_jS1E_S1E_jjS1G_bEUljE0_EEESZ_S10_S11_S18_S1C_S1E_T6_T7_T9_mT8_S1G_bDpT10_ENKUlT_T0_E_clISt17integral_constantIbLb0EES1U_EEDaS1P_S1Q_EUlS1P_E_NS1_11comp_targetILNS1_3genE9ELNS1_11target_archE1100ELNS1_3gpuE3ELNS1_3repE0EEENS1_30default_config_static_selectorELNS0_4arch9wavefront6targetE1EEEvS12_
    .private_segment_fixed_size: 0
    .sgpr_count:     4
    .sgpr_spill_count: 0
    .symbol:         _ZN7rocprim17ROCPRIM_400000_NS6detail17trampoline_kernelINS0_13select_configILj256ELj13ELNS0_17block_load_methodE3ELS4_3ELS4_3ELNS0_20block_scan_algorithmE0ELj4294967295EEENS1_25partition_config_selectorILNS1_17partition_subalgoE4EjNS0_10empty_typeEbEEZZNS1_14partition_implILS8_4ELb0ES6_15HIP_vector_typeIjLj2EENS0_17counting_iteratorIjlEEPS9_SG_NS0_5tupleIJPjSI_NS0_16reverse_iteratorISI_EEEEENSH_IJSG_SG_SG_EEES9_SI_JZNS1_25segmented_radix_sort_implINS0_14default_configELb0EPKsPsPKlPlN2at6native12_GLOBAL__N_18offset_tEEE10hipError_tPvRmT1_PNSt15iterator_traitsIS12_E10value_typeET2_T3_PNS13_IS18_E10value_typeET4_jRbjT5_S1E_jjP12ihipStream_tbEUljE_ZNSN_ISO_Lb0ESQ_SR_ST_SU_SY_EESZ_S10_S11_S12_S16_S17_S18_S1B_S1C_jS1D_jS1E_S1E_jjS1G_bEUljE0_EEESZ_S10_S11_S18_S1C_S1E_T6_T7_T9_mT8_S1G_bDpT10_ENKUlT_T0_E_clISt17integral_constantIbLb0EES1U_EEDaS1P_S1Q_EUlS1P_E_NS1_11comp_targetILNS1_3genE9ELNS1_11target_archE1100ELNS1_3gpuE3ELNS1_3repE0EEENS1_30default_config_static_selectorELNS0_4arch9wavefront6targetE1EEEvS12_.kd
    .uniform_work_group_size: 1
    .uses_dynamic_stack: false
    .vgpr_count:     0
    .vgpr_spill_count: 0
    .wavefront_size: 64
  - .agpr_count:     0
    .args:
      - .offset:         0
        .size:           176
        .value_kind:     by_value
    .group_segment_fixed_size: 0
    .kernarg_segment_align: 8
    .kernarg_segment_size: 176
    .language:       OpenCL C
    .language_version:
      - 2
      - 0
    .max_flat_workgroup_size: 256
    .name:           _ZN7rocprim17ROCPRIM_400000_NS6detail17trampoline_kernelINS0_13select_configILj256ELj13ELNS0_17block_load_methodE3ELS4_3ELS4_3ELNS0_20block_scan_algorithmE0ELj4294967295EEENS1_25partition_config_selectorILNS1_17partition_subalgoE4EjNS0_10empty_typeEbEEZZNS1_14partition_implILS8_4ELb0ES6_15HIP_vector_typeIjLj2EENS0_17counting_iteratorIjlEEPS9_SG_NS0_5tupleIJPjSI_NS0_16reverse_iteratorISI_EEEEENSH_IJSG_SG_SG_EEES9_SI_JZNS1_25segmented_radix_sort_implINS0_14default_configELb0EPKsPsPKlPlN2at6native12_GLOBAL__N_18offset_tEEE10hipError_tPvRmT1_PNSt15iterator_traitsIS12_E10value_typeET2_T3_PNS13_IS18_E10value_typeET4_jRbjT5_S1E_jjP12ihipStream_tbEUljE_ZNSN_ISO_Lb0ESQ_SR_ST_SU_SY_EESZ_S10_S11_S12_S16_S17_S18_S1B_S1C_jS1D_jS1E_S1E_jjS1G_bEUljE0_EEESZ_S10_S11_S18_S1C_S1E_T6_T7_T9_mT8_S1G_bDpT10_ENKUlT_T0_E_clISt17integral_constantIbLb0EES1U_EEDaS1P_S1Q_EUlS1P_E_NS1_11comp_targetILNS1_3genE8ELNS1_11target_archE1030ELNS1_3gpuE2ELNS1_3repE0EEENS1_30default_config_static_selectorELNS0_4arch9wavefront6targetE1EEEvS12_
    .private_segment_fixed_size: 0
    .sgpr_count:     4
    .sgpr_spill_count: 0
    .symbol:         _ZN7rocprim17ROCPRIM_400000_NS6detail17trampoline_kernelINS0_13select_configILj256ELj13ELNS0_17block_load_methodE3ELS4_3ELS4_3ELNS0_20block_scan_algorithmE0ELj4294967295EEENS1_25partition_config_selectorILNS1_17partition_subalgoE4EjNS0_10empty_typeEbEEZZNS1_14partition_implILS8_4ELb0ES6_15HIP_vector_typeIjLj2EENS0_17counting_iteratorIjlEEPS9_SG_NS0_5tupleIJPjSI_NS0_16reverse_iteratorISI_EEEEENSH_IJSG_SG_SG_EEES9_SI_JZNS1_25segmented_radix_sort_implINS0_14default_configELb0EPKsPsPKlPlN2at6native12_GLOBAL__N_18offset_tEEE10hipError_tPvRmT1_PNSt15iterator_traitsIS12_E10value_typeET2_T3_PNS13_IS18_E10value_typeET4_jRbjT5_S1E_jjP12ihipStream_tbEUljE_ZNSN_ISO_Lb0ESQ_SR_ST_SU_SY_EESZ_S10_S11_S12_S16_S17_S18_S1B_S1C_jS1D_jS1E_S1E_jjS1G_bEUljE0_EEESZ_S10_S11_S18_S1C_S1E_T6_T7_T9_mT8_S1G_bDpT10_ENKUlT_T0_E_clISt17integral_constantIbLb0EES1U_EEDaS1P_S1Q_EUlS1P_E_NS1_11comp_targetILNS1_3genE8ELNS1_11target_archE1030ELNS1_3gpuE2ELNS1_3repE0EEENS1_30default_config_static_selectorELNS0_4arch9wavefront6targetE1EEEvS12_.kd
    .uniform_work_group_size: 1
    .uses_dynamic_stack: false
    .vgpr_count:     0
    .vgpr_spill_count: 0
    .wavefront_size: 64
  - .agpr_count:     0
    .args:
      - .offset:         0
        .size:           184
        .value_kind:     by_value
    .group_segment_fixed_size: 0
    .kernarg_segment_align: 8
    .kernarg_segment_size: 184
    .language:       OpenCL C
    .language_version:
      - 2
      - 0
    .max_flat_workgroup_size: 256
    .name:           _ZN7rocprim17ROCPRIM_400000_NS6detail17trampoline_kernelINS0_13select_configILj256ELj13ELNS0_17block_load_methodE3ELS4_3ELS4_3ELNS0_20block_scan_algorithmE0ELj4294967295EEENS1_25partition_config_selectorILNS1_17partition_subalgoE4EjNS0_10empty_typeEbEEZZNS1_14partition_implILS8_4ELb0ES6_15HIP_vector_typeIjLj2EENS0_17counting_iteratorIjlEEPS9_SG_NS0_5tupleIJPjSI_NS0_16reverse_iteratorISI_EEEEENSH_IJSG_SG_SG_EEES9_SI_JZNS1_25segmented_radix_sort_implINS0_14default_configELb0EPKsPsPKlPlN2at6native12_GLOBAL__N_18offset_tEEE10hipError_tPvRmT1_PNSt15iterator_traitsIS12_E10value_typeET2_T3_PNS13_IS18_E10value_typeET4_jRbjT5_S1E_jjP12ihipStream_tbEUljE_ZNSN_ISO_Lb0ESQ_SR_ST_SU_SY_EESZ_S10_S11_S12_S16_S17_S18_S1B_S1C_jS1D_jS1E_S1E_jjS1G_bEUljE0_EEESZ_S10_S11_S18_S1C_S1E_T6_T7_T9_mT8_S1G_bDpT10_ENKUlT_T0_E_clISt17integral_constantIbLb1EES1U_EEDaS1P_S1Q_EUlS1P_E_NS1_11comp_targetILNS1_3genE0ELNS1_11target_archE4294967295ELNS1_3gpuE0ELNS1_3repE0EEENS1_30default_config_static_selectorELNS0_4arch9wavefront6targetE1EEEvS12_
    .private_segment_fixed_size: 0
    .sgpr_count:     4
    .sgpr_spill_count: 0
    .symbol:         _ZN7rocprim17ROCPRIM_400000_NS6detail17trampoline_kernelINS0_13select_configILj256ELj13ELNS0_17block_load_methodE3ELS4_3ELS4_3ELNS0_20block_scan_algorithmE0ELj4294967295EEENS1_25partition_config_selectorILNS1_17partition_subalgoE4EjNS0_10empty_typeEbEEZZNS1_14partition_implILS8_4ELb0ES6_15HIP_vector_typeIjLj2EENS0_17counting_iteratorIjlEEPS9_SG_NS0_5tupleIJPjSI_NS0_16reverse_iteratorISI_EEEEENSH_IJSG_SG_SG_EEES9_SI_JZNS1_25segmented_radix_sort_implINS0_14default_configELb0EPKsPsPKlPlN2at6native12_GLOBAL__N_18offset_tEEE10hipError_tPvRmT1_PNSt15iterator_traitsIS12_E10value_typeET2_T3_PNS13_IS18_E10value_typeET4_jRbjT5_S1E_jjP12ihipStream_tbEUljE_ZNSN_ISO_Lb0ESQ_SR_ST_SU_SY_EESZ_S10_S11_S12_S16_S17_S18_S1B_S1C_jS1D_jS1E_S1E_jjS1G_bEUljE0_EEESZ_S10_S11_S18_S1C_S1E_T6_T7_T9_mT8_S1G_bDpT10_ENKUlT_T0_E_clISt17integral_constantIbLb1EES1U_EEDaS1P_S1Q_EUlS1P_E_NS1_11comp_targetILNS1_3genE0ELNS1_11target_archE4294967295ELNS1_3gpuE0ELNS1_3repE0EEENS1_30default_config_static_selectorELNS0_4arch9wavefront6targetE1EEEvS12_.kd
    .uniform_work_group_size: 1
    .uses_dynamic_stack: false
    .vgpr_count:     0
    .vgpr_spill_count: 0
    .wavefront_size: 64
  - .agpr_count:     0
    .args:
      - .offset:         0
        .size:           184
        .value_kind:     by_value
    .group_segment_fixed_size: 0
    .kernarg_segment_align: 8
    .kernarg_segment_size: 184
    .language:       OpenCL C
    .language_version:
      - 2
      - 0
    .max_flat_workgroup_size: 256
    .name:           _ZN7rocprim17ROCPRIM_400000_NS6detail17trampoline_kernelINS0_13select_configILj256ELj13ELNS0_17block_load_methodE3ELS4_3ELS4_3ELNS0_20block_scan_algorithmE0ELj4294967295EEENS1_25partition_config_selectorILNS1_17partition_subalgoE4EjNS0_10empty_typeEbEEZZNS1_14partition_implILS8_4ELb0ES6_15HIP_vector_typeIjLj2EENS0_17counting_iteratorIjlEEPS9_SG_NS0_5tupleIJPjSI_NS0_16reverse_iteratorISI_EEEEENSH_IJSG_SG_SG_EEES9_SI_JZNS1_25segmented_radix_sort_implINS0_14default_configELb0EPKsPsPKlPlN2at6native12_GLOBAL__N_18offset_tEEE10hipError_tPvRmT1_PNSt15iterator_traitsIS12_E10value_typeET2_T3_PNS13_IS18_E10value_typeET4_jRbjT5_S1E_jjP12ihipStream_tbEUljE_ZNSN_ISO_Lb0ESQ_SR_ST_SU_SY_EESZ_S10_S11_S12_S16_S17_S18_S1B_S1C_jS1D_jS1E_S1E_jjS1G_bEUljE0_EEESZ_S10_S11_S18_S1C_S1E_T6_T7_T9_mT8_S1G_bDpT10_ENKUlT_T0_E_clISt17integral_constantIbLb1EES1U_EEDaS1P_S1Q_EUlS1P_E_NS1_11comp_targetILNS1_3genE5ELNS1_11target_archE942ELNS1_3gpuE9ELNS1_3repE0EEENS1_30default_config_static_selectorELNS0_4arch9wavefront6targetE1EEEvS12_
    .private_segment_fixed_size: 0
    .sgpr_count:     4
    .sgpr_spill_count: 0
    .symbol:         _ZN7rocprim17ROCPRIM_400000_NS6detail17trampoline_kernelINS0_13select_configILj256ELj13ELNS0_17block_load_methodE3ELS4_3ELS4_3ELNS0_20block_scan_algorithmE0ELj4294967295EEENS1_25partition_config_selectorILNS1_17partition_subalgoE4EjNS0_10empty_typeEbEEZZNS1_14partition_implILS8_4ELb0ES6_15HIP_vector_typeIjLj2EENS0_17counting_iteratorIjlEEPS9_SG_NS0_5tupleIJPjSI_NS0_16reverse_iteratorISI_EEEEENSH_IJSG_SG_SG_EEES9_SI_JZNS1_25segmented_radix_sort_implINS0_14default_configELb0EPKsPsPKlPlN2at6native12_GLOBAL__N_18offset_tEEE10hipError_tPvRmT1_PNSt15iterator_traitsIS12_E10value_typeET2_T3_PNS13_IS18_E10value_typeET4_jRbjT5_S1E_jjP12ihipStream_tbEUljE_ZNSN_ISO_Lb0ESQ_SR_ST_SU_SY_EESZ_S10_S11_S12_S16_S17_S18_S1B_S1C_jS1D_jS1E_S1E_jjS1G_bEUljE0_EEESZ_S10_S11_S18_S1C_S1E_T6_T7_T9_mT8_S1G_bDpT10_ENKUlT_T0_E_clISt17integral_constantIbLb1EES1U_EEDaS1P_S1Q_EUlS1P_E_NS1_11comp_targetILNS1_3genE5ELNS1_11target_archE942ELNS1_3gpuE9ELNS1_3repE0EEENS1_30default_config_static_selectorELNS0_4arch9wavefront6targetE1EEEvS12_.kd
    .uniform_work_group_size: 1
    .uses_dynamic_stack: false
    .vgpr_count:     0
    .vgpr_spill_count: 0
    .wavefront_size: 64
  - .agpr_count:     0
    .args:
      - .offset:         0
        .size:           184
        .value_kind:     by_value
    .group_segment_fixed_size: 13340
    .kernarg_segment_align: 8
    .kernarg_segment_size: 184
    .language:       OpenCL C
    .language_version:
      - 2
      - 0
    .max_flat_workgroup_size: 256
    .name:           _ZN7rocprim17ROCPRIM_400000_NS6detail17trampoline_kernelINS0_13select_configILj256ELj13ELNS0_17block_load_methodE3ELS4_3ELS4_3ELNS0_20block_scan_algorithmE0ELj4294967295EEENS1_25partition_config_selectorILNS1_17partition_subalgoE4EjNS0_10empty_typeEbEEZZNS1_14partition_implILS8_4ELb0ES6_15HIP_vector_typeIjLj2EENS0_17counting_iteratorIjlEEPS9_SG_NS0_5tupleIJPjSI_NS0_16reverse_iteratorISI_EEEEENSH_IJSG_SG_SG_EEES9_SI_JZNS1_25segmented_radix_sort_implINS0_14default_configELb0EPKsPsPKlPlN2at6native12_GLOBAL__N_18offset_tEEE10hipError_tPvRmT1_PNSt15iterator_traitsIS12_E10value_typeET2_T3_PNS13_IS18_E10value_typeET4_jRbjT5_S1E_jjP12ihipStream_tbEUljE_ZNSN_ISO_Lb0ESQ_SR_ST_SU_SY_EESZ_S10_S11_S12_S16_S17_S18_S1B_S1C_jS1D_jS1E_S1E_jjS1G_bEUljE0_EEESZ_S10_S11_S18_S1C_S1E_T6_T7_T9_mT8_S1G_bDpT10_ENKUlT_T0_E_clISt17integral_constantIbLb1EES1U_EEDaS1P_S1Q_EUlS1P_E_NS1_11comp_targetILNS1_3genE4ELNS1_11target_archE910ELNS1_3gpuE8ELNS1_3repE0EEENS1_30default_config_static_selectorELNS0_4arch9wavefront6targetE1EEEvS12_
    .private_segment_fixed_size: 0
    .sgpr_count:     91
    .sgpr_spill_count: 0
    .symbol:         _ZN7rocprim17ROCPRIM_400000_NS6detail17trampoline_kernelINS0_13select_configILj256ELj13ELNS0_17block_load_methodE3ELS4_3ELS4_3ELNS0_20block_scan_algorithmE0ELj4294967295EEENS1_25partition_config_selectorILNS1_17partition_subalgoE4EjNS0_10empty_typeEbEEZZNS1_14partition_implILS8_4ELb0ES6_15HIP_vector_typeIjLj2EENS0_17counting_iteratorIjlEEPS9_SG_NS0_5tupleIJPjSI_NS0_16reverse_iteratorISI_EEEEENSH_IJSG_SG_SG_EEES9_SI_JZNS1_25segmented_radix_sort_implINS0_14default_configELb0EPKsPsPKlPlN2at6native12_GLOBAL__N_18offset_tEEE10hipError_tPvRmT1_PNSt15iterator_traitsIS12_E10value_typeET2_T3_PNS13_IS18_E10value_typeET4_jRbjT5_S1E_jjP12ihipStream_tbEUljE_ZNSN_ISO_Lb0ESQ_SR_ST_SU_SY_EESZ_S10_S11_S12_S16_S17_S18_S1B_S1C_jS1D_jS1E_S1E_jjS1G_bEUljE0_EEESZ_S10_S11_S18_S1C_S1E_T6_T7_T9_mT8_S1G_bDpT10_ENKUlT_T0_E_clISt17integral_constantIbLb1EES1U_EEDaS1P_S1Q_EUlS1P_E_NS1_11comp_targetILNS1_3genE4ELNS1_11target_archE910ELNS1_3gpuE8ELNS1_3repE0EEENS1_30default_config_static_selectorELNS0_4arch9wavefront6targetE1EEEvS12_.kd
    .uniform_work_group_size: 1
    .uses_dynamic_stack: false
    .vgpr_count:     107
    .vgpr_spill_count: 0
    .wavefront_size: 64
  - .agpr_count:     0
    .args:
      - .offset:         0
        .size:           184
        .value_kind:     by_value
    .group_segment_fixed_size: 0
    .kernarg_segment_align: 8
    .kernarg_segment_size: 184
    .language:       OpenCL C
    .language_version:
      - 2
      - 0
    .max_flat_workgroup_size: 256
    .name:           _ZN7rocprim17ROCPRIM_400000_NS6detail17trampoline_kernelINS0_13select_configILj256ELj13ELNS0_17block_load_methodE3ELS4_3ELS4_3ELNS0_20block_scan_algorithmE0ELj4294967295EEENS1_25partition_config_selectorILNS1_17partition_subalgoE4EjNS0_10empty_typeEbEEZZNS1_14partition_implILS8_4ELb0ES6_15HIP_vector_typeIjLj2EENS0_17counting_iteratorIjlEEPS9_SG_NS0_5tupleIJPjSI_NS0_16reverse_iteratorISI_EEEEENSH_IJSG_SG_SG_EEES9_SI_JZNS1_25segmented_radix_sort_implINS0_14default_configELb0EPKsPsPKlPlN2at6native12_GLOBAL__N_18offset_tEEE10hipError_tPvRmT1_PNSt15iterator_traitsIS12_E10value_typeET2_T3_PNS13_IS18_E10value_typeET4_jRbjT5_S1E_jjP12ihipStream_tbEUljE_ZNSN_ISO_Lb0ESQ_SR_ST_SU_SY_EESZ_S10_S11_S12_S16_S17_S18_S1B_S1C_jS1D_jS1E_S1E_jjS1G_bEUljE0_EEESZ_S10_S11_S18_S1C_S1E_T6_T7_T9_mT8_S1G_bDpT10_ENKUlT_T0_E_clISt17integral_constantIbLb1EES1U_EEDaS1P_S1Q_EUlS1P_E_NS1_11comp_targetILNS1_3genE3ELNS1_11target_archE908ELNS1_3gpuE7ELNS1_3repE0EEENS1_30default_config_static_selectorELNS0_4arch9wavefront6targetE1EEEvS12_
    .private_segment_fixed_size: 0
    .sgpr_count:     4
    .sgpr_spill_count: 0
    .symbol:         _ZN7rocprim17ROCPRIM_400000_NS6detail17trampoline_kernelINS0_13select_configILj256ELj13ELNS0_17block_load_methodE3ELS4_3ELS4_3ELNS0_20block_scan_algorithmE0ELj4294967295EEENS1_25partition_config_selectorILNS1_17partition_subalgoE4EjNS0_10empty_typeEbEEZZNS1_14partition_implILS8_4ELb0ES6_15HIP_vector_typeIjLj2EENS0_17counting_iteratorIjlEEPS9_SG_NS0_5tupleIJPjSI_NS0_16reverse_iteratorISI_EEEEENSH_IJSG_SG_SG_EEES9_SI_JZNS1_25segmented_radix_sort_implINS0_14default_configELb0EPKsPsPKlPlN2at6native12_GLOBAL__N_18offset_tEEE10hipError_tPvRmT1_PNSt15iterator_traitsIS12_E10value_typeET2_T3_PNS13_IS18_E10value_typeET4_jRbjT5_S1E_jjP12ihipStream_tbEUljE_ZNSN_ISO_Lb0ESQ_SR_ST_SU_SY_EESZ_S10_S11_S12_S16_S17_S18_S1B_S1C_jS1D_jS1E_S1E_jjS1G_bEUljE0_EEESZ_S10_S11_S18_S1C_S1E_T6_T7_T9_mT8_S1G_bDpT10_ENKUlT_T0_E_clISt17integral_constantIbLb1EES1U_EEDaS1P_S1Q_EUlS1P_E_NS1_11comp_targetILNS1_3genE3ELNS1_11target_archE908ELNS1_3gpuE7ELNS1_3repE0EEENS1_30default_config_static_selectorELNS0_4arch9wavefront6targetE1EEEvS12_.kd
    .uniform_work_group_size: 1
    .uses_dynamic_stack: false
    .vgpr_count:     0
    .vgpr_spill_count: 0
    .wavefront_size: 64
  - .agpr_count:     0
    .args:
      - .offset:         0
        .size:           184
        .value_kind:     by_value
    .group_segment_fixed_size: 0
    .kernarg_segment_align: 8
    .kernarg_segment_size: 184
    .language:       OpenCL C
    .language_version:
      - 2
      - 0
    .max_flat_workgroup_size: 256
    .name:           _ZN7rocprim17ROCPRIM_400000_NS6detail17trampoline_kernelINS0_13select_configILj256ELj13ELNS0_17block_load_methodE3ELS4_3ELS4_3ELNS0_20block_scan_algorithmE0ELj4294967295EEENS1_25partition_config_selectorILNS1_17partition_subalgoE4EjNS0_10empty_typeEbEEZZNS1_14partition_implILS8_4ELb0ES6_15HIP_vector_typeIjLj2EENS0_17counting_iteratorIjlEEPS9_SG_NS0_5tupleIJPjSI_NS0_16reverse_iteratorISI_EEEEENSH_IJSG_SG_SG_EEES9_SI_JZNS1_25segmented_radix_sort_implINS0_14default_configELb0EPKsPsPKlPlN2at6native12_GLOBAL__N_18offset_tEEE10hipError_tPvRmT1_PNSt15iterator_traitsIS12_E10value_typeET2_T3_PNS13_IS18_E10value_typeET4_jRbjT5_S1E_jjP12ihipStream_tbEUljE_ZNSN_ISO_Lb0ESQ_SR_ST_SU_SY_EESZ_S10_S11_S12_S16_S17_S18_S1B_S1C_jS1D_jS1E_S1E_jjS1G_bEUljE0_EEESZ_S10_S11_S18_S1C_S1E_T6_T7_T9_mT8_S1G_bDpT10_ENKUlT_T0_E_clISt17integral_constantIbLb1EES1U_EEDaS1P_S1Q_EUlS1P_E_NS1_11comp_targetILNS1_3genE2ELNS1_11target_archE906ELNS1_3gpuE6ELNS1_3repE0EEENS1_30default_config_static_selectorELNS0_4arch9wavefront6targetE1EEEvS12_
    .private_segment_fixed_size: 0
    .sgpr_count:     4
    .sgpr_spill_count: 0
    .symbol:         _ZN7rocprim17ROCPRIM_400000_NS6detail17trampoline_kernelINS0_13select_configILj256ELj13ELNS0_17block_load_methodE3ELS4_3ELS4_3ELNS0_20block_scan_algorithmE0ELj4294967295EEENS1_25partition_config_selectorILNS1_17partition_subalgoE4EjNS0_10empty_typeEbEEZZNS1_14partition_implILS8_4ELb0ES6_15HIP_vector_typeIjLj2EENS0_17counting_iteratorIjlEEPS9_SG_NS0_5tupleIJPjSI_NS0_16reverse_iteratorISI_EEEEENSH_IJSG_SG_SG_EEES9_SI_JZNS1_25segmented_radix_sort_implINS0_14default_configELb0EPKsPsPKlPlN2at6native12_GLOBAL__N_18offset_tEEE10hipError_tPvRmT1_PNSt15iterator_traitsIS12_E10value_typeET2_T3_PNS13_IS18_E10value_typeET4_jRbjT5_S1E_jjP12ihipStream_tbEUljE_ZNSN_ISO_Lb0ESQ_SR_ST_SU_SY_EESZ_S10_S11_S12_S16_S17_S18_S1B_S1C_jS1D_jS1E_S1E_jjS1G_bEUljE0_EEESZ_S10_S11_S18_S1C_S1E_T6_T7_T9_mT8_S1G_bDpT10_ENKUlT_T0_E_clISt17integral_constantIbLb1EES1U_EEDaS1P_S1Q_EUlS1P_E_NS1_11comp_targetILNS1_3genE2ELNS1_11target_archE906ELNS1_3gpuE6ELNS1_3repE0EEENS1_30default_config_static_selectorELNS0_4arch9wavefront6targetE1EEEvS12_.kd
    .uniform_work_group_size: 1
    .uses_dynamic_stack: false
    .vgpr_count:     0
    .vgpr_spill_count: 0
    .wavefront_size: 64
  - .agpr_count:     0
    .args:
      - .offset:         0
        .size:           184
        .value_kind:     by_value
    .group_segment_fixed_size: 0
    .kernarg_segment_align: 8
    .kernarg_segment_size: 184
    .language:       OpenCL C
    .language_version:
      - 2
      - 0
    .max_flat_workgroup_size: 256
    .name:           _ZN7rocprim17ROCPRIM_400000_NS6detail17trampoline_kernelINS0_13select_configILj256ELj13ELNS0_17block_load_methodE3ELS4_3ELS4_3ELNS0_20block_scan_algorithmE0ELj4294967295EEENS1_25partition_config_selectorILNS1_17partition_subalgoE4EjNS0_10empty_typeEbEEZZNS1_14partition_implILS8_4ELb0ES6_15HIP_vector_typeIjLj2EENS0_17counting_iteratorIjlEEPS9_SG_NS0_5tupleIJPjSI_NS0_16reverse_iteratorISI_EEEEENSH_IJSG_SG_SG_EEES9_SI_JZNS1_25segmented_radix_sort_implINS0_14default_configELb0EPKsPsPKlPlN2at6native12_GLOBAL__N_18offset_tEEE10hipError_tPvRmT1_PNSt15iterator_traitsIS12_E10value_typeET2_T3_PNS13_IS18_E10value_typeET4_jRbjT5_S1E_jjP12ihipStream_tbEUljE_ZNSN_ISO_Lb0ESQ_SR_ST_SU_SY_EESZ_S10_S11_S12_S16_S17_S18_S1B_S1C_jS1D_jS1E_S1E_jjS1G_bEUljE0_EEESZ_S10_S11_S18_S1C_S1E_T6_T7_T9_mT8_S1G_bDpT10_ENKUlT_T0_E_clISt17integral_constantIbLb1EES1U_EEDaS1P_S1Q_EUlS1P_E_NS1_11comp_targetILNS1_3genE10ELNS1_11target_archE1200ELNS1_3gpuE4ELNS1_3repE0EEENS1_30default_config_static_selectorELNS0_4arch9wavefront6targetE1EEEvS12_
    .private_segment_fixed_size: 0
    .sgpr_count:     4
    .sgpr_spill_count: 0
    .symbol:         _ZN7rocprim17ROCPRIM_400000_NS6detail17trampoline_kernelINS0_13select_configILj256ELj13ELNS0_17block_load_methodE3ELS4_3ELS4_3ELNS0_20block_scan_algorithmE0ELj4294967295EEENS1_25partition_config_selectorILNS1_17partition_subalgoE4EjNS0_10empty_typeEbEEZZNS1_14partition_implILS8_4ELb0ES6_15HIP_vector_typeIjLj2EENS0_17counting_iteratorIjlEEPS9_SG_NS0_5tupleIJPjSI_NS0_16reverse_iteratorISI_EEEEENSH_IJSG_SG_SG_EEES9_SI_JZNS1_25segmented_radix_sort_implINS0_14default_configELb0EPKsPsPKlPlN2at6native12_GLOBAL__N_18offset_tEEE10hipError_tPvRmT1_PNSt15iterator_traitsIS12_E10value_typeET2_T3_PNS13_IS18_E10value_typeET4_jRbjT5_S1E_jjP12ihipStream_tbEUljE_ZNSN_ISO_Lb0ESQ_SR_ST_SU_SY_EESZ_S10_S11_S12_S16_S17_S18_S1B_S1C_jS1D_jS1E_S1E_jjS1G_bEUljE0_EEESZ_S10_S11_S18_S1C_S1E_T6_T7_T9_mT8_S1G_bDpT10_ENKUlT_T0_E_clISt17integral_constantIbLb1EES1U_EEDaS1P_S1Q_EUlS1P_E_NS1_11comp_targetILNS1_3genE10ELNS1_11target_archE1200ELNS1_3gpuE4ELNS1_3repE0EEENS1_30default_config_static_selectorELNS0_4arch9wavefront6targetE1EEEvS12_.kd
    .uniform_work_group_size: 1
    .uses_dynamic_stack: false
    .vgpr_count:     0
    .vgpr_spill_count: 0
    .wavefront_size: 64
  - .agpr_count:     0
    .args:
      - .offset:         0
        .size:           184
        .value_kind:     by_value
    .group_segment_fixed_size: 0
    .kernarg_segment_align: 8
    .kernarg_segment_size: 184
    .language:       OpenCL C
    .language_version:
      - 2
      - 0
    .max_flat_workgroup_size: 256
    .name:           _ZN7rocprim17ROCPRIM_400000_NS6detail17trampoline_kernelINS0_13select_configILj256ELj13ELNS0_17block_load_methodE3ELS4_3ELS4_3ELNS0_20block_scan_algorithmE0ELj4294967295EEENS1_25partition_config_selectorILNS1_17partition_subalgoE4EjNS0_10empty_typeEbEEZZNS1_14partition_implILS8_4ELb0ES6_15HIP_vector_typeIjLj2EENS0_17counting_iteratorIjlEEPS9_SG_NS0_5tupleIJPjSI_NS0_16reverse_iteratorISI_EEEEENSH_IJSG_SG_SG_EEES9_SI_JZNS1_25segmented_radix_sort_implINS0_14default_configELb0EPKsPsPKlPlN2at6native12_GLOBAL__N_18offset_tEEE10hipError_tPvRmT1_PNSt15iterator_traitsIS12_E10value_typeET2_T3_PNS13_IS18_E10value_typeET4_jRbjT5_S1E_jjP12ihipStream_tbEUljE_ZNSN_ISO_Lb0ESQ_SR_ST_SU_SY_EESZ_S10_S11_S12_S16_S17_S18_S1B_S1C_jS1D_jS1E_S1E_jjS1G_bEUljE0_EEESZ_S10_S11_S18_S1C_S1E_T6_T7_T9_mT8_S1G_bDpT10_ENKUlT_T0_E_clISt17integral_constantIbLb1EES1U_EEDaS1P_S1Q_EUlS1P_E_NS1_11comp_targetILNS1_3genE9ELNS1_11target_archE1100ELNS1_3gpuE3ELNS1_3repE0EEENS1_30default_config_static_selectorELNS0_4arch9wavefront6targetE1EEEvS12_
    .private_segment_fixed_size: 0
    .sgpr_count:     4
    .sgpr_spill_count: 0
    .symbol:         _ZN7rocprim17ROCPRIM_400000_NS6detail17trampoline_kernelINS0_13select_configILj256ELj13ELNS0_17block_load_methodE3ELS4_3ELS4_3ELNS0_20block_scan_algorithmE0ELj4294967295EEENS1_25partition_config_selectorILNS1_17partition_subalgoE4EjNS0_10empty_typeEbEEZZNS1_14partition_implILS8_4ELb0ES6_15HIP_vector_typeIjLj2EENS0_17counting_iteratorIjlEEPS9_SG_NS0_5tupleIJPjSI_NS0_16reverse_iteratorISI_EEEEENSH_IJSG_SG_SG_EEES9_SI_JZNS1_25segmented_radix_sort_implINS0_14default_configELb0EPKsPsPKlPlN2at6native12_GLOBAL__N_18offset_tEEE10hipError_tPvRmT1_PNSt15iterator_traitsIS12_E10value_typeET2_T3_PNS13_IS18_E10value_typeET4_jRbjT5_S1E_jjP12ihipStream_tbEUljE_ZNSN_ISO_Lb0ESQ_SR_ST_SU_SY_EESZ_S10_S11_S12_S16_S17_S18_S1B_S1C_jS1D_jS1E_S1E_jjS1G_bEUljE0_EEESZ_S10_S11_S18_S1C_S1E_T6_T7_T9_mT8_S1G_bDpT10_ENKUlT_T0_E_clISt17integral_constantIbLb1EES1U_EEDaS1P_S1Q_EUlS1P_E_NS1_11comp_targetILNS1_3genE9ELNS1_11target_archE1100ELNS1_3gpuE3ELNS1_3repE0EEENS1_30default_config_static_selectorELNS0_4arch9wavefront6targetE1EEEvS12_.kd
    .uniform_work_group_size: 1
    .uses_dynamic_stack: false
    .vgpr_count:     0
    .vgpr_spill_count: 0
    .wavefront_size: 64
  - .agpr_count:     0
    .args:
      - .offset:         0
        .size:           184
        .value_kind:     by_value
    .group_segment_fixed_size: 0
    .kernarg_segment_align: 8
    .kernarg_segment_size: 184
    .language:       OpenCL C
    .language_version:
      - 2
      - 0
    .max_flat_workgroup_size: 256
    .name:           _ZN7rocprim17ROCPRIM_400000_NS6detail17trampoline_kernelINS0_13select_configILj256ELj13ELNS0_17block_load_methodE3ELS4_3ELS4_3ELNS0_20block_scan_algorithmE0ELj4294967295EEENS1_25partition_config_selectorILNS1_17partition_subalgoE4EjNS0_10empty_typeEbEEZZNS1_14partition_implILS8_4ELb0ES6_15HIP_vector_typeIjLj2EENS0_17counting_iteratorIjlEEPS9_SG_NS0_5tupleIJPjSI_NS0_16reverse_iteratorISI_EEEEENSH_IJSG_SG_SG_EEES9_SI_JZNS1_25segmented_radix_sort_implINS0_14default_configELb0EPKsPsPKlPlN2at6native12_GLOBAL__N_18offset_tEEE10hipError_tPvRmT1_PNSt15iterator_traitsIS12_E10value_typeET2_T3_PNS13_IS18_E10value_typeET4_jRbjT5_S1E_jjP12ihipStream_tbEUljE_ZNSN_ISO_Lb0ESQ_SR_ST_SU_SY_EESZ_S10_S11_S12_S16_S17_S18_S1B_S1C_jS1D_jS1E_S1E_jjS1G_bEUljE0_EEESZ_S10_S11_S18_S1C_S1E_T6_T7_T9_mT8_S1G_bDpT10_ENKUlT_T0_E_clISt17integral_constantIbLb1EES1U_EEDaS1P_S1Q_EUlS1P_E_NS1_11comp_targetILNS1_3genE8ELNS1_11target_archE1030ELNS1_3gpuE2ELNS1_3repE0EEENS1_30default_config_static_selectorELNS0_4arch9wavefront6targetE1EEEvS12_
    .private_segment_fixed_size: 0
    .sgpr_count:     4
    .sgpr_spill_count: 0
    .symbol:         _ZN7rocprim17ROCPRIM_400000_NS6detail17trampoline_kernelINS0_13select_configILj256ELj13ELNS0_17block_load_methodE3ELS4_3ELS4_3ELNS0_20block_scan_algorithmE0ELj4294967295EEENS1_25partition_config_selectorILNS1_17partition_subalgoE4EjNS0_10empty_typeEbEEZZNS1_14partition_implILS8_4ELb0ES6_15HIP_vector_typeIjLj2EENS0_17counting_iteratorIjlEEPS9_SG_NS0_5tupleIJPjSI_NS0_16reverse_iteratorISI_EEEEENSH_IJSG_SG_SG_EEES9_SI_JZNS1_25segmented_radix_sort_implINS0_14default_configELb0EPKsPsPKlPlN2at6native12_GLOBAL__N_18offset_tEEE10hipError_tPvRmT1_PNSt15iterator_traitsIS12_E10value_typeET2_T3_PNS13_IS18_E10value_typeET4_jRbjT5_S1E_jjP12ihipStream_tbEUljE_ZNSN_ISO_Lb0ESQ_SR_ST_SU_SY_EESZ_S10_S11_S12_S16_S17_S18_S1B_S1C_jS1D_jS1E_S1E_jjS1G_bEUljE0_EEESZ_S10_S11_S18_S1C_S1E_T6_T7_T9_mT8_S1G_bDpT10_ENKUlT_T0_E_clISt17integral_constantIbLb1EES1U_EEDaS1P_S1Q_EUlS1P_E_NS1_11comp_targetILNS1_3genE8ELNS1_11target_archE1030ELNS1_3gpuE2ELNS1_3repE0EEENS1_30default_config_static_selectorELNS0_4arch9wavefront6targetE1EEEvS12_.kd
    .uniform_work_group_size: 1
    .uses_dynamic_stack: false
    .vgpr_count:     0
    .vgpr_spill_count: 0
    .wavefront_size: 64
  - .agpr_count:     0
    .args:
      - .offset:         0
        .size:           176
        .value_kind:     by_value
    .group_segment_fixed_size: 0
    .kernarg_segment_align: 8
    .kernarg_segment_size: 176
    .language:       OpenCL C
    .language_version:
      - 2
      - 0
    .max_flat_workgroup_size: 256
    .name:           _ZN7rocprim17ROCPRIM_400000_NS6detail17trampoline_kernelINS0_13select_configILj256ELj13ELNS0_17block_load_methodE3ELS4_3ELS4_3ELNS0_20block_scan_algorithmE0ELj4294967295EEENS1_25partition_config_selectorILNS1_17partition_subalgoE4EjNS0_10empty_typeEbEEZZNS1_14partition_implILS8_4ELb0ES6_15HIP_vector_typeIjLj2EENS0_17counting_iteratorIjlEEPS9_SG_NS0_5tupleIJPjSI_NS0_16reverse_iteratorISI_EEEEENSH_IJSG_SG_SG_EEES9_SI_JZNS1_25segmented_radix_sort_implINS0_14default_configELb0EPKsPsPKlPlN2at6native12_GLOBAL__N_18offset_tEEE10hipError_tPvRmT1_PNSt15iterator_traitsIS12_E10value_typeET2_T3_PNS13_IS18_E10value_typeET4_jRbjT5_S1E_jjP12ihipStream_tbEUljE_ZNSN_ISO_Lb0ESQ_SR_ST_SU_SY_EESZ_S10_S11_S12_S16_S17_S18_S1B_S1C_jS1D_jS1E_S1E_jjS1G_bEUljE0_EEESZ_S10_S11_S18_S1C_S1E_T6_T7_T9_mT8_S1G_bDpT10_ENKUlT_T0_E_clISt17integral_constantIbLb1EES1T_IbLb0EEEEDaS1P_S1Q_EUlS1P_E_NS1_11comp_targetILNS1_3genE0ELNS1_11target_archE4294967295ELNS1_3gpuE0ELNS1_3repE0EEENS1_30default_config_static_selectorELNS0_4arch9wavefront6targetE1EEEvS12_
    .private_segment_fixed_size: 0
    .sgpr_count:     4
    .sgpr_spill_count: 0
    .symbol:         _ZN7rocprim17ROCPRIM_400000_NS6detail17trampoline_kernelINS0_13select_configILj256ELj13ELNS0_17block_load_methodE3ELS4_3ELS4_3ELNS0_20block_scan_algorithmE0ELj4294967295EEENS1_25partition_config_selectorILNS1_17partition_subalgoE4EjNS0_10empty_typeEbEEZZNS1_14partition_implILS8_4ELb0ES6_15HIP_vector_typeIjLj2EENS0_17counting_iteratorIjlEEPS9_SG_NS0_5tupleIJPjSI_NS0_16reverse_iteratorISI_EEEEENSH_IJSG_SG_SG_EEES9_SI_JZNS1_25segmented_radix_sort_implINS0_14default_configELb0EPKsPsPKlPlN2at6native12_GLOBAL__N_18offset_tEEE10hipError_tPvRmT1_PNSt15iterator_traitsIS12_E10value_typeET2_T3_PNS13_IS18_E10value_typeET4_jRbjT5_S1E_jjP12ihipStream_tbEUljE_ZNSN_ISO_Lb0ESQ_SR_ST_SU_SY_EESZ_S10_S11_S12_S16_S17_S18_S1B_S1C_jS1D_jS1E_S1E_jjS1G_bEUljE0_EEESZ_S10_S11_S18_S1C_S1E_T6_T7_T9_mT8_S1G_bDpT10_ENKUlT_T0_E_clISt17integral_constantIbLb1EES1T_IbLb0EEEEDaS1P_S1Q_EUlS1P_E_NS1_11comp_targetILNS1_3genE0ELNS1_11target_archE4294967295ELNS1_3gpuE0ELNS1_3repE0EEENS1_30default_config_static_selectorELNS0_4arch9wavefront6targetE1EEEvS12_.kd
    .uniform_work_group_size: 1
    .uses_dynamic_stack: false
    .vgpr_count:     0
    .vgpr_spill_count: 0
    .wavefront_size: 64
  - .agpr_count:     0
    .args:
      - .offset:         0
        .size:           176
        .value_kind:     by_value
    .group_segment_fixed_size: 0
    .kernarg_segment_align: 8
    .kernarg_segment_size: 176
    .language:       OpenCL C
    .language_version:
      - 2
      - 0
    .max_flat_workgroup_size: 256
    .name:           _ZN7rocprim17ROCPRIM_400000_NS6detail17trampoline_kernelINS0_13select_configILj256ELj13ELNS0_17block_load_methodE3ELS4_3ELS4_3ELNS0_20block_scan_algorithmE0ELj4294967295EEENS1_25partition_config_selectorILNS1_17partition_subalgoE4EjNS0_10empty_typeEbEEZZNS1_14partition_implILS8_4ELb0ES6_15HIP_vector_typeIjLj2EENS0_17counting_iteratorIjlEEPS9_SG_NS0_5tupleIJPjSI_NS0_16reverse_iteratorISI_EEEEENSH_IJSG_SG_SG_EEES9_SI_JZNS1_25segmented_radix_sort_implINS0_14default_configELb0EPKsPsPKlPlN2at6native12_GLOBAL__N_18offset_tEEE10hipError_tPvRmT1_PNSt15iterator_traitsIS12_E10value_typeET2_T3_PNS13_IS18_E10value_typeET4_jRbjT5_S1E_jjP12ihipStream_tbEUljE_ZNSN_ISO_Lb0ESQ_SR_ST_SU_SY_EESZ_S10_S11_S12_S16_S17_S18_S1B_S1C_jS1D_jS1E_S1E_jjS1G_bEUljE0_EEESZ_S10_S11_S18_S1C_S1E_T6_T7_T9_mT8_S1G_bDpT10_ENKUlT_T0_E_clISt17integral_constantIbLb1EES1T_IbLb0EEEEDaS1P_S1Q_EUlS1P_E_NS1_11comp_targetILNS1_3genE5ELNS1_11target_archE942ELNS1_3gpuE9ELNS1_3repE0EEENS1_30default_config_static_selectorELNS0_4arch9wavefront6targetE1EEEvS12_
    .private_segment_fixed_size: 0
    .sgpr_count:     4
    .sgpr_spill_count: 0
    .symbol:         _ZN7rocprim17ROCPRIM_400000_NS6detail17trampoline_kernelINS0_13select_configILj256ELj13ELNS0_17block_load_methodE3ELS4_3ELS4_3ELNS0_20block_scan_algorithmE0ELj4294967295EEENS1_25partition_config_selectorILNS1_17partition_subalgoE4EjNS0_10empty_typeEbEEZZNS1_14partition_implILS8_4ELb0ES6_15HIP_vector_typeIjLj2EENS0_17counting_iteratorIjlEEPS9_SG_NS0_5tupleIJPjSI_NS0_16reverse_iteratorISI_EEEEENSH_IJSG_SG_SG_EEES9_SI_JZNS1_25segmented_radix_sort_implINS0_14default_configELb0EPKsPsPKlPlN2at6native12_GLOBAL__N_18offset_tEEE10hipError_tPvRmT1_PNSt15iterator_traitsIS12_E10value_typeET2_T3_PNS13_IS18_E10value_typeET4_jRbjT5_S1E_jjP12ihipStream_tbEUljE_ZNSN_ISO_Lb0ESQ_SR_ST_SU_SY_EESZ_S10_S11_S12_S16_S17_S18_S1B_S1C_jS1D_jS1E_S1E_jjS1G_bEUljE0_EEESZ_S10_S11_S18_S1C_S1E_T6_T7_T9_mT8_S1G_bDpT10_ENKUlT_T0_E_clISt17integral_constantIbLb1EES1T_IbLb0EEEEDaS1P_S1Q_EUlS1P_E_NS1_11comp_targetILNS1_3genE5ELNS1_11target_archE942ELNS1_3gpuE9ELNS1_3repE0EEENS1_30default_config_static_selectorELNS0_4arch9wavefront6targetE1EEEvS12_.kd
    .uniform_work_group_size: 1
    .uses_dynamic_stack: false
    .vgpr_count:     0
    .vgpr_spill_count: 0
    .wavefront_size: 64
  - .agpr_count:     0
    .args:
      - .offset:         0
        .size:           176
        .value_kind:     by_value
    .group_segment_fixed_size: 13340
    .kernarg_segment_align: 8
    .kernarg_segment_size: 176
    .language:       OpenCL C
    .language_version:
      - 2
      - 0
    .max_flat_workgroup_size: 256
    .name:           _ZN7rocprim17ROCPRIM_400000_NS6detail17trampoline_kernelINS0_13select_configILj256ELj13ELNS0_17block_load_methodE3ELS4_3ELS4_3ELNS0_20block_scan_algorithmE0ELj4294967295EEENS1_25partition_config_selectorILNS1_17partition_subalgoE4EjNS0_10empty_typeEbEEZZNS1_14partition_implILS8_4ELb0ES6_15HIP_vector_typeIjLj2EENS0_17counting_iteratorIjlEEPS9_SG_NS0_5tupleIJPjSI_NS0_16reverse_iteratorISI_EEEEENSH_IJSG_SG_SG_EEES9_SI_JZNS1_25segmented_radix_sort_implINS0_14default_configELb0EPKsPsPKlPlN2at6native12_GLOBAL__N_18offset_tEEE10hipError_tPvRmT1_PNSt15iterator_traitsIS12_E10value_typeET2_T3_PNS13_IS18_E10value_typeET4_jRbjT5_S1E_jjP12ihipStream_tbEUljE_ZNSN_ISO_Lb0ESQ_SR_ST_SU_SY_EESZ_S10_S11_S12_S16_S17_S18_S1B_S1C_jS1D_jS1E_S1E_jjS1G_bEUljE0_EEESZ_S10_S11_S18_S1C_S1E_T6_T7_T9_mT8_S1G_bDpT10_ENKUlT_T0_E_clISt17integral_constantIbLb1EES1T_IbLb0EEEEDaS1P_S1Q_EUlS1P_E_NS1_11comp_targetILNS1_3genE4ELNS1_11target_archE910ELNS1_3gpuE8ELNS1_3repE0EEENS1_30default_config_static_selectorELNS0_4arch9wavefront6targetE1EEEvS12_
    .private_segment_fixed_size: 0
    .sgpr_count:     94
    .sgpr_spill_count: 0
    .symbol:         _ZN7rocprim17ROCPRIM_400000_NS6detail17trampoline_kernelINS0_13select_configILj256ELj13ELNS0_17block_load_methodE3ELS4_3ELS4_3ELNS0_20block_scan_algorithmE0ELj4294967295EEENS1_25partition_config_selectorILNS1_17partition_subalgoE4EjNS0_10empty_typeEbEEZZNS1_14partition_implILS8_4ELb0ES6_15HIP_vector_typeIjLj2EENS0_17counting_iteratorIjlEEPS9_SG_NS0_5tupleIJPjSI_NS0_16reverse_iteratorISI_EEEEENSH_IJSG_SG_SG_EEES9_SI_JZNS1_25segmented_radix_sort_implINS0_14default_configELb0EPKsPsPKlPlN2at6native12_GLOBAL__N_18offset_tEEE10hipError_tPvRmT1_PNSt15iterator_traitsIS12_E10value_typeET2_T3_PNS13_IS18_E10value_typeET4_jRbjT5_S1E_jjP12ihipStream_tbEUljE_ZNSN_ISO_Lb0ESQ_SR_ST_SU_SY_EESZ_S10_S11_S12_S16_S17_S18_S1B_S1C_jS1D_jS1E_S1E_jjS1G_bEUljE0_EEESZ_S10_S11_S18_S1C_S1E_T6_T7_T9_mT8_S1G_bDpT10_ENKUlT_T0_E_clISt17integral_constantIbLb1EES1T_IbLb0EEEEDaS1P_S1Q_EUlS1P_E_NS1_11comp_targetILNS1_3genE4ELNS1_11target_archE910ELNS1_3gpuE8ELNS1_3repE0EEENS1_30default_config_static_selectorELNS0_4arch9wavefront6targetE1EEEvS12_.kd
    .uniform_work_group_size: 1
    .uses_dynamic_stack: false
    .vgpr_count:     102
    .vgpr_spill_count: 0
    .wavefront_size: 64
  - .agpr_count:     0
    .args:
      - .offset:         0
        .size:           176
        .value_kind:     by_value
    .group_segment_fixed_size: 0
    .kernarg_segment_align: 8
    .kernarg_segment_size: 176
    .language:       OpenCL C
    .language_version:
      - 2
      - 0
    .max_flat_workgroup_size: 256
    .name:           _ZN7rocprim17ROCPRIM_400000_NS6detail17trampoline_kernelINS0_13select_configILj256ELj13ELNS0_17block_load_methodE3ELS4_3ELS4_3ELNS0_20block_scan_algorithmE0ELj4294967295EEENS1_25partition_config_selectorILNS1_17partition_subalgoE4EjNS0_10empty_typeEbEEZZNS1_14partition_implILS8_4ELb0ES6_15HIP_vector_typeIjLj2EENS0_17counting_iteratorIjlEEPS9_SG_NS0_5tupleIJPjSI_NS0_16reverse_iteratorISI_EEEEENSH_IJSG_SG_SG_EEES9_SI_JZNS1_25segmented_radix_sort_implINS0_14default_configELb0EPKsPsPKlPlN2at6native12_GLOBAL__N_18offset_tEEE10hipError_tPvRmT1_PNSt15iterator_traitsIS12_E10value_typeET2_T3_PNS13_IS18_E10value_typeET4_jRbjT5_S1E_jjP12ihipStream_tbEUljE_ZNSN_ISO_Lb0ESQ_SR_ST_SU_SY_EESZ_S10_S11_S12_S16_S17_S18_S1B_S1C_jS1D_jS1E_S1E_jjS1G_bEUljE0_EEESZ_S10_S11_S18_S1C_S1E_T6_T7_T9_mT8_S1G_bDpT10_ENKUlT_T0_E_clISt17integral_constantIbLb1EES1T_IbLb0EEEEDaS1P_S1Q_EUlS1P_E_NS1_11comp_targetILNS1_3genE3ELNS1_11target_archE908ELNS1_3gpuE7ELNS1_3repE0EEENS1_30default_config_static_selectorELNS0_4arch9wavefront6targetE1EEEvS12_
    .private_segment_fixed_size: 0
    .sgpr_count:     4
    .sgpr_spill_count: 0
    .symbol:         _ZN7rocprim17ROCPRIM_400000_NS6detail17trampoline_kernelINS0_13select_configILj256ELj13ELNS0_17block_load_methodE3ELS4_3ELS4_3ELNS0_20block_scan_algorithmE0ELj4294967295EEENS1_25partition_config_selectorILNS1_17partition_subalgoE4EjNS0_10empty_typeEbEEZZNS1_14partition_implILS8_4ELb0ES6_15HIP_vector_typeIjLj2EENS0_17counting_iteratorIjlEEPS9_SG_NS0_5tupleIJPjSI_NS0_16reverse_iteratorISI_EEEEENSH_IJSG_SG_SG_EEES9_SI_JZNS1_25segmented_radix_sort_implINS0_14default_configELb0EPKsPsPKlPlN2at6native12_GLOBAL__N_18offset_tEEE10hipError_tPvRmT1_PNSt15iterator_traitsIS12_E10value_typeET2_T3_PNS13_IS18_E10value_typeET4_jRbjT5_S1E_jjP12ihipStream_tbEUljE_ZNSN_ISO_Lb0ESQ_SR_ST_SU_SY_EESZ_S10_S11_S12_S16_S17_S18_S1B_S1C_jS1D_jS1E_S1E_jjS1G_bEUljE0_EEESZ_S10_S11_S18_S1C_S1E_T6_T7_T9_mT8_S1G_bDpT10_ENKUlT_T0_E_clISt17integral_constantIbLb1EES1T_IbLb0EEEEDaS1P_S1Q_EUlS1P_E_NS1_11comp_targetILNS1_3genE3ELNS1_11target_archE908ELNS1_3gpuE7ELNS1_3repE0EEENS1_30default_config_static_selectorELNS0_4arch9wavefront6targetE1EEEvS12_.kd
    .uniform_work_group_size: 1
    .uses_dynamic_stack: false
    .vgpr_count:     0
    .vgpr_spill_count: 0
    .wavefront_size: 64
  - .agpr_count:     0
    .args:
      - .offset:         0
        .size:           176
        .value_kind:     by_value
    .group_segment_fixed_size: 0
    .kernarg_segment_align: 8
    .kernarg_segment_size: 176
    .language:       OpenCL C
    .language_version:
      - 2
      - 0
    .max_flat_workgroup_size: 256
    .name:           _ZN7rocprim17ROCPRIM_400000_NS6detail17trampoline_kernelINS0_13select_configILj256ELj13ELNS0_17block_load_methodE3ELS4_3ELS4_3ELNS0_20block_scan_algorithmE0ELj4294967295EEENS1_25partition_config_selectorILNS1_17partition_subalgoE4EjNS0_10empty_typeEbEEZZNS1_14partition_implILS8_4ELb0ES6_15HIP_vector_typeIjLj2EENS0_17counting_iteratorIjlEEPS9_SG_NS0_5tupleIJPjSI_NS0_16reverse_iteratorISI_EEEEENSH_IJSG_SG_SG_EEES9_SI_JZNS1_25segmented_radix_sort_implINS0_14default_configELb0EPKsPsPKlPlN2at6native12_GLOBAL__N_18offset_tEEE10hipError_tPvRmT1_PNSt15iterator_traitsIS12_E10value_typeET2_T3_PNS13_IS18_E10value_typeET4_jRbjT5_S1E_jjP12ihipStream_tbEUljE_ZNSN_ISO_Lb0ESQ_SR_ST_SU_SY_EESZ_S10_S11_S12_S16_S17_S18_S1B_S1C_jS1D_jS1E_S1E_jjS1G_bEUljE0_EEESZ_S10_S11_S18_S1C_S1E_T6_T7_T9_mT8_S1G_bDpT10_ENKUlT_T0_E_clISt17integral_constantIbLb1EES1T_IbLb0EEEEDaS1P_S1Q_EUlS1P_E_NS1_11comp_targetILNS1_3genE2ELNS1_11target_archE906ELNS1_3gpuE6ELNS1_3repE0EEENS1_30default_config_static_selectorELNS0_4arch9wavefront6targetE1EEEvS12_
    .private_segment_fixed_size: 0
    .sgpr_count:     4
    .sgpr_spill_count: 0
    .symbol:         _ZN7rocprim17ROCPRIM_400000_NS6detail17trampoline_kernelINS0_13select_configILj256ELj13ELNS0_17block_load_methodE3ELS4_3ELS4_3ELNS0_20block_scan_algorithmE0ELj4294967295EEENS1_25partition_config_selectorILNS1_17partition_subalgoE4EjNS0_10empty_typeEbEEZZNS1_14partition_implILS8_4ELb0ES6_15HIP_vector_typeIjLj2EENS0_17counting_iteratorIjlEEPS9_SG_NS0_5tupleIJPjSI_NS0_16reverse_iteratorISI_EEEEENSH_IJSG_SG_SG_EEES9_SI_JZNS1_25segmented_radix_sort_implINS0_14default_configELb0EPKsPsPKlPlN2at6native12_GLOBAL__N_18offset_tEEE10hipError_tPvRmT1_PNSt15iterator_traitsIS12_E10value_typeET2_T3_PNS13_IS18_E10value_typeET4_jRbjT5_S1E_jjP12ihipStream_tbEUljE_ZNSN_ISO_Lb0ESQ_SR_ST_SU_SY_EESZ_S10_S11_S12_S16_S17_S18_S1B_S1C_jS1D_jS1E_S1E_jjS1G_bEUljE0_EEESZ_S10_S11_S18_S1C_S1E_T6_T7_T9_mT8_S1G_bDpT10_ENKUlT_T0_E_clISt17integral_constantIbLb1EES1T_IbLb0EEEEDaS1P_S1Q_EUlS1P_E_NS1_11comp_targetILNS1_3genE2ELNS1_11target_archE906ELNS1_3gpuE6ELNS1_3repE0EEENS1_30default_config_static_selectorELNS0_4arch9wavefront6targetE1EEEvS12_.kd
    .uniform_work_group_size: 1
    .uses_dynamic_stack: false
    .vgpr_count:     0
    .vgpr_spill_count: 0
    .wavefront_size: 64
  - .agpr_count:     0
    .args:
      - .offset:         0
        .size:           176
        .value_kind:     by_value
    .group_segment_fixed_size: 0
    .kernarg_segment_align: 8
    .kernarg_segment_size: 176
    .language:       OpenCL C
    .language_version:
      - 2
      - 0
    .max_flat_workgroup_size: 256
    .name:           _ZN7rocprim17ROCPRIM_400000_NS6detail17trampoline_kernelINS0_13select_configILj256ELj13ELNS0_17block_load_methodE3ELS4_3ELS4_3ELNS0_20block_scan_algorithmE0ELj4294967295EEENS1_25partition_config_selectorILNS1_17partition_subalgoE4EjNS0_10empty_typeEbEEZZNS1_14partition_implILS8_4ELb0ES6_15HIP_vector_typeIjLj2EENS0_17counting_iteratorIjlEEPS9_SG_NS0_5tupleIJPjSI_NS0_16reverse_iteratorISI_EEEEENSH_IJSG_SG_SG_EEES9_SI_JZNS1_25segmented_radix_sort_implINS0_14default_configELb0EPKsPsPKlPlN2at6native12_GLOBAL__N_18offset_tEEE10hipError_tPvRmT1_PNSt15iterator_traitsIS12_E10value_typeET2_T3_PNS13_IS18_E10value_typeET4_jRbjT5_S1E_jjP12ihipStream_tbEUljE_ZNSN_ISO_Lb0ESQ_SR_ST_SU_SY_EESZ_S10_S11_S12_S16_S17_S18_S1B_S1C_jS1D_jS1E_S1E_jjS1G_bEUljE0_EEESZ_S10_S11_S18_S1C_S1E_T6_T7_T9_mT8_S1G_bDpT10_ENKUlT_T0_E_clISt17integral_constantIbLb1EES1T_IbLb0EEEEDaS1P_S1Q_EUlS1P_E_NS1_11comp_targetILNS1_3genE10ELNS1_11target_archE1200ELNS1_3gpuE4ELNS1_3repE0EEENS1_30default_config_static_selectorELNS0_4arch9wavefront6targetE1EEEvS12_
    .private_segment_fixed_size: 0
    .sgpr_count:     4
    .sgpr_spill_count: 0
    .symbol:         _ZN7rocprim17ROCPRIM_400000_NS6detail17trampoline_kernelINS0_13select_configILj256ELj13ELNS0_17block_load_methodE3ELS4_3ELS4_3ELNS0_20block_scan_algorithmE0ELj4294967295EEENS1_25partition_config_selectorILNS1_17partition_subalgoE4EjNS0_10empty_typeEbEEZZNS1_14partition_implILS8_4ELb0ES6_15HIP_vector_typeIjLj2EENS0_17counting_iteratorIjlEEPS9_SG_NS0_5tupleIJPjSI_NS0_16reverse_iteratorISI_EEEEENSH_IJSG_SG_SG_EEES9_SI_JZNS1_25segmented_radix_sort_implINS0_14default_configELb0EPKsPsPKlPlN2at6native12_GLOBAL__N_18offset_tEEE10hipError_tPvRmT1_PNSt15iterator_traitsIS12_E10value_typeET2_T3_PNS13_IS18_E10value_typeET4_jRbjT5_S1E_jjP12ihipStream_tbEUljE_ZNSN_ISO_Lb0ESQ_SR_ST_SU_SY_EESZ_S10_S11_S12_S16_S17_S18_S1B_S1C_jS1D_jS1E_S1E_jjS1G_bEUljE0_EEESZ_S10_S11_S18_S1C_S1E_T6_T7_T9_mT8_S1G_bDpT10_ENKUlT_T0_E_clISt17integral_constantIbLb1EES1T_IbLb0EEEEDaS1P_S1Q_EUlS1P_E_NS1_11comp_targetILNS1_3genE10ELNS1_11target_archE1200ELNS1_3gpuE4ELNS1_3repE0EEENS1_30default_config_static_selectorELNS0_4arch9wavefront6targetE1EEEvS12_.kd
    .uniform_work_group_size: 1
    .uses_dynamic_stack: false
    .vgpr_count:     0
    .vgpr_spill_count: 0
    .wavefront_size: 64
  - .agpr_count:     0
    .args:
      - .offset:         0
        .size:           176
        .value_kind:     by_value
    .group_segment_fixed_size: 0
    .kernarg_segment_align: 8
    .kernarg_segment_size: 176
    .language:       OpenCL C
    .language_version:
      - 2
      - 0
    .max_flat_workgroup_size: 256
    .name:           _ZN7rocprim17ROCPRIM_400000_NS6detail17trampoline_kernelINS0_13select_configILj256ELj13ELNS0_17block_load_methodE3ELS4_3ELS4_3ELNS0_20block_scan_algorithmE0ELj4294967295EEENS1_25partition_config_selectorILNS1_17partition_subalgoE4EjNS0_10empty_typeEbEEZZNS1_14partition_implILS8_4ELb0ES6_15HIP_vector_typeIjLj2EENS0_17counting_iteratorIjlEEPS9_SG_NS0_5tupleIJPjSI_NS0_16reverse_iteratorISI_EEEEENSH_IJSG_SG_SG_EEES9_SI_JZNS1_25segmented_radix_sort_implINS0_14default_configELb0EPKsPsPKlPlN2at6native12_GLOBAL__N_18offset_tEEE10hipError_tPvRmT1_PNSt15iterator_traitsIS12_E10value_typeET2_T3_PNS13_IS18_E10value_typeET4_jRbjT5_S1E_jjP12ihipStream_tbEUljE_ZNSN_ISO_Lb0ESQ_SR_ST_SU_SY_EESZ_S10_S11_S12_S16_S17_S18_S1B_S1C_jS1D_jS1E_S1E_jjS1G_bEUljE0_EEESZ_S10_S11_S18_S1C_S1E_T6_T7_T9_mT8_S1G_bDpT10_ENKUlT_T0_E_clISt17integral_constantIbLb1EES1T_IbLb0EEEEDaS1P_S1Q_EUlS1P_E_NS1_11comp_targetILNS1_3genE9ELNS1_11target_archE1100ELNS1_3gpuE3ELNS1_3repE0EEENS1_30default_config_static_selectorELNS0_4arch9wavefront6targetE1EEEvS12_
    .private_segment_fixed_size: 0
    .sgpr_count:     4
    .sgpr_spill_count: 0
    .symbol:         _ZN7rocprim17ROCPRIM_400000_NS6detail17trampoline_kernelINS0_13select_configILj256ELj13ELNS0_17block_load_methodE3ELS4_3ELS4_3ELNS0_20block_scan_algorithmE0ELj4294967295EEENS1_25partition_config_selectorILNS1_17partition_subalgoE4EjNS0_10empty_typeEbEEZZNS1_14partition_implILS8_4ELb0ES6_15HIP_vector_typeIjLj2EENS0_17counting_iteratorIjlEEPS9_SG_NS0_5tupleIJPjSI_NS0_16reverse_iteratorISI_EEEEENSH_IJSG_SG_SG_EEES9_SI_JZNS1_25segmented_radix_sort_implINS0_14default_configELb0EPKsPsPKlPlN2at6native12_GLOBAL__N_18offset_tEEE10hipError_tPvRmT1_PNSt15iterator_traitsIS12_E10value_typeET2_T3_PNS13_IS18_E10value_typeET4_jRbjT5_S1E_jjP12ihipStream_tbEUljE_ZNSN_ISO_Lb0ESQ_SR_ST_SU_SY_EESZ_S10_S11_S12_S16_S17_S18_S1B_S1C_jS1D_jS1E_S1E_jjS1G_bEUljE0_EEESZ_S10_S11_S18_S1C_S1E_T6_T7_T9_mT8_S1G_bDpT10_ENKUlT_T0_E_clISt17integral_constantIbLb1EES1T_IbLb0EEEEDaS1P_S1Q_EUlS1P_E_NS1_11comp_targetILNS1_3genE9ELNS1_11target_archE1100ELNS1_3gpuE3ELNS1_3repE0EEENS1_30default_config_static_selectorELNS0_4arch9wavefront6targetE1EEEvS12_.kd
    .uniform_work_group_size: 1
    .uses_dynamic_stack: false
    .vgpr_count:     0
    .vgpr_spill_count: 0
    .wavefront_size: 64
  - .agpr_count:     0
    .args:
      - .offset:         0
        .size:           176
        .value_kind:     by_value
    .group_segment_fixed_size: 0
    .kernarg_segment_align: 8
    .kernarg_segment_size: 176
    .language:       OpenCL C
    .language_version:
      - 2
      - 0
    .max_flat_workgroup_size: 256
    .name:           _ZN7rocprim17ROCPRIM_400000_NS6detail17trampoline_kernelINS0_13select_configILj256ELj13ELNS0_17block_load_methodE3ELS4_3ELS4_3ELNS0_20block_scan_algorithmE0ELj4294967295EEENS1_25partition_config_selectorILNS1_17partition_subalgoE4EjNS0_10empty_typeEbEEZZNS1_14partition_implILS8_4ELb0ES6_15HIP_vector_typeIjLj2EENS0_17counting_iteratorIjlEEPS9_SG_NS0_5tupleIJPjSI_NS0_16reverse_iteratorISI_EEEEENSH_IJSG_SG_SG_EEES9_SI_JZNS1_25segmented_radix_sort_implINS0_14default_configELb0EPKsPsPKlPlN2at6native12_GLOBAL__N_18offset_tEEE10hipError_tPvRmT1_PNSt15iterator_traitsIS12_E10value_typeET2_T3_PNS13_IS18_E10value_typeET4_jRbjT5_S1E_jjP12ihipStream_tbEUljE_ZNSN_ISO_Lb0ESQ_SR_ST_SU_SY_EESZ_S10_S11_S12_S16_S17_S18_S1B_S1C_jS1D_jS1E_S1E_jjS1G_bEUljE0_EEESZ_S10_S11_S18_S1C_S1E_T6_T7_T9_mT8_S1G_bDpT10_ENKUlT_T0_E_clISt17integral_constantIbLb1EES1T_IbLb0EEEEDaS1P_S1Q_EUlS1P_E_NS1_11comp_targetILNS1_3genE8ELNS1_11target_archE1030ELNS1_3gpuE2ELNS1_3repE0EEENS1_30default_config_static_selectorELNS0_4arch9wavefront6targetE1EEEvS12_
    .private_segment_fixed_size: 0
    .sgpr_count:     4
    .sgpr_spill_count: 0
    .symbol:         _ZN7rocprim17ROCPRIM_400000_NS6detail17trampoline_kernelINS0_13select_configILj256ELj13ELNS0_17block_load_methodE3ELS4_3ELS4_3ELNS0_20block_scan_algorithmE0ELj4294967295EEENS1_25partition_config_selectorILNS1_17partition_subalgoE4EjNS0_10empty_typeEbEEZZNS1_14partition_implILS8_4ELb0ES6_15HIP_vector_typeIjLj2EENS0_17counting_iteratorIjlEEPS9_SG_NS0_5tupleIJPjSI_NS0_16reverse_iteratorISI_EEEEENSH_IJSG_SG_SG_EEES9_SI_JZNS1_25segmented_radix_sort_implINS0_14default_configELb0EPKsPsPKlPlN2at6native12_GLOBAL__N_18offset_tEEE10hipError_tPvRmT1_PNSt15iterator_traitsIS12_E10value_typeET2_T3_PNS13_IS18_E10value_typeET4_jRbjT5_S1E_jjP12ihipStream_tbEUljE_ZNSN_ISO_Lb0ESQ_SR_ST_SU_SY_EESZ_S10_S11_S12_S16_S17_S18_S1B_S1C_jS1D_jS1E_S1E_jjS1G_bEUljE0_EEESZ_S10_S11_S18_S1C_S1E_T6_T7_T9_mT8_S1G_bDpT10_ENKUlT_T0_E_clISt17integral_constantIbLb1EES1T_IbLb0EEEEDaS1P_S1Q_EUlS1P_E_NS1_11comp_targetILNS1_3genE8ELNS1_11target_archE1030ELNS1_3gpuE2ELNS1_3repE0EEENS1_30default_config_static_selectorELNS0_4arch9wavefront6targetE1EEEvS12_.kd
    .uniform_work_group_size: 1
    .uses_dynamic_stack: false
    .vgpr_count:     0
    .vgpr_spill_count: 0
    .wavefront_size: 64
  - .agpr_count:     0
    .args:
      - .offset:         0
        .size:           184
        .value_kind:     by_value
    .group_segment_fixed_size: 0
    .kernarg_segment_align: 8
    .kernarg_segment_size: 184
    .language:       OpenCL C
    .language_version:
      - 2
      - 0
    .max_flat_workgroup_size: 256
    .name:           _ZN7rocprim17ROCPRIM_400000_NS6detail17trampoline_kernelINS0_13select_configILj256ELj13ELNS0_17block_load_methodE3ELS4_3ELS4_3ELNS0_20block_scan_algorithmE0ELj4294967295EEENS1_25partition_config_selectorILNS1_17partition_subalgoE4EjNS0_10empty_typeEbEEZZNS1_14partition_implILS8_4ELb0ES6_15HIP_vector_typeIjLj2EENS0_17counting_iteratorIjlEEPS9_SG_NS0_5tupleIJPjSI_NS0_16reverse_iteratorISI_EEEEENSH_IJSG_SG_SG_EEES9_SI_JZNS1_25segmented_radix_sort_implINS0_14default_configELb0EPKsPsPKlPlN2at6native12_GLOBAL__N_18offset_tEEE10hipError_tPvRmT1_PNSt15iterator_traitsIS12_E10value_typeET2_T3_PNS13_IS18_E10value_typeET4_jRbjT5_S1E_jjP12ihipStream_tbEUljE_ZNSN_ISO_Lb0ESQ_SR_ST_SU_SY_EESZ_S10_S11_S12_S16_S17_S18_S1B_S1C_jS1D_jS1E_S1E_jjS1G_bEUljE0_EEESZ_S10_S11_S18_S1C_S1E_T6_T7_T9_mT8_S1G_bDpT10_ENKUlT_T0_E_clISt17integral_constantIbLb0EES1T_IbLb1EEEEDaS1P_S1Q_EUlS1P_E_NS1_11comp_targetILNS1_3genE0ELNS1_11target_archE4294967295ELNS1_3gpuE0ELNS1_3repE0EEENS1_30default_config_static_selectorELNS0_4arch9wavefront6targetE1EEEvS12_
    .private_segment_fixed_size: 0
    .sgpr_count:     4
    .sgpr_spill_count: 0
    .symbol:         _ZN7rocprim17ROCPRIM_400000_NS6detail17trampoline_kernelINS0_13select_configILj256ELj13ELNS0_17block_load_methodE3ELS4_3ELS4_3ELNS0_20block_scan_algorithmE0ELj4294967295EEENS1_25partition_config_selectorILNS1_17partition_subalgoE4EjNS0_10empty_typeEbEEZZNS1_14partition_implILS8_4ELb0ES6_15HIP_vector_typeIjLj2EENS0_17counting_iteratorIjlEEPS9_SG_NS0_5tupleIJPjSI_NS0_16reverse_iteratorISI_EEEEENSH_IJSG_SG_SG_EEES9_SI_JZNS1_25segmented_radix_sort_implINS0_14default_configELb0EPKsPsPKlPlN2at6native12_GLOBAL__N_18offset_tEEE10hipError_tPvRmT1_PNSt15iterator_traitsIS12_E10value_typeET2_T3_PNS13_IS18_E10value_typeET4_jRbjT5_S1E_jjP12ihipStream_tbEUljE_ZNSN_ISO_Lb0ESQ_SR_ST_SU_SY_EESZ_S10_S11_S12_S16_S17_S18_S1B_S1C_jS1D_jS1E_S1E_jjS1G_bEUljE0_EEESZ_S10_S11_S18_S1C_S1E_T6_T7_T9_mT8_S1G_bDpT10_ENKUlT_T0_E_clISt17integral_constantIbLb0EES1T_IbLb1EEEEDaS1P_S1Q_EUlS1P_E_NS1_11comp_targetILNS1_3genE0ELNS1_11target_archE4294967295ELNS1_3gpuE0ELNS1_3repE0EEENS1_30default_config_static_selectorELNS0_4arch9wavefront6targetE1EEEvS12_.kd
    .uniform_work_group_size: 1
    .uses_dynamic_stack: false
    .vgpr_count:     0
    .vgpr_spill_count: 0
    .wavefront_size: 64
  - .agpr_count:     0
    .args:
      - .offset:         0
        .size:           184
        .value_kind:     by_value
    .group_segment_fixed_size: 0
    .kernarg_segment_align: 8
    .kernarg_segment_size: 184
    .language:       OpenCL C
    .language_version:
      - 2
      - 0
    .max_flat_workgroup_size: 256
    .name:           _ZN7rocprim17ROCPRIM_400000_NS6detail17trampoline_kernelINS0_13select_configILj256ELj13ELNS0_17block_load_methodE3ELS4_3ELS4_3ELNS0_20block_scan_algorithmE0ELj4294967295EEENS1_25partition_config_selectorILNS1_17partition_subalgoE4EjNS0_10empty_typeEbEEZZNS1_14partition_implILS8_4ELb0ES6_15HIP_vector_typeIjLj2EENS0_17counting_iteratorIjlEEPS9_SG_NS0_5tupleIJPjSI_NS0_16reverse_iteratorISI_EEEEENSH_IJSG_SG_SG_EEES9_SI_JZNS1_25segmented_radix_sort_implINS0_14default_configELb0EPKsPsPKlPlN2at6native12_GLOBAL__N_18offset_tEEE10hipError_tPvRmT1_PNSt15iterator_traitsIS12_E10value_typeET2_T3_PNS13_IS18_E10value_typeET4_jRbjT5_S1E_jjP12ihipStream_tbEUljE_ZNSN_ISO_Lb0ESQ_SR_ST_SU_SY_EESZ_S10_S11_S12_S16_S17_S18_S1B_S1C_jS1D_jS1E_S1E_jjS1G_bEUljE0_EEESZ_S10_S11_S18_S1C_S1E_T6_T7_T9_mT8_S1G_bDpT10_ENKUlT_T0_E_clISt17integral_constantIbLb0EES1T_IbLb1EEEEDaS1P_S1Q_EUlS1P_E_NS1_11comp_targetILNS1_3genE5ELNS1_11target_archE942ELNS1_3gpuE9ELNS1_3repE0EEENS1_30default_config_static_selectorELNS0_4arch9wavefront6targetE1EEEvS12_
    .private_segment_fixed_size: 0
    .sgpr_count:     4
    .sgpr_spill_count: 0
    .symbol:         _ZN7rocprim17ROCPRIM_400000_NS6detail17trampoline_kernelINS0_13select_configILj256ELj13ELNS0_17block_load_methodE3ELS4_3ELS4_3ELNS0_20block_scan_algorithmE0ELj4294967295EEENS1_25partition_config_selectorILNS1_17partition_subalgoE4EjNS0_10empty_typeEbEEZZNS1_14partition_implILS8_4ELb0ES6_15HIP_vector_typeIjLj2EENS0_17counting_iteratorIjlEEPS9_SG_NS0_5tupleIJPjSI_NS0_16reverse_iteratorISI_EEEEENSH_IJSG_SG_SG_EEES9_SI_JZNS1_25segmented_radix_sort_implINS0_14default_configELb0EPKsPsPKlPlN2at6native12_GLOBAL__N_18offset_tEEE10hipError_tPvRmT1_PNSt15iterator_traitsIS12_E10value_typeET2_T3_PNS13_IS18_E10value_typeET4_jRbjT5_S1E_jjP12ihipStream_tbEUljE_ZNSN_ISO_Lb0ESQ_SR_ST_SU_SY_EESZ_S10_S11_S12_S16_S17_S18_S1B_S1C_jS1D_jS1E_S1E_jjS1G_bEUljE0_EEESZ_S10_S11_S18_S1C_S1E_T6_T7_T9_mT8_S1G_bDpT10_ENKUlT_T0_E_clISt17integral_constantIbLb0EES1T_IbLb1EEEEDaS1P_S1Q_EUlS1P_E_NS1_11comp_targetILNS1_3genE5ELNS1_11target_archE942ELNS1_3gpuE9ELNS1_3repE0EEENS1_30default_config_static_selectorELNS0_4arch9wavefront6targetE1EEEvS12_.kd
    .uniform_work_group_size: 1
    .uses_dynamic_stack: false
    .vgpr_count:     0
    .vgpr_spill_count: 0
    .wavefront_size: 64
  - .agpr_count:     0
    .args:
      - .offset:         0
        .size:           184
        .value_kind:     by_value
    .group_segment_fixed_size: 13340
    .kernarg_segment_align: 8
    .kernarg_segment_size: 184
    .language:       OpenCL C
    .language_version:
      - 2
      - 0
    .max_flat_workgroup_size: 256
    .name:           _ZN7rocprim17ROCPRIM_400000_NS6detail17trampoline_kernelINS0_13select_configILj256ELj13ELNS0_17block_load_methodE3ELS4_3ELS4_3ELNS0_20block_scan_algorithmE0ELj4294967295EEENS1_25partition_config_selectorILNS1_17partition_subalgoE4EjNS0_10empty_typeEbEEZZNS1_14partition_implILS8_4ELb0ES6_15HIP_vector_typeIjLj2EENS0_17counting_iteratorIjlEEPS9_SG_NS0_5tupleIJPjSI_NS0_16reverse_iteratorISI_EEEEENSH_IJSG_SG_SG_EEES9_SI_JZNS1_25segmented_radix_sort_implINS0_14default_configELb0EPKsPsPKlPlN2at6native12_GLOBAL__N_18offset_tEEE10hipError_tPvRmT1_PNSt15iterator_traitsIS12_E10value_typeET2_T3_PNS13_IS18_E10value_typeET4_jRbjT5_S1E_jjP12ihipStream_tbEUljE_ZNSN_ISO_Lb0ESQ_SR_ST_SU_SY_EESZ_S10_S11_S12_S16_S17_S18_S1B_S1C_jS1D_jS1E_S1E_jjS1G_bEUljE0_EEESZ_S10_S11_S18_S1C_S1E_T6_T7_T9_mT8_S1G_bDpT10_ENKUlT_T0_E_clISt17integral_constantIbLb0EES1T_IbLb1EEEEDaS1P_S1Q_EUlS1P_E_NS1_11comp_targetILNS1_3genE4ELNS1_11target_archE910ELNS1_3gpuE8ELNS1_3repE0EEENS1_30default_config_static_selectorELNS0_4arch9wavefront6targetE1EEEvS12_
    .private_segment_fixed_size: 0
    .sgpr_count:     91
    .sgpr_spill_count: 0
    .symbol:         _ZN7rocprim17ROCPRIM_400000_NS6detail17trampoline_kernelINS0_13select_configILj256ELj13ELNS0_17block_load_methodE3ELS4_3ELS4_3ELNS0_20block_scan_algorithmE0ELj4294967295EEENS1_25partition_config_selectorILNS1_17partition_subalgoE4EjNS0_10empty_typeEbEEZZNS1_14partition_implILS8_4ELb0ES6_15HIP_vector_typeIjLj2EENS0_17counting_iteratorIjlEEPS9_SG_NS0_5tupleIJPjSI_NS0_16reverse_iteratorISI_EEEEENSH_IJSG_SG_SG_EEES9_SI_JZNS1_25segmented_radix_sort_implINS0_14default_configELb0EPKsPsPKlPlN2at6native12_GLOBAL__N_18offset_tEEE10hipError_tPvRmT1_PNSt15iterator_traitsIS12_E10value_typeET2_T3_PNS13_IS18_E10value_typeET4_jRbjT5_S1E_jjP12ihipStream_tbEUljE_ZNSN_ISO_Lb0ESQ_SR_ST_SU_SY_EESZ_S10_S11_S12_S16_S17_S18_S1B_S1C_jS1D_jS1E_S1E_jjS1G_bEUljE0_EEESZ_S10_S11_S18_S1C_S1E_T6_T7_T9_mT8_S1G_bDpT10_ENKUlT_T0_E_clISt17integral_constantIbLb0EES1T_IbLb1EEEEDaS1P_S1Q_EUlS1P_E_NS1_11comp_targetILNS1_3genE4ELNS1_11target_archE910ELNS1_3gpuE8ELNS1_3repE0EEENS1_30default_config_static_selectorELNS0_4arch9wavefront6targetE1EEEvS12_.kd
    .uniform_work_group_size: 1
    .uses_dynamic_stack: false
    .vgpr_count:     107
    .vgpr_spill_count: 0
    .wavefront_size: 64
  - .agpr_count:     0
    .args:
      - .offset:         0
        .size:           184
        .value_kind:     by_value
    .group_segment_fixed_size: 0
    .kernarg_segment_align: 8
    .kernarg_segment_size: 184
    .language:       OpenCL C
    .language_version:
      - 2
      - 0
    .max_flat_workgroup_size: 256
    .name:           _ZN7rocprim17ROCPRIM_400000_NS6detail17trampoline_kernelINS0_13select_configILj256ELj13ELNS0_17block_load_methodE3ELS4_3ELS4_3ELNS0_20block_scan_algorithmE0ELj4294967295EEENS1_25partition_config_selectorILNS1_17partition_subalgoE4EjNS0_10empty_typeEbEEZZNS1_14partition_implILS8_4ELb0ES6_15HIP_vector_typeIjLj2EENS0_17counting_iteratorIjlEEPS9_SG_NS0_5tupleIJPjSI_NS0_16reverse_iteratorISI_EEEEENSH_IJSG_SG_SG_EEES9_SI_JZNS1_25segmented_radix_sort_implINS0_14default_configELb0EPKsPsPKlPlN2at6native12_GLOBAL__N_18offset_tEEE10hipError_tPvRmT1_PNSt15iterator_traitsIS12_E10value_typeET2_T3_PNS13_IS18_E10value_typeET4_jRbjT5_S1E_jjP12ihipStream_tbEUljE_ZNSN_ISO_Lb0ESQ_SR_ST_SU_SY_EESZ_S10_S11_S12_S16_S17_S18_S1B_S1C_jS1D_jS1E_S1E_jjS1G_bEUljE0_EEESZ_S10_S11_S18_S1C_S1E_T6_T7_T9_mT8_S1G_bDpT10_ENKUlT_T0_E_clISt17integral_constantIbLb0EES1T_IbLb1EEEEDaS1P_S1Q_EUlS1P_E_NS1_11comp_targetILNS1_3genE3ELNS1_11target_archE908ELNS1_3gpuE7ELNS1_3repE0EEENS1_30default_config_static_selectorELNS0_4arch9wavefront6targetE1EEEvS12_
    .private_segment_fixed_size: 0
    .sgpr_count:     4
    .sgpr_spill_count: 0
    .symbol:         _ZN7rocprim17ROCPRIM_400000_NS6detail17trampoline_kernelINS0_13select_configILj256ELj13ELNS0_17block_load_methodE3ELS4_3ELS4_3ELNS0_20block_scan_algorithmE0ELj4294967295EEENS1_25partition_config_selectorILNS1_17partition_subalgoE4EjNS0_10empty_typeEbEEZZNS1_14partition_implILS8_4ELb0ES6_15HIP_vector_typeIjLj2EENS0_17counting_iteratorIjlEEPS9_SG_NS0_5tupleIJPjSI_NS0_16reverse_iteratorISI_EEEEENSH_IJSG_SG_SG_EEES9_SI_JZNS1_25segmented_radix_sort_implINS0_14default_configELb0EPKsPsPKlPlN2at6native12_GLOBAL__N_18offset_tEEE10hipError_tPvRmT1_PNSt15iterator_traitsIS12_E10value_typeET2_T3_PNS13_IS18_E10value_typeET4_jRbjT5_S1E_jjP12ihipStream_tbEUljE_ZNSN_ISO_Lb0ESQ_SR_ST_SU_SY_EESZ_S10_S11_S12_S16_S17_S18_S1B_S1C_jS1D_jS1E_S1E_jjS1G_bEUljE0_EEESZ_S10_S11_S18_S1C_S1E_T6_T7_T9_mT8_S1G_bDpT10_ENKUlT_T0_E_clISt17integral_constantIbLb0EES1T_IbLb1EEEEDaS1P_S1Q_EUlS1P_E_NS1_11comp_targetILNS1_3genE3ELNS1_11target_archE908ELNS1_3gpuE7ELNS1_3repE0EEENS1_30default_config_static_selectorELNS0_4arch9wavefront6targetE1EEEvS12_.kd
    .uniform_work_group_size: 1
    .uses_dynamic_stack: false
    .vgpr_count:     0
    .vgpr_spill_count: 0
    .wavefront_size: 64
  - .agpr_count:     0
    .args:
      - .offset:         0
        .size:           184
        .value_kind:     by_value
    .group_segment_fixed_size: 0
    .kernarg_segment_align: 8
    .kernarg_segment_size: 184
    .language:       OpenCL C
    .language_version:
      - 2
      - 0
    .max_flat_workgroup_size: 256
    .name:           _ZN7rocprim17ROCPRIM_400000_NS6detail17trampoline_kernelINS0_13select_configILj256ELj13ELNS0_17block_load_methodE3ELS4_3ELS4_3ELNS0_20block_scan_algorithmE0ELj4294967295EEENS1_25partition_config_selectorILNS1_17partition_subalgoE4EjNS0_10empty_typeEbEEZZNS1_14partition_implILS8_4ELb0ES6_15HIP_vector_typeIjLj2EENS0_17counting_iteratorIjlEEPS9_SG_NS0_5tupleIJPjSI_NS0_16reverse_iteratorISI_EEEEENSH_IJSG_SG_SG_EEES9_SI_JZNS1_25segmented_radix_sort_implINS0_14default_configELb0EPKsPsPKlPlN2at6native12_GLOBAL__N_18offset_tEEE10hipError_tPvRmT1_PNSt15iterator_traitsIS12_E10value_typeET2_T3_PNS13_IS18_E10value_typeET4_jRbjT5_S1E_jjP12ihipStream_tbEUljE_ZNSN_ISO_Lb0ESQ_SR_ST_SU_SY_EESZ_S10_S11_S12_S16_S17_S18_S1B_S1C_jS1D_jS1E_S1E_jjS1G_bEUljE0_EEESZ_S10_S11_S18_S1C_S1E_T6_T7_T9_mT8_S1G_bDpT10_ENKUlT_T0_E_clISt17integral_constantIbLb0EES1T_IbLb1EEEEDaS1P_S1Q_EUlS1P_E_NS1_11comp_targetILNS1_3genE2ELNS1_11target_archE906ELNS1_3gpuE6ELNS1_3repE0EEENS1_30default_config_static_selectorELNS0_4arch9wavefront6targetE1EEEvS12_
    .private_segment_fixed_size: 0
    .sgpr_count:     4
    .sgpr_spill_count: 0
    .symbol:         _ZN7rocprim17ROCPRIM_400000_NS6detail17trampoline_kernelINS0_13select_configILj256ELj13ELNS0_17block_load_methodE3ELS4_3ELS4_3ELNS0_20block_scan_algorithmE0ELj4294967295EEENS1_25partition_config_selectorILNS1_17partition_subalgoE4EjNS0_10empty_typeEbEEZZNS1_14partition_implILS8_4ELb0ES6_15HIP_vector_typeIjLj2EENS0_17counting_iteratorIjlEEPS9_SG_NS0_5tupleIJPjSI_NS0_16reverse_iteratorISI_EEEEENSH_IJSG_SG_SG_EEES9_SI_JZNS1_25segmented_radix_sort_implINS0_14default_configELb0EPKsPsPKlPlN2at6native12_GLOBAL__N_18offset_tEEE10hipError_tPvRmT1_PNSt15iterator_traitsIS12_E10value_typeET2_T3_PNS13_IS18_E10value_typeET4_jRbjT5_S1E_jjP12ihipStream_tbEUljE_ZNSN_ISO_Lb0ESQ_SR_ST_SU_SY_EESZ_S10_S11_S12_S16_S17_S18_S1B_S1C_jS1D_jS1E_S1E_jjS1G_bEUljE0_EEESZ_S10_S11_S18_S1C_S1E_T6_T7_T9_mT8_S1G_bDpT10_ENKUlT_T0_E_clISt17integral_constantIbLb0EES1T_IbLb1EEEEDaS1P_S1Q_EUlS1P_E_NS1_11comp_targetILNS1_3genE2ELNS1_11target_archE906ELNS1_3gpuE6ELNS1_3repE0EEENS1_30default_config_static_selectorELNS0_4arch9wavefront6targetE1EEEvS12_.kd
    .uniform_work_group_size: 1
    .uses_dynamic_stack: false
    .vgpr_count:     0
    .vgpr_spill_count: 0
    .wavefront_size: 64
  - .agpr_count:     0
    .args:
      - .offset:         0
        .size:           184
        .value_kind:     by_value
    .group_segment_fixed_size: 0
    .kernarg_segment_align: 8
    .kernarg_segment_size: 184
    .language:       OpenCL C
    .language_version:
      - 2
      - 0
    .max_flat_workgroup_size: 256
    .name:           _ZN7rocprim17ROCPRIM_400000_NS6detail17trampoline_kernelINS0_13select_configILj256ELj13ELNS0_17block_load_methodE3ELS4_3ELS4_3ELNS0_20block_scan_algorithmE0ELj4294967295EEENS1_25partition_config_selectorILNS1_17partition_subalgoE4EjNS0_10empty_typeEbEEZZNS1_14partition_implILS8_4ELb0ES6_15HIP_vector_typeIjLj2EENS0_17counting_iteratorIjlEEPS9_SG_NS0_5tupleIJPjSI_NS0_16reverse_iteratorISI_EEEEENSH_IJSG_SG_SG_EEES9_SI_JZNS1_25segmented_radix_sort_implINS0_14default_configELb0EPKsPsPKlPlN2at6native12_GLOBAL__N_18offset_tEEE10hipError_tPvRmT1_PNSt15iterator_traitsIS12_E10value_typeET2_T3_PNS13_IS18_E10value_typeET4_jRbjT5_S1E_jjP12ihipStream_tbEUljE_ZNSN_ISO_Lb0ESQ_SR_ST_SU_SY_EESZ_S10_S11_S12_S16_S17_S18_S1B_S1C_jS1D_jS1E_S1E_jjS1G_bEUljE0_EEESZ_S10_S11_S18_S1C_S1E_T6_T7_T9_mT8_S1G_bDpT10_ENKUlT_T0_E_clISt17integral_constantIbLb0EES1T_IbLb1EEEEDaS1P_S1Q_EUlS1P_E_NS1_11comp_targetILNS1_3genE10ELNS1_11target_archE1200ELNS1_3gpuE4ELNS1_3repE0EEENS1_30default_config_static_selectorELNS0_4arch9wavefront6targetE1EEEvS12_
    .private_segment_fixed_size: 0
    .sgpr_count:     4
    .sgpr_spill_count: 0
    .symbol:         _ZN7rocprim17ROCPRIM_400000_NS6detail17trampoline_kernelINS0_13select_configILj256ELj13ELNS0_17block_load_methodE3ELS4_3ELS4_3ELNS0_20block_scan_algorithmE0ELj4294967295EEENS1_25partition_config_selectorILNS1_17partition_subalgoE4EjNS0_10empty_typeEbEEZZNS1_14partition_implILS8_4ELb0ES6_15HIP_vector_typeIjLj2EENS0_17counting_iteratorIjlEEPS9_SG_NS0_5tupleIJPjSI_NS0_16reverse_iteratorISI_EEEEENSH_IJSG_SG_SG_EEES9_SI_JZNS1_25segmented_radix_sort_implINS0_14default_configELb0EPKsPsPKlPlN2at6native12_GLOBAL__N_18offset_tEEE10hipError_tPvRmT1_PNSt15iterator_traitsIS12_E10value_typeET2_T3_PNS13_IS18_E10value_typeET4_jRbjT5_S1E_jjP12ihipStream_tbEUljE_ZNSN_ISO_Lb0ESQ_SR_ST_SU_SY_EESZ_S10_S11_S12_S16_S17_S18_S1B_S1C_jS1D_jS1E_S1E_jjS1G_bEUljE0_EEESZ_S10_S11_S18_S1C_S1E_T6_T7_T9_mT8_S1G_bDpT10_ENKUlT_T0_E_clISt17integral_constantIbLb0EES1T_IbLb1EEEEDaS1P_S1Q_EUlS1P_E_NS1_11comp_targetILNS1_3genE10ELNS1_11target_archE1200ELNS1_3gpuE4ELNS1_3repE0EEENS1_30default_config_static_selectorELNS0_4arch9wavefront6targetE1EEEvS12_.kd
    .uniform_work_group_size: 1
    .uses_dynamic_stack: false
    .vgpr_count:     0
    .vgpr_spill_count: 0
    .wavefront_size: 64
  - .agpr_count:     0
    .args:
      - .offset:         0
        .size:           184
        .value_kind:     by_value
    .group_segment_fixed_size: 0
    .kernarg_segment_align: 8
    .kernarg_segment_size: 184
    .language:       OpenCL C
    .language_version:
      - 2
      - 0
    .max_flat_workgroup_size: 256
    .name:           _ZN7rocprim17ROCPRIM_400000_NS6detail17trampoline_kernelINS0_13select_configILj256ELj13ELNS0_17block_load_methodE3ELS4_3ELS4_3ELNS0_20block_scan_algorithmE0ELj4294967295EEENS1_25partition_config_selectorILNS1_17partition_subalgoE4EjNS0_10empty_typeEbEEZZNS1_14partition_implILS8_4ELb0ES6_15HIP_vector_typeIjLj2EENS0_17counting_iteratorIjlEEPS9_SG_NS0_5tupleIJPjSI_NS0_16reverse_iteratorISI_EEEEENSH_IJSG_SG_SG_EEES9_SI_JZNS1_25segmented_radix_sort_implINS0_14default_configELb0EPKsPsPKlPlN2at6native12_GLOBAL__N_18offset_tEEE10hipError_tPvRmT1_PNSt15iterator_traitsIS12_E10value_typeET2_T3_PNS13_IS18_E10value_typeET4_jRbjT5_S1E_jjP12ihipStream_tbEUljE_ZNSN_ISO_Lb0ESQ_SR_ST_SU_SY_EESZ_S10_S11_S12_S16_S17_S18_S1B_S1C_jS1D_jS1E_S1E_jjS1G_bEUljE0_EEESZ_S10_S11_S18_S1C_S1E_T6_T7_T9_mT8_S1G_bDpT10_ENKUlT_T0_E_clISt17integral_constantIbLb0EES1T_IbLb1EEEEDaS1P_S1Q_EUlS1P_E_NS1_11comp_targetILNS1_3genE9ELNS1_11target_archE1100ELNS1_3gpuE3ELNS1_3repE0EEENS1_30default_config_static_selectorELNS0_4arch9wavefront6targetE1EEEvS12_
    .private_segment_fixed_size: 0
    .sgpr_count:     4
    .sgpr_spill_count: 0
    .symbol:         _ZN7rocprim17ROCPRIM_400000_NS6detail17trampoline_kernelINS0_13select_configILj256ELj13ELNS0_17block_load_methodE3ELS4_3ELS4_3ELNS0_20block_scan_algorithmE0ELj4294967295EEENS1_25partition_config_selectorILNS1_17partition_subalgoE4EjNS0_10empty_typeEbEEZZNS1_14partition_implILS8_4ELb0ES6_15HIP_vector_typeIjLj2EENS0_17counting_iteratorIjlEEPS9_SG_NS0_5tupleIJPjSI_NS0_16reverse_iteratorISI_EEEEENSH_IJSG_SG_SG_EEES9_SI_JZNS1_25segmented_radix_sort_implINS0_14default_configELb0EPKsPsPKlPlN2at6native12_GLOBAL__N_18offset_tEEE10hipError_tPvRmT1_PNSt15iterator_traitsIS12_E10value_typeET2_T3_PNS13_IS18_E10value_typeET4_jRbjT5_S1E_jjP12ihipStream_tbEUljE_ZNSN_ISO_Lb0ESQ_SR_ST_SU_SY_EESZ_S10_S11_S12_S16_S17_S18_S1B_S1C_jS1D_jS1E_S1E_jjS1G_bEUljE0_EEESZ_S10_S11_S18_S1C_S1E_T6_T7_T9_mT8_S1G_bDpT10_ENKUlT_T0_E_clISt17integral_constantIbLb0EES1T_IbLb1EEEEDaS1P_S1Q_EUlS1P_E_NS1_11comp_targetILNS1_3genE9ELNS1_11target_archE1100ELNS1_3gpuE3ELNS1_3repE0EEENS1_30default_config_static_selectorELNS0_4arch9wavefront6targetE1EEEvS12_.kd
    .uniform_work_group_size: 1
    .uses_dynamic_stack: false
    .vgpr_count:     0
    .vgpr_spill_count: 0
    .wavefront_size: 64
  - .agpr_count:     0
    .args:
      - .offset:         0
        .size:           184
        .value_kind:     by_value
    .group_segment_fixed_size: 0
    .kernarg_segment_align: 8
    .kernarg_segment_size: 184
    .language:       OpenCL C
    .language_version:
      - 2
      - 0
    .max_flat_workgroup_size: 256
    .name:           _ZN7rocprim17ROCPRIM_400000_NS6detail17trampoline_kernelINS0_13select_configILj256ELj13ELNS0_17block_load_methodE3ELS4_3ELS4_3ELNS0_20block_scan_algorithmE0ELj4294967295EEENS1_25partition_config_selectorILNS1_17partition_subalgoE4EjNS0_10empty_typeEbEEZZNS1_14partition_implILS8_4ELb0ES6_15HIP_vector_typeIjLj2EENS0_17counting_iteratorIjlEEPS9_SG_NS0_5tupleIJPjSI_NS0_16reverse_iteratorISI_EEEEENSH_IJSG_SG_SG_EEES9_SI_JZNS1_25segmented_radix_sort_implINS0_14default_configELb0EPKsPsPKlPlN2at6native12_GLOBAL__N_18offset_tEEE10hipError_tPvRmT1_PNSt15iterator_traitsIS12_E10value_typeET2_T3_PNS13_IS18_E10value_typeET4_jRbjT5_S1E_jjP12ihipStream_tbEUljE_ZNSN_ISO_Lb0ESQ_SR_ST_SU_SY_EESZ_S10_S11_S12_S16_S17_S18_S1B_S1C_jS1D_jS1E_S1E_jjS1G_bEUljE0_EEESZ_S10_S11_S18_S1C_S1E_T6_T7_T9_mT8_S1G_bDpT10_ENKUlT_T0_E_clISt17integral_constantIbLb0EES1T_IbLb1EEEEDaS1P_S1Q_EUlS1P_E_NS1_11comp_targetILNS1_3genE8ELNS1_11target_archE1030ELNS1_3gpuE2ELNS1_3repE0EEENS1_30default_config_static_selectorELNS0_4arch9wavefront6targetE1EEEvS12_
    .private_segment_fixed_size: 0
    .sgpr_count:     4
    .sgpr_spill_count: 0
    .symbol:         _ZN7rocprim17ROCPRIM_400000_NS6detail17trampoline_kernelINS0_13select_configILj256ELj13ELNS0_17block_load_methodE3ELS4_3ELS4_3ELNS0_20block_scan_algorithmE0ELj4294967295EEENS1_25partition_config_selectorILNS1_17partition_subalgoE4EjNS0_10empty_typeEbEEZZNS1_14partition_implILS8_4ELb0ES6_15HIP_vector_typeIjLj2EENS0_17counting_iteratorIjlEEPS9_SG_NS0_5tupleIJPjSI_NS0_16reverse_iteratorISI_EEEEENSH_IJSG_SG_SG_EEES9_SI_JZNS1_25segmented_radix_sort_implINS0_14default_configELb0EPKsPsPKlPlN2at6native12_GLOBAL__N_18offset_tEEE10hipError_tPvRmT1_PNSt15iterator_traitsIS12_E10value_typeET2_T3_PNS13_IS18_E10value_typeET4_jRbjT5_S1E_jjP12ihipStream_tbEUljE_ZNSN_ISO_Lb0ESQ_SR_ST_SU_SY_EESZ_S10_S11_S12_S16_S17_S18_S1B_S1C_jS1D_jS1E_S1E_jjS1G_bEUljE0_EEESZ_S10_S11_S18_S1C_S1E_T6_T7_T9_mT8_S1G_bDpT10_ENKUlT_T0_E_clISt17integral_constantIbLb0EES1T_IbLb1EEEEDaS1P_S1Q_EUlS1P_E_NS1_11comp_targetILNS1_3genE8ELNS1_11target_archE1030ELNS1_3gpuE2ELNS1_3repE0EEENS1_30default_config_static_selectorELNS0_4arch9wavefront6targetE1EEEvS12_.kd
    .uniform_work_group_size: 1
    .uses_dynamic_stack: false
    .vgpr_count:     0
    .vgpr_spill_count: 0
    .wavefront_size: 64
  - .agpr_count:     0
    .args:
      - .offset:         0
        .size:           144
        .value_kind:     by_value
    .group_segment_fixed_size: 0
    .kernarg_segment_align: 8
    .kernarg_segment_size: 144
    .language:       OpenCL C
    .language_version:
      - 2
      - 0
    .max_flat_workgroup_size: 256
    .name:           _ZN7rocprim17ROCPRIM_400000_NS6detail17trampoline_kernelINS0_13select_configILj256ELj13ELNS0_17block_load_methodE3ELS4_3ELS4_3ELNS0_20block_scan_algorithmE0ELj4294967295EEENS1_25partition_config_selectorILNS1_17partition_subalgoE3EjNS0_10empty_typeEbEEZZNS1_14partition_implILS8_3ELb0ES6_jNS0_17counting_iteratorIjlEEPS9_SE_NS0_5tupleIJPjSE_EEENSF_IJSE_SE_EEES9_SG_JZNS1_25segmented_radix_sort_implINS0_14default_configELb0EPKsPsPKlPlN2at6native12_GLOBAL__N_18offset_tEEE10hipError_tPvRmT1_PNSt15iterator_traitsISY_E10value_typeET2_T3_PNSZ_IS14_E10value_typeET4_jRbjT5_S1A_jjP12ihipStream_tbEUljE_EEESV_SW_SX_S14_S18_S1A_T6_T7_T9_mT8_S1C_bDpT10_ENKUlT_T0_E_clISt17integral_constantIbLb0EES1P_EEDaS1K_S1L_EUlS1K_E_NS1_11comp_targetILNS1_3genE0ELNS1_11target_archE4294967295ELNS1_3gpuE0ELNS1_3repE0EEENS1_30default_config_static_selectorELNS0_4arch9wavefront6targetE1EEEvSY_
    .private_segment_fixed_size: 0
    .sgpr_count:     4
    .sgpr_spill_count: 0
    .symbol:         _ZN7rocprim17ROCPRIM_400000_NS6detail17trampoline_kernelINS0_13select_configILj256ELj13ELNS0_17block_load_methodE3ELS4_3ELS4_3ELNS0_20block_scan_algorithmE0ELj4294967295EEENS1_25partition_config_selectorILNS1_17partition_subalgoE3EjNS0_10empty_typeEbEEZZNS1_14partition_implILS8_3ELb0ES6_jNS0_17counting_iteratorIjlEEPS9_SE_NS0_5tupleIJPjSE_EEENSF_IJSE_SE_EEES9_SG_JZNS1_25segmented_radix_sort_implINS0_14default_configELb0EPKsPsPKlPlN2at6native12_GLOBAL__N_18offset_tEEE10hipError_tPvRmT1_PNSt15iterator_traitsISY_E10value_typeET2_T3_PNSZ_IS14_E10value_typeET4_jRbjT5_S1A_jjP12ihipStream_tbEUljE_EEESV_SW_SX_S14_S18_S1A_T6_T7_T9_mT8_S1C_bDpT10_ENKUlT_T0_E_clISt17integral_constantIbLb0EES1P_EEDaS1K_S1L_EUlS1K_E_NS1_11comp_targetILNS1_3genE0ELNS1_11target_archE4294967295ELNS1_3gpuE0ELNS1_3repE0EEENS1_30default_config_static_selectorELNS0_4arch9wavefront6targetE1EEEvSY_.kd
    .uniform_work_group_size: 1
    .uses_dynamic_stack: false
    .vgpr_count:     0
    .vgpr_spill_count: 0
    .wavefront_size: 64
  - .agpr_count:     0
    .args:
      - .offset:         0
        .size:           144
        .value_kind:     by_value
    .group_segment_fixed_size: 0
    .kernarg_segment_align: 8
    .kernarg_segment_size: 144
    .language:       OpenCL C
    .language_version:
      - 2
      - 0
    .max_flat_workgroup_size: 256
    .name:           _ZN7rocprim17ROCPRIM_400000_NS6detail17trampoline_kernelINS0_13select_configILj256ELj13ELNS0_17block_load_methodE3ELS4_3ELS4_3ELNS0_20block_scan_algorithmE0ELj4294967295EEENS1_25partition_config_selectorILNS1_17partition_subalgoE3EjNS0_10empty_typeEbEEZZNS1_14partition_implILS8_3ELb0ES6_jNS0_17counting_iteratorIjlEEPS9_SE_NS0_5tupleIJPjSE_EEENSF_IJSE_SE_EEES9_SG_JZNS1_25segmented_radix_sort_implINS0_14default_configELb0EPKsPsPKlPlN2at6native12_GLOBAL__N_18offset_tEEE10hipError_tPvRmT1_PNSt15iterator_traitsISY_E10value_typeET2_T3_PNSZ_IS14_E10value_typeET4_jRbjT5_S1A_jjP12ihipStream_tbEUljE_EEESV_SW_SX_S14_S18_S1A_T6_T7_T9_mT8_S1C_bDpT10_ENKUlT_T0_E_clISt17integral_constantIbLb0EES1P_EEDaS1K_S1L_EUlS1K_E_NS1_11comp_targetILNS1_3genE5ELNS1_11target_archE942ELNS1_3gpuE9ELNS1_3repE0EEENS1_30default_config_static_selectorELNS0_4arch9wavefront6targetE1EEEvSY_
    .private_segment_fixed_size: 0
    .sgpr_count:     4
    .sgpr_spill_count: 0
    .symbol:         _ZN7rocprim17ROCPRIM_400000_NS6detail17trampoline_kernelINS0_13select_configILj256ELj13ELNS0_17block_load_methodE3ELS4_3ELS4_3ELNS0_20block_scan_algorithmE0ELj4294967295EEENS1_25partition_config_selectorILNS1_17partition_subalgoE3EjNS0_10empty_typeEbEEZZNS1_14partition_implILS8_3ELb0ES6_jNS0_17counting_iteratorIjlEEPS9_SE_NS0_5tupleIJPjSE_EEENSF_IJSE_SE_EEES9_SG_JZNS1_25segmented_radix_sort_implINS0_14default_configELb0EPKsPsPKlPlN2at6native12_GLOBAL__N_18offset_tEEE10hipError_tPvRmT1_PNSt15iterator_traitsISY_E10value_typeET2_T3_PNSZ_IS14_E10value_typeET4_jRbjT5_S1A_jjP12ihipStream_tbEUljE_EEESV_SW_SX_S14_S18_S1A_T6_T7_T9_mT8_S1C_bDpT10_ENKUlT_T0_E_clISt17integral_constantIbLb0EES1P_EEDaS1K_S1L_EUlS1K_E_NS1_11comp_targetILNS1_3genE5ELNS1_11target_archE942ELNS1_3gpuE9ELNS1_3repE0EEENS1_30default_config_static_selectorELNS0_4arch9wavefront6targetE1EEEvSY_.kd
    .uniform_work_group_size: 1
    .uses_dynamic_stack: false
    .vgpr_count:     0
    .vgpr_spill_count: 0
    .wavefront_size: 64
  - .agpr_count:     0
    .args:
      - .offset:         0
        .size:           144
        .value_kind:     by_value
    .group_segment_fixed_size: 13324
    .kernarg_segment_align: 8
    .kernarg_segment_size: 144
    .language:       OpenCL C
    .language_version:
      - 2
      - 0
    .max_flat_workgroup_size: 256
    .name:           _ZN7rocprim17ROCPRIM_400000_NS6detail17trampoline_kernelINS0_13select_configILj256ELj13ELNS0_17block_load_methodE3ELS4_3ELS4_3ELNS0_20block_scan_algorithmE0ELj4294967295EEENS1_25partition_config_selectorILNS1_17partition_subalgoE3EjNS0_10empty_typeEbEEZZNS1_14partition_implILS8_3ELb0ES6_jNS0_17counting_iteratorIjlEEPS9_SE_NS0_5tupleIJPjSE_EEENSF_IJSE_SE_EEES9_SG_JZNS1_25segmented_radix_sort_implINS0_14default_configELb0EPKsPsPKlPlN2at6native12_GLOBAL__N_18offset_tEEE10hipError_tPvRmT1_PNSt15iterator_traitsISY_E10value_typeET2_T3_PNSZ_IS14_E10value_typeET4_jRbjT5_S1A_jjP12ihipStream_tbEUljE_EEESV_SW_SX_S14_S18_S1A_T6_T7_T9_mT8_S1C_bDpT10_ENKUlT_T0_E_clISt17integral_constantIbLb0EES1P_EEDaS1K_S1L_EUlS1K_E_NS1_11comp_targetILNS1_3genE4ELNS1_11target_archE910ELNS1_3gpuE8ELNS1_3repE0EEENS1_30default_config_static_selectorELNS0_4arch9wavefront6targetE1EEEvSY_
    .private_segment_fixed_size: 0
    .sgpr_count:     50
    .sgpr_spill_count: 0
    .symbol:         _ZN7rocprim17ROCPRIM_400000_NS6detail17trampoline_kernelINS0_13select_configILj256ELj13ELNS0_17block_load_methodE3ELS4_3ELS4_3ELNS0_20block_scan_algorithmE0ELj4294967295EEENS1_25partition_config_selectorILNS1_17partition_subalgoE3EjNS0_10empty_typeEbEEZZNS1_14partition_implILS8_3ELb0ES6_jNS0_17counting_iteratorIjlEEPS9_SE_NS0_5tupleIJPjSE_EEENSF_IJSE_SE_EEES9_SG_JZNS1_25segmented_radix_sort_implINS0_14default_configELb0EPKsPsPKlPlN2at6native12_GLOBAL__N_18offset_tEEE10hipError_tPvRmT1_PNSt15iterator_traitsISY_E10value_typeET2_T3_PNSZ_IS14_E10value_typeET4_jRbjT5_S1A_jjP12ihipStream_tbEUljE_EEESV_SW_SX_S14_S18_S1A_T6_T7_T9_mT8_S1C_bDpT10_ENKUlT_T0_E_clISt17integral_constantIbLb0EES1P_EEDaS1K_S1L_EUlS1K_E_NS1_11comp_targetILNS1_3genE4ELNS1_11target_archE910ELNS1_3gpuE8ELNS1_3repE0EEENS1_30default_config_static_selectorELNS0_4arch9wavefront6targetE1EEEvSY_.kd
    .uniform_work_group_size: 1
    .uses_dynamic_stack: false
    .vgpr_count:     61
    .vgpr_spill_count: 0
    .wavefront_size: 64
  - .agpr_count:     0
    .args:
      - .offset:         0
        .size:           144
        .value_kind:     by_value
    .group_segment_fixed_size: 0
    .kernarg_segment_align: 8
    .kernarg_segment_size: 144
    .language:       OpenCL C
    .language_version:
      - 2
      - 0
    .max_flat_workgroup_size: 256
    .name:           _ZN7rocprim17ROCPRIM_400000_NS6detail17trampoline_kernelINS0_13select_configILj256ELj13ELNS0_17block_load_methodE3ELS4_3ELS4_3ELNS0_20block_scan_algorithmE0ELj4294967295EEENS1_25partition_config_selectorILNS1_17partition_subalgoE3EjNS0_10empty_typeEbEEZZNS1_14partition_implILS8_3ELb0ES6_jNS0_17counting_iteratorIjlEEPS9_SE_NS0_5tupleIJPjSE_EEENSF_IJSE_SE_EEES9_SG_JZNS1_25segmented_radix_sort_implINS0_14default_configELb0EPKsPsPKlPlN2at6native12_GLOBAL__N_18offset_tEEE10hipError_tPvRmT1_PNSt15iterator_traitsISY_E10value_typeET2_T3_PNSZ_IS14_E10value_typeET4_jRbjT5_S1A_jjP12ihipStream_tbEUljE_EEESV_SW_SX_S14_S18_S1A_T6_T7_T9_mT8_S1C_bDpT10_ENKUlT_T0_E_clISt17integral_constantIbLb0EES1P_EEDaS1K_S1L_EUlS1K_E_NS1_11comp_targetILNS1_3genE3ELNS1_11target_archE908ELNS1_3gpuE7ELNS1_3repE0EEENS1_30default_config_static_selectorELNS0_4arch9wavefront6targetE1EEEvSY_
    .private_segment_fixed_size: 0
    .sgpr_count:     4
    .sgpr_spill_count: 0
    .symbol:         _ZN7rocprim17ROCPRIM_400000_NS6detail17trampoline_kernelINS0_13select_configILj256ELj13ELNS0_17block_load_methodE3ELS4_3ELS4_3ELNS0_20block_scan_algorithmE0ELj4294967295EEENS1_25partition_config_selectorILNS1_17partition_subalgoE3EjNS0_10empty_typeEbEEZZNS1_14partition_implILS8_3ELb0ES6_jNS0_17counting_iteratorIjlEEPS9_SE_NS0_5tupleIJPjSE_EEENSF_IJSE_SE_EEES9_SG_JZNS1_25segmented_radix_sort_implINS0_14default_configELb0EPKsPsPKlPlN2at6native12_GLOBAL__N_18offset_tEEE10hipError_tPvRmT1_PNSt15iterator_traitsISY_E10value_typeET2_T3_PNSZ_IS14_E10value_typeET4_jRbjT5_S1A_jjP12ihipStream_tbEUljE_EEESV_SW_SX_S14_S18_S1A_T6_T7_T9_mT8_S1C_bDpT10_ENKUlT_T0_E_clISt17integral_constantIbLb0EES1P_EEDaS1K_S1L_EUlS1K_E_NS1_11comp_targetILNS1_3genE3ELNS1_11target_archE908ELNS1_3gpuE7ELNS1_3repE0EEENS1_30default_config_static_selectorELNS0_4arch9wavefront6targetE1EEEvSY_.kd
    .uniform_work_group_size: 1
    .uses_dynamic_stack: false
    .vgpr_count:     0
    .vgpr_spill_count: 0
    .wavefront_size: 64
  - .agpr_count:     0
    .args:
      - .offset:         0
        .size:           144
        .value_kind:     by_value
    .group_segment_fixed_size: 0
    .kernarg_segment_align: 8
    .kernarg_segment_size: 144
    .language:       OpenCL C
    .language_version:
      - 2
      - 0
    .max_flat_workgroup_size: 256
    .name:           _ZN7rocprim17ROCPRIM_400000_NS6detail17trampoline_kernelINS0_13select_configILj256ELj13ELNS0_17block_load_methodE3ELS4_3ELS4_3ELNS0_20block_scan_algorithmE0ELj4294967295EEENS1_25partition_config_selectorILNS1_17partition_subalgoE3EjNS0_10empty_typeEbEEZZNS1_14partition_implILS8_3ELb0ES6_jNS0_17counting_iteratorIjlEEPS9_SE_NS0_5tupleIJPjSE_EEENSF_IJSE_SE_EEES9_SG_JZNS1_25segmented_radix_sort_implINS0_14default_configELb0EPKsPsPKlPlN2at6native12_GLOBAL__N_18offset_tEEE10hipError_tPvRmT1_PNSt15iterator_traitsISY_E10value_typeET2_T3_PNSZ_IS14_E10value_typeET4_jRbjT5_S1A_jjP12ihipStream_tbEUljE_EEESV_SW_SX_S14_S18_S1A_T6_T7_T9_mT8_S1C_bDpT10_ENKUlT_T0_E_clISt17integral_constantIbLb0EES1P_EEDaS1K_S1L_EUlS1K_E_NS1_11comp_targetILNS1_3genE2ELNS1_11target_archE906ELNS1_3gpuE6ELNS1_3repE0EEENS1_30default_config_static_selectorELNS0_4arch9wavefront6targetE1EEEvSY_
    .private_segment_fixed_size: 0
    .sgpr_count:     4
    .sgpr_spill_count: 0
    .symbol:         _ZN7rocprim17ROCPRIM_400000_NS6detail17trampoline_kernelINS0_13select_configILj256ELj13ELNS0_17block_load_methodE3ELS4_3ELS4_3ELNS0_20block_scan_algorithmE0ELj4294967295EEENS1_25partition_config_selectorILNS1_17partition_subalgoE3EjNS0_10empty_typeEbEEZZNS1_14partition_implILS8_3ELb0ES6_jNS0_17counting_iteratorIjlEEPS9_SE_NS0_5tupleIJPjSE_EEENSF_IJSE_SE_EEES9_SG_JZNS1_25segmented_radix_sort_implINS0_14default_configELb0EPKsPsPKlPlN2at6native12_GLOBAL__N_18offset_tEEE10hipError_tPvRmT1_PNSt15iterator_traitsISY_E10value_typeET2_T3_PNSZ_IS14_E10value_typeET4_jRbjT5_S1A_jjP12ihipStream_tbEUljE_EEESV_SW_SX_S14_S18_S1A_T6_T7_T9_mT8_S1C_bDpT10_ENKUlT_T0_E_clISt17integral_constantIbLb0EES1P_EEDaS1K_S1L_EUlS1K_E_NS1_11comp_targetILNS1_3genE2ELNS1_11target_archE906ELNS1_3gpuE6ELNS1_3repE0EEENS1_30default_config_static_selectorELNS0_4arch9wavefront6targetE1EEEvSY_.kd
    .uniform_work_group_size: 1
    .uses_dynamic_stack: false
    .vgpr_count:     0
    .vgpr_spill_count: 0
    .wavefront_size: 64
  - .agpr_count:     0
    .args:
      - .offset:         0
        .size:           144
        .value_kind:     by_value
    .group_segment_fixed_size: 0
    .kernarg_segment_align: 8
    .kernarg_segment_size: 144
    .language:       OpenCL C
    .language_version:
      - 2
      - 0
    .max_flat_workgroup_size: 256
    .name:           _ZN7rocprim17ROCPRIM_400000_NS6detail17trampoline_kernelINS0_13select_configILj256ELj13ELNS0_17block_load_methodE3ELS4_3ELS4_3ELNS0_20block_scan_algorithmE0ELj4294967295EEENS1_25partition_config_selectorILNS1_17partition_subalgoE3EjNS0_10empty_typeEbEEZZNS1_14partition_implILS8_3ELb0ES6_jNS0_17counting_iteratorIjlEEPS9_SE_NS0_5tupleIJPjSE_EEENSF_IJSE_SE_EEES9_SG_JZNS1_25segmented_radix_sort_implINS0_14default_configELb0EPKsPsPKlPlN2at6native12_GLOBAL__N_18offset_tEEE10hipError_tPvRmT1_PNSt15iterator_traitsISY_E10value_typeET2_T3_PNSZ_IS14_E10value_typeET4_jRbjT5_S1A_jjP12ihipStream_tbEUljE_EEESV_SW_SX_S14_S18_S1A_T6_T7_T9_mT8_S1C_bDpT10_ENKUlT_T0_E_clISt17integral_constantIbLb0EES1P_EEDaS1K_S1L_EUlS1K_E_NS1_11comp_targetILNS1_3genE10ELNS1_11target_archE1200ELNS1_3gpuE4ELNS1_3repE0EEENS1_30default_config_static_selectorELNS0_4arch9wavefront6targetE1EEEvSY_
    .private_segment_fixed_size: 0
    .sgpr_count:     4
    .sgpr_spill_count: 0
    .symbol:         _ZN7rocprim17ROCPRIM_400000_NS6detail17trampoline_kernelINS0_13select_configILj256ELj13ELNS0_17block_load_methodE3ELS4_3ELS4_3ELNS0_20block_scan_algorithmE0ELj4294967295EEENS1_25partition_config_selectorILNS1_17partition_subalgoE3EjNS0_10empty_typeEbEEZZNS1_14partition_implILS8_3ELb0ES6_jNS0_17counting_iteratorIjlEEPS9_SE_NS0_5tupleIJPjSE_EEENSF_IJSE_SE_EEES9_SG_JZNS1_25segmented_radix_sort_implINS0_14default_configELb0EPKsPsPKlPlN2at6native12_GLOBAL__N_18offset_tEEE10hipError_tPvRmT1_PNSt15iterator_traitsISY_E10value_typeET2_T3_PNSZ_IS14_E10value_typeET4_jRbjT5_S1A_jjP12ihipStream_tbEUljE_EEESV_SW_SX_S14_S18_S1A_T6_T7_T9_mT8_S1C_bDpT10_ENKUlT_T0_E_clISt17integral_constantIbLb0EES1P_EEDaS1K_S1L_EUlS1K_E_NS1_11comp_targetILNS1_3genE10ELNS1_11target_archE1200ELNS1_3gpuE4ELNS1_3repE0EEENS1_30default_config_static_selectorELNS0_4arch9wavefront6targetE1EEEvSY_.kd
    .uniform_work_group_size: 1
    .uses_dynamic_stack: false
    .vgpr_count:     0
    .vgpr_spill_count: 0
    .wavefront_size: 64
  - .agpr_count:     0
    .args:
      - .offset:         0
        .size:           144
        .value_kind:     by_value
    .group_segment_fixed_size: 0
    .kernarg_segment_align: 8
    .kernarg_segment_size: 144
    .language:       OpenCL C
    .language_version:
      - 2
      - 0
    .max_flat_workgroup_size: 256
    .name:           _ZN7rocprim17ROCPRIM_400000_NS6detail17trampoline_kernelINS0_13select_configILj256ELj13ELNS0_17block_load_methodE3ELS4_3ELS4_3ELNS0_20block_scan_algorithmE0ELj4294967295EEENS1_25partition_config_selectorILNS1_17partition_subalgoE3EjNS0_10empty_typeEbEEZZNS1_14partition_implILS8_3ELb0ES6_jNS0_17counting_iteratorIjlEEPS9_SE_NS0_5tupleIJPjSE_EEENSF_IJSE_SE_EEES9_SG_JZNS1_25segmented_radix_sort_implINS0_14default_configELb0EPKsPsPKlPlN2at6native12_GLOBAL__N_18offset_tEEE10hipError_tPvRmT1_PNSt15iterator_traitsISY_E10value_typeET2_T3_PNSZ_IS14_E10value_typeET4_jRbjT5_S1A_jjP12ihipStream_tbEUljE_EEESV_SW_SX_S14_S18_S1A_T6_T7_T9_mT8_S1C_bDpT10_ENKUlT_T0_E_clISt17integral_constantIbLb0EES1P_EEDaS1K_S1L_EUlS1K_E_NS1_11comp_targetILNS1_3genE9ELNS1_11target_archE1100ELNS1_3gpuE3ELNS1_3repE0EEENS1_30default_config_static_selectorELNS0_4arch9wavefront6targetE1EEEvSY_
    .private_segment_fixed_size: 0
    .sgpr_count:     4
    .sgpr_spill_count: 0
    .symbol:         _ZN7rocprim17ROCPRIM_400000_NS6detail17trampoline_kernelINS0_13select_configILj256ELj13ELNS0_17block_load_methodE3ELS4_3ELS4_3ELNS0_20block_scan_algorithmE0ELj4294967295EEENS1_25partition_config_selectorILNS1_17partition_subalgoE3EjNS0_10empty_typeEbEEZZNS1_14partition_implILS8_3ELb0ES6_jNS0_17counting_iteratorIjlEEPS9_SE_NS0_5tupleIJPjSE_EEENSF_IJSE_SE_EEES9_SG_JZNS1_25segmented_radix_sort_implINS0_14default_configELb0EPKsPsPKlPlN2at6native12_GLOBAL__N_18offset_tEEE10hipError_tPvRmT1_PNSt15iterator_traitsISY_E10value_typeET2_T3_PNSZ_IS14_E10value_typeET4_jRbjT5_S1A_jjP12ihipStream_tbEUljE_EEESV_SW_SX_S14_S18_S1A_T6_T7_T9_mT8_S1C_bDpT10_ENKUlT_T0_E_clISt17integral_constantIbLb0EES1P_EEDaS1K_S1L_EUlS1K_E_NS1_11comp_targetILNS1_3genE9ELNS1_11target_archE1100ELNS1_3gpuE3ELNS1_3repE0EEENS1_30default_config_static_selectorELNS0_4arch9wavefront6targetE1EEEvSY_.kd
    .uniform_work_group_size: 1
    .uses_dynamic_stack: false
    .vgpr_count:     0
    .vgpr_spill_count: 0
    .wavefront_size: 64
  - .agpr_count:     0
    .args:
      - .offset:         0
        .size:           144
        .value_kind:     by_value
    .group_segment_fixed_size: 0
    .kernarg_segment_align: 8
    .kernarg_segment_size: 144
    .language:       OpenCL C
    .language_version:
      - 2
      - 0
    .max_flat_workgroup_size: 256
    .name:           _ZN7rocprim17ROCPRIM_400000_NS6detail17trampoline_kernelINS0_13select_configILj256ELj13ELNS0_17block_load_methodE3ELS4_3ELS4_3ELNS0_20block_scan_algorithmE0ELj4294967295EEENS1_25partition_config_selectorILNS1_17partition_subalgoE3EjNS0_10empty_typeEbEEZZNS1_14partition_implILS8_3ELb0ES6_jNS0_17counting_iteratorIjlEEPS9_SE_NS0_5tupleIJPjSE_EEENSF_IJSE_SE_EEES9_SG_JZNS1_25segmented_radix_sort_implINS0_14default_configELb0EPKsPsPKlPlN2at6native12_GLOBAL__N_18offset_tEEE10hipError_tPvRmT1_PNSt15iterator_traitsISY_E10value_typeET2_T3_PNSZ_IS14_E10value_typeET4_jRbjT5_S1A_jjP12ihipStream_tbEUljE_EEESV_SW_SX_S14_S18_S1A_T6_T7_T9_mT8_S1C_bDpT10_ENKUlT_T0_E_clISt17integral_constantIbLb0EES1P_EEDaS1K_S1L_EUlS1K_E_NS1_11comp_targetILNS1_3genE8ELNS1_11target_archE1030ELNS1_3gpuE2ELNS1_3repE0EEENS1_30default_config_static_selectorELNS0_4arch9wavefront6targetE1EEEvSY_
    .private_segment_fixed_size: 0
    .sgpr_count:     4
    .sgpr_spill_count: 0
    .symbol:         _ZN7rocprim17ROCPRIM_400000_NS6detail17trampoline_kernelINS0_13select_configILj256ELj13ELNS0_17block_load_methodE3ELS4_3ELS4_3ELNS0_20block_scan_algorithmE0ELj4294967295EEENS1_25partition_config_selectorILNS1_17partition_subalgoE3EjNS0_10empty_typeEbEEZZNS1_14partition_implILS8_3ELb0ES6_jNS0_17counting_iteratorIjlEEPS9_SE_NS0_5tupleIJPjSE_EEENSF_IJSE_SE_EEES9_SG_JZNS1_25segmented_radix_sort_implINS0_14default_configELb0EPKsPsPKlPlN2at6native12_GLOBAL__N_18offset_tEEE10hipError_tPvRmT1_PNSt15iterator_traitsISY_E10value_typeET2_T3_PNSZ_IS14_E10value_typeET4_jRbjT5_S1A_jjP12ihipStream_tbEUljE_EEESV_SW_SX_S14_S18_S1A_T6_T7_T9_mT8_S1C_bDpT10_ENKUlT_T0_E_clISt17integral_constantIbLb0EES1P_EEDaS1K_S1L_EUlS1K_E_NS1_11comp_targetILNS1_3genE8ELNS1_11target_archE1030ELNS1_3gpuE2ELNS1_3repE0EEENS1_30default_config_static_selectorELNS0_4arch9wavefront6targetE1EEEvSY_.kd
    .uniform_work_group_size: 1
    .uses_dynamic_stack: false
    .vgpr_count:     0
    .vgpr_spill_count: 0
    .wavefront_size: 64
  - .agpr_count:     0
    .args:
      - .offset:         0
        .size:           152
        .value_kind:     by_value
    .group_segment_fixed_size: 0
    .kernarg_segment_align: 8
    .kernarg_segment_size: 152
    .language:       OpenCL C
    .language_version:
      - 2
      - 0
    .max_flat_workgroup_size: 256
    .name:           _ZN7rocprim17ROCPRIM_400000_NS6detail17trampoline_kernelINS0_13select_configILj256ELj13ELNS0_17block_load_methodE3ELS4_3ELS4_3ELNS0_20block_scan_algorithmE0ELj4294967295EEENS1_25partition_config_selectorILNS1_17partition_subalgoE3EjNS0_10empty_typeEbEEZZNS1_14partition_implILS8_3ELb0ES6_jNS0_17counting_iteratorIjlEEPS9_SE_NS0_5tupleIJPjSE_EEENSF_IJSE_SE_EEES9_SG_JZNS1_25segmented_radix_sort_implINS0_14default_configELb0EPKsPsPKlPlN2at6native12_GLOBAL__N_18offset_tEEE10hipError_tPvRmT1_PNSt15iterator_traitsISY_E10value_typeET2_T3_PNSZ_IS14_E10value_typeET4_jRbjT5_S1A_jjP12ihipStream_tbEUljE_EEESV_SW_SX_S14_S18_S1A_T6_T7_T9_mT8_S1C_bDpT10_ENKUlT_T0_E_clISt17integral_constantIbLb1EES1P_EEDaS1K_S1L_EUlS1K_E_NS1_11comp_targetILNS1_3genE0ELNS1_11target_archE4294967295ELNS1_3gpuE0ELNS1_3repE0EEENS1_30default_config_static_selectorELNS0_4arch9wavefront6targetE1EEEvSY_
    .private_segment_fixed_size: 0
    .sgpr_count:     4
    .sgpr_spill_count: 0
    .symbol:         _ZN7rocprim17ROCPRIM_400000_NS6detail17trampoline_kernelINS0_13select_configILj256ELj13ELNS0_17block_load_methodE3ELS4_3ELS4_3ELNS0_20block_scan_algorithmE0ELj4294967295EEENS1_25partition_config_selectorILNS1_17partition_subalgoE3EjNS0_10empty_typeEbEEZZNS1_14partition_implILS8_3ELb0ES6_jNS0_17counting_iteratorIjlEEPS9_SE_NS0_5tupleIJPjSE_EEENSF_IJSE_SE_EEES9_SG_JZNS1_25segmented_radix_sort_implINS0_14default_configELb0EPKsPsPKlPlN2at6native12_GLOBAL__N_18offset_tEEE10hipError_tPvRmT1_PNSt15iterator_traitsISY_E10value_typeET2_T3_PNSZ_IS14_E10value_typeET4_jRbjT5_S1A_jjP12ihipStream_tbEUljE_EEESV_SW_SX_S14_S18_S1A_T6_T7_T9_mT8_S1C_bDpT10_ENKUlT_T0_E_clISt17integral_constantIbLb1EES1P_EEDaS1K_S1L_EUlS1K_E_NS1_11comp_targetILNS1_3genE0ELNS1_11target_archE4294967295ELNS1_3gpuE0ELNS1_3repE0EEENS1_30default_config_static_selectorELNS0_4arch9wavefront6targetE1EEEvSY_.kd
    .uniform_work_group_size: 1
    .uses_dynamic_stack: false
    .vgpr_count:     0
    .vgpr_spill_count: 0
    .wavefront_size: 64
  - .agpr_count:     0
    .args:
      - .offset:         0
        .size:           152
        .value_kind:     by_value
    .group_segment_fixed_size: 0
    .kernarg_segment_align: 8
    .kernarg_segment_size: 152
    .language:       OpenCL C
    .language_version:
      - 2
      - 0
    .max_flat_workgroup_size: 256
    .name:           _ZN7rocprim17ROCPRIM_400000_NS6detail17trampoline_kernelINS0_13select_configILj256ELj13ELNS0_17block_load_methodE3ELS4_3ELS4_3ELNS0_20block_scan_algorithmE0ELj4294967295EEENS1_25partition_config_selectorILNS1_17partition_subalgoE3EjNS0_10empty_typeEbEEZZNS1_14partition_implILS8_3ELb0ES6_jNS0_17counting_iteratorIjlEEPS9_SE_NS0_5tupleIJPjSE_EEENSF_IJSE_SE_EEES9_SG_JZNS1_25segmented_radix_sort_implINS0_14default_configELb0EPKsPsPKlPlN2at6native12_GLOBAL__N_18offset_tEEE10hipError_tPvRmT1_PNSt15iterator_traitsISY_E10value_typeET2_T3_PNSZ_IS14_E10value_typeET4_jRbjT5_S1A_jjP12ihipStream_tbEUljE_EEESV_SW_SX_S14_S18_S1A_T6_T7_T9_mT8_S1C_bDpT10_ENKUlT_T0_E_clISt17integral_constantIbLb1EES1P_EEDaS1K_S1L_EUlS1K_E_NS1_11comp_targetILNS1_3genE5ELNS1_11target_archE942ELNS1_3gpuE9ELNS1_3repE0EEENS1_30default_config_static_selectorELNS0_4arch9wavefront6targetE1EEEvSY_
    .private_segment_fixed_size: 0
    .sgpr_count:     4
    .sgpr_spill_count: 0
    .symbol:         _ZN7rocprim17ROCPRIM_400000_NS6detail17trampoline_kernelINS0_13select_configILj256ELj13ELNS0_17block_load_methodE3ELS4_3ELS4_3ELNS0_20block_scan_algorithmE0ELj4294967295EEENS1_25partition_config_selectorILNS1_17partition_subalgoE3EjNS0_10empty_typeEbEEZZNS1_14partition_implILS8_3ELb0ES6_jNS0_17counting_iteratorIjlEEPS9_SE_NS0_5tupleIJPjSE_EEENSF_IJSE_SE_EEES9_SG_JZNS1_25segmented_radix_sort_implINS0_14default_configELb0EPKsPsPKlPlN2at6native12_GLOBAL__N_18offset_tEEE10hipError_tPvRmT1_PNSt15iterator_traitsISY_E10value_typeET2_T3_PNSZ_IS14_E10value_typeET4_jRbjT5_S1A_jjP12ihipStream_tbEUljE_EEESV_SW_SX_S14_S18_S1A_T6_T7_T9_mT8_S1C_bDpT10_ENKUlT_T0_E_clISt17integral_constantIbLb1EES1P_EEDaS1K_S1L_EUlS1K_E_NS1_11comp_targetILNS1_3genE5ELNS1_11target_archE942ELNS1_3gpuE9ELNS1_3repE0EEENS1_30default_config_static_selectorELNS0_4arch9wavefront6targetE1EEEvSY_.kd
    .uniform_work_group_size: 1
    .uses_dynamic_stack: false
    .vgpr_count:     0
    .vgpr_spill_count: 0
    .wavefront_size: 64
  - .agpr_count:     0
    .args:
      - .offset:         0
        .size:           152
        .value_kind:     by_value
    .group_segment_fixed_size: 13324
    .kernarg_segment_align: 8
    .kernarg_segment_size: 152
    .language:       OpenCL C
    .language_version:
      - 2
      - 0
    .max_flat_workgroup_size: 256
    .name:           _ZN7rocprim17ROCPRIM_400000_NS6detail17trampoline_kernelINS0_13select_configILj256ELj13ELNS0_17block_load_methodE3ELS4_3ELS4_3ELNS0_20block_scan_algorithmE0ELj4294967295EEENS1_25partition_config_selectorILNS1_17partition_subalgoE3EjNS0_10empty_typeEbEEZZNS1_14partition_implILS8_3ELb0ES6_jNS0_17counting_iteratorIjlEEPS9_SE_NS0_5tupleIJPjSE_EEENSF_IJSE_SE_EEES9_SG_JZNS1_25segmented_radix_sort_implINS0_14default_configELb0EPKsPsPKlPlN2at6native12_GLOBAL__N_18offset_tEEE10hipError_tPvRmT1_PNSt15iterator_traitsISY_E10value_typeET2_T3_PNSZ_IS14_E10value_typeET4_jRbjT5_S1A_jjP12ihipStream_tbEUljE_EEESV_SW_SX_S14_S18_S1A_T6_T7_T9_mT8_S1C_bDpT10_ENKUlT_T0_E_clISt17integral_constantIbLb1EES1P_EEDaS1K_S1L_EUlS1K_E_NS1_11comp_targetILNS1_3genE4ELNS1_11target_archE910ELNS1_3gpuE8ELNS1_3repE0EEENS1_30default_config_static_selectorELNS0_4arch9wavefront6targetE1EEEvSY_
    .private_segment_fixed_size: 0
    .sgpr_count:     48
    .sgpr_spill_count: 0
    .symbol:         _ZN7rocprim17ROCPRIM_400000_NS6detail17trampoline_kernelINS0_13select_configILj256ELj13ELNS0_17block_load_methodE3ELS4_3ELS4_3ELNS0_20block_scan_algorithmE0ELj4294967295EEENS1_25partition_config_selectorILNS1_17partition_subalgoE3EjNS0_10empty_typeEbEEZZNS1_14partition_implILS8_3ELb0ES6_jNS0_17counting_iteratorIjlEEPS9_SE_NS0_5tupleIJPjSE_EEENSF_IJSE_SE_EEES9_SG_JZNS1_25segmented_radix_sort_implINS0_14default_configELb0EPKsPsPKlPlN2at6native12_GLOBAL__N_18offset_tEEE10hipError_tPvRmT1_PNSt15iterator_traitsISY_E10value_typeET2_T3_PNSZ_IS14_E10value_typeET4_jRbjT5_S1A_jjP12ihipStream_tbEUljE_EEESV_SW_SX_S14_S18_S1A_T6_T7_T9_mT8_S1C_bDpT10_ENKUlT_T0_E_clISt17integral_constantIbLb1EES1P_EEDaS1K_S1L_EUlS1K_E_NS1_11comp_targetILNS1_3genE4ELNS1_11target_archE910ELNS1_3gpuE8ELNS1_3repE0EEENS1_30default_config_static_selectorELNS0_4arch9wavefront6targetE1EEEvSY_.kd
    .uniform_work_group_size: 1
    .uses_dynamic_stack: false
    .vgpr_count:     64
    .vgpr_spill_count: 0
    .wavefront_size: 64
  - .agpr_count:     0
    .args:
      - .offset:         0
        .size:           152
        .value_kind:     by_value
    .group_segment_fixed_size: 0
    .kernarg_segment_align: 8
    .kernarg_segment_size: 152
    .language:       OpenCL C
    .language_version:
      - 2
      - 0
    .max_flat_workgroup_size: 256
    .name:           _ZN7rocprim17ROCPRIM_400000_NS6detail17trampoline_kernelINS0_13select_configILj256ELj13ELNS0_17block_load_methodE3ELS4_3ELS4_3ELNS0_20block_scan_algorithmE0ELj4294967295EEENS1_25partition_config_selectorILNS1_17partition_subalgoE3EjNS0_10empty_typeEbEEZZNS1_14partition_implILS8_3ELb0ES6_jNS0_17counting_iteratorIjlEEPS9_SE_NS0_5tupleIJPjSE_EEENSF_IJSE_SE_EEES9_SG_JZNS1_25segmented_radix_sort_implINS0_14default_configELb0EPKsPsPKlPlN2at6native12_GLOBAL__N_18offset_tEEE10hipError_tPvRmT1_PNSt15iterator_traitsISY_E10value_typeET2_T3_PNSZ_IS14_E10value_typeET4_jRbjT5_S1A_jjP12ihipStream_tbEUljE_EEESV_SW_SX_S14_S18_S1A_T6_T7_T9_mT8_S1C_bDpT10_ENKUlT_T0_E_clISt17integral_constantIbLb1EES1P_EEDaS1K_S1L_EUlS1K_E_NS1_11comp_targetILNS1_3genE3ELNS1_11target_archE908ELNS1_3gpuE7ELNS1_3repE0EEENS1_30default_config_static_selectorELNS0_4arch9wavefront6targetE1EEEvSY_
    .private_segment_fixed_size: 0
    .sgpr_count:     4
    .sgpr_spill_count: 0
    .symbol:         _ZN7rocprim17ROCPRIM_400000_NS6detail17trampoline_kernelINS0_13select_configILj256ELj13ELNS0_17block_load_methodE3ELS4_3ELS4_3ELNS0_20block_scan_algorithmE0ELj4294967295EEENS1_25partition_config_selectorILNS1_17partition_subalgoE3EjNS0_10empty_typeEbEEZZNS1_14partition_implILS8_3ELb0ES6_jNS0_17counting_iteratorIjlEEPS9_SE_NS0_5tupleIJPjSE_EEENSF_IJSE_SE_EEES9_SG_JZNS1_25segmented_radix_sort_implINS0_14default_configELb0EPKsPsPKlPlN2at6native12_GLOBAL__N_18offset_tEEE10hipError_tPvRmT1_PNSt15iterator_traitsISY_E10value_typeET2_T3_PNSZ_IS14_E10value_typeET4_jRbjT5_S1A_jjP12ihipStream_tbEUljE_EEESV_SW_SX_S14_S18_S1A_T6_T7_T9_mT8_S1C_bDpT10_ENKUlT_T0_E_clISt17integral_constantIbLb1EES1P_EEDaS1K_S1L_EUlS1K_E_NS1_11comp_targetILNS1_3genE3ELNS1_11target_archE908ELNS1_3gpuE7ELNS1_3repE0EEENS1_30default_config_static_selectorELNS0_4arch9wavefront6targetE1EEEvSY_.kd
    .uniform_work_group_size: 1
    .uses_dynamic_stack: false
    .vgpr_count:     0
    .vgpr_spill_count: 0
    .wavefront_size: 64
  - .agpr_count:     0
    .args:
      - .offset:         0
        .size:           152
        .value_kind:     by_value
    .group_segment_fixed_size: 0
    .kernarg_segment_align: 8
    .kernarg_segment_size: 152
    .language:       OpenCL C
    .language_version:
      - 2
      - 0
    .max_flat_workgroup_size: 256
    .name:           _ZN7rocprim17ROCPRIM_400000_NS6detail17trampoline_kernelINS0_13select_configILj256ELj13ELNS0_17block_load_methodE3ELS4_3ELS4_3ELNS0_20block_scan_algorithmE0ELj4294967295EEENS1_25partition_config_selectorILNS1_17partition_subalgoE3EjNS0_10empty_typeEbEEZZNS1_14partition_implILS8_3ELb0ES6_jNS0_17counting_iteratorIjlEEPS9_SE_NS0_5tupleIJPjSE_EEENSF_IJSE_SE_EEES9_SG_JZNS1_25segmented_radix_sort_implINS0_14default_configELb0EPKsPsPKlPlN2at6native12_GLOBAL__N_18offset_tEEE10hipError_tPvRmT1_PNSt15iterator_traitsISY_E10value_typeET2_T3_PNSZ_IS14_E10value_typeET4_jRbjT5_S1A_jjP12ihipStream_tbEUljE_EEESV_SW_SX_S14_S18_S1A_T6_T7_T9_mT8_S1C_bDpT10_ENKUlT_T0_E_clISt17integral_constantIbLb1EES1P_EEDaS1K_S1L_EUlS1K_E_NS1_11comp_targetILNS1_3genE2ELNS1_11target_archE906ELNS1_3gpuE6ELNS1_3repE0EEENS1_30default_config_static_selectorELNS0_4arch9wavefront6targetE1EEEvSY_
    .private_segment_fixed_size: 0
    .sgpr_count:     4
    .sgpr_spill_count: 0
    .symbol:         _ZN7rocprim17ROCPRIM_400000_NS6detail17trampoline_kernelINS0_13select_configILj256ELj13ELNS0_17block_load_methodE3ELS4_3ELS4_3ELNS0_20block_scan_algorithmE0ELj4294967295EEENS1_25partition_config_selectorILNS1_17partition_subalgoE3EjNS0_10empty_typeEbEEZZNS1_14partition_implILS8_3ELb0ES6_jNS0_17counting_iteratorIjlEEPS9_SE_NS0_5tupleIJPjSE_EEENSF_IJSE_SE_EEES9_SG_JZNS1_25segmented_radix_sort_implINS0_14default_configELb0EPKsPsPKlPlN2at6native12_GLOBAL__N_18offset_tEEE10hipError_tPvRmT1_PNSt15iterator_traitsISY_E10value_typeET2_T3_PNSZ_IS14_E10value_typeET4_jRbjT5_S1A_jjP12ihipStream_tbEUljE_EEESV_SW_SX_S14_S18_S1A_T6_T7_T9_mT8_S1C_bDpT10_ENKUlT_T0_E_clISt17integral_constantIbLb1EES1P_EEDaS1K_S1L_EUlS1K_E_NS1_11comp_targetILNS1_3genE2ELNS1_11target_archE906ELNS1_3gpuE6ELNS1_3repE0EEENS1_30default_config_static_selectorELNS0_4arch9wavefront6targetE1EEEvSY_.kd
    .uniform_work_group_size: 1
    .uses_dynamic_stack: false
    .vgpr_count:     0
    .vgpr_spill_count: 0
    .wavefront_size: 64
  - .agpr_count:     0
    .args:
      - .offset:         0
        .size:           152
        .value_kind:     by_value
    .group_segment_fixed_size: 0
    .kernarg_segment_align: 8
    .kernarg_segment_size: 152
    .language:       OpenCL C
    .language_version:
      - 2
      - 0
    .max_flat_workgroup_size: 256
    .name:           _ZN7rocprim17ROCPRIM_400000_NS6detail17trampoline_kernelINS0_13select_configILj256ELj13ELNS0_17block_load_methodE3ELS4_3ELS4_3ELNS0_20block_scan_algorithmE0ELj4294967295EEENS1_25partition_config_selectorILNS1_17partition_subalgoE3EjNS0_10empty_typeEbEEZZNS1_14partition_implILS8_3ELb0ES6_jNS0_17counting_iteratorIjlEEPS9_SE_NS0_5tupleIJPjSE_EEENSF_IJSE_SE_EEES9_SG_JZNS1_25segmented_radix_sort_implINS0_14default_configELb0EPKsPsPKlPlN2at6native12_GLOBAL__N_18offset_tEEE10hipError_tPvRmT1_PNSt15iterator_traitsISY_E10value_typeET2_T3_PNSZ_IS14_E10value_typeET4_jRbjT5_S1A_jjP12ihipStream_tbEUljE_EEESV_SW_SX_S14_S18_S1A_T6_T7_T9_mT8_S1C_bDpT10_ENKUlT_T0_E_clISt17integral_constantIbLb1EES1P_EEDaS1K_S1L_EUlS1K_E_NS1_11comp_targetILNS1_3genE10ELNS1_11target_archE1200ELNS1_3gpuE4ELNS1_3repE0EEENS1_30default_config_static_selectorELNS0_4arch9wavefront6targetE1EEEvSY_
    .private_segment_fixed_size: 0
    .sgpr_count:     4
    .sgpr_spill_count: 0
    .symbol:         _ZN7rocprim17ROCPRIM_400000_NS6detail17trampoline_kernelINS0_13select_configILj256ELj13ELNS0_17block_load_methodE3ELS4_3ELS4_3ELNS0_20block_scan_algorithmE0ELj4294967295EEENS1_25partition_config_selectorILNS1_17partition_subalgoE3EjNS0_10empty_typeEbEEZZNS1_14partition_implILS8_3ELb0ES6_jNS0_17counting_iteratorIjlEEPS9_SE_NS0_5tupleIJPjSE_EEENSF_IJSE_SE_EEES9_SG_JZNS1_25segmented_radix_sort_implINS0_14default_configELb0EPKsPsPKlPlN2at6native12_GLOBAL__N_18offset_tEEE10hipError_tPvRmT1_PNSt15iterator_traitsISY_E10value_typeET2_T3_PNSZ_IS14_E10value_typeET4_jRbjT5_S1A_jjP12ihipStream_tbEUljE_EEESV_SW_SX_S14_S18_S1A_T6_T7_T9_mT8_S1C_bDpT10_ENKUlT_T0_E_clISt17integral_constantIbLb1EES1P_EEDaS1K_S1L_EUlS1K_E_NS1_11comp_targetILNS1_3genE10ELNS1_11target_archE1200ELNS1_3gpuE4ELNS1_3repE0EEENS1_30default_config_static_selectorELNS0_4arch9wavefront6targetE1EEEvSY_.kd
    .uniform_work_group_size: 1
    .uses_dynamic_stack: false
    .vgpr_count:     0
    .vgpr_spill_count: 0
    .wavefront_size: 64
  - .agpr_count:     0
    .args:
      - .offset:         0
        .size:           152
        .value_kind:     by_value
    .group_segment_fixed_size: 0
    .kernarg_segment_align: 8
    .kernarg_segment_size: 152
    .language:       OpenCL C
    .language_version:
      - 2
      - 0
    .max_flat_workgroup_size: 256
    .name:           _ZN7rocprim17ROCPRIM_400000_NS6detail17trampoline_kernelINS0_13select_configILj256ELj13ELNS0_17block_load_methodE3ELS4_3ELS4_3ELNS0_20block_scan_algorithmE0ELj4294967295EEENS1_25partition_config_selectorILNS1_17partition_subalgoE3EjNS0_10empty_typeEbEEZZNS1_14partition_implILS8_3ELb0ES6_jNS0_17counting_iteratorIjlEEPS9_SE_NS0_5tupleIJPjSE_EEENSF_IJSE_SE_EEES9_SG_JZNS1_25segmented_radix_sort_implINS0_14default_configELb0EPKsPsPKlPlN2at6native12_GLOBAL__N_18offset_tEEE10hipError_tPvRmT1_PNSt15iterator_traitsISY_E10value_typeET2_T3_PNSZ_IS14_E10value_typeET4_jRbjT5_S1A_jjP12ihipStream_tbEUljE_EEESV_SW_SX_S14_S18_S1A_T6_T7_T9_mT8_S1C_bDpT10_ENKUlT_T0_E_clISt17integral_constantIbLb1EES1P_EEDaS1K_S1L_EUlS1K_E_NS1_11comp_targetILNS1_3genE9ELNS1_11target_archE1100ELNS1_3gpuE3ELNS1_3repE0EEENS1_30default_config_static_selectorELNS0_4arch9wavefront6targetE1EEEvSY_
    .private_segment_fixed_size: 0
    .sgpr_count:     4
    .sgpr_spill_count: 0
    .symbol:         _ZN7rocprim17ROCPRIM_400000_NS6detail17trampoline_kernelINS0_13select_configILj256ELj13ELNS0_17block_load_methodE3ELS4_3ELS4_3ELNS0_20block_scan_algorithmE0ELj4294967295EEENS1_25partition_config_selectorILNS1_17partition_subalgoE3EjNS0_10empty_typeEbEEZZNS1_14partition_implILS8_3ELb0ES6_jNS0_17counting_iteratorIjlEEPS9_SE_NS0_5tupleIJPjSE_EEENSF_IJSE_SE_EEES9_SG_JZNS1_25segmented_radix_sort_implINS0_14default_configELb0EPKsPsPKlPlN2at6native12_GLOBAL__N_18offset_tEEE10hipError_tPvRmT1_PNSt15iterator_traitsISY_E10value_typeET2_T3_PNSZ_IS14_E10value_typeET4_jRbjT5_S1A_jjP12ihipStream_tbEUljE_EEESV_SW_SX_S14_S18_S1A_T6_T7_T9_mT8_S1C_bDpT10_ENKUlT_T0_E_clISt17integral_constantIbLb1EES1P_EEDaS1K_S1L_EUlS1K_E_NS1_11comp_targetILNS1_3genE9ELNS1_11target_archE1100ELNS1_3gpuE3ELNS1_3repE0EEENS1_30default_config_static_selectorELNS0_4arch9wavefront6targetE1EEEvSY_.kd
    .uniform_work_group_size: 1
    .uses_dynamic_stack: false
    .vgpr_count:     0
    .vgpr_spill_count: 0
    .wavefront_size: 64
  - .agpr_count:     0
    .args:
      - .offset:         0
        .size:           152
        .value_kind:     by_value
    .group_segment_fixed_size: 0
    .kernarg_segment_align: 8
    .kernarg_segment_size: 152
    .language:       OpenCL C
    .language_version:
      - 2
      - 0
    .max_flat_workgroup_size: 256
    .name:           _ZN7rocprim17ROCPRIM_400000_NS6detail17trampoline_kernelINS0_13select_configILj256ELj13ELNS0_17block_load_methodE3ELS4_3ELS4_3ELNS0_20block_scan_algorithmE0ELj4294967295EEENS1_25partition_config_selectorILNS1_17partition_subalgoE3EjNS0_10empty_typeEbEEZZNS1_14partition_implILS8_3ELb0ES6_jNS0_17counting_iteratorIjlEEPS9_SE_NS0_5tupleIJPjSE_EEENSF_IJSE_SE_EEES9_SG_JZNS1_25segmented_radix_sort_implINS0_14default_configELb0EPKsPsPKlPlN2at6native12_GLOBAL__N_18offset_tEEE10hipError_tPvRmT1_PNSt15iterator_traitsISY_E10value_typeET2_T3_PNSZ_IS14_E10value_typeET4_jRbjT5_S1A_jjP12ihipStream_tbEUljE_EEESV_SW_SX_S14_S18_S1A_T6_T7_T9_mT8_S1C_bDpT10_ENKUlT_T0_E_clISt17integral_constantIbLb1EES1P_EEDaS1K_S1L_EUlS1K_E_NS1_11comp_targetILNS1_3genE8ELNS1_11target_archE1030ELNS1_3gpuE2ELNS1_3repE0EEENS1_30default_config_static_selectorELNS0_4arch9wavefront6targetE1EEEvSY_
    .private_segment_fixed_size: 0
    .sgpr_count:     4
    .sgpr_spill_count: 0
    .symbol:         _ZN7rocprim17ROCPRIM_400000_NS6detail17trampoline_kernelINS0_13select_configILj256ELj13ELNS0_17block_load_methodE3ELS4_3ELS4_3ELNS0_20block_scan_algorithmE0ELj4294967295EEENS1_25partition_config_selectorILNS1_17partition_subalgoE3EjNS0_10empty_typeEbEEZZNS1_14partition_implILS8_3ELb0ES6_jNS0_17counting_iteratorIjlEEPS9_SE_NS0_5tupleIJPjSE_EEENSF_IJSE_SE_EEES9_SG_JZNS1_25segmented_radix_sort_implINS0_14default_configELb0EPKsPsPKlPlN2at6native12_GLOBAL__N_18offset_tEEE10hipError_tPvRmT1_PNSt15iterator_traitsISY_E10value_typeET2_T3_PNSZ_IS14_E10value_typeET4_jRbjT5_S1A_jjP12ihipStream_tbEUljE_EEESV_SW_SX_S14_S18_S1A_T6_T7_T9_mT8_S1C_bDpT10_ENKUlT_T0_E_clISt17integral_constantIbLb1EES1P_EEDaS1K_S1L_EUlS1K_E_NS1_11comp_targetILNS1_3genE8ELNS1_11target_archE1030ELNS1_3gpuE2ELNS1_3repE0EEENS1_30default_config_static_selectorELNS0_4arch9wavefront6targetE1EEEvSY_.kd
    .uniform_work_group_size: 1
    .uses_dynamic_stack: false
    .vgpr_count:     0
    .vgpr_spill_count: 0
    .wavefront_size: 64
  - .agpr_count:     0
    .args:
      - .offset:         0
        .size:           144
        .value_kind:     by_value
    .group_segment_fixed_size: 0
    .kernarg_segment_align: 8
    .kernarg_segment_size: 144
    .language:       OpenCL C
    .language_version:
      - 2
      - 0
    .max_flat_workgroup_size: 256
    .name:           _ZN7rocprim17ROCPRIM_400000_NS6detail17trampoline_kernelINS0_13select_configILj256ELj13ELNS0_17block_load_methodE3ELS4_3ELS4_3ELNS0_20block_scan_algorithmE0ELj4294967295EEENS1_25partition_config_selectorILNS1_17partition_subalgoE3EjNS0_10empty_typeEbEEZZNS1_14partition_implILS8_3ELb0ES6_jNS0_17counting_iteratorIjlEEPS9_SE_NS0_5tupleIJPjSE_EEENSF_IJSE_SE_EEES9_SG_JZNS1_25segmented_radix_sort_implINS0_14default_configELb0EPKsPsPKlPlN2at6native12_GLOBAL__N_18offset_tEEE10hipError_tPvRmT1_PNSt15iterator_traitsISY_E10value_typeET2_T3_PNSZ_IS14_E10value_typeET4_jRbjT5_S1A_jjP12ihipStream_tbEUljE_EEESV_SW_SX_S14_S18_S1A_T6_T7_T9_mT8_S1C_bDpT10_ENKUlT_T0_E_clISt17integral_constantIbLb1EES1O_IbLb0EEEEDaS1K_S1L_EUlS1K_E_NS1_11comp_targetILNS1_3genE0ELNS1_11target_archE4294967295ELNS1_3gpuE0ELNS1_3repE0EEENS1_30default_config_static_selectorELNS0_4arch9wavefront6targetE1EEEvSY_
    .private_segment_fixed_size: 0
    .sgpr_count:     4
    .sgpr_spill_count: 0
    .symbol:         _ZN7rocprim17ROCPRIM_400000_NS6detail17trampoline_kernelINS0_13select_configILj256ELj13ELNS0_17block_load_methodE3ELS4_3ELS4_3ELNS0_20block_scan_algorithmE0ELj4294967295EEENS1_25partition_config_selectorILNS1_17partition_subalgoE3EjNS0_10empty_typeEbEEZZNS1_14partition_implILS8_3ELb0ES6_jNS0_17counting_iteratorIjlEEPS9_SE_NS0_5tupleIJPjSE_EEENSF_IJSE_SE_EEES9_SG_JZNS1_25segmented_radix_sort_implINS0_14default_configELb0EPKsPsPKlPlN2at6native12_GLOBAL__N_18offset_tEEE10hipError_tPvRmT1_PNSt15iterator_traitsISY_E10value_typeET2_T3_PNSZ_IS14_E10value_typeET4_jRbjT5_S1A_jjP12ihipStream_tbEUljE_EEESV_SW_SX_S14_S18_S1A_T6_T7_T9_mT8_S1C_bDpT10_ENKUlT_T0_E_clISt17integral_constantIbLb1EES1O_IbLb0EEEEDaS1K_S1L_EUlS1K_E_NS1_11comp_targetILNS1_3genE0ELNS1_11target_archE4294967295ELNS1_3gpuE0ELNS1_3repE0EEENS1_30default_config_static_selectorELNS0_4arch9wavefront6targetE1EEEvSY_.kd
    .uniform_work_group_size: 1
    .uses_dynamic_stack: false
    .vgpr_count:     0
    .vgpr_spill_count: 0
    .wavefront_size: 64
  - .agpr_count:     0
    .args:
      - .offset:         0
        .size:           144
        .value_kind:     by_value
    .group_segment_fixed_size: 0
    .kernarg_segment_align: 8
    .kernarg_segment_size: 144
    .language:       OpenCL C
    .language_version:
      - 2
      - 0
    .max_flat_workgroup_size: 256
    .name:           _ZN7rocprim17ROCPRIM_400000_NS6detail17trampoline_kernelINS0_13select_configILj256ELj13ELNS0_17block_load_methodE3ELS4_3ELS4_3ELNS0_20block_scan_algorithmE0ELj4294967295EEENS1_25partition_config_selectorILNS1_17partition_subalgoE3EjNS0_10empty_typeEbEEZZNS1_14partition_implILS8_3ELb0ES6_jNS0_17counting_iteratorIjlEEPS9_SE_NS0_5tupleIJPjSE_EEENSF_IJSE_SE_EEES9_SG_JZNS1_25segmented_radix_sort_implINS0_14default_configELb0EPKsPsPKlPlN2at6native12_GLOBAL__N_18offset_tEEE10hipError_tPvRmT1_PNSt15iterator_traitsISY_E10value_typeET2_T3_PNSZ_IS14_E10value_typeET4_jRbjT5_S1A_jjP12ihipStream_tbEUljE_EEESV_SW_SX_S14_S18_S1A_T6_T7_T9_mT8_S1C_bDpT10_ENKUlT_T0_E_clISt17integral_constantIbLb1EES1O_IbLb0EEEEDaS1K_S1L_EUlS1K_E_NS1_11comp_targetILNS1_3genE5ELNS1_11target_archE942ELNS1_3gpuE9ELNS1_3repE0EEENS1_30default_config_static_selectorELNS0_4arch9wavefront6targetE1EEEvSY_
    .private_segment_fixed_size: 0
    .sgpr_count:     4
    .sgpr_spill_count: 0
    .symbol:         _ZN7rocprim17ROCPRIM_400000_NS6detail17trampoline_kernelINS0_13select_configILj256ELj13ELNS0_17block_load_methodE3ELS4_3ELS4_3ELNS0_20block_scan_algorithmE0ELj4294967295EEENS1_25partition_config_selectorILNS1_17partition_subalgoE3EjNS0_10empty_typeEbEEZZNS1_14partition_implILS8_3ELb0ES6_jNS0_17counting_iteratorIjlEEPS9_SE_NS0_5tupleIJPjSE_EEENSF_IJSE_SE_EEES9_SG_JZNS1_25segmented_radix_sort_implINS0_14default_configELb0EPKsPsPKlPlN2at6native12_GLOBAL__N_18offset_tEEE10hipError_tPvRmT1_PNSt15iterator_traitsISY_E10value_typeET2_T3_PNSZ_IS14_E10value_typeET4_jRbjT5_S1A_jjP12ihipStream_tbEUljE_EEESV_SW_SX_S14_S18_S1A_T6_T7_T9_mT8_S1C_bDpT10_ENKUlT_T0_E_clISt17integral_constantIbLb1EES1O_IbLb0EEEEDaS1K_S1L_EUlS1K_E_NS1_11comp_targetILNS1_3genE5ELNS1_11target_archE942ELNS1_3gpuE9ELNS1_3repE0EEENS1_30default_config_static_selectorELNS0_4arch9wavefront6targetE1EEEvSY_.kd
    .uniform_work_group_size: 1
    .uses_dynamic_stack: false
    .vgpr_count:     0
    .vgpr_spill_count: 0
    .wavefront_size: 64
  - .agpr_count:     0
    .args:
      - .offset:         0
        .size:           144
        .value_kind:     by_value
    .group_segment_fixed_size: 13324
    .kernarg_segment_align: 8
    .kernarg_segment_size: 144
    .language:       OpenCL C
    .language_version:
      - 2
      - 0
    .max_flat_workgroup_size: 256
    .name:           _ZN7rocprim17ROCPRIM_400000_NS6detail17trampoline_kernelINS0_13select_configILj256ELj13ELNS0_17block_load_methodE3ELS4_3ELS4_3ELNS0_20block_scan_algorithmE0ELj4294967295EEENS1_25partition_config_selectorILNS1_17partition_subalgoE3EjNS0_10empty_typeEbEEZZNS1_14partition_implILS8_3ELb0ES6_jNS0_17counting_iteratorIjlEEPS9_SE_NS0_5tupleIJPjSE_EEENSF_IJSE_SE_EEES9_SG_JZNS1_25segmented_radix_sort_implINS0_14default_configELb0EPKsPsPKlPlN2at6native12_GLOBAL__N_18offset_tEEE10hipError_tPvRmT1_PNSt15iterator_traitsISY_E10value_typeET2_T3_PNSZ_IS14_E10value_typeET4_jRbjT5_S1A_jjP12ihipStream_tbEUljE_EEESV_SW_SX_S14_S18_S1A_T6_T7_T9_mT8_S1C_bDpT10_ENKUlT_T0_E_clISt17integral_constantIbLb1EES1O_IbLb0EEEEDaS1K_S1L_EUlS1K_E_NS1_11comp_targetILNS1_3genE4ELNS1_11target_archE910ELNS1_3gpuE8ELNS1_3repE0EEENS1_30default_config_static_selectorELNS0_4arch9wavefront6targetE1EEEvSY_
    .private_segment_fixed_size: 0
    .sgpr_count:     50
    .sgpr_spill_count: 0
    .symbol:         _ZN7rocprim17ROCPRIM_400000_NS6detail17trampoline_kernelINS0_13select_configILj256ELj13ELNS0_17block_load_methodE3ELS4_3ELS4_3ELNS0_20block_scan_algorithmE0ELj4294967295EEENS1_25partition_config_selectorILNS1_17partition_subalgoE3EjNS0_10empty_typeEbEEZZNS1_14partition_implILS8_3ELb0ES6_jNS0_17counting_iteratorIjlEEPS9_SE_NS0_5tupleIJPjSE_EEENSF_IJSE_SE_EEES9_SG_JZNS1_25segmented_radix_sort_implINS0_14default_configELb0EPKsPsPKlPlN2at6native12_GLOBAL__N_18offset_tEEE10hipError_tPvRmT1_PNSt15iterator_traitsISY_E10value_typeET2_T3_PNSZ_IS14_E10value_typeET4_jRbjT5_S1A_jjP12ihipStream_tbEUljE_EEESV_SW_SX_S14_S18_S1A_T6_T7_T9_mT8_S1C_bDpT10_ENKUlT_T0_E_clISt17integral_constantIbLb1EES1O_IbLb0EEEEDaS1K_S1L_EUlS1K_E_NS1_11comp_targetILNS1_3genE4ELNS1_11target_archE910ELNS1_3gpuE8ELNS1_3repE0EEENS1_30default_config_static_selectorELNS0_4arch9wavefront6targetE1EEEvSY_.kd
    .uniform_work_group_size: 1
    .uses_dynamic_stack: false
    .vgpr_count:     61
    .vgpr_spill_count: 0
    .wavefront_size: 64
  - .agpr_count:     0
    .args:
      - .offset:         0
        .size:           144
        .value_kind:     by_value
    .group_segment_fixed_size: 0
    .kernarg_segment_align: 8
    .kernarg_segment_size: 144
    .language:       OpenCL C
    .language_version:
      - 2
      - 0
    .max_flat_workgroup_size: 256
    .name:           _ZN7rocprim17ROCPRIM_400000_NS6detail17trampoline_kernelINS0_13select_configILj256ELj13ELNS0_17block_load_methodE3ELS4_3ELS4_3ELNS0_20block_scan_algorithmE0ELj4294967295EEENS1_25partition_config_selectorILNS1_17partition_subalgoE3EjNS0_10empty_typeEbEEZZNS1_14partition_implILS8_3ELb0ES6_jNS0_17counting_iteratorIjlEEPS9_SE_NS0_5tupleIJPjSE_EEENSF_IJSE_SE_EEES9_SG_JZNS1_25segmented_radix_sort_implINS0_14default_configELb0EPKsPsPKlPlN2at6native12_GLOBAL__N_18offset_tEEE10hipError_tPvRmT1_PNSt15iterator_traitsISY_E10value_typeET2_T3_PNSZ_IS14_E10value_typeET4_jRbjT5_S1A_jjP12ihipStream_tbEUljE_EEESV_SW_SX_S14_S18_S1A_T6_T7_T9_mT8_S1C_bDpT10_ENKUlT_T0_E_clISt17integral_constantIbLb1EES1O_IbLb0EEEEDaS1K_S1L_EUlS1K_E_NS1_11comp_targetILNS1_3genE3ELNS1_11target_archE908ELNS1_3gpuE7ELNS1_3repE0EEENS1_30default_config_static_selectorELNS0_4arch9wavefront6targetE1EEEvSY_
    .private_segment_fixed_size: 0
    .sgpr_count:     4
    .sgpr_spill_count: 0
    .symbol:         _ZN7rocprim17ROCPRIM_400000_NS6detail17trampoline_kernelINS0_13select_configILj256ELj13ELNS0_17block_load_methodE3ELS4_3ELS4_3ELNS0_20block_scan_algorithmE0ELj4294967295EEENS1_25partition_config_selectorILNS1_17partition_subalgoE3EjNS0_10empty_typeEbEEZZNS1_14partition_implILS8_3ELb0ES6_jNS0_17counting_iteratorIjlEEPS9_SE_NS0_5tupleIJPjSE_EEENSF_IJSE_SE_EEES9_SG_JZNS1_25segmented_radix_sort_implINS0_14default_configELb0EPKsPsPKlPlN2at6native12_GLOBAL__N_18offset_tEEE10hipError_tPvRmT1_PNSt15iterator_traitsISY_E10value_typeET2_T3_PNSZ_IS14_E10value_typeET4_jRbjT5_S1A_jjP12ihipStream_tbEUljE_EEESV_SW_SX_S14_S18_S1A_T6_T7_T9_mT8_S1C_bDpT10_ENKUlT_T0_E_clISt17integral_constantIbLb1EES1O_IbLb0EEEEDaS1K_S1L_EUlS1K_E_NS1_11comp_targetILNS1_3genE3ELNS1_11target_archE908ELNS1_3gpuE7ELNS1_3repE0EEENS1_30default_config_static_selectorELNS0_4arch9wavefront6targetE1EEEvSY_.kd
    .uniform_work_group_size: 1
    .uses_dynamic_stack: false
    .vgpr_count:     0
    .vgpr_spill_count: 0
    .wavefront_size: 64
  - .agpr_count:     0
    .args:
      - .offset:         0
        .size:           144
        .value_kind:     by_value
    .group_segment_fixed_size: 0
    .kernarg_segment_align: 8
    .kernarg_segment_size: 144
    .language:       OpenCL C
    .language_version:
      - 2
      - 0
    .max_flat_workgroup_size: 256
    .name:           _ZN7rocprim17ROCPRIM_400000_NS6detail17trampoline_kernelINS0_13select_configILj256ELj13ELNS0_17block_load_methodE3ELS4_3ELS4_3ELNS0_20block_scan_algorithmE0ELj4294967295EEENS1_25partition_config_selectorILNS1_17partition_subalgoE3EjNS0_10empty_typeEbEEZZNS1_14partition_implILS8_3ELb0ES6_jNS0_17counting_iteratorIjlEEPS9_SE_NS0_5tupleIJPjSE_EEENSF_IJSE_SE_EEES9_SG_JZNS1_25segmented_radix_sort_implINS0_14default_configELb0EPKsPsPKlPlN2at6native12_GLOBAL__N_18offset_tEEE10hipError_tPvRmT1_PNSt15iterator_traitsISY_E10value_typeET2_T3_PNSZ_IS14_E10value_typeET4_jRbjT5_S1A_jjP12ihipStream_tbEUljE_EEESV_SW_SX_S14_S18_S1A_T6_T7_T9_mT8_S1C_bDpT10_ENKUlT_T0_E_clISt17integral_constantIbLb1EES1O_IbLb0EEEEDaS1K_S1L_EUlS1K_E_NS1_11comp_targetILNS1_3genE2ELNS1_11target_archE906ELNS1_3gpuE6ELNS1_3repE0EEENS1_30default_config_static_selectorELNS0_4arch9wavefront6targetE1EEEvSY_
    .private_segment_fixed_size: 0
    .sgpr_count:     4
    .sgpr_spill_count: 0
    .symbol:         _ZN7rocprim17ROCPRIM_400000_NS6detail17trampoline_kernelINS0_13select_configILj256ELj13ELNS0_17block_load_methodE3ELS4_3ELS4_3ELNS0_20block_scan_algorithmE0ELj4294967295EEENS1_25partition_config_selectorILNS1_17partition_subalgoE3EjNS0_10empty_typeEbEEZZNS1_14partition_implILS8_3ELb0ES6_jNS0_17counting_iteratorIjlEEPS9_SE_NS0_5tupleIJPjSE_EEENSF_IJSE_SE_EEES9_SG_JZNS1_25segmented_radix_sort_implINS0_14default_configELb0EPKsPsPKlPlN2at6native12_GLOBAL__N_18offset_tEEE10hipError_tPvRmT1_PNSt15iterator_traitsISY_E10value_typeET2_T3_PNSZ_IS14_E10value_typeET4_jRbjT5_S1A_jjP12ihipStream_tbEUljE_EEESV_SW_SX_S14_S18_S1A_T6_T7_T9_mT8_S1C_bDpT10_ENKUlT_T0_E_clISt17integral_constantIbLb1EES1O_IbLb0EEEEDaS1K_S1L_EUlS1K_E_NS1_11comp_targetILNS1_3genE2ELNS1_11target_archE906ELNS1_3gpuE6ELNS1_3repE0EEENS1_30default_config_static_selectorELNS0_4arch9wavefront6targetE1EEEvSY_.kd
    .uniform_work_group_size: 1
    .uses_dynamic_stack: false
    .vgpr_count:     0
    .vgpr_spill_count: 0
    .wavefront_size: 64
  - .agpr_count:     0
    .args:
      - .offset:         0
        .size:           144
        .value_kind:     by_value
    .group_segment_fixed_size: 0
    .kernarg_segment_align: 8
    .kernarg_segment_size: 144
    .language:       OpenCL C
    .language_version:
      - 2
      - 0
    .max_flat_workgroup_size: 256
    .name:           _ZN7rocprim17ROCPRIM_400000_NS6detail17trampoline_kernelINS0_13select_configILj256ELj13ELNS0_17block_load_methodE3ELS4_3ELS4_3ELNS0_20block_scan_algorithmE0ELj4294967295EEENS1_25partition_config_selectorILNS1_17partition_subalgoE3EjNS0_10empty_typeEbEEZZNS1_14partition_implILS8_3ELb0ES6_jNS0_17counting_iteratorIjlEEPS9_SE_NS0_5tupleIJPjSE_EEENSF_IJSE_SE_EEES9_SG_JZNS1_25segmented_radix_sort_implINS0_14default_configELb0EPKsPsPKlPlN2at6native12_GLOBAL__N_18offset_tEEE10hipError_tPvRmT1_PNSt15iterator_traitsISY_E10value_typeET2_T3_PNSZ_IS14_E10value_typeET4_jRbjT5_S1A_jjP12ihipStream_tbEUljE_EEESV_SW_SX_S14_S18_S1A_T6_T7_T9_mT8_S1C_bDpT10_ENKUlT_T0_E_clISt17integral_constantIbLb1EES1O_IbLb0EEEEDaS1K_S1L_EUlS1K_E_NS1_11comp_targetILNS1_3genE10ELNS1_11target_archE1200ELNS1_3gpuE4ELNS1_3repE0EEENS1_30default_config_static_selectorELNS0_4arch9wavefront6targetE1EEEvSY_
    .private_segment_fixed_size: 0
    .sgpr_count:     4
    .sgpr_spill_count: 0
    .symbol:         _ZN7rocprim17ROCPRIM_400000_NS6detail17trampoline_kernelINS0_13select_configILj256ELj13ELNS0_17block_load_methodE3ELS4_3ELS4_3ELNS0_20block_scan_algorithmE0ELj4294967295EEENS1_25partition_config_selectorILNS1_17partition_subalgoE3EjNS0_10empty_typeEbEEZZNS1_14partition_implILS8_3ELb0ES6_jNS0_17counting_iteratorIjlEEPS9_SE_NS0_5tupleIJPjSE_EEENSF_IJSE_SE_EEES9_SG_JZNS1_25segmented_radix_sort_implINS0_14default_configELb0EPKsPsPKlPlN2at6native12_GLOBAL__N_18offset_tEEE10hipError_tPvRmT1_PNSt15iterator_traitsISY_E10value_typeET2_T3_PNSZ_IS14_E10value_typeET4_jRbjT5_S1A_jjP12ihipStream_tbEUljE_EEESV_SW_SX_S14_S18_S1A_T6_T7_T9_mT8_S1C_bDpT10_ENKUlT_T0_E_clISt17integral_constantIbLb1EES1O_IbLb0EEEEDaS1K_S1L_EUlS1K_E_NS1_11comp_targetILNS1_3genE10ELNS1_11target_archE1200ELNS1_3gpuE4ELNS1_3repE0EEENS1_30default_config_static_selectorELNS0_4arch9wavefront6targetE1EEEvSY_.kd
    .uniform_work_group_size: 1
    .uses_dynamic_stack: false
    .vgpr_count:     0
    .vgpr_spill_count: 0
    .wavefront_size: 64
  - .agpr_count:     0
    .args:
      - .offset:         0
        .size:           144
        .value_kind:     by_value
    .group_segment_fixed_size: 0
    .kernarg_segment_align: 8
    .kernarg_segment_size: 144
    .language:       OpenCL C
    .language_version:
      - 2
      - 0
    .max_flat_workgroup_size: 256
    .name:           _ZN7rocprim17ROCPRIM_400000_NS6detail17trampoline_kernelINS0_13select_configILj256ELj13ELNS0_17block_load_methodE3ELS4_3ELS4_3ELNS0_20block_scan_algorithmE0ELj4294967295EEENS1_25partition_config_selectorILNS1_17partition_subalgoE3EjNS0_10empty_typeEbEEZZNS1_14partition_implILS8_3ELb0ES6_jNS0_17counting_iteratorIjlEEPS9_SE_NS0_5tupleIJPjSE_EEENSF_IJSE_SE_EEES9_SG_JZNS1_25segmented_radix_sort_implINS0_14default_configELb0EPKsPsPKlPlN2at6native12_GLOBAL__N_18offset_tEEE10hipError_tPvRmT1_PNSt15iterator_traitsISY_E10value_typeET2_T3_PNSZ_IS14_E10value_typeET4_jRbjT5_S1A_jjP12ihipStream_tbEUljE_EEESV_SW_SX_S14_S18_S1A_T6_T7_T9_mT8_S1C_bDpT10_ENKUlT_T0_E_clISt17integral_constantIbLb1EES1O_IbLb0EEEEDaS1K_S1L_EUlS1K_E_NS1_11comp_targetILNS1_3genE9ELNS1_11target_archE1100ELNS1_3gpuE3ELNS1_3repE0EEENS1_30default_config_static_selectorELNS0_4arch9wavefront6targetE1EEEvSY_
    .private_segment_fixed_size: 0
    .sgpr_count:     4
    .sgpr_spill_count: 0
    .symbol:         _ZN7rocprim17ROCPRIM_400000_NS6detail17trampoline_kernelINS0_13select_configILj256ELj13ELNS0_17block_load_methodE3ELS4_3ELS4_3ELNS0_20block_scan_algorithmE0ELj4294967295EEENS1_25partition_config_selectorILNS1_17partition_subalgoE3EjNS0_10empty_typeEbEEZZNS1_14partition_implILS8_3ELb0ES6_jNS0_17counting_iteratorIjlEEPS9_SE_NS0_5tupleIJPjSE_EEENSF_IJSE_SE_EEES9_SG_JZNS1_25segmented_radix_sort_implINS0_14default_configELb0EPKsPsPKlPlN2at6native12_GLOBAL__N_18offset_tEEE10hipError_tPvRmT1_PNSt15iterator_traitsISY_E10value_typeET2_T3_PNSZ_IS14_E10value_typeET4_jRbjT5_S1A_jjP12ihipStream_tbEUljE_EEESV_SW_SX_S14_S18_S1A_T6_T7_T9_mT8_S1C_bDpT10_ENKUlT_T0_E_clISt17integral_constantIbLb1EES1O_IbLb0EEEEDaS1K_S1L_EUlS1K_E_NS1_11comp_targetILNS1_3genE9ELNS1_11target_archE1100ELNS1_3gpuE3ELNS1_3repE0EEENS1_30default_config_static_selectorELNS0_4arch9wavefront6targetE1EEEvSY_.kd
    .uniform_work_group_size: 1
    .uses_dynamic_stack: false
    .vgpr_count:     0
    .vgpr_spill_count: 0
    .wavefront_size: 64
  - .agpr_count:     0
    .args:
      - .offset:         0
        .size:           144
        .value_kind:     by_value
    .group_segment_fixed_size: 0
    .kernarg_segment_align: 8
    .kernarg_segment_size: 144
    .language:       OpenCL C
    .language_version:
      - 2
      - 0
    .max_flat_workgroup_size: 256
    .name:           _ZN7rocprim17ROCPRIM_400000_NS6detail17trampoline_kernelINS0_13select_configILj256ELj13ELNS0_17block_load_methodE3ELS4_3ELS4_3ELNS0_20block_scan_algorithmE0ELj4294967295EEENS1_25partition_config_selectorILNS1_17partition_subalgoE3EjNS0_10empty_typeEbEEZZNS1_14partition_implILS8_3ELb0ES6_jNS0_17counting_iteratorIjlEEPS9_SE_NS0_5tupleIJPjSE_EEENSF_IJSE_SE_EEES9_SG_JZNS1_25segmented_radix_sort_implINS0_14default_configELb0EPKsPsPKlPlN2at6native12_GLOBAL__N_18offset_tEEE10hipError_tPvRmT1_PNSt15iterator_traitsISY_E10value_typeET2_T3_PNSZ_IS14_E10value_typeET4_jRbjT5_S1A_jjP12ihipStream_tbEUljE_EEESV_SW_SX_S14_S18_S1A_T6_T7_T9_mT8_S1C_bDpT10_ENKUlT_T0_E_clISt17integral_constantIbLb1EES1O_IbLb0EEEEDaS1K_S1L_EUlS1K_E_NS1_11comp_targetILNS1_3genE8ELNS1_11target_archE1030ELNS1_3gpuE2ELNS1_3repE0EEENS1_30default_config_static_selectorELNS0_4arch9wavefront6targetE1EEEvSY_
    .private_segment_fixed_size: 0
    .sgpr_count:     4
    .sgpr_spill_count: 0
    .symbol:         _ZN7rocprim17ROCPRIM_400000_NS6detail17trampoline_kernelINS0_13select_configILj256ELj13ELNS0_17block_load_methodE3ELS4_3ELS4_3ELNS0_20block_scan_algorithmE0ELj4294967295EEENS1_25partition_config_selectorILNS1_17partition_subalgoE3EjNS0_10empty_typeEbEEZZNS1_14partition_implILS8_3ELb0ES6_jNS0_17counting_iteratorIjlEEPS9_SE_NS0_5tupleIJPjSE_EEENSF_IJSE_SE_EEES9_SG_JZNS1_25segmented_radix_sort_implINS0_14default_configELb0EPKsPsPKlPlN2at6native12_GLOBAL__N_18offset_tEEE10hipError_tPvRmT1_PNSt15iterator_traitsISY_E10value_typeET2_T3_PNSZ_IS14_E10value_typeET4_jRbjT5_S1A_jjP12ihipStream_tbEUljE_EEESV_SW_SX_S14_S18_S1A_T6_T7_T9_mT8_S1C_bDpT10_ENKUlT_T0_E_clISt17integral_constantIbLb1EES1O_IbLb0EEEEDaS1K_S1L_EUlS1K_E_NS1_11comp_targetILNS1_3genE8ELNS1_11target_archE1030ELNS1_3gpuE2ELNS1_3repE0EEENS1_30default_config_static_selectorELNS0_4arch9wavefront6targetE1EEEvSY_.kd
    .uniform_work_group_size: 1
    .uses_dynamic_stack: false
    .vgpr_count:     0
    .vgpr_spill_count: 0
    .wavefront_size: 64
  - .agpr_count:     0
    .args:
      - .offset:         0
        .size:           152
        .value_kind:     by_value
    .group_segment_fixed_size: 0
    .kernarg_segment_align: 8
    .kernarg_segment_size: 152
    .language:       OpenCL C
    .language_version:
      - 2
      - 0
    .max_flat_workgroup_size: 256
    .name:           _ZN7rocprim17ROCPRIM_400000_NS6detail17trampoline_kernelINS0_13select_configILj256ELj13ELNS0_17block_load_methodE3ELS4_3ELS4_3ELNS0_20block_scan_algorithmE0ELj4294967295EEENS1_25partition_config_selectorILNS1_17partition_subalgoE3EjNS0_10empty_typeEbEEZZNS1_14partition_implILS8_3ELb0ES6_jNS0_17counting_iteratorIjlEEPS9_SE_NS0_5tupleIJPjSE_EEENSF_IJSE_SE_EEES9_SG_JZNS1_25segmented_radix_sort_implINS0_14default_configELb0EPKsPsPKlPlN2at6native12_GLOBAL__N_18offset_tEEE10hipError_tPvRmT1_PNSt15iterator_traitsISY_E10value_typeET2_T3_PNSZ_IS14_E10value_typeET4_jRbjT5_S1A_jjP12ihipStream_tbEUljE_EEESV_SW_SX_S14_S18_S1A_T6_T7_T9_mT8_S1C_bDpT10_ENKUlT_T0_E_clISt17integral_constantIbLb0EES1O_IbLb1EEEEDaS1K_S1L_EUlS1K_E_NS1_11comp_targetILNS1_3genE0ELNS1_11target_archE4294967295ELNS1_3gpuE0ELNS1_3repE0EEENS1_30default_config_static_selectorELNS0_4arch9wavefront6targetE1EEEvSY_
    .private_segment_fixed_size: 0
    .sgpr_count:     4
    .sgpr_spill_count: 0
    .symbol:         _ZN7rocprim17ROCPRIM_400000_NS6detail17trampoline_kernelINS0_13select_configILj256ELj13ELNS0_17block_load_methodE3ELS4_3ELS4_3ELNS0_20block_scan_algorithmE0ELj4294967295EEENS1_25partition_config_selectorILNS1_17partition_subalgoE3EjNS0_10empty_typeEbEEZZNS1_14partition_implILS8_3ELb0ES6_jNS0_17counting_iteratorIjlEEPS9_SE_NS0_5tupleIJPjSE_EEENSF_IJSE_SE_EEES9_SG_JZNS1_25segmented_radix_sort_implINS0_14default_configELb0EPKsPsPKlPlN2at6native12_GLOBAL__N_18offset_tEEE10hipError_tPvRmT1_PNSt15iterator_traitsISY_E10value_typeET2_T3_PNSZ_IS14_E10value_typeET4_jRbjT5_S1A_jjP12ihipStream_tbEUljE_EEESV_SW_SX_S14_S18_S1A_T6_T7_T9_mT8_S1C_bDpT10_ENKUlT_T0_E_clISt17integral_constantIbLb0EES1O_IbLb1EEEEDaS1K_S1L_EUlS1K_E_NS1_11comp_targetILNS1_3genE0ELNS1_11target_archE4294967295ELNS1_3gpuE0ELNS1_3repE0EEENS1_30default_config_static_selectorELNS0_4arch9wavefront6targetE1EEEvSY_.kd
    .uniform_work_group_size: 1
    .uses_dynamic_stack: false
    .vgpr_count:     0
    .vgpr_spill_count: 0
    .wavefront_size: 64
  - .agpr_count:     0
    .args:
      - .offset:         0
        .size:           152
        .value_kind:     by_value
    .group_segment_fixed_size: 0
    .kernarg_segment_align: 8
    .kernarg_segment_size: 152
    .language:       OpenCL C
    .language_version:
      - 2
      - 0
    .max_flat_workgroup_size: 256
    .name:           _ZN7rocprim17ROCPRIM_400000_NS6detail17trampoline_kernelINS0_13select_configILj256ELj13ELNS0_17block_load_methodE3ELS4_3ELS4_3ELNS0_20block_scan_algorithmE0ELj4294967295EEENS1_25partition_config_selectorILNS1_17partition_subalgoE3EjNS0_10empty_typeEbEEZZNS1_14partition_implILS8_3ELb0ES6_jNS0_17counting_iteratorIjlEEPS9_SE_NS0_5tupleIJPjSE_EEENSF_IJSE_SE_EEES9_SG_JZNS1_25segmented_radix_sort_implINS0_14default_configELb0EPKsPsPKlPlN2at6native12_GLOBAL__N_18offset_tEEE10hipError_tPvRmT1_PNSt15iterator_traitsISY_E10value_typeET2_T3_PNSZ_IS14_E10value_typeET4_jRbjT5_S1A_jjP12ihipStream_tbEUljE_EEESV_SW_SX_S14_S18_S1A_T6_T7_T9_mT8_S1C_bDpT10_ENKUlT_T0_E_clISt17integral_constantIbLb0EES1O_IbLb1EEEEDaS1K_S1L_EUlS1K_E_NS1_11comp_targetILNS1_3genE5ELNS1_11target_archE942ELNS1_3gpuE9ELNS1_3repE0EEENS1_30default_config_static_selectorELNS0_4arch9wavefront6targetE1EEEvSY_
    .private_segment_fixed_size: 0
    .sgpr_count:     4
    .sgpr_spill_count: 0
    .symbol:         _ZN7rocprim17ROCPRIM_400000_NS6detail17trampoline_kernelINS0_13select_configILj256ELj13ELNS0_17block_load_methodE3ELS4_3ELS4_3ELNS0_20block_scan_algorithmE0ELj4294967295EEENS1_25partition_config_selectorILNS1_17partition_subalgoE3EjNS0_10empty_typeEbEEZZNS1_14partition_implILS8_3ELb0ES6_jNS0_17counting_iteratorIjlEEPS9_SE_NS0_5tupleIJPjSE_EEENSF_IJSE_SE_EEES9_SG_JZNS1_25segmented_radix_sort_implINS0_14default_configELb0EPKsPsPKlPlN2at6native12_GLOBAL__N_18offset_tEEE10hipError_tPvRmT1_PNSt15iterator_traitsISY_E10value_typeET2_T3_PNSZ_IS14_E10value_typeET4_jRbjT5_S1A_jjP12ihipStream_tbEUljE_EEESV_SW_SX_S14_S18_S1A_T6_T7_T9_mT8_S1C_bDpT10_ENKUlT_T0_E_clISt17integral_constantIbLb0EES1O_IbLb1EEEEDaS1K_S1L_EUlS1K_E_NS1_11comp_targetILNS1_3genE5ELNS1_11target_archE942ELNS1_3gpuE9ELNS1_3repE0EEENS1_30default_config_static_selectorELNS0_4arch9wavefront6targetE1EEEvSY_.kd
    .uniform_work_group_size: 1
    .uses_dynamic_stack: false
    .vgpr_count:     0
    .vgpr_spill_count: 0
    .wavefront_size: 64
  - .agpr_count:     0
    .args:
      - .offset:         0
        .size:           152
        .value_kind:     by_value
    .group_segment_fixed_size: 13324
    .kernarg_segment_align: 8
    .kernarg_segment_size: 152
    .language:       OpenCL C
    .language_version:
      - 2
      - 0
    .max_flat_workgroup_size: 256
    .name:           _ZN7rocprim17ROCPRIM_400000_NS6detail17trampoline_kernelINS0_13select_configILj256ELj13ELNS0_17block_load_methodE3ELS4_3ELS4_3ELNS0_20block_scan_algorithmE0ELj4294967295EEENS1_25partition_config_selectorILNS1_17partition_subalgoE3EjNS0_10empty_typeEbEEZZNS1_14partition_implILS8_3ELb0ES6_jNS0_17counting_iteratorIjlEEPS9_SE_NS0_5tupleIJPjSE_EEENSF_IJSE_SE_EEES9_SG_JZNS1_25segmented_radix_sort_implINS0_14default_configELb0EPKsPsPKlPlN2at6native12_GLOBAL__N_18offset_tEEE10hipError_tPvRmT1_PNSt15iterator_traitsISY_E10value_typeET2_T3_PNSZ_IS14_E10value_typeET4_jRbjT5_S1A_jjP12ihipStream_tbEUljE_EEESV_SW_SX_S14_S18_S1A_T6_T7_T9_mT8_S1C_bDpT10_ENKUlT_T0_E_clISt17integral_constantIbLb0EES1O_IbLb1EEEEDaS1K_S1L_EUlS1K_E_NS1_11comp_targetILNS1_3genE4ELNS1_11target_archE910ELNS1_3gpuE8ELNS1_3repE0EEENS1_30default_config_static_selectorELNS0_4arch9wavefront6targetE1EEEvSY_
    .private_segment_fixed_size: 0
    .sgpr_count:     48
    .sgpr_spill_count: 0
    .symbol:         _ZN7rocprim17ROCPRIM_400000_NS6detail17trampoline_kernelINS0_13select_configILj256ELj13ELNS0_17block_load_methodE3ELS4_3ELS4_3ELNS0_20block_scan_algorithmE0ELj4294967295EEENS1_25partition_config_selectorILNS1_17partition_subalgoE3EjNS0_10empty_typeEbEEZZNS1_14partition_implILS8_3ELb0ES6_jNS0_17counting_iteratorIjlEEPS9_SE_NS0_5tupleIJPjSE_EEENSF_IJSE_SE_EEES9_SG_JZNS1_25segmented_radix_sort_implINS0_14default_configELb0EPKsPsPKlPlN2at6native12_GLOBAL__N_18offset_tEEE10hipError_tPvRmT1_PNSt15iterator_traitsISY_E10value_typeET2_T3_PNSZ_IS14_E10value_typeET4_jRbjT5_S1A_jjP12ihipStream_tbEUljE_EEESV_SW_SX_S14_S18_S1A_T6_T7_T9_mT8_S1C_bDpT10_ENKUlT_T0_E_clISt17integral_constantIbLb0EES1O_IbLb1EEEEDaS1K_S1L_EUlS1K_E_NS1_11comp_targetILNS1_3genE4ELNS1_11target_archE910ELNS1_3gpuE8ELNS1_3repE0EEENS1_30default_config_static_selectorELNS0_4arch9wavefront6targetE1EEEvSY_.kd
    .uniform_work_group_size: 1
    .uses_dynamic_stack: false
    .vgpr_count:     64
    .vgpr_spill_count: 0
    .wavefront_size: 64
  - .agpr_count:     0
    .args:
      - .offset:         0
        .size:           152
        .value_kind:     by_value
    .group_segment_fixed_size: 0
    .kernarg_segment_align: 8
    .kernarg_segment_size: 152
    .language:       OpenCL C
    .language_version:
      - 2
      - 0
    .max_flat_workgroup_size: 256
    .name:           _ZN7rocprim17ROCPRIM_400000_NS6detail17trampoline_kernelINS0_13select_configILj256ELj13ELNS0_17block_load_methodE3ELS4_3ELS4_3ELNS0_20block_scan_algorithmE0ELj4294967295EEENS1_25partition_config_selectorILNS1_17partition_subalgoE3EjNS0_10empty_typeEbEEZZNS1_14partition_implILS8_3ELb0ES6_jNS0_17counting_iteratorIjlEEPS9_SE_NS0_5tupleIJPjSE_EEENSF_IJSE_SE_EEES9_SG_JZNS1_25segmented_radix_sort_implINS0_14default_configELb0EPKsPsPKlPlN2at6native12_GLOBAL__N_18offset_tEEE10hipError_tPvRmT1_PNSt15iterator_traitsISY_E10value_typeET2_T3_PNSZ_IS14_E10value_typeET4_jRbjT5_S1A_jjP12ihipStream_tbEUljE_EEESV_SW_SX_S14_S18_S1A_T6_T7_T9_mT8_S1C_bDpT10_ENKUlT_T0_E_clISt17integral_constantIbLb0EES1O_IbLb1EEEEDaS1K_S1L_EUlS1K_E_NS1_11comp_targetILNS1_3genE3ELNS1_11target_archE908ELNS1_3gpuE7ELNS1_3repE0EEENS1_30default_config_static_selectorELNS0_4arch9wavefront6targetE1EEEvSY_
    .private_segment_fixed_size: 0
    .sgpr_count:     4
    .sgpr_spill_count: 0
    .symbol:         _ZN7rocprim17ROCPRIM_400000_NS6detail17trampoline_kernelINS0_13select_configILj256ELj13ELNS0_17block_load_methodE3ELS4_3ELS4_3ELNS0_20block_scan_algorithmE0ELj4294967295EEENS1_25partition_config_selectorILNS1_17partition_subalgoE3EjNS0_10empty_typeEbEEZZNS1_14partition_implILS8_3ELb0ES6_jNS0_17counting_iteratorIjlEEPS9_SE_NS0_5tupleIJPjSE_EEENSF_IJSE_SE_EEES9_SG_JZNS1_25segmented_radix_sort_implINS0_14default_configELb0EPKsPsPKlPlN2at6native12_GLOBAL__N_18offset_tEEE10hipError_tPvRmT1_PNSt15iterator_traitsISY_E10value_typeET2_T3_PNSZ_IS14_E10value_typeET4_jRbjT5_S1A_jjP12ihipStream_tbEUljE_EEESV_SW_SX_S14_S18_S1A_T6_T7_T9_mT8_S1C_bDpT10_ENKUlT_T0_E_clISt17integral_constantIbLb0EES1O_IbLb1EEEEDaS1K_S1L_EUlS1K_E_NS1_11comp_targetILNS1_3genE3ELNS1_11target_archE908ELNS1_3gpuE7ELNS1_3repE0EEENS1_30default_config_static_selectorELNS0_4arch9wavefront6targetE1EEEvSY_.kd
    .uniform_work_group_size: 1
    .uses_dynamic_stack: false
    .vgpr_count:     0
    .vgpr_spill_count: 0
    .wavefront_size: 64
  - .agpr_count:     0
    .args:
      - .offset:         0
        .size:           152
        .value_kind:     by_value
    .group_segment_fixed_size: 0
    .kernarg_segment_align: 8
    .kernarg_segment_size: 152
    .language:       OpenCL C
    .language_version:
      - 2
      - 0
    .max_flat_workgroup_size: 256
    .name:           _ZN7rocprim17ROCPRIM_400000_NS6detail17trampoline_kernelINS0_13select_configILj256ELj13ELNS0_17block_load_methodE3ELS4_3ELS4_3ELNS0_20block_scan_algorithmE0ELj4294967295EEENS1_25partition_config_selectorILNS1_17partition_subalgoE3EjNS0_10empty_typeEbEEZZNS1_14partition_implILS8_3ELb0ES6_jNS0_17counting_iteratorIjlEEPS9_SE_NS0_5tupleIJPjSE_EEENSF_IJSE_SE_EEES9_SG_JZNS1_25segmented_radix_sort_implINS0_14default_configELb0EPKsPsPKlPlN2at6native12_GLOBAL__N_18offset_tEEE10hipError_tPvRmT1_PNSt15iterator_traitsISY_E10value_typeET2_T3_PNSZ_IS14_E10value_typeET4_jRbjT5_S1A_jjP12ihipStream_tbEUljE_EEESV_SW_SX_S14_S18_S1A_T6_T7_T9_mT8_S1C_bDpT10_ENKUlT_T0_E_clISt17integral_constantIbLb0EES1O_IbLb1EEEEDaS1K_S1L_EUlS1K_E_NS1_11comp_targetILNS1_3genE2ELNS1_11target_archE906ELNS1_3gpuE6ELNS1_3repE0EEENS1_30default_config_static_selectorELNS0_4arch9wavefront6targetE1EEEvSY_
    .private_segment_fixed_size: 0
    .sgpr_count:     4
    .sgpr_spill_count: 0
    .symbol:         _ZN7rocprim17ROCPRIM_400000_NS6detail17trampoline_kernelINS0_13select_configILj256ELj13ELNS0_17block_load_methodE3ELS4_3ELS4_3ELNS0_20block_scan_algorithmE0ELj4294967295EEENS1_25partition_config_selectorILNS1_17partition_subalgoE3EjNS0_10empty_typeEbEEZZNS1_14partition_implILS8_3ELb0ES6_jNS0_17counting_iteratorIjlEEPS9_SE_NS0_5tupleIJPjSE_EEENSF_IJSE_SE_EEES9_SG_JZNS1_25segmented_radix_sort_implINS0_14default_configELb0EPKsPsPKlPlN2at6native12_GLOBAL__N_18offset_tEEE10hipError_tPvRmT1_PNSt15iterator_traitsISY_E10value_typeET2_T3_PNSZ_IS14_E10value_typeET4_jRbjT5_S1A_jjP12ihipStream_tbEUljE_EEESV_SW_SX_S14_S18_S1A_T6_T7_T9_mT8_S1C_bDpT10_ENKUlT_T0_E_clISt17integral_constantIbLb0EES1O_IbLb1EEEEDaS1K_S1L_EUlS1K_E_NS1_11comp_targetILNS1_3genE2ELNS1_11target_archE906ELNS1_3gpuE6ELNS1_3repE0EEENS1_30default_config_static_selectorELNS0_4arch9wavefront6targetE1EEEvSY_.kd
    .uniform_work_group_size: 1
    .uses_dynamic_stack: false
    .vgpr_count:     0
    .vgpr_spill_count: 0
    .wavefront_size: 64
  - .agpr_count:     0
    .args:
      - .offset:         0
        .size:           152
        .value_kind:     by_value
    .group_segment_fixed_size: 0
    .kernarg_segment_align: 8
    .kernarg_segment_size: 152
    .language:       OpenCL C
    .language_version:
      - 2
      - 0
    .max_flat_workgroup_size: 256
    .name:           _ZN7rocprim17ROCPRIM_400000_NS6detail17trampoline_kernelINS0_13select_configILj256ELj13ELNS0_17block_load_methodE3ELS4_3ELS4_3ELNS0_20block_scan_algorithmE0ELj4294967295EEENS1_25partition_config_selectorILNS1_17partition_subalgoE3EjNS0_10empty_typeEbEEZZNS1_14partition_implILS8_3ELb0ES6_jNS0_17counting_iteratorIjlEEPS9_SE_NS0_5tupleIJPjSE_EEENSF_IJSE_SE_EEES9_SG_JZNS1_25segmented_radix_sort_implINS0_14default_configELb0EPKsPsPKlPlN2at6native12_GLOBAL__N_18offset_tEEE10hipError_tPvRmT1_PNSt15iterator_traitsISY_E10value_typeET2_T3_PNSZ_IS14_E10value_typeET4_jRbjT5_S1A_jjP12ihipStream_tbEUljE_EEESV_SW_SX_S14_S18_S1A_T6_T7_T9_mT8_S1C_bDpT10_ENKUlT_T0_E_clISt17integral_constantIbLb0EES1O_IbLb1EEEEDaS1K_S1L_EUlS1K_E_NS1_11comp_targetILNS1_3genE10ELNS1_11target_archE1200ELNS1_3gpuE4ELNS1_3repE0EEENS1_30default_config_static_selectorELNS0_4arch9wavefront6targetE1EEEvSY_
    .private_segment_fixed_size: 0
    .sgpr_count:     4
    .sgpr_spill_count: 0
    .symbol:         _ZN7rocprim17ROCPRIM_400000_NS6detail17trampoline_kernelINS0_13select_configILj256ELj13ELNS0_17block_load_methodE3ELS4_3ELS4_3ELNS0_20block_scan_algorithmE0ELj4294967295EEENS1_25partition_config_selectorILNS1_17partition_subalgoE3EjNS0_10empty_typeEbEEZZNS1_14partition_implILS8_3ELb0ES6_jNS0_17counting_iteratorIjlEEPS9_SE_NS0_5tupleIJPjSE_EEENSF_IJSE_SE_EEES9_SG_JZNS1_25segmented_radix_sort_implINS0_14default_configELb0EPKsPsPKlPlN2at6native12_GLOBAL__N_18offset_tEEE10hipError_tPvRmT1_PNSt15iterator_traitsISY_E10value_typeET2_T3_PNSZ_IS14_E10value_typeET4_jRbjT5_S1A_jjP12ihipStream_tbEUljE_EEESV_SW_SX_S14_S18_S1A_T6_T7_T9_mT8_S1C_bDpT10_ENKUlT_T0_E_clISt17integral_constantIbLb0EES1O_IbLb1EEEEDaS1K_S1L_EUlS1K_E_NS1_11comp_targetILNS1_3genE10ELNS1_11target_archE1200ELNS1_3gpuE4ELNS1_3repE0EEENS1_30default_config_static_selectorELNS0_4arch9wavefront6targetE1EEEvSY_.kd
    .uniform_work_group_size: 1
    .uses_dynamic_stack: false
    .vgpr_count:     0
    .vgpr_spill_count: 0
    .wavefront_size: 64
  - .agpr_count:     0
    .args:
      - .offset:         0
        .size:           152
        .value_kind:     by_value
    .group_segment_fixed_size: 0
    .kernarg_segment_align: 8
    .kernarg_segment_size: 152
    .language:       OpenCL C
    .language_version:
      - 2
      - 0
    .max_flat_workgroup_size: 256
    .name:           _ZN7rocprim17ROCPRIM_400000_NS6detail17trampoline_kernelINS0_13select_configILj256ELj13ELNS0_17block_load_methodE3ELS4_3ELS4_3ELNS0_20block_scan_algorithmE0ELj4294967295EEENS1_25partition_config_selectorILNS1_17partition_subalgoE3EjNS0_10empty_typeEbEEZZNS1_14partition_implILS8_3ELb0ES6_jNS0_17counting_iteratorIjlEEPS9_SE_NS0_5tupleIJPjSE_EEENSF_IJSE_SE_EEES9_SG_JZNS1_25segmented_radix_sort_implINS0_14default_configELb0EPKsPsPKlPlN2at6native12_GLOBAL__N_18offset_tEEE10hipError_tPvRmT1_PNSt15iterator_traitsISY_E10value_typeET2_T3_PNSZ_IS14_E10value_typeET4_jRbjT5_S1A_jjP12ihipStream_tbEUljE_EEESV_SW_SX_S14_S18_S1A_T6_T7_T9_mT8_S1C_bDpT10_ENKUlT_T0_E_clISt17integral_constantIbLb0EES1O_IbLb1EEEEDaS1K_S1L_EUlS1K_E_NS1_11comp_targetILNS1_3genE9ELNS1_11target_archE1100ELNS1_3gpuE3ELNS1_3repE0EEENS1_30default_config_static_selectorELNS0_4arch9wavefront6targetE1EEEvSY_
    .private_segment_fixed_size: 0
    .sgpr_count:     4
    .sgpr_spill_count: 0
    .symbol:         _ZN7rocprim17ROCPRIM_400000_NS6detail17trampoline_kernelINS0_13select_configILj256ELj13ELNS0_17block_load_methodE3ELS4_3ELS4_3ELNS0_20block_scan_algorithmE0ELj4294967295EEENS1_25partition_config_selectorILNS1_17partition_subalgoE3EjNS0_10empty_typeEbEEZZNS1_14partition_implILS8_3ELb0ES6_jNS0_17counting_iteratorIjlEEPS9_SE_NS0_5tupleIJPjSE_EEENSF_IJSE_SE_EEES9_SG_JZNS1_25segmented_radix_sort_implINS0_14default_configELb0EPKsPsPKlPlN2at6native12_GLOBAL__N_18offset_tEEE10hipError_tPvRmT1_PNSt15iterator_traitsISY_E10value_typeET2_T3_PNSZ_IS14_E10value_typeET4_jRbjT5_S1A_jjP12ihipStream_tbEUljE_EEESV_SW_SX_S14_S18_S1A_T6_T7_T9_mT8_S1C_bDpT10_ENKUlT_T0_E_clISt17integral_constantIbLb0EES1O_IbLb1EEEEDaS1K_S1L_EUlS1K_E_NS1_11comp_targetILNS1_3genE9ELNS1_11target_archE1100ELNS1_3gpuE3ELNS1_3repE0EEENS1_30default_config_static_selectorELNS0_4arch9wavefront6targetE1EEEvSY_.kd
    .uniform_work_group_size: 1
    .uses_dynamic_stack: false
    .vgpr_count:     0
    .vgpr_spill_count: 0
    .wavefront_size: 64
  - .agpr_count:     0
    .args:
      - .offset:         0
        .size:           152
        .value_kind:     by_value
    .group_segment_fixed_size: 0
    .kernarg_segment_align: 8
    .kernarg_segment_size: 152
    .language:       OpenCL C
    .language_version:
      - 2
      - 0
    .max_flat_workgroup_size: 256
    .name:           _ZN7rocprim17ROCPRIM_400000_NS6detail17trampoline_kernelINS0_13select_configILj256ELj13ELNS0_17block_load_methodE3ELS4_3ELS4_3ELNS0_20block_scan_algorithmE0ELj4294967295EEENS1_25partition_config_selectorILNS1_17partition_subalgoE3EjNS0_10empty_typeEbEEZZNS1_14partition_implILS8_3ELb0ES6_jNS0_17counting_iteratorIjlEEPS9_SE_NS0_5tupleIJPjSE_EEENSF_IJSE_SE_EEES9_SG_JZNS1_25segmented_radix_sort_implINS0_14default_configELb0EPKsPsPKlPlN2at6native12_GLOBAL__N_18offset_tEEE10hipError_tPvRmT1_PNSt15iterator_traitsISY_E10value_typeET2_T3_PNSZ_IS14_E10value_typeET4_jRbjT5_S1A_jjP12ihipStream_tbEUljE_EEESV_SW_SX_S14_S18_S1A_T6_T7_T9_mT8_S1C_bDpT10_ENKUlT_T0_E_clISt17integral_constantIbLb0EES1O_IbLb1EEEEDaS1K_S1L_EUlS1K_E_NS1_11comp_targetILNS1_3genE8ELNS1_11target_archE1030ELNS1_3gpuE2ELNS1_3repE0EEENS1_30default_config_static_selectorELNS0_4arch9wavefront6targetE1EEEvSY_
    .private_segment_fixed_size: 0
    .sgpr_count:     4
    .sgpr_spill_count: 0
    .symbol:         _ZN7rocprim17ROCPRIM_400000_NS6detail17trampoline_kernelINS0_13select_configILj256ELj13ELNS0_17block_load_methodE3ELS4_3ELS4_3ELNS0_20block_scan_algorithmE0ELj4294967295EEENS1_25partition_config_selectorILNS1_17partition_subalgoE3EjNS0_10empty_typeEbEEZZNS1_14partition_implILS8_3ELb0ES6_jNS0_17counting_iteratorIjlEEPS9_SE_NS0_5tupleIJPjSE_EEENSF_IJSE_SE_EEES9_SG_JZNS1_25segmented_radix_sort_implINS0_14default_configELb0EPKsPsPKlPlN2at6native12_GLOBAL__N_18offset_tEEE10hipError_tPvRmT1_PNSt15iterator_traitsISY_E10value_typeET2_T3_PNSZ_IS14_E10value_typeET4_jRbjT5_S1A_jjP12ihipStream_tbEUljE_EEESV_SW_SX_S14_S18_S1A_T6_T7_T9_mT8_S1C_bDpT10_ENKUlT_T0_E_clISt17integral_constantIbLb0EES1O_IbLb1EEEEDaS1K_S1L_EUlS1K_E_NS1_11comp_targetILNS1_3genE8ELNS1_11target_archE1030ELNS1_3gpuE2ELNS1_3repE0EEENS1_30default_config_static_selectorELNS0_4arch9wavefront6targetE1EEEvSY_.kd
    .uniform_work_group_size: 1
    .uses_dynamic_stack: false
    .vgpr_count:     0
    .vgpr_spill_count: 0
    .wavefront_size: 64
  - .agpr_count:     0
    .args:
      - .offset:         0
        .size:           96
        .value_kind:     by_value
    .group_segment_fixed_size: 0
    .kernarg_segment_align: 8
    .kernarg_segment_size: 96
    .language:       OpenCL C
    .language_version:
      - 2
      - 0
    .max_flat_workgroup_size: 256
    .name:           _ZN7rocprim17ROCPRIM_400000_NS6detail17trampoline_kernelINS0_14default_configENS1_36segmented_radix_sort_config_selectorIslEEZNS1_25segmented_radix_sort_implIS3_Lb0EPKsPsPKlPlN2at6native12_GLOBAL__N_18offset_tEEE10hipError_tPvRmT1_PNSt15iterator_traitsISK_E10value_typeET2_T3_PNSL_ISQ_E10value_typeET4_jRbjT5_SW_jjP12ihipStream_tbEUlT_E_NS1_11comp_targetILNS1_3genE0ELNS1_11target_archE4294967295ELNS1_3gpuE0ELNS1_3repE0EEENS1_30default_config_static_selectorELNS0_4arch9wavefront6targetE1EEEvSK_
    .private_segment_fixed_size: 0
    .sgpr_count:     4
    .sgpr_spill_count: 0
    .symbol:         _ZN7rocprim17ROCPRIM_400000_NS6detail17trampoline_kernelINS0_14default_configENS1_36segmented_radix_sort_config_selectorIslEEZNS1_25segmented_radix_sort_implIS3_Lb0EPKsPsPKlPlN2at6native12_GLOBAL__N_18offset_tEEE10hipError_tPvRmT1_PNSt15iterator_traitsISK_E10value_typeET2_T3_PNSL_ISQ_E10value_typeET4_jRbjT5_SW_jjP12ihipStream_tbEUlT_E_NS1_11comp_targetILNS1_3genE0ELNS1_11target_archE4294967295ELNS1_3gpuE0ELNS1_3repE0EEENS1_30default_config_static_selectorELNS0_4arch9wavefront6targetE1EEEvSK_.kd
    .uniform_work_group_size: 1
    .uses_dynamic_stack: false
    .vgpr_count:     0
    .vgpr_spill_count: 0
    .wavefront_size: 64
  - .agpr_count:     0
    .args:
      - .offset:         0
        .size:           96
        .value_kind:     by_value
    .group_segment_fixed_size: 0
    .kernarg_segment_align: 8
    .kernarg_segment_size: 96
    .language:       OpenCL C
    .language_version:
      - 2
      - 0
    .max_flat_workgroup_size: 256
    .name:           _ZN7rocprim17ROCPRIM_400000_NS6detail17trampoline_kernelINS0_14default_configENS1_36segmented_radix_sort_config_selectorIslEEZNS1_25segmented_radix_sort_implIS3_Lb0EPKsPsPKlPlN2at6native12_GLOBAL__N_18offset_tEEE10hipError_tPvRmT1_PNSt15iterator_traitsISK_E10value_typeET2_T3_PNSL_ISQ_E10value_typeET4_jRbjT5_SW_jjP12ihipStream_tbEUlT_E_NS1_11comp_targetILNS1_3genE5ELNS1_11target_archE942ELNS1_3gpuE9ELNS1_3repE0EEENS1_30default_config_static_selectorELNS0_4arch9wavefront6targetE1EEEvSK_
    .private_segment_fixed_size: 0
    .sgpr_count:     4
    .sgpr_spill_count: 0
    .symbol:         _ZN7rocprim17ROCPRIM_400000_NS6detail17trampoline_kernelINS0_14default_configENS1_36segmented_radix_sort_config_selectorIslEEZNS1_25segmented_radix_sort_implIS3_Lb0EPKsPsPKlPlN2at6native12_GLOBAL__N_18offset_tEEE10hipError_tPvRmT1_PNSt15iterator_traitsISK_E10value_typeET2_T3_PNSL_ISQ_E10value_typeET4_jRbjT5_SW_jjP12ihipStream_tbEUlT_E_NS1_11comp_targetILNS1_3genE5ELNS1_11target_archE942ELNS1_3gpuE9ELNS1_3repE0EEENS1_30default_config_static_selectorELNS0_4arch9wavefront6targetE1EEEvSK_.kd
    .uniform_work_group_size: 1
    .uses_dynamic_stack: false
    .vgpr_count:     0
    .vgpr_spill_count: 0
    .wavefront_size: 64
  - .agpr_count:     32
    .args:
      - .offset:         0
        .size:           96
        .value_kind:     by_value
      - .offset:         96
        .size:           4
        .value_kind:     hidden_block_count_x
      - .offset:         100
        .size:           4
        .value_kind:     hidden_block_count_y
      - .offset:         104
        .size:           4
        .value_kind:     hidden_block_count_z
      - .offset:         108
        .size:           2
        .value_kind:     hidden_group_size_x
      - .offset:         110
        .size:           2
        .value_kind:     hidden_group_size_y
      - .offset:         112
        .size:           2
        .value_kind:     hidden_group_size_z
      - .offset:         114
        .size:           2
        .value_kind:     hidden_remainder_x
      - .offset:         116
        .size:           2
        .value_kind:     hidden_remainder_y
      - .offset:         118
        .size:           2
        .value_kind:     hidden_remainder_z
      - .offset:         136
        .size:           8
        .value_kind:     hidden_global_offset_x
      - .offset:         144
        .size:           8
        .value_kind:     hidden_global_offset_y
      - .offset:         152
        .size:           8
        .value_kind:     hidden_global_offset_z
      - .offset:         160
        .size:           2
        .value_kind:     hidden_grid_dims
      - .offset:         176
        .size:           8
        .value_kind:     hidden_hostcall_buffer
      - .offset:         184
        .size:           8
        .value_kind:     hidden_multigrid_sync_arg
      - .offset:         192
        .size:           8
        .value_kind:     hidden_heap_v1
      - .offset:         200
        .size:           8
        .value_kind:     hidden_default_queue
      - .offset:         208
        .size:           8
        .value_kind:     hidden_completion_action
      - .offset:         296
        .size:           8
        .value_kind:     hidden_queue_ptr
    .group_segment_fixed_size: 35336
    .kernarg_segment_align: 8
    .kernarg_segment_size: 352
    .language:       OpenCL C
    .language_version:
      - 2
      - 0
    .max_flat_workgroup_size: 256
    .name:           _ZN7rocprim17ROCPRIM_400000_NS6detail17trampoline_kernelINS0_14default_configENS1_36segmented_radix_sort_config_selectorIslEEZNS1_25segmented_radix_sort_implIS3_Lb0EPKsPsPKlPlN2at6native12_GLOBAL__N_18offset_tEEE10hipError_tPvRmT1_PNSt15iterator_traitsISK_E10value_typeET2_T3_PNSL_ISQ_E10value_typeET4_jRbjT5_SW_jjP12ihipStream_tbEUlT_E_NS1_11comp_targetILNS1_3genE4ELNS1_11target_archE910ELNS1_3gpuE8ELNS1_3repE0EEENS1_30default_config_static_selectorELNS0_4arch9wavefront6targetE1EEEvSK_
    .private_segment_fixed_size: 184
    .sgpr_count:     106
    .sgpr_spill_count: 4
    .symbol:         _ZN7rocprim17ROCPRIM_400000_NS6detail17trampoline_kernelINS0_14default_configENS1_36segmented_radix_sort_config_selectorIslEEZNS1_25segmented_radix_sort_implIS3_Lb0EPKsPsPKlPlN2at6native12_GLOBAL__N_18offset_tEEE10hipError_tPvRmT1_PNSt15iterator_traitsISK_E10value_typeET2_T3_PNSL_ISQ_E10value_typeET4_jRbjT5_SW_jjP12ihipStream_tbEUlT_E_NS1_11comp_targetILNS1_3genE4ELNS1_11target_archE910ELNS1_3gpuE8ELNS1_3repE0EEENS1_30default_config_static_selectorELNS0_4arch9wavefront6targetE1EEEvSK_.kd
    .uniform_work_group_size: 1
    .uses_dynamic_stack: false
    .vgpr_count:     280
    .vgpr_spill_count: 0
    .wavefront_size: 64
  - .agpr_count:     0
    .args:
      - .offset:         0
        .size:           96
        .value_kind:     by_value
    .group_segment_fixed_size: 0
    .kernarg_segment_align: 8
    .kernarg_segment_size: 96
    .language:       OpenCL C
    .language_version:
      - 2
      - 0
    .max_flat_workgroup_size: 256
    .name:           _ZN7rocprim17ROCPRIM_400000_NS6detail17trampoline_kernelINS0_14default_configENS1_36segmented_radix_sort_config_selectorIslEEZNS1_25segmented_radix_sort_implIS3_Lb0EPKsPsPKlPlN2at6native12_GLOBAL__N_18offset_tEEE10hipError_tPvRmT1_PNSt15iterator_traitsISK_E10value_typeET2_T3_PNSL_ISQ_E10value_typeET4_jRbjT5_SW_jjP12ihipStream_tbEUlT_E_NS1_11comp_targetILNS1_3genE3ELNS1_11target_archE908ELNS1_3gpuE7ELNS1_3repE0EEENS1_30default_config_static_selectorELNS0_4arch9wavefront6targetE1EEEvSK_
    .private_segment_fixed_size: 0
    .sgpr_count:     4
    .sgpr_spill_count: 0
    .symbol:         _ZN7rocprim17ROCPRIM_400000_NS6detail17trampoline_kernelINS0_14default_configENS1_36segmented_radix_sort_config_selectorIslEEZNS1_25segmented_radix_sort_implIS3_Lb0EPKsPsPKlPlN2at6native12_GLOBAL__N_18offset_tEEE10hipError_tPvRmT1_PNSt15iterator_traitsISK_E10value_typeET2_T3_PNSL_ISQ_E10value_typeET4_jRbjT5_SW_jjP12ihipStream_tbEUlT_E_NS1_11comp_targetILNS1_3genE3ELNS1_11target_archE908ELNS1_3gpuE7ELNS1_3repE0EEENS1_30default_config_static_selectorELNS0_4arch9wavefront6targetE1EEEvSK_.kd
    .uniform_work_group_size: 1
    .uses_dynamic_stack: false
    .vgpr_count:     0
    .vgpr_spill_count: 0
    .wavefront_size: 64
  - .agpr_count:     0
    .args:
      - .offset:         0
        .size:           96
        .value_kind:     by_value
    .group_segment_fixed_size: 0
    .kernarg_segment_align: 8
    .kernarg_segment_size: 96
    .language:       OpenCL C
    .language_version:
      - 2
      - 0
    .max_flat_workgroup_size: 256
    .name:           _ZN7rocprim17ROCPRIM_400000_NS6detail17trampoline_kernelINS0_14default_configENS1_36segmented_radix_sort_config_selectorIslEEZNS1_25segmented_radix_sort_implIS3_Lb0EPKsPsPKlPlN2at6native12_GLOBAL__N_18offset_tEEE10hipError_tPvRmT1_PNSt15iterator_traitsISK_E10value_typeET2_T3_PNSL_ISQ_E10value_typeET4_jRbjT5_SW_jjP12ihipStream_tbEUlT_E_NS1_11comp_targetILNS1_3genE2ELNS1_11target_archE906ELNS1_3gpuE6ELNS1_3repE0EEENS1_30default_config_static_selectorELNS0_4arch9wavefront6targetE1EEEvSK_
    .private_segment_fixed_size: 0
    .sgpr_count:     4
    .sgpr_spill_count: 0
    .symbol:         _ZN7rocprim17ROCPRIM_400000_NS6detail17trampoline_kernelINS0_14default_configENS1_36segmented_radix_sort_config_selectorIslEEZNS1_25segmented_radix_sort_implIS3_Lb0EPKsPsPKlPlN2at6native12_GLOBAL__N_18offset_tEEE10hipError_tPvRmT1_PNSt15iterator_traitsISK_E10value_typeET2_T3_PNSL_ISQ_E10value_typeET4_jRbjT5_SW_jjP12ihipStream_tbEUlT_E_NS1_11comp_targetILNS1_3genE2ELNS1_11target_archE906ELNS1_3gpuE6ELNS1_3repE0EEENS1_30default_config_static_selectorELNS0_4arch9wavefront6targetE1EEEvSK_.kd
    .uniform_work_group_size: 1
    .uses_dynamic_stack: false
    .vgpr_count:     0
    .vgpr_spill_count: 0
    .wavefront_size: 64
  - .agpr_count:     0
    .args:
      - .offset:         0
        .size:           96
        .value_kind:     by_value
    .group_segment_fixed_size: 0
    .kernarg_segment_align: 8
    .kernarg_segment_size: 96
    .language:       OpenCL C
    .language_version:
      - 2
      - 0
    .max_flat_workgroup_size: 256
    .name:           _ZN7rocprim17ROCPRIM_400000_NS6detail17trampoline_kernelINS0_14default_configENS1_36segmented_radix_sort_config_selectorIslEEZNS1_25segmented_radix_sort_implIS3_Lb0EPKsPsPKlPlN2at6native12_GLOBAL__N_18offset_tEEE10hipError_tPvRmT1_PNSt15iterator_traitsISK_E10value_typeET2_T3_PNSL_ISQ_E10value_typeET4_jRbjT5_SW_jjP12ihipStream_tbEUlT_E_NS1_11comp_targetILNS1_3genE10ELNS1_11target_archE1201ELNS1_3gpuE5ELNS1_3repE0EEENS1_30default_config_static_selectorELNS0_4arch9wavefront6targetE1EEEvSK_
    .private_segment_fixed_size: 0
    .sgpr_count:     4
    .sgpr_spill_count: 0
    .symbol:         _ZN7rocprim17ROCPRIM_400000_NS6detail17trampoline_kernelINS0_14default_configENS1_36segmented_radix_sort_config_selectorIslEEZNS1_25segmented_radix_sort_implIS3_Lb0EPKsPsPKlPlN2at6native12_GLOBAL__N_18offset_tEEE10hipError_tPvRmT1_PNSt15iterator_traitsISK_E10value_typeET2_T3_PNSL_ISQ_E10value_typeET4_jRbjT5_SW_jjP12ihipStream_tbEUlT_E_NS1_11comp_targetILNS1_3genE10ELNS1_11target_archE1201ELNS1_3gpuE5ELNS1_3repE0EEENS1_30default_config_static_selectorELNS0_4arch9wavefront6targetE1EEEvSK_.kd
    .uniform_work_group_size: 1
    .uses_dynamic_stack: false
    .vgpr_count:     0
    .vgpr_spill_count: 0
    .wavefront_size: 64
  - .agpr_count:     0
    .args:
      - .offset:         0
        .size:           96
        .value_kind:     by_value
    .group_segment_fixed_size: 0
    .kernarg_segment_align: 8
    .kernarg_segment_size: 96
    .language:       OpenCL C
    .language_version:
      - 2
      - 0
    .max_flat_workgroup_size: 128
    .name:           _ZN7rocprim17ROCPRIM_400000_NS6detail17trampoline_kernelINS0_14default_configENS1_36segmented_radix_sort_config_selectorIslEEZNS1_25segmented_radix_sort_implIS3_Lb0EPKsPsPKlPlN2at6native12_GLOBAL__N_18offset_tEEE10hipError_tPvRmT1_PNSt15iterator_traitsISK_E10value_typeET2_T3_PNSL_ISQ_E10value_typeET4_jRbjT5_SW_jjP12ihipStream_tbEUlT_E_NS1_11comp_targetILNS1_3genE10ELNS1_11target_archE1200ELNS1_3gpuE4ELNS1_3repE0EEENS1_30default_config_static_selectorELNS0_4arch9wavefront6targetE1EEEvSK_
    .private_segment_fixed_size: 0
    .sgpr_count:     4
    .sgpr_spill_count: 0
    .symbol:         _ZN7rocprim17ROCPRIM_400000_NS6detail17trampoline_kernelINS0_14default_configENS1_36segmented_radix_sort_config_selectorIslEEZNS1_25segmented_radix_sort_implIS3_Lb0EPKsPsPKlPlN2at6native12_GLOBAL__N_18offset_tEEE10hipError_tPvRmT1_PNSt15iterator_traitsISK_E10value_typeET2_T3_PNSL_ISQ_E10value_typeET4_jRbjT5_SW_jjP12ihipStream_tbEUlT_E_NS1_11comp_targetILNS1_3genE10ELNS1_11target_archE1200ELNS1_3gpuE4ELNS1_3repE0EEENS1_30default_config_static_selectorELNS0_4arch9wavefront6targetE1EEEvSK_.kd
    .uniform_work_group_size: 1
    .uses_dynamic_stack: false
    .vgpr_count:     0
    .vgpr_spill_count: 0
    .wavefront_size: 64
  - .agpr_count:     0
    .args:
      - .offset:         0
        .size:           96
        .value_kind:     by_value
    .group_segment_fixed_size: 0
    .kernarg_segment_align: 8
    .kernarg_segment_size: 96
    .language:       OpenCL C
    .language_version:
      - 2
      - 0
    .max_flat_workgroup_size: 256
    .name:           _ZN7rocprim17ROCPRIM_400000_NS6detail17trampoline_kernelINS0_14default_configENS1_36segmented_radix_sort_config_selectorIslEEZNS1_25segmented_radix_sort_implIS3_Lb0EPKsPsPKlPlN2at6native12_GLOBAL__N_18offset_tEEE10hipError_tPvRmT1_PNSt15iterator_traitsISK_E10value_typeET2_T3_PNSL_ISQ_E10value_typeET4_jRbjT5_SW_jjP12ihipStream_tbEUlT_E_NS1_11comp_targetILNS1_3genE9ELNS1_11target_archE1100ELNS1_3gpuE3ELNS1_3repE0EEENS1_30default_config_static_selectorELNS0_4arch9wavefront6targetE1EEEvSK_
    .private_segment_fixed_size: 0
    .sgpr_count:     4
    .sgpr_spill_count: 0
    .symbol:         _ZN7rocprim17ROCPRIM_400000_NS6detail17trampoline_kernelINS0_14default_configENS1_36segmented_radix_sort_config_selectorIslEEZNS1_25segmented_radix_sort_implIS3_Lb0EPKsPsPKlPlN2at6native12_GLOBAL__N_18offset_tEEE10hipError_tPvRmT1_PNSt15iterator_traitsISK_E10value_typeET2_T3_PNSL_ISQ_E10value_typeET4_jRbjT5_SW_jjP12ihipStream_tbEUlT_E_NS1_11comp_targetILNS1_3genE9ELNS1_11target_archE1100ELNS1_3gpuE3ELNS1_3repE0EEENS1_30default_config_static_selectorELNS0_4arch9wavefront6targetE1EEEvSK_.kd
    .uniform_work_group_size: 1
    .uses_dynamic_stack: false
    .vgpr_count:     0
    .vgpr_spill_count: 0
    .wavefront_size: 64
  - .agpr_count:     0
    .args:
      - .offset:         0
        .size:           96
        .value_kind:     by_value
    .group_segment_fixed_size: 0
    .kernarg_segment_align: 8
    .kernarg_segment_size: 96
    .language:       OpenCL C
    .language_version:
      - 2
      - 0
    .max_flat_workgroup_size: 256
    .name:           _ZN7rocprim17ROCPRIM_400000_NS6detail17trampoline_kernelINS0_14default_configENS1_36segmented_radix_sort_config_selectorIslEEZNS1_25segmented_radix_sort_implIS3_Lb0EPKsPsPKlPlN2at6native12_GLOBAL__N_18offset_tEEE10hipError_tPvRmT1_PNSt15iterator_traitsISK_E10value_typeET2_T3_PNSL_ISQ_E10value_typeET4_jRbjT5_SW_jjP12ihipStream_tbEUlT_E_NS1_11comp_targetILNS1_3genE8ELNS1_11target_archE1030ELNS1_3gpuE2ELNS1_3repE0EEENS1_30default_config_static_selectorELNS0_4arch9wavefront6targetE1EEEvSK_
    .private_segment_fixed_size: 0
    .sgpr_count:     4
    .sgpr_spill_count: 0
    .symbol:         _ZN7rocprim17ROCPRIM_400000_NS6detail17trampoline_kernelINS0_14default_configENS1_36segmented_radix_sort_config_selectorIslEEZNS1_25segmented_radix_sort_implIS3_Lb0EPKsPsPKlPlN2at6native12_GLOBAL__N_18offset_tEEE10hipError_tPvRmT1_PNSt15iterator_traitsISK_E10value_typeET2_T3_PNSL_ISQ_E10value_typeET4_jRbjT5_SW_jjP12ihipStream_tbEUlT_E_NS1_11comp_targetILNS1_3genE8ELNS1_11target_archE1030ELNS1_3gpuE2ELNS1_3repE0EEENS1_30default_config_static_selectorELNS0_4arch9wavefront6targetE1EEEvSK_.kd
    .uniform_work_group_size: 1
    .uses_dynamic_stack: false
    .vgpr_count:     0
    .vgpr_spill_count: 0
    .wavefront_size: 64
  - .agpr_count:     0
    .args:
      - .offset:         0
        .size:           88
        .value_kind:     by_value
    .group_segment_fixed_size: 0
    .kernarg_segment_align: 8
    .kernarg_segment_size: 88
    .language:       OpenCL C
    .language_version:
      - 2
      - 0
    .max_flat_workgroup_size: 256
    .name:           _ZN7rocprim17ROCPRIM_400000_NS6detail17trampoline_kernelINS0_14default_configENS1_36segmented_radix_sort_config_selectorIslEEZNS1_25segmented_radix_sort_implIS3_Lb0EPKsPsPKlPlN2at6native12_GLOBAL__N_18offset_tEEE10hipError_tPvRmT1_PNSt15iterator_traitsISK_E10value_typeET2_T3_PNSL_ISQ_E10value_typeET4_jRbjT5_SW_jjP12ihipStream_tbEUlT_E0_NS1_11comp_targetILNS1_3genE0ELNS1_11target_archE4294967295ELNS1_3gpuE0ELNS1_3repE0EEENS1_60segmented_radix_sort_warp_sort_medium_config_static_selectorELNS0_4arch9wavefront6targetE1EEEvSK_
    .private_segment_fixed_size: 0
    .sgpr_count:     4
    .sgpr_spill_count: 0
    .symbol:         _ZN7rocprim17ROCPRIM_400000_NS6detail17trampoline_kernelINS0_14default_configENS1_36segmented_radix_sort_config_selectorIslEEZNS1_25segmented_radix_sort_implIS3_Lb0EPKsPsPKlPlN2at6native12_GLOBAL__N_18offset_tEEE10hipError_tPvRmT1_PNSt15iterator_traitsISK_E10value_typeET2_T3_PNSL_ISQ_E10value_typeET4_jRbjT5_SW_jjP12ihipStream_tbEUlT_E0_NS1_11comp_targetILNS1_3genE0ELNS1_11target_archE4294967295ELNS1_3gpuE0ELNS1_3repE0EEENS1_60segmented_radix_sort_warp_sort_medium_config_static_selectorELNS0_4arch9wavefront6targetE1EEEvSK_.kd
    .uniform_work_group_size: 1
    .uses_dynamic_stack: false
    .vgpr_count:     0
    .vgpr_spill_count: 0
    .wavefront_size: 64
  - .agpr_count:     0
    .args:
      - .offset:         0
        .size:           88
        .value_kind:     by_value
    .group_segment_fixed_size: 0
    .kernarg_segment_align: 8
    .kernarg_segment_size: 88
    .language:       OpenCL C
    .language_version:
      - 2
      - 0
    .max_flat_workgroup_size: 256
    .name:           _ZN7rocprim17ROCPRIM_400000_NS6detail17trampoline_kernelINS0_14default_configENS1_36segmented_radix_sort_config_selectorIslEEZNS1_25segmented_radix_sort_implIS3_Lb0EPKsPsPKlPlN2at6native12_GLOBAL__N_18offset_tEEE10hipError_tPvRmT1_PNSt15iterator_traitsISK_E10value_typeET2_T3_PNSL_ISQ_E10value_typeET4_jRbjT5_SW_jjP12ihipStream_tbEUlT_E0_NS1_11comp_targetILNS1_3genE5ELNS1_11target_archE942ELNS1_3gpuE9ELNS1_3repE0EEENS1_60segmented_radix_sort_warp_sort_medium_config_static_selectorELNS0_4arch9wavefront6targetE1EEEvSK_
    .private_segment_fixed_size: 0
    .sgpr_count:     4
    .sgpr_spill_count: 0
    .symbol:         _ZN7rocprim17ROCPRIM_400000_NS6detail17trampoline_kernelINS0_14default_configENS1_36segmented_radix_sort_config_selectorIslEEZNS1_25segmented_radix_sort_implIS3_Lb0EPKsPsPKlPlN2at6native12_GLOBAL__N_18offset_tEEE10hipError_tPvRmT1_PNSt15iterator_traitsISK_E10value_typeET2_T3_PNSL_ISQ_E10value_typeET4_jRbjT5_SW_jjP12ihipStream_tbEUlT_E0_NS1_11comp_targetILNS1_3genE5ELNS1_11target_archE942ELNS1_3gpuE9ELNS1_3repE0EEENS1_60segmented_radix_sort_warp_sort_medium_config_static_selectorELNS0_4arch9wavefront6targetE1EEEvSK_.kd
    .uniform_work_group_size: 1
    .uses_dynamic_stack: false
    .vgpr_count:     0
    .vgpr_spill_count: 0
    .wavefront_size: 64
  - .agpr_count:     0
    .args:
      - .offset:         0
        .size:           88
        .value_kind:     by_value
      - .offset:         88
        .size:           4
        .value_kind:     hidden_block_count_x
      - .offset:         92
        .size:           4
        .value_kind:     hidden_block_count_y
      - .offset:         96
        .size:           4
        .value_kind:     hidden_block_count_z
      - .offset:         100
        .size:           2
        .value_kind:     hidden_group_size_x
      - .offset:         102
        .size:           2
        .value_kind:     hidden_group_size_y
      - .offset:         104
        .size:           2
        .value_kind:     hidden_group_size_z
      - .offset:         106
        .size:           2
        .value_kind:     hidden_remainder_x
      - .offset:         108
        .size:           2
        .value_kind:     hidden_remainder_y
      - .offset:         110
        .size:           2
        .value_kind:     hidden_remainder_z
      - .offset:         128
        .size:           8
        .value_kind:     hidden_global_offset_x
      - .offset:         136
        .size:           8
        .value_kind:     hidden_global_offset_y
      - .offset:         144
        .size:           8
        .value_kind:     hidden_global_offset_z
      - .offset:         152
        .size:           2
        .value_kind:     hidden_grid_dims
      - .offset:         168
        .size:           8
        .value_kind:     hidden_hostcall_buffer
      - .offset:         176
        .size:           8
        .value_kind:     hidden_multigrid_sync_arg
      - .offset:         184
        .size:           8
        .value_kind:     hidden_heap_v1
      - .offset:         192
        .size:           8
        .value_kind:     hidden_default_queue
      - .offset:         200
        .size:           8
        .value_kind:     hidden_completion_action
      - .offset:         288
        .size:           8
        .value_kind:     hidden_queue_ptr
    .group_segment_fixed_size: 10240
    .kernarg_segment_align: 8
    .kernarg_segment_size: 344
    .language:       OpenCL C
    .language_version:
      - 2
      - 0
    .max_flat_workgroup_size: 256
    .name:           _ZN7rocprim17ROCPRIM_400000_NS6detail17trampoline_kernelINS0_14default_configENS1_36segmented_radix_sort_config_selectorIslEEZNS1_25segmented_radix_sort_implIS3_Lb0EPKsPsPKlPlN2at6native12_GLOBAL__N_18offset_tEEE10hipError_tPvRmT1_PNSt15iterator_traitsISK_E10value_typeET2_T3_PNSL_ISQ_E10value_typeET4_jRbjT5_SW_jjP12ihipStream_tbEUlT_E0_NS1_11comp_targetILNS1_3genE4ELNS1_11target_archE910ELNS1_3gpuE8ELNS1_3repE0EEENS1_60segmented_radix_sort_warp_sort_medium_config_static_selectorELNS0_4arch9wavefront6targetE1EEEvSK_
    .private_segment_fixed_size: 0
    .sgpr_count:     56
    .sgpr_spill_count: 0
    .symbol:         _ZN7rocprim17ROCPRIM_400000_NS6detail17trampoline_kernelINS0_14default_configENS1_36segmented_radix_sort_config_selectorIslEEZNS1_25segmented_radix_sort_implIS3_Lb0EPKsPsPKlPlN2at6native12_GLOBAL__N_18offset_tEEE10hipError_tPvRmT1_PNSt15iterator_traitsISK_E10value_typeET2_T3_PNSL_ISQ_E10value_typeET4_jRbjT5_SW_jjP12ihipStream_tbEUlT_E0_NS1_11comp_targetILNS1_3genE4ELNS1_11target_archE910ELNS1_3gpuE8ELNS1_3repE0EEENS1_60segmented_radix_sort_warp_sort_medium_config_static_selectorELNS0_4arch9wavefront6targetE1EEEvSK_.kd
    .uniform_work_group_size: 1
    .uses_dynamic_stack: false
    .vgpr_count:     88
    .vgpr_spill_count: 0
    .wavefront_size: 64
  - .agpr_count:     0
    .args:
      - .offset:         0
        .size:           88
        .value_kind:     by_value
    .group_segment_fixed_size: 0
    .kernarg_segment_align: 8
    .kernarg_segment_size: 88
    .language:       OpenCL C
    .language_version:
      - 2
      - 0
    .max_flat_workgroup_size: 256
    .name:           _ZN7rocprim17ROCPRIM_400000_NS6detail17trampoline_kernelINS0_14default_configENS1_36segmented_radix_sort_config_selectorIslEEZNS1_25segmented_radix_sort_implIS3_Lb0EPKsPsPKlPlN2at6native12_GLOBAL__N_18offset_tEEE10hipError_tPvRmT1_PNSt15iterator_traitsISK_E10value_typeET2_T3_PNSL_ISQ_E10value_typeET4_jRbjT5_SW_jjP12ihipStream_tbEUlT_E0_NS1_11comp_targetILNS1_3genE3ELNS1_11target_archE908ELNS1_3gpuE7ELNS1_3repE0EEENS1_60segmented_radix_sort_warp_sort_medium_config_static_selectorELNS0_4arch9wavefront6targetE1EEEvSK_
    .private_segment_fixed_size: 0
    .sgpr_count:     4
    .sgpr_spill_count: 0
    .symbol:         _ZN7rocprim17ROCPRIM_400000_NS6detail17trampoline_kernelINS0_14default_configENS1_36segmented_radix_sort_config_selectorIslEEZNS1_25segmented_radix_sort_implIS3_Lb0EPKsPsPKlPlN2at6native12_GLOBAL__N_18offset_tEEE10hipError_tPvRmT1_PNSt15iterator_traitsISK_E10value_typeET2_T3_PNSL_ISQ_E10value_typeET4_jRbjT5_SW_jjP12ihipStream_tbEUlT_E0_NS1_11comp_targetILNS1_3genE3ELNS1_11target_archE908ELNS1_3gpuE7ELNS1_3repE0EEENS1_60segmented_radix_sort_warp_sort_medium_config_static_selectorELNS0_4arch9wavefront6targetE1EEEvSK_.kd
    .uniform_work_group_size: 1
    .uses_dynamic_stack: false
    .vgpr_count:     0
    .vgpr_spill_count: 0
    .wavefront_size: 64
  - .agpr_count:     0
    .args:
      - .offset:         0
        .size:           88
        .value_kind:     by_value
    .group_segment_fixed_size: 0
    .kernarg_segment_align: 8
    .kernarg_segment_size: 88
    .language:       OpenCL C
    .language_version:
      - 2
      - 0
    .max_flat_workgroup_size: 256
    .name:           _ZN7rocprim17ROCPRIM_400000_NS6detail17trampoline_kernelINS0_14default_configENS1_36segmented_radix_sort_config_selectorIslEEZNS1_25segmented_radix_sort_implIS3_Lb0EPKsPsPKlPlN2at6native12_GLOBAL__N_18offset_tEEE10hipError_tPvRmT1_PNSt15iterator_traitsISK_E10value_typeET2_T3_PNSL_ISQ_E10value_typeET4_jRbjT5_SW_jjP12ihipStream_tbEUlT_E0_NS1_11comp_targetILNS1_3genE2ELNS1_11target_archE906ELNS1_3gpuE6ELNS1_3repE0EEENS1_60segmented_radix_sort_warp_sort_medium_config_static_selectorELNS0_4arch9wavefront6targetE1EEEvSK_
    .private_segment_fixed_size: 0
    .sgpr_count:     4
    .sgpr_spill_count: 0
    .symbol:         _ZN7rocprim17ROCPRIM_400000_NS6detail17trampoline_kernelINS0_14default_configENS1_36segmented_radix_sort_config_selectorIslEEZNS1_25segmented_radix_sort_implIS3_Lb0EPKsPsPKlPlN2at6native12_GLOBAL__N_18offset_tEEE10hipError_tPvRmT1_PNSt15iterator_traitsISK_E10value_typeET2_T3_PNSL_ISQ_E10value_typeET4_jRbjT5_SW_jjP12ihipStream_tbEUlT_E0_NS1_11comp_targetILNS1_3genE2ELNS1_11target_archE906ELNS1_3gpuE6ELNS1_3repE0EEENS1_60segmented_radix_sort_warp_sort_medium_config_static_selectorELNS0_4arch9wavefront6targetE1EEEvSK_.kd
    .uniform_work_group_size: 1
    .uses_dynamic_stack: false
    .vgpr_count:     0
    .vgpr_spill_count: 0
    .wavefront_size: 64
  - .agpr_count:     0
    .args:
      - .offset:         0
        .size:           88
        .value_kind:     by_value
    .group_segment_fixed_size: 0
    .kernarg_segment_align: 8
    .kernarg_segment_size: 88
    .language:       OpenCL C
    .language_version:
      - 2
      - 0
    .max_flat_workgroup_size: 256
    .name:           _ZN7rocprim17ROCPRIM_400000_NS6detail17trampoline_kernelINS0_14default_configENS1_36segmented_radix_sort_config_selectorIslEEZNS1_25segmented_radix_sort_implIS3_Lb0EPKsPsPKlPlN2at6native12_GLOBAL__N_18offset_tEEE10hipError_tPvRmT1_PNSt15iterator_traitsISK_E10value_typeET2_T3_PNSL_ISQ_E10value_typeET4_jRbjT5_SW_jjP12ihipStream_tbEUlT_E0_NS1_11comp_targetILNS1_3genE10ELNS1_11target_archE1201ELNS1_3gpuE5ELNS1_3repE0EEENS1_60segmented_radix_sort_warp_sort_medium_config_static_selectorELNS0_4arch9wavefront6targetE1EEEvSK_
    .private_segment_fixed_size: 0
    .sgpr_count:     4
    .sgpr_spill_count: 0
    .symbol:         _ZN7rocprim17ROCPRIM_400000_NS6detail17trampoline_kernelINS0_14default_configENS1_36segmented_radix_sort_config_selectorIslEEZNS1_25segmented_radix_sort_implIS3_Lb0EPKsPsPKlPlN2at6native12_GLOBAL__N_18offset_tEEE10hipError_tPvRmT1_PNSt15iterator_traitsISK_E10value_typeET2_T3_PNSL_ISQ_E10value_typeET4_jRbjT5_SW_jjP12ihipStream_tbEUlT_E0_NS1_11comp_targetILNS1_3genE10ELNS1_11target_archE1201ELNS1_3gpuE5ELNS1_3repE0EEENS1_60segmented_radix_sort_warp_sort_medium_config_static_selectorELNS0_4arch9wavefront6targetE1EEEvSK_.kd
    .uniform_work_group_size: 1
    .uses_dynamic_stack: false
    .vgpr_count:     0
    .vgpr_spill_count: 0
    .wavefront_size: 64
  - .agpr_count:     0
    .args:
      - .offset:         0
        .size:           88
        .value_kind:     by_value
    .group_segment_fixed_size: 0
    .kernarg_segment_align: 8
    .kernarg_segment_size: 88
    .language:       OpenCL C
    .language_version:
      - 2
      - 0
    .max_flat_workgroup_size: 256
    .name:           _ZN7rocprim17ROCPRIM_400000_NS6detail17trampoline_kernelINS0_14default_configENS1_36segmented_radix_sort_config_selectorIslEEZNS1_25segmented_radix_sort_implIS3_Lb0EPKsPsPKlPlN2at6native12_GLOBAL__N_18offset_tEEE10hipError_tPvRmT1_PNSt15iterator_traitsISK_E10value_typeET2_T3_PNSL_ISQ_E10value_typeET4_jRbjT5_SW_jjP12ihipStream_tbEUlT_E0_NS1_11comp_targetILNS1_3genE10ELNS1_11target_archE1200ELNS1_3gpuE4ELNS1_3repE0EEENS1_60segmented_radix_sort_warp_sort_medium_config_static_selectorELNS0_4arch9wavefront6targetE1EEEvSK_
    .private_segment_fixed_size: 0
    .sgpr_count:     4
    .sgpr_spill_count: 0
    .symbol:         _ZN7rocprim17ROCPRIM_400000_NS6detail17trampoline_kernelINS0_14default_configENS1_36segmented_radix_sort_config_selectorIslEEZNS1_25segmented_radix_sort_implIS3_Lb0EPKsPsPKlPlN2at6native12_GLOBAL__N_18offset_tEEE10hipError_tPvRmT1_PNSt15iterator_traitsISK_E10value_typeET2_T3_PNSL_ISQ_E10value_typeET4_jRbjT5_SW_jjP12ihipStream_tbEUlT_E0_NS1_11comp_targetILNS1_3genE10ELNS1_11target_archE1200ELNS1_3gpuE4ELNS1_3repE0EEENS1_60segmented_radix_sort_warp_sort_medium_config_static_selectorELNS0_4arch9wavefront6targetE1EEEvSK_.kd
    .uniform_work_group_size: 1
    .uses_dynamic_stack: false
    .vgpr_count:     0
    .vgpr_spill_count: 0
    .wavefront_size: 64
  - .agpr_count:     0
    .args:
      - .offset:         0
        .size:           88
        .value_kind:     by_value
    .group_segment_fixed_size: 0
    .kernarg_segment_align: 8
    .kernarg_segment_size: 88
    .language:       OpenCL C
    .language_version:
      - 2
      - 0
    .max_flat_workgroup_size: 256
    .name:           _ZN7rocprim17ROCPRIM_400000_NS6detail17trampoline_kernelINS0_14default_configENS1_36segmented_radix_sort_config_selectorIslEEZNS1_25segmented_radix_sort_implIS3_Lb0EPKsPsPKlPlN2at6native12_GLOBAL__N_18offset_tEEE10hipError_tPvRmT1_PNSt15iterator_traitsISK_E10value_typeET2_T3_PNSL_ISQ_E10value_typeET4_jRbjT5_SW_jjP12ihipStream_tbEUlT_E0_NS1_11comp_targetILNS1_3genE9ELNS1_11target_archE1100ELNS1_3gpuE3ELNS1_3repE0EEENS1_60segmented_radix_sort_warp_sort_medium_config_static_selectorELNS0_4arch9wavefront6targetE1EEEvSK_
    .private_segment_fixed_size: 0
    .sgpr_count:     4
    .sgpr_spill_count: 0
    .symbol:         _ZN7rocprim17ROCPRIM_400000_NS6detail17trampoline_kernelINS0_14default_configENS1_36segmented_radix_sort_config_selectorIslEEZNS1_25segmented_radix_sort_implIS3_Lb0EPKsPsPKlPlN2at6native12_GLOBAL__N_18offset_tEEE10hipError_tPvRmT1_PNSt15iterator_traitsISK_E10value_typeET2_T3_PNSL_ISQ_E10value_typeET4_jRbjT5_SW_jjP12ihipStream_tbEUlT_E0_NS1_11comp_targetILNS1_3genE9ELNS1_11target_archE1100ELNS1_3gpuE3ELNS1_3repE0EEENS1_60segmented_radix_sort_warp_sort_medium_config_static_selectorELNS0_4arch9wavefront6targetE1EEEvSK_.kd
    .uniform_work_group_size: 1
    .uses_dynamic_stack: false
    .vgpr_count:     0
    .vgpr_spill_count: 0
    .wavefront_size: 64
  - .agpr_count:     0
    .args:
      - .offset:         0
        .size:           88
        .value_kind:     by_value
    .group_segment_fixed_size: 0
    .kernarg_segment_align: 8
    .kernarg_segment_size: 88
    .language:       OpenCL C
    .language_version:
      - 2
      - 0
    .max_flat_workgroup_size: 256
    .name:           _ZN7rocprim17ROCPRIM_400000_NS6detail17trampoline_kernelINS0_14default_configENS1_36segmented_radix_sort_config_selectorIslEEZNS1_25segmented_radix_sort_implIS3_Lb0EPKsPsPKlPlN2at6native12_GLOBAL__N_18offset_tEEE10hipError_tPvRmT1_PNSt15iterator_traitsISK_E10value_typeET2_T3_PNSL_ISQ_E10value_typeET4_jRbjT5_SW_jjP12ihipStream_tbEUlT_E0_NS1_11comp_targetILNS1_3genE8ELNS1_11target_archE1030ELNS1_3gpuE2ELNS1_3repE0EEENS1_60segmented_radix_sort_warp_sort_medium_config_static_selectorELNS0_4arch9wavefront6targetE1EEEvSK_
    .private_segment_fixed_size: 0
    .sgpr_count:     4
    .sgpr_spill_count: 0
    .symbol:         _ZN7rocprim17ROCPRIM_400000_NS6detail17trampoline_kernelINS0_14default_configENS1_36segmented_radix_sort_config_selectorIslEEZNS1_25segmented_radix_sort_implIS3_Lb0EPKsPsPKlPlN2at6native12_GLOBAL__N_18offset_tEEE10hipError_tPvRmT1_PNSt15iterator_traitsISK_E10value_typeET2_T3_PNSL_ISQ_E10value_typeET4_jRbjT5_SW_jjP12ihipStream_tbEUlT_E0_NS1_11comp_targetILNS1_3genE8ELNS1_11target_archE1030ELNS1_3gpuE2ELNS1_3repE0EEENS1_60segmented_radix_sort_warp_sort_medium_config_static_selectorELNS0_4arch9wavefront6targetE1EEEvSK_.kd
    .uniform_work_group_size: 1
    .uses_dynamic_stack: false
    .vgpr_count:     0
    .vgpr_spill_count: 0
    .wavefront_size: 64
  - .agpr_count:     0
    .args:
      - .offset:         0
        .size:           88
        .value_kind:     by_value
    .group_segment_fixed_size: 0
    .kernarg_segment_align: 8
    .kernarg_segment_size: 88
    .language:       OpenCL C
    .language_version:
      - 2
      - 0
    .max_flat_workgroup_size: 256
    .name:           _ZN7rocprim17ROCPRIM_400000_NS6detail17trampoline_kernelINS0_14default_configENS1_36segmented_radix_sort_config_selectorIslEEZNS1_25segmented_radix_sort_implIS3_Lb0EPKsPsPKlPlN2at6native12_GLOBAL__N_18offset_tEEE10hipError_tPvRmT1_PNSt15iterator_traitsISK_E10value_typeET2_T3_PNSL_ISQ_E10value_typeET4_jRbjT5_SW_jjP12ihipStream_tbEUlT_E1_NS1_11comp_targetILNS1_3genE0ELNS1_11target_archE4294967295ELNS1_3gpuE0ELNS1_3repE0EEENS1_59segmented_radix_sort_warp_sort_small_config_static_selectorELNS0_4arch9wavefront6targetE1EEEvSK_
    .private_segment_fixed_size: 0
    .sgpr_count:     4
    .sgpr_spill_count: 0
    .symbol:         _ZN7rocprim17ROCPRIM_400000_NS6detail17trampoline_kernelINS0_14default_configENS1_36segmented_radix_sort_config_selectorIslEEZNS1_25segmented_radix_sort_implIS3_Lb0EPKsPsPKlPlN2at6native12_GLOBAL__N_18offset_tEEE10hipError_tPvRmT1_PNSt15iterator_traitsISK_E10value_typeET2_T3_PNSL_ISQ_E10value_typeET4_jRbjT5_SW_jjP12ihipStream_tbEUlT_E1_NS1_11comp_targetILNS1_3genE0ELNS1_11target_archE4294967295ELNS1_3gpuE0ELNS1_3repE0EEENS1_59segmented_radix_sort_warp_sort_small_config_static_selectorELNS0_4arch9wavefront6targetE1EEEvSK_.kd
    .uniform_work_group_size: 1
    .uses_dynamic_stack: false
    .vgpr_count:     0
    .vgpr_spill_count: 0
    .wavefront_size: 64
  - .agpr_count:     0
    .args:
      - .offset:         0
        .size:           88
        .value_kind:     by_value
    .group_segment_fixed_size: 0
    .kernarg_segment_align: 8
    .kernarg_segment_size: 88
    .language:       OpenCL C
    .language_version:
      - 2
      - 0
    .max_flat_workgroup_size: 256
    .name:           _ZN7rocprim17ROCPRIM_400000_NS6detail17trampoline_kernelINS0_14default_configENS1_36segmented_radix_sort_config_selectorIslEEZNS1_25segmented_radix_sort_implIS3_Lb0EPKsPsPKlPlN2at6native12_GLOBAL__N_18offset_tEEE10hipError_tPvRmT1_PNSt15iterator_traitsISK_E10value_typeET2_T3_PNSL_ISQ_E10value_typeET4_jRbjT5_SW_jjP12ihipStream_tbEUlT_E1_NS1_11comp_targetILNS1_3genE5ELNS1_11target_archE942ELNS1_3gpuE9ELNS1_3repE0EEENS1_59segmented_radix_sort_warp_sort_small_config_static_selectorELNS0_4arch9wavefront6targetE1EEEvSK_
    .private_segment_fixed_size: 0
    .sgpr_count:     4
    .sgpr_spill_count: 0
    .symbol:         _ZN7rocprim17ROCPRIM_400000_NS6detail17trampoline_kernelINS0_14default_configENS1_36segmented_radix_sort_config_selectorIslEEZNS1_25segmented_radix_sort_implIS3_Lb0EPKsPsPKlPlN2at6native12_GLOBAL__N_18offset_tEEE10hipError_tPvRmT1_PNSt15iterator_traitsISK_E10value_typeET2_T3_PNSL_ISQ_E10value_typeET4_jRbjT5_SW_jjP12ihipStream_tbEUlT_E1_NS1_11comp_targetILNS1_3genE5ELNS1_11target_archE942ELNS1_3gpuE9ELNS1_3repE0EEENS1_59segmented_radix_sort_warp_sort_small_config_static_selectorELNS0_4arch9wavefront6targetE1EEEvSK_.kd
    .uniform_work_group_size: 1
    .uses_dynamic_stack: false
    .vgpr_count:     0
    .vgpr_spill_count: 0
    .wavefront_size: 64
  - .agpr_count:     0
    .args:
      - .offset:         0
        .size:           88
        .value_kind:     by_value
      - .offset:         88
        .size:           4
        .value_kind:     hidden_block_count_x
      - .offset:         92
        .size:           4
        .value_kind:     hidden_block_count_y
      - .offset:         96
        .size:           4
        .value_kind:     hidden_block_count_z
      - .offset:         100
        .size:           2
        .value_kind:     hidden_group_size_x
      - .offset:         102
        .size:           2
        .value_kind:     hidden_group_size_y
      - .offset:         104
        .size:           2
        .value_kind:     hidden_group_size_z
      - .offset:         106
        .size:           2
        .value_kind:     hidden_remainder_x
      - .offset:         108
        .size:           2
        .value_kind:     hidden_remainder_y
      - .offset:         110
        .size:           2
        .value_kind:     hidden_remainder_z
      - .offset:         128
        .size:           8
        .value_kind:     hidden_global_offset_x
      - .offset:         136
        .size:           8
        .value_kind:     hidden_global_offset_y
      - .offset:         144
        .size:           8
        .value_kind:     hidden_global_offset_z
      - .offset:         152
        .size:           2
        .value_kind:     hidden_grid_dims
      - .offset:         168
        .size:           8
        .value_kind:     hidden_hostcall_buffer
      - .offset:         176
        .size:           8
        .value_kind:     hidden_multigrid_sync_arg
      - .offset:         184
        .size:           8
        .value_kind:     hidden_heap_v1
      - .offset:         192
        .size:           8
        .value_kind:     hidden_default_queue
      - .offset:         200
        .size:           8
        .value_kind:     hidden_completion_action
      - .offset:         288
        .size:           8
        .value_kind:     hidden_queue_ptr
    .group_segment_fixed_size: 10240
    .kernarg_segment_align: 8
    .kernarg_segment_size: 344
    .language:       OpenCL C
    .language_version:
      - 2
      - 0
    .max_flat_workgroup_size: 256
    .name:           _ZN7rocprim17ROCPRIM_400000_NS6detail17trampoline_kernelINS0_14default_configENS1_36segmented_radix_sort_config_selectorIslEEZNS1_25segmented_radix_sort_implIS3_Lb0EPKsPsPKlPlN2at6native12_GLOBAL__N_18offset_tEEE10hipError_tPvRmT1_PNSt15iterator_traitsISK_E10value_typeET2_T3_PNSL_ISQ_E10value_typeET4_jRbjT5_SW_jjP12ihipStream_tbEUlT_E1_NS1_11comp_targetILNS1_3genE4ELNS1_11target_archE910ELNS1_3gpuE8ELNS1_3repE0EEENS1_59segmented_radix_sort_warp_sort_small_config_static_selectorELNS0_4arch9wavefront6targetE1EEEvSK_
    .private_segment_fixed_size: 0
    .sgpr_count:     56
    .sgpr_spill_count: 0
    .symbol:         _ZN7rocprim17ROCPRIM_400000_NS6detail17trampoline_kernelINS0_14default_configENS1_36segmented_radix_sort_config_selectorIslEEZNS1_25segmented_radix_sort_implIS3_Lb0EPKsPsPKlPlN2at6native12_GLOBAL__N_18offset_tEEE10hipError_tPvRmT1_PNSt15iterator_traitsISK_E10value_typeET2_T3_PNSL_ISQ_E10value_typeET4_jRbjT5_SW_jjP12ihipStream_tbEUlT_E1_NS1_11comp_targetILNS1_3genE4ELNS1_11target_archE910ELNS1_3gpuE8ELNS1_3repE0EEENS1_59segmented_radix_sort_warp_sort_small_config_static_selectorELNS0_4arch9wavefront6targetE1EEEvSK_.kd
    .uniform_work_group_size: 1
    .uses_dynamic_stack: false
    .vgpr_count:     88
    .vgpr_spill_count: 0
    .wavefront_size: 64
  - .agpr_count:     0
    .args:
      - .offset:         0
        .size:           88
        .value_kind:     by_value
    .group_segment_fixed_size: 0
    .kernarg_segment_align: 8
    .kernarg_segment_size: 88
    .language:       OpenCL C
    .language_version:
      - 2
      - 0
    .max_flat_workgroup_size: 256
    .name:           _ZN7rocprim17ROCPRIM_400000_NS6detail17trampoline_kernelINS0_14default_configENS1_36segmented_radix_sort_config_selectorIslEEZNS1_25segmented_radix_sort_implIS3_Lb0EPKsPsPKlPlN2at6native12_GLOBAL__N_18offset_tEEE10hipError_tPvRmT1_PNSt15iterator_traitsISK_E10value_typeET2_T3_PNSL_ISQ_E10value_typeET4_jRbjT5_SW_jjP12ihipStream_tbEUlT_E1_NS1_11comp_targetILNS1_3genE3ELNS1_11target_archE908ELNS1_3gpuE7ELNS1_3repE0EEENS1_59segmented_radix_sort_warp_sort_small_config_static_selectorELNS0_4arch9wavefront6targetE1EEEvSK_
    .private_segment_fixed_size: 0
    .sgpr_count:     4
    .sgpr_spill_count: 0
    .symbol:         _ZN7rocprim17ROCPRIM_400000_NS6detail17trampoline_kernelINS0_14default_configENS1_36segmented_radix_sort_config_selectorIslEEZNS1_25segmented_radix_sort_implIS3_Lb0EPKsPsPKlPlN2at6native12_GLOBAL__N_18offset_tEEE10hipError_tPvRmT1_PNSt15iterator_traitsISK_E10value_typeET2_T3_PNSL_ISQ_E10value_typeET4_jRbjT5_SW_jjP12ihipStream_tbEUlT_E1_NS1_11comp_targetILNS1_3genE3ELNS1_11target_archE908ELNS1_3gpuE7ELNS1_3repE0EEENS1_59segmented_radix_sort_warp_sort_small_config_static_selectorELNS0_4arch9wavefront6targetE1EEEvSK_.kd
    .uniform_work_group_size: 1
    .uses_dynamic_stack: false
    .vgpr_count:     0
    .vgpr_spill_count: 0
    .wavefront_size: 64
  - .agpr_count:     0
    .args:
      - .offset:         0
        .size:           88
        .value_kind:     by_value
    .group_segment_fixed_size: 0
    .kernarg_segment_align: 8
    .kernarg_segment_size: 88
    .language:       OpenCL C
    .language_version:
      - 2
      - 0
    .max_flat_workgroup_size: 256
    .name:           _ZN7rocprim17ROCPRIM_400000_NS6detail17trampoline_kernelINS0_14default_configENS1_36segmented_radix_sort_config_selectorIslEEZNS1_25segmented_radix_sort_implIS3_Lb0EPKsPsPKlPlN2at6native12_GLOBAL__N_18offset_tEEE10hipError_tPvRmT1_PNSt15iterator_traitsISK_E10value_typeET2_T3_PNSL_ISQ_E10value_typeET4_jRbjT5_SW_jjP12ihipStream_tbEUlT_E1_NS1_11comp_targetILNS1_3genE2ELNS1_11target_archE906ELNS1_3gpuE6ELNS1_3repE0EEENS1_59segmented_radix_sort_warp_sort_small_config_static_selectorELNS0_4arch9wavefront6targetE1EEEvSK_
    .private_segment_fixed_size: 0
    .sgpr_count:     4
    .sgpr_spill_count: 0
    .symbol:         _ZN7rocprim17ROCPRIM_400000_NS6detail17trampoline_kernelINS0_14default_configENS1_36segmented_radix_sort_config_selectorIslEEZNS1_25segmented_radix_sort_implIS3_Lb0EPKsPsPKlPlN2at6native12_GLOBAL__N_18offset_tEEE10hipError_tPvRmT1_PNSt15iterator_traitsISK_E10value_typeET2_T3_PNSL_ISQ_E10value_typeET4_jRbjT5_SW_jjP12ihipStream_tbEUlT_E1_NS1_11comp_targetILNS1_3genE2ELNS1_11target_archE906ELNS1_3gpuE6ELNS1_3repE0EEENS1_59segmented_radix_sort_warp_sort_small_config_static_selectorELNS0_4arch9wavefront6targetE1EEEvSK_.kd
    .uniform_work_group_size: 1
    .uses_dynamic_stack: false
    .vgpr_count:     0
    .vgpr_spill_count: 0
    .wavefront_size: 64
  - .agpr_count:     0
    .args:
      - .offset:         0
        .size:           88
        .value_kind:     by_value
    .group_segment_fixed_size: 0
    .kernarg_segment_align: 8
    .kernarg_segment_size: 88
    .language:       OpenCL C
    .language_version:
      - 2
      - 0
    .max_flat_workgroup_size: 256
    .name:           _ZN7rocprim17ROCPRIM_400000_NS6detail17trampoline_kernelINS0_14default_configENS1_36segmented_radix_sort_config_selectorIslEEZNS1_25segmented_radix_sort_implIS3_Lb0EPKsPsPKlPlN2at6native12_GLOBAL__N_18offset_tEEE10hipError_tPvRmT1_PNSt15iterator_traitsISK_E10value_typeET2_T3_PNSL_ISQ_E10value_typeET4_jRbjT5_SW_jjP12ihipStream_tbEUlT_E1_NS1_11comp_targetILNS1_3genE10ELNS1_11target_archE1201ELNS1_3gpuE5ELNS1_3repE0EEENS1_59segmented_radix_sort_warp_sort_small_config_static_selectorELNS0_4arch9wavefront6targetE1EEEvSK_
    .private_segment_fixed_size: 0
    .sgpr_count:     4
    .sgpr_spill_count: 0
    .symbol:         _ZN7rocprim17ROCPRIM_400000_NS6detail17trampoline_kernelINS0_14default_configENS1_36segmented_radix_sort_config_selectorIslEEZNS1_25segmented_radix_sort_implIS3_Lb0EPKsPsPKlPlN2at6native12_GLOBAL__N_18offset_tEEE10hipError_tPvRmT1_PNSt15iterator_traitsISK_E10value_typeET2_T3_PNSL_ISQ_E10value_typeET4_jRbjT5_SW_jjP12ihipStream_tbEUlT_E1_NS1_11comp_targetILNS1_3genE10ELNS1_11target_archE1201ELNS1_3gpuE5ELNS1_3repE0EEENS1_59segmented_radix_sort_warp_sort_small_config_static_selectorELNS0_4arch9wavefront6targetE1EEEvSK_.kd
    .uniform_work_group_size: 1
    .uses_dynamic_stack: false
    .vgpr_count:     0
    .vgpr_spill_count: 0
    .wavefront_size: 64
  - .agpr_count:     0
    .args:
      - .offset:         0
        .size:           88
        .value_kind:     by_value
    .group_segment_fixed_size: 0
    .kernarg_segment_align: 8
    .kernarg_segment_size: 88
    .language:       OpenCL C
    .language_version:
      - 2
      - 0
    .max_flat_workgroup_size: 256
    .name:           _ZN7rocprim17ROCPRIM_400000_NS6detail17trampoline_kernelINS0_14default_configENS1_36segmented_radix_sort_config_selectorIslEEZNS1_25segmented_radix_sort_implIS3_Lb0EPKsPsPKlPlN2at6native12_GLOBAL__N_18offset_tEEE10hipError_tPvRmT1_PNSt15iterator_traitsISK_E10value_typeET2_T3_PNSL_ISQ_E10value_typeET4_jRbjT5_SW_jjP12ihipStream_tbEUlT_E1_NS1_11comp_targetILNS1_3genE10ELNS1_11target_archE1200ELNS1_3gpuE4ELNS1_3repE0EEENS1_59segmented_radix_sort_warp_sort_small_config_static_selectorELNS0_4arch9wavefront6targetE1EEEvSK_
    .private_segment_fixed_size: 0
    .sgpr_count:     4
    .sgpr_spill_count: 0
    .symbol:         _ZN7rocprim17ROCPRIM_400000_NS6detail17trampoline_kernelINS0_14default_configENS1_36segmented_radix_sort_config_selectorIslEEZNS1_25segmented_radix_sort_implIS3_Lb0EPKsPsPKlPlN2at6native12_GLOBAL__N_18offset_tEEE10hipError_tPvRmT1_PNSt15iterator_traitsISK_E10value_typeET2_T3_PNSL_ISQ_E10value_typeET4_jRbjT5_SW_jjP12ihipStream_tbEUlT_E1_NS1_11comp_targetILNS1_3genE10ELNS1_11target_archE1200ELNS1_3gpuE4ELNS1_3repE0EEENS1_59segmented_radix_sort_warp_sort_small_config_static_selectorELNS0_4arch9wavefront6targetE1EEEvSK_.kd
    .uniform_work_group_size: 1
    .uses_dynamic_stack: false
    .vgpr_count:     0
    .vgpr_spill_count: 0
    .wavefront_size: 64
  - .agpr_count:     0
    .args:
      - .offset:         0
        .size:           88
        .value_kind:     by_value
    .group_segment_fixed_size: 0
    .kernarg_segment_align: 8
    .kernarg_segment_size: 88
    .language:       OpenCL C
    .language_version:
      - 2
      - 0
    .max_flat_workgroup_size: 256
    .name:           _ZN7rocprim17ROCPRIM_400000_NS6detail17trampoline_kernelINS0_14default_configENS1_36segmented_radix_sort_config_selectorIslEEZNS1_25segmented_radix_sort_implIS3_Lb0EPKsPsPKlPlN2at6native12_GLOBAL__N_18offset_tEEE10hipError_tPvRmT1_PNSt15iterator_traitsISK_E10value_typeET2_T3_PNSL_ISQ_E10value_typeET4_jRbjT5_SW_jjP12ihipStream_tbEUlT_E1_NS1_11comp_targetILNS1_3genE9ELNS1_11target_archE1100ELNS1_3gpuE3ELNS1_3repE0EEENS1_59segmented_radix_sort_warp_sort_small_config_static_selectorELNS0_4arch9wavefront6targetE1EEEvSK_
    .private_segment_fixed_size: 0
    .sgpr_count:     4
    .sgpr_spill_count: 0
    .symbol:         _ZN7rocprim17ROCPRIM_400000_NS6detail17trampoline_kernelINS0_14default_configENS1_36segmented_radix_sort_config_selectorIslEEZNS1_25segmented_radix_sort_implIS3_Lb0EPKsPsPKlPlN2at6native12_GLOBAL__N_18offset_tEEE10hipError_tPvRmT1_PNSt15iterator_traitsISK_E10value_typeET2_T3_PNSL_ISQ_E10value_typeET4_jRbjT5_SW_jjP12ihipStream_tbEUlT_E1_NS1_11comp_targetILNS1_3genE9ELNS1_11target_archE1100ELNS1_3gpuE3ELNS1_3repE0EEENS1_59segmented_radix_sort_warp_sort_small_config_static_selectorELNS0_4arch9wavefront6targetE1EEEvSK_.kd
    .uniform_work_group_size: 1
    .uses_dynamic_stack: false
    .vgpr_count:     0
    .vgpr_spill_count: 0
    .wavefront_size: 64
  - .agpr_count:     0
    .args:
      - .offset:         0
        .size:           88
        .value_kind:     by_value
    .group_segment_fixed_size: 0
    .kernarg_segment_align: 8
    .kernarg_segment_size: 88
    .language:       OpenCL C
    .language_version:
      - 2
      - 0
    .max_flat_workgroup_size: 256
    .name:           _ZN7rocprim17ROCPRIM_400000_NS6detail17trampoline_kernelINS0_14default_configENS1_36segmented_radix_sort_config_selectorIslEEZNS1_25segmented_radix_sort_implIS3_Lb0EPKsPsPKlPlN2at6native12_GLOBAL__N_18offset_tEEE10hipError_tPvRmT1_PNSt15iterator_traitsISK_E10value_typeET2_T3_PNSL_ISQ_E10value_typeET4_jRbjT5_SW_jjP12ihipStream_tbEUlT_E1_NS1_11comp_targetILNS1_3genE8ELNS1_11target_archE1030ELNS1_3gpuE2ELNS1_3repE0EEENS1_59segmented_radix_sort_warp_sort_small_config_static_selectorELNS0_4arch9wavefront6targetE1EEEvSK_
    .private_segment_fixed_size: 0
    .sgpr_count:     4
    .sgpr_spill_count: 0
    .symbol:         _ZN7rocprim17ROCPRIM_400000_NS6detail17trampoline_kernelINS0_14default_configENS1_36segmented_radix_sort_config_selectorIslEEZNS1_25segmented_radix_sort_implIS3_Lb0EPKsPsPKlPlN2at6native12_GLOBAL__N_18offset_tEEE10hipError_tPvRmT1_PNSt15iterator_traitsISK_E10value_typeET2_T3_PNSL_ISQ_E10value_typeET4_jRbjT5_SW_jjP12ihipStream_tbEUlT_E1_NS1_11comp_targetILNS1_3genE8ELNS1_11target_archE1030ELNS1_3gpuE2ELNS1_3repE0EEENS1_59segmented_radix_sort_warp_sort_small_config_static_selectorELNS0_4arch9wavefront6targetE1EEEvSK_.kd
    .uniform_work_group_size: 1
    .uses_dynamic_stack: false
    .vgpr_count:     0
    .vgpr_spill_count: 0
    .wavefront_size: 64
  - .agpr_count:     0
    .args:
      - .offset:         0
        .size:           80
        .value_kind:     by_value
    .group_segment_fixed_size: 0
    .kernarg_segment_align: 8
    .kernarg_segment_size: 80
    .language:       OpenCL C
    .language_version:
      - 2
      - 0
    .max_flat_workgroup_size: 256
    .name:           _ZN7rocprim17ROCPRIM_400000_NS6detail17trampoline_kernelINS0_14default_configENS1_36segmented_radix_sort_config_selectorIslEEZNS1_25segmented_radix_sort_implIS3_Lb0EPKsPsPKlPlN2at6native12_GLOBAL__N_18offset_tEEE10hipError_tPvRmT1_PNSt15iterator_traitsISK_E10value_typeET2_T3_PNSL_ISQ_E10value_typeET4_jRbjT5_SW_jjP12ihipStream_tbEUlT_E2_NS1_11comp_targetILNS1_3genE0ELNS1_11target_archE4294967295ELNS1_3gpuE0ELNS1_3repE0EEENS1_30default_config_static_selectorELNS0_4arch9wavefront6targetE1EEEvSK_
    .private_segment_fixed_size: 0
    .sgpr_count:     4
    .sgpr_spill_count: 0
    .symbol:         _ZN7rocprim17ROCPRIM_400000_NS6detail17trampoline_kernelINS0_14default_configENS1_36segmented_radix_sort_config_selectorIslEEZNS1_25segmented_radix_sort_implIS3_Lb0EPKsPsPKlPlN2at6native12_GLOBAL__N_18offset_tEEE10hipError_tPvRmT1_PNSt15iterator_traitsISK_E10value_typeET2_T3_PNSL_ISQ_E10value_typeET4_jRbjT5_SW_jjP12ihipStream_tbEUlT_E2_NS1_11comp_targetILNS1_3genE0ELNS1_11target_archE4294967295ELNS1_3gpuE0ELNS1_3repE0EEENS1_30default_config_static_selectorELNS0_4arch9wavefront6targetE1EEEvSK_.kd
    .uniform_work_group_size: 1
    .uses_dynamic_stack: false
    .vgpr_count:     0
    .vgpr_spill_count: 0
    .wavefront_size: 64
  - .agpr_count:     0
    .args:
      - .offset:         0
        .size:           80
        .value_kind:     by_value
    .group_segment_fixed_size: 0
    .kernarg_segment_align: 8
    .kernarg_segment_size: 80
    .language:       OpenCL C
    .language_version:
      - 2
      - 0
    .max_flat_workgroup_size: 256
    .name:           _ZN7rocprim17ROCPRIM_400000_NS6detail17trampoline_kernelINS0_14default_configENS1_36segmented_radix_sort_config_selectorIslEEZNS1_25segmented_radix_sort_implIS3_Lb0EPKsPsPKlPlN2at6native12_GLOBAL__N_18offset_tEEE10hipError_tPvRmT1_PNSt15iterator_traitsISK_E10value_typeET2_T3_PNSL_ISQ_E10value_typeET4_jRbjT5_SW_jjP12ihipStream_tbEUlT_E2_NS1_11comp_targetILNS1_3genE5ELNS1_11target_archE942ELNS1_3gpuE9ELNS1_3repE0EEENS1_30default_config_static_selectorELNS0_4arch9wavefront6targetE1EEEvSK_
    .private_segment_fixed_size: 0
    .sgpr_count:     4
    .sgpr_spill_count: 0
    .symbol:         _ZN7rocprim17ROCPRIM_400000_NS6detail17trampoline_kernelINS0_14default_configENS1_36segmented_radix_sort_config_selectorIslEEZNS1_25segmented_radix_sort_implIS3_Lb0EPKsPsPKlPlN2at6native12_GLOBAL__N_18offset_tEEE10hipError_tPvRmT1_PNSt15iterator_traitsISK_E10value_typeET2_T3_PNSL_ISQ_E10value_typeET4_jRbjT5_SW_jjP12ihipStream_tbEUlT_E2_NS1_11comp_targetILNS1_3genE5ELNS1_11target_archE942ELNS1_3gpuE9ELNS1_3repE0EEENS1_30default_config_static_selectorELNS0_4arch9wavefront6targetE1EEEvSK_.kd
    .uniform_work_group_size: 1
    .uses_dynamic_stack: false
    .vgpr_count:     0
    .vgpr_spill_count: 0
    .wavefront_size: 64
  - .agpr_count:     32
    .args:
      - .offset:         0
        .size:           80
        .value_kind:     by_value
      - .offset:         80
        .size:           4
        .value_kind:     hidden_block_count_x
      - .offset:         84
        .size:           4
        .value_kind:     hidden_block_count_y
      - .offset:         88
        .size:           4
        .value_kind:     hidden_block_count_z
      - .offset:         92
        .size:           2
        .value_kind:     hidden_group_size_x
      - .offset:         94
        .size:           2
        .value_kind:     hidden_group_size_y
      - .offset:         96
        .size:           2
        .value_kind:     hidden_group_size_z
      - .offset:         98
        .size:           2
        .value_kind:     hidden_remainder_x
      - .offset:         100
        .size:           2
        .value_kind:     hidden_remainder_y
      - .offset:         102
        .size:           2
        .value_kind:     hidden_remainder_z
      - .offset:         120
        .size:           8
        .value_kind:     hidden_global_offset_x
      - .offset:         128
        .size:           8
        .value_kind:     hidden_global_offset_y
      - .offset:         136
        .size:           8
        .value_kind:     hidden_global_offset_z
      - .offset:         144
        .size:           2
        .value_kind:     hidden_grid_dims
      - .offset:         160
        .size:           8
        .value_kind:     hidden_hostcall_buffer
      - .offset:         168
        .size:           8
        .value_kind:     hidden_multigrid_sync_arg
      - .offset:         176
        .size:           8
        .value_kind:     hidden_heap_v1
      - .offset:         184
        .size:           8
        .value_kind:     hidden_default_queue
      - .offset:         192
        .size:           8
        .value_kind:     hidden_completion_action
      - .offset:         280
        .size:           8
        .value_kind:     hidden_queue_ptr
    .group_segment_fixed_size: 35336
    .kernarg_segment_align: 8
    .kernarg_segment_size: 336
    .language:       OpenCL C
    .language_version:
      - 2
      - 0
    .max_flat_workgroup_size: 256
    .name:           _ZN7rocprim17ROCPRIM_400000_NS6detail17trampoline_kernelINS0_14default_configENS1_36segmented_radix_sort_config_selectorIslEEZNS1_25segmented_radix_sort_implIS3_Lb0EPKsPsPKlPlN2at6native12_GLOBAL__N_18offset_tEEE10hipError_tPvRmT1_PNSt15iterator_traitsISK_E10value_typeET2_T3_PNSL_ISQ_E10value_typeET4_jRbjT5_SW_jjP12ihipStream_tbEUlT_E2_NS1_11comp_targetILNS1_3genE4ELNS1_11target_archE910ELNS1_3gpuE8ELNS1_3repE0EEENS1_30default_config_static_selectorELNS0_4arch9wavefront6targetE1EEEvSK_
    .private_segment_fixed_size: 184
    .sgpr_count:     106
    .sgpr_spill_count: 4
    .symbol:         _ZN7rocprim17ROCPRIM_400000_NS6detail17trampoline_kernelINS0_14default_configENS1_36segmented_radix_sort_config_selectorIslEEZNS1_25segmented_radix_sort_implIS3_Lb0EPKsPsPKlPlN2at6native12_GLOBAL__N_18offset_tEEE10hipError_tPvRmT1_PNSt15iterator_traitsISK_E10value_typeET2_T3_PNSL_ISQ_E10value_typeET4_jRbjT5_SW_jjP12ihipStream_tbEUlT_E2_NS1_11comp_targetILNS1_3genE4ELNS1_11target_archE910ELNS1_3gpuE8ELNS1_3repE0EEENS1_30default_config_static_selectorELNS0_4arch9wavefront6targetE1EEEvSK_.kd
    .uniform_work_group_size: 1
    .uses_dynamic_stack: false
    .vgpr_count:     280
    .vgpr_spill_count: 0
    .wavefront_size: 64
  - .agpr_count:     0
    .args:
      - .offset:         0
        .size:           80
        .value_kind:     by_value
    .group_segment_fixed_size: 0
    .kernarg_segment_align: 8
    .kernarg_segment_size: 80
    .language:       OpenCL C
    .language_version:
      - 2
      - 0
    .max_flat_workgroup_size: 256
    .name:           _ZN7rocprim17ROCPRIM_400000_NS6detail17trampoline_kernelINS0_14default_configENS1_36segmented_radix_sort_config_selectorIslEEZNS1_25segmented_radix_sort_implIS3_Lb0EPKsPsPKlPlN2at6native12_GLOBAL__N_18offset_tEEE10hipError_tPvRmT1_PNSt15iterator_traitsISK_E10value_typeET2_T3_PNSL_ISQ_E10value_typeET4_jRbjT5_SW_jjP12ihipStream_tbEUlT_E2_NS1_11comp_targetILNS1_3genE3ELNS1_11target_archE908ELNS1_3gpuE7ELNS1_3repE0EEENS1_30default_config_static_selectorELNS0_4arch9wavefront6targetE1EEEvSK_
    .private_segment_fixed_size: 0
    .sgpr_count:     4
    .sgpr_spill_count: 0
    .symbol:         _ZN7rocprim17ROCPRIM_400000_NS6detail17trampoline_kernelINS0_14default_configENS1_36segmented_radix_sort_config_selectorIslEEZNS1_25segmented_radix_sort_implIS3_Lb0EPKsPsPKlPlN2at6native12_GLOBAL__N_18offset_tEEE10hipError_tPvRmT1_PNSt15iterator_traitsISK_E10value_typeET2_T3_PNSL_ISQ_E10value_typeET4_jRbjT5_SW_jjP12ihipStream_tbEUlT_E2_NS1_11comp_targetILNS1_3genE3ELNS1_11target_archE908ELNS1_3gpuE7ELNS1_3repE0EEENS1_30default_config_static_selectorELNS0_4arch9wavefront6targetE1EEEvSK_.kd
    .uniform_work_group_size: 1
    .uses_dynamic_stack: false
    .vgpr_count:     0
    .vgpr_spill_count: 0
    .wavefront_size: 64
  - .agpr_count:     0
    .args:
      - .offset:         0
        .size:           80
        .value_kind:     by_value
    .group_segment_fixed_size: 0
    .kernarg_segment_align: 8
    .kernarg_segment_size: 80
    .language:       OpenCL C
    .language_version:
      - 2
      - 0
    .max_flat_workgroup_size: 256
    .name:           _ZN7rocprim17ROCPRIM_400000_NS6detail17trampoline_kernelINS0_14default_configENS1_36segmented_radix_sort_config_selectorIslEEZNS1_25segmented_radix_sort_implIS3_Lb0EPKsPsPKlPlN2at6native12_GLOBAL__N_18offset_tEEE10hipError_tPvRmT1_PNSt15iterator_traitsISK_E10value_typeET2_T3_PNSL_ISQ_E10value_typeET4_jRbjT5_SW_jjP12ihipStream_tbEUlT_E2_NS1_11comp_targetILNS1_3genE2ELNS1_11target_archE906ELNS1_3gpuE6ELNS1_3repE0EEENS1_30default_config_static_selectorELNS0_4arch9wavefront6targetE1EEEvSK_
    .private_segment_fixed_size: 0
    .sgpr_count:     4
    .sgpr_spill_count: 0
    .symbol:         _ZN7rocprim17ROCPRIM_400000_NS6detail17trampoline_kernelINS0_14default_configENS1_36segmented_radix_sort_config_selectorIslEEZNS1_25segmented_radix_sort_implIS3_Lb0EPKsPsPKlPlN2at6native12_GLOBAL__N_18offset_tEEE10hipError_tPvRmT1_PNSt15iterator_traitsISK_E10value_typeET2_T3_PNSL_ISQ_E10value_typeET4_jRbjT5_SW_jjP12ihipStream_tbEUlT_E2_NS1_11comp_targetILNS1_3genE2ELNS1_11target_archE906ELNS1_3gpuE6ELNS1_3repE0EEENS1_30default_config_static_selectorELNS0_4arch9wavefront6targetE1EEEvSK_.kd
    .uniform_work_group_size: 1
    .uses_dynamic_stack: false
    .vgpr_count:     0
    .vgpr_spill_count: 0
    .wavefront_size: 64
  - .agpr_count:     0
    .args:
      - .offset:         0
        .size:           80
        .value_kind:     by_value
    .group_segment_fixed_size: 0
    .kernarg_segment_align: 8
    .kernarg_segment_size: 80
    .language:       OpenCL C
    .language_version:
      - 2
      - 0
    .max_flat_workgroup_size: 256
    .name:           _ZN7rocprim17ROCPRIM_400000_NS6detail17trampoline_kernelINS0_14default_configENS1_36segmented_radix_sort_config_selectorIslEEZNS1_25segmented_radix_sort_implIS3_Lb0EPKsPsPKlPlN2at6native12_GLOBAL__N_18offset_tEEE10hipError_tPvRmT1_PNSt15iterator_traitsISK_E10value_typeET2_T3_PNSL_ISQ_E10value_typeET4_jRbjT5_SW_jjP12ihipStream_tbEUlT_E2_NS1_11comp_targetILNS1_3genE10ELNS1_11target_archE1201ELNS1_3gpuE5ELNS1_3repE0EEENS1_30default_config_static_selectorELNS0_4arch9wavefront6targetE1EEEvSK_
    .private_segment_fixed_size: 0
    .sgpr_count:     4
    .sgpr_spill_count: 0
    .symbol:         _ZN7rocprim17ROCPRIM_400000_NS6detail17trampoline_kernelINS0_14default_configENS1_36segmented_radix_sort_config_selectorIslEEZNS1_25segmented_radix_sort_implIS3_Lb0EPKsPsPKlPlN2at6native12_GLOBAL__N_18offset_tEEE10hipError_tPvRmT1_PNSt15iterator_traitsISK_E10value_typeET2_T3_PNSL_ISQ_E10value_typeET4_jRbjT5_SW_jjP12ihipStream_tbEUlT_E2_NS1_11comp_targetILNS1_3genE10ELNS1_11target_archE1201ELNS1_3gpuE5ELNS1_3repE0EEENS1_30default_config_static_selectorELNS0_4arch9wavefront6targetE1EEEvSK_.kd
    .uniform_work_group_size: 1
    .uses_dynamic_stack: false
    .vgpr_count:     0
    .vgpr_spill_count: 0
    .wavefront_size: 64
  - .agpr_count:     0
    .args:
      - .offset:         0
        .size:           80
        .value_kind:     by_value
    .group_segment_fixed_size: 0
    .kernarg_segment_align: 8
    .kernarg_segment_size: 80
    .language:       OpenCL C
    .language_version:
      - 2
      - 0
    .max_flat_workgroup_size: 128
    .name:           _ZN7rocprim17ROCPRIM_400000_NS6detail17trampoline_kernelINS0_14default_configENS1_36segmented_radix_sort_config_selectorIslEEZNS1_25segmented_radix_sort_implIS3_Lb0EPKsPsPKlPlN2at6native12_GLOBAL__N_18offset_tEEE10hipError_tPvRmT1_PNSt15iterator_traitsISK_E10value_typeET2_T3_PNSL_ISQ_E10value_typeET4_jRbjT5_SW_jjP12ihipStream_tbEUlT_E2_NS1_11comp_targetILNS1_3genE10ELNS1_11target_archE1200ELNS1_3gpuE4ELNS1_3repE0EEENS1_30default_config_static_selectorELNS0_4arch9wavefront6targetE1EEEvSK_
    .private_segment_fixed_size: 0
    .sgpr_count:     4
    .sgpr_spill_count: 0
    .symbol:         _ZN7rocprim17ROCPRIM_400000_NS6detail17trampoline_kernelINS0_14default_configENS1_36segmented_radix_sort_config_selectorIslEEZNS1_25segmented_radix_sort_implIS3_Lb0EPKsPsPKlPlN2at6native12_GLOBAL__N_18offset_tEEE10hipError_tPvRmT1_PNSt15iterator_traitsISK_E10value_typeET2_T3_PNSL_ISQ_E10value_typeET4_jRbjT5_SW_jjP12ihipStream_tbEUlT_E2_NS1_11comp_targetILNS1_3genE10ELNS1_11target_archE1200ELNS1_3gpuE4ELNS1_3repE0EEENS1_30default_config_static_selectorELNS0_4arch9wavefront6targetE1EEEvSK_.kd
    .uniform_work_group_size: 1
    .uses_dynamic_stack: false
    .vgpr_count:     0
    .vgpr_spill_count: 0
    .wavefront_size: 64
  - .agpr_count:     0
    .args:
      - .offset:         0
        .size:           80
        .value_kind:     by_value
    .group_segment_fixed_size: 0
    .kernarg_segment_align: 8
    .kernarg_segment_size: 80
    .language:       OpenCL C
    .language_version:
      - 2
      - 0
    .max_flat_workgroup_size: 256
    .name:           _ZN7rocprim17ROCPRIM_400000_NS6detail17trampoline_kernelINS0_14default_configENS1_36segmented_radix_sort_config_selectorIslEEZNS1_25segmented_radix_sort_implIS3_Lb0EPKsPsPKlPlN2at6native12_GLOBAL__N_18offset_tEEE10hipError_tPvRmT1_PNSt15iterator_traitsISK_E10value_typeET2_T3_PNSL_ISQ_E10value_typeET4_jRbjT5_SW_jjP12ihipStream_tbEUlT_E2_NS1_11comp_targetILNS1_3genE9ELNS1_11target_archE1100ELNS1_3gpuE3ELNS1_3repE0EEENS1_30default_config_static_selectorELNS0_4arch9wavefront6targetE1EEEvSK_
    .private_segment_fixed_size: 0
    .sgpr_count:     4
    .sgpr_spill_count: 0
    .symbol:         _ZN7rocprim17ROCPRIM_400000_NS6detail17trampoline_kernelINS0_14default_configENS1_36segmented_radix_sort_config_selectorIslEEZNS1_25segmented_radix_sort_implIS3_Lb0EPKsPsPKlPlN2at6native12_GLOBAL__N_18offset_tEEE10hipError_tPvRmT1_PNSt15iterator_traitsISK_E10value_typeET2_T3_PNSL_ISQ_E10value_typeET4_jRbjT5_SW_jjP12ihipStream_tbEUlT_E2_NS1_11comp_targetILNS1_3genE9ELNS1_11target_archE1100ELNS1_3gpuE3ELNS1_3repE0EEENS1_30default_config_static_selectorELNS0_4arch9wavefront6targetE1EEEvSK_.kd
    .uniform_work_group_size: 1
    .uses_dynamic_stack: false
    .vgpr_count:     0
    .vgpr_spill_count: 0
    .wavefront_size: 64
  - .agpr_count:     0
    .args:
      - .offset:         0
        .size:           80
        .value_kind:     by_value
    .group_segment_fixed_size: 0
    .kernarg_segment_align: 8
    .kernarg_segment_size: 80
    .language:       OpenCL C
    .language_version:
      - 2
      - 0
    .max_flat_workgroup_size: 256
    .name:           _ZN7rocprim17ROCPRIM_400000_NS6detail17trampoline_kernelINS0_14default_configENS1_36segmented_radix_sort_config_selectorIslEEZNS1_25segmented_radix_sort_implIS3_Lb0EPKsPsPKlPlN2at6native12_GLOBAL__N_18offset_tEEE10hipError_tPvRmT1_PNSt15iterator_traitsISK_E10value_typeET2_T3_PNSL_ISQ_E10value_typeET4_jRbjT5_SW_jjP12ihipStream_tbEUlT_E2_NS1_11comp_targetILNS1_3genE8ELNS1_11target_archE1030ELNS1_3gpuE2ELNS1_3repE0EEENS1_30default_config_static_selectorELNS0_4arch9wavefront6targetE1EEEvSK_
    .private_segment_fixed_size: 0
    .sgpr_count:     4
    .sgpr_spill_count: 0
    .symbol:         _ZN7rocprim17ROCPRIM_400000_NS6detail17trampoline_kernelINS0_14default_configENS1_36segmented_radix_sort_config_selectorIslEEZNS1_25segmented_radix_sort_implIS3_Lb0EPKsPsPKlPlN2at6native12_GLOBAL__N_18offset_tEEE10hipError_tPvRmT1_PNSt15iterator_traitsISK_E10value_typeET2_T3_PNSL_ISQ_E10value_typeET4_jRbjT5_SW_jjP12ihipStream_tbEUlT_E2_NS1_11comp_targetILNS1_3genE8ELNS1_11target_archE1030ELNS1_3gpuE2ELNS1_3repE0EEENS1_30default_config_static_selectorELNS0_4arch9wavefront6targetE1EEEvSK_.kd
    .uniform_work_group_size: 1
    .uses_dynamic_stack: false
    .vgpr_count:     0
    .vgpr_spill_count: 0
    .wavefront_size: 64
  - .agpr_count:     0
    .args:
      - .address_space:  global
        .offset:         0
        .size:           8
        .value_kind:     global_buffer
      - .address_space:  global
        .offset:         8
        .size:           8
        .value_kind:     global_buffer
      - .address_space:  global
        .offset:         16
        .size:           8
        .value_kind:     global_buffer
      - .address_space:  global
        .offset:         24
        .size:           8
        .value_kind:     global_buffer
      - .offset:         32
        .size:           4
        .value_kind:     by_value
      - .offset:         36
        .size:           4
        .value_kind:     by_value
      - .offset:         40
        .size:           4
        .value_kind:     hidden_block_count_x
      - .offset:         44
        .size:           4
        .value_kind:     hidden_block_count_y
      - .offset:         48
        .size:           4
        .value_kind:     hidden_block_count_z
      - .offset:         52
        .size:           2
        .value_kind:     hidden_group_size_x
      - .offset:         54
        .size:           2
        .value_kind:     hidden_group_size_y
      - .offset:         56
        .size:           2
        .value_kind:     hidden_group_size_z
      - .offset:         58
        .size:           2
        .value_kind:     hidden_remainder_x
      - .offset:         60
        .size:           2
        .value_kind:     hidden_remainder_y
      - .offset:         62
        .size:           2
        .value_kind:     hidden_remainder_z
      - .offset:         80
        .size:           8
        .value_kind:     hidden_global_offset_x
      - .offset:         88
        .size:           8
        .value_kind:     hidden_global_offset_y
      - .offset:         96
        .size:           8
        .value_kind:     hidden_global_offset_z
      - .offset:         104
        .size:           2
        .value_kind:     hidden_grid_dims
    .group_segment_fixed_size: 0
    .kernarg_segment_align: 8
    .kernarg_segment_size: 296
    .language:       OpenCL C
    .language_version:
      - 2
      - 0
    .max_flat_workgroup_size: 1024
    .name:           _ZN2at6native12_GLOBAL__N_123sort_postprocess_kernelIdEEvPKT_PS3_PlPK15HIP_vector_typeIiLj2EEii
    .private_segment_fixed_size: 0
    .sgpr_count:     22
    .sgpr_spill_count: 0
    .symbol:         _ZN2at6native12_GLOBAL__N_123sort_postprocess_kernelIdEEvPKT_PS3_PlPK15HIP_vector_typeIiLj2EEii.kd
    .uniform_work_group_size: 1
    .uses_dynamic_stack: false
    .vgpr_count:     18
    .vgpr_spill_count: 0
    .wavefront_size: 64
  - .agpr_count:     0
    .args:
      - .offset:         0
        .size:           176
        .value_kind:     by_value
    .group_segment_fixed_size: 0
    .kernarg_segment_align: 8
    .kernarg_segment_size: 176
    .language:       OpenCL C
    .language_version:
      - 2
      - 0
    .max_flat_workgroup_size: 256
    .name:           _ZN7rocprim17ROCPRIM_400000_NS6detail17trampoline_kernelINS0_13select_configILj256ELj13ELNS0_17block_load_methodE3ELS4_3ELS4_3ELNS0_20block_scan_algorithmE0ELj4294967295EEENS1_25partition_config_selectorILNS1_17partition_subalgoE4EjNS0_10empty_typeEbEEZZNS1_14partition_implILS8_4ELb0ES6_15HIP_vector_typeIjLj2EENS0_17counting_iteratorIjlEEPS9_SG_NS0_5tupleIJPjSI_NS0_16reverse_iteratorISI_EEEEENSH_IJSG_SG_SG_EEES9_SI_JZNS1_25segmented_radix_sort_implINS0_14default_configELb1EPKdPdPKlPlN2at6native12_GLOBAL__N_18offset_tEEE10hipError_tPvRmT1_PNSt15iterator_traitsIS12_E10value_typeET2_T3_PNS13_IS18_E10value_typeET4_jRbjT5_S1E_jjP12ihipStream_tbEUljE_ZNSN_ISO_Lb1ESQ_SR_ST_SU_SY_EESZ_S10_S11_S12_S16_S17_S18_S1B_S1C_jS1D_jS1E_S1E_jjS1G_bEUljE0_EEESZ_S10_S11_S18_S1C_S1E_T6_T7_T9_mT8_S1G_bDpT10_ENKUlT_T0_E_clISt17integral_constantIbLb0EES1U_EEDaS1P_S1Q_EUlS1P_E_NS1_11comp_targetILNS1_3genE0ELNS1_11target_archE4294967295ELNS1_3gpuE0ELNS1_3repE0EEENS1_30default_config_static_selectorELNS0_4arch9wavefront6targetE1EEEvS12_
    .private_segment_fixed_size: 0
    .sgpr_count:     4
    .sgpr_spill_count: 0
    .symbol:         _ZN7rocprim17ROCPRIM_400000_NS6detail17trampoline_kernelINS0_13select_configILj256ELj13ELNS0_17block_load_methodE3ELS4_3ELS4_3ELNS0_20block_scan_algorithmE0ELj4294967295EEENS1_25partition_config_selectorILNS1_17partition_subalgoE4EjNS0_10empty_typeEbEEZZNS1_14partition_implILS8_4ELb0ES6_15HIP_vector_typeIjLj2EENS0_17counting_iteratorIjlEEPS9_SG_NS0_5tupleIJPjSI_NS0_16reverse_iteratorISI_EEEEENSH_IJSG_SG_SG_EEES9_SI_JZNS1_25segmented_radix_sort_implINS0_14default_configELb1EPKdPdPKlPlN2at6native12_GLOBAL__N_18offset_tEEE10hipError_tPvRmT1_PNSt15iterator_traitsIS12_E10value_typeET2_T3_PNS13_IS18_E10value_typeET4_jRbjT5_S1E_jjP12ihipStream_tbEUljE_ZNSN_ISO_Lb1ESQ_SR_ST_SU_SY_EESZ_S10_S11_S12_S16_S17_S18_S1B_S1C_jS1D_jS1E_S1E_jjS1G_bEUljE0_EEESZ_S10_S11_S18_S1C_S1E_T6_T7_T9_mT8_S1G_bDpT10_ENKUlT_T0_E_clISt17integral_constantIbLb0EES1U_EEDaS1P_S1Q_EUlS1P_E_NS1_11comp_targetILNS1_3genE0ELNS1_11target_archE4294967295ELNS1_3gpuE0ELNS1_3repE0EEENS1_30default_config_static_selectorELNS0_4arch9wavefront6targetE1EEEvS12_.kd
    .uniform_work_group_size: 1
    .uses_dynamic_stack: false
    .vgpr_count:     0
    .vgpr_spill_count: 0
    .wavefront_size: 64
  - .agpr_count:     0
    .args:
      - .offset:         0
        .size:           176
        .value_kind:     by_value
    .group_segment_fixed_size: 0
    .kernarg_segment_align: 8
    .kernarg_segment_size: 176
    .language:       OpenCL C
    .language_version:
      - 2
      - 0
    .max_flat_workgroup_size: 256
    .name:           _ZN7rocprim17ROCPRIM_400000_NS6detail17trampoline_kernelINS0_13select_configILj256ELj13ELNS0_17block_load_methodE3ELS4_3ELS4_3ELNS0_20block_scan_algorithmE0ELj4294967295EEENS1_25partition_config_selectorILNS1_17partition_subalgoE4EjNS0_10empty_typeEbEEZZNS1_14partition_implILS8_4ELb0ES6_15HIP_vector_typeIjLj2EENS0_17counting_iteratorIjlEEPS9_SG_NS0_5tupleIJPjSI_NS0_16reverse_iteratorISI_EEEEENSH_IJSG_SG_SG_EEES9_SI_JZNS1_25segmented_radix_sort_implINS0_14default_configELb1EPKdPdPKlPlN2at6native12_GLOBAL__N_18offset_tEEE10hipError_tPvRmT1_PNSt15iterator_traitsIS12_E10value_typeET2_T3_PNS13_IS18_E10value_typeET4_jRbjT5_S1E_jjP12ihipStream_tbEUljE_ZNSN_ISO_Lb1ESQ_SR_ST_SU_SY_EESZ_S10_S11_S12_S16_S17_S18_S1B_S1C_jS1D_jS1E_S1E_jjS1G_bEUljE0_EEESZ_S10_S11_S18_S1C_S1E_T6_T7_T9_mT8_S1G_bDpT10_ENKUlT_T0_E_clISt17integral_constantIbLb0EES1U_EEDaS1P_S1Q_EUlS1P_E_NS1_11comp_targetILNS1_3genE5ELNS1_11target_archE942ELNS1_3gpuE9ELNS1_3repE0EEENS1_30default_config_static_selectorELNS0_4arch9wavefront6targetE1EEEvS12_
    .private_segment_fixed_size: 0
    .sgpr_count:     4
    .sgpr_spill_count: 0
    .symbol:         _ZN7rocprim17ROCPRIM_400000_NS6detail17trampoline_kernelINS0_13select_configILj256ELj13ELNS0_17block_load_methodE3ELS4_3ELS4_3ELNS0_20block_scan_algorithmE0ELj4294967295EEENS1_25partition_config_selectorILNS1_17partition_subalgoE4EjNS0_10empty_typeEbEEZZNS1_14partition_implILS8_4ELb0ES6_15HIP_vector_typeIjLj2EENS0_17counting_iteratorIjlEEPS9_SG_NS0_5tupleIJPjSI_NS0_16reverse_iteratorISI_EEEEENSH_IJSG_SG_SG_EEES9_SI_JZNS1_25segmented_radix_sort_implINS0_14default_configELb1EPKdPdPKlPlN2at6native12_GLOBAL__N_18offset_tEEE10hipError_tPvRmT1_PNSt15iterator_traitsIS12_E10value_typeET2_T3_PNS13_IS18_E10value_typeET4_jRbjT5_S1E_jjP12ihipStream_tbEUljE_ZNSN_ISO_Lb1ESQ_SR_ST_SU_SY_EESZ_S10_S11_S12_S16_S17_S18_S1B_S1C_jS1D_jS1E_S1E_jjS1G_bEUljE0_EEESZ_S10_S11_S18_S1C_S1E_T6_T7_T9_mT8_S1G_bDpT10_ENKUlT_T0_E_clISt17integral_constantIbLb0EES1U_EEDaS1P_S1Q_EUlS1P_E_NS1_11comp_targetILNS1_3genE5ELNS1_11target_archE942ELNS1_3gpuE9ELNS1_3repE0EEENS1_30default_config_static_selectorELNS0_4arch9wavefront6targetE1EEEvS12_.kd
    .uniform_work_group_size: 1
    .uses_dynamic_stack: false
    .vgpr_count:     0
    .vgpr_spill_count: 0
    .wavefront_size: 64
  - .agpr_count:     0
    .args:
      - .offset:         0
        .size:           176
        .value_kind:     by_value
    .group_segment_fixed_size: 13340
    .kernarg_segment_align: 8
    .kernarg_segment_size: 176
    .language:       OpenCL C
    .language_version:
      - 2
      - 0
    .max_flat_workgroup_size: 256
    .name:           _ZN7rocprim17ROCPRIM_400000_NS6detail17trampoline_kernelINS0_13select_configILj256ELj13ELNS0_17block_load_methodE3ELS4_3ELS4_3ELNS0_20block_scan_algorithmE0ELj4294967295EEENS1_25partition_config_selectorILNS1_17partition_subalgoE4EjNS0_10empty_typeEbEEZZNS1_14partition_implILS8_4ELb0ES6_15HIP_vector_typeIjLj2EENS0_17counting_iteratorIjlEEPS9_SG_NS0_5tupleIJPjSI_NS0_16reverse_iteratorISI_EEEEENSH_IJSG_SG_SG_EEES9_SI_JZNS1_25segmented_radix_sort_implINS0_14default_configELb1EPKdPdPKlPlN2at6native12_GLOBAL__N_18offset_tEEE10hipError_tPvRmT1_PNSt15iterator_traitsIS12_E10value_typeET2_T3_PNS13_IS18_E10value_typeET4_jRbjT5_S1E_jjP12ihipStream_tbEUljE_ZNSN_ISO_Lb1ESQ_SR_ST_SU_SY_EESZ_S10_S11_S12_S16_S17_S18_S1B_S1C_jS1D_jS1E_S1E_jjS1G_bEUljE0_EEESZ_S10_S11_S18_S1C_S1E_T6_T7_T9_mT8_S1G_bDpT10_ENKUlT_T0_E_clISt17integral_constantIbLb0EES1U_EEDaS1P_S1Q_EUlS1P_E_NS1_11comp_targetILNS1_3genE4ELNS1_11target_archE910ELNS1_3gpuE8ELNS1_3repE0EEENS1_30default_config_static_selectorELNS0_4arch9wavefront6targetE1EEEvS12_
    .private_segment_fixed_size: 0
    .sgpr_count:     94
    .sgpr_spill_count: 0
    .symbol:         _ZN7rocprim17ROCPRIM_400000_NS6detail17trampoline_kernelINS0_13select_configILj256ELj13ELNS0_17block_load_methodE3ELS4_3ELS4_3ELNS0_20block_scan_algorithmE0ELj4294967295EEENS1_25partition_config_selectorILNS1_17partition_subalgoE4EjNS0_10empty_typeEbEEZZNS1_14partition_implILS8_4ELb0ES6_15HIP_vector_typeIjLj2EENS0_17counting_iteratorIjlEEPS9_SG_NS0_5tupleIJPjSI_NS0_16reverse_iteratorISI_EEEEENSH_IJSG_SG_SG_EEES9_SI_JZNS1_25segmented_radix_sort_implINS0_14default_configELb1EPKdPdPKlPlN2at6native12_GLOBAL__N_18offset_tEEE10hipError_tPvRmT1_PNSt15iterator_traitsIS12_E10value_typeET2_T3_PNS13_IS18_E10value_typeET4_jRbjT5_S1E_jjP12ihipStream_tbEUljE_ZNSN_ISO_Lb1ESQ_SR_ST_SU_SY_EESZ_S10_S11_S12_S16_S17_S18_S1B_S1C_jS1D_jS1E_S1E_jjS1G_bEUljE0_EEESZ_S10_S11_S18_S1C_S1E_T6_T7_T9_mT8_S1G_bDpT10_ENKUlT_T0_E_clISt17integral_constantIbLb0EES1U_EEDaS1P_S1Q_EUlS1P_E_NS1_11comp_targetILNS1_3genE4ELNS1_11target_archE910ELNS1_3gpuE8ELNS1_3repE0EEENS1_30default_config_static_selectorELNS0_4arch9wavefront6targetE1EEEvS12_.kd
    .uniform_work_group_size: 1
    .uses_dynamic_stack: false
    .vgpr_count:     102
    .vgpr_spill_count: 0
    .wavefront_size: 64
  - .agpr_count:     0
    .args:
      - .offset:         0
        .size:           176
        .value_kind:     by_value
    .group_segment_fixed_size: 0
    .kernarg_segment_align: 8
    .kernarg_segment_size: 176
    .language:       OpenCL C
    .language_version:
      - 2
      - 0
    .max_flat_workgroup_size: 256
    .name:           _ZN7rocprim17ROCPRIM_400000_NS6detail17trampoline_kernelINS0_13select_configILj256ELj13ELNS0_17block_load_methodE3ELS4_3ELS4_3ELNS0_20block_scan_algorithmE0ELj4294967295EEENS1_25partition_config_selectorILNS1_17partition_subalgoE4EjNS0_10empty_typeEbEEZZNS1_14partition_implILS8_4ELb0ES6_15HIP_vector_typeIjLj2EENS0_17counting_iteratorIjlEEPS9_SG_NS0_5tupleIJPjSI_NS0_16reverse_iteratorISI_EEEEENSH_IJSG_SG_SG_EEES9_SI_JZNS1_25segmented_radix_sort_implINS0_14default_configELb1EPKdPdPKlPlN2at6native12_GLOBAL__N_18offset_tEEE10hipError_tPvRmT1_PNSt15iterator_traitsIS12_E10value_typeET2_T3_PNS13_IS18_E10value_typeET4_jRbjT5_S1E_jjP12ihipStream_tbEUljE_ZNSN_ISO_Lb1ESQ_SR_ST_SU_SY_EESZ_S10_S11_S12_S16_S17_S18_S1B_S1C_jS1D_jS1E_S1E_jjS1G_bEUljE0_EEESZ_S10_S11_S18_S1C_S1E_T6_T7_T9_mT8_S1G_bDpT10_ENKUlT_T0_E_clISt17integral_constantIbLb0EES1U_EEDaS1P_S1Q_EUlS1P_E_NS1_11comp_targetILNS1_3genE3ELNS1_11target_archE908ELNS1_3gpuE7ELNS1_3repE0EEENS1_30default_config_static_selectorELNS0_4arch9wavefront6targetE1EEEvS12_
    .private_segment_fixed_size: 0
    .sgpr_count:     4
    .sgpr_spill_count: 0
    .symbol:         _ZN7rocprim17ROCPRIM_400000_NS6detail17trampoline_kernelINS0_13select_configILj256ELj13ELNS0_17block_load_methodE3ELS4_3ELS4_3ELNS0_20block_scan_algorithmE0ELj4294967295EEENS1_25partition_config_selectorILNS1_17partition_subalgoE4EjNS0_10empty_typeEbEEZZNS1_14partition_implILS8_4ELb0ES6_15HIP_vector_typeIjLj2EENS0_17counting_iteratorIjlEEPS9_SG_NS0_5tupleIJPjSI_NS0_16reverse_iteratorISI_EEEEENSH_IJSG_SG_SG_EEES9_SI_JZNS1_25segmented_radix_sort_implINS0_14default_configELb1EPKdPdPKlPlN2at6native12_GLOBAL__N_18offset_tEEE10hipError_tPvRmT1_PNSt15iterator_traitsIS12_E10value_typeET2_T3_PNS13_IS18_E10value_typeET4_jRbjT5_S1E_jjP12ihipStream_tbEUljE_ZNSN_ISO_Lb1ESQ_SR_ST_SU_SY_EESZ_S10_S11_S12_S16_S17_S18_S1B_S1C_jS1D_jS1E_S1E_jjS1G_bEUljE0_EEESZ_S10_S11_S18_S1C_S1E_T6_T7_T9_mT8_S1G_bDpT10_ENKUlT_T0_E_clISt17integral_constantIbLb0EES1U_EEDaS1P_S1Q_EUlS1P_E_NS1_11comp_targetILNS1_3genE3ELNS1_11target_archE908ELNS1_3gpuE7ELNS1_3repE0EEENS1_30default_config_static_selectorELNS0_4arch9wavefront6targetE1EEEvS12_.kd
    .uniform_work_group_size: 1
    .uses_dynamic_stack: false
    .vgpr_count:     0
    .vgpr_spill_count: 0
    .wavefront_size: 64
  - .agpr_count:     0
    .args:
      - .offset:         0
        .size:           176
        .value_kind:     by_value
    .group_segment_fixed_size: 0
    .kernarg_segment_align: 8
    .kernarg_segment_size: 176
    .language:       OpenCL C
    .language_version:
      - 2
      - 0
    .max_flat_workgroup_size: 256
    .name:           _ZN7rocprim17ROCPRIM_400000_NS6detail17trampoline_kernelINS0_13select_configILj256ELj13ELNS0_17block_load_methodE3ELS4_3ELS4_3ELNS0_20block_scan_algorithmE0ELj4294967295EEENS1_25partition_config_selectorILNS1_17partition_subalgoE4EjNS0_10empty_typeEbEEZZNS1_14partition_implILS8_4ELb0ES6_15HIP_vector_typeIjLj2EENS0_17counting_iteratorIjlEEPS9_SG_NS0_5tupleIJPjSI_NS0_16reverse_iteratorISI_EEEEENSH_IJSG_SG_SG_EEES9_SI_JZNS1_25segmented_radix_sort_implINS0_14default_configELb1EPKdPdPKlPlN2at6native12_GLOBAL__N_18offset_tEEE10hipError_tPvRmT1_PNSt15iterator_traitsIS12_E10value_typeET2_T3_PNS13_IS18_E10value_typeET4_jRbjT5_S1E_jjP12ihipStream_tbEUljE_ZNSN_ISO_Lb1ESQ_SR_ST_SU_SY_EESZ_S10_S11_S12_S16_S17_S18_S1B_S1C_jS1D_jS1E_S1E_jjS1G_bEUljE0_EEESZ_S10_S11_S18_S1C_S1E_T6_T7_T9_mT8_S1G_bDpT10_ENKUlT_T0_E_clISt17integral_constantIbLb0EES1U_EEDaS1P_S1Q_EUlS1P_E_NS1_11comp_targetILNS1_3genE2ELNS1_11target_archE906ELNS1_3gpuE6ELNS1_3repE0EEENS1_30default_config_static_selectorELNS0_4arch9wavefront6targetE1EEEvS12_
    .private_segment_fixed_size: 0
    .sgpr_count:     4
    .sgpr_spill_count: 0
    .symbol:         _ZN7rocprim17ROCPRIM_400000_NS6detail17trampoline_kernelINS0_13select_configILj256ELj13ELNS0_17block_load_methodE3ELS4_3ELS4_3ELNS0_20block_scan_algorithmE0ELj4294967295EEENS1_25partition_config_selectorILNS1_17partition_subalgoE4EjNS0_10empty_typeEbEEZZNS1_14partition_implILS8_4ELb0ES6_15HIP_vector_typeIjLj2EENS0_17counting_iteratorIjlEEPS9_SG_NS0_5tupleIJPjSI_NS0_16reverse_iteratorISI_EEEEENSH_IJSG_SG_SG_EEES9_SI_JZNS1_25segmented_radix_sort_implINS0_14default_configELb1EPKdPdPKlPlN2at6native12_GLOBAL__N_18offset_tEEE10hipError_tPvRmT1_PNSt15iterator_traitsIS12_E10value_typeET2_T3_PNS13_IS18_E10value_typeET4_jRbjT5_S1E_jjP12ihipStream_tbEUljE_ZNSN_ISO_Lb1ESQ_SR_ST_SU_SY_EESZ_S10_S11_S12_S16_S17_S18_S1B_S1C_jS1D_jS1E_S1E_jjS1G_bEUljE0_EEESZ_S10_S11_S18_S1C_S1E_T6_T7_T9_mT8_S1G_bDpT10_ENKUlT_T0_E_clISt17integral_constantIbLb0EES1U_EEDaS1P_S1Q_EUlS1P_E_NS1_11comp_targetILNS1_3genE2ELNS1_11target_archE906ELNS1_3gpuE6ELNS1_3repE0EEENS1_30default_config_static_selectorELNS0_4arch9wavefront6targetE1EEEvS12_.kd
    .uniform_work_group_size: 1
    .uses_dynamic_stack: false
    .vgpr_count:     0
    .vgpr_spill_count: 0
    .wavefront_size: 64
  - .agpr_count:     0
    .args:
      - .offset:         0
        .size:           176
        .value_kind:     by_value
    .group_segment_fixed_size: 0
    .kernarg_segment_align: 8
    .kernarg_segment_size: 176
    .language:       OpenCL C
    .language_version:
      - 2
      - 0
    .max_flat_workgroup_size: 256
    .name:           _ZN7rocprim17ROCPRIM_400000_NS6detail17trampoline_kernelINS0_13select_configILj256ELj13ELNS0_17block_load_methodE3ELS4_3ELS4_3ELNS0_20block_scan_algorithmE0ELj4294967295EEENS1_25partition_config_selectorILNS1_17partition_subalgoE4EjNS0_10empty_typeEbEEZZNS1_14partition_implILS8_4ELb0ES6_15HIP_vector_typeIjLj2EENS0_17counting_iteratorIjlEEPS9_SG_NS0_5tupleIJPjSI_NS0_16reverse_iteratorISI_EEEEENSH_IJSG_SG_SG_EEES9_SI_JZNS1_25segmented_radix_sort_implINS0_14default_configELb1EPKdPdPKlPlN2at6native12_GLOBAL__N_18offset_tEEE10hipError_tPvRmT1_PNSt15iterator_traitsIS12_E10value_typeET2_T3_PNS13_IS18_E10value_typeET4_jRbjT5_S1E_jjP12ihipStream_tbEUljE_ZNSN_ISO_Lb1ESQ_SR_ST_SU_SY_EESZ_S10_S11_S12_S16_S17_S18_S1B_S1C_jS1D_jS1E_S1E_jjS1G_bEUljE0_EEESZ_S10_S11_S18_S1C_S1E_T6_T7_T9_mT8_S1G_bDpT10_ENKUlT_T0_E_clISt17integral_constantIbLb0EES1U_EEDaS1P_S1Q_EUlS1P_E_NS1_11comp_targetILNS1_3genE10ELNS1_11target_archE1200ELNS1_3gpuE4ELNS1_3repE0EEENS1_30default_config_static_selectorELNS0_4arch9wavefront6targetE1EEEvS12_
    .private_segment_fixed_size: 0
    .sgpr_count:     4
    .sgpr_spill_count: 0
    .symbol:         _ZN7rocprim17ROCPRIM_400000_NS6detail17trampoline_kernelINS0_13select_configILj256ELj13ELNS0_17block_load_methodE3ELS4_3ELS4_3ELNS0_20block_scan_algorithmE0ELj4294967295EEENS1_25partition_config_selectorILNS1_17partition_subalgoE4EjNS0_10empty_typeEbEEZZNS1_14partition_implILS8_4ELb0ES6_15HIP_vector_typeIjLj2EENS0_17counting_iteratorIjlEEPS9_SG_NS0_5tupleIJPjSI_NS0_16reverse_iteratorISI_EEEEENSH_IJSG_SG_SG_EEES9_SI_JZNS1_25segmented_radix_sort_implINS0_14default_configELb1EPKdPdPKlPlN2at6native12_GLOBAL__N_18offset_tEEE10hipError_tPvRmT1_PNSt15iterator_traitsIS12_E10value_typeET2_T3_PNS13_IS18_E10value_typeET4_jRbjT5_S1E_jjP12ihipStream_tbEUljE_ZNSN_ISO_Lb1ESQ_SR_ST_SU_SY_EESZ_S10_S11_S12_S16_S17_S18_S1B_S1C_jS1D_jS1E_S1E_jjS1G_bEUljE0_EEESZ_S10_S11_S18_S1C_S1E_T6_T7_T9_mT8_S1G_bDpT10_ENKUlT_T0_E_clISt17integral_constantIbLb0EES1U_EEDaS1P_S1Q_EUlS1P_E_NS1_11comp_targetILNS1_3genE10ELNS1_11target_archE1200ELNS1_3gpuE4ELNS1_3repE0EEENS1_30default_config_static_selectorELNS0_4arch9wavefront6targetE1EEEvS12_.kd
    .uniform_work_group_size: 1
    .uses_dynamic_stack: false
    .vgpr_count:     0
    .vgpr_spill_count: 0
    .wavefront_size: 64
  - .agpr_count:     0
    .args:
      - .offset:         0
        .size:           176
        .value_kind:     by_value
    .group_segment_fixed_size: 0
    .kernarg_segment_align: 8
    .kernarg_segment_size: 176
    .language:       OpenCL C
    .language_version:
      - 2
      - 0
    .max_flat_workgroup_size: 256
    .name:           _ZN7rocprim17ROCPRIM_400000_NS6detail17trampoline_kernelINS0_13select_configILj256ELj13ELNS0_17block_load_methodE3ELS4_3ELS4_3ELNS0_20block_scan_algorithmE0ELj4294967295EEENS1_25partition_config_selectorILNS1_17partition_subalgoE4EjNS0_10empty_typeEbEEZZNS1_14partition_implILS8_4ELb0ES6_15HIP_vector_typeIjLj2EENS0_17counting_iteratorIjlEEPS9_SG_NS0_5tupleIJPjSI_NS0_16reverse_iteratorISI_EEEEENSH_IJSG_SG_SG_EEES9_SI_JZNS1_25segmented_radix_sort_implINS0_14default_configELb1EPKdPdPKlPlN2at6native12_GLOBAL__N_18offset_tEEE10hipError_tPvRmT1_PNSt15iterator_traitsIS12_E10value_typeET2_T3_PNS13_IS18_E10value_typeET4_jRbjT5_S1E_jjP12ihipStream_tbEUljE_ZNSN_ISO_Lb1ESQ_SR_ST_SU_SY_EESZ_S10_S11_S12_S16_S17_S18_S1B_S1C_jS1D_jS1E_S1E_jjS1G_bEUljE0_EEESZ_S10_S11_S18_S1C_S1E_T6_T7_T9_mT8_S1G_bDpT10_ENKUlT_T0_E_clISt17integral_constantIbLb0EES1U_EEDaS1P_S1Q_EUlS1P_E_NS1_11comp_targetILNS1_3genE9ELNS1_11target_archE1100ELNS1_3gpuE3ELNS1_3repE0EEENS1_30default_config_static_selectorELNS0_4arch9wavefront6targetE1EEEvS12_
    .private_segment_fixed_size: 0
    .sgpr_count:     4
    .sgpr_spill_count: 0
    .symbol:         _ZN7rocprim17ROCPRIM_400000_NS6detail17trampoline_kernelINS0_13select_configILj256ELj13ELNS0_17block_load_methodE3ELS4_3ELS4_3ELNS0_20block_scan_algorithmE0ELj4294967295EEENS1_25partition_config_selectorILNS1_17partition_subalgoE4EjNS0_10empty_typeEbEEZZNS1_14partition_implILS8_4ELb0ES6_15HIP_vector_typeIjLj2EENS0_17counting_iteratorIjlEEPS9_SG_NS0_5tupleIJPjSI_NS0_16reverse_iteratorISI_EEEEENSH_IJSG_SG_SG_EEES9_SI_JZNS1_25segmented_radix_sort_implINS0_14default_configELb1EPKdPdPKlPlN2at6native12_GLOBAL__N_18offset_tEEE10hipError_tPvRmT1_PNSt15iterator_traitsIS12_E10value_typeET2_T3_PNS13_IS18_E10value_typeET4_jRbjT5_S1E_jjP12ihipStream_tbEUljE_ZNSN_ISO_Lb1ESQ_SR_ST_SU_SY_EESZ_S10_S11_S12_S16_S17_S18_S1B_S1C_jS1D_jS1E_S1E_jjS1G_bEUljE0_EEESZ_S10_S11_S18_S1C_S1E_T6_T7_T9_mT8_S1G_bDpT10_ENKUlT_T0_E_clISt17integral_constantIbLb0EES1U_EEDaS1P_S1Q_EUlS1P_E_NS1_11comp_targetILNS1_3genE9ELNS1_11target_archE1100ELNS1_3gpuE3ELNS1_3repE0EEENS1_30default_config_static_selectorELNS0_4arch9wavefront6targetE1EEEvS12_.kd
    .uniform_work_group_size: 1
    .uses_dynamic_stack: false
    .vgpr_count:     0
    .vgpr_spill_count: 0
    .wavefront_size: 64
  - .agpr_count:     0
    .args:
      - .offset:         0
        .size:           176
        .value_kind:     by_value
    .group_segment_fixed_size: 0
    .kernarg_segment_align: 8
    .kernarg_segment_size: 176
    .language:       OpenCL C
    .language_version:
      - 2
      - 0
    .max_flat_workgroup_size: 256
    .name:           _ZN7rocprim17ROCPRIM_400000_NS6detail17trampoline_kernelINS0_13select_configILj256ELj13ELNS0_17block_load_methodE3ELS4_3ELS4_3ELNS0_20block_scan_algorithmE0ELj4294967295EEENS1_25partition_config_selectorILNS1_17partition_subalgoE4EjNS0_10empty_typeEbEEZZNS1_14partition_implILS8_4ELb0ES6_15HIP_vector_typeIjLj2EENS0_17counting_iteratorIjlEEPS9_SG_NS0_5tupleIJPjSI_NS0_16reverse_iteratorISI_EEEEENSH_IJSG_SG_SG_EEES9_SI_JZNS1_25segmented_radix_sort_implINS0_14default_configELb1EPKdPdPKlPlN2at6native12_GLOBAL__N_18offset_tEEE10hipError_tPvRmT1_PNSt15iterator_traitsIS12_E10value_typeET2_T3_PNS13_IS18_E10value_typeET4_jRbjT5_S1E_jjP12ihipStream_tbEUljE_ZNSN_ISO_Lb1ESQ_SR_ST_SU_SY_EESZ_S10_S11_S12_S16_S17_S18_S1B_S1C_jS1D_jS1E_S1E_jjS1G_bEUljE0_EEESZ_S10_S11_S18_S1C_S1E_T6_T7_T9_mT8_S1G_bDpT10_ENKUlT_T0_E_clISt17integral_constantIbLb0EES1U_EEDaS1P_S1Q_EUlS1P_E_NS1_11comp_targetILNS1_3genE8ELNS1_11target_archE1030ELNS1_3gpuE2ELNS1_3repE0EEENS1_30default_config_static_selectorELNS0_4arch9wavefront6targetE1EEEvS12_
    .private_segment_fixed_size: 0
    .sgpr_count:     4
    .sgpr_spill_count: 0
    .symbol:         _ZN7rocprim17ROCPRIM_400000_NS6detail17trampoline_kernelINS0_13select_configILj256ELj13ELNS0_17block_load_methodE3ELS4_3ELS4_3ELNS0_20block_scan_algorithmE0ELj4294967295EEENS1_25partition_config_selectorILNS1_17partition_subalgoE4EjNS0_10empty_typeEbEEZZNS1_14partition_implILS8_4ELb0ES6_15HIP_vector_typeIjLj2EENS0_17counting_iteratorIjlEEPS9_SG_NS0_5tupleIJPjSI_NS0_16reverse_iteratorISI_EEEEENSH_IJSG_SG_SG_EEES9_SI_JZNS1_25segmented_radix_sort_implINS0_14default_configELb1EPKdPdPKlPlN2at6native12_GLOBAL__N_18offset_tEEE10hipError_tPvRmT1_PNSt15iterator_traitsIS12_E10value_typeET2_T3_PNS13_IS18_E10value_typeET4_jRbjT5_S1E_jjP12ihipStream_tbEUljE_ZNSN_ISO_Lb1ESQ_SR_ST_SU_SY_EESZ_S10_S11_S12_S16_S17_S18_S1B_S1C_jS1D_jS1E_S1E_jjS1G_bEUljE0_EEESZ_S10_S11_S18_S1C_S1E_T6_T7_T9_mT8_S1G_bDpT10_ENKUlT_T0_E_clISt17integral_constantIbLb0EES1U_EEDaS1P_S1Q_EUlS1P_E_NS1_11comp_targetILNS1_3genE8ELNS1_11target_archE1030ELNS1_3gpuE2ELNS1_3repE0EEENS1_30default_config_static_selectorELNS0_4arch9wavefront6targetE1EEEvS12_.kd
    .uniform_work_group_size: 1
    .uses_dynamic_stack: false
    .vgpr_count:     0
    .vgpr_spill_count: 0
    .wavefront_size: 64
  - .agpr_count:     0
    .args:
      - .offset:         0
        .size:           184
        .value_kind:     by_value
    .group_segment_fixed_size: 0
    .kernarg_segment_align: 8
    .kernarg_segment_size: 184
    .language:       OpenCL C
    .language_version:
      - 2
      - 0
    .max_flat_workgroup_size: 256
    .name:           _ZN7rocprim17ROCPRIM_400000_NS6detail17trampoline_kernelINS0_13select_configILj256ELj13ELNS0_17block_load_methodE3ELS4_3ELS4_3ELNS0_20block_scan_algorithmE0ELj4294967295EEENS1_25partition_config_selectorILNS1_17partition_subalgoE4EjNS0_10empty_typeEbEEZZNS1_14partition_implILS8_4ELb0ES6_15HIP_vector_typeIjLj2EENS0_17counting_iteratorIjlEEPS9_SG_NS0_5tupleIJPjSI_NS0_16reverse_iteratorISI_EEEEENSH_IJSG_SG_SG_EEES9_SI_JZNS1_25segmented_radix_sort_implINS0_14default_configELb1EPKdPdPKlPlN2at6native12_GLOBAL__N_18offset_tEEE10hipError_tPvRmT1_PNSt15iterator_traitsIS12_E10value_typeET2_T3_PNS13_IS18_E10value_typeET4_jRbjT5_S1E_jjP12ihipStream_tbEUljE_ZNSN_ISO_Lb1ESQ_SR_ST_SU_SY_EESZ_S10_S11_S12_S16_S17_S18_S1B_S1C_jS1D_jS1E_S1E_jjS1G_bEUljE0_EEESZ_S10_S11_S18_S1C_S1E_T6_T7_T9_mT8_S1G_bDpT10_ENKUlT_T0_E_clISt17integral_constantIbLb1EES1U_EEDaS1P_S1Q_EUlS1P_E_NS1_11comp_targetILNS1_3genE0ELNS1_11target_archE4294967295ELNS1_3gpuE0ELNS1_3repE0EEENS1_30default_config_static_selectorELNS0_4arch9wavefront6targetE1EEEvS12_
    .private_segment_fixed_size: 0
    .sgpr_count:     4
    .sgpr_spill_count: 0
    .symbol:         _ZN7rocprim17ROCPRIM_400000_NS6detail17trampoline_kernelINS0_13select_configILj256ELj13ELNS0_17block_load_methodE3ELS4_3ELS4_3ELNS0_20block_scan_algorithmE0ELj4294967295EEENS1_25partition_config_selectorILNS1_17partition_subalgoE4EjNS0_10empty_typeEbEEZZNS1_14partition_implILS8_4ELb0ES6_15HIP_vector_typeIjLj2EENS0_17counting_iteratorIjlEEPS9_SG_NS0_5tupleIJPjSI_NS0_16reverse_iteratorISI_EEEEENSH_IJSG_SG_SG_EEES9_SI_JZNS1_25segmented_radix_sort_implINS0_14default_configELb1EPKdPdPKlPlN2at6native12_GLOBAL__N_18offset_tEEE10hipError_tPvRmT1_PNSt15iterator_traitsIS12_E10value_typeET2_T3_PNS13_IS18_E10value_typeET4_jRbjT5_S1E_jjP12ihipStream_tbEUljE_ZNSN_ISO_Lb1ESQ_SR_ST_SU_SY_EESZ_S10_S11_S12_S16_S17_S18_S1B_S1C_jS1D_jS1E_S1E_jjS1G_bEUljE0_EEESZ_S10_S11_S18_S1C_S1E_T6_T7_T9_mT8_S1G_bDpT10_ENKUlT_T0_E_clISt17integral_constantIbLb1EES1U_EEDaS1P_S1Q_EUlS1P_E_NS1_11comp_targetILNS1_3genE0ELNS1_11target_archE4294967295ELNS1_3gpuE0ELNS1_3repE0EEENS1_30default_config_static_selectorELNS0_4arch9wavefront6targetE1EEEvS12_.kd
    .uniform_work_group_size: 1
    .uses_dynamic_stack: false
    .vgpr_count:     0
    .vgpr_spill_count: 0
    .wavefront_size: 64
  - .agpr_count:     0
    .args:
      - .offset:         0
        .size:           184
        .value_kind:     by_value
    .group_segment_fixed_size: 0
    .kernarg_segment_align: 8
    .kernarg_segment_size: 184
    .language:       OpenCL C
    .language_version:
      - 2
      - 0
    .max_flat_workgroup_size: 256
    .name:           _ZN7rocprim17ROCPRIM_400000_NS6detail17trampoline_kernelINS0_13select_configILj256ELj13ELNS0_17block_load_methodE3ELS4_3ELS4_3ELNS0_20block_scan_algorithmE0ELj4294967295EEENS1_25partition_config_selectorILNS1_17partition_subalgoE4EjNS0_10empty_typeEbEEZZNS1_14partition_implILS8_4ELb0ES6_15HIP_vector_typeIjLj2EENS0_17counting_iteratorIjlEEPS9_SG_NS0_5tupleIJPjSI_NS0_16reverse_iteratorISI_EEEEENSH_IJSG_SG_SG_EEES9_SI_JZNS1_25segmented_radix_sort_implINS0_14default_configELb1EPKdPdPKlPlN2at6native12_GLOBAL__N_18offset_tEEE10hipError_tPvRmT1_PNSt15iterator_traitsIS12_E10value_typeET2_T3_PNS13_IS18_E10value_typeET4_jRbjT5_S1E_jjP12ihipStream_tbEUljE_ZNSN_ISO_Lb1ESQ_SR_ST_SU_SY_EESZ_S10_S11_S12_S16_S17_S18_S1B_S1C_jS1D_jS1E_S1E_jjS1G_bEUljE0_EEESZ_S10_S11_S18_S1C_S1E_T6_T7_T9_mT8_S1G_bDpT10_ENKUlT_T0_E_clISt17integral_constantIbLb1EES1U_EEDaS1P_S1Q_EUlS1P_E_NS1_11comp_targetILNS1_3genE5ELNS1_11target_archE942ELNS1_3gpuE9ELNS1_3repE0EEENS1_30default_config_static_selectorELNS0_4arch9wavefront6targetE1EEEvS12_
    .private_segment_fixed_size: 0
    .sgpr_count:     4
    .sgpr_spill_count: 0
    .symbol:         _ZN7rocprim17ROCPRIM_400000_NS6detail17trampoline_kernelINS0_13select_configILj256ELj13ELNS0_17block_load_methodE3ELS4_3ELS4_3ELNS0_20block_scan_algorithmE0ELj4294967295EEENS1_25partition_config_selectorILNS1_17partition_subalgoE4EjNS0_10empty_typeEbEEZZNS1_14partition_implILS8_4ELb0ES6_15HIP_vector_typeIjLj2EENS0_17counting_iteratorIjlEEPS9_SG_NS0_5tupleIJPjSI_NS0_16reverse_iteratorISI_EEEEENSH_IJSG_SG_SG_EEES9_SI_JZNS1_25segmented_radix_sort_implINS0_14default_configELb1EPKdPdPKlPlN2at6native12_GLOBAL__N_18offset_tEEE10hipError_tPvRmT1_PNSt15iterator_traitsIS12_E10value_typeET2_T3_PNS13_IS18_E10value_typeET4_jRbjT5_S1E_jjP12ihipStream_tbEUljE_ZNSN_ISO_Lb1ESQ_SR_ST_SU_SY_EESZ_S10_S11_S12_S16_S17_S18_S1B_S1C_jS1D_jS1E_S1E_jjS1G_bEUljE0_EEESZ_S10_S11_S18_S1C_S1E_T6_T7_T9_mT8_S1G_bDpT10_ENKUlT_T0_E_clISt17integral_constantIbLb1EES1U_EEDaS1P_S1Q_EUlS1P_E_NS1_11comp_targetILNS1_3genE5ELNS1_11target_archE942ELNS1_3gpuE9ELNS1_3repE0EEENS1_30default_config_static_selectorELNS0_4arch9wavefront6targetE1EEEvS12_.kd
    .uniform_work_group_size: 1
    .uses_dynamic_stack: false
    .vgpr_count:     0
    .vgpr_spill_count: 0
    .wavefront_size: 64
  - .agpr_count:     0
    .args:
      - .offset:         0
        .size:           184
        .value_kind:     by_value
    .group_segment_fixed_size: 13340
    .kernarg_segment_align: 8
    .kernarg_segment_size: 184
    .language:       OpenCL C
    .language_version:
      - 2
      - 0
    .max_flat_workgroup_size: 256
    .name:           _ZN7rocprim17ROCPRIM_400000_NS6detail17trampoline_kernelINS0_13select_configILj256ELj13ELNS0_17block_load_methodE3ELS4_3ELS4_3ELNS0_20block_scan_algorithmE0ELj4294967295EEENS1_25partition_config_selectorILNS1_17partition_subalgoE4EjNS0_10empty_typeEbEEZZNS1_14partition_implILS8_4ELb0ES6_15HIP_vector_typeIjLj2EENS0_17counting_iteratorIjlEEPS9_SG_NS0_5tupleIJPjSI_NS0_16reverse_iteratorISI_EEEEENSH_IJSG_SG_SG_EEES9_SI_JZNS1_25segmented_radix_sort_implINS0_14default_configELb1EPKdPdPKlPlN2at6native12_GLOBAL__N_18offset_tEEE10hipError_tPvRmT1_PNSt15iterator_traitsIS12_E10value_typeET2_T3_PNS13_IS18_E10value_typeET4_jRbjT5_S1E_jjP12ihipStream_tbEUljE_ZNSN_ISO_Lb1ESQ_SR_ST_SU_SY_EESZ_S10_S11_S12_S16_S17_S18_S1B_S1C_jS1D_jS1E_S1E_jjS1G_bEUljE0_EEESZ_S10_S11_S18_S1C_S1E_T6_T7_T9_mT8_S1G_bDpT10_ENKUlT_T0_E_clISt17integral_constantIbLb1EES1U_EEDaS1P_S1Q_EUlS1P_E_NS1_11comp_targetILNS1_3genE4ELNS1_11target_archE910ELNS1_3gpuE8ELNS1_3repE0EEENS1_30default_config_static_selectorELNS0_4arch9wavefront6targetE1EEEvS12_
    .private_segment_fixed_size: 0
    .sgpr_count:     91
    .sgpr_spill_count: 0
    .symbol:         _ZN7rocprim17ROCPRIM_400000_NS6detail17trampoline_kernelINS0_13select_configILj256ELj13ELNS0_17block_load_methodE3ELS4_3ELS4_3ELNS0_20block_scan_algorithmE0ELj4294967295EEENS1_25partition_config_selectorILNS1_17partition_subalgoE4EjNS0_10empty_typeEbEEZZNS1_14partition_implILS8_4ELb0ES6_15HIP_vector_typeIjLj2EENS0_17counting_iteratorIjlEEPS9_SG_NS0_5tupleIJPjSI_NS0_16reverse_iteratorISI_EEEEENSH_IJSG_SG_SG_EEES9_SI_JZNS1_25segmented_radix_sort_implINS0_14default_configELb1EPKdPdPKlPlN2at6native12_GLOBAL__N_18offset_tEEE10hipError_tPvRmT1_PNSt15iterator_traitsIS12_E10value_typeET2_T3_PNS13_IS18_E10value_typeET4_jRbjT5_S1E_jjP12ihipStream_tbEUljE_ZNSN_ISO_Lb1ESQ_SR_ST_SU_SY_EESZ_S10_S11_S12_S16_S17_S18_S1B_S1C_jS1D_jS1E_S1E_jjS1G_bEUljE0_EEESZ_S10_S11_S18_S1C_S1E_T6_T7_T9_mT8_S1G_bDpT10_ENKUlT_T0_E_clISt17integral_constantIbLb1EES1U_EEDaS1P_S1Q_EUlS1P_E_NS1_11comp_targetILNS1_3genE4ELNS1_11target_archE910ELNS1_3gpuE8ELNS1_3repE0EEENS1_30default_config_static_selectorELNS0_4arch9wavefront6targetE1EEEvS12_.kd
    .uniform_work_group_size: 1
    .uses_dynamic_stack: false
    .vgpr_count:     107
    .vgpr_spill_count: 0
    .wavefront_size: 64
  - .agpr_count:     0
    .args:
      - .offset:         0
        .size:           184
        .value_kind:     by_value
    .group_segment_fixed_size: 0
    .kernarg_segment_align: 8
    .kernarg_segment_size: 184
    .language:       OpenCL C
    .language_version:
      - 2
      - 0
    .max_flat_workgroup_size: 256
    .name:           _ZN7rocprim17ROCPRIM_400000_NS6detail17trampoline_kernelINS0_13select_configILj256ELj13ELNS0_17block_load_methodE3ELS4_3ELS4_3ELNS0_20block_scan_algorithmE0ELj4294967295EEENS1_25partition_config_selectorILNS1_17partition_subalgoE4EjNS0_10empty_typeEbEEZZNS1_14partition_implILS8_4ELb0ES6_15HIP_vector_typeIjLj2EENS0_17counting_iteratorIjlEEPS9_SG_NS0_5tupleIJPjSI_NS0_16reverse_iteratorISI_EEEEENSH_IJSG_SG_SG_EEES9_SI_JZNS1_25segmented_radix_sort_implINS0_14default_configELb1EPKdPdPKlPlN2at6native12_GLOBAL__N_18offset_tEEE10hipError_tPvRmT1_PNSt15iterator_traitsIS12_E10value_typeET2_T3_PNS13_IS18_E10value_typeET4_jRbjT5_S1E_jjP12ihipStream_tbEUljE_ZNSN_ISO_Lb1ESQ_SR_ST_SU_SY_EESZ_S10_S11_S12_S16_S17_S18_S1B_S1C_jS1D_jS1E_S1E_jjS1G_bEUljE0_EEESZ_S10_S11_S18_S1C_S1E_T6_T7_T9_mT8_S1G_bDpT10_ENKUlT_T0_E_clISt17integral_constantIbLb1EES1U_EEDaS1P_S1Q_EUlS1P_E_NS1_11comp_targetILNS1_3genE3ELNS1_11target_archE908ELNS1_3gpuE7ELNS1_3repE0EEENS1_30default_config_static_selectorELNS0_4arch9wavefront6targetE1EEEvS12_
    .private_segment_fixed_size: 0
    .sgpr_count:     4
    .sgpr_spill_count: 0
    .symbol:         _ZN7rocprim17ROCPRIM_400000_NS6detail17trampoline_kernelINS0_13select_configILj256ELj13ELNS0_17block_load_methodE3ELS4_3ELS4_3ELNS0_20block_scan_algorithmE0ELj4294967295EEENS1_25partition_config_selectorILNS1_17partition_subalgoE4EjNS0_10empty_typeEbEEZZNS1_14partition_implILS8_4ELb0ES6_15HIP_vector_typeIjLj2EENS0_17counting_iteratorIjlEEPS9_SG_NS0_5tupleIJPjSI_NS0_16reverse_iteratorISI_EEEEENSH_IJSG_SG_SG_EEES9_SI_JZNS1_25segmented_radix_sort_implINS0_14default_configELb1EPKdPdPKlPlN2at6native12_GLOBAL__N_18offset_tEEE10hipError_tPvRmT1_PNSt15iterator_traitsIS12_E10value_typeET2_T3_PNS13_IS18_E10value_typeET4_jRbjT5_S1E_jjP12ihipStream_tbEUljE_ZNSN_ISO_Lb1ESQ_SR_ST_SU_SY_EESZ_S10_S11_S12_S16_S17_S18_S1B_S1C_jS1D_jS1E_S1E_jjS1G_bEUljE0_EEESZ_S10_S11_S18_S1C_S1E_T6_T7_T9_mT8_S1G_bDpT10_ENKUlT_T0_E_clISt17integral_constantIbLb1EES1U_EEDaS1P_S1Q_EUlS1P_E_NS1_11comp_targetILNS1_3genE3ELNS1_11target_archE908ELNS1_3gpuE7ELNS1_3repE0EEENS1_30default_config_static_selectorELNS0_4arch9wavefront6targetE1EEEvS12_.kd
    .uniform_work_group_size: 1
    .uses_dynamic_stack: false
    .vgpr_count:     0
    .vgpr_spill_count: 0
    .wavefront_size: 64
  - .agpr_count:     0
    .args:
      - .offset:         0
        .size:           184
        .value_kind:     by_value
    .group_segment_fixed_size: 0
    .kernarg_segment_align: 8
    .kernarg_segment_size: 184
    .language:       OpenCL C
    .language_version:
      - 2
      - 0
    .max_flat_workgroup_size: 256
    .name:           _ZN7rocprim17ROCPRIM_400000_NS6detail17trampoline_kernelINS0_13select_configILj256ELj13ELNS0_17block_load_methodE3ELS4_3ELS4_3ELNS0_20block_scan_algorithmE0ELj4294967295EEENS1_25partition_config_selectorILNS1_17partition_subalgoE4EjNS0_10empty_typeEbEEZZNS1_14partition_implILS8_4ELb0ES6_15HIP_vector_typeIjLj2EENS0_17counting_iteratorIjlEEPS9_SG_NS0_5tupleIJPjSI_NS0_16reverse_iteratorISI_EEEEENSH_IJSG_SG_SG_EEES9_SI_JZNS1_25segmented_radix_sort_implINS0_14default_configELb1EPKdPdPKlPlN2at6native12_GLOBAL__N_18offset_tEEE10hipError_tPvRmT1_PNSt15iterator_traitsIS12_E10value_typeET2_T3_PNS13_IS18_E10value_typeET4_jRbjT5_S1E_jjP12ihipStream_tbEUljE_ZNSN_ISO_Lb1ESQ_SR_ST_SU_SY_EESZ_S10_S11_S12_S16_S17_S18_S1B_S1C_jS1D_jS1E_S1E_jjS1G_bEUljE0_EEESZ_S10_S11_S18_S1C_S1E_T6_T7_T9_mT8_S1G_bDpT10_ENKUlT_T0_E_clISt17integral_constantIbLb1EES1U_EEDaS1P_S1Q_EUlS1P_E_NS1_11comp_targetILNS1_3genE2ELNS1_11target_archE906ELNS1_3gpuE6ELNS1_3repE0EEENS1_30default_config_static_selectorELNS0_4arch9wavefront6targetE1EEEvS12_
    .private_segment_fixed_size: 0
    .sgpr_count:     4
    .sgpr_spill_count: 0
    .symbol:         _ZN7rocprim17ROCPRIM_400000_NS6detail17trampoline_kernelINS0_13select_configILj256ELj13ELNS0_17block_load_methodE3ELS4_3ELS4_3ELNS0_20block_scan_algorithmE0ELj4294967295EEENS1_25partition_config_selectorILNS1_17partition_subalgoE4EjNS0_10empty_typeEbEEZZNS1_14partition_implILS8_4ELb0ES6_15HIP_vector_typeIjLj2EENS0_17counting_iteratorIjlEEPS9_SG_NS0_5tupleIJPjSI_NS0_16reverse_iteratorISI_EEEEENSH_IJSG_SG_SG_EEES9_SI_JZNS1_25segmented_radix_sort_implINS0_14default_configELb1EPKdPdPKlPlN2at6native12_GLOBAL__N_18offset_tEEE10hipError_tPvRmT1_PNSt15iterator_traitsIS12_E10value_typeET2_T3_PNS13_IS18_E10value_typeET4_jRbjT5_S1E_jjP12ihipStream_tbEUljE_ZNSN_ISO_Lb1ESQ_SR_ST_SU_SY_EESZ_S10_S11_S12_S16_S17_S18_S1B_S1C_jS1D_jS1E_S1E_jjS1G_bEUljE0_EEESZ_S10_S11_S18_S1C_S1E_T6_T7_T9_mT8_S1G_bDpT10_ENKUlT_T0_E_clISt17integral_constantIbLb1EES1U_EEDaS1P_S1Q_EUlS1P_E_NS1_11comp_targetILNS1_3genE2ELNS1_11target_archE906ELNS1_3gpuE6ELNS1_3repE0EEENS1_30default_config_static_selectorELNS0_4arch9wavefront6targetE1EEEvS12_.kd
    .uniform_work_group_size: 1
    .uses_dynamic_stack: false
    .vgpr_count:     0
    .vgpr_spill_count: 0
    .wavefront_size: 64
  - .agpr_count:     0
    .args:
      - .offset:         0
        .size:           184
        .value_kind:     by_value
    .group_segment_fixed_size: 0
    .kernarg_segment_align: 8
    .kernarg_segment_size: 184
    .language:       OpenCL C
    .language_version:
      - 2
      - 0
    .max_flat_workgroup_size: 256
    .name:           _ZN7rocprim17ROCPRIM_400000_NS6detail17trampoline_kernelINS0_13select_configILj256ELj13ELNS0_17block_load_methodE3ELS4_3ELS4_3ELNS0_20block_scan_algorithmE0ELj4294967295EEENS1_25partition_config_selectorILNS1_17partition_subalgoE4EjNS0_10empty_typeEbEEZZNS1_14partition_implILS8_4ELb0ES6_15HIP_vector_typeIjLj2EENS0_17counting_iteratorIjlEEPS9_SG_NS0_5tupleIJPjSI_NS0_16reverse_iteratorISI_EEEEENSH_IJSG_SG_SG_EEES9_SI_JZNS1_25segmented_radix_sort_implINS0_14default_configELb1EPKdPdPKlPlN2at6native12_GLOBAL__N_18offset_tEEE10hipError_tPvRmT1_PNSt15iterator_traitsIS12_E10value_typeET2_T3_PNS13_IS18_E10value_typeET4_jRbjT5_S1E_jjP12ihipStream_tbEUljE_ZNSN_ISO_Lb1ESQ_SR_ST_SU_SY_EESZ_S10_S11_S12_S16_S17_S18_S1B_S1C_jS1D_jS1E_S1E_jjS1G_bEUljE0_EEESZ_S10_S11_S18_S1C_S1E_T6_T7_T9_mT8_S1G_bDpT10_ENKUlT_T0_E_clISt17integral_constantIbLb1EES1U_EEDaS1P_S1Q_EUlS1P_E_NS1_11comp_targetILNS1_3genE10ELNS1_11target_archE1200ELNS1_3gpuE4ELNS1_3repE0EEENS1_30default_config_static_selectorELNS0_4arch9wavefront6targetE1EEEvS12_
    .private_segment_fixed_size: 0
    .sgpr_count:     4
    .sgpr_spill_count: 0
    .symbol:         _ZN7rocprim17ROCPRIM_400000_NS6detail17trampoline_kernelINS0_13select_configILj256ELj13ELNS0_17block_load_methodE3ELS4_3ELS4_3ELNS0_20block_scan_algorithmE0ELj4294967295EEENS1_25partition_config_selectorILNS1_17partition_subalgoE4EjNS0_10empty_typeEbEEZZNS1_14partition_implILS8_4ELb0ES6_15HIP_vector_typeIjLj2EENS0_17counting_iteratorIjlEEPS9_SG_NS0_5tupleIJPjSI_NS0_16reverse_iteratorISI_EEEEENSH_IJSG_SG_SG_EEES9_SI_JZNS1_25segmented_radix_sort_implINS0_14default_configELb1EPKdPdPKlPlN2at6native12_GLOBAL__N_18offset_tEEE10hipError_tPvRmT1_PNSt15iterator_traitsIS12_E10value_typeET2_T3_PNS13_IS18_E10value_typeET4_jRbjT5_S1E_jjP12ihipStream_tbEUljE_ZNSN_ISO_Lb1ESQ_SR_ST_SU_SY_EESZ_S10_S11_S12_S16_S17_S18_S1B_S1C_jS1D_jS1E_S1E_jjS1G_bEUljE0_EEESZ_S10_S11_S18_S1C_S1E_T6_T7_T9_mT8_S1G_bDpT10_ENKUlT_T0_E_clISt17integral_constantIbLb1EES1U_EEDaS1P_S1Q_EUlS1P_E_NS1_11comp_targetILNS1_3genE10ELNS1_11target_archE1200ELNS1_3gpuE4ELNS1_3repE0EEENS1_30default_config_static_selectorELNS0_4arch9wavefront6targetE1EEEvS12_.kd
    .uniform_work_group_size: 1
    .uses_dynamic_stack: false
    .vgpr_count:     0
    .vgpr_spill_count: 0
    .wavefront_size: 64
  - .agpr_count:     0
    .args:
      - .offset:         0
        .size:           184
        .value_kind:     by_value
    .group_segment_fixed_size: 0
    .kernarg_segment_align: 8
    .kernarg_segment_size: 184
    .language:       OpenCL C
    .language_version:
      - 2
      - 0
    .max_flat_workgroup_size: 256
    .name:           _ZN7rocprim17ROCPRIM_400000_NS6detail17trampoline_kernelINS0_13select_configILj256ELj13ELNS0_17block_load_methodE3ELS4_3ELS4_3ELNS0_20block_scan_algorithmE0ELj4294967295EEENS1_25partition_config_selectorILNS1_17partition_subalgoE4EjNS0_10empty_typeEbEEZZNS1_14partition_implILS8_4ELb0ES6_15HIP_vector_typeIjLj2EENS0_17counting_iteratorIjlEEPS9_SG_NS0_5tupleIJPjSI_NS0_16reverse_iteratorISI_EEEEENSH_IJSG_SG_SG_EEES9_SI_JZNS1_25segmented_radix_sort_implINS0_14default_configELb1EPKdPdPKlPlN2at6native12_GLOBAL__N_18offset_tEEE10hipError_tPvRmT1_PNSt15iterator_traitsIS12_E10value_typeET2_T3_PNS13_IS18_E10value_typeET4_jRbjT5_S1E_jjP12ihipStream_tbEUljE_ZNSN_ISO_Lb1ESQ_SR_ST_SU_SY_EESZ_S10_S11_S12_S16_S17_S18_S1B_S1C_jS1D_jS1E_S1E_jjS1G_bEUljE0_EEESZ_S10_S11_S18_S1C_S1E_T6_T7_T9_mT8_S1G_bDpT10_ENKUlT_T0_E_clISt17integral_constantIbLb1EES1U_EEDaS1P_S1Q_EUlS1P_E_NS1_11comp_targetILNS1_3genE9ELNS1_11target_archE1100ELNS1_3gpuE3ELNS1_3repE0EEENS1_30default_config_static_selectorELNS0_4arch9wavefront6targetE1EEEvS12_
    .private_segment_fixed_size: 0
    .sgpr_count:     4
    .sgpr_spill_count: 0
    .symbol:         _ZN7rocprim17ROCPRIM_400000_NS6detail17trampoline_kernelINS0_13select_configILj256ELj13ELNS0_17block_load_methodE3ELS4_3ELS4_3ELNS0_20block_scan_algorithmE0ELj4294967295EEENS1_25partition_config_selectorILNS1_17partition_subalgoE4EjNS0_10empty_typeEbEEZZNS1_14partition_implILS8_4ELb0ES6_15HIP_vector_typeIjLj2EENS0_17counting_iteratorIjlEEPS9_SG_NS0_5tupleIJPjSI_NS0_16reverse_iteratorISI_EEEEENSH_IJSG_SG_SG_EEES9_SI_JZNS1_25segmented_radix_sort_implINS0_14default_configELb1EPKdPdPKlPlN2at6native12_GLOBAL__N_18offset_tEEE10hipError_tPvRmT1_PNSt15iterator_traitsIS12_E10value_typeET2_T3_PNS13_IS18_E10value_typeET4_jRbjT5_S1E_jjP12ihipStream_tbEUljE_ZNSN_ISO_Lb1ESQ_SR_ST_SU_SY_EESZ_S10_S11_S12_S16_S17_S18_S1B_S1C_jS1D_jS1E_S1E_jjS1G_bEUljE0_EEESZ_S10_S11_S18_S1C_S1E_T6_T7_T9_mT8_S1G_bDpT10_ENKUlT_T0_E_clISt17integral_constantIbLb1EES1U_EEDaS1P_S1Q_EUlS1P_E_NS1_11comp_targetILNS1_3genE9ELNS1_11target_archE1100ELNS1_3gpuE3ELNS1_3repE0EEENS1_30default_config_static_selectorELNS0_4arch9wavefront6targetE1EEEvS12_.kd
    .uniform_work_group_size: 1
    .uses_dynamic_stack: false
    .vgpr_count:     0
    .vgpr_spill_count: 0
    .wavefront_size: 64
  - .agpr_count:     0
    .args:
      - .offset:         0
        .size:           184
        .value_kind:     by_value
    .group_segment_fixed_size: 0
    .kernarg_segment_align: 8
    .kernarg_segment_size: 184
    .language:       OpenCL C
    .language_version:
      - 2
      - 0
    .max_flat_workgroup_size: 256
    .name:           _ZN7rocprim17ROCPRIM_400000_NS6detail17trampoline_kernelINS0_13select_configILj256ELj13ELNS0_17block_load_methodE3ELS4_3ELS4_3ELNS0_20block_scan_algorithmE0ELj4294967295EEENS1_25partition_config_selectorILNS1_17partition_subalgoE4EjNS0_10empty_typeEbEEZZNS1_14partition_implILS8_4ELb0ES6_15HIP_vector_typeIjLj2EENS0_17counting_iteratorIjlEEPS9_SG_NS0_5tupleIJPjSI_NS0_16reverse_iteratorISI_EEEEENSH_IJSG_SG_SG_EEES9_SI_JZNS1_25segmented_radix_sort_implINS0_14default_configELb1EPKdPdPKlPlN2at6native12_GLOBAL__N_18offset_tEEE10hipError_tPvRmT1_PNSt15iterator_traitsIS12_E10value_typeET2_T3_PNS13_IS18_E10value_typeET4_jRbjT5_S1E_jjP12ihipStream_tbEUljE_ZNSN_ISO_Lb1ESQ_SR_ST_SU_SY_EESZ_S10_S11_S12_S16_S17_S18_S1B_S1C_jS1D_jS1E_S1E_jjS1G_bEUljE0_EEESZ_S10_S11_S18_S1C_S1E_T6_T7_T9_mT8_S1G_bDpT10_ENKUlT_T0_E_clISt17integral_constantIbLb1EES1U_EEDaS1P_S1Q_EUlS1P_E_NS1_11comp_targetILNS1_3genE8ELNS1_11target_archE1030ELNS1_3gpuE2ELNS1_3repE0EEENS1_30default_config_static_selectorELNS0_4arch9wavefront6targetE1EEEvS12_
    .private_segment_fixed_size: 0
    .sgpr_count:     4
    .sgpr_spill_count: 0
    .symbol:         _ZN7rocprim17ROCPRIM_400000_NS6detail17trampoline_kernelINS0_13select_configILj256ELj13ELNS0_17block_load_methodE3ELS4_3ELS4_3ELNS0_20block_scan_algorithmE0ELj4294967295EEENS1_25partition_config_selectorILNS1_17partition_subalgoE4EjNS0_10empty_typeEbEEZZNS1_14partition_implILS8_4ELb0ES6_15HIP_vector_typeIjLj2EENS0_17counting_iteratorIjlEEPS9_SG_NS0_5tupleIJPjSI_NS0_16reverse_iteratorISI_EEEEENSH_IJSG_SG_SG_EEES9_SI_JZNS1_25segmented_radix_sort_implINS0_14default_configELb1EPKdPdPKlPlN2at6native12_GLOBAL__N_18offset_tEEE10hipError_tPvRmT1_PNSt15iterator_traitsIS12_E10value_typeET2_T3_PNS13_IS18_E10value_typeET4_jRbjT5_S1E_jjP12ihipStream_tbEUljE_ZNSN_ISO_Lb1ESQ_SR_ST_SU_SY_EESZ_S10_S11_S12_S16_S17_S18_S1B_S1C_jS1D_jS1E_S1E_jjS1G_bEUljE0_EEESZ_S10_S11_S18_S1C_S1E_T6_T7_T9_mT8_S1G_bDpT10_ENKUlT_T0_E_clISt17integral_constantIbLb1EES1U_EEDaS1P_S1Q_EUlS1P_E_NS1_11comp_targetILNS1_3genE8ELNS1_11target_archE1030ELNS1_3gpuE2ELNS1_3repE0EEENS1_30default_config_static_selectorELNS0_4arch9wavefront6targetE1EEEvS12_.kd
    .uniform_work_group_size: 1
    .uses_dynamic_stack: false
    .vgpr_count:     0
    .vgpr_spill_count: 0
    .wavefront_size: 64
  - .agpr_count:     0
    .args:
      - .offset:         0
        .size:           176
        .value_kind:     by_value
    .group_segment_fixed_size: 0
    .kernarg_segment_align: 8
    .kernarg_segment_size: 176
    .language:       OpenCL C
    .language_version:
      - 2
      - 0
    .max_flat_workgroup_size: 256
    .name:           _ZN7rocprim17ROCPRIM_400000_NS6detail17trampoline_kernelINS0_13select_configILj256ELj13ELNS0_17block_load_methodE3ELS4_3ELS4_3ELNS0_20block_scan_algorithmE0ELj4294967295EEENS1_25partition_config_selectorILNS1_17partition_subalgoE4EjNS0_10empty_typeEbEEZZNS1_14partition_implILS8_4ELb0ES6_15HIP_vector_typeIjLj2EENS0_17counting_iteratorIjlEEPS9_SG_NS0_5tupleIJPjSI_NS0_16reverse_iteratorISI_EEEEENSH_IJSG_SG_SG_EEES9_SI_JZNS1_25segmented_radix_sort_implINS0_14default_configELb1EPKdPdPKlPlN2at6native12_GLOBAL__N_18offset_tEEE10hipError_tPvRmT1_PNSt15iterator_traitsIS12_E10value_typeET2_T3_PNS13_IS18_E10value_typeET4_jRbjT5_S1E_jjP12ihipStream_tbEUljE_ZNSN_ISO_Lb1ESQ_SR_ST_SU_SY_EESZ_S10_S11_S12_S16_S17_S18_S1B_S1C_jS1D_jS1E_S1E_jjS1G_bEUljE0_EEESZ_S10_S11_S18_S1C_S1E_T6_T7_T9_mT8_S1G_bDpT10_ENKUlT_T0_E_clISt17integral_constantIbLb1EES1T_IbLb0EEEEDaS1P_S1Q_EUlS1P_E_NS1_11comp_targetILNS1_3genE0ELNS1_11target_archE4294967295ELNS1_3gpuE0ELNS1_3repE0EEENS1_30default_config_static_selectorELNS0_4arch9wavefront6targetE1EEEvS12_
    .private_segment_fixed_size: 0
    .sgpr_count:     4
    .sgpr_spill_count: 0
    .symbol:         _ZN7rocprim17ROCPRIM_400000_NS6detail17trampoline_kernelINS0_13select_configILj256ELj13ELNS0_17block_load_methodE3ELS4_3ELS4_3ELNS0_20block_scan_algorithmE0ELj4294967295EEENS1_25partition_config_selectorILNS1_17partition_subalgoE4EjNS0_10empty_typeEbEEZZNS1_14partition_implILS8_4ELb0ES6_15HIP_vector_typeIjLj2EENS0_17counting_iteratorIjlEEPS9_SG_NS0_5tupleIJPjSI_NS0_16reverse_iteratorISI_EEEEENSH_IJSG_SG_SG_EEES9_SI_JZNS1_25segmented_radix_sort_implINS0_14default_configELb1EPKdPdPKlPlN2at6native12_GLOBAL__N_18offset_tEEE10hipError_tPvRmT1_PNSt15iterator_traitsIS12_E10value_typeET2_T3_PNS13_IS18_E10value_typeET4_jRbjT5_S1E_jjP12ihipStream_tbEUljE_ZNSN_ISO_Lb1ESQ_SR_ST_SU_SY_EESZ_S10_S11_S12_S16_S17_S18_S1B_S1C_jS1D_jS1E_S1E_jjS1G_bEUljE0_EEESZ_S10_S11_S18_S1C_S1E_T6_T7_T9_mT8_S1G_bDpT10_ENKUlT_T0_E_clISt17integral_constantIbLb1EES1T_IbLb0EEEEDaS1P_S1Q_EUlS1P_E_NS1_11comp_targetILNS1_3genE0ELNS1_11target_archE4294967295ELNS1_3gpuE0ELNS1_3repE0EEENS1_30default_config_static_selectorELNS0_4arch9wavefront6targetE1EEEvS12_.kd
    .uniform_work_group_size: 1
    .uses_dynamic_stack: false
    .vgpr_count:     0
    .vgpr_spill_count: 0
    .wavefront_size: 64
  - .agpr_count:     0
    .args:
      - .offset:         0
        .size:           176
        .value_kind:     by_value
    .group_segment_fixed_size: 0
    .kernarg_segment_align: 8
    .kernarg_segment_size: 176
    .language:       OpenCL C
    .language_version:
      - 2
      - 0
    .max_flat_workgroup_size: 256
    .name:           _ZN7rocprim17ROCPRIM_400000_NS6detail17trampoline_kernelINS0_13select_configILj256ELj13ELNS0_17block_load_methodE3ELS4_3ELS4_3ELNS0_20block_scan_algorithmE0ELj4294967295EEENS1_25partition_config_selectorILNS1_17partition_subalgoE4EjNS0_10empty_typeEbEEZZNS1_14partition_implILS8_4ELb0ES6_15HIP_vector_typeIjLj2EENS0_17counting_iteratorIjlEEPS9_SG_NS0_5tupleIJPjSI_NS0_16reverse_iteratorISI_EEEEENSH_IJSG_SG_SG_EEES9_SI_JZNS1_25segmented_radix_sort_implINS0_14default_configELb1EPKdPdPKlPlN2at6native12_GLOBAL__N_18offset_tEEE10hipError_tPvRmT1_PNSt15iterator_traitsIS12_E10value_typeET2_T3_PNS13_IS18_E10value_typeET4_jRbjT5_S1E_jjP12ihipStream_tbEUljE_ZNSN_ISO_Lb1ESQ_SR_ST_SU_SY_EESZ_S10_S11_S12_S16_S17_S18_S1B_S1C_jS1D_jS1E_S1E_jjS1G_bEUljE0_EEESZ_S10_S11_S18_S1C_S1E_T6_T7_T9_mT8_S1G_bDpT10_ENKUlT_T0_E_clISt17integral_constantIbLb1EES1T_IbLb0EEEEDaS1P_S1Q_EUlS1P_E_NS1_11comp_targetILNS1_3genE5ELNS1_11target_archE942ELNS1_3gpuE9ELNS1_3repE0EEENS1_30default_config_static_selectorELNS0_4arch9wavefront6targetE1EEEvS12_
    .private_segment_fixed_size: 0
    .sgpr_count:     4
    .sgpr_spill_count: 0
    .symbol:         _ZN7rocprim17ROCPRIM_400000_NS6detail17trampoline_kernelINS0_13select_configILj256ELj13ELNS0_17block_load_methodE3ELS4_3ELS4_3ELNS0_20block_scan_algorithmE0ELj4294967295EEENS1_25partition_config_selectorILNS1_17partition_subalgoE4EjNS0_10empty_typeEbEEZZNS1_14partition_implILS8_4ELb0ES6_15HIP_vector_typeIjLj2EENS0_17counting_iteratorIjlEEPS9_SG_NS0_5tupleIJPjSI_NS0_16reverse_iteratorISI_EEEEENSH_IJSG_SG_SG_EEES9_SI_JZNS1_25segmented_radix_sort_implINS0_14default_configELb1EPKdPdPKlPlN2at6native12_GLOBAL__N_18offset_tEEE10hipError_tPvRmT1_PNSt15iterator_traitsIS12_E10value_typeET2_T3_PNS13_IS18_E10value_typeET4_jRbjT5_S1E_jjP12ihipStream_tbEUljE_ZNSN_ISO_Lb1ESQ_SR_ST_SU_SY_EESZ_S10_S11_S12_S16_S17_S18_S1B_S1C_jS1D_jS1E_S1E_jjS1G_bEUljE0_EEESZ_S10_S11_S18_S1C_S1E_T6_T7_T9_mT8_S1G_bDpT10_ENKUlT_T0_E_clISt17integral_constantIbLb1EES1T_IbLb0EEEEDaS1P_S1Q_EUlS1P_E_NS1_11comp_targetILNS1_3genE5ELNS1_11target_archE942ELNS1_3gpuE9ELNS1_3repE0EEENS1_30default_config_static_selectorELNS0_4arch9wavefront6targetE1EEEvS12_.kd
    .uniform_work_group_size: 1
    .uses_dynamic_stack: false
    .vgpr_count:     0
    .vgpr_spill_count: 0
    .wavefront_size: 64
  - .agpr_count:     0
    .args:
      - .offset:         0
        .size:           176
        .value_kind:     by_value
    .group_segment_fixed_size: 13340
    .kernarg_segment_align: 8
    .kernarg_segment_size: 176
    .language:       OpenCL C
    .language_version:
      - 2
      - 0
    .max_flat_workgroup_size: 256
    .name:           _ZN7rocprim17ROCPRIM_400000_NS6detail17trampoline_kernelINS0_13select_configILj256ELj13ELNS0_17block_load_methodE3ELS4_3ELS4_3ELNS0_20block_scan_algorithmE0ELj4294967295EEENS1_25partition_config_selectorILNS1_17partition_subalgoE4EjNS0_10empty_typeEbEEZZNS1_14partition_implILS8_4ELb0ES6_15HIP_vector_typeIjLj2EENS0_17counting_iteratorIjlEEPS9_SG_NS0_5tupleIJPjSI_NS0_16reverse_iteratorISI_EEEEENSH_IJSG_SG_SG_EEES9_SI_JZNS1_25segmented_radix_sort_implINS0_14default_configELb1EPKdPdPKlPlN2at6native12_GLOBAL__N_18offset_tEEE10hipError_tPvRmT1_PNSt15iterator_traitsIS12_E10value_typeET2_T3_PNS13_IS18_E10value_typeET4_jRbjT5_S1E_jjP12ihipStream_tbEUljE_ZNSN_ISO_Lb1ESQ_SR_ST_SU_SY_EESZ_S10_S11_S12_S16_S17_S18_S1B_S1C_jS1D_jS1E_S1E_jjS1G_bEUljE0_EEESZ_S10_S11_S18_S1C_S1E_T6_T7_T9_mT8_S1G_bDpT10_ENKUlT_T0_E_clISt17integral_constantIbLb1EES1T_IbLb0EEEEDaS1P_S1Q_EUlS1P_E_NS1_11comp_targetILNS1_3genE4ELNS1_11target_archE910ELNS1_3gpuE8ELNS1_3repE0EEENS1_30default_config_static_selectorELNS0_4arch9wavefront6targetE1EEEvS12_
    .private_segment_fixed_size: 0
    .sgpr_count:     94
    .sgpr_spill_count: 0
    .symbol:         _ZN7rocprim17ROCPRIM_400000_NS6detail17trampoline_kernelINS0_13select_configILj256ELj13ELNS0_17block_load_methodE3ELS4_3ELS4_3ELNS0_20block_scan_algorithmE0ELj4294967295EEENS1_25partition_config_selectorILNS1_17partition_subalgoE4EjNS0_10empty_typeEbEEZZNS1_14partition_implILS8_4ELb0ES6_15HIP_vector_typeIjLj2EENS0_17counting_iteratorIjlEEPS9_SG_NS0_5tupleIJPjSI_NS0_16reverse_iteratorISI_EEEEENSH_IJSG_SG_SG_EEES9_SI_JZNS1_25segmented_radix_sort_implINS0_14default_configELb1EPKdPdPKlPlN2at6native12_GLOBAL__N_18offset_tEEE10hipError_tPvRmT1_PNSt15iterator_traitsIS12_E10value_typeET2_T3_PNS13_IS18_E10value_typeET4_jRbjT5_S1E_jjP12ihipStream_tbEUljE_ZNSN_ISO_Lb1ESQ_SR_ST_SU_SY_EESZ_S10_S11_S12_S16_S17_S18_S1B_S1C_jS1D_jS1E_S1E_jjS1G_bEUljE0_EEESZ_S10_S11_S18_S1C_S1E_T6_T7_T9_mT8_S1G_bDpT10_ENKUlT_T0_E_clISt17integral_constantIbLb1EES1T_IbLb0EEEEDaS1P_S1Q_EUlS1P_E_NS1_11comp_targetILNS1_3genE4ELNS1_11target_archE910ELNS1_3gpuE8ELNS1_3repE0EEENS1_30default_config_static_selectorELNS0_4arch9wavefront6targetE1EEEvS12_.kd
    .uniform_work_group_size: 1
    .uses_dynamic_stack: false
    .vgpr_count:     102
    .vgpr_spill_count: 0
    .wavefront_size: 64
  - .agpr_count:     0
    .args:
      - .offset:         0
        .size:           176
        .value_kind:     by_value
    .group_segment_fixed_size: 0
    .kernarg_segment_align: 8
    .kernarg_segment_size: 176
    .language:       OpenCL C
    .language_version:
      - 2
      - 0
    .max_flat_workgroup_size: 256
    .name:           _ZN7rocprim17ROCPRIM_400000_NS6detail17trampoline_kernelINS0_13select_configILj256ELj13ELNS0_17block_load_methodE3ELS4_3ELS4_3ELNS0_20block_scan_algorithmE0ELj4294967295EEENS1_25partition_config_selectorILNS1_17partition_subalgoE4EjNS0_10empty_typeEbEEZZNS1_14partition_implILS8_4ELb0ES6_15HIP_vector_typeIjLj2EENS0_17counting_iteratorIjlEEPS9_SG_NS0_5tupleIJPjSI_NS0_16reverse_iteratorISI_EEEEENSH_IJSG_SG_SG_EEES9_SI_JZNS1_25segmented_radix_sort_implINS0_14default_configELb1EPKdPdPKlPlN2at6native12_GLOBAL__N_18offset_tEEE10hipError_tPvRmT1_PNSt15iterator_traitsIS12_E10value_typeET2_T3_PNS13_IS18_E10value_typeET4_jRbjT5_S1E_jjP12ihipStream_tbEUljE_ZNSN_ISO_Lb1ESQ_SR_ST_SU_SY_EESZ_S10_S11_S12_S16_S17_S18_S1B_S1C_jS1D_jS1E_S1E_jjS1G_bEUljE0_EEESZ_S10_S11_S18_S1C_S1E_T6_T7_T9_mT8_S1G_bDpT10_ENKUlT_T0_E_clISt17integral_constantIbLb1EES1T_IbLb0EEEEDaS1P_S1Q_EUlS1P_E_NS1_11comp_targetILNS1_3genE3ELNS1_11target_archE908ELNS1_3gpuE7ELNS1_3repE0EEENS1_30default_config_static_selectorELNS0_4arch9wavefront6targetE1EEEvS12_
    .private_segment_fixed_size: 0
    .sgpr_count:     4
    .sgpr_spill_count: 0
    .symbol:         _ZN7rocprim17ROCPRIM_400000_NS6detail17trampoline_kernelINS0_13select_configILj256ELj13ELNS0_17block_load_methodE3ELS4_3ELS4_3ELNS0_20block_scan_algorithmE0ELj4294967295EEENS1_25partition_config_selectorILNS1_17partition_subalgoE4EjNS0_10empty_typeEbEEZZNS1_14partition_implILS8_4ELb0ES6_15HIP_vector_typeIjLj2EENS0_17counting_iteratorIjlEEPS9_SG_NS0_5tupleIJPjSI_NS0_16reverse_iteratorISI_EEEEENSH_IJSG_SG_SG_EEES9_SI_JZNS1_25segmented_radix_sort_implINS0_14default_configELb1EPKdPdPKlPlN2at6native12_GLOBAL__N_18offset_tEEE10hipError_tPvRmT1_PNSt15iterator_traitsIS12_E10value_typeET2_T3_PNS13_IS18_E10value_typeET4_jRbjT5_S1E_jjP12ihipStream_tbEUljE_ZNSN_ISO_Lb1ESQ_SR_ST_SU_SY_EESZ_S10_S11_S12_S16_S17_S18_S1B_S1C_jS1D_jS1E_S1E_jjS1G_bEUljE0_EEESZ_S10_S11_S18_S1C_S1E_T6_T7_T9_mT8_S1G_bDpT10_ENKUlT_T0_E_clISt17integral_constantIbLb1EES1T_IbLb0EEEEDaS1P_S1Q_EUlS1P_E_NS1_11comp_targetILNS1_3genE3ELNS1_11target_archE908ELNS1_3gpuE7ELNS1_3repE0EEENS1_30default_config_static_selectorELNS0_4arch9wavefront6targetE1EEEvS12_.kd
    .uniform_work_group_size: 1
    .uses_dynamic_stack: false
    .vgpr_count:     0
    .vgpr_spill_count: 0
    .wavefront_size: 64
  - .agpr_count:     0
    .args:
      - .offset:         0
        .size:           176
        .value_kind:     by_value
    .group_segment_fixed_size: 0
    .kernarg_segment_align: 8
    .kernarg_segment_size: 176
    .language:       OpenCL C
    .language_version:
      - 2
      - 0
    .max_flat_workgroup_size: 256
    .name:           _ZN7rocprim17ROCPRIM_400000_NS6detail17trampoline_kernelINS0_13select_configILj256ELj13ELNS0_17block_load_methodE3ELS4_3ELS4_3ELNS0_20block_scan_algorithmE0ELj4294967295EEENS1_25partition_config_selectorILNS1_17partition_subalgoE4EjNS0_10empty_typeEbEEZZNS1_14partition_implILS8_4ELb0ES6_15HIP_vector_typeIjLj2EENS0_17counting_iteratorIjlEEPS9_SG_NS0_5tupleIJPjSI_NS0_16reverse_iteratorISI_EEEEENSH_IJSG_SG_SG_EEES9_SI_JZNS1_25segmented_radix_sort_implINS0_14default_configELb1EPKdPdPKlPlN2at6native12_GLOBAL__N_18offset_tEEE10hipError_tPvRmT1_PNSt15iterator_traitsIS12_E10value_typeET2_T3_PNS13_IS18_E10value_typeET4_jRbjT5_S1E_jjP12ihipStream_tbEUljE_ZNSN_ISO_Lb1ESQ_SR_ST_SU_SY_EESZ_S10_S11_S12_S16_S17_S18_S1B_S1C_jS1D_jS1E_S1E_jjS1G_bEUljE0_EEESZ_S10_S11_S18_S1C_S1E_T6_T7_T9_mT8_S1G_bDpT10_ENKUlT_T0_E_clISt17integral_constantIbLb1EES1T_IbLb0EEEEDaS1P_S1Q_EUlS1P_E_NS1_11comp_targetILNS1_3genE2ELNS1_11target_archE906ELNS1_3gpuE6ELNS1_3repE0EEENS1_30default_config_static_selectorELNS0_4arch9wavefront6targetE1EEEvS12_
    .private_segment_fixed_size: 0
    .sgpr_count:     4
    .sgpr_spill_count: 0
    .symbol:         _ZN7rocprim17ROCPRIM_400000_NS6detail17trampoline_kernelINS0_13select_configILj256ELj13ELNS0_17block_load_methodE3ELS4_3ELS4_3ELNS0_20block_scan_algorithmE0ELj4294967295EEENS1_25partition_config_selectorILNS1_17partition_subalgoE4EjNS0_10empty_typeEbEEZZNS1_14partition_implILS8_4ELb0ES6_15HIP_vector_typeIjLj2EENS0_17counting_iteratorIjlEEPS9_SG_NS0_5tupleIJPjSI_NS0_16reverse_iteratorISI_EEEEENSH_IJSG_SG_SG_EEES9_SI_JZNS1_25segmented_radix_sort_implINS0_14default_configELb1EPKdPdPKlPlN2at6native12_GLOBAL__N_18offset_tEEE10hipError_tPvRmT1_PNSt15iterator_traitsIS12_E10value_typeET2_T3_PNS13_IS18_E10value_typeET4_jRbjT5_S1E_jjP12ihipStream_tbEUljE_ZNSN_ISO_Lb1ESQ_SR_ST_SU_SY_EESZ_S10_S11_S12_S16_S17_S18_S1B_S1C_jS1D_jS1E_S1E_jjS1G_bEUljE0_EEESZ_S10_S11_S18_S1C_S1E_T6_T7_T9_mT8_S1G_bDpT10_ENKUlT_T0_E_clISt17integral_constantIbLb1EES1T_IbLb0EEEEDaS1P_S1Q_EUlS1P_E_NS1_11comp_targetILNS1_3genE2ELNS1_11target_archE906ELNS1_3gpuE6ELNS1_3repE0EEENS1_30default_config_static_selectorELNS0_4arch9wavefront6targetE1EEEvS12_.kd
    .uniform_work_group_size: 1
    .uses_dynamic_stack: false
    .vgpr_count:     0
    .vgpr_spill_count: 0
    .wavefront_size: 64
  - .agpr_count:     0
    .args:
      - .offset:         0
        .size:           176
        .value_kind:     by_value
    .group_segment_fixed_size: 0
    .kernarg_segment_align: 8
    .kernarg_segment_size: 176
    .language:       OpenCL C
    .language_version:
      - 2
      - 0
    .max_flat_workgroup_size: 256
    .name:           _ZN7rocprim17ROCPRIM_400000_NS6detail17trampoline_kernelINS0_13select_configILj256ELj13ELNS0_17block_load_methodE3ELS4_3ELS4_3ELNS0_20block_scan_algorithmE0ELj4294967295EEENS1_25partition_config_selectorILNS1_17partition_subalgoE4EjNS0_10empty_typeEbEEZZNS1_14partition_implILS8_4ELb0ES6_15HIP_vector_typeIjLj2EENS0_17counting_iteratorIjlEEPS9_SG_NS0_5tupleIJPjSI_NS0_16reverse_iteratorISI_EEEEENSH_IJSG_SG_SG_EEES9_SI_JZNS1_25segmented_radix_sort_implINS0_14default_configELb1EPKdPdPKlPlN2at6native12_GLOBAL__N_18offset_tEEE10hipError_tPvRmT1_PNSt15iterator_traitsIS12_E10value_typeET2_T3_PNS13_IS18_E10value_typeET4_jRbjT5_S1E_jjP12ihipStream_tbEUljE_ZNSN_ISO_Lb1ESQ_SR_ST_SU_SY_EESZ_S10_S11_S12_S16_S17_S18_S1B_S1C_jS1D_jS1E_S1E_jjS1G_bEUljE0_EEESZ_S10_S11_S18_S1C_S1E_T6_T7_T9_mT8_S1G_bDpT10_ENKUlT_T0_E_clISt17integral_constantIbLb1EES1T_IbLb0EEEEDaS1P_S1Q_EUlS1P_E_NS1_11comp_targetILNS1_3genE10ELNS1_11target_archE1200ELNS1_3gpuE4ELNS1_3repE0EEENS1_30default_config_static_selectorELNS0_4arch9wavefront6targetE1EEEvS12_
    .private_segment_fixed_size: 0
    .sgpr_count:     4
    .sgpr_spill_count: 0
    .symbol:         _ZN7rocprim17ROCPRIM_400000_NS6detail17trampoline_kernelINS0_13select_configILj256ELj13ELNS0_17block_load_methodE3ELS4_3ELS4_3ELNS0_20block_scan_algorithmE0ELj4294967295EEENS1_25partition_config_selectorILNS1_17partition_subalgoE4EjNS0_10empty_typeEbEEZZNS1_14partition_implILS8_4ELb0ES6_15HIP_vector_typeIjLj2EENS0_17counting_iteratorIjlEEPS9_SG_NS0_5tupleIJPjSI_NS0_16reverse_iteratorISI_EEEEENSH_IJSG_SG_SG_EEES9_SI_JZNS1_25segmented_radix_sort_implINS0_14default_configELb1EPKdPdPKlPlN2at6native12_GLOBAL__N_18offset_tEEE10hipError_tPvRmT1_PNSt15iterator_traitsIS12_E10value_typeET2_T3_PNS13_IS18_E10value_typeET4_jRbjT5_S1E_jjP12ihipStream_tbEUljE_ZNSN_ISO_Lb1ESQ_SR_ST_SU_SY_EESZ_S10_S11_S12_S16_S17_S18_S1B_S1C_jS1D_jS1E_S1E_jjS1G_bEUljE0_EEESZ_S10_S11_S18_S1C_S1E_T6_T7_T9_mT8_S1G_bDpT10_ENKUlT_T0_E_clISt17integral_constantIbLb1EES1T_IbLb0EEEEDaS1P_S1Q_EUlS1P_E_NS1_11comp_targetILNS1_3genE10ELNS1_11target_archE1200ELNS1_3gpuE4ELNS1_3repE0EEENS1_30default_config_static_selectorELNS0_4arch9wavefront6targetE1EEEvS12_.kd
    .uniform_work_group_size: 1
    .uses_dynamic_stack: false
    .vgpr_count:     0
    .vgpr_spill_count: 0
    .wavefront_size: 64
  - .agpr_count:     0
    .args:
      - .offset:         0
        .size:           176
        .value_kind:     by_value
    .group_segment_fixed_size: 0
    .kernarg_segment_align: 8
    .kernarg_segment_size: 176
    .language:       OpenCL C
    .language_version:
      - 2
      - 0
    .max_flat_workgroup_size: 256
    .name:           _ZN7rocprim17ROCPRIM_400000_NS6detail17trampoline_kernelINS0_13select_configILj256ELj13ELNS0_17block_load_methodE3ELS4_3ELS4_3ELNS0_20block_scan_algorithmE0ELj4294967295EEENS1_25partition_config_selectorILNS1_17partition_subalgoE4EjNS0_10empty_typeEbEEZZNS1_14partition_implILS8_4ELb0ES6_15HIP_vector_typeIjLj2EENS0_17counting_iteratorIjlEEPS9_SG_NS0_5tupleIJPjSI_NS0_16reverse_iteratorISI_EEEEENSH_IJSG_SG_SG_EEES9_SI_JZNS1_25segmented_radix_sort_implINS0_14default_configELb1EPKdPdPKlPlN2at6native12_GLOBAL__N_18offset_tEEE10hipError_tPvRmT1_PNSt15iterator_traitsIS12_E10value_typeET2_T3_PNS13_IS18_E10value_typeET4_jRbjT5_S1E_jjP12ihipStream_tbEUljE_ZNSN_ISO_Lb1ESQ_SR_ST_SU_SY_EESZ_S10_S11_S12_S16_S17_S18_S1B_S1C_jS1D_jS1E_S1E_jjS1G_bEUljE0_EEESZ_S10_S11_S18_S1C_S1E_T6_T7_T9_mT8_S1G_bDpT10_ENKUlT_T0_E_clISt17integral_constantIbLb1EES1T_IbLb0EEEEDaS1P_S1Q_EUlS1P_E_NS1_11comp_targetILNS1_3genE9ELNS1_11target_archE1100ELNS1_3gpuE3ELNS1_3repE0EEENS1_30default_config_static_selectorELNS0_4arch9wavefront6targetE1EEEvS12_
    .private_segment_fixed_size: 0
    .sgpr_count:     4
    .sgpr_spill_count: 0
    .symbol:         _ZN7rocprim17ROCPRIM_400000_NS6detail17trampoline_kernelINS0_13select_configILj256ELj13ELNS0_17block_load_methodE3ELS4_3ELS4_3ELNS0_20block_scan_algorithmE0ELj4294967295EEENS1_25partition_config_selectorILNS1_17partition_subalgoE4EjNS0_10empty_typeEbEEZZNS1_14partition_implILS8_4ELb0ES6_15HIP_vector_typeIjLj2EENS0_17counting_iteratorIjlEEPS9_SG_NS0_5tupleIJPjSI_NS0_16reverse_iteratorISI_EEEEENSH_IJSG_SG_SG_EEES9_SI_JZNS1_25segmented_radix_sort_implINS0_14default_configELb1EPKdPdPKlPlN2at6native12_GLOBAL__N_18offset_tEEE10hipError_tPvRmT1_PNSt15iterator_traitsIS12_E10value_typeET2_T3_PNS13_IS18_E10value_typeET4_jRbjT5_S1E_jjP12ihipStream_tbEUljE_ZNSN_ISO_Lb1ESQ_SR_ST_SU_SY_EESZ_S10_S11_S12_S16_S17_S18_S1B_S1C_jS1D_jS1E_S1E_jjS1G_bEUljE0_EEESZ_S10_S11_S18_S1C_S1E_T6_T7_T9_mT8_S1G_bDpT10_ENKUlT_T0_E_clISt17integral_constantIbLb1EES1T_IbLb0EEEEDaS1P_S1Q_EUlS1P_E_NS1_11comp_targetILNS1_3genE9ELNS1_11target_archE1100ELNS1_3gpuE3ELNS1_3repE0EEENS1_30default_config_static_selectorELNS0_4arch9wavefront6targetE1EEEvS12_.kd
    .uniform_work_group_size: 1
    .uses_dynamic_stack: false
    .vgpr_count:     0
    .vgpr_spill_count: 0
    .wavefront_size: 64
  - .agpr_count:     0
    .args:
      - .offset:         0
        .size:           176
        .value_kind:     by_value
    .group_segment_fixed_size: 0
    .kernarg_segment_align: 8
    .kernarg_segment_size: 176
    .language:       OpenCL C
    .language_version:
      - 2
      - 0
    .max_flat_workgroup_size: 256
    .name:           _ZN7rocprim17ROCPRIM_400000_NS6detail17trampoline_kernelINS0_13select_configILj256ELj13ELNS0_17block_load_methodE3ELS4_3ELS4_3ELNS0_20block_scan_algorithmE0ELj4294967295EEENS1_25partition_config_selectorILNS1_17partition_subalgoE4EjNS0_10empty_typeEbEEZZNS1_14partition_implILS8_4ELb0ES6_15HIP_vector_typeIjLj2EENS0_17counting_iteratorIjlEEPS9_SG_NS0_5tupleIJPjSI_NS0_16reverse_iteratorISI_EEEEENSH_IJSG_SG_SG_EEES9_SI_JZNS1_25segmented_radix_sort_implINS0_14default_configELb1EPKdPdPKlPlN2at6native12_GLOBAL__N_18offset_tEEE10hipError_tPvRmT1_PNSt15iterator_traitsIS12_E10value_typeET2_T3_PNS13_IS18_E10value_typeET4_jRbjT5_S1E_jjP12ihipStream_tbEUljE_ZNSN_ISO_Lb1ESQ_SR_ST_SU_SY_EESZ_S10_S11_S12_S16_S17_S18_S1B_S1C_jS1D_jS1E_S1E_jjS1G_bEUljE0_EEESZ_S10_S11_S18_S1C_S1E_T6_T7_T9_mT8_S1G_bDpT10_ENKUlT_T0_E_clISt17integral_constantIbLb1EES1T_IbLb0EEEEDaS1P_S1Q_EUlS1P_E_NS1_11comp_targetILNS1_3genE8ELNS1_11target_archE1030ELNS1_3gpuE2ELNS1_3repE0EEENS1_30default_config_static_selectorELNS0_4arch9wavefront6targetE1EEEvS12_
    .private_segment_fixed_size: 0
    .sgpr_count:     4
    .sgpr_spill_count: 0
    .symbol:         _ZN7rocprim17ROCPRIM_400000_NS6detail17trampoline_kernelINS0_13select_configILj256ELj13ELNS0_17block_load_methodE3ELS4_3ELS4_3ELNS0_20block_scan_algorithmE0ELj4294967295EEENS1_25partition_config_selectorILNS1_17partition_subalgoE4EjNS0_10empty_typeEbEEZZNS1_14partition_implILS8_4ELb0ES6_15HIP_vector_typeIjLj2EENS0_17counting_iteratorIjlEEPS9_SG_NS0_5tupleIJPjSI_NS0_16reverse_iteratorISI_EEEEENSH_IJSG_SG_SG_EEES9_SI_JZNS1_25segmented_radix_sort_implINS0_14default_configELb1EPKdPdPKlPlN2at6native12_GLOBAL__N_18offset_tEEE10hipError_tPvRmT1_PNSt15iterator_traitsIS12_E10value_typeET2_T3_PNS13_IS18_E10value_typeET4_jRbjT5_S1E_jjP12ihipStream_tbEUljE_ZNSN_ISO_Lb1ESQ_SR_ST_SU_SY_EESZ_S10_S11_S12_S16_S17_S18_S1B_S1C_jS1D_jS1E_S1E_jjS1G_bEUljE0_EEESZ_S10_S11_S18_S1C_S1E_T6_T7_T9_mT8_S1G_bDpT10_ENKUlT_T0_E_clISt17integral_constantIbLb1EES1T_IbLb0EEEEDaS1P_S1Q_EUlS1P_E_NS1_11comp_targetILNS1_3genE8ELNS1_11target_archE1030ELNS1_3gpuE2ELNS1_3repE0EEENS1_30default_config_static_selectorELNS0_4arch9wavefront6targetE1EEEvS12_.kd
    .uniform_work_group_size: 1
    .uses_dynamic_stack: false
    .vgpr_count:     0
    .vgpr_spill_count: 0
    .wavefront_size: 64
  - .agpr_count:     0
    .args:
      - .offset:         0
        .size:           184
        .value_kind:     by_value
    .group_segment_fixed_size: 0
    .kernarg_segment_align: 8
    .kernarg_segment_size: 184
    .language:       OpenCL C
    .language_version:
      - 2
      - 0
    .max_flat_workgroup_size: 256
    .name:           _ZN7rocprim17ROCPRIM_400000_NS6detail17trampoline_kernelINS0_13select_configILj256ELj13ELNS0_17block_load_methodE3ELS4_3ELS4_3ELNS0_20block_scan_algorithmE0ELj4294967295EEENS1_25partition_config_selectorILNS1_17partition_subalgoE4EjNS0_10empty_typeEbEEZZNS1_14partition_implILS8_4ELb0ES6_15HIP_vector_typeIjLj2EENS0_17counting_iteratorIjlEEPS9_SG_NS0_5tupleIJPjSI_NS0_16reverse_iteratorISI_EEEEENSH_IJSG_SG_SG_EEES9_SI_JZNS1_25segmented_radix_sort_implINS0_14default_configELb1EPKdPdPKlPlN2at6native12_GLOBAL__N_18offset_tEEE10hipError_tPvRmT1_PNSt15iterator_traitsIS12_E10value_typeET2_T3_PNS13_IS18_E10value_typeET4_jRbjT5_S1E_jjP12ihipStream_tbEUljE_ZNSN_ISO_Lb1ESQ_SR_ST_SU_SY_EESZ_S10_S11_S12_S16_S17_S18_S1B_S1C_jS1D_jS1E_S1E_jjS1G_bEUljE0_EEESZ_S10_S11_S18_S1C_S1E_T6_T7_T9_mT8_S1G_bDpT10_ENKUlT_T0_E_clISt17integral_constantIbLb0EES1T_IbLb1EEEEDaS1P_S1Q_EUlS1P_E_NS1_11comp_targetILNS1_3genE0ELNS1_11target_archE4294967295ELNS1_3gpuE0ELNS1_3repE0EEENS1_30default_config_static_selectorELNS0_4arch9wavefront6targetE1EEEvS12_
    .private_segment_fixed_size: 0
    .sgpr_count:     4
    .sgpr_spill_count: 0
    .symbol:         _ZN7rocprim17ROCPRIM_400000_NS6detail17trampoline_kernelINS0_13select_configILj256ELj13ELNS0_17block_load_methodE3ELS4_3ELS4_3ELNS0_20block_scan_algorithmE0ELj4294967295EEENS1_25partition_config_selectorILNS1_17partition_subalgoE4EjNS0_10empty_typeEbEEZZNS1_14partition_implILS8_4ELb0ES6_15HIP_vector_typeIjLj2EENS0_17counting_iteratorIjlEEPS9_SG_NS0_5tupleIJPjSI_NS0_16reverse_iteratorISI_EEEEENSH_IJSG_SG_SG_EEES9_SI_JZNS1_25segmented_radix_sort_implINS0_14default_configELb1EPKdPdPKlPlN2at6native12_GLOBAL__N_18offset_tEEE10hipError_tPvRmT1_PNSt15iterator_traitsIS12_E10value_typeET2_T3_PNS13_IS18_E10value_typeET4_jRbjT5_S1E_jjP12ihipStream_tbEUljE_ZNSN_ISO_Lb1ESQ_SR_ST_SU_SY_EESZ_S10_S11_S12_S16_S17_S18_S1B_S1C_jS1D_jS1E_S1E_jjS1G_bEUljE0_EEESZ_S10_S11_S18_S1C_S1E_T6_T7_T9_mT8_S1G_bDpT10_ENKUlT_T0_E_clISt17integral_constantIbLb0EES1T_IbLb1EEEEDaS1P_S1Q_EUlS1P_E_NS1_11comp_targetILNS1_3genE0ELNS1_11target_archE4294967295ELNS1_3gpuE0ELNS1_3repE0EEENS1_30default_config_static_selectorELNS0_4arch9wavefront6targetE1EEEvS12_.kd
    .uniform_work_group_size: 1
    .uses_dynamic_stack: false
    .vgpr_count:     0
    .vgpr_spill_count: 0
    .wavefront_size: 64
  - .agpr_count:     0
    .args:
      - .offset:         0
        .size:           184
        .value_kind:     by_value
    .group_segment_fixed_size: 0
    .kernarg_segment_align: 8
    .kernarg_segment_size: 184
    .language:       OpenCL C
    .language_version:
      - 2
      - 0
    .max_flat_workgroup_size: 256
    .name:           _ZN7rocprim17ROCPRIM_400000_NS6detail17trampoline_kernelINS0_13select_configILj256ELj13ELNS0_17block_load_methodE3ELS4_3ELS4_3ELNS0_20block_scan_algorithmE0ELj4294967295EEENS1_25partition_config_selectorILNS1_17partition_subalgoE4EjNS0_10empty_typeEbEEZZNS1_14partition_implILS8_4ELb0ES6_15HIP_vector_typeIjLj2EENS0_17counting_iteratorIjlEEPS9_SG_NS0_5tupleIJPjSI_NS0_16reverse_iteratorISI_EEEEENSH_IJSG_SG_SG_EEES9_SI_JZNS1_25segmented_radix_sort_implINS0_14default_configELb1EPKdPdPKlPlN2at6native12_GLOBAL__N_18offset_tEEE10hipError_tPvRmT1_PNSt15iterator_traitsIS12_E10value_typeET2_T3_PNS13_IS18_E10value_typeET4_jRbjT5_S1E_jjP12ihipStream_tbEUljE_ZNSN_ISO_Lb1ESQ_SR_ST_SU_SY_EESZ_S10_S11_S12_S16_S17_S18_S1B_S1C_jS1D_jS1E_S1E_jjS1G_bEUljE0_EEESZ_S10_S11_S18_S1C_S1E_T6_T7_T9_mT8_S1G_bDpT10_ENKUlT_T0_E_clISt17integral_constantIbLb0EES1T_IbLb1EEEEDaS1P_S1Q_EUlS1P_E_NS1_11comp_targetILNS1_3genE5ELNS1_11target_archE942ELNS1_3gpuE9ELNS1_3repE0EEENS1_30default_config_static_selectorELNS0_4arch9wavefront6targetE1EEEvS12_
    .private_segment_fixed_size: 0
    .sgpr_count:     4
    .sgpr_spill_count: 0
    .symbol:         _ZN7rocprim17ROCPRIM_400000_NS6detail17trampoline_kernelINS0_13select_configILj256ELj13ELNS0_17block_load_methodE3ELS4_3ELS4_3ELNS0_20block_scan_algorithmE0ELj4294967295EEENS1_25partition_config_selectorILNS1_17partition_subalgoE4EjNS0_10empty_typeEbEEZZNS1_14partition_implILS8_4ELb0ES6_15HIP_vector_typeIjLj2EENS0_17counting_iteratorIjlEEPS9_SG_NS0_5tupleIJPjSI_NS0_16reverse_iteratorISI_EEEEENSH_IJSG_SG_SG_EEES9_SI_JZNS1_25segmented_radix_sort_implINS0_14default_configELb1EPKdPdPKlPlN2at6native12_GLOBAL__N_18offset_tEEE10hipError_tPvRmT1_PNSt15iterator_traitsIS12_E10value_typeET2_T3_PNS13_IS18_E10value_typeET4_jRbjT5_S1E_jjP12ihipStream_tbEUljE_ZNSN_ISO_Lb1ESQ_SR_ST_SU_SY_EESZ_S10_S11_S12_S16_S17_S18_S1B_S1C_jS1D_jS1E_S1E_jjS1G_bEUljE0_EEESZ_S10_S11_S18_S1C_S1E_T6_T7_T9_mT8_S1G_bDpT10_ENKUlT_T0_E_clISt17integral_constantIbLb0EES1T_IbLb1EEEEDaS1P_S1Q_EUlS1P_E_NS1_11comp_targetILNS1_3genE5ELNS1_11target_archE942ELNS1_3gpuE9ELNS1_3repE0EEENS1_30default_config_static_selectorELNS0_4arch9wavefront6targetE1EEEvS12_.kd
    .uniform_work_group_size: 1
    .uses_dynamic_stack: false
    .vgpr_count:     0
    .vgpr_spill_count: 0
    .wavefront_size: 64
  - .agpr_count:     0
    .args:
      - .offset:         0
        .size:           184
        .value_kind:     by_value
    .group_segment_fixed_size: 13340
    .kernarg_segment_align: 8
    .kernarg_segment_size: 184
    .language:       OpenCL C
    .language_version:
      - 2
      - 0
    .max_flat_workgroup_size: 256
    .name:           _ZN7rocprim17ROCPRIM_400000_NS6detail17trampoline_kernelINS0_13select_configILj256ELj13ELNS0_17block_load_methodE3ELS4_3ELS4_3ELNS0_20block_scan_algorithmE0ELj4294967295EEENS1_25partition_config_selectorILNS1_17partition_subalgoE4EjNS0_10empty_typeEbEEZZNS1_14partition_implILS8_4ELb0ES6_15HIP_vector_typeIjLj2EENS0_17counting_iteratorIjlEEPS9_SG_NS0_5tupleIJPjSI_NS0_16reverse_iteratorISI_EEEEENSH_IJSG_SG_SG_EEES9_SI_JZNS1_25segmented_radix_sort_implINS0_14default_configELb1EPKdPdPKlPlN2at6native12_GLOBAL__N_18offset_tEEE10hipError_tPvRmT1_PNSt15iterator_traitsIS12_E10value_typeET2_T3_PNS13_IS18_E10value_typeET4_jRbjT5_S1E_jjP12ihipStream_tbEUljE_ZNSN_ISO_Lb1ESQ_SR_ST_SU_SY_EESZ_S10_S11_S12_S16_S17_S18_S1B_S1C_jS1D_jS1E_S1E_jjS1G_bEUljE0_EEESZ_S10_S11_S18_S1C_S1E_T6_T7_T9_mT8_S1G_bDpT10_ENKUlT_T0_E_clISt17integral_constantIbLb0EES1T_IbLb1EEEEDaS1P_S1Q_EUlS1P_E_NS1_11comp_targetILNS1_3genE4ELNS1_11target_archE910ELNS1_3gpuE8ELNS1_3repE0EEENS1_30default_config_static_selectorELNS0_4arch9wavefront6targetE1EEEvS12_
    .private_segment_fixed_size: 0
    .sgpr_count:     91
    .sgpr_spill_count: 0
    .symbol:         _ZN7rocprim17ROCPRIM_400000_NS6detail17trampoline_kernelINS0_13select_configILj256ELj13ELNS0_17block_load_methodE3ELS4_3ELS4_3ELNS0_20block_scan_algorithmE0ELj4294967295EEENS1_25partition_config_selectorILNS1_17partition_subalgoE4EjNS0_10empty_typeEbEEZZNS1_14partition_implILS8_4ELb0ES6_15HIP_vector_typeIjLj2EENS0_17counting_iteratorIjlEEPS9_SG_NS0_5tupleIJPjSI_NS0_16reverse_iteratorISI_EEEEENSH_IJSG_SG_SG_EEES9_SI_JZNS1_25segmented_radix_sort_implINS0_14default_configELb1EPKdPdPKlPlN2at6native12_GLOBAL__N_18offset_tEEE10hipError_tPvRmT1_PNSt15iterator_traitsIS12_E10value_typeET2_T3_PNS13_IS18_E10value_typeET4_jRbjT5_S1E_jjP12ihipStream_tbEUljE_ZNSN_ISO_Lb1ESQ_SR_ST_SU_SY_EESZ_S10_S11_S12_S16_S17_S18_S1B_S1C_jS1D_jS1E_S1E_jjS1G_bEUljE0_EEESZ_S10_S11_S18_S1C_S1E_T6_T7_T9_mT8_S1G_bDpT10_ENKUlT_T0_E_clISt17integral_constantIbLb0EES1T_IbLb1EEEEDaS1P_S1Q_EUlS1P_E_NS1_11comp_targetILNS1_3genE4ELNS1_11target_archE910ELNS1_3gpuE8ELNS1_3repE0EEENS1_30default_config_static_selectorELNS0_4arch9wavefront6targetE1EEEvS12_.kd
    .uniform_work_group_size: 1
    .uses_dynamic_stack: false
    .vgpr_count:     107
    .vgpr_spill_count: 0
    .wavefront_size: 64
  - .agpr_count:     0
    .args:
      - .offset:         0
        .size:           184
        .value_kind:     by_value
    .group_segment_fixed_size: 0
    .kernarg_segment_align: 8
    .kernarg_segment_size: 184
    .language:       OpenCL C
    .language_version:
      - 2
      - 0
    .max_flat_workgroup_size: 256
    .name:           _ZN7rocprim17ROCPRIM_400000_NS6detail17trampoline_kernelINS0_13select_configILj256ELj13ELNS0_17block_load_methodE3ELS4_3ELS4_3ELNS0_20block_scan_algorithmE0ELj4294967295EEENS1_25partition_config_selectorILNS1_17partition_subalgoE4EjNS0_10empty_typeEbEEZZNS1_14partition_implILS8_4ELb0ES6_15HIP_vector_typeIjLj2EENS0_17counting_iteratorIjlEEPS9_SG_NS0_5tupleIJPjSI_NS0_16reverse_iteratorISI_EEEEENSH_IJSG_SG_SG_EEES9_SI_JZNS1_25segmented_radix_sort_implINS0_14default_configELb1EPKdPdPKlPlN2at6native12_GLOBAL__N_18offset_tEEE10hipError_tPvRmT1_PNSt15iterator_traitsIS12_E10value_typeET2_T3_PNS13_IS18_E10value_typeET4_jRbjT5_S1E_jjP12ihipStream_tbEUljE_ZNSN_ISO_Lb1ESQ_SR_ST_SU_SY_EESZ_S10_S11_S12_S16_S17_S18_S1B_S1C_jS1D_jS1E_S1E_jjS1G_bEUljE0_EEESZ_S10_S11_S18_S1C_S1E_T6_T7_T9_mT8_S1G_bDpT10_ENKUlT_T0_E_clISt17integral_constantIbLb0EES1T_IbLb1EEEEDaS1P_S1Q_EUlS1P_E_NS1_11comp_targetILNS1_3genE3ELNS1_11target_archE908ELNS1_3gpuE7ELNS1_3repE0EEENS1_30default_config_static_selectorELNS0_4arch9wavefront6targetE1EEEvS12_
    .private_segment_fixed_size: 0
    .sgpr_count:     4
    .sgpr_spill_count: 0
    .symbol:         _ZN7rocprim17ROCPRIM_400000_NS6detail17trampoline_kernelINS0_13select_configILj256ELj13ELNS0_17block_load_methodE3ELS4_3ELS4_3ELNS0_20block_scan_algorithmE0ELj4294967295EEENS1_25partition_config_selectorILNS1_17partition_subalgoE4EjNS0_10empty_typeEbEEZZNS1_14partition_implILS8_4ELb0ES6_15HIP_vector_typeIjLj2EENS0_17counting_iteratorIjlEEPS9_SG_NS0_5tupleIJPjSI_NS0_16reverse_iteratorISI_EEEEENSH_IJSG_SG_SG_EEES9_SI_JZNS1_25segmented_radix_sort_implINS0_14default_configELb1EPKdPdPKlPlN2at6native12_GLOBAL__N_18offset_tEEE10hipError_tPvRmT1_PNSt15iterator_traitsIS12_E10value_typeET2_T3_PNS13_IS18_E10value_typeET4_jRbjT5_S1E_jjP12ihipStream_tbEUljE_ZNSN_ISO_Lb1ESQ_SR_ST_SU_SY_EESZ_S10_S11_S12_S16_S17_S18_S1B_S1C_jS1D_jS1E_S1E_jjS1G_bEUljE0_EEESZ_S10_S11_S18_S1C_S1E_T6_T7_T9_mT8_S1G_bDpT10_ENKUlT_T0_E_clISt17integral_constantIbLb0EES1T_IbLb1EEEEDaS1P_S1Q_EUlS1P_E_NS1_11comp_targetILNS1_3genE3ELNS1_11target_archE908ELNS1_3gpuE7ELNS1_3repE0EEENS1_30default_config_static_selectorELNS0_4arch9wavefront6targetE1EEEvS12_.kd
    .uniform_work_group_size: 1
    .uses_dynamic_stack: false
    .vgpr_count:     0
    .vgpr_spill_count: 0
    .wavefront_size: 64
  - .agpr_count:     0
    .args:
      - .offset:         0
        .size:           184
        .value_kind:     by_value
    .group_segment_fixed_size: 0
    .kernarg_segment_align: 8
    .kernarg_segment_size: 184
    .language:       OpenCL C
    .language_version:
      - 2
      - 0
    .max_flat_workgroup_size: 256
    .name:           _ZN7rocprim17ROCPRIM_400000_NS6detail17trampoline_kernelINS0_13select_configILj256ELj13ELNS0_17block_load_methodE3ELS4_3ELS4_3ELNS0_20block_scan_algorithmE0ELj4294967295EEENS1_25partition_config_selectorILNS1_17partition_subalgoE4EjNS0_10empty_typeEbEEZZNS1_14partition_implILS8_4ELb0ES6_15HIP_vector_typeIjLj2EENS0_17counting_iteratorIjlEEPS9_SG_NS0_5tupleIJPjSI_NS0_16reverse_iteratorISI_EEEEENSH_IJSG_SG_SG_EEES9_SI_JZNS1_25segmented_radix_sort_implINS0_14default_configELb1EPKdPdPKlPlN2at6native12_GLOBAL__N_18offset_tEEE10hipError_tPvRmT1_PNSt15iterator_traitsIS12_E10value_typeET2_T3_PNS13_IS18_E10value_typeET4_jRbjT5_S1E_jjP12ihipStream_tbEUljE_ZNSN_ISO_Lb1ESQ_SR_ST_SU_SY_EESZ_S10_S11_S12_S16_S17_S18_S1B_S1C_jS1D_jS1E_S1E_jjS1G_bEUljE0_EEESZ_S10_S11_S18_S1C_S1E_T6_T7_T9_mT8_S1G_bDpT10_ENKUlT_T0_E_clISt17integral_constantIbLb0EES1T_IbLb1EEEEDaS1P_S1Q_EUlS1P_E_NS1_11comp_targetILNS1_3genE2ELNS1_11target_archE906ELNS1_3gpuE6ELNS1_3repE0EEENS1_30default_config_static_selectorELNS0_4arch9wavefront6targetE1EEEvS12_
    .private_segment_fixed_size: 0
    .sgpr_count:     4
    .sgpr_spill_count: 0
    .symbol:         _ZN7rocprim17ROCPRIM_400000_NS6detail17trampoline_kernelINS0_13select_configILj256ELj13ELNS0_17block_load_methodE3ELS4_3ELS4_3ELNS0_20block_scan_algorithmE0ELj4294967295EEENS1_25partition_config_selectorILNS1_17partition_subalgoE4EjNS0_10empty_typeEbEEZZNS1_14partition_implILS8_4ELb0ES6_15HIP_vector_typeIjLj2EENS0_17counting_iteratorIjlEEPS9_SG_NS0_5tupleIJPjSI_NS0_16reverse_iteratorISI_EEEEENSH_IJSG_SG_SG_EEES9_SI_JZNS1_25segmented_radix_sort_implINS0_14default_configELb1EPKdPdPKlPlN2at6native12_GLOBAL__N_18offset_tEEE10hipError_tPvRmT1_PNSt15iterator_traitsIS12_E10value_typeET2_T3_PNS13_IS18_E10value_typeET4_jRbjT5_S1E_jjP12ihipStream_tbEUljE_ZNSN_ISO_Lb1ESQ_SR_ST_SU_SY_EESZ_S10_S11_S12_S16_S17_S18_S1B_S1C_jS1D_jS1E_S1E_jjS1G_bEUljE0_EEESZ_S10_S11_S18_S1C_S1E_T6_T7_T9_mT8_S1G_bDpT10_ENKUlT_T0_E_clISt17integral_constantIbLb0EES1T_IbLb1EEEEDaS1P_S1Q_EUlS1P_E_NS1_11comp_targetILNS1_3genE2ELNS1_11target_archE906ELNS1_3gpuE6ELNS1_3repE0EEENS1_30default_config_static_selectorELNS0_4arch9wavefront6targetE1EEEvS12_.kd
    .uniform_work_group_size: 1
    .uses_dynamic_stack: false
    .vgpr_count:     0
    .vgpr_spill_count: 0
    .wavefront_size: 64
  - .agpr_count:     0
    .args:
      - .offset:         0
        .size:           184
        .value_kind:     by_value
    .group_segment_fixed_size: 0
    .kernarg_segment_align: 8
    .kernarg_segment_size: 184
    .language:       OpenCL C
    .language_version:
      - 2
      - 0
    .max_flat_workgroup_size: 256
    .name:           _ZN7rocprim17ROCPRIM_400000_NS6detail17trampoline_kernelINS0_13select_configILj256ELj13ELNS0_17block_load_methodE3ELS4_3ELS4_3ELNS0_20block_scan_algorithmE0ELj4294967295EEENS1_25partition_config_selectorILNS1_17partition_subalgoE4EjNS0_10empty_typeEbEEZZNS1_14partition_implILS8_4ELb0ES6_15HIP_vector_typeIjLj2EENS0_17counting_iteratorIjlEEPS9_SG_NS0_5tupleIJPjSI_NS0_16reverse_iteratorISI_EEEEENSH_IJSG_SG_SG_EEES9_SI_JZNS1_25segmented_radix_sort_implINS0_14default_configELb1EPKdPdPKlPlN2at6native12_GLOBAL__N_18offset_tEEE10hipError_tPvRmT1_PNSt15iterator_traitsIS12_E10value_typeET2_T3_PNS13_IS18_E10value_typeET4_jRbjT5_S1E_jjP12ihipStream_tbEUljE_ZNSN_ISO_Lb1ESQ_SR_ST_SU_SY_EESZ_S10_S11_S12_S16_S17_S18_S1B_S1C_jS1D_jS1E_S1E_jjS1G_bEUljE0_EEESZ_S10_S11_S18_S1C_S1E_T6_T7_T9_mT8_S1G_bDpT10_ENKUlT_T0_E_clISt17integral_constantIbLb0EES1T_IbLb1EEEEDaS1P_S1Q_EUlS1P_E_NS1_11comp_targetILNS1_3genE10ELNS1_11target_archE1200ELNS1_3gpuE4ELNS1_3repE0EEENS1_30default_config_static_selectorELNS0_4arch9wavefront6targetE1EEEvS12_
    .private_segment_fixed_size: 0
    .sgpr_count:     4
    .sgpr_spill_count: 0
    .symbol:         _ZN7rocprim17ROCPRIM_400000_NS6detail17trampoline_kernelINS0_13select_configILj256ELj13ELNS0_17block_load_methodE3ELS4_3ELS4_3ELNS0_20block_scan_algorithmE0ELj4294967295EEENS1_25partition_config_selectorILNS1_17partition_subalgoE4EjNS0_10empty_typeEbEEZZNS1_14partition_implILS8_4ELb0ES6_15HIP_vector_typeIjLj2EENS0_17counting_iteratorIjlEEPS9_SG_NS0_5tupleIJPjSI_NS0_16reverse_iteratorISI_EEEEENSH_IJSG_SG_SG_EEES9_SI_JZNS1_25segmented_radix_sort_implINS0_14default_configELb1EPKdPdPKlPlN2at6native12_GLOBAL__N_18offset_tEEE10hipError_tPvRmT1_PNSt15iterator_traitsIS12_E10value_typeET2_T3_PNS13_IS18_E10value_typeET4_jRbjT5_S1E_jjP12ihipStream_tbEUljE_ZNSN_ISO_Lb1ESQ_SR_ST_SU_SY_EESZ_S10_S11_S12_S16_S17_S18_S1B_S1C_jS1D_jS1E_S1E_jjS1G_bEUljE0_EEESZ_S10_S11_S18_S1C_S1E_T6_T7_T9_mT8_S1G_bDpT10_ENKUlT_T0_E_clISt17integral_constantIbLb0EES1T_IbLb1EEEEDaS1P_S1Q_EUlS1P_E_NS1_11comp_targetILNS1_3genE10ELNS1_11target_archE1200ELNS1_3gpuE4ELNS1_3repE0EEENS1_30default_config_static_selectorELNS0_4arch9wavefront6targetE1EEEvS12_.kd
    .uniform_work_group_size: 1
    .uses_dynamic_stack: false
    .vgpr_count:     0
    .vgpr_spill_count: 0
    .wavefront_size: 64
  - .agpr_count:     0
    .args:
      - .offset:         0
        .size:           184
        .value_kind:     by_value
    .group_segment_fixed_size: 0
    .kernarg_segment_align: 8
    .kernarg_segment_size: 184
    .language:       OpenCL C
    .language_version:
      - 2
      - 0
    .max_flat_workgroup_size: 256
    .name:           _ZN7rocprim17ROCPRIM_400000_NS6detail17trampoline_kernelINS0_13select_configILj256ELj13ELNS0_17block_load_methodE3ELS4_3ELS4_3ELNS0_20block_scan_algorithmE0ELj4294967295EEENS1_25partition_config_selectorILNS1_17partition_subalgoE4EjNS0_10empty_typeEbEEZZNS1_14partition_implILS8_4ELb0ES6_15HIP_vector_typeIjLj2EENS0_17counting_iteratorIjlEEPS9_SG_NS0_5tupleIJPjSI_NS0_16reverse_iteratorISI_EEEEENSH_IJSG_SG_SG_EEES9_SI_JZNS1_25segmented_radix_sort_implINS0_14default_configELb1EPKdPdPKlPlN2at6native12_GLOBAL__N_18offset_tEEE10hipError_tPvRmT1_PNSt15iterator_traitsIS12_E10value_typeET2_T3_PNS13_IS18_E10value_typeET4_jRbjT5_S1E_jjP12ihipStream_tbEUljE_ZNSN_ISO_Lb1ESQ_SR_ST_SU_SY_EESZ_S10_S11_S12_S16_S17_S18_S1B_S1C_jS1D_jS1E_S1E_jjS1G_bEUljE0_EEESZ_S10_S11_S18_S1C_S1E_T6_T7_T9_mT8_S1G_bDpT10_ENKUlT_T0_E_clISt17integral_constantIbLb0EES1T_IbLb1EEEEDaS1P_S1Q_EUlS1P_E_NS1_11comp_targetILNS1_3genE9ELNS1_11target_archE1100ELNS1_3gpuE3ELNS1_3repE0EEENS1_30default_config_static_selectorELNS0_4arch9wavefront6targetE1EEEvS12_
    .private_segment_fixed_size: 0
    .sgpr_count:     4
    .sgpr_spill_count: 0
    .symbol:         _ZN7rocprim17ROCPRIM_400000_NS6detail17trampoline_kernelINS0_13select_configILj256ELj13ELNS0_17block_load_methodE3ELS4_3ELS4_3ELNS0_20block_scan_algorithmE0ELj4294967295EEENS1_25partition_config_selectorILNS1_17partition_subalgoE4EjNS0_10empty_typeEbEEZZNS1_14partition_implILS8_4ELb0ES6_15HIP_vector_typeIjLj2EENS0_17counting_iteratorIjlEEPS9_SG_NS0_5tupleIJPjSI_NS0_16reverse_iteratorISI_EEEEENSH_IJSG_SG_SG_EEES9_SI_JZNS1_25segmented_radix_sort_implINS0_14default_configELb1EPKdPdPKlPlN2at6native12_GLOBAL__N_18offset_tEEE10hipError_tPvRmT1_PNSt15iterator_traitsIS12_E10value_typeET2_T3_PNS13_IS18_E10value_typeET4_jRbjT5_S1E_jjP12ihipStream_tbEUljE_ZNSN_ISO_Lb1ESQ_SR_ST_SU_SY_EESZ_S10_S11_S12_S16_S17_S18_S1B_S1C_jS1D_jS1E_S1E_jjS1G_bEUljE0_EEESZ_S10_S11_S18_S1C_S1E_T6_T7_T9_mT8_S1G_bDpT10_ENKUlT_T0_E_clISt17integral_constantIbLb0EES1T_IbLb1EEEEDaS1P_S1Q_EUlS1P_E_NS1_11comp_targetILNS1_3genE9ELNS1_11target_archE1100ELNS1_3gpuE3ELNS1_3repE0EEENS1_30default_config_static_selectorELNS0_4arch9wavefront6targetE1EEEvS12_.kd
    .uniform_work_group_size: 1
    .uses_dynamic_stack: false
    .vgpr_count:     0
    .vgpr_spill_count: 0
    .wavefront_size: 64
  - .agpr_count:     0
    .args:
      - .offset:         0
        .size:           184
        .value_kind:     by_value
    .group_segment_fixed_size: 0
    .kernarg_segment_align: 8
    .kernarg_segment_size: 184
    .language:       OpenCL C
    .language_version:
      - 2
      - 0
    .max_flat_workgroup_size: 256
    .name:           _ZN7rocprim17ROCPRIM_400000_NS6detail17trampoline_kernelINS0_13select_configILj256ELj13ELNS0_17block_load_methodE3ELS4_3ELS4_3ELNS0_20block_scan_algorithmE0ELj4294967295EEENS1_25partition_config_selectorILNS1_17partition_subalgoE4EjNS0_10empty_typeEbEEZZNS1_14partition_implILS8_4ELb0ES6_15HIP_vector_typeIjLj2EENS0_17counting_iteratorIjlEEPS9_SG_NS0_5tupleIJPjSI_NS0_16reverse_iteratorISI_EEEEENSH_IJSG_SG_SG_EEES9_SI_JZNS1_25segmented_radix_sort_implINS0_14default_configELb1EPKdPdPKlPlN2at6native12_GLOBAL__N_18offset_tEEE10hipError_tPvRmT1_PNSt15iterator_traitsIS12_E10value_typeET2_T3_PNS13_IS18_E10value_typeET4_jRbjT5_S1E_jjP12ihipStream_tbEUljE_ZNSN_ISO_Lb1ESQ_SR_ST_SU_SY_EESZ_S10_S11_S12_S16_S17_S18_S1B_S1C_jS1D_jS1E_S1E_jjS1G_bEUljE0_EEESZ_S10_S11_S18_S1C_S1E_T6_T7_T9_mT8_S1G_bDpT10_ENKUlT_T0_E_clISt17integral_constantIbLb0EES1T_IbLb1EEEEDaS1P_S1Q_EUlS1P_E_NS1_11comp_targetILNS1_3genE8ELNS1_11target_archE1030ELNS1_3gpuE2ELNS1_3repE0EEENS1_30default_config_static_selectorELNS0_4arch9wavefront6targetE1EEEvS12_
    .private_segment_fixed_size: 0
    .sgpr_count:     4
    .sgpr_spill_count: 0
    .symbol:         _ZN7rocprim17ROCPRIM_400000_NS6detail17trampoline_kernelINS0_13select_configILj256ELj13ELNS0_17block_load_methodE3ELS4_3ELS4_3ELNS0_20block_scan_algorithmE0ELj4294967295EEENS1_25partition_config_selectorILNS1_17partition_subalgoE4EjNS0_10empty_typeEbEEZZNS1_14partition_implILS8_4ELb0ES6_15HIP_vector_typeIjLj2EENS0_17counting_iteratorIjlEEPS9_SG_NS0_5tupleIJPjSI_NS0_16reverse_iteratorISI_EEEEENSH_IJSG_SG_SG_EEES9_SI_JZNS1_25segmented_radix_sort_implINS0_14default_configELb1EPKdPdPKlPlN2at6native12_GLOBAL__N_18offset_tEEE10hipError_tPvRmT1_PNSt15iterator_traitsIS12_E10value_typeET2_T3_PNS13_IS18_E10value_typeET4_jRbjT5_S1E_jjP12ihipStream_tbEUljE_ZNSN_ISO_Lb1ESQ_SR_ST_SU_SY_EESZ_S10_S11_S12_S16_S17_S18_S1B_S1C_jS1D_jS1E_S1E_jjS1G_bEUljE0_EEESZ_S10_S11_S18_S1C_S1E_T6_T7_T9_mT8_S1G_bDpT10_ENKUlT_T0_E_clISt17integral_constantIbLb0EES1T_IbLb1EEEEDaS1P_S1Q_EUlS1P_E_NS1_11comp_targetILNS1_3genE8ELNS1_11target_archE1030ELNS1_3gpuE2ELNS1_3repE0EEENS1_30default_config_static_selectorELNS0_4arch9wavefront6targetE1EEEvS12_.kd
    .uniform_work_group_size: 1
    .uses_dynamic_stack: false
    .vgpr_count:     0
    .vgpr_spill_count: 0
    .wavefront_size: 64
  - .agpr_count:     0
    .args:
      - .offset:         0
        .size:           144
        .value_kind:     by_value
    .group_segment_fixed_size: 0
    .kernarg_segment_align: 8
    .kernarg_segment_size: 144
    .language:       OpenCL C
    .language_version:
      - 2
      - 0
    .max_flat_workgroup_size: 256
    .name:           _ZN7rocprim17ROCPRIM_400000_NS6detail17trampoline_kernelINS0_13select_configILj256ELj13ELNS0_17block_load_methodE3ELS4_3ELS4_3ELNS0_20block_scan_algorithmE0ELj4294967295EEENS1_25partition_config_selectorILNS1_17partition_subalgoE3EjNS0_10empty_typeEbEEZZNS1_14partition_implILS8_3ELb0ES6_jNS0_17counting_iteratorIjlEEPS9_SE_NS0_5tupleIJPjSE_EEENSF_IJSE_SE_EEES9_SG_JZNS1_25segmented_radix_sort_implINS0_14default_configELb1EPKdPdPKlPlN2at6native12_GLOBAL__N_18offset_tEEE10hipError_tPvRmT1_PNSt15iterator_traitsISY_E10value_typeET2_T3_PNSZ_IS14_E10value_typeET4_jRbjT5_S1A_jjP12ihipStream_tbEUljE_EEESV_SW_SX_S14_S18_S1A_T6_T7_T9_mT8_S1C_bDpT10_ENKUlT_T0_E_clISt17integral_constantIbLb0EES1P_EEDaS1K_S1L_EUlS1K_E_NS1_11comp_targetILNS1_3genE0ELNS1_11target_archE4294967295ELNS1_3gpuE0ELNS1_3repE0EEENS1_30default_config_static_selectorELNS0_4arch9wavefront6targetE1EEEvSY_
    .private_segment_fixed_size: 0
    .sgpr_count:     4
    .sgpr_spill_count: 0
    .symbol:         _ZN7rocprim17ROCPRIM_400000_NS6detail17trampoline_kernelINS0_13select_configILj256ELj13ELNS0_17block_load_methodE3ELS4_3ELS4_3ELNS0_20block_scan_algorithmE0ELj4294967295EEENS1_25partition_config_selectorILNS1_17partition_subalgoE3EjNS0_10empty_typeEbEEZZNS1_14partition_implILS8_3ELb0ES6_jNS0_17counting_iteratorIjlEEPS9_SE_NS0_5tupleIJPjSE_EEENSF_IJSE_SE_EEES9_SG_JZNS1_25segmented_radix_sort_implINS0_14default_configELb1EPKdPdPKlPlN2at6native12_GLOBAL__N_18offset_tEEE10hipError_tPvRmT1_PNSt15iterator_traitsISY_E10value_typeET2_T3_PNSZ_IS14_E10value_typeET4_jRbjT5_S1A_jjP12ihipStream_tbEUljE_EEESV_SW_SX_S14_S18_S1A_T6_T7_T9_mT8_S1C_bDpT10_ENKUlT_T0_E_clISt17integral_constantIbLb0EES1P_EEDaS1K_S1L_EUlS1K_E_NS1_11comp_targetILNS1_3genE0ELNS1_11target_archE4294967295ELNS1_3gpuE0ELNS1_3repE0EEENS1_30default_config_static_selectorELNS0_4arch9wavefront6targetE1EEEvSY_.kd
    .uniform_work_group_size: 1
    .uses_dynamic_stack: false
    .vgpr_count:     0
    .vgpr_spill_count: 0
    .wavefront_size: 64
  - .agpr_count:     0
    .args:
      - .offset:         0
        .size:           144
        .value_kind:     by_value
    .group_segment_fixed_size: 0
    .kernarg_segment_align: 8
    .kernarg_segment_size: 144
    .language:       OpenCL C
    .language_version:
      - 2
      - 0
    .max_flat_workgroup_size: 256
    .name:           _ZN7rocprim17ROCPRIM_400000_NS6detail17trampoline_kernelINS0_13select_configILj256ELj13ELNS0_17block_load_methodE3ELS4_3ELS4_3ELNS0_20block_scan_algorithmE0ELj4294967295EEENS1_25partition_config_selectorILNS1_17partition_subalgoE3EjNS0_10empty_typeEbEEZZNS1_14partition_implILS8_3ELb0ES6_jNS0_17counting_iteratorIjlEEPS9_SE_NS0_5tupleIJPjSE_EEENSF_IJSE_SE_EEES9_SG_JZNS1_25segmented_radix_sort_implINS0_14default_configELb1EPKdPdPKlPlN2at6native12_GLOBAL__N_18offset_tEEE10hipError_tPvRmT1_PNSt15iterator_traitsISY_E10value_typeET2_T3_PNSZ_IS14_E10value_typeET4_jRbjT5_S1A_jjP12ihipStream_tbEUljE_EEESV_SW_SX_S14_S18_S1A_T6_T7_T9_mT8_S1C_bDpT10_ENKUlT_T0_E_clISt17integral_constantIbLb0EES1P_EEDaS1K_S1L_EUlS1K_E_NS1_11comp_targetILNS1_3genE5ELNS1_11target_archE942ELNS1_3gpuE9ELNS1_3repE0EEENS1_30default_config_static_selectorELNS0_4arch9wavefront6targetE1EEEvSY_
    .private_segment_fixed_size: 0
    .sgpr_count:     4
    .sgpr_spill_count: 0
    .symbol:         _ZN7rocprim17ROCPRIM_400000_NS6detail17trampoline_kernelINS0_13select_configILj256ELj13ELNS0_17block_load_methodE3ELS4_3ELS4_3ELNS0_20block_scan_algorithmE0ELj4294967295EEENS1_25partition_config_selectorILNS1_17partition_subalgoE3EjNS0_10empty_typeEbEEZZNS1_14partition_implILS8_3ELb0ES6_jNS0_17counting_iteratorIjlEEPS9_SE_NS0_5tupleIJPjSE_EEENSF_IJSE_SE_EEES9_SG_JZNS1_25segmented_radix_sort_implINS0_14default_configELb1EPKdPdPKlPlN2at6native12_GLOBAL__N_18offset_tEEE10hipError_tPvRmT1_PNSt15iterator_traitsISY_E10value_typeET2_T3_PNSZ_IS14_E10value_typeET4_jRbjT5_S1A_jjP12ihipStream_tbEUljE_EEESV_SW_SX_S14_S18_S1A_T6_T7_T9_mT8_S1C_bDpT10_ENKUlT_T0_E_clISt17integral_constantIbLb0EES1P_EEDaS1K_S1L_EUlS1K_E_NS1_11comp_targetILNS1_3genE5ELNS1_11target_archE942ELNS1_3gpuE9ELNS1_3repE0EEENS1_30default_config_static_selectorELNS0_4arch9wavefront6targetE1EEEvSY_.kd
    .uniform_work_group_size: 1
    .uses_dynamic_stack: false
    .vgpr_count:     0
    .vgpr_spill_count: 0
    .wavefront_size: 64
  - .agpr_count:     0
    .args:
      - .offset:         0
        .size:           144
        .value_kind:     by_value
    .group_segment_fixed_size: 13324
    .kernarg_segment_align: 8
    .kernarg_segment_size: 144
    .language:       OpenCL C
    .language_version:
      - 2
      - 0
    .max_flat_workgroup_size: 256
    .name:           _ZN7rocprim17ROCPRIM_400000_NS6detail17trampoline_kernelINS0_13select_configILj256ELj13ELNS0_17block_load_methodE3ELS4_3ELS4_3ELNS0_20block_scan_algorithmE0ELj4294967295EEENS1_25partition_config_selectorILNS1_17partition_subalgoE3EjNS0_10empty_typeEbEEZZNS1_14partition_implILS8_3ELb0ES6_jNS0_17counting_iteratorIjlEEPS9_SE_NS0_5tupleIJPjSE_EEENSF_IJSE_SE_EEES9_SG_JZNS1_25segmented_radix_sort_implINS0_14default_configELb1EPKdPdPKlPlN2at6native12_GLOBAL__N_18offset_tEEE10hipError_tPvRmT1_PNSt15iterator_traitsISY_E10value_typeET2_T3_PNSZ_IS14_E10value_typeET4_jRbjT5_S1A_jjP12ihipStream_tbEUljE_EEESV_SW_SX_S14_S18_S1A_T6_T7_T9_mT8_S1C_bDpT10_ENKUlT_T0_E_clISt17integral_constantIbLb0EES1P_EEDaS1K_S1L_EUlS1K_E_NS1_11comp_targetILNS1_3genE4ELNS1_11target_archE910ELNS1_3gpuE8ELNS1_3repE0EEENS1_30default_config_static_selectorELNS0_4arch9wavefront6targetE1EEEvSY_
    .private_segment_fixed_size: 0
    .sgpr_count:     50
    .sgpr_spill_count: 0
    .symbol:         _ZN7rocprim17ROCPRIM_400000_NS6detail17trampoline_kernelINS0_13select_configILj256ELj13ELNS0_17block_load_methodE3ELS4_3ELS4_3ELNS0_20block_scan_algorithmE0ELj4294967295EEENS1_25partition_config_selectorILNS1_17partition_subalgoE3EjNS0_10empty_typeEbEEZZNS1_14partition_implILS8_3ELb0ES6_jNS0_17counting_iteratorIjlEEPS9_SE_NS0_5tupleIJPjSE_EEENSF_IJSE_SE_EEES9_SG_JZNS1_25segmented_radix_sort_implINS0_14default_configELb1EPKdPdPKlPlN2at6native12_GLOBAL__N_18offset_tEEE10hipError_tPvRmT1_PNSt15iterator_traitsISY_E10value_typeET2_T3_PNSZ_IS14_E10value_typeET4_jRbjT5_S1A_jjP12ihipStream_tbEUljE_EEESV_SW_SX_S14_S18_S1A_T6_T7_T9_mT8_S1C_bDpT10_ENKUlT_T0_E_clISt17integral_constantIbLb0EES1P_EEDaS1K_S1L_EUlS1K_E_NS1_11comp_targetILNS1_3genE4ELNS1_11target_archE910ELNS1_3gpuE8ELNS1_3repE0EEENS1_30default_config_static_selectorELNS0_4arch9wavefront6targetE1EEEvSY_.kd
    .uniform_work_group_size: 1
    .uses_dynamic_stack: false
    .vgpr_count:     61
    .vgpr_spill_count: 0
    .wavefront_size: 64
  - .agpr_count:     0
    .args:
      - .offset:         0
        .size:           144
        .value_kind:     by_value
    .group_segment_fixed_size: 0
    .kernarg_segment_align: 8
    .kernarg_segment_size: 144
    .language:       OpenCL C
    .language_version:
      - 2
      - 0
    .max_flat_workgroup_size: 256
    .name:           _ZN7rocprim17ROCPRIM_400000_NS6detail17trampoline_kernelINS0_13select_configILj256ELj13ELNS0_17block_load_methodE3ELS4_3ELS4_3ELNS0_20block_scan_algorithmE0ELj4294967295EEENS1_25partition_config_selectorILNS1_17partition_subalgoE3EjNS0_10empty_typeEbEEZZNS1_14partition_implILS8_3ELb0ES6_jNS0_17counting_iteratorIjlEEPS9_SE_NS0_5tupleIJPjSE_EEENSF_IJSE_SE_EEES9_SG_JZNS1_25segmented_radix_sort_implINS0_14default_configELb1EPKdPdPKlPlN2at6native12_GLOBAL__N_18offset_tEEE10hipError_tPvRmT1_PNSt15iterator_traitsISY_E10value_typeET2_T3_PNSZ_IS14_E10value_typeET4_jRbjT5_S1A_jjP12ihipStream_tbEUljE_EEESV_SW_SX_S14_S18_S1A_T6_T7_T9_mT8_S1C_bDpT10_ENKUlT_T0_E_clISt17integral_constantIbLb0EES1P_EEDaS1K_S1L_EUlS1K_E_NS1_11comp_targetILNS1_3genE3ELNS1_11target_archE908ELNS1_3gpuE7ELNS1_3repE0EEENS1_30default_config_static_selectorELNS0_4arch9wavefront6targetE1EEEvSY_
    .private_segment_fixed_size: 0
    .sgpr_count:     4
    .sgpr_spill_count: 0
    .symbol:         _ZN7rocprim17ROCPRIM_400000_NS6detail17trampoline_kernelINS0_13select_configILj256ELj13ELNS0_17block_load_methodE3ELS4_3ELS4_3ELNS0_20block_scan_algorithmE0ELj4294967295EEENS1_25partition_config_selectorILNS1_17partition_subalgoE3EjNS0_10empty_typeEbEEZZNS1_14partition_implILS8_3ELb0ES6_jNS0_17counting_iteratorIjlEEPS9_SE_NS0_5tupleIJPjSE_EEENSF_IJSE_SE_EEES9_SG_JZNS1_25segmented_radix_sort_implINS0_14default_configELb1EPKdPdPKlPlN2at6native12_GLOBAL__N_18offset_tEEE10hipError_tPvRmT1_PNSt15iterator_traitsISY_E10value_typeET2_T3_PNSZ_IS14_E10value_typeET4_jRbjT5_S1A_jjP12ihipStream_tbEUljE_EEESV_SW_SX_S14_S18_S1A_T6_T7_T9_mT8_S1C_bDpT10_ENKUlT_T0_E_clISt17integral_constantIbLb0EES1P_EEDaS1K_S1L_EUlS1K_E_NS1_11comp_targetILNS1_3genE3ELNS1_11target_archE908ELNS1_3gpuE7ELNS1_3repE0EEENS1_30default_config_static_selectorELNS0_4arch9wavefront6targetE1EEEvSY_.kd
    .uniform_work_group_size: 1
    .uses_dynamic_stack: false
    .vgpr_count:     0
    .vgpr_spill_count: 0
    .wavefront_size: 64
  - .agpr_count:     0
    .args:
      - .offset:         0
        .size:           144
        .value_kind:     by_value
    .group_segment_fixed_size: 0
    .kernarg_segment_align: 8
    .kernarg_segment_size: 144
    .language:       OpenCL C
    .language_version:
      - 2
      - 0
    .max_flat_workgroup_size: 256
    .name:           _ZN7rocprim17ROCPRIM_400000_NS6detail17trampoline_kernelINS0_13select_configILj256ELj13ELNS0_17block_load_methodE3ELS4_3ELS4_3ELNS0_20block_scan_algorithmE0ELj4294967295EEENS1_25partition_config_selectorILNS1_17partition_subalgoE3EjNS0_10empty_typeEbEEZZNS1_14partition_implILS8_3ELb0ES6_jNS0_17counting_iteratorIjlEEPS9_SE_NS0_5tupleIJPjSE_EEENSF_IJSE_SE_EEES9_SG_JZNS1_25segmented_radix_sort_implINS0_14default_configELb1EPKdPdPKlPlN2at6native12_GLOBAL__N_18offset_tEEE10hipError_tPvRmT1_PNSt15iterator_traitsISY_E10value_typeET2_T3_PNSZ_IS14_E10value_typeET4_jRbjT5_S1A_jjP12ihipStream_tbEUljE_EEESV_SW_SX_S14_S18_S1A_T6_T7_T9_mT8_S1C_bDpT10_ENKUlT_T0_E_clISt17integral_constantIbLb0EES1P_EEDaS1K_S1L_EUlS1K_E_NS1_11comp_targetILNS1_3genE2ELNS1_11target_archE906ELNS1_3gpuE6ELNS1_3repE0EEENS1_30default_config_static_selectorELNS0_4arch9wavefront6targetE1EEEvSY_
    .private_segment_fixed_size: 0
    .sgpr_count:     4
    .sgpr_spill_count: 0
    .symbol:         _ZN7rocprim17ROCPRIM_400000_NS6detail17trampoline_kernelINS0_13select_configILj256ELj13ELNS0_17block_load_methodE3ELS4_3ELS4_3ELNS0_20block_scan_algorithmE0ELj4294967295EEENS1_25partition_config_selectorILNS1_17partition_subalgoE3EjNS0_10empty_typeEbEEZZNS1_14partition_implILS8_3ELb0ES6_jNS0_17counting_iteratorIjlEEPS9_SE_NS0_5tupleIJPjSE_EEENSF_IJSE_SE_EEES9_SG_JZNS1_25segmented_radix_sort_implINS0_14default_configELb1EPKdPdPKlPlN2at6native12_GLOBAL__N_18offset_tEEE10hipError_tPvRmT1_PNSt15iterator_traitsISY_E10value_typeET2_T3_PNSZ_IS14_E10value_typeET4_jRbjT5_S1A_jjP12ihipStream_tbEUljE_EEESV_SW_SX_S14_S18_S1A_T6_T7_T9_mT8_S1C_bDpT10_ENKUlT_T0_E_clISt17integral_constantIbLb0EES1P_EEDaS1K_S1L_EUlS1K_E_NS1_11comp_targetILNS1_3genE2ELNS1_11target_archE906ELNS1_3gpuE6ELNS1_3repE0EEENS1_30default_config_static_selectorELNS0_4arch9wavefront6targetE1EEEvSY_.kd
    .uniform_work_group_size: 1
    .uses_dynamic_stack: false
    .vgpr_count:     0
    .vgpr_spill_count: 0
    .wavefront_size: 64
  - .agpr_count:     0
    .args:
      - .offset:         0
        .size:           144
        .value_kind:     by_value
    .group_segment_fixed_size: 0
    .kernarg_segment_align: 8
    .kernarg_segment_size: 144
    .language:       OpenCL C
    .language_version:
      - 2
      - 0
    .max_flat_workgroup_size: 256
    .name:           _ZN7rocprim17ROCPRIM_400000_NS6detail17trampoline_kernelINS0_13select_configILj256ELj13ELNS0_17block_load_methodE3ELS4_3ELS4_3ELNS0_20block_scan_algorithmE0ELj4294967295EEENS1_25partition_config_selectorILNS1_17partition_subalgoE3EjNS0_10empty_typeEbEEZZNS1_14partition_implILS8_3ELb0ES6_jNS0_17counting_iteratorIjlEEPS9_SE_NS0_5tupleIJPjSE_EEENSF_IJSE_SE_EEES9_SG_JZNS1_25segmented_radix_sort_implINS0_14default_configELb1EPKdPdPKlPlN2at6native12_GLOBAL__N_18offset_tEEE10hipError_tPvRmT1_PNSt15iterator_traitsISY_E10value_typeET2_T3_PNSZ_IS14_E10value_typeET4_jRbjT5_S1A_jjP12ihipStream_tbEUljE_EEESV_SW_SX_S14_S18_S1A_T6_T7_T9_mT8_S1C_bDpT10_ENKUlT_T0_E_clISt17integral_constantIbLb0EES1P_EEDaS1K_S1L_EUlS1K_E_NS1_11comp_targetILNS1_3genE10ELNS1_11target_archE1200ELNS1_3gpuE4ELNS1_3repE0EEENS1_30default_config_static_selectorELNS0_4arch9wavefront6targetE1EEEvSY_
    .private_segment_fixed_size: 0
    .sgpr_count:     4
    .sgpr_spill_count: 0
    .symbol:         _ZN7rocprim17ROCPRIM_400000_NS6detail17trampoline_kernelINS0_13select_configILj256ELj13ELNS0_17block_load_methodE3ELS4_3ELS4_3ELNS0_20block_scan_algorithmE0ELj4294967295EEENS1_25partition_config_selectorILNS1_17partition_subalgoE3EjNS0_10empty_typeEbEEZZNS1_14partition_implILS8_3ELb0ES6_jNS0_17counting_iteratorIjlEEPS9_SE_NS0_5tupleIJPjSE_EEENSF_IJSE_SE_EEES9_SG_JZNS1_25segmented_radix_sort_implINS0_14default_configELb1EPKdPdPKlPlN2at6native12_GLOBAL__N_18offset_tEEE10hipError_tPvRmT1_PNSt15iterator_traitsISY_E10value_typeET2_T3_PNSZ_IS14_E10value_typeET4_jRbjT5_S1A_jjP12ihipStream_tbEUljE_EEESV_SW_SX_S14_S18_S1A_T6_T7_T9_mT8_S1C_bDpT10_ENKUlT_T0_E_clISt17integral_constantIbLb0EES1P_EEDaS1K_S1L_EUlS1K_E_NS1_11comp_targetILNS1_3genE10ELNS1_11target_archE1200ELNS1_3gpuE4ELNS1_3repE0EEENS1_30default_config_static_selectorELNS0_4arch9wavefront6targetE1EEEvSY_.kd
    .uniform_work_group_size: 1
    .uses_dynamic_stack: false
    .vgpr_count:     0
    .vgpr_spill_count: 0
    .wavefront_size: 64
  - .agpr_count:     0
    .args:
      - .offset:         0
        .size:           144
        .value_kind:     by_value
    .group_segment_fixed_size: 0
    .kernarg_segment_align: 8
    .kernarg_segment_size: 144
    .language:       OpenCL C
    .language_version:
      - 2
      - 0
    .max_flat_workgroup_size: 256
    .name:           _ZN7rocprim17ROCPRIM_400000_NS6detail17trampoline_kernelINS0_13select_configILj256ELj13ELNS0_17block_load_methodE3ELS4_3ELS4_3ELNS0_20block_scan_algorithmE0ELj4294967295EEENS1_25partition_config_selectorILNS1_17partition_subalgoE3EjNS0_10empty_typeEbEEZZNS1_14partition_implILS8_3ELb0ES6_jNS0_17counting_iteratorIjlEEPS9_SE_NS0_5tupleIJPjSE_EEENSF_IJSE_SE_EEES9_SG_JZNS1_25segmented_radix_sort_implINS0_14default_configELb1EPKdPdPKlPlN2at6native12_GLOBAL__N_18offset_tEEE10hipError_tPvRmT1_PNSt15iterator_traitsISY_E10value_typeET2_T3_PNSZ_IS14_E10value_typeET4_jRbjT5_S1A_jjP12ihipStream_tbEUljE_EEESV_SW_SX_S14_S18_S1A_T6_T7_T9_mT8_S1C_bDpT10_ENKUlT_T0_E_clISt17integral_constantIbLb0EES1P_EEDaS1K_S1L_EUlS1K_E_NS1_11comp_targetILNS1_3genE9ELNS1_11target_archE1100ELNS1_3gpuE3ELNS1_3repE0EEENS1_30default_config_static_selectorELNS0_4arch9wavefront6targetE1EEEvSY_
    .private_segment_fixed_size: 0
    .sgpr_count:     4
    .sgpr_spill_count: 0
    .symbol:         _ZN7rocprim17ROCPRIM_400000_NS6detail17trampoline_kernelINS0_13select_configILj256ELj13ELNS0_17block_load_methodE3ELS4_3ELS4_3ELNS0_20block_scan_algorithmE0ELj4294967295EEENS1_25partition_config_selectorILNS1_17partition_subalgoE3EjNS0_10empty_typeEbEEZZNS1_14partition_implILS8_3ELb0ES6_jNS0_17counting_iteratorIjlEEPS9_SE_NS0_5tupleIJPjSE_EEENSF_IJSE_SE_EEES9_SG_JZNS1_25segmented_radix_sort_implINS0_14default_configELb1EPKdPdPKlPlN2at6native12_GLOBAL__N_18offset_tEEE10hipError_tPvRmT1_PNSt15iterator_traitsISY_E10value_typeET2_T3_PNSZ_IS14_E10value_typeET4_jRbjT5_S1A_jjP12ihipStream_tbEUljE_EEESV_SW_SX_S14_S18_S1A_T6_T7_T9_mT8_S1C_bDpT10_ENKUlT_T0_E_clISt17integral_constantIbLb0EES1P_EEDaS1K_S1L_EUlS1K_E_NS1_11comp_targetILNS1_3genE9ELNS1_11target_archE1100ELNS1_3gpuE3ELNS1_3repE0EEENS1_30default_config_static_selectorELNS0_4arch9wavefront6targetE1EEEvSY_.kd
    .uniform_work_group_size: 1
    .uses_dynamic_stack: false
    .vgpr_count:     0
    .vgpr_spill_count: 0
    .wavefront_size: 64
  - .agpr_count:     0
    .args:
      - .offset:         0
        .size:           144
        .value_kind:     by_value
    .group_segment_fixed_size: 0
    .kernarg_segment_align: 8
    .kernarg_segment_size: 144
    .language:       OpenCL C
    .language_version:
      - 2
      - 0
    .max_flat_workgroup_size: 256
    .name:           _ZN7rocprim17ROCPRIM_400000_NS6detail17trampoline_kernelINS0_13select_configILj256ELj13ELNS0_17block_load_methodE3ELS4_3ELS4_3ELNS0_20block_scan_algorithmE0ELj4294967295EEENS1_25partition_config_selectorILNS1_17partition_subalgoE3EjNS0_10empty_typeEbEEZZNS1_14partition_implILS8_3ELb0ES6_jNS0_17counting_iteratorIjlEEPS9_SE_NS0_5tupleIJPjSE_EEENSF_IJSE_SE_EEES9_SG_JZNS1_25segmented_radix_sort_implINS0_14default_configELb1EPKdPdPKlPlN2at6native12_GLOBAL__N_18offset_tEEE10hipError_tPvRmT1_PNSt15iterator_traitsISY_E10value_typeET2_T3_PNSZ_IS14_E10value_typeET4_jRbjT5_S1A_jjP12ihipStream_tbEUljE_EEESV_SW_SX_S14_S18_S1A_T6_T7_T9_mT8_S1C_bDpT10_ENKUlT_T0_E_clISt17integral_constantIbLb0EES1P_EEDaS1K_S1L_EUlS1K_E_NS1_11comp_targetILNS1_3genE8ELNS1_11target_archE1030ELNS1_3gpuE2ELNS1_3repE0EEENS1_30default_config_static_selectorELNS0_4arch9wavefront6targetE1EEEvSY_
    .private_segment_fixed_size: 0
    .sgpr_count:     4
    .sgpr_spill_count: 0
    .symbol:         _ZN7rocprim17ROCPRIM_400000_NS6detail17trampoline_kernelINS0_13select_configILj256ELj13ELNS0_17block_load_methodE3ELS4_3ELS4_3ELNS0_20block_scan_algorithmE0ELj4294967295EEENS1_25partition_config_selectorILNS1_17partition_subalgoE3EjNS0_10empty_typeEbEEZZNS1_14partition_implILS8_3ELb0ES6_jNS0_17counting_iteratorIjlEEPS9_SE_NS0_5tupleIJPjSE_EEENSF_IJSE_SE_EEES9_SG_JZNS1_25segmented_radix_sort_implINS0_14default_configELb1EPKdPdPKlPlN2at6native12_GLOBAL__N_18offset_tEEE10hipError_tPvRmT1_PNSt15iterator_traitsISY_E10value_typeET2_T3_PNSZ_IS14_E10value_typeET4_jRbjT5_S1A_jjP12ihipStream_tbEUljE_EEESV_SW_SX_S14_S18_S1A_T6_T7_T9_mT8_S1C_bDpT10_ENKUlT_T0_E_clISt17integral_constantIbLb0EES1P_EEDaS1K_S1L_EUlS1K_E_NS1_11comp_targetILNS1_3genE8ELNS1_11target_archE1030ELNS1_3gpuE2ELNS1_3repE0EEENS1_30default_config_static_selectorELNS0_4arch9wavefront6targetE1EEEvSY_.kd
    .uniform_work_group_size: 1
    .uses_dynamic_stack: false
    .vgpr_count:     0
    .vgpr_spill_count: 0
    .wavefront_size: 64
  - .agpr_count:     0
    .args:
      - .offset:         0
        .size:           152
        .value_kind:     by_value
    .group_segment_fixed_size: 0
    .kernarg_segment_align: 8
    .kernarg_segment_size: 152
    .language:       OpenCL C
    .language_version:
      - 2
      - 0
    .max_flat_workgroup_size: 256
    .name:           _ZN7rocprim17ROCPRIM_400000_NS6detail17trampoline_kernelINS0_13select_configILj256ELj13ELNS0_17block_load_methodE3ELS4_3ELS4_3ELNS0_20block_scan_algorithmE0ELj4294967295EEENS1_25partition_config_selectorILNS1_17partition_subalgoE3EjNS0_10empty_typeEbEEZZNS1_14partition_implILS8_3ELb0ES6_jNS0_17counting_iteratorIjlEEPS9_SE_NS0_5tupleIJPjSE_EEENSF_IJSE_SE_EEES9_SG_JZNS1_25segmented_radix_sort_implINS0_14default_configELb1EPKdPdPKlPlN2at6native12_GLOBAL__N_18offset_tEEE10hipError_tPvRmT1_PNSt15iterator_traitsISY_E10value_typeET2_T3_PNSZ_IS14_E10value_typeET4_jRbjT5_S1A_jjP12ihipStream_tbEUljE_EEESV_SW_SX_S14_S18_S1A_T6_T7_T9_mT8_S1C_bDpT10_ENKUlT_T0_E_clISt17integral_constantIbLb1EES1P_EEDaS1K_S1L_EUlS1K_E_NS1_11comp_targetILNS1_3genE0ELNS1_11target_archE4294967295ELNS1_3gpuE0ELNS1_3repE0EEENS1_30default_config_static_selectorELNS0_4arch9wavefront6targetE1EEEvSY_
    .private_segment_fixed_size: 0
    .sgpr_count:     4
    .sgpr_spill_count: 0
    .symbol:         _ZN7rocprim17ROCPRIM_400000_NS6detail17trampoline_kernelINS0_13select_configILj256ELj13ELNS0_17block_load_methodE3ELS4_3ELS4_3ELNS0_20block_scan_algorithmE0ELj4294967295EEENS1_25partition_config_selectorILNS1_17partition_subalgoE3EjNS0_10empty_typeEbEEZZNS1_14partition_implILS8_3ELb0ES6_jNS0_17counting_iteratorIjlEEPS9_SE_NS0_5tupleIJPjSE_EEENSF_IJSE_SE_EEES9_SG_JZNS1_25segmented_radix_sort_implINS0_14default_configELb1EPKdPdPKlPlN2at6native12_GLOBAL__N_18offset_tEEE10hipError_tPvRmT1_PNSt15iterator_traitsISY_E10value_typeET2_T3_PNSZ_IS14_E10value_typeET4_jRbjT5_S1A_jjP12ihipStream_tbEUljE_EEESV_SW_SX_S14_S18_S1A_T6_T7_T9_mT8_S1C_bDpT10_ENKUlT_T0_E_clISt17integral_constantIbLb1EES1P_EEDaS1K_S1L_EUlS1K_E_NS1_11comp_targetILNS1_3genE0ELNS1_11target_archE4294967295ELNS1_3gpuE0ELNS1_3repE0EEENS1_30default_config_static_selectorELNS0_4arch9wavefront6targetE1EEEvSY_.kd
    .uniform_work_group_size: 1
    .uses_dynamic_stack: false
    .vgpr_count:     0
    .vgpr_spill_count: 0
    .wavefront_size: 64
  - .agpr_count:     0
    .args:
      - .offset:         0
        .size:           152
        .value_kind:     by_value
    .group_segment_fixed_size: 0
    .kernarg_segment_align: 8
    .kernarg_segment_size: 152
    .language:       OpenCL C
    .language_version:
      - 2
      - 0
    .max_flat_workgroup_size: 256
    .name:           _ZN7rocprim17ROCPRIM_400000_NS6detail17trampoline_kernelINS0_13select_configILj256ELj13ELNS0_17block_load_methodE3ELS4_3ELS4_3ELNS0_20block_scan_algorithmE0ELj4294967295EEENS1_25partition_config_selectorILNS1_17partition_subalgoE3EjNS0_10empty_typeEbEEZZNS1_14partition_implILS8_3ELb0ES6_jNS0_17counting_iteratorIjlEEPS9_SE_NS0_5tupleIJPjSE_EEENSF_IJSE_SE_EEES9_SG_JZNS1_25segmented_radix_sort_implINS0_14default_configELb1EPKdPdPKlPlN2at6native12_GLOBAL__N_18offset_tEEE10hipError_tPvRmT1_PNSt15iterator_traitsISY_E10value_typeET2_T3_PNSZ_IS14_E10value_typeET4_jRbjT5_S1A_jjP12ihipStream_tbEUljE_EEESV_SW_SX_S14_S18_S1A_T6_T7_T9_mT8_S1C_bDpT10_ENKUlT_T0_E_clISt17integral_constantIbLb1EES1P_EEDaS1K_S1L_EUlS1K_E_NS1_11comp_targetILNS1_3genE5ELNS1_11target_archE942ELNS1_3gpuE9ELNS1_3repE0EEENS1_30default_config_static_selectorELNS0_4arch9wavefront6targetE1EEEvSY_
    .private_segment_fixed_size: 0
    .sgpr_count:     4
    .sgpr_spill_count: 0
    .symbol:         _ZN7rocprim17ROCPRIM_400000_NS6detail17trampoline_kernelINS0_13select_configILj256ELj13ELNS0_17block_load_methodE3ELS4_3ELS4_3ELNS0_20block_scan_algorithmE0ELj4294967295EEENS1_25partition_config_selectorILNS1_17partition_subalgoE3EjNS0_10empty_typeEbEEZZNS1_14partition_implILS8_3ELb0ES6_jNS0_17counting_iteratorIjlEEPS9_SE_NS0_5tupleIJPjSE_EEENSF_IJSE_SE_EEES9_SG_JZNS1_25segmented_radix_sort_implINS0_14default_configELb1EPKdPdPKlPlN2at6native12_GLOBAL__N_18offset_tEEE10hipError_tPvRmT1_PNSt15iterator_traitsISY_E10value_typeET2_T3_PNSZ_IS14_E10value_typeET4_jRbjT5_S1A_jjP12ihipStream_tbEUljE_EEESV_SW_SX_S14_S18_S1A_T6_T7_T9_mT8_S1C_bDpT10_ENKUlT_T0_E_clISt17integral_constantIbLb1EES1P_EEDaS1K_S1L_EUlS1K_E_NS1_11comp_targetILNS1_3genE5ELNS1_11target_archE942ELNS1_3gpuE9ELNS1_3repE0EEENS1_30default_config_static_selectorELNS0_4arch9wavefront6targetE1EEEvSY_.kd
    .uniform_work_group_size: 1
    .uses_dynamic_stack: false
    .vgpr_count:     0
    .vgpr_spill_count: 0
    .wavefront_size: 64
  - .agpr_count:     0
    .args:
      - .offset:         0
        .size:           152
        .value_kind:     by_value
    .group_segment_fixed_size: 13324
    .kernarg_segment_align: 8
    .kernarg_segment_size: 152
    .language:       OpenCL C
    .language_version:
      - 2
      - 0
    .max_flat_workgroup_size: 256
    .name:           _ZN7rocprim17ROCPRIM_400000_NS6detail17trampoline_kernelINS0_13select_configILj256ELj13ELNS0_17block_load_methodE3ELS4_3ELS4_3ELNS0_20block_scan_algorithmE0ELj4294967295EEENS1_25partition_config_selectorILNS1_17partition_subalgoE3EjNS0_10empty_typeEbEEZZNS1_14partition_implILS8_3ELb0ES6_jNS0_17counting_iteratorIjlEEPS9_SE_NS0_5tupleIJPjSE_EEENSF_IJSE_SE_EEES9_SG_JZNS1_25segmented_radix_sort_implINS0_14default_configELb1EPKdPdPKlPlN2at6native12_GLOBAL__N_18offset_tEEE10hipError_tPvRmT1_PNSt15iterator_traitsISY_E10value_typeET2_T3_PNSZ_IS14_E10value_typeET4_jRbjT5_S1A_jjP12ihipStream_tbEUljE_EEESV_SW_SX_S14_S18_S1A_T6_T7_T9_mT8_S1C_bDpT10_ENKUlT_T0_E_clISt17integral_constantIbLb1EES1P_EEDaS1K_S1L_EUlS1K_E_NS1_11comp_targetILNS1_3genE4ELNS1_11target_archE910ELNS1_3gpuE8ELNS1_3repE0EEENS1_30default_config_static_selectorELNS0_4arch9wavefront6targetE1EEEvSY_
    .private_segment_fixed_size: 0
    .sgpr_count:     48
    .sgpr_spill_count: 0
    .symbol:         _ZN7rocprim17ROCPRIM_400000_NS6detail17trampoline_kernelINS0_13select_configILj256ELj13ELNS0_17block_load_methodE3ELS4_3ELS4_3ELNS0_20block_scan_algorithmE0ELj4294967295EEENS1_25partition_config_selectorILNS1_17partition_subalgoE3EjNS0_10empty_typeEbEEZZNS1_14partition_implILS8_3ELb0ES6_jNS0_17counting_iteratorIjlEEPS9_SE_NS0_5tupleIJPjSE_EEENSF_IJSE_SE_EEES9_SG_JZNS1_25segmented_radix_sort_implINS0_14default_configELb1EPKdPdPKlPlN2at6native12_GLOBAL__N_18offset_tEEE10hipError_tPvRmT1_PNSt15iterator_traitsISY_E10value_typeET2_T3_PNSZ_IS14_E10value_typeET4_jRbjT5_S1A_jjP12ihipStream_tbEUljE_EEESV_SW_SX_S14_S18_S1A_T6_T7_T9_mT8_S1C_bDpT10_ENKUlT_T0_E_clISt17integral_constantIbLb1EES1P_EEDaS1K_S1L_EUlS1K_E_NS1_11comp_targetILNS1_3genE4ELNS1_11target_archE910ELNS1_3gpuE8ELNS1_3repE0EEENS1_30default_config_static_selectorELNS0_4arch9wavefront6targetE1EEEvSY_.kd
    .uniform_work_group_size: 1
    .uses_dynamic_stack: false
    .vgpr_count:     64
    .vgpr_spill_count: 0
    .wavefront_size: 64
  - .agpr_count:     0
    .args:
      - .offset:         0
        .size:           152
        .value_kind:     by_value
    .group_segment_fixed_size: 0
    .kernarg_segment_align: 8
    .kernarg_segment_size: 152
    .language:       OpenCL C
    .language_version:
      - 2
      - 0
    .max_flat_workgroup_size: 256
    .name:           _ZN7rocprim17ROCPRIM_400000_NS6detail17trampoline_kernelINS0_13select_configILj256ELj13ELNS0_17block_load_methodE3ELS4_3ELS4_3ELNS0_20block_scan_algorithmE0ELj4294967295EEENS1_25partition_config_selectorILNS1_17partition_subalgoE3EjNS0_10empty_typeEbEEZZNS1_14partition_implILS8_3ELb0ES6_jNS0_17counting_iteratorIjlEEPS9_SE_NS0_5tupleIJPjSE_EEENSF_IJSE_SE_EEES9_SG_JZNS1_25segmented_radix_sort_implINS0_14default_configELb1EPKdPdPKlPlN2at6native12_GLOBAL__N_18offset_tEEE10hipError_tPvRmT1_PNSt15iterator_traitsISY_E10value_typeET2_T3_PNSZ_IS14_E10value_typeET4_jRbjT5_S1A_jjP12ihipStream_tbEUljE_EEESV_SW_SX_S14_S18_S1A_T6_T7_T9_mT8_S1C_bDpT10_ENKUlT_T0_E_clISt17integral_constantIbLb1EES1P_EEDaS1K_S1L_EUlS1K_E_NS1_11comp_targetILNS1_3genE3ELNS1_11target_archE908ELNS1_3gpuE7ELNS1_3repE0EEENS1_30default_config_static_selectorELNS0_4arch9wavefront6targetE1EEEvSY_
    .private_segment_fixed_size: 0
    .sgpr_count:     4
    .sgpr_spill_count: 0
    .symbol:         _ZN7rocprim17ROCPRIM_400000_NS6detail17trampoline_kernelINS0_13select_configILj256ELj13ELNS0_17block_load_methodE3ELS4_3ELS4_3ELNS0_20block_scan_algorithmE0ELj4294967295EEENS1_25partition_config_selectorILNS1_17partition_subalgoE3EjNS0_10empty_typeEbEEZZNS1_14partition_implILS8_3ELb0ES6_jNS0_17counting_iteratorIjlEEPS9_SE_NS0_5tupleIJPjSE_EEENSF_IJSE_SE_EEES9_SG_JZNS1_25segmented_radix_sort_implINS0_14default_configELb1EPKdPdPKlPlN2at6native12_GLOBAL__N_18offset_tEEE10hipError_tPvRmT1_PNSt15iterator_traitsISY_E10value_typeET2_T3_PNSZ_IS14_E10value_typeET4_jRbjT5_S1A_jjP12ihipStream_tbEUljE_EEESV_SW_SX_S14_S18_S1A_T6_T7_T9_mT8_S1C_bDpT10_ENKUlT_T0_E_clISt17integral_constantIbLb1EES1P_EEDaS1K_S1L_EUlS1K_E_NS1_11comp_targetILNS1_3genE3ELNS1_11target_archE908ELNS1_3gpuE7ELNS1_3repE0EEENS1_30default_config_static_selectorELNS0_4arch9wavefront6targetE1EEEvSY_.kd
    .uniform_work_group_size: 1
    .uses_dynamic_stack: false
    .vgpr_count:     0
    .vgpr_spill_count: 0
    .wavefront_size: 64
  - .agpr_count:     0
    .args:
      - .offset:         0
        .size:           152
        .value_kind:     by_value
    .group_segment_fixed_size: 0
    .kernarg_segment_align: 8
    .kernarg_segment_size: 152
    .language:       OpenCL C
    .language_version:
      - 2
      - 0
    .max_flat_workgroup_size: 256
    .name:           _ZN7rocprim17ROCPRIM_400000_NS6detail17trampoline_kernelINS0_13select_configILj256ELj13ELNS0_17block_load_methodE3ELS4_3ELS4_3ELNS0_20block_scan_algorithmE0ELj4294967295EEENS1_25partition_config_selectorILNS1_17partition_subalgoE3EjNS0_10empty_typeEbEEZZNS1_14partition_implILS8_3ELb0ES6_jNS0_17counting_iteratorIjlEEPS9_SE_NS0_5tupleIJPjSE_EEENSF_IJSE_SE_EEES9_SG_JZNS1_25segmented_radix_sort_implINS0_14default_configELb1EPKdPdPKlPlN2at6native12_GLOBAL__N_18offset_tEEE10hipError_tPvRmT1_PNSt15iterator_traitsISY_E10value_typeET2_T3_PNSZ_IS14_E10value_typeET4_jRbjT5_S1A_jjP12ihipStream_tbEUljE_EEESV_SW_SX_S14_S18_S1A_T6_T7_T9_mT8_S1C_bDpT10_ENKUlT_T0_E_clISt17integral_constantIbLb1EES1P_EEDaS1K_S1L_EUlS1K_E_NS1_11comp_targetILNS1_3genE2ELNS1_11target_archE906ELNS1_3gpuE6ELNS1_3repE0EEENS1_30default_config_static_selectorELNS0_4arch9wavefront6targetE1EEEvSY_
    .private_segment_fixed_size: 0
    .sgpr_count:     4
    .sgpr_spill_count: 0
    .symbol:         _ZN7rocprim17ROCPRIM_400000_NS6detail17trampoline_kernelINS0_13select_configILj256ELj13ELNS0_17block_load_methodE3ELS4_3ELS4_3ELNS0_20block_scan_algorithmE0ELj4294967295EEENS1_25partition_config_selectorILNS1_17partition_subalgoE3EjNS0_10empty_typeEbEEZZNS1_14partition_implILS8_3ELb0ES6_jNS0_17counting_iteratorIjlEEPS9_SE_NS0_5tupleIJPjSE_EEENSF_IJSE_SE_EEES9_SG_JZNS1_25segmented_radix_sort_implINS0_14default_configELb1EPKdPdPKlPlN2at6native12_GLOBAL__N_18offset_tEEE10hipError_tPvRmT1_PNSt15iterator_traitsISY_E10value_typeET2_T3_PNSZ_IS14_E10value_typeET4_jRbjT5_S1A_jjP12ihipStream_tbEUljE_EEESV_SW_SX_S14_S18_S1A_T6_T7_T9_mT8_S1C_bDpT10_ENKUlT_T0_E_clISt17integral_constantIbLb1EES1P_EEDaS1K_S1L_EUlS1K_E_NS1_11comp_targetILNS1_3genE2ELNS1_11target_archE906ELNS1_3gpuE6ELNS1_3repE0EEENS1_30default_config_static_selectorELNS0_4arch9wavefront6targetE1EEEvSY_.kd
    .uniform_work_group_size: 1
    .uses_dynamic_stack: false
    .vgpr_count:     0
    .vgpr_spill_count: 0
    .wavefront_size: 64
  - .agpr_count:     0
    .args:
      - .offset:         0
        .size:           152
        .value_kind:     by_value
    .group_segment_fixed_size: 0
    .kernarg_segment_align: 8
    .kernarg_segment_size: 152
    .language:       OpenCL C
    .language_version:
      - 2
      - 0
    .max_flat_workgroup_size: 256
    .name:           _ZN7rocprim17ROCPRIM_400000_NS6detail17trampoline_kernelINS0_13select_configILj256ELj13ELNS0_17block_load_methodE3ELS4_3ELS4_3ELNS0_20block_scan_algorithmE0ELj4294967295EEENS1_25partition_config_selectorILNS1_17partition_subalgoE3EjNS0_10empty_typeEbEEZZNS1_14partition_implILS8_3ELb0ES6_jNS0_17counting_iteratorIjlEEPS9_SE_NS0_5tupleIJPjSE_EEENSF_IJSE_SE_EEES9_SG_JZNS1_25segmented_radix_sort_implINS0_14default_configELb1EPKdPdPKlPlN2at6native12_GLOBAL__N_18offset_tEEE10hipError_tPvRmT1_PNSt15iterator_traitsISY_E10value_typeET2_T3_PNSZ_IS14_E10value_typeET4_jRbjT5_S1A_jjP12ihipStream_tbEUljE_EEESV_SW_SX_S14_S18_S1A_T6_T7_T9_mT8_S1C_bDpT10_ENKUlT_T0_E_clISt17integral_constantIbLb1EES1P_EEDaS1K_S1L_EUlS1K_E_NS1_11comp_targetILNS1_3genE10ELNS1_11target_archE1200ELNS1_3gpuE4ELNS1_3repE0EEENS1_30default_config_static_selectorELNS0_4arch9wavefront6targetE1EEEvSY_
    .private_segment_fixed_size: 0
    .sgpr_count:     4
    .sgpr_spill_count: 0
    .symbol:         _ZN7rocprim17ROCPRIM_400000_NS6detail17trampoline_kernelINS0_13select_configILj256ELj13ELNS0_17block_load_methodE3ELS4_3ELS4_3ELNS0_20block_scan_algorithmE0ELj4294967295EEENS1_25partition_config_selectorILNS1_17partition_subalgoE3EjNS0_10empty_typeEbEEZZNS1_14partition_implILS8_3ELb0ES6_jNS0_17counting_iteratorIjlEEPS9_SE_NS0_5tupleIJPjSE_EEENSF_IJSE_SE_EEES9_SG_JZNS1_25segmented_radix_sort_implINS0_14default_configELb1EPKdPdPKlPlN2at6native12_GLOBAL__N_18offset_tEEE10hipError_tPvRmT1_PNSt15iterator_traitsISY_E10value_typeET2_T3_PNSZ_IS14_E10value_typeET4_jRbjT5_S1A_jjP12ihipStream_tbEUljE_EEESV_SW_SX_S14_S18_S1A_T6_T7_T9_mT8_S1C_bDpT10_ENKUlT_T0_E_clISt17integral_constantIbLb1EES1P_EEDaS1K_S1L_EUlS1K_E_NS1_11comp_targetILNS1_3genE10ELNS1_11target_archE1200ELNS1_3gpuE4ELNS1_3repE0EEENS1_30default_config_static_selectorELNS0_4arch9wavefront6targetE1EEEvSY_.kd
    .uniform_work_group_size: 1
    .uses_dynamic_stack: false
    .vgpr_count:     0
    .vgpr_spill_count: 0
    .wavefront_size: 64
  - .agpr_count:     0
    .args:
      - .offset:         0
        .size:           152
        .value_kind:     by_value
    .group_segment_fixed_size: 0
    .kernarg_segment_align: 8
    .kernarg_segment_size: 152
    .language:       OpenCL C
    .language_version:
      - 2
      - 0
    .max_flat_workgroup_size: 256
    .name:           _ZN7rocprim17ROCPRIM_400000_NS6detail17trampoline_kernelINS0_13select_configILj256ELj13ELNS0_17block_load_methodE3ELS4_3ELS4_3ELNS0_20block_scan_algorithmE0ELj4294967295EEENS1_25partition_config_selectorILNS1_17partition_subalgoE3EjNS0_10empty_typeEbEEZZNS1_14partition_implILS8_3ELb0ES6_jNS0_17counting_iteratorIjlEEPS9_SE_NS0_5tupleIJPjSE_EEENSF_IJSE_SE_EEES9_SG_JZNS1_25segmented_radix_sort_implINS0_14default_configELb1EPKdPdPKlPlN2at6native12_GLOBAL__N_18offset_tEEE10hipError_tPvRmT1_PNSt15iterator_traitsISY_E10value_typeET2_T3_PNSZ_IS14_E10value_typeET4_jRbjT5_S1A_jjP12ihipStream_tbEUljE_EEESV_SW_SX_S14_S18_S1A_T6_T7_T9_mT8_S1C_bDpT10_ENKUlT_T0_E_clISt17integral_constantIbLb1EES1P_EEDaS1K_S1L_EUlS1K_E_NS1_11comp_targetILNS1_3genE9ELNS1_11target_archE1100ELNS1_3gpuE3ELNS1_3repE0EEENS1_30default_config_static_selectorELNS0_4arch9wavefront6targetE1EEEvSY_
    .private_segment_fixed_size: 0
    .sgpr_count:     4
    .sgpr_spill_count: 0
    .symbol:         _ZN7rocprim17ROCPRIM_400000_NS6detail17trampoline_kernelINS0_13select_configILj256ELj13ELNS0_17block_load_methodE3ELS4_3ELS4_3ELNS0_20block_scan_algorithmE0ELj4294967295EEENS1_25partition_config_selectorILNS1_17partition_subalgoE3EjNS0_10empty_typeEbEEZZNS1_14partition_implILS8_3ELb0ES6_jNS0_17counting_iteratorIjlEEPS9_SE_NS0_5tupleIJPjSE_EEENSF_IJSE_SE_EEES9_SG_JZNS1_25segmented_radix_sort_implINS0_14default_configELb1EPKdPdPKlPlN2at6native12_GLOBAL__N_18offset_tEEE10hipError_tPvRmT1_PNSt15iterator_traitsISY_E10value_typeET2_T3_PNSZ_IS14_E10value_typeET4_jRbjT5_S1A_jjP12ihipStream_tbEUljE_EEESV_SW_SX_S14_S18_S1A_T6_T7_T9_mT8_S1C_bDpT10_ENKUlT_T0_E_clISt17integral_constantIbLb1EES1P_EEDaS1K_S1L_EUlS1K_E_NS1_11comp_targetILNS1_3genE9ELNS1_11target_archE1100ELNS1_3gpuE3ELNS1_3repE0EEENS1_30default_config_static_selectorELNS0_4arch9wavefront6targetE1EEEvSY_.kd
    .uniform_work_group_size: 1
    .uses_dynamic_stack: false
    .vgpr_count:     0
    .vgpr_spill_count: 0
    .wavefront_size: 64
  - .agpr_count:     0
    .args:
      - .offset:         0
        .size:           152
        .value_kind:     by_value
    .group_segment_fixed_size: 0
    .kernarg_segment_align: 8
    .kernarg_segment_size: 152
    .language:       OpenCL C
    .language_version:
      - 2
      - 0
    .max_flat_workgroup_size: 256
    .name:           _ZN7rocprim17ROCPRIM_400000_NS6detail17trampoline_kernelINS0_13select_configILj256ELj13ELNS0_17block_load_methodE3ELS4_3ELS4_3ELNS0_20block_scan_algorithmE0ELj4294967295EEENS1_25partition_config_selectorILNS1_17partition_subalgoE3EjNS0_10empty_typeEbEEZZNS1_14partition_implILS8_3ELb0ES6_jNS0_17counting_iteratorIjlEEPS9_SE_NS0_5tupleIJPjSE_EEENSF_IJSE_SE_EEES9_SG_JZNS1_25segmented_radix_sort_implINS0_14default_configELb1EPKdPdPKlPlN2at6native12_GLOBAL__N_18offset_tEEE10hipError_tPvRmT1_PNSt15iterator_traitsISY_E10value_typeET2_T3_PNSZ_IS14_E10value_typeET4_jRbjT5_S1A_jjP12ihipStream_tbEUljE_EEESV_SW_SX_S14_S18_S1A_T6_T7_T9_mT8_S1C_bDpT10_ENKUlT_T0_E_clISt17integral_constantIbLb1EES1P_EEDaS1K_S1L_EUlS1K_E_NS1_11comp_targetILNS1_3genE8ELNS1_11target_archE1030ELNS1_3gpuE2ELNS1_3repE0EEENS1_30default_config_static_selectorELNS0_4arch9wavefront6targetE1EEEvSY_
    .private_segment_fixed_size: 0
    .sgpr_count:     4
    .sgpr_spill_count: 0
    .symbol:         _ZN7rocprim17ROCPRIM_400000_NS6detail17trampoline_kernelINS0_13select_configILj256ELj13ELNS0_17block_load_methodE3ELS4_3ELS4_3ELNS0_20block_scan_algorithmE0ELj4294967295EEENS1_25partition_config_selectorILNS1_17partition_subalgoE3EjNS0_10empty_typeEbEEZZNS1_14partition_implILS8_3ELb0ES6_jNS0_17counting_iteratorIjlEEPS9_SE_NS0_5tupleIJPjSE_EEENSF_IJSE_SE_EEES9_SG_JZNS1_25segmented_radix_sort_implINS0_14default_configELb1EPKdPdPKlPlN2at6native12_GLOBAL__N_18offset_tEEE10hipError_tPvRmT1_PNSt15iterator_traitsISY_E10value_typeET2_T3_PNSZ_IS14_E10value_typeET4_jRbjT5_S1A_jjP12ihipStream_tbEUljE_EEESV_SW_SX_S14_S18_S1A_T6_T7_T9_mT8_S1C_bDpT10_ENKUlT_T0_E_clISt17integral_constantIbLb1EES1P_EEDaS1K_S1L_EUlS1K_E_NS1_11comp_targetILNS1_3genE8ELNS1_11target_archE1030ELNS1_3gpuE2ELNS1_3repE0EEENS1_30default_config_static_selectorELNS0_4arch9wavefront6targetE1EEEvSY_.kd
    .uniform_work_group_size: 1
    .uses_dynamic_stack: false
    .vgpr_count:     0
    .vgpr_spill_count: 0
    .wavefront_size: 64
  - .agpr_count:     0
    .args:
      - .offset:         0
        .size:           144
        .value_kind:     by_value
    .group_segment_fixed_size: 0
    .kernarg_segment_align: 8
    .kernarg_segment_size: 144
    .language:       OpenCL C
    .language_version:
      - 2
      - 0
    .max_flat_workgroup_size: 256
    .name:           _ZN7rocprim17ROCPRIM_400000_NS6detail17trampoline_kernelINS0_13select_configILj256ELj13ELNS0_17block_load_methodE3ELS4_3ELS4_3ELNS0_20block_scan_algorithmE0ELj4294967295EEENS1_25partition_config_selectorILNS1_17partition_subalgoE3EjNS0_10empty_typeEbEEZZNS1_14partition_implILS8_3ELb0ES6_jNS0_17counting_iteratorIjlEEPS9_SE_NS0_5tupleIJPjSE_EEENSF_IJSE_SE_EEES9_SG_JZNS1_25segmented_radix_sort_implINS0_14default_configELb1EPKdPdPKlPlN2at6native12_GLOBAL__N_18offset_tEEE10hipError_tPvRmT1_PNSt15iterator_traitsISY_E10value_typeET2_T3_PNSZ_IS14_E10value_typeET4_jRbjT5_S1A_jjP12ihipStream_tbEUljE_EEESV_SW_SX_S14_S18_S1A_T6_T7_T9_mT8_S1C_bDpT10_ENKUlT_T0_E_clISt17integral_constantIbLb1EES1O_IbLb0EEEEDaS1K_S1L_EUlS1K_E_NS1_11comp_targetILNS1_3genE0ELNS1_11target_archE4294967295ELNS1_3gpuE0ELNS1_3repE0EEENS1_30default_config_static_selectorELNS0_4arch9wavefront6targetE1EEEvSY_
    .private_segment_fixed_size: 0
    .sgpr_count:     4
    .sgpr_spill_count: 0
    .symbol:         _ZN7rocprim17ROCPRIM_400000_NS6detail17trampoline_kernelINS0_13select_configILj256ELj13ELNS0_17block_load_methodE3ELS4_3ELS4_3ELNS0_20block_scan_algorithmE0ELj4294967295EEENS1_25partition_config_selectorILNS1_17partition_subalgoE3EjNS0_10empty_typeEbEEZZNS1_14partition_implILS8_3ELb0ES6_jNS0_17counting_iteratorIjlEEPS9_SE_NS0_5tupleIJPjSE_EEENSF_IJSE_SE_EEES9_SG_JZNS1_25segmented_radix_sort_implINS0_14default_configELb1EPKdPdPKlPlN2at6native12_GLOBAL__N_18offset_tEEE10hipError_tPvRmT1_PNSt15iterator_traitsISY_E10value_typeET2_T3_PNSZ_IS14_E10value_typeET4_jRbjT5_S1A_jjP12ihipStream_tbEUljE_EEESV_SW_SX_S14_S18_S1A_T6_T7_T9_mT8_S1C_bDpT10_ENKUlT_T0_E_clISt17integral_constantIbLb1EES1O_IbLb0EEEEDaS1K_S1L_EUlS1K_E_NS1_11comp_targetILNS1_3genE0ELNS1_11target_archE4294967295ELNS1_3gpuE0ELNS1_3repE0EEENS1_30default_config_static_selectorELNS0_4arch9wavefront6targetE1EEEvSY_.kd
    .uniform_work_group_size: 1
    .uses_dynamic_stack: false
    .vgpr_count:     0
    .vgpr_spill_count: 0
    .wavefront_size: 64
  - .agpr_count:     0
    .args:
      - .offset:         0
        .size:           144
        .value_kind:     by_value
    .group_segment_fixed_size: 0
    .kernarg_segment_align: 8
    .kernarg_segment_size: 144
    .language:       OpenCL C
    .language_version:
      - 2
      - 0
    .max_flat_workgroup_size: 256
    .name:           _ZN7rocprim17ROCPRIM_400000_NS6detail17trampoline_kernelINS0_13select_configILj256ELj13ELNS0_17block_load_methodE3ELS4_3ELS4_3ELNS0_20block_scan_algorithmE0ELj4294967295EEENS1_25partition_config_selectorILNS1_17partition_subalgoE3EjNS0_10empty_typeEbEEZZNS1_14partition_implILS8_3ELb0ES6_jNS0_17counting_iteratorIjlEEPS9_SE_NS0_5tupleIJPjSE_EEENSF_IJSE_SE_EEES9_SG_JZNS1_25segmented_radix_sort_implINS0_14default_configELb1EPKdPdPKlPlN2at6native12_GLOBAL__N_18offset_tEEE10hipError_tPvRmT1_PNSt15iterator_traitsISY_E10value_typeET2_T3_PNSZ_IS14_E10value_typeET4_jRbjT5_S1A_jjP12ihipStream_tbEUljE_EEESV_SW_SX_S14_S18_S1A_T6_T7_T9_mT8_S1C_bDpT10_ENKUlT_T0_E_clISt17integral_constantIbLb1EES1O_IbLb0EEEEDaS1K_S1L_EUlS1K_E_NS1_11comp_targetILNS1_3genE5ELNS1_11target_archE942ELNS1_3gpuE9ELNS1_3repE0EEENS1_30default_config_static_selectorELNS0_4arch9wavefront6targetE1EEEvSY_
    .private_segment_fixed_size: 0
    .sgpr_count:     4
    .sgpr_spill_count: 0
    .symbol:         _ZN7rocprim17ROCPRIM_400000_NS6detail17trampoline_kernelINS0_13select_configILj256ELj13ELNS0_17block_load_methodE3ELS4_3ELS4_3ELNS0_20block_scan_algorithmE0ELj4294967295EEENS1_25partition_config_selectorILNS1_17partition_subalgoE3EjNS0_10empty_typeEbEEZZNS1_14partition_implILS8_3ELb0ES6_jNS0_17counting_iteratorIjlEEPS9_SE_NS0_5tupleIJPjSE_EEENSF_IJSE_SE_EEES9_SG_JZNS1_25segmented_radix_sort_implINS0_14default_configELb1EPKdPdPKlPlN2at6native12_GLOBAL__N_18offset_tEEE10hipError_tPvRmT1_PNSt15iterator_traitsISY_E10value_typeET2_T3_PNSZ_IS14_E10value_typeET4_jRbjT5_S1A_jjP12ihipStream_tbEUljE_EEESV_SW_SX_S14_S18_S1A_T6_T7_T9_mT8_S1C_bDpT10_ENKUlT_T0_E_clISt17integral_constantIbLb1EES1O_IbLb0EEEEDaS1K_S1L_EUlS1K_E_NS1_11comp_targetILNS1_3genE5ELNS1_11target_archE942ELNS1_3gpuE9ELNS1_3repE0EEENS1_30default_config_static_selectorELNS0_4arch9wavefront6targetE1EEEvSY_.kd
    .uniform_work_group_size: 1
    .uses_dynamic_stack: false
    .vgpr_count:     0
    .vgpr_spill_count: 0
    .wavefront_size: 64
  - .agpr_count:     0
    .args:
      - .offset:         0
        .size:           144
        .value_kind:     by_value
    .group_segment_fixed_size: 13324
    .kernarg_segment_align: 8
    .kernarg_segment_size: 144
    .language:       OpenCL C
    .language_version:
      - 2
      - 0
    .max_flat_workgroup_size: 256
    .name:           _ZN7rocprim17ROCPRIM_400000_NS6detail17trampoline_kernelINS0_13select_configILj256ELj13ELNS0_17block_load_methodE3ELS4_3ELS4_3ELNS0_20block_scan_algorithmE0ELj4294967295EEENS1_25partition_config_selectorILNS1_17partition_subalgoE3EjNS0_10empty_typeEbEEZZNS1_14partition_implILS8_3ELb0ES6_jNS0_17counting_iteratorIjlEEPS9_SE_NS0_5tupleIJPjSE_EEENSF_IJSE_SE_EEES9_SG_JZNS1_25segmented_radix_sort_implINS0_14default_configELb1EPKdPdPKlPlN2at6native12_GLOBAL__N_18offset_tEEE10hipError_tPvRmT1_PNSt15iterator_traitsISY_E10value_typeET2_T3_PNSZ_IS14_E10value_typeET4_jRbjT5_S1A_jjP12ihipStream_tbEUljE_EEESV_SW_SX_S14_S18_S1A_T6_T7_T9_mT8_S1C_bDpT10_ENKUlT_T0_E_clISt17integral_constantIbLb1EES1O_IbLb0EEEEDaS1K_S1L_EUlS1K_E_NS1_11comp_targetILNS1_3genE4ELNS1_11target_archE910ELNS1_3gpuE8ELNS1_3repE0EEENS1_30default_config_static_selectorELNS0_4arch9wavefront6targetE1EEEvSY_
    .private_segment_fixed_size: 0
    .sgpr_count:     50
    .sgpr_spill_count: 0
    .symbol:         _ZN7rocprim17ROCPRIM_400000_NS6detail17trampoline_kernelINS0_13select_configILj256ELj13ELNS0_17block_load_methodE3ELS4_3ELS4_3ELNS0_20block_scan_algorithmE0ELj4294967295EEENS1_25partition_config_selectorILNS1_17partition_subalgoE3EjNS0_10empty_typeEbEEZZNS1_14partition_implILS8_3ELb0ES6_jNS0_17counting_iteratorIjlEEPS9_SE_NS0_5tupleIJPjSE_EEENSF_IJSE_SE_EEES9_SG_JZNS1_25segmented_radix_sort_implINS0_14default_configELb1EPKdPdPKlPlN2at6native12_GLOBAL__N_18offset_tEEE10hipError_tPvRmT1_PNSt15iterator_traitsISY_E10value_typeET2_T3_PNSZ_IS14_E10value_typeET4_jRbjT5_S1A_jjP12ihipStream_tbEUljE_EEESV_SW_SX_S14_S18_S1A_T6_T7_T9_mT8_S1C_bDpT10_ENKUlT_T0_E_clISt17integral_constantIbLb1EES1O_IbLb0EEEEDaS1K_S1L_EUlS1K_E_NS1_11comp_targetILNS1_3genE4ELNS1_11target_archE910ELNS1_3gpuE8ELNS1_3repE0EEENS1_30default_config_static_selectorELNS0_4arch9wavefront6targetE1EEEvSY_.kd
    .uniform_work_group_size: 1
    .uses_dynamic_stack: false
    .vgpr_count:     61
    .vgpr_spill_count: 0
    .wavefront_size: 64
  - .agpr_count:     0
    .args:
      - .offset:         0
        .size:           144
        .value_kind:     by_value
    .group_segment_fixed_size: 0
    .kernarg_segment_align: 8
    .kernarg_segment_size: 144
    .language:       OpenCL C
    .language_version:
      - 2
      - 0
    .max_flat_workgroup_size: 256
    .name:           _ZN7rocprim17ROCPRIM_400000_NS6detail17trampoline_kernelINS0_13select_configILj256ELj13ELNS0_17block_load_methodE3ELS4_3ELS4_3ELNS0_20block_scan_algorithmE0ELj4294967295EEENS1_25partition_config_selectorILNS1_17partition_subalgoE3EjNS0_10empty_typeEbEEZZNS1_14partition_implILS8_3ELb0ES6_jNS0_17counting_iteratorIjlEEPS9_SE_NS0_5tupleIJPjSE_EEENSF_IJSE_SE_EEES9_SG_JZNS1_25segmented_radix_sort_implINS0_14default_configELb1EPKdPdPKlPlN2at6native12_GLOBAL__N_18offset_tEEE10hipError_tPvRmT1_PNSt15iterator_traitsISY_E10value_typeET2_T3_PNSZ_IS14_E10value_typeET4_jRbjT5_S1A_jjP12ihipStream_tbEUljE_EEESV_SW_SX_S14_S18_S1A_T6_T7_T9_mT8_S1C_bDpT10_ENKUlT_T0_E_clISt17integral_constantIbLb1EES1O_IbLb0EEEEDaS1K_S1L_EUlS1K_E_NS1_11comp_targetILNS1_3genE3ELNS1_11target_archE908ELNS1_3gpuE7ELNS1_3repE0EEENS1_30default_config_static_selectorELNS0_4arch9wavefront6targetE1EEEvSY_
    .private_segment_fixed_size: 0
    .sgpr_count:     4
    .sgpr_spill_count: 0
    .symbol:         _ZN7rocprim17ROCPRIM_400000_NS6detail17trampoline_kernelINS0_13select_configILj256ELj13ELNS0_17block_load_methodE3ELS4_3ELS4_3ELNS0_20block_scan_algorithmE0ELj4294967295EEENS1_25partition_config_selectorILNS1_17partition_subalgoE3EjNS0_10empty_typeEbEEZZNS1_14partition_implILS8_3ELb0ES6_jNS0_17counting_iteratorIjlEEPS9_SE_NS0_5tupleIJPjSE_EEENSF_IJSE_SE_EEES9_SG_JZNS1_25segmented_radix_sort_implINS0_14default_configELb1EPKdPdPKlPlN2at6native12_GLOBAL__N_18offset_tEEE10hipError_tPvRmT1_PNSt15iterator_traitsISY_E10value_typeET2_T3_PNSZ_IS14_E10value_typeET4_jRbjT5_S1A_jjP12ihipStream_tbEUljE_EEESV_SW_SX_S14_S18_S1A_T6_T7_T9_mT8_S1C_bDpT10_ENKUlT_T0_E_clISt17integral_constantIbLb1EES1O_IbLb0EEEEDaS1K_S1L_EUlS1K_E_NS1_11comp_targetILNS1_3genE3ELNS1_11target_archE908ELNS1_3gpuE7ELNS1_3repE0EEENS1_30default_config_static_selectorELNS0_4arch9wavefront6targetE1EEEvSY_.kd
    .uniform_work_group_size: 1
    .uses_dynamic_stack: false
    .vgpr_count:     0
    .vgpr_spill_count: 0
    .wavefront_size: 64
  - .agpr_count:     0
    .args:
      - .offset:         0
        .size:           144
        .value_kind:     by_value
    .group_segment_fixed_size: 0
    .kernarg_segment_align: 8
    .kernarg_segment_size: 144
    .language:       OpenCL C
    .language_version:
      - 2
      - 0
    .max_flat_workgroup_size: 256
    .name:           _ZN7rocprim17ROCPRIM_400000_NS6detail17trampoline_kernelINS0_13select_configILj256ELj13ELNS0_17block_load_methodE3ELS4_3ELS4_3ELNS0_20block_scan_algorithmE0ELj4294967295EEENS1_25partition_config_selectorILNS1_17partition_subalgoE3EjNS0_10empty_typeEbEEZZNS1_14partition_implILS8_3ELb0ES6_jNS0_17counting_iteratorIjlEEPS9_SE_NS0_5tupleIJPjSE_EEENSF_IJSE_SE_EEES9_SG_JZNS1_25segmented_radix_sort_implINS0_14default_configELb1EPKdPdPKlPlN2at6native12_GLOBAL__N_18offset_tEEE10hipError_tPvRmT1_PNSt15iterator_traitsISY_E10value_typeET2_T3_PNSZ_IS14_E10value_typeET4_jRbjT5_S1A_jjP12ihipStream_tbEUljE_EEESV_SW_SX_S14_S18_S1A_T6_T7_T9_mT8_S1C_bDpT10_ENKUlT_T0_E_clISt17integral_constantIbLb1EES1O_IbLb0EEEEDaS1K_S1L_EUlS1K_E_NS1_11comp_targetILNS1_3genE2ELNS1_11target_archE906ELNS1_3gpuE6ELNS1_3repE0EEENS1_30default_config_static_selectorELNS0_4arch9wavefront6targetE1EEEvSY_
    .private_segment_fixed_size: 0
    .sgpr_count:     4
    .sgpr_spill_count: 0
    .symbol:         _ZN7rocprim17ROCPRIM_400000_NS6detail17trampoline_kernelINS0_13select_configILj256ELj13ELNS0_17block_load_methodE3ELS4_3ELS4_3ELNS0_20block_scan_algorithmE0ELj4294967295EEENS1_25partition_config_selectorILNS1_17partition_subalgoE3EjNS0_10empty_typeEbEEZZNS1_14partition_implILS8_3ELb0ES6_jNS0_17counting_iteratorIjlEEPS9_SE_NS0_5tupleIJPjSE_EEENSF_IJSE_SE_EEES9_SG_JZNS1_25segmented_radix_sort_implINS0_14default_configELb1EPKdPdPKlPlN2at6native12_GLOBAL__N_18offset_tEEE10hipError_tPvRmT1_PNSt15iterator_traitsISY_E10value_typeET2_T3_PNSZ_IS14_E10value_typeET4_jRbjT5_S1A_jjP12ihipStream_tbEUljE_EEESV_SW_SX_S14_S18_S1A_T6_T7_T9_mT8_S1C_bDpT10_ENKUlT_T0_E_clISt17integral_constantIbLb1EES1O_IbLb0EEEEDaS1K_S1L_EUlS1K_E_NS1_11comp_targetILNS1_3genE2ELNS1_11target_archE906ELNS1_3gpuE6ELNS1_3repE0EEENS1_30default_config_static_selectorELNS0_4arch9wavefront6targetE1EEEvSY_.kd
    .uniform_work_group_size: 1
    .uses_dynamic_stack: false
    .vgpr_count:     0
    .vgpr_spill_count: 0
    .wavefront_size: 64
  - .agpr_count:     0
    .args:
      - .offset:         0
        .size:           144
        .value_kind:     by_value
    .group_segment_fixed_size: 0
    .kernarg_segment_align: 8
    .kernarg_segment_size: 144
    .language:       OpenCL C
    .language_version:
      - 2
      - 0
    .max_flat_workgroup_size: 256
    .name:           _ZN7rocprim17ROCPRIM_400000_NS6detail17trampoline_kernelINS0_13select_configILj256ELj13ELNS0_17block_load_methodE3ELS4_3ELS4_3ELNS0_20block_scan_algorithmE0ELj4294967295EEENS1_25partition_config_selectorILNS1_17partition_subalgoE3EjNS0_10empty_typeEbEEZZNS1_14partition_implILS8_3ELb0ES6_jNS0_17counting_iteratorIjlEEPS9_SE_NS0_5tupleIJPjSE_EEENSF_IJSE_SE_EEES9_SG_JZNS1_25segmented_radix_sort_implINS0_14default_configELb1EPKdPdPKlPlN2at6native12_GLOBAL__N_18offset_tEEE10hipError_tPvRmT1_PNSt15iterator_traitsISY_E10value_typeET2_T3_PNSZ_IS14_E10value_typeET4_jRbjT5_S1A_jjP12ihipStream_tbEUljE_EEESV_SW_SX_S14_S18_S1A_T6_T7_T9_mT8_S1C_bDpT10_ENKUlT_T0_E_clISt17integral_constantIbLb1EES1O_IbLb0EEEEDaS1K_S1L_EUlS1K_E_NS1_11comp_targetILNS1_3genE10ELNS1_11target_archE1200ELNS1_3gpuE4ELNS1_3repE0EEENS1_30default_config_static_selectorELNS0_4arch9wavefront6targetE1EEEvSY_
    .private_segment_fixed_size: 0
    .sgpr_count:     4
    .sgpr_spill_count: 0
    .symbol:         _ZN7rocprim17ROCPRIM_400000_NS6detail17trampoline_kernelINS0_13select_configILj256ELj13ELNS0_17block_load_methodE3ELS4_3ELS4_3ELNS0_20block_scan_algorithmE0ELj4294967295EEENS1_25partition_config_selectorILNS1_17partition_subalgoE3EjNS0_10empty_typeEbEEZZNS1_14partition_implILS8_3ELb0ES6_jNS0_17counting_iteratorIjlEEPS9_SE_NS0_5tupleIJPjSE_EEENSF_IJSE_SE_EEES9_SG_JZNS1_25segmented_radix_sort_implINS0_14default_configELb1EPKdPdPKlPlN2at6native12_GLOBAL__N_18offset_tEEE10hipError_tPvRmT1_PNSt15iterator_traitsISY_E10value_typeET2_T3_PNSZ_IS14_E10value_typeET4_jRbjT5_S1A_jjP12ihipStream_tbEUljE_EEESV_SW_SX_S14_S18_S1A_T6_T7_T9_mT8_S1C_bDpT10_ENKUlT_T0_E_clISt17integral_constantIbLb1EES1O_IbLb0EEEEDaS1K_S1L_EUlS1K_E_NS1_11comp_targetILNS1_3genE10ELNS1_11target_archE1200ELNS1_3gpuE4ELNS1_3repE0EEENS1_30default_config_static_selectorELNS0_4arch9wavefront6targetE1EEEvSY_.kd
    .uniform_work_group_size: 1
    .uses_dynamic_stack: false
    .vgpr_count:     0
    .vgpr_spill_count: 0
    .wavefront_size: 64
  - .agpr_count:     0
    .args:
      - .offset:         0
        .size:           144
        .value_kind:     by_value
    .group_segment_fixed_size: 0
    .kernarg_segment_align: 8
    .kernarg_segment_size: 144
    .language:       OpenCL C
    .language_version:
      - 2
      - 0
    .max_flat_workgroup_size: 256
    .name:           _ZN7rocprim17ROCPRIM_400000_NS6detail17trampoline_kernelINS0_13select_configILj256ELj13ELNS0_17block_load_methodE3ELS4_3ELS4_3ELNS0_20block_scan_algorithmE0ELj4294967295EEENS1_25partition_config_selectorILNS1_17partition_subalgoE3EjNS0_10empty_typeEbEEZZNS1_14partition_implILS8_3ELb0ES6_jNS0_17counting_iteratorIjlEEPS9_SE_NS0_5tupleIJPjSE_EEENSF_IJSE_SE_EEES9_SG_JZNS1_25segmented_radix_sort_implINS0_14default_configELb1EPKdPdPKlPlN2at6native12_GLOBAL__N_18offset_tEEE10hipError_tPvRmT1_PNSt15iterator_traitsISY_E10value_typeET2_T3_PNSZ_IS14_E10value_typeET4_jRbjT5_S1A_jjP12ihipStream_tbEUljE_EEESV_SW_SX_S14_S18_S1A_T6_T7_T9_mT8_S1C_bDpT10_ENKUlT_T0_E_clISt17integral_constantIbLb1EES1O_IbLb0EEEEDaS1K_S1L_EUlS1K_E_NS1_11comp_targetILNS1_3genE9ELNS1_11target_archE1100ELNS1_3gpuE3ELNS1_3repE0EEENS1_30default_config_static_selectorELNS0_4arch9wavefront6targetE1EEEvSY_
    .private_segment_fixed_size: 0
    .sgpr_count:     4
    .sgpr_spill_count: 0
    .symbol:         _ZN7rocprim17ROCPRIM_400000_NS6detail17trampoline_kernelINS0_13select_configILj256ELj13ELNS0_17block_load_methodE3ELS4_3ELS4_3ELNS0_20block_scan_algorithmE0ELj4294967295EEENS1_25partition_config_selectorILNS1_17partition_subalgoE3EjNS0_10empty_typeEbEEZZNS1_14partition_implILS8_3ELb0ES6_jNS0_17counting_iteratorIjlEEPS9_SE_NS0_5tupleIJPjSE_EEENSF_IJSE_SE_EEES9_SG_JZNS1_25segmented_radix_sort_implINS0_14default_configELb1EPKdPdPKlPlN2at6native12_GLOBAL__N_18offset_tEEE10hipError_tPvRmT1_PNSt15iterator_traitsISY_E10value_typeET2_T3_PNSZ_IS14_E10value_typeET4_jRbjT5_S1A_jjP12ihipStream_tbEUljE_EEESV_SW_SX_S14_S18_S1A_T6_T7_T9_mT8_S1C_bDpT10_ENKUlT_T0_E_clISt17integral_constantIbLb1EES1O_IbLb0EEEEDaS1K_S1L_EUlS1K_E_NS1_11comp_targetILNS1_3genE9ELNS1_11target_archE1100ELNS1_3gpuE3ELNS1_3repE0EEENS1_30default_config_static_selectorELNS0_4arch9wavefront6targetE1EEEvSY_.kd
    .uniform_work_group_size: 1
    .uses_dynamic_stack: false
    .vgpr_count:     0
    .vgpr_spill_count: 0
    .wavefront_size: 64
  - .agpr_count:     0
    .args:
      - .offset:         0
        .size:           144
        .value_kind:     by_value
    .group_segment_fixed_size: 0
    .kernarg_segment_align: 8
    .kernarg_segment_size: 144
    .language:       OpenCL C
    .language_version:
      - 2
      - 0
    .max_flat_workgroup_size: 256
    .name:           _ZN7rocprim17ROCPRIM_400000_NS6detail17trampoline_kernelINS0_13select_configILj256ELj13ELNS0_17block_load_methodE3ELS4_3ELS4_3ELNS0_20block_scan_algorithmE0ELj4294967295EEENS1_25partition_config_selectorILNS1_17partition_subalgoE3EjNS0_10empty_typeEbEEZZNS1_14partition_implILS8_3ELb0ES6_jNS0_17counting_iteratorIjlEEPS9_SE_NS0_5tupleIJPjSE_EEENSF_IJSE_SE_EEES9_SG_JZNS1_25segmented_radix_sort_implINS0_14default_configELb1EPKdPdPKlPlN2at6native12_GLOBAL__N_18offset_tEEE10hipError_tPvRmT1_PNSt15iterator_traitsISY_E10value_typeET2_T3_PNSZ_IS14_E10value_typeET4_jRbjT5_S1A_jjP12ihipStream_tbEUljE_EEESV_SW_SX_S14_S18_S1A_T6_T7_T9_mT8_S1C_bDpT10_ENKUlT_T0_E_clISt17integral_constantIbLb1EES1O_IbLb0EEEEDaS1K_S1L_EUlS1K_E_NS1_11comp_targetILNS1_3genE8ELNS1_11target_archE1030ELNS1_3gpuE2ELNS1_3repE0EEENS1_30default_config_static_selectorELNS0_4arch9wavefront6targetE1EEEvSY_
    .private_segment_fixed_size: 0
    .sgpr_count:     4
    .sgpr_spill_count: 0
    .symbol:         _ZN7rocprim17ROCPRIM_400000_NS6detail17trampoline_kernelINS0_13select_configILj256ELj13ELNS0_17block_load_methodE3ELS4_3ELS4_3ELNS0_20block_scan_algorithmE0ELj4294967295EEENS1_25partition_config_selectorILNS1_17partition_subalgoE3EjNS0_10empty_typeEbEEZZNS1_14partition_implILS8_3ELb0ES6_jNS0_17counting_iteratorIjlEEPS9_SE_NS0_5tupleIJPjSE_EEENSF_IJSE_SE_EEES9_SG_JZNS1_25segmented_radix_sort_implINS0_14default_configELb1EPKdPdPKlPlN2at6native12_GLOBAL__N_18offset_tEEE10hipError_tPvRmT1_PNSt15iterator_traitsISY_E10value_typeET2_T3_PNSZ_IS14_E10value_typeET4_jRbjT5_S1A_jjP12ihipStream_tbEUljE_EEESV_SW_SX_S14_S18_S1A_T6_T7_T9_mT8_S1C_bDpT10_ENKUlT_T0_E_clISt17integral_constantIbLb1EES1O_IbLb0EEEEDaS1K_S1L_EUlS1K_E_NS1_11comp_targetILNS1_3genE8ELNS1_11target_archE1030ELNS1_3gpuE2ELNS1_3repE0EEENS1_30default_config_static_selectorELNS0_4arch9wavefront6targetE1EEEvSY_.kd
    .uniform_work_group_size: 1
    .uses_dynamic_stack: false
    .vgpr_count:     0
    .vgpr_spill_count: 0
    .wavefront_size: 64
  - .agpr_count:     0
    .args:
      - .offset:         0
        .size:           152
        .value_kind:     by_value
    .group_segment_fixed_size: 0
    .kernarg_segment_align: 8
    .kernarg_segment_size: 152
    .language:       OpenCL C
    .language_version:
      - 2
      - 0
    .max_flat_workgroup_size: 256
    .name:           _ZN7rocprim17ROCPRIM_400000_NS6detail17trampoline_kernelINS0_13select_configILj256ELj13ELNS0_17block_load_methodE3ELS4_3ELS4_3ELNS0_20block_scan_algorithmE0ELj4294967295EEENS1_25partition_config_selectorILNS1_17partition_subalgoE3EjNS0_10empty_typeEbEEZZNS1_14partition_implILS8_3ELb0ES6_jNS0_17counting_iteratorIjlEEPS9_SE_NS0_5tupleIJPjSE_EEENSF_IJSE_SE_EEES9_SG_JZNS1_25segmented_radix_sort_implINS0_14default_configELb1EPKdPdPKlPlN2at6native12_GLOBAL__N_18offset_tEEE10hipError_tPvRmT1_PNSt15iterator_traitsISY_E10value_typeET2_T3_PNSZ_IS14_E10value_typeET4_jRbjT5_S1A_jjP12ihipStream_tbEUljE_EEESV_SW_SX_S14_S18_S1A_T6_T7_T9_mT8_S1C_bDpT10_ENKUlT_T0_E_clISt17integral_constantIbLb0EES1O_IbLb1EEEEDaS1K_S1L_EUlS1K_E_NS1_11comp_targetILNS1_3genE0ELNS1_11target_archE4294967295ELNS1_3gpuE0ELNS1_3repE0EEENS1_30default_config_static_selectorELNS0_4arch9wavefront6targetE1EEEvSY_
    .private_segment_fixed_size: 0
    .sgpr_count:     4
    .sgpr_spill_count: 0
    .symbol:         _ZN7rocprim17ROCPRIM_400000_NS6detail17trampoline_kernelINS0_13select_configILj256ELj13ELNS0_17block_load_methodE3ELS4_3ELS4_3ELNS0_20block_scan_algorithmE0ELj4294967295EEENS1_25partition_config_selectorILNS1_17partition_subalgoE3EjNS0_10empty_typeEbEEZZNS1_14partition_implILS8_3ELb0ES6_jNS0_17counting_iteratorIjlEEPS9_SE_NS0_5tupleIJPjSE_EEENSF_IJSE_SE_EEES9_SG_JZNS1_25segmented_radix_sort_implINS0_14default_configELb1EPKdPdPKlPlN2at6native12_GLOBAL__N_18offset_tEEE10hipError_tPvRmT1_PNSt15iterator_traitsISY_E10value_typeET2_T3_PNSZ_IS14_E10value_typeET4_jRbjT5_S1A_jjP12ihipStream_tbEUljE_EEESV_SW_SX_S14_S18_S1A_T6_T7_T9_mT8_S1C_bDpT10_ENKUlT_T0_E_clISt17integral_constantIbLb0EES1O_IbLb1EEEEDaS1K_S1L_EUlS1K_E_NS1_11comp_targetILNS1_3genE0ELNS1_11target_archE4294967295ELNS1_3gpuE0ELNS1_3repE0EEENS1_30default_config_static_selectorELNS0_4arch9wavefront6targetE1EEEvSY_.kd
    .uniform_work_group_size: 1
    .uses_dynamic_stack: false
    .vgpr_count:     0
    .vgpr_spill_count: 0
    .wavefront_size: 64
  - .agpr_count:     0
    .args:
      - .offset:         0
        .size:           152
        .value_kind:     by_value
    .group_segment_fixed_size: 0
    .kernarg_segment_align: 8
    .kernarg_segment_size: 152
    .language:       OpenCL C
    .language_version:
      - 2
      - 0
    .max_flat_workgroup_size: 256
    .name:           _ZN7rocprim17ROCPRIM_400000_NS6detail17trampoline_kernelINS0_13select_configILj256ELj13ELNS0_17block_load_methodE3ELS4_3ELS4_3ELNS0_20block_scan_algorithmE0ELj4294967295EEENS1_25partition_config_selectorILNS1_17partition_subalgoE3EjNS0_10empty_typeEbEEZZNS1_14partition_implILS8_3ELb0ES6_jNS0_17counting_iteratorIjlEEPS9_SE_NS0_5tupleIJPjSE_EEENSF_IJSE_SE_EEES9_SG_JZNS1_25segmented_radix_sort_implINS0_14default_configELb1EPKdPdPKlPlN2at6native12_GLOBAL__N_18offset_tEEE10hipError_tPvRmT1_PNSt15iterator_traitsISY_E10value_typeET2_T3_PNSZ_IS14_E10value_typeET4_jRbjT5_S1A_jjP12ihipStream_tbEUljE_EEESV_SW_SX_S14_S18_S1A_T6_T7_T9_mT8_S1C_bDpT10_ENKUlT_T0_E_clISt17integral_constantIbLb0EES1O_IbLb1EEEEDaS1K_S1L_EUlS1K_E_NS1_11comp_targetILNS1_3genE5ELNS1_11target_archE942ELNS1_3gpuE9ELNS1_3repE0EEENS1_30default_config_static_selectorELNS0_4arch9wavefront6targetE1EEEvSY_
    .private_segment_fixed_size: 0
    .sgpr_count:     4
    .sgpr_spill_count: 0
    .symbol:         _ZN7rocprim17ROCPRIM_400000_NS6detail17trampoline_kernelINS0_13select_configILj256ELj13ELNS0_17block_load_methodE3ELS4_3ELS4_3ELNS0_20block_scan_algorithmE0ELj4294967295EEENS1_25partition_config_selectorILNS1_17partition_subalgoE3EjNS0_10empty_typeEbEEZZNS1_14partition_implILS8_3ELb0ES6_jNS0_17counting_iteratorIjlEEPS9_SE_NS0_5tupleIJPjSE_EEENSF_IJSE_SE_EEES9_SG_JZNS1_25segmented_radix_sort_implINS0_14default_configELb1EPKdPdPKlPlN2at6native12_GLOBAL__N_18offset_tEEE10hipError_tPvRmT1_PNSt15iterator_traitsISY_E10value_typeET2_T3_PNSZ_IS14_E10value_typeET4_jRbjT5_S1A_jjP12ihipStream_tbEUljE_EEESV_SW_SX_S14_S18_S1A_T6_T7_T9_mT8_S1C_bDpT10_ENKUlT_T0_E_clISt17integral_constantIbLb0EES1O_IbLb1EEEEDaS1K_S1L_EUlS1K_E_NS1_11comp_targetILNS1_3genE5ELNS1_11target_archE942ELNS1_3gpuE9ELNS1_3repE0EEENS1_30default_config_static_selectorELNS0_4arch9wavefront6targetE1EEEvSY_.kd
    .uniform_work_group_size: 1
    .uses_dynamic_stack: false
    .vgpr_count:     0
    .vgpr_spill_count: 0
    .wavefront_size: 64
  - .agpr_count:     0
    .args:
      - .offset:         0
        .size:           152
        .value_kind:     by_value
    .group_segment_fixed_size: 13324
    .kernarg_segment_align: 8
    .kernarg_segment_size: 152
    .language:       OpenCL C
    .language_version:
      - 2
      - 0
    .max_flat_workgroup_size: 256
    .name:           _ZN7rocprim17ROCPRIM_400000_NS6detail17trampoline_kernelINS0_13select_configILj256ELj13ELNS0_17block_load_methodE3ELS4_3ELS4_3ELNS0_20block_scan_algorithmE0ELj4294967295EEENS1_25partition_config_selectorILNS1_17partition_subalgoE3EjNS0_10empty_typeEbEEZZNS1_14partition_implILS8_3ELb0ES6_jNS0_17counting_iteratorIjlEEPS9_SE_NS0_5tupleIJPjSE_EEENSF_IJSE_SE_EEES9_SG_JZNS1_25segmented_radix_sort_implINS0_14default_configELb1EPKdPdPKlPlN2at6native12_GLOBAL__N_18offset_tEEE10hipError_tPvRmT1_PNSt15iterator_traitsISY_E10value_typeET2_T3_PNSZ_IS14_E10value_typeET4_jRbjT5_S1A_jjP12ihipStream_tbEUljE_EEESV_SW_SX_S14_S18_S1A_T6_T7_T9_mT8_S1C_bDpT10_ENKUlT_T0_E_clISt17integral_constantIbLb0EES1O_IbLb1EEEEDaS1K_S1L_EUlS1K_E_NS1_11comp_targetILNS1_3genE4ELNS1_11target_archE910ELNS1_3gpuE8ELNS1_3repE0EEENS1_30default_config_static_selectorELNS0_4arch9wavefront6targetE1EEEvSY_
    .private_segment_fixed_size: 0
    .sgpr_count:     48
    .sgpr_spill_count: 0
    .symbol:         _ZN7rocprim17ROCPRIM_400000_NS6detail17trampoline_kernelINS0_13select_configILj256ELj13ELNS0_17block_load_methodE3ELS4_3ELS4_3ELNS0_20block_scan_algorithmE0ELj4294967295EEENS1_25partition_config_selectorILNS1_17partition_subalgoE3EjNS0_10empty_typeEbEEZZNS1_14partition_implILS8_3ELb0ES6_jNS0_17counting_iteratorIjlEEPS9_SE_NS0_5tupleIJPjSE_EEENSF_IJSE_SE_EEES9_SG_JZNS1_25segmented_radix_sort_implINS0_14default_configELb1EPKdPdPKlPlN2at6native12_GLOBAL__N_18offset_tEEE10hipError_tPvRmT1_PNSt15iterator_traitsISY_E10value_typeET2_T3_PNSZ_IS14_E10value_typeET4_jRbjT5_S1A_jjP12ihipStream_tbEUljE_EEESV_SW_SX_S14_S18_S1A_T6_T7_T9_mT8_S1C_bDpT10_ENKUlT_T0_E_clISt17integral_constantIbLb0EES1O_IbLb1EEEEDaS1K_S1L_EUlS1K_E_NS1_11comp_targetILNS1_3genE4ELNS1_11target_archE910ELNS1_3gpuE8ELNS1_3repE0EEENS1_30default_config_static_selectorELNS0_4arch9wavefront6targetE1EEEvSY_.kd
    .uniform_work_group_size: 1
    .uses_dynamic_stack: false
    .vgpr_count:     64
    .vgpr_spill_count: 0
    .wavefront_size: 64
  - .agpr_count:     0
    .args:
      - .offset:         0
        .size:           152
        .value_kind:     by_value
    .group_segment_fixed_size: 0
    .kernarg_segment_align: 8
    .kernarg_segment_size: 152
    .language:       OpenCL C
    .language_version:
      - 2
      - 0
    .max_flat_workgroup_size: 256
    .name:           _ZN7rocprim17ROCPRIM_400000_NS6detail17trampoline_kernelINS0_13select_configILj256ELj13ELNS0_17block_load_methodE3ELS4_3ELS4_3ELNS0_20block_scan_algorithmE0ELj4294967295EEENS1_25partition_config_selectorILNS1_17partition_subalgoE3EjNS0_10empty_typeEbEEZZNS1_14partition_implILS8_3ELb0ES6_jNS0_17counting_iteratorIjlEEPS9_SE_NS0_5tupleIJPjSE_EEENSF_IJSE_SE_EEES9_SG_JZNS1_25segmented_radix_sort_implINS0_14default_configELb1EPKdPdPKlPlN2at6native12_GLOBAL__N_18offset_tEEE10hipError_tPvRmT1_PNSt15iterator_traitsISY_E10value_typeET2_T3_PNSZ_IS14_E10value_typeET4_jRbjT5_S1A_jjP12ihipStream_tbEUljE_EEESV_SW_SX_S14_S18_S1A_T6_T7_T9_mT8_S1C_bDpT10_ENKUlT_T0_E_clISt17integral_constantIbLb0EES1O_IbLb1EEEEDaS1K_S1L_EUlS1K_E_NS1_11comp_targetILNS1_3genE3ELNS1_11target_archE908ELNS1_3gpuE7ELNS1_3repE0EEENS1_30default_config_static_selectorELNS0_4arch9wavefront6targetE1EEEvSY_
    .private_segment_fixed_size: 0
    .sgpr_count:     4
    .sgpr_spill_count: 0
    .symbol:         _ZN7rocprim17ROCPRIM_400000_NS6detail17trampoline_kernelINS0_13select_configILj256ELj13ELNS0_17block_load_methodE3ELS4_3ELS4_3ELNS0_20block_scan_algorithmE0ELj4294967295EEENS1_25partition_config_selectorILNS1_17partition_subalgoE3EjNS0_10empty_typeEbEEZZNS1_14partition_implILS8_3ELb0ES6_jNS0_17counting_iteratorIjlEEPS9_SE_NS0_5tupleIJPjSE_EEENSF_IJSE_SE_EEES9_SG_JZNS1_25segmented_radix_sort_implINS0_14default_configELb1EPKdPdPKlPlN2at6native12_GLOBAL__N_18offset_tEEE10hipError_tPvRmT1_PNSt15iterator_traitsISY_E10value_typeET2_T3_PNSZ_IS14_E10value_typeET4_jRbjT5_S1A_jjP12ihipStream_tbEUljE_EEESV_SW_SX_S14_S18_S1A_T6_T7_T9_mT8_S1C_bDpT10_ENKUlT_T0_E_clISt17integral_constantIbLb0EES1O_IbLb1EEEEDaS1K_S1L_EUlS1K_E_NS1_11comp_targetILNS1_3genE3ELNS1_11target_archE908ELNS1_3gpuE7ELNS1_3repE0EEENS1_30default_config_static_selectorELNS0_4arch9wavefront6targetE1EEEvSY_.kd
    .uniform_work_group_size: 1
    .uses_dynamic_stack: false
    .vgpr_count:     0
    .vgpr_spill_count: 0
    .wavefront_size: 64
  - .agpr_count:     0
    .args:
      - .offset:         0
        .size:           152
        .value_kind:     by_value
    .group_segment_fixed_size: 0
    .kernarg_segment_align: 8
    .kernarg_segment_size: 152
    .language:       OpenCL C
    .language_version:
      - 2
      - 0
    .max_flat_workgroup_size: 256
    .name:           _ZN7rocprim17ROCPRIM_400000_NS6detail17trampoline_kernelINS0_13select_configILj256ELj13ELNS0_17block_load_methodE3ELS4_3ELS4_3ELNS0_20block_scan_algorithmE0ELj4294967295EEENS1_25partition_config_selectorILNS1_17partition_subalgoE3EjNS0_10empty_typeEbEEZZNS1_14partition_implILS8_3ELb0ES6_jNS0_17counting_iteratorIjlEEPS9_SE_NS0_5tupleIJPjSE_EEENSF_IJSE_SE_EEES9_SG_JZNS1_25segmented_radix_sort_implINS0_14default_configELb1EPKdPdPKlPlN2at6native12_GLOBAL__N_18offset_tEEE10hipError_tPvRmT1_PNSt15iterator_traitsISY_E10value_typeET2_T3_PNSZ_IS14_E10value_typeET4_jRbjT5_S1A_jjP12ihipStream_tbEUljE_EEESV_SW_SX_S14_S18_S1A_T6_T7_T9_mT8_S1C_bDpT10_ENKUlT_T0_E_clISt17integral_constantIbLb0EES1O_IbLb1EEEEDaS1K_S1L_EUlS1K_E_NS1_11comp_targetILNS1_3genE2ELNS1_11target_archE906ELNS1_3gpuE6ELNS1_3repE0EEENS1_30default_config_static_selectorELNS0_4arch9wavefront6targetE1EEEvSY_
    .private_segment_fixed_size: 0
    .sgpr_count:     4
    .sgpr_spill_count: 0
    .symbol:         _ZN7rocprim17ROCPRIM_400000_NS6detail17trampoline_kernelINS0_13select_configILj256ELj13ELNS0_17block_load_methodE3ELS4_3ELS4_3ELNS0_20block_scan_algorithmE0ELj4294967295EEENS1_25partition_config_selectorILNS1_17partition_subalgoE3EjNS0_10empty_typeEbEEZZNS1_14partition_implILS8_3ELb0ES6_jNS0_17counting_iteratorIjlEEPS9_SE_NS0_5tupleIJPjSE_EEENSF_IJSE_SE_EEES9_SG_JZNS1_25segmented_radix_sort_implINS0_14default_configELb1EPKdPdPKlPlN2at6native12_GLOBAL__N_18offset_tEEE10hipError_tPvRmT1_PNSt15iterator_traitsISY_E10value_typeET2_T3_PNSZ_IS14_E10value_typeET4_jRbjT5_S1A_jjP12ihipStream_tbEUljE_EEESV_SW_SX_S14_S18_S1A_T6_T7_T9_mT8_S1C_bDpT10_ENKUlT_T0_E_clISt17integral_constantIbLb0EES1O_IbLb1EEEEDaS1K_S1L_EUlS1K_E_NS1_11comp_targetILNS1_3genE2ELNS1_11target_archE906ELNS1_3gpuE6ELNS1_3repE0EEENS1_30default_config_static_selectorELNS0_4arch9wavefront6targetE1EEEvSY_.kd
    .uniform_work_group_size: 1
    .uses_dynamic_stack: false
    .vgpr_count:     0
    .vgpr_spill_count: 0
    .wavefront_size: 64
  - .agpr_count:     0
    .args:
      - .offset:         0
        .size:           152
        .value_kind:     by_value
    .group_segment_fixed_size: 0
    .kernarg_segment_align: 8
    .kernarg_segment_size: 152
    .language:       OpenCL C
    .language_version:
      - 2
      - 0
    .max_flat_workgroup_size: 256
    .name:           _ZN7rocprim17ROCPRIM_400000_NS6detail17trampoline_kernelINS0_13select_configILj256ELj13ELNS0_17block_load_methodE3ELS4_3ELS4_3ELNS0_20block_scan_algorithmE0ELj4294967295EEENS1_25partition_config_selectorILNS1_17partition_subalgoE3EjNS0_10empty_typeEbEEZZNS1_14partition_implILS8_3ELb0ES6_jNS0_17counting_iteratorIjlEEPS9_SE_NS0_5tupleIJPjSE_EEENSF_IJSE_SE_EEES9_SG_JZNS1_25segmented_radix_sort_implINS0_14default_configELb1EPKdPdPKlPlN2at6native12_GLOBAL__N_18offset_tEEE10hipError_tPvRmT1_PNSt15iterator_traitsISY_E10value_typeET2_T3_PNSZ_IS14_E10value_typeET4_jRbjT5_S1A_jjP12ihipStream_tbEUljE_EEESV_SW_SX_S14_S18_S1A_T6_T7_T9_mT8_S1C_bDpT10_ENKUlT_T0_E_clISt17integral_constantIbLb0EES1O_IbLb1EEEEDaS1K_S1L_EUlS1K_E_NS1_11comp_targetILNS1_3genE10ELNS1_11target_archE1200ELNS1_3gpuE4ELNS1_3repE0EEENS1_30default_config_static_selectorELNS0_4arch9wavefront6targetE1EEEvSY_
    .private_segment_fixed_size: 0
    .sgpr_count:     4
    .sgpr_spill_count: 0
    .symbol:         _ZN7rocprim17ROCPRIM_400000_NS6detail17trampoline_kernelINS0_13select_configILj256ELj13ELNS0_17block_load_methodE3ELS4_3ELS4_3ELNS0_20block_scan_algorithmE0ELj4294967295EEENS1_25partition_config_selectorILNS1_17partition_subalgoE3EjNS0_10empty_typeEbEEZZNS1_14partition_implILS8_3ELb0ES6_jNS0_17counting_iteratorIjlEEPS9_SE_NS0_5tupleIJPjSE_EEENSF_IJSE_SE_EEES9_SG_JZNS1_25segmented_radix_sort_implINS0_14default_configELb1EPKdPdPKlPlN2at6native12_GLOBAL__N_18offset_tEEE10hipError_tPvRmT1_PNSt15iterator_traitsISY_E10value_typeET2_T3_PNSZ_IS14_E10value_typeET4_jRbjT5_S1A_jjP12ihipStream_tbEUljE_EEESV_SW_SX_S14_S18_S1A_T6_T7_T9_mT8_S1C_bDpT10_ENKUlT_T0_E_clISt17integral_constantIbLb0EES1O_IbLb1EEEEDaS1K_S1L_EUlS1K_E_NS1_11comp_targetILNS1_3genE10ELNS1_11target_archE1200ELNS1_3gpuE4ELNS1_3repE0EEENS1_30default_config_static_selectorELNS0_4arch9wavefront6targetE1EEEvSY_.kd
    .uniform_work_group_size: 1
    .uses_dynamic_stack: false
    .vgpr_count:     0
    .vgpr_spill_count: 0
    .wavefront_size: 64
  - .agpr_count:     0
    .args:
      - .offset:         0
        .size:           152
        .value_kind:     by_value
    .group_segment_fixed_size: 0
    .kernarg_segment_align: 8
    .kernarg_segment_size: 152
    .language:       OpenCL C
    .language_version:
      - 2
      - 0
    .max_flat_workgroup_size: 256
    .name:           _ZN7rocprim17ROCPRIM_400000_NS6detail17trampoline_kernelINS0_13select_configILj256ELj13ELNS0_17block_load_methodE3ELS4_3ELS4_3ELNS0_20block_scan_algorithmE0ELj4294967295EEENS1_25partition_config_selectorILNS1_17partition_subalgoE3EjNS0_10empty_typeEbEEZZNS1_14partition_implILS8_3ELb0ES6_jNS0_17counting_iteratorIjlEEPS9_SE_NS0_5tupleIJPjSE_EEENSF_IJSE_SE_EEES9_SG_JZNS1_25segmented_radix_sort_implINS0_14default_configELb1EPKdPdPKlPlN2at6native12_GLOBAL__N_18offset_tEEE10hipError_tPvRmT1_PNSt15iterator_traitsISY_E10value_typeET2_T3_PNSZ_IS14_E10value_typeET4_jRbjT5_S1A_jjP12ihipStream_tbEUljE_EEESV_SW_SX_S14_S18_S1A_T6_T7_T9_mT8_S1C_bDpT10_ENKUlT_T0_E_clISt17integral_constantIbLb0EES1O_IbLb1EEEEDaS1K_S1L_EUlS1K_E_NS1_11comp_targetILNS1_3genE9ELNS1_11target_archE1100ELNS1_3gpuE3ELNS1_3repE0EEENS1_30default_config_static_selectorELNS0_4arch9wavefront6targetE1EEEvSY_
    .private_segment_fixed_size: 0
    .sgpr_count:     4
    .sgpr_spill_count: 0
    .symbol:         _ZN7rocprim17ROCPRIM_400000_NS6detail17trampoline_kernelINS0_13select_configILj256ELj13ELNS0_17block_load_methodE3ELS4_3ELS4_3ELNS0_20block_scan_algorithmE0ELj4294967295EEENS1_25partition_config_selectorILNS1_17partition_subalgoE3EjNS0_10empty_typeEbEEZZNS1_14partition_implILS8_3ELb0ES6_jNS0_17counting_iteratorIjlEEPS9_SE_NS0_5tupleIJPjSE_EEENSF_IJSE_SE_EEES9_SG_JZNS1_25segmented_radix_sort_implINS0_14default_configELb1EPKdPdPKlPlN2at6native12_GLOBAL__N_18offset_tEEE10hipError_tPvRmT1_PNSt15iterator_traitsISY_E10value_typeET2_T3_PNSZ_IS14_E10value_typeET4_jRbjT5_S1A_jjP12ihipStream_tbEUljE_EEESV_SW_SX_S14_S18_S1A_T6_T7_T9_mT8_S1C_bDpT10_ENKUlT_T0_E_clISt17integral_constantIbLb0EES1O_IbLb1EEEEDaS1K_S1L_EUlS1K_E_NS1_11comp_targetILNS1_3genE9ELNS1_11target_archE1100ELNS1_3gpuE3ELNS1_3repE0EEENS1_30default_config_static_selectorELNS0_4arch9wavefront6targetE1EEEvSY_.kd
    .uniform_work_group_size: 1
    .uses_dynamic_stack: false
    .vgpr_count:     0
    .vgpr_spill_count: 0
    .wavefront_size: 64
  - .agpr_count:     0
    .args:
      - .offset:         0
        .size:           152
        .value_kind:     by_value
    .group_segment_fixed_size: 0
    .kernarg_segment_align: 8
    .kernarg_segment_size: 152
    .language:       OpenCL C
    .language_version:
      - 2
      - 0
    .max_flat_workgroup_size: 256
    .name:           _ZN7rocprim17ROCPRIM_400000_NS6detail17trampoline_kernelINS0_13select_configILj256ELj13ELNS0_17block_load_methodE3ELS4_3ELS4_3ELNS0_20block_scan_algorithmE0ELj4294967295EEENS1_25partition_config_selectorILNS1_17partition_subalgoE3EjNS0_10empty_typeEbEEZZNS1_14partition_implILS8_3ELb0ES6_jNS0_17counting_iteratorIjlEEPS9_SE_NS0_5tupleIJPjSE_EEENSF_IJSE_SE_EEES9_SG_JZNS1_25segmented_radix_sort_implINS0_14default_configELb1EPKdPdPKlPlN2at6native12_GLOBAL__N_18offset_tEEE10hipError_tPvRmT1_PNSt15iterator_traitsISY_E10value_typeET2_T3_PNSZ_IS14_E10value_typeET4_jRbjT5_S1A_jjP12ihipStream_tbEUljE_EEESV_SW_SX_S14_S18_S1A_T6_T7_T9_mT8_S1C_bDpT10_ENKUlT_T0_E_clISt17integral_constantIbLb0EES1O_IbLb1EEEEDaS1K_S1L_EUlS1K_E_NS1_11comp_targetILNS1_3genE8ELNS1_11target_archE1030ELNS1_3gpuE2ELNS1_3repE0EEENS1_30default_config_static_selectorELNS0_4arch9wavefront6targetE1EEEvSY_
    .private_segment_fixed_size: 0
    .sgpr_count:     4
    .sgpr_spill_count: 0
    .symbol:         _ZN7rocprim17ROCPRIM_400000_NS6detail17trampoline_kernelINS0_13select_configILj256ELj13ELNS0_17block_load_methodE3ELS4_3ELS4_3ELNS0_20block_scan_algorithmE0ELj4294967295EEENS1_25partition_config_selectorILNS1_17partition_subalgoE3EjNS0_10empty_typeEbEEZZNS1_14partition_implILS8_3ELb0ES6_jNS0_17counting_iteratorIjlEEPS9_SE_NS0_5tupleIJPjSE_EEENSF_IJSE_SE_EEES9_SG_JZNS1_25segmented_radix_sort_implINS0_14default_configELb1EPKdPdPKlPlN2at6native12_GLOBAL__N_18offset_tEEE10hipError_tPvRmT1_PNSt15iterator_traitsISY_E10value_typeET2_T3_PNSZ_IS14_E10value_typeET4_jRbjT5_S1A_jjP12ihipStream_tbEUljE_EEESV_SW_SX_S14_S18_S1A_T6_T7_T9_mT8_S1C_bDpT10_ENKUlT_T0_E_clISt17integral_constantIbLb0EES1O_IbLb1EEEEDaS1K_S1L_EUlS1K_E_NS1_11comp_targetILNS1_3genE8ELNS1_11target_archE1030ELNS1_3gpuE2ELNS1_3repE0EEENS1_30default_config_static_selectorELNS0_4arch9wavefront6targetE1EEEvSY_.kd
    .uniform_work_group_size: 1
    .uses_dynamic_stack: false
    .vgpr_count:     0
    .vgpr_spill_count: 0
    .wavefront_size: 64
  - .agpr_count:     0
    .args:
      - .offset:         0
        .size:           96
        .value_kind:     by_value
    .group_segment_fixed_size: 0
    .kernarg_segment_align: 8
    .kernarg_segment_size: 96
    .language:       OpenCL C
    .language_version:
      - 2
      - 0
    .max_flat_workgroup_size: 256
    .name:           _ZN7rocprim17ROCPRIM_400000_NS6detail17trampoline_kernelINS0_14default_configENS1_36segmented_radix_sort_config_selectorIdlEEZNS1_25segmented_radix_sort_implIS3_Lb1EPKdPdPKlPlN2at6native12_GLOBAL__N_18offset_tEEE10hipError_tPvRmT1_PNSt15iterator_traitsISK_E10value_typeET2_T3_PNSL_ISQ_E10value_typeET4_jRbjT5_SW_jjP12ihipStream_tbEUlT_E_NS1_11comp_targetILNS1_3genE0ELNS1_11target_archE4294967295ELNS1_3gpuE0ELNS1_3repE0EEENS1_30default_config_static_selectorELNS0_4arch9wavefront6targetE1EEEvSK_
    .private_segment_fixed_size: 0
    .sgpr_count:     4
    .sgpr_spill_count: 0
    .symbol:         _ZN7rocprim17ROCPRIM_400000_NS6detail17trampoline_kernelINS0_14default_configENS1_36segmented_radix_sort_config_selectorIdlEEZNS1_25segmented_radix_sort_implIS3_Lb1EPKdPdPKlPlN2at6native12_GLOBAL__N_18offset_tEEE10hipError_tPvRmT1_PNSt15iterator_traitsISK_E10value_typeET2_T3_PNSL_ISQ_E10value_typeET4_jRbjT5_SW_jjP12ihipStream_tbEUlT_E_NS1_11comp_targetILNS1_3genE0ELNS1_11target_archE4294967295ELNS1_3gpuE0ELNS1_3repE0EEENS1_30default_config_static_selectorELNS0_4arch9wavefront6targetE1EEEvSK_.kd
    .uniform_work_group_size: 1
    .uses_dynamic_stack: false
    .vgpr_count:     0
    .vgpr_spill_count: 0
    .wavefront_size: 64
  - .agpr_count:     0
    .args:
      - .offset:         0
        .size:           96
        .value_kind:     by_value
    .group_segment_fixed_size: 0
    .kernarg_segment_align: 8
    .kernarg_segment_size: 96
    .language:       OpenCL C
    .language_version:
      - 2
      - 0
    .max_flat_workgroup_size: 256
    .name:           _ZN7rocprim17ROCPRIM_400000_NS6detail17trampoline_kernelINS0_14default_configENS1_36segmented_radix_sort_config_selectorIdlEEZNS1_25segmented_radix_sort_implIS3_Lb1EPKdPdPKlPlN2at6native12_GLOBAL__N_18offset_tEEE10hipError_tPvRmT1_PNSt15iterator_traitsISK_E10value_typeET2_T3_PNSL_ISQ_E10value_typeET4_jRbjT5_SW_jjP12ihipStream_tbEUlT_E_NS1_11comp_targetILNS1_3genE5ELNS1_11target_archE942ELNS1_3gpuE9ELNS1_3repE0EEENS1_30default_config_static_selectorELNS0_4arch9wavefront6targetE1EEEvSK_
    .private_segment_fixed_size: 0
    .sgpr_count:     4
    .sgpr_spill_count: 0
    .symbol:         _ZN7rocprim17ROCPRIM_400000_NS6detail17trampoline_kernelINS0_14default_configENS1_36segmented_radix_sort_config_selectorIdlEEZNS1_25segmented_radix_sort_implIS3_Lb1EPKdPdPKlPlN2at6native12_GLOBAL__N_18offset_tEEE10hipError_tPvRmT1_PNSt15iterator_traitsISK_E10value_typeET2_T3_PNSL_ISQ_E10value_typeET4_jRbjT5_SW_jjP12ihipStream_tbEUlT_E_NS1_11comp_targetILNS1_3genE5ELNS1_11target_archE942ELNS1_3gpuE9ELNS1_3repE0EEENS1_30default_config_static_selectorELNS0_4arch9wavefront6targetE1EEEvSK_.kd
    .uniform_work_group_size: 1
    .uses_dynamic_stack: false
    .vgpr_count:     0
    .vgpr_spill_count: 0
    .wavefront_size: 64
  - .agpr_count:     32
    .args:
      - .offset:         0
        .size:           96
        .value_kind:     by_value
      - .offset:         96
        .size:           4
        .value_kind:     hidden_block_count_x
      - .offset:         100
        .size:           4
        .value_kind:     hidden_block_count_y
      - .offset:         104
        .size:           4
        .value_kind:     hidden_block_count_z
      - .offset:         108
        .size:           2
        .value_kind:     hidden_group_size_x
      - .offset:         110
        .size:           2
        .value_kind:     hidden_group_size_y
      - .offset:         112
        .size:           2
        .value_kind:     hidden_group_size_z
      - .offset:         114
        .size:           2
        .value_kind:     hidden_remainder_x
      - .offset:         116
        .size:           2
        .value_kind:     hidden_remainder_y
      - .offset:         118
        .size:           2
        .value_kind:     hidden_remainder_z
      - .offset:         136
        .size:           8
        .value_kind:     hidden_global_offset_x
      - .offset:         144
        .size:           8
        .value_kind:     hidden_global_offset_y
      - .offset:         152
        .size:           8
        .value_kind:     hidden_global_offset_z
      - .offset:         160
        .size:           2
        .value_kind:     hidden_grid_dims
      - .offset:         176
        .size:           8
        .value_kind:     hidden_hostcall_buffer
      - .offset:         184
        .size:           8
        .value_kind:     hidden_multigrid_sync_arg
      - .offset:         192
        .size:           8
        .value_kind:     hidden_heap_v1
      - .offset:         200
        .size:           8
        .value_kind:     hidden_default_queue
      - .offset:         208
        .size:           8
        .value_kind:     hidden_completion_action
      - .offset:         296
        .size:           8
        .value_kind:     hidden_queue_ptr
    .group_segment_fixed_size: 33808
    .kernarg_segment_align: 8
    .kernarg_segment_size: 352
    .language:       OpenCL C
    .language_version:
      - 2
      - 0
    .max_flat_workgroup_size: 256
    .name:           _ZN7rocprim17ROCPRIM_400000_NS6detail17trampoline_kernelINS0_14default_configENS1_36segmented_radix_sort_config_selectorIdlEEZNS1_25segmented_radix_sort_implIS3_Lb1EPKdPdPKlPlN2at6native12_GLOBAL__N_18offset_tEEE10hipError_tPvRmT1_PNSt15iterator_traitsISK_E10value_typeET2_T3_PNSL_ISQ_E10value_typeET4_jRbjT5_SW_jjP12ihipStream_tbEUlT_E_NS1_11comp_targetILNS1_3genE4ELNS1_11target_archE910ELNS1_3gpuE8ELNS1_3repE0EEENS1_30default_config_static_selectorELNS0_4arch9wavefront6targetE1EEEvSK_
    .private_segment_fixed_size: 132
    .sgpr_count:     106
    .sgpr_spill_count: 8
    .symbol:         _ZN7rocprim17ROCPRIM_400000_NS6detail17trampoline_kernelINS0_14default_configENS1_36segmented_radix_sort_config_selectorIdlEEZNS1_25segmented_radix_sort_implIS3_Lb1EPKdPdPKlPlN2at6native12_GLOBAL__N_18offset_tEEE10hipError_tPvRmT1_PNSt15iterator_traitsISK_E10value_typeET2_T3_PNSL_ISQ_E10value_typeET4_jRbjT5_SW_jjP12ihipStream_tbEUlT_E_NS1_11comp_targetILNS1_3genE4ELNS1_11target_archE910ELNS1_3gpuE8ELNS1_3repE0EEENS1_30default_config_static_selectorELNS0_4arch9wavefront6targetE1EEEvSK_.kd
    .uniform_work_group_size: 1
    .uses_dynamic_stack: false
    .vgpr_count:     280
    .vgpr_spill_count: 0
    .wavefront_size: 64
  - .agpr_count:     0
    .args:
      - .offset:         0
        .size:           96
        .value_kind:     by_value
    .group_segment_fixed_size: 0
    .kernarg_segment_align: 8
    .kernarg_segment_size: 96
    .language:       OpenCL C
    .language_version:
      - 2
      - 0
    .max_flat_workgroup_size: 256
    .name:           _ZN7rocprim17ROCPRIM_400000_NS6detail17trampoline_kernelINS0_14default_configENS1_36segmented_radix_sort_config_selectorIdlEEZNS1_25segmented_radix_sort_implIS3_Lb1EPKdPdPKlPlN2at6native12_GLOBAL__N_18offset_tEEE10hipError_tPvRmT1_PNSt15iterator_traitsISK_E10value_typeET2_T3_PNSL_ISQ_E10value_typeET4_jRbjT5_SW_jjP12ihipStream_tbEUlT_E_NS1_11comp_targetILNS1_3genE3ELNS1_11target_archE908ELNS1_3gpuE7ELNS1_3repE0EEENS1_30default_config_static_selectorELNS0_4arch9wavefront6targetE1EEEvSK_
    .private_segment_fixed_size: 0
    .sgpr_count:     4
    .sgpr_spill_count: 0
    .symbol:         _ZN7rocprim17ROCPRIM_400000_NS6detail17trampoline_kernelINS0_14default_configENS1_36segmented_radix_sort_config_selectorIdlEEZNS1_25segmented_radix_sort_implIS3_Lb1EPKdPdPKlPlN2at6native12_GLOBAL__N_18offset_tEEE10hipError_tPvRmT1_PNSt15iterator_traitsISK_E10value_typeET2_T3_PNSL_ISQ_E10value_typeET4_jRbjT5_SW_jjP12ihipStream_tbEUlT_E_NS1_11comp_targetILNS1_3genE3ELNS1_11target_archE908ELNS1_3gpuE7ELNS1_3repE0EEENS1_30default_config_static_selectorELNS0_4arch9wavefront6targetE1EEEvSK_.kd
    .uniform_work_group_size: 1
    .uses_dynamic_stack: false
    .vgpr_count:     0
    .vgpr_spill_count: 0
    .wavefront_size: 64
  - .agpr_count:     0
    .args:
      - .offset:         0
        .size:           96
        .value_kind:     by_value
    .group_segment_fixed_size: 0
    .kernarg_segment_align: 8
    .kernarg_segment_size: 96
    .language:       OpenCL C
    .language_version:
      - 2
      - 0
    .max_flat_workgroup_size: 256
    .name:           _ZN7rocprim17ROCPRIM_400000_NS6detail17trampoline_kernelINS0_14default_configENS1_36segmented_radix_sort_config_selectorIdlEEZNS1_25segmented_radix_sort_implIS3_Lb1EPKdPdPKlPlN2at6native12_GLOBAL__N_18offset_tEEE10hipError_tPvRmT1_PNSt15iterator_traitsISK_E10value_typeET2_T3_PNSL_ISQ_E10value_typeET4_jRbjT5_SW_jjP12ihipStream_tbEUlT_E_NS1_11comp_targetILNS1_3genE2ELNS1_11target_archE906ELNS1_3gpuE6ELNS1_3repE0EEENS1_30default_config_static_selectorELNS0_4arch9wavefront6targetE1EEEvSK_
    .private_segment_fixed_size: 0
    .sgpr_count:     4
    .sgpr_spill_count: 0
    .symbol:         _ZN7rocprim17ROCPRIM_400000_NS6detail17trampoline_kernelINS0_14default_configENS1_36segmented_radix_sort_config_selectorIdlEEZNS1_25segmented_radix_sort_implIS3_Lb1EPKdPdPKlPlN2at6native12_GLOBAL__N_18offset_tEEE10hipError_tPvRmT1_PNSt15iterator_traitsISK_E10value_typeET2_T3_PNSL_ISQ_E10value_typeET4_jRbjT5_SW_jjP12ihipStream_tbEUlT_E_NS1_11comp_targetILNS1_3genE2ELNS1_11target_archE906ELNS1_3gpuE6ELNS1_3repE0EEENS1_30default_config_static_selectorELNS0_4arch9wavefront6targetE1EEEvSK_.kd
    .uniform_work_group_size: 1
    .uses_dynamic_stack: false
    .vgpr_count:     0
    .vgpr_spill_count: 0
    .wavefront_size: 64
  - .agpr_count:     0
    .args:
      - .offset:         0
        .size:           96
        .value_kind:     by_value
    .group_segment_fixed_size: 0
    .kernarg_segment_align: 8
    .kernarg_segment_size: 96
    .language:       OpenCL C
    .language_version:
      - 2
      - 0
    .max_flat_workgroup_size: 256
    .name:           _ZN7rocprim17ROCPRIM_400000_NS6detail17trampoline_kernelINS0_14default_configENS1_36segmented_radix_sort_config_selectorIdlEEZNS1_25segmented_radix_sort_implIS3_Lb1EPKdPdPKlPlN2at6native12_GLOBAL__N_18offset_tEEE10hipError_tPvRmT1_PNSt15iterator_traitsISK_E10value_typeET2_T3_PNSL_ISQ_E10value_typeET4_jRbjT5_SW_jjP12ihipStream_tbEUlT_E_NS1_11comp_targetILNS1_3genE10ELNS1_11target_archE1201ELNS1_3gpuE5ELNS1_3repE0EEENS1_30default_config_static_selectorELNS0_4arch9wavefront6targetE1EEEvSK_
    .private_segment_fixed_size: 0
    .sgpr_count:     4
    .sgpr_spill_count: 0
    .symbol:         _ZN7rocprim17ROCPRIM_400000_NS6detail17trampoline_kernelINS0_14default_configENS1_36segmented_radix_sort_config_selectorIdlEEZNS1_25segmented_radix_sort_implIS3_Lb1EPKdPdPKlPlN2at6native12_GLOBAL__N_18offset_tEEE10hipError_tPvRmT1_PNSt15iterator_traitsISK_E10value_typeET2_T3_PNSL_ISQ_E10value_typeET4_jRbjT5_SW_jjP12ihipStream_tbEUlT_E_NS1_11comp_targetILNS1_3genE10ELNS1_11target_archE1201ELNS1_3gpuE5ELNS1_3repE0EEENS1_30default_config_static_selectorELNS0_4arch9wavefront6targetE1EEEvSK_.kd
    .uniform_work_group_size: 1
    .uses_dynamic_stack: false
    .vgpr_count:     0
    .vgpr_spill_count: 0
    .wavefront_size: 64
  - .agpr_count:     0
    .args:
      - .offset:         0
        .size:           96
        .value_kind:     by_value
    .group_segment_fixed_size: 0
    .kernarg_segment_align: 8
    .kernarg_segment_size: 96
    .language:       OpenCL C
    .language_version:
      - 2
      - 0
    .max_flat_workgroup_size: 128
    .name:           _ZN7rocprim17ROCPRIM_400000_NS6detail17trampoline_kernelINS0_14default_configENS1_36segmented_radix_sort_config_selectorIdlEEZNS1_25segmented_radix_sort_implIS3_Lb1EPKdPdPKlPlN2at6native12_GLOBAL__N_18offset_tEEE10hipError_tPvRmT1_PNSt15iterator_traitsISK_E10value_typeET2_T3_PNSL_ISQ_E10value_typeET4_jRbjT5_SW_jjP12ihipStream_tbEUlT_E_NS1_11comp_targetILNS1_3genE10ELNS1_11target_archE1200ELNS1_3gpuE4ELNS1_3repE0EEENS1_30default_config_static_selectorELNS0_4arch9wavefront6targetE1EEEvSK_
    .private_segment_fixed_size: 0
    .sgpr_count:     4
    .sgpr_spill_count: 0
    .symbol:         _ZN7rocprim17ROCPRIM_400000_NS6detail17trampoline_kernelINS0_14default_configENS1_36segmented_radix_sort_config_selectorIdlEEZNS1_25segmented_radix_sort_implIS3_Lb1EPKdPdPKlPlN2at6native12_GLOBAL__N_18offset_tEEE10hipError_tPvRmT1_PNSt15iterator_traitsISK_E10value_typeET2_T3_PNSL_ISQ_E10value_typeET4_jRbjT5_SW_jjP12ihipStream_tbEUlT_E_NS1_11comp_targetILNS1_3genE10ELNS1_11target_archE1200ELNS1_3gpuE4ELNS1_3repE0EEENS1_30default_config_static_selectorELNS0_4arch9wavefront6targetE1EEEvSK_.kd
    .uniform_work_group_size: 1
    .uses_dynamic_stack: false
    .vgpr_count:     0
    .vgpr_spill_count: 0
    .wavefront_size: 64
  - .agpr_count:     0
    .args:
      - .offset:         0
        .size:           96
        .value_kind:     by_value
    .group_segment_fixed_size: 0
    .kernarg_segment_align: 8
    .kernarg_segment_size: 96
    .language:       OpenCL C
    .language_version:
      - 2
      - 0
    .max_flat_workgroup_size: 256
    .name:           _ZN7rocprim17ROCPRIM_400000_NS6detail17trampoline_kernelINS0_14default_configENS1_36segmented_radix_sort_config_selectorIdlEEZNS1_25segmented_radix_sort_implIS3_Lb1EPKdPdPKlPlN2at6native12_GLOBAL__N_18offset_tEEE10hipError_tPvRmT1_PNSt15iterator_traitsISK_E10value_typeET2_T3_PNSL_ISQ_E10value_typeET4_jRbjT5_SW_jjP12ihipStream_tbEUlT_E_NS1_11comp_targetILNS1_3genE9ELNS1_11target_archE1100ELNS1_3gpuE3ELNS1_3repE0EEENS1_30default_config_static_selectorELNS0_4arch9wavefront6targetE1EEEvSK_
    .private_segment_fixed_size: 0
    .sgpr_count:     4
    .sgpr_spill_count: 0
    .symbol:         _ZN7rocprim17ROCPRIM_400000_NS6detail17trampoline_kernelINS0_14default_configENS1_36segmented_radix_sort_config_selectorIdlEEZNS1_25segmented_radix_sort_implIS3_Lb1EPKdPdPKlPlN2at6native12_GLOBAL__N_18offset_tEEE10hipError_tPvRmT1_PNSt15iterator_traitsISK_E10value_typeET2_T3_PNSL_ISQ_E10value_typeET4_jRbjT5_SW_jjP12ihipStream_tbEUlT_E_NS1_11comp_targetILNS1_3genE9ELNS1_11target_archE1100ELNS1_3gpuE3ELNS1_3repE0EEENS1_30default_config_static_selectorELNS0_4arch9wavefront6targetE1EEEvSK_.kd
    .uniform_work_group_size: 1
    .uses_dynamic_stack: false
    .vgpr_count:     0
    .vgpr_spill_count: 0
    .wavefront_size: 64
  - .agpr_count:     0
    .args:
      - .offset:         0
        .size:           96
        .value_kind:     by_value
    .group_segment_fixed_size: 0
    .kernarg_segment_align: 8
    .kernarg_segment_size: 96
    .language:       OpenCL C
    .language_version:
      - 2
      - 0
    .max_flat_workgroup_size: 256
    .name:           _ZN7rocprim17ROCPRIM_400000_NS6detail17trampoline_kernelINS0_14default_configENS1_36segmented_radix_sort_config_selectorIdlEEZNS1_25segmented_radix_sort_implIS3_Lb1EPKdPdPKlPlN2at6native12_GLOBAL__N_18offset_tEEE10hipError_tPvRmT1_PNSt15iterator_traitsISK_E10value_typeET2_T3_PNSL_ISQ_E10value_typeET4_jRbjT5_SW_jjP12ihipStream_tbEUlT_E_NS1_11comp_targetILNS1_3genE8ELNS1_11target_archE1030ELNS1_3gpuE2ELNS1_3repE0EEENS1_30default_config_static_selectorELNS0_4arch9wavefront6targetE1EEEvSK_
    .private_segment_fixed_size: 0
    .sgpr_count:     4
    .sgpr_spill_count: 0
    .symbol:         _ZN7rocprim17ROCPRIM_400000_NS6detail17trampoline_kernelINS0_14default_configENS1_36segmented_radix_sort_config_selectorIdlEEZNS1_25segmented_radix_sort_implIS3_Lb1EPKdPdPKlPlN2at6native12_GLOBAL__N_18offset_tEEE10hipError_tPvRmT1_PNSt15iterator_traitsISK_E10value_typeET2_T3_PNSL_ISQ_E10value_typeET4_jRbjT5_SW_jjP12ihipStream_tbEUlT_E_NS1_11comp_targetILNS1_3genE8ELNS1_11target_archE1030ELNS1_3gpuE2ELNS1_3repE0EEENS1_30default_config_static_selectorELNS0_4arch9wavefront6targetE1EEEvSK_.kd
    .uniform_work_group_size: 1
    .uses_dynamic_stack: false
    .vgpr_count:     0
    .vgpr_spill_count: 0
    .wavefront_size: 64
  - .agpr_count:     0
    .args:
      - .offset:         0
        .size:           88
        .value_kind:     by_value
    .group_segment_fixed_size: 0
    .kernarg_segment_align: 8
    .kernarg_segment_size: 88
    .language:       OpenCL C
    .language_version:
      - 2
      - 0
    .max_flat_workgroup_size: 256
    .name:           _ZN7rocprim17ROCPRIM_400000_NS6detail17trampoline_kernelINS0_14default_configENS1_36segmented_radix_sort_config_selectorIdlEEZNS1_25segmented_radix_sort_implIS3_Lb1EPKdPdPKlPlN2at6native12_GLOBAL__N_18offset_tEEE10hipError_tPvRmT1_PNSt15iterator_traitsISK_E10value_typeET2_T3_PNSL_ISQ_E10value_typeET4_jRbjT5_SW_jjP12ihipStream_tbEUlT_E0_NS1_11comp_targetILNS1_3genE0ELNS1_11target_archE4294967295ELNS1_3gpuE0ELNS1_3repE0EEENS1_60segmented_radix_sort_warp_sort_medium_config_static_selectorELNS0_4arch9wavefront6targetE1EEEvSK_
    .private_segment_fixed_size: 0
    .sgpr_count:     4
    .sgpr_spill_count: 0
    .symbol:         _ZN7rocprim17ROCPRIM_400000_NS6detail17trampoline_kernelINS0_14default_configENS1_36segmented_radix_sort_config_selectorIdlEEZNS1_25segmented_radix_sort_implIS3_Lb1EPKdPdPKlPlN2at6native12_GLOBAL__N_18offset_tEEE10hipError_tPvRmT1_PNSt15iterator_traitsISK_E10value_typeET2_T3_PNSL_ISQ_E10value_typeET4_jRbjT5_SW_jjP12ihipStream_tbEUlT_E0_NS1_11comp_targetILNS1_3genE0ELNS1_11target_archE4294967295ELNS1_3gpuE0ELNS1_3repE0EEENS1_60segmented_radix_sort_warp_sort_medium_config_static_selectorELNS0_4arch9wavefront6targetE1EEEvSK_.kd
    .uniform_work_group_size: 1
    .uses_dynamic_stack: false
    .vgpr_count:     0
    .vgpr_spill_count: 0
    .wavefront_size: 64
  - .agpr_count:     0
    .args:
      - .offset:         0
        .size:           88
        .value_kind:     by_value
    .group_segment_fixed_size: 0
    .kernarg_segment_align: 8
    .kernarg_segment_size: 88
    .language:       OpenCL C
    .language_version:
      - 2
      - 0
    .max_flat_workgroup_size: 256
    .name:           _ZN7rocprim17ROCPRIM_400000_NS6detail17trampoline_kernelINS0_14default_configENS1_36segmented_radix_sort_config_selectorIdlEEZNS1_25segmented_radix_sort_implIS3_Lb1EPKdPdPKlPlN2at6native12_GLOBAL__N_18offset_tEEE10hipError_tPvRmT1_PNSt15iterator_traitsISK_E10value_typeET2_T3_PNSL_ISQ_E10value_typeET4_jRbjT5_SW_jjP12ihipStream_tbEUlT_E0_NS1_11comp_targetILNS1_3genE5ELNS1_11target_archE942ELNS1_3gpuE9ELNS1_3repE0EEENS1_60segmented_radix_sort_warp_sort_medium_config_static_selectorELNS0_4arch9wavefront6targetE1EEEvSK_
    .private_segment_fixed_size: 0
    .sgpr_count:     4
    .sgpr_spill_count: 0
    .symbol:         _ZN7rocprim17ROCPRIM_400000_NS6detail17trampoline_kernelINS0_14default_configENS1_36segmented_radix_sort_config_selectorIdlEEZNS1_25segmented_radix_sort_implIS3_Lb1EPKdPdPKlPlN2at6native12_GLOBAL__N_18offset_tEEE10hipError_tPvRmT1_PNSt15iterator_traitsISK_E10value_typeET2_T3_PNSL_ISQ_E10value_typeET4_jRbjT5_SW_jjP12ihipStream_tbEUlT_E0_NS1_11comp_targetILNS1_3genE5ELNS1_11target_archE942ELNS1_3gpuE9ELNS1_3repE0EEENS1_60segmented_radix_sort_warp_sort_medium_config_static_selectorELNS0_4arch9wavefront6targetE1EEEvSK_.kd
    .uniform_work_group_size: 1
    .uses_dynamic_stack: false
    .vgpr_count:     0
    .vgpr_spill_count: 0
    .wavefront_size: 64
  - .agpr_count:     0
    .args:
      - .offset:         0
        .size:           88
        .value_kind:     by_value
      - .offset:         88
        .size:           4
        .value_kind:     hidden_block_count_x
      - .offset:         92
        .size:           4
        .value_kind:     hidden_block_count_y
      - .offset:         96
        .size:           4
        .value_kind:     hidden_block_count_z
      - .offset:         100
        .size:           2
        .value_kind:     hidden_group_size_x
      - .offset:         102
        .size:           2
        .value_kind:     hidden_group_size_y
      - .offset:         104
        .size:           2
        .value_kind:     hidden_group_size_z
      - .offset:         106
        .size:           2
        .value_kind:     hidden_remainder_x
      - .offset:         108
        .size:           2
        .value_kind:     hidden_remainder_y
      - .offset:         110
        .size:           2
        .value_kind:     hidden_remainder_z
      - .offset:         128
        .size:           8
        .value_kind:     hidden_global_offset_x
      - .offset:         136
        .size:           8
        .value_kind:     hidden_global_offset_y
      - .offset:         144
        .size:           8
        .value_kind:     hidden_global_offset_z
      - .offset:         152
        .size:           2
        .value_kind:     hidden_grid_dims
      - .offset:         168
        .size:           8
        .value_kind:     hidden_hostcall_buffer
      - .offset:         176
        .size:           8
        .value_kind:     hidden_multigrid_sync_arg
      - .offset:         184
        .size:           8
        .value_kind:     hidden_heap_v1
      - .offset:         192
        .size:           8
        .value_kind:     hidden_default_queue
      - .offset:         200
        .size:           8
        .value_kind:     hidden_completion_action
      - .offset:         288
        .size:           8
        .value_kind:     hidden_queue_ptr
    .group_segment_fixed_size: 32768
    .kernarg_segment_align: 8
    .kernarg_segment_size: 344
    .language:       OpenCL C
    .language_version:
      - 2
      - 0
    .max_flat_workgroup_size: 256
    .name:           _ZN7rocprim17ROCPRIM_400000_NS6detail17trampoline_kernelINS0_14default_configENS1_36segmented_radix_sort_config_selectorIdlEEZNS1_25segmented_radix_sort_implIS3_Lb1EPKdPdPKlPlN2at6native12_GLOBAL__N_18offset_tEEE10hipError_tPvRmT1_PNSt15iterator_traitsISK_E10value_typeET2_T3_PNSL_ISQ_E10value_typeET4_jRbjT5_SW_jjP12ihipStream_tbEUlT_E0_NS1_11comp_targetILNS1_3genE4ELNS1_11target_archE910ELNS1_3gpuE8ELNS1_3repE0EEENS1_60segmented_radix_sort_warp_sort_medium_config_static_selectorELNS0_4arch9wavefront6targetE1EEEvSK_
    .private_segment_fixed_size: 8
    .sgpr_count:     66
    .sgpr_spill_count: 0
    .symbol:         _ZN7rocprim17ROCPRIM_400000_NS6detail17trampoline_kernelINS0_14default_configENS1_36segmented_radix_sort_config_selectorIdlEEZNS1_25segmented_radix_sort_implIS3_Lb1EPKdPdPKlPlN2at6native12_GLOBAL__N_18offset_tEEE10hipError_tPvRmT1_PNSt15iterator_traitsISK_E10value_typeET2_T3_PNSL_ISQ_E10value_typeET4_jRbjT5_SW_jjP12ihipStream_tbEUlT_E0_NS1_11comp_targetILNS1_3genE4ELNS1_11target_archE910ELNS1_3gpuE8ELNS1_3repE0EEENS1_60segmented_radix_sort_warp_sort_medium_config_static_selectorELNS0_4arch9wavefront6targetE1EEEvSK_.kd
    .uniform_work_group_size: 1
    .uses_dynamic_stack: false
    .vgpr_count:     100
    .vgpr_spill_count: 0
    .wavefront_size: 64
  - .agpr_count:     0
    .args:
      - .offset:         0
        .size:           88
        .value_kind:     by_value
    .group_segment_fixed_size: 0
    .kernarg_segment_align: 8
    .kernarg_segment_size: 88
    .language:       OpenCL C
    .language_version:
      - 2
      - 0
    .max_flat_workgroup_size: 256
    .name:           _ZN7rocprim17ROCPRIM_400000_NS6detail17trampoline_kernelINS0_14default_configENS1_36segmented_radix_sort_config_selectorIdlEEZNS1_25segmented_radix_sort_implIS3_Lb1EPKdPdPKlPlN2at6native12_GLOBAL__N_18offset_tEEE10hipError_tPvRmT1_PNSt15iterator_traitsISK_E10value_typeET2_T3_PNSL_ISQ_E10value_typeET4_jRbjT5_SW_jjP12ihipStream_tbEUlT_E0_NS1_11comp_targetILNS1_3genE3ELNS1_11target_archE908ELNS1_3gpuE7ELNS1_3repE0EEENS1_60segmented_radix_sort_warp_sort_medium_config_static_selectorELNS0_4arch9wavefront6targetE1EEEvSK_
    .private_segment_fixed_size: 0
    .sgpr_count:     4
    .sgpr_spill_count: 0
    .symbol:         _ZN7rocprim17ROCPRIM_400000_NS6detail17trampoline_kernelINS0_14default_configENS1_36segmented_radix_sort_config_selectorIdlEEZNS1_25segmented_radix_sort_implIS3_Lb1EPKdPdPKlPlN2at6native12_GLOBAL__N_18offset_tEEE10hipError_tPvRmT1_PNSt15iterator_traitsISK_E10value_typeET2_T3_PNSL_ISQ_E10value_typeET4_jRbjT5_SW_jjP12ihipStream_tbEUlT_E0_NS1_11comp_targetILNS1_3genE3ELNS1_11target_archE908ELNS1_3gpuE7ELNS1_3repE0EEENS1_60segmented_radix_sort_warp_sort_medium_config_static_selectorELNS0_4arch9wavefront6targetE1EEEvSK_.kd
    .uniform_work_group_size: 1
    .uses_dynamic_stack: false
    .vgpr_count:     0
    .vgpr_spill_count: 0
    .wavefront_size: 64
  - .agpr_count:     0
    .args:
      - .offset:         0
        .size:           88
        .value_kind:     by_value
    .group_segment_fixed_size: 0
    .kernarg_segment_align: 8
    .kernarg_segment_size: 88
    .language:       OpenCL C
    .language_version:
      - 2
      - 0
    .max_flat_workgroup_size: 256
    .name:           _ZN7rocprim17ROCPRIM_400000_NS6detail17trampoline_kernelINS0_14default_configENS1_36segmented_radix_sort_config_selectorIdlEEZNS1_25segmented_radix_sort_implIS3_Lb1EPKdPdPKlPlN2at6native12_GLOBAL__N_18offset_tEEE10hipError_tPvRmT1_PNSt15iterator_traitsISK_E10value_typeET2_T3_PNSL_ISQ_E10value_typeET4_jRbjT5_SW_jjP12ihipStream_tbEUlT_E0_NS1_11comp_targetILNS1_3genE2ELNS1_11target_archE906ELNS1_3gpuE6ELNS1_3repE0EEENS1_60segmented_radix_sort_warp_sort_medium_config_static_selectorELNS0_4arch9wavefront6targetE1EEEvSK_
    .private_segment_fixed_size: 0
    .sgpr_count:     4
    .sgpr_spill_count: 0
    .symbol:         _ZN7rocprim17ROCPRIM_400000_NS6detail17trampoline_kernelINS0_14default_configENS1_36segmented_radix_sort_config_selectorIdlEEZNS1_25segmented_radix_sort_implIS3_Lb1EPKdPdPKlPlN2at6native12_GLOBAL__N_18offset_tEEE10hipError_tPvRmT1_PNSt15iterator_traitsISK_E10value_typeET2_T3_PNSL_ISQ_E10value_typeET4_jRbjT5_SW_jjP12ihipStream_tbEUlT_E0_NS1_11comp_targetILNS1_3genE2ELNS1_11target_archE906ELNS1_3gpuE6ELNS1_3repE0EEENS1_60segmented_radix_sort_warp_sort_medium_config_static_selectorELNS0_4arch9wavefront6targetE1EEEvSK_.kd
    .uniform_work_group_size: 1
    .uses_dynamic_stack: false
    .vgpr_count:     0
    .vgpr_spill_count: 0
    .wavefront_size: 64
  - .agpr_count:     0
    .args:
      - .offset:         0
        .size:           88
        .value_kind:     by_value
    .group_segment_fixed_size: 0
    .kernarg_segment_align: 8
    .kernarg_segment_size: 88
    .language:       OpenCL C
    .language_version:
      - 2
      - 0
    .max_flat_workgroup_size: 256
    .name:           _ZN7rocprim17ROCPRIM_400000_NS6detail17trampoline_kernelINS0_14default_configENS1_36segmented_radix_sort_config_selectorIdlEEZNS1_25segmented_radix_sort_implIS3_Lb1EPKdPdPKlPlN2at6native12_GLOBAL__N_18offset_tEEE10hipError_tPvRmT1_PNSt15iterator_traitsISK_E10value_typeET2_T3_PNSL_ISQ_E10value_typeET4_jRbjT5_SW_jjP12ihipStream_tbEUlT_E0_NS1_11comp_targetILNS1_3genE10ELNS1_11target_archE1201ELNS1_3gpuE5ELNS1_3repE0EEENS1_60segmented_radix_sort_warp_sort_medium_config_static_selectorELNS0_4arch9wavefront6targetE1EEEvSK_
    .private_segment_fixed_size: 0
    .sgpr_count:     4
    .sgpr_spill_count: 0
    .symbol:         _ZN7rocprim17ROCPRIM_400000_NS6detail17trampoline_kernelINS0_14default_configENS1_36segmented_radix_sort_config_selectorIdlEEZNS1_25segmented_radix_sort_implIS3_Lb1EPKdPdPKlPlN2at6native12_GLOBAL__N_18offset_tEEE10hipError_tPvRmT1_PNSt15iterator_traitsISK_E10value_typeET2_T3_PNSL_ISQ_E10value_typeET4_jRbjT5_SW_jjP12ihipStream_tbEUlT_E0_NS1_11comp_targetILNS1_3genE10ELNS1_11target_archE1201ELNS1_3gpuE5ELNS1_3repE0EEENS1_60segmented_radix_sort_warp_sort_medium_config_static_selectorELNS0_4arch9wavefront6targetE1EEEvSK_.kd
    .uniform_work_group_size: 1
    .uses_dynamic_stack: false
    .vgpr_count:     0
    .vgpr_spill_count: 0
    .wavefront_size: 64
  - .agpr_count:     0
    .args:
      - .offset:         0
        .size:           88
        .value_kind:     by_value
    .group_segment_fixed_size: 0
    .kernarg_segment_align: 8
    .kernarg_segment_size: 88
    .language:       OpenCL C
    .language_version:
      - 2
      - 0
    .max_flat_workgroup_size: 256
    .name:           _ZN7rocprim17ROCPRIM_400000_NS6detail17trampoline_kernelINS0_14default_configENS1_36segmented_radix_sort_config_selectorIdlEEZNS1_25segmented_radix_sort_implIS3_Lb1EPKdPdPKlPlN2at6native12_GLOBAL__N_18offset_tEEE10hipError_tPvRmT1_PNSt15iterator_traitsISK_E10value_typeET2_T3_PNSL_ISQ_E10value_typeET4_jRbjT5_SW_jjP12ihipStream_tbEUlT_E0_NS1_11comp_targetILNS1_3genE10ELNS1_11target_archE1200ELNS1_3gpuE4ELNS1_3repE0EEENS1_60segmented_radix_sort_warp_sort_medium_config_static_selectorELNS0_4arch9wavefront6targetE1EEEvSK_
    .private_segment_fixed_size: 0
    .sgpr_count:     4
    .sgpr_spill_count: 0
    .symbol:         _ZN7rocprim17ROCPRIM_400000_NS6detail17trampoline_kernelINS0_14default_configENS1_36segmented_radix_sort_config_selectorIdlEEZNS1_25segmented_radix_sort_implIS3_Lb1EPKdPdPKlPlN2at6native12_GLOBAL__N_18offset_tEEE10hipError_tPvRmT1_PNSt15iterator_traitsISK_E10value_typeET2_T3_PNSL_ISQ_E10value_typeET4_jRbjT5_SW_jjP12ihipStream_tbEUlT_E0_NS1_11comp_targetILNS1_3genE10ELNS1_11target_archE1200ELNS1_3gpuE4ELNS1_3repE0EEENS1_60segmented_radix_sort_warp_sort_medium_config_static_selectorELNS0_4arch9wavefront6targetE1EEEvSK_.kd
    .uniform_work_group_size: 1
    .uses_dynamic_stack: false
    .vgpr_count:     0
    .vgpr_spill_count: 0
    .wavefront_size: 64
  - .agpr_count:     0
    .args:
      - .offset:         0
        .size:           88
        .value_kind:     by_value
    .group_segment_fixed_size: 0
    .kernarg_segment_align: 8
    .kernarg_segment_size: 88
    .language:       OpenCL C
    .language_version:
      - 2
      - 0
    .max_flat_workgroup_size: 256
    .name:           _ZN7rocprim17ROCPRIM_400000_NS6detail17trampoline_kernelINS0_14default_configENS1_36segmented_radix_sort_config_selectorIdlEEZNS1_25segmented_radix_sort_implIS3_Lb1EPKdPdPKlPlN2at6native12_GLOBAL__N_18offset_tEEE10hipError_tPvRmT1_PNSt15iterator_traitsISK_E10value_typeET2_T3_PNSL_ISQ_E10value_typeET4_jRbjT5_SW_jjP12ihipStream_tbEUlT_E0_NS1_11comp_targetILNS1_3genE9ELNS1_11target_archE1100ELNS1_3gpuE3ELNS1_3repE0EEENS1_60segmented_radix_sort_warp_sort_medium_config_static_selectorELNS0_4arch9wavefront6targetE1EEEvSK_
    .private_segment_fixed_size: 0
    .sgpr_count:     4
    .sgpr_spill_count: 0
    .symbol:         _ZN7rocprim17ROCPRIM_400000_NS6detail17trampoline_kernelINS0_14default_configENS1_36segmented_radix_sort_config_selectorIdlEEZNS1_25segmented_radix_sort_implIS3_Lb1EPKdPdPKlPlN2at6native12_GLOBAL__N_18offset_tEEE10hipError_tPvRmT1_PNSt15iterator_traitsISK_E10value_typeET2_T3_PNSL_ISQ_E10value_typeET4_jRbjT5_SW_jjP12ihipStream_tbEUlT_E0_NS1_11comp_targetILNS1_3genE9ELNS1_11target_archE1100ELNS1_3gpuE3ELNS1_3repE0EEENS1_60segmented_radix_sort_warp_sort_medium_config_static_selectorELNS0_4arch9wavefront6targetE1EEEvSK_.kd
    .uniform_work_group_size: 1
    .uses_dynamic_stack: false
    .vgpr_count:     0
    .vgpr_spill_count: 0
    .wavefront_size: 64
  - .agpr_count:     0
    .args:
      - .offset:         0
        .size:           88
        .value_kind:     by_value
    .group_segment_fixed_size: 0
    .kernarg_segment_align: 8
    .kernarg_segment_size: 88
    .language:       OpenCL C
    .language_version:
      - 2
      - 0
    .max_flat_workgroup_size: 256
    .name:           _ZN7rocprim17ROCPRIM_400000_NS6detail17trampoline_kernelINS0_14default_configENS1_36segmented_radix_sort_config_selectorIdlEEZNS1_25segmented_radix_sort_implIS3_Lb1EPKdPdPKlPlN2at6native12_GLOBAL__N_18offset_tEEE10hipError_tPvRmT1_PNSt15iterator_traitsISK_E10value_typeET2_T3_PNSL_ISQ_E10value_typeET4_jRbjT5_SW_jjP12ihipStream_tbEUlT_E0_NS1_11comp_targetILNS1_3genE8ELNS1_11target_archE1030ELNS1_3gpuE2ELNS1_3repE0EEENS1_60segmented_radix_sort_warp_sort_medium_config_static_selectorELNS0_4arch9wavefront6targetE1EEEvSK_
    .private_segment_fixed_size: 0
    .sgpr_count:     4
    .sgpr_spill_count: 0
    .symbol:         _ZN7rocprim17ROCPRIM_400000_NS6detail17trampoline_kernelINS0_14default_configENS1_36segmented_radix_sort_config_selectorIdlEEZNS1_25segmented_radix_sort_implIS3_Lb1EPKdPdPKlPlN2at6native12_GLOBAL__N_18offset_tEEE10hipError_tPvRmT1_PNSt15iterator_traitsISK_E10value_typeET2_T3_PNSL_ISQ_E10value_typeET4_jRbjT5_SW_jjP12ihipStream_tbEUlT_E0_NS1_11comp_targetILNS1_3genE8ELNS1_11target_archE1030ELNS1_3gpuE2ELNS1_3repE0EEENS1_60segmented_radix_sort_warp_sort_medium_config_static_selectorELNS0_4arch9wavefront6targetE1EEEvSK_.kd
    .uniform_work_group_size: 1
    .uses_dynamic_stack: false
    .vgpr_count:     0
    .vgpr_spill_count: 0
    .wavefront_size: 64
  - .agpr_count:     0
    .args:
      - .offset:         0
        .size:           88
        .value_kind:     by_value
    .group_segment_fixed_size: 0
    .kernarg_segment_align: 8
    .kernarg_segment_size: 88
    .language:       OpenCL C
    .language_version:
      - 2
      - 0
    .max_flat_workgroup_size: 256
    .name:           _ZN7rocprim17ROCPRIM_400000_NS6detail17trampoline_kernelINS0_14default_configENS1_36segmented_radix_sort_config_selectorIdlEEZNS1_25segmented_radix_sort_implIS3_Lb1EPKdPdPKlPlN2at6native12_GLOBAL__N_18offset_tEEE10hipError_tPvRmT1_PNSt15iterator_traitsISK_E10value_typeET2_T3_PNSL_ISQ_E10value_typeET4_jRbjT5_SW_jjP12ihipStream_tbEUlT_E1_NS1_11comp_targetILNS1_3genE0ELNS1_11target_archE4294967295ELNS1_3gpuE0ELNS1_3repE0EEENS1_59segmented_radix_sort_warp_sort_small_config_static_selectorELNS0_4arch9wavefront6targetE1EEEvSK_
    .private_segment_fixed_size: 0
    .sgpr_count:     4
    .sgpr_spill_count: 0
    .symbol:         _ZN7rocprim17ROCPRIM_400000_NS6detail17trampoline_kernelINS0_14default_configENS1_36segmented_radix_sort_config_selectorIdlEEZNS1_25segmented_radix_sort_implIS3_Lb1EPKdPdPKlPlN2at6native12_GLOBAL__N_18offset_tEEE10hipError_tPvRmT1_PNSt15iterator_traitsISK_E10value_typeET2_T3_PNSL_ISQ_E10value_typeET4_jRbjT5_SW_jjP12ihipStream_tbEUlT_E1_NS1_11comp_targetILNS1_3genE0ELNS1_11target_archE4294967295ELNS1_3gpuE0ELNS1_3repE0EEENS1_59segmented_radix_sort_warp_sort_small_config_static_selectorELNS0_4arch9wavefront6targetE1EEEvSK_.kd
    .uniform_work_group_size: 1
    .uses_dynamic_stack: false
    .vgpr_count:     0
    .vgpr_spill_count: 0
    .wavefront_size: 64
  - .agpr_count:     0
    .args:
      - .offset:         0
        .size:           88
        .value_kind:     by_value
    .group_segment_fixed_size: 0
    .kernarg_segment_align: 8
    .kernarg_segment_size: 88
    .language:       OpenCL C
    .language_version:
      - 2
      - 0
    .max_flat_workgroup_size: 256
    .name:           _ZN7rocprim17ROCPRIM_400000_NS6detail17trampoline_kernelINS0_14default_configENS1_36segmented_radix_sort_config_selectorIdlEEZNS1_25segmented_radix_sort_implIS3_Lb1EPKdPdPKlPlN2at6native12_GLOBAL__N_18offset_tEEE10hipError_tPvRmT1_PNSt15iterator_traitsISK_E10value_typeET2_T3_PNSL_ISQ_E10value_typeET4_jRbjT5_SW_jjP12ihipStream_tbEUlT_E1_NS1_11comp_targetILNS1_3genE5ELNS1_11target_archE942ELNS1_3gpuE9ELNS1_3repE0EEENS1_59segmented_radix_sort_warp_sort_small_config_static_selectorELNS0_4arch9wavefront6targetE1EEEvSK_
    .private_segment_fixed_size: 0
    .sgpr_count:     4
    .sgpr_spill_count: 0
    .symbol:         _ZN7rocprim17ROCPRIM_400000_NS6detail17trampoline_kernelINS0_14default_configENS1_36segmented_radix_sort_config_selectorIdlEEZNS1_25segmented_radix_sort_implIS3_Lb1EPKdPdPKlPlN2at6native12_GLOBAL__N_18offset_tEEE10hipError_tPvRmT1_PNSt15iterator_traitsISK_E10value_typeET2_T3_PNSL_ISQ_E10value_typeET4_jRbjT5_SW_jjP12ihipStream_tbEUlT_E1_NS1_11comp_targetILNS1_3genE5ELNS1_11target_archE942ELNS1_3gpuE9ELNS1_3repE0EEENS1_59segmented_radix_sort_warp_sort_small_config_static_selectorELNS0_4arch9wavefront6targetE1EEEvSK_.kd
    .uniform_work_group_size: 1
    .uses_dynamic_stack: false
    .vgpr_count:     0
    .vgpr_spill_count: 0
    .wavefront_size: 64
  - .agpr_count:     0
    .args:
      - .offset:         0
        .size:           88
        .value_kind:     by_value
      - .offset:         88
        .size:           4
        .value_kind:     hidden_block_count_x
      - .offset:         92
        .size:           4
        .value_kind:     hidden_block_count_y
      - .offset:         96
        .size:           4
        .value_kind:     hidden_block_count_z
      - .offset:         100
        .size:           2
        .value_kind:     hidden_group_size_x
      - .offset:         102
        .size:           2
        .value_kind:     hidden_group_size_y
      - .offset:         104
        .size:           2
        .value_kind:     hidden_group_size_z
      - .offset:         106
        .size:           2
        .value_kind:     hidden_remainder_x
      - .offset:         108
        .size:           2
        .value_kind:     hidden_remainder_y
      - .offset:         110
        .size:           2
        .value_kind:     hidden_remainder_z
      - .offset:         128
        .size:           8
        .value_kind:     hidden_global_offset_x
      - .offset:         136
        .size:           8
        .value_kind:     hidden_global_offset_y
      - .offset:         144
        .size:           8
        .value_kind:     hidden_global_offset_z
      - .offset:         152
        .size:           2
        .value_kind:     hidden_grid_dims
      - .offset:         168
        .size:           8
        .value_kind:     hidden_hostcall_buffer
      - .offset:         176
        .size:           8
        .value_kind:     hidden_multigrid_sync_arg
      - .offset:         184
        .size:           8
        .value_kind:     hidden_heap_v1
      - .offset:         192
        .size:           8
        .value_kind:     hidden_default_queue
      - .offset:         200
        .size:           8
        .value_kind:     hidden_completion_action
      - .offset:         288
        .size:           8
        .value_kind:     hidden_queue_ptr
    .group_segment_fixed_size: 16384
    .kernarg_segment_align: 8
    .kernarg_segment_size: 344
    .language:       OpenCL C
    .language_version:
      - 2
      - 0
    .max_flat_workgroup_size: 256
    .name:           _ZN7rocprim17ROCPRIM_400000_NS6detail17trampoline_kernelINS0_14default_configENS1_36segmented_radix_sort_config_selectorIdlEEZNS1_25segmented_radix_sort_implIS3_Lb1EPKdPdPKlPlN2at6native12_GLOBAL__N_18offset_tEEE10hipError_tPvRmT1_PNSt15iterator_traitsISK_E10value_typeET2_T3_PNSL_ISQ_E10value_typeET4_jRbjT5_SW_jjP12ihipStream_tbEUlT_E1_NS1_11comp_targetILNS1_3genE4ELNS1_11target_archE910ELNS1_3gpuE8ELNS1_3repE0EEENS1_59segmented_radix_sort_warp_sort_small_config_static_selectorELNS0_4arch9wavefront6targetE1EEEvSK_
    .private_segment_fixed_size: 8
    .sgpr_count:     39
    .sgpr_spill_count: 0
    .symbol:         _ZN7rocprim17ROCPRIM_400000_NS6detail17trampoline_kernelINS0_14default_configENS1_36segmented_radix_sort_config_selectorIdlEEZNS1_25segmented_radix_sort_implIS3_Lb1EPKdPdPKlPlN2at6native12_GLOBAL__N_18offset_tEEE10hipError_tPvRmT1_PNSt15iterator_traitsISK_E10value_typeET2_T3_PNSL_ISQ_E10value_typeET4_jRbjT5_SW_jjP12ihipStream_tbEUlT_E1_NS1_11comp_targetILNS1_3genE4ELNS1_11target_archE910ELNS1_3gpuE8ELNS1_3repE0EEENS1_59segmented_radix_sort_warp_sort_small_config_static_selectorELNS0_4arch9wavefront6targetE1EEEvSK_.kd
    .uniform_work_group_size: 1
    .uses_dynamic_stack: false
    .vgpr_count:     101
    .vgpr_spill_count: 0
    .wavefront_size: 64
  - .agpr_count:     0
    .args:
      - .offset:         0
        .size:           88
        .value_kind:     by_value
    .group_segment_fixed_size: 0
    .kernarg_segment_align: 8
    .kernarg_segment_size: 88
    .language:       OpenCL C
    .language_version:
      - 2
      - 0
    .max_flat_workgroup_size: 256
    .name:           _ZN7rocprim17ROCPRIM_400000_NS6detail17trampoline_kernelINS0_14default_configENS1_36segmented_radix_sort_config_selectorIdlEEZNS1_25segmented_radix_sort_implIS3_Lb1EPKdPdPKlPlN2at6native12_GLOBAL__N_18offset_tEEE10hipError_tPvRmT1_PNSt15iterator_traitsISK_E10value_typeET2_T3_PNSL_ISQ_E10value_typeET4_jRbjT5_SW_jjP12ihipStream_tbEUlT_E1_NS1_11comp_targetILNS1_3genE3ELNS1_11target_archE908ELNS1_3gpuE7ELNS1_3repE0EEENS1_59segmented_radix_sort_warp_sort_small_config_static_selectorELNS0_4arch9wavefront6targetE1EEEvSK_
    .private_segment_fixed_size: 0
    .sgpr_count:     4
    .sgpr_spill_count: 0
    .symbol:         _ZN7rocprim17ROCPRIM_400000_NS6detail17trampoline_kernelINS0_14default_configENS1_36segmented_radix_sort_config_selectorIdlEEZNS1_25segmented_radix_sort_implIS3_Lb1EPKdPdPKlPlN2at6native12_GLOBAL__N_18offset_tEEE10hipError_tPvRmT1_PNSt15iterator_traitsISK_E10value_typeET2_T3_PNSL_ISQ_E10value_typeET4_jRbjT5_SW_jjP12ihipStream_tbEUlT_E1_NS1_11comp_targetILNS1_3genE3ELNS1_11target_archE908ELNS1_3gpuE7ELNS1_3repE0EEENS1_59segmented_radix_sort_warp_sort_small_config_static_selectorELNS0_4arch9wavefront6targetE1EEEvSK_.kd
    .uniform_work_group_size: 1
    .uses_dynamic_stack: false
    .vgpr_count:     0
    .vgpr_spill_count: 0
    .wavefront_size: 64
  - .agpr_count:     0
    .args:
      - .offset:         0
        .size:           88
        .value_kind:     by_value
    .group_segment_fixed_size: 0
    .kernarg_segment_align: 8
    .kernarg_segment_size: 88
    .language:       OpenCL C
    .language_version:
      - 2
      - 0
    .max_flat_workgroup_size: 256
    .name:           _ZN7rocprim17ROCPRIM_400000_NS6detail17trampoline_kernelINS0_14default_configENS1_36segmented_radix_sort_config_selectorIdlEEZNS1_25segmented_radix_sort_implIS3_Lb1EPKdPdPKlPlN2at6native12_GLOBAL__N_18offset_tEEE10hipError_tPvRmT1_PNSt15iterator_traitsISK_E10value_typeET2_T3_PNSL_ISQ_E10value_typeET4_jRbjT5_SW_jjP12ihipStream_tbEUlT_E1_NS1_11comp_targetILNS1_3genE2ELNS1_11target_archE906ELNS1_3gpuE6ELNS1_3repE0EEENS1_59segmented_radix_sort_warp_sort_small_config_static_selectorELNS0_4arch9wavefront6targetE1EEEvSK_
    .private_segment_fixed_size: 0
    .sgpr_count:     4
    .sgpr_spill_count: 0
    .symbol:         _ZN7rocprim17ROCPRIM_400000_NS6detail17trampoline_kernelINS0_14default_configENS1_36segmented_radix_sort_config_selectorIdlEEZNS1_25segmented_radix_sort_implIS3_Lb1EPKdPdPKlPlN2at6native12_GLOBAL__N_18offset_tEEE10hipError_tPvRmT1_PNSt15iterator_traitsISK_E10value_typeET2_T3_PNSL_ISQ_E10value_typeET4_jRbjT5_SW_jjP12ihipStream_tbEUlT_E1_NS1_11comp_targetILNS1_3genE2ELNS1_11target_archE906ELNS1_3gpuE6ELNS1_3repE0EEENS1_59segmented_radix_sort_warp_sort_small_config_static_selectorELNS0_4arch9wavefront6targetE1EEEvSK_.kd
    .uniform_work_group_size: 1
    .uses_dynamic_stack: false
    .vgpr_count:     0
    .vgpr_spill_count: 0
    .wavefront_size: 64
  - .agpr_count:     0
    .args:
      - .offset:         0
        .size:           88
        .value_kind:     by_value
    .group_segment_fixed_size: 0
    .kernarg_segment_align: 8
    .kernarg_segment_size: 88
    .language:       OpenCL C
    .language_version:
      - 2
      - 0
    .max_flat_workgroup_size: 256
    .name:           _ZN7rocprim17ROCPRIM_400000_NS6detail17trampoline_kernelINS0_14default_configENS1_36segmented_radix_sort_config_selectorIdlEEZNS1_25segmented_radix_sort_implIS3_Lb1EPKdPdPKlPlN2at6native12_GLOBAL__N_18offset_tEEE10hipError_tPvRmT1_PNSt15iterator_traitsISK_E10value_typeET2_T3_PNSL_ISQ_E10value_typeET4_jRbjT5_SW_jjP12ihipStream_tbEUlT_E1_NS1_11comp_targetILNS1_3genE10ELNS1_11target_archE1201ELNS1_3gpuE5ELNS1_3repE0EEENS1_59segmented_radix_sort_warp_sort_small_config_static_selectorELNS0_4arch9wavefront6targetE1EEEvSK_
    .private_segment_fixed_size: 0
    .sgpr_count:     4
    .sgpr_spill_count: 0
    .symbol:         _ZN7rocprim17ROCPRIM_400000_NS6detail17trampoline_kernelINS0_14default_configENS1_36segmented_radix_sort_config_selectorIdlEEZNS1_25segmented_radix_sort_implIS3_Lb1EPKdPdPKlPlN2at6native12_GLOBAL__N_18offset_tEEE10hipError_tPvRmT1_PNSt15iterator_traitsISK_E10value_typeET2_T3_PNSL_ISQ_E10value_typeET4_jRbjT5_SW_jjP12ihipStream_tbEUlT_E1_NS1_11comp_targetILNS1_3genE10ELNS1_11target_archE1201ELNS1_3gpuE5ELNS1_3repE0EEENS1_59segmented_radix_sort_warp_sort_small_config_static_selectorELNS0_4arch9wavefront6targetE1EEEvSK_.kd
    .uniform_work_group_size: 1
    .uses_dynamic_stack: false
    .vgpr_count:     0
    .vgpr_spill_count: 0
    .wavefront_size: 64
  - .agpr_count:     0
    .args:
      - .offset:         0
        .size:           88
        .value_kind:     by_value
    .group_segment_fixed_size: 0
    .kernarg_segment_align: 8
    .kernarg_segment_size: 88
    .language:       OpenCL C
    .language_version:
      - 2
      - 0
    .max_flat_workgroup_size: 256
    .name:           _ZN7rocprim17ROCPRIM_400000_NS6detail17trampoline_kernelINS0_14default_configENS1_36segmented_radix_sort_config_selectorIdlEEZNS1_25segmented_radix_sort_implIS3_Lb1EPKdPdPKlPlN2at6native12_GLOBAL__N_18offset_tEEE10hipError_tPvRmT1_PNSt15iterator_traitsISK_E10value_typeET2_T3_PNSL_ISQ_E10value_typeET4_jRbjT5_SW_jjP12ihipStream_tbEUlT_E1_NS1_11comp_targetILNS1_3genE10ELNS1_11target_archE1200ELNS1_3gpuE4ELNS1_3repE0EEENS1_59segmented_radix_sort_warp_sort_small_config_static_selectorELNS0_4arch9wavefront6targetE1EEEvSK_
    .private_segment_fixed_size: 0
    .sgpr_count:     4
    .sgpr_spill_count: 0
    .symbol:         _ZN7rocprim17ROCPRIM_400000_NS6detail17trampoline_kernelINS0_14default_configENS1_36segmented_radix_sort_config_selectorIdlEEZNS1_25segmented_radix_sort_implIS3_Lb1EPKdPdPKlPlN2at6native12_GLOBAL__N_18offset_tEEE10hipError_tPvRmT1_PNSt15iterator_traitsISK_E10value_typeET2_T3_PNSL_ISQ_E10value_typeET4_jRbjT5_SW_jjP12ihipStream_tbEUlT_E1_NS1_11comp_targetILNS1_3genE10ELNS1_11target_archE1200ELNS1_3gpuE4ELNS1_3repE0EEENS1_59segmented_radix_sort_warp_sort_small_config_static_selectorELNS0_4arch9wavefront6targetE1EEEvSK_.kd
    .uniform_work_group_size: 1
    .uses_dynamic_stack: false
    .vgpr_count:     0
    .vgpr_spill_count: 0
    .wavefront_size: 64
  - .agpr_count:     0
    .args:
      - .offset:         0
        .size:           88
        .value_kind:     by_value
    .group_segment_fixed_size: 0
    .kernarg_segment_align: 8
    .kernarg_segment_size: 88
    .language:       OpenCL C
    .language_version:
      - 2
      - 0
    .max_flat_workgroup_size: 256
    .name:           _ZN7rocprim17ROCPRIM_400000_NS6detail17trampoline_kernelINS0_14default_configENS1_36segmented_radix_sort_config_selectorIdlEEZNS1_25segmented_radix_sort_implIS3_Lb1EPKdPdPKlPlN2at6native12_GLOBAL__N_18offset_tEEE10hipError_tPvRmT1_PNSt15iterator_traitsISK_E10value_typeET2_T3_PNSL_ISQ_E10value_typeET4_jRbjT5_SW_jjP12ihipStream_tbEUlT_E1_NS1_11comp_targetILNS1_3genE9ELNS1_11target_archE1100ELNS1_3gpuE3ELNS1_3repE0EEENS1_59segmented_radix_sort_warp_sort_small_config_static_selectorELNS0_4arch9wavefront6targetE1EEEvSK_
    .private_segment_fixed_size: 0
    .sgpr_count:     4
    .sgpr_spill_count: 0
    .symbol:         _ZN7rocprim17ROCPRIM_400000_NS6detail17trampoline_kernelINS0_14default_configENS1_36segmented_radix_sort_config_selectorIdlEEZNS1_25segmented_radix_sort_implIS3_Lb1EPKdPdPKlPlN2at6native12_GLOBAL__N_18offset_tEEE10hipError_tPvRmT1_PNSt15iterator_traitsISK_E10value_typeET2_T3_PNSL_ISQ_E10value_typeET4_jRbjT5_SW_jjP12ihipStream_tbEUlT_E1_NS1_11comp_targetILNS1_3genE9ELNS1_11target_archE1100ELNS1_3gpuE3ELNS1_3repE0EEENS1_59segmented_radix_sort_warp_sort_small_config_static_selectorELNS0_4arch9wavefront6targetE1EEEvSK_.kd
    .uniform_work_group_size: 1
    .uses_dynamic_stack: false
    .vgpr_count:     0
    .vgpr_spill_count: 0
    .wavefront_size: 64
  - .agpr_count:     0
    .args:
      - .offset:         0
        .size:           88
        .value_kind:     by_value
    .group_segment_fixed_size: 0
    .kernarg_segment_align: 8
    .kernarg_segment_size: 88
    .language:       OpenCL C
    .language_version:
      - 2
      - 0
    .max_flat_workgroup_size: 256
    .name:           _ZN7rocprim17ROCPRIM_400000_NS6detail17trampoline_kernelINS0_14default_configENS1_36segmented_radix_sort_config_selectorIdlEEZNS1_25segmented_radix_sort_implIS3_Lb1EPKdPdPKlPlN2at6native12_GLOBAL__N_18offset_tEEE10hipError_tPvRmT1_PNSt15iterator_traitsISK_E10value_typeET2_T3_PNSL_ISQ_E10value_typeET4_jRbjT5_SW_jjP12ihipStream_tbEUlT_E1_NS1_11comp_targetILNS1_3genE8ELNS1_11target_archE1030ELNS1_3gpuE2ELNS1_3repE0EEENS1_59segmented_radix_sort_warp_sort_small_config_static_selectorELNS0_4arch9wavefront6targetE1EEEvSK_
    .private_segment_fixed_size: 0
    .sgpr_count:     4
    .sgpr_spill_count: 0
    .symbol:         _ZN7rocprim17ROCPRIM_400000_NS6detail17trampoline_kernelINS0_14default_configENS1_36segmented_radix_sort_config_selectorIdlEEZNS1_25segmented_radix_sort_implIS3_Lb1EPKdPdPKlPlN2at6native12_GLOBAL__N_18offset_tEEE10hipError_tPvRmT1_PNSt15iterator_traitsISK_E10value_typeET2_T3_PNSL_ISQ_E10value_typeET4_jRbjT5_SW_jjP12ihipStream_tbEUlT_E1_NS1_11comp_targetILNS1_3genE8ELNS1_11target_archE1030ELNS1_3gpuE2ELNS1_3repE0EEENS1_59segmented_radix_sort_warp_sort_small_config_static_selectorELNS0_4arch9wavefront6targetE1EEEvSK_.kd
    .uniform_work_group_size: 1
    .uses_dynamic_stack: false
    .vgpr_count:     0
    .vgpr_spill_count: 0
    .wavefront_size: 64
  - .agpr_count:     0
    .args:
      - .offset:         0
        .size:           80
        .value_kind:     by_value
    .group_segment_fixed_size: 0
    .kernarg_segment_align: 8
    .kernarg_segment_size: 80
    .language:       OpenCL C
    .language_version:
      - 2
      - 0
    .max_flat_workgroup_size: 256
    .name:           _ZN7rocprim17ROCPRIM_400000_NS6detail17trampoline_kernelINS0_14default_configENS1_36segmented_radix_sort_config_selectorIdlEEZNS1_25segmented_radix_sort_implIS3_Lb1EPKdPdPKlPlN2at6native12_GLOBAL__N_18offset_tEEE10hipError_tPvRmT1_PNSt15iterator_traitsISK_E10value_typeET2_T3_PNSL_ISQ_E10value_typeET4_jRbjT5_SW_jjP12ihipStream_tbEUlT_E2_NS1_11comp_targetILNS1_3genE0ELNS1_11target_archE4294967295ELNS1_3gpuE0ELNS1_3repE0EEENS1_30default_config_static_selectorELNS0_4arch9wavefront6targetE1EEEvSK_
    .private_segment_fixed_size: 0
    .sgpr_count:     4
    .sgpr_spill_count: 0
    .symbol:         _ZN7rocprim17ROCPRIM_400000_NS6detail17trampoline_kernelINS0_14default_configENS1_36segmented_radix_sort_config_selectorIdlEEZNS1_25segmented_radix_sort_implIS3_Lb1EPKdPdPKlPlN2at6native12_GLOBAL__N_18offset_tEEE10hipError_tPvRmT1_PNSt15iterator_traitsISK_E10value_typeET2_T3_PNSL_ISQ_E10value_typeET4_jRbjT5_SW_jjP12ihipStream_tbEUlT_E2_NS1_11comp_targetILNS1_3genE0ELNS1_11target_archE4294967295ELNS1_3gpuE0ELNS1_3repE0EEENS1_30default_config_static_selectorELNS0_4arch9wavefront6targetE1EEEvSK_.kd
    .uniform_work_group_size: 1
    .uses_dynamic_stack: false
    .vgpr_count:     0
    .vgpr_spill_count: 0
    .wavefront_size: 64
  - .agpr_count:     0
    .args:
      - .offset:         0
        .size:           80
        .value_kind:     by_value
    .group_segment_fixed_size: 0
    .kernarg_segment_align: 8
    .kernarg_segment_size: 80
    .language:       OpenCL C
    .language_version:
      - 2
      - 0
    .max_flat_workgroup_size: 256
    .name:           _ZN7rocprim17ROCPRIM_400000_NS6detail17trampoline_kernelINS0_14default_configENS1_36segmented_radix_sort_config_selectorIdlEEZNS1_25segmented_radix_sort_implIS3_Lb1EPKdPdPKlPlN2at6native12_GLOBAL__N_18offset_tEEE10hipError_tPvRmT1_PNSt15iterator_traitsISK_E10value_typeET2_T3_PNSL_ISQ_E10value_typeET4_jRbjT5_SW_jjP12ihipStream_tbEUlT_E2_NS1_11comp_targetILNS1_3genE5ELNS1_11target_archE942ELNS1_3gpuE9ELNS1_3repE0EEENS1_30default_config_static_selectorELNS0_4arch9wavefront6targetE1EEEvSK_
    .private_segment_fixed_size: 0
    .sgpr_count:     4
    .sgpr_spill_count: 0
    .symbol:         _ZN7rocprim17ROCPRIM_400000_NS6detail17trampoline_kernelINS0_14default_configENS1_36segmented_radix_sort_config_selectorIdlEEZNS1_25segmented_radix_sort_implIS3_Lb1EPKdPdPKlPlN2at6native12_GLOBAL__N_18offset_tEEE10hipError_tPvRmT1_PNSt15iterator_traitsISK_E10value_typeET2_T3_PNSL_ISQ_E10value_typeET4_jRbjT5_SW_jjP12ihipStream_tbEUlT_E2_NS1_11comp_targetILNS1_3genE5ELNS1_11target_archE942ELNS1_3gpuE9ELNS1_3repE0EEENS1_30default_config_static_selectorELNS0_4arch9wavefront6targetE1EEEvSK_.kd
    .uniform_work_group_size: 1
    .uses_dynamic_stack: false
    .vgpr_count:     0
    .vgpr_spill_count: 0
    .wavefront_size: 64
  - .agpr_count:     32
    .args:
      - .offset:         0
        .size:           80
        .value_kind:     by_value
      - .offset:         80
        .size:           4
        .value_kind:     hidden_block_count_x
      - .offset:         84
        .size:           4
        .value_kind:     hidden_block_count_y
      - .offset:         88
        .size:           4
        .value_kind:     hidden_block_count_z
      - .offset:         92
        .size:           2
        .value_kind:     hidden_group_size_x
      - .offset:         94
        .size:           2
        .value_kind:     hidden_group_size_y
      - .offset:         96
        .size:           2
        .value_kind:     hidden_group_size_z
      - .offset:         98
        .size:           2
        .value_kind:     hidden_remainder_x
      - .offset:         100
        .size:           2
        .value_kind:     hidden_remainder_y
      - .offset:         102
        .size:           2
        .value_kind:     hidden_remainder_z
      - .offset:         120
        .size:           8
        .value_kind:     hidden_global_offset_x
      - .offset:         128
        .size:           8
        .value_kind:     hidden_global_offset_y
      - .offset:         136
        .size:           8
        .value_kind:     hidden_global_offset_z
      - .offset:         144
        .size:           2
        .value_kind:     hidden_grid_dims
      - .offset:         160
        .size:           8
        .value_kind:     hidden_hostcall_buffer
      - .offset:         168
        .size:           8
        .value_kind:     hidden_multigrid_sync_arg
      - .offset:         176
        .size:           8
        .value_kind:     hidden_heap_v1
      - .offset:         184
        .size:           8
        .value_kind:     hidden_default_queue
      - .offset:         192
        .size:           8
        .value_kind:     hidden_completion_action
      - .offset:         280
        .size:           8
        .value_kind:     hidden_queue_ptr
    .group_segment_fixed_size: 33808
    .kernarg_segment_align: 8
    .kernarg_segment_size: 336
    .language:       OpenCL C
    .language_version:
      - 2
      - 0
    .max_flat_workgroup_size: 256
    .name:           _ZN7rocprim17ROCPRIM_400000_NS6detail17trampoline_kernelINS0_14default_configENS1_36segmented_radix_sort_config_selectorIdlEEZNS1_25segmented_radix_sort_implIS3_Lb1EPKdPdPKlPlN2at6native12_GLOBAL__N_18offset_tEEE10hipError_tPvRmT1_PNSt15iterator_traitsISK_E10value_typeET2_T3_PNSL_ISQ_E10value_typeET4_jRbjT5_SW_jjP12ihipStream_tbEUlT_E2_NS1_11comp_targetILNS1_3genE4ELNS1_11target_archE910ELNS1_3gpuE8ELNS1_3repE0EEENS1_30default_config_static_selectorELNS0_4arch9wavefront6targetE1EEEvSK_
    .private_segment_fixed_size: 132
    .sgpr_count:     106
    .sgpr_spill_count: 8
    .symbol:         _ZN7rocprim17ROCPRIM_400000_NS6detail17trampoline_kernelINS0_14default_configENS1_36segmented_radix_sort_config_selectorIdlEEZNS1_25segmented_radix_sort_implIS3_Lb1EPKdPdPKlPlN2at6native12_GLOBAL__N_18offset_tEEE10hipError_tPvRmT1_PNSt15iterator_traitsISK_E10value_typeET2_T3_PNSL_ISQ_E10value_typeET4_jRbjT5_SW_jjP12ihipStream_tbEUlT_E2_NS1_11comp_targetILNS1_3genE4ELNS1_11target_archE910ELNS1_3gpuE8ELNS1_3repE0EEENS1_30default_config_static_selectorELNS0_4arch9wavefront6targetE1EEEvSK_.kd
    .uniform_work_group_size: 1
    .uses_dynamic_stack: false
    .vgpr_count:     280
    .vgpr_spill_count: 0
    .wavefront_size: 64
  - .agpr_count:     0
    .args:
      - .offset:         0
        .size:           80
        .value_kind:     by_value
    .group_segment_fixed_size: 0
    .kernarg_segment_align: 8
    .kernarg_segment_size: 80
    .language:       OpenCL C
    .language_version:
      - 2
      - 0
    .max_flat_workgroup_size: 256
    .name:           _ZN7rocprim17ROCPRIM_400000_NS6detail17trampoline_kernelINS0_14default_configENS1_36segmented_radix_sort_config_selectorIdlEEZNS1_25segmented_radix_sort_implIS3_Lb1EPKdPdPKlPlN2at6native12_GLOBAL__N_18offset_tEEE10hipError_tPvRmT1_PNSt15iterator_traitsISK_E10value_typeET2_T3_PNSL_ISQ_E10value_typeET4_jRbjT5_SW_jjP12ihipStream_tbEUlT_E2_NS1_11comp_targetILNS1_3genE3ELNS1_11target_archE908ELNS1_3gpuE7ELNS1_3repE0EEENS1_30default_config_static_selectorELNS0_4arch9wavefront6targetE1EEEvSK_
    .private_segment_fixed_size: 0
    .sgpr_count:     4
    .sgpr_spill_count: 0
    .symbol:         _ZN7rocprim17ROCPRIM_400000_NS6detail17trampoline_kernelINS0_14default_configENS1_36segmented_radix_sort_config_selectorIdlEEZNS1_25segmented_radix_sort_implIS3_Lb1EPKdPdPKlPlN2at6native12_GLOBAL__N_18offset_tEEE10hipError_tPvRmT1_PNSt15iterator_traitsISK_E10value_typeET2_T3_PNSL_ISQ_E10value_typeET4_jRbjT5_SW_jjP12ihipStream_tbEUlT_E2_NS1_11comp_targetILNS1_3genE3ELNS1_11target_archE908ELNS1_3gpuE7ELNS1_3repE0EEENS1_30default_config_static_selectorELNS0_4arch9wavefront6targetE1EEEvSK_.kd
    .uniform_work_group_size: 1
    .uses_dynamic_stack: false
    .vgpr_count:     0
    .vgpr_spill_count: 0
    .wavefront_size: 64
  - .agpr_count:     0
    .args:
      - .offset:         0
        .size:           80
        .value_kind:     by_value
    .group_segment_fixed_size: 0
    .kernarg_segment_align: 8
    .kernarg_segment_size: 80
    .language:       OpenCL C
    .language_version:
      - 2
      - 0
    .max_flat_workgroup_size: 256
    .name:           _ZN7rocprim17ROCPRIM_400000_NS6detail17trampoline_kernelINS0_14default_configENS1_36segmented_radix_sort_config_selectorIdlEEZNS1_25segmented_radix_sort_implIS3_Lb1EPKdPdPKlPlN2at6native12_GLOBAL__N_18offset_tEEE10hipError_tPvRmT1_PNSt15iterator_traitsISK_E10value_typeET2_T3_PNSL_ISQ_E10value_typeET4_jRbjT5_SW_jjP12ihipStream_tbEUlT_E2_NS1_11comp_targetILNS1_3genE2ELNS1_11target_archE906ELNS1_3gpuE6ELNS1_3repE0EEENS1_30default_config_static_selectorELNS0_4arch9wavefront6targetE1EEEvSK_
    .private_segment_fixed_size: 0
    .sgpr_count:     4
    .sgpr_spill_count: 0
    .symbol:         _ZN7rocprim17ROCPRIM_400000_NS6detail17trampoline_kernelINS0_14default_configENS1_36segmented_radix_sort_config_selectorIdlEEZNS1_25segmented_radix_sort_implIS3_Lb1EPKdPdPKlPlN2at6native12_GLOBAL__N_18offset_tEEE10hipError_tPvRmT1_PNSt15iterator_traitsISK_E10value_typeET2_T3_PNSL_ISQ_E10value_typeET4_jRbjT5_SW_jjP12ihipStream_tbEUlT_E2_NS1_11comp_targetILNS1_3genE2ELNS1_11target_archE906ELNS1_3gpuE6ELNS1_3repE0EEENS1_30default_config_static_selectorELNS0_4arch9wavefront6targetE1EEEvSK_.kd
    .uniform_work_group_size: 1
    .uses_dynamic_stack: false
    .vgpr_count:     0
    .vgpr_spill_count: 0
    .wavefront_size: 64
  - .agpr_count:     0
    .args:
      - .offset:         0
        .size:           80
        .value_kind:     by_value
    .group_segment_fixed_size: 0
    .kernarg_segment_align: 8
    .kernarg_segment_size: 80
    .language:       OpenCL C
    .language_version:
      - 2
      - 0
    .max_flat_workgroup_size: 256
    .name:           _ZN7rocprim17ROCPRIM_400000_NS6detail17trampoline_kernelINS0_14default_configENS1_36segmented_radix_sort_config_selectorIdlEEZNS1_25segmented_radix_sort_implIS3_Lb1EPKdPdPKlPlN2at6native12_GLOBAL__N_18offset_tEEE10hipError_tPvRmT1_PNSt15iterator_traitsISK_E10value_typeET2_T3_PNSL_ISQ_E10value_typeET4_jRbjT5_SW_jjP12ihipStream_tbEUlT_E2_NS1_11comp_targetILNS1_3genE10ELNS1_11target_archE1201ELNS1_3gpuE5ELNS1_3repE0EEENS1_30default_config_static_selectorELNS0_4arch9wavefront6targetE1EEEvSK_
    .private_segment_fixed_size: 0
    .sgpr_count:     4
    .sgpr_spill_count: 0
    .symbol:         _ZN7rocprim17ROCPRIM_400000_NS6detail17trampoline_kernelINS0_14default_configENS1_36segmented_radix_sort_config_selectorIdlEEZNS1_25segmented_radix_sort_implIS3_Lb1EPKdPdPKlPlN2at6native12_GLOBAL__N_18offset_tEEE10hipError_tPvRmT1_PNSt15iterator_traitsISK_E10value_typeET2_T3_PNSL_ISQ_E10value_typeET4_jRbjT5_SW_jjP12ihipStream_tbEUlT_E2_NS1_11comp_targetILNS1_3genE10ELNS1_11target_archE1201ELNS1_3gpuE5ELNS1_3repE0EEENS1_30default_config_static_selectorELNS0_4arch9wavefront6targetE1EEEvSK_.kd
    .uniform_work_group_size: 1
    .uses_dynamic_stack: false
    .vgpr_count:     0
    .vgpr_spill_count: 0
    .wavefront_size: 64
  - .agpr_count:     0
    .args:
      - .offset:         0
        .size:           80
        .value_kind:     by_value
    .group_segment_fixed_size: 0
    .kernarg_segment_align: 8
    .kernarg_segment_size: 80
    .language:       OpenCL C
    .language_version:
      - 2
      - 0
    .max_flat_workgroup_size: 128
    .name:           _ZN7rocprim17ROCPRIM_400000_NS6detail17trampoline_kernelINS0_14default_configENS1_36segmented_radix_sort_config_selectorIdlEEZNS1_25segmented_radix_sort_implIS3_Lb1EPKdPdPKlPlN2at6native12_GLOBAL__N_18offset_tEEE10hipError_tPvRmT1_PNSt15iterator_traitsISK_E10value_typeET2_T3_PNSL_ISQ_E10value_typeET4_jRbjT5_SW_jjP12ihipStream_tbEUlT_E2_NS1_11comp_targetILNS1_3genE10ELNS1_11target_archE1200ELNS1_3gpuE4ELNS1_3repE0EEENS1_30default_config_static_selectorELNS0_4arch9wavefront6targetE1EEEvSK_
    .private_segment_fixed_size: 0
    .sgpr_count:     4
    .sgpr_spill_count: 0
    .symbol:         _ZN7rocprim17ROCPRIM_400000_NS6detail17trampoline_kernelINS0_14default_configENS1_36segmented_radix_sort_config_selectorIdlEEZNS1_25segmented_radix_sort_implIS3_Lb1EPKdPdPKlPlN2at6native12_GLOBAL__N_18offset_tEEE10hipError_tPvRmT1_PNSt15iterator_traitsISK_E10value_typeET2_T3_PNSL_ISQ_E10value_typeET4_jRbjT5_SW_jjP12ihipStream_tbEUlT_E2_NS1_11comp_targetILNS1_3genE10ELNS1_11target_archE1200ELNS1_3gpuE4ELNS1_3repE0EEENS1_30default_config_static_selectorELNS0_4arch9wavefront6targetE1EEEvSK_.kd
    .uniform_work_group_size: 1
    .uses_dynamic_stack: false
    .vgpr_count:     0
    .vgpr_spill_count: 0
    .wavefront_size: 64
  - .agpr_count:     0
    .args:
      - .offset:         0
        .size:           80
        .value_kind:     by_value
    .group_segment_fixed_size: 0
    .kernarg_segment_align: 8
    .kernarg_segment_size: 80
    .language:       OpenCL C
    .language_version:
      - 2
      - 0
    .max_flat_workgroup_size: 256
    .name:           _ZN7rocprim17ROCPRIM_400000_NS6detail17trampoline_kernelINS0_14default_configENS1_36segmented_radix_sort_config_selectorIdlEEZNS1_25segmented_radix_sort_implIS3_Lb1EPKdPdPKlPlN2at6native12_GLOBAL__N_18offset_tEEE10hipError_tPvRmT1_PNSt15iterator_traitsISK_E10value_typeET2_T3_PNSL_ISQ_E10value_typeET4_jRbjT5_SW_jjP12ihipStream_tbEUlT_E2_NS1_11comp_targetILNS1_3genE9ELNS1_11target_archE1100ELNS1_3gpuE3ELNS1_3repE0EEENS1_30default_config_static_selectorELNS0_4arch9wavefront6targetE1EEEvSK_
    .private_segment_fixed_size: 0
    .sgpr_count:     4
    .sgpr_spill_count: 0
    .symbol:         _ZN7rocprim17ROCPRIM_400000_NS6detail17trampoline_kernelINS0_14default_configENS1_36segmented_radix_sort_config_selectorIdlEEZNS1_25segmented_radix_sort_implIS3_Lb1EPKdPdPKlPlN2at6native12_GLOBAL__N_18offset_tEEE10hipError_tPvRmT1_PNSt15iterator_traitsISK_E10value_typeET2_T3_PNSL_ISQ_E10value_typeET4_jRbjT5_SW_jjP12ihipStream_tbEUlT_E2_NS1_11comp_targetILNS1_3genE9ELNS1_11target_archE1100ELNS1_3gpuE3ELNS1_3repE0EEENS1_30default_config_static_selectorELNS0_4arch9wavefront6targetE1EEEvSK_.kd
    .uniform_work_group_size: 1
    .uses_dynamic_stack: false
    .vgpr_count:     0
    .vgpr_spill_count: 0
    .wavefront_size: 64
  - .agpr_count:     0
    .args:
      - .offset:         0
        .size:           80
        .value_kind:     by_value
    .group_segment_fixed_size: 0
    .kernarg_segment_align: 8
    .kernarg_segment_size: 80
    .language:       OpenCL C
    .language_version:
      - 2
      - 0
    .max_flat_workgroup_size: 256
    .name:           _ZN7rocprim17ROCPRIM_400000_NS6detail17trampoline_kernelINS0_14default_configENS1_36segmented_radix_sort_config_selectorIdlEEZNS1_25segmented_radix_sort_implIS3_Lb1EPKdPdPKlPlN2at6native12_GLOBAL__N_18offset_tEEE10hipError_tPvRmT1_PNSt15iterator_traitsISK_E10value_typeET2_T3_PNSL_ISQ_E10value_typeET4_jRbjT5_SW_jjP12ihipStream_tbEUlT_E2_NS1_11comp_targetILNS1_3genE8ELNS1_11target_archE1030ELNS1_3gpuE2ELNS1_3repE0EEENS1_30default_config_static_selectorELNS0_4arch9wavefront6targetE1EEEvSK_
    .private_segment_fixed_size: 0
    .sgpr_count:     4
    .sgpr_spill_count: 0
    .symbol:         _ZN7rocprim17ROCPRIM_400000_NS6detail17trampoline_kernelINS0_14default_configENS1_36segmented_radix_sort_config_selectorIdlEEZNS1_25segmented_radix_sort_implIS3_Lb1EPKdPdPKlPlN2at6native12_GLOBAL__N_18offset_tEEE10hipError_tPvRmT1_PNSt15iterator_traitsISK_E10value_typeET2_T3_PNSL_ISQ_E10value_typeET4_jRbjT5_SW_jjP12ihipStream_tbEUlT_E2_NS1_11comp_targetILNS1_3genE8ELNS1_11target_archE1030ELNS1_3gpuE2ELNS1_3repE0EEENS1_30default_config_static_selectorELNS0_4arch9wavefront6targetE1EEEvSK_.kd
    .uniform_work_group_size: 1
    .uses_dynamic_stack: false
    .vgpr_count:     0
    .vgpr_spill_count: 0
    .wavefront_size: 64
  - .agpr_count:     0
    .args:
      - .offset:         0
        .size:           176
        .value_kind:     by_value
    .group_segment_fixed_size: 0
    .kernarg_segment_align: 8
    .kernarg_segment_size: 176
    .language:       OpenCL C
    .language_version:
      - 2
      - 0
    .max_flat_workgroup_size: 256
    .name:           _ZN7rocprim17ROCPRIM_400000_NS6detail17trampoline_kernelINS0_13select_configILj256ELj13ELNS0_17block_load_methodE3ELS4_3ELS4_3ELNS0_20block_scan_algorithmE0ELj4294967295EEENS1_25partition_config_selectorILNS1_17partition_subalgoE4EjNS0_10empty_typeEbEEZZNS1_14partition_implILS8_4ELb0ES6_15HIP_vector_typeIjLj2EENS0_17counting_iteratorIjlEEPS9_SG_NS0_5tupleIJPjSI_NS0_16reverse_iteratorISI_EEEEENSH_IJSG_SG_SG_EEES9_SI_JZNS1_25segmented_radix_sort_implINS0_14default_configELb0EPKdPdPKlPlN2at6native12_GLOBAL__N_18offset_tEEE10hipError_tPvRmT1_PNSt15iterator_traitsIS12_E10value_typeET2_T3_PNS13_IS18_E10value_typeET4_jRbjT5_S1E_jjP12ihipStream_tbEUljE_ZNSN_ISO_Lb0ESQ_SR_ST_SU_SY_EESZ_S10_S11_S12_S16_S17_S18_S1B_S1C_jS1D_jS1E_S1E_jjS1G_bEUljE0_EEESZ_S10_S11_S18_S1C_S1E_T6_T7_T9_mT8_S1G_bDpT10_ENKUlT_T0_E_clISt17integral_constantIbLb0EES1U_EEDaS1P_S1Q_EUlS1P_E_NS1_11comp_targetILNS1_3genE0ELNS1_11target_archE4294967295ELNS1_3gpuE0ELNS1_3repE0EEENS1_30default_config_static_selectorELNS0_4arch9wavefront6targetE1EEEvS12_
    .private_segment_fixed_size: 0
    .sgpr_count:     4
    .sgpr_spill_count: 0
    .symbol:         _ZN7rocprim17ROCPRIM_400000_NS6detail17trampoline_kernelINS0_13select_configILj256ELj13ELNS0_17block_load_methodE3ELS4_3ELS4_3ELNS0_20block_scan_algorithmE0ELj4294967295EEENS1_25partition_config_selectorILNS1_17partition_subalgoE4EjNS0_10empty_typeEbEEZZNS1_14partition_implILS8_4ELb0ES6_15HIP_vector_typeIjLj2EENS0_17counting_iteratorIjlEEPS9_SG_NS0_5tupleIJPjSI_NS0_16reverse_iteratorISI_EEEEENSH_IJSG_SG_SG_EEES9_SI_JZNS1_25segmented_radix_sort_implINS0_14default_configELb0EPKdPdPKlPlN2at6native12_GLOBAL__N_18offset_tEEE10hipError_tPvRmT1_PNSt15iterator_traitsIS12_E10value_typeET2_T3_PNS13_IS18_E10value_typeET4_jRbjT5_S1E_jjP12ihipStream_tbEUljE_ZNSN_ISO_Lb0ESQ_SR_ST_SU_SY_EESZ_S10_S11_S12_S16_S17_S18_S1B_S1C_jS1D_jS1E_S1E_jjS1G_bEUljE0_EEESZ_S10_S11_S18_S1C_S1E_T6_T7_T9_mT8_S1G_bDpT10_ENKUlT_T0_E_clISt17integral_constantIbLb0EES1U_EEDaS1P_S1Q_EUlS1P_E_NS1_11comp_targetILNS1_3genE0ELNS1_11target_archE4294967295ELNS1_3gpuE0ELNS1_3repE0EEENS1_30default_config_static_selectorELNS0_4arch9wavefront6targetE1EEEvS12_.kd
    .uniform_work_group_size: 1
    .uses_dynamic_stack: false
    .vgpr_count:     0
    .vgpr_spill_count: 0
    .wavefront_size: 64
  - .agpr_count:     0
    .args:
      - .offset:         0
        .size:           176
        .value_kind:     by_value
    .group_segment_fixed_size: 0
    .kernarg_segment_align: 8
    .kernarg_segment_size: 176
    .language:       OpenCL C
    .language_version:
      - 2
      - 0
    .max_flat_workgroup_size: 256
    .name:           _ZN7rocprim17ROCPRIM_400000_NS6detail17trampoline_kernelINS0_13select_configILj256ELj13ELNS0_17block_load_methodE3ELS4_3ELS4_3ELNS0_20block_scan_algorithmE0ELj4294967295EEENS1_25partition_config_selectorILNS1_17partition_subalgoE4EjNS0_10empty_typeEbEEZZNS1_14partition_implILS8_4ELb0ES6_15HIP_vector_typeIjLj2EENS0_17counting_iteratorIjlEEPS9_SG_NS0_5tupleIJPjSI_NS0_16reverse_iteratorISI_EEEEENSH_IJSG_SG_SG_EEES9_SI_JZNS1_25segmented_radix_sort_implINS0_14default_configELb0EPKdPdPKlPlN2at6native12_GLOBAL__N_18offset_tEEE10hipError_tPvRmT1_PNSt15iterator_traitsIS12_E10value_typeET2_T3_PNS13_IS18_E10value_typeET4_jRbjT5_S1E_jjP12ihipStream_tbEUljE_ZNSN_ISO_Lb0ESQ_SR_ST_SU_SY_EESZ_S10_S11_S12_S16_S17_S18_S1B_S1C_jS1D_jS1E_S1E_jjS1G_bEUljE0_EEESZ_S10_S11_S18_S1C_S1E_T6_T7_T9_mT8_S1G_bDpT10_ENKUlT_T0_E_clISt17integral_constantIbLb0EES1U_EEDaS1P_S1Q_EUlS1P_E_NS1_11comp_targetILNS1_3genE5ELNS1_11target_archE942ELNS1_3gpuE9ELNS1_3repE0EEENS1_30default_config_static_selectorELNS0_4arch9wavefront6targetE1EEEvS12_
    .private_segment_fixed_size: 0
    .sgpr_count:     4
    .sgpr_spill_count: 0
    .symbol:         _ZN7rocprim17ROCPRIM_400000_NS6detail17trampoline_kernelINS0_13select_configILj256ELj13ELNS0_17block_load_methodE3ELS4_3ELS4_3ELNS0_20block_scan_algorithmE0ELj4294967295EEENS1_25partition_config_selectorILNS1_17partition_subalgoE4EjNS0_10empty_typeEbEEZZNS1_14partition_implILS8_4ELb0ES6_15HIP_vector_typeIjLj2EENS0_17counting_iteratorIjlEEPS9_SG_NS0_5tupleIJPjSI_NS0_16reverse_iteratorISI_EEEEENSH_IJSG_SG_SG_EEES9_SI_JZNS1_25segmented_radix_sort_implINS0_14default_configELb0EPKdPdPKlPlN2at6native12_GLOBAL__N_18offset_tEEE10hipError_tPvRmT1_PNSt15iterator_traitsIS12_E10value_typeET2_T3_PNS13_IS18_E10value_typeET4_jRbjT5_S1E_jjP12ihipStream_tbEUljE_ZNSN_ISO_Lb0ESQ_SR_ST_SU_SY_EESZ_S10_S11_S12_S16_S17_S18_S1B_S1C_jS1D_jS1E_S1E_jjS1G_bEUljE0_EEESZ_S10_S11_S18_S1C_S1E_T6_T7_T9_mT8_S1G_bDpT10_ENKUlT_T0_E_clISt17integral_constantIbLb0EES1U_EEDaS1P_S1Q_EUlS1P_E_NS1_11comp_targetILNS1_3genE5ELNS1_11target_archE942ELNS1_3gpuE9ELNS1_3repE0EEENS1_30default_config_static_selectorELNS0_4arch9wavefront6targetE1EEEvS12_.kd
    .uniform_work_group_size: 1
    .uses_dynamic_stack: false
    .vgpr_count:     0
    .vgpr_spill_count: 0
    .wavefront_size: 64
  - .agpr_count:     0
    .args:
      - .offset:         0
        .size:           176
        .value_kind:     by_value
    .group_segment_fixed_size: 13340
    .kernarg_segment_align: 8
    .kernarg_segment_size: 176
    .language:       OpenCL C
    .language_version:
      - 2
      - 0
    .max_flat_workgroup_size: 256
    .name:           _ZN7rocprim17ROCPRIM_400000_NS6detail17trampoline_kernelINS0_13select_configILj256ELj13ELNS0_17block_load_methodE3ELS4_3ELS4_3ELNS0_20block_scan_algorithmE0ELj4294967295EEENS1_25partition_config_selectorILNS1_17partition_subalgoE4EjNS0_10empty_typeEbEEZZNS1_14partition_implILS8_4ELb0ES6_15HIP_vector_typeIjLj2EENS0_17counting_iteratorIjlEEPS9_SG_NS0_5tupleIJPjSI_NS0_16reverse_iteratorISI_EEEEENSH_IJSG_SG_SG_EEES9_SI_JZNS1_25segmented_radix_sort_implINS0_14default_configELb0EPKdPdPKlPlN2at6native12_GLOBAL__N_18offset_tEEE10hipError_tPvRmT1_PNSt15iterator_traitsIS12_E10value_typeET2_T3_PNS13_IS18_E10value_typeET4_jRbjT5_S1E_jjP12ihipStream_tbEUljE_ZNSN_ISO_Lb0ESQ_SR_ST_SU_SY_EESZ_S10_S11_S12_S16_S17_S18_S1B_S1C_jS1D_jS1E_S1E_jjS1G_bEUljE0_EEESZ_S10_S11_S18_S1C_S1E_T6_T7_T9_mT8_S1G_bDpT10_ENKUlT_T0_E_clISt17integral_constantIbLb0EES1U_EEDaS1P_S1Q_EUlS1P_E_NS1_11comp_targetILNS1_3genE4ELNS1_11target_archE910ELNS1_3gpuE8ELNS1_3repE0EEENS1_30default_config_static_selectorELNS0_4arch9wavefront6targetE1EEEvS12_
    .private_segment_fixed_size: 0
    .sgpr_count:     94
    .sgpr_spill_count: 0
    .symbol:         _ZN7rocprim17ROCPRIM_400000_NS6detail17trampoline_kernelINS0_13select_configILj256ELj13ELNS0_17block_load_methodE3ELS4_3ELS4_3ELNS0_20block_scan_algorithmE0ELj4294967295EEENS1_25partition_config_selectorILNS1_17partition_subalgoE4EjNS0_10empty_typeEbEEZZNS1_14partition_implILS8_4ELb0ES6_15HIP_vector_typeIjLj2EENS0_17counting_iteratorIjlEEPS9_SG_NS0_5tupleIJPjSI_NS0_16reverse_iteratorISI_EEEEENSH_IJSG_SG_SG_EEES9_SI_JZNS1_25segmented_radix_sort_implINS0_14default_configELb0EPKdPdPKlPlN2at6native12_GLOBAL__N_18offset_tEEE10hipError_tPvRmT1_PNSt15iterator_traitsIS12_E10value_typeET2_T3_PNS13_IS18_E10value_typeET4_jRbjT5_S1E_jjP12ihipStream_tbEUljE_ZNSN_ISO_Lb0ESQ_SR_ST_SU_SY_EESZ_S10_S11_S12_S16_S17_S18_S1B_S1C_jS1D_jS1E_S1E_jjS1G_bEUljE0_EEESZ_S10_S11_S18_S1C_S1E_T6_T7_T9_mT8_S1G_bDpT10_ENKUlT_T0_E_clISt17integral_constantIbLb0EES1U_EEDaS1P_S1Q_EUlS1P_E_NS1_11comp_targetILNS1_3genE4ELNS1_11target_archE910ELNS1_3gpuE8ELNS1_3repE0EEENS1_30default_config_static_selectorELNS0_4arch9wavefront6targetE1EEEvS12_.kd
    .uniform_work_group_size: 1
    .uses_dynamic_stack: false
    .vgpr_count:     102
    .vgpr_spill_count: 0
    .wavefront_size: 64
  - .agpr_count:     0
    .args:
      - .offset:         0
        .size:           176
        .value_kind:     by_value
    .group_segment_fixed_size: 0
    .kernarg_segment_align: 8
    .kernarg_segment_size: 176
    .language:       OpenCL C
    .language_version:
      - 2
      - 0
    .max_flat_workgroup_size: 256
    .name:           _ZN7rocprim17ROCPRIM_400000_NS6detail17trampoline_kernelINS0_13select_configILj256ELj13ELNS0_17block_load_methodE3ELS4_3ELS4_3ELNS0_20block_scan_algorithmE0ELj4294967295EEENS1_25partition_config_selectorILNS1_17partition_subalgoE4EjNS0_10empty_typeEbEEZZNS1_14partition_implILS8_4ELb0ES6_15HIP_vector_typeIjLj2EENS0_17counting_iteratorIjlEEPS9_SG_NS0_5tupleIJPjSI_NS0_16reverse_iteratorISI_EEEEENSH_IJSG_SG_SG_EEES9_SI_JZNS1_25segmented_radix_sort_implINS0_14default_configELb0EPKdPdPKlPlN2at6native12_GLOBAL__N_18offset_tEEE10hipError_tPvRmT1_PNSt15iterator_traitsIS12_E10value_typeET2_T3_PNS13_IS18_E10value_typeET4_jRbjT5_S1E_jjP12ihipStream_tbEUljE_ZNSN_ISO_Lb0ESQ_SR_ST_SU_SY_EESZ_S10_S11_S12_S16_S17_S18_S1B_S1C_jS1D_jS1E_S1E_jjS1G_bEUljE0_EEESZ_S10_S11_S18_S1C_S1E_T6_T7_T9_mT8_S1G_bDpT10_ENKUlT_T0_E_clISt17integral_constantIbLb0EES1U_EEDaS1P_S1Q_EUlS1P_E_NS1_11comp_targetILNS1_3genE3ELNS1_11target_archE908ELNS1_3gpuE7ELNS1_3repE0EEENS1_30default_config_static_selectorELNS0_4arch9wavefront6targetE1EEEvS12_
    .private_segment_fixed_size: 0
    .sgpr_count:     4
    .sgpr_spill_count: 0
    .symbol:         _ZN7rocprim17ROCPRIM_400000_NS6detail17trampoline_kernelINS0_13select_configILj256ELj13ELNS0_17block_load_methodE3ELS4_3ELS4_3ELNS0_20block_scan_algorithmE0ELj4294967295EEENS1_25partition_config_selectorILNS1_17partition_subalgoE4EjNS0_10empty_typeEbEEZZNS1_14partition_implILS8_4ELb0ES6_15HIP_vector_typeIjLj2EENS0_17counting_iteratorIjlEEPS9_SG_NS0_5tupleIJPjSI_NS0_16reverse_iteratorISI_EEEEENSH_IJSG_SG_SG_EEES9_SI_JZNS1_25segmented_radix_sort_implINS0_14default_configELb0EPKdPdPKlPlN2at6native12_GLOBAL__N_18offset_tEEE10hipError_tPvRmT1_PNSt15iterator_traitsIS12_E10value_typeET2_T3_PNS13_IS18_E10value_typeET4_jRbjT5_S1E_jjP12ihipStream_tbEUljE_ZNSN_ISO_Lb0ESQ_SR_ST_SU_SY_EESZ_S10_S11_S12_S16_S17_S18_S1B_S1C_jS1D_jS1E_S1E_jjS1G_bEUljE0_EEESZ_S10_S11_S18_S1C_S1E_T6_T7_T9_mT8_S1G_bDpT10_ENKUlT_T0_E_clISt17integral_constantIbLb0EES1U_EEDaS1P_S1Q_EUlS1P_E_NS1_11comp_targetILNS1_3genE3ELNS1_11target_archE908ELNS1_3gpuE7ELNS1_3repE0EEENS1_30default_config_static_selectorELNS0_4arch9wavefront6targetE1EEEvS12_.kd
    .uniform_work_group_size: 1
    .uses_dynamic_stack: false
    .vgpr_count:     0
    .vgpr_spill_count: 0
    .wavefront_size: 64
  - .agpr_count:     0
    .args:
      - .offset:         0
        .size:           176
        .value_kind:     by_value
    .group_segment_fixed_size: 0
    .kernarg_segment_align: 8
    .kernarg_segment_size: 176
    .language:       OpenCL C
    .language_version:
      - 2
      - 0
    .max_flat_workgroup_size: 256
    .name:           _ZN7rocprim17ROCPRIM_400000_NS6detail17trampoline_kernelINS0_13select_configILj256ELj13ELNS0_17block_load_methodE3ELS4_3ELS4_3ELNS0_20block_scan_algorithmE0ELj4294967295EEENS1_25partition_config_selectorILNS1_17partition_subalgoE4EjNS0_10empty_typeEbEEZZNS1_14partition_implILS8_4ELb0ES6_15HIP_vector_typeIjLj2EENS0_17counting_iteratorIjlEEPS9_SG_NS0_5tupleIJPjSI_NS0_16reverse_iteratorISI_EEEEENSH_IJSG_SG_SG_EEES9_SI_JZNS1_25segmented_radix_sort_implINS0_14default_configELb0EPKdPdPKlPlN2at6native12_GLOBAL__N_18offset_tEEE10hipError_tPvRmT1_PNSt15iterator_traitsIS12_E10value_typeET2_T3_PNS13_IS18_E10value_typeET4_jRbjT5_S1E_jjP12ihipStream_tbEUljE_ZNSN_ISO_Lb0ESQ_SR_ST_SU_SY_EESZ_S10_S11_S12_S16_S17_S18_S1B_S1C_jS1D_jS1E_S1E_jjS1G_bEUljE0_EEESZ_S10_S11_S18_S1C_S1E_T6_T7_T9_mT8_S1G_bDpT10_ENKUlT_T0_E_clISt17integral_constantIbLb0EES1U_EEDaS1P_S1Q_EUlS1P_E_NS1_11comp_targetILNS1_3genE2ELNS1_11target_archE906ELNS1_3gpuE6ELNS1_3repE0EEENS1_30default_config_static_selectorELNS0_4arch9wavefront6targetE1EEEvS12_
    .private_segment_fixed_size: 0
    .sgpr_count:     4
    .sgpr_spill_count: 0
    .symbol:         _ZN7rocprim17ROCPRIM_400000_NS6detail17trampoline_kernelINS0_13select_configILj256ELj13ELNS0_17block_load_methodE3ELS4_3ELS4_3ELNS0_20block_scan_algorithmE0ELj4294967295EEENS1_25partition_config_selectorILNS1_17partition_subalgoE4EjNS0_10empty_typeEbEEZZNS1_14partition_implILS8_4ELb0ES6_15HIP_vector_typeIjLj2EENS0_17counting_iteratorIjlEEPS9_SG_NS0_5tupleIJPjSI_NS0_16reverse_iteratorISI_EEEEENSH_IJSG_SG_SG_EEES9_SI_JZNS1_25segmented_radix_sort_implINS0_14default_configELb0EPKdPdPKlPlN2at6native12_GLOBAL__N_18offset_tEEE10hipError_tPvRmT1_PNSt15iterator_traitsIS12_E10value_typeET2_T3_PNS13_IS18_E10value_typeET4_jRbjT5_S1E_jjP12ihipStream_tbEUljE_ZNSN_ISO_Lb0ESQ_SR_ST_SU_SY_EESZ_S10_S11_S12_S16_S17_S18_S1B_S1C_jS1D_jS1E_S1E_jjS1G_bEUljE0_EEESZ_S10_S11_S18_S1C_S1E_T6_T7_T9_mT8_S1G_bDpT10_ENKUlT_T0_E_clISt17integral_constantIbLb0EES1U_EEDaS1P_S1Q_EUlS1P_E_NS1_11comp_targetILNS1_3genE2ELNS1_11target_archE906ELNS1_3gpuE6ELNS1_3repE0EEENS1_30default_config_static_selectorELNS0_4arch9wavefront6targetE1EEEvS12_.kd
    .uniform_work_group_size: 1
    .uses_dynamic_stack: false
    .vgpr_count:     0
    .vgpr_spill_count: 0
    .wavefront_size: 64
  - .agpr_count:     0
    .args:
      - .offset:         0
        .size:           176
        .value_kind:     by_value
    .group_segment_fixed_size: 0
    .kernarg_segment_align: 8
    .kernarg_segment_size: 176
    .language:       OpenCL C
    .language_version:
      - 2
      - 0
    .max_flat_workgroup_size: 256
    .name:           _ZN7rocprim17ROCPRIM_400000_NS6detail17trampoline_kernelINS0_13select_configILj256ELj13ELNS0_17block_load_methodE3ELS4_3ELS4_3ELNS0_20block_scan_algorithmE0ELj4294967295EEENS1_25partition_config_selectorILNS1_17partition_subalgoE4EjNS0_10empty_typeEbEEZZNS1_14partition_implILS8_4ELb0ES6_15HIP_vector_typeIjLj2EENS0_17counting_iteratorIjlEEPS9_SG_NS0_5tupleIJPjSI_NS0_16reverse_iteratorISI_EEEEENSH_IJSG_SG_SG_EEES9_SI_JZNS1_25segmented_radix_sort_implINS0_14default_configELb0EPKdPdPKlPlN2at6native12_GLOBAL__N_18offset_tEEE10hipError_tPvRmT1_PNSt15iterator_traitsIS12_E10value_typeET2_T3_PNS13_IS18_E10value_typeET4_jRbjT5_S1E_jjP12ihipStream_tbEUljE_ZNSN_ISO_Lb0ESQ_SR_ST_SU_SY_EESZ_S10_S11_S12_S16_S17_S18_S1B_S1C_jS1D_jS1E_S1E_jjS1G_bEUljE0_EEESZ_S10_S11_S18_S1C_S1E_T6_T7_T9_mT8_S1G_bDpT10_ENKUlT_T0_E_clISt17integral_constantIbLb0EES1U_EEDaS1P_S1Q_EUlS1P_E_NS1_11comp_targetILNS1_3genE10ELNS1_11target_archE1200ELNS1_3gpuE4ELNS1_3repE0EEENS1_30default_config_static_selectorELNS0_4arch9wavefront6targetE1EEEvS12_
    .private_segment_fixed_size: 0
    .sgpr_count:     4
    .sgpr_spill_count: 0
    .symbol:         _ZN7rocprim17ROCPRIM_400000_NS6detail17trampoline_kernelINS0_13select_configILj256ELj13ELNS0_17block_load_methodE3ELS4_3ELS4_3ELNS0_20block_scan_algorithmE0ELj4294967295EEENS1_25partition_config_selectorILNS1_17partition_subalgoE4EjNS0_10empty_typeEbEEZZNS1_14partition_implILS8_4ELb0ES6_15HIP_vector_typeIjLj2EENS0_17counting_iteratorIjlEEPS9_SG_NS0_5tupleIJPjSI_NS0_16reverse_iteratorISI_EEEEENSH_IJSG_SG_SG_EEES9_SI_JZNS1_25segmented_radix_sort_implINS0_14default_configELb0EPKdPdPKlPlN2at6native12_GLOBAL__N_18offset_tEEE10hipError_tPvRmT1_PNSt15iterator_traitsIS12_E10value_typeET2_T3_PNS13_IS18_E10value_typeET4_jRbjT5_S1E_jjP12ihipStream_tbEUljE_ZNSN_ISO_Lb0ESQ_SR_ST_SU_SY_EESZ_S10_S11_S12_S16_S17_S18_S1B_S1C_jS1D_jS1E_S1E_jjS1G_bEUljE0_EEESZ_S10_S11_S18_S1C_S1E_T6_T7_T9_mT8_S1G_bDpT10_ENKUlT_T0_E_clISt17integral_constantIbLb0EES1U_EEDaS1P_S1Q_EUlS1P_E_NS1_11comp_targetILNS1_3genE10ELNS1_11target_archE1200ELNS1_3gpuE4ELNS1_3repE0EEENS1_30default_config_static_selectorELNS0_4arch9wavefront6targetE1EEEvS12_.kd
    .uniform_work_group_size: 1
    .uses_dynamic_stack: false
    .vgpr_count:     0
    .vgpr_spill_count: 0
    .wavefront_size: 64
  - .agpr_count:     0
    .args:
      - .offset:         0
        .size:           176
        .value_kind:     by_value
    .group_segment_fixed_size: 0
    .kernarg_segment_align: 8
    .kernarg_segment_size: 176
    .language:       OpenCL C
    .language_version:
      - 2
      - 0
    .max_flat_workgroup_size: 256
    .name:           _ZN7rocprim17ROCPRIM_400000_NS6detail17trampoline_kernelINS0_13select_configILj256ELj13ELNS0_17block_load_methodE3ELS4_3ELS4_3ELNS0_20block_scan_algorithmE0ELj4294967295EEENS1_25partition_config_selectorILNS1_17partition_subalgoE4EjNS0_10empty_typeEbEEZZNS1_14partition_implILS8_4ELb0ES6_15HIP_vector_typeIjLj2EENS0_17counting_iteratorIjlEEPS9_SG_NS0_5tupleIJPjSI_NS0_16reverse_iteratorISI_EEEEENSH_IJSG_SG_SG_EEES9_SI_JZNS1_25segmented_radix_sort_implINS0_14default_configELb0EPKdPdPKlPlN2at6native12_GLOBAL__N_18offset_tEEE10hipError_tPvRmT1_PNSt15iterator_traitsIS12_E10value_typeET2_T3_PNS13_IS18_E10value_typeET4_jRbjT5_S1E_jjP12ihipStream_tbEUljE_ZNSN_ISO_Lb0ESQ_SR_ST_SU_SY_EESZ_S10_S11_S12_S16_S17_S18_S1B_S1C_jS1D_jS1E_S1E_jjS1G_bEUljE0_EEESZ_S10_S11_S18_S1C_S1E_T6_T7_T9_mT8_S1G_bDpT10_ENKUlT_T0_E_clISt17integral_constantIbLb0EES1U_EEDaS1P_S1Q_EUlS1P_E_NS1_11comp_targetILNS1_3genE9ELNS1_11target_archE1100ELNS1_3gpuE3ELNS1_3repE0EEENS1_30default_config_static_selectorELNS0_4arch9wavefront6targetE1EEEvS12_
    .private_segment_fixed_size: 0
    .sgpr_count:     4
    .sgpr_spill_count: 0
    .symbol:         _ZN7rocprim17ROCPRIM_400000_NS6detail17trampoline_kernelINS0_13select_configILj256ELj13ELNS0_17block_load_methodE3ELS4_3ELS4_3ELNS0_20block_scan_algorithmE0ELj4294967295EEENS1_25partition_config_selectorILNS1_17partition_subalgoE4EjNS0_10empty_typeEbEEZZNS1_14partition_implILS8_4ELb0ES6_15HIP_vector_typeIjLj2EENS0_17counting_iteratorIjlEEPS9_SG_NS0_5tupleIJPjSI_NS0_16reverse_iteratorISI_EEEEENSH_IJSG_SG_SG_EEES9_SI_JZNS1_25segmented_radix_sort_implINS0_14default_configELb0EPKdPdPKlPlN2at6native12_GLOBAL__N_18offset_tEEE10hipError_tPvRmT1_PNSt15iterator_traitsIS12_E10value_typeET2_T3_PNS13_IS18_E10value_typeET4_jRbjT5_S1E_jjP12ihipStream_tbEUljE_ZNSN_ISO_Lb0ESQ_SR_ST_SU_SY_EESZ_S10_S11_S12_S16_S17_S18_S1B_S1C_jS1D_jS1E_S1E_jjS1G_bEUljE0_EEESZ_S10_S11_S18_S1C_S1E_T6_T7_T9_mT8_S1G_bDpT10_ENKUlT_T0_E_clISt17integral_constantIbLb0EES1U_EEDaS1P_S1Q_EUlS1P_E_NS1_11comp_targetILNS1_3genE9ELNS1_11target_archE1100ELNS1_3gpuE3ELNS1_3repE0EEENS1_30default_config_static_selectorELNS0_4arch9wavefront6targetE1EEEvS12_.kd
    .uniform_work_group_size: 1
    .uses_dynamic_stack: false
    .vgpr_count:     0
    .vgpr_spill_count: 0
    .wavefront_size: 64
  - .agpr_count:     0
    .args:
      - .offset:         0
        .size:           176
        .value_kind:     by_value
    .group_segment_fixed_size: 0
    .kernarg_segment_align: 8
    .kernarg_segment_size: 176
    .language:       OpenCL C
    .language_version:
      - 2
      - 0
    .max_flat_workgroup_size: 256
    .name:           _ZN7rocprim17ROCPRIM_400000_NS6detail17trampoline_kernelINS0_13select_configILj256ELj13ELNS0_17block_load_methodE3ELS4_3ELS4_3ELNS0_20block_scan_algorithmE0ELj4294967295EEENS1_25partition_config_selectorILNS1_17partition_subalgoE4EjNS0_10empty_typeEbEEZZNS1_14partition_implILS8_4ELb0ES6_15HIP_vector_typeIjLj2EENS0_17counting_iteratorIjlEEPS9_SG_NS0_5tupleIJPjSI_NS0_16reverse_iteratorISI_EEEEENSH_IJSG_SG_SG_EEES9_SI_JZNS1_25segmented_radix_sort_implINS0_14default_configELb0EPKdPdPKlPlN2at6native12_GLOBAL__N_18offset_tEEE10hipError_tPvRmT1_PNSt15iterator_traitsIS12_E10value_typeET2_T3_PNS13_IS18_E10value_typeET4_jRbjT5_S1E_jjP12ihipStream_tbEUljE_ZNSN_ISO_Lb0ESQ_SR_ST_SU_SY_EESZ_S10_S11_S12_S16_S17_S18_S1B_S1C_jS1D_jS1E_S1E_jjS1G_bEUljE0_EEESZ_S10_S11_S18_S1C_S1E_T6_T7_T9_mT8_S1G_bDpT10_ENKUlT_T0_E_clISt17integral_constantIbLb0EES1U_EEDaS1P_S1Q_EUlS1P_E_NS1_11comp_targetILNS1_3genE8ELNS1_11target_archE1030ELNS1_3gpuE2ELNS1_3repE0EEENS1_30default_config_static_selectorELNS0_4arch9wavefront6targetE1EEEvS12_
    .private_segment_fixed_size: 0
    .sgpr_count:     4
    .sgpr_spill_count: 0
    .symbol:         _ZN7rocprim17ROCPRIM_400000_NS6detail17trampoline_kernelINS0_13select_configILj256ELj13ELNS0_17block_load_methodE3ELS4_3ELS4_3ELNS0_20block_scan_algorithmE0ELj4294967295EEENS1_25partition_config_selectorILNS1_17partition_subalgoE4EjNS0_10empty_typeEbEEZZNS1_14partition_implILS8_4ELb0ES6_15HIP_vector_typeIjLj2EENS0_17counting_iteratorIjlEEPS9_SG_NS0_5tupleIJPjSI_NS0_16reverse_iteratorISI_EEEEENSH_IJSG_SG_SG_EEES9_SI_JZNS1_25segmented_radix_sort_implINS0_14default_configELb0EPKdPdPKlPlN2at6native12_GLOBAL__N_18offset_tEEE10hipError_tPvRmT1_PNSt15iterator_traitsIS12_E10value_typeET2_T3_PNS13_IS18_E10value_typeET4_jRbjT5_S1E_jjP12ihipStream_tbEUljE_ZNSN_ISO_Lb0ESQ_SR_ST_SU_SY_EESZ_S10_S11_S12_S16_S17_S18_S1B_S1C_jS1D_jS1E_S1E_jjS1G_bEUljE0_EEESZ_S10_S11_S18_S1C_S1E_T6_T7_T9_mT8_S1G_bDpT10_ENKUlT_T0_E_clISt17integral_constantIbLb0EES1U_EEDaS1P_S1Q_EUlS1P_E_NS1_11comp_targetILNS1_3genE8ELNS1_11target_archE1030ELNS1_3gpuE2ELNS1_3repE0EEENS1_30default_config_static_selectorELNS0_4arch9wavefront6targetE1EEEvS12_.kd
    .uniform_work_group_size: 1
    .uses_dynamic_stack: false
    .vgpr_count:     0
    .vgpr_spill_count: 0
    .wavefront_size: 64
  - .agpr_count:     0
    .args:
      - .offset:         0
        .size:           184
        .value_kind:     by_value
    .group_segment_fixed_size: 0
    .kernarg_segment_align: 8
    .kernarg_segment_size: 184
    .language:       OpenCL C
    .language_version:
      - 2
      - 0
    .max_flat_workgroup_size: 256
    .name:           _ZN7rocprim17ROCPRIM_400000_NS6detail17trampoline_kernelINS0_13select_configILj256ELj13ELNS0_17block_load_methodE3ELS4_3ELS4_3ELNS0_20block_scan_algorithmE0ELj4294967295EEENS1_25partition_config_selectorILNS1_17partition_subalgoE4EjNS0_10empty_typeEbEEZZNS1_14partition_implILS8_4ELb0ES6_15HIP_vector_typeIjLj2EENS0_17counting_iteratorIjlEEPS9_SG_NS0_5tupleIJPjSI_NS0_16reverse_iteratorISI_EEEEENSH_IJSG_SG_SG_EEES9_SI_JZNS1_25segmented_radix_sort_implINS0_14default_configELb0EPKdPdPKlPlN2at6native12_GLOBAL__N_18offset_tEEE10hipError_tPvRmT1_PNSt15iterator_traitsIS12_E10value_typeET2_T3_PNS13_IS18_E10value_typeET4_jRbjT5_S1E_jjP12ihipStream_tbEUljE_ZNSN_ISO_Lb0ESQ_SR_ST_SU_SY_EESZ_S10_S11_S12_S16_S17_S18_S1B_S1C_jS1D_jS1E_S1E_jjS1G_bEUljE0_EEESZ_S10_S11_S18_S1C_S1E_T6_T7_T9_mT8_S1G_bDpT10_ENKUlT_T0_E_clISt17integral_constantIbLb1EES1U_EEDaS1P_S1Q_EUlS1P_E_NS1_11comp_targetILNS1_3genE0ELNS1_11target_archE4294967295ELNS1_3gpuE0ELNS1_3repE0EEENS1_30default_config_static_selectorELNS0_4arch9wavefront6targetE1EEEvS12_
    .private_segment_fixed_size: 0
    .sgpr_count:     4
    .sgpr_spill_count: 0
    .symbol:         _ZN7rocprim17ROCPRIM_400000_NS6detail17trampoline_kernelINS0_13select_configILj256ELj13ELNS0_17block_load_methodE3ELS4_3ELS4_3ELNS0_20block_scan_algorithmE0ELj4294967295EEENS1_25partition_config_selectorILNS1_17partition_subalgoE4EjNS0_10empty_typeEbEEZZNS1_14partition_implILS8_4ELb0ES6_15HIP_vector_typeIjLj2EENS0_17counting_iteratorIjlEEPS9_SG_NS0_5tupleIJPjSI_NS0_16reverse_iteratorISI_EEEEENSH_IJSG_SG_SG_EEES9_SI_JZNS1_25segmented_radix_sort_implINS0_14default_configELb0EPKdPdPKlPlN2at6native12_GLOBAL__N_18offset_tEEE10hipError_tPvRmT1_PNSt15iterator_traitsIS12_E10value_typeET2_T3_PNS13_IS18_E10value_typeET4_jRbjT5_S1E_jjP12ihipStream_tbEUljE_ZNSN_ISO_Lb0ESQ_SR_ST_SU_SY_EESZ_S10_S11_S12_S16_S17_S18_S1B_S1C_jS1D_jS1E_S1E_jjS1G_bEUljE0_EEESZ_S10_S11_S18_S1C_S1E_T6_T7_T9_mT8_S1G_bDpT10_ENKUlT_T0_E_clISt17integral_constantIbLb1EES1U_EEDaS1P_S1Q_EUlS1P_E_NS1_11comp_targetILNS1_3genE0ELNS1_11target_archE4294967295ELNS1_3gpuE0ELNS1_3repE0EEENS1_30default_config_static_selectorELNS0_4arch9wavefront6targetE1EEEvS12_.kd
    .uniform_work_group_size: 1
    .uses_dynamic_stack: false
    .vgpr_count:     0
    .vgpr_spill_count: 0
    .wavefront_size: 64
  - .agpr_count:     0
    .args:
      - .offset:         0
        .size:           184
        .value_kind:     by_value
    .group_segment_fixed_size: 0
    .kernarg_segment_align: 8
    .kernarg_segment_size: 184
    .language:       OpenCL C
    .language_version:
      - 2
      - 0
    .max_flat_workgroup_size: 256
    .name:           _ZN7rocprim17ROCPRIM_400000_NS6detail17trampoline_kernelINS0_13select_configILj256ELj13ELNS0_17block_load_methodE3ELS4_3ELS4_3ELNS0_20block_scan_algorithmE0ELj4294967295EEENS1_25partition_config_selectorILNS1_17partition_subalgoE4EjNS0_10empty_typeEbEEZZNS1_14partition_implILS8_4ELb0ES6_15HIP_vector_typeIjLj2EENS0_17counting_iteratorIjlEEPS9_SG_NS0_5tupleIJPjSI_NS0_16reverse_iteratorISI_EEEEENSH_IJSG_SG_SG_EEES9_SI_JZNS1_25segmented_radix_sort_implINS0_14default_configELb0EPKdPdPKlPlN2at6native12_GLOBAL__N_18offset_tEEE10hipError_tPvRmT1_PNSt15iterator_traitsIS12_E10value_typeET2_T3_PNS13_IS18_E10value_typeET4_jRbjT5_S1E_jjP12ihipStream_tbEUljE_ZNSN_ISO_Lb0ESQ_SR_ST_SU_SY_EESZ_S10_S11_S12_S16_S17_S18_S1B_S1C_jS1D_jS1E_S1E_jjS1G_bEUljE0_EEESZ_S10_S11_S18_S1C_S1E_T6_T7_T9_mT8_S1G_bDpT10_ENKUlT_T0_E_clISt17integral_constantIbLb1EES1U_EEDaS1P_S1Q_EUlS1P_E_NS1_11comp_targetILNS1_3genE5ELNS1_11target_archE942ELNS1_3gpuE9ELNS1_3repE0EEENS1_30default_config_static_selectorELNS0_4arch9wavefront6targetE1EEEvS12_
    .private_segment_fixed_size: 0
    .sgpr_count:     4
    .sgpr_spill_count: 0
    .symbol:         _ZN7rocprim17ROCPRIM_400000_NS6detail17trampoline_kernelINS0_13select_configILj256ELj13ELNS0_17block_load_methodE3ELS4_3ELS4_3ELNS0_20block_scan_algorithmE0ELj4294967295EEENS1_25partition_config_selectorILNS1_17partition_subalgoE4EjNS0_10empty_typeEbEEZZNS1_14partition_implILS8_4ELb0ES6_15HIP_vector_typeIjLj2EENS0_17counting_iteratorIjlEEPS9_SG_NS0_5tupleIJPjSI_NS0_16reverse_iteratorISI_EEEEENSH_IJSG_SG_SG_EEES9_SI_JZNS1_25segmented_radix_sort_implINS0_14default_configELb0EPKdPdPKlPlN2at6native12_GLOBAL__N_18offset_tEEE10hipError_tPvRmT1_PNSt15iterator_traitsIS12_E10value_typeET2_T3_PNS13_IS18_E10value_typeET4_jRbjT5_S1E_jjP12ihipStream_tbEUljE_ZNSN_ISO_Lb0ESQ_SR_ST_SU_SY_EESZ_S10_S11_S12_S16_S17_S18_S1B_S1C_jS1D_jS1E_S1E_jjS1G_bEUljE0_EEESZ_S10_S11_S18_S1C_S1E_T6_T7_T9_mT8_S1G_bDpT10_ENKUlT_T0_E_clISt17integral_constantIbLb1EES1U_EEDaS1P_S1Q_EUlS1P_E_NS1_11comp_targetILNS1_3genE5ELNS1_11target_archE942ELNS1_3gpuE9ELNS1_3repE0EEENS1_30default_config_static_selectorELNS0_4arch9wavefront6targetE1EEEvS12_.kd
    .uniform_work_group_size: 1
    .uses_dynamic_stack: false
    .vgpr_count:     0
    .vgpr_spill_count: 0
    .wavefront_size: 64
  - .agpr_count:     0
    .args:
      - .offset:         0
        .size:           184
        .value_kind:     by_value
    .group_segment_fixed_size: 13340
    .kernarg_segment_align: 8
    .kernarg_segment_size: 184
    .language:       OpenCL C
    .language_version:
      - 2
      - 0
    .max_flat_workgroup_size: 256
    .name:           _ZN7rocprim17ROCPRIM_400000_NS6detail17trampoline_kernelINS0_13select_configILj256ELj13ELNS0_17block_load_methodE3ELS4_3ELS4_3ELNS0_20block_scan_algorithmE0ELj4294967295EEENS1_25partition_config_selectorILNS1_17partition_subalgoE4EjNS0_10empty_typeEbEEZZNS1_14partition_implILS8_4ELb0ES6_15HIP_vector_typeIjLj2EENS0_17counting_iteratorIjlEEPS9_SG_NS0_5tupleIJPjSI_NS0_16reverse_iteratorISI_EEEEENSH_IJSG_SG_SG_EEES9_SI_JZNS1_25segmented_radix_sort_implINS0_14default_configELb0EPKdPdPKlPlN2at6native12_GLOBAL__N_18offset_tEEE10hipError_tPvRmT1_PNSt15iterator_traitsIS12_E10value_typeET2_T3_PNS13_IS18_E10value_typeET4_jRbjT5_S1E_jjP12ihipStream_tbEUljE_ZNSN_ISO_Lb0ESQ_SR_ST_SU_SY_EESZ_S10_S11_S12_S16_S17_S18_S1B_S1C_jS1D_jS1E_S1E_jjS1G_bEUljE0_EEESZ_S10_S11_S18_S1C_S1E_T6_T7_T9_mT8_S1G_bDpT10_ENKUlT_T0_E_clISt17integral_constantIbLb1EES1U_EEDaS1P_S1Q_EUlS1P_E_NS1_11comp_targetILNS1_3genE4ELNS1_11target_archE910ELNS1_3gpuE8ELNS1_3repE0EEENS1_30default_config_static_selectorELNS0_4arch9wavefront6targetE1EEEvS12_
    .private_segment_fixed_size: 0
    .sgpr_count:     91
    .sgpr_spill_count: 0
    .symbol:         _ZN7rocprim17ROCPRIM_400000_NS6detail17trampoline_kernelINS0_13select_configILj256ELj13ELNS0_17block_load_methodE3ELS4_3ELS4_3ELNS0_20block_scan_algorithmE0ELj4294967295EEENS1_25partition_config_selectorILNS1_17partition_subalgoE4EjNS0_10empty_typeEbEEZZNS1_14partition_implILS8_4ELb0ES6_15HIP_vector_typeIjLj2EENS0_17counting_iteratorIjlEEPS9_SG_NS0_5tupleIJPjSI_NS0_16reverse_iteratorISI_EEEEENSH_IJSG_SG_SG_EEES9_SI_JZNS1_25segmented_radix_sort_implINS0_14default_configELb0EPKdPdPKlPlN2at6native12_GLOBAL__N_18offset_tEEE10hipError_tPvRmT1_PNSt15iterator_traitsIS12_E10value_typeET2_T3_PNS13_IS18_E10value_typeET4_jRbjT5_S1E_jjP12ihipStream_tbEUljE_ZNSN_ISO_Lb0ESQ_SR_ST_SU_SY_EESZ_S10_S11_S12_S16_S17_S18_S1B_S1C_jS1D_jS1E_S1E_jjS1G_bEUljE0_EEESZ_S10_S11_S18_S1C_S1E_T6_T7_T9_mT8_S1G_bDpT10_ENKUlT_T0_E_clISt17integral_constantIbLb1EES1U_EEDaS1P_S1Q_EUlS1P_E_NS1_11comp_targetILNS1_3genE4ELNS1_11target_archE910ELNS1_3gpuE8ELNS1_3repE0EEENS1_30default_config_static_selectorELNS0_4arch9wavefront6targetE1EEEvS12_.kd
    .uniform_work_group_size: 1
    .uses_dynamic_stack: false
    .vgpr_count:     107
    .vgpr_spill_count: 0
    .wavefront_size: 64
  - .agpr_count:     0
    .args:
      - .offset:         0
        .size:           184
        .value_kind:     by_value
    .group_segment_fixed_size: 0
    .kernarg_segment_align: 8
    .kernarg_segment_size: 184
    .language:       OpenCL C
    .language_version:
      - 2
      - 0
    .max_flat_workgroup_size: 256
    .name:           _ZN7rocprim17ROCPRIM_400000_NS6detail17trampoline_kernelINS0_13select_configILj256ELj13ELNS0_17block_load_methodE3ELS4_3ELS4_3ELNS0_20block_scan_algorithmE0ELj4294967295EEENS1_25partition_config_selectorILNS1_17partition_subalgoE4EjNS0_10empty_typeEbEEZZNS1_14partition_implILS8_4ELb0ES6_15HIP_vector_typeIjLj2EENS0_17counting_iteratorIjlEEPS9_SG_NS0_5tupleIJPjSI_NS0_16reverse_iteratorISI_EEEEENSH_IJSG_SG_SG_EEES9_SI_JZNS1_25segmented_radix_sort_implINS0_14default_configELb0EPKdPdPKlPlN2at6native12_GLOBAL__N_18offset_tEEE10hipError_tPvRmT1_PNSt15iterator_traitsIS12_E10value_typeET2_T3_PNS13_IS18_E10value_typeET4_jRbjT5_S1E_jjP12ihipStream_tbEUljE_ZNSN_ISO_Lb0ESQ_SR_ST_SU_SY_EESZ_S10_S11_S12_S16_S17_S18_S1B_S1C_jS1D_jS1E_S1E_jjS1G_bEUljE0_EEESZ_S10_S11_S18_S1C_S1E_T6_T7_T9_mT8_S1G_bDpT10_ENKUlT_T0_E_clISt17integral_constantIbLb1EES1U_EEDaS1P_S1Q_EUlS1P_E_NS1_11comp_targetILNS1_3genE3ELNS1_11target_archE908ELNS1_3gpuE7ELNS1_3repE0EEENS1_30default_config_static_selectorELNS0_4arch9wavefront6targetE1EEEvS12_
    .private_segment_fixed_size: 0
    .sgpr_count:     4
    .sgpr_spill_count: 0
    .symbol:         _ZN7rocprim17ROCPRIM_400000_NS6detail17trampoline_kernelINS0_13select_configILj256ELj13ELNS0_17block_load_methodE3ELS4_3ELS4_3ELNS0_20block_scan_algorithmE0ELj4294967295EEENS1_25partition_config_selectorILNS1_17partition_subalgoE4EjNS0_10empty_typeEbEEZZNS1_14partition_implILS8_4ELb0ES6_15HIP_vector_typeIjLj2EENS0_17counting_iteratorIjlEEPS9_SG_NS0_5tupleIJPjSI_NS0_16reverse_iteratorISI_EEEEENSH_IJSG_SG_SG_EEES9_SI_JZNS1_25segmented_radix_sort_implINS0_14default_configELb0EPKdPdPKlPlN2at6native12_GLOBAL__N_18offset_tEEE10hipError_tPvRmT1_PNSt15iterator_traitsIS12_E10value_typeET2_T3_PNS13_IS18_E10value_typeET4_jRbjT5_S1E_jjP12ihipStream_tbEUljE_ZNSN_ISO_Lb0ESQ_SR_ST_SU_SY_EESZ_S10_S11_S12_S16_S17_S18_S1B_S1C_jS1D_jS1E_S1E_jjS1G_bEUljE0_EEESZ_S10_S11_S18_S1C_S1E_T6_T7_T9_mT8_S1G_bDpT10_ENKUlT_T0_E_clISt17integral_constantIbLb1EES1U_EEDaS1P_S1Q_EUlS1P_E_NS1_11comp_targetILNS1_3genE3ELNS1_11target_archE908ELNS1_3gpuE7ELNS1_3repE0EEENS1_30default_config_static_selectorELNS0_4arch9wavefront6targetE1EEEvS12_.kd
    .uniform_work_group_size: 1
    .uses_dynamic_stack: false
    .vgpr_count:     0
    .vgpr_spill_count: 0
    .wavefront_size: 64
  - .agpr_count:     0
    .args:
      - .offset:         0
        .size:           184
        .value_kind:     by_value
    .group_segment_fixed_size: 0
    .kernarg_segment_align: 8
    .kernarg_segment_size: 184
    .language:       OpenCL C
    .language_version:
      - 2
      - 0
    .max_flat_workgroup_size: 256
    .name:           _ZN7rocprim17ROCPRIM_400000_NS6detail17trampoline_kernelINS0_13select_configILj256ELj13ELNS0_17block_load_methodE3ELS4_3ELS4_3ELNS0_20block_scan_algorithmE0ELj4294967295EEENS1_25partition_config_selectorILNS1_17partition_subalgoE4EjNS0_10empty_typeEbEEZZNS1_14partition_implILS8_4ELb0ES6_15HIP_vector_typeIjLj2EENS0_17counting_iteratorIjlEEPS9_SG_NS0_5tupleIJPjSI_NS0_16reverse_iteratorISI_EEEEENSH_IJSG_SG_SG_EEES9_SI_JZNS1_25segmented_radix_sort_implINS0_14default_configELb0EPKdPdPKlPlN2at6native12_GLOBAL__N_18offset_tEEE10hipError_tPvRmT1_PNSt15iterator_traitsIS12_E10value_typeET2_T3_PNS13_IS18_E10value_typeET4_jRbjT5_S1E_jjP12ihipStream_tbEUljE_ZNSN_ISO_Lb0ESQ_SR_ST_SU_SY_EESZ_S10_S11_S12_S16_S17_S18_S1B_S1C_jS1D_jS1E_S1E_jjS1G_bEUljE0_EEESZ_S10_S11_S18_S1C_S1E_T6_T7_T9_mT8_S1G_bDpT10_ENKUlT_T0_E_clISt17integral_constantIbLb1EES1U_EEDaS1P_S1Q_EUlS1P_E_NS1_11comp_targetILNS1_3genE2ELNS1_11target_archE906ELNS1_3gpuE6ELNS1_3repE0EEENS1_30default_config_static_selectorELNS0_4arch9wavefront6targetE1EEEvS12_
    .private_segment_fixed_size: 0
    .sgpr_count:     4
    .sgpr_spill_count: 0
    .symbol:         _ZN7rocprim17ROCPRIM_400000_NS6detail17trampoline_kernelINS0_13select_configILj256ELj13ELNS0_17block_load_methodE3ELS4_3ELS4_3ELNS0_20block_scan_algorithmE0ELj4294967295EEENS1_25partition_config_selectorILNS1_17partition_subalgoE4EjNS0_10empty_typeEbEEZZNS1_14partition_implILS8_4ELb0ES6_15HIP_vector_typeIjLj2EENS0_17counting_iteratorIjlEEPS9_SG_NS0_5tupleIJPjSI_NS0_16reverse_iteratorISI_EEEEENSH_IJSG_SG_SG_EEES9_SI_JZNS1_25segmented_radix_sort_implINS0_14default_configELb0EPKdPdPKlPlN2at6native12_GLOBAL__N_18offset_tEEE10hipError_tPvRmT1_PNSt15iterator_traitsIS12_E10value_typeET2_T3_PNS13_IS18_E10value_typeET4_jRbjT5_S1E_jjP12ihipStream_tbEUljE_ZNSN_ISO_Lb0ESQ_SR_ST_SU_SY_EESZ_S10_S11_S12_S16_S17_S18_S1B_S1C_jS1D_jS1E_S1E_jjS1G_bEUljE0_EEESZ_S10_S11_S18_S1C_S1E_T6_T7_T9_mT8_S1G_bDpT10_ENKUlT_T0_E_clISt17integral_constantIbLb1EES1U_EEDaS1P_S1Q_EUlS1P_E_NS1_11comp_targetILNS1_3genE2ELNS1_11target_archE906ELNS1_3gpuE6ELNS1_3repE0EEENS1_30default_config_static_selectorELNS0_4arch9wavefront6targetE1EEEvS12_.kd
    .uniform_work_group_size: 1
    .uses_dynamic_stack: false
    .vgpr_count:     0
    .vgpr_spill_count: 0
    .wavefront_size: 64
  - .agpr_count:     0
    .args:
      - .offset:         0
        .size:           184
        .value_kind:     by_value
    .group_segment_fixed_size: 0
    .kernarg_segment_align: 8
    .kernarg_segment_size: 184
    .language:       OpenCL C
    .language_version:
      - 2
      - 0
    .max_flat_workgroup_size: 256
    .name:           _ZN7rocprim17ROCPRIM_400000_NS6detail17trampoline_kernelINS0_13select_configILj256ELj13ELNS0_17block_load_methodE3ELS4_3ELS4_3ELNS0_20block_scan_algorithmE0ELj4294967295EEENS1_25partition_config_selectorILNS1_17partition_subalgoE4EjNS0_10empty_typeEbEEZZNS1_14partition_implILS8_4ELb0ES6_15HIP_vector_typeIjLj2EENS0_17counting_iteratorIjlEEPS9_SG_NS0_5tupleIJPjSI_NS0_16reverse_iteratorISI_EEEEENSH_IJSG_SG_SG_EEES9_SI_JZNS1_25segmented_radix_sort_implINS0_14default_configELb0EPKdPdPKlPlN2at6native12_GLOBAL__N_18offset_tEEE10hipError_tPvRmT1_PNSt15iterator_traitsIS12_E10value_typeET2_T3_PNS13_IS18_E10value_typeET4_jRbjT5_S1E_jjP12ihipStream_tbEUljE_ZNSN_ISO_Lb0ESQ_SR_ST_SU_SY_EESZ_S10_S11_S12_S16_S17_S18_S1B_S1C_jS1D_jS1E_S1E_jjS1G_bEUljE0_EEESZ_S10_S11_S18_S1C_S1E_T6_T7_T9_mT8_S1G_bDpT10_ENKUlT_T0_E_clISt17integral_constantIbLb1EES1U_EEDaS1P_S1Q_EUlS1P_E_NS1_11comp_targetILNS1_3genE10ELNS1_11target_archE1200ELNS1_3gpuE4ELNS1_3repE0EEENS1_30default_config_static_selectorELNS0_4arch9wavefront6targetE1EEEvS12_
    .private_segment_fixed_size: 0
    .sgpr_count:     4
    .sgpr_spill_count: 0
    .symbol:         _ZN7rocprim17ROCPRIM_400000_NS6detail17trampoline_kernelINS0_13select_configILj256ELj13ELNS0_17block_load_methodE3ELS4_3ELS4_3ELNS0_20block_scan_algorithmE0ELj4294967295EEENS1_25partition_config_selectorILNS1_17partition_subalgoE4EjNS0_10empty_typeEbEEZZNS1_14partition_implILS8_4ELb0ES6_15HIP_vector_typeIjLj2EENS0_17counting_iteratorIjlEEPS9_SG_NS0_5tupleIJPjSI_NS0_16reverse_iteratorISI_EEEEENSH_IJSG_SG_SG_EEES9_SI_JZNS1_25segmented_radix_sort_implINS0_14default_configELb0EPKdPdPKlPlN2at6native12_GLOBAL__N_18offset_tEEE10hipError_tPvRmT1_PNSt15iterator_traitsIS12_E10value_typeET2_T3_PNS13_IS18_E10value_typeET4_jRbjT5_S1E_jjP12ihipStream_tbEUljE_ZNSN_ISO_Lb0ESQ_SR_ST_SU_SY_EESZ_S10_S11_S12_S16_S17_S18_S1B_S1C_jS1D_jS1E_S1E_jjS1G_bEUljE0_EEESZ_S10_S11_S18_S1C_S1E_T6_T7_T9_mT8_S1G_bDpT10_ENKUlT_T0_E_clISt17integral_constantIbLb1EES1U_EEDaS1P_S1Q_EUlS1P_E_NS1_11comp_targetILNS1_3genE10ELNS1_11target_archE1200ELNS1_3gpuE4ELNS1_3repE0EEENS1_30default_config_static_selectorELNS0_4arch9wavefront6targetE1EEEvS12_.kd
    .uniform_work_group_size: 1
    .uses_dynamic_stack: false
    .vgpr_count:     0
    .vgpr_spill_count: 0
    .wavefront_size: 64
  - .agpr_count:     0
    .args:
      - .offset:         0
        .size:           184
        .value_kind:     by_value
    .group_segment_fixed_size: 0
    .kernarg_segment_align: 8
    .kernarg_segment_size: 184
    .language:       OpenCL C
    .language_version:
      - 2
      - 0
    .max_flat_workgroup_size: 256
    .name:           _ZN7rocprim17ROCPRIM_400000_NS6detail17trampoline_kernelINS0_13select_configILj256ELj13ELNS0_17block_load_methodE3ELS4_3ELS4_3ELNS0_20block_scan_algorithmE0ELj4294967295EEENS1_25partition_config_selectorILNS1_17partition_subalgoE4EjNS0_10empty_typeEbEEZZNS1_14partition_implILS8_4ELb0ES6_15HIP_vector_typeIjLj2EENS0_17counting_iteratorIjlEEPS9_SG_NS0_5tupleIJPjSI_NS0_16reverse_iteratorISI_EEEEENSH_IJSG_SG_SG_EEES9_SI_JZNS1_25segmented_radix_sort_implINS0_14default_configELb0EPKdPdPKlPlN2at6native12_GLOBAL__N_18offset_tEEE10hipError_tPvRmT1_PNSt15iterator_traitsIS12_E10value_typeET2_T3_PNS13_IS18_E10value_typeET4_jRbjT5_S1E_jjP12ihipStream_tbEUljE_ZNSN_ISO_Lb0ESQ_SR_ST_SU_SY_EESZ_S10_S11_S12_S16_S17_S18_S1B_S1C_jS1D_jS1E_S1E_jjS1G_bEUljE0_EEESZ_S10_S11_S18_S1C_S1E_T6_T7_T9_mT8_S1G_bDpT10_ENKUlT_T0_E_clISt17integral_constantIbLb1EES1U_EEDaS1P_S1Q_EUlS1P_E_NS1_11comp_targetILNS1_3genE9ELNS1_11target_archE1100ELNS1_3gpuE3ELNS1_3repE0EEENS1_30default_config_static_selectorELNS0_4arch9wavefront6targetE1EEEvS12_
    .private_segment_fixed_size: 0
    .sgpr_count:     4
    .sgpr_spill_count: 0
    .symbol:         _ZN7rocprim17ROCPRIM_400000_NS6detail17trampoline_kernelINS0_13select_configILj256ELj13ELNS0_17block_load_methodE3ELS4_3ELS4_3ELNS0_20block_scan_algorithmE0ELj4294967295EEENS1_25partition_config_selectorILNS1_17partition_subalgoE4EjNS0_10empty_typeEbEEZZNS1_14partition_implILS8_4ELb0ES6_15HIP_vector_typeIjLj2EENS0_17counting_iteratorIjlEEPS9_SG_NS0_5tupleIJPjSI_NS0_16reverse_iteratorISI_EEEEENSH_IJSG_SG_SG_EEES9_SI_JZNS1_25segmented_radix_sort_implINS0_14default_configELb0EPKdPdPKlPlN2at6native12_GLOBAL__N_18offset_tEEE10hipError_tPvRmT1_PNSt15iterator_traitsIS12_E10value_typeET2_T3_PNS13_IS18_E10value_typeET4_jRbjT5_S1E_jjP12ihipStream_tbEUljE_ZNSN_ISO_Lb0ESQ_SR_ST_SU_SY_EESZ_S10_S11_S12_S16_S17_S18_S1B_S1C_jS1D_jS1E_S1E_jjS1G_bEUljE0_EEESZ_S10_S11_S18_S1C_S1E_T6_T7_T9_mT8_S1G_bDpT10_ENKUlT_T0_E_clISt17integral_constantIbLb1EES1U_EEDaS1P_S1Q_EUlS1P_E_NS1_11comp_targetILNS1_3genE9ELNS1_11target_archE1100ELNS1_3gpuE3ELNS1_3repE0EEENS1_30default_config_static_selectorELNS0_4arch9wavefront6targetE1EEEvS12_.kd
    .uniform_work_group_size: 1
    .uses_dynamic_stack: false
    .vgpr_count:     0
    .vgpr_spill_count: 0
    .wavefront_size: 64
  - .agpr_count:     0
    .args:
      - .offset:         0
        .size:           184
        .value_kind:     by_value
    .group_segment_fixed_size: 0
    .kernarg_segment_align: 8
    .kernarg_segment_size: 184
    .language:       OpenCL C
    .language_version:
      - 2
      - 0
    .max_flat_workgroup_size: 256
    .name:           _ZN7rocprim17ROCPRIM_400000_NS6detail17trampoline_kernelINS0_13select_configILj256ELj13ELNS0_17block_load_methodE3ELS4_3ELS4_3ELNS0_20block_scan_algorithmE0ELj4294967295EEENS1_25partition_config_selectorILNS1_17partition_subalgoE4EjNS0_10empty_typeEbEEZZNS1_14partition_implILS8_4ELb0ES6_15HIP_vector_typeIjLj2EENS0_17counting_iteratorIjlEEPS9_SG_NS0_5tupleIJPjSI_NS0_16reverse_iteratorISI_EEEEENSH_IJSG_SG_SG_EEES9_SI_JZNS1_25segmented_radix_sort_implINS0_14default_configELb0EPKdPdPKlPlN2at6native12_GLOBAL__N_18offset_tEEE10hipError_tPvRmT1_PNSt15iterator_traitsIS12_E10value_typeET2_T3_PNS13_IS18_E10value_typeET4_jRbjT5_S1E_jjP12ihipStream_tbEUljE_ZNSN_ISO_Lb0ESQ_SR_ST_SU_SY_EESZ_S10_S11_S12_S16_S17_S18_S1B_S1C_jS1D_jS1E_S1E_jjS1G_bEUljE0_EEESZ_S10_S11_S18_S1C_S1E_T6_T7_T9_mT8_S1G_bDpT10_ENKUlT_T0_E_clISt17integral_constantIbLb1EES1U_EEDaS1P_S1Q_EUlS1P_E_NS1_11comp_targetILNS1_3genE8ELNS1_11target_archE1030ELNS1_3gpuE2ELNS1_3repE0EEENS1_30default_config_static_selectorELNS0_4arch9wavefront6targetE1EEEvS12_
    .private_segment_fixed_size: 0
    .sgpr_count:     4
    .sgpr_spill_count: 0
    .symbol:         _ZN7rocprim17ROCPRIM_400000_NS6detail17trampoline_kernelINS0_13select_configILj256ELj13ELNS0_17block_load_methodE3ELS4_3ELS4_3ELNS0_20block_scan_algorithmE0ELj4294967295EEENS1_25partition_config_selectorILNS1_17partition_subalgoE4EjNS0_10empty_typeEbEEZZNS1_14partition_implILS8_4ELb0ES6_15HIP_vector_typeIjLj2EENS0_17counting_iteratorIjlEEPS9_SG_NS0_5tupleIJPjSI_NS0_16reverse_iteratorISI_EEEEENSH_IJSG_SG_SG_EEES9_SI_JZNS1_25segmented_radix_sort_implINS0_14default_configELb0EPKdPdPKlPlN2at6native12_GLOBAL__N_18offset_tEEE10hipError_tPvRmT1_PNSt15iterator_traitsIS12_E10value_typeET2_T3_PNS13_IS18_E10value_typeET4_jRbjT5_S1E_jjP12ihipStream_tbEUljE_ZNSN_ISO_Lb0ESQ_SR_ST_SU_SY_EESZ_S10_S11_S12_S16_S17_S18_S1B_S1C_jS1D_jS1E_S1E_jjS1G_bEUljE0_EEESZ_S10_S11_S18_S1C_S1E_T6_T7_T9_mT8_S1G_bDpT10_ENKUlT_T0_E_clISt17integral_constantIbLb1EES1U_EEDaS1P_S1Q_EUlS1P_E_NS1_11comp_targetILNS1_3genE8ELNS1_11target_archE1030ELNS1_3gpuE2ELNS1_3repE0EEENS1_30default_config_static_selectorELNS0_4arch9wavefront6targetE1EEEvS12_.kd
    .uniform_work_group_size: 1
    .uses_dynamic_stack: false
    .vgpr_count:     0
    .vgpr_spill_count: 0
    .wavefront_size: 64
  - .agpr_count:     0
    .args:
      - .offset:         0
        .size:           176
        .value_kind:     by_value
    .group_segment_fixed_size: 0
    .kernarg_segment_align: 8
    .kernarg_segment_size: 176
    .language:       OpenCL C
    .language_version:
      - 2
      - 0
    .max_flat_workgroup_size: 256
    .name:           _ZN7rocprim17ROCPRIM_400000_NS6detail17trampoline_kernelINS0_13select_configILj256ELj13ELNS0_17block_load_methodE3ELS4_3ELS4_3ELNS0_20block_scan_algorithmE0ELj4294967295EEENS1_25partition_config_selectorILNS1_17partition_subalgoE4EjNS0_10empty_typeEbEEZZNS1_14partition_implILS8_4ELb0ES6_15HIP_vector_typeIjLj2EENS0_17counting_iteratorIjlEEPS9_SG_NS0_5tupleIJPjSI_NS0_16reverse_iteratorISI_EEEEENSH_IJSG_SG_SG_EEES9_SI_JZNS1_25segmented_radix_sort_implINS0_14default_configELb0EPKdPdPKlPlN2at6native12_GLOBAL__N_18offset_tEEE10hipError_tPvRmT1_PNSt15iterator_traitsIS12_E10value_typeET2_T3_PNS13_IS18_E10value_typeET4_jRbjT5_S1E_jjP12ihipStream_tbEUljE_ZNSN_ISO_Lb0ESQ_SR_ST_SU_SY_EESZ_S10_S11_S12_S16_S17_S18_S1B_S1C_jS1D_jS1E_S1E_jjS1G_bEUljE0_EEESZ_S10_S11_S18_S1C_S1E_T6_T7_T9_mT8_S1G_bDpT10_ENKUlT_T0_E_clISt17integral_constantIbLb1EES1T_IbLb0EEEEDaS1P_S1Q_EUlS1P_E_NS1_11comp_targetILNS1_3genE0ELNS1_11target_archE4294967295ELNS1_3gpuE0ELNS1_3repE0EEENS1_30default_config_static_selectorELNS0_4arch9wavefront6targetE1EEEvS12_
    .private_segment_fixed_size: 0
    .sgpr_count:     4
    .sgpr_spill_count: 0
    .symbol:         _ZN7rocprim17ROCPRIM_400000_NS6detail17trampoline_kernelINS0_13select_configILj256ELj13ELNS0_17block_load_methodE3ELS4_3ELS4_3ELNS0_20block_scan_algorithmE0ELj4294967295EEENS1_25partition_config_selectorILNS1_17partition_subalgoE4EjNS0_10empty_typeEbEEZZNS1_14partition_implILS8_4ELb0ES6_15HIP_vector_typeIjLj2EENS0_17counting_iteratorIjlEEPS9_SG_NS0_5tupleIJPjSI_NS0_16reverse_iteratorISI_EEEEENSH_IJSG_SG_SG_EEES9_SI_JZNS1_25segmented_radix_sort_implINS0_14default_configELb0EPKdPdPKlPlN2at6native12_GLOBAL__N_18offset_tEEE10hipError_tPvRmT1_PNSt15iterator_traitsIS12_E10value_typeET2_T3_PNS13_IS18_E10value_typeET4_jRbjT5_S1E_jjP12ihipStream_tbEUljE_ZNSN_ISO_Lb0ESQ_SR_ST_SU_SY_EESZ_S10_S11_S12_S16_S17_S18_S1B_S1C_jS1D_jS1E_S1E_jjS1G_bEUljE0_EEESZ_S10_S11_S18_S1C_S1E_T6_T7_T9_mT8_S1G_bDpT10_ENKUlT_T0_E_clISt17integral_constantIbLb1EES1T_IbLb0EEEEDaS1P_S1Q_EUlS1P_E_NS1_11comp_targetILNS1_3genE0ELNS1_11target_archE4294967295ELNS1_3gpuE0ELNS1_3repE0EEENS1_30default_config_static_selectorELNS0_4arch9wavefront6targetE1EEEvS12_.kd
    .uniform_work_group_size: 1
    .uses_dynamic_stack: false
    .vgpr_count:     0
    .vgpr_spill_count: 0
    .wavefront_size: 64
  - .agpr_count:     0
    .args:
      - .offset:         0
        .size:           176
        .value_kind:     by_value
    .group_segment_fixed_size: 0
    .kernarg_segment_align: 8
    .kernarg_segment_size: 176
    .language:       OpenCL C
    .language_version:
      - 2
      - 0
    .max_flat_workgroup_size: 256
    .name:           _ZN7rocprim17ROCPRIM_400000_NS6detail17trampoline_kernelINS0_13select_configILj256ELj13ELNS0_17block_load_methodE3ELS4_3ELS4_3ELNS0_20block_scan_algorithmE0ELj4294967295EEENS1_25partition_config_selectorILNS1_17partition_subalgoE4EjNS0_10empty_typeEbEEZZNS1_14partition_implILS8_4ELb0ES6_15HIP_vector_typeIjLj2EENS0_17counting_iteratorIjlEEPS9_SG_NS0_5tupleIJPjSI_NS0_16reverse_iteratorISI_EEEEENSH_IJSG_SG_SG_EEES9_SI_JZNS1_25segmented_radix_sort_implINS0_14default_configELb0EPKdPdPKlPlN2at6native12_GLOBAL__N_18offset_tEEE10hipError_tPvRmT1_PNSt15iterator_traitsIS12_E10value_typeET2_T3_PNS13_IS18_E10value_typeET4_jRbjT5_S1E_jjP12ihipStream_tbEUljE_ZNSN_ISO_Lb0ESQ_SR_ST_SU_SY_EESZ_S10_S11_S12_S16_S17_S18_S1B_S1C_jS1D_jS1E_S1E_jjS1G_bEUljE0_EEESZ_S10_S11_S18_S1C_S1E_T6_T7_T9_mT8_S1G_bDpT10_ENKUlT_T0_E_clISt17integral_constantIbLb1EES1T_IbLb0EEEEDaS1P_S1Q_EUlS1P_E_NS1_11comp_targetILNS1_3genE5ELNS1_11target_archE942ELNS1_3gpuE9ELNS1_3repE0EEENS1_30default_config_static_selectorELNS0_4arch9wavefront6targetE1EEEvS12_
    .private_segment_fixed_size: 0
    .sgpr_count:     4
    .sgpr_spill_count: 0
    .symbol:         _ZN7rocprim17ROCPRIM_400000_NS6detail17trampoline_kernelINS0_13select_configILj256ELj13ELNS0_17block_load_methodE3ELS4_3ELS4_3ELNS0_20block_scan_algorithmE0ELj4294967295EEENS1_25partition_config_selectorILNS1_17partition_subalgoE4EjNS0_10empty_typeEbEEZZNS1_14partition_implILS8_4ELb0ES6_15HIP_vector_typeIjLj2EENS0_17counting_iteratorIjlEEPS9_SG_NS0_5tupleIJPjSI_NS0_16reverse_iteratorISI_EEEEENSH_IJSG_SG_SG_EEES9_SI_JZNS1_25segmented_radix_sort_implINS0_14default_configELb0EPKdPdPKlPlN2at6native12_GLOBAL__N_18offset_tEEE10hipError_tPvRmT1_PNSt15iterator_traitsIS12_E10value_typeET2_T3_PNS13_IS18_E10value_typeET4_jRbjT5_S1E_jjP12ihipStream_tbEUljE_ZNSN_ISO_Lb0ESQ_SR_ST_SU_SY_EESZ_S10_S11_S12_S16_S17_S18_S1B_S1C_jS1D_jS1E_S1E_jjS1G_bEUljE0_EEESZ_S10_S11_S18_S1C_S1E_T6_T7_T9_mT8_S1G_bDpT10_ENKUlT_T0_E_clISt17integral_constantIbLb1EES1T_IbLb0EEEEDaS1P_S1Q_EUlS1P_E_NS1_11comp_targetILNS1_3genE5ELNS1_11target_archE942ELNS1_3gpuE9ELNS1_3repE0EEENS1_30default_config_static_selectorELNS0_4arch9wavefront6targetE1EEEvS12_.kd
    .uniform_work_group_size: 1
    .uses_dynamic_stack: false
    .vgpr_count:     0
    .vgpr_spill_count: 0
    .wavefront_size: 64
  - .agpr_count:     0
    .args:
      - .offset:         0
        .size:           176
        .value_kind:     by_value
    .group_segment_fixed_size: 13340
    .kernarg_segment_align: 8
    .kernarg_segment_size: 176
    .language:       OpenCL C
    .language_version:
      - 2
      - 0
    .max_flat_workgroup_size: 256
    .name:           _ZN7rocprim17ROCPRIM_400000_NS6detail17trampoline_kernelINS0_13select_configILj256ELj13ELNS0_17block_load_methodE3ELS4_3ELS4_3ELNS0_20block_scan_algorithmE0ELj4294967295EEENS1_25partition_config_selectorILNS1_17partition_subalgoE4EjNS0_10empty_typeEbEEZZNS1_14partition_implILS8_4ELb0ES6_15HIP_vector_typeIjLj2EENS0_17counting_iteratorIjlEEPS9_SG_NS0_5tupleIJPjSI_NS0_16reverse_iteratorISI_EEEEENSH_IJSG_SG_SG_EEES9_SI_JZNS1_25segmented_radix_sort_implINS0_14default_configELb0EPKdPdPKlPlN2at6native12_GLOBAL__N_18offset_tEEE10hipError_tPvRmT1_PNSt15iterator_traitsIS12_E10value_typeET2_T3_PNS13_IS18_E10value_typeET4_jRbjT5_S1E_jjP12ihipStream_tbEUljE_ZNSN_ISO_Lb0ESQ_SR_ST_SU_SY_EESZ_S10_S11_S12_S16_S17_S18_S1B_S1C_jS1D_jS1E_S1E_jjS1G_bEUljE0_EEESZ_S10_S11_S18_S1C_S1E_T6_T7_T9_mT8_S1G_bDpT10_ENKUlT_T0_E_clISt17integral_constantIbLb1EES1T_IbLb0EEEEDaS1P_S1Q_EUlS1P_E_NS1_11comp_targetILNS1_3genE4ELNS1_11target_archE910ELNS1_3gpuE8ELNS1_3repE0EEENS1_30default_config_static_selectorELNS0_4arch9wavefront6targetE1EEEvS12_
    .private_segment_fixed_size: 0
    .sgpr_count:     94
    .sgpr_spill_count: 0
    .symbol:         _ZN7rocprim17ROCPRIM_400000_NS6detail17trampoline_kernelINS0_13select_configILj256ELj13ELNS0_17block_load_methodE3ELS4_3ELS4_3ELNS0_20block_scan_algorithmE0ELj4294967295EEENS1_25partition_config_selectorILNS1_17partition_subalgoE4EjNS0_10empty_typeEbEEZZNS1_14partition_implILS8_4ELb0ES6_15HIP_vector_typeIjLj2EENS0_17counting_iteratorIjlEEPS9_SG_NS0_5tupleIJPjSI_NS0_16reverse_iteratorISI_EEEEENSH_IJSG_SG_SG_EEES9_SI_JZNS1_25segmented_radix_sort_implINS0_14default_configELb0EPKdPdPKlPlN2at6native12_GLOBAL__N_18offset_tEEE10hipError_tPvRmT1_PNSt15iterator_traitsIS12_E10value_typeET2_T3_PNS13_IS18_E10value_typeET4_jRbjT5_S1E_jjP12ihipStream_tbEUljE_ZNSN_ISO_Lb0ESQ_SR_ST_SU_SY_EESZ_S10_S11_S12_S16_S17_S18_S1B_S1C_jS1D_jS1E_S1E_jjS1G_bEUljE0_EEESZ_S10_S11_S18_S1C_S1E_T6_T7_T9_mT8_S1G_bDpT10_ENKUlT_T0_E_clISt17integral_constantIbLb1EES1T_IbLb0EEEEDaS1P_S1Q_EUlS1P_E_NS1_11comp_targetILNS1_3genE4ELNS1_11target_archE910ELNS1_3gpuE8ELNS1_3repE0EEENS1_30default_config_static_selectorELNS0_4arch9wavefront6targetE1EEEvS12_.kd
    .uniform_work_group_size: 1
    .uses_dynamic_stack: false
    .vgpr_count:     102
    .vgpr_spill_count: 0
    .wavefront_size: 64
  - .agpr_count:     0
    .args:
      - .offset:         0
        .size:           176
        .value_kind:     by_value
    .group_segment_fixed_size: 0
    .kernarg_segment_align: 8
    .kernarg_segment_size: 176
    .language:       OpenCL C
    .language_version:
      - 2
      - 0
    .max_flat_workgroup_size: 256
    .name:           _ZN7rocprim17ROCPRIM_400000_NS6detail17trampoline_kernelINS0_13select_configILj256ELj13ELNS0_17block_load_methodE3ELS4_3ELS4_3ELNS0_20block_scan_algorithmE0ELj4294967295EEENS1_25partition_config_selectorILNS1_17partition_subalgoE4EjNS0_10empty_typeEbEEZZNS1_14partition_implILS8_4ELb0ES6_15HIP_vector_typeIjLj2EENS0_17counting_iteratorIjlEEPS9_SG_NS0_5tupleIJPjSI_NS0_16reverse_iteratorISI_EEEEENSH_IJSG_SG_SG_EEES9_SI_JZNS1_25segmented_radix_sort_implINS0_14default_configELb0EPKdPdPKlPlN2at6native12_GLOBAL__N_18offset_tEEE10hipError_tPvRmT1_PNSt15iterator_traitsIS12_E10value_typeET2_T3_PNS13_IS18_E10value_typeET4_jRbjT5_S1E_jjP12ihipStream_tbEUljE_ZNSN_ISO_Lb0ESQ_SR_ST_SU_SY_EESZ_S10_S11_S12_S16_S17_S18_S1B_S1C_jS1D_jS1E_S1E_jjS1G_bEUljE0_EEESZ_S10_S11_S18_S1C_S1E_T6_T7_T9_mT8_S1G_bDpT10_ENKUlT_T0_E_clISt17integral_constantIbLb1EES1T_IbLb0EEEEDaS1P_S1Q_EUlS1P_E_NS1_11comp_targetILNS1_3genE3ELNS1_11target_archE908ELNS1_3gpuE7ELNS1_3repE0EEENS1_30default_config_static_selectorELNS0_4arch9wavefront6targetE1EEEvS12_
    .private_segment_fixed_size: 0
    .sgpr_count:     4
    .sgpr_spill_count: 0
    .symbol:         _ZN7rocprim17ROCPRIM_400000_NS6detail17trampoline_kernelINS0_13select_configILj256ELj13ELNS0_17block_load_methodE3ELS4_3ELS4_3ELNS0_20block_scan_algorithmE0ELj4294967295EEENS1_25partition_config_selectorILNS1_17partition_subalgoE4EjNS0_10empty_typeEbEEZZNS1_14partition_implILS8_4ELb0ES6_15HIP_vector_typeIjLj2EENS0_17counting_iteratorIjlEEPS9_SG_NS0_5tupleIJPjSI_NS0_16reverse_iteratorISI_EEEEENSH_IJSG_SG_SG_EEES9_SI_JZNS1_25segmented_radix_sort_implINS0_14default_configELb0EPKdPdPKlPlN2at6native12_GLOBAL__N_18offset_tEEE10hipError_tPvRmT1_PNSt15iterator_traitsIS12_E10value_typeET2_T3_PNS13_IS18_E10value_typeET4_jRbjT5_S1E_jjP12ihipStream_tbEUljE_ZNSN_ISO_Lb0ESQ_SR_ST_SU_SY_EESZ_S10_S11_S12_S16_S17_S18_S1B_S1C_jS1D_jS1E_S1E_jjS1G_bEUljE0_EEESZ_S10_S11_S18_S1C_S1E_T6_T7_T9_mT8_S1G_bDpT10_ENKUlT_T0_E_clISt17integral_constantIbLb1EES1T_IbLb0EEEEDaS1P_S1Q_EUlS1P_E_NS1_11comp_targetILNS1_3genE3ELNS1_11target_archE908ELNS1_3gpuE7ELNS1_3repE0EEENS1_30default_config_static_selectorELNS0_4arch9wavefront6targetE1EEEvS12_.kd
    .uniform_work_group_size: 1
    .uses_dynamic_stack: false
    .vgpr_count:     0
    .vgpr_spill_count: 0
    .wavefront_size: 64
  - .agpr_count:     0
    .args:
      - .offset:         0
        .size:           176
        .value_kind:     by_value
    .group_segment_fixed_size: 0
    .kernarg_segment_align: 8
    .kernarg_segment_size: 176
    .language:       OpenCL C
    .language_version:
      - 2
      - 0
    .max_flat_workgroup_size: 256
    .name:           _ZN7rocprim17ROCPRIM_400000_NS6detail17trampoline_kernelINS0_13select_configILj256ELj13ELNS0_17block_load_methodE3ELS4_3ELS4_3ELNS0_20block_scan_algorithmE0ELj4294967295EEENS1_25partition_config_selectorILNS1_17partition_subalgoE4EjNS0_10empty_typeEbEEZZNS1_14partition_implILS8_4ELb0ES6_15HIP_vector_typeIjLj2EENS0_17counting_iteratorIjlEEPS9_SG_NS0_5tupleIJPjSI_NS0_16reverse_iteratorISI_EEEEENSH_IJSG_SG_SG_EEES9_SI_JZNS1_25segmented_radix_sort_implINS0_14default_configELb0EPKdPdPKlPlN2at6native12_GLOBAL__N_18offset_tEEE10hipError_tPvRmT1_PNSt15iterator_traitsIS12_E10value_typeET2_T3_PNS13_IS18_E10value_typeET4_jRbjT5_S1E_jjP12ihipStream_tbEUljE_ZNSN_ISO_Lb0ESQ_SR_ST_SU_SY_EESZ_S10_S11_S12_S16_S17_S18_S1B_S1C_jS1D_jS1E_S1E_jjS1G_bEUljE0_EEESZ_S10_S11_S18_S1C_S1E_T6_T7_T9_mT8_S1G_bDpT10_ENKUlT_T0_E_clISt17integral_constantIbLb1EES1T_IbLb0EEEEDaS1P_S1Q_EUlS1P_E_NS1_11comp_targetILNS1_3genE2ELNS1_11target_archE906ELNS1_3gpuE6ELNS1_3repE0EEENS1_30default_config_static_selectorELNS0_4arch9wavefront6targetE1EEEvS12_
    .private_segment_fixed_size: 0
    .sgpr_count:     4
    .sgpr_spill_count: 0
    .symbol:         _ZN7rocprim17ROCPRIM_400000_NS6detail17trampoline_kernelINS0_13select_configILj256ELj13ELNS0_17block_load_methodE3ELS4_3ELS4_3ELNS0_20block_scan_algorithmE0ELj4294967295EEENS1_25partition_config_selectorILNS1_17partition_subalgoE4EjNS0_10empty_typeEbEEZZNS1_14partition_implILS8_4ELb0ES6_15HIP_vector_typeIjLj2EENS0_17counting_iteratorIjlEEPS9_SG_NS0_5tupleIJPjSI_NS0_16reverse_iteratorISI_EEEEENSH_IJSG_SG_SG_EEES9_SI_JZNS1_25segmented_radix_sort_implINS0_14default_configELb0EPKdPdPKlPlN2at6native12_GLOBAL__N_18offset_tEEE10hipError_tPvRmT1_PNSt15iterator_traitsIS12_E10value_typeET2_T3_PNS13_IS18_E10value_typeET4_jRbjT5_S1E_jjP12ihipStream_tbEUljE_ZNSN_ISO_Lb0ESQ_SR_ST_SU_SY_EESZ_S10_S11_S12_S16_S17_S18_S1B_S1C_jS1D_jS1E_S1E_jjS1G_bEUljE0_EEESZ_S10_S11_S18_S1C_S1E_T6_T7_T9_mT8_S1G_bDpT10_ENKUlT_T0_E_clISt17integral_constantIbLb1EES1T_IbLb0EEEEDaS1P_S1Q_EUlS1P_E_NS1_11comp_targetILNS1_3genE2ELNS1_11target_archE906ELNS1_3gpuE6ELNS1_3repE0EEENS1_30default_config_static_selectorELNS0_4arch9wavefront6targetE1EEEvS12_.kd
    .uniform_work_group_size: 1
    .uses_dynamic_stack: false
    .vgpr_count:     0
    .vgpr_spill_count: 0
    .wavefront_size: 64
  - .agpr_count:     0
    .args:
      - .offset:         0
        .size:           176
        .value_kind:     by_value
    .group_segment_fixed_size: 0
    .kernarg_segment_align: 8
    .kernarg_segment_size: 176
    .language:       OpenCL C
    .language_version:
      - 2
      - 0
    .max_flat_workgroup_size: 256
    .name:           _ZN7rocprim17ROCPRIM_400000_NS6detail17trampoline_kernelINS0_13select_configILj256ELj13ELNS0_17block_load_methodE3ELS4_3ELS4_3ELNS0_20block_scan_algorithmE0ELj4294967295EEENS1_25partition_config_selectorILNS1_17partition_subalgoE4EjNS0_10empty_typeEbEEZZNS1_14partition_implILS8_4ELb0ES6_15HIP_vector_typeIjLj2EENS0_17counting_iteratorIjlEEPS9_SG_NS0_5tupleIJPjSI_NS0_16reverse_iteratorISI_EEEEENSH_IJSG_SG_SG_EEES9_SI_JZNS1_25segmented_radix_sort_implINS0_14default_configELb0EPKdPdPKlPlN2at6native12_GLOBAL__N_18offset_tEEE10hipError_tPvRmT1_PNSt15iterator_traitsIS12_E10value_typeET2_T3_PNS13_IS18_E10value_typeET4_jRbjT5_S1E_jjP12ihipStream_tbEUljE_ZNSN_ISO_Lb0ESQ_SR_ST_SU_SY_EESZ_S10_S11_S12_S16_S17_S18_S1B_S1C_jS1D_jS1E_S1E_jjS1G_bEUljE0_EEESZ_S10_S11_S18_S1C_S1E_T6_T7_T9_mT8_S1G_bDpT10_ENKUlT_T0_E_clISt17integral_constantIbLb1EES1T_IbLb0EEEEDaS1P_S1Q_EUlS1P_E_NS1_11comp_targetILNS1_3genE10ELNS1_11target_archE1200ELNS1_3gpuE4ELNS1_3repE0EEENS1_30default_config_static_selectorELNS0_4arch9wavefront6targetE1EEEvS12_
    .private_segment_fixed_size: 0
    .sgpr_count:     4
    .sgpr_spill_count: 0
    .symbol:         _ZN7rocprim17ROCPRIM_400000_NS6detail17trampoline_kernelINS0_13select_configILj256ELj13ELNS0_17block_load_methodE3ELS4_3ELS4_3ELNS0_20block_scan_algorithmE0ELj4294967295EEENS1_25partition_config_selectorILNS1_17partition_subalgoE4EjNS0_10empty_typeEbEEZZNS1_14partition_implILS8_4ELb0ES6_15HIP_vector_typeIjLj2EENS0_17counting_iteratorIjlEEPS9_SG_NS0_5tupleIJPjSI_NS0_16reverse_iteratorISI_EEEEENSH_IJSG_SG_SG_EEES9_SI_JZNS1_25segmented_radix_sort_implINS0_14default_configELb0EPKdPdPKlPlN2at6native12_GLOBAL__N_18offset_tEEE10hipError_tPvRmT1_PNSt15iterator_traitsIS12_E10value_typeET2_T3_PNS13_IS18_E10value_typeET4_jRbjT5_S1E_jjP12ihipStream_tbEUljE_ZNSN_ISO_Lb0ESQ_SR_ST_SU_SY_EESZ_S10_S11_S12_S16_S17_S18_S1B_S1C_jS1D_jS1E_S1E_jjS1G_bEUljE0_EEESZ_S10_S11_S18_S1C_S1E_T6_T7_T9_mT8_S1G_bDpT10_ENKUlT_T0_E_clISt17integral_constantIbLb1EES1T_IbLb0EEEEDaS1P_S1Q_EUlS1P_E_NS1_11comp_targetILNS1_3genE10ELNS1_11target_archE1200ELNS1_3gpuE4ELNS1_3repE0EEENS1_30default_config_static_selectorELNS0_4arch9wavefront6targetE1EEEvS12_.kd
    .uniform_work_group_size: 1
    .uses_dynamic_stack: false
    .vgpr_count:     0
    .vgpr_spill_count: 0
    .wavefront_size: 64
  - .agpr_count:     0
    .args:
      - .offset:         0
        .size:           176
        .value_kind:     by_value
    .group_segment_fixed_size: 0
    .kernarg_segment_align: 8
    .kernarg_segment_size: 176
    .language:       OpenCL C
    .language_version:
      - 2
      - 0
    .max_flat_workgroup_size: 256
    .name:           _ZN7rocprim17ROCPRIM_400000_NS6detail17trampoline_kernelINS0_13select_configILj256ELj13ELNS0_17block_load_methodE3ELS4_3ELS4_3ELNS0_20block_scan_algorithmE0ELj4294967295EEENS1_25partition_config_selectorILNS1_17partition_subalgoE4EjNS0_10empty_typeEbEEZZNS1_14partition_implILS8_4ELb0ES6_15HIP_vector_typeIjLj2EENS0_17counting_iteratorIjlEEPS9_SG_NS0_5tupleIJPjSI_NS0_16reverse_iteratorISI_EEEEENSH_IJSG_SG_SG_EEES9_SI_JZNS1_25segmented_radix_sort_implINS0_14default_configELb0EPKdPdPKlPlN2at6native12_GLOBAL__N_18offset_tEEE10hipError_tPvRmT1_PNSt15iterator_traitsIS12_E10value_typeET2_T3_PNS13_IS18_E10value_typeET4_jRbjT5_S1E_jjP12ihipStream_tbEUljE_ZNSN_ISO_Lb0ESQ_SR_ST_SU_SY_EESZ_S10_S11_S12_S16_S17_S18_S1B_S1C_jS1D_jS1E_S1E_jjS1G_bEUljE0_EEESZ_S10_S11_S18_S1C_S1E_T6_T7_T9_mT8_S1G_bDpT10_ENKUlT_T0_E_clISt17integral_constantIbLb1EES1T_IbLb0EEEEDaS1P_S1Q_EUlS1P_E_NS1_11comp_targetILNS1_3genE9ELNS1_11target_archE1100ELNS1_3gpuE3ELNS1_3repE0EEENS1_30default_config_static_selectorELNS0_4arch9wavefront6targetE1EEEvS12_
    .private_segment_fixed_size: 0
    .sgpr_count:     4
    .sgpr_spill_count: 0
    .symbol:         _ZN7rocprim17ROCPRIM_400000_NS6detail17trampoline_kernelINS0_13select_configILj256ELj13ELNS0_17block_load_methodE3ELS4_3ELS4_3ELNS0_20block_scan_algorithmE0ELj4294967295EEENS1_25partition_config_selectorILNS1_17partition_subalgoE4EjNS0_10empty_typeEbEEZZNS1_14partition_implILS8_4ELb0ES6_15HIP_vector_typeIjLj2EENS0_17counting_iteratorIjlEEPS9_SG_NS0_5tupleIJPjSI_NS0_16reverse_iteratorISI_EEEEENSH_IJSG_SG_SG_EEES9_SI_JZNS1_25segmented_radix_sort_implINS0_14default_configELb0EPKdPdPKlPlN2at6native12_GLOBAL__N_18offset_tEEE10hipError_tPvRmT1_PNSt15iterator_traitsIS12_E10value_typeET2_T3_PNS13_IS18_E10value_typeET4_jRbjT5_S1E_jjP12ihipStream_tbEUljE_ZNSN_ISO_Lb0ESQ_SR_ST_SU_SY_EESZ_S10_S11_S12_S16_S17_S18_S1B_S1C_jS1D_jS1E_S1E_jjS1G_bEUljE0_EEESZ_S10_S11_S18_S1C_S1E_T6_T7_T9_mT8_S1G_bDpT10_ENKUlT_T0_E_clISt17integral_constantIbLb1EES1T_IbLb0EEEEDaS1P_S1Q_EUlS1P_E_NS1_11comp_targetILNS1_3genE9ELNS1_11target_archE1100ELNS1_3gpuE3ELNS1_3repE0EEENS1_30default_config_static_selectorELNS0_4arch9wavefront6targetE1EEEvS12_.kd
    .uniform_work_group_size: 1
    .uses_dynamic_stack: false
    .vgpr_count:     0
    .vgpr_spill_count: 0
    .wavefront_size: 64
  - .agpr_count:     0
    .args:
      - .offset:         0
        .size:           176
        .value_kind:     by_value
    .group_segment_fixed_size: 0
    .kernarg_segment_align: 8
    .kernarg_segment_size: 176
    .language:       OpenCL C
    .language_version:
      - 2
      - 0
    .max_flat_workgroup_size: 256
    .name:           _ZN7rocprim17ROCPRIM_400000_NS6detail17trampoline_kernelINS0_13select_configILj256ELj13ELNS0_17block_load_methodE3ELS4_3ELS4_3ELNS0_20block_scan_algorithmE0ELj4294967295EEENS1_25partition_config_selectorILNS1_17partition_subalgoE4EjNS0_10empty_typeEbEEZZNS1_14partition_implILS8_4ELb0ES6_15HIP_vector_typeIjLj2EENS0_17counting_iteratorIjlEEPS9_SG_NS0_5tupleIJPjSI_NS0_16reverse_iteratorISI_EEEEENSH_IJSG_SG_SG_EEES9_SI_JZNS1_25segmented_radix_sort_implINS0_14default_configELb0EPKdPdPKlPlN2at6native12_GLOBAL__N_18offset_tEEE10hipError_tPvRmT1_PNSt15iterator_traitsIS12_E10value_typeET2_T3_PNS13_IS18_E10value_typeET4_jRbjT5_S1E_jjP12ihipStream_tbEUljE_ZNSN_ISO_Lb0ESQ_SR_ST_SU_SY_EESZ_S10_S11_S12_S16_S17_S18_S1B_S1C_jS1D_jS1E_S1E_jjS1G_bEUljE0_EEESZ_S10_S11_S18_S1C_S1E_T6_T7_T9_mT8_S1G_bDpT10_ENKUlT_T0_E_clISt17integral_constantIbLb1EES1T_IbLb0EEEEDaS1P_S1Q_EUlS1P_E_NS1_11comp_targetILNS1_3genE8ELNS1_11target_archE1030ELNS1_3gpuE2ELNS1_3repE0EEENS1_30default_config_static_selectorELNS0_4arch9wavefront6targetE1EEEvS12_
    .private_segment_fixed_size: 0
    .sgpr_count:     4
    .sgpr_spill_count: 0
    .symbol:         _ZN7rocprim17ROCPRIM_400000_NS6detail17trampoline_kernelINS0_13select_configILj256ELj13ELNS0_17block_load_methodE3ELS4_3ELS4_3ELNS0_20block_scan_algorithmE0ELj4294967295EEENS1_25partition_config_selectorILNS1_17partition_subalgoE4EjNS0_10empty_typeEbEEZZNS1_14partition_implILS8_4ELb0ES6_15HIP_vector_typeIjLj2EENS0_17counting_iteratorIjlEEPS9_SG_NS0_5tupleIJPjSI_NS0_16reverse_iteratorISI_EEEEENSH_IJSG_SG_SG_EEES9_SI_JZNS1_25segmented_radix_sort_implINS0_14default_configELb0EPKdPdPKlPlN2at6native12_GLOBAL__N_18offset_tEEE10hipError_tPvRmT1_PNSt15iterator_traitsIS12_E10value_typeET2_T3_PNS13_IS18_E10value_typeET4_jRbjT5_S1E_jjP12ihipStream_tbEUljE_ZNSN_ISO_Lb0ESQ_SR_ST_SU_SY_EESZ_S10_S11_S12_S16_S17_S18_S1B_S1C_jS1D_jS1E_S1E_jjS1G_bEUljE0_EEESZ_S10_S11_S18_S1C_S1E_T6_T7_T9_mT8_S1G_bDpT10_ENKUlT_T0_E_clISt17integral_constantIbLb1EES1T_IbLb0EEEEDaS1P_S1Q_EUlS1P_E_NS1_11comp_targetILNS1_3genE8ELNS1_11target_archE1030ELNS1_3gpuE2ELNS1_3repE0EEENS1_30default_config_static_selectorELNS0_4arch9wavefront6targetE1EEEvS12_.kd
    .uniform_work_group_size: 1
    .uses_dynamic_stack: false
    .vgpr_count:     0
    .vgpr_spill_count: 0
    .wavefront_size: 64
  - .agpr_count:     0
    .args:
      - .offset:         0
        .size:           184
        .value_kind:     by_value
    .group_segment_fixed_size: 0
    .kernarg_segment_align: 8
    .kernarg_segment_size: 184
    .language:       OpenCL C
    .language_version:
      - 2
      - 0
    .max_flat_workgroup_size: 256
    .name:           _ZN7rocprim17ROCPRIM_400000_NS6detail17trampoline_kernelINS0_13select_configILj256ELj13ELNS0_17block_load_methodE3ELS4_3ELS4_3ELNS0_20block_scan_algorithmE0ELj4294967295EEENS1_25partition_config_selectorILNS1_17partition_subalgoE4EjNS0_10empty_typeEbEEZZNS1_14partition_implILS8_4ELb0ES6_15HIP_vector_typeIjLj2EENS0_17counting_iteratorIjlEEPS9_SG_NS0_5tupleIJPjSI_NS0_16reverse_iteratorISI_EEEEENSH_IJSG_SG_SG_EEES9_SI_JZNS1_25segmented_radix_sort_implINS0_14default_configELb0EPKdPdPKlPlN2at6native12_GLOBAL__N_18offset_tEEE10hipError_tPvRmT1_PNSt15iterator_traitsIS12_E10value_typeET2_T3_PNS13_IS18_E10value_typeET4_jRbjT5_S1E_jjP12ihipStream_tbEUljE_ZNSN_ISO_Lb0ESQ_SR_ST_SU_SY_EESZ_S10_S11_S12_S16_S17_S18_S1B_S1C_jS1D_jS1E_S1E_jjS1G_bEUljE0_EEESZ_S10_S11_S18_S1C_S1E_T6_T7_T9_mT8_S1G_bDpT10_ENKUlT_T0_E_clISt17integral_constantIbLb0EES1T_IbLb1EEEEDaS1P_S1Q_EUlS1P_E_NS1_11comp_targetILNS1_3genE0ELNS1_11target_archE4294967295ELNS1_3gpuE0ELNS1_3repE0EEENS1_30default_config_static_selectorELNS0_4arch9wavefront6targetE1EEEvS12_
    .private_segment_fixed_size: 0
    .sgpr_count:     4
    .sgpr_spill_count: 0
    .symbol:         _ZN7rocprim17ROCPRIM_400000_NS6detail17trampoline_kernelINS0_13select_configILj256ELj13ELNS0_17block_load_methodE3ELS4_3ELS4_3ELNS0_20block_scan_algorithmE0ELj4294967295EEENS1_25partition_config_selectorILNS1_17partition_subalgoE4EjNS0_10empty_typeEbEEZZNS1_14partition_implILS8_4ELb0ES6_15HIP_vector_typeIjLj2EENS0_17counting_iteratorIjlEEPS9_SG_NS0_5tupleIJPjSI_NS0_16reverse_iteratorISI_EEEEENSH_IJSG_SG_SG_EEES9_SI_JZNS1_25segmented_radix_sort_implINS0_14default_configELb0EPKdPdPKlPlN2at6native12_GLOBAL__N_18offset_tEEE10hipError_tPvRmT1_PNSt15iterator_traitsIS12_E10value_typeET2_T3_PNS13_IS18_E10value_typeET4_jRbjT5_S1E_jjP12ihipStream_tbEUljE_ZNSN_ISO_Lb0ESQ_SR_ST_SU_SY_EESZ_S10_S11_S12_S16_S17_S18_S1B_S1C_jS1D_jS1E_S1E_jjS1G_bEUljE0_EEESZ_S10_S11_S18_S1C_S1E_T6_T7_T9_mT8_S1G_bDpT10_ENKUlT_T0_E_clISt17integral_constantIbLb0EES1T_IbLb1EEEEDaS1P_S1Q_EUlS1P_E_NS1_11comp_targetILNS1_3genE0ELNS1_11target_archE4294967295ELNS1_3gpuE0ELNS1_3repE0EEENS1_30default_config_static_selectorELNS0_4arch9wavefront6targetE1EEEvS12_.kd
    .uniform_work_group_size: 1
    .uses_dynamic_stack: false
    .vgpr_count:     0
    .vgpr_spill_count: 0
    .wavefront_size: 64
  - .agpr_count:     0
    .args:
      - .offset:         0
        .size:           184
        .value_kind:     by_value
    .group_segment_fixed_size: 0
    .kernarg_segment_align: 8
    .kernarg_segment_size: 184
    .language:       OpenCL C
    .language_version:
      - 2
      - 0
    .max_flat_workgroup_size: 256
    .name:           _ZN7rocprim17ROCPRIM_400000_NS6detail17trampoline_kernelINS0_13select_configILj256ELj13ELNS0_17block_load_methodE3ELS4_3ELS4_3ELNS0_20block_scan_algorithmE0ELj4294967295EEENS1_25partition_config_selectorILNS1_17partition_subalgoE4EjNS0_10empty_typeEbEEZZNS1_14partition_implILS8_4ELb0ES6_15HIP_vector_typeIjLj2EENS0_17counting_iteratorIjlEEPS9_SG_NS0_5tupleIJPjSI_NS0_16reverse_iteratorISI_EEEEENSH_IJSG_SG_SG_EEES9_SI_JZNS1_25segmented_radix_sort_implINS0_14default_configELb0EPKdPdPKlPlN2at6native12_GLOBAL__N_18offset_tEEE10hipError_tPvRmT1_PNSt15iterator_traitsIS12_E10value_typeET2_T3_PNS13_IS18_E10value_typeET4_jRbjT5_S1E_jjP12ihipStream_tbEUljE_ZNSN_ISO_Lb0ESQ_SR_ST_SU_SY_EESZ_S10_S11_S12_S16_S17_S18_S1B_S1C_jS1D_jS1E_S1E_jjS1G_bEUljE0_EEESZ_S10_S11_S18_S1C_S1E_T6_T7_T9_mT8_S1G_bDpT10_ENKUlT_T0_E_clISt17integral_constantIbLb0EES1T_IbLb1EEEEDaS1P_S1Q_EUlS1P_E_NS1_11comp_targetILNS1_3genE5ELNS1_11target_archE942ELNS1_3gpuE9ELNS1_3repE0EEENS1_30default_config_static_selectorELNS0_4arch9wavefront6targetE1EEEvS12_
    .private_segment_fixed_size: 0
    .sgpr_count:     4
    .sgpr_spill_count: 0
    .symbol:         _ZN7rocprim17ROCPRIM_400000_NS6detail17trampoline_kernelINS0_13select_configILj256ELj13ELNS0_17block_load_methodE3ELS4_3ELS4_3ELNS0_20block_scan_algorithmE0ELj4294967295EEENS1_25partition_config_selectorILNS1_17partition_subalgoE4EjNS0_10empty_typeEbEEZZNS1_14partition_implILS8_4ELb0ES6_15HIP_vector_typeIjLj2EENS0_17counting_iteratorIjlEEPS9_SG_NS0_5tupleIJPjSI_NS0_16reverse_iteratorISI_EEEEENSH_IJSG_SG_SG_EEES9_SI_JZNS1_25segmented_radix_sort_implINS0_14default_configELb0EPKdPdPKlPlN2at6native12_GLOBAL__N_18offset_tEEE10hipError_tPvRmT1_PNSt15iterator_traitsIS12_E10value_typeET2_T3_PNS13_IS18_E10value_typeET4_jRbjT5_S1E_jjP12ihipStream_tbEUljE_ZNSN_ISO_Lb0ESQ_SR_ST_SU_SY_EESZ_S10_S11_S12_S16_S17_S18_S1B_S1C_jS1D_jS1E_S1E_jjS1G_bEUljE0_EEESZ_S10_S11_S18_S1C_S1E_T6_T7_T9_mT8_S1G_bDpT10_ENKUlT_T0_E_clISt17integral_constantIbLb0EES1T_IbLb1EEEEDaS1P_S1Q_EUlS1P_E_NS1_11comp_targetILNS1_3genE5ELNS1_11target_archE942ELNS1_3gpuE9ELNS1_3repE0EEENS1_30default_config_static_selectorELNS0_4arch9wavefront6targetE1EEEvS12_.kd
    .uniform_work_group_size: 1
    .uses_dynamic_stack: false
    .vgpr_count:     0
    .vgpr_spill_count: 0
    .wavefront_size: 64
  - .agpr_count:     0
    .args:
      - .offset:         0
        .size:           184
        .value_kind:     by_value
    .group_segment_fixed_size: 13340
    .kernarg_segment_align: 8
    .kernarg_segment_size: 184
    .language:       OpenCL C
    .language_version:
      - 2
      - 0
    .max_flat_workgroup_size: 256
    .name:           _ZN7rocprim17ROCPRIM_400000_NS6detail17trampoline_kernelINS0_13select_configILj256ELj13ELNS0_17block_load_methodE3ELS4_3ELS4_3ELNS0_20block_scan_algorithmE0ELj4294967295EEENS1_25partition_config_selectorILNS1_17partition_subalgoE4EjNS0_10empty_typeEbEEZZNS1_14partition_implILS8_4ELb0ES6_15HIP_vector_typeIjLj2EENS0_17counting_iteratorIjlEEPS9_SG_NS0_5tupleIJPjSI_NS0_16reverse_iteratorISI_EEEEENSH_IJSG_SG_SG_EEES9_SI_JZNS1_25segmented_radix_sort_implINS0_14default_configELb0EPKdPdPKlPlN2at6native12_GLOBAL__N_18offset_tEEE10hipError_tPvRmT1_PNSt15iterator_traitsIS12_E10value_typeET2_T3_PNS13_IS18_E10value_typeET4_jRbjT5_S1E_jjP12ihipStream_tbEUljE_ZNSN_ISO_Lb0ESQ_SR_ST_SU_SY_EESZ_S10_S11_S12_S16_S17_S18_S1B_S1C_jS1D_jS1E_S1E_jjS1G_bEUljE0_EEESZ_S10_S11_S18_S1C_S1E_T6_T7_T9_mT8_S1G_bDpT10_ENKUlT_T0_E_clISt17integral_constantIbLb0EES1T_IbLb1EEEEDaS1P_S1Q_EUlS1P_E_NS1_11comp_targetILNS1_3genE4ELNS1_11target_archE910ELNS1_3gpuE8ELNS1_3repE0EEENS1_30default_config_static_selectorELNS0_4arch9wavefront6targetE1EEEvS12_
    .private_segment_fixed_size: 0
    .sgpr_count:     91
    .sgpr_spill_count: 0
    .symbol:         _ZN7rocprim17ROCPRIM_400000_NS6detail17trampoline_kernelINS0_13select_configILj256ELj13ELNS0_17block_load_methodE3ELS4_3ELS4_3ELNS0_20block_scan_algorithmE0ELj4294967295EEENS1_25partition_config_selectorILNS1_17partition_subalgoE4EjNS0_10empty_typeEbEEZZNS1_14partition_implILS8_4ELb0ES6_15HIP_vector_typeIjLj2EENS0_17counting_iteratorIjlEEPS9_SG_NS0_5tupleIJPjSI_NS0_16reverse_iteratorISI_EEEEENSH_IJSG_SG_SG_EEES9_SI_JZNS1_25segmented_radix_sort_implINS0_14default_configELb0EPKdPdPKlPlN2at6native12_GLOBAL__N_18offset_tEEE10hipError_tPvRmT1_PNSt15iterator_traitsIS12_E10value_typeET2_T3_PNS13_IS18_E10value_typeET4_jRbjT5_S1E_jjP12ihipStream_tbEUljE_ZNSN_ISO_Lb0ESQ_SR_ST_SU_SY_EESZ_S10_S11_S12_S16_S17_S18_S1B_S1C_jS1D_jS1E_S1E_jjS1G_bEUljE0_EEESZ_S10_S11_S18_S1C_S1E_T6_T7_T9_mT8_S1G_bDpT10_ENKUlT_T0_E_clISt17integral_constantIbLb0EES1T_IbLb1EEEEDaS1P_S1Q_EUlS1P_E_NS1_11comp_targetILNS1_3genE4ELNS1_11target_archE910ELNS1_3gpuE8ELNS1_3repE0EEENS1_30default_config_static_selectorELNS0_4arch9wavefront6targetE1EEEvS12_.kd
    .uniform_work_group_size: 1
    .uses_dynamic_stack: false
    .vgpr_count:     107
    .vgpr_spill_count: 0
    .wavefront_size: 64
  - .agpr_count:     0
    .args:
      - .offset:         0
        .size:           184
        .value_kind:     by_value
    .group_segment_fixed_size: 0
    .kernarg_segment_align: 8
    .kernarg_segment_size: 184
    .language:       OpenCL C
    .language_version:
      - 2
      - 0
    .max_flat_workgroup_size: 256
    .name:           _ZN7rocprim17ROCPRIM_400000_NS6detail17trampoline_kernelINS0_13select_configILj256ELj13ELNS0_17block_load_methodE3ELS4_3ELS4_3ELNS0_20block_scan_algorithmE0ELj4294967295EEENS1_25partition_config_selectorILNS1_17partition_subalgoE4EjNS0_10empty_typeEbEEZZNS1_14partition_implILS8_4ELb0ES6_15HIP_vector_typeIjLj2EENS0_17counting_iteratorIjlEEPS9_SG_NS0_5tupleIJPjSI_NS0_16reverse_iteratorISI_EEEEENSH_IJSG_SG_SG_EEES9_SI_JZNS1_25segmented_radix_sort_implINS0_14default_configELb0EPKdPdPKlPlN2at6native12_GLOBAL__N_18offset_tEEE10hipError_tPvRmT1_PNSt15iterator_traitsIS12_E10value_typeET2_T3_PNS13_IS18_E10value_typeET4_jRbjT5_S1E_jjP12ihipStream_tbEUljE_ZNSN_ISO_Lb0ESQ_SR_ST_SU_SY_EESZ_S10_S11_S12_S16_S17_S18_S1B_S1C_jS1D_jS1E_S1E_jjS1G_bEUljE0_EEESZ_S10_S11_S18_S1C_S1E_T6_T7_T9_mT8_S1G_bDpT10_ENKUlT_T0_E_clISt17integral_constantIbLb0EES1T_IbLb1EEEEDaS1P_S1Q_EUlS1P_E_NS1_11comp_targetILNS1_3genE3ELNS1_11target_archE908ELNS1_3gpuE7ELNS1_3repE0EEENS1_30default_config_static_selectorELNS0_4arch9wavefront6targetE1EEEvS12_
    .private_segment_fixed_size: 0
    .sgpr_count:     4
    .sgpr_spill_count: 0
    .symbol:         _ZN7rocprim17ROCPRIM_400000_NS6detail17trampoline_kernelINS0_13select_configILj256ELj13ELNS0_17block_load_methodE3ELS4_3ELS4_3ELNS0_20block_scan_algorithmE0ELj4294967295EEENS1_25partition_config_selectorILNS1_17partition_subalgoE4EjNS0_10empty_typeEbEEZZNS1_14partition_implILS8_4ELb0ES6_15HIP_vector_typeIjLj2EENS0_17counting_iteratorIjlEEPS9_SG_NS0_5tupleIJPjSI_NS0_16reverse_iteratorISI_EEEEENSH_IJSG_SG_SG_EEES9_SI_JZNS1_25segmented_radix_sort_implINS0_14default_configELb0EPKdPdPKlPlN2at6native12_GLOBAL__N_18offset_tEEE10hipError_tPvRmT1_PNSt15iterator_traitsIS12_E10value_typeET2_T3_PNS13_IS18_E10value_typeET4_jRbjT5_S1E_jjP12ihipStream_tbEUljE_ZNSN_ISO_Lb0ESQ_SR_ST_SU_SY_EESZ_S10_S11_S12_S16_S17_S18_S1B_S1C_jS1D_jS1E_S1E_jjS1G_bEUljE0_EEESZ_S10_S11_S18_S1C_S1E_T6_T7_T9_mT8_S1G_bDpT10_ENKUlT_T0_E_clISt17integral_constantIbLb0EES1T_IbLb1EEEEDaS1P_S1Q_EUlS1P_E_NS1_11comp_targetILNS1_3genE3ELNS1_11target_archE908ELNS1_3gpuE7ELNS1_3repE0EEENS1_30default_config_static_selectorELNS0_4arch9wavefront6targetE1EEEvS12_.kd
    .uniform_work_group_size: 1
    .uses_dynamic_stack: false
    .vgpr_count:     0
    .vgpr_spill_count: 0
    .wavefront_size: 64
  - .agpr_count:     0
    .args:
      - .offset:         0
        .size:           184
        .value_kind:     by_value
    .group_segment_fixed_size: 0
    .kernarg_segment_align: 8
    .kernarg_segment_size: 184
    .language:       OpenCL C
    .language_version:
      - 2
      - 0
    .max_flat_workgroup_size: 256
    .name:           _ZN7rocprim17ROCPRIM_400000_NS6detail17trampoline_kernelINS0_13select_configILj256ELj13ELNS0_17block_load_methodE3ELS4_3ELS4_3ELNS0_20block_scan_algorithmE0ELj4294967295EEENS1_25partition_config_selectorILNS1_17partition_subalgoE4EjNS0_10empty_typeEbEEZZNS1_14partition_implILS8_4ELb0ES6_15HIP_vector_typeIjLj2EENS0_17counting_iteratorIjlEEPS9_SG_NS0_5tupleIJPjSI_NS0_16reverse_iteratorISI_EEEEENSH_IJSG_SG_SG_EEES9_SI_JZNS1_25segmented_radix_sort_implINS0_14default_configELb0EPKdPdPKlPlN2at6native12_GLOBAL__N_18offset_tEEE10hipError_tPvRmT1_PNSt15iterator_traitsIS12_E10value_typeET2_T3_PNS13_IS18_E10value_typeET4_jRbjT5_S1E_jjP12ihipStream_tbEUljE_ZNSN_ISO_Lb0ESQ_SR_ST_SU_SY_EESZ_S10_S11_S12_S16_S17_S18_S1B_S1C_jS1D_jS1E_S1E_jjS1G_bEUljE0_EEESZ_S10_S11_S18_S1C_S1E_T6_T7_T9_mT8_S1G_bDpT10_ENKUlT_T0_E_clISt17integral_constantIbLb0EES1T_IbLb1EEEEDaS1P_S1Q_EUlS1P_E_NS1_11comp_targetILNS1_3genE2ELNS1_11target_archE906ELNS1_3gpuE6ELNS1_3repE0EEENS1_30default_config_static_selectorELNS0_4arch9wavefront6targetE1EEEvS12_
    .private_segment_fixed_size: 0
    .sgpr_count:     4
    .sgpr_spill_count: 0
    .symbol:         _ZN7rocprim17ROCPRIM_400000_NS6detail17trampoline_kernelINS0_13select_configILj256ELj13ELNS0_17block_load_methodE3ELS4_3ELS4_3ELNS0_20block_scan_algorithmE0ELj4294967295EEENS1_25partition_config_selectorILNS1_17partition_subalgoE4EjNS0_10empty_typeEbEEZZNS1_14partition_implILS8_4ELb0ES6_15HIP_vector_typeIjLj2EENS0_17counting_iteratorIjlEEPS9_SG_NS0_5tupleIJPjSI_NS0_16reverse_iteratorISI_EEEEENSH_IJSG_SG_SG_EEES9_SI_JZNS1_25segmented_radix_sort_implINS0_14default_configELb0EPKdPdPKlPlN2at6native12_GLOBAL__N_18offset_tEEE10hipError_tPvRmT1_PNSt15iterator_traitsIS12_E10value_typeET2_T3_PNS13_IS18_E10value_typeET4_jRbjT5_S1E_jjP12ihipStream_tbEUljE_ZNSN_ISO_Lb0ESQ_SR_ST_SU_SY_EESZ_S10_S11_S12_S16_S17_S18_S1B_S1C_jS1D_jS1E_S1E_jjS1G_bEUljE0_EEESZ_S10_S11_S18_S1C_S1E_T6_T7_T9_mT8_S1G_bDpT10_ENKUlT_T0_E_clISt17integral_constantIbLb0EES1T_IbLb1EEEEDaS1P_S1Q_EUlS1P_E_NS1_11comp_targetILNS1_3genE2ELNS1_11target_archE906ELNS1_3gpuE6ELNS1_3repE0EEENS1_30default_config_static_selectorELNS0_4arch9wavefront6targetE1EEEvS12_.kd
    .uniform_work_group_size: 1
    .uses_dynamic_stack: false
    .vgpr_count:     0
    .vgpr_spill_count: 0
    .wavefront_size: 64
  - .agpr_count:     0
    .args:
      - .offset:         0
        .size:           184
        .value_kind:     by_value
    .group_segment_fixed_size: 0
    .kernarg_segment_align: 8
    .kernarg_segment_size: 184
    .language:       OpenCL C
    .language_version:
      - 2
      - 0
    .max_flat_workgroup_size: 256
    .name:           _ZN7rocprim17ROCPRIM_400000_NS6detail17trampoline_kernelINS0_13select_configILj256ELj13ELNS0_17block_load_methodE3ELS4_3ELS4_3ELNS0_20block_scan_algorithmE0ELj4294967295EEENS1_25partition_config_selectorILNS1_17partition_subalgoE4EjNS0_10empty_typeEbEEZZNS1_14partition_implILS8_4ELb0ES6_15HIP_vector_typeIjLj2EENS0_17counting_iteratorIjlEEPS9_SG_NS0_5tupleIJPjSI_NS0_16reverse_iteratorISI_EEEEENSH_IJSG_SG_SG_EEES9_SI_JZNS1_25segmented_radix_sort_implINS0_14default_configELb0EPKdPdPKlPlN2at6native12_GLOBAL__N_18offset_tEEE10hipError_tPvRmT1_PNSt15iterator_traitsIS12_E10value_typeET2_T3_PNS13_IS18_E10value_typeET4_jRbjT5_S1E_jjP12ihipStream_tbEUljE_ZNSN_ISO_Lb0ESQ_SR_ST_SU_SY_EESZ_S10_S11_S12_S16_S17_S18_S1B_S1C_jS1D_jS1E_S1E_jjS1G_bEUljE0_EEESZ_S10_S11_S18_S1C_S1E_T6_T7_T9_mT8_S1G_bDpT10_ENKUlT_T0_E_clISt17integral_constantIbLb0EES1T_IbLb1EEEEDaS1P_S1Q_EUlS1P_E_NS1_11comp_targetILNS1_3genE10ELNS1_11target_archE1200ELNS1_3gpuE4ELNS1_3repE0EEENS1_30default_config_static_selectorELNS0_4arch9wavefront6targetE1EEEvS12_
    .private_segment_fixed_size: 0
    .sgpr_count:     4
    .sgpr_spill_count: 0
    .symbol:         _ZN7rocprim17ROCPRIM_400000_NS6detail17trampoline_kernelINS0_13select_configILj256ELj13ELNS0_17block_load_methodE3ELS4_3ELS4_3ELNS0_20block_scan_algorithmE0ELj4294967295EEENS1_25partition_config_selectorILNS1_17partition_subalgoE4EjNS0_10empty_typeEbEEZZNS1_14partition_implILS8_4ELb0ES6_15HIP_vector_typeIjLj2EENS0_17counting_iteratorIjlEEPS9_SG_NS0_5tupleIJPjSI_NS0_16reverse_iteratorISI_EEEEENSH_IJSG_SG_SG_EEES9_SI_JZNS1_25segmented_radix_sort_implINS0_14default_configELb0EPKdPdPKlPlN2at6native12_GLOBAL__N_18offset_tEEE10hipError_tPvRmT1_PNSt15iterator_traitsIS12_E10value_typeET2_T3_PNS13_IS18_E10value_typeET4_jRbjT5_S1E_jjP12ihipStream_tbEUljE_ZNSN_ISO_Lb0ESQ_SR_ST_SU_SY_EESZ_S10_S11_S12_S16_S17_S18_S1B_S1C_jS1D_jS1E_S1E_jjS1G_bEUljE0_EEESZ_S10_S11_S18_S1C_S1E_T6_T7_T9_mT8_S1G_bDpT10_ENKUlT_T0_E_clISt17integral_constantIbLb0EES1T_IbLb1EEEEDaS1P_S1Q_EUlS1P_E_NS1_11comp_targetILNS1_3genE10ELNS1_11target_archE1200ELNS1_3gpuE4ELNS1_3repE0EEENS1_30default_config_static_selectorELNS0_4arch9wavefront6targetE1EEEvS12_.kd
    .uniform_work_group_size: 1
    .uses_dynamic_stack: false
    .vgpr_count:     0
    .vgpr_spill_count: 0
    .wavefront_size: 64
  - .agpr_count:     0
    .args:
      - .offset:         0
        .size:           184
        .value_kind:     by_value
    .group_segment_fixed_size: 0
    .kernarg_segment_align: 8
    .kernarg_segment_size: 184
    .language:       OpenCL C
    .language_version:
      - 2
      - 0
    .max_flat_workgroup_size: 256
    .name:           _ZN7rocprim17ROCPRIM_400000_NS6detail17trampoline_kernelINS0_13select_configILj256ELj13ELNS0_17block_load_methodE3ELS4_3ELS4_3ELNS0_20block_scan_algorithmE0ELj4294967295EEENS1_25partition_config_selectorILNS1_17partition_subalgoE4EjNS0_10empty_typeEbEEZZNS1_14partition_implILS8_4ELb0ES6_15HIP_vector_typeIjLj2EENS0_17counting_iteratorIjlEEPS9_SG_NS0_5tupleIJPjSI_NS0_16reverse_iteratorISI_EEEEENSH_IJSG_SG_SG_EEES9_SI_JZNS1_25segmented_radix_sort_implINS0_14default_configELb0EPKdPdPKlPlN2at6native12_GLOBAL__N_18offset_tEEE10hipError_tPvRmT1_PNSt15iterator_traitsIS12_E10value_typeET2_T3_PNS13_IS18_E10value_typeET4_jRbjT5_S1E_jjP12ihipStream_tbEUljE_ZNSN_ISO_Lb0ESQ_SR_ST_SU_SY_EESZ_S10_S11_S12_S16_S17_S18_S1B_S1C_jS1D_jS1E_S1E_jjS1G_bEUljE0_EEESZ_S10_S11_S18_S1C_S1E_T6_T7_T9_mT8_S1G_bDpT10_ENKUlT_T0_E_clISt17integral_constantIbLb0EES1T_IbLb1EEEEDaS1P_S1Q_EUlS1P_E_NS1_11comp_targetILNS1_3genE9ELNS1_11target_archE1100ELNS1_3gpuE3ELNS1_3repE0EEENS1_30default_config_static_selectorELNS0_4arch9wavefront6targetE1EEEvS12_
    .private_segment_fixed_size: 0
    .sgpr_count:     4
    .sgpr_spill_count: 0
    .symbol:         _ZN7rocprim17ROCPRIM_400000_NS6detail17trampoline_kernelINS0_13select_configILj256ELj13ELNS0_17block_load_methodE3ELS4_3ELS4_3ELNS0_20block_scan_algorithmE0ELj4294967295EEENS1_25partition_config_selectorILNS1_17partition_subalgoE4EjNS0_10empty_typeEbEEZZNS1_14partition_implILS8_4ELb0ES6_15HIP_vector_typeIjLj2EENS0_17counting_iteratorIjlEEPS9_SG_NS0_5tupleIJPjSI_NS0_16reverse_iteratorISI_EEEEENSH_IJSG_SG_SG_EEES9_SI_JZNS1_25segmented_radix_sort_implINS0_14default_configELb0EPKdPdPKlPlN2at6native12_GLOBAL__N_18offset_tEEE10hipError_tPvRmT1_PNSt15iterator_traitsIS12_E10value_typeET2_T3_PNS13_IS18_E10value_typeET4_jRbjT5_S1E_jjP12ihipStream_tbEUljE_ZNSN_ISO_Lb0ESQ_SR_ST_SU_SY_EESZ_S10_S11_S12_S16_S17_S18_S1B_S1C_jS1D_jS1E_S1E_jjS1G_bEUljE0_EEESZ_S10_S11_S18_S1C_S1E_T6_T7_T9_mT8_S1G_bDpT10_ENKUlT_T0_E_clISt17integral_constantIbLb0EES1T_IbLb1EEEEDaS1P_S1Q_EUlS1P_E_NS1_11comp_targetILNS1_3genE9ELNS1_11target_archE1100ELNS1_3gpuE3ELNS1_3repE0EEENS1_30default_config_static_selectorELNS0_4arch9wavefront6targetE1EEEvS12_.kd
    .uniform_work_group_size: 1
    .uses_dynamic_stack: false
    .vgpr_count:     0
    .vgpr_spill_count: 0
    .wavefront_size: 64
  - .agpr_count:     0
    .args:
      - .offset:         0
        .size:           184
        .value_kind:     by_value
    .group_segment_fixed_size: 0
    .kernarg_segment_align: 8
    .kernarg_segment_size: 184
    .language:       OpenCL C
    .language_version:
      - 2
      - 0
    .max_flat_workgroup_size: 256
    .name:           _ZN7rocprim17ROCPRIM_400000_NS6detail17trampoline_kernelINS0_13select_configILj256ELj13ELNS0_17block_load_methodE3ELS4_3ELS4_3ELNS0_20block_scan_algorithmE0ELj4294967295EEENS1_25partition_config_selectorILNS1_17partition_subalgoE4EjNS0_10empty_typeEbEEZZNS1_14partition_implILS8_4ELb0ES6_15HIP_vector_typeIjLj2EENS0_17counting_iteratorIjlEEPS9_SG_NS0_5tupleIJPjSI_NS0_16reverse_iteratorISI_EEEEENSH_IJSG_SG_SG_EEES9_SI_JZNS1_25segmented_radix_sort_implINS0_14default_configELb0EPKdPdPKlPlN2at6native12_GLOBAL__N_18offset_tEEE10hipError_tPvRmT1_PNSt15iterator_traitsIS12_E10value_typeET2_T3_PNS13_IS18_E10value_typeET4_jRbjT5_S1E_jjP12ihipStream_tbEUljE_ZNSN_ISO_Lb0ESQ_SR_ST_SU_SY_EESZ_S10_S11_S12_S16_S17_S18_S1B_S1C_jS1D_jS1E_S1E_jjS1G_bEUljE0_EEESZ_S10_S11_S18_S1C_S1E_T6_T7_T9_mT8_S1G_bDpT10_ENKUlT_T0_E_clISt17integral_constantIbLb0EES1T_IbLb1EEEEDaS1P_S1Q_EUlS1P_E_NS1_11comp_targetILNS1_3genE8ELNS1_11target_archE1030ELNS1_3gpuE2ELNS1_3repE0EEENS1_30default_config_static_selectorELNS0_4arch9wavefront6targetE1EEEvS12_
    .private_segment_fixed_size: 0
    .sgpr_count:     4
    .sgpr_spill_count: 0
    .symbol:         _ZN7rocprim17ROCPRIM_400000_NS6detail17trampoline_kernelINS0_13select_configILj256ELj13ELNS0_17block_load_methodE3ELS4_3ELS4_3ELNS0_20block_scan_algorithmE0ELj4294967295EEENS1_25partition_config_selectorILNS1_17partition_subalgoE4EjNS0_10empty_typeEbEEZZNS1_14partition_implILS8_4ELb0ES6_15HIP_vector_typeIjLj2EENS0_17counting_iteratorIjlEEPS9_SG_NS0_5tupleIJPjSI_NS0_16reverse_iteratorISI_EEEEENSH_IJSG_SG_SG_EEES9_SI_JZNS1_25segmented_radix_sort_implINS0_14default_configELb0EPKdPdPKlPlN2at6native12_GLOBAL__N_18offset_tEEE10hipError_tPvRmT1_PNSt15iterator_traitsIS12_E10value_typeET2_T3_PNS13_IS18_E10value_typeET4_jRbjT5_S1E_jjP12ihipStream_tbEUljE_ZNSN_ISO_Lb0ESQ_SR_ST_SU_SY_EESZ_S10_S11_S12_S16_S17_S18_S1B_S1C_jS1D_jS1E_S1E_jjS1G_bEUljE0_EEESZ_S10_S11_S18_S1C_S1E_T6_T7_T9_mT8_S1G_bDpT10_ENKUlT_T0_E_clISt17integral_constantIbLb0EES1T_IbLb1EEEEDaS1P_S1Q_EUlS1P_E_NS1_11comp_targetILNS1_3genE8ELNS1_11target_archE1030ELNS1_3gpuE2ELNS1_3repE0EEENS1_30default_config_static_selectorELNS0_4arch9wavefront6targetE1EEEvS12_.kd
    .uniform_work_group_size: 1
    .uses_dynamic_stack: false
    .vgpr_count:     0
    .vgpr_spill_count: 0
    .wavefront_size: 64
  - .agpr_count:     0
    .args:
      - .offset:         0
        .size:           144
        .value_kind:     by_value
    .group_segment_fixed_size: 0
    .kernarg_segment_align: 8
    .kernarg_segment_size: 144
    .language:       OpenCL C
    .language_version:
      - 2
      - 0
    .max_flat_workgroup_size: 256
    .name:           _ZN7rocprim17ROCPRIM_400000_NS6detail17trampoline_kernelINS0_13select_configILj256ELj13ELNS0_17block_load_methodE3ELS4_3ELS4_3ELNS0_20block_scan_algorithmE0ELj4294967295EEENS1_25partition_config_selectorILNS1_17partition_subalgoE3EjNS0_10empty_typeEbEEZZNS1_14partition_implILS8_3ELb0ES6_jNS0_17counting_iteratorIjlEEPS9_SE_NS0_5tupleIJPjSE_EEENSF_IJSE_SE_EEES9_SG_JZNS1_25segmented_radix_sort_implINS0_14default_configELb0EPKdPdPKlPlN2at6native12_GLOBAL__N_18offset_tEEE10hipError_tPvRmT1_PNSt15iterator_traitsISY_E10value_typeET2_T3_PNSZ_IS14_E10value_typeET4_jRbjT5_S1A_jjP12ihipStream_tbEUljE_EEESV_SW_SX_S14_S18_S1A_T6_T7_T9_mT8_S1C_bDpT10_ENKUlT_T0_E_clISt17integral_constantIbLb0EES1P_EEDaS1K_S1L_EUlS1K_E_NS1_11comp_targetILNS1_3genE0ELNS1_11target_archE4294967295ELNS1_3gpuE0ELNS1_3repE0EEENS1_30default_config_static_selectorELNS0_4arch9wavefront6targetE1EEEvSY_
    .private_segment_fixed_size: 0
    .sgpr_count:     4
    .sgpr_spill_count: 0
    .symbol:         _ZN7rocprim17ROCPRIM_400000_NS6detail17trampoline_kernelINS0_13select_configILj256ELj13ELNS0_17block_load_methodE3ELS4_3ELS4_3ELNS0_20block_scan_algorithmE0ELj4294967295EEENS1_25partition_config_selectorILNS1_17partition_subalgoE3EjNS0_10empty_typeEbEEZZNS1_14partition_implILS8_3ELb0ES6_jNS0_17counting_iteratorIjlEEPS9_SE_NS0_5tupleIJPjSE_EEENSF_IJSE_SE_EEES9_SG_JZNS1_25segmented_radix_sort_implINS0_14default_configELb0EPKdPdPKlPlN2at6native12_GLOBAL__N_18offset_tEEE10hipError_tPvRmT1_PNSt15iterator_traitsISY_E10value_typeET2_T3_PNSZ_IS14_E10value_typeET4_jRbjT5_S1A_jjP12ihipStream_tbEUljE_EEESV_SW_SX_S14_S18_S1A_T6_T7_T9_mT8_S1C_bDpT10_ENKUlT_T0_E_clISt17integral_constantIbLb0EES1P_EEDaS1K_S1L_EUlS1K_E_NS1_11comp_targetILNS1_3genE0ELNS1_11target_archE4294967295ELNS1_3gpuE0ELNS1_3repE0EEENS1_30default_config_static_selectorELNS0_4arch9wavefront6targetE1EEEvSY_.kd
    .uniform_work_group_size: 1
    .uses_dynamic_stack: false
    .vgpr_count:     0
    .vgpr_spill_count: 0
    .wavefront_size: 64
  - .agpr_count:     0
    .args:
      - .offset:         0
        .size:           144
        .value_kind:     by_value
    .group_segment_fixed_size: 0
    .kernarg_segment_align: 8
    .kernarg_segment_size: 144
    .language:       OpenCL C
    .language_version:
      - 2
      - 0
    .max_flat_workgroup_size: 256
    .name:           _ZN7rocprim17ROCPRIM_400000_NS6detail17trampoline_kernelINS0_13select_configILj256ELj13ELNS0_17block_load_methodE3ELS4_3ELS4_3ELNS0_20block_scan_algorithmE0ELj4294967295EEENS1_25partition_config_selectorILNS1_17partition_subalgoE3EjNS0_10empty_typeEbEEZZNS1_14partition_implILS8_3ELb0ES6_jNS0_17counting_iteratorIjlEEPS9_SE_NS0_5tupleIJPjSE_EEENSF_IJSE_SE_EEES9_SG_JZNS1_25segmented_radix_sort_implINS0_14default_configELb0EPKdPdPKlPlN2at6native12_GLOBAL__N_18offset_tEEE10hipError_tPvRmT1_PNSt15iterator_traitsISY_E10value_typeET2_T3_PNSZ_IS14_E10value_typeET4_jRbjT5_S1A_jjP12ihipStream_tbEUljE_EEESV_SW_SX_S14_S18_S1A_T6_T7_T9_mT8_S1C_bDpT10_ENKUlT_T0_E_clISt17integral_constantIbLb0EES1P_EEDaS1K_S1L_EUlS1K_E_NS1_11comp_targetILNS1_3genE5ELNS1_11target_archE942ELNS1_3gpuE9ELNS1_3repE0EEENS1_30default_config_static_selectorELNS0_4arch9wavefront6targetE1EEEvSY_
    .private_segment_fixed_size: 0
    .sgpr_count:     4
    .sgpr_spill_count: 0
    .symbol:         _ZN7rocprim17ROCPRIM_400000_NS6detail17trampoline_kernelINS0_13select_configILj256ELj13ELNS0_17block_load_methodE3ELS4_3ELS4_3ELNS0_20block_scan_algorithmE0ELj4294967295EEENS1_25partition_config_selectorILNS1_17partition_subalgoE3EjNS0_10empty_typeEbEEZZNS1_14partition_implILS8_3ELb0ES6_jNS0_17counting_iteratorIjlEEPS9_SE_NS0_5tupleIJPjSE_EEENSF_IJSE_SE_EEES9_SG_JZNS1_25segmented_radix_sort_implINS0_14default_configELb0EPKdPdPKlPlN2at6native12_GLOBAL__N_18offset_tEEE10hipError_tPvRmT1_PNSt15iterator_traitsISY_E10value_typeET2_T3_PNSZ_IS14_E10value_typeET4_jRbjT5_S1A_jjP12ihipStream_tbEUljE_EEESV_SW_SX_S14_S18_S1A_T6_T7_T9_mT8_S1C_bDpT10_ENKUlT_T0_E_clISt17integral_constantIbLb0EES1P_EEDaS1K_S1L_EUlS1K_E_NS1_11comp_targetILNS1_3genE5ELNS1_11target_archE942ELNS1_3gpuE9ELNS1_3repE0EEENS1_30default_config_static_selectorELNS0_4arch9wavefront6targetE1EEEvSY_.kd
    .uniform_work_group_size: 1
    .uses_dynamic_stack: false
    .vgpr_count:     0
    .vgpr_spill_count: 0
    .wavefront_size: 64
  - .agpr_count:     0
    .args:
      - .offset:         0
        .size:           144
        .value_kind:     by_value
    .group_segment_fixed_size: 13324
    .kernarg_segment_align: 8
    .kernarg_segment_size: 144
    .language:       OpenCL C
    .language_version:
      - 2
      - 0
    .max_flat_workgroup_size: 256
    .name:           _ZN7rocprim17ROCPRIM_400000_NS6detail17trampoline_kernelINS0_13select_configILj256ELj13ELNS0_17block_load_methodE3ELS4_3ELS4_3ELNS0_20block_scan_algorithmE0ELj4294967295EEENS1_25partition_config_selectorILNS1_17partition_subalgoE3EjNS0_10empty_typeEbEEZZNS1_14partition_implILS8_3ELb0ES6_jNS0_17counting_iteratorIjlEEPS9_SE_NS0_5tupleIJPjSE_EEENSF_IJSE_SE_EEES9_SG_JZNS1_25segmented_radix_sort_implINS0_14default_configELb0EPKdPdPKlPlN2at6native12_GLOBAL__N_18offset_tEEE10hipError_tPvRmT1_PNSt15iterator_traitsISY_E10value_typeET2_T3_PNSZ_IS14_E10value_typeET4_jRbjT5_S1A_jjP12ihipStream_tbEUljE_EEESV_SW_SX_S14_S18_S1A_T6_T7_T9_mT8_S1C_bDpT10_ENKUlT_T0_E_clISt17integral_constantIbLb0EES1P_EEDaS1K_S1L_EUlS1K_E_NS1_11comp_targetILNS1_3genE4ELNS1_11target_archE910ELNS1_3gpuE8ELNS1_3repE0EEENS1_30default_config_static_selectorELNS0_4arch9wavefront6targetE1EEEvSY_
    .private_segment_fixed_size: 0
    .sgpr_count:     50
    .sgpr_spill_count: 0
    .symbol:         _ZN7rocprim17ROCPRIM_400000_NS6detail17trampoline_kernelINS0_13select_configILj256ELj13ELNS0_17block_load_methodE3ELS4_3ELS4_3ELNS0_20block_scan_algorithmE0ELj4294967295EEENS1_25partition_config_selectorILNS1_17partition_subalgoE3EjNS0_10empty_typeEbEEZZNS1_14partition_implILS8_3ELb0ES6_jNS0_17counting_iteratorIjlEEPS9_SE_NS0_5tupleIJPjSE_EEENSF_IJSE_SE_EEES9_SG_JZNS1_25segmented_radix_sort_implINS0_14default_configELb0EPKdPdPKlPlN2at6native12_GLOBAL__N_18offset_tEEE10hipError_tPvRmT1_PNSt15iterator_traitsISY_E10value_typeET2_T3_PNSZ_IS14_E10value_typeET4_jRbjT5_S1A_jjP12ihipStream_tbEUljE_EEESV_SW_SX_S14_S18_S1A_T6_T7_T9_mT8_S1C_bDpT10_ENKUlT_T0_E_clISt17integral_constantIbLb0EES1P_EEDaS1K_S1L_EUlS1K_E_NS1_11comp_targetILNS1_3genE4ELNS1_11target_archE910ELNS1_3gpuE8ELNS1_3repE0EEENS1_30default_config_static_selectorELNS0_4arch9wavefront6targetE1EEEvSY_.kd
    .uniform_work_group_size: 1
    .uses_dynamic_stack: false
    .vgpr_count:     61
    .vgpr_spill_count: 0
    .wavefront_size: 64
  - .agpr_count:     0
    .args:
      - .offset:         0
        .size:           144
        .value_kind:     by_value
    .group_segment_fixed_size: 0
    .kernarg_segment_align: 8
    .kernarg_segment_size: 144
    .language:       OpenCL C
    .language_version:
      - 2
      - 0
    .max_flat_workgroup_size: 256
    .name:           _ZN7rocprim17ROCPRIM_400000_NS6detail17trampoline_kernelINS0_13select_configILj256ELj13ELNS0_17block_load_methodE3ELS4_3ELS4_3ELNS0_20block_scan_algorithmE0ELj4294967295EEENS1_25partition_config_selectorILNS1_17partition_subalgoE3EjNS0_10empty_typeEbEEZZNS1_14partition_implILS8_3ELb0ES6_jNS0_17counting_iteratorIjlEEPS9_SE_NS0_5tupleIJPjSE_EEENSF_IJSE_SE_EEES9_SG_JZNS1_25segmented_radix_sort_implINS0_14default_configELb0EPKdPdPKlPlN2at6native12_GLOBAL__N_18offset_tEEE10hipError_tPvRmT1_PNSt15iterator_traitsISY_E10value_typeET2_T3_PNSZ_IS14_E10value_typeET4_jRbjT5_S1A_jjP12ihipStream_tbEUljE_EEESV_SW_SX_S14_S18_S1A_T6_T7_T9_mT8_S1C_bDpT10_ENKUlT_T0_E_clISt17integral_constantIbLb0EES1P_EEDaS1K_S1L_EUlS1K_E_NS1_11comp_targetILNS1_3genE3ELNS1_11target_archE908ELNS1_3gpuE7ELNS1_3repE0EEENS1_30default_config_static_selectorELNS0_4arch9wavefront6targetE1EEEvSY_
    .private_segment_fixed_size: 0
    .sgpr_count:     4
    .sgpr_spill_count: 0
    .symbol:         _ZN7rocprim17ROCPRIM_400000_NS6detail17trampoline_kernelINS0_13select_configILj256ELj13ELNS0_17block_load_methodE3ELS4_3ELS4_3ELNS0_20block_scan_algorithmE0ELj4294967295EEENS1_25partition_config_selectorILNS1_17partition_subalgoE3EjNS0_10empty_typeEbEEZZNS1_14partition_implILS8_3ELb0ES6_jNS0_17counting_iteratorIjlEEPS9_SE_NS0_5tupleIJPjSE_EEENSF_IJSE_SE_EEES9_SG_JZNS1_25segmented_radix_sort_implINS0_14default_configELb0EPKdPdPKlPlN2at6native12_GLOBAL__N_18offset_tEEE10hipError_tPvRmT1_PNSt15iterator_traitsISY_E10value_typeET2_T3_PNSZ_IS14_E10value_typeET4_jRbjT5_S1A_jjP12ihipStream_tbEUljE_EEESV_SW_SX_S14_S18_S1A_T6_T7_T9_mT8_S1C_bDpT10_ENKUlT_T0_E_clISt17integral_constantIbLb0EES1P_EEDaS1K_S1L_EUlS1K_E_NS1_11comp_targetILNS1_3genE3ELNS1_11target_archE908ELNS1_3gpuE7ELNS1_3repE0EEENS1_30default_config_static_selectorELNS0_4arch9wavefront6targetE1EEEvSY_.kd
    .uniform_work_group_size: 1
    .uses_dynamic_stack: false
    .vgpr_count:     0
    .vgpr_spill_count: 0
    .wavefront_size: 64
  - .agpr_count:     0
    .args:
      - .offset:         0
        .size:           144
        .value_kind:     by_value
    .group_segment_fixed_size: 0
    .kernarg_segment_align: 8
    .kernarg_segment_size: 144
    .language:       OpenCL C
    .language_version:
      - 2
      - 0
    .max_flat_workgroup_size: 256
    .name:           _ZN7rocprim17ROCPRIM_400000_NS6detail17trampoline_kernelINS0_13select_configILj256ELj13ELNS0_17block_load_methodE3ELS4_3ELS4_3ELNS0_20block_scan_algorithmE0ELj4294967295EEENS1_25partition_config_selectorILNS1_17partition_subalgoE3EjNS0_10empty_typeEbEEZZNS1_14partition_implILS8_3ELb0ES6_jNS0_17counting_iteratorIjlEEPS9_SE_NS0_5tupleIJPjSE_EEENSF_IJSE_SE_EEES9_SG_JZNS1_25segmented_radix_sort_implINS0_14default_configELb0EPKdPdPKlPlN2at6native12_GLOBAL__N_18offset_tEEE10hipError_tPvRmT1_PNSt15iterator_traitsISY_E10value_typeET2_T3_PNSZ_IS14_E10value_typeET4_jRbjT5_S1A_jjP12ihipStream_tbEUljE_EEESV_SW_SX_S14_S18_S1A_T6_T7_T9_mT8_S1C_bDpT10_ENKUlT_T0_E_clISt17integral_constantIbLb0EES1P_EEDaS1K_S1L_EUlS1K_E_NS1_11comp_targetILNS1_3genE2ELNS1_11target_archE906ELNS1_3gpuE6ELNS1_3repE0EEENS1_30default_config_static_selectorELNS0_4arch9wavefront6targetE1EEEvSY_
    .private_segment_fixed_size: 0
    .sgpr_count:     4
    .sgpr_spill_count: 0
    .symbol:         _ZN7rocprim17ROCPRIM_400000_NS6detail17trampoline_kernelINS0_13select_configILj256ELj13ELNS0_17block_load_methodE3ELS4_3ELS4_3ELNS0_20block_scan_algorithmE0ELj4294967295EEENS1_25partition_config_selectorILNS1_17partition_subalgoE3EjNS0_10empty_typeEbEEZZNS1_14partition_implILS8_3ELb0ES6_jNS0_17counting_iteratorIjlEEPS9_SE_NS0_5tupleIJPjSE_EEENSF_IJSE_SE_EEES9_SG_JZNS1_25segmented_radix_sort_implINS0_14default_configELb0EPKdPdPKlPlN2at6native12_GLOBAL__N_18offset_tEEE10hipError_tPvRmT1_PNSt15iterator_traitsISY_E10value_typeET2_T3_PNSZ_IS14_E10value_typeET4_jRbjT5_S1A_jjP12ihipStream_tbEUljE_EEESV_SW_SX_S14_S18_S1A_T6_T7_T9_mT8_S1C_bDpT10_ENKUlT_T0_E_clISt17integral_constantIbLb0EES1P_EEDaS1K_S1L_EUlS1K_E_NS1_11comp_targetILNS1_3genE2ELNS1_11target_archE906ELNS1_3gpuE6ELNS1_3repE0EEENS1_30default_config_static_selectorELNS0_4arch9wavefront6targetE1EEEvSY_.kd
    .uniform_work_group_size: 1
    .uses_dynamic_stack: false
    .vgpr_count:     0
    .vgpr_spill_count: 0
    .wavefront_size: 64
  - .agpr_count:     0
    .args:
      - .offset:         0
        .size:           144
        .value_kind:     by_value
    .group_segment_fixed_size: 0
    .kernarg_segment_align: 8
    .kernarg_segment_size: 144
    .language:       OpenCL C
    .language_version:
      - 2
      - 0
    .max_flat_workgroup_size: 256
    .name:           _ZN7rocprim17ROCPRIM_400000_NS6detail17trampoline_kernelINS0_13select_configILj256ELj13ELNS0_17block_load_methodE3ELS4_3ELS4_3ELNS0_20block_scan_algorithmE0ELj4294967295EEENS1_25partition_config_selectorILNS1_17partition_subalgoE3EjNS0_10empty_typeEbEEZZNS1_14partition_implILS8_3ELb0ES6_jNS0_17counting_iteratorIjlEEPS9_SE_NS0_5tupleIJPjSE_EEENSF_IJSE_SE_EEES9_SG_JZNS1_25segmented_radix_sort_implINS0_14default_configELb0EPKdPdPKlPlN2at6native12_GLOBAL__N_18offset_tEEE10hipError_tPvRmT1_PNSt15iterator_traitsISY_E10value_typeET2_T3_PNSZ_IS14_E10value_typeET4_jRbjT5_S1A_jjP12ihipStream_tbEUljE_EEESV_SW_SX_S14_S18_S1A_T6_T7_T9_mT8_S1C_bDpT10_ENKUlT_T0_E_clISt17integral_constantIbLb0EES1P_EEDaS1K_S1L_EUlS1K_E_NS1_11comp_targetILNS1_3genE10ELNS1_11target_archE1200ELNS1_3gpuE4ELNS1_3repE0EEENS1_30default_config_static_selectorELNS0_4arch9wavefront6targetE1EEEvSY_
    .private_segment_fixed_size: 0
    .sgpr_count:     4
    .sgpr_spill_count: 0
    .symbol:         _ZN7rocprim17ROCPRIM_400000_NS6detail17trampoline_kernelINS0_13select_configILj256ELj13ELNS0_17block_load_methodE3ELS4_3ELS4_3ELNS0_20block_scan_algorithmE0ELj4294967295EEENS1_25partition_config_selectorILNS1_17partition_subalgoE3EjNS0_10empty_typeEbEEZZNS1_14partition_implILS8_3ELb0ES6_jNS0_17counting_iteratorIjlEEPS9_SE_NS0_5tupleIJPjSE_EEENSF_IJSE_SE_EEES9_SG_JZNS1_25segmented_radix_sort_implINS0_14default_configELb0EPKdPdPKlPlN2at6native12_GLOBAL__N_18offset_tEEE10hipError_tPvRmT1_PNSt15iterator_traitsISY_E10value_typeET2_T3_PNSZ_IS14_E10value_typeET4_jRbjT5_S1A_jjP12ihipStream_tbEUljE_EEESV_SW_SX_S14_S18_S1A_T6_T7_T9_mT8_S1C_bDpT10_ENKUlT_T0_E_clISt17integral_constantIbLb0EES1P_EEDaS1K_S1L_EUlS1K_E_NS1_11comp_targetILNS1_3genE10ELNS1_11target_archE1200ELNS1_3gpuE4ELNS1_3repE0EEENS1_30default_config_static_selectorELNS0_4arch9wavefront6targetE1EEEvSY_.kd
    .uniform_work_group_size: 1
    .uses_dynamic_stack: false
    .vgpr_count:     0
    .vgpr_spill_count: 0
    .wavefront_size: 64
  - .agpr_count:     0
    .args:
      - .offset:         0
        .size:           144
        .value_kind:     by_value
    .group_segment_fixed_size: 0
    .kernarg_segment_align: 8
    .kernarg_segment_size: 144
    .language:       OpenCL C
    .language_version:
      - 2
      - 0
    .max_flat_workgroup_size: 256
    .name:           _ZN7rocprim17ROCPRIM_400000_NS6detail17trampoline_kernelINS0_13select_configILj256ELj13ELNS0_17block_load_methodE3ELS4_3ELS4_3ELNS0_20block_scan_algorithmE0ELj4294967295EEENS1_25partition_config_selectorILNS1_17partition_subalgoE3EjNS0_10empty_typeEbEEZZNS1_14partition_implILS8_3ELb0ES6_jNS0_17counting_iteratorIjlEEPS9_SE_NS0_5tupleIJPjSE_EEENSF_IJSE_SE_EEES9_SG_JZNS1_25segmented_radix_sort_implINS0_14default_configELb0EPKdPdPKlPlN2at6native12_GLOBAL__N_18offset_tEEE10hipError_tPvRmT1_PNSt15iterator_traitsISY_E10value_typeET2_T3_PNSZ_IS14_E10value_typeET4_jRbjT5_S1A_jjP12ihipStream_tbEUljE_EEESV_SW_SX_S14_S18_S1A_T6_T7_T9_mT8_S1C_bDpT10_ENKUlT_T0_E_clISt17integral_constantIbLb0EES1P_EEDaS1K_S1L_EUlS1K_E_NS1_11comp_targetILNS1_3genE9ELNS1_11target_archE1100ELNS1_3gpuE3ELNS1_3repE0EEENS1_30default_config_static_selectorELNS0_4arch9wavefront6targetE1EEEvSY_
    .private_segment_fixed_size: 0
    .sgpr_count:     4
    .sgpr_spill_count: 0
    .symbol:         _ZN7rocprim17ROCPRIM_400000_NS6detail17trampoline_kernelINS0_13select_configILj256ELj13ELNS0_17block_load_methodE3ELS4_3ELS4_3ELNS0_20block_scan_algorithmE0ELj4294967295EEENS1_25partition_config_selectorILNS1_17partition_subalgoE3EjNS0_10empty_typeEbEEZZNS1_14partition_implILS8_3ELb0ES6_jNS0_17counting_iteratorIjlEEPS9_SE_NS0_5tupleIJPjSE_EEENSF_IJSE_SE_EEES9_SG_JZNS1_25segmented_radix_sort_implINS0_14default_configELb0EPKdPdPKlPlN2at6native12_GLOBAL__N_18offset_tEEE10hipError_tPvRmT1_PNSt15iterator_traitsISY_E10value_typeET2_T3_PNSZ_IS14_E10value_typeET4_jRbjT5_S1A_jjP12ihipStream_tbEUljE_EEESV_SW_SX_S14_S18_S1A_T6_T7_T9_mT8_S1C_bDpT10_ENKUlT_T0_E_clISt17integral_constantIbLb0EES1P_EEDaS1K_S1L_EUlS1K_E_NS1_11comp_targetILNS1_3genE9ELNS1_11target_archE1100ELNS1_3gpuE3ELNS1_3repE0EEENS1_30default_config_static_selectorELNS0_4arch9wavefront6targetE1EEEvSY_.kd
    .uniform_work_group_size: 1
    .uses_dynamic_stack: false
    .vgpr_count:     0
    .vgpr_spill_count: 0
    .wavefront_size: 64
  - .agpr_count:     0
    .args:
      - .offset:         0
        .size:           144
        .value_kind:     by_value
    .group_segment_fixed_size: 0
    .kernarg_segment_align: 8
    .kernarg_segment_size: 144
    .language:       OpenCL C
    .language_version:
      - 2
      - 0
    .max_flat_workgroup_size: 256
    .name:           _ZN7rocprim17ROCPRIM_400000_NS6detail17trampoline_kernelINS0_13select_configILj256ELj13ELNS0_17block_load_methodE3ELS4_3ELS4_3ELNS0_20block_scan_algorithmE0ELj4294967295EEENS1_25partition_config_selectorILNS1_17partition_subalgoE3EjNS0_10empty_typeEbEEZZNS1_14partition_implILS8_3ELb0ES6_jNS0_17counting_iteratorIjlEEPS9_SE_NS0_5tupleIJPjSE_EEENSF_IJSE_SE_EEES9_SG_JZNS1_25segmented_radix_sort_implINS0_14default_configELb0EPKdPdPKlPlN2at6native12_GLOBAL__N_18offset_tEEE10hipError_tPvRmT1_PNSt15iterator_traitsISY_E10value_typeET2_T3_PNSZ_IS14_E10value_typeET4_jRbjT5_S1A_jjP12ihipStream_tbEUljE_EEESV_SW_SX_S14_S18_S1A_T6_T7_T9_mT8_S1C_bDpT10_ENKUlT_T0_E_clISt17integral_constantIbLb0EES1P_EEDaS1K_S1L_EUlS1K_E_NS1_11comp_targetILNS1_3genE8ELNS1_11target_archE1030ELNS1_3gpuE2ELNS1_3repE0EEENS1_30default_config_static_selectorELNS0_4arch9wavefront6targetE1EEEvSY_
    .private_segment_fixed_size: 0
    .sgpr_count:     4
    .sgpr_spill_count: 0
    .symbol:         _ZN7rocprim17ROCPRIM_400000_NS6detail17trampoline_kernelINS0_13select_configILj256ELj13ELNS0_17block_load_methodE3ELS4_3ELS4_3ELNS0_20block_scan_algorithmE0ELj4294967295EEENS1_25partition_config_selectorILNS1_17partition_subalgoE3EjNS0_10empty_typeEbEEZZNS1_14partition_implILS8_3ELb0ES6_jNS0_17counting_iteratorIjlEEPS9_SE_NS0_5tupleIJPjSE_EEENSF_IJSE_SE_EEES9_SG_JZNS1_25segmented_radix_sort_implINS0_14default_configELb0EPKdPdPKlPlN2at6native12_GLOBAL__N_18offset_tEEE10hipError_tPvRmT1_PNSt15iterator_traitsISY_E10value_typeET2_T3_PNSZ_IS14_E10value_typeET4_jRbjT5_S1A_jjP12ihipStream_tbEUljE_EEESV_SW_SX_S14_S18_S1A_T6_T7_T9_mT8_S1C_bDpT10_ENKUlT_T0_E_clISt17integral_constantIbLb0EES1P_EEDaS1K_S1L_EUlS1K_E_NS1_11comp_targetILNS1_3genE8ELNS1_11target_archE1030ELNS1_3gpuE2ELNS1_3repE0EEENS1_30default_config_static_selectorELNS0_4arch9wavefront6targetE1EEEvSY_.kd
    .uniform_work_group_size: 1
    .uses_dynamic_stack: false
    .vgpr_count:     0
    .vgpr_spill_count: 0
    .wavefront_size: 64
  - .agpr_count:     0
    .args:
      - .offset:         0
        .size:           152
        .value_kind:     by_value
    .group_segment_fixed_size: 0
    .kernarg_segment_align: 8
    .kernarg_segment_size: 152
    .language:       OpenCL C
    .language_version:
      - 2
      - 0
    .max_flat_workgroup_size: 256
    .name:           _ZN7rocprim17ROCPRIM_400000_NS6detail17trampoline_kernelINS0_13select_configILj256ELj13ELNS0_17block_load_methodE3ELS4_3ELS4_3ELNS0_20block_scan_algorithmE0ELj4294967295EEENS1_25partition_config_selectorILNS1_17partition_subalgoE3EjNS0_10empty_typeEbEEZZNS1_14partition_implILS8_3ELb0ES6_jNS0_17counting_iteratorIjlEEPS9_SE_NS0_5tupleIJPjSE_EEENSF_IJSE_SE_EEES9_SG_JZNS1_25segmented_radix_sort_implINS0_14default_configELb0EPKdPdPKlPlN2at6native12_GLOBAL__N_18offset_tEEE10hipError_tPvRmT1_PNSt15iterator_traitsISY_E10value_typeET2_T3_PNSZ_IS14_E10value_typeET4_jRbjT5_S1A_jjP12ihipStream_tbEUljE_EEESV_SW_SX_S14_S18_S1A_T6_T7_T9_mT8_S1C_bDpT10_ENKUlT_T0_E_clISt17integral_constantIbLb1EES1P_EEDaS1K_S1L_EUlS1K_E_NS1_11comp_targetILNS1_3genE0ELNS1_11target_archE4294967295ELNS1_3gpuE0ELNS1_3repE0EEENS1_30default_config_static_selectorELNS0_4arch9wavefront6targetE1EEEvSY_
    .private_segment_fixed_size: 0
    .sgpr_count:     4
    .sgpr_spill_count: 0
    .symbol:         _ZN7rocprim17ROCPRIM_400000_NS6detail17trampoline_kernelINS0_13select_configILj256ELj13ELNS0_17block_load_methodE3ELS4_3ELS4_3ELNS0_20block_scan_algorithmE0ELj4294967295EEENS1_25partition_config_selectorILNS1_17partition_subalgoE3EjNS0_10empty_typeEbEEZZNS1_14partition_implILS8_3ELb0ES6_jNS0_17counting_iteratorIjlEEPS9_SE_NS0_5tupleIJPjSE_EEENSF_IJSE_SE_EEES9_SG_JZNS1_25segmented_radix_sort_implINS0_14default_configELb0EPKdPdPKlPlN2at6native12_GLOBAL__N_18offset_tEEE10hipError_tPvRmT1_PNSt15iterator_traitsISY_E10value_typeET2_T3_PNSZ_IS14_E10value_typeET4_jRbjT5_S1A_jjP12ihipStream_tbEUljE_EEESV_SW_SX_S14_S18_S1A_T6_T7_T9_mT8_S1C_bDpT10_ENKUlT_T0_E_clISt17integral_constantIbLb1EES1P_EEDaS1K_S1L_EUlS1K_E_NS1_11comp_targetILNS1_3genE0ELNS1_11target_archE4294967295ELNS1_3gpuE0ELNS1_3repE0EEENS1_30default_config_static_selectorELNS0_4arch9wavefront6targetE1EEEvSY_.kd
    .uniform_work_group_size: 1
    .uses_dynamic_stack: false
    .vgpr_count:     0
    .vgpr_spill_count: 0
    .wavefront_size: 64
  - .agpr_count:     0
    .args:
      - .offset:         0
        .size:           152
        .value_kind:     by_value
    .group_segment_fixed_size: 0
    .kernarg_segment_align: 8
    .kernarg_segment_size: 152
    .language:       OpenCL C
    .language_version:
      - 2
      - 0
    .max_flat_workgroup_size: 256
    .name:           _ZN7rocprim17ROCPRIM_400000_NS6detail17trampoline_kernelINS0_13select_configILj256ELj13ELNS0_17block_load_methodE3ELS4_3ELS4_3ELNS0_20block_scan_algorithmE0ELj4294967295EEENS1_25partition_config_selectorILNS1_17partition_subalgoE3EjNS0_10empty_typeEbEEZZNS1_14partition_implILS8_3ELb0ES6_jNS0_17counting_iteratorIjlEEPS9_SE_NS0_5tupleIJPjSE_EEENSF_IJSE_SE_EEES9_SG_JZNS1_25segmented_radix_sort_implINS0_14default_configELb0EPKdPdPKlPlN2at6native12_GLOBAL__N_18offset_tEEE10hipError_tPvRmT1_PNSt15iterator_traitsISY_E10value_typeET2_T3_PNSZ_IS14_E10value_typeET4_jRbjT5_S1A_jjP12ihipStream_tbEUljE_EEESV_SW_SX_S14_S18_S1A_T6_T7_T9_mT8_S1C_bDpT10_ENKUlT_T0_E_clISt17integral_constantIbLb1EES1P_EEDaS1K_S1L_EUlS1K_E_NS1_11comp_targetILNS1_3genE5ELNS1_11target_archE942ELNS1_3gpuE9ELNS1_3repE0EEENS1_30default_config_static_selectorELNS0_4arch9wavefront6targetE1EEEvSY_
    .private_segment_fixed_size: 0
    .sgpr_count:     4
    .sgpr_spill_count: 0
    .symbol:         _ZN7rocprim17ROCPRIM_400000_NS6detail17trampoline_kernelINS0_13select_configILj256ELj13ELNS0_17block_load_methodE3ELS4_3ELS4_3ELNS0_20block_scan_algorithmE0ELj4294967295EEENS1_25partition_config_selectorILNS1_17partition_subalgoE3EjNS0_10empty_typeEbEEZZNS1_14partition_implILS8_3ELb0ES6_jNS0_17counting_iteratorIjlEEPS9_SE_NS0_5tupleIJPjSE_EEENSF_IJSE_SE_EEES9_SG_JZNS1_25segmented_radix_sort_implINS0_14default_configELb0EPKdPdPKlPlN2at6native12_GLOBAL__N_18offset_tEEE10hipError_tPvRmT1_PNSt15iterator_traitsISY_E10value_typeET2_T3_PNSZ_IS14_E10value_typeET4_jRbjT5_S1A_jjP12ihipStream_tbEUljE_EEESV_SW_SX_S14_S18_S1A_T6_T7_T9_mT8_S1C_bDpT10_ENKUlT_T0_E_clISt17integral_constantIbLb1EES1P_EEDaS1K_S1L_EUlS1K_E_NS1_11comp_targetILNS1_3genE5ELNS1_11target_archE942ELNS1_3gpuE9ELNS1_3repE0EEENS1_30default_config_static_selectorELNS0_4arch9wavefront6targetE1EEEvSY_.kd
    .uniform_work_group_size: 1
    .uses_dynamic_stack: false
    .vgpr_count:     0
    .vgpr_spill_count: 0
    .wavefront_size: 64
  - .agpr_count:     0
    .args:
      - .offset:         0
        .size:           152
        .value_kind:     by_value
    .group_segment_fixed_size: 13324
    .kernarg_segment_align: 8
    .kernarg_segment_size: 152
    .language:       OpenCL C
    .language_version:
      - 2
      - 0
    .max_flat_workgroup_size: 256
    .name:           _ZN7rocprim17ROCPRIM_400000_NS6detail17trampoline_kernelINS0_13select_configILj256ELj13ELNS0_17block_load_methodE3ELS4_3ELS4_3ELNS0_20block_scan_algorithmE0ELj4294967295EEENS1_25partition_config_selectorILNS1_17partition_subalgoE3EjNS0_10empty_typeEbEEZZNS1_14partition_implILS8_3ELb0ES6_jNS0_17counting_iteratorIjlEEPS9_SE_NS0_5tupleIJPjSE_EEENSF_IJSE_SE_EEES9_SG_JZNS1_25segmented_radix_sort_implINS0_14default_configELb0EPKdPdPKlPlN2at6native12_GLOBAL__N_18offset_tEEE10hipError_tPvRmT1_PNSt15iterator_traitsISY_E10value_typeET2_T3_PNSZ_IS14_E10value_typeET4_jRbjT5_S1A_jjP12ihipStream_tbEUljE_EEESV_SW_SX_S14_S18_S1A_T6_T7_T9_mT8_S1C_bDpT10_ENKUlT_T0_E_clISt17integral_constantIbLb1EES1P_EEDaS1K_S1L_EUlS1K_E_NS1_11comp_targetILNS1_3genE4ELNS1_11target_archE910ELNS1_3gpuE8ELNS1_3repE0EEENS1_30default_config_static_selectorELNS0_4arch9wavefront6targetE1EEEvSY_
    .private_segment_fixed_size: 0
    .sgpr_count:     48
    .sgpr_spill_count: 0
    .symbol:         _ZN7rocprim17ROCPRIM_400000_NS6detail17trampoline_kernelINS0_13select_configILj256ELj13ELNS0_17block_load_methodE3ELS4_3ELS4_3ELNS0_20block_scan_algorithmE0ELj4294967295EEENS1_25partition_config_selectorILNS1_17partition_subalgoE3EjNS0_10empty_typeEbEEZZNS1_14partition_implILS8_3ELb0ES6_jNS0_17counting_iteratorIjlEEPS9_SE_NS0_5tupleIJPjSE_EEENSF_IJSE_SE_EEES9_SG_JZNS1_25segmented_radix_sort_implINS0_14default_configELb0EPKdPdPKlPlN2at6native12_GLOBAL__N_18offset_tEEE10hipError_tPvRmT1_PNSt15iterator_traitsISY_E10value_typeET2_T3_PNSZ_IS14_E10value_typeET4_jRbjT5_S1A_jjP12ihipStream_tbEUljE_EEESV_SW_SX_S14_S18_S1A_T6_T7_T9_mT8_S1C_bDpT10_ENKUlT_T0_E_clISt17integral_constantIbLb1EES1P_EEDaS1K_S1L_EUlS1K_E_NS1_11comp_targetILNS1_3genE4ELNS1_11target_archE910ELNS1_3gpuE8ELNS1_3repE0EEENS1_30default_config_static_selectorELNS0_4arch9wavefront6targetE1EEEvSY_.kd
    .uniform_work_group_size: 1
    .uses_dynamic_stack: false
    .vgpr_count:     64
    .vgpr_spill_count: 0
    .wavefront_size: 64
  - .agpr_count:     0
    .args:
      - .offset:         0
        .size:           152
        .value_kind:     by_value
    .group_segment_fixed_size: 0
    .kernarg_segment_align: 8
    .kernarg_segment_size: 152
    .language:       OpenCL C
    .language_version:
      - 2
      - 0
    .max_flat_workgroup_size: 256
    .name:           _ZN7rocprim17ROCPRIM_400000_NS6detail17trampoline_kernelINS0_13select_configILj256ELj13ELNS0_17block_load_methodE3ELS4_3ELS4_3ELNS0_20block_scan_algorithmE0ELj4294967295EEENS1_25partition_config_selectorILNS1_17partition_subalgoE3EjNS0_10empty_typeEbEEZZNS1_14partition_implILS8_3ELb0ES6_jNS0_17counting_iteratorIjlEEPS9_SE_NS0_5tupleIJPjSE_EEENSF_IJSE_SE_EEES9_SG_JZNS1_25segmented_radix_sort_implINS0_14default_configELb0EPKdPdPKlPlN2at6native12_GLOBAL__N_18offset_tEEE10hipError_tPvRmT1_PNSt15iterator_traitsISY_E10value_typeET2_T3_PNSZ_IS14_E10value_typeET4_jRbjT5_S1A_jjP12ihipStream_tbEUljE_EEESV_SW_SX_S14_S18_S1A_T6_T7_T9_mT8_S1C_bDpT10_ENKUlT_T0_E_clISt17integral_constantIbLb1EES1P_EEDaS1K_S1L_EUlS1K_E_NS1_11comp_targetILNS1_3genE3ELNS1_11target_archE908ELNS1_3gpuE7ELNS1_3repE0EEENS1_30default_config_static_selectorELNS0_4arch9wavefront6targetE1EEEvSY_
    .private_segment_fixed_size: 0
    .sgpr_count:     4
    .sgpr_spill_count: 0
    .symbol:         _ZN7rocprim17ROCPRIM_400000_NS6detail17trampoline_kernelINS0_13select_configILj256ELj13ELNS0_17block_load_methodE3ELS4_3ELS4_3ELNS0_20block_scan_algorithmE0ELj4294967295EEENS1_25partition_config_selectorILNS1_17partition_subalgoE3EjNS0_10empty_typeEbEEZZNS1_14partition_implILS8_3ELb0ES6_jNS0_17counting_iteratorIjlEEPS9_SE_NS0_5tupleIJPjSE_EEENSF_IJSE_SE_EEES9_SG_JZNS1_25segmented_radix_sort_implINS0_14default_configELb0EPKdPdPKlPlN2at6native12_GLOBAL__N_18offset_tEEE10hipError_tPvRmT1_PNSt15iterator_traitsISY_E10value_typeET2_T3_PNSZ_IS14_E10value_typeET4_jRbjT5_S1A_jjP12ihipStream_tbEUljE_EEESV_SW_SX_S14_S18_S1A_T6_T7_T9_mT8_S1C_bDpT10_ENKUlT_T0_E_clISt17integral_constantIbLb1EES1P_EEDaS1K_S1L_EUlS1K_E_NS1_11comp_targetILNS1_3genE3ELNS1_11target_archE908ELNS1_3gpuE7ELNS1_3repE0EEENS1_30default_config_static_selectorELNS0_4arch9wavefront6targetE1EEEvSY_.kd
    .uniform_work_group_size: 1
    .uses_dynamic_stack: false
    .vgpr_count:     0
    .vgpr_spill_count: 0
    .wavefront_size: 64
  - .agpr_count:     0
    .args:
      - .offset:         0
        .size:           152
        .value_kind:     by_value
    .group_segment_fixed_size: 0
    .kernarg_segment_align: 8
    .kernarg_segment_size: 152
    .language:       OpenCL C
    .language_version:
      - 2
      - 0
    .max_flat_workgroup_size: 256
    .name:           _ZN7rocprim17ROCPRIM_400000_NS6detail17trampoline_kernelINS0_13select_configILj256ELj13ELNS0_17block_load_methodE3ELS4_3ELS4_3ELNS0_20block_scan_algorithmE0ELj4294967295EEENS1_25partition_config_selectorILNS1_17partition_subalgoE3EjNS0_10empty_typeEbEEZZNS1_14partition_implILS8_3ELb0ES6_jNS0_17counting_iteratorIjlEEPS9_SE_NS0_5tupleIJPjSE_EEENSF_IJSE_SE_EEES9_SG_JZNS1_25segmented_radix_sort_implINS0_14default_configELb0EPKdPdPKlPlN2at6native12_GLOBAL__N_18offset_tEEE10hipError_tPvRmT1_PNSt15iterator_traitsISY_E10value_typeET2_T3_PNSZ_IS14_E10value_typeET4_jRbjT5_S1A_jjP12ihipStream_tbEUljE_EEESV_SW_SX_S14_S18_S1A_T6_T7_T9_mT8_S1C_bDpT10_ENKUlT_T0_E_clISt17integral_constantIbLb1EES1P_EEDaS1K_S1L_EUlS1K_E_NS1_11comp_targetILNS1_3genE2ELNS1_11target_archE906ELNS1_3gpuE6ELNS1_3repE0EEENS1_30default_config_static_selectorELNS0_4arch9wavefront6targetE1EEEvSY_
    .private_segment_fixed_size: 0
    .sgpr_count:     4
    .sgpr_spill_count: 0
    .symbol:         _ZN7rocprim17ROCPRIM_400000_NS6detail17trampoline_kernelINS0_13select_configILj256ELj13ELNS0_17block_load_methodE3ELS4_3ELS4_3ELNS0_20block_scan_algorithmE0ELj4294967295EEENS1_25partition_config_selectorILNS1_17partition_subalgoE3EjNS0_10empty_typeEbEEZZNS1_14partition_implILS8_3ELb0ES6_jNS0_17counting_iteratorIjlEEPS9_SE_NS0_5tupleIJPjSE_EEENSF_IJSE_SE_EEES9_SG_JZNS1_25segmented_radix_sort_implINS0_14default_configELb0EPKdPdPKlPlN2at6native12_GLOBAL__N_18offset_tEEE10hipError_tPvRmT1_PNSt15iterator_traitsISY_E10value_typeET2_T3_PNSZ_IS14_E10value_typeET4_jRbjT5_S1A_jjP12ihipStream_tbEUljE_EEESV_SW_SX_S14_S18_S1A_T6_T7_T9_mT8_S1C_bDpT10_ENKUlT_T0_E_clISt17integral_constantIbLb1EES1P_EEDaS1K_S1L_EUlS1K_E_NS1_11comp_targetILNS1_3genE2ELNS1_11target_archE906ELNS1_3gpuE6ELNS1_3repE0EEENS1_30default_config_static_selectorELNS0_4arch9wavefront6targetE1EEEvSY_.kd
    .uniform_work_group_size: 1
    .uses_dynamic_stack: false
    .vgpr_count:     0
    .vgpr_spill_count: 0
    .wavefront_size: 64
  - .agpr_count:     0
    .args:
      - .offset:         0
        .size:           152
        .value_kind:     by_value
    .group_segment_fixed_size: 0
    .kernarg_segment_align: 8
    .kernarg_segment_size: 152
    .language:       OpenCL C
    .language_version:
      - 2
      - 0
    .max_flat_workgroup_size: 256
    .name:           _ZN7rocprim17ROCPRIM_400000_NS6detail17trampoline_kernelINS0_13select_configILj256ELj13ELNS0_17block_load_methodE3ELS4_3ELS4_3ELNS0_20block_scan_algorithmE0ELj4294967295EEENS1_25partition_config_selectorILNS1_17partition_subalgoE3EjNS0_10empty_typeEbEEZZNS1_14partition_implILS8_3ELb0ES6_jNS0_17counting_iteratorIjlEEPS9_SE_NS0_5tupleIJPjSE_EEENSF_IJSE_SE_EEES9_SG_JZNS1_25segmented_radix_sort_implINS0_14default_configELb0EPKdPdPKlPlN2at6native12_GLOBAL__N_18offset_tEEE10hipError_tPvRmT1_PNSt15iterator_traitsISY_E10value_typeET2_T3_PNSZ_IS14_E10value_typeET4_jRbjT5_S1A_jjP12ihipStream_tbEUljE_EEESV_SW_SX_S14_S18_S1A_T6_T7_T9_mT8_S1C_bDpT10_ENKUlT_T0_E_clISt17integral_constantIbLb1EES1P_EEDaS1K_S1L_EUlS1K_E_NS1_11comp_targetILNS1_3genE10ELNS1_11target_archE1200ELNS1_3gpuE4ELNS1_3repE0EEENS1_30default_config_static_selectorELNS0_4arch9wavefront6targetE1EEEvSY_
    .private_segment_fixed_size: 0
    .sgpr_count:     4
    .sgpr_spill_count: 0
    .symbol:         _ZN7rocprim17ROCPRIM_400000_NS6detail17trampoline_kernelINS0_13select_configILj256ELj13ELNS0_17block_load_methodE3ELS4_3ELS4_3ELNS0_20block_scan_algorithmE0ELj4294967295EEENS1_25partition_config_selectorILNS1_17partition_subalgoE3EjNS0_10empty_typeEbEEZZNS1_14partition_implILS8_3ELb0ES6_jNS0_17counting_iteratorIjlEEPS9_SE_NS0_5tupleIJPjSE_EEENSF_IJSE_SE_EEES9_SG_JZNS1_25segmented_radix_sort_implINS0_14default_configELb0EPKdPdPKlPlN2at6native12_GLOBAL__N_18offset_tEEE10hipError_tPvRmT1_PNSt15iterator_traitsISY_E10value_typeET2_T3_PNSZ_IS14_E10value_typeET4_jRbjT5_S1A_jjP12ihipStream_tbEUljE_EEESV_SW_SX_S14_S18_S1A_T6_T7_T9_mT8_S1C_bDpT10_ENKUlT_T0_E_clISt17integral_constantIbLb1EES1P_EEDaS1K_S1L_EUlS1K_E_NS1_11comp_targetILNS1_3genE10ELNS1_11target_archE1200ELNS1_3gpuE4ELNS1_3repE0EEENS1_30default_config_static_selectorELNS0_4arch9wavefront6targetE1EEEvSY_.kd
    .uniform_work_group_size: 1
    .uses_dynamic_stack: false
    .vgpr_count:     0
    .vgpr_spill_count: 0
    .wavefront_size: 64
  - .agpr_count:     0
    .args:
      - .offset:         0
        .size:           152
        .value_kind:     by_value
    .group_segment_fixed_size: 0
    .kernarg_segment_align: 8
    .kernarg_segment_size: 152
    .language:       OpenCL C
    .language_version:
      - 2
      - 0
    .max_flat_workgroup_size: 256
    .name:           _ZN7rocprim17ROCPRIM_400000_NS6detail17trampoline_kernelINS0_13select_configILj256ELj13ELNS0_17block_load_methodE3ELS4_3ELS4_3ELNS0_20block_scan_algorithmE0ELj4294967295EEENS1_25partition_config_selectorILNS1_17partition_subalgoE3EjNS0_10empty_typeEbEEZZNS1_14partition_implILS8_3ELb0ES6_jNS0_17counting_iteratorIjlEEPS9_SE_NS0_5tupleIJPjSE_EEENSF_IJSE_SE_EEES9_SG_JZNS1_25segmented_radix_sort_implINS0_14default_configELb0EPKdPdPKlPlN2at6native12_GLOBAL__N_18offset_tEEE10hipError_tPvRmT1_PNSt15iterator_traitsISY_E10value_typeET2_T3_PNSZ_IS14_E10value_typeET4_jRbjT5_S1A_jjP12ihipStream_tbEUljE_EEESV_SW_SX_S14_S18_S1A_T6_T7_T9_mT8_S1C_bDpT10_ENKUlT_T0_E_clISt17integral_constantIbLb1EES1P_EEDaS1K_S1L_EUlS1K_E_NS1_11comp_targetILNS1_3genE9ELNS1_11target_archE1100ELNS1_3gpuE3ELNS1_3repE0EEENS1_30default_config_static_selectorELNS0_4arch9wavefront6targetE1EEEvSY_
    .private_segment_fixed_size: 0
    .sgpr_count:     4
    .sgpr_spill_count: 0
    .symbol:         _ZN7rocprim17ROCPRIM_400000_NS6detail17trampoline_kernelINS0_13select_configILj256ELj13ELNS0_17block_load_methodE3ELS4_3ELS4_3ELNS0_20block_scan_algorithmE0ELj4294967295EEENS1_25partition_config_selectorILNS1_17partition_subalgoE3EjNS0_10empty_typeEbEEZZNS1_14partition_implILS8_3ELb0ES6_jNS0_17counting_iteratorIjlEEPS9_SE_NS0_5tupleIJPjSE_EEENSF_IJSE_SE_EEES9_SG_JZNS1_25segmented_radix_sort_implINS0_14default_configELb0EPKdPdPKlPlN2at6native12_GLOBAL__N_18offset_tEEE10hipError_tPvRmT1_PNSt15iterator_traitsISY_E10value_typeET2_T3_PNSZ_IS14_E10value_typeET4_jRbjT5_S1A_jjP12ihipStream_tbEUljE_EEESV_SW_SX_S14_S18_S1A_T6_T7_T9_mT8_S1C_bDpT10_ENKUlT_T0_E_clISt17integral_constantIbLb1EES1P_EEDaS1K_S1L_EUlS1K_E_NS1_11comp_targetILNS1_3genE9ELNS1_11target_archE1100ELNS1_3gpuE3ELNS1_3repE0EEENS1_30default_config_static_selectorELNS0_4arch9wavefront6targetE1EEEvSY_.kd
    .uniform_work_group_size: 1
    .uses_dynamic_stack: false
    .vgpr_count:     0
    .vgpr_spill_count: 0
    .wavefront_size: 64
  - .agpr_count:     0
    .args:
      - .offset:         0
        .size:           152
        .value_kind:     by_value
    .group_segment_fixed_size: 0
    .kernarg_segment_align: 8
    .kernarg_segment_size: 152
    .language:       OpenCL C
    .language_version:
      - 2
      - 0
    .max_flat_workgroup_size: 256
    .name:           _ZN7rocprim17ROCPRIM_400000_NS6detail17trampoline_kernelINS0_13select_configILj256ELj13ELNS0_17block_load_methodE3ELS4_3ELS4_3ELNS0_20block_scan_algorithmE0ELj4294967295EEENS1_25partition_config_selectorILNS1_17partition_subalgoE3EjNS0_10empty_typeEbEEZZNS1_14partition_implILS8_3ELb0ES6_jNS0_17counting_iteratorIjlEEPS9_SE_NS0_5tupleIJPjSE_EEENSF_IJSE_SE_EEES9_SG_JZNS1_25segmented_radix_sort_implINS0_14default_configELb0EPKdPdPKlPlN2at6native12_GLOBAL__N_18offset_tEEE10hipError_tPvRmT1_PNSt15iterator_traitsISY_E10value_typeET2_T3_PNSZ_IS14_E10value_typeET4_jRbjT5_S1A_jjP12ihipStream_tbEUljE_EEESV_SW_SX_S14_S18_S1A_T6_T7_T9_mT8_S1C_bDpT10_ENKUlT_T0_E_clISt17integral_constantIbLb1EES1P_EEDaS1K_S1L_EUlS1K_E_NS1_11comp_targetILNS1_3genE8ELNS1_11target_archE1030ELNS1_3gpuE2ELNS1_3repE0EEENS1_30default_config_static_selectorELNS0_4arch9wavefront6targetE1EEEvSY_
    .private_segment_fixed_size: 0
    .sgpr_count:     4
    .sgpr_spill_count: 0
    .symbol:         _ZN7rocprim17ROCPRIM_400000_NS6detail17trampoline_kernelINS0_13select_configILj256ELj13ELNS0_17block_load_methodE3ELS4_3ELS4_3ELNS0_20block_scan_algorithmE0ELj4294967295EEENS1_25partition_config_selectorILNS1_17partition_subalgoE3EjNS0_10empty_typeEbEEZZNS1_14partition_implILS8_3ELb0ES6_jNS0_17counting_iteratorIjlEEPS9_SE_NS0_5tupleIJPjSE_EEENSF_IJSE_SE_EEES9_SG_JZNS1_25segmented_radix_sort_implINS0_14default_configELb0EPKdPdPKlPlN2at6native12_GLOBAL__N_18offset_tEEE10hipError_tPvRmT1_PNSt15iterator_traitsISY_E10value_typeET2_T3_PNSZ_IS14_E10value_typeET4_jRbjT5_S1A_jjP12ihipStream_tbEUljE_EEESV_SW_SX_S14_S18_S1A_T6_T7_T9_mT8_S1C_bDpT10_ENKUlT_T0_E_clISt17integral_constantIbLb1EES1P_EEDaS1K_S1L_EUlS1K_E_NS1_11comp_targetILNS1_3genE8ELNS1_11target_archE1030ELNS1_3gpuE2ELNS1_3repE0EEENS1_30default_config_static_selectorELNS0_4arch9wavefront6targetE1EEEvSY_.kd
    .uniform_work_group_size: 1
    .uses_dynamic_stack: false
    .vgpr_count:     0
    .vgpr_spill_count: 0
    .wavefront_size: 64
  - .agpr_count:     0
    .args:
      - .offset:         0
        .size:           144
        .value_kind:     by_value
    .group_segment_fixed_size: 0
    .kernarg_segment_align: 8
    .kernarg_segment_size: 144
    .language:       OpenCL C
    .language_version:
      - 2
      - 0
    .max_flat_workgroup_size: 256
    .name:           _ZN7rocprim17ROCPRIM_400000_NS6detail17trampoline_kernelINS0_13select_configILj256ELj13ELNS0_17block_load_methodE3ELS4_3ELS4_3ELNS0_20block_scan_algorithmE0ELj4294967295EEENS1_25partition_config_selectorILNS1_17partition_subalgoE3EjNS0_10empty_typeEbEEZZNS1_14partition_implILS8_3ELb0ES6_jNS0_17counting_iteratorIjlEEPS9_SE_NS0_5tupleIJPjSE_EEENSF_IJSE_SE_EEES9_SG_JZNS1_25segmented_radix_sort_implINS0_14default_configELb0EPKdPdPKlPlN2at6native12_GLOBAL__N_18offset_tEEE10hipError_tPvRmT1_PNSt15iterator_traitsISY_E10value_typeET2_T3_PNSZ_IS14_E10value_typeET4_jRbjT5_S1A_jjP12ihipStream_tbEUljE_EEESV_SW_SX_S14_S18_S1A_T6_T7_T9_mT8_S1C_bDpT10_ENKUlT_T0_E_clISt17integral_constantIbLb1EES1O_IbLb0EEEEDaS1K_S1L_EUlS1K_E_NS1_11comp_targetILNS1_3genE0ELNS1_11target_archE4294967295ELNS1_3gpuE0ELNS1_3repE0EEENS1_30default_config_static_selectorELNS0_4arch9wavefront6targetE1EEEvSY_
    .private_segment_fixed_size: 0
    .sgpr_count:     4
    .sgpr_spill_count: 0
    .symbol:         _ZN7rocprim17ROCPRIM_400000_NS6detail17trampoline_kernelINS0_13select_configILj256ELj13ELNS0_17block_load_methodE3ELS4_3ELS4_3ELNS0_20block_scan_algorithmE0ELj4294967295EEENS1_25partition_config_selectorILNS1_17partition_subalgoE3EjNS0_10empty_typeEbEEZZNS1_14partition_implILS8_3ELb0ES6_jNS0_17counting_iteratorIjlEEPS9_SE_NS0_5tupleIJPjSE_EEENSF_IJSE_SE_EEES9_SG_JZNS1_25segmented_radix_sort_implINS0_14default_configELb0EPKdPdPKlPlN2at6native12_GLOBAL__N_18offset_tEEE10hipError_tPvRmT1_PNSt15iterator_traitsISY_E10value_typeET2_T3_PNSZ_IS14_E10value_typeET4_jRbjT5_S1A_jjP12ihipStream_tbEUljE_EEESV_SW_SX_S14_S18_S1A_T6_T7_T9_mT8_S1C_bDpT10_ENKUlT_T0_E_clISt17integral_constantIbLb1EES1O_IbLb0EEEEDaS1K_S1L_EUlS1K_E_NS1_11comp_targetILNS1_3genE0ELNS1_11target_archE4294967295ELNS1_3gpuE0ELNS1_3repE0EEENS1_30default_config_static_selectorELNS0_4arch9wavefront6targetE1EEEvSY_.kd
    .uniform_work_group_size: 1
    .uses_dynamic_stack: false
    .vgpr_count:     0
    .vgpr_spill_count: 0
    .wavefront_size: 64
  - .agpr_count:     0
    .args:
      - .offset:         0
        .size:           144
        .value_kind:     by_value
    .group_segment_fixed_size: 0
    .kernarg_segment_align: 8
    .kernarg_segment_size: 144
    .language:       OpenCL C
    .language_version:
      - 2
      - 0
    .max_flat_workgroup_size: 256
    .name:           _ZN7rocprim17ROCPRIM_400000_NS6detail17trampoline_kernelINS0_13select_configILj256ELj13ELNS0_17block_load_methodE3ELS4_3ELS4_3ELNS0_20block_scan_algorithmE0ELj4294967295EEENS1_25partition_config_selectorILNS1_17partition_subalgoE3EjNS0_10empty_typeEbEEZZNS1_14partition_implILS8_3ELb0ES6_jNS0_17counting_iteratorIjlEEPS9_SE_NS0_5tupleIJPjSE_EEENSF_IJSE_SE_EEES9_SG_JZNS1_25segmented_radix_sort_implINS0_14default_configELb0EPKdPdPKlPlN2at6native12_GLOBAL__N_18offset_tEEE10hipError_tPvRmT1_PNSt15iterator_traitsISY_E10value_typeET2_T3_PNSZ_IS14_E10value_typeET4_jRbjT5_S1A_jjP12ihipStream_tbEUljE_EEESV_SW_SX_S14_S18_S1A_T6_T7_T9_mT8_S1C_bDpT10_ENKUlT_T0_E_clISt17integral_constantIbLb1EES1O_IbLb0EEEEDaS1K_S1L_EUlS1K_E_NS1_11comp_targetILNS1_3genE5ELNS1_11target_archE942ELNS1_3gpuE9ELNS1_3repE0EEENS1_30default_config_static_selectorELNS0_4arch9wavefront6targetE1EEEvSY_
    .private_segment_fixed_size: 0
    .sgpr_count:     4
    .sgpr_spill_count: 0
    .symbol:         _ZN7rocprim17ROCPRIM_400000_NS6detail17trampoline_kernelINS0_13select_configILj256ELj13ELNS0_17block_load_methodE3ELS4_3ELS4_3ELNS0_20block_scan_algorithmE0ELj4294967295EEENS1_25partition_config_selectorILNS1_17partition_subalgoE3EjNS0_10empty_typeEbEEZZNS1_14partition_implILS8_3ELb0ES6_jNS0_17counting_iteratorIjlEEPS9_SE_NS0_5tupleIJPjSE_EEENSF_IJSE_SE_EEES9_SG_JZNS1_25segmented_radix_sort_implINS0_14default_configELb0EPKdPdPKlPlN2at6native12_GLOBAL__N_18offset_tEEE10hipError_tPvRmT1_PNSt15iterator_traitsISY_E10value_typeET2_T3_PNSZ_IS14_E10value_typeET4_jRbjT5_S1A_jjP12ihipStream_tbEUljE_EEESV_SW_SX_S14_S18_S1A_T6_T7_T9_mT8_S1C_bDpT10_ENKUlT_T0_E_clISt17integral_constantIbLb1EES1O_IbLb0EEEEDaS1K_S1L_EUlS1K_E_NS1_11comp_targetILNS1_3genE5ELNS1_11target_archE942ELNS1_3gpuE9ELNS1_3repE0EEENS1_30default_config_static_selectorELNS0_4arch9wavefront6targetE1EEEvSY_.kd
    .uniform_work_group_size: 1
    .uses_dynamic_stack: false
    .vgpr_count:     0
    .vgpr_spill_count: 0
    .wavefront_size: 64
  - .agpr_count:     0
    .args:
      - .offset:         0
        .size:           144
        .value_kind:     by_value
    .group_segment_fixed_size: 13324
    .kernarg_segment_align: 8
    .kernarg_segment_size: 144
    .language:       OpenCL C
    .language_version:
      - 2
      - 0
    .max_flat_workgroup_size: 256
    .name:           _ZN7rocprim17ROCPRIM_400000_NS6detail17trampoline_kernelINS0_13select_configILj256ELj13ELNS0_17block_load_methodE3ELS4_3ELS4_3ELNS0_20block_scan_algorithmE0ELj4294967295EEENS1_25partition_config_selectorILNS1_17partition_subalgoE3EjNS0_10empty_typeEbEEZZNS1_14partition_implILS8_3ELb0ES6_jNS0_17counting_iteratorIjlEEPS9_SE_NS0_5tupleIJPjSE_EEENSF_IJSE_SE_EEES9_SG_JZNS1_25segmented_radix_sort_implINS0_14default_configELb0EPKdPdPKlPlN2at6native12_GLOBAL__N_18offset_tEEE10hipError_tPvRmT1_PNSt15iterator_traitsISY_E10value_typeET2_T3_PNSZ_IS14_E10value_typeET4_jRbjT5_S1A_jjP12ihipStream_tbEUljE_EEESV_SW_SX_S14_S18_S1A_T6_T7_T9_mT8_S1C_bDpT10_ENKUlT_T0_E_clISt17integral_constantIbLb1EES1O_IbLb0EEEEDaS1K_S1L_EUlS1K_E_NS1_11comp_targetILNS1_3genE4ELNS1_11target_archE910ELNS1_3gpuE8ELNS1_3repE0EEENS1_30default_config_static_selectorELNS0_4arch9wavefront6targetE1EEEvSY_
    .private_segment_fixed_size: 0
    .sgpr_count:     50
    .sgpr_spill_count: 0
    .symbol:         _ZN7rocprim17ROCPRIM_400000_NS6detail17trampoline_kernelINS0_13select_configILj256ELj13ELNS0_17block_load_methodE3ELS4_3ELS4_3ELNS0_20block_scan_algorithmE0ELj4294967295EEENS1_25partition_config_selectorILNS1_17partition_subalgoE3EjNS0_10empty_typeEbEEZZNS1_14partition_implILS8_3ELb0ES6_jNS0_17counting_iteratorIjlEEPS9_SE_NS0_5tupleIJPjSE_EEENSF_IJSE_SE_EEES9_SG_JZNS1_25segmented_radix_sort_implINS0_14default_configELb0EPKdPdPKlPlN2at6native12_GLOBAL__N_18offset_tEEE10hipError_tPvRmT1_PNSt15iterator_traitsISY_E10value_typeET2_T3_PNSZ_IS14_E10value_typeET4_jRbjT5_S1A_jjP12ihipStream_tbEUljE_EEESV_SW_SX_S14_S18_S1A_T6_T7_T9_mT8_S1C_bDpT10_ENKUlT_T0_E_clISt17integral_constantIbLb1EES1O_IbLb0EEEEDaS1K_S1L_EUlS1K_E_NS1_11comp_targetILNS1_3genE4ELNS1_11target_archE910ELNS1_3gpuE8ELNS1_3repE0EEENS1_30default_config_static_selectorELNS0_4arch9wavefront6targetE1EEEvSY_.kd
    .uniform_work_group_size: 1
    .uses_dynamic_stack: false
    .vgpr_count:     61
    .vgpr_spill_count: 0
    .wavefront_size: 64
  - .agpr_count:     0
    .args:
      - .offset:         0
        .size:           144
        .value_kind:     by_value
    .group_segment_fixed_size: 0
    .kernarg_segment_align: 8
    .kernarg_segment_size: 144
    .language:       OpenCL C
    .language_version:
      - 2
      - 0
    .max_flat_workgroup_size: 256
    .name:           _ZN7rocprim17ROCPRIM_400000_NS6detail17trampoline_kernelINS0_13select_configILj256ELj13ELNS0_17block_load_methodE3ELS4_3ELS4_3ELNS0_20block_scan_algorithmE0ELj4294967295EEENS1_25partition_config_selectorILNS1_17partition_subalgoE3EjNS0_10empty_typeEbEEZZNS1_14partition_implILS8_3ELb0ES6_jNS0_17counting_iteratorIjlEEPS9_SE_NS0_5tupleIJPjSE_EEENSF_IJSE_SE_EEES9_SG_JZNS1_25segmented_radix_sort_implINS0_14default_configELb0EPKdPdPKlPlN2at6native12_GLOBAL__N_18offset_tEEE10hipError_tPvRmT1_PNSt15iterator_traitsISY_E10value_typeET2_T3_PNSZ_IS14_E10value_typeET4_jRbjT5_S1A_jjP12ihipStream_tbEUljE_EEESV_SW_SX_S14_S18_S1A_T6_T7_T9_mT8_S1C_bDpT10_ENKUlT_T0_E_clISt17integral_constantIbLb1EES1O_IbLb0EEEEDaS1K_S1L_EUlS1K_E_NS1_11comp_targetILNS1_3genE3ELNS1_11target_archE908ELNS1_3gpuE7ELNS1_3repE0EEENS1_30default_config_static_selectorELNS0_4arch9wavefront6targetE1EEEvSY_
    .private_segment_fixed_size: 0
    .sgpr_count:     4
    .sgpr_spill_count: 0
    .symbol:         _ZN7rocprim17ROCPRIM_400000_NS6detail17trampoline_kernelINS0_13select_configILj256ELj13ELNS0_17block_load_methodE3ELS4_3ELS4_3ELNS0_20block_scan_algorithmE0ELj4294967295EEENS1_25partition_config_selectorILNS1_17partition_subalgoE3EjNS0_10empty_typeEbEEZZNS1_14partition_implILS8_3ELb0ES6_jNS0_17counting_iteratorIjlEEPS9_SE_NS0_5tupleIJPjSE_EEENSF_IJSE_SE_EEES9_SG_JZNS1_25segmented_radix_sort_implINS0_14default_configELb0EPKdPdPKlPlN2at6native12_GLOBAL__N_18offset_tEEE10hipError_tPvRmT1_PNSt15iterator_traitsISY_E10value_typeET2_T3_PNSZ_IS14_E10value_typeET4_jRbjT5_S1A_jjP12ihipStream_tbEUljE_EEESV_SW_SX_S14_S18_S1A_T6_T7_T9_mT8_S1C_bDpT10_ENKUlT_T0_E_clISt17integral_constantIbLb1EES1O_IbLb0EEEEDaS1K_S1L_EUlS1K_E_NS1_11comp_targetILNS1_3genE3ELNS1_11target_archE908ELNS1_3gpuE7ELNS1_3repE0EEENS1_30default_config_static_selectorELNS0_4arch9wavefront6targetE1EEEvSY_.kd
    .uniform_work_group_size: 1
    .uses_dynamic_stack: false
    .vgpr_count:     0
    .vgpr_spill_count: 0
    .wavefront_size: 64
  - .agpr_count:     0
    .args:
      - .offset:         0
        .size:           144
        .value_kind:     by_value
    .group_segment_fixed_size: 0
    .kernarg_segment_align: 8
    .kernarg_segment_size: 144
    .language:       OpenCL C
    .language_version:
      - 2
      - 0
    .max_flat_workgroup_size: 256
    .name:           _ZN7rocprim17ROCPRIM_400000_NS6detail17trampoline_kernelINS0_13select_configILj256ELj13ELNS0_17block_load_methodE3ELS4_3ELS4_3ELNS0_20block_scan_algorithmE0ELj4294967295EEENS1_25partition_config_selectorILNS1_17partition_subalgoE3EjNS0_10empty_typeEbEEZZNS1_14partition_implILS8_3ELb0ES6_jNS0_17counting_iteratorIjlEEPS9_SE_NS0_5tupleIJPjSE_EEENSF_IJSE_SE_EEES9_SG_JZNS1_25segmented_radix_sort_implINS0_14default_configELb0EPKdPdPKlPlN2at6native12_GLOBAL__N_18offset_tEEE10hipError_tPvRmT1_PNSt15iterator_traitsISY_E10value_typeET2_T3_PNSZ_IS14_E10value_typeET4_jRbjT5_S1A_jjP12ihipStream_tbEUljE_EEESV_SW_SX_S14_S18_S1A_T6_T7_T9_mT8_S1C_bDpT10_ENKUlT_T0_E_clISt17integral_constantIbLb1EES1O_IbLb0EEEEDaS1K_S1L_EUlS1K_E_NS1_11comp_targetILNS1_3genE2ELNS1_11target_archE906ELNS1_3gpuE6ELNS1_3repE0EEENS1_30default_config_static_selectorELNS0_4arch9wavefront6targetE1EEEvSY_
    .private_segment_fixed_size: 0
    .sgpr_count:     4
    .sgpr_spill_count: 0
    .symbol:         _ZN7rocprim17ROCPRIM_400000_NS6detail17trampoline_kernelINS0_13select_configILj256ELj13ELNS0_17block_load_methodE3ELS4_3ELS4_3ELNS0_20block_scan_algorithmE0ELj4294967295EEENS1_25partition_config_selectorILNS1_17partition_subalgoE3EjNS0_10empty_typeEbEEZZNS1_14partition_implILS8_3ELb0ES6_jNS0_17counting_iteratorIjlEEPS9_SE_NS0_5tupleIJPjSE_EEENSF_IJSE_SE_EEES9_SG_JZNS1_25segmented_radix_sort_implINS0_14default_configELb0EPKdPdPKlPlN2at6native12_GLOBAL__N_18offset_tEEE10hipError_tPvRmT1_PNSt15iterator_traitsISY_E10value_typeET2_T3_PNSZ_IS14_E10value_typeET4_jRbjT5_S1A_jjP12ihipStream_tbEUljE_EEESV_SW_SX_S14_S18_S1A_T6_T7_T9_mT8_S1C_bDpT10_ENKUlT_T0_E_clISt17integral_constantIbLb1EES1O_IbLb0EEEEDaS1K_S1L_EUlS1K_E_NS1_11comp_targetILNS1_3genE2ELNS1_11target_archE906ELNS1_3gpuE6ELNS1_3repE0EEENS1_30default_config_static_selectorELNS0_4arch9wavefront6targetE1EEEvSY_.kd
    .uniform_work_group_size: 1
    .uses_dynamic_stack: false
    .vgpr_count:     0
    .vgpr_spill_count: 0
    .wavefront_size: 64
  - .agpr_count:     0
    .args:
      - .offset:         0
        .size:           144
        .value_kind:     by_value
    .group_segment_fixed_size: 0
    .kernarg_segment_align: 8
    .kernarg_segment_size: 144
    .language:       OpenCL C
    .language_version:
      - 2
      - 0
    .max_flat_workgroup_size: 256
    .name:           _ZN7rocprim17ROCPRIM_400000_NS6detail17trampoline_kernelINS0_13select_configILj256ELj13ELNS0_17block_load_methodE3ELS4_3ELS4_3ELNS0_20block_scan_algorithmE0ELj4294967295EEENS1_25partition_config_selectorILNS1_17partition_subalgoE3EjNS0_10empty_typeEbEEZZNS1_14partition_implILS8_3ELb0ES6_jNS0_17counting_iteratorIjlEEPS9_SE_NS0_5tupleIJPjSE_EEENSF_IJSE_SE_EEES9_SG_JZNS1_25segmented_radix_sort_implINS0_14default_configELb0EPKdPdPKlPlN2at6native12_GLOBAL__N_18offset_tEEE10hipError_tPvRmT1_PNSt15iterator_traitsISY_E10value_typeET2_T3_PNSZ_IS14_E10value_typeET4_jRbjT5_S1A_jjP12ihipStream_tbEUljE_EEESV_SW_SX_S14_S18_S1A_T6_T7_T9_mT8_S1C_bDpT10_ENKUlT_T0_E_clISt17integral_constantIbLb1EES1O_IbLb0EEEEDaS1K_S1L_EUlS1K_E_NS1_11comp_targetILNS1_3genE10ELNS1_11target_archE1200ELNS1_3gpuE4ELNS1_3repE0EEENS1_30default_config_static_selectorELNS0_4arch9wavefront6targetE1EEEvSY_
    .private_segment_fixed_size: 0
    .sgpr_count:     4
    .sgpr_spill_count: 0
    .symbol:         _ZN7rocprim17ROCPRIM_400000_NS6detail17trampoline_kernelINS0_13select_configILj256ELj13ELNS0_17block_load_methodE3ELS4_3ELS4_3ELNS0_20block_scan_algorithmE0ELj4294967295EEENS1_25partition_config_selectorILNS1_17partition_subalgoE3EjNS0_10empty_typeEbEEZZNS1_14partition_implILS8_3ELb0ES6_jNS0_17counting_iteratorIjlEEPS9_SE_NS0_5tupleIJPjSE_EEENSF_IJSE_SE_EEES9_SG_JZNS1_25segmented_radix_sort_implINS0_14default_configELb0EPKdPdPKlPlN2at6native12_GLOBAL__N_18offset_tEEE10hipError_tPvRmT1_PNSt15iterator_traitsISY_E10value_typeET2_T3_PNSZ_IS14_E10value_typeET4_jRbjT5_S1A_jjP12ihipStream_tbEUljE_EEESV_SW_SX_S14_S18_S1A_T6_T7_T9_mT8_S1C_bDpT10_ENKUlT_T0_E_clISt17integral_constantIbLb1EES1O_IbLb0EEEEDaS1K_S1L_EUlS1K_E_NS1_11comp_targetILNS1_3genE10ELNS1_11target_archE1200ELNS1_3gpuE4ELNS1_3repE0EEENS1_30default_config_static_selectorELNS0_4arch9wavefront6targetE1EEEvSY_.kd
    .uniform_work_group_size: 1
    .uses_dynamic_stack: false
    .vgpr_count:     0
    .vgpr_spill_count: 0
    .wavefront_size: 64
  - .agpr_count:     0
    .args:
      - .offset:         0
        .size:           144
        .value_kind:     by_value
    .group_segment_fixed_size: 0
    .kernarg_segment_align: 8
    .kernarg_segment_size: 144
    .language:       OpenCL C
    .language_version:
      - 2
      - 0
    .max_flat_workgroup_size: 256
    .name:           _ZN7rocprim17ROCPRIM_400000_NS6detail17trampoline_kernelINS0_13select_configILj256ELj13ELNS0_17block_load_methodE3ELS4_3ELS4_3ELNS0_20block_scan_algorithmE0ELj4294967295EEENS1_25partition_config_selectorILNS1_17partition_subalgoE3EjNS0_10empty_typeEbEEZZNS1_14partition_implILS8_3ELb0ES6_jNS0_17counting_iteratorIjlEEPS9_SE_NS0_5tupleIJPjSE_EEENSF_IJSE_SE_EEES9_SG_JZNS1_25segmented_radix_sort_implINS0_14default_configELb0EPKdPdPKlPlN2at6native12_GLOBAL__N_18offset_tEEE10hipError_tPvRmT1_PNSt15iterator_traitsISY_E10value_typeET2_T3_PNSZ_IS14_E10value_typeET4_jRbjT5_S1A_jjP12ihipStream_tbEUljE_EEESV_SW_SX_S14_S18_S1A_T6_T7_T9_mT8_S1C_bDpT10_ENKUlT_T0_E_clISt17integral_constantIbLb1EES1O_IbLb0EEEEDaS1K_S1L_EUlS1K_E_NS1_11comp_targetILNS1_3genE9ELNS1_11target_archE1100ELNS1_3gpuE3ELNS1_3repE0EEENS1_30default_config_static_selectorELNS0_4arch9wavefront6targetE1EEEvSY_
    .private_segment_fixed_size: 0
    .sgpr_count:     4
    .sgpr_spill_count: 0
    .symbol:         _ZN7rocprim17ROCPRIM_400000_NS6detail17trampoline_kernelINS0_13select_configILj256ELj13ELNS0_17block_load_methodE3ELS4_3ELS4_3ELNS0_20block_scan_algorithmE0ELj4294967295EEENS1_25partition_config_selectorILNS1_17partition_subalgoE3EjNS0_10empty_typeEbEEZZNS1_14partition_implILS8_3ELb0ES6_jNS0_17counting_iteratorIjlEEPS9_SE_NS0_5tupleIJPjSE_EEENSF_IJSE_SE_EEES9_SG_JZNS1_25segmented_radix_sort_implINS0_14default_configELb0EPKdPdPKlPlN2at6native12_GLOBAL__N_18offset_tEEE10hipError_tPvRmT1_PNSt15iterator_traitsISY_E10value_typeET2_T3_PNSZ_IS14_E10value_typeET4_jRbjT5_S1A_jjP12ihipStream_tbEUljE_EEESV_SW_SX_S14_S18_S1A_T6_T7_T9_mT8_S1C_bDpT10_ENKUlT_T0_E_clISt17integral_constantIbLb1EES1O_IbLb0EEEEDaS1K_S1L_EUlS1K_E_NS1_11comp_targetILNS1_3genE9ELNS1_11target_archE1100ELNS1_3gpuE3ELNS1_3repE0EEENS1_30default_config_static_selectorELNS0_4arch9wavefront6targetE1EEEvSY_.kd
    .uniform_work_group_size: 1
    .uses_dynamic_stack: false
    .vgpr_count:     0
    .vgpr_spill_count: 0
    .wavefront_size: 64
  - .agpr_count:     0
    .args:
      - .offset:         0
        .size:           144
        .value_kind:     by_value
    .group_segment_fixed_size: 0
    .kernarg_segment_align: 8
    .kernarg_segment_size: 144
    .language:       OpenCL C
    .language_version:
      - 2
      - 0
    .max_flat_workgroup_size: 256
    .name:           _ZN7rocprim17ROCPRIM_400000_NS6detail17trampoline_kernelINS0_13select_configILj256ELj13ELNS0_17block_load_methodE3ELS4_3ELS4_3ELNS0_20block_scan_algorithmE0ELj4294967295EEENS1_25partition_config_selectorILNS1_17partition_subalgoE3EjNS0_10empty_typeEbEEZZNS1_14partition_implILS8_3ELb0ES6_jNS0_17counting_iteratorIjlEEPS9_SE_NS0_5tupleIJPjSE_EEENSF_IJSE_SE_EEES9_SG_JZNS1_25segmented_radix_sort_implINS0_14default_configELb0EPKdPdPKlPlN2at6native12_GLOBAL__N_18offset_tEEE10hipError_tPvRmT1_PNSt15iterator_traitsISY_E10value_typeET2_T3_PNSZ_IS14_E10value_typeET4_jRbjT5_S1A_jjP12ihipStream_tbEUljE_EEESV_SW_SX_S14_S18_S1A_T6_T7_T9_mT8_S1C_bDpT10_ENKUlT_T0_E_clISt17integral_constantIbLb1EES1O_IbLb0EEEEDaS1K_S1L_EUlS1K_E_NS1_11comp_targetILNS1_3genE8ELNS1_11target_archE1030ELNS1_3gpuE2ELNS1_3repE0EEENS1_30default_config_static_selectorELNS0_4arch9wavefront6targetE1EEEvSY_
    .private_segment_fixed_size: 0
    .sgpr_count:     4
    .sgpr_spill_count: 0
    .symbol:         _ZN7rocprim17ROCPRIM_400000_NS6detail17trampoline_kernelINS0_13select_configILj256ELj13ELNS0_17block_load_methodE3ELS4_3ELS4_3ELNS0_20block_scan_algorithmE0ELj4294967295EEENS1_25partition_config_selectorILNS1_17partition_subalgoE3EjNS0_10empty_typeEbEEZZNS1_14partition_implILS8_3ELb0ES6_jNS0_17counting_iteratorIjlEEPS9_SE_NS0_5tupleIJPjSE_EEENSF_IJSE_SE_EEES9_SG_JZNS1_25segmented_radix_sort_implINS0_14default_configELb0EPKdPdPKlPlN2at6native12_GLOBAL__N_18offset_tEEE10hipError_tPvRmT1_PNSt15iterator_traitsISY_E10value_typeET2_T3_PNSZ_IS14_E10value_typeET4_jRbjT5_S1A_jjP12ihipStream_tbEUljE_EEESV_SW_SX_S14_S18_S1A_T6_T7_T9_mT8_S1C_bDpT10_ENKUlT_T0_E_clISt17integral_constantIbLb1EES1O_IbLb0EEEEDaS1K_S1L_EUlS1K_E_NS1_11comp_targetILNS1_3genE8ELNS1_11target_archE1030ELNS1_3gpuE2ELNS1_3repE0EEENS1_30default_config_static_selectorELNS0_4arch9wavefront6targetE1EEEvSY_.kd
    .uniform_work_group_size: 1
    .uses_dynamic_stack: false
    .vgpr_count:     0
    .vgpr_spill_count: 0
    .wavefront_size: 64
  - .agpr_count:     0
    .args:
      - .offset:         0
        .size:           152
        .value_kind:     by_value
    .group_segment_fixed_size: 0
    .kernarg_segment_align: 8
    .kernarg_segment_size: 152
    .language:       OpenCL C
    .language_version:
      - 2
      - 0
    .max_flat_workgroup_size: 256
    .name:           _ZN7rocprim17ROCPRIM_400000_NS6detail17trampoline_kernelINS0_13select_configILj256ELj13ELNS0_17block_load_methodE3ELS4_3ELS4_3ELNS0_20block_scan_algorithmE0ELj4294967295EEENS1_25partition_config_selectorILNS1_17partition_subalgoE3EjNS0_10empty_typeEbEEZZNS1_14partition_implILS8_3ELb0ES6_jNS0_17counting_iteratorIjlEEPS9_SE_NS0_5tupleIJPjSE_EEENSF_IJSE_SE_EEES9_SG_JZNS1_25segmented_radix_sort_implINS0_14default_configELb0EPKdPdPKlPlN2at6native12_GLOBAL__N_18offset_tEEE10hipError_tPvRmT1_PNSt15iterator_traitsISY_E10value_typeET2_T3_PNSZ_IS14_E10value_typeET4_jRbjT5_S1A_jjP12ihipStream_tbEUljE_EEESV_SW_SX_S14_S18_S1A_T6_T7_T9_mT8_S1C_bDpT10_ENKUlT_T0_E_clISt17integral_constantIbLb0EES1O_IbLb1EEEEDaS1K_S1L_EUlS1K_E_NS1_11comp_targetILNS1_3genE0ELNS1_11target_archE4294967295ELNS1_3gpuE0ELNS1_3repE0EEENS1_30default_config_static_selectorELNS0_4arch9wavefront6targetE1EEEvSY_
    .private_segment_fixed_size: 0
    .sgpr_count:     4
    .sgpr_spill_count: 0
    .symbol:         _ZN7rocprim17ROCPRIM_400000_NS6detail17trampoline_kernelINS0_13select_configILj256ELj13ELNS0_17block_load_methodE3ELS4_3ELS4_3ELNS0_20block_scan_algorithmE0ELj4294967295EEENS1_25partition_config_selectorILNS1_17partition_subalgoE3EjNS0_10empty_typeEbEEZZNS1_14partition_implILS8_3ELb0ES6_jNS0_17counting_iteratorIjlEEPS9_SE_NS0_5tupleIJPjSE_EEENSF_IJSE_SE_EEES9_SG_JZNS1_25segmented_radix_sort_implINS0_14default_configELb0EPKdPdPKlPlN2at6native12_GLOBAL__N_18offset_tEEE10hipError_tPvRmT1_PNSt15iterator_traitsISY_E10value_typeET2_T3_PNSZ_IS14_E10value_typeET4_jRbjT5_S1A_jjP12ihipStream_tbEUljE_EEESV_SW_SX_S14_S18_S1A_T6_T7_T9_mT8_S1C_bDpT10_ENKUlT_T0_E_clISt17integral_constantIbLb0EES1O_IbLb1EEEEDaS1K_S1L_EUlS1K_E_NS1_11comp_targetILNS1_3genE0ELNS1_11target_archE4294967295ELNS1_3gpuE0ELNS1_3repE0EEENS1_30default_config_static_selectorELNS0_4arch9wavefront6targetE1EEEvSY_.kd
    .uniform_work_group_size: 1
    .uses_dynamic_stack: false
    .vgpr_count:     0
    .vgpr_spill_count: 0
    .wavefront_size: 64
  - .agpr_count:     0
    .args:
      - .offset:         0
        .size:           152
        .value_kind:     by_value
    .group_segment_fixed_size: 0
    .kernarg_segment_align: 8
    .kernarg_segment_size: 152
    .language:       OpenCL C
    .language_version:
      - 2
      - 0
    .max_flat_workgroup_size: 256
    .name:           _ZN7rocprim17ROCPRIM_400000_NS6detail17trampoline_kernelINS0_13select_configILj256ELj13ELNS0_17block_load_methodE3ELS4_3ELS4_3ELNS0_20block_scan_algorithmE0ELj4294967295EEENS1_25partition_config_selectorILNS1_17partition_subalgoE3EjNS0_10empty_typeEbEEZZNS1_14partition_implILS8_3ELb0ES6_jNS0_17counting_iteratorIjlEEPS9_SE_NS0_5tupleIJPjSE_EEENSF_IJSE_SE_EEES9_SG_JZNS1_25segmented_radix_sort_implINS0_14default_configELb0EPKdPdPKlPlN2at6native12_GLOBAL__N_18offset_tEEE10hipError_tPvRmT1_PNSt15iterator_traitsISY_E10value_typeET2_T3_PNSZ_IS14_E10value_typeET4_jRbjT5_S1A_jjP12ihipStream_tbEUljE_EEESV_SW_SX_S14_S18_S1A_T6_T7_T9_mT8_S1C_bDpT10_ENKUlT_T0_E_clISt17integral_constantIbLb0EES1O_IbLb1EEEEDaS1K_S1L_EUlS1K_E_NS1_11comp_targetILNS1_3genE5ELNS1_11target_archE942ELNS1_3gpuE9ELNS1_3repE0EEENS1_30default_config_static_selectorELNS0_4arch9wavefront6targetE1EEEvSY_
    .private_segment_fixed_size: 0
    .sgpr_count:     4
    .sgpr_spill_count: 0
    .symbol:         _ZN7rocprim17ROCPRIM_400000_NS6detail17trampoline_kernelINS0_13select_configILj256ELj13ELNS0_17block_load_methodE3ELS4_3ELS4_3ELNS0_20block_scan_algorithmE0ELj4294967295EEENS1_25partition_config_selectorILNS1_17partition_subalgoE3EjNS0_10empty_typeEbEEZZNS1_14partition_implILS8_3ELb0ES6_jNS0_17counting_iteratorIjlEEPS9_SE_NS0_5tupleIJPjSE_EEENSF_IJSE_SE_EEES9_SG_JZNS1_25segmented_radix_sort_implINS0_14default_configELb0EPKdPdPKlPlN2at6native12_GLOBAL__N_18offset_tEEE10hipError_tPvRmT1_PNSt15iterator_traitsISY_E10value_typeET2_T3_PNSZ_IS14_E10value_typeET4_jRbjT5_S1A_jjP12ihipStream_tbEUljE_EEESV_SW_SX_S14_S18_S1A_T6_T7_T9_mT8_S1C_bDpT10_ENKUlT_T0_E_clISt17integral_constantIbLb0EES1O_IbLb1EEEEDaS1K_S1L_EUlS1K_E_NS1_11comp_targetILNS1_3genE5ELNS1_11target_archE942ELNS1_3gpuE9ELNS1_3repE0EEENS1_30default_config_static_selectorELNS0_4arch9wavefront6targetE1EEEvSY_.kd
    .uniform_work_group_size: 1
    .uses_dynamic_stack: false
    .vgpr_count:     0
    .vgpr_spill_count: 0
    .wavefront_size: 64
  - .agpr_count:     0
    .args:
      - .offset:         0
        .size:           152
        .value_kind:     by_value
    .group_segment_fixed_size: 13324
    .kernarg_segment_align: 8
    .kernarg_segment_size: 152
    .language:       OpenCL C
    .language_version:
      - 2
      - 0
    .max_flat_workgroup_size: 256
    .name:           _ZN7rocprim17ROCPRIM_400000_NS6detail17trampoline_kernelINS0_13select_configILj256ELj13ELNS0_17block_load_methodE3ELS4_3ELS4_3ELNS0_20block_scan_algorithmE0ELj4294967295EEENS1_25partition_config_selectorILNS1_17partition_subalgoE3EjNS0_10empty_typeEbEEZZNS1_14partition_implILS8_3ELb0ES6_jNS0_17counting_iteratorIjlEEPS9_SE_NS0_5tupleIJPjSE_EEENSF_IJSE_SE_EEES9_SG_JZNS1_25segmented_radix_sort_implINS0_14default_configELb0EPKdPdPKlPlN2at6native12_GLOBAL__N_18offset_tEEE10hipError_tPvRmT1_PNSt15iterator_traitsISY_E10value_typeET2_T3_PNSZ_IS14_E10value_typeET4_jRbjT5_S1A_jjP12ihipStream_tbEUljE_EEESV_SW_SX_S14_S18_S1A_T6_T7_T9_mT8_S1C_bDpT10_ENKUlT_T0_E_clISt17integral_constantIbLb0EES1O_IbLb1EEEEDaS1K_S1L_EUlS1K_E_NS1_11comp_targetILNS1_3genE4ELNS1_11target_archE910ELNS1_3gpuE8ELNS1_3repE0EEENS1_30default_config_static_selectorELNS0_4arch9wavefront6targetE1EEEvSY_
    .private_segment_fixed_size: 0
    .sgpr_count:     48
    .sgpr_spill_count: 0
    .symbol:         _ZN7rocprim17ROCPRIM_400000_NS6detail17trampoline_kernelINS0_13select_configILj256ELj13ELNS0_17block_load_methodE3ELS4_3ELS4_3ELNS0_20block_scan_algorithmE0ELj4294967295EEENS1_25partition_config_selectorILNS1_17partition_subalgoE3EjNS0_10empty_typeEbEEZZNS1_14partition_implILS8_3ELb0ES6_jNS0_17counting_iteratorIjlEEPS9_SE_NS0_5tupleIJPjSE_EEENSF_IJSE_SE_EEES9_SG_JZNS1_25segmented_radix_sort_implINS0_14default_configELb0EPKdPdPKlPlN2at6native12_GLOBAL__N_18offset_tEEE10hipError_tPvRmT1_PNSt15iterator_traitsISY_E10value_typeET2_T3_PNSZ_IS14_E10value_typeET4_jRbjT5_S1A_jjP12ihipStream_tbEUljE_EEESV_SW_SX_S14_S18_S1A_T6_T7_T9_mT8_S1C_bDpT10_ENKUlT_T0_E_clISt17integral_constantIbLb0EES1O_IbLb1EEEEDaS1K_S1L_EUlS1K_E_NS1_11comp_targetILNS1_3genE4ELNS1_11target_archE910ELNS1_3gpuE8ELNS1_3repE0EEENS1_30default_config_static_selectorELNS0_4arch9wavefront6targetE1EEEvSY_.kd
    .uniform_work_group_size: 1
    .uses_dynamic_stack: false
    .vgpr_count:     64
    .vgpr_spill_count: 0
    .wavefront_size: 64
  - .agpr_count:     0
    .args:
      - .offset:         0
        .size:           152
        .value_kind:     by_value
    .group_segment_fixed_size: 0
    .kernarg_segment_align: 8
    .kernarg_segment_size: 152
    .language:       OpenCL C
    .language_version:
      - 2
      - 0
    .max_flat_workgroup_size: 256
    .name:           _ZN7rocprim17ROCPRIM_400000_NS6detail17trampoline_kernelINS0_13select_configILj256ELj13ELNS0_17block_load_methodE3ELS4_3ELS4_3ELNS0_20block_scan_algorithmE0ELj4294967295EEENS1_25partition_config_selectorILNS1_17partition_subalgoE3EjNS0_10empty_typeEbEEZZNS1_14partition_implILS8_3ELb0ES6_jNS0_17counting_iteratorIjlEEPS9_SE_NS0_5tupleIJPjSE_EEENSF_IJSE_SE_EEES9_SG_JZNS1_25segmented_radix_sort_implINS0_14default_configELb0EPKdPdPKlPlN2at6native12_GLOBAL__N_18offset_tEEE10hipError_tPvRmT1_PNSt15iterator_traitsISY_E10value_typeET2_T3_PNSZ_IS14_E10value_typeET4_jRbjT5_S1A_jjP12ihipStream_tbEUljE_EEESV_SW_SX_S14_S18_S1A_T6_T7_T9_mT8_S1C_bDpT10_ENKUlT_T0_E_clISt17integral_constantIbLb0EES1O_IbLb1EEEEDaS1K_S1L_EUlS1K_E_NS1_11comp_targetILNS1_3genE3ELNS1_11target_archE908ELNS1_3gpuE7ELNS1_3repE0EEENS1_30default_config_static_selectorELNS0_4arch9wavefront6targetE1EEEvSY_
    .private_segment_fixed_size: 0
    .sgpr_count:     4
    .sgpr_spill_count: 0
    .symbol:         _ZN7rocprim17ROCPRIM_400000_NS6detail17trampoline_kernelINS0_13select_configILj256ELj13ELNS0_17block_load_methodE3ELS4_3ELS4_3ELNS0_20block_scan_algorithmE0ELj4294967295EEENS1_25partition_config_selectorILNS1_17partition_subalgoE3EjNS0_10empty_typeEbEEZZNS1_14partition_implILS8_3ELb0ES6_jNS0_17counting_iteratorIjlEEPS9_SE_NS0_5tupleIJPjSE_EEENSF_IJSE_SE_EEES9_SG_JZNS1_25segmented_radix_sort_implINS0_14default_configELb0EPKdPdPKlPlN2at6native12_GLOBAL__N_18offset_tEEE10hipError_tPvRmT1_PNSt15iterator_traitsISY_E10value_typeET2_T3_PNSZ_IS14_E10value_typeET4_jRbjT5_S1A_jjP12ihipStream_tbEUljE_EEESV_SW_SX_S14_S18_S1A_T6_T7_T9_mT8_S1C_bDpT10_ENKUlT_T0_E_clISt17integral_constantIbLb0EES1O_IbLb1EEEEDaS1K_S1L_EUlS1K_E_NS1_11comp_targetILNS1_3genE3ELNS1_11target_archE908ELNS1_3gpuE7ELNS1_3repE0EEENS1_30default_config_static_selectorELNS0_4arch9wavefront6targetE1EEEvSY_.kd
    .uniform_work_group_size: 1
    .uses_dynamic_stack: false
    .vgpr_count:     0
    .vgpr_spill_count: 0
    .wavefront_size: 64
  - .agpr_count:     0
    .args:
      - .offset:         0
        .size:           152
        .value_kind:     by_value
    .group_segment_fixed_size: 0
    .kernarg_segment_align: 8
    .kernarg_segment_size: 152
    .language:       OpenCL C
    .language_version:
      - 2
      - 0
    .max_flat_workgroup_size: 256
    .name:           _ZN7rocprim17ROCPRIM_400000_NS6detail17trampoline_kernelINS0_13select_configILj256ELj13ELNS0_17block_load_methodE3ELS4_3ELS4_3ELNS0_20block_scan_algorithmE0ELj4294967295EEENS1_25partition_config_selectorILNS1_17partition_subalgoE3EjNS0_10empty_typeEbEEZZNS1_14partition_implILS8_3ELb0ES6_jNS0_17counting_iteratorIjlEEPS9_SE_NS0_5tupleIJPjSE_EEENSF_IJSE_SE_EEES9_SG_JZNS1_25segmented_radix_sort_implINS0_14default_configELb0EPKdPdPKlPlN2at6native12_GLOBAL__N_18offset_tEEE10hipError_tPvRmT1_PNSt15iterator_traitsISY_E10value_typeET2_T3_PNSZ_IS14_E10value_typeET4_jRbjT5_S1A_jjP12ihipStream_tbEUljE_EEESV_SW_SX_S14_S18_S1A_T6_T7_T9_mT8_S1C_bDpT10_ENKUlT_T0_E_clISt17integral_constantIbLb0EES1O_IbLb1EEEEDaS1K_S1L_EUlS1K_E_NS1_11comp_targetILNS1_3genE2ELNS1_11target_archE906ELNS1_3gpuE6ELNS1_3repE0EEENS1_30default_config_static_selectorELNS0_4arch9wavefront6targetE1EEEvSY_
    .private_segment_fixed_size: 0
    .sgpr_count:     4
    .sgpr_spill_count: 0
    .symbol:         _ZN7rocprim17ROCPRIM_400000_NS6detail17trampoline_kernelINS0_13select_configILj256ELj13ELNS0_17block_load_methodE3ELS4_3ELS4_3ELNS0_20block_scan_algorithmE0ELj4294967295EEENS1_25partition_config_selectorILNS1_17partition_subalgoE3EjNS0_10empty_typeEbEEZZNS1_14partition_implILS8_3ELb0ES6_jNS0_17counting_iteratorIjlEEPS9_SE_NS0_5tupleIJPjSE_EEENSF_IJSE_SE_EEES9_SG_JZNS1_25segmented_radix_sort_implINS0_14default_configELb0EPKdPdPKlPlN2at6native12_GLOBAL__N_18offset_tEEE10hipError_tPvRmT1_PNSt15iterator_traitsISY_E10value_typeET2_T3_PNSZ_IS14_E10value_typeET4_jRbjT5_S1A_jjP12ihipStream_tbEUljE_EEESV_SW_SX_S14_S18_S1A_T6_T7_T9_mT8_S1C_bDpT10_ENKUlT_T0_E_clISt17integral_constantIbLb0EES1O_IbLb1EEEEDaS1K_S1L_EUlS1K_E_NS1_11comp_targetILNS1_3genE2ELNS1_11target_archE906ELNS1_3gpuE6ELNS1_3repE0EEENS1_30default_config_static_selectorELNS0_4arch9wavefront6targetE1EEEvSY_.kd
    .uniform_work_group_size: 1
    .uses_dynamic_stack: false
    .vgpr_count:     0
    .vgpr_spill_count: 0
    .wavefront_size: 64
  - .agpr_count:     0
    .args:
      - .offset:         0
        .size:           152
        .value_kind:     by_value
    .group_segment_fixed_size: 0
    .kernarg_segment_align: 8
    .kernarg_segment_size: 152
    .language:       OpenCL C
    .language_version:
      - 2
      - 0
    .max_flat_workgroup_size: 256
    .name:           _ZN7rocprim17ROCPRIM_400000_NS6detail17trampoline_kernelINS0_13select_configILj256ELj13ELNS0_17block_load_methodE3ELS4_3ELS4_3ELNS0_20block_scan_algorithmE0ELj4294967295EEENS1_25partition_config_selectorILNS1_17partition_subalgoE3EjNS0_10empty_typeEbEEZZNS1_14partition_implILS8_3ELb0ES6_jNS0_17counting_iteratorIjlEEPS9_SE_NS0_5tupleIJPjSE_EEENSF_IJSE_SE_EEES9_SG_JZNS1_25segmented_radix_sort_implINS0_14default_configELb0EPKdPdPKlPlN2at6native12_GLOBAL__N_18offset_tEEE10hipError_tPvRmT1_PNSt15iterator_traitsISY_E10value_typeET2_T3_PNSZ_IS14_E10value_typeET4_jRbjT5_S1A_jjP12ihipStream_tbEUljE_EEESV_SW_SX_S14_S18_S1A_T6_T7_T9_mT8_S1C_bDpT10_ENKUlT_T0_E_clISt17integral_constantIbLb0EES1O_IbLb1EEEEDaS1K_S1L_EUlS1K_E_NS1_11comp_targetILNS1_3genE10ELNS1_11target_archE1200ELNS1_3gpuE4ELNS1_3repE0EEENS1_30default_config_static_selectorELNS0_4arch9wavefront6targetE1EEEvSY_
    .private_segment_fixed_size: 0
    .sgpr_count:     4
    .sgpr_spill_count: 0
    .symbol:         _ZN7rocprim17ROCPRIM_400000_NS6detail17trampoline_kernelINS0_13select_configILj256ELj13ELNS0_17block_load_methodE3ELS4_3ELS4_3ELNS0_20block_scan_algorithmE0ELj4294967295EEENS1_25partition_config_selectorILNS1_17partition_subalgoE3EjNS0_10empty_typeEbEEZZNS1_14partition_implILS8_3ELb0ES6_jNS0_17counting_iteratorIjlEEPS9_SE_NS0_5tupleIJPjSE_EEENSF_IJSE_SE_EEES9_SG_JZNS1_25segmented_radix_sort_implINS0_14default_configELb0EPKdPdPKlPlN2at6native12_GLOBAL__N_18offset_tEEE10hipError_tPvRmT1_PNSt15iterator_traitsISY_E10value_typeET2_T3_PNSZ_IS14_E10value_typeET4_jRbjT5_S1A_jjP12ihipStream_tbEUljE_EEESV_SW_SX_S14_S18_S1A_T6_T7_T9_mT8_S1C_bDpT10_ENKUlT_T0_E_clISt17integral_constantIbLb0EES1O_IbLb1EEEEDaS1K_S1L_EUlS1K_E_NS1_11comp_targetILNS1_3genE10ELNS1_11target_archE1200ELNS1_3gpuE4ELNS1_3repE0EEENS1_30default_config_static_selectorELNS0_4arch9wavefront6targetE1EEEvSY_.kd
    .uniform_work_group_size: 1
    .uses_dynamic_stack: false
    .vgpr_count:     0
    .vgpr_spill_count: 0
    .wavefront_size: 64
  - .agpr_count:     0
    .args:
      - .offset:         0
        .size:           152
        .value_kind:     by_value
    .group_segment_fixed_size: 0
    .kernarg_segment_align: 8
    .kernarg_segment_size: 152
    .language:       OpenCL C
    .language_version:
      - 2
      - 0
    .max_flat_workgroup_size: 256
    .name:           _ZN7rocprim17ROCPRIM_400000_NS6detail17trampoline_kernelINS0_13select_configILj256ELj13ELNS0_17block_load_methodE3ELS4_3ELS4_3ELNS0_20block_scan_algorithmE0ELj4294967295EEENS1_25partition_config_selectorILNS1_17partition_subalgoE3EjNS0_10empty_typeEbEEZZNS1_14partition_implILS8_3ELb0ES6_jNS0_17counting_iteratorIjlEEPS9_SE_NS0_5tupleIJPjSE_EEENSF_IJSE_SE_EEES9_SG_JZNS1_25segmented_radix_sort_implINS0_14default_configELb0EPKdPdPKlPlN2at6native12_GLOBAL__N_18offset_tEEE10hipError_tPvRmT1_PNSt15iterator_traitsISY_E10value_typeET2_T3_PNSZ_IS14_E10value_typeET4_jRbjT5_S1A_jjP12ihipStream_tbEUljE_EEESV_SW_SX_S14_S18_S1A_T6_T7_T9_mT8_S1C_bDpT10_ENKUlT_T0_E_clISt17integral_constantIbLb0EES1O_IbLb1EEEEDaS1K_S1L_EUlS1K_E_NS1_11comp_targetILNS1_3genE9ELNS1_11target_archE1100ELNS1_3gpuE3ELNS1_3repE0EEENS1_30default_config_static_selectorELNS0_4arch9wavefront6targetE1EEEvSY_
    .private_segment_fixed_size: 0
    .sgpr_count:     4
    .sgpr_spill_count: 0
    .symbol:         _ZN7rocprim17ROCPRIM_400000_NS6detail17trampoline_kernelINS0_13select_configILj256ELj13ELNS0_17block_load_methodE3ELS4_3ELS4_3ELNS0_20block_scan_algorithmE0ELj4294967295EEENS1_25partition_config_selectorILNS1_17partition_subalgoE3EjNS0_10empty_typeEbEEZZNS1_14partition_implILS8_3ELb0ES6_jNS0_17counting_iteratorIjlEEPS9_SE_NS0_5tupleIJPjSE_EEENSF_IJSE_SE_EEES9_SG_JZNS1_25segmented_radix_sort_implINS0_14default_configELb0EPKdPdPKlPlN2at6native12_GLOBAL__N_18offset_tEEE10hipError_tPvRmT1_PNSt15iterator_traitsISY_E10value_typeET2_T3_PNSZ_IS14_E10value_typeET4_jRbjT5_S1A_jjP12ihipStream_tbEUljE_EEESV_SW_SX_S14_S18_S1A_T6_T7_T9_mT8_S1C_bDpT10_ENKUlT_T0_E_clISt17integral_constantIbLb0EES1O_IbLb1EEEEDaS1K_S1L_EUlS1K_E_NS1_11comp_targetILNS1_3genE9ELNS1_11target_archE1100ELNS1_3gpuE3ELNS1_3repE0EEENS1_30default_config_static_selectorELNS0_4arch9wavefront6targetE1EEEvSY_.kd
    .uniform_work_group_size: 1
    .uses_dynamic_stack: false
    .vgpr_count:     0
    .vgpr_spill_count: 0
    .wavefront_size: 64
  - .agpr_count:     0
    .args:
      - .offset:         0
        .size:           152
        .value_kind:     by_value
    .group_segment_fixed_size: 0
    .kernarg_segment_align: 8
    .kernarg_segment_size: 152
    .language:       OpenCL C
    .language_version:
      - 2
      - 0
    .max_flat_workgroup_size: 256
    .name:           _ZN7rocprim17ROCPRIM_400000_NS6detail17trampoline_kernelINS0_13select_configILj256ELj13ELNS0_17block_load_methodE3ELS4_3ELS4_3ELNS0_20block_scan_algorithmE0ELj4294967295EEENS1_25partition_config_selectorILNS1_17partition_subalgoE3EjNS0_10empty_typeEbEEZZNS1_14partition_implILS8_3ELb0ES6_jNS0_17counting_iteratorIjlEEPS9_SE_NS0_5tupleIJPjSE_EEENSF_IJSE_SE_EEES9_SG_JZNS1_25segmented_radix_sort_implINS0_14default_configELb0EPKdPdPKlPlN2at6native12_GLOBAL__N_18offset_tEEE10hipError_tPvRmT1_PNSt15iterator_traitsISY_E10value_typeET2_T3_PNSZ_IS14_E10value_typeET4_jRbjT5_S1A_jjP12ihipStream_tbEUljE_EEESV_SW_SX_S14_S18_S1A_T6_T7_T9_mT8_S1C_bDpT10_ENKUlT_T0_E_clISt17integral_constantIbLb0EES1O_IbLb1EEEEDaS1K_S1L_EUlS1K_E_NS1_11comp_targetILNS1_3genE8ELNS1_11target_archE1030ELNS1_3gpuE2ELNS1_3repE0EEENS1_30default_config_static_selectorELNS0_4arch9wavefront6targetE1EEEvSY_
    .private_segment_fixed_size: 0
    .sgpr_count:     4
    .sgpr_spill_count: 0
    .symbol:         _ZN7rocprim17ROCPRIM_400000_NS6detail17trampoline_kernelINS0_13select_configILj256ELj13ELNS0_17block_load_methodE3ELS4_3ELS4_3ELNS0_20block_scan_algorithmE0ELj4294967295EEENS1_25partition_config_selectorILNS1_17partition_subalgoE3EjNS0_10empty_typeEbEEZZNS1_14partition_implILS8_3ELb0ES6_jNS0_17counting_iteratorIjlEEPS9_SE_NS0_5tupleIJPjSE_EEENSF_IJSE_SE_EEES9_SG_JZNS1_25segmented_radix_sort_implINS0_14default_configELb0EPKdPdPKlPlN2at6native12_GLOBAL__N_18offset_tEEE10hipError_tPvRmT1_PNSt15iterator_traitsISY_E10value_typeET2_T3_PNSZ_IS14_E10value_typeET4_jRbjT5_S1A_jjP12ihipStream_tbEUljE_EEESV_SW_SX_S14_S18_S1A_T6_T7_T9_mT8_S1C_bDpT10_ENKUlT_T0_E_clISt17integral_constantIbLb0EES1O_IbLb1EEEEDaS1K_S1L_EUlS1K_E_NS1_11comp_targetILNS1_3genE8ELNS1_11target_archE1030ELNS1_3gpuE2ELNS1_3repE0EEENS1_30default_config_static_selectorELNS0_4arch9wavefront6targetE1EEEvSY_.kd
    .uniform_work_group_size: 1
    .uses_dynamic_stack: false
    .vgpr_count:     0
    .vgpr_spill_count: 0
    .wavefront_size: 64
  - .agpr_count:     0
    .args:
      - .offset:         0
        .size:           96
        .value_kind:     by_value
    .group_segment_fixed_size: 0
    .kernarg_segment_align: 8
    .kernarg_segment_size: 96
    .language:       OpenCL C
    .language_version:
      - 2
      - 0
    .max_flat_workgroup_size: 256
    .name:           _ZN7rocprim17ROCPRIM_400000_NS6detail17trampoline_kernelINS0_14default_configENS1_36segmented_radix_sort_config_selectorIdlEEZNS1_25segmented_radix_sort_implIS3_Lb0EPKdPdPKlPlN2at6native12_GLOBAL__N_18offset_tEEE10hipError_tPvRmT1_PNSt15iterator_traitsISK_E10value_typeET2_T3_PNSL_ISQ_E10value_typeET4_jRbjT5_SW_jjP12ihipStream_tbEUlT_E_NS1_11comp_targetILNS1_3genE0ELNS1_11target_archE4294967295ELNS1_3gpuE0ELNS1_3repE0EEENS1_30default_config_static_selectorELNS0_4arch9wavefront6targetE1EEEvSK_
    .private_segment_fixed_size: 0
    .sgpr_count:     4
    .sgpr_spill_count: 0
    .symbol:         _ZN7rocprim17ROCPRIM_400000_NS6detail17trampoline_kernelINS0_14default_configENS1_36segmented_radix_sort_config_selectorIdlEEZNS1_25segmented_radix_sort_implIS3_Lb0EPKdPdPKlPlN2at6native12_GLOBAL__N_18offset_tEEE10hipError_tPvRmT1_PNSt15iterator_traitsISK_E10value_typeET2_T3_PNSL_ISQ_E10value_typeET4_jRbjT5_SW_jjP12ihipStream_tbEUlT_E_NS1_11comp_targetILNS1_3genE0ELNS1_11target_archE4294967295ELNS1_3gpuE0ELNS1_3repE0EEENS1_30default_config_static_selectorELNS0_4arch9wavefront6targetE1EEEvSK_.kd
    .uniform_work_group_size: 1
    .uses_dynamic_stack: false
    .vgpr_count:     0
    .vgpr_spill_count: 0
    .wavefront_size: 64
  - .agpr_count:     0
    .args:
      - .offset:         0
        .size:           96
        .value_kind:     by_value
    .group_segment_fixed_size: 0
    .kernarg_segment_align: 8
    .kernarg_segment_size: 96
    .language:       OpenCL C
    .language_version:
      - 2
      - 0
    .max_flat_workgroup_size: 256
    .name:           _ZN7rocprim17ROCPRIM_400000_NS6detail17trampoline_kernelINS0_14default_configENS1_36segmented_radix_sort_config_selectorIdlEEZNS1_25segmented_radix_sort_implIS3_Lb0EPKdPdPKlPlN2at6native12_GLOBAL__N_18offset_tEEE10hipError_tPvRmT1_PNSt15iterator_traitsISK_E10value_typeET2_T3_PNSL_ISQ_E10value_typeET4_jRbjT5_SW_jjP12ihipStream_tbEUlT_E_NS1_11comp_targetILNS1_3genE5ELNS1_11target_archE942ELNS1_3gpuE9ELNS1_3repE0EEENS1_30default_config_static_selectorELNS0_4arch9wavefront6targetE1EEEvSK_
    .private_segment_fixed_size: 0
    .sgpr_count:     4
    .sgpr_spill_count: 0
    .symbol:         _ZN7rocprim17ROCPRIM_400000_NS6detail17trampoline_kernelINS0_14default_configENS1_36segmented_radix_sort_config_selectorIdlEEZNS1_25segmented_radix_sort_implIS3_Lb0EPKdPdPKlPlN2at6native12_GLOBAL__N_18offset_tEEE10hipError_tPvRmT1_PNSt15iterator_traitsISK_E10value_typeET2_T3_PNSL_ISQ_E10value_typeET4_jRbjT5_SW_jjP12ihipStream_tbEUlT_E_NS1_11comp_targetILNS1_3genE5ELNS1_11target_archE942ELNS1_3gpuE9ELNS1_3repE0EEENS1_30default_config_static_selectorELNS0_4arch9wavefront6targetE1EEEvSK_.kd
    .uniform_work_group_size: 1
    .uses_dynamic_stack: false
    .vgpr_count:     0
    .vgpr_spill_count: 0
    .wavefront_size: 64
  - .agpr_count:     32
    .args:
      - .offset:         0
        .size:           96
        .value_kind:     by_value
      - .offset:         96
        .size:           4
        .value_kind:     hidden_block_count_x
      - .offset:         100
        .size:           4
        .value_kind:     hidden_block_count_y
      - .offset:         104
        .size:           4
        .value_kind:     hidden_block_count_z
      - .offset:         108
        .size:           2
        .value_kind:     hidden_group_size_x
      - .offset:         110
        .size:           2
        .value_kind:     hidden_group_size_y
      - .offset:         112
        .size:           2
        .value_kind:     hidden_group_size_z
      - .offset:         114
        .size:           2
        .value_kind:     hidden_remainder_x
      - .offset:         116
        .size:           2
        .value_kind:     hidden_remainder_y
      - .offset:         118
        .size:           2
        .value_kind:     hidden_remainder_z
      - .offset:         136
        .size:           8
        .value_kind:     hidden_global_offset_x
      - .offset:         144
        .size:           8
        .value_kind:     hidden_global_offset_y
      - .offset:         152
        .size:           8
        .value_kind:     hidden_global_offset_z
      - .offset:         160
        .size:           2
        .value_kind:     hidden_grid_dims
      - .offset:         176
        .size:           8
        .value_kind:     hidden_hostcall_buffer
      - .offset:         184
        .size:           8
        .value_kind:     hidden_multigrid_sync_arg
      - .offset:         192
        .size:           8
        .value_kind:     hidden_heap_v1
      - .offset:         200
        .size:           8
        .value_kind:     hidden_default_queue
      - .offset:         208
        .size:           8
        .value_kind:     hidden_completion_action
      - .offset:         296
        .size:           8
        .value_kind:     hidden_queue_ptr
    .group_segment_fixed_size: 33808
    .kernarg_segment_align: 8
    .kernarg_segment_size: 352
    .language:       OpenCL C
    .language_version:
      - 2
      - 0
    .max_flat_workgroup_size: 256
    .name:           _ZN7rocprim17ROCPRIM_400000_NS6detail17trampoline_kernelINS0_14default_configENS1_36segmented_radix_sort_config_selectorIdlEEZNS1_25segmented_radix_sort_implIS3_Lb0EPKdPdPKlPlN2at6native12_GLOBAL__N_18offset_tEEE10hipError_tPvRmT1_PNSt15iterator_traitsISK_E10value_typeET2_T3_PNSL_ISQ_E10value_typeET4_jRbjT5_SW_jjP12ihipStream_tbEUlT_E_NS1_11comp_targetILNS1_3genE4ELNS1_11target_archE910ELNS1_3gpuE8ELNS1_3repE0EEENS1_30default_config_static_selectorELNS0_4arch9wavefront6targetE1EEEvSK_
    .private_segment_fixed_size: 132
    .sgpr_count:     106
    .sgpr_spill_count: 7
    .symbol:         _ZN7rocprim17ROCPRIM_400000_NS6detail17trampoline_kernelINS0_14default_configENS1_36segmented_radix_sort_config_selectorIdlEEZNS1_25segmented_radix_sort_implIS3_Lb0EPKdPdPKlPlN2at6native12_GLOBAL__N_18offset_tEEE10hipError_tPvRmT1_PNSt15iterator_traitsISK_E10value_typeET2_T3_PNSL_ISQ_E10value_typeET4_jRbjT5_SW_jjP12ihipStream_tbEUlT_E_NS1_11comp_targetILNS1_3genE4ELNS1_11target_archE910ELNS1_3gpuE8ELNS1_3repE0EEENS1_30default_config_static_selectorELNS0_4arch9wavefront6targetE1EEEvSK_.kd
    .uniform_work_group_size: 1
    .uses_dynamic_stack: false
    .vgpr_count:     280
    .vgpr_spill_count: 0
    .wavefront_size: 64
  - .agpr_count:     0
    .args:
      - .offset:         0
        .size:           96
        .value_kind:     by_value
    .group_segment_fixed_size: 0
    .kernarg_segment_align: 8
    .kernarg_segment_size: 96
    .language:       OpenCL C
    .language_version:
      - 2
      - 0
    .max_flat_workgroup_size: 256
    .name:           _ZN7rocprim17ROCPRIM_400000_NS6detail17trampoline_kernelINS0_14default_configENS1_36segmented_radix_sort_config_selectorIdlEEZNS1_25segmented_radix_sort_implIS3_Lb0EPKdPdPKlPlN2at6native12_GLOBAL__N_18offset_tEEE10hipError_tPvRmT1_PNSt15iterator_traitsISK_E10value_typeET2_T3_PNSL_ISQ_E10value_typeET4_jRbjT5_SW_jjP12ihipStream_tbEUlT_E_NS1_11comp_targetILNS1_3genE3ELNS1_11target_archE908ELNS1_3gpuE7ELNS1_3repE0EEENS1_30default_config_static_selectorELNS0_4arch9wavefront6targetE1EEEvSK_
    .private_segment_fixed_size: 0
    .sgpr_count:     4
    .sgpr_spill_count: 0
    .symbol:         _ZN7rocprim17ROCPRIM_400000_NS6detail17trampoline_kernelINS0_14default_configENS1_36segmented_radix_sort_config_selectorIdlEEZNS1_25segmented_radix_sort_implIS3_Lb0EPKdPdPKlPlN2at6native12_GLOBAL__N_18offset_tEEE10hipError_tPvRmT1_PNSt15iterator_traitsISK_E10value_typeET2_T3_PNSL_ISQ_E10value_typeET4_jRbjT5_SW_jjP12ihipStream_tbEUlT_E_NS1_11comp_targetILNS1_3genE3ELNS1_11target_archE908ELNS1_3gpuE7ELNS1_3repE0EEENS1_30default_config_static_selectorELNS0_4arch9wavefront6targetE1EEEvSK_.kd
    .uniform_work_group_size: 1
    .uses_dynamic_stack: false
    .vgpr_count:     0
    .vgpr_spill_count: 0
    .wavefront_size: 64
  - .agpr_count:     0
    .args:
      - .offset:         0
        .size:           96
        .value_kind:     by_value
    .group_segment_fixed_size: 0
    .kernarg_segment_align: 8
    .kernarg_segment_size: 96
    .language:       OpenCL C
    .language_version:
      - 2
      - 0
    .max_flat_workgroup_size: 256
    .name:           _ZN7rocprim17ROCPRIM_400000_NS6detail17trampoline_kernelINS0_14default_configENS1_36segmented_radix_sort_config_selectorIdlEEZNS1_25segmented_radix_sort_implIS3_Lb0EPKdPdPKlPlN2at6native12_GLOBAL__N_18offset_tEEE10hipError_tPvRmT1_PNSt15iterator_traitsISK_E10value_typeET2_T3_PNSL_ISQ_E10value_typeET4_jRbjT5_SW_jjP12ihipStream_tbEUlT_E_NS1_11comp_targetILNS1_3genE2ELNS1_11target_archE906ELNS1_3gpuE6ELNS1_3repE0EEENS1_30default_config_static_selectorELNS0_4arch9wavefront6targetE1EEEvSK_
    .private_segment_fixed_size: 0
    .sgpr_count:     4
    .sgpr_spill_count: 0
    .symbol:         _ZN7rocprim17ROCPRIM_400000_NS6detail17trampoline_kernelINS0_14default_configENS1_36segmented_radix_sort_config_selectorIdlEEZNS1_25segmented_radix_sort_implIS3_Lb0EPKdPdPKlPlN2at6native12_GLOBAL__N_18offset_tEEE10hipError_tPvRmT1_PNSt15iterator_traitsISK_E10value_typeET2_T3_PNSL_ISQ_E10value_typeET4_jRbjT5_SW_jjP12ihipStream_tbEUlT_E_NS1_11comp_targetILNS1_3genE2ELNS1_11target_archE906ELNS1_3gpuE6ELNS1_3repE0EEENS1_30default_config_static_selectorELNS0_4arch9wavefront6targetE1EEEvSK_.kd
    .uniform_work_group_size: 1
    .uses_dynamic_stack: false
    .vgpr_count:     0
    .vgpr_spill_count: 0
    .wavefront_size: 64
  - .agpr_count:     0
    .args:
      - .offset:         0
        .size:           96
        .value_kind:     by_value
    .group_segment_fixed_size: 0
    .kernarg_segment_align: 8
    .kernarg_segment_size: 96
    .language:       OpenCL C
    .language_version:
      - 2
      - 0
    .max_flat_workgroup_size: 256
    .name:           _ZN7rocprim17ROCPRIM_400000_NS6detail17trampoline_kernelINS0_14default_configENS1_36segmented_radix_sort_config_selectorIdlEEZNS1_25segmented_radix_sort_implIS3_Lb0EPKdPdPKlPlN2at6native12_GLOBAL__N_18offset_tEEE10hipError_tPvRmT1_PNSt15iterator_traitsISK_E10value_typeET2_T3_PNSL_ISQ_E10value_typeET4_jRbjT5_SW_jjP12ihipStream_tbEUlT_E_NS1_11comp_targetILNS1_3genE10ELNS1_11target_archE1201ELNS1_3gpuE5ELNS1_3repE0EEENS1_30default_config_static_selectorELNS0_4arch9wavefront6targetE1EEEvSK_
    .private_segment_fixed_size: 0
    .sgpr_count:     4
    .sgpr_spill_count: 0
    .symbol:         _ZN7rocprim17ROCPRIM_400000_NS6detail17trampoline_kernelINS0_14default_configENS1_36segmented_radix_sort_config_selectorIdlEEZNS1_25segmented_radix_sort_implIS3_Lb0EPKdPdPKlPlN2at6native12_GLOBAL__N_18offset_tEEE10hipError_tPvRmT1_PNSt15iterator_traitsISK_E10value_typeET2_T3_PNSL_ISQ_E10value_typeET4_jRbjT5_SW_jjP12ihipStream_tbEUlT_E_NS1_11comp_targetILNS1_3genE10ELNS1_11target_archE1201ELNS1_3gpuE5ELNS1_3repE0EEENS1_30default_config_static_selectorELNS0_4arch9wavefront6targetE1EEEvSK_.kd
    .uniform_work_group_size: 1
    .uses_dynamic_stack: false
    .vgpr_count:     0
    .vgpr_spill_count: 0
    .wavefront_size: 64
  - .agpr_count:     0
    .args:
      - .offset:         0
        .size:           96
        .value_kind:     by_value
    .group_segment_fixed_size: 0
    .kernarg_segment_align: 8
    .kernarg_segment_size: 96
    .language:       OpenCL C
    .language_version:
      - 2
      - 0
    .max_flat_workgroup_size: 128
    .name:           _ZN7rocprim17ROCPRIM_400000_NS6detail17trampoline_kernelINS0_14default_configENS1_36segmented_radix_sort_config_selectorIdlEEZNS1_25segmented_radix_sort_implIS3_Lb0EPKdPdPKlPlN2at6native12_GLOBAL__N_18offset_tEEE10hipError_tPvRmT1_PNSt15iterator_traitsISK_E10value_typeET2_T3_PNSL_ISQ_E10value_typeET4_jRbjT5_SW_jjP12ihipStream_tbEUlT_E_NS1_11comp_targetILNS1_3genE10ELNS1_11target_archE1200ELNS1_3gpuE4ELNS1_3repE0EEENS1_30default_config_static_selectorELNS0_4arch9wavefront6targetE1EEEvSK_
    .private_segment_fixed_size: 0
    .sgpr_count:     4
    .sgpr_spill_count: 0
    .symbol:         _ZN7rocprim17ROCPRIM_400000_NS6detail17trampoline_kernelINS0_14default_configENS1_36segmented_radix_sort_config_selectorIdlEEZNS1_25segmented_radix_sort_implIS3_Lb0EPKdPdPKlPlN2at6native12_GLOBAL__N_18offset_tEEE10hipError_tPvRmT1_PNSt15iterator_traitsISK_E10value_typeET2_T3_PNSL_ISQ_E10value_typeET4_jRbjT5_SW_jjP12ihipStream_tbEUlT_E_NS1_11comp_targetILNS1_3genE10ELNS1_11target_archE1200ELNS1_3gpuE4ELNS1_3repE0EEENS1_30default_config_static_selectorELNS0_4arch9wavefront6targetE1EEEvSK_.kd
    .uniform_work_group_size: 1
    .uses_dynamic_stack: false
    .vgpr_count:     0
    .vgpr_spill_count: 0
    .wavefront_size: 64
  - .agpr_count:     0
    .args:
      - .offset:         0
        .size:           96
        .value_kind:     by_value
    .group_segment_fixed_size: 0
    .kernarg_segment_align: 8
    .kernarg_segment_size: 96
    .language:       OpenCL C
    .language_version:
      - 2
      - 0
    .max_flat_workgroup_size: 256
    .name:           _ZN7rocprim17ROCPRIM_400000_NS6detail17trampoline_kernelINS0_14default_configENS1_36segmented_radix_sort_config_selectorIdlEEZNS1_25segmented_radix_sort_implIS3_Lb0EPKdPdPKlPlN2at6native12_GLOBAL__N_18offset_tEEE10hipError_tPvRmT1_PNSt15iterator_traitsISK_E10value_typeET2_T3_PNSL_ISQ_E10value_typeET4_jRbjT5_SW_jjP12ihipStream_tbEUlT_E_NS1_11comp_targetILNS1_3genE9ELNS1_11target_archE1100ELNS1_3gpuE3ELNS1_3repE0EEENS1_30default_config_static_selectorELNS0_4arch9wavefront6targetE1EEEvSK_
    .private_segment_fixed_size: 0
    .sgpr_count:     4
    .sgpr_spill_count: 0
    .symbol:         _ZN7rocprim17ROCPRIM_400000_NS6detail17trampoline_kernelINS0_14default_configENS1_36segmented_radix_sort_config_selectorIdlEEZNS1_25segmented_radix_sort_implIS3_Lb0EPKdPdPKlPlN2at6native12_GLOBAL__N_18offset_tEEE10hipError_tPvRmT1_PNSt15iterator_traitsISK_E10value_typeET2_T3_PNSL_ISQ_E10value_typeET4_jRbjT5_SW_jjP12ihipStream_tbEUlT_E_NS1_11comp_targetILNS1_3genE9ELNS1_11target_archE1100ELNS1_3gpuE3ELNS1_3repE0EEENS1_30default_config_static_selectorELNS0_4arch9wavefront6targetE1EEEvSK_.kd
    .uniform_work_group_size: 1
    .uses_dynamic_stack: false
    .vgpr_count:     0
    .vgpr_spill_count: 0
    .wavefront_size: 64
  - .agpr_count:     0
    .args:
      - .offset:         0
        .size:           96
        .value_kind:     by_value
    .group_segment_fixed_size: 0
    .kernarg_segment_align: 8
    .kernarg_segment_size: 96
    .language:       OpenCL C
    .language_version:
      - 2
      - 0
    .max_flat_workgroup_size: 256
    .name:           _ZN7rocprim17ROCPRIM_400000_NS6detail17trampoline_kernelINS0_14default_configENS1_36segmented_radix_sort_config_selectorIdlEEZNS1_25segmented_radix_sort_implIS3_Lb0EPKdPdPKlPlN2at6native12_GLOBAL__N_18offset_tEEE10hipError_tPvRmT1_PNSt15iterator_traitsISK_E10value_typeET2_T3_PNSL_ISQ_E10value_typeET4_jRbjT5_SW_jjP12ihipStream_tbEUlT_E_NS1_11comp_targetILNS1_3genE8ELNS1_11target_archE1030ELNS1_3gpuE2ELNS1_3repE0EEENS1_30default_config_static_selectorELNS0_4arch9wavefront6targetE1EEEvSK_
    .private_segment_fixed_size: 0
    .sgpr_count:     4
    .sgpr_spill_count: 0
    .symbol:         _ZN7rocprim17ROCPRIM_400000_NS6detail17trampoline_kernelINS0_14default_configENS1_36segmented_radix_sort_config_selectorIdlEEZNS1_25segmented_radix_sort_implIS3_Lb0EPKdPdPKlPlN2at6native12_GLOBAL__N_18offset_tEEE10hipError_tPvRmT1_PNSt15iterator_traitsISK_E10value_typeET2_T3_PNSL_ISQ_E10value_typeET4_jRbjT5_SW_jjP12ihipStream_tbEUlT_E_NS1_11comp_targetILNS1_3genE8ELNS1_11target_archE1030ELNS1_3gpuE2ELNS1_3repE0EEENS1_30default_config_static_selectorELNS0_4arch9wavefront6targetE1EEEvSK_.kd
    .uniform_work_group_size: 1
    .uses_dynamic_stack: false
    .vgpr_count:     0
    .vgpr_spill_count: 0
    .wavefront_size: 64
  - .agpr_count:     0
    .args:
      - .offset:         0
        .size:           88
        .value_kind:     by_value
    .group_segment_fixed_size: 0
    .kernarg_segment_align: 8
    .kernarg_segment_size: 88
    .language:       OpenCL C
    .language_version:
      - 2
      - 0
    .max_flat_workgroup_size: 256
    .name:           _ZN7rocprim17ROCPRIM_400000_NS6detail17trampoline_kernelINS0_14default_configENS1_36segmented_radix_sort_config_selectorIdlEEZNS1_25segmented_radix_sort_implIS3_Lb0EPKdPdPKlPlN2at6native12_GLOBAL__N_18offset_tEEE10hipError_tPvRmT1_PNSt15iterator_traitsISK_E10value_typeET2_T3_PNSL_ISQ_E10value_typeET4_jRbjT5_SW_jjP12ihipStream_tbEUlT_E0_NS1_11comp_targetILNS1_3genE0ELNS1_11target_archE4294967295ELNS1_3gpuE0ELNS1_3repE0EEENS1_60segmented_radix_sort_warp_sort_medium_config_static_selectorELNS0_4arch9wavefront6targetE1EEEvSK_
    .private_segment_fixed_size: 0
    .sgpr_count:     4
    .sgpr_spill_count: 0
    .symbol:         _ZN7rocprim17ROCPRIM_400000_NS6detail17trampoline_kernelINS0_14default_configENS1_36segmented_radix_sort_config_selectorIdlEEZNS1_25segmented_radix_sort_implIS3_Lb0EPKdPdPKlPlN2at6native12_GLOBAL__N_18offset_tEEE10hipError_tPvRmT1_PNSt15iterator_traitsISK_E10value_typeET2_T3_PNSL_ISQ_E10value_typeET4_jRbjT5_SW_jjP12ihipStream_tbEUlT_E0_NS1_11comp_targetILNS1_3genE0ELNS1_11target_archE4294967295ELNS1_3gpuE0ELNS1_3repE0EEENS1_60segmented_radix_sort_warp_sort_medium_config_static_selectorELNS0_4arch9wavefront6targetE1EEEvSK_.kd
    .uniform_work_group_size: 1
    .uses_dynamic_stack: false
    .vgpr_count:     0
    .vgpr_spill_count: 0
    .wavefront_size: 64
  - .agpr_count:     0
    .args:
      - .offset:         0
        .size:           88
        .value_kind:     by_value
    .group_segment_fixed_size: 0
    .kernarg_segment_align: 8
    .kernarg_segment_size: 88
    .language:       OpenCL C
    .language_version:
      - 2
      - 0
    .max_flat_workgroup_size: 256
    .name:           _ZN7rocprim17ROCPRIM_400000_NS6detail17trampoline_kernelINS0_14default_configENS1_36segmented_radix_sort_config_selectorIdlEEZNS1_25segmented_radix_sort_implIS3_Lb0EPKdPdPKlPlN2at6native12_GLOBAL__N_18offset_tEEE10hipError_tPvRmT1_PNSt15iterator_traitsISK_E10value_typeET2_T3_PNSL_ISQ_E10value_typeET4_jRbjT5_SW_jjP12ihipStream_tbEUlT_E0_NS1_11comp_targetILNS1_3genE5ELNS1_11target_archE942ELNS1_3gpuE9ELNS1_3repE0EEENS1_60segmented_radix_sort_warp_sort_medium_config_static_selectorELNS0_4arch9wavefront6targetE1EEEvSK_
    .private_segment_fixed_size: 0
    .sgpr_count:     4
    .sgpr_spill_count: 0
    .symbol:         _ZN7rocprim17ROCPRIM_400000_NS6detail17trampoline_kernelINS0_14default_configENS1_36segmented_radix_sort_config_selectorIdlEEZNS1_25segmented_radix_sort_implIS3_Lb0EPKdPdPKlPlN2at6native12_GLOBAL__N_18offset_tEEE10hipError_tPvRmT1_PNSt15iterator_traitsISK_E10value_typeET2_T3_PNSL_ISQ_E10value_typeET4_jRbjT5_SW_jjP12ihipStream_tbEUlT_E0_NS1_11comp_targetILNS1_3genE5ELNS1_11target_archE942ELNS1_3gpuE9ELNS1_3repE0EEENS1_60segmented_radix_sort_warp_sort_medium_config_static_selectorELNS0_4arch9wavefront6targetE1EEEvSK_.kd
    .uniform_work_group_size: 1
    .uses_dynamic_stack: false
    .vgpr_count:     0
    .vgpr_spill_count: 0
    .wavefront_size: 64
  - .agpr_count:     0
    .args:
      - .offset:         0
        .size:           88
        .value_kind:     by_value
      - .offset:         88
        .size:           4
        .value_kind:     hidden_block_count_x
      - .offset:         92
        .size:           4
        .value_kind:     hidden_block_count_y
      - .offset:         96
        .size:           4
        .value_kind:     hidden_block_count_z
      - .offset:         100
        .size:           2
        .value_kind:     hidden_group_size_x
      - .offset:         102
        .size:           2
        .value_kind:     hidden_group_size_y
      - .offset:         104
        .size:           2
        .value_kind:     hidden_group_size_z
      - .offset:         106
        .size:           2
        .value_kind:     hidden_remainder_x
      - .offset:         108
        .size:           2
        .value_kind:     hidden_remainder_y
      - .offset:         110
        .size:           2
        .value_kind:     hidden_remainder_z
      - .offset:         128
        .size:           8
        .value_kind:     hidden_global_offset_x
      - .offset:         136
        .size:           8
        .value_kind:     hidden_global_offset_y
      - .offset:         144
        .size:           8
        .value_kind:     hidden_global_offset_z
      - .offset:         152
        .size:           2
        .value_kind:     hidden_grid_dims
      - .offset:         168
        .size:           8
        .value_kind:     hidden_hostcall_buffer
      - .offset:         176
        .size:           8
        .value_kind:     hidden_multigrid_sync_arg
      - .offset:         184
        .size:           8
        .value_kind:     hidden_heap_v1
      - .offset:         192
        .size:           8
        .value_kind:     hidden_default_queue
      - .offset:         200
        .size:           8
        .value_kind:     hidden_completion_action
      - .offset:         288
        .size:           8
        .value_kind:     hidden_queue_ptr
    .group_segment_fixed_size: 32768
    .kernarg_segment_align: 8
    .kernarg_segment_size: 344
    .language:       OpenCL C
    .language_version:
      - 2
      - 0
    .max_flat_workgroup_size: 256
    .name:           _ZN7rocprim17ROCPRIM_400000_NS6detail17trampoline_kernelINS0_14default_configENS1_36segmented_radix_sort_config_selectorIdlEEZNS1_25segmented_radix_sort_implIS3_Lb0EPKdPdPKlPlN2at6native12_GLOBAL__N_18offset_tEEE10hipError_tPvRmT1_PNSt15iterator_traitsISK_E10value_typeET2_T3_PNSL_ISQ_E10value_typeET4_jRbjT5_SW_jjP12ihipStream_tbEUlT_E0_NS1_11comp_targetILNS1_3genE4ELNS1_11target_archE910ELNS1_3gpuE8ELNS1_3repE0EEENS1_60segmented_radix_sort_warp_sort_medium_config_static_selectorELNS0_4arch9wavefront6targetE1EEEvSK_
    .private_segment_fixed_size: 8
    .sgpr_count:     66
    .sgpr_spill_count: 0
    .symbol:         _ZN7rocprim17ROCPRIM_400000_NS6detail17trampoline_kernelINS0_14default_configENS1_36segmented_radix_sort_config_selectorIdlEEZNS1_25segmented_radix_sort_implIS3_Lb0EPKdPdPKlPlN2at6native12_GLOBAL__N_18offset_tEEE10hipError_tPvRmT1_PNSt15iterator_traitsISK_E10value_typeET2_T3_PNSL_ISQ_E10value_typeET4_jRbjT5_SW_jjP12ihipStream_tbEUlT_E0_NS1_11comp_targetILNS1_3genE4ELNS1_11target_archE910ELNS1_3gpuE8ELNS1_3repE0EEENS1_60segmented_radix_sort_warp_sort_medium_config_static_selectorELNS0_4arch9wavefront6targetE1EEEvSK_.kd
    .uniform_work_group_size: 1
    .uses_dynamic_stack: false
    .vgpr_count:     100
    .vgpr_spill_count: 0
    .wavefront_size: 64
  - .agpr_count:     0
    .args:
      - .offset:         0
        .size:           88
        .value_kind:     by_value
    .group_segment_fixed_size: 0
    .kernarg_segment_align: 8
    .kernarg_segment_size: 88
    .language:       OpenCL C
    .language_version:
      - 2
      - 0
    .max_flat_workgroup_size: 256
    .name:           _ZN7rocprim17ROCPRIM_400000_NS6detail17trampoline_kernelINS0_14default_configENS1_36segmented_radix_sort_config_selectorIdlEEZNS1_25segmented_radix_sort_implIS3_Lb0EPKdPdPKlPlN2at6native12_GLOBAL__N_18offset_tEEE10hipError_tPvRmT1_PNSt15iterator_traitsISK_E10value_typeET2_T3_PNSL_ISQ_E10value_typeET4_jRbjT5_SW_jjP12ihipStream_tbEUlT_E0_NS1_11comp_targetILNS1_3genE3ELNS1_11target_archE908ELNS1_3gpuE7ELNS1_3repE0EEENS1_60segmented_radix_sort_warp_sort_medium_config_static_selectorELNS0_4arch9wavefront6targetE1EEEvSK_
    .private_segment_fixed_size: 0
    .sgpr_count:     4
    .sgpr_spill_count: 0
    .symbol:         _ZN7rocprim17ROCPRIM_400000_NS6detail17trampoline_kernelINS0_14default_configENS1_36segmented_radix_sort_config_selectorIdlEEZNS1_25segmented_radix_sort_implIS3_Lb0EPKdPdPKlPlN2at6native12_GLOBAL__N_18offset_tEEE10hipError_tPvRmT1_PNSt15iterator_traitsISK_E10value_typeET2_T3_PNSL_ISQ_E10value_typeET4_jRbjT5_SW_jjP12ihipStream_tbEUlT_E0_NS1_11comp_targetILNS1_3genE3ELNS1_11target_archE908ELNS1_3gpuE7ELNS1_3repE0EEENS1_60segmented_radix_sort_warp_sort_medium_config_static_selectorELNS0_4arch9wavefront6targetE1EEEvSK_.kd
    .uniform_work_group_size: 1
    .uses_dynamic_stack: false
    .vgpr_count:     0
    .vgpr_spill_count: 0
    .wavefront_size: 64
  - .agpr_count:     0
    .args:
      - .offset:         0
        .size:           88
        .value_kind:     by_value
    .group_segment_fixed_size: 0
    .kernarg_segment_align: 8
    .kernarg_segment_size: 88
    .language:       OpenCL C
    .language_version:
      - 2
      - 0
    .max_flat_workgroup_size: 256
    .name:           _ZN7rocprim17ROCPRIM_400000_NS6detail17trampoline_kernelINS0_14default_configENS1_36segmented_radix_sort_config_selectorIdlEEZNS1_25segmented_radix_sort_implIS3_Lb0EPKdPdPKlPlN2at6native12_GLOBAL__N_18offset_tEEE10hipError_tPvRmT1_PNSt15iterator_traitsISK_E10value_typeET2_T3_PNSL_ISQ_E10value_typeET4_jRbjT5_SW_jjP12ihipStream_tbEUlT_E0_NS1_11comp_targetILNS1_3genE2ELNS1_11target_archE906ELNS1_3gpuE6ELNS1_3repE0EEENS1_60segmented_radix_sort_warp_sort_medium_config_static_selectorELNS0_4arch9wavefront6targetE1EEEvSK_
    .private_segment_fixed_size: 0
    .sgpr_count:     4
    .sgpr_spill_count: 0
    .symbol:         _ZN7rocprim17ROCPRIM_400000_NS6detail17trampoline_kernelINS0_14default_configENS1_36segmented_radix_sort_config_selectorIdlEEZNS1_25segmented_radix_sort_implIS3_Lb0EPKdPdPKlPlN2at6native12_GLOBAL__N_18offset_tEEE10hipError_tPvRmT1_PNSt15iterator_traitsISK_E10value_typeET2_T3_PNSL_ISQ_E10value_typeET4_jRbjT5_SW_jjP12ihipStream_tbEUlT_E0_NS1_11comp_targetILNS1_3genE2ELNS1_11target_archE906ELNS1_3gpuE6ELNS1_3repE0EEENS1_60segmented_radix_sort_warp_sort_medium_config_static_selectorELNS0_4arch9wavefront6targetE1EEEvSK_.kd
    .uniform_work_group_size: 1
    .uses_dynamic_stack: false
    .vgpr_count:     0
    .vgpr_spill_count: 0
    .wavefront_size: 64
  - .agpr_count:     0
    .args:
      - .offset:         0
        .size:           88
        .value_kind:     by_value
    .group_segment_fixed_size: 0
    .kernarg_segment_align: 8
    .kernarg_segment_size: 88
    .language:       OpenCL C
    .language_version:
      - 2
      - 0
    .max_flat_workgroup_size: 256
    .name:           _ZN7rocprim17ROCPRIM_400000_NS6detail17trampoline_kernelINS0_14default_configENS1_36segmented_radix_sort_config_selectorIdlEEZNS1_25segmented_radix_sort_implIS3_Lb0EPKdPdPKlPlN2at6native12_GLOBAL__N_18offset_tEEE10hipError_tPvRmT1_PNSt15iterator_traitsISK_E10value_typeET2_T3_PNSL_ISQ_E10value_typeET4_jRbjT5_SW_jjP12ihipStream_tbEUlT_E0_NS1_11comp_targetILNS1_3genE10ELNS1_11target_archE1201ELNS1_3gpuE5ELNS1_3repE0EEENS1_60segmented_radix_sort_warp_sort_medium_config_static_selectorELNS0_4arch9wavefront6targetE1EEEvSK_
    .private_segment_fixed_size: 0
    .sgpr_count:     4
    .sgpr_spill_count: 0
    .symbol:         _ZN7rocprim17ROCPRIM_400000_NS6detail17trampoline_kernelINS0_14default_configENS1_36segmented_radix_sort_config_selectorIdlEEZNS1_25segmented_radix_sort_implIS3_Lb0EPKdPdPKlPlN2at6native12_GLOBAL__N_18offset_tEEE10hipError_tPvRmT1_PNSt15iterator_traitsISK_E10value_typeET2_T3_PNSL_ISQ_E10value_typeET4_jRbjT5_SW_jjP12ihipStream_tbEUlT_E0_NS1_11comp_targetILNS1_3genE10ELNS1_11target_archE1201ELNS1_3gpuE5ELNS1_3repE0EEENS1_60segmented_radix_sort_warp_sort_medium_config_static_selectorELNS0_4arch9wavefront6targetE1EEEvSK_.kd
    .uniform_work_group_size: 1
    .uses_dynamic_stack: false
    .vgpr_count:     0
    .vgpr_spill_count: 0
    .wavefront_size: 64
  - .agpr_count:     0
    .args:
      - .offset:         0
        .size:           88
        .value_kind:     by_value
    .group_segment_fixed_size: 0
    .kernarg_segment_align: 8
    .kernarg_segment_size: 88
    .language:       OpenCL C
    .language_version:
      - 2
      - 0
    .max_flat_workgroup_size: 256
    .name:           _ZN7rocprim17ROCPRIM_400000_NS6detail17trampoline_kernelINS0_14default_configENS1_36segmented_radix_sort_config_selectorIdlEEZNS1_25segmented_radix_sort_implIS3_Lb0EPKdPdPKlPlN2at6native12_GLOBAL__N_18offset_tEEE10hipError_tPvRmT1_PNSt15iterator_traitsISK_E10value_typeET2_T3_PNSL_ISQ_E10value_typeET4_jRbjT5_SW_jjP12ihipStream_tbEUlT_E0_NS1_11comp_targetILNS1_3genE10ELNS1_11target_archE1200ELNS1_3gpuE4ELNS1_3repE0EEENS1_60segmented_radix_sort_warp_sort_medium_config_static_selectorELNS0_4arch9wavefront6targetE1EEEvSK_
    .private_segment_fixed_size: 0
    .sgpr_count:     4
    .sgpr_spill_count: 0
    .symbol:         _ZN7rocprim17ROCPRIM_400000_NS6detail17trampoline_kernelINS0_14default_configENS1_36segmented_radix_sort_config_selectorIdlEEZNS1_25segmented_radix_sort_implIS3_Lb0EPKdPdPKlPlN2at6native12_GLOBAL__N_18offset_tEEE10hipError_tPvRmT1_PNSt15iterator_traitsISK_E10value_typeET2_T3_PNSL_ISQ_E10value_typeET4_jRbjT5_SW_jjP12ihipStream_tbEUlT_E0_NS1_11comp_targetILNS1_3genE10ELNS1_11target_archE1200ELNS1_3gpuE4ELNS1_3repE0EEENS1_60segmented_radix_sort_warp_sort_medium_config_static_selectorELNS0_4arch9wavefront6targetE1EEEvSK_.kd
    .uniform_work_group_size: 1
    .uses_dynamic_stack: false
    .vgpr_count:     0
    .vgpr_spill_count: 0
    .wavefront_size: 64
  - .agpr_count:     0
    .args:
      - .offset:         0
        .size:           88
        .value_kind:     by_value
    .group_segment_fixed_size: 0
    .kernarg_segment_align: 8
    .kernarg_segment_size: 88
    .language:       OpenCL C
    .language_version:
      - 2
      - 0
    .max_flat_workgroup_size: 256
    .name:           _ZN7rocprim17ROCPRIM_400000_NS6detail17trampoline_kernelINS0_14default_configENS1_36segmented_radix_sort_config_selectorIdlEEZNS1_25segmented_radix_sort_implIS3_Lb0EPKdPdPKlPlN2at6native12_GLOBAL__N_18offset_tEEE10hipError_tPvRmT1_PNSt15iterator_traitsISK_E10value_typeET2_T3_PNSL_ISQ_E10value_typeET4_jRbjT5_SW_jjP12ihipStream_tbEUlT_E0_NS1_11comp_targetILNS1_3genE9ELNS1_11target_archE1100ELNS1_3gpuE3ELNS1_3repE0EEENS1_60segmented_radix_sort_warp_sort_medium_config_static_selectorELNS0_4arch9wavefront6targetE1EEEvSK_
    .private_segment_fixed_size: 0
    .sgpr_count:     4
    .sgpr_spill_count: 0
    .symbol:         _ZN7rocprim17ROCPRIM_400000_NS6detail17trampoline_kernelINS0_14default_configENS1_36segmented_radix_sort_config_selectorIdlEEZNS1_25segmented_radix_sort_implIS3_Lb0EPKdPdPKlPlN2at6native12_GLOBAL__N_18offset_tEEE10hipError_tPvRmT1_PNSt15iterator_traitsISK_E10value_typeET2_T3_PNSL_ISQ_E10value_typeET4_jRbjT5_SW_jjP12ihipStream_tbEUlT_E0_NS1_11comp_targetILNS1_3genE9ELNS1_11target_archE1100ELNS1_3gpuE3ELNS1_3repE0EEENS1_60segmented_radix_sort_warp_sort_medium_config_static_selectorELNS0_4arch9wavefront6targetE1EEEvSK_.kd
    .uniform_work_group_size: 1
    .uses_dynamic_stack: false
    .vgpr_count:     0
    .vgpr_spill_count: 0
    .wavefront_size: 64
  - .agpr_count:     0
    .args:
      - .offset:         0
        .size:           88
        .value_kind:     by_value
    .group_segment_fixed_size: 0
    .kernarg_segment_align: 8
    .kernarg_segment_size: 88
    .language:       OpenCL C
    .language_version:
      - 2
      - 0
    .max_flat_workgroup_size: 256
    .name:           _ZN7rocprim17ROCPRIM_400000_NS6detail17trampoline_kernelINS0_14default_configENS1_36segmented_radix_sort_config_selectorIdlEEZNS1_25segmented_radix_sort_implIS3_Lb0EPKdPdPKlPlN2at6native12_GLOBAL__N_18offset_tEEE10hipError_tPvRmT1_PNSt15iterator_traitsISK_E10value_typeET2_T3_PNSL_ISQ_E10value_typeET4_jRbjT5_SW_jjP12ihipStream_tbEUlT_E0_NS1_11comp_targetILNS1_3genE8ELNS1_11target_archE1030ELNS1_3gpuE2ELNS1_3repE0EEENS1_60segmented_radix_sort_warp_sort_medium_config_static_selectorELNS0_4arch9wavefront6targetE1EEEvSK_
    .private_segment_fixed_size: 0
    .sgpr_count:     4
    .sgpr_spill_count: 0
    .symbol:         _ZN7rocprim17ROCPRIM_400000_NS6detail17trampoline_kernelINS0_14default_configENS1_36segmented_radix_sort_config_selectorIdlEEZNS1_25segmented_radix_sort_implIS3_Lb0EPKdPdPKlPlN2at6native12_GLOBAL__N_18offset_tEEE10hipError_tPvRmT1_PNSt15iterator_traitsISK_E10value_typeET2_T3_PNSL_ISQ_E10value_typeET4_jRbjT5_SW_jjP12ihipStream_tbEUlT_E0_NS1_11comp_targetILNS1_3genE8ELNS1_11target_archE1030ELNS1_3gpuE2ELNS1_3repE0EEENS1_60segmented_radix_sort_warp_sort_medium_config_static_selectorELNS0_4arch9wavefront6targetE1EEEvSK_.kd
    .uniform_work_group_size: 1
    .uses_dynamic_stack: false
    .vgpr_count:     0
    .vgpr_spill_count: 0
    .wavefront_size: 64
  - .agpr_count:     0
    .args:
      - .offset:         0
        .size:           88
        .value_kind:     by_value
    .group_segment_fixed_size: 0
    .kernarg_segment_align: 8
    .kernarg_segment_size: 88
    .language:       OpenCL C
    .language_version:
      - 2
      - 0
    .max_flat_workgroup_size: 256
    .name:           _ZN7rocprim17ROCPRIM_400000_NS6detail17trampoline_kernelINS0_14default_configENS1_36segmented_radix_sort_config_selectorIdlEEZNS1_25segmented_radix_sort_implIS3_Lb0EPKdPdPKlPlN2at6native12_GLOBAL__N_18offset_tEEE10hipError_tPvRmT1_PNSt15iterator_traitsISK_E10value_typeET2_T3_PNSL_ISQ_E10value_typeET4_jRbjT5_SW_jjP12ihipStream_tbEUlT_E1_NS1_11comp_targetILNS1_3genE0ELNS1_11target_archE4294967295ELNS1_3gpuE0ELNS1_3repE0EEENS1_59segmented_radix_sort_warp_sort_small_config_static_selectorELNS0_4arch9wavefront6targetE1EEEvSK_
    .private_segment_fixed_size: 0
    .sgpr_count:     4
    .sgpr_spill_count: 0
    .symbol:         _ZN7rocprim17ROCPRIM_400000_NS6detail17trampoline_kernelINS0_14default_configENS1_36segmented_radix_sort_config_selectorIdlEEZNS1_25segmented_radix_sort_implIS3_Lb0EPKdPdPKlPlN2at6native12_GLOBAL__N_18offset_tEEE10hipError_tPvRmT1_PNSt15iterator_traitsISK_E10value_typeET2_T3_PNSL_ISQ_E10value_typeET4_jRbjT5_SW_jjP12ihipStream_tbEUlT_E1_NS1_11comp_targetILNS1_3genE0ELNS1_11target_archE4294967295ELNS1_3gpuE0ELNS1_3repE0EEENS1_59segmented_radix_sort_warp_sort_small_config_static_selectorELNS0_4arch9wavefront6targetE1EEEvSK_.kd
    .uniform_work_group_size: 1
    .uses_dynamic_stack: false
    .vgpr_count:     0
    .vgpr_spill_count: 0
    .wavefront_size: 64
  - .agpr_count:     0
    .args:
      - .offset:         0
        .size:           88
        .value_kind:     by_value
    .group_segment_fixed_size: 0
    .kernarg_segment_align: 8
    .kernarg_segment_size: 88
    .language:       OpenCL C
    .language_version:
      - 2
      - 0
    .max_flat_workgroup_size: 256
    .name:           _ZN7rocprim17ROCPRIM_400000_NS6detail17trampoline_kernelINS0_14default_configENS1_36segmented_radix_sort_config_selectorIdlEEZNS1_25segmented_radix_sort_implIS3_Lb0EPKdPdPKlPlN2at6native12_GLOBAL__N_18offset_tEEE10hipError_tPvRmT1_PNSt15iterator_traitsISK_E10value_typeET2_T3_PNSL_ISQ_E10value_typeET4_jRbjT5_SW_jjP12ihipStream_tbEUlT_E1_NS1_11comp_targetILNS1_3genE5ELNS1_11target_archE942ELNS1_3gpuE9ELNS1_3repE0EEENS1_59segmented_radix_sort_warp_sort_small_config_static_selectorELNS0_4arch9wavefront6targetE1EEEvSK_
    .private_segment_fixed_size: 0
    .sgpr_count:     4
    .sgpr_spill_count: 0
    .symbol:         _ZN7rocprim17ROCPRIM_400000_NS6detail17trampoline_kernelINS0_14default_configENS1_36segmented_radix_sort_config_selectorIdlEEZNS1_25segmented_radix_sort_implIS3_Lb0EPKdPdPKlPlN2at6native12_GLOBAL__N_18offset_tEEE10hipError_tPvRmT1_PNSt15iterator_traitsISK_E10value_typeET2_T3_PNSL_ISQ_E10value_typeET4_jRbjT5_SW_jjP12ihipStream_tbEUlT_E1_NS1_11comp_targetILNS1_3genE5ELNS1_11target_archE942ELNS1_3gpuE9ELNS1_3repE0EEENS1_59segmented_radix_sort_warp_sort_small_config_static_selectorELNS0_4arch9wavefront6targetE1EEEvSK_.kd
    .uniform_work_group_size: 1
    .uses_dynamic_stack: false
    .vgpr_count:     0
    .vgpr_spill_count: 0
    .wavefront_size: 64
  - .agpr_count:     0
    .args:
      - .offset:         0
        .size:           88
        .value_kind:     by_value
      - .offset:         88
        .size:           4
        .value_kind:     hidden_block_count_x
      - .offset:         92
        .size:           4
        .value_kind:     hidden_block_count_y
      - .offset:         96
        .size:           4
        .value_kind:     hidden_block_count_z
      - .offset:         100
        .size:           2
        .value_kind:     hidden_group_size_x
      - .offset:         102
        .size:           2
        .value_kind:     hidden_group_size_y
      - .offset:         104
        .size:           2
        .value_kind:     hidden_group_size_z
      - .offset:         106
        .size:           2
        .value_kind:     hidden_remainder_x
      - .offset:         108
        .size:           2
        .value_kind:     hidden_remainder_y
      - .offset:         110
        .size:           2
        .value_kind:     hidden_remainder_z
      - .offset:         128
        .size:           8
        .value_kind:     hidden_global_offset_x
      - .offset:         136
        .size:           8
        .value_kind:     hidden_global_offset_y
      - .offset:         144
        .size:           8
        .value_kind:     hidden_global_offset_z
      - .offset:         152
        .size:           2
        .value_kind:     hidden_grid_dims
      - .offset:         168
        .size:           8
        .value_kind:     hidden_hostcall_buffer
      - .offset:         176
        .size:           8
        .value_kind:     hidden_multigrid_sync_arg
      - .offset:         184
        .size:           8
        .value_kind:     hidden_heap_v1
      - .offset:         192
        .size:           8
        .value_kind:     hidden_default_queue
      - .offset:         200
        .size:           8
        .value_kind:     hidden_completion_action
      - .offset:         288
        .size:           8
        .value_kind:     hidden_queue_ptr
    .group_segment_fixed_size: 16384
    .kernarg_segment_align: 8
    .kernarg_segment_size: 344
    .language:       OpenCL C
    .language_version:
      - 2
      - 0
    .max_flat_workgroup_size: 256
    .name:           _ZN7rocprim17ROCPRIM_400000_NS6detail17trampoline_kernelINS0_14default_configENS1_36segmented_radix_sort_config_selectorIdlEEZNS1_25segmented_radix_sort_implIS3_Lb0EPKdPdPKlPlN2at6native12_GLOBAL__N_18offset_tEEE10hipError_tPvRmT1_PNSt15iterator_traitsISK_E10value_typeET2_T3_PNSL_ISQ_E10value_typeET4_jRbjT5_SW_jjP12ihipStream_tbEUlT_E1_NS1_11comp_targetILNS1_3genE4ELNS1_11target_archE910ELNS1_3gpuE8ELNS1_3repE0EEENS1_59segmented_radix_sort_warp_sort_small_config_static_selectorELNS0_4arch9wavefront6targetE1EEEvSK_
    .private_segment_fixed_size: 8
    .sgpr_count:     39
    .sgpr_spill_count: 0
    .symbol:         _ZN7rocprim17ROCPRIM_400000_NS6detail17trampoline_kernelINS0_14default_configENS1_36segmented_radix_sort_config_selectorIdlEEZNS1_25segmented_radix_sort_implIS3_Lb0EPKdPdPKlPlN2at6native12_GLOBAL__N_18offset_tEEE10hipError_tPvRmT1_PNSt15iterator_traitsISK_E10value_typeET2_T3_PNSL_ISQ_E10value_typeET4_jRbjT5_SW_jjP12ihipStream_tbEUlT_E1_NS1_11comp_targetILNS1_3genE4ELNS1_11target_archE910ELNS1_3gpuE8ELNS1_3repE0EEENS1_59segmented_radix_sort_warp_sort_small_config_static_selectorELNS0_4arch9wavefront6targetE1EEEvSK_.kd
    .uniform_work_group_size: 1
    .uses_dynamic_stack: false
    .vgpr_count:     101
    .vgpr_spill_count: 0
    .wavefront_size: 64
  - .agpr_count:     0
    .args:
      - .offset:         0
        .size:           88
        .value_kind:     by_value
    .group_segment_fixed_size: 0
    .kernarg_segment_align: 8
    .kernarg_segment_size: 88
    .language:       OpenCL C
    .language_version:
      - 2
      - 0
    .max_flat_workgroup_size: 256
    .name:           _ZN7rocprim17ROCPRIM_400000_NS6detail17trampoline_kernelINS0_14default_configENS1_36segmented_radix_sort_config_selectorIdlEEZNS1_25segmented_radix_sort_implIS3_Lb0EPKdPdPKlPlN2at6native12_GLOBAL__N_18offset_tEEE10hipError_tPvRmT1_PNSt15iterator_traitsISK_E10value_typeET2_T3_PNSL_ISQ_E10value_typeET4_jRbjT5_SW_jjP12ihipStream_tbEUlT_E1_NS1_11comp_targetILNS1_3genE3ELNS1_11target_archE908ELNS1_3gpuE7ELNS1_3repE0EEENS1_59segmented_radix_sort_warp_sort_small_config_static_selectorELNS0_4arch9wavefront6targetE1EEEvSK_
    .private_segment_fixed_size: 0
    .sgpr_count:     4
    .sgpr_spill_count: 0
    .symbol:         _ZN7rocprim17ROCPRIM_400000_NS6detail17trampoline_kernelINS0_14default_configENS1_36segmented_radix_sort_config_selectorIdlEEZNS1_25segmented_radix_sort_implIS3_Lb0EPKdPdPKlPlN2at6native12_GLOBAL__N_18offset_tEEE10hipError_tPvRmT1_PNSt15iterator_traitsISK_E10value_typeET2_T3_PNSL_ISQ_E10value_typeET4_jRbjT5_SW_jjP12ihipStream_tbEUlT_E1_NS1_11comp_targetILNS1_3genE3ELNS1_11target_archE908ELNS1_3gpuE7ELNS1_3repE0EEENS1_59segmented_radix_sort_warp_sort_small_config_static_selectorELNS0_4arch9wavefront6targetE1EEEvSK_.kd
    .uniform_work_group_size: 1
    .uses_dynamic_stack: false
    .vgpr_count:     0
    .vgpr_spill_count: 0
    .wavefront_size: 64
  - .agpr_count:     0
    .args:
      - .offset:         0
        .size:           88
        .value_kind:     by_value
    .group_segment_fixed_size: 0
    .kernarg_segment_align: 8
    .kernarg_segment_size: 88
    .language:       OpenCL C
    .language_version:
      - 2
      - 0
    .max_flat_workgroup_size: 256
    .name:           _ZN7rocprim17ROCPRIM_400000_NS6detail17trampoline_kernelINS0_14default_configENS1_36segmented_radix_sort_config_selectorIdlEEZNS1_25segmented_radix_sort_implIS3_Lb0EPKdPdPKlPlN2at6native12_GLOBAL__N_18offset_tEEE10hipError_tPvRmT1_PNSt15iterator_traitsISK_E10value_typeET2_T3_PNSL_ISQ_E10value_typeET4_jRbjT5_SW_jjP12ihipStream_tbEUlT_E1_NS1_11comp_targetILNS1_3genE2ELNS1_11target_archE906ELNS1_3gpuE6ELNS1_3repE0EEENS1_59segmented_radix_sort_warp_sort_small_config_static_selectorELNS0_4arch9wavefront6targetE1EEEvSK_
    .private_segment_fixed_size: 0
    .sgpr_count:     4
    .sgpr_spill_count: 0
    .symbol:         _ZN7rocprim17ROCPRIM_400000_NS6detail17trampoline_kernelINS0_14default_configENS1_36segmented_radix_sort_config_selectorIdlEEZNS1_25segmented_radix_sort_implIS3_Lb0EPKdPdPKlPlN2at6native12_GLOBAL__N_18offset_tEEE10hipError_tPvRmT1_PNSt15iterator_traitsISK_E10value_typeET2_T3_PNSL_ISQ_E10value_typeET4_jRbjT5_SW_jjP12ihipStream_tbEUlT_E1_NS1_11comp_targetILNS1_3genE2ELNS1_11target_archE906ELNS1_3gpuE6ELNS1_3repE0EEENS1_59segmented_radix_sort_warp_sort_small_config_static_selectorELNS0_4arch9wavefront6targetE1EEEvSK_.kd
    .uniform_work_group_size: 1
    .uses_dynamic_stack: false
    .vgpr_count:     0
    .vgpr_spill_count: 0
    .wavefront_size: 64
  - .agpr_count:     0
    .args:
      - .offset:         0
        .size:           88
        .value_kind:     by_value
    .group_segment_fixed_size: 0
    .kernarg_segment_align: 8
    .kernarg_segment_size: 88
    .language:       OpenCL C
    .language_version:
      - 2
      - 0
    .max_flat_workgroup_size: 256
    .name:           _ZN7rocprim17ROCPRIM_400000_NS6detail17trampoline_kernelINS0_14default_configENS1_36segmented_radix_sort_config_selectorIdlEEZNS1_25segmented_radix_sort_implIS3_Lb0EPKdPdPKlPlN2at6native12_GLOBAL__N_18offset_tEEE10hipError_tPvRmT1_PNSt15iterator_traitsISK_E10value_typeET2_T3_PNSL_ISQ_E10value_typeET4_jRbjT5_SW_jjP12ihipStream_tbEUlT_E1_NS1_11comp_targetILNS1_3genE10ELNS1_11target_archE1201ELNS1_3gpuE5ELNS1_3repE0EEENS1_59segmented_radix_sort_warp_sort_small_config_static_selectorELNS0_4arch9wavefront6targetE1EEEvSK_
    .private_segment_fixed_size: 0
    .sgpr_count:     4
    .sgpr_spill_count: 0
    .symbol:         _ZN7rocprim17ROCPRIM_400000_NS6detail17trampoline_kernelINS0_14default_configENS1_36segmented_radix_sort_config_selectorIdlEEZNS1_25segmented_radix_sort_implIS3_Lb0EPKdPdPKlPlN2at6native12_GLOBAL__N_18offset_tEEE10hipError_tPvRmT1_PNSt15iterator_traitsISK_E10value_typeET2_T3_PNSL_ISQ_E10value_typeET4_jRbjT5_SW_jjP12ihipStream_tbEUlT_E1_NS1_11comp_targetILNS1_3genE10ELNS1_11target_archE1201ELNS1_3gpuE5ELNS1_3repE0EEENS1_59segmented_radix_sort_warp_sort_small_config_static_selectorELNS0_4arch9wavefront6targetE1EEEvSK_.kd
    .uniform_work_group_size: 1
    .uses_dynamic_stack: false
    .vgpr_count:     0
    .vgpr_spill_count: 0
    .wavefront_size: 64
  - .agpr_count:     0
    .args:
      - .offset:         0
        .size:           88
        .value_kind:     by_value
    .group_segment_fixed_size: 0
    .kernarg_segment_align: 8
    .kernarg_segment_size: 88
    .language:       OpenCL C
    .language_version:
      - 2
      - 0
    .max_flat_workgroup_size: 256
    .name:           _ZN7rocprim17ROCPRIM_400000_NS6detail17trampoline_kernelINS0_14default_configENS1_36segmented_radix_sort_config_selectorIdlEEZNS1_25segmented_radix_sort_implIS3_Lb0EPKdPdPKlPlN2at6native12_GLOBAL__N_18offset_tEEE10hipError_tPvRmT1_PNSt15iterator_traitsISK_E10value_typeET2_T3_PNSL_ISQ_E10value_typeET4_jRbjT5_SW_jjP12ihipStream_tbEUlT_E1_NS1_11comp_targetILNS1_3genE10ELNS1_11target_archE1200ELNS1_3gpuE4ELNS1_3repE0EEENS1_59segmented_radix_sort_warp_sort_small_config_static_selectorELNS0_4arch9wavefront6targetE1EEEvSK_
    .private_segment_fixed_size: 0
    .sgpr_count:     4
    .sgpr_spill_count: 0
    .symbol:         _ZN7rocprim17ROCPRIM_400000_NS6detail17trampoline_kernelINS0_14default_configENS1_36segmented_radix_sort_config_selectorIdlEEZNS1_25segmented_radix_sort_implIS3_Lb0EPKdPdPKlPlN2at6native12_GLOBAL__N_18offset_tEEE10hipError_tPvRmT1_PNSt15iterator_traitsISK_E10value_typeET2_T3_PNSL_ISQ_E10value_typeET4_jRbjT5_SW_jjP12ihipStream_tbEUlT_E1_NS1_11comp_targetILNS1_3genE10ELNS1_11target_archE1200ELNS1_3gpuE4ELNS1_3repE0EEENS1_59segmented_radix_sort_warp_sort_small_config_static_selectorELNS0_4arch9wavefront6targetE1EEEvSK_.kd
    .uniform_work_group_size: 1
    .uses_dynamic_stack: false
    .vgpr_count:     0
    .vgpr_spill_count: 0
    .wavefront_size: 64
  - .agpr_count:     0
    .args:
      - .offset:         0
        .size:           88
        .value_kind:     by_value
    .group_segment_fixed_size: 0
    .kernarg_segment_align: 8
    .kernarg_segment_size: 88
    .language:       OpenCL C
    .language_version:
      - 2
      - 0
    .max_flat_workgroup_size: 256
    .name:           _ZN7rocprim17ROCPRIM_400000_NS6detail17trampoline_kernelINS0_14default_configENS1_36segmented_radix_sort_config_selectorIdlEEZNS1_25segmented_radix_sort_implIS3_Lb0EPKdPdPKlPlN2at6native12_GLOBAL__N_18offset_tEEE10hipError_tPvRmT1_PNSt15iterator_traitsISK_E10value_typeET2_T3_PNSL_ISQ_E10value_typeET4_jRbjT5_SW_jjP12ihipStream_tbEUlT_E1_NS1_11comp_targetILNS1_3genE9ELNS1_11target_archE1100ELNS1_3gpuE3ELNS1_3repE0EEENS1_59segmented_radix_sort_warp_sort_small_config_static_selectorELNS0_4arch9wavefront6targetE1EEEvSK_
    .private_segment_fixed_size: 0
    .sgpr_count:     4
    .sgpr_spill_count: 0
    .symbol:         _ZN7rocprim17ROCPRIM_400000_NS6detail17trampoline_kernelINS0_14default_configENS1_36segmented_radix_sort_config_selectorIdlEEZNS1_25segmented_radix_sort_implIS3_Lb0EPKdPdPKlPlN2at6native12_GLOBAL__N_18offset_tEEE10hipError_tPvRmT1_PNSt15iterator_traitsISK_E10value_typeET2_T3_PNSL_ISQ_E10value_typeET4_jRbjT5_SW_jjP12ihipStream_tbEUlT_E1_NS1_11comp_targetILNS1_3genE9ELNS1_11target_archE1100ELNS1_3gpuE3ELNS1_3repE0EEENS1_59segmented_radix_sort_warp_sort_small_config_static_selectorELNS0_4arch9wavefront6targetE1EEEvSK_.kd
    .uniform_work_group_size: 1
    .uses_dynamic_stack: false
    .vgpr_count:     0
    .vgpr_spill_count: 0
    .wavefront_size: 64
  - .agpr_count:     0
    .args:
      - .offset:         0
        .size:           88
        .value_kind:     by_value
    .group_segment_fixed_size: 0
    .kernarg_segment_align: 8
    .kernarg_segment_size: 88
    .language:       OpenCL C
    .language_version:
      - 2
      - 0
    .max_flat_workgroup_size: 256
    .name:           _ZN7rocprim17ROCPRIM_400000_NS6detail17trampoline_kernelINS0_14default_configENS1_36segmented_radix_sort_config_selectorIdlEEZNS1_25segmented_radix_sort_implIS3_Lb0EPKdPdPKlPlN2at6native12_GLOBAL__N_18offset_tEEE10hipError_tPvRmT1_PNSt15iterator_traitsISK_E10value_typeET2_T3_PNSL_ISQ_E10value_typeET4_jRbjT5_SW_jjP12ihipStream_tbEUlT_E1_NS1_11comp_targetILNS1_3genE8ELNS1_11target_archE1030ELNS1_3gpuE2ELNS1_3repE0EEENS1_59segmented_radix_sort_warp_sort_small_config_static_selectorELNS0_4arch9wavefront6targetE1EEEvSK_
    .private_segment_fixed_size: 0
    .sgpr_count:     4
    .sgpr_spill_count: 0
    .symbol:         _ZN7rocprim17ROCPRIM_400000_NS6detail17trampoline_kernelINS0_14default_configENS1_36segmented_radix_sort_config_selectorIdlEEZNS1_25segmented_radix_sort_implIS3_Lb0EPKdPdPKlPlN2at6native12_GLOBAL__N_18offset_tEEE10hipError_tPvRmT1_PNSt15iterator_traitsISK_E10value_typeET2_T3_PNSL_ISQ_E10value_typeET4_jRbjT5_SW_jjP12ihipStream_tbEUlT_E1_NS1_11comp_targetILNS1_3genE8ELNS1_11target_archE1030ELNS1_3gpuE2ELNS1_3repE0EEENS1_59segmented_radix_sort_warp_sort_small_config_static_selectorELNS0_4arch9wavefront6targetE1EEEvSK_.kd
    .uniform_work_group_size: 1
    .uses_dynamic_stack: false
    .vgpr_count:     0
    .vgpr_spill_count: 0
    .wavefront_size: 64
  - .agpr_count:     0
    .args:
      - .offset:         0
        .size:           80
        .value_kind:     by_value
    .group_segment_fixed_size: 0
    .kernarg_segment_align: 8
    .kernarg_segment_size: 80
    .language:       OpenCL C
    .language_version:
      - 2
      - 0
    .max_flat_workgroup_size: 256
    .name:           _ZN7rocprim17ROCPRIM_400000_NS6detail17trampoline_kernelINS0_14default_configENS1_36segmented_radix_sort_config_selectorIdlEEZNS1_25segmented_radix_sort_implIS3_Lb0EPKdPdPKlPlN2at6native12_GLOBAL__N_18offset_tEEE10hipError_tPvRmT1_PNSt15iterator_traitsISK_E10value_typeET2_T3_PNSL_ISQ_E10value_typeET4_jRbjT5_SW_jjP12ihipStream_tbEUlT_E2_NS1_11comp_targetILNS1_3genE0ELNS1_11target_archE4294967295ELNS1_3gpuE0ELNS1_3repE0EEENS1_30default_config_static_selectorELNS0_4arch9wavefront6targetE1EEEvSK_
    .private_segment_fixed_size: 0
    .sgpr_count:     4
    .sgpr_spill_count: 0
    .symbol:         _ZN7rocprim17ROCPRIM_400000_NS6detail17trampoline_kernelINS0_14default_configENS1_36segmented_radix_sort_config_selectorIdlEEZNS1_25segmented_radix_sort_implIS3_Lb0EPKdPdPKlPlN2at6native12_GLOBAL__N_18offset_tEEE10hipError_tPvRmT1_PNSt15iterator_traitsISK_E10value_typeET2_T3_PNSL_ISQ_E10value_typeET4_jRbjT5_SW_jjP12ihipStream_tbEUlT_E2_NS1_11comp_targetILNS1_3genE0ELNS1_11target_archE4294967295ELNS1_3gpuE0ELNS1_3repE0EEENS1_30default_config_static_selectorELNS0_4arch9wavefront6targetE1EEEvSK_.kd
    .uniform_work_group_size: 1
    .uses_dynamic_stack: false
    .vgpr_count:     0
    .vgpr_spill_count: 0
    .wavefront_size: 64
  - .agpr_count:     0
    .args:
      - .offset:         0
        .size:           80
        .value_kind:     by_value
    .group_segment_fixed_size: 0
    .kernarg_segment_align: 8
    .kernarg_segment_size: 80
    .language:       OpenCL C
    .language_version:
      - 2
      - 0
    .max_flat_workgroup_size: 256
    .name:           _ZN7rocprim17ROCPRIM_400000_NS6detail17trampoline_kernelINS0_14default_configENS1_36segmented_radix_sort_config_selectorIdlEEZNS1_25segmented_radix_sort_implIS3_Lb0EPKdPdPKlPlN2at6native12_GLOBAL__N_18offset_tEEE10hipError_tPvRmT1_PNSt15iterator_traitsISK_E10value_typeET2_T3_PNSL_ISQ_E10value_typeET4_jRbjT5_SW_jjP12ihipStream_tbEUlT_E2_NS1_11comp_targetILNS1_3genE5ELNS1_11target_archE942ELNS1_3gpuE9ELNS1_3repE0EEENS1_30default_config_static_selectorELNS0_4arch9wavefront6targetE1EEEvSK_
    .private_segment_fixed_size: 0
    .sgpr_count:     4
    .sgpr_spill_count: 0
    .symbol:         _ZN7rocprim17ROCPRIM_400000_NS6detail17trampoline_kernelINS0_14default_configENS1_36segmented_radix_sort_config_selectorIdlEEZNS1_25segmented_radix_sort_implIS3_Lb0EPKdPdPKlPlN2at6native12_GLOBAL__N_18offset_tEEE10hipError_tPvRmT1_PNSt15iterator_traitsISK_E10value_typeET2_T3_PNSL_ISQ_E10value_typeET4_jRbjT5_SW_jjP12ihipStream_tbEUlT_E2_NS1_11comp_targetILNS1_3genE5ELNS1_11target_archE942ELNS1_3gpuE9ELNS1_3repE0EEENS1_30default_config_static_selectorELNS0_4arch9wavefront6targetE1EEEvSK_.kd
    .uniform_work_group_size: 1
    .uses_dynamic_stack: false
    .vgpr_count:     0
    .vgpr_spill_count: 0
    .wavefront_size: 64
  - .agpr_count:     32
    .args:
      - .offset:         0
        .size:           80
        .value_kind:     by_value
      - .offset:         80
        .size:           4
        .value_kind:     hidden_block_count_x
      - .offset:         84
        .size:           4
        .value_kind:     hidden_block_count_y
      - .offset:         88
        .size:           4
        .value_kind:     hidden_block_count_z
      - .offset:         92
        .size:           2
        .value_kind:     hidden_group_size_x
      - .offset:         94
        .size:           2
        .value_kind:     hidden_group_size_y
      - .offset:         96
        .size:           2
        .value_kind:     hidden_group_size_z
      - .offset:         98
        .size:           2
        .value_kind:     hidden_remainder_x
      - .offset:         100
        .size:           2
        .value_kind:     hidden_remainder_y
      - .offset:         102
        .size:           2
        .value_kind:     hidden_remainder_z
      - .offset:         120
        .size:           8
        .value_kind:     hidden_global_offset_x
      - .offset:         128
        .size:           8
        .value_kind:     hidden_global_offset_y
      - .offset:         136
        .size:           8
        .value_kind:     hidden_global_offset_z
      - .offset:         144
        .size:           2
        .value_kind:     hidden_grid_dims
      - .offset:         160
        .size:           8
        .value_kind:     hidden_hostcall_buffer
      - .offset:         168
        .size:           8
        .value_kind:     hidden_multigrid_sync_arg
      - .offset:         176
        .size:           8
        .value_kind:     hidden_heap_v1
      - .offset:         184
        .size:           8
        .value_kind:     hidden_default_queue
      - .offset:         192
        .size:           8
        .value_kind:     hidden_completion_action
      - .offset:         280
        .size:           8
        .value_kind:     hidden_queue_ptr
    .group_segment_fixed_size: 33808
    .kernarg_segment_align: 8
    .kernarg_segment_size: 336
    .language:       OpenCL C
    .language_version:
      - 2
      - 0
    .max_flat_workgroup_size: 256
    .name:           _ZN7rocprim17ROCPRIM_400000_NS6detail17trampoline_kernelINS0_14default_configENS1_36segmented_radix_sort_config_selectorIdlEEZNS1_25segmented_radix_sort_implIS3_Lb0EPKdPdPKlPlN2at6native12_GLOBAL__N_18offset_tEEE10hipError_tPvRmT1_PNSt15iterator_traitsISK_E10value_typeET2_T3_PNSL_ISQ_E10value_typeET4_jRbjT5_SW_jjP12ihipStream_tbEUlT_E2_NS1_11comp_targetILNS1_3genE4ELNS1_11target_archE910ELNS1_3gpuE8ELNS1_3repE0EEENS1_30default_config_static_selectorELNS0_4arch9wavefront6targetE1EEEvSK_
    .private_segment_fixed_size: 132
    .sgpr_count:     106
    .sgpr_spill_count: 7
    .symbol:         _ZN7rocprim17ROCPRIM_400000_NS6detail17trampoline_kernelINS0_14default_configENS1_36segmented_radix_sort_config_selectorIdlEEZNS1_25segmented_radix_sort_implIS3_Lb0EPKdPdPKlPlN2at6native12_GLOBAL__N_18offset_tEEE10hipError_tPvRmT1_PNSt15iterator_traitsISK_E10value_typeET2_T3_PNSL_ISQ_E10value_typeET4_jRbjT5_SW_jjP12ihipStream_tbEUlT_E2_NS1_11comp_targetILNS1_3genE4ELNS1_11target_archE910ELNS1_3gpuE8ELNS1_3repE0EEENS1_30default_config_static_selectorELNS0_4arch9wavefront6targetE1EEEvSK_.kd
    .uniform_work_group_size: 1
    .uses_dynamic_stack: false
    .vgpr_count:     280
    .vgpr_spill_count: 0
    .wavefront_size: 64
  - .agpr_count:     0
    .args:
      - .offset:         0
        .size:           80
        .value_kind:     by_value
    .group_segment_fixed_size: 0
    .kernarg_segment_align: 8
    .kernarg_segment_size: 80
    .language:       OpenCL C
    .language_version:
      - 2
      - 0
    .max_flat_workgroup_size: 256
    .name:           _ZN7rocprim17ROCPRIM_400000_NS6detail17trampoline_kernelINS0_14default_configENS1_36segmented_radix_sort_config_selectorIdlEEZNS1_25segmented_radix_sort_implIS3_Lb0EPKdPdPKlPlN2at6native12_GLOBAL__N_18offset_tEEE10hipError_tPvRmT1_PNSt15iterator_traitsISK_E10value_typeET2_T3_PNSL_ISQ_E10value_typeET4_jRbjT5_SW_jjP12ihipStream_tbEUlT_E2_NS1_11comp_targetILNS1_3genE3ELNS1_11target_archE908ELNS1_3gpuE7ELNS1_3repE0EEENS1_30default_config_static_selectorELNS0_4arch9wavefront6targetE1EEEvSK_
    .private_segment_fixed_size: 0
    .sgpr_count:     4
    .sgpr_spill_count: 0
    .symbol:         _ZN7rocprim17ROCPRIM_400000_NS6detail17trampoline_kernelINS0_14default_configENS1_36segmented_radix_sort_config_selectorIdlEEZNS1_25segmented_radix_sort_implIS3_Lb0EPKdPdPKlPlN2at6native12_GLOBAL__N_18offset_tEEE10hipError_tPvRmT1_PNSt15iterator_traitsISK_E10value_typeET2_T3_PNSL_ISQ_E10value_typeET4_jRbjT5_SW_jjP12ihipStream_tbEUlT_E2_NS1_11comp_targetILNS1_3genE3ELNS1_11target_archE908ELNS1_3gpuE7ELNS1_3repE0EEENS1_30default_config_static_selectorELNS0_4arch9wavefront6targetE1EEEvSK_.kd
    .uniform_work_group_size: 1
    .uses_dynamic_stack: false
    .vgpr_count:     0
    .vgpr_spill_count: 0
    .wavefront_size: 64
  - .agpr_count:     0
    .args:
      - .offset:         0
        .size:           80
        .value_kind:     by_value
    .group_segment_fixed_size: 0
    .kernarg_segment_align: 8
    .kernarg_segment_size: 80
    .language:       OpenCL C
    .language_version:
      - 2
      - 0
    .max_flat_workgroup_size: 256
    .name:           _ZN7rocprim17ROCPRIM_400000_NS6detail17trampoline_kernelINS0_14default_configENS1_36segmented_radix_sort_config_selectorIdlEEZNS1_25segmented_radix_sort_implIS3_Lb0EPKdPdPKlPlN2at6native12_GLOBAL__N_18offset_tEEE10hipError_tPvRmT1_PNSt15iterator_traitsISK_E10value_typeET2_T3_PNSL_ISQ_E10value_typeET4_jRbjT5_SW_jjP12ihipStream_tbEUlT_E2_NS1_11comp_targetILNS1_3genE2ELNS1_11target_archE906ELNS1_3gpuE6ELNS1_3repE0EEENS1_30default_config_static_selectorELNS0_4arch9wavefront6targetE1EEEvSK_
    .private_segment_fixed_size: 0
    .sgpr_count:     4
    .sgpr_spill_count: 0
    .symbol:         _ZN7rocprim17ROCPRIM_400000_NS6detail17trampoline_kernelINS0_14default_configENS1_36segmented_radix_sort_config_selectorIdlEEZNS1_25segmented_radix_sort_implIS3_Lb0EPKdPdPKlPlN2at6native12_GLOBAL__N_18offset_tEEE10hipError_tPvRmT1_PNSt15iterator_traitsISK_E10value_typeET2_T3_PNSL_ISQ_E10value_typeET4_jRbjT5_SW_jjP12ihipStream_tbEUlT_E2_NS1_11comp_targetILNS1_3genE2ELNS1_11target_archE906ELNS1_3gpuE6ELNS1_3repE0EEENS1_30default_config_static_selectorELNS0_4arch9wavefront6targetE1EEEvSK_.kd
    .uniform_work_group_size: 1
    .uses_dynamic_stack: false
    .vgpr_count:     0
    .vgpr_spill_count: 0
    .wavefront_size: 64
  - .agpr_count:     0
    .args:
      - .offset:         0
        .size:           80
        .value_kind:     by_value
    .group_segment_fixed_size: 0
    .kernarg_segment_align: 8
    .kernarg_segment_size: 80
    .language:       OpenCL C
    .language_version:
      - 2
      - 0
    .max_flat_workgroup_size: 256
    .name:           _ZN7rocprim17ROCPRIM_400000_NS6detail17trampoline_kernelINS0_14default_configENS1_36segmented_radix_sort_config_selectorIdlEEZNS1_25segmented_radix_sort_implIS3_Lb0EPKdPdPKlPlN2at6native12_GLOBAL__N_18offset_tEEE10hipError_tPvRmT1_PNSt15iterator_traitsISK_E10value_typeET2_T3_PNSL_ISQ_E10value_typeET4_jRbjT5_SW_jjP12ihipStream_tbEUlT_E2_NS1_11comp_targetILNS1_3genE10ELNS1_11target_archE1201ELNS1_3gpuE5ELNS1_3repE0EEENS1_30default_config_static_selectorELNS0_4arch9wavefront6targetE1EEEvSK_
    .private_segment_fixed_size: 0
    .sgpr_count:     4
    .sgpr_spill_count: 0
    .symbol:         _ZN7rocprim17ROCPRIM_400000_NS6detail17trampoline_kernelINS0_14default_configENS1_36segmented_radix_sort_config_selectorIdlEEZNS1_25segmented_radix_sort_implIS3_Lb0EPKdPdPKlPlN2at6native12_GLOBAL__N_18offset_tEEE10hipError_tPvRmT1_PNSt15iterator_traitsISK_E10value_typeET2_T3_PNSL_ISQ_E10value_typeET4_jRbjT5_SW_jjP12ihipStream_tbEUlT_E2_NS1_11comp_targetILNS1_3genE10ELNS1_11target_archE1201ELNS1_3gpuE5ELNS1_3repE0EEENS1_30default_config_static_selectorELNS0_4arch9wavefront6targetE1EEEvSK_.kd
    .uniform_work_group_size: 1
    .uses_dynamic_stack: false
    .vgpr_count:     0
    .vgpr_spill_count: 0
    .wavefront_size: 64
  - .agpr_count:     0
    .args:
      - .offset:         0
        .size:           80
        .value_kind:     by_value
    .group_segment_fixed_size: 0
    .kernarg_segment_align: 8
    .kernarg_segment_size: 80
    .language:       OpenCL C
    .language_version:
      - 2
      - 0
    .max_flat_workgroup_size: 128
    .name:           _ZN7rocprim17ROCPRIM_400000_NS6detail17trampoline_kernelINS0_14default_configENS1_36segmented_radix_sort_config_selectorIdlEEZNS1_25segmented_radix_sort_implIS3_Lb0EPKdPdPKlPlN2at6native12_GLOBAL__N_18offset_tEEE10hipError_tPvRmT1_PNSt15iterator_traitsISK_E10value_typeET2_T3_PNSL_ISQ_E10value_typeET4_jRbjT5_SW_jjP12ihipStream_tbEUlT_E2_NS1_11comp_targetILNS1_3genE10ELNS1_11target_archE1200ELNS1_3gpuE4ELNS1_3repE0EEENS1_30default_config_static_selectorELNS0_4arch9wavefront6targetE1EEEvSK_
    .private_segment_fixed_size: 0
    .sgpr_count:     4
    .sgpr_spill_count: 0
    .symbol:         _ZN7rocprim17ROCPRIM_400000_NS6detail17trampoline_kernelINS0_14default_configENS1_36segmented_radix_sort_config_selectorIdlEEZNS1_25segmented_radix_sort_implIS3_Lb0EPKdPdPKlPlN2at6native12_GLOBAL__N_18offset_tEEE10hipError_tPvRmT1_PNSt15iterator_traitsISK_E10value_typeET2_T3_PNSL_ISQ_E10value_typeET4_jRbjT5_SW_jjP12ihipStream_tbEUlT_E2_NS1_11comp_targetILNS1_3genE10ELNS1_11target_archE1200ELNS1_3gpuE4ELNS1_3repE0EEENS1_30default_config_static_selectorELNS0_4arch9wavefront6targetE1EEEvSK_.kd
    .uniform_work_group_size: 1
    .uses_dynamic_stack: false
    .vgpr_count:     0
    .vgpr_spill_count: 0
    .wavefront_size: 64
  - .agpr_count:     0
    .args:
      - .offset:         0
        .size:           80
        .value_kind:     by_value
    .group_segment_fixed_size: 0
    .kernarg_segment_align: 8
    .kernarg_segment_size: 80
    .language:       OpenCL C
    .language_version:
      - 2
      - 0
    .max_flat_workgroup_size: 256
    .name:           _ZN7rocprim17ROCPRIM_400000_NS6detail17trampoline_kernelINS0_14default_configENS1_36segmented_radix_sort_config_selectorIdlEEZNS1_25segmented_radix_sort_implIS3_Lb0EPKdPdPKlPlN2at6native12_GLOBAL__N_18offset_tEEE10hipError_tPvRmT1_PNSt15iterator_traitsISK_E10value_typeET2_T3_PNSL_ISQ_E10value_typeET4_jRbjT5_SW_jjP12ihipStream_tbEUlT_E2_NS1_11comp_targetILNS1_3genE9ELNS1_11target_archE1100ELNS1_3gpuE3ELNS1_3repE0EEENS1_30default_config_static_selectorELNS0_4arch9wavefront6targetE1EEEvSK_
    .private_segment_fixed_size: 0
    .sgpr_count:     4
    .sgpr_spill_count: 0
    .symbol:         _ZN7rocprim17ROCPRIM_400000_NS6detail17trampoline_kernelINS0_14default_configENS1_36segmented_radix_sort_config_selectorIdlEEZNS1_25segmented_radix_sort_implIS3_Lb0EPKdPdPKlPlN2at6native12_GLOBAL__N_18offset_tEEE10hipError_tPvRmT1_PNSt15iterator_traitsISK_E10value_typeET2_T3_PNSL_ISQ_E10value_typeET4_jRbjT5_SW_jjP12ihipStream_tbEUlT_E2_NS1_11comp_targetILNS1_3genE9ELNS1_11target_archE1100ELNS1_3gpuE3ELNS1_3repE0EEENS1_30default_config_static_selectorELNS0_4arch9wavefront6targetE1EEEvSK_.kd
    .uniform_work_group_size: 1
    .uses_dynamic_stack: false
    .vgpr_count:     0
    .vgpr_spill_count: 0
    .wavefront_size: 64
  - .agpr_count:     0
    .args:
      - .offset:         0
        .size:           80
        .value_kind:     by_value
    .group_segment_fixed_size: 0
    .kernarg_segment_align: 8
    .kernarg_segment_size: 80
    .language:       OpenCL C
    .language_version:
      - 2
      - 0
    .max_flat_workgroup_size: 256
    .name:           _ZN7rocprim17ROCPRIM_400000_NS6detail17trampoline_kernelINS0_14default_configENS1_36segmented_radix_sort_config_selectorIdlEEZNS1_25segmented_radix_sort_implIS3_Lb0EPKdPdPKlPlN2at6native12_GLOBAL__N_18offset_tEEE10hipError_tPvRmT1_PNSt15iterator_traitsISK_E10value_typeET2_T3_PNSL_ISQ_E10value_typeET4_jRbjT5_SW_jjP12ihipStream_tbEUlT_E2_NS1_11comp_targetILNS1_3genE8ELNS1_11target_archE1030ELNS1_3gpuE2ELNS1_3repE0EEENS1_30default_config_static_selectorELNS0_4arch9wavefront6targetE1EEEvSK_
    .private_segment_fixed_size: 0
    .sgpr_count:     4
    .sgpr_spill_count: 0
    .symbol:         _ZN7rocprim17ROCPRIM_400000_NS6detail17trampoline_kernelINS0_14default_configENS1_36segmented_radix_sort_config_selectorIdlEEZNS1_25segmented_radix_sort_implIS3_Lb0EPKdPdPKlPlN2at6native12_GLOBAL__N_18offset_tEEE10hipError_tPvRmT1_PNSt15iterator_traitsISK_E10value_typeET2_T3_PNSL_ISQ_E10value_typeET4_jRbjT5_SW_jjP12ihipStream_tbEUlT_E2_NS1_11comp_targetILNS1_3genE8ELNS1_11target_archE1030ELNS1_3gpuE2ELNS1_3repE0EEENS1_30default_config_static_selectorELNS0_4arch9wavefront6targetE1EEEvSK_.kd
    .uniform_work_group_size: 1
    .uses_dynamic_stack: false
    .vgpr_count:     0
    .vgpr_spill_count: 0
    .wavefront_size: 64
  - .agpr_count:     0
    .args:
      - .address_space:  global
        .offset:         0
        .size:           8
        .value_kind:     global_buffer
      - .address_space:  global
        .offset:         8
        .size:           8
        .value_kind:     global_buffer
      - .address_space:  global
        .offset:         16
        .size:           8
        .value_kind:     global_buffer
      - .address_space:  global
        .offset:         24
        .size:           8
        .value_kind:     global_buffer
      - .offset:         32
        .size:           4
        .value_kind:     by_value
      - .offset:         36
        .size:           4
        .value_kind:     by_value
      - .offset:         40
        .size:           4
        .value_kind:     hidden_block_count_x
      - .offset:         44
        .size:           4
        .value_kind:     hidden_block_count_y
      - .offset:         48
        .size:           4
        .value_kind:     hidden_block_count_z
      - .offset:         52
        .size:           2
        .value_kind:     hidden_group_size_x
      - .offset:         54
        .size:           2
        .value_kind:     hidden_group_size_y
      - .offset:         56
        .size:           2
        .value_kind:     hidden_group_size_z
      - .offset:         58
        .size:           2
        .value_kind:     hidden_remainder_x
      - .offset:         60
        .size:           2
        .value_kind:     hidden_remainder_y
      - .offset:         62
        .size:           2
        .value_kind:     hidden_remainder_z
      - .offset:         80
        .size:           8
        .value_kind:     hidden_global_offset_x
      - .offset:         88
        .size:           8
        .value_kind:     hidden_global_offset_y
      - .offset:         96
        .size:           8
        .value_kind:     hidden_global_offset_z
      - .offset:         104
        .size:           2
        .value_kind:     hidden_grid_dims
    .group_segment_fixed_size: 0
    .kernarg_segment_align: 8
    .kernarg_segment_size: 296
    .language:       OpenCL C
    .language_version:
      - 2
      - 0
    .max_flat_workgroup_size: 1024
    .name:           _ZN2at6native12_GLOBAL__N_123sort_postprocess_kernelIfEEvPKT_PS3_PlPK15HIP_vector_typeIiLj2EEii
    .private_segment_fixed_size: 0
    .sgpr_count:     22
    .sgpr_spill_count: 0
    .symbol:         _ZN2at6native12_GLOBAL__N_123sort_postprocess_kernelIfEEvPKT_PS3_PlPK15HIP_vector_typeIiLj2EEii.kd
    .uniform_work_group_size: 1
    .uses_dynamic_stack: false
    .vgpr_count:     22
    .vgpr_spill_count: 0
    .wavefront_size: 64
  - .agpr_count:     0
    .args:
      - .offset:         0
        .size:           176
        .value_kind:     by_value
    .group_segment_fixed_size: 0
    .kernarg_segment_align: 8
    .kernarg_segment_size: 176
    .language:       OpenCL C
    .language_version:
      - 2
      - 0
    .max_flat_workgroup_size: 256
    .name:           _ZN7rocprim17ROCPRIM_400000_NS6detail17trampoline_kernelINS0_13select_configILj256ELj13ELNS0_17block_load_methodE3ELS4_3ELS4_3ELNS0_20block_scan_algorithmE0ELj4294967295EEENS1_25partition_config_selectorILNS1_17partition_subalgoE4EjNS0_10empty_typeEbEEZZNS1_14partition_implILS8_4ELb0ES6_15HIP_vector_typeIjLj2EENS0_17counting_iteratorIjlEEPS9_SG_NS0_5tupleIJPjSI_NS0_16reverse_iteratorISI_EEEEENSH_IJSG_SG_SG_EEES9_SI_JZNS1_25segmented_radix_sort_implINS0_14default_configELb1EPKfPfPKlPlN2at6native12_GLOBAL__N_18offset_tEEE10hipError_tPvRmT1_PNSt15iterator_traitsIS12_E10value_typeET2_T3_PNS13_IS18_E10value_typeET4_jRbjT5_S1E_jjP12ihipStream_tbEUljE_ZNSN_ISO_Lb1ESQ_SR_ST_SU_SY_EESZ_S10_S11_S12_S16_S17_S18_S1B_S1C_jS1D_jS1E_S1E_jjS1G_bEUljE0_EEESZ_S10_S11_S18_S1C_S1E_T6_T7_T9_mT8_S1G_bDpT10_ENKUlT_T0_E_clISt17integral_constantIbLb0EES1U_EEDaS1P_S1Q_EUlS1P_E_NS1_11comp_targetILNS1_3genE0ELNS1_11target_archE4294967295ELNS1_3gpuE0ELNS1_3repE0EEENS1_30default_config_static_selectorELNS0_4arch9wavefront6targetE1EEEvS12_
    .private_segment_fixed_size: 0
    .sgpr_count:     4
    .sgpr_spill_count: 0
    .symbol:         _ZN7rocprim17ROCPRIM_400000_NS6detail17trampoline_kernelINS0_13select_configILj256ELj13ELNS0_17block_load_methodE3ELS4_3ELS4_3ELNS0_20block_scan_algorithmE0ELj4294967295EEENS1_25partition_config_selectorILNS1_17partition_subalgoE4EjNS0_10empty_typeEbEEZZNS1_14partition_implILS8_4ELb0ES6_15HIP_vector_typeIjLj2EENS0_17counting_iteratorIjlEEPS9_SG_NS0_5tupleIJPjSI_NS0_16reverse_iteratorISI_EEEEENSH_IJSG_SG_SG_EEES9_SI_JZNS1_25segmented_radix_sort_implINS0_14default_configELb1EPKfPfPKlPlN2at6native12_GLOBAL__N_18offset_tEEE10hipError_tPvRmT1_PNSt15iterator_traitsIS12_E10value_typeET2_T3_PNS13_IS18_E10value_typeET4_jRbjT5_S1E_jjP12ihipStream_tbEUljE_ZNSN_ISO_Lb1ESQ_SR_ST_SU_SY_EESZ_S10_S11_S12_S16_S17_S18_S1B_S1C_jS1D_jS1E_S1E_jjS1G_bEUljE0_EEESZ_S10_S11_S18_S1C_S1E_T6_T7_T9_mT8_S1G_bDpT10_ENKUlT_T0_E_clISt17integral_constantIbLb0EES1U_EEDaS1P_S1Q_EUlS1P_E_NS1_11comp_targetILNS1_3genE0ELNS1_11target_archE4294967295ELNS1_3gpuE0ELNS1_3repE0EEENS1_30default_config_static_selectorELNS0_4arch9wavefront6targetE1EEEvS12_.kd
    .uniform_work_group_size: 1
    .uses_dynamic_stack: false
    .vgpr_count:     0
    .vgpr_spill_count: 0
    .wavefront_size: 64
  - .agpr_count:     0
    .args:
      - .offset:         0
        .size:           176
        .value_kind:     by_value
    .group_segment_fixed_size: 0
    .kernarg_segment_align: 8
    .kernarg_segment_size: 176
    .language:       OpenCL C
    .language_version:
      - 2
      - 0
    .max_flat_workgroup_size: 256
    .name:           _ZN7rocprim17ROCPRIM_400000_NS6detail17trampoline_kernelINS0_13select_configILj256ELj13ELNS0_17block_load_methodE3ELS4_3ELS4_3ELNS0_20block_scan_algorithmE0ELj4294967295EEENS1_25partition_config_selectorILNS1_17partition_subalgoE4EjNS0_10empty_typeEbEEZZNS1_14partition_implILS8_4ELb0ES6_15HIP_vector_typeIjLj2EENS0_17counting_iteratorIjlEEPS9_SG_NS0_5tupleIJPjSI_NS0_16reverse_iteratorISI_EEEEENSH_IJSG_SG_SG_EEES9_SI_JZNS1_25segmented_radix_sort_implINS0_14default_configELb1EPKfPfPKlPlN2at6native12_GLOBAL__N_18offset_tEEE10hipError_tPvRmT1_PNSt15iterator_traitsIS12_E10value_typeET2_T3_PNS13_IS18_E10value_typeET4_jRbjT5_S1E_jjP12ihipStream_tbEUljE_ZNSN_ISO_Lb1ESQ_SR_ST_SU_SY_EESZ_S10_S11_S12_S16_S17_S18_S1B_S1C_jS1D_jS1E_S1E_jjS1G_bEUljE0_EEESZ_S10_S11_S18_S1C_S1E_T6_T7_T9_mT8_S1G_bDpT10_ENKUlT_T0_E_clISt17integral_constantIbLb0EES1U_EEDaS1P_S1Q_EUlS1P_E_NS1_11comp_targetILNS1_3genE5ELNS1_11target_archE942ELNS1_3gpuE9ELNS1_3repE0EEENS1_30default_config_static_selectorELNS0_4arch9wavefront6targetE1EEEvS12_
    .private_segment_fixed_size: 0
    .sgpr_count:     4
    .sgpr_spill_count: 0
    .symbol:         _ZN7rocprim17ROCPRIM_400000_NS6detail17trampoline_kernelINS0_13select_configILj256ELj13ELNS0_17block_load_methodE3ELS4_3ELS4_3ELNS0_20block_scan_algorithmE0ELj4294967295EEENS1_25partition_config_selectorILNS1_17partition_subalgoE4EjNS0_10empty_typeEbEEZZNS1_14partition_implILS8_4ELb0ES6_15HIP_vector_typeIjLj2EENS0_17counting_iteratorIjlEEPS9_SG_NS0_5tupleIJPjSI_NS0_16reverse_iteratorISI_EEEEENSH_IJSG_SG_SG_EEES9_SI_JZNS1_25segmented_radix_sort_implINS0_14default_configELb1EPKfPfPKlPlN2at6native12_GLOBAL__N_18offset_tEEE10hipError_tPvRmT1_PNSt15iterator_traitsIS12_E10value_typeET2_T3_PNS13_IS18_E10value_typeET4_jRbjT5_S1E_jjP12ihipStream_tbEUljE_ZNSN_ISO_Lb1ESQ_SR_ST_SU_SY_EESZ_S10_S11_S12_S16_S17_S18_S1B_S1C_jS1D_jS1E_S1E_jjS1G_bEUljE0_EEESZ_S10_S11_S18_S1C_S1E_T6_T7_T9_mT8_S1G_bDpT10_ENKUlT_T0_E_clISt17integral_constantIbLb0EES1U_EEDaS1P_S1Q_EUlS1P_E_NS1_11comp_targetILNS1_3genE5ELNS1_11target_archE942ELNS1_3gpuE9ELNS1_3repE0EEENS1_30default_config_static_selectorELNS0_4arch9wavefront6targetE1EEEvS12_.kd
    .uniform_work_group_size: 1
    .uses_dynamic_stack: false
    .vgpr_count:     0
    .vgpr_spill_count: 0
    .wavefront_size: 64
  - .agpr_count:     0
    .args:
      - .offset:         0
        .size:           176
        .value_kind:     by_value
    .group_segment_fixed_size: 13340
    .kernarg_segment_align: 8
    .kernarg_segment_size: 176
    .language:       OpenCL C
    .language_version:
      - 2
      - 0
    .max_flat_workgroup_size: 256
    .name:           _ZN7rocprim17ROCPRIM_400000_NS6detail17trampoline_kernelINS0_13select_configILj256ELj13ELNS0_17block_load_methodE3ELS4_3ELS4_3ELNS0_20block_scan_algorithmE0ELj4294967295EEENS1_25partition_config_selectorILNS1_17partition_subalgoE4EjNS0_10empty_typeEbEEZZNS1_14partition_implILS8_4ELb0ES6_15HIP_vector_typeIjLj2EENS0_17counting_iteratorIjlEEPS9_SG_NS0_5tupleIJPjSI_NS0_16reverse_iteratorISI_EEEEENSH_IJSG_SG_SG_EEES9_SI_JZNS1_25segmented_radix_sort_implINS0_14default_configELb1EPKfPfPKlPlN2at6native12_GLOBAL__N_18offset_tEEE10hipError_tPvRmT1_PNSt15iterator_traitsIS12_E10value_typeET2_T3_PNS13_IS18_E10value_typeET4_jRbjT5_S1E_jjP12ihipStream_tbEUljE_ZNSN_ISO_Lb1ESQ_SR_ST_SU_SY_EESZ_S10_S11_S12_S16_S17_S18_S1B_S1C_jS1D_jS1E_S1E_jjS1G_bEUljE0_EEESZ_S10_S11_S18_S1C_S1E_T6_T7_T9_mT8_S1G_bDpT10_ENKUlT_T0_E_clISt17integral_constantIbLb0EES1U_EEDaS1P_S1Q_EUlS1P_E_NS1_11comp_targetILNS1_3genE4ELNS1_11target_archE910ELNS1_3gpuE8ELNS1_3repE0EEENS1_30default_config_static_selectorELNS0_4arch9wavefront6targetE1EEEvS12_
    .private_segment_fixed_size: 0
    .sgpr_count:     94
    .sgpr_spill_count: 0
    .symbol:         _ZN7rocprim17ROCPRIM_400000_NS6detail17trampoline_kernelINS0_13select_configILj256ELj13ELNS0_17block_load_methodE3ELS4_3ELS4_3ELNS0_20block_scan_algorithmE0ELj4294967295EEENS1_25partition_config_selectorILNS1_17partition_subalgoE4EjNS0_10empty_typeEbEEZZNS1_14partition_implILS8_4ELb0ES6_15HIP_vector_typeIjLj2EENS0_17counting_iteratorIjlEEPS9_SG_NS0_5tupleIJPjSI_NS0_16reverse_iteratorISI_EEEEENSH_IJSG_SG_SG_EEES9_SI_JZNS1_25segmented_radix_sort_implINS0_14default_configELb1EPKfPfPKlPlN2at6native12_GLOBAL__N_18offset_tEEE10hipError_tPvRmT1_PNSt15iterator_traitsIS12_E10value_typeET2_T3_PNS13_IS18_E10value_typeET4_jRbjT5_S1E_jjP12ihipStream_tbEUljE_ZNSN_ISO_Lb1ESQ_SR_ST_SU_SY_EESZ_S10_S11_S12_S16_S17_S18_S1B_S1C_jS1D_jS1E_S1E_jjS1G_bEUljE0_EEESZ_S10_S11_S18_S1C_S1E_T6_T7_T9_mT8_S1G_bDpT10_ENKUlT_T0_E_clISt17integral_constantIbLb0EES1U_EEDaS1P_S1Q_EUlS1P_E_NS1_11comp_targetILNS1_3genE4ELNS1_11target_archE910ELNS1_3gpuE8ELNS1_3repE0EEENS1_30default_config_static_selectorELNS0_4arch9wavefront6targetE1EEEvS12_.kd
    .uniform_work_group_size: 1
    .uses_dynamic_stack: false
    .vgpr_count:     102
    .vgpr_spill_count: 0
    .wavefront_size: 64
  - .agpr_count:     0
    .args:
      - .offset:         0
        .size:           176
        .value_kind:     by_value
    .group_segment_fixed_size: 0
    .kernarg_segment_align: 8
    .kernarg_segment_size: 176
    .language:       OpenCL C
    .language_version:
      - 2
      - 0
    .max_flat_workgroup_size: 256
    .name:           _ZN7rocprim17ROCPRIM_400000_NS6detail17trampoline_kernelINS0_13select_configILj256ELj13ELNS0_17block_load_methodE3ELS4_3ELS4_3ELNS0_20block_scan_algorithmE0ELj4294967295EEENS1_25partition_config_selectorILNS1_17partition_subalgoE4EjNS0_10empty_typeEbEEZZNS1_14partition_implILS8_4ELb0ES6_15HIP_vector_typeIjLj2EENS0_17counting_iteratorIjlEEPS9_SG_NS0_5tupleIJPjSI_NS0_16reverse_iteratorISI_EEEEENSH_IJSG_SG_SG_EEES9_SI_JZNS1_25segmented_radix_sort_implINS0_14default_configELb1EPKfPfPKlPlN2at6native12_GLOBAL__N_18offset_tEEE10hipError_tPvRmT1_PNSt15iterator_traitsIS12_E10value_typeET2_T3_PNS13_IS18_E10value_typeET4_jRbjT5_S1E_jjP12ihipStream_tbEUljE_ZNSN_ISO_Lb1ESQ_SR_ST_SU_SY_EESZ_S10_S11_S12_S16_S17_S18_S1B_S1C_jS1D_jS1E_S1E_jjS1G_bEUljE0_EEESZ_S10_S11_S18_S1C_S1E_T6_T7_T9_mT8_S1G_bDpT10_ENKUlT_T0_E_clISt17integral_constantIbLb0EES1U_EEDaS1P_S1Q_EUlS1P_E_NS1_11comp_targetILNS1_3genE3ELNS1_11target_archE908ELNS1_3gpuE7ELNS1_3repE0EEENS1_30default_config_static_selectorELNS0_4arch9wavefront6targetE1EEEvS12_
    .private_segment_fixed_size: 0
    .sgpr_count:     4
    .sgpr_spill_count: 0
    .symbol:         _ZN7rocprim17ROCPRIM_400000_NS6detail17trampoline_kernelINS0_13select_configILj256ELj13ELNS0_17block_load_methodE3ELS4_3ELS4_3ELNS0_20block_scan_algorithmE0ELj4294967295EEENS1_25partition_config_selectorILNS1_17partition_subalgoE4EjNS0_10empty_typeEbEEZZNS1_14partition_implILS8_4ELb0ES6_15HIP_vector_typeIjLj2EENS0_17counting_iteratorIjlEEPS9_SG_NS0_5tupleIJPjSI_NS0_16reverse_iteratorISI_EEEEENSH_IJSG_SG_SG_EEES9_SI_JZNS1_25segmented_radix_sort_implINS0_14default_configELb1EPKfPfPKlPlN2at6native12_GLOBAL__N_18offset_tEEE10hipError_tPvRmT1_PNSt15iterator_traitsIS12_E10value_typeET2_T3_PNS13_IS18_E10value_typeET4_jRbjT5_S1E_jjP12ihipStream_tbEUljE_ZNSN_ISO_Lb1ESQ_SR_ST_SU_SY_EESZ_S10_S11_S12_S16_S17_S18_S1B_S1C_jS1D_jS1E_S1E_jjS1G_bEUljE0_EEESZ_S10_S11_S18_S1C_S1E_T6_T7_T9_mT8_S1G_bDpT10_ENKUlT_T0_E_clISt17integral_constantIbLb0EES1U_EEDaS1P_S1Q_EUlS1P_E_NS1_11comp_targetILNS1_3genE3ELNS1_11target_archE908ELNS1_3gpuE7ELNS1_3repE0EEENS1_30default_config_static_selectorELNS0_4arch9wavefront6targetE1EEEvS12_.kd
    .uniform_work_group_size: 1
    .uses_dynamic_stack: false
    .vgpr_count:     0
    .vgpr_spill_count: 0
    .wavefront_size: 64
  - .agpr_count:     0
    .args:
      - .offset:         0
        .size:           176
        .value_kind:     by_value
    .group_segment_fixed_size: 0
    .kernarg_segment_align: 8
    .kernarg_segment_size: 176
    .language:       OpenCL C
    .language_version:
      - 2
      - 0
    .max_flat_workgroup_size: 256
    .name:           _ZN7rocprim17ROCPRIM_400000_NS6detail17trampoline_kernelINS0_13select_configILj256ELj13ELNS0_17block_load_methodE3ELS4_3ELS4_3ELNS0_20block_scan_algorithmE0ELj4294967295EEENS1_25partition_config_selectorILNS1_17partition_subalgoE4EjNS0_10empty_typeEbEEZZNS1_14partition_implILS8_4ELb0ES6_15HIP_vector_typeIjLj2EENS0_17counting_iteratorIjlEEPS9_SG_NS0_5tupleIJPjSI_NS0_16reverse_iteratorISI_EEEEENSH_IJSG_SG_SG_EEES9_SI_JZNS1_25segmented_radix_sort_implINS0_14default_configELb1EPKfPfPKlPlN2at6native12_GLOBAL__N_18offset_tEEE10hipError_tPvRmT1_PNSt15iterator_traitsIS12_E10value_typeET2_T3_PNS13_IS18_E10value_typeET4_jRbjT5_S1E_jjP12ihipStream_tbEUljE_ZNSN_ISO_Lb1ESQ_SR_ST_SU_SY_EESZ_S10_S11_S12_S16_S17_S18_S1B_S1C_jS1D_jS1E_S1E_jjS1G_bEUljE0_EEESZ_S10_S11_S18_S1C_S1E_T6_T7_T9_mT8_S1G_bDpT10_ENKUlT_T0_E_clISt17integral_constantIbLb0EES1U_EEDaS1P_S1Q_EUlS1P_E_NS1_11comp_targetILNS1_3genE2ELNS1_11target_archE906ELNS1_3gpuE6ELNS1_3repE0EEENS1_30default_config_static_selectorELNS0_4arch9wavefront6targetE1EEEvS12_
    .private_segment_fixed_size: 0
    .sgpr_count:     4
    .sgpr_spill_count: 0
    .symbol:         _ZN7rocprim17ROCPRIM_400000_NS6detail17trampoline_kernelINS0_13select_configILj256ELj13ELNS0_17block_load_methodE3ELS4_3ELS4_3ELNS0_20block_scan_algorithmE0ELj4294967295EEENS1_25partition_config_selectorILNS1_17partition_subalgoE4EjNS0_10empty_typeEbEEZZNS1_14partition_implILS8_4ELb0ES6_15HIP_vector_typeIjLj2EENS0_17counting_iteratorIjlEEPS9_SG_NS0_5tupleIJPjSI_NS0_16reverse_iteratorISI_EEEEENSH_IJSG_SG_SG_EEES9_SI_JZNS1_25segmented_radix_sort_implINS0_14default_configELb1EPKfPfPKlPlN2at6native12_GLOBAL__N_18offset_tEEE10hipError_tPvRmT1_PNSt15iterator_traitsIS12_E10value_typeET2_T3_PNS13_IS18_E10value_typeET4_jRbjT5_S1E_jjP12ihipStream_tbEUljE_ZNSN_ISO_Lb1ESQ_SR_ST_SU_SY_EESZ_S10_S11_S12_S16_S17_S18_S1B_S1C_jS1D_jS1E_S1E_jjS1G_bEUljE0_EEESZ_S10_S11_S18_S1C_S1E_T6_T7_T9_mT8_S1G_bDpT10_ENKUlT_T0_E_clISt17integral_constantIbLb0EES1U_EEDaS1P_S1Q_EUlS1P_E_NS1_11comp_targetILNS1_3genE2ELNS1_11target_archE906ELNS1_3gpuE6ELNS1_3repE0EEENS1_30default_config_static_selectorELNS0_4arch9wavefront6targetE1EEEvS12_.kd
    .uniform_work_group_size: 1
    .uses_dynamic_stack: false
    .vgpr_count:     0
    .vgpr_spill_count: 0
    .wavefront_size: 64
  - .agpr_count:     0
    .args:
      - .offset:         0
        .size:           176
        .value_kind:     by_value
    .group_segment_fixed_size: 0
    .kernarg_segment_align: 8
    .kernarg_segment_size: 176
    .language:       OpenCL C
    .language_version:
      - 2
      - 0
    .max_flat_workgroup_size: 256
    .name:           _ZN7rocprim17ROCPRIM_400000_NS6detail17trampoline_kernelINS0_13select_configILj256ELj13ELNS0_17block_load_methodE3ELS4_3ELS4_3ELNS0_20block_scan_algorithmE0ELj4294967295EEENS1_25partition_config_selectorILNS1_17partition_subalgoE4EjNS0_10empty_typeEbEEZZNS1_14partition_implILS8_4ELb0ES6_15HIP_vector_typeIjLj2EENS0_17counting_iteratorIjlEEPS9_SG_NS0_5tupleIJPjSI_NS0_16reverse_iteratorISI_EEEEENSH_IJSG_SG_SG_EEES9_SI_JZNS1_25segmented_radix_sort_implINS0_14default_configELb1EPKfPfPKlPlN2at6native12_GLOBAL__N_18offset_tEEE10hipError_tPvRmT1_PNSt15iterator_traitsIS12_E10value_typeET2_T3_PNS13_IS18_E10value_typeET4_jRbjT5_S1E_jjP12ihipStream_tbEUljE_ZNSN_ISO_Lb1ESQ_SR_ST_SU_SY_EESZ_S10_S11_S12_S16_S17_S18_S1B_S1C_jS1D_jS1E_S1E_jjS1G_bEUljE0_EEESZ_S10_S11_S18_S1C_S1E_T6_T7_T9_mT8_S1G_bDpT10_ENKUlT_T0_E_clISt17integral_constantIbLb0EES1U_EEDaS1P_S1Q_EUlS1P_E_NS1_11comp_targetILNS1_3genE10ELNS1_11target_archE1200ELNS1_3gpuE4ELNS1_3repE0EEENS1_30default_config_static_selectorELNS0_4arch9wavefront6targetE1EEEvS12_
    .private_segment_fixed_size: 0
    .sgpr_count:     4
    .sgpr_spill_count: 0
    .symbol:         _ZN7rocprim17ROCPRIM_400000_NS6detail17trampoline_kernelINS0_13select_configILj256ELj13ELNS0_17block_load_methodE3ELS4_3ELS4_3ELNS0_20block_scan_algorithmE0ELj4294967295EEENS1_25partition_config_selectorILNS1_17partition_subalgoE4EjNS0_10empty_typeEbEEZZNS1_14partition_implILS8_4ELb0ES6_15HIP_vector_typeIjLj2EENS0_17counting_iteratorIjlEEPS9_SG_NS0_5tupleIJPjSI_NS0_16reverse_iteratorISI_EEEEENSH_IJSG_SG_SG_EEES9_SI_JZNS1_25segmented_radix_sort_implINS0_14default_configELb1EPKfPfPKlPlN2at6native12_GLOBAL__N_18offset_tEEE10hipError_tPvRmT1_PNSt15iterator_traitsIS12_E10value_typeET2_T3_PNS13_IS18_E10value_typeET4_jRbjT5_S1E_jjP12ihipStream_tbEUljE_ZNSN_ISO_Lb1ESQ_SR_ST_SU_SY_EESZ_S10_S11_S12_S16_S17_S18_S1B_S1C_jS1D_jS1E_S1E_jjS1G_bEUljE0_EEESZ_S10_S11_S18_S1C_S1E_T6_T7_T9_mT8_S1G_bDpT10_ENKUlT_T0_E_clISt17integral_constantIbLb0EES1U_EEDaS1P_S1Q_EUlS1P_E_NS1_11comp_targetILNS1_3genE10ELNS1_11target_archE1200ELNS1_3gpuE4ELNS1_3repE0EEENS1_30default_config_static_selectorELNS0_4arch9wavefront6targetE1EEEvS12_.kd
    .uniform_work_group_size: 1
    .uses_dynamic_stack: false
    .vgpr_count:     0
    .vgpr_spill_count: 0
    .wavefront_size: 64
  - .agpr_count:     0
    .args:
      - .offset:         0
        .size:           176
        .value_kind:     by_value
    .group_segment_fixed_size: 0
    .kernarg_segment_align: 8
    .kernarg_segment_size: 176
    .language:       OpenCL C
    .language_version:
      - 2
      - 0
    .max_flat_workgroup_size: 256
    .name:           _ZN7rocprim17ROCPRIM_400000_NS6detail17trampoline_kernelINS0_13select_configILj256ELj13ELNS0_17block_load_methodE3ELS4_3ELS4_3ELNS0_20block_scan_algorithmE0ELj4294967295EEENS1_25partition_config_selectorILNS1_17partition_subalgoE4EjNS0_10empty_typeEbEEZZNS1_14partition_implILS8_4ELb0ES6_15HIP_vector_typeIjLj2EENS0_17counting_iteratorIjlEEPS9_SG_NS0_5tupleIJPjSI_NS0_16reverse_iteratorISI_EEEEENSH_IJSG_SG_SG_EEES9_SI_JZNS1_25segmented_radix_sort_implINS0_14default_configELb1EPKfPfPKlPlN2at6native12_GLOBAL__N_18offset_tEEE10hipError_tPvRmT1_PNSt15iterator_traitsIS12_E10value_typeET2_T3_PNS13_IS18_E10value_typeET4_jRbjT5_S1E_jjP12ihipStream_tbEUljE_ZNSN_ISO_Lb1ESQ_SR_ST_SU_SY_EESZ_S10_S11_S12_S16_S17_S18_S1B_S1C_jS1D_jS1E_S1E_jjS1G_bEUljE0_EEESZ_S10_S11_S18_S1C_S1E_T6_T7_T9_mT8_S1G_bDpT10_ENKUlT_T0_E_clISt17integral_constantIbLb0EES1U_EEDaS1P_S1Q_EUlS1P_E_NS1_11comp_targetILNS1_3genE9ELNS1_11target_archE1100ELNS1_3gpuE3ELNS1_3repE0EEENS1_30default_config_static_selectorELNS0_4arch9wavefront6targetE1EEEvS12_
    .private_segment_fixed_size: 0
    .sgpr_count:     4
    .sgpr_spill_count: 0
    .symbol:         _ZN7rocprim17ROCPRIM_400000_NS6detail17trampoline_kernelINS0_13select_configILj256ELj13ELNS0_17block_load_methodE3ELS4_3ELS4_3ELNS0_20block_scan_algorithmE0ELj4294967295EEENS1_25partition_config_selectorILNS1_17partition_subalgoE4EjNS0_10empty_typeEbEEZZNS1_14partition_implILS8_4ELb0ES6_15HIP_vector_typeIjLj2EENS0_17counting_iteratorIjlEEPS9_SG_NS0_5tupleIJPjSI_NS0_16reverse_iteratorISI_EEEEENSH_IJSG_SG_SG_EEES9_SI_JZNS1_25segmented_radix_sort_implINS0_14default_configELb1EPKfPfPKlPlN2at6native12_GLOBAL__N_18offset_tEEE10hipError_tPvRmT1_PNSt15iterator_traitsIS12_E10value_typeET2_T3_PNS13_IS18_E10value_typeET4_jRbjT5_S1E_jjP12ihipStream_tbEUljE_ZNSN_ISO_Lb1ESQ_SR_ST_SU_SY_EESZ_S10_S11_S12_S16_S17_S18_S1B_S1C_jS1D_jS1E_S1E_jjS1G_bEUljE0_EEESZ_S10_S11_S18_S1C_S1E_T6_T7_T9_mT8_S1G_bDpT10_ENKUlT_T0_E_clISt17integral_constantIbLb0EES1U_EEDaS1P_S1Q_EUlS1P_E_NS1_11comp_targetILNS1_3genE9ELNS1_11target_archE1100ELNS1_3gpuE3ELNS1_3repE0EEENS1_30default_config_static_selectorELNS0_4arch9wavefront6targetE1EEEvS12_.kd
    .uniform_work_group_size: 1
    .uses_dynamic_stack: false
    .vgpr_count:     0
    .vgpr_spill_count: 0
    .wavefront_size: 64
  - .agpr_count:     0
    .args:
      - .offset:         0
        .size:           176
        .value_kind:     by_value
    .group_segment_fixed_size: 0
    .kernarg_segment_align: 8
    .kernarg_segment_size: 176
    .language:       OpenCL C
    .language_version:
      - 2
      - 0
    .max_flat_workgroup_size: 256
    .name:           _ZN7rocprim17ROCPRIM_400000_NS6detail17trampoline_kernelINS0_13select_configILj256ELj13ELNS0_17block_load_methodE3ELS4_3ELS4_3ELNS0_20block_scan_algorithmE0ELj4294967295EEENS1_25partition_config_selectorILNS1_17partition_subalgoE4EjNS0_10empty_typeEbEEZZNS1_14partition_implILS8_4ELb0ES6_15HIP_vector_typeIjLj2EENS0_17counting_iteratorIjlEEPS9_SG_NS0_5tupleIJPjSI_NS0_16reverse_iteratorISI_EEEEENSH_IJSG_SG_SG_EEES9_SI_JZNS1_25segmented_radix_sort_implINS0_14default_configELb1EPKfPfPKlPlN2at6native12_GLOBAL__N_18offset_tEEE10hipError_tPvRmT1_PNSt15iterator_traitsIS12_E10value_typeET2_T3_PNS13_IS18_E10value_typeET4_jRbjT5_S1E_jjP12ihipStream_tbEUljE_ZNSN_ISO_Lb1ESQ_SR_ST_SU_SY_EESZ_S10_S11_S12_S16_S17_S18_S1B_S1C_jS1D_jS1E_S1E_jjS1G_bEUljE0_EEESZ_S10_S11_S18_S1C_S1E_T6_T7_T9_mT8_S1G_bDpT10_ENKUlT_T0_E_clISt17integral_constantIbLb0EES1U_EEDaS1P_S1Q_EUlS1P_E_NS1_11comp_targetILNS1_3genE8ELNS1_11target_archE1030ELNS1_3gpuE2ELNS1_3repE0EEENS1_30default_config_static_selectorELNS0_4arch9wavefront6targetE1EEEvS12_
    .private_segment_fixed_size: 0
    .sgpr_count:     4
    .sgpr_spill_count: 0
    .symbol:         _ZN7rocprim17ROCPRIM_400000_NS6detail17trampoline_kernelINS0_13select_configILj256ELj13ELNS0_17block_load_methodE3ELS4_3ELS4_3ELNS0_20block_scan_algorithmE0ELj4294967295EEENS1_25partition_config_selectorILNS1_17partition_subalgoE4EjNS0_10empty_typeEbEEZZNS1_14partition_implILS8_4ELb0ES6_15HIP_vector_typeIjLj2EENS0_17counting_iteratorIjlEEPS9_SG_NS0_5tupleIJPjSI_NS0_16reverse_iteratorISI_EEEEENSH_IJSG_SG_SG_EEES9_SI_JZNS1_25segmented_radix_sort_implINS0_14default_configELb1EPKfPfPKlPlN2at6native12_GLOBAL__N_18offset_tEEE10hipError_tPvRmT1_PNSt15iterator_traitsIS12_E10value_typeET2_T3_PNS13_IS18_E10value_typeET4_jRbjT5_S1E_jjP12ihipStream_tbEUljE_ZNSN_ISO_Lb1ESQ_SR_ST_SU_SY_EESZ_S10_S11_S12_S16_S17_S18_S1B_S1C_jS1D_jS1E_S1E_jjS1G_bEUljE0_EEESZ_S10_S11_S18_S1C_S1E_T6_T7_T9_mT8_S1G_bDpT10_ENKUlT_T0_E_clISt17integral_constantIbLb0EES1U_EEDaS1P_S1Q_EUlS1P_E_NS1_11comp_targetILNS1_3genE8ELNS1_11target_archE1030ELNS1_3gpuE2ELNS1_3repE0EEENS1_30default_config_static_selectorELNS0_4arch9wavefront6targetE1EEEvS12_.kd
    .uniform_work_group_size: 1
    .uses_dynamic_stack: false
    .vgpr_count:     0
    .vgpr_spill_count: 0
    .wavefront_size: 64
  - .agpr_count:     0
    .args:
      - .offset:         0
        .size:           184
        .value_kind:     by_value
    .group_segment_fixed_size: 0
    .kernarg_segment_align: 8
    .kernarg_segment_size: 184
    .language:       OpenCL C
    .language_version:
      - 2
      - 0
    .max_flat_workgroup_size: 256
    .name:           _ZN7rocprim17ROCPRIM_400000_NS6detail17trampoline_kernelINS0_13select_configILj256ELj13ELNS0_17block_load_methodE3ELS4_3ELS4_3ELNS0_20block_scan_algorithmE0ELj4294967295EEENS1_25partition_config_selectorILNS1_17partition_subalgoE4EjNS0_10empty_typeEbEEZZNS1_14partition_implILS8_4ELb0ES6_15HIP_vector_typeIjLj2EENS0_17counting_iteratorIjlEEPS9_SG_NS0_5tupleIJPjSI_NS0_16reverse_iteratorISI_EEEEENSH_IJSG_SG_SG_EEES9_SI_JZNS1_25segmented_radix_sort_implINS0_14default_configELb1EPKfPfPKlPlN2at6native12_GLOBAL__N_18offset_tEEE10hipError_tPvRmT1_PNSt15iterator_traitsIS12_E10value_typeET2_T3_PNS13_IS18_E10value_typeET4_jRbjT5_S1E_jjP12ihipStream_tbEUljE_ZNSN_ISO_Lb1ESQ_SR_ST_SU_SY_EESZ_S10_S11_S12_S16_S17_S18_S1B_S1C_jS1D_jS1E_S1E_jjS1G_bEUljE0_EEESZ_S10_S11_S18_S1C_S1E_T6_T7_T9_mT8_S1G_bDpT10_ENKUlT_T0_E_clISt17integral_constantIbLb1EES1U_EEDaS1P_S1Q_EUlS1P_E_NS1_11comp_targetILNS1_3genE0ELNS1_11target_archE4294967295ELNS1_3gpuE0ELNS1_3repE0EEENS1_30default_config_static_selectorELNS0_4arch9wavefront6targetE1EEEvS12_
    .private_segment_fixed_size: 0
    .sgpr_count:     4
    .sgpr_spill_count: 0
    .symbol:         _ZN7rocprim17ROCPRIM_400000_NS6detail17trampoline_kernelINS0_13select_configILj256ELj13ELNS0_17block_load_methodE3ELS4_3ELS4_3ELNS0_20block_scan_algorithmE0ELj4294967295EEENS1_25partition_config_selectorILNS1_17partition_subalgoE4EjNS0_10empty_typeEbEEZZNS1_14partition_implILS8_4ELb0ES6_15HIP_vector_typeIjLj2EENS0_17counting_iteratorIjlEEPS9_SG_NS0_5tupleIJPjSI_NS0_16reverse_iteratorISI_EEEEENSH_IJSG_SG_SG_EEES9_SI_JZNS1_25segmented_radix_sort_implINS0_14default_configELb1EPKfPfPKlPlN2at6native12_GLOBAL__N_18offset_tEEE10hipError_tPvRmT1_PNSt15iterator_traitsIS12_E10value_typeET2_T3_PNS13_IS18_E10value_typeET4_jRbjT5_S1E_jjP12ihipStream_tbEUljE_ZNSN_ISO_Lb1ESQ_SR_ST_SU_SY_EESZ_S10_S11_S12_S16_S17_S18_S1B_S1C_jS1D_jS1E_S1E_jjS1G_bEUljE0_EEESZ_S10_S11_S18_S1C_S1E_T6_T7_T9_mT8_S1G_bDpT10_ENKUlT_T0_E_clISt17integral_constantIbLb1EES1U_EEDaS1P_S1Q_EUlS1P_E_NS1_11comp_targetILNS1_3genE0ELNS1_11target_archE4294967295ELNS1_3gpuE0ELNS1_3repE0EEENS1_30default_config_static_selectorELNS0_4arch9wavefront6targetE1EEEvS12_.kd
    .uniform_work_group_size: 1
    .uses_dynamic_stack: false
    .vgpr_count:     0
    .vgpr_spill_count: 0
    .wavefront_size: 64
  - .agpr_count:     0
    .args:
      - .offset:         0
        .size:           184
        .value_kind:     by_value
    .group_segment_fixed_size: 0
    .kernarg_segment_align: 8
    .kernarg_segment_size: 184
    .language:       OpenCL C
    .language_version:
      - 2
      - 0
    .max_flat_workgroup_size: 256
    .name:           _ZN7rocprim17ROCPRIM_400000_NS6detail17trampoline_kernelINS0_13select_configILj256ELj13ELNS0_17block_load_methodE3ELS4_3ELS4_3ELNS0_20block_scan_algorithmE0ELj4294967295EEENS1_25partition_config_selectorILNS1_17partition_subalgoE4EjNS0_10empty_typeEbEEZZNS1_14partition_implILS8_4ELb0ES6_15HIP_vector_typeIjLj2EENS0_17counting_iteratorIjlEEPS9_SG_NS0_5tupleIJPjSI_NS0_16reverse_iteratorISI_EEEEENSH_IJSG_SG_SG_EEES9_SI_JZNS1_25segmented_radix_sort_implINS0_14default_configELb1EPKfPfPKlPlN2at6native12_GLOBAL__N_18offset_tEEE10hipError_tPvRmT1_PNSt15iterator_traitsIS12_E10value_typeET2_T3_PNS13_IS18_E10value_typeET4_jRbjT5_S1E_jjP12ihipStream_tbEUljE_ZNSN_ISO_Lb1ESQ_SR_ST_SU_SY_EESZ_S10_S11_S12_S16_S17_S18_S1B_S1C_jS1D_jS1E_S1E_jjS1G_bEUljE0_EEESZ_S10_S11_S18_S1C_S1E_T6_T7_T9_mT8_S1G_bDpT10_ENKUlT_T0_E_clISt17integral_constantIbLb1EES1U_EEDaS1P_S1Q_EUlS1P_E_NS1_11comp_targetILNS1_3genE5ELNS1_11target_archE942ELNS1_3gpuE9ELNS1_3repE0EEENS1_30default_config_static_selectorELNS0_4arch9wavefront6targetE1EEEvS12_
    .private_segment_fixed_size: 0
    .sgpr_count:     4
    .sgpr_spill_count: 0
    .symbol:         _ZN7rocprim17ROCPRIM_400000_NS6detail17trampoline_kernelINS0_13select_configILj256ELj13ELNS0_17block_load_methodE3ELS4_3ELS4_3ELNS0_20block_scan_algorithmE0ELj4294967295EEENS1_25partition_config_selectorILNS1_17partition_subalgoE4EjNS0_10empty_typeEbEEZZNS1_14partition_implILS8_4ELb0ES6_15HIP_vector_typeIjLj2EENS0_17counting_iteratorIjlEEPS9_SG_NS0_5tupleIJPjSI_NS0_16reverse_iteratorISI_EEEEENSH_IJSG_SG_SG_EEES9_SI_JZNS1_25segmented_radix_sort_implINS0_14default_configELb1EPKfPfPKlPlN2at6native12_GLOBAL__N_18offset_tEEE10hipError_tPvRmT1_PNSt15iterator_traitsIS12_E10value_typeET2_T3_PNS13_IS18_E10value_typeET4_jRbjT5_S1E_jjP12ihipStream_tbEUljE_ZNSN_ISO_Lb1ESQ_SR_ST_SU_SY_EESZ_S10_S11_S12_S16_S17_S18_S1B_S1C_jS1D_jS1E_S1E_jjS1G_bEUljE0_EEESZ_S10_S11_S18_S1C_S1E_T6_T7_T9_mT8_S1G_bDpT10_ENKUlT_T0_E_clISt17integral_constantIbLb1EES1U_EEDaS1P_S1Q_EUlS1P_E_NS1_11comp_targetILNS1_3genE5ELNS1_11target_archE942ELNS1_3gpuE9ELNS1_3repE0EEENS1_30default_config_static_selectorELNS0_4arch9wavefront6targetE1EEEvS12_.kd
    .uniform_work_group_size: 1
    .uses_dynamic_stack: false
    .vgpr_count:     0
    .vgpr_spill_count: 0
    .wavefront_size: 64
  - .agpr_count:     0
    .args:
      - .offset:         0
        .size:           184
        .value_kind:     by_value
    .group_segment_fixed_size: 13340
    .kernarg_segment_align: 8
    .kernarg_segment_size: 184
    .language:       OpenCL C
    .language_version:
      - 2
      - 0
    .max_flat_workgroup_size: 256
    .name:           _ZN7rocprim17ROCPRIM_400000_NS6detail17trampoline_kernelINS0_13select_configILj256ELj13ELNS0_17block_load_methodE3ELS4_3ELS4_3ELNS0_20block_scan_algorithmE0ELj4294967295EEENS1_25partition_config_selectorILNS1_17partition_subalgoE4EjNS0_10empty_typeEbEEZZNS1_14partition_implILS8_4ELb0ES6_15HIP_vector_typeIjLj2EENS0_17counting_iteratorIjlEEPS9_SG_NS0_5tupleIJPjSI_NS0_16reverse_iteratorISI_EEEEENSH_IJSG_SG_SG_EEES9_SI_JZNS1_25segmented_radix_sort_implINS0_14default_configELb1EPKfPfPKlPlN2at6native12_GLOBAL__N_18offset_tEEE10hipError_tPvRmT1_PNSt15iterator_traitsIS12_E10value_typeET2_T3_PNS13_IS18_E10value_typeET4_jRbjT5_S1E_jjP12ihipStream_tbEUljE_ZNSN_ISO_Lb1ESQ_SR_ST_SU_SY_EESZ_S10_S11_S12_S16_S17_S18_S1B_S1C_jS1D_jS1E_S1E_jjS1G_bEUljE0_EEESZ_S10_S11_S18_S1C_S1E_T6_T7_T9_mT8_S1G_bDpT10_ENKUlT_T0_E_clISt17integral_constantIbLb1EES1U_EEDaS1P_S1Q_EUlS1P_E_NS1_11comp_targetILNS1_3genE4ELNS1_11target_archE910ELNS1_3gpuE8ELNS1_3repE0EEENS1_30default_config_static_selectorELNS0_4arch9wavefront6targetE1EEEvS12_
    .private_segment_fixed_size: 0
    .sgpr_count:     91
    .sgpr_spill_count: 0
    .symbol:         _ZN7rocprim17ROCPRIM_400000_NS6detail17trampoline_kernelINS0_13select_configILj256ELj13ELNS0_17block_load_methodE3ELS4_3ELS4_3ELNS0_20block_scan_algorithmE0ELj4294967295EEENS1_25partition_config_selectorILNS1_17partition_subalgoE4EjNS0_10empty_typeEbEEZZNS1_14partition_implILS8_4ELb0ES6_15HIP_vector_typeIjLj2EENS0_17counting_iteratorIjlEEPS9_SG_NS0_5tupleIJPjSI_NS0_16reverse_iteratorISI_EEEEENSH_IJSG_SG_SG_EEES9_SI_JZNS1_25segmented_radix_sort_implINS0_14default_configELb1EPKfPfPKlPlN2at6native12_GLOBAL__N_18offset_tEEE10hipError_tPvRmT1_PNSt15iterator_traitsIS12_E10value_typeET2_T3_PNS13_IS18_E10value_typeET4_jRbjT5_S1E_jjP12ihipStream_tbEUljE_ZNSN_ISO_Lb1ESQ_SR_ST_SU_SY_EESZ_S10_S11_S12_S16_S17_S18_S1B_S1C_jS1D_jS1E_S1E_jjS1G_bEUljE0_EEESZ_S10_S11_S18_S1C_S1E_T6_T7_T9_mT8_S1G_bDpT10_ENKUlT_T0_E_clISt17integral_constantIbLb1EES1U_EEDaS1P_S1Q_EUlS1P_E_NS1_11comp_targetILNS1_3genE4ELNS1_11target_archE910ELNS1_3gpuE8ELNS1_3repE0EEENS1_30default_config_static_selectorELNS0_4arch9wavefront6targetE1EEEvS12_.kd
    .uniform_work_group_size: 1
    .uses_dynamic_stack: false
    .vgpr_count:     107
    .vgpr_spill_count: 0
    .wavefront_size: 64
  - .agpr_count:     0
    .args:
      - .offset:         0
        .size:           184
        .value_kind:     by_value
    .group_segment_fixed_size: 0
    .kernarg_segment_align: 8
    .kernarg_segment_size: 184
    .language:       OpenCL C
    .language_version:
      - 2
      - 0
    .max_flat_workgroup_size: 256
    .name:           _ZN7rocprim17ROCPRIM_400000_NS6detail17trampoline_kernelINS0_13select_configILj256ELj13ELNS0_17block_load_methodE3ELS4_3ELS4_3ELNS0_20block_scan_algorithmE0ELj4294967295EEENS1_25partition_config_selectorILNS1_17partition_subalgoE4EjNS0_10empty_typeEbEEZZNS1_14partition_implILS8_4ELb0ES6_15HIP_vector_typeIjLj2EENS0_17counting_iteratorIjlEEPS9_SG_NS0_5tupleIJPjSI_NS0_16reverse_iteratorISI_EEEEENSH_IJSG_SG_SG_EEES9_SI_JZNS1_25segmented_radix_sort_implINS0_14default_configELb1EPKfPfPKlPlN2at6native12_GLOBAL__N_18offset_tEEE10hipError_tPvRmT1_PNSt15iterator_traitsIS12_E10value_typeET2_T3_PNS13_IS18_E10value_typeET4_jRbjT5_S1E_jjP12ihipStream_tbEUljE_ZNSN_ISO_Lb1ESQ_SR_ST_SU_SY_EESZ_S10_S11_S12_S16_S17_S18_S1B_S1C_jS1D_jS1E_S1E_jjS1G_bEUljE0_EEESZ_S10_S11_S18_S1C_S1E_T6_T7_T9_mT8_S1G_bDpT10_ENKUlT_T0_E_clISt17integral_constantIbLb1EES1U_EEDaS1P_S1Q_EUlS1P_E_NS1_11comp_targetILNS1_3genE3ELNS1_11target_archE908ELNS1_3gpuE7ELNS1_3repE0EEENS1_30default_config_static_selectorELNS0_4arch9wavefront6targetE1EEEvS12_
    .private_segment_fixed_size: 0
    .sgpr_count:     4
    .sgpr_spill_count: 0
    .symbol:         _ZN7rocprim17ROCPRIM_400000_NS6detail17trampoline_kernelINS0_13select_configILj256ELj13ELNS0_17block_load_methodE3ELS4_3ELS4_3ELNS0_20block_scan_algorithmE0ELj4294967295EEENS1_25partition_config_selectorILNS1_17partition_subalgoE4EjNS0_10empty_typeEbEEZZNS1_14partition_implILS8_4ELb0ES6_15HIP_vector_typeIjLj2EENS0_17counting_iteratorIjlEEPS9_SG_NS0_5tupleIJPjSI_NS0_16reverse_iteratorISI_EEEEENSH_IJSG_SG_SG_EEES9_SI_JZNS1_25segmented_radix_sort_implINS0_14default_configELb1EPKfPfPKlPlN2at6native12_GLOBAL__N_18offset_tEEE10hipError_tPvRmT1_PNSt15iterator_traitsIS12_E10value_typeET2_T3_PNS13_IS18_E10value_typeET4_jRbjT5_S1E_jjP12ihipStream_tbEUljE_ZNSN_ISO_Lb1ESQ_SR_ST_SU_SY_EESZ_S10_S11_S12_S16_S17_S18_S1B_S1C_jS1D_jS1E_S1E_jjS1G_bEUljE0_EEESZ_S10_S11_S18_S1C_S1E_T6_T7_T9_mT8_S1G_bDpT10_ENKUlT_T0_E_clISt17integral_constantIbLb1EES1U_EEDaS1P_S1Q_EUlS1P_E_NS1_11comp_targetILNS1_3genE3ELNS1_11target_archE908ELNS1_3gpuE7ELNS1_3repE0EEENS1_30default_config_static_selectorELNS0_4arch9wavefront6targetE1EEEvS12_.kd
    .uniform_work_group_size: 1
    .uses_dynamic_stack: false
    .vgpr_count:     0
    .vgpr_spill_count: 0
    .wavefront_size: 64
  - .agpr_count:     0
    .args:
      - .offset:         0
        .size:           184
        .value_kind:     by_value
    .group_segment_fixed_size: 0
    .kernarg_segment_align: 8
    .kernarg_segment_size: 184
    .language:       OpenCL C
    .language_version:
      - 2
      - 0
    .max_flat_workgroup_size: 256
    .name:           _ZN7rocprim17ROCPRIM_400000_NS6detail17trampoline_kernelINS0_13select_configILj256ELj13ELNS0_17block_load_methodE3ELS4_3ELS4_3ELNS0_20block_scan_algorithmE0ELj4294967295EEENS1_25partition_config_selectorILNS1_17partition_subalgoE4EjNS0_10empty_typeEbEEZZNS1_14partition_implILS8_4ELb0ES6_15HIP_vector_typeIjLj2EENS0_17counting_iteratorIjlEEPS9_SG_NS0_5tupleIJPjSI_NS0_16reverse_iteratorISI_EEEEENSH_IJSG_SG_SG_EEES9_SI_JZNS1_25segmented_radix_sort_implINS0_14default_configELb1EPKfPfPKlPlN2at6native12_GLOBAL__N_18offset_tEEE10hipError_tPvRmT1_PNSt15iterator_traitsIS12_E10value_typeET2_T3_PNS13_IS18_E10value_typeET4_jRbjT5_S1E_jjP12ihipStream_tbEUljE_ZNSN_ISO_Lb1ESQ_SR_ST_SU_SY_EESZ_S10_S11_S12_S16_S17_S18_S1B_S1C_jS1D_jS1E_S1E_jjS1G_bEUljE0_EEESZ_S10_S11_S18_S1C_S1E_T6_T7_T9_mT8_S1G_bDpT10_ENKUlT_T0_E_clISt17integral_constantIbLb1EES1U_EEDaS1P_S1Q_EUlS1P_E_NS1_11comp_targetILNS1_3genE2ELNS1_11target_archE906ELNS1_3gpuE6ELNS1_3repE0EEENS1_30default_config_static_selectorELNS0_4arch9wavefront6targetE1EEEvS12_
    .private_segment_fixed_size: 0
    .sgpr_count:     4
    .sgpr_spill_count: 0
    .symbol:         _ZN7rocprim17ROCPRIM_400000_NS6detail17trampoline_kernelINS0_13select_configILj256ELj13ELNS0_17block_load_methodE3ELS4_3ELS4_3ELNS0_20block_scan_algorithmE0ELj4294967295EEENS1_25partition_config_selectorILNS1_17partition_subalgoE4EjNS0_10empty_typeEbEEZZNS1_14partition_implILS8_4ELb0ES6_15HIP_vector_typeIjLj2EENS0_17counting_iteratorIjlEEPS9_SG_NS0_5tupleIJPjSI_NS0_16reverse_iteratorISI_EEEEENSH_IJSG_SG_SG_EEES9_SI_JZNS1_25segmented_radix_sort_implINS0_14default_configELb1EPKfPfPKlPlN2at6native12_GLOBAL__N_18offset_tEEE10hipError_tPvRmT1_PNSt15iterator_traitsIS12_E10value_typeET2_T3_PNS13_IS18_E10value_typeET4_jRbjT5_S1E_jjP12ihipStream_tbEUljE_ZNSN_ISO_Lb1ESQ_SR_ST_SU_SY_EESZ_S10_S11_S12_S16_S17_S18_S1B_S1C_jS1D_jS1E_S1E_jjS1G_bEUljE0_EEESZ_S10_S11_S18_S1C_S1E_T6_T7_T9_mT8_S1G_bDpT10_ENKUlT_T0_E_clISt17integral_constantIbLb1EES1U_EEDaS1P_S1Q_EUlS1P_E_NS1_11comp_targetILNS1_3genE2ELNS1_11target_archE906ELNS1_3gpuE6ELNS1_3repE0EEENS1_30default_config_static_selectorELNS0_4arch9wavefront6targetE1EEEvS12_.kd
    .uniform_work_group_size: 1
    .uses_dynamic_stack: false
    .vgpr_count:     0
    .vgpr_spill_count: 0
    .wavefront_size: 64
  - .agpr_count:     0
    .args:
      - .offset:         0
        .size:           184
        .value_kind:     by_value
    .group_segment_fixed_size: 0
    .kernarg_segment_align: 8
    .kernarg_segment_size: 184
    .language:       OpenCL C
    .language_version:
      - 2
      - 0
    .max_flat_workgroup_size: 256
    .name:           _ZN7rocprim17ROCPRIM_400000_NS6detail17trampoline_kernelINS0_13select_configILj256ELj13ELNS0_17block_load_methodE3ELS4_3ELS4_3ELNS0_20block_scan_algorithmE0ELj4294967295EEENS1_25partition_config_selectorILNS1_17partition_subalgoE4EjNS0_10empty_typeEbEEZZNS1_14partition_implILS8_4ELb0ES6_15HIP_vector_typeIjLj2EENS0_17counting_iteratorIjlEEPS9_SG_NS0_5tupleIJPjSI_NS0_16reverse_iteratorISI_EEEEENSH_IJSG_SG_SG_EEES9_SI_JZNS1_25segmented_radix_sort_implINS0_14default_configELb1EPKfPfPKlPlN2at6native12_GLOBAL__N_18offset_tEEE10hipError_tPvRmT1_PNSt15iterator_traitsIS12_E10value_typeET2_T3_PNS13_IS18_E10value_typeET4_jRbjT5_S1E_jjP12ihipStream_tbEUljE_ZNSN_ISO_Lb1ESQ_SR_ST_SU_SY_EESZ_S10_S11_S12_S16_S17_S18_S1B_S1C_jS1D_jS1E_S1E_jjS1G_bEUljE0_EEESZ_S10_S11_S18_S1C_S1E_T6_T7_T9_mT8_S1G_bDpT10_ENKUlT_T0_E_clISt17integral_constantIbLb1EES1U_EEDaS1P_S1Q_EUlS1P_E_NS1_11comp_targetILNS1_3genE10ELNS1_11target_archE1200ELNS1_3gpuE4ELNS1_3repE0EEENS1_30default_config_static_selectorELNS0_4arch9wavefront6targetE1EEEvS12_
    .private_segment_fixed_size: 0
    .sgpr_count:     4
    .sgpr_spill_count: 0
    .symbol:         _ZN7rocprim17ROCPRIM_400000_NS6detail17trampoline_kernelINS0_13select_configILj256ELj13ELNS0_17block_load_methodE3ELS4_3ELS4_3ELNS0_20block_scan_algorithmE0ELj4294967295EEENS1_25partition_config_selectorILNS1_17partition_subalgoE4EjNS0_10empty_typeEbEEZZNS1_14partition_implILS8_4ELb0ES6_15HIP_vector_typeIjLj2EENS0_17counting_iteratorIjlEEPS9_SG_NS0_5tupleIJPjSI_NS0_16reverse_iteratorISI_EEEEENSH_IJSG_SG_SG_EEES9_SI_JZNS1_25segmented_radix_sort_implINS0_14default_configELb1EPKfPfPKlPlN2at6native12_GLOBAL__N_18offset_tEEE10hipError_tPvRmT1_PNSt15iterator_traitsIS12_E10value_typeET2_T3_PNS13_IS18_E10value_typeET4_jRbjT5_S1E_jjP12ihipStream_tbEUljE_ZNSN_ISO_Lb1ESQ_SR_ST_SU_SY_EESZ_S10_S11_S12_S16_S17_S18_S1B_S1C_jS1D_jS1E_S1E_jjS1G_bEUljE0_EEESZ_S10_S11_S18_S1C_S1E_T6_T7_T9_mT8_S1G_bDpT10_ENKUlT_T0_E_clISt17integral_constantIbLb1EES1U_EEDaS1P_S1Q_EUlS1P_E_NS1_11comp_targetILNS1_3genE10ELNS1_11target_archE1200ELNS1_3gpuE4ELNS1_3repE0EEENS1_30default_config_static_selectorELNS0_4arch9wavefront6targetE1EEEvS12_.kd
    .uniform_work_group_size: 1
    .uses_dynamic_stack: false
    .vgpr_count:     0
    .vgpr_spill_count: 0
    .wavefront_size: 64
  - .agpr_count:     0
    .args:
      - .offset:         0
        .size:           184
        .value_kind:     by_value
    .group_segment_fixed_size: 0
    .kernarg_segment_align: 8
    .kernarg_segment_size: 184
    .language:       OpenCL C
    .language_version:
      - 2
      - 0
    .max_flat_workgroup_size: 256
    .name:           _ZN7rocprim17ROCPRIM_400000_NS6detail17trampoline_kernelINS0_13select_configILj256ELj13ELNS0_17block_load_methodE3ELS4_3ELS4_3ELNS0_20block_scan_algorithmE0ELj4294967295EEENS1_25partition_config_selectorILNS1_17partition_subalgoE4EjNS0_10empty_typeEbEEZZNS1_14partition_implILS8_4ELb0ES6_15HIP_vector_typeIjLj2EENS0_17counting_iteratorIjlEEPS9_SG_NS0_5tupleIJPjSI_NS0_16reverse_iteratorISI_EEEEENSH_IJSG_SG_SG_EEES9_SI_JZNS1_25segmented_radix_sort_implINS0_14default_configELb1EPKfPfPKlPlN2at6native12_GLOBAL__N_18offset_tEEE10hipError_tPvRmT1_PNSt15iterator_traitsIS12_E10value_typeET2_T3_PNS13_IS18_E10value_typeET4_jRbjT5_S1E_jjP12ihipStream_tbEUljE_ZNSN_ISO_Lb1ESQ_SR_ST_SU_SY_EESZ_S10_S11_S12_S16_S17_S18_S1B_S1C_jS1D_jS1E_S1E_jjS1G_bEUljE0_EEESZ_S10_S11_S18_S1C_S1E_T6_T7_T9_mT8_S1G_bDpT10_ENKUlT_T0_E_clISt17integral_constantIbLb1EES1U_EEDaS1P_S1Q_EUlS1P_E_NS1_11comp_targetILNS1_3genE9ELNS1_11target_archE1100ELNS1_3gpuE3ELNS1_3repE0EEENS1_30default_config_static_selectorELNS0_4arch9wavefront6targetE1EEEvS12_
    .private_segment_fixed_size: 0
    .sgpr_count:     4
    .sgpr_spill_count: 0
    .symbol:         _ZN7rocprim17ROCPRIM_400000_NS6detail17trampoline_kernelINS0_13select_configILj256ELj13ELNS0_17block_load_methodE3ELS4_3ELS4_3ELNS0_20block_scan_algorithmE0ELj4294967295EEENS1_25partition_config_selectorILNS1_17partition_subalgoE4EjNS0_10empty_typeEbEEZZNS1_14partition_implILS8_4ELb0ES6_15HIP_vector_typeIjLj2EENS0_17counting_iteratorIjlEEPS9_SG_NS0_5tupleIJPjSI_NS0_16reverse_iteratorISI_EEEEENSH_IJSG_SG_SG_EEES9_SI_JZNS1_25segmented_radix_sort_implINS0_14default_configELb1EPKfPfPKlPlN2at6native12_GLOBAL__N_18offset_tEEE10hipError_tPvRmT1_PNSt15iterator_traitsIS12_E10value_typeET2_T3_PNS13_IS18_E10value_typeET4_jRbjT5_S1E_jjP12ihipStream_tbEUljE_ZNSN_ISO_Lb1ESQ_SR_ST_SU_SY_EESZ_S10_S11_S12_S16_S17_S18_S1B_S1C_jS1D_jS1E_S1E_jjS1G_bEUljE0_EEESZ_S10_S11_S18_S1C_S1E_T6_T7_T9_mT8_S1G_bDpT10_ENKUlT_T0_E_clISt17integral_constantIbLb1EES1U_EEDaS1P_S1Q_EUlS1P_E_NS1_11comp_targetILNS1_3genE9ELNS1_11target_archE1100ELNS1_3gpuE3ELNS1_3repE0EEENS1_30default_config_static_selectorELNS0_4arch9wavefront6targetE1EEEvS12_.kd
    .uniform_work_group_size: 1
    .uses_dynamic_stack: false
    .vgpr_count:     0
    .vgpr_spill_count: 0
    .wavefront_size: 64
  - .agpr_count:     0
    .args:
      - .offset:         0
        .size:           184
        .value_kind:     by_value
    .group_segment_fixed_size: 0
    .kernarg_segment_align: 8
    .kernarg_segment_size: 184
    .language:       OpenCL C
    .language_version:
      - 2
      - 0
    .max_flat_workgroup_size: 256
    .name:           _ZN7rocprim17ROCPRIM_400000_NS6detail17trampoline_kernelINS0_13select_configILj256ELj13ELNS0_17block_load_methodE3ELS4_3ELS4_3ELNS0_20block_scan_algorithmE0ELj4294967295EEENS1_25partition_config_selectorILNS1_17partition_subalgoE4EjNS0_10empty_typeEbEEZZNS1_14partition_implILS8_4ELb0ES6_15HIP_vector_typeIjLj2EENS0_17counting_iteratorIjlEEPS9_SG_NS0_5tupleIJPjSI_NS0_16reverse_iteratorISI_EEEEENSH_IJSG_SG_SG_EEES9_SI_JZNS1_25segmented_radix_sort_implINS0_14default_configELb1EPKfPfPKlPlN2at6native12_GLOBAL__N_18offset_tEEE10hipError_tPvRmT1_PNSt15iterator_traitsIS12_E10value_typeET2_T3_PNS13_IS18_E10value_typeET4_jRbjT5_S1E_jjP12ihipStream_tbEUljE_ZNSN_ISO_Lb1ESQ_SR_ST_SU_SY_EESZ_S10_S11_S12_S16_S17_S18_S1B_S1C_jS1D_jS1E_S1E_jjS1G_bEUljE0_EEESZ_S10_S11_S18_S1C_S1E_T6_T7_T9_mT8_S1G_bDpT10_ENKUlT_T0_E_clISt17integral_constantIbLb1EES1U_EEDaS1P_S1Q_EUlS1P_E_NS1_11comp_targetILNS1_3genE8ELNS1_11target_archE1030ELNS1_3gpuE2ELNS1_3repE0EEENS1_30default_config_static_selectorELNS0_4arch9wavefront6targetE1EEEvS12_
    .private_segment_fixed_size: 0
    .sgpr_count:     4
    .sgpr_spill_count: 0
    .symbol:         _ZN7rocprim17ROCPRIM_400000_NS6detail17trampoline_kernelINS0_13select_configILj256ELj13ELNS0_17block_load_methodE3ELS4_3ELS4_3ELNS0_20block_scan_algorithmE0ELj4294967295EEENS1_25partition_config_selectorILNS1_17partition_subalgoE4EjNS0_10empty_typeEbEEZZNS1_14partition_implILS8_4ELb0ES6_15HIP_vector_typeIjLj2EENS0_17counting_iteratorIjlEEPS9_SG_NS0_5tupleIJPjSI_NS0_16reverse_iteratorISI_EEEEENSH_IJSG_SG_SG_EEES9_SI_JZNS1_25segmented_radix_sort_implINS0_14default_configELb1EPKfPfPKlPlN2at6native12_GLOBAL__N_18offset_tEEE10hipError_tPvRmT1_PNSt15iterator_traitsIS12_E10value_typeET2_T3_PNS13_IS18_E10value_typeET4_jRbjT5_S1E_jjP12ihipStream_tbEUljE_ZNSN_ISO_Lb1ESQ_SR_ST_SU_SY_EESZ_S10_S11_S12_S16_S17_S18_S1B_S1C_jS1D_jS1E_S1E_jjS1G_bEUljE0_EEESZ_S10_S11_S18_S1C_S1E_T6_T7_T9_mT8_S1G_bDpT10_ENKUlT_T0_E_clISt17integral_constantIbLb1EES1U_EEDaS1P_S1Q_EUlS1P_E_NS1_11comp_targetILNS1_3genE8ELNS1_11target_archE1030ELNS1_3gpuE2ELNS1_3repE0EEENS1_30default_config_static_selectorELNS0_4arch9wavefront6targetE1EEEvS12_.kd
    .uniform_work_group_size: 1
    .uses_dynamic_stack: false
    .vgpr_count:     0
    .vgpr_spill_count: 0
    .wavefront_size: 64
  - .agpr_count:     0
    .args:
      - .offset:         0
        .size:           176
        .value_kind:     by_value
    .group_segment_fixed_size: 0
    .kernarg_segment_align: 8
    .kernarg_segment_size: 176
    .language:       OpenCL C
    .language_version:
      - 2
      - 0
    .max_flat_workgroup_size: 256
    .name:           _ZN7rocprim17ROCPRIM_400000_NS6detail17trampoline_kernelINS0_13select_configILj256ELj13ELNS0_17block_load_methodE3ELS4_3ELS4_3ELNS0_20block_scan_algorithmE0ELj4294967295EEENS1_25partition_config_selectorILNS1_17partition_subalgoE4EjNS0_10empty_typeEbEEZZNS1_14partition_implILS8_4ELb0ES6_15HIP_vector_typeIjLj2EENS0_17counting_iteratorIjlEEPS9_SG_NS0_5tupleIJPjSI_NS0_16reverse_iteratorISI_EEEEENSH_IJSG_SG_SG_EEES9_SI_JZNS1_25segmented_radix_sort_implINS0_14default_configELb1EPKfPfPKlPlN2at6native12_GLOBAL__N_18offset_tEEE10hipError_tPvRmT1_PNSt15iterator_traitsIS12_E10value_typeET2_T3_PNS13_IS18_E10value_typeET4_jRbjT5_S1E_jjP12ihipStream_tbEUljE_ZNSN_ISO_Lb1ESQ_SR_ST_SU_SY_EESZ_S10_S11_S12_S16_S17_S18_S1B_S1C_jS1D_jS1E_S1E_jjS1G_bEUljE0_EEESZ_S10_S11_S18_S1C_S1E_T6_T7_T9_mT8_S1G_bDpT10_ENKUlT_T0_E_clISt17integral_constantIbLb1EES1T_IbLb0EEEEDaS1P_S1Q_EUlS1P_E_NS1_11comp_targetILNS1_3genE0ELNS1_11target_archE4294967295ELNS1_3gpuE0ELNS1_3repE0EEENS1_30default_config_static_selectorELNS0_4arch9wavefront6targetE1EEEvS12_
    .private_segment_fixed_size: 0
    .sgpr_count:     4
    .sgpr_spill_count: 0
    .symbol:         _ZN7rocprim17ROCPRIM_400000_NS6detail17trampoline_kernelINS0_13select_configILj256ELj13ELNS0_17block_load_methodE3ELS4_3ELS4_3ELNS0_20block_scan_algorithmE0ELj4294967295EEENS1_25partition_config_selectorILNS1_17partition_subalgoE4EjNS0_10empty_typeEbEEZZNS1_14partition_implILS8_4ELb0ES6_15HIP_vector_typeIjLj2EENS0_17counting_iteratorIjlEEPS9_SG_NS0_5tupleIJPjSI_NS0_16reverse_iteratorISI_EEEEENSH_IJSG_SG_SG_EEES9_SI_JZNS1_25segmented_radix_sort_implINS0_14default_configELb1EPKfPfPKlPlN2at6native12_GLOBAL__N_18offset_tEEE10hipError_tPvRmT1_PNSt15iterator_traitsIS12_E10value_typeET2_T3_PNS13_IS18_E10value_typeET4_jRbjT5_S1E_jjP12ihipStream_tbEUljE_ZNSN_ISO_Lb1ESQ_SR_ST_SU_SY_EESZ_S10_S11_S12_S16_S17_S18_S1B_S1C_jS1D_jS1E_S1E_jjS1G_bEUljE0_EEESZ_S10_S11_S18_S1C_S1E_T6_T7_T9_mT8_S1G_bDpT10_ENKUlT_T0_E_clISt17integral_constantIbLb1EES1T_IbLb0EEEEDaS1P_S1Q_EUlS1P_E_NS1_11comp_targetILNS1_3genE0ELNS1_11target_archE4294967295ELNS1_3gpuE0ELNS1_3repE0EEENS1_30default_config_static_selectorELNS0_4arch9wavefront6targetE1EEEvS12_.kd
    .uniform_work_group_size: 1
    .uses_dynamic_stack: false
    .vgpr_count:     0
    .vgpr_spill_count: 0
    .wavefront_size: 64
  - .agpr_count:     0
    .args:
      - .offset:         0
        .size:           176
        .value_kind:     by_value
    .group_segment_fixed_size: 0
    .kernarg_segment_align: 8
    .kernarg_segment_size: 176
    .language:       OpenCL C
    .language_version:
      - 2
      - 0
    .max_flat_workgroup_size: 256
    .name:           _ZN7rocprim17ROCPRIM_400000_NS6detail17trampoline_kernelINS0_13select_configILj256ELj13ELNS0_17block_load_methodE3ELS4_3ELS4_3ELNS0_20block_scan_algorithmE0ELj4294967295EEENS1_25partition_config_selectorILNS1_17partition_subalgoE4EjNS0_10empty_typeEbEEZZNS1_14partition_implILS8_4ELb0ES6_15HIP_vector_typeIjLj2EENS0_17counting_iteratorIjlEEPS9_SG_NS0_5tupleIJPjSI_NS0_16reverse_iteratorISI_EEEEENSH_IJSG_SG_SG_EEES9_SI_JZNS1_25segmented_radix_sort_implINS0_14default_configELb1EPKfPfPKlPlN2at6native12_GLOBAL__N_18offset_tEEE10hipError_tPvRmT1_PNSt15iterator_traitsIS12_E10value_typeET2_T3_PNS13_IS18_E10value_typeET4_jRbjT5_S1E_jjP12ihipStream_tbEUljE_ZNSN_ISO_Lb1ESQ_SR_ST_SU_SY_EESZ_S10_S11_S12_S16_S17_S18_S1B_S1C_jS1D_jS1E_S1E_jjS1G_bEUljE0_EEESZ_S10_S11_S18_S1C_S1E_T6_T7_T9_mT8_S1G_bDpT10_ENKUlT_T0_E_clISt17integral_constantIbLb1EES1T_IbLb0EEEEDaS1P_S1Q_EUlS1P_E_NS1_11comp_targetILNS1_3genE5ELNS1_11target_archE942ELNS1_3gpuE9ELNS1_3repE0EEENS1_30default_config_static_selectorELNS0_4arch9wavefront6targetE1EEEvS12_
    .private_segment_fixed_size: 0
    .sgpr_count:     4
    .sgpr_spill_count: 0
    .symbol:         _ZN7rocprim17ROCPRIM_400000_NS6detail17trampoline_kernelINS0_13select_configILj256ELj13ELNS0_17block_load_methodE3ELS4_3ELS4_3ELNS0_20block_scan_algorithmE0ELj4294967295EEENS1_25partition_config_selectorILNS1_17partition_subalgoE4EjNS0_10empty_typeEbEEZZNS1_14partition_implILS8_4ELb0ES6_15HIP_vector_typeIjLj2EENS0_17counting_iteratorIjlEEPS9_SG_NS0_5tupleIJPjSI_NS0_16reverse_iteratorISI_EEEEENSH_IJSG_SG_SG_EEES9_SI_JZNS1_25segmented_radix_sort_implINS0_14default_configELb1EPKfPfPKlPlN2at6native12_GLOBAL__N_18offset_tEEE10hipError_tPvRmT1_PNSt15iterator_traitsIS12_E10value_typeET2_T3_PNS13_IS18_E10value_typeET4_jRbjT5_S1E_jjP12ihipStream_tbEUljE_ZNSN_ISO_Lb1ESQ_SR_ST_SU_SY_EESZ_S10_S11_S12_S16_S17_S18_S1B_S1C_jS1D_jS1E_S1E_jjS1G_bEUljE0_EEESZ_S10_S11_S18_S1C_S1E_T6_T7_T9_mT8_S1G_bDpT10_ENKUlT_T0_E_clISt17integral_constantIbLb1EES1T_IbLb0EEEEDaS1P_S1Q_EUlS1P_E_NS1_11comp_targetILNS1_3genE5ELNS1_11target_archE942ELNS1_3gpuE9ELNS1_3repE0EEENS1_30default_config_static_selectorELNS0_4arch9wavefront6targetE1EEEvS12_.kd
    .uniform_work_group_size: 1
    .uses_dynamic_stack: false
    .vgpr_count:     0
    .vgpr_spill_count: 0
    .wavefront_size: 64
  - .agpr_count:     0
    .args:
      - .offset:         0
        .size:           176
        .value_kind:     by_value
    .group_segment_fixed_size: 13340
    .kernarg_segment_align: 8
    .kernarg_segment_size: 176
    .language:       OpenCL C
    .language_version:
      - 2
      - 0
    .max_flat_workgroup_size: 256
    .name:           _ZN7rocprim17ROCPRIM_400000_NS6detail17trampoline_kernelINS0_13select_configILj256ELj13ELNS0_17block_load_methodE3ELS4_3ELS4_3ELNS0_20block_scan_algorithmE0ELj4294967295EEENS1_25partition_config_selectorILNS1_17partition_subalgoE4EjNS0_10empty_typeEbEEZZNS1_14partition_implILS8_4ELb0ES6_15HIP_vector_typeIjLj2EENS0_17counting_iteratorIjlEEPS9_SG_NS0_5tupleIJPjSI_NS0_16reverse_iteratorISI_EEEEENSH_IJSG_SG_SG_EEES9_SI_JZNS1_25segmented_radix_sort_implINS0_14default_configELb1EPKfPfPKlPlN2at6native12_GLOBAL__N_18offset_tEEE10hipError_tPvRmT1_PNSt15iterator_traitsIS12_E10value_typeET2_T3_PNS13_IS18_E10value_typeET4_jRbjT5_S1E_jjP12ihipStream_tbEUljE_ZNSN_ISO_Lb1ESQ_SR_ST_SU_SY_EESZ_S10_S11_S12_S16_S17_S18_S1B_S1C_jS1D_jS1E_S1E_jjS1G_bEUljE0_EEESZ_S10_S11_S18_S1C_S1E_T6_T7_T9_mT8_S1G_bDpT10_ENKUlT_T0_E_clISt17integral_constantIbLb1EES1T_IbLb0EEEEDaS1P_S1Q_EUlS1P_E_NS1_11comp_targetILNS1_3genE4ELNS1_11target_archE910ELNS1_3gpuE8ELNS1_3repE0EEENS1_30default_config_static_selectorELNS0_4arch9wavefront6targetE1EEEvS12_
    .private_segment_fixed_size: 0
    .sgpr_count:     94
    .sgpr_spill_count: 0
    .symbol:         _ZN7rocprim17ROCPRIM_400000_NS6detail17trampoline_kernelINS0_13select_configILj256ELj13ELNS0_17block_load_methodE3ELS4_3ELS4_3ELNS0_20block_scan_algorithmE0ELj4294967295EEENS1_25partition_config_selectorILNS1_17partition_subalgoE4EjNS0_10empty_typeEbEEZZNS1_14partition_implILS8_4ELb0ES6_15HIP_vector_typeIjLj2EENS0_17counting_iteratorIjlEEPS9_SG_NS0_5tupleIJPjSI_NS0_16reverse_iteratorISI_EEEEENSH_IJSG_SG_SG_EEES9_SI_JZNS1_25segmented_radix_sort_implINS0_14default_configELb1EPKfPfPKlPlN2at6native12_GLOBAL__N_18offset_tEEE10hipError_tPvRmT1_PNSt15iterator_traitsIS12_E10value_typeET2_T3_PNS13_IS18_E10value_typeET4_jRbjT5_S1E_jjP12ihipStream_tbEUljE_ZNSN_ISO_Lb1ESQ_SR_ST_SU_SY_EESZ_S10_S11_S12_S16_S17_S18_S1B_S1C_jS1D_jS1E_S1E_jjS1G_bEUljE0_EEESZ_S10_S11_S18_S1C_S1E_T6_T7_T9_mT8_S1G_bDpT10_ENKUlT_T0_E_clISt17integral_constantIbLb1EES1T_IbLb0EEEEDaS1P_S1Q_EUlS1P_E_NS1_11comp_targetILNS1_3genE4ELNS1_11target_archE910ELNS1_3gpuE8ELNS1_3repE0EEENS1_30default_config_static_selectorELNS0_4arch9wavefront6targetE1EEEvS12_.kd
    .uniform_work_group_size: 1
    .uses_dynamic_stack: false
    .vgpr_count:     102
    .vgpr_spill_count: 0
    .wavefront_size: 64
  - .agpr_count:     0
    .args:
      - .offset:         0
        .size:           176
        .value_kind:     by_value
    .group_segment_fixed_size: 0
    .kernarg_segment_align: 8
    .kernarg_segment_size: 176
    .language:       OpenCL C
    .language_version:
      - 2
      - 0
    .max_flat_workgroup_size: 256
    .name:           _ZN7rocprim17ROCPRIM_400000_NS6detail17trampoline_kernelINS0_13select_configILj256ELj13ELNS0_17block_load_methodE3ELS4_3ELS4_3ELNS0_20block_scan_algorithmE0ELj4294967295EEENS1_25partition_config_selectorILNS1_17partition_subalgoE4EjNS0_10empty_typeEbEEZZNS1_14partition_implILS8_4ELb0ES6_15HIP_vector_typeIjLj2EENS0_17counting_iteratorIjlEEPS9_SG_NS0_5tupleIJPjSI_NS0_16reverse_iteratorISI_EEEEENSH_IJSG_SG_SG_EEES9_SI_JZNS1_25segmented_radix_sort_implINS0_14default_configELb1EPKfPfPKlPlN2at6native12_GLOBAL__N_18offset_tEEE10hipError_tPvRmT1_PNSt15iterator_traitsIS12_E10value_typeET2_T3_PNS13_IS18_E10value_typeET4_jRbjT5_S1E_jjP12ihipStream_tbEUljE_ZNSN_ISO_Lb1ESQ_SR_ST_SU_SY_EESZ_S10_S11_S12_S16_S17_S18_S1B_S1C_jS1D_jS1E_S1E_jjS1G_bEUljE0_EEESZ_S10_S11_S18_S1C_S1E_T6_T7_T9_mT8_S1G_bDpT10_ENKUlT_T0_E_clISt17integral_constantIbLb1EES1T_IbLb0EEEEDaS1P_S1Q_EUlS1P_E_NS1_11comp_targetILNS1_3genE3ELNS1_11target_archE908ELNS1_3gpuE7ELNS1_3repE0EEENS1_30default_config_static_selectorELNS0_4arch9wavefront6targetE1EEEvS12_
    .private_segment_fixed_size: 0
    .sgpr_count:     4
    .sgpr_spill_count: 0
    .symbol:         _ZN7rocprim17ROCPRIM_400000_NS6detail17trampoline_kernelINS0_13select_configILj256ELj13ELNS0_17block_load_methodE3ELS4_3ELS4_3ELNS0_20block_scan_algorithmE0ELj4294967295EEENS1_25partition_config_selectorILNS1_17partition_subalgoE4EjNS0_10empty_typeEbEEZZNS1_14partition_implILS8_4ELb0ES6_15HIP_vector_typeIjLj2EENS0_17counting_iteratorIjlEEPS9_SG_NS0_5tupleIJPjSI_NS0_16reverse_iteratorISI_EEEEENSH_IJSG_SG_SG_EEES9_SI_JZNS1_25segmented_radix_sort_implINS0_14default_configELb1EPKfPfPKlPlN2at6native12_GLOBAL__N_18offset_tEEE10hipError_tPvRmT1_PNSt15iterator_traitsIS12_E10value_typeET2_T3_PNS13_IS18_E10value_typeET4_jRbjT5_S1E_jjP12ihipStream_tbEUljE_ZNSN_ISO_Lb1ESQ_SR_ST_SU_SY_EESZ_S10_S11_S12_S16_S17_S18_S1B_S1C_jS1D_jS1E_S1E_jjS1G_bEUljE0_EEESZ_S10_S11_S18_S1C_S1E_T6_T7_T9_mT8_S1G_bDpT10_ENKUlT_T0_E_clISt17integral_constantIbLb1EES1T_IbLb0EEEEDaS1P_S1Q_EUlS1P_E_NS1_11comp_targetILNS1_3genE3ELNS1_11target_archE908ELNS1_3gpuE7ELNS1_3repE0EEENS1_30default_config_static_selectorELNS0_4arch9wavefront6targetE1EEEvS12_.kd
    .uniform_work_group_size: 1
    .uses_dynamic_stack: false
    .vgpr_count:     0
    .vgpr_spill_count: 0
    .wavefront_size: 64
  - .agpr_count:     0
    .args:
      - .offset:         0
        .size:           176
        .value_kind:     by_value
    .group_segment_fixed_size: 0
    .kernarg_segment_align: 8
    .kernarg_segment_size: 176
    .language:       OpenCL C
    .language_version:
      - 2
      - 0
    .max_flat_workgroup_size: 256
    .name:           _ZN7rocprim17ROCPRIM_400000_NS6detail17trampoline_kernelINS0_13select_configILj256ELj13ELNS0_17block_load_methodE3ELS4_3ELS4_3ELNS0_20block_scan_algorithmE0ELj4294967295EEENS1_25partition_config_selectorILNS1_17partition_subalgoE4EjNS0_10empty_typeEbEEZZNS1_14partition_implILS8_4ELb0ES6_15HIP_vector_typeIjLj2EENS0_17counting_iteratorIjlEEPS9_SG_NS0_5tupleIJPjSI_NS0_16reverse_iteratorISI_EEEEENSH_IJSG_SG_SG_EEES9_SI_JZNS1_25segmented_radix_sort_implINS0_14default_configELb1EPKfPfPKlPlN2at6native12_GLOBAL__N_18offset_tEEE10hipError_tPvRmT1_PNSt15iterator_traitsIS12_E10value_typeET2_T3_PNS13_IS18_E10value_typeET4_jRbjT5_S1E_jjP12ihipStream_tbEUljE_ZNSN_ISO_Lb1ESQ_SR_ST_SU_SY_EESZ_S10_S11_S12_S16_S17_S18_S1B_S1C_jS1D_jS1E_S1E_jjS1G_bEUljE0_EEESZ_S10_S11_S18_S1C_S1E_T6_T7_T9_mT8_S1G_bDpT10_ENKUlT_T0_E_clISt17integral_constantIbLb1EES1T_IbLb0EEEEDaS1P_S1Q_EUlS1P_E_NS1_11comp_targetILNS1_3genE2ELNS1_11target_archE906ELNS1_3gpuE6ELNS1_3repE0EEENS1_30default_config_static_selectorELNS0_4arch9wavefront6targetE1EEEvS12_
    .private_segment_fixed_size: 0
    .sgpr_count:     4
    .sgpr_spill_count: 0
    .symbol:         _ZN7rocprim17ROCPRIM_400000_NS6detail17trampoline_kernelINS0_13select_configILj256ELj13ELNS0_17block_load_methodE3ELS4_3ELS4_3ELNS0_20block_scan_algorithmE0ELj4294967295EEENS1_25partition_config_selectorILNS1_17partition_subalgoE4EjNS0_10empty_typeEbEEZZNS1_14partition_implILS8_4ELb0ES6_15HIP_vector_typeIjLj2EENS0_17counting_iteratorIjlEEPS9_SG_NS0_5tupleIJPjSI_NS0_16reverse_iteratorISI_EEEEENSH_IJSG_SG_SG_EEES9_SI_JZNS1_25segmented_radix_sort_implINS0_14default_configELb1EPKfPfPKlPlN2at6native12_GLOBAL__N_18offset_tEEE10hipError_tPvRmT1_PNSt15iterator_traitsIS12_E10value_typeET2_T3_PNS13_IS18_E10value_typeET4_jRbjT5_S1E_jjP12ihipStream_tbEUljE_ZNSN_ISO_Lb1ESQ_SR_ST_SU_SY_EESZ_S10_S11_S12_S16_S17_S18_S1B_S1C_jS1D_jS1E_S1E_jjS1G_bEUljE0_EEESZ_S10_S11_S18_S1C_S1E_T6_T7_T9_mT8_S1G_bDpT10_ENKUlT_T0_E_clISt17integral_constantIbLb1EES1T_IbLb0EEEEDaS1P_S1Q_EUlS1P_E_NS1_11comp_targetILNS1_3genE2ELNS1_11target_archE906ELNS1_3gpuE6ELNS1_3repE0EEENS1_30default_config_static_selectorELNS0_4arch9wavefront6targetE1EEEvS12_.kd
    .uniform_work_group_size: 1
    .uses_dynamic_stack: false
    .vgpr_count:     0
    .vgpr_spill_count: 0
    .wavefront_size: 64
  - .agpr_count:     0
    .args:
      - .offset:         0
        .size:           176
        .value_kind:     by_value
    .group_segment_fixed_size: 0
    .kernarg_segment_align: 8
    .kernarg_segment_size: 176
    .language:       OpenCL C
    .language_version:
      - 2
      - 0
    .max_flat_workgroup_size: 256
    .name:           _ZN7rocprim17ROCPRIM_400000_NS6detail17trampoline_kernelINS0_13select_configILj256ELj13ELNS0_17block_load_methodE3ELS4_3ELS4_3ELNS0_20block_scan_algorithmE0ELj4294967295EEENS1_25partition_config_selectorILNS1_17partition_subalgoE4EjNS0_10empty_typeEbEEZZNS1_14partition_implILS8_4ELb0ES6_15HIP_vector_typeIjLj2EENS0_17counting_iteratorIjlEEPS9_SG_NS0_5tupleIJPjSI_NS0_16reverse_iteratorISI_EEEEENSH_IJSG_SG_SG_EEES9_SI_JZNS1_25segmented_radix_sort_implINS0_14default_configELb1EPKfPfPKlPlN2at6native12_GLOBAL__N_18offset_tEEE10hipError_tPvRmT1_PNSt15iterator_traitsIS12_E10value_typeET2_T3_PNS13_IS18_E10value_typeET4_jRbjT5_S1E_jjP12ihipStream_tbEUljE_ZNSN_ISO_Lb1ESQ_SR_ST_SU_SY_EESZ_S10_S11_S12_S16_S17_S18_S1B_S1C_jS1D_jS1E_S1E_jjS1G_bEUljE0_EEESZ_S10_S11_S18_S1C_S1E_T6_T7_T9_mT8_S1G_bDpT10_ENKUlT_T0_E_clISt17integral_constantIbLb1EES1T_IbLb0EEEEDaS1P_S1Q_EUlS1P_E_NS1_11comp_targetILNS1_3genE10ELNS1_11target_archE1200ELNS1_3gpuE4ELNS1_3repE0EEENS1_30default_config_static_selectorELNS0_4arch9wavefront6targetE1EEEvS12_
    .private_segment_fixed_size: 0
    .sgpr_count:     4
    .sgpr_spill_count: 0
    .symbol:         _ZN7rocprim17ROCPRIM_400000_NS6detail17trampoline_kernelINS0_13select_configILj256ELj13ELNS0_17block_load_methodE3ELS4_3ELS4_3ELNS0_20block_scan_algorithmE0ELj4294967295EEENS1_25partition_config_selectorILNS1_17partition_subalgoE4EjNS0_10empty_typeEbEEZZNS1_14partition_implILS8_4ELb0ES6_15HIP_vector_typeIjLj2EENS0_17counting_iteratorIjlEEPS9_SG_NS0_5tupleIJPjSI_NS0_16reverse_iteratorISI_EEEEENSH_IJSG_SG_SG_EEES9_SI_JZNS1_25segmented_radix_sort_implINS0_14default_configELb1EPKfPfPKlPlN2at6native12_GLOBAL__N_18offset_tEEE10hipError_tPvRmT1_PNSt15iterator_traitsIS12_E10value_typeET2_T3_PNS13_IS18_E10value_typeET4_jRbjT5_S1E_jjP12ihipStream_tbEUljE_ZNSN_ISO_Lb1ESQ_SR_ST_SU_SY_EESZ_S10_S11_S12_S16_S17_S18_S1B_S1C_jS1D_jS1E_S1E_jjS1G_bEUljE0_EEESZ_S10_S11_S18_S1C_S1E_T6_T7_T9_mT8_S1G_bDpT10_ENKUlT_T0_E_clISt17integral_constantIbLb1EES1T_IbLb0EEEEDaS1P_S1Q_EUlS1P_E_NS1_11comp_targetILNS1_3genE10ELNS1_11target_archE1200ELNS1_3gpuE4ELNS1_3repE0EEENS1_30default_config_static_selectorELNS0_4arch9wavefront6targetE1EEEvS12_.kd
    .uniform_work_group_size: 1
    .uses_dynamic_stack: false
    .vgpr_count:     0
    .vgpr_spill_count: 0
    .wavefront_size: 64
  - .agpr_count:     0
    .args:
      - .offset:         0
        .size:           176
        .value_kind:     by_value
    .group_segment_fixed_size: 0
    .kernarg_segment_align: 8
    .kernarg_segment_size: 176
    .language:       OpenCL C
    .language_version:
      - 2
      - 0
    .max_flat_workgroup_size: 256
    .name:           _ZN7rocprim17ROCPRIM_400000_NS6detail17trampoline_kernelINS0_13select_configILj256ELj13ELNS0_17block_load_methodE3ELS4_3ELS4_3ELNS0_20block_scan_algorithmE0ELj4294967295EEENS1_25partition_config_selectorILNS1_17partition_subalgoE4EjNS0_10empty_typeEbEEZZNS1_14partition_implILS8_4ELb0ES6_15HIP_vector_typeIjLj2EENS0_17counting_iteratorIjlEEPS9_SG_NS0_5tupleIJPjSI_NS0_16reverse_iteratorISI_EEEEENSH_IJSG_SG_SG_EEES9_SI_JZNS1_25segmented_radix_sort_implINS0_14default_configELb1EPKfPfPKlPlN2at6native12_GLOBAL__N_18offset_tEEE10hipError_tPvRmT1_PNSt15iterator_traitsIS12_E10value_typeET2_T3_PNS13_IS18_E10value_typeET4_jRbjT5_S1E_jjP12ihipStream_tbEUljE_ZNSN_ISO_Lb1ESQ_SR_ST_SU_SY_EESZ_S10_S11_S12_S16_S17_S18_S1B_S1C_jS1D_jS1E_S1E_jjS1G_bEUljE0_EEESZ_S10_S11_S18_S1C_S1E_T6_T7_T9_mT8_S1G_bDpT10_ENKUlT_T0_E_clISt17integral_constantIbLb1EES1T_IbLb0EEEEDaS1P_S1Q_EUlS1P_E_NS1_11comp_targetILNS1_3genE9ELNS1_11target_archE1100ELNS1_3gpuE3ELNS1_3repE0EEENS1_30default_config_static_selectorELNS0_4arch9wavefront6targetE1EEEvS12_
    .private_segment_fixed_size: 0
    .sgpr_count:     4
    .sgpr_spill_count: 0
    .symbol:         _ZN7rocprim17ROCPRIM_400000_NS6detail17trampoline_kernelINS0_13select_configILj256ELj13ELNS0_17block_load_methodE3ELS4_3ELS4_3ELNS0_20block_scan_algorithmE0ELj4294967295EEENS1_25partition_config_selectorILNS1_17partition_subalgoE4EjNS0_10empty_typeEbEEZZNS1_14partition_implILS8_4ELb0ES6_15HIP_vector_typeIjLj2EENS0_17counting_iteratorIjlEEPS9_SG_NS0_5tupleIJPjSI_NS0_16reverse_iteratorISI_EEEEENSH_IJSG_SG_SG_EEES9_SI_JZNS1_25segmented_radix_sort_implINS0_14default_configELb1EPKfPfPKlPlN2at6native12_GLOBAL__N_18offset_tEEE10hipError_tPvRmT1_PNSt15iterator_traitsIS12_E10value_typeET2_T3_PNS13_IS18_E10value_typeET4_jRbjT5_S1E_jjP12ihipStream_tbEUljE_ZNSN_ISO_Lb1ESQ_SR_ST_SU_SY_EESZ_S10_S11_S12_S16_S17_S18_S1B_S1C_jS1D_jS1E_S1E_jjS1G_bEUljE0_EEESZ_S10_S11_S18_S1C_S1E_T6_T7_T9_mT8_S1G_bDpT10_ENKUlT_T0_E_clISt17integral_constantIbLb1EES1T_IbLb0EEEEDaS1P_S1Q_EUlS1P_E_NS1_11comp_targetILNS1_3genE9ELNS1_11target_archE1100ELNS1_3gpuE3ELNS1_3repE0EEENS1_30default_config_static_selectorELNS0_4arch9wavefront6targetE1EEEvS12_.kd
    .uniform_work_group_size: 1
    .uses_dynamic_stack: false
    .vgpr_count:     0
    .vgpr_spill_count: 0
    .wavefront_size: 64
  - .agpr_count:     0
    .args:
      - .offset:         0
        .size:           176
        .value_kind:     by_value
    .group_segment_fixed_size: 0
    .kernarg_segment_align: 8
    .kernarg_segment_size: 176
    .language:       OpenCL C
    .language_version:
      - 2
      - 0
    .max_flat_workgroup_size: 256
    .name:           _ZN7rocprim17ROCPRIM_400000_NS6detail17trampoline_kernelINS0_13select_configILj256ELj13ELNS0_17block_load_methodE3ELS4_3ELS4_3ELNS0_20block_scan_algorithmE0ELj4294967295EEENS1_25partition_config_selectorILNS1_17partition_subalgoE4EjNS0_10empty_typeEbEEZZNS1_14partition_implILS8_4ELb0ES6_15HIP_vector_typeIjLj2EENS0_17counting_iteratorIjlEEPS9_SG_NS0_5tupleIJPjSI_NS0_16reverse_iteratorISI_EEEEENSH_IJSG_SG_SG_EEES9_SI_JZNS1_25segmented_radix_sort_implINS0_14default_configELb1EPKfPfPKlPlN2at6native12_GLOBAL__N_18offset_tEEE10hipError_tPvRmT1_PNSt15iterator_traitsIS12_E10value_typeET2_T3_PNS13_IS18_E10value_typeET4_jRbjT5_S1E_jjP12ihipStream_tbEUljE_ZNSN_ISO_Lb1ESQ_SR_ST_SU_SY_EESZ_S10_S11_S12_S16_S17_S18_S1B_S1C_jS1D_jS1E_S1E_jjS1G_bEUljE0_EEESZ_S10_S11_S18_S1C_S1E_T6_T7_T9_mT8_S1G_bDpT10_ENKUlT_T0_E_clISt17integral_constantIbLb1EES1T_IbLb0EEEEDaS1P_S1Q_EUlS1P_E_NS1_11comp_targetILNS1_3genE8ELNS1_11target_archE1030ELNS1_3gpuE2ELNS1_3repE0EEENS1_30default_config_static_selectorELNS0_4arch9wavefront6targetE1EEEvS12_
    .private_segment_fixed_size: 0
    .sgpr_count:     4
    .sgpr_spill_count: 0
    .symbol:         _ZN7rocprim17ROCPRIM_400000_NS6detail17trampoline_kernelINS0_13select_configILj256ELj13ELNS0_17block_load_methodE3ELS4_3ELS4_3ELNS0_20block_scan_algorithmE0ELj4294967295EEENS1_25partition_config_selectorILNS1_17partition_subalgoE4EjNS0_10empty_typeEbEEZZNS1_14partition_implILS8_4ELb0ES6_15HIP_vector_typeIjLj2EENS0_17counting_iteratorIjlEEPS9_SG_NS0_5tupleIJPjSI_NS0_16reverse_iteratorISI_EEEEENSH_IJSG_SG_SG_EEES9_SI_JZNS1_25segmented_radix_sort_implINS0_14default_configELb1EPKfPfPKlPlN2at6native12_GLOBAL__N_18offset_tEEE10hipError_tPvRmT1_PNSt15iterator_traitsIS12_E10value_typeET2_T3_PNS13_IS18_E10value_typeET4_jRbjT5_S1E_jjP12ihipStream_tbEUljE_ZNSN_ISO_Lb1ESQ_SR_ST_SU_SY_EESZ_S10_S11_S12_S16_S17_S18_S1B_S1C_jS1D_jS1E_S1E_jjS1G_bEUljE0_EEESZ_S10_S11_S18_S1C_S1E_T6_T7_T9_mT8_S1G_bDpT10_ENKUlT_T0_E_clISt17integral_constantIbLb1EES1T_IbLb0EEEEDaS1P_S1Q_EUlS1P_E_NS1_11comp_targetILNS1_3genE8ELNS1_11target_archE1030ELNS1_3gpuE2ELNS1_3repE0EEENS1_30default_config_static_selectorELNS0_4arch9wavefront6targetE1EEEvS12_.kd
    .uniform_work_group_size: 1
    .uses_dynamic_stack: false
    .vgpr_count:     0
    .vgpr_spill_count: 0
    .wavefront_size: 64
  - .agpr_count:     0
    .args:
      - .offset:         0
        .size:           184
        .value_kind:     by_value
    .group_segment_fixed_size: 0
    .kernarg_segment_align: 8
    .kernarg_segment_size: 184
    .language:       OpenCL C
    .language_version:
      - 2
      - 0
    .max_flat_workgroup_size: 256
    .name:           _ZN7rocprim17ROCPRIM_400000_NS6detail17trampoline_kernelINS0_13select_configILj256ELj13ELNS0_17block_load_methodE3ELS4_3ELS4_3ELNS0_20block_scan_algorithmE0ELj4294967295EEENS1_25partition_config_selectorILNS1_17partition_subalgoE4EjNS0_10empty_typeEbEEZZNS1_14partition_implILS8_4ELb0ES6_15HIP_vector_typeIjLj2EENS0_17counting_iteratorIjlEEPS9_SG_NS0_5tupleIJPjSI_NS0_16reverse_iteratorISI_EEEEENSH_IJSG_SG_SG_EEES9_SI_JZNS1_25segmented_radix_sort_implINS0_14default_configELb1EPKfPfPKlPlN2at6native12_GLOBAL__N_18offset_tEEE10hipError_tPvRmT1_PNSt15iterator_traitsIS12_E10value_typeET2_T3_PNS13_IS18_E10value_typeET4_jRbjT5_S1E_jjP12ihipStream_tbEUljE_ZNSN_ISO_Lb1ESQ_SR_ST_SU_SY_EESZ_S10_S11_S12_S16_S17_S18_S1B_S1C_jS1D_jS1E_S1E_jjS1G_bEUljE0_EEESZ_S10_S11_S18_S1C_S1E_T6_T7_T9_mT8_S1G_bDpT10_ENKUlT_T0_E_clISt17integral_constantIbLb0EES1T_IbLb1EEEEDaS1P_S1Q_EUlS1P_E_NS1_11comp_targetILNS1_3genE0ELNS1_11target_archE4294967295ELNS1_3gpuE0ELNS1_3repE0EEENS1_30default_config_static_selectorELNS0_4arch9wavefront6targetE1EEEvS12_
    .private_segment_fixed_size: 0
    .sgpr_count:     4
    .sgpr_spill_count: 0
    .symbol:         _ZN7rocprim17ROCPRIM_400000_NS6detail17trampoline_kernelINS0_13select_configILj256ELj13ELNS0_17block_load_methodE3ELS4_3ELS4_3ELNS0_20block_scan_algorithmE0ELj4294967295EEENS1_25partition_config_selectorILNS1_17partition_subalgoE4EjNS0_10empty_typeEbEEZZNS1_14partition_implILS8_4ELb0ES6_15HIP_vector_typeIjLj2EENS0_17counting_iteratorIjlEEPS9_SG_NS0_5tupleIJPjSI_NS0_16reverse_iteratorISI_EEEEENSH_IJSG_SG_SG_EEES9_SI_JZNS1_25segmented_radix_sort_implINS0_14default_configELb1EPKfPfPKlPlN2at6native12_GLOBAL__N_18offset_tEEE10hipError_tPvRmT1_PNSt15iterator_traitsIS12_E10value_typeET2_T3_PNS13_IS18_E10value_typeET4_jRbjT5_S1E_jjP12ihipStream_tbEUljE_ZNSN_ISO_Lb1ESQ_SR_ST_SU_SY_EESZ_S10_S11_S12_S16_S17_S18_S1B_S1C_jS1D_jS1E_S1E_jjS1G_bEUljE0_EEESZ_S10_S11_S18_S1C_S1E_T6_T7_T9_mT8_S1G_bDpT10_ENKUlT_T0_E_clISt17integral_constantIbLb0EES1T_IbLb1EEEEDaS1P_S1Q_EUlS1P_E_NS1_11comp_targetILNS1_3genE0ELNS1_11target_archE4294967295ELNS1_3gpuE0ELNS1_3repE0EEENS1_30default_config_static_selectorELNS0_4arch9wavefront6targetE1EEEvS12_.kd
    .uniform_work_group_size: 1
    .uses_dynamic_stack: false
    .vgpr_count:     0
    .vgpr_spill_count: 0
    .wavefront_size: 64
  - .agpr_count:     0
    .args:
      - .offset:         0
        .size:           184
        .value_kind:     by_value
    .group_segment_fixed_size: 0
    .kernarg_segment_align: 8
    .kernarg_segment_size: 184
    .language:       OpenCL C
    .language_version:
      - 2
      - 0
    .max_flat_workgroup_size: 256
    .name:           _ZN7rocprim17ROCPRIM_400000_NS6detail17trampoline_kernelINS0_13select_configILj256ELj13ELNS0_17block_load_methodE3ELS4_3ELS4_3ELNS0_20block_scan_algorithmE0ELj4294967295EEENS1_25partition_config_selectorILNS1_17partition_subalgoE4EjNS0_10empty_typeEbEEZZNS1_14partition_implILS8_4ELb0ES6_15HIP_vector_typeIjLj2EENS0_17counting_iteratorIjlEEPS9_SG_NS0_5tupleIJPjSI_NS0_16reverse_iteratorISI_EEEEENSH_IJSG_SG_SG_EEES9_SI_JZNS1_25segmented_radix_sort_implINS0_14default_configELb1EPKfPfPKlPlN2at6native12_GLOBAL__N_18offset_tEEE10hipError_tPvRmT1_PNSt15iterator_traitsIS12_E10value_typeET2_T3_PNS13_IS18_E10value_typeET4_jRbjT5_S1E_jjP12ihipStream_tbEUljE_ZNSN_ISO_Lb1ESQ_SR_ST_SU_SY_EESZ_S10_S11_S12_S16_S17_S18_S1B_S1C_jS1D_jS1E_S1E_jjS1G_bEUljE0_EEESZ_S10_S11_S18_S1C_S1E_T6_T7_T9_mT8_S1G_bDpT10_ENKUlT_T0_E_clISt17integral_constantIbLb0EES1T_IbLb1EEEEDaS1P_S1Q_EUlS1P_E_NS1_11comp_targetILNS1_3genE5ELNS1_11target_archE942ELNS1_3gpuE9ELNS1_3repE0EEENS1_30default_config_static_selectorELNS0_4arch9wavefront6targetE1EEEvS12_
    .private_segment_fixed_size: 0
    .sgpr_count:     4
    .sgpr_spill_count: 0
    .symbol:         _ZN7rocprim17ROCPRIM_400000_NS6detail17trampoline_kernelINS0_13select_configILj256ELj13ELNS0_17block_load_methodE3ELS4_3ELS4_3ELNS0_20block_scan_algorithmE0ELj4294967295EEENS1_25partition_config_selectorILNS1_17partition_subalgoE4EjNS0_10empty_typeEbEEZZNS1_14partition_implILS8_4ELb0ES6_15HIP_vector_typeIjLj2EENS0_17counting_iteratorIjlEEPS9_SG_NS0_5tupleIJPjSI_NS0_16reverse_iteratorISI_EEEEENSH_IJSG_SG_SG_EEES9_SI_JZNS1_25segmented_radix_sort_implINS0_14default_configELb1EPKfPfPKlPlN2at6native12_GLOBAL__N_18offset_tEEE10hipError_tPvRmT1_PNSt15iterator_traitsIS12_E10value_typeET2_T3_PNS13_IS18_E10value_typeET4_jRbjT5_S1E_jjP12ihipStream_tbEUljE_ZNSN_ISO_Lb1ESQ_SR_ST_SU_SY_EESZ_S10_S11_S12_S16_S17_S18_S1B_S1C_jS1D_jS1E_S1E_jjS1G_bEUljE0_EEESZ_S10_S11_S18_S1C_S1E_T6_T7_T9_mT8_S1G_bDpT10_ENKUlT_T0_E_clISt17integral_constantIbLb0EES1T_IbLb1EEEEDaS1P_S1Q_EUlS1P_E_NS1_11comp_targetILNS1_3genE5ELNS1_11target_archE942ELNS1_3gpuE9ELNS1_3repE0EEENS1_30default_config_static_selectorELNS0_4arch9wavefront6targetE1EEEvS12_.kd
    .uniform_work_group_size: 1
    .uses_dynamic_stack: false
    .vgpr_count:     0
    .vgpr_spill_count: 0
    .wavefront_size: 64
  - .agpr_count:     0
    .args:
      - .offset:         0
        .size:           184
        .value_kind:     by_value
    .group_segment_fixed_size: 13340
    .kernarg_segment_align: 8
    .kernarg_segment_size: 184
    .language:       OpenCL C
    .language_version:
      - 2
      - 0
    .max_flat_workgroup_size: 256
    .name:           _ZN7rocprim17ROCPRIM_400000_NS6detail17trampoline_kernelINS0_13select_configILj256ELj13ELNS0_17block_load_methodE3ELS4_3ELS4_3ELNS0_20block_scan_algorithmE0ELj4294967295EEENS1_25partition_config_selectorILNS1_17partition_subalgoE4EjNS0_10empty_typeEbEEZZNS1_14partition_implILS8_4ELb0ES6_15HIP_vector_typeIjLj2EENS0_17counting_iteratorIjlEEPS9_SG_NS0_5tupleIJPjSI_NS0_16reverse_iteratorISI_EEEEENSH_IJSG_SG_SG_EEES9_SI_JZNS1_25segmented_radix_sort_implINS0_14default_configELb1EPKfPfPKlPlN2at6native12_GLOBAL__N_18offset_tEEE10hipError_tPvRmT1_PNSt15iterator_traitsIS12_E10value_typeET2_T3_PNS13_IS18_E10value_typeET4_jRbjT5_S1E_jjP12ihipStream_tbEUljE_ZNSN_ISO_Lb1ESQ_SR_ST_SU_SY_EESZ_S10_S11_S12_S16_S17_S18_S1B_S1C_jS1D_jS1E_S1E_jjS1G_bEUljE0_EEESZ_S10_S11_S18_S1C_S1E_T6_T7_T9_mT8_S1G_bDpT10_ENKUlT_T0_E_clISt17integral_constantIbLb0EES1T_IbLb1EEEEDaS1P_S1Q_EUlS1P_E_NS1_11comp_targetILNS1_3genE4ELNS1_11target_archE910ELNS1_3gpuE8ELNS1_3repE0EEENS1_30default_config_static_selectorELNS0_4arch9wavefront6targetE1EEEvS12_
    .private_segment_fixed_size: 0
    .sgpr_count:     91
    .sgpr_spill_count: 0
    .symbol:         _ZN7rocprim17ROCPRIM_400000_NS6detail17trampoline_kernelINS0_13select_configILj256ELj13ELNS0_17block_load_methodE3ELS4_3ELS4_3ELNS0_20block_scan_algorithmE0ELj4294967295EEENS1_25partition_config_selectorILNS1_17partition_subalgoE4EjNS0_10empty_typeEbEEZZNS1_14partition_implILS8_4ELb0ES6_15HIP_vector_typeIjLj2EENS0_17counting_iteratorIjlEEPS9_SG_NS0_5tupleIJPjSI_NS0_16reverse_iteratorISI_EEEEENSH_IJSG_SG_SG_EEES9_SI_JZNS1_25segmented_radix_sort_implINS0_14default_configELb1EPKfPfPKlPlN2at6native12_GLOBAL__N_18offset_tEEE10hipError_tPvRmT1_PNSt15iterator_traitsIS12_E10value_typeET2_T3_PNS13_IS18_E10value_typeET4_jRbjT5_S1E_jjP12ihipStream_tbEUljE_ZNSN_ISO_Lb1ESQ_SR_ST_SU_SY_EESZ_S10_S11_S12_S16_S17_S18_S1B_S1C_jS1D_jS1E_S1E_jjS1G_bEUljE0_EEESZ_S10_S11_S18_S1C_S1E_T6_T7_T9_mT8_S1G_bDpT10_ENKUlT_T0_E_clISt17integral_constantIbLb0EES1T_IbLb1EEEEDaS1P_S1Q_EUlS1P_E_NS1_11comp_targetILNS1_3genE4ELNS1_11target_archE910ELNS1_3gpuE8ELNS1_3repE0EEENS1_30default_config_static_selectorELNS0_4arch9wavefront6targetE1EEEvS12_.kd
    .uniform_work_group_size: 1
    .uses_dynamic_stack: false
    .vgpr_count:     107
    .vgpr_spill_count: 0
    .wavefront_size: 64
  - .agpr_count:     0
    .args:
      - .offset:         0
        .size:           184
        .value_kind:     by_value
    .group_segment_fixed_size: 0
    .kernarg_segment_align: 8
    .kernarg_segment_size: 184
    .language:       OpenCL C
    .language_version:
      - 2
      - 0
    .max_flat_workgroup_size: 256
    .name:           _ZN7rocprim17ROCPRIM_400000_NS6detail17trampoline_kernelINS0_13select_configILj256ELj13ELNS0_17block_load_methodE3ELS4_3ELS4_3ELNS0_20block_scan_algorithmE0ELj4294967295EEENS1_25partition_config_selectorILNS1_17partition_subalgoE4EjNS0_10empty_typeEbEEZZNS1_14partition_implILS8_4ELb0ES6_15HIP_vector_typeIjLj2EENS0_17counting_iteratorIjlEEPS9_SG_NS0_5tupleIJPjSI_NS0_16reverse_iteratorISI_EEEEENSH_IJSG_SG_SG_EEES9_SI_JZNS1_25segmented_radix_sort_implINS0_14default_configELb1EPKfPfPKlPlN2at6native12_GLOBAL__N_18offset_tEEE10hipError_tPvRmT1_PNSt15iterator_traitsIS12_E10value_typeET2_T3_PNS13_IS18_E10value_typeET4_jRbjT5_S1E_jjP12ihipStream_tbEUljE_ZNSN_ISO_Lb1ESQ_SR_ST_SU_SY_EESZ_S10_S11_S12_S16_S17_S18_S1B_S1C_jS1D_jS1E_S1E_jjS1G_bEUljE0_EEESZ_S10_S11_S18_S1C_S1E_T6_T7_T9_mT8_S1G_bDpT10_ENKUlT_T0_E_clISt17integral_constantIbLb0EES1T_IbLb1EEEEDaS1P_S1Q_EUlS1P_E_NS1_11comp_targetILNS1_3genE3ELNS1_11target_archE908ELNS1_3gpuE7ELNS1_3repE0EEENS1_30default_config_static_selectorELNS0_4arch9wavefront6targetE1EEEvS12_
    .private_segment_fixed_size: 0
    .sgpr_count:     4
    .sgpr_spill_count: 0
    .symbol:         _ZN7rocprim17ROCPRIM_400000_NS6detail17trampoline_kernelINS0_13select_configILj256ELj13ELNS0_17block_load_methodE3ELS4_3ELS4_3ELNS0_20block_scan_algorithmE0ELj4294967295EEENS1_25partition_config_selectorILNS1_17partition_subalgoE4EjNS0_10empty_typeEbEEZZNS1_14partition_implILS8_4ELb0ES6_15HIP_vector_typeIjLj2EENS0_17counting_iteratorIjlEEPS9_SG_NS0_5tupleIJPjSI_NS0_16reverse_iteratorISI_EEEEENSH_IJSG_SG_SG_EEES9_SI_JZNS1_25segmented_radix_sort_implINS0_14default_configELb1EPKfPfPKlPlN2at6native12_GLOBAL__N_18offset_tEEE10hipError_tPvRmT1_PNSt15iterator_traitsIS12_E10value_typeET2_T3_PNS13_IS18_E10value_typeET4_jRbjT5_S1E_jjP12ihipStream_tbEUljE_ZNSN_ISO_Lb1ESQ_SR_ST_SU_SY_EESZ_S10_S11_S12_S16_S17_S18_S1B_S1C_jS1D_jS1E_S1E_jjS1G_bEUljE0_EEESZ_S10_S11_S18_S1C_S1E_T6_T7_T9_mT8_S1G_bDpT10_ENKUlT_T0_E_clISt17integral_constantIbLb0EES1T_IbLb1EEEEDaS1P_S1Q_EUlS1P_E_NS1_11comp_targetILNS1_3genE3ELNS1_11target_archE908ELNS1_3gpuE7ELNS1_3repE0EEENS1_30default_config_static_selectorELNS0_4arch9wavefront6targetE1EEEvS12_.kd
    .uniform_work_group_size: 1
    .uses_dynamic_stack: false
    .vgpr_count:     0
    .vgpr_spill_count: 0
    .wavefront_size: 64
  - .agpr_count:     0
    .args:
      - .offset:         0
        .size:           184
        .value_kind:     by_value
    .group_segment_fixed_size: 0
    .kernarg_segment_align: 8
    .kernarg_segment_size: 184
    .language:       OpenCL C
    .language_version:
      - 2
      - 0
    .max_flat_workgroup_size: 256
    .name:           _ZN7rocprim17ROCPRIM_400000_NS6detail17trampoline_kernelINS0_13select_configILj256ELj13ELNS0_17block_load_methodE3ELS4_3ELS4_3ELNS0_20block_scan_algorithmE0ELj4294967295EEENS1_25partition_config_selectorILNS1_17partition_subalgoE4EjNS0_10empty_typeEbEEZZNS1_14partition_implILS8_4ELb0ES6_15HIP_vector_typeIjLj2EENS0_17counting_iteratorIjlEEPS9_SG_NS0_5tupleIJPjSI_NS0_16reverse_iteratorISI_EEEEENSH_IJSG_SG_SG_EEES9_SI_JZNS1_25segmented_radix_sort_implINS0_14default_configELb1EPKfPfPKlPlN2at6native12_GLOBAL__N_18offset_tEEE10hipError_tPvRmT1_PNSt15iterator_traitsIS12_E10value_typeET2_T3_PNS13_IS18_E10value_typeET4_jRbjT5_S1E_jjP12ihipStream_tbEUljE_ZNSN_ISO_Lb1ESQ_SR_ST_SU_SY_EESZ_S10_S11_S12_S16_S17_S18_S1B_S1C_jS1D_jS1E_S1E_jjS1G_bEUljE0_EEESZ_S10_S11_S18_S1C_S1E_T6_T7_T9_mT8_S1G_bDpT10_ENKUlT_T0_E_clISt17integral_constantIbLb0EES1T_IbLb1EEEEDaS1P_S1Q_EUlS1P_E_NS1_11comp_targetILNS1_3genE2ELNS1_11target_archE906ELNS1_3gpuE6ELNS1_3repE0EEENS1_30default_config_static_selectorELNS0_4arch9wavefront6targetE1EEEvS12_
    .private_segment_fixed_size: 0
    .sgpr_count:     4
    .sgpr_spill_count: 0
    .symbol:         _ZN7rocprim17ROCPRIM_400000_NS6detail17trampoline_kernelINS0_13select_configILj256ELj13ELNS0_17block_load_methodE3ELS4_3ELS4_3ELNS0_20block_scan_algorithmE0ELj4294967295EEENS1_25partition_config_selectorILNS1_17partition_subalgoE4EjNS0_10empty_typeEbEEZZNS1_14partition_implILS8_4ELb0ES6_15HIP_vector_typeIjLj2EENS0_17counting_iteratorIjlEEPS9_SG_NS0_5tupleIJPjSI_NS0_16reverse_iteratorISI_EEEEENSH_IJSG_SG_SG_EEES9_SI_JZNS1_25segmented_radix_sort_implINS0_14default_configELb1EPKfPfPKlPlN2at6native12_GLOBAL__N_18offset_tEEE10hipError_tPvRmT1_PNSt15iterator_traitsIS12_E10value_typeET2_T3_PNS13_IS18_E10value_typeET4_jRbjT5_S1E_jjP12ihipStream_tbEUljE_ZNSN_ISO_Lb1ESQ_SR_ST_SU_SY_EESZ_S10_S11_S12_S16_S17_S18_S1B_S1C_jS1D_jS1E_S1E_jjS1G_bEUljE0_EEESZ_S10_S11_S18_S1C_S1E_T6_T7_T9_mT8_S1G_bDpT10_ENKUlT_T0_E_clISt17integral_constantIbLb0EES1T_IbLb1EEEEDaS1P_S1Q_EUlS1P_E_NS1_11comp_targetILNS1_3genE2ELNS1_11target_archE906ELNS1_3gpuE6ELNS1_3repE0EEENS1_30default_config_static_selectorELNS0_4arch9wavefront6targetE1EEEvS12_.kd
    .uniform_work_group_size: 1
    .uses_dynamic_stack: false
    .vgpr_count:     0
    .vgpr_spill_count: 0
    .wavefront_size: 64
  - .agpr_count:     0
    .args:
      - .offset:         0
        .size:           184
        .value_kind:     by_value
    .group_segment_fixed_size: 0
    .kernarg_segment_align: 8
    .kernarg_segment_size: 184
    .language:       OpenCL C
    .language_version:
      - 2
      - 0
    .max_flat_workgroup_size: 256
    .name:           _ZN7rocprim17ROCPRIM_400000_NS6detail17trampoline_kernelINS0_13select_configILj256ELj13ELNS0_17block_load_methodE3ELS4_3ELS4_3ELNS0_20block_scan_algorithmE0ELj4294967295EEENS1_25partition_config_selectorILNS1_17partition_subalgoE4EjNS0_10empty_typeEbEEZZNS1_14partition_implILS8_4ELb0ES6_15HIP_vector_typeIjLj2EENS0_17counting_iteratorIjlEEPS9_SG_NS0_5tupleIJPjSI_NS0_16reverse_iteratorISI_EEEEENSH_IJSG_SG_SG_EEES9_SI_JZNS1_25segmented_radix_sort_implINS0_14default_configELb1EPKfPfPKlPlN2at6native12_GLOBAL__N_18offset_tEEE10hipError_tPvRmT1_PNSt15iterator_traitsIS12_E10value_typeET2_T3_PNS13_IS18_E10value_typeET4_jRbjT5_S1E_jjP12ihipStream_tbEUljE_ZNSN_ISO_Lb1ESQ_SR_ST_SU_SY_EESZ_S10_S11_S12_S16_S17_S18_S1B_S1C_jS1D_jS1E_S1E_jjS1G_bEUljE0_EEESZ_S10_S11_S18_S1C_S1E_T6_T7_T9_mT8_S1G_bDpT10_ENKUlT_T0_E_clISt17integral_constantIbLb0EES1T_IbLb1EEEEDaS1P_S1Q_EUlS1P_E_NS1_11comp_targetILNS1_3genE10ELNS1_11target_archE1200ELNS1_3gpuE4ELNS1_3repE0EEENS1_30default_config_static_selectorELNS0_4arch9wavefront6targetE1EEEvS12_
    .private_segment_fixed_size: 0
    .sgpr_count:     4
    .sgpr_spill_count: 0
    .symbol:         _ZN7rocprim17ROCPRIM_400000_NS6detail17trampoline_kernelINS0_13select_configILj256ELj13ELNS0_17block_load_methodE3ELS4_3ELS4_3ELNS0_20block_scan_algorithmE0ELj4294967295EEENS1_25partition_config_selectorILNS1_17partition_subalgoE4EjNS0_10empty_typeEbEEZZNS1_14partition_implILS8_4ELb0ES6_15HIP_vector_typeIjLj2EENS0_17counting_iteratorIjlEEPS9_SG_NS0_5tupleIJPjSI_NS0_16reverse_iteratorISI_EEEEENSH_IJSG_SG_SG_EEES9_SI_JZNS1_25segmented_radix_sort_implINS0_14default_configELb1EPKfPfPKlPlN2at6native12_GLOBAL__N_18offset_tEEE10hipError_tPvRmT1_PNSt15iterator_traitsIS12_E10value_typeET2_T3_PNS13_IS18_E10value_typeET4_jRbjT5_S1E_jjP12ihipStream_tbEUljE_ZNSN_ISO_Lb1ESQ_SR_ST_SU_SY_EESZ_S10_S11_S12_S16_S17_S18_S1B_S1C_jS1D_jS1E_S1E_jjS1G_bEUljE0_EEESZ_S10_S11_S18_S1C_S1E_T6_T7_T9_mT8_S1G_bDpT10_ENKUlT_T0_E_clISt17integral_constantIbLb0EES1T_IbLb1EEEEDaS1P_S1Q_EUlS1P_E_NS1_11comp_targetILNS1_3genE10ELNS1_11target_archE1200ELNS1_3gpuE4ELNS1_3repE0EEENS1_30default_config_static_selectorELNS0_4arch9wavefront6targetE1EEEvS12_.kd
    .uniform_work_group_size: 1
    .uses_dynamic_stack: false
    .vgpr_count:     0
    .vgpr_spill_count: 0
    .wavefront_size: 64
  - .agpr_count:     0
    .args:
      - .offset:         0
        .size:           184
        .value_kind:     by_value
    .group_segment_fixed_size: 0
    .kernarg_segment_align: 8
    .kernarg_segment_size: 184
    .language:       OpenCL C
    .language_version:
      - 2
      - 0
    .max_flat_workgroup_size: 256
    .name:           _ZN7rocprim17ROCPRIM_400000_NS6detail17trampoline_kernelINS0_13select_configILj256ELj13ELNS0_17block_load_methodE3ELS4_3ELS4_3ELNS0_20block_scan_algorithmE0ELj4294967295EEENS1_25partition_config_selectorILNS1_17partition_subalgoE4EjNS0_10empty_typeEbEEZZNS1_14partition_implILS8_4ELb0ES6_15HIP_vector_typeIjLj2EENS0_17counting_iteratorIjlEEPS9_SG_NS0_5tupleIJPjSI_NS0_16reverse_iteratorISI_EEEEENSH_IJSG_SG_SG_EEES9_SI_JZNS1_25segmented_radix_sort_implINS0_14default_configELb1EPKfPfPKlPlN2at6native12_GLOBAL__N_18offset_tEEE10hipError_tPvRmT1_PNSt15iterator_traitsIS12_E10value_typeET2_T3_PNS13_IS18_E10value_typeET4_jRbjT5_S1E_jjP12ihipStream_tbEUljE_ZNSN_ISO_Lb1ESQ_SR_ST_SU_SY_EESZ_S10_S11_S12_S16_S17_S18_S1B_S1C_jS1D_jS1E_S1E_jjS1G_bEUljE0_EEESZ_S10_S11_S18_S1C_S1E_T6_T7_T9_mT8_S1G_bDpT10_ENKUlT_T0_E_clISt17integral_constantIbLb0EES1T_IbLb1EEEEDaS1P_S1Q_EUlS1P_E_NS1_11comp_targetILNS1_3genE9ELNS1_11target_archE1100ELNS1_3gpuE3ELNS1_3repE0EEENS1_30default_config_static_selectorELNS0_4arch9wavefront6targetE1EEEvS12_
    .private_segment_fixed_size: 0
    .sgpr_count:     4
    .sgpr_spill_count: 0
    .symbol:         _ZN7rocprim17ROCPRIM_400000_NS6detail17trampoline_kernelINS0_13select_configILj256ELj13ELNS0_17block_load_methodE3ELS4_3ELS4_3ELNS0_20block_scan_algorithmE0ELj4294967295EEENS1_25partition_config_selectorILNS1_17partition_subalgoE4EjNS0_10empty_typeEbEEZZNS1_14partition_implILS8_4ELb0ES6_15HIP_vector_typeIjLj2EENS0_17counting_iteratorIjlEEPS9_SG_NS0_5tupleIJPjSI_NS0_16reverse_iteratorISI_EEEEENSH_IJSG_SG_SG_EEES9_SI_JZNS1_25segmented_radix_sort_implINS0_14default_configELb1EPKfPfPKlPlN2at6native12_GLOBAL__N_18offset_tEEE10hipError_tPvRmT1_PNSt15iterator_traitsIS12_E10value_typeET2_T3_PNS13_IS18_E10value_typeET4_jRbjT5_S1E_jjP12ihipStream_tbEUljE_ZNSN_ISO_Lb1ESQ_SR_ST_SU_SY_EESZ_S10_S11_S12_S16_S17_S18_S1B_S1C_jS1D_jS1E_S1E_jjS1G_bEUljE0_EEESZ_S10_S11_S18_S1C_S1E_T6_T7_T9_mT8_S1G_bDpT10_ENKUlT_T0_E_clISt17integral_constantIbLb0EES1T_IbLb1EEEEDaS1P_S1Q_EUlS1P_E_NS1_11comp_targetILNS1_3genE9ELNS1_11target_archE1100ELNS1_3gpuE3ELNS1_3repE0EEENS1_30default_config_static_selectorELNS0_4arch9wavefront6targetE1EEEvS12_.kd
    .uniform_work_group_size: 1
    .uses_dynamic_stack: false
    .vgpr_count:     0
    .vgpr_spill_count: 0
    .wavefront_size: 64
  - .agpr_count:     0
    .args:
      - .offset:         0
        .size:           184
        .value_kind:     by_value
    .group_segment_fixed_size: 0
    .kernarg_segment_align: 8
    .kernarg_segment_size: 184
    .language:       OpenCL C
    .language_version:
      - 2
      - 0
    .max_flat_workgroup_size: 256
    .name:           _ZN7rocprim17ROCPRIM_400000_NS6detail17trampoline_kernelINS0_13select_configILj256ELj13ELNS0_17block_load_methodE3ELS4_3ELS4_3ELNS0_20block_scan_algorithmE0ELj4294967295EEENS1_25partition_config_selectorILNS1_17partition_subalgoE4EjNS0_10empty_typeEbEEZZNS1_14partition_implILS8_4ELb0ES6_15HIP_vector_typeIjLj2EENS0_17counting_iteratorIjlEEPS9_SG_NS0_5tupleIJPjSI_NS0_16reverse_iteratorISI_EEEEENSH_IJSG_SG_SG_EEES9_SI_JZNS1_25segmented_radix_sort_implINS0_14default_configELb1EPKfPfPKlPlN2at6native12_GLOBAL__N_18offset_tEEE10hipError_tPvRmT1_PNSt15iterator_traitsIS12_E10value_typeET2_T3_PNS13_IS18_E10value_typeET4_jRbjT5_S1E_jjP12ihipStream_tbEUljE_ZNSN_ISO_Lb1ESQ_SR_ST_SU_SY_EESZ_S10_S11_S12_S16_S17_S18_S1B_S1C_jS1D_jS1E_S1E_jjS1G_bEUljE0_EEESZ_S10_S11_S18_S1C_S1E_T6_T7_T9_mT8_S1G_bDpT10_ENKUlT_T0_E_clISt17integral_constantIbLb0EES1T_IbLb1EEEEDaS1P_S1Q_EUlS1P_E_NS1_11comp_targetILNS1_3genE8ELNS1_11target_archE1030ELNS1_3gpuE2ELNS1_3repE0EEENS1_30default_config_static_selectorELNS0_4arch9wavefront6targetE1EEEvS12_
    .private_segment_fixed_size: 0
    .sgpr_count:     4
    .sgpr_spill_count: 0
    .symbol:         _ZN7rocprim17ROCPRIM_400000_NS6detail17trampoline_kernelINS0_13select_configILj256ELj13ELNS0_17block_load_methodE3ELS4_3ELS4_3ELNS0_20block_scan_algorithmE0ELj4294967295EEENS1_25partition_config_selectorILNS1_17partition_subalgoE4EjNS0_10empty_typeEbEEZZNS1_14partition_implILS8_4ELb0ES6_15HIP_vector_typeIjLj2EENS0_17counting_iteratorIjlEEPS9_SG_NS0_5tupleIJPjSI_NS0_16reverse_iteratorISI_EEEEENSH_IJSG_SG_SG_EEES9_SI_JZNS1_25segmented_radix_sort_implINS0_14default_configELb1EPKfPfPKlPlN2at6native12_GLOBAL__N_18offset_tEEE10hipError_tPvRmT1_PNSt15iterator_traitsIS12_E10value_typeET2_T3_PNS13_IS18_E10value_typeET4_jRbjT5_S1E_jjP12ihipStream_tbEUljE_ZNSN_ISO_Lb1ESQ_SR_ST_SU_SY_EESZ_S10_S11_S12_S16_S17_S18_S1B_S1C_jS1D_jS1E_S1E_jjS1G_bEUljE0_EEESZ_S10_S11_S18_S1C_S1E_T6_T7_T9_mT8_S1G_bDpT10_ENKUlT_T0_E_clISt17integral_constantIbLb0EES1T_IbLb1EEEEDaS1P_S1Q_EUlS1P_E_NS1_11comp_targetILNS1_3genE8ELNS1_11target_archE1030ELNS1_3gpuE2ELNS1_3repE0EEENS1_30default_config_static_selectorELNS0_4arch9wavefront6targetE1EEEvS12_.kd
    .uniform_work_group_size: 1
    .uses_dynamic_stack: false
    .vgpr_count:     0
    .vgpr_spill_count: 0
    .wavefront_size: 64
  - .agpr_count:     0
    .args:
      - .offset:         0
        .size:           144
        .value_kind:     by_value
    .group_segment_fixed_size: 0
    .kernarg_segment_align: 8
    .kernarg_segment_size: 144
    .language:       OpenCL C
    .language_version:
      - 2
      - 0
    .max_flat_workgroup_size: 256
    .name:           _ZN7rocprim17ROCPRIM_400000_NS6detail17trampoline_kernelINS0_13select_configILj256ELj13ELNS0_17block_load_methodE3ELS4_3ELS4_3ELNS0_20block_scan_algorithmE0ELj4294967295EEENS1_25partition_config_selectorILNS1_17partition_subalgoE3EjNS0_10empty_typeEbEEZZNS1_14partition_implILS8_3ELb0ES6_jNS0_17counting_iteratorIjlEEPS9_SE_NS0_5tupleIJPjSE_EEENSF_IJSE_SE_EEES9_SG_JZNS1_25segmented_radix_sort_implINS0_14default_configELb1EPKfPfPKlPlN2at6native12_GLOBAL__N_18offset_tEEE10hipError_tPvRmT1_PNSt15iterator_traitsISY_E10value_typeET2_T3_PNSZ_IS14_E10value_typeET4_jRbjT5_S1A_jjP12ihipStream_tbEUljE_EEESV_SW_SX_S14_S18_S1A_T6_T7_T9_mT8_S1C_bDpT10_ENKUlT_T0_E_clISt17integral_constantIbLb0EES1P_EEDaS1K_S1L_EUlS1K_E_NS1_11comp_targetILNS1_3genE0ELNS1_11target_archE4294967295ELNS1_3gpuE0ELNS1_3repE0EEENS1_30default_config_static_selectorELNS0_4arch9wavefront6targetE1EEEvSY_
    .private_segment_fixed_size: 0
    .sgpr_count:     4
    .sgpr_spill_count: 0
    .symbol:         _ZN7rocprim17ROCPRIM_400000_NS6detail17trampoline_kernelINS0_13select_configILj256ELj13ELNS0_17block_load_methodE3ELS4_3ELS4_3ELNS0_20block_scan_algorithmE0ELj4294967295EEENS1_25partition_config_selectorILNS1_17partition_subalgoE3EjNS0_10empty_typeEbEEZZNS1_14partition_implILS8_3ELb0ES6_jNS0_17counting_iteratorIjlEEPS9_SE_NS0_5tupleIJPjSE_EEENSF_IJSE_SE_EEES9_SG_JZNS1_25segmented_radix_sort_implINS0_14default_configELb1EPKfPfPKlPlN2at6native12_GLOBAL__N_18offset_tEEE10hipError_tPvRmT1_PNSt15iterator_traitsISY_E10value_typeET2_T3_PNSZ_IS14_E10value_typeET4_jRbjT5_S1A_jjP12ihipStream_tbEUljE_EEESV_SW_SX_S14_S18_S1A_T6_T7_T9_mT8_S1C_bDpT10_ENKUlT_T0_E_clISt17integral_constantIbLb0EES1P_EEDaS1K_S1L_EUlS1K_E_NS1_11comp_targetILNS1_3genE0ELNS1_11target_archE4294967295ELNS1_3gpuE0ELNS1_3repE0EEENS1_30default_config_static_selectorELNS0_4arch9wavefront6targetE1EEEvSY_.kd
    .uniform_work_group_size: 1
    .uses_dynamic_stack: false
    .vgpr_count:     0
    .vgpr_spill_count: 0
    .wavefront_size: 64
  - .agpr_count:     0
    .args:
      - .offset:         0
        .size:           144
        .value_kind:     by_value
    .group_segment_fixed_size: 0
    .kernarg_segment_align: 8
    .kernarg_segment_size: 144
    .language:       OpenCL C
    .language_version:
      - 2
      - 0
    .max_flat_workgroup_size: 256
    .name:           _ZN7rocprim17ROCPRIM_400000_NS6detail17trampoline_kernelINS0_13select_configILj256ELj13ELNS0_17block_load_methodE3ELS4_3ELS4_3ELNS0_20block_scan_algorithmE0ELj4294967295EEENS1_25partition_config_selectorILNS1_17partition_subalgoE3EjNS0_10empty_typeEbEEZZNS1_14partition_implILS8_3ELb0ES6_jNS0_17counting_iteratorIjlEEPS9_SE_NS0_5tupleIJPjSE_EEENSF_IJSE_SE_EEES9_SG_JZNS1_25segmented_radix_sort_implINS0_14default_configELb1EPKfPfPKlPlN2at6native12_GLOBAL__N_18offset_tEEE10hipError_tPvRmT1_PNSt15iterator_traitsISY_E10value_typeET2_T3_PNSZ_IS14_E10value_typeET4_jRbjT5_S1A_jjP12ihipStream_tbEUljE_EEESV_SW_SX_S14_S18_S1A_T6_T7_T9_mT8_S1C_bDpT10_ENKUlT_T0_E_clISt17integral_constantIbLb0EES1P_EEDaS1K_S1L_EUlS1K_E_NS1_11comp_targetILNS1_3genE5ELNS1_11target_archE942ELNS1_3gpuE9ELNS1_3repE0EEENS1_30default_config_static_selectorELNS0_4arch9wavefront6targetE1EEEvSY_
    .private_segment_fixed_size: 0
    .sgpr_count:     4
    .sgpr_spill_count: 0
    .symbol:         _ZN7rocprim17ROCPRIM_400000_NS6detail17trampoline_kernelINS0_13select_configILj256ELj13ELNS0_17block_load_methodE3ELS4_3ELS4_3ELNS0_20block_scan_algorithmE0ELj4294967295EEENS1_25partition_config_selectorILNS1_17partition_subalgoE3EjNS0_10empty_typeEbEEZZNS1_14partition_implILS8_3ELb0ES6_jNS0_17counting_iteratorIjlEEPS9_SE_NS0_5tupleIJPjSE_EEENSF_IJSE_SE_EEES9_SG_JZNS1_25segmented_radix_sort_implINS0_14default_configELb1EPKfPfPKlPlN2at6native12_GLOBAL__N_18offset_tEEE10hipError_tPvRmT1_PNSt15iterator_traitsISY_E10value_typeET2_T3_PNSZ_IS14_E10value_typeET4_jRbjT5_S1A_jjP12ihipStream_tbEUljE_EEESV_SW_SX_S14_S18_S1A_T6_T7_T9_mT8_S1C_bDpT10_ENKUlT_T0_E_clISt17integral_constantIbLb0EES1P_EEDaS1K_S1L_EUlS1K_E_NS1_11comp_targetILNS1_3genE5ELNS1_11target_archE942ELNS1_3gpuE9ELNS1_3repE0EEENS1_30default_config_static_selectorELNS0_4arch9wavefront6targetE1EEEvSY_.kd
    .uniform_work_group_size: 1
    .uses_dynamic_stack: false
    .vgpr_count:     0
    .vgpr_spill_count: 0
    .wavefront_size: 64
  - .agpr_count:     0
    .args:
      - .offset:         0
        .size:           144
        .value_kind:     by_value
    .group_segment_fixed_size: 13324
    .kernarg_segment_align: 8
    .kernarg_segment_size: 144
    .language:       OpenCL C
    .language_version:
      - 2
      - 0
    .max_flat_workgroup_size: 256
    .name:           _ZN7rocprim17ROCPRIM_400000_NS6detail17trampoline_kernelINS0_13select_configILj256ELj13ELNS0_17block_load_methodE3ELS4_3ELS4_3ELNS0_20block_scan_algorithmE0ELj4294967295EEENS1_25partition_config_selectorILNS1_17partition_subalgoE3EjNS0_10empty_typeEbEEZZNS1_14partition_implILS8_3ELb0ES6_jNS0_17counting_iteratorIjlEEPS9_SE_NS0_5tupleIJPjSE_EEENSF_IJSE_SE_EEES9_SG_JZNS1_25segmented_radix_sort_implINS0_14default_configELb1EPKfPfPKlPlN2at6native12_GLOBAL__N_18offset_tEEE10hipError_tPvRmT1_PNSt15iterator_traitsISY_E10value_typeET2_T3_PNSZ_IS14_E10value_typeET4_jRbjT5_S1A_jjP12ihipStream_tbEUljE_EEESV_SW_SX_S14_S18_S1A_T6_T7_T9_mT8_S1C_bDpT10_ENKUlT_T0_E_clISt17integral_constantIbLb0EES1P_EEDaS1K_S1L_EUlS1K_E_NS1_11comp_targetILNS1_3genE4ELNS1_11target_archE910ELNS1_3gpuE8ELNS1_3repE0EEENS1_30default_config_static_selectorELNS0_4arch9wavefront6targetE1EEEvSY_
    .private_segment_fixed_size: 0
    .sgpr_count:     50
    .sgpr_spill_count: 0
    .symbol:         _ZN7rocprim17ROCPRIM_400000_NS6detail17trampoline_kernelINS0_13select_configILj256ELj13ELNS0_17block_load_methodE3ELS4_3ELS4_3ELNS0_20block_scan_algorithmE0ELj4294967295EEENS1_25partition_config_selectorILNS1_17partition_subalgoE3EjNS0_10empty_typeEbEEZZNS1_14partition_implILS8_3ELb0ES6_jNS0_17counting_iteratorIjlEEPS9_SE_NS0_5tupleIJPjSE_EEENSF_IJSE_SE_EEES9_SG_JZNS1_25segmented_radix_sort_implINS0_14default_configELb1EPKfPfPKlPlN2at6native12_GLOBAL__N_18offset_tEEE10hipError_tPvRmT1_PNSt15iterator_traitsISY_E10value_typeET2_T3_PNSZ_IS14_E10value_typeET4_jRbjT5_S1A_jjP12ihipStream_tbEUljE_EEESV_SW_SX_S14_S18_S1A_T6_T7_T9_mT8_S1C_bDpT10_ENKUlT_T0_E_clISt17integral_constantIbLb0EES1P_EEDaS1K_S1L_EUlS1K_E_NS1_11comp_targetILNS1_3genE4ELNS1_11target_archE910ELNS1_3gpuE8ELNS1_3repE0EEENS1_30default_config_static_selectorELNS0_4arch9wavefront6targetE1EEEvSY_.kd
    .uniform_work_group_size: 1
    .uses_dynamic_stack: false
    .vgpr_count:     61
    .vgpr_spill_count: 0
    .wavefront_size: 64
  - .agpr_count:     0
    .args:
      - .offset:         0
        .size:           144
        .value_kind:     by_value
    .group_segment_fixed_size: 0
    .kernarg_segment_align: 8
    .kernarg_segment_size: 144
    .language:       OpenCL C
    .language_version:
      - 2
      - 0
    .max_flat_workgroup_size: 256
    .name:           _ZN7rocprim17ROCPRIM_400000_NS6detail17trampoline_kernelINS0_13select_configILj256ELj13ELNS0_17block_load_methodE3ELS4_3ELS4_3ELNS0_20block_scan_algorithmE0ELj4294967295EEENS1_25partition_config_selectorILNS1_17partition_subalgoE3EjNS0_10empty_typeEbEEZZNS1_14partition_implILS8_3ELb0ES6_jNS0_17counting_iteratorIjlEEPS9_SE_NS0_5tupleIJPjSE_EEENSF_IJSE_SE_EEES9_SG_JZNS1_25segmented_radix_sort_implINS0_14default_configELb1EPKfPfPKlPlN2at6native12_GLOBAL__N_18offset_tEEE10hipError_tPvRmT1_PNSt15iterator_traitsISY_E10value_typeET2_T3_PNSZ_IS14_E10value_typeET4_jRbjT5_S1A_jjP12ihipStream_tbEUljE_EEESV_SW_SX_S14_S18_S1A_T6_T7_T9_mT8_S1C_bDpT10_ENKUlT_T0_E_clISt17integral_constantIbLb0EES1P_EEDaS1K_S1L_EUlS1K_E_NS1_11comp_targetILNS1_3genE3ELNS1_11target_archE908ELNS1_3gpuE7ELNS1_3repE0EEENS1_30default_config_static_selectorELNS0_4arch9wavefront6targetE1EEEvSY_
    .private_segment_fixed_size: 0
    .sgpr_count:     4
    .sgpr_spill_count: 0
    .symbol:         _ZN7rocprim17ROCPRIM_400000_NS6detail17trampoline_kernelINS0_13select_configILj256ELj13ELNS0_17block_load_methodE3ELS4_3ELS4_3ELNS0_20block_scan_algorithmE0ELj4294967295EEENS1_25partition_config_selectorILNS1_17partition_subalgoE3EjNS0_10empty_typeEbEEZZNS1_14partition_implILS8_3ELb0ES6_jNS0_17counting_iteratorIjlEEPS9_SE_NS0_5tupleIJPjSE_EEENSF_IJSE_SE_EEES9_SG_JZNS1_25segmented_radix_sort_implINS0_14default_configELb1EPKfPfPKlPlN2at6native12_GLOBAL__N_18offset_tEEE10hipError_tPvRmT1_PNSt15iterator_traitsISY_E10value_typeET2_T3_PNSZ_IS14_E10value_typeET4_jRbjT5_S1A_jjP12ihipStream_tbEUljE_EEESV_SW_SX_S14_S18_S1A_T6_T7_T9_mT8_S1C_bDpT10_ENKUlT_T0_E_clISt17integral_constantIbLb0EES1P_EEDaS1K_S1L_EUlS1K_E_NS1_11comp_targetILNS1_3genE3ELNS1_11target_archE908ELNS1_3gpuE7ELNS1_3repE0EEENS1_30default_config_static_selectorELNS0_4arch9wavefront6targetE1EEEvSY_.kd
    .uniform_work_group_size: 1
    .uses_dynamic_stack: false
    .vgpr_count:     0
    .vgpr_spill_count: 0
    .wavefront_size: 64
  - .agpr_count:     0
    .args:
      - .offset:         0
        .size:           144
        .value_kind:     by_value
    .group_segment_fixed_size: 0
    .kernarg_segment_align: 8
    .kernarg_segment_size: 144
    .language:       OpenCL C
    .language_version:
      - 2
      - 0
    .max_flat_workgroup_size: 256
    .name:           _ZN7rocprim17ROCPRIM_400000_NS6detail17trampoline_kernelINS0_13select_configILj256ELj13ELNS0_17block_load_methodE3ELS4_3ELS4_3ELNS0_20block_scan_algorithmE0ELj4294967295EEENS1_25partition_config_selectorILNS1_17partition_subalgoE3EjNS0_10empty_typeEbEEZZNS1_14partition_implILS8_3ELb0ES6_jNS0_17counting_iteratorIjlEEPS9_SE_NS0_5tupleIJPjSE_EEENSF_IJSE_SE_EEES9_SG_JZNS1_25segmented_radix_sort_implINS0_14default_configELb1EPKfPfPKlPlN2at6native12_GLOBAL__N_18offset_tEEE10hipError_tPvRmT1_PNSt15iterator_traitsISY_E10value_typeET2_T3_PNSZ_IS14_E10value_typeET4_jRbjT5_S1A_jjP12ihipStream_tbEUljE_EEESV_SW_SX_S14_S18_S1A_T6_T7_T9_mT8_S1C_bDpT10_ENKUlT_T0_E_clISt17integral_constantIbLb0EES1P_EEDaS1K_S1L_EUlS1K_E_NS1_11comp_targetILNS1_3genE2ELNS1_11target_archE906ELNS1_3gpuE6ELNS1_3repE0EEENS1_30default_config_static_selectorELNS0_4arch9wavefront6targetE1EEEvSY_
    .private_segment_fixed_size: 0
    .sgpr_count:     4
    .sgpr_spill_count: 0
    .symbol:         _ZN7rocprim17ROCPRIM_400000_NS6detail17trampoline_kernelINS0_13select_configILj256ELj13ELNS0_17block_load_methodE3ELS4_3ELS4_3ELNS0_20block_scan_algorithmE0ELj4294967295EEENS1_25partition_config_selectorILNS1_17partition_subalgoE3EjNS0_10empty_typeEbEEZZNS1_14partition_implILS8_3ELb0ES6_jNS0_17counting_iteratorIjlEEPS9_SE_NS0_5tupleIJPjSE_EEENSF_IJSE_SE_EEES9_SG_JZNS1_25segmented_radix_sort_implINS0_14default_configELb1EPKfPfPKlPlN2at6native12_GLOBAL__N_18offset_tEEE10hipError_tPvRmT1_PNSt15iterator_traitsISY_E10value_typeET2_T3_PNSZ_IS14_E10value_typeET4_jRbjT5_S1A_jjP12ihipStream_tbEUljE_EEESV_SW_SX_S14_S18_S1A_T6_T7_T9_mT8_S1C_bDpT10_ENKUlT_T0_E_clISt17integral_constantIbLb0EES1P_EEDaS1K_S1L_EUlS1K_E_NS1_11comp_targetILNS1_3genE2ELNS1_11target_archE906ELNS1_3gpuE6ELNS1_3repE0EEENS1_30default_config_static_selectorELNS0_4arch9wavefront6targetE1EEEvSY_.kd
    .uniform_work_group_size: 1
    .uses_dynamic_stack: false
    .vgpr_count:     0
    .vgpr_spill_count: 0
    .wavefront_size: 64
  - .agpr_count:     0
    .args:
      - .offset:         0
        .size:           144
        .value_kind:     by_value
    .group_segment_fixed_size: 0
    .kernarg_segment_align: 8
    .kernarg_segment_size: 144
    .language:       OpenCL C
    .language_version:
      - 2
      - 0
    .max_flat_workgroup_size: 256
    .name:           _ZN7rocprim17ROCPRIM_400000_NS6detail17trampoline_kernelINS0_13select_configILj256ELj13ELNS0_17block_load_methodE3ELS4_3ELS4_3ELNS0_20block_scan_algorithmE0ELj4294967295EEENS1_25partition_config_selectorILNS1_17partition_subalgoE3EjNS0_10empty_typeEbEEZZNS1_14partition_implILS8_3ELb0ES6_jNS0_17counting_iteratorIjlEEPS9_SE_NS0_5tupleIJPjSE_EEENSF_IJSE_SE_EEES9_SG_JZNS1_25segmented_radix_sort_implINS0_14default_configELb1EPKfPfPKlPlN2at6native12_GLOBAL__N_18offset_tEEE10hipError_tPvRmT1_PNSt15iterator_traitsISY_E10value_typeET2_T3_PNSZ_IS14_E10value_typeET4_jRbjT5_S1A_jjP12ihipStream_tbEUljE_EEESV_SW_SX_S14_S18_S1A_T6_T7_T9_mT8_S1C_bDpT10_ENKUlT_T0_E_clISt17integral_constantIbLb0EES1P_EEDaS1K_S1L_EUlS1K_E_NS1_11comp_targetILNS1_3genE10ELNS1_11target_archE1200ELNS1_3gpuE4ELNS1_3repE0EEENS1_30default_config_static_selectorELNS0_4arch9wavefront6targetE1EEEvSY_
    .private_segment_fixed_size: 0
    .sgpr_count:     4
    .sgpr_spill_count: 0
    .symbol:         _ZN7rocprim17ROCPRIM_400000_NS6detail17trampoline_kernelINS0_13select_configILj256ELj13ELNS0_17block_load_methodE3ELS4_3ELS4_3ELNS0_20block_scan_algorithmE0ELj4294967295EEENS1_25partition_config_selectorILNS1_17partition_subalgoE3EjNS0_10empty_typeEbEEZZNS1_14partition_implILS8_3ELb0ES6_jNS0_17counting_iteratorIjlEEPS9_SE_NS0_5tupleIJPjSE_EEENSF_IJSE_SE_EEES9_SG_JZNS1_25segmented_radix_sort_implINS0_14default_configELb1EPKfPfPKlPlN2at6native12_GLOBAL__N_18offset_tEEE10hipError_tPvRmT1_PNSt15iterator_traitsISY_E10value_typeET2_T3_PNSZ_IS14_E10value_typeET4_jRbjT5_S1A_jjP12ihipStream_tbEUljE_EEESV_SW_SX_S14_S18_S1A_T6_T7_T9_mT8_S1C_bDpT10_ENKUlT_T0_E_clISt17integral_constantIbLb0EES1P_EEDaS1K_S1L_EUlS1K_E_NS1_11comp_targetILNS1_3genE10ELNS1_11target_archE1200ELNS1_3gpuE4ELNS1_3repE0EEENS1_30default_config_static_selectorELNS0_4arch9wavefront6targetE1EEEvSY_.kd
    .uniform_work_group_size: 1
    .uses_dynamic_stack: false
    .vgpr_count:     0
    .vgpr_spill_count: 0
    .wavefront_size: 64
  - .agpr_count:     0
    .args:
      - .offset:         0
        .size:           144
        .value_kind:     by_value
    .group_segment_fixed_size: 0
    .kernarg_segment_align: 8
    .kernarg_segment_size: 144
    .language:       OpenCL C
    .language_version:
      - 2
      - 0
    .max_flat_workgroup_size: 256
    .name:           _ZN7rocprim17ROCPRIM_400000_NS6detail17trampoline_kernelINS0_13select_configILj256ELj13ELNS0_17block_load_methodE3ELS4_3ELS4_3ELNS0_20block_scan_algorithmE0ELj4294967295EEENS1_25partition_config_selectorILNS1_17partition_subalgoE3EjNS0_10empty_typeEbEEZZNS1_14partition_implILS8_3ELb0ES6_jNS0_17counting_iteratorIjlEEPS9_SE_NS0_5tupleIJPjSE_EEENSF_IJSE_SE_EEES9_SG_JZNS1_25segmented_radix_sort_implINS0_14default_configELb1EPKfPfPKlPlN2at6native12_GLOBAL__N_18offset_tEEE10hipError_tPvRmT1_PNSt15iterator_traitsISY_E10value_typeET2_T3_PNSZ_IS14_E10value_typeET4_jRbjT5_S1A_jjP12ihipStream_tbEUljE_EEESV_SW_SX_S14_S18_S1A_T6_T7_T9_mT8_S1C_bDpT10_ENKUlT_T0_E_clISt17integral_constantIbLb0EES1P_EEDaS1K_S1L_EUlS1K_E_NS1_11comp_targetILNS1_3genE9ELNS1_11target_archE1100ELNS1_3gpuE3ELNS1_3repE0EEENS1_30default_config_static_selectorELNS0_4arch9wavefront6targetE1EEEvSY_
    .private_segment_fixed_size: 0
    .sgpr_count:     4
    .sgpr_spill_count: 0
    .symbol:         _ZN7rocprim17ROCPRIM_400000_NS6detail17trampoline_kernelINS0_13select_configILj256ELj13ELNS0_17block_load_methodE3ELS4_3ELS4_3ELNS0_20block_scan_algorithmE0ELj4294967295EEENS1_25partition_config_selectorILNS1_17partition_subalgoE3EjNS0_10empty_typeEbEEZZNS1_14partition_implILS8_3ELb0ES6_jNS0_17counting_iteratorIjlEEPS9_SE_NS0_5tupleIJPjSE_EEENSF_IJSE_SE_EEES9_SG_JZNS1_25segmented_radix_sort_implINS0_14default_configELb1EPKfPfPKlPlN2at6native12_GLOBAL__N_18offset_tEEE10hipError_tPvRmT1_PNSt15iterator_traitsISY_E10value_typeET2_T3_PNSZ_IS14_E10value_typeET4_jRbjT5_S1A_jjP12ihipStream_tbEUljE_EEESV_SW_SX_S14_S18_S1A_T6_T7_T9_mT8_S1C_bDpT10_ENKUlT_T0_E_clISt17integral_constantIbLb0EES1P_EEDaS1K_S1L_EUlS1K_E_NS1_11comp_targetILNS1_3genE9ELNS1_11target_archE1100ELNS1_3gpuE3ELNS1_3repE0EEENS1_30default_config_static_selectorELNS0_4arch9wavefront6targetE1EEEvSY_.kd
    .uniform_work_group_size: 1
    .uses_dynamic_stack: false
    .vgpr_count:     0
    .vgpr_spill_count: 0
    .wavefront_size: 64
  - .agpr_count:     0
    .args:
      - .offset:         0
        .size:           144
        .value_kind:     by_value
    .group_segment_fixed_size: 0
    .kernarg_segment_align: 8
    .kernarg_segment_size: 144
    .language:       OpenCL C
    .language_version:
      - 2
      - 0
    .max_flat_workgroup_size: 256
    .name:           _ZN7rocprim17ROCPRIM_400000_NS6detail17trampoline_kernelINS0_13select_configILj256ELj13ELNS0_17block_load_methodE3ELS4_3ELS4_3ELNS0_20block_scan_algorithmE0ELj4294967295EEENS1_25partition_config_selectorILNS1_17partition_subalgoE3EjNS0_10empty_typeEbEEZZNS1_14partition_implILS8_3ELb0ES6_jNS0_17counting_iteratorIjlEEPS9_SE_NS0_5tupleIJPjSE_EEENSF_IJSE_SE_EEES9_SG_JZNS1_25segmented_radix_sort_implINS0_14default_configELb1EPKfPfPKlPlN2at6native12_GLOBAL__N_18offset_tEEE10hipError_tPvRmT1_PNSt15iterator_traitsISY_E10value_typeET2_T3_PNSZ_IS14_E10value_typeET4_jRbjT5_S1A_jjP12ihipStream_tbEUljE_EEESV_SW_SX_S14_S18_S1A_T6_T7_T9_mT8_S1C_bDpT10_ENKUlT_T0_E_clISt17integral_constantIbLb0EES1P_EEDaS1K_S1L_EUlS1K_E_NS1_11comp_targetILNS1_3genE8ELNS1_11target_archE1030ELNS1_3gpuE2ELNS1_3repE0EEENS1_30default_config_static_selectorELNS0_4arch9wavefront6targetE1EEEvSY_
    .private_segment_fixed_size: 0
    .sgpr_count:     4
    .sgpr_spill_count: 0
    .symbol:         _ZN7rocprim17ROCPRIM_400000_NS6detail17trampoline_kernelINS0_13select_configILj256ELj13ELNS0_17block_load_methodE3ELS4_3ELS4_3ELNS0_20block_scan_algorithmE0ELj4294967295EEENS1_25partition_config_selectorILNS1_17partition_subalgoE3EjNS0_10empty_typeEbEEZZNS1_14partition_implILS8_3ELb0ES6_jNS0_17counting_iteratorIjlEEPS9_SE_NS0_5tupleIJPjSE_EEENSF_IJSE_SE_EEES9_SG_JZNS1_25segmented_radix_sort_implINS0_14default_configELb1EPKfPfPKlPlN2at6native12_GLOBAL__N_18offset_tEEE10hipError_tPvRmT1_PNSt15iterator_traitsISY_E10value_typeET2_T3_PNSZ_IS14_E10value_typeET4_jRbjT5_S1A_jjP12ihipStream_tbEUljE_EEESV_SW_SX_S14_S18_S1A_T6_T7_T9_mT8_S1C_bDpT10_ENKUlT_T0_E_clISt17integral_constantIbLb0EES1P_EEDaS1K_S1L_EUlS1K_E_NS1_11comp_targetILNS1_3genE8ELNS1_11target_archE1030ELNS1_3gpuE2ELNS1_3repE0EEENS1_30default_config_static_selectorELNS0_4arch9wavefront6targetE1EEEvSY_.kd
    .uniform_work_group_size: 1
    .uses_dynamic_stack: false
    .vgpr_count:     0
    .vgpr_spill_count: 0
    .wavefront_size: 64
  - .agpr_count:     0
    .args:
      - .offset:         0
        .size:           152
        .value_kind:     by_value
    .group_segment_fixed_size: 0
    .kernarg_segment_align: 8
    .kernarg_segment_size: 152
    .language:       OpenCL C
    .language_version:
      - 2
      - 0
    .max_flat_workgroup_size: 256
    .name:           _ZN7rocprim17ROCPRIM_400000_NS6detail17trampoline_kernelINS0_13select_configILj256ELj13ELNS0_17block_load_methodE3ELS4_3ELS4_3ELNS0_20block_scan_algorithmE0ELj4294967295EEENS1_25partition_config_selectorILNS1_17partition_subalgoE3EjNS0_10empty_typeEbEEZZNS1_14partition_implILS8_3ELb0ES6_jNS0_17counting_iteratorIjlEEPS9_SE_NS0_5tupleIJPjSE_EEENSF_IJSE_SE_EEES9_SG_JZNS1_25segmented_radix_sort_implINS0_14default_configELb1EPKfPfPKlPlN2at6native12_GLOBAL__N_18offset_tEEE10hipError_tPvRmT1_PNSt15iterator_traitsISY_E10value_typeET2_T3_PNSZ_IS14_E10value_typeET4_jRbjT5_S1A_jjP12ihipStream_tbEUljE_EEESV_SW_SX_S14_S18_S1A_T6_T7_T9_mT8_S1C_bDpT10_ENKUlT_T0_E_clISt17integral_constantIbLb1EES1P_EEDaS1K_S1L_EUlS1K_E_NS1_11comp_targetILNS1_3genE0ELNS1_11target_archE4294967295ELNS1_3gpuE0ELNS1_3repE0EEENS1_30default_config_static_selectorELNS0_4arch9wavefront6targetE1EEEvSY_
    .private_segment_fixed_size: 0
    .sgpr_count:     4
    .sgpr_spill_count: 0
    .symbol:         _ZN7rocprim17ROCPRIM_400000_NS6detail17trampoline_kernelINS0_13select_configILj256ELj13ELNS0_17block_load_methodE3ELS4_3ELS4_3ELNS0_20block_scan_algorithmE0ELj4294967295EEENS1_25partition_config_selectorILNS1_17partition_subalgoE3EjNS0_10empty_typeEbEEZZNS1_14partition_implILS8_3ELb0ES6_jNS0_17counting_iteratorIjlEEPS9_SE_NS0_5tupleIJPjSE_EEENSF_IJSE_SE_EEES9_SG_JZNS1_25segmented_radix_sort_implINS0_14default_configELb1EPKfPfPKlPlN2at6native12_GLOBAL__N_18offset_tEEE10hipError_tPvRmT1_PNSt15iterator_traitsISY_E10value_typeET2_T3_PNSZ_IS14_E10value_typeET4_jRbjT5_S1A_jjP12ihipStream_tbEUljE_EEESV_SW_SX_S14_S18_S1A_T6_T7_T9_mT8_S1C_bDpT10_ENKUlT_T0_E_clISt17integral_constantIbLb1EES1P_EEDaS1K_S1L_EUlS1K_E_NS1_11comp_targetILNS1_3genE0ELNS1_11target_archE4294967295ELNS1_3gpuE0ELNS1_3repE0EEENS1_30default_config_static_selectorELNS0_4arch9wavefront6targetE1EEEvSY_.kd
    .uniform_work_group_size: 1
    .uses_dynamic_stack: false
    .vgpr_count:     0
    .vgpr_spill_count: 0
    .wavefront_size: 64
  - .agpr_count:     0
    .args:
      - .offset:         0
        .size:           152
        .value_kind:     by_value
    .group_segment_fixed_size: 0
    .kernarg_segment_align: 8
    .kernarg_segment_size: 152
    .language:       OpenCL C
    .language_version:
      - 2
      - 0
    .max_flat_workgroup_size: 256
    .name:           _ZN7rocprim17ROCPRIM_400000_NS6detail17trampoline_kernelINS0_13select_configILj256ELj13ELNS0_17block_load_methodE3ELS4_3ELS4_3ELNS0_20block_scan_algorithmE0ELj4294967295EEENS1_25partition_config_selectorILNS1_17partition_subalgoE3EjNS0_10empty_typeEbEEZZNS1_14partition_implILS8_3ELb0ES6_jNS0_17counting_iteratorIjlEEPS9_SE_NS0_5tupleIJPjSE_EEENSF_IJSE_SE_EEES9_SG_JZNS1_25segmented_radix_sort_implINS0_14default_configELb1EPKfPfPKlPlN2at6native12_GLOBAL__N_18offset_tEEE10hipError_tPvRmT1_PNSt15iterator_traitsISY_E10value_typeET2_T3_PNSZ_IS14_E10value_typeET4_jRbjT5_S1A_jjP12ihipStream_tbEUljE_EEESV_SW_SX_S14_S18_S1A_T6_T7_T9_mT8_S1C_bDpT10_ENKUlT_T0_E_clISt17integral_constantIbLb1EES1P_EEDaS1K_S1L_EUlS1K_E_NS1_11comp_targetILNS1_3genE5ELNS1_11target_archE942ELNS1_3gpuE9ELNS1_3repE0EEENS1_30default_config_static_selectorELNS0_4arch9wavefront6targetE1EEEvSY_
    .private_segment_fixed_size: 0
    .sgpr_count:     4
    .sgpr_spill_count: 0
    .symbol:         _ZN7rocprim17ROCPRIM_400000_NS6detail17trampoline_kernelINS0_13select_configILj256ELj13ELNS0_17block_load_methodE3ELS4_3ELS4_3ELNS0_20block_scan_algorithmE0ELj4294967295EEENS1_25partition_config_selectorILNS1_17partition_subalgoE3EjNS0_10empty_typeEbEEZZNS1_14partition_implILS8_3ELb0ES6_jNS0_17counting_iteratorIjlEEPS9_SE_NS0_5tupleIJPjSE_EEENSF_IJSE_SE_EEES9_SG_JZNS1_25segmented_radix_sort_implINS0_14default_configELb1EPKfPfPKlPlN2at6native12_GLOBAL__N_18offset_tEEE10hipError_tPvRmT1_PNSt15iterator_traitsISY_E10value_typeET2_T3_PNSZ_IS14_E10value_typeET4_jRbjT5_S1A_jjP12ihipStream_tbEUljE_EEESV_SW_SX_S14_S18_S1A_T6_T7_T9_mT8_S1C_bDpT10_ENKUlT_T0_E_clISt17integral_constantIbLb1EES1P_EEDaS1K_S1L_EUlS1K_E_NS1_11comp_targetILNS1_3genE5ELNS1_11target_archE942ELNS1_3gpuE9ELNS1_3repE0EEENS1_30default_config_static_selectorELNS0_4arch9wavefront6targetE1EEEvSY_.kd
    .uniform_work_group_size: 1
    .uses_dynamic_stack: false
    .vgpr_count:     0
    .vgpr_spill_count: 0
    .wavefront_size: 64
  - .agpr_count:     0
    .args:
      - .offset:         0
        .size:           152
        .value_kind:     by_value
    .group_segment_fixed_size: 13324
    .kernarg_segment_align: 8
    .kernarg_segment_size: 152
    .language:       OpenCL C
    .language_version:
      - 2
      - 0
    .max_flat_workgroup_size: 256
    .name:           _ZN7rocprim17ROCPRIM_400000_NS6detail17trampoline_kernelINS0_13select_configILj256ELj13ELNS0_17block_load_methodE3ELS4_3ELS4_3ELNS0_20block_scan_algorithmE0ELj4294967295EEENS1_25partition_config_selectorILNS1_17partition_subalgoE3EjNS0_10empty_typeEbEEZZNS1_14partition_implILS8_3ELb0ES6_jNS0_17counting_iteratorIjlEEPS9_SE_NS0_5tupleIJPjSE_EEENSF_IJSE_SE_EEES9_SG_JZNS1_25segmented_radix_sort_implINS0_14default_configELb1EPKfPfPKlPlN2at6native12_GLOBAL__N_18offset_tEEE10hipError_tPvRmT1_PNSt15iterator_traitsISY_E10value_typeET2_T3_PNSZ_IS14_E10value_typeET4_jRbjT5_S1A_jjP12ihipStream_tbEUljE_EEESV_SW_SX_S14_S18_S1A_T6_T7_T9_mT8_S1C_bDpT10_ENKUlT_T0_E_clISt17integral_constantIbLb1EES1P_EEDaS1K_S1L_EUlS1K_E_NS1_11comp_targetILNS1_3genE4ELNS1_11target_archE910ELNS1_3gpuE8ELNS1_3repE0EEENS1_30default_config_static_selectorELNS0_4arch9wavefront6targetE1EEEvSY_
    .private_segment_fixed_size: 0
    .sgpr_count:     48
    .sgpr_spill_count: 0
    .symbol:         _ZN7rocprim17ROCPRIM_400000_NS6detail17trampoline_kernelINS0_13select_configILj256ELj13ELNS0_17block_load_methodE3ELS4_3ELS4_3ELNS0_20block_scan_algorithmE0ELj4294967295EEENS1_25partition_config_selectorILNS1_17partition_subalgoE3EjNS0_10empty_typeEbEEZZNS1_14partition_implILS8_3ELb0ES6_jNS0_17counting_iteratorIjlEEPS9_SE_NS0_5tupleIJPjSE_EEENSF_IJSE_SE_EEES9_SG_JZNS1_25segmented_radix_sort_implINS0_14default_configELb1EPKfPfPKlPlN2at6native12_GLOBAL__N_18offset_tEEE10hipError_tPvRmT1_PNSt15iterator_traitsISY_E10value_typeET2_T3_PNSZ_IS14_E10value_typeET4_jRbjT5_S1A_jjP12ihipStream_tbEUljE_EEESV_SW_SX_S14_S18_S1A_T6_T7_T9_mT8_S1C_bDpT10_ENKUlT_T0_E_clISt17integral_constantIbLb1EES1P_EEDaS1K_S1L_EUlS1K_E_NS1_11comp_targetILNS1_3genE4ELNS1_11target_archE910ELNS1_3gpuE8ELNS1_3repE0EEENS1_30default_config_static_selectorELNS0_4arch9wavefront6targetE1EEEvSY_.kd
    .uniform_work_group_size: 1
    .uses_dynamic_stack: false
    .vgpr_count:     64
    .vgpr_spill_count: 0
    .wavefront_size: 64
  - .agpr_count:     0
    .args:
      - .offset:         0
        .size:           152
        .value_kind:     by_value
    .group_segment_fixed_size: 0
    .kernarg_segment_align: 8
    .kernarg_segment_size: 152
    .language:       OpenCL C
    .language_version:
      - 2
      - 0
    .max_flat_workgroup_size: 256
    .name:           _ZN7rocprim17ROCPRIM_400000_NS6detail17trampoline_kernelINS0_13select_configILj256ELj13ELNS0_17block_load_methodE3ELS4_3ELS4_3ELNS0_20block_scan_algorithmE0ELj4294967295EEENS1_25partition_config_selectorILNS1_17partition_subalgoE3EjNS0_10empty_typeEbEEZZNS1_14partition_implILS8_3ELb0ES6_jNS0_17counting_iteratorIjlEEPS9_SE_NS0_5tupleIJPjSE_EEENSF_IJSE_SE_EEES9_SG_JZNS1_25segmented_radix_sort_implINS0_14default_configELb1EPKfPfPKlPlN2at6native12_GLOBAL__N_18offset_tEEE10hipError_tPvRmT1_PNSt15iterator_traitsISY_E10value_typeET2_T3_PNSZ_IS14_E10value_typeET4_jRbjT5_S1A_jjP12ihipStream_tbEUljE_EEESV_SW_SX_S14_S18_S1A_T6_T7_T9_mT8_S1C_bDpT10_ENKUlT_T0_E_clISt17integral_constantIbLb1EES1P_EEDaS1K_S1L_EUlS1K_E_NS1_11comp_targetILNS1_3genE3ELNS1_11target_archE908ELNS1_3gpuE7ELNS1_3repE0EEENS1_30default_config_static_selectorELNS0_4arch9wavefront6targetE1EEEvSY_
    .private_segment_fixed_size: 0
    .sgpr_count:     4
    .sgpr_spill_count: 0
    .symbol:         _ZN7rocprim17ROCPRIM_400000_NS6detail17trampoline_kernelINS0_13select_configILj256ELj13ELNS0_17block_load_methodE3ELS4_3ELS4_3ELNS0_20block_scan_algorithmE0ELj4294967295EEENS1_25partition_config_selectorILNS1_17partition_subalgoE3EjNS0_10empty_typeEbEEZZNS1_14partition_implILS8_3ELb0ES6_jNS0_17counting_iteratorIjlEEPS9_SE_NS0_5tupleIJPjSE_EEENSF_IJSE_SE_EEES9_SG_JZNS1_25segmented_radix_sort_implINS0_14default_configELb1EPKfPfPKlPlN2at6native12_GLOBAL__N_18offset_tEEE10hipError_tPvRmT1_PNSt15iterator_traitsISY_E10value_typeET2_T3_PNSZ_IS14_E10value_typeET4_jRbjT5_S1A_jjP12ihipStream_tbEUljE_EEESV_SW_SX_S14_S18_S1A_T6_T7_T9_mT8_S1C_bDpT10_ENKUlT_T0_E_clISt17integral_constantIbLb1EES1P_EEDaS1K_S1L_EUlS1K_E_NS1_11comp_targetILNS1_3genE3ELNS1_11target_archE908ELNS1_3gpuE7ELNS1_3repE0EEENS1_30default_config_static_selectorELNS0_4arch9wavefront6targetE1EEEvSY_.kd
    .uniform_work_group_size: 1
    .uses_dynamic_stack: false
    .vgpr_count:     0
    .vgpr_spill_count: 0
    .wavefront_size: 64
  - .agpr_count:     0
    .args:
      - .offset:         0
        .size:           152
        .value_kind:     by_value
    .group_segment_fixed_size: 0
    .kernarg_segment_align: 8
    .kernarg_segment_size: 152
    .language:       OpenCL C
    .language_version:
      - 2
      - 0
    .max_flat_workgroup_size: 256
    .name:           _ZN7rocprim17ROCPRIM_400000_NS6detail17trampoline_kernelINS0_13select_configILj256ELj13ELNS0_17block_load_methodE3ELS4_3ELS4_3ELNS0_20block_scan_algorithmE0ELj4294967295EEENS1_25partition_config_selectorILNS1_17partition_subalgoE3EjNS0_10empty_typeEbEEZZNS1_14partition_implILS8_3ELb0ES6_jNS0_17counting_iteratorIjlEEPS9_SE_NS0_5tupleIJPjSE_EEENSF_IJSE_SE_EEES9_SG_JZNS1_25segmented_radix_sort_implINS0_14default_configELb1EPKfPfPKlPlN2at6native12_GLOBAL__N_18offset_tEEE10hipError_tPvRmT1_PNSt15iterator_traitsISY_E10value_typeET2_T3_PNSZ_IS14_E10value_typeET4_jRbjT5_S1A_jjP12ihipStream_tbEUljE_EEESV_SW_SX_S14_S18_S1A_T6_T7_T9_mT8_S1C_bDpT10_ENKUlT_T0_E_clISt17integral_constantIbLb1EES1P_EEDaS1K_S1L_EUlS1K_E_NS1_11comp_targetILNS1_3genE2ELNS1_11target_archE906ELNS1_3gpuE6ELNS1_3repE0EEENS1_30default_config_static_selectorELNS0_4arch9wavefront6targetE1EEEvSY_
    .private_segment_fixed_size: 0
    .sgpr_count:     4
    .sgpr_spill_count: 0
    .symbol:         _ZN7rocprim17ROCPRIM_400000_NS6detail17trampoline_kernelINS0_13select_configILj256ELj13ELNS0_17block_load_methodE3ELS4_3ELS4_3ELNS0_20block_scan_algorithmE0ELj4294967295EEENS1_25partition_config_selectorILNS1_17partition_subalgoE3EjNS0_10empty_typeEbEEZZNS1_14partition_implILS8_3ELb0ES6_jNS0_17counting_iteratorIjlEEPS9_SE_NS0_5tupleIJPjSE_EEENSF_IJSE_SE_EEES9_SG_JZNS1_25segmented_radix_sort_implINS0_14default_configELb1EPKfPfPKlPlN2at6native12_GLOBAL__N_18offset_tEEE10hipError_tPvRmT1_PNSt15iterator_traitsISY_E10value_typeET2_T3_PNSZ_IS14_E10value_typeET4_jRbjT5_S1A_jjP12ihipStream_tbEUljE_EEESV_SW_SX_S14_S18_S1A_T6_T7_T9_mT8_S1C_bDpT10_ENKUlT_T0_E_clISt17integral_constantIbLb1EES1P_EEDaS1K_S1L_EUlS1K_E_NS1_11comp_targetILNS1_3genE2ELNS1_11target_archE906ELNS1_3gpuE6ELNS1_3repE0EEENS1_30default_config_static_selectorELNS0_4arch9wavefront6targetE1EEEvSY_.kd
    .uniform_work_group_size: 1
    .uses_dynamic_stack: false
    .vgpr_count:     0
    .vgpr_spill_count: 0
    .wavefront_size: 64
  - .agpr_count:     0
    .args:
      - .offset:         0
        .size:           152
        .value_kind:     by_value
    .group_segment_fixed_size: 0
    .kernarg_segment_align: 8
    .kernarg_segment_size: 152
    .language:       OpenCL C
    .language_version:
      - 2
      - 0
    .max_flat_workgroup_size: 256
    .name:           _ZN7rocprim17ROCPRIM_400000_NS6detail17trampoline_kernelINS0_13select_configILj256ELj13ELNS0_17block_load_methodE3ELS4_3ELS4_3ELNS0_20block_scan_algorithmE0ELj4294967295EEENS1_25partition_config_selectorILNS1_17partition_subalgoE3EjNS0_10empty_typeEbEEZZNS1_14partition_implILS8_3ELb0ES6_jNS0_17counting_iteratorIjlEEPS9_SE_NS0_5tupleIJPjSE_EEENSF_IJSE_SE_EEES9_SG_JZNS1_25segmented_radix_sort_implINS0_14default_configELb1EPKfPfPKlPlN2at6native12_GLOBAL__N_18offset_tEEE10hipError_tPvRmT1_PNSt15iterator_traitsISY_E10value_typeET2_T3_PNSZ_IS14_E10value_typeET4_jRbjT5_S1A_jjP12ihipStream_tbEUljE_EEESV_SW_SX_S14_S18_S1A_T6_T7_T9_mT8_S1C_bDpT10_ENKUlT_T0_E_clISt17integral_constantIbLb1EES1P_EEDaS1K_S1L_EUlS1K_E_NS1_11comp_targetILNS1_3genE10ELNS1_11target_archE1200ELNS1_3gpuE4ELNS1_3repE0EEENS1_30default_config_static_selectorELNS0_4arch9wavefront6targetE1EEEvSY_
    .private_segment_fixed_size: 0
    .sgpr_count:     4
    .sgpr_spill_count: 0
    .symbol:         _ZN7rocprim17ROCPRIM_400000_NS6detail17trampoline_kernelINS0_13select_configILj256ELj13ELNS0_17block_load_methodE3ELS4_3ELS4_3ELNS0_20block_scan_algorithmE0ELj4294967295EEENS1_25partition_config_selectorILNS1_17partition_subalgoE3EjNS0_10empty_typeEbEEZZNS1_14partition_implILS8_3ELb0ES6_jNS0_17counting_iteratorIjlEEPS9_SE_NS0_5tupleIJPjSE_EEENSF_IJSE_SE_EEES9_SG_JZNS1_25segmented_radix_sort_implINS0_14default_configELb1EPKfPfPKlPlN2at6native12_GLOBAL__N_18offset_tEEE10hipError_tPvRmT1_PNSt15iterator_traitsISY_E10value_typeET2_T3_PNSZ_IS14_E10value_typeET4_jRbjT5_S1A_jjP12ihipStream_tbEUljE_EEESV_SW_SX_S14_S18_S1A_T6_T7_T9_mT8_S1C_bDpT10_ENKUlT_T0_E_clISt17integral_constantIbLb1EES1P_EEDaS1K_S1L_EUlS1K_E_NS1_11comp_targetILNS1_3genE10ELNS1_11target_archE1200ELNS1_3gpuE4ELNS1_3repE0EEENS1_30default_config_static_selectorELNS0_4arch9wavefront6targetE1EEEvSY_.kd
    .uniform_work_group_size: 1
    .uses_dynamic_stack: false
    .vgpr_count:     0
    .vgpr_spill_count: 0
    .wavefront_size: 64
  - .agpr_count:     0
    .args:
      - .offset:         0
        .size:           152
        .value_kind:     by_value
    .group_segment_fixed_size: 0
    .kernarg_segment_align: 8
    .kernarg_segment_size: 152
    .language:       OpenCL C
    .language_version:
      - 2
      - 0
    .max_flat_workgroup_size: 256
    .name:           _ZN7rocprim17ROCPRIM_400000_NS6detail17trampoline_kernelINS0_13select_configILj256ELj13ELNS0_17block_load_methodE3ELS4_3ELS4_3ELNS0_20block_scan_algorithmE0ELj4294967295EEENS1_25partition_config_selectorILNS1_17partition_subalgoE3EjNS0_10empty_typeEbEEZZNS1_14partition_implILS8_3ELb0ES6_jNS0_17counting_iteratorIjlEEPS9_SE_NS0_5tupleIJPjSE_EEENSF_IJSE_SE_EEES9_SG_JZNS1_25segmented_radix_sort_implINS0_14default_configELb1EPKfPfPKlPlN2at6native12_GLOBAL__N_18offset_tEEE10hipError_tPvRmT1_PNSt15iterator_traitsISY_E10value_typeET2_T3_PNSZ_IS14_E10value_typeET4_jRbjT5_S1A_jjP12ihipStream_tbEUljE_EEESV_SW_SX_S14_S18_S1A_T6_T7_T9_mT8_S1C_bDpT10_ENKUlT_T0_E_clISt17integral_constantIbLb1EES1P_EEDaS1K_S1L_EUlS1K_E_NS1_11comp_targetILNS1_3genE9ELNS1_11target_archE1100ELNS1_3gpuE3ELNS1_3repE0EEENS1_30default_config_static_selectorELNS0_4arch9wavefront6targetE1EEEvSY_
    .private_segment_fixed_size: 0
    .sgpr_count:     4
    .sgpr_spill_count: 0
    .symbol:         _ZN7rocprim17ROCPRIM_400000_NS6detail17trampoline_kernelINS0_13select_configILj256ELj13ELNS0_17block_load_methodE3ELS4_3ELS4_3ELNS0_20block_scan_algorithmE0ELj4294967295EEENS1_25partition_config_selectorILNS1_17partition_subalgoE3EjNS0_10empty_typeEbEEZZNS1_14partition_implILS8_3ELb0ES6_jNS0_17counting_iteratorIjlEEPS9_SE_NS0_5tupleIJPjSE_EEENSF_IJSE_SE_EEES9_SG_JZNS1_25segmented_radix_sort_implINS0_14default_configELb1EPKfPfPKlPlN2at6native12_GLOBAL__N_18offset_tEEE10hipError_tPvRmT1_PNSt15iterator_traitsISY_E10value_typeET2_T3_PNSZ_IS14_E10value_typeET4_jRbjT5_S1A_jjP12ihipStream_tbEUljE_EEESV_SW_SX_S14_S18_S1A_T6_T7_T9_mT8_S1C_bDpT10_ENKUlT_T0_E_clISt17integral_constantIbLb1EES1P_EEDaS1K_S1L_EUlS1K_E_NS1_11comp_targetILNS1_3genE9ELNS1_11target_archE1100ELNS1_3gpuE3ELNS1_3repE0EEENS1_30default_config_static_selectorELNS0_4arch9wavefront6targetE1EEEvSY_.kd
    .uniform_work_group_size: 1
    .uses_dynamic_stack: false
    .vgpr_count:     0
    .vgpr_spill_count: 0
    .wavefront_size: 64
  - .agpr_count:     0
    .args:
      - .offset:         0
        .size:           152
        .value_kind:     by_value
    .group_segment_fixed_size: 0
    .kernarg_segment_align: 8
    .kernarg_segment_size: 152
    .language:       OpenCL C
    .language_version:
      - 2
      - 0
    .max_flat_workgroup_size: 256
    .name:           _ZN7rocprim17ROCPRIM_400000_NS6detail17trampoline_kernelINS0_13select_configILj256ELj13ELNS0_17block_load_methodE3ELS4_3ELS4_3ELNS0_20block_scan_algorithmE0ELj4294967295EEENS1_25partition_config_selectorILNS1_17partition_subalgoE3EjNS0_10empty_typeEbEEZZNS1_14partition_implILS8_3ELb0ES6_jNS0_17counting_iteratorIjlEEPS9_SE_NS0_5tupleIJPjSE_EEENSF_IJSE_SE_EEES9_SG_JZNS1_25segmented_radix_sort_implINS0_14default_configELb1EPKfPfPKlPlN2at6native12_GLOBAL__N_18offset_tEEE10hipError_tPvRmT1_PNSt15iterator_traitsISY_E10value_typeET2_T3_PNSZ_IS14_E10value_typeET4_jRbjT5_S1A_jjP12ihipStream_tbEUljE_EEESV_SW_SX_S14_S18_S1A_T6_T7_T9_mT8_S1C_bDpT10_ENKUlT_T0_E_clISt17integral_constantIbLb1EES1P_EEDaS1K_S1L_EUlS1K_E_NS1_11comp_targetILNS1_3genE8ELNS1_11target_archE1030ELNS1_3gpuE2ELNS1_3repE0EEENS1_30default_config_static_selectorELNS0_4arch9wavefront6targetE1EEEvSY_
    .private_segment_fixed_size: 0
    .sgpr_count:     4
    .sgpr_spill_count: 0
    .symbol:         _ZN7rocprim17ROCPRIM_400000_NS6detail17trampoline_kernelINS0_13select_configILj256ELj13ELNS0_17block_load_methodE3ELS4_3ELS4_3ELNS0_20block_scan_algorithmE0ELj4294967295EEENS1_25partition_config_selectorILNS1_17partition_subalgoE3EjNS0_10empty_typeEbEEZZNS1_14partition_implILS8_3ELb0ES6_jNS0_17counting_iteratorIjlEEPS9_SE_NS0_5tupleIJPjSE_EEENSF_IJSE_SE_EEES9_SG_JZNS1_25segmented_radix_sort_implINS0_14default_configELb1EPKfPfPKlPlN2at6native12_GLOBAL__N_18offset_tEEE10hipError_tPvRmT1_PNSt15iterator_traitsISY_E10value_typeET2_T3_PNSZ_IS14_E10value_typeET4_jRbjT5_S1A_jjP12ihipStream_tbEUljE_EEESV_SW_SX_S14_S18_S1A_T6_T7_T9_mT8_S1C_bDpT10_ENKUlT_T0_E_clISt17integral_constantIbLb1EES1P_EEDaS1K_S1L_EUlS1K_E_NS1_11comp_targetILNS1_3genE8ELNS1_11target_archE1030ELNS1_3gpuE2ELNS1_3repE0EEENS1_30default_config_static_selectorELNS0_4arch9wavefront6targetE1EEEvSY_.kd
    .uniform_work_group_size: 1
    .uses_dynamic_stack: false
    .vgpr_count:     0
    .vgpr_spill_count: 0
    .wavefront_size: 64
  - .agpr_count:     0
    .args:
      - .offset:         0
        .size:           144
        .value_kind:     by_value
    .group_segment_fixed_size: 0
    .kernarg_segment_align: 8
    .kernarg_segment_size: 144
    .language:       OpenCL C
    .language_version:
      - 2
      - 0
    .max_flat_workgroup_size: 256
    .name:           _ZN7rocprim17ROCPRIM_400000_NS6detail17trampoline_kernelINS0_13select_configILj256ELj13ELNS0_17block_load_methodE3ELS4_3ELS4_3ELNS0_20block_scan_algorithmE0ELj4294967295EEENS1_25partition_config_selectorILNS1_17partition_subalgoE3EjNS0_10empty_typeEbEEZZNS1_14partition_implILS8_3ELb0ES6_jNS0_17counting_iteratorIjlEEPS9_SE_NS0_5tupleIJPjSE_EEENSF_IJSE_SE_EEES9_SG_JZNS1_25segmented_radix_sort_implINS0_14default_configELb1EPKfPfPKlPlN2at6native12_GLOBAL__N_18offset_tEEE10hipError_tPvRmT1_PNSt15iterator_traitsISY_E10value_typeET2_T3_PNSZ_IS14_E10value_typeET4_jRbjT5_S1A_jjP12ihipStream_tbEUljE_EEESV_SW_SX_S14_S18_S1A_T6_T7_T9_mT8_S1C_bDpT10_ENKUlT_T0_E_clISt17integral_constantIbLb1EES1O_IbLb0EEEEDaS1K_S1L_EUlS1K_E_NS1_11comp_targetILNS1_3genE0ELNS1_11target_archE4294967295ELNS1_3gpuE0ELNS1_3repE0EEENS1_30default_config_static_selectorELNS0_4arch9wavefront6targetE1EEEvSY_
    .private_segment_fixed_size: 0
    .sgpr_count:     4
    .sgpr_spill_count: 0
    .symbol:         _ZN7rocprim17ROCPRIM_400000_NS6detail17trampoline_kernelINS0_13select_configILj256ELj13ELNS0_17block_load_methodE3ELS4_3ELS4_3ELNS0_20block_scan_algorithmE0ELj4294967295EEENS1_25partition_config_selectorILNS1_17partition_subalgoE3EjNS0_10empty_typeEbEEZZNS1_14partition_implILS8_3ELb0ES6_jNS0_17counting_iteratorIjlEEPS9_SE_NS0_5tupleIJPjSE_EEENSF_IJSE_SE_EEES9_SG_JZNS1_25segmented_radix_sort_implINS0_14default_configELb1EPKfPfPKlPlN2at6native12_GLOBAL__N_18offset_tEEE10hipError_tPvRmT1_PNSt15iterator_traitsISY_E10value_typeET2_T3_PNSZ_IS14_E10value_typeET4_jRbjT5_S1A_jjP12ihipStream_tbEUljE_EEESV_SW_SX_S14_S18_S1A_T6_T7_T9_mT8_S1C_bDpT10_ENKUlT_T0_E_clISt17integral_constantIbLb1EES1O_IbLb0EEEEDaS1K_S1L_EUlS1K_E_NS1_11comp_targetILNS1_3genE0ELNS1_11target_archE4294967295ELNS1_3gpuE0ELNS1_3repE0EEENS1_30default_config_static_selectorELNS0_4arch9wavefront6targetE1EEEvSY_.kd
    .uniform_work_group_size: 1
    .uses_dynamic_stack: false
    .vgpr_count:     0
    .vgpr_spill_count: 0
    .wavefront_size: 64
  - .agpr_count:     0
    .args:
      - .offset:         0
        .size:           144
        .value_kind:     by_value
    .group_segment_fixed_size: 0
    .kernarg_segment_align: 8
    .kernarg_segment_size: 144
    .language:       OpenCL C
    .language_version:
      - 2
      - 0
    .max_flat_workgroup_size: 256
    .name:           _ZN7rocprim17ROCPRIM_400000_NS6detail17trampoline_kernelINS0_13select_configILj256ELj13ELNS0_17block_load_methodE3ELS4_3ELS4_3ELNS0_20block_scan_algorithmE0ELj4294967295EEENS1_25partition_config_selectorILNS1_17partition_subalgoE3EjNS0_10empty_typeEbEEZZNS1_14partition_implILS8_3ELb0ES6_jNS0_17counting_iteratorIjlEEPS9_SE_NS0_5tupleIJPjSE_EEENSF_IJSE_SE_EEES9_SG_JZNS1_25segmented_radix_sort_implINS0_14default_configELb1EPKfPfPKlPlN2at6native12_GLOBAL__N_18offset_tEEE10hipError_tPvRmT1_PNSt15iterator_traitsISY_E10value_typeET2_T3_PNSZ_IS14_E10value_typeET4_jRbjT5_S1A_jjP12ihipStream_tbEUljE_EEESV_SW_SX_S14_S18_S1A_T6_T7_T9_mT8_S1C_bDpT10_ENKUlT_T0_E_clISt17integral_constantIbLb1EES1O_IbLb0EEEEDaS1K_S1L_EUlS1K_E_NS1_11comp_targetILNS1_3genE5ELNS1_11target_archE942ELNS1_3gpuE9ELNS1_3repE0EEENS1_30default_config_static_selectorELNS0_4arch9wavefront6targetE1EEEvSY_
    .private_segment_fixed_size: 0
    .sgpr_count:     4
    .sgpr_spill_count: 0
    .symbol:         _ZN7rocprim17ROCPRIM_400000_NS6detail17trampoline_kernelINS0_13select_configILj256ELj13ELNS0_17block_load_methodE3ELS4_3ELS4_3ELNS0_20block_scan_algorithmE0ELj4294967295EEENS1_25partition_config_selectorILNS1_17partition_subalgoE3EjNS0_10empty_typeEbEEZZNS1_14partition_implILS8_3ELb0ES6_jNS0_17counting_iteratorIjlEEPS9_SE_NS0_5tupleIJPjSE_EEENSF_IJSE_SE_EEES9_SG_JZNS1_25segmented_radix_sort_implINS0_14default_configELb1EPKfPfPKlPlN2at6native12_GLOBAL__N_18offset_tEEE10hipError_tPvRmT1_PNSt15iterator_traitsISY_E10value_typeET2_T3_PNSZ_IS14_E10value_typeET4_jRbjT5_S1A_jjP12ihipStream_tbEUljE_EEESV_SW_SX_S14_S18_S1A_T6_T7_T9_mT8_S1C_bDpT10_ENKUlT_T0_E_clISt17integral_constantIbLb1EES1O_IbLb0EEEEDaS1K_S1L_EUlS1K_E_NS1_11comp_targetILNS1_3genE5ELNS1_11target_archE942ELNS1_3gpuE9ELNS1_3repE0EEENS1_30default_config_static_selectorELNS0_4arch9wavefront6targetE1EEEvSY_.kd
    .uniform_work_group_size: 1
    .uses_dynamic_stack: false
    .vgpr_count:     0
    .vgpr_spill_count: 0
    .wavefront_size: 64
  - .agpr_count:     0
    .args:
      - .offset:         0
        .size:           144
        .value_kind:     by_value
    .group_segment_fixed_size: 13324
    .kernarg_segment_align: 8
    .kernarg_segment_size: 144
    .language:       OpenCL C
    .language_version:
      - 2
      - 0
    .max_flat_workgroup_size: 256
    .name:           _ZN7rocprim17ROCPRIM_400000_NS6detail17trampoline_kernelINS0_13select_configILj256ELj13ELNS0_17block_load_methodE3ELS4_3ELS4_3ELNS0_20block_scan_algorithmE0ELj4294967295EEENS1_25partition_config_selectorILNS1_17partition_subalgoE3EjNS0_10empty_typeEbEEZZNS1_14partition_implILS8_3ELb0ES6_jNS0_17counting_iteratorIjlEEPS9_SE_NS0_5tupleIJPjSE_EEENSF_IJSE_SE_EEES9_SG_JZNS1_25segmented_radix_sort_implINS0_14default_configELb1EPKfPfPKlPlN2at6native12_GLOBAL__N_18offset_tEEE10hipError_tPvRmT1_PNSt15iterator_traitsISY_E10value_typeET2_T3_PNSZ_IS14_E10value_typeET4_jRbjT5_S1A_jjP12ihipStream_tbEUljE_EEESV_SW_SX_S14_S18_S1A_T6_T7_T9_mT8_S1C_bDpT10_ENKUlT_T0_E_clISt17integral_constantIbLb1EES1O_IbLb0EEEEDaS1K_S1L_EUlS1K_E_NS1_11comp_targetILNS1_3genE4ELNS1_11target_archE910ELNS1_3gpuE8ELNS1_3repE0EEENS1_30default_config_static_selectorELNS0_4arch9wavefront6targetE1EEEvSY_
    .private_segment_fixed_size: 0
    .sgpr_count:     50
    .sgpr_spill_count: 0
    .symbol:         _ZN7rocprim17ROCPRIM_400000_NS6detail17trampoline_kernelINS0_13select_configILj256ELj13ELNS0_17block_load_methodE3ELS4_3ELS4_3ELNS0_20block_scan_algorithmE0ELj4294967295EEENS1_25partition_config_selectorILNS1_17partition_subalgoE3EjNS0_10empty_typeEbEEZZNS1_14partition_implILS8_3ELb0ES6_jNS0_17counting_iteratorIjlEEPS9_SE_NS0_5tupleIJPjSE_EEENSF_IJSE_SE_EEES9_SG_JZNS1_25segmented_radix_sort_implINS0_14default_configELb1EPKfPfPKlPlN2at6native12_GLOBAL__N_18offset_tEEE10hipError_tPvRmT1_PNSt15iterator_traitsISY_E10value_typeET2_T3_PNSZ_IS14_E10value_typeET4_jRbjT5_S1A_jjP12ihipStream_tbEUljE_EEESV_SW_SX_S14_S18_S1A_T6_T7_T9_mT8_S1C_bDpT10_ENKUlT_T0_E_clISt17integral_constantIbLb1EES1O_IbLb0EEEEDaS1K_S1L_EUlS1K_E_NS1_11comp_targetILNS1_3genE4ELNS1_11target_archE910ELNS1_3gpuE8ELNS1_3repE0EEENS1_30default_config_static_selectorELNS0_4arch9wavefront6targetE1EEEvSY_.kd
    .uniform_work_group_size: 1
    .uses_dynamic_stack: false
    .vgpr_count:     61
    .vgpr_spill_count: 0
    .wavefront_size: 64
  - .agpr_count:     0
    .args:
      - .offset:         0
        .size:           144
        .value_kind:     by_value
    .group_segment_fixed_size: 0
    .kernarg_segment_align: 8
    .kernarg_segment_size: 144
    .language:       OpenCL C
    .language_version:
      - 2
      - 0
    .max_flat_workgroup_size: 256
    .name:           _ZN7rocprim17ROCPRIM_400000_NS6detail17trampoline_kernelINS0_13select_configILj256ELj13ELNS0_17block_load_methodE3ELS4_3ELS4_3ELNS0_20block_scan_algorithmE0ELj4294967295EEENS1_25partition_config_selectorILNS1_17partition_subalgoE3EjNS0_10empty_typeEbEEZZNS1_14partition_implILS8_3ELb0ES6_jNS0_17counting_iteratorIjlEEPS9_SE_NS0_5tupleIJPjSE_EEENSF_IJSE_SE_EEES9_SG_JZNS1_25segmented_radix_sort_implINS0_14default_configELb1EPKfPfPKlPlN2at6native12_GLOBAL__N_18offset_tEEE10hipError_tPvRmT1_PNSt15iterator_traitsISY_E10value_typeET2_T3_PNSZ_IS14_E10value_typeET4_jRbjT5_S1A_jjP12ihipStream_tbEUljE_EEESV_SW_SX_S14_S18_S1A_T6_T7_T9_mT8_S1C_bDpT10_ENKUlT_T0_E_clISt17integral_constantIbLb1EES1O_IbLb0EEEEDaS1K_S1L_EUlS1K_E_NS1_11comp_targetILNS1_3genE3ELNS1_11target_archE908ELNS1_3gpuE7ELNS1_3repE0EEENS1_30default_config_static_selectorELNS0_4arch9wavefront6targetE1EEEvSY_
    .private_segment_fixed_size: 0
    .sgpr_count:     4
    .sgpr_spill_count: 0
    .symbol:         _ZN7rocprim17ROCPRIM_400000_NS6detail17trampoline_kernelINS0_13select_configILj256ELj13ELNS0_17block_load_methodE3ELS4_3ELS4_3ELNS0_20block_scan_algorithmE0ELj4294967295EEENS1_25partition_config_selectorILNS1_17partition_subalgoE3EjNS0_10empty_typeEbEEZZNS1_14partition_implILS8_3ELb0ES6_jNS0_17counting_iteratorIjlEEPS9_SE_NS0_5tupleIJPjSE_EEENSF_IJSE_SE_EEES9_SG_JZNS1_25segmented_radix_sort_implINS0_14default_configELb1EPKfPfPKlPlN2at6native12_GLOBAL__N_18offset_tEEE10hipError_tPvRmT1_PNSt15iterator_traitsISY_E10value_typeET2_T3_PNSZ_IS14_E10value_typeET4_jRbjT5_S1A_jjP12ihipStream_tbEUljE_EEESV_SW_SX_S14_S18_S1A_T6_T7_T9_mT8_S1C_bDpT10_ENKUlT_T0_E_clISt17integral_constantIbLb1EES1O_IbLb0EEEEDaS1K_S1L_EUlS1K_E_NS1_11comp_targetILNS1_3genE3ELNS1_11target_archE908ELNS1_3gpuE7ELNS1_3repE0EEENS1_30default_config_static_selectorELNS0_4arch9wavefront6targetE1EEEvSY_.kd
    .uniform_work_group_size: 1
    .uses_dynamic_stack: false
    .vgpr_count:     0
    .vgpr_spill_count: 0
    .wavefront_size: 64
  - .agpr_count:     0
    .args:
      - .offset:         0
        .size:           144
        .value_kind:     by_value
    .group_segment_fixed_size: 0
    .kernarg_segment_align: 8
    .kernarg_segment_size: 144
    .language:       OpenCL C
    .language_version:
      - 2
      - 0
    .max_flat_workgroup_size: 256
    .name:           _ZN7rocprim17ROCPRIM_400000_NS6detail17trampoline_kernelINS0_13select_configILj256ELj13ELNS0_17block_load_methodE3ELS4_3ELS4_3ELNS0_20block_scan_algorithmE0ELj4294967295EEENS1_25partition_config_selectorILNS1_17partition_subalgoE3EjNS0_10empty_typeEbEEZZNS1_14partition_implILS8_3ELb0ES6_jNS0_17counting_iteratorIjlEEPS9_SE_NS0_5tupleIJPjSE_EEENSF_IJSE_SE_EEES9_SG_JZNS1_25segmented_radix_sort_implINS0_14default_configELb1EPKfPfPKlPlN2at6native12_GLOBAL__N_18offset_tEEE10hipError_tPvRmT1_PNSt15iterator_traitsISY_E10value_typeET2_T3_PNSZ_IS14_E10value_typeET4_jRbjT5_S1A_jjP12ihipStream_tbEUljE_EEESV_SW_SX_S14_S18_S1A_T6_T7_T9_mT8_S1C_bDpT10_ENKUlT_T0_E_clISt17integral_constantIbLb1EES1O_IbLb0EEEEDaS1K_S1L_EUlS1K_E_NS1_11comp_targetILNS1_3genE2ELNS1_11target_archE906ELNS1_3gpuE6ELNS1_3repE0EEENS1_30default_config_static_selectorELNS0_4arch9wavefront6targetE1EEEvSY_
    .private_segment_fixed_size: 0
    .sgpr_count:     4
    .sgpr_spill_count: 0
    .symbol:         _ZN7rocprim17ROCPRIM_400000_NS6detail17trampoline_kernelINS0_13select_configILj256ELj13ELNS0_17block_load_methodE3ELS4_3ELS4_3ELNS0_20block_scan_algorithmE0ELj4294967295EEENS1_25partition_config_selectorILNS1_17partition_subalgoE3EjNS0_10empty_typeEbEEZZNS1_14partition_implILS8_3ELb0ES6_jNS0_17counting_iteratorIjlEEPS9_SE_NS0_5tupleIJPjSE_EEENSF_IJSE_SE_EEES9_SG_JZNS1_25segmented_radix_sort_implINS0_14default_configELb1EPKfPfPKlPlN2at6native12_GLOBAL__N_18offset_tEEE10hipError_tPvRmT1_PNSt15iterator_traitsISY_E10value_typeET2_T3_PNSZ_IS14_E10value_typeET4_jRbjT5_S1A_jjP12ihipStream_tbEUljE_EEESV_SW_SX_S14_S18_S1A_T6_T7_T9_mT8_S1C_bDpT10_ENKUlT_T0_E_clISt17integral_constantIbLb1EES1O_IbLb0EEEEDaS1K_S1L_EUlS1K_E_NS1_11comp_targetILNS1_3genE2ELNS1_11target_archE906ELNS1_3gpuE6ELNS1_3repE0EEENS1_30default_config_static_selectorELNS0_4arch9wavefront6targetE1EEEvSY_.kd
    .uniform_work_group_size: 1
    .uses_dynamic_stack: false
    .vgpr_count:     0
    .vgpr_spill_count: 0
    .wavefront_size: 64
  - .agpr_count:     0
    .args:
      - .offset:         0
        .size:           144
        .value_kind:     by_value
    .group_segment_fixed_size: 0
    .kernarg_segment_align: 8
    .kernarg_segment_size: 144
    .language:       OpenCL C
    .language_version:
      - 2
      - 0
    .max_flat_workgroup_size: 256
    .name:           _ZN7rocprim17ROCPRIM_400000_NS6detail17trampoline_kernelINS0_13select_configILj256ELj13ELNS0_17block_load_methodE3ELS4_3ELS4_3ELNS0_20block_scan_algorithmE0ELj4294967295EEENS1_25partition_config_selectorILNS1_17partition_subalgoE3EjNS0_10empty_typeEbEEZZNS1_14partition_implILS8_3ELb0ES6_jNS0_17counting_iteratorIjlEEPS9_SE_NS0_5tupleIJPjSE_EEENSF_IJSE_SE_EEES9_SG_JZNS1_25segmented_radix_sort_implINS0_14default_configELb1EPKfPfPKlPlN2at6native12_GLOBAL__N_18offset_tEEE10hipError_tPvRmT1_PNSt15iterator_traitsISY_E10value_typeET2_T3_PNSZ_IS14_E10value_typeET4_jRbjT5_S1A_jjP12ihipStream_tbEUljE_EEESV_SW_SX_S14_S18_S1A_T6_T7_T9_mT8_S1C_bDpT10_ENKUlT_T0_E_clISt17integral_constantIbLb1EES1O_IbLb0EEEEDaS1K_S1L_EUlS1K_E_NS1_11comp_targetILNS1_3genE10ELNS1_11target_archE1200ELNS1_3gpuE4ELNS1_3repE0EEENS1_30default_config_static_selectorELNS0_4arch9wavefront6targetE1EEEvSY_
    .private_segment_fixed_size: 0
    .sgpr_count:     4
    .sgpr_spill_count: 0
    .symbol:         _ZN7rocprim17ROCPRIM_400000_NS6detail17trampoline_kernelINS0_13select_configILj256ELj13ELNS0_17block_load_methodE3ELS4_3ELS4_3ELNS0_20block_scan_algorithmE0ELj4294967295EEENS1_25partition_config_selectorILNS1_17partition_subalgoE3EjNS0_10empty_typeEbEEZZNS1_14partition_implILS8_3ELb0ES6_jNS0_17counting_iteratorIjlEEPS9_SE_NS0_5tupleIJPjSE_EEENSF_IJSE_SE_EEES9_SG_JZNS1_25segmented_radix_sort_implINS0_14default_configELb1EPKfPfPKlPlN2at6native12_GLOBAL__N_18offset_tEEE10hipError_tPvRmT1_PNSt15iterator_traitsISY_E10value_typeET2_T3_PNSZ_IS14_E10value_typeET4_jRbjT5_S1A_jjP12ihipStream_tbEUljE_EEESV_SW_SX_S14_S18_S1A_T6_T7_T9_mT8_S1C_bDpT10_ENKUlT_T0_E_clISt17integral_constantIbLb1EES1O_IbLb0EEEEDaS1K_S1L_EUlS1K_E_NS1_11comp_targetILNS1_3genE10ELNS1_11target_archE1200ELNS1_3gpuE4ELNS1_3repE0EEENS1_30default_config_static_selectorELNS0_4arch9wavefront6targetE1EEEvSY_.kd
    .uniform_work_group_size: 1
    .uses_dynamic_stack: false
    .vgpr_count:     0
    .vgpr_spill_count: 0
    .wavefront_size: 64
  - .agpr_count:     0
    .args:
      - .offset:         0
        .size:           144
        .value_kind:     by_value
    .group_segment_fixed_size: 0
    .kernarg_segment_align: 8
    .kernarg_segment_size: 144
    .language:       OpenCL C
    .language_version:
      - 2
      - 0
    .max_flat_workgroup_size: 256
    .name:           _ZN7rocprim17ROCPRIM_400000_NS6detail17trampoline_kernelINS0_13select_configILj256ELj13ELNS0_17block_load_methodE3ELS4_3ELS4_3ELNS0_20block_scan_algorithmE0ELj4294967295EEENS1_25partition_config_selectorILNS1_17partition_subalgoE3EjNS0_10empty_typeEbEEZZNS1_14partition_implILS8_3ELb0ES6_jNS0_17counting_iteratorIjlEEPS9_SE_NS0_5tupleIJPjSE_EEENSF_IJSE_SE_EEES9_SG_JZNS1_25segmented_radix_sort_implINS0_14default_configELb1EPKfPfPKlPlN2at6native12_GLOBAL__N_18offset_tEEE10hipError_tPvRmT1_PNSt15iterator_traitsISY_E10value_typeET2_T3_PNSZ_IS14_E10value_typeET4_jRbjT5_S1A_jjP12ihipStream_tbEUljE_EEESV_SW_SX_S14_S18_S1A_T6_T7_T9_mT8_S1C_bDpT10_ENKUlT_T0_E_clISt17integral_constantIbLb1EES1O_IbLb0EEEEDaS1K_S1L_EUlS1K_E_NS1_11comp_targetILNS1_3genE9ELNS1_11target_archE1100ELNS1_3gpuE3ELNS1_3repE0EEENS1_30default_config_static_selectorELNS0_4arch9wavefront6targetE1EEEvSY_
    .private_segment_fixed_size: 0
    .sgpr_count:     4
    .sgpr_spill_count: 0
    .symbol:         _ZN7rocprim17ROCPRIM_400000_NS6detail17trampoline_kernelINS0_13select_configILj256ELj13ELNS0_17block_load_methodE3ELS4_3ELS4_3ELNS0_20block_scan_algorithmE0ELj4294967295EEENS1_25partition_config_selectorILNS1_17partition_subalgoE3EjNS0_10empty_typeEbEEZZNS1_14partition_implILS8_3ELb0ES6_jNS0_17counting_iteratorIjlEEPS9_SE_NS0_5tupleIJPjSE_EEENSF_IJSE_SE_EEES9_SG_JZNS1_25segmented_radix_sort_implINS0_14default_configELb1EPKfPfPKlPlN2at6native12_GLOBAL__N_18offset_tEEE10hipError_tPvRmT1_PNSt15iterator_traitsISY_E10value_typeET2_T3_PNSZ_IS14_E10value_typeET4_jRbjT5_S1A_jjP12ihipStream_tbEUljE_EEESV_SW_SX_S14_S18_S1A_T6_T7_T9_mT8_S1C_bDpT10_ENKUlT_T0_E_clISt17integral_constantIbLb1EES1O_IbLb0EEEEDaS1K_S1L_EUlS1K_E_NS1_11comp_targetILNS1_3genE9ELNS1_11target_archE1100ELNS1_3gpuE3ELNS1_3repE0EEENS1_30default_config_static_selectorELNS0_4arch9wavefront6targetE1EEEvSY_.kd
    .uniform_work_group_size: 1
    .uses_dynamic_stack: false
    .vgpr_count:     0
    .vgpr_spill_count: 0
    .wavefront_size: 64
  - .agpr_count:     0
    .args:
      - .offset:         0
        .size:           144
        .value_kind:     by_value
    .group_segment_fixed_size: 0
    .kernarg_segment_align: 8
    .kernarg_segment_size: 144
    .language:       OpenCL C
    .language_version:
      - 2
      - 0
    .max_flat_workgroup_size: 256
    .name:           _ZN7rocprim17ROCPRIM_400000_NS6detail17trampoline_kernelINS0_13select_configILj256ELj13ELNS0_17block_load_methodE3ELS4_3ELS4_3ELNS0_20block_scan_algorithmE0ELj4294967295EEENS1_25partition_config_selectorILNS1_17partition_subalgoE3EjNS0_10empty_typeEbEEZZNS1_14partition_implILS8_3ELb0ES6_jNS0_17counting_iteratorIjlEEPS9_SE_NS0_5tupleIJPjSE_EEENSF_IJSE_SE_EEES9_SG_JZNS1_25segmented_radix_sort_implINS0_14default_configELb1EPKfPfPKlPlN2at6native12_GLOBAL__N_18offset_tEEE10hipError_tPvRmT1_PNSt15iterator_traitsISY_E10value_typeET2_T3_PNSZ_IS14_E10value_typeET4_jRbjT5_S1A_jjP12ihipStream_tbEUljE_EEESV_SW_SX_S14_S18_S1A_T6_T7_T9_mT8_S1C_bDpT10_ENKUlT_T0_E_clISt17integral_constantIbLb1EES1O_IbLb0EEEEDaS1K_S1L_EUlS1K_E_NS1_11comp_targetILNS1_3genE8ELNS1_11target_archE1030ELNS1_3gpuE2ELNS1_3repE0EEENS1_30default_config_static_selectorELNS0_4arch9wavefront6targetE1EEEvSY_
    .private_segment_fixed_size: 0
    .sgpr_count:     4
    .sgpr_spill_count: 0
    .symbol:         _ZN7rocprim17ROCPRIM_400000_NS6detail17trampoline_kernelINS0_13select_configILj256ELj13ELNS0_17block_load_methodE3ELS4_3ELS4_3ELNS0_20block_scan_algorithmE0ELj4294967295EEENS1_25partition_config_selectorILNS1_17partition_subalgoE3EjNS0_10empty_typeEbEEZZNS1_14partition_implILS8_3ELb0ES6_jNS0_17counting_iteratorIjlEEPS9_SE_NS0_5tupleIJPjSE_EEENSF_IJSE_SE_EEES9_SG_JZNS1_25segmented_radix_sort_implINS0_14default_configELb1EPKfPfPKlPlN2at6native12_GLOBAL__N_18offset_tEEE10hipError_tPvRmT1_PNSt15iterator_traitsISY_E10value_typeET2_T3_PNSZ_IS14_E10value_typeET4_jRbjT5_S1A_jjP12ihipStream_tbEUljE_EEESV_SW_SX_S14_S18_S1A_T6_T7_T9_mT8_S1C_bDpT10_ENKUlT_T0_E_clISt17integral_constantIbLb1EES1O_IbLb0EEEEDaS1K_S1L_EUlS1K_E_NS1_11comp_targetILNS1_3genE8ELNS1_11target_archE1030ELNS1_3gpuE2ELNS1_3repE0EEENS1_30default_config_static_selectorELNS0_4arch9wavefront6targetE1EEEvSY_.kd
    .uniform_work_group_size: 1
    .uses_dynamic_stack: false
    .vgpr_count:     0
    .vgpr_spill_count: 0
    .wavefront_size: 64
  - .agpr_count:     0
    .args:
      - .offset:         0
        .size:           152
        .value_kind:     by_value
    .group_segment_fixed_size: 0
    .kernarg_segment_align: 8
    .kernarg_segment_size: 152
    .language:       OpenCL C
    .language_version:
      - 2
      - 0
    .max_flat_workgroup_size: 256
    .name:           _ZN7rocprim17ROCPRIM_400000_NS6detail17trampoline_kernelINS0_13select_configILj256ELj13ELNS0_17block_load_methodE3ELS4_3ELS4_3ELNS0_20block_scan_algorithmE0ELj4294967295EEENS1_25partition_config_selectorILNS1_17partition_subalgoE3EjNS0_10empty_typeEbEEZZNS1_14partition_implILS8_3ELb0ES6_jNS0_17counting_iteratorIjlEEPS9_SE_NS0_5tupleIJPjSE_EEENSF_IJSE_SE_EEES9_SG_JZNS1_25segmented_radix_sort_implINS0_14default_configELb1EPKfPfPKlPlN2at6native12_GLOBAL__N_18offset_tEEE10hipError_tPvRmT1_PNSt15iterator_traitsISY_E10value_typeET2_T3_PNSZ_IS14_E10value_typeET4_jRbjT5_S1A_jjP12ihipStream_tbEUljE_EEESV_SW_SX_S14_S18_S1A_T6_T7_T9_mT8_S1C_bDpT10_ENKUlT_T0_E_clISt17integral_constantIbLb0EES1O_IbLb1EEEEDaS1K_S1L_EUlS1K_E_NS1_11comp_targetILNS1_3genE0ELNS1_11target_archE4294967295ELNS1_3gpuE0ELNS1_3repE0EEENS1_30default_config_static_selectorELNS0_4arch9wavefront6targetE1EEEvSY_
    .private_segment_fixed_size: 0
    .sgpr_count:     4
    .sgpr_spill_count: 0
    .symbol:         _ZN7rocprim17ROCPRIM_400000_NS6detail17trampoline_kernelINS0_13select_configILj256ELj13ELNS0_17block_load_methodE3ELS4_3ELS4_3ELNS0_20block_scan_algorithmE0ELj4294967295EEENS1_25partition_config_selectorILNS1_17partition_subalgoE3EjNS0_10empty_typeEbEEZZNS1_14partition_implILS8_3ELb0ES6_jNS0_17counting_iteratorIjlEEPS9_SE_NS0_5tupleIJPjSE_EEENSF_IJSE_SE_EEES9_SG_JZNS1_25segmented_radix_sort_implINS0_14default_configELb1EPKfPfPKlPlN2at6native12_GLOBAL__N_18offset_tEEE10hipError_tPvRmT1_PNSt15iterator_traitsISY_E10value_typeET2_T3_PNSZ_IS14_E10value_typeET4_jRbjT5_S1A_jjP12ihipStream_tbEUljE_EEESV_SW_SX_S14_S18_S1A_T6_T7_T9_mT8_S1C_bDpT10_ENKUlT_T0_E_clISt17integral_constantIbLb0EES1O_IbLb1EEEEDaS1K_S1L_EUlS1K_E_NS1_11comp_targetILNS1_3genE0ELNS1_11target_archE4294967295ELNS1_3gpuE0ELNS1_3repE0EEENS1_30default_config_static_selectorELNS0_4arch9wavefront6targetE1EEEvSY_.kd
    .uniform_work_group_size: 1
    .uses_dynamic_stack: false
    .vgpr_count:     0
    .vgpr_spill_count: 0
    .wavefront_size: 64
  - .agpr_count:     0
    .args:
      - .offset:         0
        .size:           152
        .value_kind:     by_value
    .group_segment_fixed_size: 0
    .kernarg_segment_align: 8
    .kernarg_segment_size: 152
    .language:       OpenCL C
    .language_version:
      - 2
      - 0
    .max_flat_workgroup_size: 256
    .name:           _ZN7rocprim17ROCPRIM_400000_NS6detail17trampoline_kernelINS0_13select_configILj256ELj13ELNS0_17block_load_methodE3ELS4_3ELS4_3ELNS0_20block_scan_algorithmE0ELj4294967295EEENS1_25partition_config_selectorILNS1_17partition_subalgoE3EjNS0_10empty_typeEbEEZZNS1_14partition_implILS8_3ELb0ES6_jNS0_17counting_iteratorIjlEEPS9_SE_NS0_5tupleIJPjSE_EEENSF_IJSE_SE_EEES9_SG_JZNS1_25segmented_radix_sort_implINS0_14default_configELb1EPKfPfPKlPlN2at6native12_GLOBAL__N_18offset_tEEE10hipError_tPvRmT1_PNSt15iterator_traitsISY_E10value_typeET2_T3_PNSZ_IS14_E10value_typeET4_jRbjT5_S1A_jjP12ihipStream_tbEUljE_EEESV_SW_SX_S14_S18_S1A_T6_T7_T9_mT8_S1C_bDpT10_ENKUlT_T0_E_clISt17integral_constantIbLb0EES1O_IbLb1EEEEDaS1K_S1L_EUlS1K_E_NS1_11comp_targetILNS1_3genE5ELNS1_11target_archE942ELNS1_3gpuE9ELNS1_3repE0EEENS1_30default_config_static_selectorELNS0_4arch9wavefront6targetE1EEEvSY_
    .private_segment_fixed_size: 0
    .sgpr_count:     4
    .sgpr_spill_count: 0
    .symbol:         _ZN7rocprim17ROCPRIM_400000_NS6detail17trampoline_kernelINS0_13select_configILj256ELj13ELNS0_17block_load_methodE3ELS4_3ELS4_3ELNS0_20block_scan_algorithmE0ELj4294967295EEENS1_25partition_config_selectorILNS1_17partition_subalgoE3EjNS0_10empty_typeEbEEZZNS1_14partition_implILS8_3ELb0ES6_jNS0_17counting_iteratorIjlEEPS9_SE_NS0_5tupleIJPjSE_EEENSF_IJSE_SE_EEES9_SG_JZNS1_25segmented_radix_sort_implINS0_14default_configELb1EPKfPfPKlPlN2at6native12_GLOBAL__N_18offset_tEEE10hipError_tPvRmT1_PNSt15iterator_traitsISY_E10value_typeET2_T3_PNSZ_IS14_E10value_typeET4_jRbjT5_S1A_jjP12ihipStream_tbEUljE_EEESV_SW_SX_S14_S18_S1A_T6_T7_T9_mT8_S1C_bDpT10_ENKUlT_T0_E_clISt17integral_constantIbLb0EES1O_IbLb1EEEEDaS1K_S1L_EUlS1K_E_NS1_11comp_targetILNS1_3genE5ELNS1_11target_archE942ELNS1_3gpuE9ELNS1_3repE0EEENS1_30default_config_static_selectorELNS0_4arch9wavefront6targetE1EEEvSY_.kd
    .uniform_work_group_size: 1
    .uses_dynamic_stack: false
    .vgpr_count:     0
    .vgpr_spill_count: 0
    .wavefront_size: 64
  - .agpr_count:     0
    .args:
      - .offset:         0
        .size:           152
        .value_kind:     by_value
    .group_segment_fixed_size: 13324
    .kernarg_segment_align: 8
    .kernarg_segment_size: 152
    .language:       OpenCL C
    .language_version:
      - 2
      - 0
    .max_flat_workgroup_size: 256
    .name:           _ZN7rocprim17ROCPRIM_400000_NS6detail17trampoline_kernelINS0_13select_configILj256ELj13ELNS0_17block_load_methodE3ELS4_3ELS4_3ELNS0_20block_scan_algorithmE0ELj4294967295EEENS1_25partition_config_selectorILNS1_17partition_subalgoE3EjNS0_10empty_typeEbEEZZNS1_14partition_implILS8_3ELb0ES6_jNS0_17counting_iteratorIjlEEPS9_SE_NS0_5tupleIJPjSE_EEENSF_IJSE_SE_EEES9_SG_JZNS1_25segmented_radix_sort_implINS0_14default_configELb1EPKfPfPKlPlN2at6native12_GLOBAL__N_18offset_tEEE10hipError_tPvRmT1_PNSt15iterator_traitsISY_E10value_typeET2_T3_PNSZ_IS14_E10value_typeET4_jRbjT5_S1A_jjP12ihipStream_tbEUljE_EEESV_SW_SX_S14_S18_S1A_T6_T7_T9_mT8_S1C_bDpT10_ENKUlT_T0_E_clISt17integral_constantIbLb0EES1O_IbLb1EEEEDaS1K_S1L_EUlS1K_E_NS1_11comp_targetILNS1_3genE4ELNS1_11target_archE910ELNS1_3gpuE8ELNS1_3repE0EEENS1_30default_config_static_selectorELNS0_4arch9wavefront6targetE1EEEvSY_
    .private_segment_fixed_size: 0
    .sgpr_count:     48
    .sgpr_spill_count: 0
    .symbol:         _ZN7rocprim17ROCPRIM_400000_NS6detail17trampoline_kernelINS0_13select_configILj256ELj13ELNS0_17block_load_methodE3ELS4_3ELS4_3ELNS0_20block_scan_algorithmE0ELj4294967295EEENS1_25partition_config_selectorILNS1_17partition_subalgoE3EjNS0_10empty_typeEbEEZZNS1_14partition_implILS8_3ELb0ES6_jNS0_17counting_iteratorIjlEEPS9_SE_NS0_5tupleIJPjSE_EEENSF_IJSE_SE_EEES9_SG_JZNS1_25segmented_radix_sort_implINS0_14default_configELb1EPKfPfPKlPlN2at6native12_GLOBAL__N_18offset_tEEE10hipError_tPvRmT1_PNSt15iterator_traitsISY_E10value_typeET2_T3_PNSZ_IS14_E10value_typeET4_jRbjT5_S1A_jjP12ihipStream_tbEUljE_EEESV_SW_SX_S14_S18_S1A_T6_T7_T9_mT8_S1C_bDpT10_ENKUlT_T0_E_clISt17integral_constantIbLb0EES1O_IbLb1EEEEDaS1K_S1L_EUlS1K_E_NS1_11comp_targetILNS1_3genE4ELNS1_11target_archE910ELNS1_3gpuE8ELNS1_3repE0EEENS1_30default_config_static_selectorELNS0_4arch9wavefront6targetE1EEEvSY_.kd
    .uniform_work_group_size: 1
    .uses_dynamic_stack: false
    .vgpr_count:     64
    .vgpr_spill_count: 0
    .wavefront_size: 64
  - .agpr_count:     0
    .args:
      - .offset:         0
        .size:           152
        .value_kind:     by_value
    .group_segment_fixed_size: 0
    .kernarg_segment_align: 8
    .kernarg_segment_size: 152
    .language:       OpenCL C
    .language_version:
      - 2
      - 0
    .max_flat_workgroup_size: 256
    .name:           _ZN7rocprim17ROCPRIM_400000_NS6detail17trampoline_kernelINS0_13select_configILj256ELj13ELNS0_17block_load_methodE3ELS4_3ELS4_3ELNS0_20block_scan_algorithmE0ELj4294967295EEENS1_25partition_config_selectorILNS1_17partition_subalgoE3EjNS0_10empty_typeEbEEZZNS1_14partition_implILS8_3ELb0ES6_jNS0_17counting_iteratorIjlEEPS9_SE_NS0_5tupleIJPjSE_EEENSF_IJSE_SE_EEES9_SG_JZNS1_25segmented_radix_sort_implINS0_14default_configELb1EPKfPfPKlPlN2at6native12_GLOBAL__N_18offset_tEEE10hipError_tPvRmT1_PNSt15iterator_traitsISY_E10value_typeET2_T3_PNSZ_IS14_E10value_typeET4_jRbjT5_S1A_jjP12ihipStream_tbEUljE_EEESV_SW_SX_S14_S18_S1A_T6_T7_T9_mT8_S1C_bDpT10_ENKUlT_T0_E_clISt17integral_constantIbLb0EES1O_IbLb1EEEEDaS1K_S1L_EUlS1K_E_NS1_11comp_targetILNS1_3genE3ELNS1_11target_archE908ELNS1_3gpuE7ELNS1_3repE0EEENS1_30default_config_static_selectorELNS0_4arch9wavefront6targetE1EEEvSY_
    .private_segment_fixed_size: 0
    .sgpr_count:     4
    .sgpr_spill_count: 0
    .symbol:         _ZN7rocprim17ROCPRIM_400000_NS6detail17trampoline_kernelINS0_13select_configILj256ELj13ELNS0_17block_load_methodE3ELS4_3ELS4_3ELNS0_20block_scan_algorithmE0ELj4294967295EEENS1_25partition_config_selectorILNS1_17partition_subalgoE3EjNS0_10empty_typeEbEEZZNS1_14partition_implILS8_3ELb0ES6_jNS0_17counting_iteratorIjlEEPS9_SE_NS0_5tupleIJPjSE_EEENSF_IJSE_SE_EEES9_SG_JZNS1_25segmented_radix_sort_implINS0_14default_configELb1EPKfPfPKlPlN2at6native12_GLOBAL__N_18offset_tEEE10hipError_tPvRmT1_PNSt15iterator_traitsISY_E10value_typeET2_T3_PNSZ_IS14_E10value_typeET4_jRbjT5_S1A_jjP12ihipStream_tbEUljE_EEESV_SW_SX_S14_S18_S1A_T6_T7_T9_mT8_S1C_bDpT10_ENKUlT_T0_E_clISt17integral_constantIbLb0EES1O_IbLb1EEEEDaS1K_S1L_EUlS1K_E_NS1_11comp_targetILNS1_3genE3ELNS1_11target_archE908ELNS1_3gpuE7ELNS1_3repE0EEENS1_30default_config_static_selectorELNS0_4arch9wavefront6targetE1EEEvSY_.kd
    .uniform_work_group_size: 1
    .uses_dynamic_stack: false
    .vgpr_count:     0
    .vgpr_spill_count: 0
    .wavefront_size: 64
  - .agpr_count:     0
    .args:
      - .offset:         0
        .size:           152
        .value_kind:     by_value
    .group_segment_fixed_size: 0
    .kernarg_segment_align: 8
    .kernarg_segment_size: 152
    .language:       OpenCL C
    .language_version:
      - 2
      - 0
    .max_flat_workgroup_size: 256
    .name:           _ZN7rocprim17ROCPRIM_400000_NS6detail17trampoline_kernelINS0_13select_configILj256ELj13ELNS0_17block_load_methodE3ELS4_3ELS4_3ELNS0_20block_scan_algorithmE0ELj4294967295EEENS1_25partition_config_selectorILNS1_17partition_subalgoE3EjNS0_10empty_typeEbEEZZNS1_14partition_implILS8_3ELb0ES6_jNS0_17counting_iteratorIjlEEPS9_SE_NS0_5tupleIJPjSE_EEENSF_IJSE_SE_EEES9_SG_JZNS1_25segmented_radix_sort_implINS0_14default_configELb1EPKfPfPKlPlN2at6native12_GLOBAL__N_18offset_tEEE10hipError_tPvRmT1_PNSt15iterator_traitsISY_E10value_typeET2_T3_PNSZ_IS14_E10value_typeET4_jRbjT5_S1A_jjP12ihipStream_tbEUljE_EEESV_SW_SX_S14_S18_S1A_T6_T7_T9_mT8_S1C_bDpT10_ENKUlT_T0_E_clISt17integral_constantIbLb0EES1O_IbLb1EEEEDaS1K_S1L_EUlS1K_E_NS1_11comp_targetILNS1_3genE2ELNS1_11target_archE906ELNS1_3gpuE6ELNS1_3repE0EEENS1_30default_config_static_selectorELNS0_4arch9wavefront6targetE1EEEvSY_
    .private_segment_fixed_size: 0
    .sgpr_count:     4
    .sgpr_spill_count: 0
    .symbol:         _ZN7rocprim17ROCPRIM_400000_NS6detail17trampoline_kernelINS0_13select_configILj256ELj13ELNS0_17block_load_methodE3ELS4_3ELS4_3ELNS0_20block_scan_algorithmE0ELj4294967295EEENS1_25partition_config_selectorILNS1_17partition_subalgoE3EjNS0_10empty_typeEbEEZZNS1_14partition_implILS8_3ELb0ES6_jNS0_17counting_iteratorIjlEEPS9_SE_NS0_5tupleIJPjSE_EEENSF_IJSE_SE_EEES9_SG_JZNS1_25segmented_radix_sort_implINS0_14default_configELb1EPKfPfPKlPlN2at6native12_GLOBAL__N_18offset_tEEE10hipError_tPvRmT1_PNSt15iterator_traitsISY_E10value_typeET2_T3_PNSZ_IS14_E10value_typeET4_jRbjT5_S1A_jjP12ihipStream_tbEUljE_EEESV_SW_SX_S14_S18_S1A_T6_T7_T9_mT8_S1C_bDpT10_ENKUlT_T0_E_clISt17integral_constantIbLb0EES1O_IbLb1EEEEDaS1K_S1L_EUlS1K_E_NS1_11comp_targetILNS1_3genE2ELNS1_11target_archE906ELNS1_3gpuE6ELNS1_3repE0EEENS1_30default_config_static_selectorELNS0_4arch9wavefront6targetE1EEEvSY_.kd
    .uniform_work_group_size: 1
    .uses_dynamic_stack: false
    .vgpr_count:     0
    .vgpr_spill_count: 0
    .wavefront_size: 64
  - .agpr_count:     0
    .args:
      - .offset:         0
        .size:           152
        .value_kind:     by_value
    .group_segment_fixed_size: 0
    .kernarg_segment_align: 8
    .kernarg_segment_size: 152
    .language:       OpenCL C
    .language_version:
      - 2
      - 0
    .max_flat_workgroup_size: 256
    .name:           _ZN7rocprim17ROCPRIM_400000_NS6detail17trampoline_kernelINS0_13select_configILj256ELj13ELNS0_17block_load_methodE3ELS4_3ELS4_3ELNS0_20block_scan_algorithmE0ELj4294967295EEENS1_25partition_config_selectorILNS1_17partition_subalgoE3EjNS0_10empty_typeEbEEZZNS1_14partition_implILS8_3ELb0ES6_jNS0_17counting_iteratorIjlEEPS9_SE_NS0_5tupleIJPjSE_EEENSF_IJSE_SE_EEES9_SG_JZNS1_25segmented_radix_sort_implINS0_14default_configELb1EPKfPfPKlPlN2at6native12_GLOBAL__N_18offset_tEEE10hipError_tPvRmT1_PNSt15iterator_traitsISY_E10value_typeET2_T3_PNSZ_IS14_E10value_typeET4_jRbjT5_S1A_jjP12ihipStream_tbEUljE_EEESV_SW_SX_S14_S18_S1A_T6_T7_T9_mT8_S1C_bDpT10_ENKUlT_T0_E_clISt17integral_constantIbLb0EES1O_IbLb1EEEEDaS1K_S1L_EUlS1K_E_NS1_11comp_targetILNS1_3genE10ELNS1_11target_archE1200ELNS1_3gpuE4ELNS1_3repE0EEENS1_30default_config_static_selectorELNS0_4arch9wavefront6targetE1EEEvSY_
    .private_segment_fixed_size: 0
    .sgpr_count:     4
    .sgpr_spill_count: 0
    .symbol:         _ZN7rocprim17ROCPRIM_400000_NS6detail17trampoline_kernelINS0_13select_configILj256ELj13ELNS0_17block_load_methodE3ELS4_3ELS4_3ELNS0_20block_scan_algorithmE0ELj4294967295EEENS1_25partition_config_selectorILNS1_17partition_subalgoE3EjNS0_10empty_typeEbEEZZNS1_14partition_implILS8_3ELb0ES6_jNS0_17counting_iteratorIjlEEPS9_SE_NS0_5tupleIJPjSE_EEENSF_IJSE_SE_EEES9_SG_JZNS1_25segmented_radix_sort_implINS0_14default_configELb1EPKfPfPKlPlN2at6native12_GLOBAL__N_18offset_tEEE10hipError_tPvRmT1_PNSt15iterator_traitsISY_E10value_typeET2_T3_PNSZ_IS14_E10value_typeET4_jRbjT5_S1A_jjP12ihipStream_tbEUljE_EEESV_SW_SX_S14_S18_S1A_T6_T7_T9_mT8_S1C_bDpT10_ENKUlT_T0_E_clISt17integral_constantIbLb0EES1O_IbLb1EEEEDaS1K_S1L_EUlS1K_E_NS1_11comp_targetILNS1_3genE10ELNS1_11target_archE1200ELNS1_3gpuE4ELNS1_3repE0EEENS1_30default_config_static_selectorELNS0_4arch9wavefront6targetE1EEEvSY_.kd
    .uniform_work_group_size: 1
    .uses_dynamic_stack: false
    .vgpr_count:     0
    .vgpr_spill_count: 0
    .wavefront_size: 64
  - .agpr_count:     0
    .args:
      - .offset:         0
        .size:           152
        .value_kind:     by_value
    .group_segment_fixed_size: 0
    .kernarg_segment_align: 8
    .kernarg_segment_size: 152
    .language:       OpenCL C
    .language_version:
      - 2
      - 0
    .max_flat_workgroup_size: 256
    .name:           _ZN7rocprim17ROCPRIM_400000_NS6detail17trampoline_kernelINS0_13select_configILj256ELj13ELNS0_17block_load_methodE3ELS4_3ELS4_3ELNS0_20block_scan_algorithmE0ELj4294967295EEENS1_25partition_config_selectorILNS1_17partition_subalgoE3EjNS0_10empty_typeEbEEZZNS1_14partition_implILS8_3ELb0ES6_jNS0_17counting_iteratorIjlEEPS9_SE_NS0_5tupleIJPjSE_EEENSF_IJSE_SE_EEES9_SG_JZNS1_25segmented_radix_sort_implINS0_14default_configELb1EPKfPfPKlPlN2at6native12_GLOBAL__N_18offset_tEEE10hipError_tPvRmT1_PNSt15iterator_traitsISY_E10value_typeET2_T3_PNSZ_IS14_E10value_typeET4_jRbjT5_S1A_jjP12ihipStream_tbEUljE_EEESV_SW_SX_S14_S18_S1A_T6_T7_T9_mT8_S1C_bDpT10_ENKUlT_T0_E_clISt17integral_constantIbLb0EES1O_IbLb1EEEEDaS1K_S1L_EUlS1K_E_NS1_11comp_targetILNS1_3genE9ELNS1_11target_archE1100ELNS1_3gpuE3ELNS1_3repE0EEENS1_30default_config_static_selectorELNS0_4arch9wavefront6targetE1EEEvSY_
    .private_segment_fixed_size: 0
    .sgpr_count:     4
    .sgpr_spill_count: 0
    .symbol:         _ZN7rocprim17ROCPRIM_400000_NS6detail17trampoline_kernelINS0_13select_configILj256ELj13ELNS0_17block_load_methodE3ELS4_3ELS4_3ELNS0_20block_scan_algorithmE0ELj4294967295EEENS1_25partition_config_selectorILNS1_17partition_subalgoE3EjNS0_10empty_typeEbEEZZNS1_14partition_implILS8_3ELb0ES6_jNS0_17counting_iteratorIjlEEPS9_SE_NS0_5tupleIJPjSE_EEENSF_IJSE_SE_EEES9_SG_JZNS1_25segmented_radix_sort_implINS0_14default_configELb1EPKfPfPKlPlN2at6native12_GLOBAL__N_18offset_tEEE10hipError_tPvRmT1_PNSt15iterator_traitsISY_E10value_typeET2_T3_PNSZ_IS14_E10value_typeET4_jRbjT5_S1A_jjP12ihipStream_tbEUljE_EEESV_SW_SX_S14_S18_S1A_T6_T7_T9_mT8_S1C_bDpT10_ENKUlT_T0_E_clISt17integral_constantIbLb0EES1O_IbLb1EEEEDaS1K_S1L_EUlS1K_E_NS1_11comp_targetILNS1_3genE9ELNS1_11target_archE1100ELNS1_3gpuE3ELNS1_3repE0EEENS1_30default_config_static_selectorELNS0_4arch9wavefront6targetE1EEEvSY_.kd
    .uniform_work_group_size: 1
    .uses_dynamic_stack: false
    .vgpr_count:     0
    .vgpr_spill_count: 0
    .wavefront_size: 64
  - .agpr_count:     0
    .args:
      - .offset:         0
        .size:           152
        .value_kind:     by_value
    .group_segment_fixed_size: 0
    .kernarg_segment_align: 8
    .kernarg_segment_size: 152
    .language:       OpenCL C
    .language_version:
      - 2
      - 0
    .max_flat_workgroup_size: 256
    .name:           _ZN7rocprim17ROCPRIM_400000_NS6detail17trampoline_kernelINS0_13select_configILj256ELj13ELNS0_17block_load_methodE3ELS4_3ELS4_3ELNS0_20block_scan_algorithmE0ELj4294967295EEENS1_25partition_config_selectorILNS1_17partition_subalgoE3EjNS0_10empty_typeEbEEZZNS1_14partition_implILS8_3ELb0ES6_jNS0_17counting_iteratorIjlEEPS9_SE_NS0_5tupleIJPjSE_EEENSF_IJSE_SE_EEES9_SG_JZNS1_25segmented_radix_sort_implINS0_14default_configELb1EPKfPfPKlPlN2at6native12_GLOBAL__N_18offset_tEEE10hipError_tPvRmT1_PNSt15iterator_traitsISY_E10value_typeET2_T3_PNSZ_IS14_E10value_typeET4_jRbjT5_S1A_jjP12ihipStream_tbEUljE_EEESV_SW_SX_S14_S18_S1A_T6_T7_T9_mT8_S1C_bDpT10_ENKUlT_T0_E_clISt17integral_constantIbLb0EES1O_IbLb1EEEEDaS1K_S1L_EUlS1K_E_NS1_11comp_targetILNS1_3genE8ELNS1_11target_archE1030ELNS1_3gpuE2ELNS1_3repE0EEENS1_30default_config_static_selectorELNS0_4arch9wavefront6targetE1EEEvSY_
    .private_segment_fixed_size: 0
    .sgpr_count:     4
    .sgpr_spill_count: 0
    .symbol:         _ZN7rocprim17ROCPRIM_400000_NS6detail17trampoline_kernelINS0_13select_configILj256ELj13ELNS0_17block_load_methodE3ELS4_3ELS4_3ELNS0_20block_scan_algorithmE0ELj4294967295EEENS1_25partition_config_selectorILNS1_17partition_subalgoE3EjNS0_10empty_typeEbEEZZNS1_14partition_implILS8_3ELb0ES6_jNS0_17counting_iteratorIjlEEPS9_SE_NS0_5tupleIJPjSE_EEENSF_IJSE_SE_EEES9_SG_JZNS1_25segmented_radix_sort_implINS0_14default_configELb1EPKfPfPKlPlN2at6native12_GLOBAL__N_18offset_tEEE10hipError_tPvRmT1_PNSt15iterator_traitsISY_E10value_typeET2_T3_PNSZ_IS14_E10value_typeET4_jRbjT5_S1A_jjP12ihipStream_tbEUljE_EEESV_SW_SX_S14_S18_S1A_T6_T7_T9_mT8_S1C_bDpT10_ENKUlT_T0_E_clISt17integral_constantIbLb0EES1O_IbLb1EEEEDaS1K_S1L_EUlS1K_E_NS1_11comp_targetILNS1_3genE8ELNS1_11target_archE1030ELNS1_3gpuE2ELNS1_3repE0EEENS1_30default_config_static_selectorELNS0_4arch9wavefront6targetE1EEEvSY_.kd
    .uniform_work_group_size: 1
    .uses_dynamic_stack: false
    .vgpr_count:     0
    .vgpr_spill_count: 0
    .wavefront_size: 64
  - .agpr_count:     0
    .args:
      - .offset:         0
        .size:           96
        .value_kind:     by_value
    .group_segment_fixed_size: 0
    .kernarg_segment_align: 8
    .kernarg_segment_size: 96
    .language:       OpenCL C
    .language_version:
      - 2
      - 0
    .max_flat_workgroup_size: 256
    .name:           _ZN7rocprim17ROCPRIM_400000_NS6detail17trampoline_kernelINS0_14default_configENS1_36segmented_radix_sort_config_selectorIflEEZNS1_25segmented_radix_sort_implIS3_Lb1EPKfPfPKlPlN2at6native12_GLOBAL__N_18offset_tEEE10hipError_tPvRmT1_PNSt15iterator_traitsISK_E10value_typeET2_T3_PNSL_ISQ_E10value_typeET4_jRbjT5_SW_jjP12ihipStream_tbEUlT_E_NS1_11comp_targetILNS1_3genE0ELNS1_11target_archE4294967295ELNS1_3gpuE0ELNS1_3repE0EEENS1_30default_config_static_selectorELNS0_4arch9wavefront6targetE1EEEvSK_
    .private_segment_fixed_size: 0
    .sgpr_count:     4
    .sgpr_spill_count: 0
    .symbol:         _ZN7rocprim17ROCPRIM_400000_NS6detail17trampoline_kernelINS0_14default_configENS1_36segmented_radix_sort_config_selectorIflEEZNS1_25segmented_radix_sort_implIS3_Lb1EPKfPfPKlPlN2at6native12_GLOBAL__N_18offset_tEEE10hipError_tPvRmT1_PNSt15iterator_traitsISK_E10value_typeET2_T3_PNSL_ISQ_E10value_typeET4_jRbjT5_SW_jjP12ihipStream_tbEUlT_E_NS1_11comp_targetILNS1_3genE0ELNS1_11target_archE4294967295ELNS1_3gpuE0ELNS1_3repE0EEENS1_30default_config_static_selectorELNS0_4arch9wavefront6targetE1EEEvSK_.kd
    .uniform_work_group_size: 1
    .uses_dynamic_stack: false
    .vgpr_count:     0
    .vgpr_spill_count: 0
    .wavefront_size: 64
  - .agpr_count:     0
    .args:
      - .offset:         0
        .size:           96
        .value_kind:     by_value
    .group_segment_fixed_size: 0
    .kernarg_segment_align: 8
    .kernarg_segment_size: 96
    .language:       OpenCL C
    .language_version:
      - 2
      - 0
    .max_flat_workgroup_size: 256
    .name:           _ZN7rocprim17ROCPRIM_400000_NS6detail17trampoline_kernelINS0_14default_configENS1_36segmented_radix_sort_config_selectorIflEEZNS1_25segmented_radix_sort_implIS3_Lb1EPKfPfPKlPlN2at6native12_GLOBAL__N_18offset_tEEE10hipError_tPvRmT1_PNSt15iterator_traitsISK_E10value_typeET2_T3_PNSL_ISQ_E10value_typeET4_jRbjT5_SW_jjP12ihipStream_tbEUlT_E_NS1_11comp_targetILNS1_3genE5ELNS1_11target_archE942ELNS1_3gpuE9ELNS1_3repE0EEENS1_30default_config_static_selectorELNS0_4arch9wavefront6targetE1EEEvSK_
    .private_segment_fixed_size: 0
    .sgpr_count:     4
    .sgpr_spill_count: 0
    .symbol:         _ZN7rocprim17ROCPRIM_400000_NS6detail17trampoline_kernelINS0_14default_configENS1_36segmented_radix_sort_config_selectorIflEEZNS1_25segmented_radix_sort_implIS3_Lb1EPKfPfPKlPlN2at6native12_GLOBAL__N_18offset_tEEE10hipError_tPvRmT1_PNSt15iterator_traitsISK_E10value_typeET2_T3_PNSL_ISQ_E10value_typeET4_jRbjT5_SW_jjP12ihipStream_tbEUlT_E_NS1_11comp_targetILNS1_3genE5ELNS1_11target_archE942ELNS1_3gpuE9ELNS1_3repE0EEENS1_30default_config_static_selectorELNS0_4arch9wavefront6targetE1EEEvSK_.kd
    .uniform_work_group_size: 1
    .uses_dynamic_stack: false
    .vgpr_count:     0
    .vgpr_spill_count: 0
    .wavefront_size: 64
  - .agpr_count:     0
    .args:
      - .offset:         0
        .size:           96
        .value_kind:     by_value
      - .offset:         96
        .size:           4
        .value_kind:     hidden_block_count_x
      - .offset:         100
        .size:           4
        .value_kind:     hidden_block_count_y
      - .offset:         104
        .size:           4
        .value_kind:     hidden_block_count_z
      - .offset:         108
        .size:           2
        .value_kind:     hidden_group_size_x
      - .offset:         110
        .size:           2
        .value_kind:     hidden_group_size_y
      - .offset:         112
        .size:           2
        .value_kind:     hidden_group_size_z
      - .offset:         114
        .size:           2
        .value_kind:     hidden_remainder_x
      - .offset:         116
        .size:           2
        .value_kind:     hidden_remainder_y
      - .offset:         118
        .size:           2
        .value_kind:     hidden_remainder_z
      - .offset:         136
        .size:           8
        .value_kind:     hidden_global_offset_x
      - .offset:         144
        .size:           8
        .value_kind:     hidden_global_offset_y
      - .offset:         152
        .size:           8
        .value_kind:     hidden_global_offset_z
      - .offset:         160
        .size:           2
        .value_kind:     hidden_grid_dims
      - .offset:         176
        .size:           8
        .value_kind:     hidden_hostcall_buffer
      - .offset:         184
        .size:           8
        .value_kind:     hidden_multigrid_sync_arg
      - .offset:         192
        .size:           8
        .value_kind:     hidden_heap_v1
      - .offset:         200
        .size:           8
        .value_kind:     hidden_default_queue
      - .offset:         208
        .size:           8
        .value_kind:     hidden_completion_action
      - .offset:         296
        .size:           8
        .value_kind:     hidden_queue_ptr
    .group_segment_fixed_size: 17424
    .kernarg_segment_align: 8
    .kernarg_segment_size: 352
    .language:       OpenCL C
    .language_version:
      - 2
      - 0
    .max_flat_workgroup_size: 256
    .name:           _ZN7rocprim17ROCPRIM_400000_NS6detail17trampoline_kernelINS0_14default_configENS1_36segmented_radix_sort_config_selectorIflEEZNS1_25segmented_radix_sort_implIS3_Lb1EPKfPfPKlPlN2at6native12_GLOBAL__N_18offset_tEEE10hipError_tPvRmT1_PNSt15iterator_traitsISK_E10value_typeET2_T3_PNSL_ISQ_E10value_typeET4_jRbjT5_SW_jjP12ihipStream_tbEUlT_E_NS1_11comp_targetILNS1_3genE4ELNS1_11target_archE910ELNS1_3gpuE8ELNS1_3repE0EEENS1_30default_config_static_selectorELNS0_4arch9wavefront6targetE1EEEvSK_
    .private_segment_fixed_size: 8
    .sgpr_count:     95
    .sgpr_spill_count: 0
    .symbol:         _ZN7rocprim17ROCPRIM_400000_NS6detail17trampoline_kernelINS0_14default_configENS1_36segmented_radix_sort_config_selectorIflEEZNS1_25segmented_radix_sort_implIS3_Lb1EPKfPfPKlPlN2at6native12_GLOBAL__N_18offset_tEEE10hipError_tPvRmT1_PNSt15iterator_traitsISK_E10value_typeET2_T3_PNSL_ISQ_E10value_typeET4_jRbjT5_SW_jjP12ihipStream_tbEUlT_E_NS1_11comp_targetILNS1_3genE4ELNS1_11target_archE910ELNS1_3gpuE8ELNS1_3repE0EEENS1_30default_config_static_selectorELNS0_4arch9wavefront6targetE1EEEvSK_.kd
    .uniform_work_group_size: 1
    .uses_dynamic_stack: false
    .vgpr_count:     195
    .vgpr_spill_count: 0
    .wavefront_size: 64
  - .agpr_count:     0
    .args:
      - .offset:         0
        .size:           96
        .value_kind:     by_value
    .group_segment_fixed_size: 0
    .kernarg_segment_align: 8
    .kernarg_segment_size: 96
    .language:       OpenCL C
    .language_version:
      - 2
      - 0
    .max_flat_workgroup_size: 256
    .name:           _ZN7rocprim17ROCPRIM_400000_NS6detail17trampoline_kernelINS0_14default_configENS1_36segmented_radix_sort_config_selectorIflEEZNS1_25segmented_radix_sort_implIS3_Lb1EPKfPfPKlPlN2at6native12_GLOBAL__N_18offset_tEEE10hipError_tPvRmT1_PNSt15iterator_traitsISK_E10value_typeET2_T3_PNSL_ISQ_E10value_typeET4_jRbjT5_SW_jjP12ihipStream_tbEUlT_E_NS1_11comp_targetILNS1_3genE3ELNS1_11target_archE908ELNS1_3gpuE7ELNS1_3repE0EEENS1_30default_config_static_selectorELNS0_4arch9wavefront6targetE1EEEvSK_
    .private_segment_fixed_size: 0
    .sgpr_count:     4
    .sgpr_spill_count: 0
    .symbol:         _ZN7rocprim17ROCPRIM_400000_NS6detail17trampoline_kernelINS0_14default_configENS1_36segmented_radix_sort_config_selectorIflEEZNS1_25segmented_radix_sort_implIS3_Lb1EPKfPfPKlPlN2at6native12_GLOBAL__N_18offset_tEEE10hipError_tPvRmT1_PNSt15iterator_traitsISK_E10value_typeET2_T3_PNSL_ISQ_E10value_typeET4_jRbjT5_SW_jjP12ihipStream_tbEUlT_E_NS1_11comp_targetILNS1_3genE3ELNS1_11target_archE908ELNS1_3gpuE7ELNS1_3repE0EEENS1_30default_config_static_selectorELNS0_4arch9wavefront6targetE1EEEvSK_.kd
    .uniform_work_group_size: 1
    .uses_dynamic_stack: false
    .vgpr_count:     0
    .vgpr_spill_count: 0
    .wavefront_size: 64
  - .agpr_count:     0
    .args:
      - .offset:         0
        .size:           96
        .value_kind:     by_value
    .group_segment_fixed_size: 0
    .kernarg_segment_align: 8
    .kernarg_segment_size: 96
    .language:       OpenCL C
    .language_version:
      - 2
      - 0
    .max_flat_workgroup_size: 256
    .name:           _ZN7rocprim17ROCPRIM_400000_NS6detail17trampoline_kernelINS0_14default_configENS1_36segmented_radix_sort_config_selectorIflEEZNS1_25segmented_radix_sort_implIS3_Lb1EPKfPfPKlPlN2at6native12_GLOBAL__N_18offset_tEEE10hipError_tPvRmT1_PNSt15iterator_traitsISK_E10value_typeET2_T3_PNSL_ISQ_E10value_typeET4_jRbjT5_SW_jjP12ihipStream_tbEUlT_E_NS1_11comp_targetILNS1_3genE2ELNS1_11target_archE906ELNS1_3gpuE6ELNS1_3repE0EEENS1_30default_config_static_selectorELNS0_4arch9wavefront6targetE1EEEvSK_
    .private_segment_fixed_size: 0
    .sgpr_count:     4
    .sgpr_spill_count: 0
    .symbol:         _ZN7rocprim17ROCPRIM_400000_NS6detail17trampoline_kernelINS0_14default_configENS1_36segmented_radix_sort_config_selectorIflEEZNS1_25segmented_radix_sort_implIS3_Lb1EPKfPfPKlPlN2at6native12_GLOBAL__N_18offset_tEEE10hipError_tPvRmT1_PNSt15iterator_traitsISK_E10value_typeET2_T3_PNSL_ISQ_E10value_typeET4_jRbjT5_SW_jjP12ihipStream_tbEUlT_E_NS1_11comp_targetILNS1_3genE2ELNS1_11target_archE906ELNS1_3gpuE6ELNS1_3repE0EEENS1_30default_config_static_selectorELNS0_4arch9wavefront6targetE1EEEvSK_.kd
    .uniform_work_group_size: 1
    .uses_dynamic_stack: false
    .vgpr_count:     0
    .vgpr_spill_count: 0
    .wavefront_size: 64
  - .agpr_count:     0
    .args:
      - .offset:         0
        .size:           96
        .value_kind:     by_value
    .group_segment_fixed_size: 0
    .kernarg_segment_align: 8
    .kernarg_segment_size: 96
    .language:       OpenCL C
    .language_version:
      - 2
      - 0
    .max_flat_workgroup_size: 256
    .name:           _ZN7rocprim17ROCPRIM_400000_NS6detail17trampoline_kernelINS0_14default_configENS1_36segmented_radix_sort_config_selectorIflEEZNS1_25segmented_radix_sort_implIS3_Lb1EPKfPfPKlPlN2at6native12_GLOBAL__N_18offset_tEEE10hipError_tPvRmT1_PNSt15iterator_traitsISK_E10value_typeET2_T3_PNSL_ISQ_E10value_typeET4_jRbjT5_SW_jjP12ihipStream_tbEUlT_E_NS1_11comp_targetILNS1_3genE10ELNS1_11target_archE1201ELNS1_3gpuE5ELNS1_3repE0EEENS1_30default_config_static_selectorELNS0_4arch9wavefront6targetE1EEEvSK_
    .private_segment_fixed_size: 0
    .sgpr_count:     4
    .sgpr_spill_count: 0
    .symbol:         _ZN7rocprim17ROCPRIM_400000_NS6detail17trampoline_kernelINS0_14default_configENS1_36segmented_radix_sort_config_selectorIflEEZNS1_25segmented_radix_sort_implIS3_Lb1EPKfPfPKlPlN2at6native12_GLOBAL__N_18offset_tEEE10hipError_tPvRmT1_PNSt15iterator_traitsISK_E10value_typeET2_T3_PNSL_ISQ_E10value_typeET4_jRbjT5_SW_jjP12ihipStream_tbEUlT_E_NS1_11comp_targetILNS1_3genE10ELNS1_11target_archE1201ELNS1_3gpuE5ELNS1_3repE0EEENS1_30default_config_static_selectorELNS0_4arch9wavefront6targetE1EEEvSK_.kd
    .uniform_work_group_size: 1
    .uses_dynamic_stack: false
    .vgpr_count:     0
    .vgpr_spill_count: 0
    .wavefront_size: 64
  - .agpr_count:     0
    .args:
      - .offset:         0
        .size:           96
        .value_kind:     by_value
    .group_segment_fixed_size: 0
    .kernarg_segment_align: 8
    .kernarg_segment_size: 96
    .language:       OpenCL C
    .language_version:
      - 2
      - 0
    .max_flat_workgroup_size: 128
    .name:           _ZN7rocprim17ROCPRIM_400000_NS6detail17trampoline_kernelINS0_14default_configENS1_36segmented_radix_sort_config_selectorIflEEZNS1_25segmented_radix_sort_implIS3_Lb1EPKfPfPKlPlN2at6native12_GLOBAL__N_18offset_tEEE10hipError_tPvRmT1_PNSt15iterator_traitsISK_E10value_typeET2_T3_PNSL_ISQ_E10value_typeET4_jRbjT5_SW_jjP12ihipStream_tbEUlT_E_NS1_11comp_targetILNS1_3genE10ELNS1_11target_archE1200ELNS1_3gpuE4ELNS1_3repE0EEENS1_30default_config_static_selectorELNS0_4arch9wavefront6targetE1EEEvSK_
    .private_segment_fixed_size: 0
    .sgpr_count:     4
    .sgpr_spill_count: 0
    .symbol:         _ZN7rocprim17ROCPRIM_400000_NS6detail17trampoline_kernelINS0_14default_configENS1_36segmented_radix_sort_config_selectorIflEEZNS1_25segmented_radix_sort_implIS3_Lb1EPKfPfPKlPlN2at6native12_GLOBAL__N_18offset_tEEE10hipError_tPvRmT1_PNSt15iterator_traitsISK_E10value_typeET2_T3_PNSL_ISQ_E10value_typeET4_jRbjT5_SW_jjP12ihipStream_tbEUlT_E_NS1_11comp_targetILNS1_3genE10ELNS1_11target_archE1200ELNS1_3gpuE4ELNS1_3repE0EEENS1_30default_config_static_selectorELNS0_4arch9wavefront6targetE1EEEvSK_.kd
    .uniform_work_group_size: 1
    .uses_dynamic_stack: false
    .vgpr_count:     0
    .vgpr_spill_count: 0
    .wavefront_size: 64
  - .agpr_count:     0
    .args:
      - .offset:         0
        .size:           96
        .value_kind:     by_value
    .group_segment_fixed_size: 0
    .kernarg_segment_align: 8
    .kernarg_segment_size: 96
    .language:       OpenCL C
    .language_version:
      - 2
      - 0
    .max_flat_workgroup_size: 256
    .name:           _ZN7rocprim17ROCPRIM_400000_NS6detail17trampoline_kernelINS0_14default_configENS1_36segmented_radix_sort_config_selectorIflEEZNS1_25segmented_radix_sort_implIS3_Lb1EPKfPfPKlPlN2at6native12_GLOBAL__N_18offset_tEEE10hipError_tPvRmT1_PNSt15iterator_traitsISK_E10value_typeET2_T3_PNSL_ISQ_E10value_typeET4_jRbjT5_SW_jjP12ihipStream_tbEUlT_E_NS1_11comp_targetILNS1_3genE9ELNS1_11target_archE1100ELNS1_3gpuE3ELNS1_3repE0EEENS1_30default_config_static_selectorELNS0_4arch9wavefront6targetE1EEEvSK_
    .private_segment_fixed_size: 0
    .sgpr_count:     4
    .sgpr_spill_count: 0
    .symbol:         _ZN7rocprim17ROCPRIM_400000_NS6detail17trampoline_kernelINS0_14default_configENS1_36segmented_radix_sort_config_selectorIflEEZNS1_25segmented_radix_sort_implIS3_Lb1EPKfPfPKlPlN2at6native12_GLOBAL__N_18offset_tEEE10hipError_tPvRmT1_PNSt15iterator_traitsISK_E10value_typeET2_T3_PNSL_ISQ_E10value_typeET4_jRbjT5_SW_jjP12ihipStream_tbEUlT_E_NS1_11comp_targetILNS1_3genE9ELNS1_11target_archE1100ELNS1_3gpuE3ELNS1_3repE0EEENS1_30default_config_static_selectorELNS0_4arch9wavefront6targetE1EEEvSK_.kd
    .uniform_work_group_size: 1
    .uses_dynamic_stack: false
    .vgpr_count:     0
    .vgpr_spill_count: 0
    .wavefront_size: 64
  - .agpr_count:     0
    .args:
      - .offset:         0
        .size:           96
        .value_kind:     by_value
    .group_segment_fixed_size: 0
    .kernarg_segment_align: 8
    .kernarg_segment_size: 96
    .language:       OpenCL C
    .language_version:
      - 2
      - 0
    .max_flat_workgroup_size: 256
    .name:           _ZN7rocprim17ROCPRIM_400000_NS6detail17trampoline_kernelINS0_14default_configENS1_36segmented_radix_sort_config_selectorIflEEZNS1_25segmented_radix_sort_implIS3_Lb1EPKfPfPKlPlN2at6native12_GLOBAL__N_18offset_tEEE10hipError_tPvRmT1_PNSt15iterator_traitsISK_E10value_typeET2_T3_PNSL_ISQ_E10value_typeET4_jRbjT5_SW_jjP12ihipStream_tbEUlT_E_NS1_11comp_targetILNS1_3genE8ELNS1_11target_archE1030ELNS1_3gpuE2ELNS1_3repE0EEENS1_30default_config_static_selectorELNS0_4arch9wavefront6targetE1EEEvSK_
    .private_segment_fixed_size: 0
    .sgpr_count:     4
    .sgpr_spill_count: 0
    .symbol:         _ZN7rocprim17ROCPRIM_400000_NS6detail17trampoline_kernelINS0_14default_configENS1_36segmented_radix_sort_config_selectorIflEEZNS1_25segmented_radix_sort_implIS3_Lb1EPKfPfPKlPlN2at6native12_GLOBAL__N_18offset_tEEE10hipError_tPvRmT1_PNSt15iterator_traitsISK_E10value_typeET2_T3_PNSL_ISQ_E10value_typeET4_jRbjT5_SW_jjP12ihipStream_tbEUlT_E_NS1_11comp_targetILNS1_3genE8ELNS1_11target_archE1030ELNS1_3gpuE2ELNS1_3repE0EEENS1_30default_config_static_selectorELNS0_4arch9wavefront6targetE1EEEvSK_.kd
    .uniform_work_group_size: 1
    .uses_dynamic_stack: false
    .vgpr_count:     0
    .vgpr_spill_count: 0
    .wavefront_size: 64
  - .agpr_count:     0
    .args:
      - .offset:         0
        .size:           88
        .value_kind:     by_value
    .group_segment_fixed_size: 0
    .kernarg_segment_align: 8
    .kernarg_segment_size: 88
    .language:       OpenCL C
    .language_version:
      - 2
      - 0
    .max_flat_workgroup_size: 256
    .name:           _ZN7rocprim17ROCPRIM_400000_NS6detail17trampoline_kernelINS0_14default_configENS1_36segmented_radix_sort_config_selectorIflEEZNS1_25segmented_radix_sort_implIS3_Lb1EPKfPfPKlPlN2at6native12_GLOBAL__N_18offset_tEEE10hipError_tPvRmT1_PNSt15iterator_traitsISK_E10value_typeET2_T3_PNSL_ISQ_E10value_typeET4_jRbjT5_SW_jjP12ihipStream_tbEUlT_E0_NS1_11comp_targetILNS1_3genE0ELNS1_11target_archE4294967295ELNS1_3gpuE0ELNS1_3repE0EEENS1_60segmented_radix_sort_warp_sort_medium_config_static_selectorELNS0_4arch9wavefront6targetE1EEEvSK_
    .private_segment_fixed_size: 0
    .sgpr_count:     4
    .sgpr_spill_count: 0
    .symbol:         _ZN7rocprim17ROCPRIM_400000_NS6detail17trampoline_kernelINS0_14default_configENS1_36segmented_radix_sort_config_selectorIflEEZNS1_25segmented_radix_sort_implIS3_Lb1EPKfPfPKlPlN2at6native12_GLOBAL__N_18offset_tEEE10hipError_tPvRmT1_PNSt15iterator_traitsISK_E10value_typeET2_T3_PNSL_ISQ_E10value_typeET4_jRbjT5_SW_jjP12ihipStream_tbEUlT_E0_NS1_11comp_targetILNS1_3genE0ELNS1_11target_archE4294967295ELNS1_3gpuE0ELNS1_3repE0EEENS1_60segmented_radix_sort_warp_sort_medium_config_static_selectorELNS0_4arch9wavefront6targetE1EEEvSK_.kd
    .uniform_work_group_size: 1
    .uses_dynamic_stack: false
    .vgpr_count:     0
    .vgpr_spill_count: 0
    .wavefront_size: 64
  - .agpr_count:     0
    .args:
      - .offset:         0
        .size:           88
        .value_kind:     by_value
    .group_segment_fixed_size: 0
    .kernarg_segment_align: 8
    .kernarg_segment_size: 88
    .language:       OpenCL C
    .language_version:
      - 2
      - 0
    .max_flat_workgroup_size: 256
    .name:           _ZN7rocprim17ROCPRIM_400000_NS6detail17trampoline_kernelINS0_14default_configENS1_36segmented_radix_sort_config_selectorIflEEZNS1_25segmented_radix_sort_implIS3_Lb1EPKfPfPKlPlN2at6native12_GLOBAL__N_18offset_tEEE10hipError_tPvRmT1_PNSt15iterator_traitsISK_E10value_typeET2_T3_PNSL_ISQ_E10value_typeET4_jRbjT5_SW_jjP12ihipStream_tbEUlT_E0_NS1_11comp_targetILNS1_3genE5ELNS1_11target_archE942ELNS1_3gpuE9ELNS1_3repE0EEENS1_60segmented_radix_sort_warp_sort_medium_config_static_selectorELNS0_4arch9wavefront6targetE1EEEvSK_
    .private_segment_fixed_size: 0
    .sgpr_count:     4
    .sgpr_spill_count: 0
    .symbol:         _ZN7rocprim17ROCPRIM_400000_NS6detail17trampoline_kernelINS0_14default_configENS1_36segmented_radix_sort_config_selectorIflEEZNS1_25segmented_radix_sort_implIS3_Lb1EPKfPfPKlPlN2at6native12_GLOBAL__N_18offset_tEEE10hipError_tPvRmT1_PNSt15iterator_traitsISK_E10value_typeET2_T3_PNSL_ISQ_E10value_typeET4_jRbjT5_SW_jjP12ihipStream_tbEUlT_E0_NS1_11comp_targetILNS1_3genE5ELNS1_11target_archE942ELNS1_3gpuE9ELNS1_3repE0EEENS1_60segmented_radix_sort_warp_sort_medium_config_static_selectorELNS0_4arch9wavefront6targetE1EEEvSK_.kd
    .uniform_work_group_size: 1
    .uses_dynamic_stack: false
    .vgpr_count:     0
    .vgpr_spill_count: 0
    .wavefront_size: 64
  - .agpr_count:     0
    .args:
      - .offset:         0
        .size:           88
        .value_kind:     by_value
      - .offset:         88
        .size:           4
        .value_kind:     hidden_block_count_x
      - .offset:         92
        .size:           4
        .value_kind:     hidden_block_count_y
      - .offset:         96
        .size:           4
        .value_kind:     hidden_block_count_z
      - .offset:         100
        .size:           2
        .value_kind:     hidden_group_size_x
      - .offset:         102
        .size:           2
        .value_kind:     hidden_group_size_y
      - .offset:         104
        .size:           2
        .value_kind:     hidden_group_size_z
      - .offset:         106
        .size:           2
        .value_kind:     hidden_remainder_x
      - .offset:         108
        .size:           2
        .value_kind:     hidden_remainder_y
      - .offset:         110
        .size:           2
        .value_kind:     hidden_remainder_z
      - .offset:         128
        .size:           8
        .value_kind:     hidden_global_offset_x
      - .offset:         136
        .size:           8
        .value_kind:     hidden_global_offset_y
      - .offset:         144
        .size:           8
        .value_kind:     hidden_global_offset_z
      - .offset:         152
        .size:           2
        .value_kind:     hidden_grid_dims
      - .offset:         168
        .size:           8
        .value_kind:     hidden_hostcall_buffer
      - .offset:         176
        .size:           8
        .value_kind:     hidden_multigrid_sync_arg
      - .offset:         184
        .size:           8
        .value_kind:     hidden_heap_v1
      - .offset:         192
        .size:           8
        .value_kind:     hidden_default_queue
      - .offset:         200
        .size:           8
        .value_kind:     hidden_completion_action
      - .offset:         288
        .size:           8
        .value_kind:     hidden_queue_ptr
    .group_segment_fixed_size: 24576
    .kernarg_segment_align: 8
    .kernarg_segment_size: 344
    .language:       OpenCL C
    .language_version:
      - 2
      - 0
    .max_flat_workgroup_size: 256
    .name:           _ZN7rocprim17ROCPRIM_400000_NS6detail17trampoline_kernelINS0_14default_configENS1_36segmented_radix_sort_config_selectorIflEEZNS1_25segmented_radix_sort_implIS3_Lb1EPKfPfPKlPlN2at6native12_GLOBAL__N_18offset_tEEE10hipError_tPvRmT1_PNSt15iterator_traitsISK_E10value_typeET2_T3_PNSL_ISQ_E10value_typeET4_jRbjT5_SW_jjP12ihipStream_tbEUlT_E0_NS1_11comp_targetILNS1_3genE4ELNS1_11target_archE910ELNS1_3gpuE8ELNS1_3repE0EEENS1_60segmented_radix_sort_warp_sort_medium_config_static_selectorELNS0_4arch9wavefront6targetE1EEEvSK_
    .private_segment_fixed_size: 8
    .sgpr_count:     66
    .sgpr_spill_count: 0
    .symbol:         _ZN7rocprim17ROCPRIM_400000_NS6detail17trampoline_kernelINS0_14default_configENS1_36segmented_radix_sort_config_selectorIflEEZNS1_25segmented_radix_sort_implIS3_Lb1EPKfPfPKlPlN2at6native12_GLOBAL__N_18offset_tEEE10hipError_tPvRmT1_PNSt15iterator_traitsISK_E10value_typeET2_T3_PNSL_ISQ_E10value_typeET4_jRbjT5_SW_jjP12ihipStream_tbEUlT_E0_NS1_11comp_targetILNS1_3genE4ELNS1_11target_archE910ELNS1_3gpuE8ELNS1_3repE0EEENS1_60segmented_radix_sort_warp_sort_medium_config_static_selectorELNS0_4arch9wavefront6targetE1EEEvSK_.kd
    .uniform_work_group_size: 1
    .uses_dynamic_stack: false
    .vgpr_count:     99
    .vgpr_spill_count: 0
    .wavefront_size: 64
  - .agpr_count:     0
    .args:
      - .offset:         0
        .size:           88
        .value_kind:     by_value
    .group_segment_fixed_size: 0
    .kernarg_segment_align: 8
    .kernarg_segment_size: 88
    .language:       OpenCL C
    .language_version:
      - 2
      - 0
    .max_flat_workgroup_size: 256
    .name:           _ZN7rocprim17ROCPRIM_400000_NS6detail17trampoline_kernelINS0_14default_configENS1_36segmented_radix_sort_config_selectorIflEEZNS1_25segmented_radix_sort_implIS3_Lb1EPKfPfPKlPlN2at6native12_GLOBAL__N_18offset_tEEE10hipError_tPvRmT1_PNSt15iterator_traitsISK_E10value_typeET2_T3_PNSL_ISQ_E10value_typeET4_jRbjT5_SW_jjP12ihipStream_tbEUlT_E0_NS1_11comp_targetILNS1_3genE3ELNS1_11target_archE908ELNS1_3gpuE7ELNS1_3repE0EEENS1_60segmented_radix_sort_warp_sort_medium_config_static_selectorELNS0_4arch9wavefront6targetE1EEEvSK_
    .private_segment_fixed_size: 0
    .sgpr_count:     4
    .sgpr_spill_count: 0
    .symbol:         _ZN7rocprim17ROCPRIM_400000_NS6detail17trampoline_kernelINS0_14default_configENS1_36segmented_radix_sort_config_selectorIflEEZNS1_25segmented_radix_sort_implIS3_Lb1EPKfPfPKlPlN2at6native12_GLOBAL__N_18offset_tEEE10hipError_tPvRmT1_PNSt15iterator_traitsISK_E10value_typeET2_T3_PNSL_ISQ_E10value_typeET4_jRbjT5_SW_jjP12ihipStream_tbEUlT_E0_NS1_11comp_targetILNS1_3genE3ELNS1_11target_archE908ELNS1_3gpuE7ELNS1_3repE0EEENS1_60segmented_radix_sort_warp_sort_medium_config_static_selectorELNS0_4arch9wavefront6targetE1EEEvSK_.kd
    .uniform_work_group_size: 1
    .uses_dynamic_stack: false
    .vgpr_count:     0
    .vgpr_spill_count: 0
    .wavefront_size: 64
  - .agpr_count:     0
    .args:
      - .offset:         0
        .size:           88
        .value_kind:     by_value
    .group_segment_fixed_size: 0
    .kernarg_segment_align: 8
    .kernarg_segment_size: 88
    .language:       OpenCL C
    .language_version:
      - 2
      - 0
    .max_flat_workgroup_size: 256
    .name:           _ZN7rocprim17ROCPRIM_400000_NS6detail17trampoline_kernelINS0_14default_configENS1_36segmented_radix_sort_config_selectorIflEEZNS1_25segmented_radix_sort_implIS3_Lb1EPKfPfPKlPlN2at6native12_GLOBAL__N_18offset_tEEE10hipError_tPvRmT1_PNSt15iterator_traitsISK_E10value_typeET2_T3_PNSL_ISQ_E10value_typeET4_jRbjT5_SW_jjP12ihipStream_tbEUlT_E0_NS1_11comp_targetILNS1_3genE2ELNS1_11target_archE906ELNS1_3gpuE6ELNS1_3repE0EEENS1_60segmented_radix_sort_warp_sort_medium_config_static_selectorELNS0_4arch9wavefront6targetE1EEEvSK_
    .private_segment_fixed_size: 0
    .sgpr_count:     4
    .sgpr_spill_count: 0
    .symbol:         _ZN7rocprim17ROCPRIM_400000_NS6detail17trampoline_kernelINS0_14default_configENS1_36segmented_radix_sort_config_selectorIflEEZNS1_25segmented_radix_sort_implIS3_Lb1EPKfPfPKlPlN2at6native12_GLOBAL__N_18offset_tEEE10hipError_tPvRmT1_PNSt15iterator_traitsISK_E10value_typeET2_T3_PNSL_ISQ_E10value_typeET4_jRbjT5_SW_jjP12ihipStream_tbEUlT_E0_NS1_11comp_targetILNS1_3genE2ELNS1_11target_archE906ELNS1_3gpuE6ELNS1_3repE0EEENS1_60segmented_radix_sort_warp_sort_medium_config_static_selectorELNS0_4arch9wavefront6targetE1EEEvSK_.kd
    .uniform_work_group_size: 1
    .uses_dynamic_stack: false
    .vgpr_count:     0
    .vgpr_spill_count: 0
    .wavefront_size: 64
  - .agpr_count:     0
    .args:
      - .offset:         0
        .size:           88
        .value_kind:     by_value
    .group_segment_fixed_size: 0
    .kernarg_segment_align: 8
    .kernarg_segment_size: 88
    .language:       OpenCL C
    .language_version:
      - 2
      - 0
    .max_flat_workgroup_size: 256
    .name:           _ZN7rocprim17ROCPRIM_400000_NS6detail17trampoline_kernelINS0_14default_configENS1_36segmented_radix_sort_config_selectorIflEEZNS1_25segmented_radix_sort_implIS3_Lb1EPKfPfPKlPlN2at6native12_GLOBAL__N_18offset_tEEE10hipError_tPvRmT1_PNSt15iterator_traitsISK_E10value_typeET2_T3_PNSL_ISQ_E10value_typeET4_jRbjT5_SW_jjP12ihipStream_tbEUlT_E0_NS1_11comp_targetILNS1_3genE10ELNS1_11target_archE1201ELNS1_3gpuE5ELNS1_3repE0EEENS1_60segmented_radix_sort_warp_sort_medium_config_static_selectorELNS0_4arch9wavefront6targetE1EEEvSK_
    .private_segment_fixed_size: 0
    .sgpr_count:     4
    .sgpr_spill_count: 0
    .symbol:         _ZN7rocprim17ROCPRIM_400000_NS6detail17trampoline_kernelINS0_14default_configENS1_36segmented_radix_sort_config_selectorIflEEZNS1_25segmented_radix_sort_implIS3_Lb1EPKfPfPKlPlN2at6native12_GLOBAL__N_18offset_tEEE10hipError_tPvRmT1_PNSt15iterator_traitsISK_E10value_typeET2_T3_PNSL_ISQ_E10value_typeET4_jRbjT5_SW_jjP12ihipStream_tbEUlT_E0_NS1_11comp_targetILNS1_3genE10ELNS1_11target_archE1201ELNS1_3gpuE5ELNS1_3repE0EEENS1_60segmented_radix_sort_warp_sort_medium_config_static_selectorELNS0_4arch9wavefront6targetE1EEEvSK_.kd
    .uniform_work_group_size: 1
    .uses_dynamic_stack: false
    .vgpr_count:     0
    .vgpr_spill_count: 0
    .wavefront_size: 64
  - .agpr_count:     0
    .args:
      - .offset:         0
        .size:           88
        .value_kind:     by_value
    .group_segment_fixed_size: 0
    .kernarg_segment_align: 8
    .kernarg_segment_size: 88
    .language:       OpenCL C
    .language_version:
      - 2
      - 0
    .max_flat_workgroup_size: 256
    .name:           _ZN7rocprim17ROCPRIM_400000_NS6detail17trampoline_kernelINS0_14default_configENS1_36segmented_radix_sort_config_selectorIflEEZNS1_25segmented_radix_sort_implIS3_Lb1EPKfPfPKlPlN2at6native12_GLOBAL__N_18offset_tEEE10hipError_tPvRmT1_PNSt15iterator_traitsISK_E10value_typeET2_T3_PNSL_ISQ_E10value_typeET4_jRbjT5_SW_jjP12ihipStream_tbEUlT_E0_NS1_11comp_targetILNS1_3genE10ELNS1_11target_archE1200ELNS1_3gpuE4ELNS1_3repE0EEENS1_60segmented_radix_sort_warp_sort_medium_config_static_selectorELNS0_4arch9wavefront6targetE1EEEvSK_
    .private_segment_fixed_size: 0
    .sgpr_count:     4
    .sgpr_spill_count: 0
    .symbol:         _ZN7rocprim17ROCPRIM_400000_NS6detail17trampoline_kernelINS0_14default_configENS1_36segmented_radix_sort_config_selectorIflEEZNS1_25segmented_radix_sort_implIS3_Lb1EPKfPfPKlPlN2at6native12_GLOBAL__N_18offset_tEEE10hipError_tPvRmT1_PNSt15iterator_traitsISK_E10value_typeET2_T3_PNSL_ISQ_E10value_typeET4_jRbjT5_SW_jjP12ihipStream_tbEUlT_E0_NS1_11comp_targetILNS1_3genE10ELNS1_11target_archE1200ELNS1_3gpuE4ELNS1_3repE0EEENS1_60segmented_radix_sort_warp_sort_medium_config_static_selectorELNS0_4arch9wavefront6targetE1EEEvSK_.kd
    .uniform_work_group_size: 1
    .uses_dynamic_stack: false
    .vgpr_count:     0
    .vgpr_spill_count: 0
    .wavefront_size: 64
  - .agpr_count:     0
    .args:
      - .offset:         0
        .size:           88
        .value_kind:     by_value
    .group_segment_fixed_size: 0
    .kernarg_segment_align: 8
    .kernarg_segment_size: 88
    .language:       OpenCL C
    .language_version:
      - 2
      - 0
    .max_flat_workgroup_size: 256
    .name:           _ZN7rocprim17ROCPRIM_400000_NS6detail17trampoline_kernelINS0_14default_configENS1_36segmented_radix_sort_config_selectorIflEEZNS1_25segmented_radix_sort_implIS3_Lb1EPKfPfPKlPlN2at6native12_GLOBAL__N_18offset_tEEE10hipError_tPvRmT1_PNSt15iterator_traitsISK_E10value_typeET2_T3_PNSL_ISQ_E10value_typeET4_jRbjT5_SW_jjP12ihipStream_tbEUlT_E0_NS1_11comp_targetILNS1_3genE9ELNS1_11target_archE1100ELNS1_3gpuE3ELNS1_3repE0EEENS1_60segmented_radix_sort_warp_sort_medium_config_static_selectorELNS0_4arch9wavefront6targetE1EEEvSK_
    .private_segment_fixed_size: 0
    .sgpr_count:     4
    .sgpr_spill_count: 0
    .symbol:         _ZN7rocprim17ROCPRIM_400000_NS6detail17trampoline_kernelINS0_14default_configENS1_36segmented_radix_sort_config_selectorIflEEZNS1_25segmented_radix_sort_implIS3_Lb1EPKfPfPKlPlN2at6native12_GLOBAL__N_18offset_tEEE10hipError_tPvRmT1_PNSt15iterator_traitsISK_E10value_typeET2_T3_PNSL_ISQ_E10value_typeET4_jRbjT5_SW_jjP12ihipStream_tbEUlT_E0_NS1_11comp_targetILNS1_3genE9ELNS1_11target_archE1100ELNS1_3gpuE3ELNS1_3repE0EEENS1_60segmented_radix_sort_warp_sort_medium_config_static_selectorELNS0_4arch9wavefront6targetE1EEEvSK_.kd
    .uniform_work_group_size: 1
    .uses_dynamic_stack: false
    .vgpr_count:     0
    .vgpr_spill_count: 0
    .wavefront_size: 64
  - .agpr_count:     0
    .args:
      - .offset:         0
        .size:           88
        .value_kind:     by_value
    .group_segment_fixed_size: 0
    .kernarg_segment_align: 8
    .kernarg_segment_size: 88
    .language:       OpenCL C
    .language_version:
      - 2
      - 0
    .max_flat_workgroup_size: 256
    .name:           _ZN7rocprim17ROCPRIM_400000_NS6detail17trampoline_kernelINS0_14default_configENS1_36segmented_radix_sort_config_selectorIflEEZNS1_25segmented_radix_sort_implIS3_Lb1EPKfPfPKlPlN2at6native12_GLOBAL__N_18offset_tEEE10hipError_tPvRmT1_PNSt15iterator_traitsISK_E10value_typeET2_T3_PNSL_ISQ_E10value_typeET4_jRbjT5_SW_jjP12ihipStream_tbEUlT_E0_NS1_11comp_targetILNS1_3genE8ELNS1_11target_archE1030ELNS1_3gpuE2ELNS1_3repE0EEENS1_60segmented_radix_sort_warp_sort_medium_config_static_selectorELNS0_4arch9wavefront6targetE1EEEvSK_
    .private_segment_fixed_size: 0
    .sgpr_count:     4
    .sgpr_spill_count: 0
    .symbol:         _ZN7rocprim17ROCPRIM_400000_NS6detail17trampoline_kernelINS0_14default_configENS1_36segmented_radix_sort_config_selectorIflEEZNS1_25segmented_radix_sort_implIS3_Lb1EPKfPfPKlPlN2at6native12_GLOBAL__N_18offset_tEEE10hipError_tPvRmT1_PNSt15iterator_traitsISK_E10value_typeET2_T3_PNSL_ISQ_E10value_typeET4_jRbjT5_SW_jjP12ihipStream_tbEUlT_E0_NS1_11comp_targetILNS1_3genE8ELNS1_11target_archE1030ELNS1_3gpuE2ELNS1_3repE0EEENS1_60segmented_radix_sort_warp_sort_medium_config_static_selectorELNS0_4arch9wavefront6targetE1EEEvSK_.kd
    .uniform_work_group_size: 1
    .uses_dynamic_stack: false
    .vgpr_count:     0
    .vgpr_spill_count: 0
    .wavefront_size: 64
  - .agpr_count:     0
    .args:
      - .offset:         0
        .size:           88
        .value_kind:     by_value
    .group_segment_fixed_size: 0
    .kernarg_segment_align: 8
    .kernarg_segment_size: 88
    .language:       OpenCL C
    .language_version:
      - 2
      - 0
    .max_flat_workgroup_size: 256
    .name:           _ZN7rocprim17ROCPRIM_400000_NS6detail17trampoline_kernelINS0_14default_configENS1_36segmented_radix_sort_config_selectorIflEEZNS1_25segmented_radix_sort_implIS3_Lb1EPKfPfPKlPlN2at6native12_GLOBAL__N_18offset_tEEE10hipError_tPvRmT1_PNSt15iterator_traitsISK_E10value_typeET2_T3_PNSL_ISQ_E10value_typeET4_jRbjT5_SW_jjP12ihipStream_tbEUlT_E1_NS1_11comp_targetILNS1_3genE0ELNS1_11target_archE4294967295ELNS1_3gpuE0ELNS1_3repE0EEENS1_59segmented_radix_sort_warp_sort_small_config_static_selectorELNS0_4arch9wavefront6targetE1EEEvSK_
    .private_segment_fixed_size: 0
    .sgpr_count:     4
    .sgpr_spill_count: 0
    .symbol:         _ZN7rocprim17ROCPRIM_400000_NS6detail17trampoline_kernelINS0_14default_configENS1_36segmented_radix_sort_config_selectorIflEEZNS1_25segmented_radix_sort_implIS3_Lb1EPKfPfPKlPlN2at6native12_GLOBAL__N_18offset_tEEE10hipError_tPvRmT1_PNSt15iterator_traitsISK_E10value_typeET2_T3_PNSL_ISQ_E10value_typeET4_jRbjT5_SW_jjP12ihipStream_tbEUlT_E1_NS1_11comp_targetILNS1_3genE0ELNS1_11target_archE4294967295ELNS1_3gpuE0ELNS1_3repE0EEENS1_59segmented_radix_sort_warp_sort_small_config_static_selectorELNS0_4arch9wavefront6targetE1EEEvSK_.kd
    .uniform_work_group_size: 1
    .uses_dynamic_stack: false
    .vgpr_count:     0
    .vgpr_spill_count: 0
    .wavefront_size: 64
  - .agpr_count:     0
    .args:
      - .offset:         0
        .size:           88
        .value_kind:     by_value
    .group_segment_fixed_size: 0
    .kernarg_segment_align: 8
    .kernarg_segment_size: 88
    .language:       OpenCL C
    .language_version:
      - 2
      - 0
    .max_flat_workgroup_size: 256
    .name:           _ZN7rocprim17ROCPRIM_400000_NS6detail17trampoline_kernelINS0_14default_configENS1_36segmented_radix_sort_config_selectorIflEEZNS1_25segmented_radix_sort_implIS3_Lb1EPKfPfPKlPlN2at6native12_GLOBAL__N_18offset_tEEE10hipError_tPvRmT1_PNSt15iterator_traitsISK_E10value_typeET2_T3_PNSL_ISQ_E10value_typeET4_jRbjT5_SW_jjP12ihipStream_tbEUlT_E1_NS1_11comp_targetILNS1_3genE5ELNS1_11target_archE942ELNS1_3gpuE9ELNS1_3repE0EEENS1_59segmented_radix_sort_warp_sort_small_config_static_selectorELNS0_4arch9wavefront6targetE1EEEvSK_
    .private_segment_fixed_size: 0
    .sgpr_count:     4
    .sgpr_spill_count: 0
    .symbol:         _ZN7rocprim17ROCPRIM_400000_NS6detail17trampoline_kernelINS0_14default_configENS1_36segmented_radix_sort_config_selectorIflEEZNS1_25segmented_radix_sort_implIS3_Lb1EPKfPfPKlPlN2at6native12_GLOBAL__N_18offset_tEEE10hipError_tPvRmT1_PNSt15iterator_traitsISK_E10value_typeET2_T3_PNSL_ISQ_E10value_typeET4_jRbjT5_SW_jjP12ihipStream_tbEUlT_E1_NS1_11comp_targetILNS1_3genE5ELNS1_11target_archE942ELNS1_3gpuE9ELNS1_3repE0EEENS1_59segmented_radix_sort_warp_sort_small_config_static_selectorELNS0_4arch9wavefront6targetE1EEEvSK_.kd
    .uniform_work_group_size: 1
    .uses_dynamic_stack: false
    .vgpr_count:     0
    .vgpr_spill_count: 0
    .wavefront_size: 64
  - .agpr_count:     0
    .args:
      - .offset:         0
        .size:           88
        .value_kind:     by_value
      - .offset:         88
        .size:           4
        .value_kind:     hidden_block_count_x
      - .offset:         92
        .size:           4
        .value_kind:     hidden_block_count_y
      - .offset:         96
        .size:           4
        .value_kind:     hidden_block_count_z
      - .offset:         100
        .size:           2
        .value_kind:     hidden_group_size_x
      - .offset:         102
        .size:           2
        .value_kind:     hidden_group_size_y
      - .offset:         104
        .size:           2
        .value_kind:     hidden_group_size_z
      - .offset:         106
        .size:           2
        .value_kind:     hidden_remainder_x
      - .offset:         108
        .size:           2
        .value_kind:     hidden_remainder_y
      - .offset:         110
        .size:           2
        .value_kind:     hidden_remainder_z
      - .offset:         128
        .size:           8
        .value_kind:     hidden_global_offset_x
      - .offset:         136
        .size:           8
        .value_kind:     hidden_global_offset_y
      - .offset:         144
        .size:           8
        .value_kind:     hidden_global_offset_z
      - .offset:         152
        .size:           2
        .value_kind:     hidden_grid_dims
      - .offset:         168
        .size:           8
        .value_kind:     hidden_hostcall_buffer
      - .offset:         176
        .size:           8
        .value_kind:     hidden_multigrid_sync_arg
      - .offset:         184
        .size:           8
        .value_kind:     hidden_heap_v1
      - .offset:         192
        .size:           8
        .value_kind:     hidden_default_queue
      - .offset:         200
        .size:           8
        .value_kind:     hidden_completion_action
      - .offset:         288
        .size:           8
        .value_kind:     hidden_queue_ptr
    .group_segment_fixed_size: 12288
    .kernarg_segment_align: 8
    .kernarg_segment_size: 344
    .language:       OpenCL C
    .language_version:
      - 2
      - 0
    .max_flat_workgroup_size: 256
    .name:           _ZN7rocprim17ROCPRIM_400000_NS6detail17trampoline_kernelINS0_14default_configENS1_36segmented_radix_sort_config_selectorIflEEZNS1_25segmented_radix_sort_implIS3_Lb1EPKfPfPKlPlN2at6native12_GLOBAL__N_18offset_tEEE10hipError_tPvRmT1_PNSt15iterator_traitsISK_E10value_typeET2_T3_PNSL_ISQ_E10value_typeET4_jRbjT5_SW_jjP12ihipStream_tbEUlT_E1_NS1_11comp_targetILNS1_3genE4ELNS1_11target_archE910ELNS1_3gpuE8ELNS1_3repE0EEENS1_59segmented_radix_sort_warp_sort_small_config_static_selectorELNS0_4arch9wavefront6targetE1EEEvSK_
    .private_segment_fixed_size: 8
    .sgpr_count:     39
    .sgpr_spill_count: 0
    .symbol:         _ZN7rocprim17ROCPRIM_400000_NS6detail17trampoline_kernelINS0_14default_configENS1_36segmented_radix_sort_config_selectorIflEEZNS1_25segmented_radix_sort_implIS3_Lb1EPKfPfPKlPlN2at6native12_GLOBAL__N_18offset_tEEE10hipError_tPvRmT1_PNSt15iterator_traitsISK_E10value_typeET2_T3_PNSL_ISQ_E10value_typeET4_jRbjT5_SW_jjP12ihipStream_tbEUlT_E1_NS1_11comp_targetILNS1_3genE4ELNS1_11target_archE910ELNS1_3gpuE8ELNS1_3repE0EEENS1_59segmented_radix_sort_warp_sort_small_config_static_selectorELNS0_4arch9wavefront6targetE1EEEvSK_.kd
    .uniform_work_group_size: 1
    .uses_dynamic_stack: false
    .vgpr_count:     98
    .vgpr_spill_count: 0
    .wavefront_size: 64
  - .agpr_count:     0
    .args:
      - .offset:         0
        .size:           88
        .value_kind:     by_value
    .group_segment_fixed_size: 0
    .kernarg_segment_align: 8
    .kernarg_segment_size: 88
    .language:       OpenCL C
    .language_version:
      - 2
      - 0
    .max_flat_workgroup_size: 256
    .name:           _ZN7rocprim17ROCPRIM_400000_NS6detail17trampoline_kernelINS0_14default_configENS1_36segmented_radix_sort_config_selectorIflEEZNS1_25segmented_radix_sort_implIS3_Lb1EPKfPfPKlPlN2at6native12_GLOBAL__N_18offset_tEEE10hipError_tPvRmT1_PNSt15iterator_traitsISK_E10value_typeET2_T3_PNSL_ISQ_E10value_typeET4_jRbjT5_SW_jjP12ihipStream_tbEUlT_E1_NS1_11comp_targetILNS1_3genE3ELNS1_11target_archE908ELNS1_3gpuE7ELNS1_3repE0EEENS1_59segmented_radix_sort_warp_sort_small_config_static_selectorELNS0_4arch9wavefront6targetE1EEEvSK_
    .private_segment_fixed_size: 0
    .sgpr_count:     4
    .sgpr_spill_count: 0
    .symbol:         _ZN7rocprim17ROCPRIM_400000_NS6detail17trampoline_kernelINS0_14default_configENS1_36segmented_radix_sort_config_selectorIflEEZNS1_25segmented_radix_sort_implIS3_Lb1EPKfPfPKlPlN2at6native12_GLOBAL__N_18offset_tEEE10hipError_tPvRmT1_PNSt15iterator_traitsISK_E10value_typeET2_T3_PNSL_ISQ_E10value_typeET4_jRbjT5_SW_jjP12ihipStream_tbEUlT_E1_NS1_11comp_targetILNS1_3genE3ELNS1_11target_archE908ELNS1_3gpuE7ELNS1_3repE0EEENS1_59segmented_radix_sort_warp_sort_small_config_static_selectorELNS0_4arch9wavefront6targetE1EEEvSK_.kd
    .uniform_work_group_size: 1
    .uses_dynamic_stack: false
    .vgpr_count:     0
    .vgpr_spill_count: 0
    .wavefront_size: 64
  - .agpr_count:     0
    .args:
      - .offset:         0
        .size:           88
        .value_kind:     by_value
    .group_segment_fixed_size: 0
    .kernarg_segment_align: 8
    .kernarg_segment_size: 88
    .language:       OpenCL C
    .language_version:
      - 2
      - 0
    .max_flat_workgroup_size: 256
    .name:           _ZN7rocprim17ROCPRIM_400000_NS6detail17trampoline_kernelINS0_14default_configENS1_36segmented_radix_sort_config_selectorIflEEZNS1_25segmented_radix_sort_implIS3_Lb1EPKfPfPKlPlN2at6native12_GLOBAL__N_18offset_tEEE10hipError_tPvRmT1_PNSt15iterator_traitsISK_E10value_typeET2_T3_PNSL_ISQ_E10value_typeET4_jRbjT5_SW_jjP12ihipStream_tbEUlT_E1_NS1_11comp_targetILNS1_3genE2ELNS1_11target_archE906ELNS1_3gpuE6ELNS1_3repE0EEENS1_59segmented_radix_sort_warp_sort_small_config_static_selectorELNS0_4arch9wavefront6targetE1EEEvSK_
    .private_segment_fixed_size: 0
    .sgpr_count:     4
    .sgpr_spill_count: 0
    .symbol:         _ZN7rocprim17ROCPRIM_400000_NS6detail17trampoline_kernelINS0_14default_configENS1_36segmented_radix_sort_config_selectorIflEEZNS1_25segmented_radix_sort_implIS3_Lb1EPKfPfPKlPlN2at6native12_GLOBAL__N_18offset_tEEE10hipError_tPvRmT1_PNSt15iterator_traitsISK_E10value_typeET2_T3_PNSL_ISQ_E10value_typeET4_jRbjT5_SW_jjP12ihipStream_tbEUlT_E1_NS1_11comp_targetILNS1_3genE2ELNS1_11target_archE906ELNS1_3gpuE6ELNS1_3repE0EEENS1_59segmented_radix_sort_warp_sort_small_config_static_selectorELNS0_4arch9wavefront6targetE1EEEvSK_.kd
    .uniform_work_group_size: 1
    .uses_dynamic_stack: false
    .vgpr_count:     0
    .vgpr_spill_count: 0
    .wavefront_size: 64
  - .agpr_count:     0
    .args:
      - .offset:         0
        .size:           88
        .value_kind:     by_value
    .group_segment_fixed_size: 0
    .kernarg_segment_align: 8
    .kernarg_segment_size: 88
    .language:       OpenCL C
    .language_version:
      - 2
      - 0
    .max_flat_workgroup_size: 256
    .name:           _ZN7rocprim17ROCPRIM_400000_NS6detail17trampoline_kernelINS0_14default_configENS1_36segmented_radix_sort_config_selectorIflEEZNS1_25segmented_radix_sort_implIS3_Lb1EPKfPfPKlPlN2at6native12_GLOBAL__N_18offset_tEEE10hipError_tPvRmT1_PNSt15iterator_traitsISK_E10value_typeET2_T3_PNSL_ISQ_E10value_typeET4_jRbjT5_SW_jjP12ihipStream_tbEUlT_E1_NS1_11comp_targetILNS1_3genE10ELNS1_11target_archE1201ELNS1_3gpuE5ELNS1_3repE0EEENS1_59segmented_radix_sort_warp_sort_small_config_static_selectorELNS0_4arch9wavefront6targetE1EEEvSK_
    .private_segment_fixed_size: 0
    .sgpr_count:     4
    .sgpr_spill_count: 0
    .symbol:         _ZN7rocprim17ROCPRIM_400000_NS6detail17trampoline_kernelINS0_14default_configENS1_36segmented_radix_sort_config_selectorIflEEZNS1_25segmented_radix_sort_implIS3_Lb1EPKfPfPKlPlN2at6native12_GLOBAL__N_18offset_tEEE10hipError_tPvRmT1_PNSt15iterator_traitsISK_E10value_typeET2_T3_PNSL_ISQ_E10value_typeET4_jRbjT5_SW_jjP12ihipStream_tbEUlT_E1_NS1_11comp_targetILNS1_3genE10ELNS1_11target_archE1201ELNS1_3gpuE5ELNS1_3repE0EEENS1_59segmented_radix_sort_warp_sort_small_config_static_selectorELNS0_4arch9wavefront6targetE1EEEvSK_.kd
    .uniform_work_group_size: 1
    .uses_dynamic_stack: false
    .vgpr_count:     0
    .vgpr_spill_count: 0
    .wavefront_size: 64
  - .agpr_count:     0
    .args:
      - .offset:         0
        .size:           88
        .value_kind:     by_value
    .group_segment_fixed_size: 0
    .kernarg_segment_align: 8
    .kernarg_segment_size: 88
    .language:       OpenCL C
    .language_version:
      - 2
      - 0
    .max_flat_workgroup_size: 256
    .name:           _ZN7rocprim17ROCPRIM_400000_NS6detail17trampoline_kernelINS0_14default_configENS1_36segmented_radix_sort_config_selectorIflEEZNS1_25segmented_radix_sort_implIS3_Lb1EPKfPfPKlPlN2at6native12_GLOBAL__N_18offset_tEEE10hipError_tPvRmT1_PNSt15iterator_traitsISK_E10value_typeET2_T3_PNSL_ISQ_E10value_typeET4_jRbjT5_SW_jjP12ihipStream_tbEUlT_E1_NS1_11comp_targetILNS1_3genE10ELNS1_11target_archE1200ELNS1_3gpuE4ELNS1_3repE0EEENS1_59segmented_radix_sort_warp_sort_small_config_static_selectorELNS0_4arch9wavefront6targetE1EEEvSK_
    .private_segment_fixed_size: 0
    .sgpr_count:     4
    .sgpr_spill_count: 0
    .symbol:         _ZN7rocprim17ROCPRIM_400000_NS6detail17trampoline_kernelINS0_14default_configENS1_36segmented_radix_sort_config_selectorIflEEZNS1_25segmented_radix_sort_implIS3_Lb1EPKfPfPKlPlN2at6native12_GLOBAL__N_18offset_tEEE10hipError_tPvRmT1_PNSt15iterator_traitsISK_E10value_typeET2_T3_PNSL_ISQ_E10value_typeET4_jRbjT5_SW_jjP12ihipStream_tbEUlT_E1_NS1_11comp_targetILNS1_3genE10ELNS1_11target_archE1200ELNS1_3gpuE4ELNS1_3repE0EEENS1_59segmented_radix_sort_warp_sort_small_config_static_selectorELNS0_4arch9wavefront6targetE1EEEvSK_.kd
    .uniform_work_group_size: 1
    .uses_dynamic_stack: false
    .vgpr_count:     0
    .vgpr_spill_count: 0
    .wavefront_size: 64
  - .agpr_count:     0
    .args:
      - .offset:         0
        .size:           88
        .value_kind:     by_value
    .group_segment_fixed_size: 0
    .kernarg_segment_align: 8
    .kernarg_segment_size: 88
    .language:       OpenCL C
    .language_version:
      - 2
      - 0
    .max_flat_workgroup_size: 256
    .name:           _ZN7rocprim17ROCPRIM_400000_NS6detail17trampoline_kernelINS0_14default_configENS1_36segmented_radix_sort_config_selectorIflEEZNS1_25segmented_radix_sort_implIS3_Lb1EPKfPfPKlPlN2at6native12_GLOBAL__N_18offset_tEEE10hipError_tPvRmT1_PNSt15iterator_traitsISK_E10value_typeET2_T3_PNSL_ISQ_E10value_typeET4_jRbjT5_SW_jjP12ihipStream_tbEUlT_E1_NS1_11comp_targetILNS1_3genE9ELNS1_11target_archE1100ELNS1_3gpuE3ELNS1_3repE0EEENS1_59segmented_radix_sort_warp_sort_small_config_static_selectorELNS0_4arch9wavefront6targetE1EEEvSK_
    .private_segment_fixed_size: 0
    .sgpr_count:     4
    .sgpr_spill_count: 0
    .symbol:         _ZN7rocprim17ROCPRIM_400000_NS6detail17trampoline_kernelINS0_14default_configENS1_36segmented_radix_sort_config_selectorIflEEZNS1_25segmented_radix_sort_implIS3_Lb1EPKfPfPKlPlN2at6native12_GLOBAL__N_18offset_tEEE10hipError_tPvRmT1_PNSt15iterator_traitsISK_E10value_typeET2_T3_PNSL_ISQ_E10value_typeET4_jRbjT5_SW_jjP12ihipStream_tbEUlT_E1_NS1_11comp_targetILNS1_3genE9ELNS1_11target_archE1100ELNS1_3gpuE3ELNS1_3repE0EEENS1_59segmented_radix_sort_warp_sort_small_config_static_selectorELNS0_4arch9wavefront6targetE1EEEvSK_.kd
    .uniform_work_group_size: 1
    .uses_dynamic_stack: false
    .vgpr_count:     0
    .vgpr_spill_count: 0
    .wavefront_size: 64
  - .agpr_count:     0
    .args:
      - .offset:         0
        .size:           88
        .value_kind:     by_value
    .group_segment_fixed_size: 0
    .kernarg_segment_align: 8
    .kernarg_segment_size: 88
    .language:       OpenCL C
    .language_version:
      - 2
      - 0
    .max_flat_workgroup_size: 256
    .name:           _ZN7rocprim17ROCPRIM_400000_NS6detail17trampoline_kernelINS0_14default_configENS1_36segmented_radix_sort_config_selectorIflEEZNS1_25segmented_radix_sort_implIS3_Lb1EPKfPfPKlPlN2at6native12_GLOBAL__N_18offset_tEEE10hipError_tPvRmT1_PNSt15iterator_traitsISK_E10value_typeET2_T3_PNSL_ISQ_E10value_typeET4_jRbjT5_SW_jjP12ihipStream_tbEUlT_E1_NS1_11comp_targetILNS1_3genE8ELNS1_11target_archE1030ELNS1_3gpuE2ELNS1_3repE0EEENS1_59segmented_radix_sort_warp_sort_small_config_static_selectorELNS0_4arch9wavefront6targetE1EEEvSK_
    .private_segment_fixed_size: 0
    .sgpr_count:     4
    .sgpr_spill_count: 0
    .symbol:         _ZN7rocprim17ROCPRIM_400000_NS6detail17trampoline_kernelINS0_14default_configENS1_36segmented_radix_sort_config_selectorIflEEZNS1_25segmented_radix_sort_implIS3_Lb1EPKfPfPKlPlN2at6native12_GLOBAL__N_18offset_tEEE10hipError_tPvRmT1_PNSt15iterator_traitsISK_E10value_typeET2_T3_PNSL_ISQ_E10value_typeET4_jRbjT5_SW_jjP12ihipStream_tbEUlT_E1_NS1_11comp_targetILNS1_3genE8ELNS1_11target_archE1030ELNS1_3gpuE2ELNS1_3repE0EEENS1_59segmented_radix_sort_warp_sort_small_config_static_selectorELNS0_4arch9wavefront6targetE1EEEvSK_.kd
    .uniform_work_group_size: 1
    .uses_dynamic_stack: false
    .vgpr_count:     0
    .vgpr_spill_count: 0
    .wavefront_size: 64
  - .agpr_count:     0
    .args:
      - .offset:         0
        .size:           80
        .value_kind:     by_value
    .group_segment_fixed_size: 0
    .kernarg_segment_align: 8
    .kernarg_segment_size: 80
    .language:       OpenCL C
    .language_version:
      - 2
      - 0
    .max_flat_workgroup_size: 256
    .name:           _ZN7rocprim17ROCPRIM_400000_NS6detail17trampoline_kernelINS0_14default_configENS1_36segmented_radix_sort_config_selectorIflEEZNS1_25segmented_radix_sort_implIS3_Lb1EPKfPfPKlPlN2at6native12_GLOBAL__N_18offset_tEEE10hipError_tPvRmT1_PNSt15iterator_traitsISK_E10value_typeET2_T3_PNSL_ISQ_E10value_typeET4_jRbjT5_SW_jjP12ihipStream_tbEUlT_E2_NS1_11comp_targetILNS1_3genE0ELNS1_11target_archE4294967295ELNS1_3gpuE0ELNS1_3repE0EEENS1_30default_config_static_selectorELNS0_4arch9wavefront6targetE1EEEvSK_
    .private_segment_fixed_size: 0
    .sgpr_count:     4
    .sgpr_spill_count: 0
    .symbol:         _ZN7rocprim17ROCPRIM_400000_NS6detail17trampoline_kernelINS0_14default_configENS1_36segmented_radix_sort_config_selectorIflEEZNS1_25segmented_radix_sort_implIS3_Lb1EPKfPfPKlPlN2at6native12_GLOBAL__N_18offset_tEEE10hipError_tPvRmT1_PNSt15iterator_traitsISK_E10value_typeET2_T3_PNSL_ISQ_E10value_typeET4_jRbjT5_SW_jjP12ihipStream_tbEUlT_E2_NS1_11comp_targetILNS1_3genE0ELNS1_11target_archE4294967295ELNS1_3gpuE0ELNS1_3repE0EEENS1_30default_config_static_selectorELNS0_4arch9wavefront6targetE1EEEvSK_.kd
    .uniform_work_group_size: 1
    .uses_dynamic_stack: false
    .vgpr_count:     0
    .vgpr_spill_count: 0
    .wavefront_size: 64
  - .agpr_count:     0
    .args:
      - .offset:         0
        .size:           80
        .value_kind:     by_value
    .group_segment_fixed_size: 0
    .kernarg_segment_align: 8
    .kernarg_segment_size: 80
    .language:       OpenCL C
    .language_version:
      - 2
      - 0
    .max_flat_workgroup_size: 256
    .name:           _ZN7rocprim17ROCPRIM_400000_NS6detail17trampoline_kernelINS0_14default_configENS1_36segmented_radix_sort_config_selectorIflEEZNS1_25segmented_radix_sort_implIS3_Lb1EPKfPfPKlPlN2at6native12_GLOBAL__N_18offset_tEEE10hipError_tPvRmT1_PNSt15iterator_traitsISK_E10value_typeET2_T3_PNSL_ISQ_E10value_typeET4_jRbjT5_SW_jjP12ihipStream_tbEUlT_E2_NS1_11comp_targetILNS1_3genE5ELNS1_11target_archE942ELNS1_3gpuE9ELNS1_3repE0EEENS1_30default_config_static_selectorELNS0_4arch9wavefront6targetE1EEEvSK_
    .private_segment_fixed_size: 0
    .sgpr_count:     4
    .sgpr_spill_count: 0
    .symbol:         _ZN7rocprim17ROCPRIM_400000_NS6detail17trampoline_kernelINS0_14default_configENS1_36segmented_radix_sort_config_selectorIflEEZNS1_25segmented_radix_sort_implIS3_Lb1EPKfPfPKlPlN2at6native12_GLOBAL__N_18offset_tEEE10hipError_tPvRmT1_PNSt15iterator_traitsISK_E10value_typeET2_T3_PNSL_ISQ_E10value_typeET4_jRbjT5_SW_jjP12ihipStream_tbEUlT_E2_NS1_11comp_targetILNS1_3genE5ELNS1_11target_archE942ELNS1_3gpuE9ELNS1_3repE0EEENS1_30default_config_static_selectorELNS0_4arch9wavefront6targetE1EEEvSK_.kd
    .uniform_work_group_size: 1
    .uses_dynamic_stack: false
    .vgpr_count:     0
    .vgpr_spill_count: 0
    .wavefront_size: 64
  - .agpr_count:     0
    .args:
      - .offset:         0
        .size:           80
        .value_kind:     by_value
      - .offset:         80
        .size:           4
        .value_kind:     hidden_block_count_x
      - .offset:         84
        .size:           4
        .value_kind:     hidden_block_count_y
      - .offset:         88
        .size:           4
        .value_kind:     hidden_block_count_z
      - .offset:         92
        .size:           2
        .value_kind:     hidden_group_size_x
      - .offset:         94
        .size:           2
        .value_kind:     hidden_group_size_y
      - .offset:         96
        .size:           2
        .value_kind:     hidden_group_size_z
      - .offset:         98
        .size:           2
        .value_kind:     hidden_remainder_x
      - .offset:         100
        .size:           2
        .value_kind:     hidden_remainder_y
      - .offset:         102
        .size:           2
        .value_kind:     hidden_remainder_z
      - .offset:         120
        .size:           8
        .value_kind:     hidden_global_offset_x
      - .offset:         128
        .size:           8
        .value_kind:     hidden_global_offset_y
      - .offset:         136
        .size:           8
        .value_kind:     hidden_global_offset_z
      - .offset:         144
        .size:           2
        .value_kind:     hidden_grid_dims
      - .offset:         160
        .size:           8
        .value_kind:     hidden_hostcall_buffer
      - .offset:         168
        .size:           8
        .value_kind:     hidden_multigrid_sync_arg
      - .offset:         176
        .size:           8
        .value_kind:     hidden_heap_v1
      - .offset:         184
        .size:           8
        .value_kind:     hidden_default_queue
      - .offset:         192
        .size:           8
        .value_kind:     hidden_completion_action
      - .offset:         280
        .size:           8
        .value_kind:     hidden_queue_ptr
    .group_segment_fixed_size: 17424
    .kernarg_segment_align: 8
    .kernarg_segment_size: 336
    .language:       OpenCL C
    .language_version:
      - 2
      - 0
    .max_flat_workgroup_size: 256
    .name:           _ZN7rocprim17ROCPRIM_400000_NS6detail17trampoline_kernelINS0_14default_configENS1_36segmented_radix_sort_config_selectorIflEEZNS1_25segmented_radix_sort_implIS3_Lb1EPKfPfPKlPlN2at6native12_GLOBAL__N_18offset_tEEE10hipError_tPvRmT1_PNSt15iterator_traitsISK_E10value_typeET2_T3_PNSL_ISQ_E10value_typeET4_jRbjT5_SW_jjP12ihipStream_tbEUlT_E2_NS1_11comp_targetILNS1_3genE4ELNS1_11target_archE910ELNS1_3gpuE8ELNS1_3repE0EEENS1_30default_config_static_selectorELNS0_4arch9wavefront6targetE1EEEvSK_
    .private_segment_fixed_size: 8
    .sgpr_count:     95
    .sgpr_spill_count: 0
    .symbol:         _ZN7rocprim17ROCPRIM_400000_NS6detail17trampoline_kernelINS0_14default_configENS1_36segmented_radix_sort_config_selectorIflEEZNS1_25segmented_radix_sort_implIS3_Lb1EPKfPfPKlPlN2at6native12_GLOBAL__N_18offset_tEEE10hipError_tPvRmT1_PNSt15iterator_traitsISK_E10value_typeET2_T3_PNSL_ISQ_E10value_typeET4_jRbjT5_SW_jjP12ihipStream_tbEUlT_E2_NS1_11comp_targetILNS1_3genE4ELNS1_11target_archE910ELNS1_3gpuE8ELNS1_3repE0EEENS1_30default_config_static_selectorELNS0_4arch9wavefront6targetE1EEEvSK_.kd
    .uniform_work_group_size: 1
    .uses_dynamic_stack: false
    .vgpr_count:     195
    .vgpr_spill_count: 0
    .wavefront_size: 64
  - .agpr_count:     0
    .args:
      - .offset:         0
        .size:           80
        .value_kind:     by_value
    .group_segment_fixed_size: 0
    .kernarg_segment_align: 8
    .kernarg_segment_size: 80
    .language:       OpenCL C
    .language_version:
      - 2
      - 0
    .max_flat_workgroup_size: 256
    .name:           _ZN7rocprim17ROCPRIM_400000_NS6detail17trampoline_kernelINS0_14default_configENS1_36segmented_radix_sort_config_selectorIflEEZNS1_25segmented_radix_sort_implIS3_Lb1EPKfPfPKlPlN2at6native12_GLOBAL__N_18offset_tEEE10hipError_tPvRmT1_PNSt15iterator_traitsISK_E10value_typeET2_T3_PNSL_ISQ_E10value_typeET4_jRbjT5_SW_jjP12ihipStream_tbEUlT_E2_NS1_11comp_targetILNS1_3genE3ELNS1_11target_archE908ELNS1_3gpuE7ELNS1_3repE0EEENS1_30default_config_static_selectorELNS0_4arch9wavefront6targetE1EEEvSK_
    .private_segment_fixed_size: 0
    .sgpr_count:     4
    .sgpr_spill_count: 0
    .symbol:         _ZN7rocprim17ROCPRIM_400000_NS6detail17trampoline_kernelINS0_14default_configENS1_36segmented_radix_sort_config_selectorIflEEZNS1_25segmented_radix_sort_implIS3_Lb1EPKfPfPKlPlN2at6native12_GLOBAL__N_18offset_tEEE10hipError_tPvRmT1_PNSt15iterator_traitsISK_E10value_typeET2_T3_PNSL_ISQ_E10value_typeET4_jRbjT5_SW_jjP12ihipStream_tbEUlT_E2_NS1_11comp_targetILNS1_3genE3ELNS1_11target_archE908ELNS1_3gpuE7ELNS1_3repE0EEENS1_30default_config_static_selectorELNS0_4arch9wavefront6targetE1EEEvSK_.kd
    .uniform_work_group_size: 1
    .uses_dynamic_stack: false
    .vgpr_count:     0
    .vgpr_spill_count: 0
    .wavefront_size: 64
  - .agpr_count:     0
    .args:
      - .offset:         0
        .size:           80
        .value_kind:     by_value
    .group_segment_fixed_size: 0
    .kernarg_segment_align: 8
    .kernarg_segment_size: 80
    .language:       OpenCL C
    .language_version:
      - 2
      - 0
    .max_flat_workgroup_size: 256
    .name:           _ZN7rocprim17ROCPRIM_400000_NS6detail17trampoline_kernelINS0_14default_configENS1_36segmented_radix_sort_config_selectorIflEEZNS1_25segmented_radix_sort_implIS3_Lb1EPKfPfPKlPlN2at6native12_GLOBAL__N_18offset_tEEE10hipError_tPvRmT1_PNSt15iterator_traitsISK_E10value_typeET2_T3_PNSL_ISQ_E10value_typeET4_jRbjT5_SW_jjP12ihipStream_tbEUlT_E2_NS1_11comp_targetILNS1_3genE2ELNS1_11target_archE906ELNS1_3gpuE6ELNS1_3repE0EEENS1_30default_config_static_selectorELNS0_4arch9wavefront6targetE1EEEvSK_
    .private_segment_fixed_size: 0
    .sgpr_count:     4
    .sgpr_spill_count: 0
    .symbol:         _ZN7rocprim17ROCPRIM_400000_NS6detail17trampoline_kernelINS0_14default_configENS1_36segmented_radix_sort_config_selectorIflEEZNS1_25segmented_radix_sort_implIS3_Lb1EPKfPfPKlPlN2at6native12_GLOBAL__N_18offset_tEEE10hipError_tPvRmT1_PNSt15iterator_traitsISK_E10value_typeET2_T3_PNSL_ISQ_E10value_typeET4_jRbjT5_SW_jjP12ihipStream_tbEUlT_E2_NS1_11comp_targetILNS1_3genE2ELNS1_11target_archE906ELNS1_3gpuE6ELNS1_3repE0EEENS1_30default_config_static_selectorELNS0_4arch9wavefront6targetE1EEEvSK_.kd
    .uniform_work_group_size: 1
    .uses_dynamic_stack: false
    .vgpr_count:     0
    .vgpr_spill_count: 0
    .wavefront_size: 64
  - .agpr_count:     0
    .args:
      - .offset:         0
        .size:           80
        .value_kind:     by_value
    .group_segment_fixed_size: 0
    .kernarg_segment_align: 8
    .kernarg_segment_size: 80
    .language:       OpenCL C
    .language_version:
      - 2
      - 0
    .max_flat_workgroup_size: 256
    .name:           _ZN7rocprim17ROCPRIM_400000_NS6detail17trampoline_kernelINS0_14default_configENS1_36segmented_radix_sort_config_selectorIflEEZNS1_25segmented_radix_sort_implIS3_Lb1EPKfPfPKlPlN2at6native12_GLOBAL__N_18offset_tEEE10hipError_tPvRmT1_PNSt15iterator_traitsISK_E10value_typeET2_T3_PNSL_ISQ_E10value_typeET4_jRbjT5_SW_jjP12ihipStream_tbEUlT_E2_NS1_11comp_targetILNS1_3genE10ELNS1_11target_archE1201ELNS1_3gpuE5ELNS1_3repE0EEENS1_30default_config_static_selectorELNS0_4arch9wavefront6targetE1EEEvSK_
    .private_segment_fixed_size: 0
    .sgpr_count:     4
    .sgpr_spill_count: 0
    .symbol:         _ZN7rocprim17ROCPRIM_400000_NS6detail17trampoline_kernelINS0_14default_configENS1_36segmented_radix_sort_config_selectorIflEEZNS1_25segmented_radix_sort_implIS3_Lb1EPKfPfPKlPlN2at6native12_GLOBAL__N_18offset_tEEE10hipError_tPvRmT1_PNSt15iterator_traitsISK_E10value_typeET2_T3_PNSL_ISQ_E10value_typeET4_jRbjT5_SW_jjP12ihipStream_tbEUlT_E2_NS1_11comp_targetILNS1_3genE10ELNS1_11target_archE1201ELNS1_3gpuE5ELNS1_3repE0EEENS1_30default_config_static_selectorELNS0_4arch9wavefront6targetE1EEEvSK_.kd
    .uniform_work_group_size: 1
    .uses_dynamic_stack: false
    .vgpr_count:     0
    .vgpr_spill_count: 0
    .wavefront_size: 64
  - .agpr_count:     0
    .args:
      - .offset:         0
        .size:           80
        .value_kind:     by_value
    .group_segment_fixed_size: 0
    .kernarg_segment_align: 8
    .kernarg_segment_size: 80
    .language:       OpenCL C
    .language_version:
      - 2
      - 0
    .max_flat_workgroup_size: 128
    .name:           _ZN7rocprim17ROCPRIM_400000_NS6detail17trampoline_kernelINS0_14default_configENS1_36segmented_radix_sort_config_selectorIflEEZNS1_25segmented_radix_sort_implIS3_Lb1EPKfPfPKlPlN2at6native12_GLOBAL__N_18offset_tEEE10hipError_tPvRmT1_PNSt15iterator_traitsISK_E10value_typeET2_T3_PNSL_ISQ_E10value_typeET4_jRbjT5_SW_jjP12ihipStream_tbEUlT_E2_NS1_11comp_targetILNS1_3genE10ELNS1_11target_archE1200ELNS1_3gpuE4ELNS1_3repE0EEENS1_30default_config_static_selectorELNS0_4arch9wavefront6targetE1EEEvSK_
    .private_segment_fixed_size: 0
    .sgpr_count:     4
    .sgpr_spill_count: 0
    .symbol:         _ZN7rocprim17ROCPRIM_400000_NS6detail17trampoline_kernelINS0_14default_configENS1_36segmented_radix_sort_config_selectorIflEEZNS1_25segmented_radix_sort_implIS3_Lb1EPKfPfPKlPlN2at6native12_GLOBAL__N_18offset_tEEE10hipError_tPvRmT1_PNSt15iterator_traitsISK_E10value_typeET2_T3_PNSL_ISQ_E10value_typeET4_jRbjT5_SW_jjP12ihipStream_tbEUlT_E2_NS1_11comp_targetILNS1_3genE10ELNS1_11target_archE1200ELNS1_3gpuE4ELNS1_3repE0EEENS1_30default_config_static_selectorELNS0_4arch9wavefront6targetE1EEEvSK_.kd
    .uniform_work_group_size: 1
    .uses_dynamic_stack: false
    .vgpr_count:     0
    .vgpr_spill_count: 0
    .wavefront_size: 64
  - .agpr_count:     0
    .args:
      - .offset:         0
        .size:           80
        .value_kind:     by_value
    .group_segment_fixed_size: 0
    .kernarg_segment_align: 8
    .kernarg_segment_size: 80
    .language:       OpenCL C
    .language_version:
      - 2
      - 0
    .max_flat_workgroup_size: 256
    .name:           _ZN7rocprim17ROCPRIM_400000_NS6detail17trampoline_kernelINS0_14default_configENS1_36segmented_radix_sort_config_selectorIflEEZNS1_25segmented_radix_sort_implIS3_Lb1EPKfPfPKlPlN2at6native12_GLOBAL__N_18offset_tEEE10hipError_tPvRmT1_PNSt15iterator_traitsISK_E10value_typeET2_T3_PNSL_ISQ_E10value_typeET4_jRbjT5_SW_jjP12ihipStream_tbEUlT_E2_NS1_11comp_targetILNS1_3genE9ELNS1_11target_archE1100ELNS1_3gpuE3ELNS1_3repE0EEENS1_30default_config_static_selectorELNS0_4arch9wavefront6targetE1EEEvSK_
    .private_segment_fixed_size: 0
    .sgpr_count:     4
    .sgpr_spill_count: 0
    .symbol:         _ZN7rocprim17ROCPRIM_400000_NS6detail17trampoline_kernelINS0_14default_configENS1_36segmented_radix_sort_config_selectorIflEEZNS1_25segmented_radix_sort_implIS3_Lb1EPKfPfPKlPlN2at6native12_GLOBAL__N_18offset_tEEE10hipError_tPvRmT1_PNSt15iterator_traitsISK_E10value_typeET2_T3_PNSL_ISQ_E10value_typeET4_jRbjT5_SW_jjP12ihipStream_tbEUlT_E2_NS1_11comp_targetILNS1_3genE9ELNS1_11target_archE1100ELNS1_3gpuE3ELNS1_3repE0EEENS1_30default_config_static_selectorELNS0_4arch9wavefront6targetE1EEEvSK_.kd
    .uniform_work_group_size: 1
    .uses_dynamic_stack: false
    .vgpr_count:     0
    .vgpr_spill_count: 0
    .wavefront_size: 64
  - .agpr_count:     0
    .args:
      - .offset:         0
        .size:           80
        .value_kind:     by_value
    .group_segment_fixed_size: 0
    .kernarg_segment_align: 8
    .kernarg_segment_size: 80
    .language:       OpenCL C
    .language_version:
      - 2
      - 0
    .max_flat_workgroup_size: 256
    .name:           _ZN7rocprim17ROCPRIM_400000_NS6detail17trampoline_kernelINS0_14default_configENS1_36segmented_radix_sort_config_selectorIflEEZNS1_25segmented_radix_sort_implIS3_Lb1EPKfPfPKlPlN2at6native12_GLOBAL__N_18offset_tEEE10hipError_tPvRmT1_PNSt15iterator_traitsISK_E10value_typeET2_T3_PNSL_ISQ_E10value_typeET4_jRbjT5_SW_jjP12ihipStream_tbEUlT_E2_NS1_11comp_targetILNS1_3genE8ELNS1_11target_archE1030ELNS1_3gpuE2ELNS1_3repE0EEENS1_30default_config_static_selectorELNS0_4arch9wavefront6targetE1EEEvSK_
    .private_segment_fixed_size: 0
    .sgpr_count:     4
    .sgpr_spill_count: 0
    .symbol:         _ZN7rocprim17ROCPRIM_400000_NS6detail17trampoline_kernelINS0_14default_configENS1_36segmented_radix_sort_config_selectorIflEEZNS1_25segmented_radix_sort_implIS3_Lb1EPKfPfPKlPlN2at6native12_GLOBAL__N_18offset_tEEE10hipError_tPvRmT1_PNSt15iterator_traitsISK_E10value_typeET2_T3_PNSL_ISQ_E10value_typeET4_jRbjT5_SW_jjP12ihipStream_tbEUlT_E2_NS1_11comp_targetILNS1_3genE8ELNS1_11target_archE1030ELNS1_3gpuE2ELNS1_3repE0EEENS1_30default_config_static_selectorELNS0_4arch9wavefront6targetE1EEEvSK_.kd
    .uniform_work_group_size: 1
    .uses_dynamic_stack: false
    .vgpr_count:     0
    .vgpr_spill_count: 0
    .wavefront_size: 64
  - .agpr_count:     0
    .args:
      - .offset:         0
        .size:           176
        .value_kind:     by_value
    .group_segment_fixed_size: 0
    .kernarg_segment_align: 8
    .kernarg_segment_size: 176
    .language:       OpenCL C
    .language_version:
      - 2
      - 0
    .max_flat_workgroup_size: 256
    .name:           _ZN7rocprim17ROCPRIM_400000_NS6detail17trampoline_kernelINS0_13select_configILj256ELj13ELNS0_17block_load_methodE3ELS4_3ELS4_3ELNS0_20block_scan_algorithmE0ELj4294967295EEENS1_25partition_config_selectorILNS1_17partition_subalgoE4EjNS0_10empty_typeEbEEZZNS1_14partition_implILS8_4ELb0ES6_15HIP_vector_typeIjLj2EENS0_17counting_iteratorIjlEEPS9_SG_NS0_5tupleIJPjSI_NS0_16reverse_iteratorISI_EEEEENSH_IJSG_SG_SG_EEES9_SI_JZNS1_25segmented_radix_sort_implINS0_14default_configELb0EPKfPfPKlPlN2at6native12_GLOBAL__N_18offset_tEEE10hipError_tPvRmT1_PNSt15iterator_traitsIS12_E10value_typeET2_T3_PNS13_IS18_E10value_typeET4_jRbjT5_S1E_jjP12ihipStream_tbEUljE_ZNSN_ISO_Lb0ESQ_SR_ST_SU_SY_EESZ_S10_S11_S12_S16_S17_S18_S1B_S1C_jS1D_jS1E_S1E_jjS1G_bEUljE0_EEESZ_S10_S11_S18_S1C_S1E_T6_T7_T9_mT8_S1G_bDpT10_ENKUlT_T0_E_clISt17integral_constantIbLb0EES1U_EEDaS1P_S1Q_EUlS1P_E_NS1_11comp_targetILNS1_3genE0ELNS1_11target_archE4294967295ELNS1_3gpuE0ELNS1_3repE0EEENS1_30default_config_static_selectorELNS0_4arch9wavefront6targetE1EEEvS12_
    .private_segment_fixed_size: 0
    .sgpr_count:     4
    .sgpr_spill_count: 0
    .symbol:         _ZN7rocprim17ROCPRIM_400000_NS6detail17trampoline_kernelINS0_13select_configILj256ELj13ELNS0_17block_load_methodE3ELS4_3ELS4_3ELNS0_20block_scan_algorithmE0ELj4294967295EEENS1_25partition_config_selectorILNS1_17partition_subalgoE4EjNS0_10empty_typeEbEEZZNS1_14partition_implILS8_4ELb0ES6_15HIP_vector_typeIjLj2EENS0_17counting_iteratorIjlEEPS9_SG_NS0_5tupleIJPjSI_NS0_16reverse_iteratorISI_EEEEENSH_IJSG_SG_SG_EEES9_SI_JZNS1_25segmented_radix_sort_implINS0_14default_configELb0EPKfPfPKlPlN2at6native12_GLOBAL__N_18offset_tEEE10hipError_tPvRmT1_PNSt15iterator_traitsIS12_E10value_typeET2_T3_PNS13_IS18_E10value_typeET4_jRbjT5_S1E_jjP12ihipStream_tbEUljE_ZNSN_ISO_Lb0ESQ_SR_ST_SU_SY_EESZ_S10_S11_S12_S16_S17_S18_S1B_S1C_jS1D_jS1E_S1E_jjS1G_bEUljE0_EEESZ_S10_S11_S18_S1C_S1E_T6_T7_T9_mT8_S1G_bDpT10_ENKUlT_T0_E_clISt17integral_constantIbLb0EES1U_EEDaS1P_S1Q_EUlS1P_E_NS1_11comp_targetILNS1_3genE0ELNS1_11target_archE4294967295ELNS1_3gpuE0ELNS1_3repE0EEENS1_30default_config_static_selectorELNS0_4arch9wavefront6targetE1EEEvS12_.kd
    .uniform_work_group_size: 1
    .uses_dynamic_stack: false
    .vgpr_count:     0
    .vgpr_spill_count: 0
    .wavefront_size: 64
  - .agpr_count:     0
    .args:
      - .offset:         0
        .size:           176
        .value_kind:     by_value
    .group_segment_fixed_size: 0
    .kernarg_segment_align: 8
    .kernarg_segment_size: 176
    .language:       OpenCL C
    .language_version:
      - 2
      - 0
    .max_flat_workgroup_size: 256
    .name:           _ZN7rocprim17ROCPRIM_400000_NS6detail17trampoline_kernelINS0_13select_configILj256ELj13ELNS0_17block_load_methodE3ELS4_3ELS4_3ELNS0_20block_scan_algorithmE0ELj4294967295EEENS1_25partition_config_selectorILNS1_17partition_subalgoE4EjNS0_10empty_typeEbEEZZNS1_14partition_implILS8_4ELb0ES6_15HIP_vector_typeIjLj2EENS0_17counting_iteratorIjlEEPS9_SG_NS0_5tupleIJPjSI_NS0_16reverse_iteratorISI_EEEEENSH_IJSG_SG_SG_EEES9_SI_JZNS1_25segmented_radix_sort_implINS0_14default_configELb0EPKfPfPKlPlN2at6native12_GLOBAL__N_18offset_tEEE10hipError_tPvRmT1_PNSt15iterator_traitsIS12_E10value_typeET2_T3_PNS13_IS18_E10value_typeET4_jRbjT5_S1E_jjP12ihipStream_tbEUljE_ZNSN_ISO_Lb0ESQ_SR_ST_SU_SY_EESZ_S10_S11_S12_S16_S17_S18_S1B_S1C_jS1D_jS1E_S1E_jjS1G_bEUljE0_EEESZ_S10_S11_S18_S1C_S1E_T6_T7_T9_mT8_S1G_bDpT10_ENKUlT_T0_E_clISt17integral_constantIbLb0EES1U_EEDaS1P_S1Q_EUlS1P_E_NS1_11comp_targetILNS1_3genE5ELNS1_11target_archE942ELNS1_3gpuE9ELNS1_3repE0EEENS1_30default_config_static_selectorELNS0_4arch9wavefront6targetE1EEEvS12_
    .private_segment_fixed_size: 0
    .sgpr_count:     4
    .sgpr_spill_count: 0
    .symbol:         _ZN7rocprim17ROCPRIM_400000_NS6detail17trampoline_kernelINS0_13select_configILj256ELj13ELNS0_17block_load_methodE3ELS4_3ELS4_3ELNS0_20block_scan_algorithmE0ELj4294967295EEENS1_25partition_config_selectorILNS1_17partition_subalgoE4EjNS0_10empty_typeEbEEZZNS1_14partition_implILS8_4ELb0ES6_15HIP_vector_typeIjLj2EENS0_17counting_iteratorIjlEEPS9_SG_NS0_5tupleIJPjSI_NS0_16reverse_iteratorISI_EEEEENSH_IJSG_SG_SG_EEES9_SI_JZNS1_25segmented_radix_sort_implINS0_14default_configELb0EPKfPfPKlPlN2at6native12_GLOBAL__N_18offset_tEEE10hipError_tPvRmT1_PNSt15iterator_traitsIS12_E10value_typeET2_T3_PNS13_IS18_E10value_typeET4_jRbjT5_S1E_jjP12ihipStream_tbEUljE_ZNSN_ISO_Lb0ESQ_SR_ST_SU_SY_EESZ_S10_S11_S12_S16_S17_S18_S1B_S1C_jS1D_jS1E_S1E_jjS1G_bEUljE0_EEESZ_S10_S11_S18_S1C_S1E_T6_T7_T9_mT8_S1G_bDpT10_ENKUlT_T0_E_clISt17integral_constantIbLb0EES1U_EEDaS1P_S1Q_EUlS1P_E_NS1_11comp_targetILNS1_3genE5ELNS1_11target_archE942ELNS1_3gpuE9ELNS1_3repE0EEENS1_30default_config_static_selectorELNS0_4arch9wavefront6targetE1EEEvS12_.kd
    .uniform_work_group_size: 1
    .uses_dynamic_stack: false
    .vgpr_count:     0
    .vgpr_spill_count: 0
    .wavefront_size: 64
  - .agpr_count:     0
    .args:
      - .offset:         0
        .size:           176
        .value_kind:     by_value
    .group_segment_fixed_size: 13340
    .kernarg_segment_align: 8
    .kernarg_segment_size: 176
    .language:       OpenCL C
    .language_version:
      - 2
      - 0
    .max_flat_workgroup_size: 256
    .name:           _ZN7rocprim17ROCPRIM_400000_NS6detail17trampoline_kernelINS0_13select_configILj256ELj13ELNS0_17block_load_methodE3ELS4_3ELS4_3ELNS0_20block_scan_algorithmE0ELj4294967295EEENS1_25partition_config_selectorILNS1_17partition_subalgoE4EjNS0_10empty_typeEbEEZZNS1_14partition_implILS8_4ELb0ES6_15HIP_vector_typeIjLj2EENS0_17counting_iteratorIjlEEPS9_SG_NS0_5tupleIJPjSI_NS0_16reverse_iteratorISI_EEEEENSH_IJSG_SG_SG_EEES9_SI_JZNS1_25segmented_radix_sort_implINS0_14default_configELb0EPKfPfPKlPlN2at6native12_GLOBAL__N_18offset_tEEE10hipError_tPvRmT1_PNSt15iterator_traitsIS12_E10value_typeET2_T3_PNS13_IS18_E10value_typeET4_jRbjT5_S1E_jjP12ihipStream_tbEUljE_ZNSN_ISO_Lb0ESQ_SR_ST_SU_SY_EESZ_S10_S11_S12_S16_S17_S18_S1B_S1C_jS1D_jS1E_S1E_jjS1G_bEUljE0_EEESZ_S10_S11_S18_S1C_S1E_T6_T7_T9_mT8_S1G_bDpT10_ENKUlT_T0_E_clISt17integral_constantIbLb0EES1U_EEDaS1P_S1Q_EUlS1P_E_NS1_11comp_targetILNS1_3genE4ELNS1_11target_archE910ELNS1_3gpuE8ELNS1_3repE0EEENS1_30default_config_static_selectorELNS0_4arch9wavefront6targetE1EEEvS12_
    .private_segment_fixed_size: 0
    .sgpr_count:     94
    .sgpr_spill_count: 0
    .symbol:         _ZN7rocprim17ROCPRIM_400000_NS6detail17trampoline_kernelINS0_13select_configILj256ELj13ELNS0_17block_load_methodE3ELS4_3ELS4_3ELNS0_20block_scan_algorithmE0ELj4294967295EEENS1_25partition_config_selectorILNS1_17partition_subalgoE4EjNS0_10empty_typeEbEEZZNS1_14partition_implILS8_4ELb0ES6_15HIP_vector_typeIjLj2EENS0_17counting_iteratorIjlEEPS9_SG_NS0_5tupleIJPjSI_NS0_16reverse_iteratorISI_EEEEENSH_IJSG_SG_SG_EEES9_SI_JZNS1_25segmented_radix_sort_implINS0_14default_configELb0EPKfPfPKlPlN2at6native12_GLOBAL__N_18offset_tEEE10hipError_tPvRmT1_PNSt15iterator_traitsIS12_E10value_typeET2_T3_PNS13_IS18_E10value_typeET4_jRbjT5_S1E_jjP12ihipStream_tbEUljE_ZNSN_ISO_Lb0ESQ_SR_ST_SU_SY_EESZ_S10_S11_S12_S16_S17_S18_S1B_S1C_jS1D_jS1E_S1E_jjS1G_bEUljE0_EEESZ_S10_S11_S18_S1C_S1E_T6_T7_T9_mT8_S1G_bDpT10_ENKUlT_T0_E_clISt17integral_constantIbLb0EES1U_EEDaS1P_S1Q_EUlS1P_E_NS1_11comp_targetILNS1_3genE4ELNS1_11target_archE910ELNS1_3gpuE8ELNS1_3repE0EEENS1_30default_config_static_selectorELNS0_4arch9wavefront6targetE1EEEvS12_.kd
    .uniform_work_group_size: 1
    .uses_dynamic_stack: false
    .vgpr_count:     102
    .vgpr_spill_count: 0
    .wavefront_size: 64
  - .agpr_count:     0
    .args:
      - .offset:         0
        .size:           176
        .value_kind:     by_value
    .group_segment_fixed_size: 0
    .kernarg_segment_align: 8
    .kernarg_segment_size: 176
    .language:       OpenCL C
    .language_version:
      - 2
      - 0
    .max_flat_workgroup_size: 256
    .name:           _ZN7rocprim17ROCPRIM_400000_NS6detail17trampoline_kernelINS0_13select_configILj256ELj13ELNS0_17block_load_methodE3ELS4_3ELS4_3ELNS0_20block_scan_algorithmE0ELj4294967295EEENS1_25partition_config_selectorILNS1_17partition_subalgoE4EjNS0_10empty_typeEbEEZZNS1_14partition_implILS8_4ELb0ES6_15HIP_vector_typeIjLj2EENS0_17counting_iteratorIjlEEPS9_SG_NS0_5tupleIJPjSI_NS0_16reverse_iteratorISI_EEEEENSH_IJSG_SG_SG_EEES9_SI_JZNS1_25segmented_radix_sort_implINS0_14default_configELb0EPKfPfPKlPlN2at6native12_GLOBAL__N_18offset_tEEE10hipError_tPvRmT1_PNSt15iterator_traitsIS12_E10value_typeET2_T3_PNS13_IS18_E10value_typeET4_jRbjT5_S1E_jjP12ihipStream_tbEUljE_ZNSN_ISO_Lb0ESQ_SR_ST_SU_SY_EESZ_S10_S11_S12_S16_S17_S18_S1B_S1C_jS1D_jS1E_S1E_jjS1G_bEUljE0_EEESZ_S10_S11_S18_S1C_S1E_T6_T7_T9_mT8_S1G_bDpT10_ENKUlT_T0_E_clISt17integral_constantIbLb0EES1U_EEDaS1P_S1Q_EUlS1P_E_NS1_11comp_targetILNS1_3genE3ELNS1_11target_archE908ELNS1_3gpuE7ELNS1_3repE0EEENS1_30default_config_static_selectorELNS0_4arch9wavefront6targetE1EEEvS12_
    .private_segment_fixed_size: 0
    .sgpr_count:     4
    .sgpr_spill_count: 0
    .symbol:         _ZN7rocprim17ROCPRIM_400000_NS6detail17trampoline_kernelINS0_13select_configILj256ELj13ELNS0_17block_load_methodE3ELS4_3ELS4_3ELNS0_20block_scan_algorithmE0ELj4294967295EEENS1_25partition_config_selectorILNS1_17partition_subalgoE4EjNS0_10empty_typeEbEEZZNS1_14partition_implILS8_4ELb0ES6_15HIP_vector_typeIjLj2EENS0_17counting_iteratorIjlEEPS9_SG_NS0_5tupleIJPjSI_NS0_16reverse_iteratorISI_EEEEENSH_IJSG_SG_SG_EEES9_SI_JZNS1_25segmented_radix_sort_implINS0_14default_configELb0EPKfPfPKlPlN2at6native12_GLOBAL__N_18offset_tEEE10hipError_tPvRmT1_PNSt15iterator_traitsIS12_E10value_typeET2_T3_PNS13_IS18_E10value_typeET4_jRbjT5_S1E_jjP12ihipStream_tbEUljE_ZNSN_ISO_Lb0ESQ_SR_ST_SU_SY_EESZ_S10_S11_S12_S16_S17_S18_S1B_S1C_jS1D_jS1E_S1E_jjS1G_bEUljE0_EEESZ_S10_S11_S18_S1C_S1E_T6_T7_T9_mT8_S1G_bDpT10_ENKUlT_T0_E_clISt17integral_constantIbLb0EES1U_EEDaS1P_S1Q_EUlS1P_E_NS1_11comp_targetILNS1_3genE3ELNS1_11target_archE908ELNS1_3gpuE7ELNS1_3repE0EEENS1_30default_config_static_selectorELNS0_4arch9wavefront6targetE1EEEvS12_.kd
    .uniform_work_group_size: 1
    .uses_dynamic_stack: false
    .vgpr_count:     0
    .vgpr_spill_count: 0
    .wavefront_size: 64
  - .agpr_count:     0
    .args:
      - .offset:         0
        .size:           176
        .value_kind:     by_value
    .group_segment_fixed_size: 0
    .kernarg_segment_align: 8
    .kernarg_segment_size: 176
    .language:       OpenCL C
    .language_version:
      - 2
      - 0
    .max_flat_workgroup_size: 256
    .name:           _ZN7rocprim17ROCPRIM_400000_NS6detail17trampoline_kernelINS0_13select_configILj256ELj13ELNS0_17block_load_methodE3ELS4_3ELS4_3ELNS0_20block_scan_algorithmE0ELj4294967295EEENS1_25partition_config_selectorILNS1_17partition_subalgoE4EjNS0_10empty_typeEbEEZZNS1_14partition_implILS8_4ELb0ES6_15HIP_vector_typeIjLj2EENS0_17counting_iteratorIjlEEPS9_SG_NS0_5tupleIJPjSI_NS0_16reverse_iteratorISI_EEEEENSH_IJSG_SG_SG_EEES9_SI_JZNS1_25segmented_radix_sort_implINS0_14default_configELb0EPKfPfPKlPlN2at6native12_GLOBAL__N_18offset_tEEE10hipError_tPvRmT1_PNSt15iterator_traitsIS12_E10value_typeET2_T3_PNS13_IS18_E10value_typeET4_jRbjT5_S1E_jjP12ihipStream_tbEUljE_ZNSN_ISO_Lb0ESQ_SR_ST_SU_SY_EESZ_S10_S11_S12_S16_S17_S18_S1B_S1C_jS1D_jS1E_S1E_jjS1G_bEUljE0_EEESZ_S10_S11_S18_S1C_S1E_T6_T7_T9_mT8_S1G_bDpT10_ENKUlT_T0_E_clISt17integral_constantIbLb0EES1U_EEDaS1P_S1Q_EUlS1P_E_NS1_11comp_targetILNS1_3genE2ELNS1_11target_archE906ELNS1_3gpuE6ELNS1_3repE0EEENS1_30default_config_static_selectorELNS0_4arch9wavefront6targetE1EEEvS12_
    .private_segment_fixed_size: 0
    .sgpr_count:     4
    .sgpr_spill_count: 0
    .symbol:         _ZN7rocprim17ROCPRIM_400000_NS6detail17trampoline_kernelINS0_13select_configILj256ELj13ELNS0_17block_load_methodE3ELS4_3ELS4_3ELNS0_20block_scan_algorithmE0ELj4294967295EEENS1_25partition_config_selectorILNS1_17partition_subalgoE4EjNS0_10empty_typeEbEEZZNS1_14partition_implILS8_4ELb0ES6_15HIP_vector_typeIjLj2EENS0_17counting_iteratorIjlEEPS9_SG_NS0_5tupleIJPjSI_NS0_16reverse_iteratorISI_EEEEENSH_IJSG_SG_SG_EEES9_SI_JZNS1_25segmented_radix_sort_implINS0_14default_configELb0EPKfPfPKlPlN2at6native12_GLOBAL__N_18offset_tEEE10hipError_tPvRmT1_PNSt15iterator_traitsIS12_E10value_typeET2_T3_PNS13_IS18_E10value_typeET4_jRbjT5_S1E_jjP12ihipStream_tbEUljE_ZNSN_ISO_Lb0ESQ_SR_ST_SU_SY_EESZ_S10_S11_S12_S16_S17_S18_S1B_S1C_jS1D_jS1E_S1E_jjS1G_bEUljE0_EEESZ_S10_S11_S18_S1C_S1E_T6_T7_T9_mT8_S1G_bDpT10_ENKUlT_T0_E_clISt17integral_constantIbLb0EES1U_EEDaS1P_S1Q_EUlS1P_E_NS1_11comp_targetILNS1_3genE2ELNS1_11target_archE906ELNS1_3gpuE6ELNS1_3repE0EEENS1_30default_config_static_selectorELNS0_4arch9wavefront6targetE1EEEvS12_.kd
    .uniform_work_group_size: 1
    .uses_dynamic_stack: false
    .vgpr_count:     0
    .vgpr_spill_count: 0
    .wavefront_size: 64
  - .agpr_count:     0
    .args:
      - .offset:         0
        .size:           176
        .value_kind:     by_value
    .group_segment_fixed_size: 0
    .kernarg_segment_align: 8
    .kernarg_segment_size: 176
    .language:       OpenCL C
    .language_version:
      - 2
      - 0
    .max_flat_workgroup_size: 256
    .name:           _ZN7rocprim17ROCPRIM_400000_NS6detail17trampoline_kernelINS0_13select_configILj256ELj13ELNS0_17block_load_methodE3ELS4_3ELS4_3ELNS0_20block_scan_algorithmE0ELj4294967295EEENS1_25partition_config_selectorILNS1_17partition_subalgoE4EjNS0_10empty_typeEbEEZZNS1_14partition_implILS8_4ELb0ES6_15HIP_vector_typeIjLj2EENS0_17counting_iteratorIjlEEPS9_SG_NS0_5tupleIJPjSI_NS0_16reverse_iteratorISI_EEEEENSH_IJSG_SG_SG_EEES9_SI_JZNS1_25segmented_radix_sort_implINS0_14default_configELb0EPKfPfPKlPlN2at6native12_GLOBAL__N_18offset_tEEE10hipError_tPvRmT1_PNSt15iterator_traitsIS12_E10value_typeET2_T3_PNS13_IS18_E10value_typeET4_jRbjT5_S1E_jjP12ihipStream_tbEUljE_ZNSN_ISO_Lb0ESQ_SR_ST_SU_SY_EESZ_S10_S11_S12_S16_S17_S18_S1B_S1C_jS1D_jS1E_S1E_jjS1G_bEUljE0_EEESZ_S10_S11_S18_S1C_S1E_T6_T7_T9_mT8_S1G_bDpT10_ENKUlT_T0_E_clISt17integral_constantIbLb0EES1U_EEDaS1P_S1Q_EUlS1P_E_NS1_11comp_targetILNS1_3genE10ELNS1_11target_archE1200ELNS1_3gpuE4ELNS1_3repE0EEENS1_30default_config_static_selectorELNS0_4arch9wavefront6targetE1EEEvS12_
    .private_segment_fixed_size: 0
    .sgpr_count:     4
    .sgpr_spill_count: 0
    .symbol:         _ZN7rocprim17ROCPRIM_400000_NS6detail17trampoline_kernelINS0_13select_configILj256ELj13ELNS0_17block_load_methodE3ELS4_3ELS4_3ELNS0_20block_scan_algorithmE0ELj4294967295EEENS1_25partition_config_selectorILNS1_17partition_subalgoE4EjNS0_10empty_typeEbEEZZNS1_14partition_implILS8_4ELb0ES6_15HIP_vector_typeIjLj2EENS0_17counting_iteratorIjlEEPS9_SG_NS0_5tupleIJPjSI_NS0_16reverse_iteratorISI_EEEEENSH_IJSG_SG_SG_EEES9_SI_JZNS1_25segmented_radix_sort_implINS0_14default_configELb0EPKfPfPKlPlN2at6native12_GLOBAL__N_18offset_tEEE10hipError_tPvRmT1_PNSt15iterator_traitsIS12_E10value_typeET2_T3_PNS13_IS18_E10value_typeET4_jRbjT5_S1E_jjP12ihipStream_tbEUljE_ZNSN_ISO_Lb0ESQ_SR_ST_SU_SY_EESZ_S10_S11_S12_S16_S17_S18_S1B_S1C_jS1D_jS1E_S1E_jjS1G_bEUljE0_EEESZ_S10_S11_S18_S1C_S1E_T6_T7_T9_mT8_S1G_bDpT10_ENKUlT_T0_E_clISt17integral_constantIbLb0EES1U_EEDaS1P_S1Q_EUlS1P_E_NS1_11comp_targetILNS1_3genE10ELNS1_11target_archE1200ELNS1_3gpuE4ELNS1_3repE0EEENS1_30default_config_static_selectorELNS0_4arch9wavefront6targetE1EEEvS12_.kd
    .uniform_work_group_size: 1
    .uses_dynamic_stack: false
    .vgpr_count:     0
    .vgpr_spill_count: 0
    .wavefront_size: 64
  - .agpr_count:     0
    .args:
      - .offset:         0
        .size:           176
        .value_kind:     by_value
    .group_segment_fixed_size: 0
    .kernarg_segment_align: 8
    .kernarg_segment_size: 176
    .language:       OpenCL C
    .language_version:
      - 2
      - 0
    .max_flat_workgroup_size: 256
    .name:           _ZN7rocprim17ROCPRIM_400000_NS6detail17trampoline_kernelINS0_13select_configILj256ELj13ELNS0_17block_load_methodE3ELS4_3ELS4_3ELNS0_20block_scan_algorithmE0ELj4294967295EEENS1_25partition_config_selectorILNS1_17partition_subalgoE4EjNS0_10empty_typeEbEEZZNS1_14partition_implILS8_4ELb0ES6_15HIP_vector_typeIjLj2EENS0_17counting_iteratorIjlEEPS9_SG_NS0_5tupleIJPjSI_NS0_16reverse_iteratorISI_EEEEENSH_IJSG_SG_SG_EEES9_SI_JZNS1_25segmented_radix_sort_implINS0_14default_configELb0EPKfPfPKlPlN2at6native12_GLOBAL__N_18offset_tEEE10hipError_tPvRmT1_PNSt15iterator_traitsIS12_E10value_typeET2_T3_PNS13_IS18_E10value_typeET4_jRbjT5_S1E_jjP12ihipStream_tbEUljE_ZNSN_ISO_Lb0ESQ_SR_ST_SU_SY_EESZ_S10_S11_S12_S16_S17_S18_S1B_S1C_jS1D_jS1E_S1E_jjS1G_bEUljE0_EEESZ_S10_S11_S18_S1C_S1E_T6_T7_T9_mT8_S1G_bDpT10_ENKUlT_T0_E_clISt17integral_constantIbLb0EES1U_EEDaS1P_S1Q_EUlS1P_E_NS1_11comp_targetILNS1_3genE9ELNS1_11target_archE1100ELNS1_3gpuE3ELNS1_3repE0EEENS1_30default_config_static_selectorELNS0_4arch9wavefront6targetE1EEEvS12_
    .private_segment_fixed_size: 0
    .sgpr_count:     4
    .sgpr_spill_count: 0
    .symbol:         _ZN7rocprim17ROCPRIM_400000_NS6detail17trampoline_kernelINS0_13select_configILj256ELj13ELNS0_17block_load_methodE3ELS4_3ELS4_3ELNS0_20block_scan_algorithmE0ELj4294967295EEENS1_25partition_config_selectorILNS1_17partition_subalgoE4EjNS0_10empty_typeEbEEZZNS1_14partition_implILS8_4ELb0ES6_15HIP_vector_typeIjLj2EENS0_17counting_iteratorIjlEEPS9_SG_NS0_5tupleIJPjSI_NS0_16reverse_iteratorISI_EEEEENSH_IJSG_SG_SG_EEES9_SI_JZNS1_25segmented_radix_sort_implINS0_14default_configELb0EPKfPfPKlPlN2at6native12_GLOBAL__N_18offset_tEEE10hipError_tPvRmT1_PNSt15iterator_traitsIS12_E10value_typeET2_T3_PNS13_IS18_E10value_typeET4_jRbjT5_S1E_jjP12ihipStream_tbEUljE_ZNSN_ISO_Lb0ESQ_SR_ST_SU_SY_EESZ_S10_S11_S12_S16_S17_S18_S1B_S1C_jS1D_jS1E_S1E_jjS1G_bEUljE0_EEESZ_S10_S11_S18_S1C_S1E_T6_T7_T9_mT8_S1G_bDpT10_ENKUlT_T0_E_clISt17integral_constantIbLb0EES1U_EEDaS1P_S1Q_EUlS1P_E_NS1_11comp_targetILNS1_3genE9ELNS1_11target_archE1100ELNS1_3gpuE3ELNS1_3repE0EEENS1_30default_config_static_selectorELNS0_4arch9wavefront6targetE1EEEvS12_.kd
    .uniform_work_group_size: 1
    .uses_dynamic_stack: false
    .vgpr_count:     0
    .vgpr_spill_count: 0
    .wavefront_size: 64
  - .agpr_count:     0
    .args:
      - .offset:         0
        .size:           176
        .value_kind:     by_value
    .group_segment_fixed_size: 0
    .kernarg_segment_align: 8
    .kernarg_segment_size: 176
    .language:       OpenCL C
    .language_version:
      - 2
      - 0
    .max_flat_workgroup_size: 256
    .name:           _ZN7rocprim17ROCPRIM_400000_NS6detail17trampoline_kernelINS0_13select_configILj256ELj13ELNS0_17block_load_methodE3ELS4_3ELS4_3ELNS0_20block_scan_algorithmE0ELj4294967295EEENS1_25partition_config_selectorILNS1_17partition_subalgoE4EjNS0_10empty_typeEbEEZZNS1_14partition_implILS8_4ELb0ES6_15HIP_vector_typeIjLj2EENS0_17counting_iteratorIjlEEPS9_SG_NS0_5tupleIJPjSI_NS0_16reverse_iteratorISI_EEEEENSH_IJSG_SG_SG_EEES9_SI_JZNS1_25segmented_radix_sort_implINS0_14default_configELb0EPKfPfPKlPlN2at6native12_GLOBAL__N_18offset_tEEE10hipError_tPvRmT1_PNSt15iterator_traitsIS12_E10value_typeET2_T3_PNS13_IS18_E10value_typeET4_jRbjT5_S1E_jjP12ihipStream_tbEUljE_ZNSN_ISO_Lb0ESQ_SR_ST_SU_SY_EESZ_S10_S11_S12_S16_S17_S18_S1B_S1C_jS1D_jS1E_S1E_jjS1G_bEUljE0_EEESZ_S10_S11_S18_S1C_S1E_T6_T7_T9_mT8_S1G_bDpT10_ENKUlT_T0_E_clISt17integral_constantIbLb0EES1U_EEDaS1P_S1Q_EUlS1P_E_NS1_11comp_targetILNS1_3genE8ELNS1_11target_archE1030ELNS1_3gpuE2ELNS1_3repE0EEENS1_30default_config_static_selectorELNS0_4arch9wavefront6targetE1EEEvS12_
    .private_segment_fixed_size: 0
    .sgpr_count:     4
    .sgpr_spill_count: 0
    .symbol:         _ZN7rocprim17ROCPRIM_400000_NS6detail17trampoline_kernelINS0_13select_configILj256ELj13ELNS0_17block_load_methodE3ELS4_3ELS4_3ELNS0_20block_scan_algorithmE0ELj4294967295EEENS1_25partition_config_selectorILNS1_17partition_subalgoE4EjNS0_10empty_typeEbEEZZNS1_14partition_implILS8_4ELb0ES6_15HIP_vector_typeIjLj2EENS0_17counting_iteratorIjlEEPS9_SG_NS0_5tupleIJPjSI_NS0_16reverse_iteratorISI_EEEEENSH_IJSG_SG_SG_EEES9_SI_JZNS1_25segmented_radix_sort_implINS0_14default_configELb0EPKfPfPKlPlN2at6native12_GLOBAL__N_18offset_tEEE10hipError_tPvRmT1_PNSt15iterator_traitsIS12_E10value_typeET2_T3_PNS13_IS18_E10value_typeET4_jRbjT5_S1E_jjP12ihipStream_tbEUljE_ZNSN_ISO_Lb0ESQ_SR_ST_SU_SY_EESZ_S10_S11_S12_S16_S17_S18_S1B_S1C_jS1D_jS1E_S1E_jjS1G_bEUljE0_EEESZ_S10_S11_S18_S1C_S1E_T6_T7_T9_mT8_S1G_bDpT10_ENKUlT_T0_E_clISt17integral_constantIbLb0EES1U_EEDaS1P_S1Q_EUlS1P_E_NS1_11comp_targetILNS1_3genE8ELNS1_11target_archE1030ELNS1_3gpuE2ELNS1_3repE0EEENS1_30default_config_static_selectorELNS0_4arch9wavefront6targetE1EEEvS12_.kd
    .uniform_work_group_size: 1
    .uses_dynamic_stack: false
    .vgpr_count:     0
    .vgpr_spill_count: 0
    .wavefront_size: 64
  - .agpr_count:     0
    .args:
      - .offset:         0
        .size:           184
        .value_kind:     by_value
    .group_segment_fixed_size: 0
    .kernarg_segment_align: 8
    .kernarg_segment_size: 184
    .language:       OpenCL C
    .language_version:
      - 2
      - 0
    .max_flat_workgroup_size: 256
    .name:           _ZN7rocprim17ROCPRIM_400000_NS6detail17trampoline_kernelINS0_13select_configILj256ELj13ELNS0_17block_load_methodE3ELS4_3ELS4_3ELNS0_20block_scan_algorithmE0ELj4294967295EEENS1_25partition_config_selectorILNS1_17partition_subalgoE4EjNS0_10empty_typeEbEEZZNS1_14partition_implILS8_4ELb0ES6_15HIP_vector_typeIjLj2EENS0_17counting_iteratorIjlEEPS9_SG_NS0_5tupleIJPjSI_NS0_16reverse_iteratorISI_EEEEENSH_IJSG_SG_SG_EEES9_SI_JZNS1_25segmented_radix_sort_implINS0_14default_configELb0EPKfPfPKlPlN2at6native12_GLOBAL__N_18offset_tEEE10hipError_tPvRmT1_PNSt15iterator_traitsIS12_E10value_typeET2_T3_PNS13_IS18_E10value_typeET4_jRbjT5_S1E_jjP12ihipStream_tbEUljE_ZNSN_ISO_Lb0ESQ_SR_ST_SU_SY_EESZ_S10_S11_S12_S16_S17_S18_S1B_S1C_jS1D_jS1E_S1E_jjS1G_bEUljE0_EEESZ_S10_S11_S18_S1C_S1E_T6_T7_T9_mT8_S1G_bDpT10_ENKUlT_T0_E_clISt17integral_constantIbLb1EES1U_EEDaS1P_S1Q_EUlS1P_E_NS1_11comp_targetILNS1_3genE0ELNS1_11target_archE4294967295ELNS1_3gpuE0ELNS1_3repE0EEENS1_30default_config_static_selectorELNS0_4arch9wavefront6targetE1EEEvS12_
    .private_segment_fixed_size: 0
    .sgpr_count:     4
    .sgpr_spill_count: 0
    .symbol:         _ZN7rocprim17ROCPRIM_400000_NS6detail17trampoline_kernelINS0_13select_configILj256ELj13ELNS0_17block_load_methodE3ELS4_3ELS4_3ELNS0_20block_scan_algorithmE0ELj4294967295EEENS1_25partition_config_selectorILNS1_17partition_subalgoE4EjNS0_10empty_typeEbEEZZNS1_14partition_implILS8_4ELb0ES6_15HIP_vector_typeIjLj2EENS0_17counting_iteratorIjlEEPS9_SG_NS0_5tupleIJPjSI_NS0_16reverse_iteratorISI_EEEEENSH_IJSG_SG_SG_EEES9_SI_JZNS1_25segmented_radix_sort_implINS0_14default_configELb0EPKfPfPKlPlN2at6native12_GLOBAL__N_18offset_tEEE10hipError_tPvRmT1_PNSt15iterator_traitsIS12_E10value_typeET2_T3_PNS13_IS18_E10value_typeET4_jRbjT5_S1E_jjP12ihipStream_tbEUljE_ZNSN_ISO_Lb0ESQ_SR_ST_SU_SY_EESZ_S10_S11_S12_S16_S17_S18_S1B_S1C_jS1D_jS1E_S1E_jjS1G_bEUljE0_EEESZ_S10_S11_S18_S1C_S1E_T6_T7_T9_mT8_S1G_bDpT10_ENKUlT_T0_E_clISt17integral_constantIbLb1EES1U_EEDaS1P_S1Q_EUlS1P_E_NS1_11comp_targetILNS1_3genE0ELNS1_11target_archE4294967295ELNS1_3gpuE0ELNS1_3repE0EEENS1_30default_config_static_selectorELNS0_4arch9wavefront6targetE1EEEvS12_.kd
    .uniform_work_group_size: 1
    .uses_dynamic_stack: false
    .vgpr_count:     0
    .vgpr_spill_count: 0
    .wavefront_size: 64
  - .agpr_count:     0
    .args:
      - .offset:         0
        .size:           184
        .value_kind:     by_value
    .group_segment_fixed_size: 0
    .kernarg_segment_align: 8
    .kernarg_segment_size: 184
    .language:       OpenCL C
    .language_version:
      - 2
      - 0
    .max_flat_workgroup_size: 256
    .name:           _ZN7rocprim17ROCPRIM_400000_NS6detail17trampoline_kernelINS0_13select_configILj256ELj13ELNS0_17block_load_methodE3ELS4_3ELS4_3ELNS0_20block_scan_algorithmE0ELj4294967295EEENS1_25partition_config_selectorILNS1_17partition_subalgoE4EjNS0_10empty_typeEbEEZZNS1_14partition_implILS8_4ELb0ES6_15HIP_vector_typeIjLj2EENS0_17counting_iteratorIjlEEPS9_SG_NS0_5tupleIJPjSI_NS0_16reverse_iteratorISI_EEEEENSH_IJSG_SG_SG_EEES9_SI_JZNS1_25segmented_radix_sort_implINS0_14default_configELb0EPKfPfPKlPlN2at6native12_GLOBAL__N_18offset_tEEE10hipError_tPvRmT1_PNSt15iterator_traitsIS12_E10value_typeET2_T3_PNS13_IS18_E10value_typeET4_jRbjT5_S1E_jjP12ihipStream_tbEUljE_ZNSN_ISO_Lb0ESQ_SR_ST_SU_SY_EESZ_S10_S11_S12_S16_S17_S18_S1B_S1C_jS1D_jS1E_S1E_jjS1G_bEUljE0_EEESZ_S10_S11_S18_S1C_S1E_T6_T7_T9_mT8_S1G_bDpT10_ENKUlT_T0_E_clISt17integral_constantIbLb1EES1U_EEDaS1P_S1Q_EUlS1P_E_NS1_11comp_targetILNS1_3genE5ELNS1_11target_archE942ELNS1_3gpuE9ELNS1_3repE0EEENS1_30default_config_static_selectorELNS0_4arch9wavefront6targetE1EEEvS12_
    .private_segment_fixed_size: 0
    .sgpr_count:     4
    .sgpr_spill_count: 0
    .symbol:         _ZN7rocprim17ROCPRIM_400000_NS6detail17trampoline_kernelINS0_13select_configILj256ELj13ELNS0_17block_load_methodE3ELS4_3ELS4_3ELNS0_20block_scan_algorithmE0ELj4294967295EEENS1_25partition_config_selectorILNS1_17partition_subalgoE4EjNS0_10empty_typeEbEEZZNS1_14partition_implILS8_4ELb0ES6_15HIP_vector_typeIjLj2EENS0_17counting_iteratorIjlEEPS9_SG_NS0_5tupleIJPjSI_NS0_16reverse_iteratorISI_EEEEENSH_IJSG_SG_SG_EEES9_SI_JZNS1_25segmented_radix_sort_implINS0_14default_configELb0EPKfPfPKlPlN2at6native12_GLOBAL__N_18offset_tEEE10hipError_tPvRmT1_PNSt15iterator_traitsIS12_E10value_typeET2_T3_PNS13_IS18_E10value_typeET4_jRbjT5_S1E_jjP12ihipStream_tbEUljE_ZNSN_ISO_Lb0ESQ_SR_ST_SU_SY_EESZ_S10_S11_S12_S16_S17_S18_S1B_S1C_jS1D_jS1E_S1E_jjS1G_bEUljE0_EEESZ_S10_S11_S18_S1C_S1E_T6_T7_T9_mT8_S1G_bDpT10_ENKUlT_T0_E_clISt17integral_constantIbLb1EES1U_EEDaS1P_S1Q_EUlS1P_E_NS1_11comp_targetILNS1_3genE5ELNS1_11target_archE942ELNS1_3gpuE9ELNS1_3repE0EEENS1_30default_config_static_selectorELNS0_4arch9wavefront6targetE1EEEvS12_.kd
    .uniform_work_group_size: 1
    .uses_dynamic_stack: false
    .vgpr_count:     0
    .vgpr_spill_count: 0
    .wavefront_size: 64
  - .agpr_count:     0
    .args:
      - .offset:         0
        .size:           184
        .value_kind:     by_value
    .group_segment_fixed_size: 13340
    .kernarg_segment_align: 8
    .kernarg_segment_size: 184
    .language:       OpenCL C
    .language_version:
      - 2
      - 0
    .max_flat_workgroup_size: 256
    .name:           _ZN7rocprim17ROCPRIM_400000_NS6detail17trampoline_kernelINS0_13select_configILj256ELj13ELNS0_17block_load_methodE3ELS4_3ELS4_3ELNS0_20block_scan_algorithmE0ELj4294967295EEENS1_25partition_config_selectorILNS1_17partition_subalgoE4EjNS0_10empty_typeEbEEZZNS1_14partition_implILS8_4ELb0ES6_15HIP_vector_typeIjLj2EENS0_17counting_iteratorIjlEEPS9_SG_NS0_5tupleIJPjSI_NS0_16reverse_iteratorISI_EEEEENSH_IJSG_SG_SG_EEES9_SI_JZNS1_25segmented_radix_sort_implINS0_14default_configELb0EPKfPfPKlPlN2at6native12_GLOBAL__N_18offset_tEEE10hipError_tPvRmT1_PNSt15iterator_traitsIS12_E10value_typeET2_T3_PNS13_IS18_E10value_typeET4_jRbjT5_S1E_jjP12ihipStream_tbEUljE_ZNSN_ISO_Lb0ESQ_SR_ST_SU_SY_EESZ_S10_S11_S12_S16_S17_S18_S1B_S1C_jS1D_jS1E_S1E_jjS1G_bEUljE0_EEESZ_S10_S11_S18_S1C_S1E_T6_T7_T9_mT8_S1G_bDpT10_ENKUlT_T0_E_clISt17integral_constantIbLb1EES1U_EEDaS1P_S1Q_EUlS1P_E_NS1_11comp_targetILNS1_3genE4ELNS1_11target_archE910ELNS1_3gpuE8ELNS1_3repE0EEENS1_30default_config_static_selectorELNS0_4arch9wavefront6targetE1EEEvS12_
    .private_segment_fixed_size: 0
    .sgpr_count:     91
    .sgpr_spill_count: 0
    .symbol:         _ZN7rocprim17ROCPRIM_400000_NS6detail17trampoline_kernelINS0_13select_configILj256ELj13ELNS0_17block_load_methodE3ELS4_3ELS4_3ELNS0_20block_scan_algorithmE0ELj4294967295EEENS1_25partition_config_selectorILNS1_17partition_subalgoE4EjNS0_10empty_typeEbEEZZNS1_14partition_implILS8_4ELb0ES6_15HIP_vector_typeIjLj2EENS0_17counting_iteratorIjlEEPS9_SG_NS0_5tupleIJPjSI_NS0_16reverse_iteratorISI_EEEEENSH_IJSG_SG_SG_EEES9_SI_JZNS1_25segmented_radix_sort_implINS0_14default_configELb0EPKfPfPKlPlN2at6native12_GLOBAL__N_18offset_tEEE10hipError_tPvRmT1_PNSt15iterator_traitsIS12_E10value_typeET2_T3_PNS13_IS18_E10value_typeET4_jRbjT5_S1E_jjP12ihipStream_tbEUljE_ZNSN_ISO_Lb0ESQ_SR_ST_SU_SY_EESZ_S10_S11_S12_S16_S17_S18_S1B_S1C_jS1D_jS1E_S1E_jjS1G_bEUljE0_EEESZ_S10_S11_S18_S1C_S1E_T6_T7_T9_mT8_S1G_bDpT10_ENKUlT_T0_E_clISt17integral_constantIbLb1EES1U_EEDaS1P_S1Q_EUlS1P_E_NS1_11comp_targetILNS1_3genE4ELNS1_11target_archE910ELNS1_3gpuE8ELNS1_3repE0EEENS1_30default_config_static_selectorELNS0_4arch9wavefront6targetE1EEEvS12_.kd
    .uniform_work_group_size: 1
    .uses_dynamic_stack: false
    .vgpr_count:     107
    .vgpr_spill_count: 0
    .wavefront_size: 64
  - .agpr_count:     0
    .args:
      - .offset:         0
        .size:           184
        .value_kind:     by_value
    .group_segment_fixed_size: 0
    .kernarg_segment_align: 8
    .kernarg_segment_size: 184
    .language:       OpenCL C
    .language_version:
      - 2
      - 0
    .max_flat_workgroup_size: 256
    .name:           _ZN7rocprim17ROCPRIM_400000_NS6detail17trampoline_kernelINS0_13select_configILj256ELj13ELNS0_17block_load_methodE3ELS4_3ELS4_3ELNS0_20block_scan_algorithmE0ELj4294967295EEENS1_25partition_config_selectorILNS1_17partition_subalgoE4EjNS0_10empty_typeEbEEZZNS1_14partition_implILS8_4ELb0ES6_15HIP_vector_typeIjLj2EENS0_17counting_iteratorIjlEEPS9_SG_NS0_5tupleIJPjSI_NS0_16reverse_iteratorISI_EEEEENSH_IJSG_SG_SG_EEES9_SI_JZNS1_25segmented_radix_sort_implINS0_14default_configELb0EPKfPfPKlPlN2at6native12_GLOBAL__N_18offset_tEEE10hipError_tPvRmT1_PNSt15iterator_traitsIS12_E10value_typeET2_T3_PNS13_IS18_E10value_typeET4_jRbjT5_S1E_jjP12ihipStream_tbEUljE_ZNSN_ISO_Lb0ESQ_SR_ST_SU_SY_EESZ_S10_S11_S12_S16_S17_S18_S1B_S1C_jS1D_jS1E_S1E_jjS1G_bEUljE0_EEESZ_S10_S11_S18_S1C_S1E_T6_T7_T9_mT8_S1G_bDpT10_ENKUlT_T0_E_clISt17integral_constantIbLb1EES1U_EEDaS1P_S1Q_EUlS1P_E_NS1_11comp_targetILNS1_3genE3ELNS1_11target_archE908ELNS1_3gpuE7ELNS1_3repE0EEENS1_30default_config_static_selectorELNS0_4arch9wavefront6targetE1EEEvS12_
    .private_segment_fixed_size: 0
    .sgpr_count:     4
    .sgpr_spill_count: 0
    .symbol:         _ZN7rocprim17ROCPRIM_400000_NS6detail17trampoline_kernelINS0_13select_configILj256ELj13ELNS0_17block_load_methodE3ELS4_3ELS4_3ELNS0_20block_scan_algorithmE0ELj4294967295EEENS1_25partition_config_selectorILNS1_17partition_subalgoE4EjNS0_10empty_typeEbEEZZNS1_14partition_implILS8_4ELb0ES6_15HIP_vector_typeIjLj2EENS0_17counting_iteratorIjlEEPS9_SG_NS0_5tupleIJPjSI_NS0_16reverse_iteratorISI_EEEEENSH_IJSG_SG_SG_EEES9_SI_JZNS1_25segmented_radix_sort_implINS0_14default_configELb0EPKfPfPKlPlN2at6native12_GLOBAL__N_18offset_tEEE10hipError_tPvRmT1_PNSt15iterator_traitsIS12_E10value_typeET2_T3_PNS13_IS18_E10value_typeET4_jRbjT5_S1E_jjP12ihipStream_tbEUljE_ZNSN_ISO_Lb0ESQ_SR_ST_SU_SY_EESZ_S10_S11_S12_S16_S17_S18_S1B_S1C_jS1D_jS1E_S1E_jjS1G_bEUljE0_EEESZ_S10_S11_S18_S1C_S1E_T6_T7_T9_mT8_S1G_bDpT10_ENKUlT_T0_E_clISt17integral_constantIbLb1EES1U_EEDaS1P_S1Q_EUlS1P_E_NS1_11comp_targetILNS1_3genE3ELNS1_11target_archE908ELNS1_3gpuE7ELNS1_3repE0EEENS1_30default_config_static_selectorELNS0_4arch9wavefront6targetE1EEEvS12_.kd
    .uniform_work_group_size: 1
    .uses_dynamic_stack: false
    .vgpr_count:     0
    .vgpr_spill_count: 0
    .wavefront_size: 64
  - .agpr_count:     0
    .args:
      - .offset:         0
        .size:           184
        .value_kind:     by_value
    .group_segment_fixed_size: 0
    .kernarg_segment_align: 8
    .kernarg_segment_size: 184
    .language:       OpenCL C
    .language_version:
      - 2
      - 0
    .max_flat_workgroup_size: 256
    .name:           _ZN7rocprim17ROCPRIM_400000_NS6detail17trampoline_kernelINS0_13select_configILj256ELj13ELNS0_17block_load_methodE3ELS4_3ELS4_3ELNS0_20block_scan_algorithmE0ELj4294967295EEENS1_25partition_config_selectorILNS1_17partition_subalgoE4EjNS0_10empty_typeEbEEZZNS1_14partition_implILS8_4ELb0ES6_15HIP_vector_typeIjLj2EENS0_17counting_iteratorIjlEEPS9_SG_NS0_5tupleIJPjSI_NS0_16reverse_iteratorISI_EEEEENSH_IJSG_SG_SG_EEES9_SI_JZNS1_25segmented_radix_sort_implINS0_14default_configELb0EPKfPfPKlPlN2at6native12_GLOBAL__N_18offset_tEEE10hipError_tPvRmT1_PNSt15iterator_traitsIS12_E10value_typeET2_T3_PNS13_IS18_E10value_typeET4_jRbjT5_S1E_jjP12ihipStream_tbEUljE_ZNSN_ISO_Lb0ESQ_SR_ST_SU_SY_EESZ_S10_S11_S12_S16_S17_S18_S1B_S1C_jS1D_jS1E_S1E_jjS1G_bEUljE0_EEESZ_S10_S11_S18_S1C_S1E_T6_T7_T9_mT8_S1G_bDpT10_ENKUlT_T0_E_clISt17integral_constantIbLb1EES1U_EEDaS1P_S1Q_EUlS1P_E_NS1_11comp_targetILNS1_3genE2ELNS1_11target_archE906ELNS1_3gpuE6ELNS1_3repE0EEENS1_30default_config_static_selectorELNS0_4arch9wavefront6targetE1EEEvS12_
    .private_segment_fixed_size: 0
    .sgpr_count:     4
    .sgpr_spill_count: 0
    .symbol:         _ZN7rocprim17ROCPRIM_400000_NS6detail17trampoline_kernelINS0_13select_configILj256ELj13ELNS0_17block_load_methodE3ELS4_3ELS4_3ELNS0_20block_scan_algorithmE0ELj4294967295EEENS1_25partition_config_selectorILNS1_17partition_subalgoE4EjNS0_10empty_typeEbEEZZNS1_14partition_implILS8_4ELb0ES6_15HIP_vector_typeIjLj2EENS0_17counting_iteratorIjlEEPS9_SG_NS0_5tupleIJPjSI_NS0_16reverse_iteratorISI_EEEEENSH_IJSG_SG_SG_EEES9_SI_JZNS1_25segmented_radix_sort_implINS0_14default_configELb0EPKfPfPKlPlN2at6native12_GLOBAL__N_18offset_tEEE10hipError_tPvRmT1_PNSt15iterator_traitsIS12_E10value_typeET2_T3_PNS13_IS18_E10value_typeET4_jRbjT5_S1E_jjP12ihipStream_tbEUljE_ZNSN_ISO_Lb0ESQ_SR_ST_SU_SY_EESZ_S10_S11_S12_S16_S17_S18_S1B_S1C_jS1D_jS1E_S1E_jjS1G_bEUljE0_EEESZ_S10_S11_S18_S1C_S1E_T6_T7_T9_mT8_S1G_bDpT10_ENKUlT_T0_E_clISt17integral_constantIbLb1EES1U_EEDaS1P_S1Q_EUlS1P_E_NS1_11comp_targetILNS1_3genE2ELNS1_11target_archE906ELNS1_3gpuE6ELNS1_3repE0EEENS1_30default_config_static_selectorELNS0_4arch9wavefront6targetE1EEEvS12_.kd
    .uniform_work_group_size: 1
    .uses_dynamic_stack: false
    .vgpr_count:     0
    .vgpr_spill_count: 0
    .wavefront_size: 64
  - .agpr_count:     0
    .args:
      - .offset:         0
        .size:           184
        .value_kind:     by_value
    .group_segment_fixed_size: 0
    .kernarg_segment_align: 8
    .kernarg_segment_size: 184
    .language:       OpenCL C
    .language_version:
      - 2
      - 0
    .max_flat_workgroup_size: 256
    .name:           _ZN7rocprim17ROCPRIM_400000_NS6detail17trampoline_kernelINS0_13select_configILj256ELj13ELNS0_17block_load_methodE3ELS4_3ELS4_3ELNS0_20block_scan_algorithmE0ELj4294967295EEENS1_25partition_config_selectorILNS1_17partition_subalgoE4EjNS0_10empty_typeEbEEZZNS1_14partition_implILS8_4ELb0ES6_15HIP_vector_typeIjLj2EENS0_17counting_iteratorIjlEEPS9_SG_NS0_5tupleIJPjSI_NS0_16reverse_iteratorISI_EEEEENSH_IJSG_SG_SG_EEES9_SI_JZNS1_25segmented_radix_sort_implINS0_14default_configELb0EPKfPfPKlPlN2at6native12_GLOBAL__N_18offset_tEEE10hipError_tPvRmT1_PNSt15iterator_traitsIS12_E10value_typeET2_T3_PNS13_IS18_E10value_typeET4_jRbjT5_S1E_jjP12ihipStream_tbEUljE_ZNSN_ISO_Lb0ESQ_SR_ST_SU_SY_EESZ_S10_S11_S12_S16_S17_S18_S1B_S1C_jS1D_jS1E_S1E_jjS1G_bEUljE0_EEESZ_S10_S11_S18_S1C_S1E_T6_T7_T9_mT8_S1G_bDpT10_ENKUlT_T0_E_clISt17integral_constantIbLb1EES1U_EEDaS1P_S1Q_EUlS1P_E_NS1_11comp_targetILNS1_3genE10ELNS1_11target_archE1200ELNS1_3gpuE4ELNS1_3repE0EEENS1_30default_config_static_selectorELNS0_4arch9wavefront6targetE1EEEvS12_
    .private_segment_fixed_size: 0
    .sgpr_count:     4
    .sgpr_spill_count: 0
    .symbol:         _ZN7rocprim17ROCPRIM_400000_NS6detail17trampoline_kernelINS0_13select_configILj256ELj13ELNS0_17block_load_methodE3ELS4_3ELS4_3ELNS0_20block_scan_algorithmE0ELj4294967295EEENS1_25partition_config_selectorILNS1_17partition_subalgoE4EjNS0_10empty_typeEbEEZZNS1_14partition_implILS8_4ELb0ES6_15HIP_vector_typeIjLj2EENS0_17counting_iteratorIjlEEPS9_SG_NS0_5tupleIJPjSI_NS0_16reverse_iteratorISI_EEEEENSH_IJSG_SG_SG_EEES9_SI_JZNS1_25segmented_radix_sort_implINS0_14default_configELb0EPKfPfPKlPlN2at6native12_GLOBAL__N_18offset_tEEE10hipError_tPvRmT1_PNSt15iterator_traitsIS12_E10value_typeET2_T3_PNS13_IS18_E10value_typeET4_jRbjT5_S1E_jjP12ihipStream_tbEUljE_ZNSN_ISO_Lb0ESQ_SR_ST_SU_SY_EESZ_S10_S11_S12_S16_S17_S18_S1B_S1C_jS1D_jS1E_S1E_jjS1G_bEUljE0_EEESZ_S10_S11_S18_S1C_S1E_T6_T7_T9_mT8_S1G_bDpT10_ENKUlT_T0_E_clISt17integral_constantIbLb1EES1U_EEDaS1P_S1Q_EUlS1P_E_NS1_11comp_targetILNS1_3genE10ELNS1_11target_archE1200ELNS1_3gpuE4ELNS1_3repE0EEENS1_30default_config_static_selectorELNS0_4arch9wavefront6targetE1EEEvS12_.kd
    .uniform_work_group_size: 1
    .uses_dynamic_stack: false
    .vgpr_count:     0
    .vgpr_spill_count: 0
    .wavefront_size: 64
  - .agpr_count:     0
    .args:
      - .offset:         0
        .size:           184
        .value_kind:     by_value
    .group_segment_fixed_size: 0
    .kernarg_segment_align: 8
    .kernarg_segment_size: 184
    .language:       OpenCL C
    .language_version:
      - 2
      - 0
    .max_flat_workgroup_size: 256
    .name:           _ZN7rocprim17ROCPRIM_400000_NS6detail17trampoline_kernelINS0_13select_configILj256ELj13ELNS0_17block_load_methodE3ELS4_3ELS4_3ELNS0_20block_scan_algorithmE0ELj4294967295EEENS1_25partition_config_selectorILNS1_17partition_subalgoE4EjNS0_10empty_typeEbEEZZNS1_14partition_implILS8_4ELb0ES6_15HIP_vector_typeIjLj2EENS0_17counting_iteratorIjlEEPS9_SG_NS0_5tupleIJPjSI_NS0_16reverse_iteratorISI_EEEEENSH_IJSG_SG_SG_EEES9_SI_JZNS1_25segmented_radix_sort_implINS0_14default_configELb0EPKfPfPKlPlN2at6native12_GLOBAL__N_18offset_tEEE10hipError_tPvRmT1_PNSt15iterator_traitsIS12_E10value_typeET2_T3_PNS13_IS18_E10value_typeET4_jRbjT5_S1E_jjP12ihipStream_tbEUljE_ZNSN_ISO_Lb0ESQ_SR_ST_SU_SY_EESZ_S10_S11_S12_S16_S17_S18_S1B_S1C_jS1D_jS1E_S1E_jjS1G_bEUljE0_EEESZ_S10_S11_S18_S1C_S1E_T6_T7_T9_mT8_S1G_bDpT10_ENKUlT_T0_E_clISt17integral_constantIbLb1EES1U_EEDaS1P_S1Q_EUlS1P_E_NS1_11comp_targetILNS1_3genE9ELNS1_11target_archE1100ELNS1_3gpuE3ELNS1_3repE0EEENS1_30default_config_static_selectorELNS0_4arch9wavefront6targetE1EEEvS12_
    .private_segment_fixed_size: 0
    .sgpr_count:     4
    .sgpr_spill_count: 0
    .symbol:         _ZN7rocprim17ROCPRIM_400000_NS6detail17trampoline_kernelINS0_13select_configILj256ELj13ELNS0_17block_load_methodE3ELS4_3ELS4_3ELNS0_20block_scan_algorithmE0ELj4294967295EEENS1_25partition_config_selectorILNS1_17partition_subalgoE4EjNS0_10empty_typeEbEEZZNS1_14partition_implILS8_4ELb0ES6_15HIP_vector_typeIjLj2EENS0_17counting_iteratorIjlEEPS9_SG_NS0_5tupleIJPjSI_NS0_16reverse_iteratorISI_EEEEENSH_IJSG_SG_SG_EEES9_SI_JZNS1_25segmented_radix_sort_implINS0_14default_configELb0EPKfPfPKlPlN2at6native12_GLOBAL__N_18offset_tEEE10hipError_tPvRmT1_PNSt15iterator_traitsIS12_E10value_typeET2_T3_PNS13_IS18_E10value_typeET4_jRbjT5_S1E_jjP12ihipStream_tbEUljE_ZNSN_ISO_Lb0ESQ_SR_ST_SU_SY_EESZ_S10_S11_S12_S16_S17_S18_S1B_S1C_jS1D_jS1E_S1E_jjS1G_bEUljE0_EEESZ_S10_S11_S18_S1C_S1E_T6_T7_T9_mT8_S1G_bDpT10_ENKUlT_T0_E_clISt17integral_constantIbLb1EES1U_EEDaS1P_S1Q_EUlS1P_E_NS1_11comp_targetILNS1_3genE9ELNS1_11target_archE1100ELNS1_3gpuE3ELNS1_3repE0EEENS1_30default_config_static_selectorELNS0_4arch9wavefront6targetE1EEEvS12_.kd
    .uniform_work_group_size: 1
    .uses_dynamic_stack: false
    .vgpr_count:     0
    .vgpr_spill_count: 0
    .wavefront_size: 64
  - .agpr_count:     0
    .args:
      - .offset:         0
        .size:           184
        .value_kind:     by_value
    .group_segment_fixed_size: 0
    .kernarg_segment_align: 8
    .kernarg_segment_size: 184
    .language:       OpenCL C
    .language_version:
      - 2
      - 0
    .max_flat_workgroup_size: 256
    .name:           _ZN7rocprim17ROCPRIM_400000_NS6detail17trampoline_kernelINS0_13select_configILj256ELj13ELNS0_17block_load_methodE3ELS4_3ELS4_3ELNS0_20block_scan_algorithmE0ELj4294967295EEENS1_25partition_config_selectorILNS1_17partition_subalgoE4EjNS0_10empty_typeEbEEZZNS1_14partition_implILS8_4ELb0ES6_15HIP_vector_typeIjLj2EENS0_17counting_iteratorIjlEEPS9_SG_NS0_5tupleIJPjSI_NS0_16reverse_iteratorISI_EEEEENSH_IJSG_SG_SG_EEES9_SI_JZNS1_25segmented_radix_sort_implINS0_14default_configELb0EPKfPfPKlPlN2at6native12_GLOBAL__N_18offset_tEEE10hipError_tPvRmT1_PNSt15iterator_traitsIS12_E10value_typeET2_T3_PNS13_IS18_E10value_typeET4_jRbjT5_S1E_jjP12ihipStream_tbEUljE_ZNSN_ISO_Lb0ESQ_SR_ST_SU_SY_EESZ_S10_S11_S12_S16_S17_S18_S1B_S1C_jS1D_jS1E_S1E_jjS1G_bEUljE0_EEESZ_S10_S11_S18_S1C_S1E_T6_T7_T9_mT8_S1G_bDpT10_ENKUlT_T0_E_clISt17integral_constantIbLb1EES1U_EEDaS1P_S1Q_EUlS1P_E_NS1_11comp_targetILNS1_3genE8ELNS1_11target_archE1030ELNS1_3gpuE2ELNS1_3repE0EEENS1_30default_config_static_selectorELNS0_4arch9wavefront6targetE1EEEvS12_
    .private_segment_fixed_size: 0
    .sgpr_count:     4
    .sgpr_spill_count: 0
    .symbol:         _ZN7rocprim17ROCPRIM_400000_NS6detail17trampoline_kernelINS0_13select_configILj256ELj13ELNS0_17block_load_methodE3ELS4_3ELS4_3ELNS0_20block_scan_algorithmE0ELj4294967295EEENS1_25partition_config_selectorILNS1_17partition_subalgoE4EjNS0_10empty_typeEbEEZZNS1_14partition_implILS8_4ELb0ES6_15HIP_vector_typeIjLj2EENS0_17counting_iteratorIjlEEPS9_SG_NS0_5tupleIJPjSI_NS0_16reverse_iteratorISI_EEEEENSH_IJSG_SG_SG_EEES9_SI_JZNS1_25segmented_radix_sort_implINS0_14default_configELb0EPKfPfPKlPlN2at6native12_GLOBAL__N_18offset_tEEE10hipError_tPvRmT1_PNSt15iterator_traitsIS12_E10value_typeET2_T3_PNS13_IS18_E10value_typeET4_jRbjT5_S1E_jjP12ihipStream_tbEUljE_ZNSN_ISO_Lb0ESQ_SR_ST_SU_SY_EESZ_S10_S11_S12_S16_S17_S18_S1B_S1C_jS1D_jS1E_S1E_jjS1G_bEUljE0_EEESZ_S10_S11_S18_S1C_S1E_T6_T7_T9_mT8_S1G_bDpT10_ENKUlT_T0_E_clISt17integral_constantIbLb1EES1U_EEDaS1P_S1Q_EUlS1P_E_NS1_11comp_targetILNS1_3genE8ELNS1_11target_archE1030ELNS1_3gpuE2ELNS1_3repE0EEENS1_30default_config_static_selectorELNS0_4arch9wavefront6targetE1EEEvS12_.kd
    .uniform_work_group_size: 1
    .uses_dynamic_stack: false
    .vgpr_count:     0
    .vgpr_spill_count: 0
    .wavefront_size: 64
  - .agpr_count:     0
    .args:
      - .offset:         0
        .size:           176
        .value_kind:     by_value
    .group_segment_fixed_size: 0
    .kernarg_segment_align: 8
    .kernarg_segment_size: 176
    .language:       OpenCL C
    .language_version:
      - 2
      - 0
    .max_flat_workgroup_size: 256
    .name:           _ZN7rocprim17ROCPRIM_400000_NS6detail17trampoline_kernelINS0_13select_configILj256ELj13ELNS0_17block_load_methodE3ELS4_3ELS4_3ELNS0_20block_scan_algorithmE0ELj4294967295EEENS1_25partition_config_selectorILNS1_17partition_subalgoE4EjNS0_10empty_typeEbEEZZNS1_14partition_implILS8_4ELb0ES6_15HIP_vector_typeIjLj2EENS0_17counting_iteratorIjlEEPS9_SG_NS0_5tupleIJPjSI_NS0_16reverse_iteratorISI_EEEEENSH_IJSG_SG_SG_EEES9_SI_JZNS1_25segmented_radix_sort_implINS0_14default_configELb0EPKfPfPKlPlN2at6native12_GLOBAL__N_18offset_tEEE10hipError_tPvRmT1_PNSt15iterator_traitsIS12_E10value_typeET2_T3_PNS13_IS18_E10value_typeET4_jRbjT5_S1E_jjP12ihipStream_tbEUljE_ZNSN_ISO_Lb0ESQ_SR_ST_SU_SY_EESZ_S10_S11_S12_S16_S17_S18_S1B_S1C_jS1D_jS1E_S1E_jjS1G_bEUljE0_EEESZ_S10_S11_S18_S1C_S1E_T6_T7_T9_mT8_S1G_bDpT10_ENKUlT_T0_E_clISt17integral_constantIbLb1EES1T_IbLb0EEEEDaS1P_S1Q_EUlS1P_E_NS1_11comp_targetILNS1_3genE0ELNS1_11target_archE4294967295ELNS1_3gpuE0ELNS1_3repE0EEENS1_30default_config_static_selectorELNS0_4arch9wavefront6targetE1EEEvS12_
    .private_segment_fixed_size: 0
    .sgpr_count:     4
    .sgpr_spill_count: 0
    .symbol:         _ZN7rocprim17ROCPRIM_400000_NS6detail17trampoline_kernelINS0_13select_configILj256ELj13ELNS0_17block_load_methodE3ELS4_3ELS4_3ELNS0_20block_scan_algorithmE0ELj4294967295EEENS1_25partition_config_selectorILNS1_17partition_subalgoE4EjNS0_10empty_typeEbEEZZNS1_14partition_implILS8_4ELb0ES6_15HIP_vector_typeIjLj2EENS0_17counting_iteratorIjlEEPS9_SG_NS0_5tupleIJPjSI_NS0_16reverse_iteratorISI_EEEEENSH_IJSG_SG_SG_EEES9_SI_JZNS1_25segmented_radix_sort_implINS0_14default_configELb0EPKfPfPKlPlN2at6native12_GLOBAL__N_18offset_tEEE10hipError_tPvRmT1_PNSt15iterator_traitsIS12_E10value_typeET2_T3_PNS13_IS18_E10value_typeET4_jRbjT5_S1E_jjP12ihipStream_tbEUljE_ZNSN_ISO_Lb0ESQ_SR_ST_SU_SY_EESZ_S10_S11_S12_S16_S17_S18_S1B_S1C_jS1D_jS1E_S1E_jjS1G_bEUljE0_EEESZ_S10_S11_S18_S1C_S1E_T6_T7_T9_mT8_S1G_bDpT10_ENKUlT_T0_E_clISt17integral_constantIbLb1EES1T_IbLb0EEEEDaS1P_S1Q_EUlS1P_E_NS1_11comp_targetILNS1_3genE0ELNS1_11target_archE4294967295ELNS1_3gpuE0ELNS1_3repE0EEENS1_30default_config_static_selectorELNS0_4arch9wavefront6targetE1EEEvS12_.kd
    .uniform_work_group_size: 1
    .uses_dynamic_stack: false
    .vgpr_count:     0
    .vgpr_spill_count: 0
    .wavefront_size: 64
  - .agpr_count:     0
    .args:
      - .offset:         0
        .size:           176
        .value_kind:     by_value
    .group_segment_fixed_size: 0
    .kernarg_segment_align: 8
    .kernarg_segment_size: 176
    .language:       OpenCL C
    .language_version:
      - 2
      - 0
    .max_flat_workgroup_size: 256
    .name:           _ZN7rocprim17ROCPRIM_400000_NS6detail17trampoline_kernelINS0_13select_configILj256ELj13ELNS0_17block_load_methodE3ELS4_3ELS4_3ELNS0_20block_scan_algorithmE0ELj4294967295EEENS1_25partition_config_selectorILNS1_17partition_subalgoE4EjNS0_10empty_typeEbEEZZNS1_14partition_implILS8_4ELb0ES6_15HIP_vector_typeIjLj2EENS0_17counting_iteratorIjlEEPS9_SG_NS0_5tupleIJPjSI_NS0_16reverse_iteratorISI_EEEEENSH_IJSG_SG_SG_EEES9_SI_JZNS1_25segmented_radix_sort_implINS0_14default_configELb0EPKfPfPKlPlN2at6native12_GLOBAL__N_18offset_tEEE10hipError_tPvRmT1_PNSt15iterator_traitsIS12_E10value_typeET2_T3_PNS13_IS18_E10value_typeET4_jRbjT5_S1E_jjP12ihipStream_tbEUljE_ZNSN_ISO_Lb0ESQ_SR_ST_SU_SY_EESZ_S10_S11_S12_S16_S17_S18_S1B_S1C_jS1D_jS1E_S1E_jjS1G_bEUljE0_EEESZ_S10_S11_S18_S1C_S1E_T6_T7_T9_mT8_S1G_bDpT10_ENKUlT_T0_E_clISt17integral_constantIbLb1EES1T_IbLb0EEEEDaS1P_S1Q_EUlS1P_E_NS1_11comp_targetILNS1_3genE5ELNS1_11target_archE942ELNS1_3gpuE9ELNS1_3repE0EEENS1_30default_config_static_selectorELNS0_4arch9wavefront6targetE1EEEvS12_
    .private_segment_fixed_size: 0
    .sgpr_count:     4
    .sgpr_spill_count: 0
    .symbol:         _ZN7rocprim17ROCPRIM_400000_NS6detail17trampoline_kernelINS0_13select_configILj256ELj13ELNS0_17block_load_methodE3ELS4_3ELS4_3ELNS0_20block_scan_algorithmE0ELj4294967295EEENS1_25partition_config_selectorILNS1_17partition_subalgoE4EjNS0_10empty_typeEbEEZZNS1_14partition_implILS8_4ELb0ES6_15HIP_vector_typeIjLj2EENS0_17counting_iteratorIjlEEPS9_SG_NS0_5tupleIJPjSI_NS0_16reverse_iteratorISI_EEEEENSH_IJSG_SG_SG_EEES9_SI_JZNS1_25segmented_radix_sort_implINS0_14default_configELb0EPKfPfPKlPlN2at6native12_GLOBAL__N_18offset_tEEE10hipError_tPvRmT1_PNSt15iterator_traitsIS12_E10value_typeET2_T3_PNS13_IS18_E10value_typeET4_jRbjT5_S1E_jjP12ihipStream_tbEUljE_ZNSN_ISO_Lb0ESQ_SR_ST_SU_SY_EESZ_S10_S11_S12_S16_S17_S18_S1B_S1C_jS1D_jS1E_S1E_jjS1G_bEUljE0_EEESZ_S10_S11_S18_S1C_S1E_T6_T7_T9_mT8_S1G_bDpT10_ENKUlT_T0_E_clISt17integral_constantIbLb1EES1T_IbLb0EEEEDaS1P_S1Q_EUlS1P_E_NS1_11comp_targetILNS1_3genE5ELNS1_11target_archE942ELNS1_3gpuE9ELNS1_3repE0EEENS1_30default_config_static_selectorELNS0_4arch9wavefront6targetE1EEEvS12_.kd
    .uniform_work_group_size: 1
    .uses_dynamic_stack: false
    .vgpr_count:     0
    .vgpr_spill_count: 0
    .wavefront_size: 64
  - .agpr_count:     0
    .args:
      - .offset:         0
        .size:           176
        .value_kind:     by_value
    .group_segment_fixed_size: 13340
    .kernarg_segment_align: 8
    .kernarg_segment_size: 176
    .language:       OpenCL C
    .language_version:
      - 2
      - 0
    .max_flat_workgroup_size: 256
    .name:           _ZN7rocprim17ROCPRIM_400000_NS6detail17trampoline_kernelINS0_13select_configILj256ELj13ELNS0_17block_load_methodE3ELS4_3ELS4_3ELNS0_20block_scan_algorithmE0ELj4294967295EEENS1_25partition_config_selectorILNS1_17partition_subalgoE4EjNS0_10empty_typeEbEEZZNS1_14partition_implILS8_4ELb0ES6_15HIP_vector_typeIjLj2EENS0_17counting_iteratorIjlEEPS9_SG_NS0_5tupleIJPjSI_NS0_16reverse_iteratorISI_EEEEENSH_IJSG_SG_SG_EEES9_SI_JZNS1_25segmented_radix_sort_implINS0_14default_configELb0EPKfPfPKlPlN2at6native12_GLOBAL__N_18offset_tEEE10hipError_tPvRmT1_PNSt15iterator_traitsIS12_E10value_typeET2_T3_PNS13_IS18_E10value_typeET4_jRbjT5_S1E_jjP12ihipStream_tbEUljE_ZNSN_ISO_Lb0ESQ_SR_ST_SU_SY_EESZ_S10_S11_S12_S16_S17_S18_S1B_S1C_jS1D_jS1E_S1E_jjS1G_bEUljE0_EEESZ_S10_S11_S18_S1C_S1E_T6_T7_T9_mT8_S1G_bDpT10_ENKUlT_T0_E_clISt17integral_constantIbLb1EES1T_IbLb0EEEEDaS1P_S1Q_EUlS1P_E_NS1_11comp_targetILNS1_3genE4ELNS1_11target_archE910ELNS1_3gpuE8ELNS1_3repE0EEENS1_30default_config_static_selectorELNS0_4arch9wavefront6targetE1EEEvS12_
    .private_segment_fixed_size: 0
    .sgpr_count:     94
    .sgpr_spill_count: 0
    .symbol:         _ZN7rocprim17ROCPRIM_400000_NS6detail17trampoline_kernelINS0_13select_configILj256ELj13ELNS0_17block_load_methodE3ELS4_3ELS4_3ELNS0_20block_scan_algorithmE0ELj4294967295EEENS1_25partition_config_selectorILNS1_17partition_subalgoE4EjNS0_10empty_typeEbEEZZNS1_14partition_implILS8_4ELb0ES6_15HIP_vector_typeIjLj2EENS0_17counting_iteratorIjlEEPS9_SG_NS0_5tupleIJPjSI_NS0_16reverse_iteratorISI_EEEEENSH_IJSG_SG_SG_EEES9_SI_JZNS1_25segmented_radix_sort_implINS0_14default_configELb0EPKfPfPKlPlN2at6native12_GLOBAL__N_18offset_tEEE10hipError_tPvRmT1_PNSt15iterator_traitsIS12_E10value_typeET2_T3_PNS13_IS18_E10value_typeET4_jRbjT5_S1E_jjP12ihipStream_tbEUljE_ZNSN_ISO_Lb0ESQ_SR_ST_SU_SY_EESZ_S10_S11_S12_S16_S17_S18_S1B_S1C_jS1D_jS1E_S1E_jjS1G_bEUljE0_EEESZ_S10_S11_S18_S1C_S1E_T6_T7_T9_mT8_S1G_bDpT10_ENKUlT_T0_E_clISt17integral_constantIbLb1EES1T_IbLb0EEEEDaS1P_S1Q_EUlS1P_E_NS1_11comp_targetILNS1_3genE4ELNS1_11target_archE910ELNS1_3gpuE8ELNS1_3repE0EEENS1_30default_config_static_selectorELNS0_4arch9wavefront6targetE1EEEvS12_.kd
    .uniform_work_group_size: 1
    .uses_dynamic_stack: false
    .vgpr_count:     102
    .vgpr_spill_count: 0
    .wavefront_size: 64
  - .agpr_count:     0
    .args:
      - .offset:         0
        .size:           176
        .value_kind:     by_value
    .group_segment_fixed_size: 0
    .kernarg_segment_align: 8
    .kernarg_segment_size: 176
    .language:       OpenCL C
    .language_version:
      - 2
      - 0
    .max_flat_workgroup_size: 256
    .name:           _ZN7rocprim17ROCPRIM_400000_NS6detail17trampoline_kernelINS0_13select_configILj256ELj13ELNS0_17block_load_methodE3ELS4_3ELS4_3ELNS0_20block_scan_algorithmE0ELj4294967295EEENS1_25partition_config_selectorILNS1_17partition_subalgoE4EjNS0_10empty_typeEbEEZZNS1_14partition_implILS8_4ELb0ES6_15HIP_vector_typeIjLj2EENS0_17counting_iteratorIjlEEPS9_SG_NS0_5tupleIJPjSI_NS0_16reverse_iteratorISI_EEEEENSH_IJSG_SG_SG_EEES9_SI_JZNS1_25segmented_radix_sort_implINS0_14default_configELb0EPKfPfPKlPlN2at6native12_GLOBAL__N_18offset_tEEE10hipError_tPvRmT1_PNSt15iterator_traitsIS12_E10value_typeET2_T3_PNS13_IS18_E10value_typeET4_jRbjT5_S1E_jjP12ihipStream_tbEUljE_ZNSN_ISO_Lb0ESQ_SR_ST_SU_SY_EESZ_S10_S11_S12_S16_S17_S18_S1B_S1C_jS1D_jS1E_S1E_jjS1G_bEUljE0_EEESZ_S10_S11_S18_S1C_S1E_T6_T7_T9_mT8_S1G_bDpT10_ENKUlT_T0_E_clISt17integral_constantIbLb1EES1T_IbLb0EEEEDaS1P_S1Q_EUlS1P_E_NS1_11comp_targetILNS1_3genE3ELNS1_11target_archE908ELNS1_3gpuE7ELNS1_3repE0EEENS1_30default_config_static_selectorELNS0_4arch9wavefront6targetE1EEEvS12_
    .private_segment_fixed_size: 0
    .sgpr_count:     4
    .sgpr_spill_count: 0
    .symbol:         _ZN7rocprim17ROCPRIM_400000_NS6detail17trampoline_kernelINS0_13select_configILj256ELj13ELNS0_17block_load_methodE3ELS4_3ELS4_3ELNS0_20block_scan_algorithmE0ELj4294967295EEENS1_25partition_config_selectorILNS1_17partition_subalgoE4EjNS0_10empty_typeEbEEZZNS1_14partition_implILS8_4ELb0ES6_15HIP_vector_typeIjLj2EENS0_17counting_iteratorIjlEEPS9_SG_NS0_5tupleIJPjSI_NS0_16reverse_iteratorISI_EEEEENSH_IJSG_SG_SG_EEES9_SI_JZNS1_25segmented_radix_sort_implINS0_14default_configELb0EPKfPfPKlPlN2at6native12_GLOBAL__N_18offset_tEEE10hipError_tPvRmT1_PNSt15iterator_traitsIS12_E10value_typeET2_T3_PNS13_IS18_E10value_typeET4_jRbjT5_S1E_jjP12ihipStream_tbEUljE_ZNSN_ISO_Lb0ESQ_SR_ST_SU_SY_EESZ_S10_S11_S12_S16_S17_S18_S1B_S1C_jS1D_jS1E_S1E_jjS1G_bEUljE0_EEESZ_S10_S11_S18_S1C_S1E_T6_T7_T9_mT8_S1G_bDpT10_ENKUlT_T0_E_clISt17integral_constantIbLb1EES1T_IbLb0EEEEDaS1P_S1Q_EUlS1P_E_NS1_11comp_targetILNS1_3genE3ELNS1_11target_archE908ELNS1_3gpuE7ELNS1_3repE0EEENS1_30default_config_static_selectorELNS0_4arch9wavefront6targetE1EEEvS12_.kd
    .uniform_work_group_size: 1
    .uses_dynamic_stack: false
    .vgpr_count:     0
    .vgpr_spill_count: 0
    .wavefront_size: 64
  - .agpr_count:     0
    .args:
      - .offset:         0
        .size:           176
        .value_kind:     by_value
    .group_segment_fixed_size: 0
    .kernarg_segment_align: 8
    .kernarg_segment_size: 176
    .language:       OpenCL C
    .language_version:
      - 2
      - 0
    .max_flat_workgroup_size: 256
    .name:           _ZN7rocprim17ROCPRIM_400000_NS6detail17trampoline_kernelINS0_13select_configILj256ELj13ELNS0_17block_load_methodE3ELS4_3ELS4_3ELNS0_20block_scan_algorithmE0ELj4294967295EEENS1_25partition_config_selectorILNS1_17partition_subalgoE4EjNS0_10empty_typeEbEEZZNS1_14partition_implILS8_4ELb0ES6_15HIP_vector_typeIjLj2EENS0_17counting_iteratorIjlEEPS9_SG_NS0_5tupleIJPjSI_NS0_16reverse_iteratorISI_EEEEENSH_IJSG_SG_SG_EEES9_SI_JZNS1_25segmented_radix_sort_implINS0_14default_configELb0EPKfPfPKlPlN2at6native12_GLOBAL__N_18offset_tEEE10hipError_tPvRmT1_PNSt15iterator_traitsIS12_E10value_typeET2_T3_PNS13_IS18_E10value_typeET4_jRbjT5_S1E_jjP12ihipStream_tbEUljE_ZNSN_ISO_Lb0ESQ_SR_ST_SU_SY_EESZ_S10_S11_S12_S16_S17_S18_S1B_S1C_jS1D_jS1E_S1E_jjS1G_bEUljE0_EEESZ_S10_S11_S18_S1C_S1E_T6_T7_T9_mT8_S1G_bDpT10_ENKUlT_T0_E_clISt17integral_constantIbLb1EES1T_IbLb0EEEEDaS1P_S1Q_EUlS1P_E_NS1_11comp_targetILNS1_3genE2ELNS1_11target_archE906ELNS1_3gpuE6ELNS1_3repE0EEENS1_30default_config_static_selectorELNS0_4arch9wavefront6targetE1EEEvS12_
    .private_segment_fixed_size: 0
    .sgpr_count:     4
    .sgpr_spill_count: 0
    .symbol:         _ZN7rocprim17ROCPRIM_400000_NS6detail17trampoline_kernelINS0_13select_configILj256ELj13ELNS0_17block_load_methodE3ELS4_3ELS4_3ELNS0_20block_scan_algorithmE0ELj4294967295EEENS1_25partition_config_selectorILNS1_17partition_subalgoE4EjNS0_10empty_typeEbEEZZNS1_14partition_implILS8_4ELb0ES6_15HIP_vector_typeIjLj2EENS0_17counting_iteratorIjlEEPS9_SG_NS0_5tupleIJPjSI_NS0_16reverse_iteratorISI_EEEEENSH_IJSG_SG_SG_EEES9_SI_JZNS1_25segmented_radix_sort_implINS0_14default_configELb0EPKfPfPKlPlN2at6native12_GLOBAL__N_18offset_tEEE10hipError_tPvRmT1_PNSt15iterator_traitsIS12_E10value_typeET2_T3_PNS13_IS18_E10value_typeET4_jRbjT5_S1E_jjP12ihipStream_tbEUljE_ZNSN_ISO_Lb0ESQ_SR_ST_SU_SY_EESZ_S10_S11_S12_S16_S17_S18_S1B_S1C_jS1D_jS1E_S1E_jjS1G_bEUljE0_EEESZ_S10_S11_S18_S1C_S1E_T6_T7_T9_mT8_S1G_bDpT10_ENKUlT_T0_E_clISt17integral_constantIbLb1EES1T_IbLb0EEEEDaS1P_S1Q_EUlS1P_E_NS1_11comp_targetILNS1_3genE2ELNS1_11target_archE906ELNS1_3gpuE6ELNS1_3repE0EEENS1_30default_config_static_selectorELNS0_4arch9wavefront6targetE1EEEvS12_.kd
    .uniform_work_group_size: 1
    .uses_dynamic_stack: false
    .vgpr_count:     0
    .vgpr_spill_count: 0
    .wavefront_size: 64
  - .agpr_count:     0
    .args:
      - .offset:         0
        .size:           176
        .value_kind:     by_value
    .group_segment_fixed_size: 0
    .kernarg_segment_align: 8
    .kernarg_segment_size: 176
    .language:       OpenCL C
    .language_version:
      - 2
      - 0
    .max_flat_workgroup_size: 256
    .name:           _ZN7rocprim17ROCPRIM_400000_NS6detail17trampoline_kernelINS0_13select_configILj256ELj13ELNS0_17block_load_methodE3ELS4_3ELS4_3ELNS0_20block_scan_algorithmE0ELj4294967295EEENS1_25partition_config_selectorILNS1_17partition_subalgoE4EjNS0_10empty_typeEbEEZZNS1_14partition_implILS8_4ELb0ES6_15HIP_vector_typeIjLj2EENS0_17counting_iteratorIjlEEPS9_SG_NS0_5tupleIJPjSI_NS0_16reverse_iteratorISI_EEEEENSH_IJSG_SG_SG_EEES9_SI_JZNS1_25segmented_radix_sort_implINS0_14default_configELb0EPKfPfPKlPlN2at6native12_GLOBAL__N_18offset_tEEE10hipError_tPvRmT1_PNSt15iterator_traitsIS12_E10value_typeET2_T3_PNS13_IS18_E10value_typeET4_jRbjT5_S1E_jjP12ihipStream_tbEUljE_ZNSN_ISO_Lb0ESQ_SR_ST_SU_SY_EESZ_S10_S11_S12_S16_S17_S18_S1B_S1C_jS1D_jS1E_S1E_jjS1G_bEUljE0_EEESZ_S10_S11_S18_S1C_S1E_T6_T7_T9_mT8_S1G_bDpT10_ENKUlT_T0_E_clISt17integral_constantIbLb1EES1T_IbLb0EEEEDaS1P_S1Q_EUlS1P_E_NS1_11comp_targetILNS1_3genE10ELNS1_11target_archE1200ELNS1_3gpuE4ELNS1_3repE0EEENS1_30default_config_static_selectorELNS0_4arch9wavefront6targetE1EEEvS12_
    .private_segment_fixed_size: 0
    .sgpr_count:     4
    .sgpr_spill_count: 0
    .symbol:         _ZN7rocprim17ROCPRIM_400000_NS6detail17trampoline_kernelINS0_13select_configILj256ELj13ELNS0_17block_load_methodE3ELS4_3ELS4_3ELNS0_20block_scan_algorithmE0ELj4294967295EEENS1_25partition_config_selectorILNS1_17partition_subalgoE4EjNS0_10empty_typeEbEEZZNS1_14partition_implILS8_4ELb0ES6_15HIP_vector_typeIjLj2EENS0_17counting_iteratorIjlEEPS9_SG_NS0_5tupleIJPjSI_NS0_16reverse_iteratorISI_EEEEENSH_IJSG_SG_SG_EEES9_SI_JZNS1_25segmented_radix_sort_implINS0_14default_configELb0EPKfPfPKlPlN2at6native12_GLOBAL__N_18offset_tEEE10hipError_tPvRmT1_PNSt15iterator_traitsIS12_E10value_typeET2_T3_PNS13_IS18_E10value_typeET4_jRbjT5_S1E_jjP12ihipStream_tbEUljE_ZNSN_ISO_Lb0ESQ_SR_ST_SU_SY_EESZ_S10_S11_S12_S16_S17_S18_S1B_S1C_jS1D_jS1E_S1E_jjS1G_bEUljE0_EEESZ_S10_S11_S18_S1C_S1E_T6_T7_T9_mT8_S1G_bDpT10_ENKUlT_T0_E_clISt17integral_constantIbLb1EES1T_IbLb0EEEEDaS1P_S1Q_EUlS1P_E_NS1_11comp_targetILNS1_3genE10ELNS1_11target_archE1200ELNS1_3gpuE4ELNS1_3repE0EEENS1_30default_config_static_selectorELNS0_4arch9wavefront6targetE1EEEvS12_.kd
    .uniform_work_group_size: 1
    .uses_dynamic_stack: false
    .vgpr_count:     0
    .vgpr_spill_count: 0
    .wavefront_size: 64
  - .agpr_count:     0
    .args:
      - .offset:         0
        .size:           176
        .value_kind:     by_value
    .group_segment_fixed_size: 0
    .kernarg_segment_align: 8
    .kernarg_segment_size: 176
    .language:       OpenCL C
    .language_version:
      - 2
      - 0
    .max_flat_workgroup_size: 256
    .name:           _ZN7rocprim17ROCPRIM_400000_NS6detail17trampoline_kernelINS0_13select_configILj256ELj13ELNS0_17block_load_methodE3ELS4_3ELS4_3ELNS0_20block_scan_algorithmE0ELj4294967295EEENS1_25partition_config_selectorILNS1_17partition_subalgoE4EjNS0_10empty_typeEbEEZZNS1_14partition_implILS8_4ELb0ES6_15HIP_vector_typeIjLj2EENS0_17counting_iteratorIjlEEPS9_SG_NS0_5tupleIJPjSI_NS0_16reverse_iteratorISI_EEEEENSH_IJSG_SG_SG_EEES9_SI_JZNS1_25segmented_radix_sort_implINS0_14default_configELb0EPKfPfPKlPlN2at6native12_GLOBAL__N_18offset_tEEE10hipError_tPvRmT1_PNSt15iterator_traitsIS12_E10value_typeET2_T3_PNS13_IS18_E10value_typeET4_jRbjT5_S1E_jjP12ihipStream_tbEUljE_ZNSN_ISO_Lb0ESQ_SR_ST_SU_SY_EESZ_S10_S11_S12_S16_S17_S18_S1B_S1C_jS1D_jS1E_S1E_jjS1G_bEUljE0_EEESZ_S10_S11_S18_S1C_S1E_T6_T7_T9_mT8_S1G_bDpT10_ENKUlT_T0_E_clISt17integral_constantIbLb1EES1T_IbLb0EEEEDaS1P_S1Q_EUlS1P_E_NS1_11comp_targetILNS1_3genE9ELNS1_11target_archE1100ELNS1_3gpuE3ELNS1_3repE0EEENS1_30default_config_static_selectorELNS0_4arch9wavefront6targetE1EEEvS12_
    .private_segment_fixed_size: 0
    .sgpr_count:     4
    .sgpr_spill_count: 0
    .symbol:         _ZN7rocprim17ROCPRIM_400000_NS6detail17trampoline_kernelINS0_13select_configILj256ELj13ELNS0_17block_load_methodE3ELS4_3ELS4_3ELNS0_20block_scan_algorithmE0ELj4294967295EEENS1_25partition_config_selectorILNS1_17partition_subalgoE4EjNS0_10empty_typeEbEEZZNS1_14partition_implILS8_4ELb0ES6_15HIP_vector_typeIjLj2EENS0_17counting_iteratorIjlEEPS9_SG_NS0_5tupleIJPjSI_NS0_16reverse_iteratorISI_EEEEENSH_IJSG_SG_SG_EEES9_SI_JZNS1_25segmented_radix_sort_implINS0_14default_configELb0EPKfPfPKlPlN2at6native12_GLOBAL__N_18offset_tEEE10hipError_tPvRmT1_PNSt15iterator_traitsIS12_E10value_typeET2_T3_PNS13_IS18_E10value_typeET4_jRbjT5_S1E_jjP12ihipStream_tbEUljE_ZNSN_ISO_Lb0ESQ_SR_ST_SU_SY_EESZ_S10_S11_S12_S16_S17_S18_S1B_S1C_jS1D_jS1E_S1E_jjS1G_bEUljE0_EEESZ_S10_S11_S18_S1C_S1E_T6_T7_T9_mT8_S1G_bDpT10_ENKUlT_T0_E_clISt17integral_constantIbLb1EES1T_IbLb0EEEEDaS1P_S1Q_EUlS1P_E_NS1_11comp_targetILNS1_3genE9ELNS1_11target_archE1100ELNS1_3gpuE3ELNS1_3repE0EEENS1_30default_config_static_selectorELNS0_4arch9wavefront6targetE1EEEvS12_.kd
    .uniform_work_group_size: 1
    .uses_dynamic_stack: false
    .vgpr_count:     0
    .vgpr_spill_count: 0
    .wavefront_size: 64
  - .agpr_count:     0
    .args:
      - .offset:         0
        .size:           176
        .value_kind:     by_value
    .group_segment_fixed_size: 0
    .kernarg_segment_align: 8
    .kernarg_segment_size: 176
    .language:       OpenCL C
    .language_version:
      - 2
      - 0
    .max_flat_workgroup_size: 256
    .name:           _ZN7rocprim17ROCPRIM_400000_NS6detail17trampoline_kernelINS0_13select_configILj256ELj13ELNS0_17block_load_methodE3ELS4_3ELS4_3ELNS0_20block_scan_algorithmE0ELj4294967295EEENS1_25partition_config_selectorILNS1_17partition_subalgoE4EjNS0_10empty_typeEbEEZZNS1_14partition_implILS8_4ELb0ES6_15HIP_vector_typeIjLj2EENS0_17counting_iteratorIjlEEPS9_SG_NS0_5tupleIJPjSI_NS0_16reverse_iteratorISI_EEEEENSH_IJSG_SG_SG_EEES9_SI_JZNS1_25segmented_radix_sort_implINS0_14default_configELb0EPKfPfPKlPlN2at6native12_GLOBAL__N_18offset_tEEE10hipError_tPvRmT1_PNSt15iterator_traitsIS12_E10value_typeET2_T3_PNS13_IS18_E10value_typeET4_jRbjT5_S1E_jjP12ihipStream_tbEUljE_ZNSN_ISO_Lb0ESQ_SR_ST_SU_SY_EESZ_S10_S11_S12_S16_S17_S18_S1B_S1C_jS1D_jS1E_S1E_jjS1G_bEUljE0_EEESZ_S10_S11_S18_S1C_S1E_T6_T7_T9_mT8_S1G_bDpT10_ENKUlT_T0_E_clISt17integral_constantIbLb1EES1T_IbLb0EEEEDaS1P_S1Q_EUlS1P_E_NS1_11comp_targetILNS1_3genE8ELNS1_11target_archE1030ELNS1_3gpuE2ELNS1_3repE0EEENS1_30default_config_static_selectorELNS0_4arch9wavefront6targetE1EEEvS12_
    .private_segment_fixed_size: 0
    .sgpr_count:     4
    .sgpr_spill_count: 0
    .symbol:         _ZN7rocprim17ROCPRIM_400000_NS6detail17trampoline_kernelINS0_13select_configILj256ELj13ELNS0_17block_load_methodE3ELS4_3ELS4_3ELNS0_20block_scan_algorithmE0ELj4294967295EEENS1_25partition_config_selectorILNS1_17partition_subalgoE4EjNS0_10empty_typeEbEEZZNS1_14partition_implILS8_4ELb0ES6_15HIP_vector_typeIjLj2EENS0_17counting_iteratorIjlEEPS9_SG_NS0_5tupleIJPjSI_NS0_16reverse_iteratorISI_EEEEENSH_IJSG_SG_SG_EEES9_SI_JZNS1_25segmented_radix_sort_implINS0_14default_configELb0EPKfPfPKlPlN2at6native12_GLOBAL__N_18offset_tEEE10hipError_tPvRmT1_PNSt15iterator_traitsIS12_E10value_typeET2_T3_PNS13_IS18_E10value_typeET4_jRbjT5_S1E_jjP12ihipStream_tbEUljE_ZNSN_ISO_Lb0ESQ_SR_ST_SU_SY_EESZ_S10_S11_S12_S16_S17_S18_S1B_S1C_jS1D_jS1E_S1E_jjS1G_bEUljE0_EEESZ_S10_S11_S18_S1C_S1E_T6_T7_T9_mT8_S1G_bDpT10_ENKUlT_T0_E_clISt17integral_constantIbLb1EES1T_IbLb0EEEEDaS1P_S1Q_EUlS1P_E_NS1_11comp_targetILNS1_3genE8ELNS1_11target_archE1030ELNS1_3gpuE2ELNS1_3repE0EEENS1_30default_config_static_selectorELNS0_4arch9wavefront6targetE1EEEvS12_.kd
    .uniform_work_group_size: 1
    .uses_dynamic_stack: false
    .vgpr_count:     0
    .vgpr_spill_count: 0
    .wavefront_size: 64
  - .agpr_count:     0
    .args:
      - .offset:         0
        .size:           184
        .value_kind:     by_value
    .group_segment_fixed_size: 0
    .kernarg_segment_align: 8
    .kernarg_segment_size: 184
    .language:       OpenCL C
    .language_version:
      - 2
      - 0
    .max_flat_workgroup_size: 256
    .name:           _ZN7rocprim17ROCPRIM_400000_NS6detail17trampoline_kernelINS0_13select_configILj256ELj13ELNS0_17block_load_methodE3ELS4_3ELS4_3ELNS0_20block_scan_algorithmE0ELj4294967295EEENS1_25partition_config_selectorILNS1_17partition_subalgoE4EjNS0_10empty_typeEbEEZZNS1_14partition_implILS8_4ELb0ES6_15HIP_vector_typeIjLj2EENS0_17counting_iteratorIjlEEPS9_SG_NS0_5tupleIJPjSI_NS0_16reverse_iteratorISI_EEEEENSH_IJSG_SG_SG_EEES9_SI_JZNS1_25segmented_radix_sort_implINS0_14default_configELb0EPKfPfPKlPlN2at6native12_GLOBAL__N_18offset_tEEE10hipError_tPvRmT1_PNSt15iterator_traitsIS12_E10value_typeET2_T3_PNS13_IS18_E10value_typeET4_jRbjT5_S1E_jjP12ihipStream_tbEUljE_ZNSN_ISO_Lb0ESQ_SR_ST_SU_SY_EESZ_S10_S11_S12_S16_S17_S18_S1B_S1C_jS1D_jS1E_S1E_jjS1G_bEUljE0_EEESZ_S10_S11_S18_S1C_S1E_T6_T7_T9_mT8_S1G_bDpT10_ENKUlT_T0_E_clISt17integral_constantIbLb0EES1T_IbLb1EEEEDaS1P_S1Q_EUlS1P_E_NS1_11comp_targetILNS1_3genE0ELNS1_11target_archE4294967295ELNS1_3gpuE0ELNS1_3repE0EEENS1_30default_config_static_selectorELNS0_4arch9wavefront6targetE1EEEvS12_
    .private_segment_fixed_size: 0
    .sgpr_count:     4
    .sgpr_spill_count: 0
    .symbol:         _ZN7rocprim17ROCPRIM_400000_NS6detail17trampoline_kernelINS0_13select_configILj256ELj13ELNS0_17block_load_methodE3ELS4_3ELS4_3ELNS0_20block_scan_algorithmE0ELj4294967295EEENS1_25partition_config_selectorILNS1_17partition_subalgoE4EjNS0_10empty_typeEbEEZZNS1_14partition_implILS8_4ELb0ES6_15HIP_vector_typeIjLj2EENS0_17counting_iteratorIjlEEPS9_SG_NS0_5tupleIJPjSI_NS0_16reverse_iteratorISI_EEEEENSH_IJSG_SG_SG_EEES9_SI_JZNS1_25segmented_radix_sort_implINS0_14default_configELb0EPKfPfPKlPlN2at6native12_GLOBAL__N_18offset_tEEE10hipError_tPvRmT1_PNSt15iterator_traitsIS12_E10value_typeET2_T3_PNS13_IS18_E10value_typeET4_jRbjT5_S1E_jjP12ihipStream_tbEUljE_ZNSN_ISO_Lb0ESQ_SR_ST_SU_SY_EESZ_S10_S11_S12_S16_S17_S18_S1B_S1C_jS1D_jS1E_S1E_jjS1G_bEUljE0_EEESZ_S10_S11_S18_S1C_S1E_T6_T7_T9_mT8_S1G_bDpT10_ENKUlT_T0_E_clISt17integral_constantIbLb0EES1T_IbLb1EEEEDaS1P_S1Q_EUlS1P_E_NS1_11comp_targetILNS1_3genE0ELNS1_11target_archE4294967295ELNS1_3gpuE0ELNS1_3repE0EEENS1_30default_config_static_selectorELNS0_4arch9wavefront6targetE1EEEvS12_.kd
    .uniform_work_group_size: 1
    .uses_dynamic_stack: false
    .vgpr_count:     0
    .vgpr_spill_count: 0
    .wavefront_size: 64
  - .agpr_count:     0
    .args:
      - .offset:         0
        .size:           184
        .value_kind:     by_value
    .group_segment_fixed_size: 0
    .kernarg_segment_align: 8
    .kernarg_segment_size: 184
    .language:       OpenCL C
    .language_version:
      - 2
      - 0
    .max_flat_workgroup_size: 256
    .name:           _ZN7rocprim17ROCPRIM_400000_NS6detail17trampoline_kernelINS0_13select_configILj256ELj13ELNS0_17block_load_methodE3ELS4_3ELS4_3ELNS0_20block_scan_algorithmE0ELj4294967295EEENS1_25partition_config_selectorILNS1_17partition_subalgoE4EjNS0_10empty_typeEbEEZZNS1_14partition_implILS8_4ELb0ES6_15HIP_vector_typeIjLj2EENS0_17counting_iteratorIjlEEPS9_SG_NS0_5tupleIJPjSI_NS0_16reverse_iteratorISI_EEEEENSH_IJSG_SG_SG_EEES9_SI_JZNS1_25segmented_radix_sort_implINS0_14default_configELb0EPKfPfPKlPlN2at6native12_GLOBAL__N_18offset_tEEE10hipError_tPvRmT1_PNSt15iterator_traitsIS12_E10value_typeET2_T3_PNS13_IS18_E10value_typeET4_jRbjT5_S1E_jjP12ihipStream_tbEUljE_ZNSN_ISO_Lb0ESQ_SR_ST_SU_SY_EESZ_S10_S11_S12_S16_S17_S18_S1B_S1C_jS1D_jS1E_S1E_jjS1G_bEUljE0_EEESZ_S10_S11_S18_S1C_S1E_T6_T7_T9_mT8_S1G_bDpT10_ENKUlT_T0_E_clISt17integral_constantIbLb0EES1T_IbLb1EEEEDaS1P_S1Q_EUlS1P_E_NS1_11comp_targetILNS1_3genE5ELNS1_11target_archE942ELNS1_3gpuE9ELNS1_3repE0EEENS1_30default_config_static_selectorELNS0_4arch9wavefront6targetE1EEEvS12_
    .private_segment_fixed_size: 0
    .sgpr_count:     4
    .sgpr_spill_count: 0
    .symbol:         _ZN7rocprim17ROCPRIM_400000_NS6detail17trampoline_kernelINS0_13select_configILj256ELj13ELNS0_17block_load_methodE3ELS4_3ELS4_3ELNS0_20block_scan_algorithmE0ELj4294967295EEENS1_25partition_config_selectorILNS1_17partition_subalgoE4EjNS0_10empty_typeEbEEZZNS1_14partition_implILS8_4ELb0ES6_15HIP_vector_typeIjLj2EENS0_17counting_iteratorIjlEEPS9_SG_NS0_5tupleIJPjSI_NS0_16reverse_iteratorISI_EEEEENSH_IJSG_SG_SG_EEES9_SI_JZNS1_25segmented_radix_sort_implINS0_14default_configELb0EPKfPfPKlPlN2at6native12_GLOBAL__N_18offset_tEEE10hipError_tPvRmT1_PNSt15iterator_traitsIS12_E10value_typeET2_T3_PNS13_IS18_E10value_typeET4_jRbjT5_S1E_jjP12ihipStream_tbEUljE_ZNSN_ISO_Lb0ESQ_SR_ST_SU_SY_EESZ_S10_S11_S12_S16_S17_S18_S1B_S1C_jS1D_jS1E_S1E_jjS1G_bEUljE0_EEESZ_S10_S11_S18_S1C_S1E_T6_T7_T9_mT8_S1G_bDpT10_ENKUlT_T0_E_clISt17integral_constantIbLb0EES1T_IbLb1EEEEDaS1P_S1Q_EUlS1P_E_NS1_11comp_targetILNS1_3genE5ELNS1_11target_archE942ELNS1_3gpuE9ELNS1_3repE0EEENS1_30default_config_static_selectorELNS0_4arch9wavefront6targetE1EEEvS12_.kd
    .uniform_work_group_size: 1
    .uses_dynamic_stack: false
    .vgpr_count:     0
    .vgpr_spill_count: 0
    .wavefront_size: 64
  - .agpr_count:     0
    .args:
      - .offset:         0
        .size:           184
        .value_kind:     by_value
    .group_segment_fixed_size: 13340
    .kernarg_segment_align: 8
    .kernarg_segment_size: 184
    .language:       OpenCL C
    .language_version:
      - 2
      - 0
    .max_flat_workgroup_size: 256
    .name:           _ZN7rocprim17ROCPRIM_400000_NS6detail17trampoline_kernelINS0_13select_configILj256ELj13ELNS0_17block_load_methodE3ELS4_3ELS4_3ELNS0_20block_scan_algorithmE0ELj4294967295EEENS1_25partition_config_selectorILNS1_17partition_subalgoE4EjNS0_10empty_typeEbEEZZNS1_14partition_implILS8_4ELb0ES6_15HIP_vector_typeIjLj2EENS0_17counting_iteratorIjlEEPS9_SG_NS0_5tupleIJPjSI_NS0_16reverse_iteratorISI_EEEEENSH_IJSG_SG_SG_EEES9_SI_JZNS1_25segmented_radix_sort_implINS0_14default_configELb0EPKfPfPKlPlN2at6native12_GLOBAL__N_18offset_tEEE10hipError_tPvRmT1_PNSt15iterator_traitsIS12_E10value_typeET2_T3_PNS13_IS18_E10value_typeET4_jRbjT5_S1E_jjP12ihipStream_tbEUljE_ZNSN_ISO_Lb0ESQ_SR_ST_SU_SY_EESZ_S10_S11_S12_S16_S17_S18_S1B_S1C_jS1D_jS1E_S1E_jjS1G_bEUljE0_EEESZ_S10_S11_S18_S1C_S1E_T6_T7_T9_mT8_S1G_bDpT10_ENKUlT_T0_E_clISt17integral_constantIbLb0EES1T_IbLb1EEEEDaS1P_S1Q_EUlS1P_E_NS1_11comp_targetILNS1_3genE4ELNS1_11target_archE910ELNS1_3gpuE8ELNS1_3repE0EEENS1_30default_config_static_selectorELNS0_4arch9wavefront6targetE1EEEvS12_
    .private_segment_fixed_size: 0
    .sgpr_count:     91
    .sgpr_spill_count: 0
    .symbol:         _ZN7rocprim17ROCPRIM_400000_NS6detail17trampoline_kernelINS0_13select_configILj256ELj13ELNS0_17block_load_methodE3ELS4_3ELS4_3ELNS0_20block_scan_algorithmE0ELj4294967295EEENS1_25partition_config_selectorILNS1_17partition_subalgoE4EjNS0_10empty_typeEbEEZZNS1_14partition_implILS8_4ELb0ES6_15HIP_vector_typeIjLj2EENS0_17counting_iteratorIjlEEPS9_SG_NS0_5tupleIJPjSI_NS0_16reverse_iteratorISI_EEEEENSH_IJSG_SG_SG_EEES9_SI_JZNS1_25segmented_radix_sort_implINS0_14default_configELb0EPKfPfPKlPlN2at6native12_GLOBAL__N_18offset_tEEE10hipError_tPvRmT1_PNSt15iterator_traitsIS12_E10value_typeET2_T3_PNS13_IS18_E10value_typeET4_jRbjT5_S1E_jjP12ihipStream_tbEUljE_ZNSN_ISO_Lb0ESQ_SR_ST_SU_SY_EESZ_S10_S11_S12_S16_S17_S18_S1B_S1C_jS1D_jS1E_S1E_jjS1G_bEUljE0_EEESZ_S10_S11_S18_S1C_S1E_T6_T7_T9_mT8_S1G_bDpT10_ENKUlT_T0_E_clISt17integral_constantIbLb0EES1T_IbLb1EEEEDaS1P_S1Q_EUlS1P_E_NS1_11comp_targetILNS1_3genE4ELNS1_11target_archE910ELNS1_3gpuE8ELNS1_3repE0EEENS1_30default_config_static_selectorELNS0_4arch9wavefront6targetE1EEEvS12_.kd
    .uniform_work_group_size: 1
    .uses_dynamic_stack: false
    .vgpr_count:     107
    .vgpr_spill_count: 0
    .wavefront_size: 64
  - .agpr_count:     0
    .args:
      - .offset:         0
        .size:           184
        .value_kind:     by_value
    .group_segment_fixed_size: 0
    .kernarg_segment_align: 8
    .kernarg_segment_size: 184
    .language:       OpenCL C
    .language_version:
      - 2
      - 0
    .max_flat_workgroup_size: 256
    .name:           _ZN7rocprim17ROCPRIM_400000_NS6detail17trampoline_kernelINS0_13select_configILj256ELj13ELNS0_17block_load_methodE3ELS4_3ELS4_3ELNS0_20block_scan_algorithmE0ELj4294967295EEENS1_25partition_config_selectorILNS1_17partition_subalgoE4EjNS0_10empty_typeEbEEZZNS1_14partition_implILS8_4ELb0ES6_15HIP_vector_typeIjLj2EENS0_17counting_iteratorIjlEEPS9_SG_NS0_5tupleIJPjSI_NS0_16reverse_iteratorISI_EEEEENSH_IJSG_SG_SG_EEES9_SI_JZNS1_25segmented_radix_sort_implINS0_14default_configELb0EPKfPfPKlPlN2at6native12_GLOBAL__N_18offset_tEEE10hipError_tPvRmT1_PNSt15iterator_traitsIS12_E10value_typeET2_T3_PNS13_IS18_E10value_typeET4_jRbjT5_S1E_jjP12ihipStream_tbEUljE_ZNSN_ISO_Lb0ESQ_SR_ST_SU_SY_EESZ_S10_S11_S12_S16_S17_S18_S1B_S1C_jS1D_jS1E_S1E_jjS1G_bEUljE0_EEESZ_S10_S11_S18_S1C_S1E_T6_T7_T9_mT8_S1G_bDpT10_ENKUlT_T0_E_clISt17integral_constantIbLb0EES1T_IbLb1EEEEDaS1P_S1Q_EUlS1P_E_NS1_11comp_targetILNS1_3genE3ELNS1_11target_archE908ELNS1_3gpuE7ELNS1_3repE0EEENS1_30default_config_static_selectorELNS0_4arch9wavefront6targetE1EEEvS12_
    .private_segment_fixed_size: 0
    .sgpr_count:     4
    .sgpr_spill_count: 0
    .symbol:         _ZN7rocprim17ROCPRIM_400000_NS6detail17trampoline_kernelINS0_13select_configILj256ELj13ELNS0_17block_load_methodE3ELS4_3ELS4_3ELNS0_20block_scan_algorithmE0ELj4294967295EEENS1_25partition_config_selectorILNS1_17partition_subalgoE4EjNS0_10empty_typeEbEEZZNS1_14partition_implILS8_4ELb0ES6_15HIP_vector_typeIjLj2EENS0_17counting_iteratorIjlEEPS9_SG_NS0_5tupleIJPjSI_NS0_16reverse_iteratorISI_EEEEENSH_IJSG_SG_SG_EEES9_SI_JZNS1_25segmented_radix_sort_implINS0_14default_configELb0EPKfPfPKlPlN2at6native12_GLOBAL__N_18offset_tEEE10hipError_tPvRmT1_PNSt15iterator_traitsIS12_E10value_typeET2_T3_PNS13_IS18_E10value_typeET4_jRbjT5_S1E_jjP12ihipStream_tbEUljE_ZNSN_ISO_Lb0ESQ_SR_ST_SU_SY_EESZ_S10_S11_S12_S16_S17_S18_S1B_S1C_jS1D_jS1E_S1E_jjS1G_bEUljE0_EEESZ_S10_S11_S18_S1C_S1E_T6_T7_T9_mT8_S1G_bDpT10_ENKUlT_T0_E_clISt17integral_constantIbLb0EES1T_IbLb1EEEEDaS1P_S1Q_EUlS1P_E_NS1_11comp_targetILNS1_3genE3ELNS1_11target_archE908ELNS1_3gpuE7ELNS1_3repE0EEENS1_30default_config_static_selectorELNS0_4arch9wavefront6targetE1EEEvS12_.kd
    .uniform_work_group_size: 1
    .uses_dynamic_stack: false
    .vgpr_count:     0
    .vgpr_spill_count: 0
    .wavefront_size: 64
  - .agpr_count:     0
    .args:
      - .offset:         0
        .size:           184
        .value_kind:     by_value
    .group_segment_fixed_size: 0
    .kernarg_segment_align: 8
    .kernarg_segment_size: 184
    .language:       OpenCL C
    .language_version:
      - 2
      - 0
    .max_flat_workgroup_size: 256
    .name:           _ZN7rocprim17ROCPRIM_400000_NS6detail17trampoline_kernelINS0_13select_configILj256ELj13ELNS0_17block_load_methodE3ELS4_3ELS4_3ELNS0_20block_scan_algorithmE0ELj4294967295EEENS1_25partition_config_selectorILNS1_17partition_subalgoE4EjNS0_10empty_typeEbEEZZNS1_14partition_implILS8_4ELb0ES6_15HIP_vector_typeIjLj2EENS0_17counting_iteratorIjlEEPS9_SG_NS0_5tupleIJPjSI_NS0_16reverse_iteratorISI_EEEEENSH_IJSG_SG_SG_EEES9_SI_JZNS1_25segmented_radix_sort_implINS0_14default_configELb0EPKfPfPKlPlN2at6native12_GLOBAL__N_18offset_tEEE10hipError_tPvRmT1_PNSt15iterator_traitsIS12_E10value_typeET2_T3_PNS13_IS18_E10value_typeET4_jRbjT5_S1E_jjP12ihipStream_tbEUljE_ZNSN_ISO_Lb0ESQ_SR_ST_SU_SY_EESZ_S10_S11_S12_S16_S17_S18_S1B_S1C_jS1D_jS1E_S1E_jjS1G_bEUljE0_EEESZ_S10_S11_S18_S1C_S1E_T6_T7_T9_mT8_S1G_bDpT10_ENKUlT_T0_E_clISt17integral_constantIbLb0EES1T_IbLb1EEEEDaS1P_S1Q_EUlS1P_E_NS1_11comp_targetILNS1_3genE2ELNS1_11target_archE906ELNS1_3gpuE6ELNS1_3repE0EEENS1_30default_config_static_selectorELNS0_4arch9wavefront6targetE1EEEvS12_
    .private_segment_fixed_size: 0
    .sgpr_count:     4
    .sgpr_spill_count: 0
    .symbol:         _ZN7rocprim17ROCPRIM_400000_NS6detail17trampoline_kernelINS0_13select_configILj256ELj13ELNS0_17block_load_methodE3ELS4_3ELS4_3ELNS0_20block_scan_algorithmE0ELj4294967295EEENS1_25partition_config_selectorILNS1_17partition_subalgoE4EjNS0_10empty_typeEbEEZZNS1_14partition_implILS8_4ELb0ES6_15HIP_vector_typeIjLj2EENS0_17counting_iteratorIjlEEPS9_SG_NS0_5tupleIJPjSI_NS0_16reverse_iteratorISI_EEEEENSH_IJSG_SG_SG_EEES9_SI_JZNS1_25segmented_radix_sort_implINS0_14default_configELb0EPKfPfPKlPlN2at6native12_GLOBAL__N_18offset_tEEE10hipError_tPvRmT1_PNSt15iterator_traitsIS12_E10value_typeET2_T3_PNS13_IS18_E10value_typeET4_jRbjT5_S1E_jjP12ihipStream_tbEUljE_ZNSN_ISO_Lb0ESQ_SR_ST_SU_SY_EESZ_S10_S11_S12_S16_S17_S18_S1B_S1C_jS1D_jS1E_S1E_jjS1G_bEUljE0_EEESZ_S10_S11_S18_S1C_S1E_T6_T7_T9_mT8_S1G_bDpT10_ENKUlT_T0_E_clISt17integral_constantIbLb0EES1T_IbLb1EEEEDaS1P_S1Q_EUlS1P_E_NS1_11comp_targetILNS1_3genE2ELNS1_11target_archE906ELNS1_3gpuE6ELNS1_3repE0EEENS1_30default_config_static_selectorELNS0_4arch9wavefront6targetE1EEEvS12_.kd
    .uniform_work_group_size: 1
    .uses_dynamic_stack: false
    .vgpr_count:     0
    .vgpr_spill_count: 0
    .wavefront_size: 64
  - .agpr_count:     0
    .args:
      - .offset:         0
        .size:           184
        .value_kind:     by_value
    .group_segment_fixed_size: 0
    .kernarg_segment_align: 8
    .kernarg_segment_size: 184
    .language:       OpenCL C
    .language_version:
      - 2
      - 0
    .max_flat_workgroup_size: 256
    .name:           _ZN7rocprim17ROCPRIM_400000_NS6detail17trampoline_kernelINS0_13select_configILj256ELj13ELNS0_17block_load_methodE3ELS4_3ELS4_3ELNS0_20block_scan_algorithmE0ELj4294967295EEENS1_25partition_config_selectorILNS1_17partition_subalgoE4EjNS0_10empty_typeEbEEZZNS1_14partition_implILS8_4ELb0ES6_15HIP_vector_typeIjLj2EENS0_17counting_iteratorIjlEEPS9_SG_NS0_5tupleIJPjSI_NS0_16reverse_iteratorISI_EEEEENSH_IJSG_SG_SG_EEES9_SI_JZNS1_25segmented_radix_sort_implINS0_14default_configELb0EPKfPfPKlPlN2at6native12_GLOBAL__N_18offset_tEEE10hipError_tPvRmT1_PNSt15iterator_traitsIS12_E10value_typeET2_T3_PNS13_IS18_E10value_typeET4_jRbjT5_S1E_jjP12ihipStream_tbEUljE_ZNSN_ISO_Lb0ESQ_SR_ST_SU_SY_EESZ_S10_S11_S12_S16_S17_S18_S1B_S1C_jS1D_jS1E_S1E_jjS1G_bEUljE0_EEESZ_S10_S11_S18_S1C_S1E_T6_T7_T9_mT8_S1G_bDpT10_ENKUlT_T0_E_clISt17integral_constantIbLb0EES1T_IbLb1EEEEDaS1P_S1Q_EUlS1P_E_NS1_11comp_targetILNS1_3genE10ELNS1_11target_archE1200ELNS1_3gpuE4ELNS1_3repE0EEENS1_30default_config_static_selectorELNS0_4arch9wavefront6targetE1EEEvS12_
    .private_segment_fixed_size: 0
    .sgpr_count:     4
    .sgpr_spill_count: 0
    .symbol:         _ZN7rocprim17ROCPRIM_400000_NS6detail17trampoline_kernelINS0_13select_configILj256ELj13ELNS0_17block_load_methodE3ELS4_3ELS4_3ELNS0_20block_scan_algorithmE0ELj4294967295EEENS1_25partition_config_selectorILNS1_17partition_subalgoE4EjNS0_10empty_typeEbEEZZNS1_14partition_implILS8_4ELb0ES6_15HIP_vector_typeIjLj2EENS0_17counting_iteratorIjlEEPS9_SG_NS0_5tupleIJPjSI_NS0_16reverse_iteratorISI_EEEEENSH_IJSG_SG_SG_EEES9_SI_JZNS1_25segmented_radix_sort_implINS0_14default_configELb0EPKfPfPKlPlN2at6native12_GLOBAL__N_18offset_tEEE10hipError_tPvRmT1_PNSt15iterator_traitsIS12_E10value_typeET2_T3_PNS13_IS18_E10value_typeET4_jRbjT5_S1E_jjP12ihipStream_tbEUljE_ZNSN_ISO_Lb0ESQ_SR_ST_SU_SY_EESZ_S10_S11_S12_S16_S17_S18_S1B_S1C_jS1D_jS1E_S1E_jjS1G_bEUljE0_EEESZ_S10_S11_S18_S1C_S1E_T6_T7_T9_mT8_S1G_bDpT10_ENKUlT_T0_E_clISt17integral_constantIbLb0EES1T_IbLb1EEEEDaS1P_S1Q_EUlS1P_E_NS1_11comp_targetILNS1_3genE10ELNS1_11target_archE1200ELNS1_3gpuE4ELNS1_3repE0EEENS1_30default_config_static_selectorELNS0_4arch9wavefront6targetE1EEEvS12_.kd
    .uniform_work_group_size: 1
    .uses_dynamic_stack: false
    .vgpr_count:     0
    .vgpr_spill_count: 0
    .wavefront_size: 64
  - .agpr_count:     0
    .args:
      - .offset:         0
        .size:           184
        .value_kind:     by_value
    .group_segment_fixed_size: 0
    .kernarg_segment_align: 8
    .kernarg_segment_size: 184
    .language:       OpenCL C
    .language_version:
      - 2
      - 0
    .max_flat_workgroup_size: 256
    .name:           _ZN7rocprim17ROCPRIM_400000_NS6detail17trampoline_kernelINS0_13select_configILj256ELj13ELNS0_17block_load_methodE3ELS4_3ELS4_3ELNS0_20block_scan_algorithmE0ELj4294967295EEENS1_25partition_config_selectorILNS1_17partition_subalgoE4EjNS0_10empty_typeEbEEZZNS1_14partition_implILS8_4ELb0ES6_15HIP_vector_typeIjLj2EENS0_17counting_iteratorIjlEEPS9_SG_NS0_5tupleIJPjSI_NS0_16reverse_iteratorISI_EEEEENSH_IJSG_SG_SG_EEES9_SI_JZNS1_25segmented_radix_sort_implINS0_14default_configELb0EPKfPfPKlPlN2at6native12_GLOBAL__N_18offset_tEEE10hipError_tPvRmT1_PNSt15iterator_traitsIS12_E10value_typeET2_T3_PNS13_IS18_E10value_typeET4_jRbjT5_S1E_jjP12ihipStream_tbEUljE_ZNSN_ISO_Lb0ESQ_SR_ST_SU_SY_EESZ_S10_S11_S12_S16_S17_S18_S1B_S1C_jS1D_jS1E_S1E_jjS1G_bEUljE0_EEESZ_S10_S11_S18_S1C_S1E_T6_T7_T9_mT8_S1G_bDpT10_ENKUlT_T0_E_clISt17integral_constantIbLb0EES1T_IbLb1EEEEDaS1P_S1Q_EUlS1P_E_NS1_11comp_targetILNS1_3genE9ELNS1_11target_archE1100ELNS1_3gpuE3ELNS1_3repE0EEENS1_30default_config_static_selectorELNS0_4arch9wavefront6targetE1EEEvS12_
    .private_segment_fixed_size: 0
    .sgpr_count:     4
    .sgpr_spill_count: 0
    .symbol:         _ZN7rocprim17ROCPRIM_400000_NS6detail17trampoline_kernelINS0_13select_configILj256ELj13ELNS0_17block_load_methodE3ELS4_3ELS4_3ELNS0_20block_scan_algorithmE0ELj4294967295EEENS1_25partition_config_selectorILNS1_17partition_subalgoE4EjNS0_10empty_typeEbEEZZNS1_14partition_implILS8_4ELb0ES6_15HIP_vector_typeIjLj2EENS0_17counting_iteratorIjlEEPS9_SG_NS0_5tupleIJPjSI_NS0_16reverse_iteratorISI_EEEEENSH_IJSG_SG_SG_EEES9_SI_JZNS1_25segmented_radix_sort_implINS0_14default_configELb0EPKfPfPKlPlN2at6native12_GLOBAL__N_18offset_tEEE10hipError_tPvRmT1_PNSt15iterator_traitsIS12_E10value_typeET2_T3_PNS13_IS18_E10value_typeET4_jRbjT5_S1E_jjP12ihipStream_tbEUljE_ZNSN_ISO_Lb0ESQ_SR_ST_SU_SY_EESZ_S10_S11_S12_S16_S17_S18_S1B_S1C_jS1D_jS1E_S1E_jjS1G_bEUljE0_EEESZ_S10_S11_S18_S1C_S1E_T6_T7_T9_mT8_S1G_bDpT10_ENKUlT_T0_E_clISt17integral_constantIbLb0EES1T_IbLb1EEEEDaS1P_S1Q_EUlS1P_E_NS1_11comp_targetILNS1_3genE9ELNS1_11target_archE1100ELNS1_3gpuE3ELNS1_3repE0EEENS1_30default_config_static_selectorELNS0_4arch9wavefront6targetE1EEEvS12_.kd
    .uniform_work_group_size: 1
    .uses_dynamic_stack: false
    .vgpr_count:     0
    .vgpr_spill_count: 0
    .wavefront_size: 64
  - .agpr_count:     0
    .args:
      - .offset:         0
        .size:           184
        .value_kind:     by_value
    .group_segment_fixed_size: 0
    .kernarg_segment_align: 8
    .kernarg_segment_size: 184
    .language:       OpenCL C
    .language_version:
      - 2
      - 0
    .max_flat_workgroup_size: 256
    .name:           _ZN7rocprim17ROCPRIM_400000_NS6detail17trampoline_kernelINS0_13select_configILj256ELj13ELNS0_17block_load_methodE3ELS4_3ELS4_3ELNS0_20block_scan_algorithmE0ELj4294967295EEENS1_25partition_config_selectorILNS1_17partition_subalgoE4EjNS0_10empty_typeEbEEZZNS1_14partition_implILS8_4ELb0ES6_15HIP_vector_typeIjLj2EENS0_17counting_iteratorIjlEEPS9_SG_NS0_5tupleIJPjSI_NS0_16reverse_iteratorISI_EEEEENSH_IJSG_SG_SG_EEES9_SI_JZNS1_25segmented_radix_sort_implINS0_14default_configELb0EPKfPfPKlPlN2at6native12_GLOBAL__N_18offset_tEEE10hipError_tPvRmT1_PNSt15iterator_traitsIS12_E10value_typeET2_T3_PNS13_IS18_E10value_typeET4_jRbjT5_S1E_jjP12ihipStream_tbEUljE_ZNSN_ISO_Lb0ESQ_SR_ST_SU_SY_EESZ_S10_S11_S12_S16_S17_S18_S1B_S1C_jS1D_jS1E_S1E_jjS1G_bEUljE0_EEESZ_S10_S11_S18_S1C_S1E_T6_T7_T9_mT8_S1G_bDpT10_ENKUlT_T0_E_clISt17integral_constantIbLb0EES1T_IbLb1EEEEDaS1P_S1Q_EUlS1P_E_NS1_11comp_targetILNS1_3genE8ELNS1_11target_archE1030ELNS1_3gpuE2ELNS1_3repE0EEENS1_30default_config_static_selectorELNS0_4arch9wavefront6targetE1EEEvS12_
    .private_segment_fixed_size: 0
    .sgpr_count:     4
    .sgpr_spill_count: 0
    .symbol:         _ZN7rocprim17ROCPRIM_400000_NS6detail17trampoline_kernelINS0_13select_configILj256ELj13ELNS0_17block_load_methodE3ELS4_3ELS4_3ELNS0_20block_scan_algorithmE0ELj4294967295EEENS1_25partition_config_selectorILNS1_17partition_subalgoE4EjNS0_10empty_typeEbEEZZNS1_14partition_implILS8_4ELb0ES6_15HIP_vector_typeIjLj2EENS0_17counting_iteratorIjlEEPS9_SG_NS0_5tupleIJPjSI_NS0_16reverse_iteratorISI_EEEEENSH_IJSG_SG_SG_EEES9_SI_JZNS1_25segmented_radix_sort_implINS0_14default_configELb0EPKfPfPKlPlN2at6native12_GLOBAL__N_18offset_tEEE10hipError_tPvRmT1_PNSt15iterator_traitsIS12_E10value_typeET2_T3_PNS13_IS18_E10value_typeET4_jRbjT5_S1E_jjP12ihipStream_tbEUljE_ZNSN_ISO_Lb0ESQ_SR_ST_SU_SY_EESZ_S10_S11_S12_S16_S17_S18_S1B_S1C_jS1D_jS1E_S1E_jjS1G_bEUljE0_EEESZ_S10_S11_S18_S1C_S1E_T6_T7_T9_mT8_S1G_bDpT10_ENKUlT_T0_E_clISt17integral_constantIbLb0EES1T_IbLb1EEEEDaS1P_S1Q_EUlS1P_E_NS1_11comp_targetILNS1_3genE8ELNS1_11target_archE1030ELNS1_3gpuE2ELNS1_3repE0EEENS1_30default_config_static_selectorELNS0_4arch9wavefront6targetE1EEEvS12_.kd
    .uniform_work_group_size: 1
    .uses_dynamic_stack: false
    .vgpr_count:     0
    .vgpr_spill_count: 0
    .wavefront_size: 64
  - .agpr_count:     0
    .args:
      - .offset:         0
        .size:           144
        .value_kind:     by_value
    .group_segment_fixed_size: 0
    .kernarg_segment_align: 8
    .kernarg_segment_size: 144
    .language:       OpenCL C
    .language_version:
      - 2
      - 0
    .max_flat_workgroup_size: 256
    .name:           _ZN7rocprim17ROCPRIM_400000_NS6detail17trampoline_kernelINS0_13select_configILj256ELj13ELNS0_17block_load_methodE3ELS4_3ELS4_3ELNS0_20block_scan_algorithmE0ELj4294967295EEENS1_25partition_config_selectorILNS1_17partition_subalgoE3EjNS0_10empty_typeEbEEZZNS1_14partition_implILS8_3ELb0ES6_jNS0_17counting_iteratorIjlEEPS9_SE_NS0_5tupleIJPjSE_EEENSF_IJSE_SE_EEES9_SG_JZNS1_25segmented_radix_sort_implINS0_14default_configELb0EPKfPfPKlPlN2at6native12_GLOBAL__N_18offset_tEEE10hipError_tPvRmT1_PNSt15iterator_traitsISY_E10value_typeET2_T3_PNSZ_IS14_E10value_typeET4_jRbjT5_S1A_jjP12ihipStream_tbEUljE_EEESV_SW_SX_S14_S18_S1A_T6_T7_T9_mT8_S1C_bDpT10_ENKUlT_T0_E_clISt17integral_constantIbLb0EES1P_EEDaS1K_S1L_EUlS1K_E_NS1_11comp_targetILNS1_3genE0ELNS1_11target_archE4294967295ELNS1_3gpuE0ELNS1_3repE0EEENS1_30default_config_static_selectorELNS0_4arch9wavefront6targetE1EEEvSY_
    .private_segment_fixed_size: 0
    .sgpr_count:     4
    .sgpr_spill_count: 0
    .symbol:         _ZN7rocprim17ROCPRIM_400000_NS6detail17trampoline_kernelINS0_13select_configILj256ELj13ELNS0_17block_load_methodE3ELS4_3ELS4_3ELNS0_20block_scan_algorithmE0ELj4294967295EEENS1_25partition_config_selectorILNS1_17partition_subalgoE3EjNS0_10empty_typeEbEEZZNS1_14partition_implILS8_3ELb0ES6_jNS0_17counting_iteratorIjlEEPS9_SE_NS0_5tupleIJPjSE_EEENSF_IJSE_SE_EEES9_SG_JZNS1_25segmented_radix_sort_implINS0_14default_configELb0EPKfPfPKlPlN2at6native12_GLOBAL__N_18offset_tEEE10hipError_tPvRmT1_PNSt15iterator_traitsISY_E10value_typeET2_T3_PNSZ_IS14_E10value_typeET4_jRbjT5_S1A_jjP12ihipStream_tbEUljE_EEESV_SW_SX_S14_S18_S1A_T6_T7_T9_mT8_S1C_bDpT10_ENKUlT_T0_E_clISt17integral_constantIbLb0EES1P_EEDaS1K_S1L_EUlS1K_E_NS1_11comp_targetILNS1_3genE0ELNS1_11target_archE4294967295ELNS1_3gpuE0ELNS1_3repE0EEENS1_30default_config_static_selectorELNS0_4arch9wavefront6targetE1EEEvSY_.kd
    .uniform_work_group_size: 1
    .uses_dynamic_stack: false
    .vgpr_count:     0
    .vgpr_spill_count: 0
    .wavefront_size: 64
  - .agpr_count:     0
    .args:
      - .offset:         0
        .size:           144
        .value_kind:     by_value
    .group_segment_fixed_size: 0
    .kernarg_segment_align: 8
    .kernarg_segment_size: 144
    .language:       OpenCL C
    .language_version:
      - 2
      - 0
    .max_flat_workgroup_size: 256
    .name:           _ZN7rocprim17ROCPRIM_400000_NS6detail17trampoline_kernelINS0_13select_configILj256ELj13ELNS0_17block_load_methodE3ELS4_3ELS4_3ELNS0_20block_scan_algorithmE0ELj4294967295EEENS1_25partition_config_selectorILNS1_17partition_subalgoE3EjNS0_10empty_typeEbEEZZNS1_14partition_implILS8_3ELb0ES6_jNS0_17counting_iteratorIjlEEPS9_SE_NS0_5tupleIJPjSE_EEENSF_IJSE_SE_EEES9_SG_JZNS1_25segmented_radix_sort_implINS0_14default_configELb0EPKfPfPKlPlN2at6native12_GLOBAL__N_18offset_tEEE10hipError_tPvRmT1_PNSt15iterator_traitsISY_E10value_typeET2_T3_PNSZ_IS14_E10value_typeET4_jRbjT5_S1A_jjP12ihipStream_tbEUljE_EEESV_SW_SX_S14_S18_S1A_T6_T7_T9_mT8_S1C_bDpT10_ENKUlT_T0_E_clISt17integral_constantIbLb0EES1P_EEDaS1K_S1L_EUlS1K_E_NS1_11comp_targetILNS1_3genE5ELNS1_11target_archE942ELNS1_3gpuE9ELNS1_3repE0EEENS1_30default_config_static_selectorELNS0_4arch9wavefront6targetE1EEEvSY_
    .private_segment_fixed_size: 0
    .sgpr_count:     4
    .sgpr_spill_count: 0
    .symbol:         _ZN7rocprim17ROCPRIM_400000_NS6detail17trampoline_kernelINS0_13select_configILj256ELj13ELNS0_17block_load_methodE3ELS4_3ELS4_3ELNS0_20block_scan_algorithmE0ELj4294967295EEENS1_25partition_config_selectorILNS1_17partition_subalgoE3EjNS0_10empty_typeEbEEZZNS1_14partition_implILS8_3ELb0ES6_jNS0_17counting_iteratorIjlEEPS9_SE_NS0_5tupleIJPjSE_EEENSF_IJSE_SE_EEES9_SG_JZNS1_25segmented_radix_sort_implINS0_14default_configELb0EPKfPfPKlPlN2at6native12_GLOBAL__N_18offset_tEEE10hipError_tPvRmT1_PNSt15iterator_traitsISY_E10value_typeET2_T3_PNSZ_IS14_E10value_typeET4_jRbjT5_S1A_jjP12ihipStream_tbEUljE_EEESV_SW_SX_S14_S18_S1A_T6_T7_T9_mT8_S1C_bDpT10_ENKUlT_T0_E_clISt17integral_constantIbLb0EES1P_EEDaS1K_S1L_EUlS1K_E_NS1_11comp_targetILNS1_3genE5ELNS1_11target_archE942ELNS1_3gpuE9ELNS1_3repE0EEENS1_30default_config_static_selectorELNS0_4arch9wavefront6targetE1EEEvSY_.kd
    .uniform_work_group_size: 1
    .uses_dynamic_stack: false
    .vgpr_count:     0
    .vgpr_spill_count: 0
    .wavefront_size: 64
  - .agpr_count:     0
    .args:
      - .offset:         0
        .size:           144
        .value_kind:     by_value
    .group_segment_fixed_size: 13324
    .kernarg_segment_align: 8
    .kernarg_segment_size: 144
    .language:       OpenCL C
    .language_version:
      - 2
      - 0
    .max_flat_workgroup_size: 256
    .name:           _ZN7rocprim17ROCPRIM_400000_NS6detail17trampoline_kernelINS0_13select_configILj256ELj13ELNS0_17block_load_methodE3ELS4_3ELS4_3ELNS0_20block_scan_algorithmE0ELj4294967295EEENS1_25partition_config_selectorILNS1_17partition_subalgoE3EjNS0_10empty_typeEbEEZZNS1_14partition_implILS8_3ELb0ES6_jNS0_17counting_iteratorIjlEEPS9_SE_NS0_5tupleIJPjSE_EEENSF_IJSE_SE_EEES9_SG_JZNS1_25segmented_radix_sort_implINS0_14default_configELb0EPKfPfPKlPlN2at6native12_GLOBAL__N_18offset_tEEE10hipError_tPvRmT1_PNSt15iterator_traitsISY_E10value_typeET2_T3_PNSZ_IS14_E10value_typeET4_jRbjT5_S1A_jjP12ihipStream_tbEUljE_EEESV_SW_SX_S14_S18_S1A_T6_T7_T9_mT8_S1C_bDpT10_ENKUlT_T0_E_clISt17integral_constantIbLb0EES1P_EEDaS1K_S1L_EUlS1K_E_NS1_11comp_targetILNS1_3genE4ELNS1_11target_archE910ELNS1_3gpuE8ELNS1_3repE0EEENS1_30default_config_static_selectorELNS0_4arch9wavefront6targetE1EEEvSY_
    .private_segment_fixed_size: 0
    .sgpr_count:     50
    .sgpr_spill_count: 0
    .symbol:         _ZN7rocprim17ROCPRIM_400000_NS6detail17trampoline_kernelINS0_13select_configILj256ELj13ELNS0_17block_load_methodE3ELS4_3ELS4_3ELNS0_20block_scan_algorithmE0ELj4294967295EEENS1_25partition_config_selectorILNS1_17partition_subalgoE3EjNS0_10empty_typeEbEEZZNS1_14partition_implILS8_3ELb0ES6_jNS0_17counting_iteratorIjlEEPS9_SE_NS0_5tupleIJPjSE_EEENSF_IJSE_SE_EEES9_SG_JZNS1_25segmented_radix_sort_implINS0_14default_configELb0EPKfPfPKlPlN2at6native12_GLOBAL__N_18offset_tEEE10hipError_tPvRmT1_PNSt15iterator_traitsISY_E10value_typeET2_T3_PNSZ_IS14_E10value_typeET4_jRbjT5_S1A_jjP12ihipStream_tbEUljE_EEESV_SW_SX_S14_S18_S1A_T6_T7_T9_mT8_S1C_bDpT10_ENKUlT_T0_E_clISt17integral_constantIbLb0EES1P_EEDaS1K_S1L_EUlS1K_E_NS1_11comp_targetILNS1_3genE4ELNS1_11target_archE910ELNS1_3gpuE8ELNS1_3repE0EEENS1_30default_config_static_selectorELNS0_4arch9wavefront6targetE1EEEvSY_.kd
    .uniform_work_group_size: 1
    .uses_dynamic_stack: false
    .vgpr_count:     61
    .vgpr_spill_count: 0
    .wavefront_size: 64
  - .agpr_count:     0
    .args:
      - .offset:         0
        .size:           144
        .value_kind:     by_value
    .group_segment_fixed_size: 0
    .kernarg_segment_align: 8
    .kernarg_segment_size: 144
    .language:       OpenCL C
    .language_version:
      - 2
      - 0
    .max_flat_workgroup_size: 256
    .name:           _ZN7rocprim17ROCPRIM_400000_NS6detail17trampoline_kernelINS0_13select_configILj256ELj13ELNS0_17block_load_methodE3ELS4_3ELS4_3ELNS0_20block_scan_algorithmE0ELj4294967295EEENS1_25partition_config_selectorILNS1_17partition_subalgoE3EjNS0_10empty_typeEbEEZZNS1_14partition_implILS8_3ELb0ES6_jNS0_17counting_iteratorIjlEEPS9_SE_NS0_5tupleIJPjSE_EEENSF_IJSE_SE_EEES9_SG_JZNS1_25segmented_radix_sort_implINS0_14default_configELb0EPKfPfPKlPlN2at6native12_GLOBAL__N_18offset_tEEE10hipError_tPvRmT1_PNSt15iterator_traitsISY_E10value_typeET2_T3_PNSZ_IS14_E10value_typeET4_jRbjT5_S1A_jjP12ihipStream_tbEUljE_EEESV_SW_SX_S14_S18_S1A_T6_T7_T9_mT8_S1C_bDpT10_ENKUlT_T0_E_clISt17integral_constantIbLb0EES1P_EEDaS1K_S1L_EUlS1K_E_NS1_11comp_targetILNS1_3genE3ELNS1_11target_archE908ELNS1_3gpuE7ELNS1_3repE0EEENS1_30default_config_static_selectorELNS0_4arch9wavefront6targetE1EEEvSY_
    .private_segment_fixed_size: 0
    .sgpr_count:     4
    .sgpr_spill_count: 0
    .symbol:         _ZN7rocprim17ROCPRIM_400000_NS6detail17trampoline_kernelINS0_13select_configILj256ELj13ELNS0_17block_load_methodE3ELS4_3ELS4_3ELNS0_20block_scan_algorithmE0ELj4294967295EEENS1_25partition_config_selectorILNS1_17partition_subalgoE3EjNS0_10empty_typeEbEEZZNS1_14partition_implILS8_3ELb0ES6_jNS0_17counting_iteratorIjlEEPS9_SE_NS0_5tupleIJPjSE_EEENSF_IJSE_SE_EEES9_SG_JZNS1_25segmented_radix_sort_implINS0_14default_configELb0EPKfPfPKlPlN2at6native12_GLOBAL__N_18offset_tEEE10hipError_tPvRmT1_PNSt15iterator_traitsISY_E10value_typeET2_T3_PNSZ_IS14_E10value_typeET4_jRbjT5_S1A_jjP12ihipStream_tbEUljE_EEESV_SW_SX_S14_S18_S1A_T6_T7_T9_mT8_S1C_bDpT10_ENKUlT_T0_E_clISt17integral_constantIbLb0EES1P_EEDaS1K_S1L_EUlS1K_E_NS1_11comp_targetILNS1_3genE3ELNS1_11target_archE908ELNS1_3gpuE7ELNS1_3repE0EEENS1_30default_config_static_selectorELNS0_4arch9wavefront6targetE1EEEvSY_.kd
    .uniform_work_group_size: 1
    .uses_dynamic_stack: false
    .vgpr_count:     0
    .vgpr_spill_count: 0
    .wavefront_size: 64
  - .agpr_count:     0
    .args:
      - .offset:         0
        .size:           144
        .value_kind:     by_value
    .group_segment_fixed_size: 0
    .kernarg_segment_align: 8
    .kernarg_segment_size: 144
    .language:       OpenCL C
    .language_version:
      - 2
      - 0
    .max_flat_workgroup_size: 256
    .name:           _ZN7rocprim17ROCPRIM_400000_NS6detail17trampoline_kernelINS0_13select_configILj256ELj13ELNS0_17block_load_methodE3ELS4_3ELS4_3ELNS0_20block_scan_algorithmE0ELj4294967295EEENS1_25partition_config_selectorILNS1_17partition_subalgoE3EjNS0_10empty_typeEbEEZZNS1_14partition_implILS8_3ELb0ES6_jNS0_17counting_iteratorIjlEEPS9_SE_NS0_5tupleIJPjSE_EEENSF_IJSE_SE_EEES9_SG_JZNS1_25segmented_radix_sort_implINS0_14default_configELb0EPKfPfPKlPlN2at6native12_GLOBAL__N_18offset_tEEE10hipError_tPvRmT1_PNSt15iterator_traitsISY_E10value_typeET2_T3_PNSZ_IS14_E10value_typeET4_jRbjT5_S1A_jjP12ihipStream_tbEUljE_EEESV_SW_SX_S14_S18_S1A_T6_T7_T9_mT8_S1C_bDpT10_ENKUlT_T0_E_clISt17integral_constantIbLb0EES1P_EEDaS1K_S1L_EUlS1K_E_NS1_11comp_targetILNS1_3genE2ELNS1_11target_archE906ELNS1_3gpuE6ELNS1_3repE0EEENS1_30default_config_static_selectorELNS0_4arch9wavefront6targetE1EEEvSY_
    .private_segment_fixed_size: 0
    .sgpr_count:     4
    .sgpr_spill_count: 0
    .symbol:         _ZN7rocprim17ROCPRIM_400000_NS6detail17trampoline_kernelINS0_13select_configILj256ELj13ELNS0_17block_load_methodE3ELS4_3ELS4_3ELNS0_20block_scan_algorithmE0ELj4294967295EEENS1_25partition_config_selectorILNS1_17partition_subalgoE3EjNS0_10empty_typeEbEEZZNS1_14partition_implILS8_3ELb0ES6_jNS0_17counting_iteratorIjlEEPS9_SE_NS0_5tupleIJPjSE_EEENSF_IJSE_SE_EEES9_SG_JZNS1_25segmented_radix_sort_implINS0_14default_configELb0EPKfPfPKlPlN2at6native12_GLOBAL__N_18offset_tEEE10hipError_tPvRmT1_PNSt15iterator_traitsISY_E10value_typeET2_T3_PNSZ_IS14_E10value_typeET4_jRbjT5_S1A_jjP12ihipStream_tbEUljE_EEESV_SW_SX_S14_S18_S1A_T6_T7_T9_mT8_S1C_bDpT10_ENKUlT_T0_E_clISt17integral_constantIbLb0EES1P_EEDaS1K_S1L_EUlS1K_E_NS1_11comp_targetILNS1_3genE2ELNS1_11target_archE906ELNS1_3gpuE6ELNS1_3repE0EEENS1_30default_config_static_selectorELNS0_4arch9wavefront6targetE1EEEvSY_.kd
    .uniform_work_group_size: 1
    .uses_dynamic_stack: false
    .vgpr_count:     0
    .vgpr_spill_count: 0
    .wavefront_size: 64
  - .agpr_count:     0
    .args:
      - .offset:         0
        .size:           144
        .value_kind:     by_value
    .group_segment_fixed_size: 0
    .kernarg_segment_align: 8
    .kernarg_segment_size: 144
    .language:       OpenCL C
    .language_version:
      - 2
      - 0
    .max_flat_workgroup_size: 256
    .name:           _ZN7rocprim17ROCPRIM_400000_NS6detail17trampoline_kernelINS0_13select_configILj256ELj13ELNS0_17block_load_methodE3ELS4_3ELS4_3ELNS0_20block_scan_algorithmE0ELj4294967295EEENS1_25partition_config_selectorILNS1_17partition_subalgoE3EjNS0_10empty_typeEbEEZZNS1_14partition_implILS8_3ELb0ES6_jNS0_17counting_iteratorIjlEEPS9_SE_NS0_5tupleIJPjSE_EEENSF_IJSE_SE_EEES9_SG_JZNS1_25segmented_radix_sort_implINS0_14default_configELb0EPKfPfPKlPlN2at6native12_GLOBAL__N_18offset_tEEE10hipError_tPvRmT1_PNSt15iterator_traitsISY_E10value_typeET2_T3_PNSZ_IS14_E10value_typeET4_jRbjT5_S1A_jjP12ihipStream_tbEUljE_EEESV_SW_SX_S14_S18_S1A_T6_T7_T9_mT8_S1C_bDpT10_ENKUlT_T0_E_clISt17integral_constantIbLb0EES1P_EEDaS1K_S1L_EUlS1K_E_NS1_11comp_targetILNS1_3genE10ELNS1_11target_archE1200ELNS1_3gpuE4ELNS1_3repE0EEENS1_30default_config_static_selectorELNS0_4arch9wavefront6targetE1EEEvSY_
    .private_segment_fixed_size: 0
    .sgpr_count:     4
    .sgpr_spill_count: 0
    .symbol:         _ZN7rocprim17ROCPRIM_400000_NS6detail17trampoline_kernelINS0_13select_configILj256ELj13ELNS0_17block_load_methodE3ELS4_3ELS4_3ELNS0_20block_scan_algorithmE0ELj4294967295EEENS1_25partition_config_selectorILNS1_17partition_subalgoE3EjNS0_10empty_typeEbEEZZNS1_14partition_implILS8_3ELb0ES6_jNS0_17counting_iteratorIjlEEPS9_SE_NS0_5tupleIJPjSE_EEENSF_IJSE_SE_EEES9_SG_JZNS1_25segmented_radix_sort_implINS0_14default_configELb0EPKfPfPKlPlN2at6native12_GLOBAL__N_18offset_tEEE10hipError_tPvRmT1_PNSt15iterator_traitsISY_E10value_typeET2_T3_PNSZ_IS14_E10value_typeET4_jRbjT5_S1A_jjP12ihipStream_tbEUljE_EEESV_SW_SX_S14_S18_S1A_T6_T7_T9_mT8_S1C_bDpT10_ENKUlT_T0_E_clISt17integral_constantIbLb0EES1P_EEDaS1K_S1L_EUlS1K_E_NS1_11comp_targetILNS1_3genE10ELNS1_11target_archE1200ELNS1_3gpuE4ELNS1_3repE0EEENS1_30default_config_static_selectorELNS0_4arch9wavefront6targetE1EEEvSY_.kd
    .uniform_work_group_size: 1
    .uses_dynamic_stack: false
    .vgpr_count:     0
    .vgpr_spill_count: 0
    .wavefront_size: 64
  - .agpr_count:     0
    .args:
      - .offset:         0
        .size:           144
        .value_kind:     by_value
    .group_segment_fixed_size: 0
    .kernarg_segment_align: 8
    .kernarg_segment_size: 144
    .language:       OpenCL C
    .language_version:
      - 2
      - 0
    .max_flat_workgroup_size: 256
    .name:           _ZN7rocprim17ROCPRIM_400000_NS6detail17trampoline_kernelINS0_13select_configILj256ELj13ELNS0_17block_load_methodE3ELS4_3ELS4_3ELNS0_20block_scan_algorithmE0ELj4294967295EEENS1_25partition_config_selectorILNS1_17partition_subalgoE3EjNS0_10empty_typeEbEEZZNS1_14partition_implILS8_3ELb0ES6_jNS0_17counting_iteratorIjlEEPS9_SE_NS0_5tupleIJPjSE_EEENSF_IJSE_SE_EEES9_SG_JZNS1_25segmented_radix_sort_implINS0_14default_configELb0EPKfPfPKlPlN2at6native12_GLOBAL__N_18offset_tEEE10hipError_tPvRmT1_PNSt15iterator_traitsISY_E10value_typeET2_T3_PNSZ_IS14_E10value_typeET4_jRbjT5_S1A_jjP12ihipStream_tbEUljE_EEESV_SW_SX_S14_S18_S1A_T6_T7_T9_mT8_S1C_bDpT10_ENKUlT_T0_E_clISt17integral_constantIbLb0EES1P_EEDaS1K_S1L_EUlS1K_E_NS1_11comp_targetILNS1_3genE9ELNS1_11target_archE1100ELNS1_3gpuE3ELNS1_3repE0EEENS1_30default_config_static_selectorELNS0_4arch9wavefront6targetE1EEEvSY_
    .private_segment_fixed_size: 0
    .sgpr_count:     4
    .sgpr_spill_count: 0
    .symbol:         _ZN7rocprim17ROCPRIM_400000_NS6detail17trampoline_kernelINS0_13select_configILj256ELj13ELNS0_17block_load_methodE3ELS4_3ELS4_3ELNS0_20block_scan_algorithmE0ELj4294967295EEENS1_25partition_config_selectorILNS1_17partition_subalgoE3EjNS0_10empty_typeEbEEZZNS1_14partition_implILS8_3ELb0ES6_jNS0_17counting_iteratorIjlEEPS9_SE_NS0_5tupleIJPjSE_EEENSF_IJSE_SE_EEES9_SG_JZNS1_25segmented_radix_sort_implINS0_14default_configELb0EPKfPfPKlPlN2at6native12_GLOBAL__N_18offset_tEEE10hipError_tPvRmT1_PNSt15iterator_traitsISY_E10value_typeET2_T3_PNSZ_IS14_E10value_typeET4_jRbjT5_S1A_jjP12ihipStream_tbEUljE_EEESV_SW_SX_S14_S18_S1A_T6_T7_T9_mT8_S1C_bDpT10_ENKUlT_T0_E_clISt17integral_constantIbLb0EES1P_EEDaS1K_S1L_EUlS1K_E_NS1_11comp_targetILNS1_3genE9ELNS1_11target_archE1100ELNS1_3gpuE3ELNS1_3repE0EEENS1_30default_config_static_selectorELNS0_4arch9wavefront6targetE1EEEvSY_.kd
    .uniform_work_group_size: 1
    .uses_dynamic_stack: false
    .vgpr_count:     0
    .vgpr_spill_count: 0
    .wavefront_size: 64
  - .agpr_count:     0
    .args:
      - .offset:         0
        .size:           144
        .value_kind:     by_value
    .group_segment_fixed_size: 0
    .kernarg_segment_align: 8
    .kernarg_segment_size: 144
    .language:       OpenCL C
    .language_version:
      - 2
      - 0
    .max_flat_workgroup_size: 256
    .name:           _ZN7rocprim17ROCPRIM_400000_NS6detail17trampoline_kernelINS0_13select_configILj256ELj13ELNS0_17block_load_methodE3ELS4_3ELS4_3ELNS0_20block_scan_algorithmE0ELj4294967295EEENS1_25partition_config_selectorILNS1_17partition_subalgoE3EjNS0_10empty_typeEbEEZZNS1_14partition_implILS8_3ELb0ES6_jNS0_17counting_iteratorIjlEEPS9_SE_NS0_5tupleIJPjSE_EEENSF_IJSE_SE_EEES9_SG_JZNS1_25segmented_radix_sort_implINS0_14default_configELb0EPKfPfPKlPlN2at6native12_GLOBAL__N_18offset_tEEE10hipError_tPvRmT1_PNSt15iterator_traitsISY_E10value_typeET2_T3_PNSZ_IS14_E10value_typeET4_jRbjT5_S1A_jjP12ihipStream_tbEUljE_EEESV_SW_SX_S14_S18_S1A_T6_T7_T9_mT8_S1C_bDpT10_ENKUlT_T0_E_clISt17integral_constantIbLb0EES1P_EEDaS1K_S1L_EUlS1K_E_NS1_11comp_targetILNS1_3genE8ELNS1_11target_archE1030ELNS1_3gpuE2ELNS1_3repE0EEENS1_30default_config_static_selectorELNS0_4arch9wavefront6targetE1EEEvSY_
    .private_segment_fixed_size: 0
    .sgpr_count:     4
    .sgpr_spill_count: 0
    .symbol:         _ZN7rocprim17ROCPRIM_400000_NS6detail17trampoline_kernelINS0_13select_configILj256ELj13ELNS0_17block_load_methodE3ELS4_3ELS4_3ELNS0_20block_scan_algorithmE0ELj4294967295EEENS1_25partition_config_selectorILNS1_17partition_subalgoE3EjNS0_10empty_typeEbEEZZNS1_14partition_implILS8_3ELb0ES6_jNS0_17counting_iteratorIjlEEPS9_SE_NS0_5tupleIJPjSE_EEENSF_IJSE_SE_EEES9_SG_JZNS1_25segmented_radix_sort_implINS0_14default_configELb0EPKfPfPKlPlN2at6native12_GLOBAL__N_18offset_tEEE10hipError_tPvRmT1_PNSt15iterator_traitsISY_E10value_typeET2_T3_PNSZ_IS14_E10value_typeET4_jRbjT5_S1A_jjP12ihipStream_tbEUljE_EEESV_SW_SX_S14_S18_S1A_T6_T7_T9_mT8_S1C_bDpT10_ENKUlT_T0_E_clISt17integral_constantIbLb0EES1P_EEDaS1K_S1L_EUlS1K_E_NS1_11comp_targetILNS1_3genE8ELNS1_11target_archE1030ELNS1_3gpuE2ELNS1_3repE0EEENS1_30default_config_static_selectorELNS0_4arch9wavefront6targetE1EEEvSY_.kd
    .uniform_work_group_size: 1
    .uses_dynamic_stack: false
    .vgpr_count:     0
    .vgpr_spill_count: 0
    .wavefront_size: 64
  - .agpr_count:     0
    .args:
      - .offset:         0
        .size:           152
        .value_kind:     by_value
    .group_segment_fixed_size: 0
    .kernarg_segment_align: 8
    .kernarg_segment_size: 152
    .language:       OpenCL C
    .language_version:
      - 2
      - 0
    .max_flat_workgroup_size: 256
    .name:           _ZN7rocprim17ROCPRIM_400000_NS6detail17trampoline_kernelINS0_13select_configILj256ELj13ELNS0_17block_load_methodE3ELS4_3ELS4_3ELNS0_20block_scan_algorithmE0ELj4294967295EEENS1_25partition_config_selectorILNS1_17partition_subalgoE3EjNS0_10empty_typeEbEEZZNS1_14partition_implILS8_3ELb0ES6_jNS0_17counting_iteratorIjlEEPS9_SE_NS0_5tupleIJPjSE_EEENSF_IJSE_SE_EEES9_SG_JZNS1_25segmented_radix_sort_implINS0_14default_configELb0EPKfPfPKlPlN2at6native12_GLOBAL__N_18offset_tEEE10hipError_tPvRmT1_PNSt15iterator_traitsISY_E10value_typeET2_T3_PNSZ_IS14_E10value_typeET4_jRbjT5_S1A_jjP12ihipStream_tbEUljE_EEESV_SW_SX_S14_S18_S1A_T6_T7_T9_mT8_S1C_bDpT10_ENKUlT_T0_E_clISt17integral_constantIbLb1EES1P_EEDaS1K_S1L_EUlS1K_E_NS1_11comp_targetILNS1_3genE0ELNS1_11target_archE4294967295ELNS1_3gpuE0ELNS1_3repE0EEENS1_30default_config_static_selectorELNS0_4arch9wavefront6targetE1EEEvSY_
    .private_segment_fixed_size: 0
    .sgpr_count:     4
    .sgpr_spill_count: 0
    .symbol:         _ZN7rocprim17ROCPRIM_400000_NS6detail17trampoline_kernelINS0_13select_configILj256ELj13ELNS0_17block_load_methodE3ELS4_3ELS4_3ELNS0_20block_scan_algorithmE0ELj4294967295EEENS1_25partition_config_selectorILNS1_17partition_subalgoE3EjNS0_10empty_typeEbEEZZNS1_14partition_implILS8_3ELb0ES6_jNS0_17counting_iteratorIjlEEPS9_SE_NS0_5tupleIJPjSE_EEENSF_IJSE_SE_EEES9_SG_JZNS1_25segmented_radix_sort_implINS0_14default_configELb0EPKfPfPKlPlN2at6native12_GLOBAL__N_18offset_tEEE10hipError_tPvRmT1_PNSt15iterator_traitsISY_E10value_typeET2_T3_PNSZ_IS14_E10value_typeET4_jRbjT5_S1A_jjP12ihipStream_tbEUljE_EEESV_SW_SX_S14_S18_S1A_T6_T7_T9_mT8_S1C_bDpT10_ENKUlT_T0_E_clISt17integral_constantIbLb1EES1P_EEDaS1K_S1L_EUlS1K_E_NS1_11comp_targetILNS1_3genE0ELNS1_11target_archE4294967295ELNS1_3gpuE0ELNS1_3repE0EEENS1_30default_config_static_selectorELNS0_4arch9wavefront6targetE1EEEvSY_.kd
    .uniform_work_group_size: 1
    .uses_dynamic_stack: false
    .vgpr_count:     0
    .vgpr_spill_count: 0
    .wavefront_size: 64
  - .agpr_count:     0
    .args:
      - .offset:         0
        .size:           152
        .value_kind:     by_value
    .group_segment_fixed_size: 0
    .kernarg_segment_align: 8
    .kernarg_segment_size: 152
    .language:       OpenCL C
    .language_version:
      - 2
      - 0
    .max_flat_workgroup_size: 256
    .name:           _ZN7rocprim17ROCPRIM_400000_NS6detail17trampoline_kernelINS0_13select_configILj256ELj13ELNS0_17block_load_methodE3ELS4_3ELS4_3ELNS0_20block_scan_algorithmE0ELj4294967295EEENS1_25partition_config_selectorILNS1_17partition_subalgoE3EjNS0_10empty_typeEbEEZZNS1_14partition_implILS8_3ELb0ES6_jNS0_17counting_iteratorIjlEEPS9_SE_NS0_5tupleIJPjSE_EEENSF_IJSE_SE_EEES9_SG_JZNS1_25segmented_radix_sort_implINS0_14default_configELb0EPKfPfPKlPlN2at6native12_GLOBAL__N_18offset_tEEE10hipError_tPvRmT1_PNSt15iterator_traitsISY_E10value_typeET2_T3_PNSZ_IS14_E10value_typeET4_jRbjT5_S1A_jjP12ihipStream_tbEUljE_EEESV_SW_SX_S14_S18_S1A_T6_T7_T9_mT8_S1C_bDpT10_ENKUlT_T0_E_clISt17integral_constantIbLb1EES1P_EEDaS1K_S1L_EUlS1K_E_NS1_11comp_targetILNS1_3genE5ELNS1_11target_archE942ELNS1_3gpuE9ELNS1_3repE0EEENS1_30default_config_static_selectorELNS0_4arch9wavefront6targetE1EEEvSY_
    .private_segment_fixed_size: 0
    .sgpr_count:     4
    .sgpr_spill_count: 0
    .symbol:         _ZN7rocprim17ROCPRIM_400000_NS6detail17trampoline_kernelINS0_13select_configILj256ELj13ELNS0_17block_load_methodE3ELS4_3ELS4_3ELNS0_20block_scan_algorithmE0ELj4294967295EEENS1_25partition_config_selectorILNS1_17partition_subalgoE3EjNS0_10empty_typeEbEEZZNS1_14partition_implILS8_3ELb0ES6_jNS0_17counting_iteratorIjlEEPS9_SE_NS0_5tupleIJPjSE_EEENSF_IJSE_SE_EEES9_SG_JZNS1_25segmented_radix_sort_implINS0_14default_configELb0EPKfPfPKlPlN2at6native12_GLOBAL__N_18offset_tEEE10hipError_tPvRmT1_PNSt15iterator_traitsISY_E10value_typeET2_T3_PNSZ_IS14_E10value_typeET4_jRbjT5_S1A_jjP12ihipStream_tbEUljE_EEESV_SW_SX_S14_S18_S1A_T6_T7_T9_mT8_S1C_bDpT10_ENKUlT_T0_E_clISt17integral_constantIbLb1EES1P_EEDaS1K_S1L_EUlS1K_E_NS1_11comp_targetILNS1_3genE5ELNS1_11target_archE942ELNS1_3gpuE9ELNS1_3repE0EEENS1_30default_config_static_selectorELNS0_4arch9wavefront6targetE1EEEvSY_.kd
    .uniform_work_group_size: 1
    .uses_dynamic_stack: false
    .vgpr_count:     0
    .vgpr_spill_count: 0
    .wavefront_size: 64
  - .agpr_count:     0
    .args:
      - .offset:         0
        .size:           152
        .value_kind:     by_value
    .group_segment_fixed_size: 13324
    .kernarg_segment_align: 8
    .kernarg_segment_size: 152
    .language:       OpenCL C
    .language_version:
      - 2
      - 0
    .max_flat_workgroup_size: 256
    .name:           _ZN7rocprim17ROCPRIM_400000_NS6detail17trampoline_kernelINS0_13select_configILj256ELj13ELNS0_17block_load_methodE3ELS4_3ELS4_3ELNS0_20block_scan_algorithmE0ELj4294967295EEENS1_25partition_config_selectorILNS1_17partition_subalgoE3EjNS0_10empty_typeEbEEZZNS1_14partition_implILS8_3ELb0ES6_jNS0_17counting_iteratorIjlEEPS9_SE_NS0_5tupleIJPjSE_EEENSF_IJSE_SE_EEES9_SG_JZNS1_25segmented_radix_sort_implINS0_14default_configELb0EPKfPfPKlPlN2at6native12_GLOBAL__N_18offset_tEEE10hipError_tPvRmT1_PNSt15iterator_traitsISY_E10value_typeET2_T3_PNSZ_IS14_E10value_typeET4_jRbjT5_S1A_jjP12ihipStream_tbEUljE_EEESV_SW_SX_S14_S18_S1A_T6_T7_T9_mT8_S1C_bDpT10_ENKUlT_T0_E_clISt17integral_constantIbLb1EES1P_EEDaS1K_S1L_EUlS1K_E_NS1_11comp_targetILNS1_3genE4ELNS1_11target_archE910ELNS1_3gpuE8ELNS1_3repE0EEENS1_30default_config_static_selectorELNS0_4arch9wavefront6targetE1EEEvSY_
    .private_segment_fixed_size: 0
    .sgpr_count:     48
    .sgpr_spill_count: 0
    .symbol:         _ZN7rocprim17ROCPRIM_400000_NS6detail17trampoline_kernelINS0_13select_configILj256ELj13ELNS0_17block_load_methodE3ELS4_3ELS4_3ELNS0_20block_scan_algorithmE0ELj4294967295EEENS1_25partition_config_selectorILNS1_17partition_subalgoE3EjNS0_10empty_typeEbEEZZNS1_14partition_implILS8_3ELb0ES6_jNS0_17counting_iteratorIjlEEPS9_SE_NS0_5tupleIJPjSE_EEENSF_IJSE_SE_EEES9_SG_JZNS1_25segmented_radix_sort_implINS0_14default_configELb0EPKfPfPKlPlN2at6native12_GLOBAL__N_18offset_tEEE10hipError_tPvRmT1_PNSt15iterator_traitsISY_E10value_typeET2_T3_PNSZ_IS14_E10value_typeET4_jRbjT5_S1A_jjP12ihipStream_tbEUljE_EEESV_SW_SX_S14_S18_S1A_T6_T7_T9_mT8_S1C_bDpT10_ENKUlT_T0_E_clISt17integral_constantIbLb1EES1P_EEDaS1K_S1L_EUlS1K_E_NS1_11comp_targetILNS1_3genE4ELNS1_11target_archE910ELNS1_3gpuE8ELNS1_3repE0EEENS1_30default_config_static_selectorELNS0_4arch9wavefront6targetE1EEEvSY_.kd
    .uniform_work_group_size: 1
    .uses_dynamic_stack: false
    .vgpr_count:     64
    .vgpr_spill_count: 0
    .wavefront_size: 64
  - .agpr_count:     0
    .args:
      - .offset:         0
        .size:           152
        .value_kind:     by_value
    .group_segment_fixed_size: 0
    .kernarg_segment_align: 8
    .kernarg_segment_size: 152
    .language:       OpenCL C
    .language_version:
      - 2
      - 0
    .max_flat_workgroup_size: 256
    .name:           _ZN7rocprim17ROCPRIM_400000_NS6detail17trampoline_kernelINS0_13select_configILj256ELj13ELNS0_17block_load_methodE3ELS4_3ELS4_3ELNS0_20block_scan_algorithmE0ELj4294967295EEENS1_25partition_config_selectorILNS1_17partition_subalgoE3EjNS0_10empty_typeEbEEZZNS1_14partition_implILS8_3ELb0ES6_jNS0_17counting_iteratorIjlEEPS9_SE_NS0_5tupleIJPjSE_EEENSF_IJSE_SE_EEES9_SG_JZNS1_25segmented_radix_sort_implINS0_14default_configELb0EPKfPfPKlPlN2at6native12_GLOBAL__N_18offset_tEEE10hipError_tPvRmT1_PNSt15iterator_traitsISY_E10value_typeET2_T3_PNSZ_IS14_E10value_typeET4_jRbjT5_S1A_jjP12ihipStream_tbEUljE_EEESV_SW_SX_S14_S18_S1A_T6_T7_T9_mT8_S1C_bDpT10_ENKUlT_T0_E_clISt17integral_constantIbLb1EES1P_EEDaS1K_S1L_EUlS1K_E_NS1_11comp_targetILNS1_3genE3ELNS1_11target_archE908ELNS1_3gpuE7ELNS1_3repE0EEENS1_30default_config_static_selectorELNS0_4arch9wavefront6targetE1EEEvSY_
    .private_segment_fixed_size: 0
    .sgpr_count:     4
    .sgpr_spill_count: 0
    .symbol:         _ZN7rocprim17ROCPRIM_400000_NS6detail17trampoline_kernelINS0_13select_configILj256ELj13ELNS0_17block_load_methodE3ELS4_3ELS4_3ELNS0_20block_scan_algorithmE0ELj4294967295EEENS1_25partition_config_selectorILNS1_17partition_subalgoE3EjNS0_10empty_typeEbEEZZNS1_14partition_implILS8_3ELb0ES6_jNS0_17counting_iteratorIjlEEPS9_SE_NS0_5tupleIJPjSE_EEENSF_IJSE_SE_EEES9_SG_JZNS1_25segmented_radix_sort_implINS0_14default_configELb0EPKfPfPKlPlN2at6native12_GLOBAL__N_18offset_tEEE10hipError_tPvRmT1_PNSt15iterator_traitsISY_E10value_typeET2_T3_PNSZ_IS14_E10value_typeET4_jRbjT5_S1A_jjP12ihipStream_tbEUljE_EEESV_SW_SX_S14_S18_S1A_T6_T7_T9_mT8_S1C_bDpT10_ENKUlT_T0_E_clISt17integral_constantIbLb1EES1P_EEDaS1K_S1L_EUlS1K_E_NS1_11comp_targetILNS1_3genE3ELNS1_11target_archE908ELNS1_3gpuE7ELNS1_3repE0EEENS1_30default_config_static_selectorELNS0_4arch9wavefront6targetE1EEEvSY_.kd
    .uniform_work_group_size: 1
    .uses_dynamic_stack: false
    .vgpr_count:     0
    .vgpr_spill_count: 0
    .wavefront_size: 64
  - .agpr_count:     0
    .args:
      - .offset:         0
        .size:           152
        .value_kind:     by_value
    .group_segment_fixed_size: 0
    .kernarg_segment_align: 8
    .kernarg_segment_size: 152
    .language:       OpenCL C
    .language_version:
      - 2
      - 0
    .max_flat_workgroup_size: 256
    .name:           _ZN7rocprim17ROCPRIM_400000_NS6detail17trampoline_kernelINS0_13select_configILj256ELj13ELNS0_17block_load_methodE3ELS4_3ELS4_3ELNS0_20block_scan_algorithmE0ELj4294967295EEENS1_25partition_config_selectorILNS1_17partition_subalgoE3EjNS0_10empty_typeEbEEZZNS1_14partition_implILS8_3ELb0ES6_jNS0_17counting_iteratorIjlEEPS9_SE_NS0_5tupleIJPjSE_EEENSF_IJSE_SE_EEES9_SG_JZNS1_25segmented_radix_sort_implINS0_14default_configELb0EPKfPfPKlPlN2at6native12_GLOBAL__N_18offset_tEEE10hipError_tPvRmT1_PNSt15iterator_traitsISY_E10value_typeET2_T3_PNSZ_IS14_E10value_typeET4_jRbjT5_S1A_jjP12ihipStream_tbEUljE_EEESV_SW_SX_S14_S18_S1A_T6_T7_T9_mT8_S1C_bDpT10_ENKUlT_T0_E_clISt17integral_constantIbLb1EES1P_EEDaS1K_S1L_EUlS1K_E_NS1_11comp_targetILNS1_3genE2ELNS1_11target_archE906ELNS1_3gpuE6ELNS1_3repE0EEENS1_30default_config_static_selectorELNS0_4arch9wavefront6targetE1EEEvSY_
    .private_segment_fixed_size: 0
    .sgpr_count:     4
    .sgpr_spill_count: 0
    .symbol:         _ZN7rocprim17ROCPRIM_400000_NS6detail17trampoline_kernelINS0_13select_configILj256ELj13ELNS0_17block_load_methodE3ELS4_3ELS4_3ELNS0_20block_scan_algorithmE0ELj4294967295EEENS1_25partition_config_selectorILNS1_17partition_subalgoE3EjNS0_10empty_typeEbEEZZNS1_14partition_implILS8_3ELb0ES6_jNS0_17counting_iteratorIjlEEPS9_SE_NS0_5tupleIJPjSE_EEENSF_IJSE_SE_EEES9_SG_JZNS1_25segmented_radix_sort_implINS0_14default_configELb0EPKfPfPKlPlN2at6native12_GLOBAL__N_18offset_tEEE10hipError_tPvRmT1_PNSt15iterator_traitsISY_E10value_typeET2_T3_PNSZ_IS14_E10value_typeET4_jRbjT5_S1A_jjP12ihipStream_tbEUljE_EEESV_SW_SX_S14_S18_S1A_T6_T7_T9_mT8_S1C_bDpT10_ENKUlT_T0_E_clISt17integral_constantIbLb1EES1P_EEDaS1K_S1L_EUlS1K_E_NS1_11comp_targetILNS1_3genE2ELNS1_11target_archE906ELNS1_3gpuE6ELNS1_3repE0EEENS1_30default_config_static_selectorELNS0_4arch9wavefront6targetE1EEEvSY_.kd
    .uniform_work_group_size: 1
    .uses_dynamic_stack: false
    .vgpr_count:     0
    .vgpr_spill_count: 0
    .wavefront_size: 64
  - .agpr_count:     0
    .args:
      - .offset:         0
        .size:           152
        .value_kind:     by_value
    .group_segment_fixed_size: 0
    .kernarg_segment_align: 8
    .kernarg_segment_size: 152
    .language:       OpenCL C
    .language_version:
      - 2
      - 0
    .max_flat_workgroup_size: 256
    .name:           _ZN7rocprim17ROCPRIM_400000_NS6detail17trampoline_kernelINS0_13select_configILj256ELj13ELNS0_17block_load_methodE3ELS4_3ELS4_3ELNS0_20block_scan_algorithmE0ELj4294967295EEENS1_25partition_config_selectorILNS1_17partition_subalgoE3EjNS0_10empty_typeEbEEZZNS1_14partition_implILS8_3ELb0ES6_jNS0_17counting_iteratorIjlEEPS9_SE_NS0_5tupleIJPjSE_EEENSF_IJSE_SE_EEES9_SG_JZNS1_25segmented_radix_sort_implINS0_14default_configELb0EPKfPfPKlPlN2at6native12_GLOBAL__N_18offset_tEEE10hipError_tPvRmT1_PNSt15iterator_traitsISY_E10value_typeET2_T3_PNSZ_IS14_E10value_typeET4_jRbjT5_S1A_jjP12ihipStream_tbEUljE_EEESV_SW_SX_S14_S18_S1A_T6_T7_T9_mT8_S1C_bDpT10_ENKUlT_T0_E_clISt17integral_constantIbLb1EES1P_EEDaS1K_S1L_EUlS1K_E_NS1_11comp_targetILNS1_3genE10ELNS1_11target_archE1200ELNS1_3gpuE4ELNS1_3repE0EEENS1_30default_config_static_selectorELNS0_4arch9wavefront6targetE1EEEvSY_
    .private_segment_fixed_size: 0
    .sgpr_count:     4
    .sgpr_spill_count: 0
    .symbol:         _ZN7rocprim17ROCPRIM_400000_NS6detail17trampoline_kernelINS0_13select_configILj256ELj13ELNS0_17block_load_methodE3ELS4_3ELS4_3ELNS0_20block_scan_algorithmE0ELj4294967295EEENS1_25partition_config_selectorILNS1_17partition_subalgoE3EjNS0_10empty_typeEbEEZZNS1_14partition_implILS8_3ELb0ES6_jNS0_17counting_iteratorIjlEEPS9_SE_NS0_5tupleIJPjSE_EEENSF_IJSE_SE_EEES9_SG_JZNS1_25segmented_radix_sort_implINS0_14default_configELb0EPKfPfPKlPlN2at6native12_GLOBAL__N_18offset_tEEE10hipError_tPvRmT1_PNSt15iterator_traitsISY_E10value_typeET2_T3_PNSZ_IS14_E10value_typeET4_jRbjT5_S1A_jjP12ihipStream_tbEUljE_EEESV_SW_SX_S14_S18_S1A_T6_T7_T9_mT8_S1C_bDpT10_ENKUlT_T0_E_clISt17integral_constantIbLb1EES1P_EEDaS1K_S1L_EUlS1K_E_NS1_11comp_targetILNS1_3genE10ELNS1_11target_archE1200ELNS1_3gpuE4ELNS1_3repE0EEENS1_30default_config_static_selectorELNS0_4arch9wavefront6targetE1EEEvSY_.kd
    .uniform_work_group_size: 1
    .uses_dynamic_stack: false
    .vgpr_count:     0
    .vgpr_spill_count: 0
    .wavefront_size: 64
  - .agpr_count:     0
    .args:
      - .offset:         0
        .size:           152
        .value_kind:     by_value
    .group_segment_fixed_size: 0
    .kernarg_segment_align: 8
    .kernarg_segment_size: 152
    .language:       OpenCL C
    .language_version:
      - 2
      - 0
    .max_flat_workgroup_size: 256
    .name:           _ZN7rocprim17ROCPRIM_400000_NS6detail17trampoline_kernelINS0_13select_configILj256ELj13ELNS0_17block_load_methodE3ELS4_3ELS4_3ELNS0_20block_scan_algorithmE0ELj4294967295EEENS1_25partition_config_selectorILNS1_17partition_subalgoE3EjNS0_10empty_typeEbEEZZNS1_14partition_implILS8_3ELb0ES6_jNS0_17counting_iteratorIjlEEPS9_SE_NS0_5tupleIJPjSE_EEENSF_IJSE_SE_EEES9_SG_JZNS1_25segmented_radix_sort_implINS0_14default_configELb0EPKfPfPKlPlN2at6native12_GLOBAL__N_18offset_tEEE10hipError_tPvRmT1_PNSt15iterator_traitsISY_E10value_typeET2_T3_PNSZ_IS14_E10value_typeET4_jRbjT5_S1A_jjP12ihipStream_tbEUljE_EEESV_SW_SX_S14_S18_S1A_T6_T7_T9_mT8_S1C_bDpT10_ENKUlT_T0_E_clISt17integral_constantIbLb1EES1P_EEDaS1K_S1L_EUlS1K_E_NS1_11comp_targetILNS1_3genE9ELNS1_11target_archE1100ELNS1_3gpuE3ELNS1_3repE0EEENS1_30default_config_static_selectorELNS0_4arch9wavefront6targetE1EEEvSY_
    .private_segment_fixed_size: 0
    .sgpr_count:     4
    .sgpr_spill_count: 0
    .symbol:         _ZN7rocprim17ROCPRIM_400000_NS6detail17trampoline_kernelINS0_13select_configILj256ELj13ELNS0_17block_load_methodE3ELS4_3ELS4_3ELNS0_20block_scan_algorithmE0ELj4294967295EEENS1_25partition_config_selectorILNS1_17partition_subalgoE3EjNS0_10empty_typeEbEEZZNS1_14partition_implILS8_3ELb0ES6_jNS0_17counting_iteratorIjlEEPS9_SE_NS0_5tupleIJPjSE_EEENSF_IJSE_SE_EEES9_SG_JZNS1_25segmented_radix_sort_implINS0_14default_configELb0EPKfPfPKlPlN2at6native12_GLOBAL__N_18offset_tEEE10hipError_tPvRmT1_PNSt15iterator_traitsISY_E10value_typeET2_T3_PNSZ_IS14_E10value_typeET4_jRbjT5_S1A_jjP12ihipStream_tbEUljE_EEESV_SW_SX_S14_S18_S1A_T6_T7_T9_mT8_S1C_bDpT10_ENKUlT_T0_E_clISt17integral_constantIbLb1EES1P_EEDaS1K_S1L_EUlS1K_E_NS1_11comp_targetILNS1_3genE9ELNS1_11target_archE1100ELNS1_3gpuE3ELNS1_3repE0EEENS1_30default_config_static_selectorELNS0_4arch9wavefront6targetE1EEEvSY_.kd
    .uniform_work_group_size: 1
    .uses_dynamic_stack: false
    .vgpr_count:     0
    .vgpr_spill_count: 0
    .wavefront_size: 64
  - .agpr_count:     0
    .args:
      - .offset:         0
        .size:           152
        .value_kind:     by_value
    .group_segment_fixed_size: 0
    .kernarg_segment_align: 8
    .kernarg_segment_size: 152
    .language:       OpenCL C
    .language_version:
      - 2
      - 0
    .max_flat_workgroup_size: 256
    .name:           _ZN7rocprim17ROCPRIM_400000_NS6detail17trampoline_kernelINS0_13select_configILj256ELj13ELNS0_17block_load_methodE3ELS4_3ELS4_3ELNS0_20block_scan_algorithmE0ELj4294967295EEENS1_25partition_config_selectorILNS1_17partition_subalgoE3EjNS0_10empty_typeEbEEZZNS1_14partition_implILS8_3ELb0ES6_jNS0_17counting_iteratorIjlEEPS9_SE_NS0_5tupleIJPjSE_EEENSF_IJSE_SE_EEES9_SG_JZNS1_25segmented_radix_sort_implINS0_14default_configELb0EPKfPfPKlPlN2at6native12_GLOBAL__N_18offset_tEEE10hipError_tPvRmT1_PNSt15iterator_traitsISY_E10value_typeET2_T3_PNSZ_IS14_E10value_typeET4_jRbjT5_S1A_jjP12ihipStream_tbEUljE_EEESV_SW_SX_S14_S18_S1A_T6_T7_T9_mT8_S1C_bDpT10_ENKUlT_T0_E_clISt17integral_constantIbLb1EES1P_EEDaS1K_S1L_EUlS1K_E_NS1_11comp_targetILNS1_3genE8ELNS1_11target_archE1030ELNS1_3gpuE2ELNS1_3repE0EEENS1_30default_config_static_selectorELNS0_4arch9wavefront6targetE1EEEvSY_
    .private_segment_fixed_size: 0
    .sgpr_count:     4
    .sgpr_spill_count: 0
    .symbol:         _ZN7rocprim17ROCPRIM_400000_NS6detail17trampoline_kernelINS0_13select_configILj256ELj13ELNS0_17block_load_methodE3ELS4_3ELS4_3ELNS0_20block_scan_algorithmE0ELj4294967295EEENS1_25partition_config_selectorILNS1_17partition_subalgoE3EjNS0_10empty_typeEbEEZZNS1_14partition_implILS8_3ELb0ES6_jNS0_17counting_iteratorIjlEEPS9_SE_NS0_5tupleIJPjSE_EEENSF_IJSE_SE_EEES9_SG_JZNS1_25segmented_radix_sort_implINS0_14default_configELb0EPKfPfPKlPlN2at6native12_GLOBAL__N_18offset_tEEE10hipError_tPvRmT1_PNSt15iterator_traitsISY_E10value_typeET2_T3_PNSZ_IS14_E10value_typeET4_jRbjT5_S1A_jjP12ihipStream_tbEUljE_EEESV_SW_SX_S14_S18_S1A_T6_T7_T9_mT8_S1C_bDpT10_ENKUlT_T0_E_clISt17integral_constantIbLb1EES1P_EEDaS1K_S1L_EUlS1K_E_NS1_11comp_targetILNS1_3genE8ELNS1_11target_archE1030ELNS1_3gpuE2ELNS1_3repE0EEENS1_30default_config_static_selectorELNS0_4arch9wavefront6targetE1EEEvSY_.kd
    .uniform_work_group_size: 1
    .uses_dynamic_stack: false
    .vgpr_count:     0
    .vgpr_spill_count: 0
    .wavefront_size: 64
  - .agpr_count:     0
    .args:
      - .offset:         0
        .size:           144
        .value_kind:     by_value
    .group_segment_fixed_size: 0
    .kernarg_segment_align: 8
    .kernarg_segment_size: 144
    .language:       OpenCL C
    .language_version:
      - 2
      - 0
    .max_flat_workgroup_size: 256
    .name:           _ZN7rocprim17ROCPRIM_400000_NS6detail17trampoline_kernelINS0_13select_configILj256ELj13ELNS0_17block_load_methodE3ELS4_3ELS4_3ELNS0_20block_scan_algorithmE0ELj4294967295EEENS1_25partition_config_selectorILNS1_17partition_subalgoE3EjNS0_10empty_typeEbEEZZNS1_14partition_implILS8_3ELb0ES6_jNS0_17counting_iteratorIjlEEPS9_SE_NS0_5tupleIJPjSE_EEENSF_IJSE_SE_EEES9_SG_JZNS1_25segmented_radix_sort_implINS0_14default_configELb0EPKfPfPKlPlN2at6native12_GLOBAL__N_18offset_tEEE10hipError_tPvRmT1_PNSt15iterator_traitsISY_E10value_typeET2_T3_PNSZ_IS14_E10value_typeET4_jRbjT5_S1A_jjP12ihipStream_tbEUljE_EEESV_SW_SX_S14_S18_S1A_T6_T7_T9_mT8_S1C_bDpT10_ENKUlT_T0_E_clISt17integral_constantIbLb1EES1O_IbLb0EEEEDaS1K_S1L_EUlS1K_E_NS1_11comp_targetILNS1_3genE0ELNS1_11target_archE4294967295ELNS1_3gpuE0ELNS1_3repE0EEENS1_30default_config_static_selectorELNS0_4arch9wavefront6targetE1EEEvSY_
    .private_segment_fixed_size: 0
    .sgpr_count:     4
    .sgpr_spill_count: 0
    .symbol:         _ZN7rocprim17ROCPRIM_400000_NS6detail17trampoline_kernelINS0_13select_configILj256ELj13ELNS0_17block_load_methodE3ELS4_3ELS4_3ELNS0_20block_scan_algorithmE0ELj4294967295EEENS1_25partition_config_selectorILNS1_17partition_subalgoE3EjNS0_10empty_typeEbEEZZNS1_14partition_implILS8_3ELb0ES6_jNS0_17counting_iteratorIjlEEPS9_SE_NS0_5tupleIJPjSE_EEENSF_IJSE_SE_EEES9_SG_JZNS1_25segmented_radix_sort_implINS0_14default_configELb0EPKfPfPKlPlN2at6native12_GLOBAL__N_18offset_tEEE10hipError_tPvRmT1_PNSt15iterator_traitsISY_E10value_typeET2_T3_PNSZ_IS14_E10value_typeET4_jRbjT5_S1A_jjP12ihipStream_tbEUljE_EEESV_SW_SX_S14_S18_S1A_T6_T7_T9_mT8_S1C_bDpT10_ENKUlT_T0_E_clISt17integral_constantIbLb1EES1O_IbLb0EEEEDaS1K_S1L_EUlS1K_E_NS1_11comp_targetILNS1_3genE0ELNS1_11target_archE4294967295ELNS1_3gpuE0ELNS1_3repE0EEENS1_30default_config_static_selectorELNS0_4arch9wavefront6targetE1EEEvSY_.kd
    .uniform_work_group_size: 1
    .uses_dynamic_stack: false
    .vgpr_count:     0
    .vgpr_spill_count: 0
    .wavefront_size: 64
  - .agpr_count:     0
    .args:
      - .offset:         0
        .size:           144
        .value_kind:     by_value
    .group_segment_fixed_size: 0
    .kernarg_segment_align: 8
    .kernarg_segment_size: 144
    .language:       OpenCL C
    .language_version:
      - 2
      - 0
    .max_flat_workgroup_size: 256
    .name:           _ZN7rocprim17ROCPRIM_400000_NS6detail17trampoline_kernelINS0_13select_configILj256ELj13ELNS0_17block_load_methodE3ELS4_3ELS4_3ELNS0_20block_scan_algorithmE0ELj4294967295EEENS1_25partition_config_selectorILNS1_17partition_subalgoE3EjNS0_10empty_typeEbEEZZNS1_14partition_implILS8_3ELb0ES6_jNS0_17counting_iteratorIjlEEPS9_SE_NS0_5tupleIJPjSE_EEENSF_IJSE_SE_EEES9_SG_JZNS1_25segmented_radix_sort_implINS0_14default_configELb0EPKfPfPKlPlN2at6native12_GLOBAL__N_18offset_tEEE10hipError_tPvRmT1_PNSt15iterator_traitsISY_E10value_typeET2_T3_PNSZ_IS14_E10value_typeET4_jRbjT5_S1A_jjP12ihipStream_tbEUljE_EEESV_SW_SX_S14_S18_S1A_T6_T7_T9_mT8_S1C_bDpT10_ENKUlT_T0_E_clISt17integral_constantIbLb1EES1O_IbLb0EEEEDaS1K_S1L_EUlS1K_E_NS1_11comp_targetILNS1_3genE5ELNS1_11target_archE942ELNS1_3gpuE9ELNS1_3repE0EEENS1_30default_config_static_selectorELNS0_4arch9wavefront6targetE1EEEvSY_
    .private_segment_fixed_size: 0
    .sgpr_count:     4
    .sgpr_spill_count: 0
    .symbol:         _ZN7rocprim17ROCPRIM_400000_NS6detail17trampoline_kernelINS0_13select_configILj256ELj13ELNS0_17block_load_methodE3ELS4_3ELS4_3ELNS0_20block_scan_algorithmE0ELj4294967295EEENS1_25partition_config_selectorILNS1_17partition_subalgoE3EjNS0_10empty_typeEbEEZZNS1_14partition_implILS8_3ELb0ES6_jNS0_17counting_iteratorIjlEEPS9_SE_NS0_5tupleIJPjSE_EEENSF_IJSE_SE_EEES9_SG_JZNS1_25segmented_radix_sort_implINS0_14default_configELb0EPKfPfPKlPlN2at6native12_GLOBAL__N_18offset_tEEE10hipError_tPvRmT1_PNSt15iterator_traitsISY_E10value_typeET2_T3_PNSZ_IS14_E10value_typeET4_jRbjT5_S1A_jjP12ihipStream_tbEUljE_EEESV_SW_SX_S14_S18_S1A_T6_T7_T9_mT8_S1C_bDpT10_ENKUlT_T0_E_clISt17integral_constantIbLb1EES1O_IbLb0EEEEDaS1K_S1L_EUlS1K_E_NS1_11comp_targetILNS1_3genE5ELNS1_11target_archE942ELNS1_3gpuE9ELNS1_3repE0EEENS1_30default_config_static_selectorELNS0_4arch9wavefront6targetE1EEEvSY_.kd
    .uniform_work_group_size: 1
    .uses_dynamic_stack: false
    .vgpr_count:     0
    .vgpr_spill_count: 0
    .wavefront_size: 64
  - .agpr_count:     0
    .args:
      - .offset:         0
        .size:           144
        .value_kind:     by_value
    .group_segment_fixed_size: 13324
    .kernarg_segment_align: 8
    .kernarg_segment_size: 144
    .language:       OpenCL C
    .language_version:
      - 2
      - 0
    .max_flat_workgroup_size: 256
    .name:           _ZN7rocprim17ROCPRIM_400000_NS6detail17trampoline_kernelINS0_13select_configILj256ELj13ELNS0_17block_load_methodE3ELS4_3ELS4_3ELNS0_20block_scan_algorithmE0ELj4294967295EEENS1_25partition_config_selectorILNS1_17partition_subalgoE3EjNS0_10empty_typeEbEEZZNS1_14partition_implILS8_3ELb0ES6_jNS0_17counting_iteratorIjlEEPS9_SE_NS0_5tupleIJPjSE_EEENSF_IJSE_SE_EEES9_SG_JZNS1_25segmented_radix_sort_implINS0_14default_configELb0EPKfPfPKlPlN2at6native12_GLOBAL__N_18offset_tEEE10hipError_tPvRmT1_PNSt15iterator_traitsISY_E10value_typeET2_T3_PNSZ_IS14_E10value_typeET4_jRbjT5_S1A_jjP12ihipStream_tbEUljE_EEESV_SW_SX_S14_S18_S1A_T6_T7_T9_mT8_S1C_bDpT10_ENKUlT_T0_E_clISt17integral_constantIbLb1EES1O_IbLb0EEEEDaS1K_S1L_EUlS1K_E_NS1_11comp_targetILNS1_3genE4ELNS1_11target_archE910ELNS1_3gpuE8ELNS1_3repE0EEENS1_30default_config_static_selectorELNS0_4arch9wavefront6targetE1EEEvSY_
    .private_segment_fixed_size: 0
    .sgpr_count:     50
    .sgpr_spill_count: 0
    .symbol:         _ZN7rocprim17ROCPRIM_400000_NS6detail17trampoline_kernelINS0_13select_configILj256ELj13ELNS0_17block_load_methodE3ELS4_3ELS4_3ELNS0_20block_scan_algorithmE0ELj4294967295EEENS1_25partition_config_selectorILNS1_17partition_subalgoE3EjNS0_10empty_typeEbEEZZNS1_14partition_implILS8_3ELb0ES6_jNS0_17counting_iteratorIjlEEPS9_SE_NS0_5tupleIJPjSE_EEENSF_IJSE_SE_EEES9_SG_JZNS1_25segmented_radix_sort_implINS0_14default_configELb0EPKfPfPKlPlN2at6native12_GLOBAL__N_18offset_tEEE10hipError_tPvRmT1_PNSt15iterator_traitsISY_E10value_typeET2_T3_PNSZ_IS14_E10value_typeET4_jRbjT5_S1A_jjP12ihipStream_tbEUljE_EEESV_SW_SX_S14_S18_S1A_T6_T7_T9_mT8_S1C_bDpT10_ENKUlT_T0_E_clISt17integral_constantIbLb1EES1O_IbLb0EEEEDaS1K_S1L_EUlS1K_E_NS1_11comp_targetILNS1_3genE4ELNS1_11target_archE910ELNS1_3gpuE8ELNS1_3repE0EEENS1_30default_config_static_selectorELNS0_4arch9wavefront6targetE1EEEvSY_.kd
    .uniform_work_group_size: 1
    .uses_dynamic_stack: false
    .vgpr_count:     61
    .vgpr_spill_count: 0
    .wavefront_size: 64
  - .agpr_count:     0
    .args:
      - .offset:         0
        .size:           144
        .value_kind:     by_value
    .group_segment_fixed_size: 0
    .kernarg_segment_align: 8
    .kernarg_segment_size: 144
    .language:       OpenCL C
    .language_version:
      - 2
      - 0
    .max_flat_workgroup_size: 256
    .name:           _ZN7rocprim17ROCPRIM_400000_NS6detail17trampoline_kernelINS0_13select_configILj256ELj13ELNS0_17block_load_methodE3ELS4_3ELS4_3ELNS0_20block_scan_algorithmE0ELj4294967295EEENS1_25partition_config_selectorILNS1_17partition_subalgoE3EjNS0_10empty_typeEbEEZZNS1_14partition_implILS8_3ELb0ES6_jNS0_17counting_iteratorIjlEEPS9_SE_NS0_5tupleIJPjSE_EEENSF_IJSE_SE_EEES9_SG_JZNS1_25segmented_radix_sort_implINS0_14default_configELb0EPKfPfPKlPlN2at6native12_GLOBAL__N_18offset_tEEE10hipError_tPvRmT1_PNSt15iterator_traitsISY_E10value_typeET2_T3_PNSZ_IS14_E10value_typeET4_jRbjT5_S1A_jjP12ihipStream_tbEUljE_EEESV_SW_SX_S14_S18_S1A_T6_T7_T9_mT8_S1C_bDpT10_ENKUlT_T0_E_clISt17integral_constantIbLb1EES1O_IbLb0EEEEDaS1K_S1L_EUlS1K_E_NS1_11comp_targetILNS1_3genE3ELNS1_11target_archE908ELNS1_3gpuE7ELNS1_3repE0EEENS1_30default_config_static_selectorELNS0_4arch9wavefront6targetE1EEEvSY_
    .private_segment_fixed_size: 0
    .sgpr_count:     4
    .sgpr_spill_count: 0
    .symbol:         _ZN7rocprim17ROCPRIM_400000_NS6detail17trampoline_kernelINS0_13select_configILj256ELj13ELNS0_17block_load_methodE3ELS4_3ELS4_3ELNS0_20block_scan_algorithmE0ELj4294967295EEENS1_25partition_config_selectorILNS1_17partition_subalgoE3EjNS0_10empty_typeEbEEZZNS1_14partition_implILS8_3ELb0ES6_jNS0_17counting_iteratorIjlEEPS9_SE_NS0_5tupleIJPjSE_EEENSF_IJSE_SE_EEES9_SG_JZNS1_25segmented_radix_sort_implINS0_14default_configELb0EPKfPfPKlPlN2at6native12_GLOBAL__N_18offset_tEEE10hipError_tPvRmT1_PNSt15iterator_traitsISY_E10value_typeET2_T3_PNSZ_IS14_E10value_typeET4_jRbjT5_S1A_jjP12ihipStream_tbEUljE_EEESV_SW_SX_S14_S18_S1A_T6_T7_T9_mT8_S1C_bDpT10_ENKUlT_T0_E_clISt17integral_constantIbLb1EES1O_IbLb0EEEEDaS1K_S1L_EUlS1K_E_NS1_11comp_targetILNS1_3genE3ELNS1_11target_archE908ELNS1_3gpuE7ELNS1_3repE0EEENS1_30default_config_static_selectorELNS0_4arch9wavefront6targetE1EEEvSY_.kd
    .uniform_work_group_size: 1
    .uses_dynamic_stack: false
    .vgpr_count:     0
    .vgpr_spill_count: 0
    .wavefront_size: 64
  - .agpr_count:     0
    .args:
      - .offset:         0
        .size:           144
        .value_kind:     by_value
    .group_segment_fixed_size: 0
    .kernarg_segment_align: 8
    .kernarg_segment_size: 144
    .language:       OpenCL C
    .language_version:
      - 2
      - 0
    .max_flat_workgroup_size: 256
    .name:           _ZN7rocprim17ROCPRIM_400000_NS6detail17trampoline_kernelINS0_13select_configILj256ELj13ELNS0_17block_load_methodE3ELS4_3ELS4_3ELNS0_20block_scan_algorithmE0ELj4294967295EEENS1_25partition_config_selectorILNS1_17partition_subalgoE3EjNS0_10empty_typeEbEEZZNS1_14partition_implILS8_3ELb0ES6_jNS0_17counting_iteratorIjlEEPS9_SE_NS0_5tupleIJPjSE_EEENSF_IJSE_SE_EEES9_SG_JZNS1_25segmented_radix_sort_implINS0_14default_configELb0EPKfPfPKlPlN2at6native12_GLOBAL__N_18offset_tEEE10hipError_tPvRmT1_PNSt15iterator_traitsISY_E10value_typeET2_T3_PNSZ_IS14_E10value_typeET4_jRbjT5_S1A_jjP12ihipStream_tbEUljE_EEESV_SW_SX_S14_S18_S1A_T6_T7_T9_mT8_S1C_bDpT10_ENKUlT_T0_E_clISt17integral_constantIbLb1EES1O_IbLb0EEEEDaS1K_S1L_EUlS1K_E_NS1_11comp_targetILNS1_3genE2ELNS1_11target_archE906ELNS1_3gpuE6ELNS1_3repE0EEENS1_30default_config_static_selectorELNS0_4arch9wavefront6targetE1EEEvSY_
    .private_segment_fixed_size: 0
    .sgpr_count:     4
    .sgpr_spill_count: 0
    .symbol:         _ZN7rocprim17ROCPRIM_400000_NS6detail17trampoline_kernelINS0_13select_configILj256ELj13ELNS0_17block_load_methodE3ELS4_3ELS4_3ELNS0_20block_scan_algorithmE0ELj4294967295EEENS1_25partition_config_selectorILNS1_17partition_subalgoE3EjNS0_10empty_typeEbEEZZNS1_14partition_implILS8_3ELb0ES6_jNS0_17counting_iteratorIjlEEPS9_SE_NS0_5tupleIJPjSE_EEENSF_IJSE_SE_EEES9_SG_JZNS1_25segmented_radix_sort_implINS0_14default_configELb0EPKfPfPKlPlN2at6native12_GLOBAL__N_18offset_tEEE10hipError_tPvRmT1_PNSt15iterator_traitsISY_E10value_typeET2_T3_PNSZ_IS14_E10value_typeET4_jRbjT5_S1A_jjP12ihipStream_tbEUljE_EEESV_SW_SX_S14_S18_S1A_T6_T7_T9_mT8_S1C_bDpT10_ENKUlT_T0_E_clISt17integral_constantIbLb1EES1O_IbLb0EEEEDaS1K_S1L_EUlS1K_E_NS1_11comp_targetILNS1_3genE2ELNS1_11target_archE906ELNS1_3gpuE6ELNS1_3repE0EEENS1_30default_config_static_selectorELNS0_4arch9wavefront6targetE1EEEvSY_.kd
    .uniform_work_group_size: 1
    .uses_dynamic_stack: false
    .vgpr_count:     0
    .vgpr_spill_count: 0
    .wavefront_size: 64
  - .agpr_count:     0
    .args:
      - .offset:         0
        .size:           144
        .value_kind:     by_value
    .group_segment_fixed_size: 0
    .kernarg_segment_align: 8
    .kernarg_segment_size: 144
    .language:       OpenCL C
    .language_version:
      - 2
      - 0
    .max_flat_workgroup_size: 256
    .name:           _ZN7rocprim17ROCPRIM_400000_NS6detail17trampoline_kernelINS0_13select_configILj256ELj13ELNS0_17block_load_methodE3ELS4_3ELS4_3ELNS0_20block_scan_algorithmE0ELj4294967295EEENS1_25partition_config_selectorILNS1_17partition_subalgoE3EjNS0_10empty_typeEbEEZZNS1_14partition_implILS8_3ELb0ES6_jNS0_17counting_iteratorIjlEEPS9_SE_NS0_5tupleIJPjSE_EEENSF_IJSE_SE_EEES9_SG_JZNS1_25segmented_radix_sort_implINS0_14default_configELb0EPKfPfPKlPlN2at6native12_GLOBAL__N_18offset_tEEE10hipError_tPvRmT1_PNSt15iterator_traitsISY_E10value_typeET2_T3_PNSZ_IS14_E10value_typeET4_jRbjT5_S1A_jjP12ihipStream_tbEUljE_EEESV_SW_SX_S14_S18_S1A_T6_T7_T9_mT8_S1C_bDpT10_ENKUlT_T0_E_clISt17integral_constantIbLb1EES1O_IbLb0EEEEDaS1K_S1L_EUlS1K_E_NS1_11comp_targetILNS1_3genE10ELNS1_11target_archE1200ELNS1_3gpuE4ELNS1_3repE0EEENS1_30default_config_static_selectorELNS0_4arch9wavefront6targetE1EEEvSY_
    .private_segment_fixed_size: 0
    .sgpr_count:     4
    .sgpr_spill_count: 0
    .symbol:         _ZN7rocprim17ROCPRIM_400000_NS6detail17trampoline_kernelINS0_13select_configILj256ELj13ELNS0_17block_load_methodE3ELS4_3ELS4_3ELNS0_20block_scan_algorithmE0ELj4294967295EEENS1_25partition_config_selectorILNS1_17partition_subalgoE3EjNS0_10empty_typeEbEEZZNS1_14partition_implILS8_3ELb0ES6_jNS0_17counting_iteratorIjlEEPS9_SE_NS0_5tupleIJPjSE_EEENSF_IJSE_SE_EEES9_SG_JZNS1_25segmented_radix_sort_implINS0_14default_configELb0EPKfPfPKlPlN2at6native12_GLOBAL__N_18offset_tEEE10hipError_tPvRmT1_PNSt15iterator_traitsISY_E10value_typeET2_T3_PNSZ_IS14_E10value_typeET4_jRbjT5_S1A_jjP12ihipStream_tbEUljE_EEESV_SW_SX_S14_S18_S1A_T6_T7_T9_mT8_S1C_bDpT10_ENKUlT_T0_E_clISt17integral_constantIbLb1EES1O_IbLb0EEEEDaS1K_S1L_EUlS1K_E_NS1_11comp_targetILNS1_3genE10ELNS1_11target_archE1200ELNS1_3gpuE4ELNS1_3repE0EEENS1_30default_config_static_selectorELNS0_4arch9wavefront6targetE1EEEvSY_.kd
    .uniform_work_group_size: 1
    .uses_dynamic_stack: false
    .vgpr_count:     0
    .vgpr_spill_count: 0
    .wavefront_size: 64
  - .agpr_count:     0
    .args:
      - .offset:         0
        .size:           144
        .value_kind:     by_value
    .group_segment_fixed_size: 0
    .kernarg_segment_align: 8
    .kernarg_segment_size: 144
    .language:       OpenCL C
    .language_version:
      - 2
      - 0
    .max_flat_workgroup_size: 256
    .name:           _ZN7rocprim17ROCPRIM_400000_NS6detail17trampoline_kernelINS0_13select_configILj256ELj13ELNS0_17block_load_methodE3ELS4_3ELS4_3ELNS0_20block_scan_algorithmE0ELj4294967295EEENS1_25partition_config_selectorILNS1_17partition_subalgoE3EjNS0_10empty_typeEbEEZZNS1_14partition_implILS8_3ELb0ES6_jNS0_17counting_iteratorIjlEEPS9_SE_NS0_5tupleIJPjSE_EEENSF_IJSE_SE_EEES9_SG_JZNS1_25segmented_radix_sort_implINS0_14default_configELb0EPKfPfPKlPlN2at6native12_GLOBAL__N_18offset_tEEE10hipError_tPvRmT1_PNSt15iterator_traitsISY_E10value_typeET2_T3_PNSZ_IS14_E10value_typeET4_jRbjT5_S1A_jjP12ihipStream_tbEUljE_EEESV_SW_SX_S14_S18_S1A_T6_T7_T9_mT8_S1C_bDpT10_ENKUlT_T0_E_clISt17integral_constantIbLb1EES1O_IbLb0EEEEDaS1K_S1L_EUlS1K_E_NS1_11comp_targetILNS1_3genE9ELNS1_11target_archE1100ELNS1_3gpuE3ELNS1_3repE0EEENS1_30default_config_static_selectorELNS0_4arch9wavefront6targetE1EEEvSY_
    .private_segment_fixed_size: 0
    .sgpr_count:     4
    .sgpr_spill_count: 0
    .symbol:         _ZN7rocprim17ROCPRIM_400000_NS6detail17trampoline_kernelINS0_13select_configILj256ELj13ELNS0_17block_load_methodE3ELS4_3ELS4_3ELNS0_20block_scan_algorithmE0ELj4294967295EEENS1_25partition_config_selectorILNS1_17partition_subalgoE3EjNS0_10empty_typeEbEEZZNS1_14partition_implILS8_3ELb0ES6_jNS0_17counting_iteratorIjlEEPS9_SE_NS0_5tupleIJPjSE_EEENSF_IJSE_SE_EEES9_SG_JZNS1_25segmented_radix_sort_implINS0_14default_configELb0EPKfPfPKlPlN2at6native12_GLOBAL__N_18offset_tEEE10hipError_tPvRmT1_PNSt15iterator_traitsISY_E10value_typeET2_T3_PNSZ_IS14_E10value_typeET4_jRbjT5_S1A_jjP12ihipStream_tbEUljE_EEESV_SW_SX_S14_S18_S1A_T6_T7_T9_mT8_S1C_bDpT10_ENKUlT_T0_E_clISt17integral_constantIbLb1EES1O_IbLb0EEEEDaS1K_S1L_EUlS1K_E_NS1_11comp_targetILNS1_3genE9ELNS1_11target_archE1100ELNS1_3gpuE3ELNS1_3repE0EEENS1_30default_config_static_selectorELNS0_4arch9wavefront6targetE1EEEvSY_.kd
    .uniform_work_group_size: 1
    .uses_dynamic_stack: false
    .vgpr_count:     0
    .vgpr_spill_count: 0
    .wavefront_size: 64
  - .agpr_count:     0
    .args:
      - .offset:         0
        .size:           144
        .value_kind:     by_value
    .group_segment_fixed_size: 0
    .kernarg_segment_align: 8
    .kernarg_segment_size: 144
    .language:       OpenCL C
    .language_version:
      - 2
      - 0
    .max_flat_workgroup_size: 256
    .name:           _ZN7rocprim17ROCPRIM_400000_NS6detail17trampoline_kernelINS0_13select_configILj256ELj13ELNS0_17block_load_methodE3ELS4_3ELS4_3ELNS0_20block_scan_algorithmE0ELj4294967295EEENS1_25partition_config_selectorILNS1_17partition_subalgoE3EjNS0_10empty_typeEbEEZZNS1_14partition_implILS8_3ELb0ES6_jNS0_17counting_iteratorIjlEEPS9_SE_NS0_5tupleIJPjSE_EEENSF_IJSE_SE_EEES9_SG_JZNS1_25segmented_radix_sort_implINS0_14default_configELb0EPKfPfPKlPlN2at6native12_GLOBAL__N_18offset_tEEE10hipError_tPvRmT1_PNSt15iterator_traitsISY_E10value_typeET2_T3_PNSZ_IS14_E10value_typeET4_jRbjT5_S1A_jjP12ihipStream_tbEUljE_EEESV_SW_SX_S14_S18_S1A_T6_T7_T9_mT8_S1C_bDpT10_ENKUlT_T0_E_clISt17integral_constantIbLb1EES1O_IbLb0EEEEDaS1K_S1L_EUlS1K_E_NS1_11comp_targetILNS1_3genE8ELNS1_11target_archE1030ELNS1_3gpuE2ELNS1_3repE0EEENS1_30default_config_static_selectorELNS0_4arch9wavefront6targetE1EEEvSY_
    .private_segment_fixed_size: 0
    .sgpr_count:     4
    .sgpr_spill_count: 0
    .symbol:         _ZN7rocprim17ROCPRIM_400000_NS6detail17trampoline_kernelINS0_13select_configILj256ELj13ELNS0_17block_load_methodE3ELS4_3ELS4_3ELNS0_20block_scan_algorithmE0ELj4294967295EEENS1_25partition_config_selectorILNS1_17partition_subalgoE3EjNS0_10empty_typeEbEEZZNS1_14partition_implILS8_3ELb0ES6_jNS0_17counting_iteratorIjlEEPS9_SE_NS0_5tupleIJPjSE_EEENSF_IJSE_SE_EEES9_SG_JZNS1_25segmented_radix_sort_implINS0_14default_configELb0EPKfPfPKlPlN2at6native12_GLOBAL__N_18offset_tEEE10hipError_tPvRmT1_PNSt15iterator_traitsISY_E10value_typeET2_T3_PNSZ_IS14_E10value_typeET4_jRbjT5_S1A_jjP12ihipStream_tbEUljE_EEESV_SW_SX_S14_S18_S1A_T6_T7_T9_mT8_S1C_bDpT10_ENKUlT_T0_E_clISt17integral_constantIbLb1EES1O_IbLb0EEEEDaS1K_S1L_EUlS1K_E_NS1_11comp_targetILNS1_3genE8ELNS1_11target_archE1030ELNS1_3gpuE2ELNS1_3repE0EEENS1_30default_config_static_selectorELNS0_4arch9wavefront6targetE1EEEvSY_.kd
    .uniform_work_group_size: 1
    .uses_dynamic_stack: false
    .vgpr_count:     0
    .vgpr_spill_count: 0
    .wavefront_size: 64
  - .agpr_count:     0
    .args:
      - .offset:         0
        .size:           152
        .value_kind:     by_value
    .group_segment_fixed_size: 0
    .kernarg_segment_align: 8
    .kernarg_segment_size: 152
    .language:       OpenCL C
    .language_version:
      - 2
      - 0
    .max_flat_workgroup_size: 256
    .name:           _ZN7rocprim17ROCPRIM_400000_NS6detail17trampoline_kernelINS0_13select_configILj256ELj13ELNS0_17block_load_methodE3ELS4_3ELS4_3ELNS0_20block_scan_algorithmE0ELj4294967295EEENS1_25partition_config_selectorILNS1_17partition_subalgoE3EjNS0_10empty_typeEbEEZZNS1_14partition_implILS8_3ELb0ES6_jNS0_17counting_iteratorIjlEEPS9_SE_NS0_5tupleIJPjSE_EEENSF_IJSE_SE_EEES9_SG_JZNS1_25segmented_radix_sort_implINS0_14default_configELb0EPKfPfPKlPlN2at6native12_GLOBAL__N_18offset_tEEE10hipError_tPvRmT1_PNSt15iterator_traitsISY_E10value_typeET2_T3_PNSZ_IS14_E10value_typeET4_jRbjT5_S1A_jjP12ihipStream_tbEUljE_EEESV_SW_SX_S14_S18_S1A_T6_T7_T9_mT8_S1C_bDpT10_ENKUlT_T0_E_clISt17integral_constantIbLb0EES1O_IbLb1EEEEDaS1K_S1L_EUlS1K_E_NS1_11comp_targetILNS1_3genE0ELNS1_11target_archE4294967295ELNS1_3gpuE0ELNS1_3repE0EEENS1_30default_config_static_selectorELNS0_4arch9wavefront6targetE1EEEvSY_
    .private_segment_fixed_size: 0
    .sgpr_count:     4
    .sgpr_spill_count: 0
    .symbol:         _ZN7rocprim17ROCPRIM_400000_NS6detail17trampoline_kernelINS0_13select_configILj256ELj13ELNS0_17block_load_methodE3ELS4_3ELS4_3ELNS0_20block_scan_algorithmE0ELj4294967295EEENS1_25partition_config_selectorILNS1_17partition_subalgoE3EjNS0_10empty_typeEbEEZZNS1_14partition_implILS8_3ELb0ES6_jNS0_17counting_iteratorIjlEEPS9_SE_NS0_5tupleIJPjSE_EEENSF_IJSE_SE_EEES9_SG_JZNS1_25segmented_radix_sort_implINS0_14default_configELb0EPKfPfPKlPlN2at6native12_GLOBAL__N_18offset_tEEE10hipError_tPvRmT1_PNSt15iterator_traitsISY_E10value_typeET2_T3_PNSZ_IS14_E10value_typeET4_jRbjT5_S1A_jjP12ihipStream_tbEUljE_EEESV_SW_SX_S14_S18_S1A_T6_T7_T9_mT8_S1C_bDpT10_ENKUlT_T0_E_clISt17integral_constantIbLb0EES1O_IbLb1EEEEDaS1K_S1L_EUlS1K_E_NS1_11comp_targetILNS1_3genE0ELNS1_11target_archE4294967295ELNS1_3gpuE0ELNS1_3repE0EEENS1_30default_config_static_selectorELNS0_4arch9wavefront6targetE1EEEvSY_.kd
    .uniform_work_group_size: 1
    .uses_dynamic_stack: false
    .vgpr_count:     0
    .vgpr_spill_count: 0
    .wavefront_size: 64
  - .agpr_count:     0
    .args:
      - .offset:         0
        .size:           152
        .value_kind:     by_value
    .group_segment_fixed_size: 0
    .kernarg_segment_align: 8
    .kernarg_segment_size: 152
    .language:       OpenCL C
    .language_version:
      - 2
      - 0
    .max_flat_workgroup_size: 256
    .name:           _ZN7rocprim17ROCPRIM_400000_NS6detail17trampoline_kernelINS0_13select_configILj256ELj13ELNS0_17block_load_methodE3ELS4_3ELS4_3ELNS0_20block_scan_algorithmE0ELj4294967295EEENS1_25partition_config_selectorILNS1_17partition_subalgoE3EjNS0_10empty_typeEbEEZZNS1_14partition_implILS8_3ELb0ES6_jNS0_17counting_iteratorIjlEEPS9_SE_NS0_5tupleIJPjSE_EEENSF_IJSE_SE_EEES9_SG_JZNS1_25segmented_radix_sort_implINS0_14default_configELb0EPKfPfPKlPlN2at6native12_GLOBAL__N_18offset_tEEE10hipError_tPvRmT1_PNSt15iterator_traitsISY_E10value_typeET2_T3_PNSZ_IS14_E10value_typeET4_jRbjT5_S1A_jjP12ihipStream_tbEUljE_EEESV_SW_SX_S14_S18_S1A_T6_T7_T9_mT8_S1C_bDpT10_ENKUlT_T0_E_clISt17integral_constantIbLb0EES1O_IbLb1EEEEDaS1K_S1L_EUlS1K_E_NS1_11comp_targetILNS1_3genE5ELNS1_11target_archE942ELNS1_3gpuE9ELNS1_3repE0EEENS1_30default_config_static_selectorELNS0_4arch9wavefront6targetE1EEEvSY_
    .private_segment_fixed_size: 0
    .sgpr_count:     4
    .sgpr_spill_count: 0
    .symbol:         _ZN7rocprim17ROCPRIM_400000_NS6detail17trampoline_kernelINS0_13select_configILj256ELj13ELNS0_17block_load_methodE3ELS4_3ELS4_3ELNS0_20block_scan_algorithmE0ELj4294967295EEENS1_25partition_config_selectorILNS1_17partition_subalgoE3EjNS0_10empty_typeEbEEZZNS1_14partition_implILS8_3ELb0ES6_jNS0_17counting_iteratorIjlEEPS9_SE_NS0_5tupleIJPjSE_EEENSF_IJSE_SE_EEES9_SG_JZNS1_25segmented_radix_sort_implINS0_14default_configELb0EPKfPfPKlPlN2at6native12_GLOBAL__N_18offset_tEEE10hipError_tPvRmT1_PNSt15iterator_traitsISY_E10value_typeET2_T3_PNSZ_IS14_E10value_typeET4_jRbjT5_S1A_jjP12ihipStream_tbEUljE_EEESV_SW_SX_S14_S18_S1A_T6_T7_T9_mT8_S1C_bDpT10_ENKUlT_T0_E_clISt17integral_constantIbLb0EES1O_IbLb1EEEEDaS1K_S1L_EUlS1K_E_NS1_11comp_targetILNS1_3genE5ELNS1_11target_archE942ELNS1_3gpuE9ELNS1_3repE0EEENS1_30default_config_static_selectorELNS0_4arch9wavefront6targetE1EEEvSY_.kd
    .uniform_work_group_size: 1
    .uses_dynamic_stack: false
    .vgpr_count:     0
    .vgpr_spill_count: 0
    .wavefront_size: 64
  - .agpr_count:     0
    .args:
      - .offset:         0
        .size:           152
        .value_kind:     by_value
    .group_segment_fixed_size: 13324
    .kernarg_segment_align: 8
    .kernarg_segment_size: 152
    .language:       OpenCL C
    .language_version:
      - 2
      - 0
    .max_flat_workgroup_size: 256
    .name:           _ZN7rocprim17ROCPRIM_400000_NS6detail17trampoline_kernelINS0_13select_configILj256ELj13ELNS0_17block_load_methodE3ELS4_3ELS4_3ELNS0_20block_scan_algorithmE0ELj4294967295EEENS1_25partition_config_selectorILNS1_17partition_subalgoE3EjNS0_10empty_typeEbEEZZNS1_14partition_implILS8_3ELb0ES6_jNS0_17counting_iteratorIjlEEPS9_SE_NS0_5tupleIJPjSE_EEENSF_IJSE_SE_EEES9_SG_JZNS1_25segmented_radix_sort_implINS0_14default_configELb0EPKfPfPKlPlN2at6native12_GLOBAL__N_18offset_tEEE10hipError_tPvRmT1_PNSt15iterator_traitsISY_E10value_typeET2_T3_PNSZ_IS14_E10value_typeET4_jRbjT5_S1A_jjP12ihipStream_tbEUljE_EEESV_SW_SX_S14_S18_S1A_T6_T7_T9_mT8_S1C_bDpT10_ENKUlT_T0_E_clISt17integral_constantIbLb0EES1O_IbLb1EEEEDaS1K_S1L_EUlS1K_E_NS1_11comp_targetILNS1_3genE4ELNS1_11target_archE910ELNS1_3gpuE8ELNS1_3repE0EEENS1_30default_config_static_selectorELNS0_4arch9wavefront6targetE1EEEvSY_
    .private_segment_fixed_size: 0
    .sgpr_count:     48
    .sgpr_spill_count: 0
    .symbol:         _ZN7rocprim17ROCPRIM_400000_NS6detail17trampoline_kernelINS0_13select_configILj256ELj13ELNS0_17block_load_methodE3ELS4_3ELS4_3ELNS0_20block_scan_algorithmE0ELj4294967295EEENS1_25partition_config_selectorILNS1_17partition_subalgoE3EjNS0_10empty_typeEbEEZZNS1_14partition_implILS8_3ELb0ES6_jNS0_17counting_iteratorIjlEEPS9_SE_NS0_5tupleIJPjSE_EEENSF_IJSE_SE_EEES9_SG_JZNS1_25segmented_radix_sort_implINS0_14default_configELb0EPKfPfPKlPlN2at6native12_GLOBAL__N_18offset_tEEE10hipError_tPvRmT1_PNSt15iterator_traitsISY_E10value_typeET2_T3_PNSZ_IS14_E10value_typeET4_jRbjT5_S1A_jjP12ihipStream_tbEUljE_EEESV_SW_SX_S14_S18_S1A_T6_T7_T9_mT8_S1C_bDpT10_ENKUlT_T0_E_clISt17integral_constantIbLb0EES1O_IbLb1EEEEDaS1K_S1L_EUlS1K_E_NS1_11comp_targetILNS1_3genE4ELNS1_11target_archE910ELNS1_3gpuE8ELNS1_3repE0EEENS1_30default_config_static_selectorELNS0_4arch9wavefront6targetE1EEEvSY_.kd
    .uniform_work_group_size: 1
    .uses_dynamic_stack: false
    .vgpr_count:     64
    .vgpr_spill_count: 0
    .wavefront_size: 64
  - .agpr_count:     0
    .args:
      - .offset:         0
        .size:           152
        .value_kind:     by_value
    .group_segment_fixed_size: 0
    .kernarg_segment_align: 8
    .kernarg_segment_size: 152
    .language:       OpenCL C
    .language_version:
      - 2
      - 0
    .max_flat_workgroup_size: 256
    .name:           _ZN7rocprim17ROCPRIM_400000_NS6detail17trampoline_kernelINS0_13select_configILj256ELj13ELNS0_17block_load_methodE3ELS4_3ELS4_3ELNS0_20block_scan_algorithmE0ELj4294967295EEENS1_25partition_config_selectorILNS1_17partition_subalgoE3EjNS0_10empty_typeEbEEZZNS1_14partition_implILS8_3ELb0ES6_jNS0_17counting_iteratorIjlEEPS9_SE_NS0_5tupleIJPjSE_EEENSF_IJSE_SE_EEES9_SG_JZNS1_25segmented_radix_sort_implINS0_14default_configELb0EPKfPfPKlPlN2at6native12_GLOBAL__N_18offset_tEEE10hipError_tPvRmT1_PNSt15iterator_traitsISY_E10value_typeET2_T3_PNSZ_IS14_E10value_typeET4_jRbjT5_S1A_jjP12ihipStream_tbEUljE_EEESV_SW_SX_S14_S18_S1A_T6_T7_T9_mT8_S1C_bDpT10_ENKUlT_T0_E_clISt17integral_constantIbLb0EES1O_IbLb1EEEEDaS1K_S1L_EUlS1K_E_NS1_11comp_targetILNS1_3genE3ELNS1_11target_archE908ELNS1_3gpuE7ELNS1_3repE0EEENS1_30default_config_static_selectorELNS0_4arch9wavefront6targetE1EEEvSY_
    .private_segment_fixed_size: 0
    .sgpr_count:     4
    .sgpr_spill_count: 0
    .symbol:         _ZN7rocprim17ROCPRIM_400000_NS6detail17trampoline_kernelINS0_13select_configILj256ELj13ELNS0_17block_load_methodE3ELS4_3ELS4_3ELNS0_20block_scan_algorithmE0ELj4294967295EEENS1_25partition_config_selectorILNS1_17partition_subalgoE3EjNS0_10empty_typeEbEEZZNS1_14partition_implILS8_3ELb0ES6_jNS0_17counting_iteratorIjlEEPS9_SE_NS0_5tupleIJPjSE_EEENSF_IJSE_SE_EEES9_SG_JZNS1_25segmented_radix_sort_implINS0_14default_configELb0EPKfPfPKlPlN2at6native12_GLOBAL__N_18offset_tEEE10hipError_tPvRmT1_PNSt15iterator_traitsISY_E10value_typeET2_T3_PNSZ_IS14_E10value_typeET4_jRbjT5_S1A_jjP12ihipStream_tbEUljE_EEESV_SW_SX_S14_S18_S1A_T6_T7_T9_mT8_S1C_bDpT10_ENKUlT_T0_E_clISt17integral_constantIbLb0EES1O_IbLb1EEEEDaS1K_S1L_EUlS1K_E_NS1_11comp_targetILNS1_3genE3ELNS1_11target_archE908ELNS1_3gpuE7ELNS1_3repE0EEENS1_30default_config_static_selectorELNS0_4arch9wavefront6targetE1EEEvSY_.kd
    .uniform_work_group_size: 1
    .uses_dynamic_stack: false
    .vgpr_count:     0
    .vgpr_spill_count: 0
    .wavefront_size: 64
  - .agpr_count:     0
    .args:
      - .offset:         0
        .size:           152
        .value_kind:     by_value
    .group_segment_fixed_size: 0
    .kernarg_segment_align: 8
    .kernarg_segment_size: 152
    .language:       OpenCL C
    .language_version:
      - 2
      - 0
    .max_flat_workgroup_size: 256
    .name:           _ZN7rocprim17ROCPRIM_400000_NS6detail17trampoline_kernelINS0_13select_configILj256ELj13ELNS0_17block_load_methodE3ELS4_3ELS4_3ELNS0_20block_scan_algorithmE0ELj4294967295EEENS1_25partition_config_selectorILNS1_17partition_subalgoE3EjNS0_10empty_typeEbEEZZNS1_14partition_implILS8_3ELb0ES6_jNS0_17counting_iteratorIjlEEPS9_SE_NS0_5tupleIJPjSE_EEENSF_IJSE_SE_EEES9_SG_JZNS1_25segmented_radix_sort_implINS0_14default_configELb0EPKfPfPKlPlN2at6native12_GLOBAL__N_18offset_tEEE10hipError_tPvRmT1_PNSt15iterator_traitsISY_E10value_typeET2_T3_PNSZ_IS14_E10value_typeET4_jRbjT5_S1A_jjP12ihipStream_tbEUljE_EEESV_SW_SX_S14_S18_S1A_T6_T7_T9_mT8_S1C_bDpT10_ENKUlT_T0_E_clISt17integral_constantIbLb0EES1O_IbLb1EEEEDaS1K_S1L_EUlS1K_E_NS1_11comp_targetILNS1_3genE2ELNS1_11target_archE906ELNS1_3gpuE6ELNS1_3repE0EEENS1_30default_config_static_selectorELNS0_4arch9wavefront6targetE1EEEvSY_
    .private_segment_fixed_size: 0
    .sgpr_count:     4
    .sgpr_spill_count: 0
    .symbol:         _ZN7rocprim17ROCPRIM_400000_NS6detail17trampoline_kernelINS0_13select_configILj256ELj13ELNS0_17block_load_methodE3ELS4_3ELS4_3ELNS0_20block_scan_algorithmE0ELj4294967295EEENS1_25partition_config_selectorILNS1_17partition_subalgoE3EjNS0_10empty_typeEbEEZZNS1_14partition_implILS8_3ELb0ES6_jNS0_17counting_iteratorIjlEEPS9_SE_NS0_5tupleIJPjSE_EEENSF_IJSE_SE_EEES9_SG_JZNS1_25segmented_radix_sort_implINS0_14default_configELb0EPKfPfPKlPlN2at6native12_GLOBAL__N_18offset_tEEE10hipError_tPvRmT1_PNSt15iterator_traitsISY_E10value_typeET2_T3_PNSZ_IS14_E10value_typeET4_jRbjT5_S1A_jjP12ihipStream_tbEUljE_EEESV_SW_SX_S14_S18_S1A_T6_T7_T9_mT8_S1C_bDpT10_ENKUlT_T0_E_clISt17integral_constantIbLb0EES1O_IbLb1EEEEDaS1K_S1L_EUlS1K_E_NS1_11comp_targetILNS1_3genE2ELNS1_11target_archE906ELNS1_3gpuE6ELNS1_3repE0EEENS1_30default_config_static_selectorELNS0_4arch9wavefront6targetE1EEEvSY_.kd
    .uniform_work_group_size: 1
    .uses_dynamic_stack: false
    .vgpr_count:     0
    .vgpr_spill_count: 0
    .wavefront_size: 64
  - .agpr_count:     0
    .args:
      - .offset:         0
        .size:           152
        .value_kind:     by_value
    .group_segment_fixed_size: 0
    .kernarg_segment_align: 8
    .kernarg_segment_size: 152
    .language:       OpenCL C
    .language_version:
      - 2
      - 0
    .max_flat_workgroup_size: 256
    .name:           _ZN7rocprim17ROCPRIM_400000_NS6detail17trampoline_kernelINS0_13select_configILj256ELj13ELNS0_17block_load_methodE3ELS4_3ELS4_3ELNS0_20block_scan_algorithmE0ELj4294967295EEENS1_25partition_config_selectorILNS1_17partition_subalgoE3EjNS0_10empty_typeEbEEZZNS1_14partition_implILS8_3ELb0ES6_jNS0_17counting_iteratorIjlEEPS9_SE_NS0_5tupleIJPjSE_EEENSF_IJSE_SE_EEES9_SG_JZNS1_25segmented_radix_sort_implINS0_14default_configELb0EPKfPfPKlPlN2at6native12_GLOBAL__N_18offset_tEEE10hipError_tPvRmT1_PNSt15iterator_traitsISY_E10value_typeET2_T3_PNSZ_IS14_E10value_typeET4_jRbjT5_S1A_jjP12ihipStream_tbEUljE_EEESV_SW_SX_S14_S18_S1A_T6_T7_T9_mT8_S1C_bDpT10_ENKUlT_T0_E_clISt17integral_constantIbLb0EES1O_IbLb1EEEEDaS1K_S1L_EUlS1K_E_NS1_11comp_targetILNS1_3genE10ELNS1_11target_archE1200ELNS1_3gpuE4ELNS1_3repE0EEENS1_30default_config_static_selectorELNS0_4arch9wavefront6targetE1EEEvSY_
    .private_segment_fixed_size: 0
    .sgpr_count:     4
    .sgpr_spill_count: 0
    .symbol:         _ZN7rocprim17ROCPRIM_400000_NS6detail17trampoline_kernelINS0_13select_configILj256ELj13ELNS0_17block_load_methodE3ELS4_3ELS4_3ELNS0_20block_scan_algorithmE0ELj4294967295EEENS1_25partition_config_selectorILNS1_17partition_subalgoE3EjNS0_10empty_typeEbEEZZNS1_14partition_implILS8_3ELb0ES6_jNS0_17counting_iteratorIjlEEPS9_SE_NS0_5tupleIJPjSE_EEENSF_IJSE_SE_EEES9_SG_JZNS1_25segmented_radix_sort_implINS0_14default_configELb0EPKfPfPKlPlN2at6native12_GLOBAL__N_18offset_tEEE10hipError_tPvRmT1_PNSt15iterator_traitsISY_E10value_typeET2_T3_PNSZ_IS14_E10value_typeET4_jRbjT5_S1A_jjP12ihipStream_tbEUljE_EEESV_SW_SX_S14_S18_S1A_T6_T7_T9_mT8_S1C_bDpT10_ENKUlT_T0_E_clISt17integral_constantIbLb0EES1O_IbLb1EEEEDaS1K_S1L_EUlS1K_E_NS1_11comp_targetILNS1_3genE10ELNS1_11target_archE1200ELNS1_3gpuE4ELNS1_3repE0EEENS1_30default_config_static_selectorELNS0_4arch9wavefront6targetE1EEEvSY_.kd
    .uniform_work_group_size: 1
    .uses_dynamic_stack: false
    .vgpr_count:     0
    .vgpr_spill_count: 0
    .wavefront_size: 64
  - .agpr_count:     0
    .args:
      - .offset:         0
        .size:           152
        .value_kind:     by_value
    .group_segment_fixed_size: 0
    .kernarg_segment_align: 8
    .kernarg_segment_size: 152
    .language:       OpenCL C
    .language_version:
      - 2
      - 0
    .max_flat_workgroup_size: 256
    .name:           _ZN7rocprim17ROCPRIM_400000_NS6detail17trampoline_kernelINS0_13select_configILj256ELj13ELNS0_17block_load_methodE3ELS4_3ELS4_3ELNS0_20block_scan_algorithmE0ELj4294967295EEENS1_25partition_config_selectorILNS1_17partition_subalgoE3EjNS0_10empty_typeEbEEZZNS1_14partition_implILS8_3ELb0ES6_jNS0_17counting_iteratorIjlEEPS9_SE_NS0_5tupleIJPjSE_EEENSF_IJSE_SE_EEES9_SG_JZNS1_25segmented_radix_sort_implINS0_14default_configELb0EPKfPfPKlPlN2at6native12_GLOBAL__N_18offset_tEEE10hipError_tPvRmT1_PNSt15iterator_traitsISY_E10value_typeET2_T3_PNSZ_IS14_E10value_typeET4_jRbjT5_S1A_jjP12ihipStream_tbEUljE_EEESV_SW_SX_S14_S18_S1A_T6_T7_T9_mT8_S1C_bDpT10_ENKUlT_T0_E_clISt17integral_constantIbLb0EES1O_IbLb1EEEEDaS1K_S1L_EUlS1K_E_NS1_11comp_targetILNS1_3genE9ELNS1_11target_archE1100ELNS1_3gpuE3ELNS1_3repE0EEENS1_30default_config_static_selectorELNS0_4arch9wavefront6targetE1EEEvSY_
    .private_segment_fixed_size: 0
    .sgpr_count:     4
    .sgpr_spill_count: 0
    .symbol:         _ZN7rocprim17ROCPRIM_400000_NS6detail17trampoline_kernelINS0_13select_configILj256ELj13ELNS0_17block_load_methodE3ELS4_3ELS4_3ELNS0_20block_scan_algorithmE0ELj4294967295EEENS1_25partition_config_selectorILNS1_17partition_subalgoE3EjNS0_10empty_typeEbEEZZNS1_14partition_implILS8_3ELb0ES6_jNS0_17counting_iteratorIjlEEPS9_SE_NS0_5tupleIJPjSE_EEENSF_IJSE_SE_EEES9_SG_JZNS1_25segmented_radix_sort_implINS0_14default_configELb0EPKfPfPKlPlN2at6native12_GLOBAL__N_18offset_tEEE10hipError_tPvRmT1_PNSt15iterator_traitsISY_E10value_typeET2_T3_PNSZ_IS14_E10value_typeET4_jRbjT5_S1A_jjP12ihipStream_tbEUljE_EEESV_SW_SX_S14_S18_S1A_T6_T7_T9_mT8_S1C_bDpT10_ENKUlT_T0_E_clISt17integral_constantIbLb0EES1O_IbLb1EEEEDaS1K_S1L_EUlS1K_E_NS1_11comp_targetILNS1_3genE9ELNS1_11target_archE1100ELNS1_3gpuE3ELNS1_3repE0EEENS1_30default_config_static_selectorELNS0_4arch9wavefront6targetE1EEEvSY_.kd
    .uniform_work_group_size: 1
    .uses_dynamic_stack: false
    .vgpr_count:     0
    .vgpr_spill_count: 0
    .wavefront_size: 64
  - .agpr_count:     0
    .args:
      - .offset:         0
        .size:           152
        .value_kind:     by_value
    .group_segment_fixed_size: 0
    .kernarg_segment_align: 8
    .kernarg_segment_size: 152
    .language:       OpenCL C
    .language_version:
      - 2
      - 0
    .max_flat_workgroup_size: 256
    .name:           _ZN7rocprim17ROCPRIM_400000_NS6detail17trampoline_kernelINS0_13select_configILj256ELj13ELNS0_17block_load_methodE3ELS4_3ELS4_3ELNS0_20block_scan_algorithmE0ELj4294967295EEENS1_25partition_config_selectorILNS1_17partition_subalgoE3EjNS0_10empty_typeEbEEZZNS1_14partition_implILS8_3ELb0ES6_jNS0_17counting_iteratorIjlEEPS9_SE_NS0_5tupleIJPjSE_EEENSF_IJSE_SE_EEES9_SG_JZNS1_25segmented_radix_sort_implINS0_14default_configELb0EPKfPfPKlPlN2at6native12_GLOBAL__N_18offset_tEEE10hipError_tPvRmT1_PNSt15iterator_traitsISY_E10value_typeET2_T3_PNSZ_IS14_E10value_typeET4_jRbjT5_S1A_jjP12ihipStream_tbEUljE_EEESV_SW_SX_S14_S18_S1A_T6_T7_T9_mT8_S1C_bDpT10_ENKUlT_T0_E_clISt17integral_constantIbLb0EES1O_IbLb1EEEEDaS1K_S1L_EUlS1K_E_NS1_11comp_targetILNS1_3genE8ELNS1_11target_archE1030ELNS1_3gpuE2ELNS1_3repE0EEENS1_30default_config_static_selectorELNS0_4arch9wavefront6targetE1EEEvSY_
    .private_segment_fixed_size: 0
    .sgpr_count:     4
    .sgpr_spill_count: 0
    .symbol:         _ZN7rocprim17ROCPRIM_400000_NS6detail17trampoline_kernelINS0_13select_configILj256ELj13ELNS0_17block_load_methodE3ELS4_3ELS4_3ELNS0_20block_scan_algorithmE0ELj4294967295EEENS1_25partition_config_selectorILNS1_17partition_subalgoE3EjNS0_10empty_typeEbEEZZNS1_14partition_implILS8_3ELb0ES6_jNS0_17counting_iteratorIjlEEPS9_SE_NS0_5tupleIJPjSE_EEENSF_IJSE_SE_EEES9_SG_JZNS1_25segmented_radix_sort_implINS0_14default_configELb0EPKfPfPKlPlN2at6native12_GLOBAL__N_18offset_tEEE10hipError_tPvRmT1_PNSt15iterator_traitsISY_E10value_typeET2_T3_PNSZ_IS14_E10value_typeET4_jRbjT5_S1A_jjP12ihipStream_tbEUljE_EEESV_SW_SX_S14_S18_S1A_T6_T7_T9_mT8_S1C_bDpT10_ENKUlT_T0_E_clISt17integral_constantIbLb0EES1O_IbLb1EEEEDaS1K_S1L_EUlS1K_E_NS1_11comp_targetILNS1_3genE8ELNS1_11target_archE1030ELNS1_3gpuE2ELNS1_3repE0EEENS1_30default_config_static_selectorELNS0_4arch9wavefront6targetE1EEEvSY_.kd
    .uniform_work_group_size: 1
    .uses_dynamic_stack: false
    .vgpr_count:     0
    .vgpr_spill_count: 0
    .wavefront_size: 64
  - .agpr_count:     0
    .args:
      - .offset:         0
        .size:           96
        .value_kind:     by_value
    .group_segment_fixed_size: 0
    .kernarg_segment_align: 8
    .kernarg_segment_size: 96
    .language:       OpenCL C
    .language_version:
      - 2
      - 0
    .max_flat_workgroup_size: 256
    .name:           _ZN7rocprim17ROCPRIM_400000_NS6detail17trampoline_kernelINS0_14default_configENS1_36segmented_radix_sort_config_selectorIflEEZNS1_25segmented_radix_sort_implIS3_Lb0EPKfPfPKlPlN2at6native12_GLOBAL__N_18offset_tEEE10hipError_tPvRmT1_PNSt15iterator_traitsISK_E10value_typeET2_T3_PNSL_ISQ_E10value_typeET4_jRbjT5_SW_jjP12ihipStream_tbEUlT_E_NS1_11comp_targetILNS1_3genE0ELNS1_11target_archE4294967295ELNS1_3gpuE0ELNS1_3repE0EEENS1_30default_config_static_selectorELNS0_4arch9wavefront6targetE1EEEvSK_
    .private_segment_fixed_size: 0
    .sgpr_count:     4
    .sgpr_spill_count: 0
    .symbol:         _ZN7rocprim17ROCPRIM_400000_NS6detail17trampoline_kernelINS0_14default_configENS1_36segmented_radix_sort_config_selectorIflEEZNS1_25segmented_radix_sort_implIS3_Lb0EPKfPfPKlPlN2at6native12_GLOBAL__N_18offset_tEEE10hipError_tPvRmT1_PNSt15iterator_traitsISK_E10value_typeET2_T3_PNSL_ISQ_E10value_typeET4_jRbjT5_SW_jjP12ihipStream_tbEUlT_E_NS1_11comp_targetILNS1_3genE0ELNS1_11target_archE4294967295ELNS1_3gpuE0ELNS1_3repE0EEENS1_30default_config_static_selectorELNS0_4arch9wavefront6targetE1EEEvSK_.kd
    .uniform_work_group_size: 1
    .uses_dynamic_stack: false
    .vgpr_count:     0
    .vgpr_spill_count: 0
    .wavefront_size: 64
  - .agpr_count:     0
    .args:
      - .offset:         0
        .size:           96
        .value_kind:     by_value
    .group_segment_fixed_size: 0
    .kernarg_segment_align: 8
    .kernarg_segment_size: 96
    .language:       OpenCL C
    .language_version:
      - 2
      - 0
    .max_flat_workgroup_size: 256
    .name:           _ZN7rocprim17ROCPRIM_400000_NS6detail17trampoline_kernelINS0_14default_configENS1_36segmented_radix_sort_config_selectorIflEEZNS1_25segmented_radix_sort_implIS3_Lb0EPKfPfPKlPlN2at6native12_GLOBAL__N_18offset_tEEE10hipError_tPvRmT1_PNSt15iterator_traitsISK_E10value_typeET2_T3_PNSL_ISQ_E10value_typeET4_jRbjT5_SW_jjP12ihipStream_tbEUlT_E_NS1_11comp_targetILNS1_3genE5ELNS1_11target_archE942ELNS1_3gpuE9ELNS1_3repE0EEENS1_30default_config_static_selectorELNS0_4arch9wavefront6targetE1EEEvSK_
    .private_segment_fixed_size: 0
    .sgpr_count:     4
    .sgpr_spill_count: 0
    .symbol:         _ZN7rocprim17ROCPRIM_400000_NS6detail17trampoline_kernelINS0_14default_configENS1_36segmented_radix_sort_config_selectorIflEEZNS1_25segmented_radix_sort_implIS3_Lb0EPKfPfPKlPlN2at6native12_GLOBAL__N_18offset_tEEE10hipError_tPvRmT1_PNSt15iterator_traitsISK_E10value_typeET2_T3_PNSL_ISQ_E10value_typeET4_jRbjT5_SW_jjP12ihipStream_tbEUlT_E_NS1_11comp_targetILNS1_3genE5ELNS1_11target_archE942ELNS1_3gpuE9ELNS1_3repE0EEENS1_30default_config_static_selectorELNS0_4arch9wavefront6targetE1EEEvSK_.kd
    .uniform_work_group_size: 1
    .uses_dynamic_stack: false
    .vgpr_count:     0
    .vgpr_spill_count: 0
    .wavefront_size: 64
  - .agpr_count:     0
    .args:
      - .offset:         0
        .size:           96
        .value_kind:     by_value
      - .offset:         96
        .size:           4
        .value_kind:     hidden_block_count_x
      - .offset:         100
        .size:           4
        .value_kind:     hidden_block_count_y
      - .offset:         104
        .size:           4
        .value_kind:     hidden_block_count_z
      - .offset:         108
        .size:           2
        .value_kind:     hidden_group_size_x
      - .offset:         110
        .size:           2
        .value_kind:     hidden_group_size_y
      - .offset:         112
        .size:           2
        .value_kind:     hidden_group_size_z
      - .offset:         114
        .size:           2
        .value_kind:     hidden_remainder_x
      - .offset:         116
        .size:           2
        .value_kind:     hidden_remainder_y
      - .offset:         118
        .size:           2
        .value_kind:     hidden_remainder_z
      - .offset:         136
        .size:           8
        .value_kind:     hidden_global_offset_x
      - .offset:         144
        .size:           8
        .value_kind:     hidden_global_offset_y
      - .offset:         152
        .size:           8
        .value_kind:     hidden_global_offset_z
      - .offset:         160
        .size:           2
        .value_kind:     hidden_grid_dims
      - .offset:         176
        .size:           8
        .value_kind:     hidden_hostcall_buffer
      - .offset:         184
        .size:           8
        .value_kind:     hidden_multigrid_sync_arg
      - .offset:         192
        .size:           8
        .value_kind:     hidden_heap_v1
      - .offset:         200
        .size:           8
        .value_kind:     hidden_default_queue
      - .offset:         208
        .size:           8
        .value_kind:     hidden_completion_action
      - .offset:         296
        .size:           8
        .value_kind:     hidden_queue_ptr
    .group_segment_fixed_size: 17424
    .kernarg_segment_align: 8
    .kernarg_segment_size: 352
    .language:       OpenCL C
    .language_version:
      - 2
      - 0
    .max_flat_workgroup_size: 256
    .name:           _ZN7rocprim17ROCPRIM_400000_NS6detail17trampoline_kernelINS0_14default_configENS1_36segmented_radix_sort_config_selectorIflEEZNS1_25segmented_radix_sort_implIS3_Lb0EPKfPfPKlPlN2at6native12_GLOBAL__N_18offset_tEEE10hipError_tPvRmT1_PNSt15iterator_traitsISK_E10value_typeET2_T3_PNSL_ISQ_E10value_typeET4_jRbjT5_SW_jjP12ihipStream_tbEUlT_E_NS1_11comp_targetILNS1_3genE4ELNS1_11target_archE910ELNS1_3gpuE8ELNS1_3repE0EEENS1_30default_config_static_selectorELNS0_4arch9wavefront6targetE1EEEvSK_
    .private_segment_fixed_size: 8
    .sgpr_count:     94
    .sgpr_spill_count: 0
    .symbol:         _ZN7rocprim17ROCPRIM_400000_NS6detail17trampoline_kernelINS0_14default_configENS1_36segmented_radix_sort_config_selectorIflEEZNS1_25segmented_radix_sort_implIS3_Lb0EPKfPfPKlPlN2at6native12_GLOBAL__N_18offset_tEEE10hipError_tPvRmT1_PNSt15iterator_traitsISK_E10value_typeET2_T3_PNSL_ISQ_E10value_typeET4_jRbjT5_SW_jjP12ihipStream_tbEUlT_E_NS1_11comp_targetILNS1_3genE4ELNS1_11target_archE910ELNS1_3gpuE8ELNS1_3repE0EEENS1_30default_config_static_selectorELNS0_4arch9wavefront6targetE1EEEvSK_.kd
    .uniform_work_group_size: 1
    .uses_dynamic_stack: false
    .vgpr_count:     195
    .vgpr_spill_count: 0
    .wavefront_size: 64
  - .agpr_count:     0
    .args:
      - .offset:         0
        .size:           96
        .value_kind:     by_value
    .group_segment_fixed_size: 0
    .kernarg_segment_align: 8
    .kernarg_segment_size: 96
    .language:       OpenCL C
    .language_version:
      - 2
      - 0
    .max_flat_workgroup_size: 256
    .name:           _ZN7rocprim17ROCPRIM_400000_NS6detail17trampoline_kernelINS0_14default_configENS1_36segmented_radix_sort_config_selectorIflEEZNS1_25segmented_radix_sort_implIS3_Lb0EPKfPfPKlPlN2at6native12_GLOBAL__N_18offset_tEEE10hipError_tPvRmT1_PNSt15iterator_traitsISK_E10value_typeET2_T3_PNSL_ISQ_E10value_typeET4_jRbjT5_SW_jjP12ihipStream_tbEUlT_E_NS1_11comp_targetILNS1_3genE3ELNS1_11target_archE908ELNS1_3gpuE7ELNS1_3repE0EEENS1_30default_config_static_selectorELNS0_4arch9wavefront6targetE1EEEvSK_
    .private_segment_fixed_size: 0
    .sgpr_count:     4
    .sgpr_spill_count: 0
    .symbol:         _ZN7rocprim17ROCPRIM_400000_NS6detail17trampoline_kernelINS0_14default_configENS1_36segmented_radix_sort_config_selectorIflEEZNS1_25segmented_radix_sort_implIS3_Lb0EPKfPfPKlPlN2at6native12_GLOBAL__N_18offset_tEEE10hipError_tPvRmT1_PNSt15iterator_traitsISK_E10value_typeET2_T3_PNSL_ISQ_E10value_typeET4_jRbjT5_SW_jjP12ihipStream_tbEUlT_E_NS1_11comp_targetILNS1_3genE3ELNS1_11target_archE908ELNS1_3gpuE7ELNS1_3repE0EEENS1_30default_config_static_selectorELNS0_4arch9wavefront6targetE1EEEvSK_.kd
    .uniform_work_group_size: 1
    .uses_dynamic_stack: false
    .vgpr_count:     0
    .vgpr_spill_count: 0
    .wavefront_size: 64
  - .agpr_count:     0
    .args:
      - .offset:         0
        .size:           96
        .value_kind:     by_value
    .group_segment_fixed_size: 0
    .kernarg_segment_align: 8
    .kernarg_segment_size: 96
    .language:       OpenCL C
    .language_version:
      - 2
      - 0
    .max_flat_workgroup_size: 256
    .name:           _ZN7rocprim17ROCPRIM_400000_NS6detail17trampoline_kernelINS0_14default_configENS1_36segmented_radix_sort_config_selectorIflEEZNS1_25segmented_radix_sort_implIS3_Lb0EPKfPfPKlPlN2at6native12_GLOBAL__N_18offset_tEEE10hipError_tPvRmT1_PNSt15iterator_traitsISK_E10value_typeET2_T3_PNSL_ISQ_E10value_typeET4_jRbjT5_SW_jjP12ihipStream_tbEUlT_E_NS1_11comp_targetILNS1_3genE2ELNS1_11target_archE906ELNS1_3gpuE6ELNS1_3repE0EEENS1_30default_config_static_selectorELNS0_4arch9wavefront6targetE1EEEvSK_
    .private_segment_fixed_size: 0
    .sgpr_count:     4
    .sgpr_spill_count: 0
    .symbol:         _ZN7rocprim17ROCPRIM_400000_NS6detail17trampoline_kernelINS0_14default_configENS1_36segmented_radix_sort_config_selectorIflEEZNS1_25segmented_radix_sort_implIS3_Lb0EPKfPfPKlPlN2at6native12_GLOBAL__N_18offset_tEEE10hipError_tPvRmT1_PNSt15iterator_traitsISK_E10value_typeET2_T3_PNSL_ISQ_E10value_typeET4_jRbjT5_SW_jjP12ihipStream_tbEUlT_E_NS1_11comp_targetILNS1_3genE2ELNS1_11target_archE906ELNS1_3gpuE6ELNS1_3repE0EEENS1_30default_config_static_selectorELNS0_4arch9wavefront6targetE1EEEvSK_.kd
    .uniform_work_group_size: 1
    .uses_dynamic_stack: false
    .vgpr_count:     0
    .vgpr_spill_count: 0
    .wavefront_size: 64
  - .agpr_count:     0
    .args:
      - .offset:         0
        .size:           96
        .value_kind:     by_value
    .group_segment_fixed_size: 0
    .kernarg_segment_align: 8
    .kernarg_segment_size: 96
    .language:       OpenCL C
    .language_version:
      - 2
      - 0
    .max_flat_workgroup_size: 256
    .name:           _ZN7rocprim17ROCPRIM_400000_NS6detail17trampoline_kernelINS0_14default_configENS1_36segmented_radix_sort_config_selectorIflEEZNS1_25segmented_radix_sort_implIS3_Lb0EPKfPfPKlPlN2at6native12_GLOBAL__N_18offset_tEEE10hipError_tPvRmT1_PNSt15iterator_traitsISK_E10value_typeET2_T3_PNSL_ISQ_E10value_typeET4_jRbjT5_SW_jjP12ihipStream_tbEUlT_E_NS1_11comp_targetILNS1_3genE10ELNS1_11target_archE1201ELNS1_3gpuE5ELNS1_3repE0EEENS1_30default_config_static_selectorELNS0_4arch9wavefront6targetE1EEEvSK_
    .private_segment_fixed_size: 0
    .sgpr_count:     4
    .sgpr_spill_count: 0
    .symbol:         _ZN7rocprim17ROCPRIM_400000_NS6detail17trampoline_kernelINS0_14default_configENS1_36segmented_radix_sort_config_selectorIflEEZNS1_25segmented_radix_sort_implIS3_Lb0EPKfPfPKlPlN2at6native12_GLOBAL__N_18offset_tEEE10hipError_tPvRmT1_PNSt15iterator_traitsISK_E10value_typeET2_T3_PNSL_ISQ_E10value_typeET4_jRbjT5_SW_jjP12ihipStream_tbEUlT_E_NS1_11comp_targetILNS1_3genE10ELNS1_11target_archE1201ELNS1_3gpuE5ELNS1_3repE0EEENS1_30default_config_static_selectorELNS0_4arch9wavefront6targetE1EEEvSK_.kd
    .uniform_work_group_size: 1
    .uses_dynamic_stack: false
    .vgpr_count:     0
    .vgpr_spill_count: 0
    .wavefront_size: 64
  - .agpr_count:     0
    .args:
      - .offset:         0
        .size:           96
        .value_kind:     by_value
    .group_segment_fixed_size: 0
    .kernarg_segment_align: 8
    .kernarg_segment_size: 96
    .language:       OpenCL C
    .language_version:
      - 2
      - 0
    .max_flat_workgroup_size: 128
    .name:           _ZN7rocprim17ROCPRIM_400000_NS6detail17trampoline_kernelINS0_14default_configENS1_36segmented_radix_sort_config_selectorIflEEZNS1_25segmented_radix_sort_implIS3_Lb0EPKfPfPKlPlN2at6native12_GLOBAL__N_18offset_tEEE10hipError_tPvRmT1_PNSt15iterator_traitsISK_E10value_typeET2_T3_PNSL_ISQ_E10value_typeET4_jRbjT5_SW_jjP12ihipStream_tbEUlT_E_NS1_11comp_targetILNS1_3genE10ELNS1_11target_archE1200ELNS1_3gpuE4ELNS1_3repE0EEENS1_30default_config_static_selectorELNS0_4arch9wavefront6targetE1EEEvSK_
    .private_segment_fixed_size: 0
    .sgpr_count:     4
    .sgpr_spill_count: 0
    .symbol:         _ZN7rocprim17ROCPRIM_400000_NS6detail17trampoline_kernelINS0_14default_configENS1_36segmented_radix_sort_config_selectorIflEEZNS1_25segmented_radix_sort_implIS3_Lb0EPKfPfPKlPlN2at6native12_GLOBAL__N_18offset_tEEE10hipError_tPvRmT1_PNSt15iterator_traitsISK_E10value_typeET2_T3_PNSL_ISQ_E10value_typeET4_jRbjT5_SW_jjP12ihipStream_tbEUlT_E_NS1_11comp_targetILNS1_3genE10ELNS1_11target_archE1200ELNS1_3gpuE4ELNS1_3repE0EEENS1_30default_config_static_selectorELNS0_4arch9wavefront6targetE1EEEvSK_.kd
    .uniform_work_group_size: 1
    .uses_dynamic_stack: false
    .vgpr_count:     0
    .vgpr_spill_count: 0
    .wavefront_size: 64
  - .agpr_count:     0
    .args:
      - .offset:         0
        .size:           96
        .value_kind:     by_value
    .group_segment_fixed_size: 0
    .kernarg_segment_align: 8
    .kernarg_segment_size: 96
    .language:       OpenCL C
    .language_version:
      - 2
      - 0
    .max_flat_workgroup_size: 256
    .name:           _ZN7rocprim17ROCPRIM_400000_NS6detail17trampoline_kernelINS0_14default_configENS1_36segmented_radix_sort_config_selectorIflEEZNS1_25segmented_radix_sort_implIS3_Lb0EPKfPfPKlPlN2at6native12_GLOBAL__N_18offset_tEEE10hipError_tPvRmT1_PNSt15iterator_traitsISK_E10value_typeET2_T3_PNSL_ISQ_E10value_typeET4_jRbjT5_SW_jjP12ihipStream_tbEUlT_E_NS1_11comp_targetILNS1_3genE9ELNS1_11target_archE1100ELNS1_3gpuE3ELNS1_3repE0EEENS1_30default_config_static_selectorELNS0_4arch9wavefront6targetE1EEEvSK_
    .private_segment_fixed_size: 0
    .sgpr_count:     4
    .sgpr_spill_count: 0
    .symbol:         _ZN7rocprim17ROCPRIM_400000_NS6detail17trampoline_kernelINS0_14default_configENS1_36segmented_radix_sort_config_selectorIflEEZNS1_25segmented_radix_sort_implIS3_Lb0EPKfPfPKlPlN2at6native12_GLOBAL__N_18offset_tEEE10hipError_tPvRmT1_PNSt15iterator_traitsISK_E10value_typeET2_T3_PNSL_ISQ_E10value_typeET4_jRbjT5_SW_jjP12ihipStream_tbEUlT_E_NS1_11comp_targetILNS1_3genE9ELNS1_11target_archE1100ELNS1_3gpuE3ELNS1_3repE0EEENS1_30default_config_static_selectorELNS0_4arch9wavefront6targetE1EEEvSK_.kd
    .uniform_work_group_size: 1
    .uses_dynamic_stack: false
    .vgpr_count:     0
    .vgpr_spill_count: 0
    .wavefront_size: 64
  - .agpr_count:     0
    .args:
      - .offset:         0
        .size:           96
        .value_kind:     by_value
    .group_segment_fixed_size: 0
    .kernarg_segment_align: 8
    .kernarg_segment_size: 96
    .language:       OpenCL C
    .language_version:
      - 2
      - 0
    .max_flat_workgroup_size: 256
    .name:           _ZN7rocprim17ROCPRIM_400000_NS6detail17trampoline_kernelINS0_14default_configENS1_36segmented_radix_sort_config_selectorIflEEZNS1_25segmented_radix_sort_implIS3_Lb0EPKfPfPKlPlN2at6native12_GLOBAL__N_18offset_tEEE10hipError_tPvRmT1_PNSt15iterator_traitsISK_E10value_typeET2_T3_PNSL_ISQ_E10value_typeET4_jRbjT5_SW_jjP12ihipStream_tbEUlT_E_NS1_11comp_targetILNS1_3genE8ELNS1_11target_archE1030ELNS1_3gpuE2ELNS1_3repE0EEENS1_30default_config_static_selectorELNS0_4arch9wavefront6targetE1EEEvSK_
    .private_segment_fixed_size: 0
    .sgpr_count:     4
    .sgpr_spill_count: 0
    .symbol:         _ZN7rocprim17ROCPRIM_400000_NS6detail17trampoline_kernelINS0_14default_configENS1_36segmented_radix_sort_config_selectorIflEEZNS1_25segmented_radix_sort_implIS3_Lb0EPKfPfPKlPlN2at6native12_GLOBAL__N_18offset_tEEE10hipError_tPvRmT1_PNSt15iterator_traitsISK_E10value_typeET2_T3_PNSL_ISQ_E10value_typeET4_jRbjT5_SW_jjP12ihipStream_tbEUlT_E_NS1_11comp_targetILNS1_3genE8ELNS1_11target_archE1030ELNS1_3gpuE2ELNS1_3repE0EEENS1_30default_config_static_selectorELNS0_4arch9wavefront6targetE1EEEvSK_.kd
    .uniform_work_group_size: 1
    .uses_dynamic_stack: false
    .vgpr_count:     0
    .vgpr_spill_count: 0
    .wavefront_size: 64
  - .agpr_count:     0
    .args:
      - .offset:         0
        .size:           88
        .value_kind:     by_value
    .group_segment_fixed_size: 0
    .kernarg_segment_align: 8
    .kernarg_segment_size: 88
    .language:       OpenCL C
    .language_version:
      - 2
      - 0
    .max_flat_workgroup_size: 256
    .name:           _ZN7rocprim17ROCPRIM_400000_NS6detail17trampoline_kernelINS0_14default_configENS1_36segmented_radix_sort_config_selectorIflEEZNS1_25segmented_radix_sort_implIS3_Lb0EPKfPfPKlPlN2at6native12_GLOBAL__N_18offset_tEEE10hipError_tPvRmT1_PNSt15iterator_traitsISK_E10value_typeET2_T3_PNSL_ISQ_E10value_typeET4_jRbjT5_SW_jjP12ihipStream_tbEUlT_E0_NS1_11comp_targetILNS1_3genE0ELNS1_11target_archE4294967295ELNS1_3gpuE0ELNS1_3repE0EEENS1_60segmented_radix_sort_warp_sort_medium_config_static_selectorELNS0_4arch9wavefront6targetE1EEEvSK_
    .private_segment_fixed_size: 0
    .sgpr_count:     4
    .sgpr_spill_count: 0
    .symbol:         _ZN7rocprim17ROCPRIM_400000_NS6detail17trampoline_kernelINS0_14default_configENS1_36segmented_radix_sort_config_selectorIflEEZNS1_25segmented_radix_sort_implIS3_Lb0EPKfPfPKlPlN2at6native12_GLOBAL__N_18offset_tEEE10hipError_tPvRmT1_PNSt15iterator_traitsISK_E10value_typeET2_T3_PNSL_ISQ_E10value_typeET4_jRbjT5_SW_jjP12ihipStream_tbEUlT_E0_NS1_11comp_targetILNS1_3genE0ELNS1_11target_archE4294967295ELNS1_3gpuE0ELNS1_3repE0EEENS1_60segmented_radix_sort_warp_sort_medium_config_static_selectorELNS0_4arch9wavefront6targetE1EEEvSK_.kd
    .uniform_work_group_size: 1
    .uses_dynamic_stack: false
    .vgpr_count:     0
    .vgpr_spill_count: 0
    .wavefront_size: 64
  - .agpr_count:     0
    .args:
      - .offset:         0
        .size:           88
        .value_kind:     by_value
    .group_segment_fixed_size: 0
    .kernarg_segment_align: 8
    .kernarg_segment_size: 88
    .language:       OpenCL C
    .language_version:
      - 2
      - 0
    .max_flat_workgroup_size: 256
    .name:           _ZN7rocprim17ROCPRIM_400000_NS6detail17trampoline_kernelINS0_14default_configENS1_36segmented_radix_sort_config_selectorIflEEZNS1_25segmented_radix_sort_implIS3_Lb0EPKfPfPKlPlN2at6native12_GLOBAL__N_18offset_tEEE10hipError_tPvRmT1_PNSt15iterator_traitsISK_E10value_typeET2_T3_PNSL_ISQ_E10value_typeET4_jRbjT5_SW_jjP12ihipStream_tbEUlT_E0_NS1_11comp_targetILNS1_3genE5ELNS1_11target_archE942ELNS1_3gpuE9ELNS1_3repE0EEENS1_60segmented_radix_sort_warp_sort_medium_config_static_selectorELNS0_4arch9wavefront6targetE1EEEvSK_
    .private_segment_fixed_size: 0
    .sgpr_count:     4
    .sgpr_spill_count: 0
    .symbol:         _ZN7rocprim17ROCPRIM_400000_NS6detail17trampoline_kernelINS0_14default_configENS1_36segmented_radix_sort_config_selectorIflEEZNS1_25segmented_radix_sort_implIS3_Lb0EPKfPfPKlPlN2at6native12_GLOBAL__N_18offset_tEEE10hipError_tPvRmT1_PNSt15iterator_traitsISK_E10value_typeET2_T3_PNSL_ISQ_E10value_typeET4_jRbjT5_SW_jjP12ihipStream_tbEUlT_E0_NS1_11comp_targetILNS1_3genE5ELNS1_11target_archE942ELNS1_3gpuE9ELNS1_3repE0EEENS1_60segmented_radix_sort_warp_sort_medium_config_static_selectorELNS0_4arch9wavefront6targetE1EEEvSK_.kd
    .uniform_work_group_size: 1
    .uses_dynamic_stack: false
    .vgpr_count:     0
    .vgpr_spill_count: 0
    .wavefront_size: 64
  - .agpr_count:     0
    .args:
      - .offset:         0
        .size:           88
        .value_kind:     by_value
      - .offset:         88
        .size:           4
        .value_kind:     hidden_block_count_x
      - .offset:         92
        .size:           4
        .value_kind:     hidden_block_count_y
      - .offset:         96
        .size:           4
        .value_kind:     hidden_block_count_z
      - .offset:         100
        .size:           2
        .value_kind:     hidden_group_size_x
      - .offset:         102
        .size:           2
        .value_kind:     hidden_group_size_y
      - .offset:         104
        .size:           2
        .value_kind:     hidden_group_size_z
      - .offset:         106
        .size:           2
        .value_kind:     hidden_remainder_x
      - .offset:         108
        .size:           2
        .value_kind:     hidden_remainder_y
      - .offset:         110
        .size:           2
        .value_kind:     hidden_remainder_z
      - .offset:         128
        .size:           8
        .value_kind:     hidden_global_offset_x
      - .offset:         136
        .size:           8
        .value_kind:     hidden_global_offset_y
      - .offset:         144
        .size:           8
        .value_kind:     hidden_global_offset_z
      - .offset:         152
        .size:           2
        .value_kind:     hidden_grid_dims
      - .offset:         168
        .size:           8
        .value_kind:     hidden_hostcall_buffer
      - .offset:         176
        .size:           8
        .value_kind:     hidden_multigrid_sync_arg
      - .offset:         184
        .size:           8
        .value_kind:     hidden_heap_v1
      - .offset:         192
        .size:           8
        .value_kind:     hidden_default_queue
      - .offset:         200
        .size:           8
        .value_kind:     hidden_completion_action
      - .offset:         288
        .size:           8
        .value_kind:     hidden_queue_ptr
    .group_segment_fixed_size: 24576
    .kernarg_segment_align: 8
    .kernarg_segment_size: 344
    .language:       OpenCL C
    .language_version:
      - 2
      - 0
    .max_flat_workgroup_size: 256
    .name:           _ZN7rocprim17ROCPRIM_400000_NS6detail17trampoline_kernelINS0_14default_configENS1_36segmented_radix_sort_config_selectorIflEEZNS1_25segmented_radix_sort_implIS3_Lb0EPKfPfPKlPlN2at6native12_GLOBAL__N_18offset_tEEE10hipError_tPvRmT1_PNSt15iterator_traitsISK_E10value_typeET2_T3_PNSL_ISQ_E10value_typeET4_jRbjT5_SW_jjP12ihipStream_tbEUlT_E0_NS1_11comp_targetILNS1_3genE4ELNS1_11target_archE910ELNS1_3gpuE8ELNS1_3repE0EEENS1_60segmented_radix_sort_warp_sort_medium_config_static_selectorELNS0_4arch9wavefront6targetE1EEEvSK_
    .private_segment_fixed_size: 8
    .sgpr_count:     66
    .sgpr_spill_count: 0
    .symbol:         _ZN7rocprim17ROCPRIM_400000_NS6detail17trampoline_kernelINS0_14default_configENS1_36segmented_radix_sort_config_selectorIflEEZNS1_25segmented_radix_sort_implIS3_Lb0EPKfPfPKlPlN2at6native12_GLOBAL__N_18offset_tEEE10hipError_tPvRmT1_PNSt15iterator_traitsISK_E10value_typeET2_T3_PNSL_ISQ_E10value_typeET4_jRbjT5_SW_jjP12ihipStream_tbEUlT_E0_NS1_11comp_targetILNS1_3genE4ELNS1_11target_archE910ELNS1_3gpuE8ELNS1_3repE0EEENS1_60segmented_radix_sort_warp_sort_medium_config_static_selectorELNS0_4arch9wavefront6targetE1EEEvSK_.kd
    .uniform_work_group_size: 1
    .uses_dynamic_stack: false
    .vgpr_count:     99
    .vgpr_spill_count: 0
    .wavefront_size: 64
  - .agpr_count:     0
    .args:
      - .offset:         0
        .size:           88
        .value_kind:     by_value
    .group_segment_fixed_size: 0
    .kernarg_segment_align: 8
    .kernarg_segment_size: 88
    .language:       OpenCL C
    .language_version:
      - 2
      - 0
    .max_flat_workgroup_size: 256
    .name:           _ZN7rocprim17ROCPRIM_400000_NS6detail17trampoline_kernelINS0_14default_configENS1_36segmented_radix_sort_config_selectorIflEEZNS1_25segmented_radix_sort_implIS3_Lb0EPKfPfPKlPlN2at6native12_GLOBAL__N_18offset_tEEE10hipError_tPvRmT1_PNSt15iterator_traitsISK_E10value_typeET2_T3_PNSL_ISQ_E10value_typeET4_jRbjT5_SW_jjP12ihipStream_tbEUlT_E0_NS1_11comp_targetILNS1_3genE3ELNS1_11target_archE908ELNS1_3gpuE7ELNS1_3repE0EEENS1_60segmented_radix_sort_warp_sort_medium_config_static_selectorELNS0_4arch9wavefront6targetE1EEEvSK_
    .private_segment_fixed_size: 0
    .sgpr_count:     4
    .sgpr_spill_count: 0
    .symbol:         _ZN7rocprim17ROCPRIM_400000_NS6detail17trampoline_kernelINS0_14default_configENS1_36segmented_radix_sort_config_selectorIflEEZNS1_25segmented_radix_sort_implIS3_Lb0EPKfPfPKlPlN2at6native12_GLOBAL__N_18offset_tEEE10hipError_tPvRmT1_PNSt15iterator_traitsISK_E10value_typeET2_T3_PNSL_ISQ_E10value_typeET4_jRbjT5_SW_jjP12ihipStream_tbEUlT_E0_NS1_11comp_targetILNS1_3genE3ELNS1_11target_archE908ELNS1_3gpuE7ELNS1_3repE0EEENS1_60segmented_radix_sort_warp_sort_medium_config_static_selectorELNS0_4arch9wavefront6targetE1EEEvSK_.kd
    .uniform_work_group_size: 1
    .uses_dynamic_stack: false
    .vgpr_count:     0
    .vgpr_spill_count: 0
    .wavefront_size: 64
  - .agpr_count:     0
    .args:
      - .offset:         0
        .size:           88
        .value_kind:     by_value
    .group_segment_fixed_size: 0
    .kernarg_segment_align: 8
    .kernarg_segment_size: 88
    .language:       OpenCL C
    .language_version:
      - 2
      - 0
    .max_flat_workgroup_size: 256
    .name:           _ZN7rocprim17ROCPRIM_400000_NS6detail17trampoline_kernelINS0_14default_configENS1_36segmented_radix_sort_config_selectorIflEEZNS1_25segmented_radix_sort_implIS3_Lb0EPKfPfPKlPlN2at6native12_GLOBAL__N_18offset_tEEE10hipError_tPvRmT1_PNSt15iterator_traitsISK_E10value_typeET2_T3_PNSL_ISQ_E10value_typeET4_jRbjT5_SW_jjP12ihipStream_tbEUlT_E0_NS1_11comp_targetILNS1_3genE2ELNS1_11target_archE906ELNS1_3gpuE6ELNS1_3repE0EEENS1_60segmented_radix_sort_warp_sort_medium_config_static_selectorELNS0_4arch9wavefront6targetE1EEEvSK_
    .private_segment_fixed_size: 0
    .sgpr_count:     4
    .sgpr_spill_count: 0
    .symbol:         _ZN7rocprim17ROCPRIM_400000_NS6detail17trampoline_kernelINS0_14default_configENS1_36segmented_radix_sort_config_selectorIflEEZNS1_25segmented_radix_sort_implIS3_Lb0EPKfPfPKlPlN2at6native12_GLOBAL__N_18offset_tEEE10hipError_tPvRmT1_PNSt15iterator_traitsISK_E10value_typeET2_T3_PNSL_ISQ_E10value_typeET4_jRbjT5_SW_jjP12ihipStream_tbEUlT_E0_NS1_11comp_targetILNS1_3genE2ELNS1_11target_archE906ELNS1_3gpuE6ELNS1_3repE0EEENS1_60segmented_radix_sort_warp_sort_medium_config_static_selectorELNS0_4arch9wavefront6targetE1EEEvSK_.kd
    .uniform_work_group_size: 1
    .uses_dynamic_stack: false
    .vgpr_count:     0
    .vgpr_spill_count: 0
    .wavefront_size: 64
  - .agpr_count:     0
    .args:
      - .offset:         0
        .size:           88
        .value_kind:     by_value
    .group_segment_fixed_size: 0
    .kernarg_segment_align: 8
    .kernarg_segment_size: 88
    .language:       OpenCL C
    .language_version:
      - 2
      - 0
    .max_flat_workgroup_size: 256
    .name:           _ZN7rocprim17ROCPRIM_400000_NS6detail17trampoline_kernelINS0_14default_configENS1_36segmented_radix_sort_config_selectorIflEEZNS1_25segmented_radix_sort_implIS3_Lb0EPKfPfPKlPlN2at6native12_GLOBAL__N_18offset_tEEE10hipError_tPvRmT1_PNSt15iterator_traitsISK_E10value_typeET2_T3_PNSL_ISQ_E10value_typeET4_jRbjT5_SW_jjP12ihipStream_tbEUlT_E0_NS1_11comp_targetILNS1_3genE10ELNS1_11target_archE1201ELNS1_3gpuE5ELNS1_3repE0EEENS1_60segmented_radix_sort_warp_sort_medium_config_static_selectorELNS0_4arch9wavefront6targetE1EEEvSK_
    .private_segment_fixed_size: 0
    .sgpr_count:     4
    .sgpr_spill_count: 0
    .symbol:         _ZN7rocprim17ROCPRIM_400000_NS6detail17trampoline_kernelINS0_14default_configENS1_36segmented_radix_sort_config_selectorIflEEZNS1_25segmented_radix_sort_implIS3_Lb0EPKfPfPKlPlN2at6native12_GLOBAL__N_18offset_tEEE10hipError_tPvRmT1_PNSt15iterator_traitsISK_E10value_typeET2_T3_PNSL_ISQ_E10value_typeET4_jRbjT5_SW_jjP12ihipStream_tbEUlT_E0_NS1_11comp_targetILNS1_3genE10ELNS1_11target_archE1201ELNS1_3gpuE5ELNS1_3repE0EEENS1_60segmented_radix_sort_warp_sort_medium_config_static_selectorELNS0_4arch9wavefront6targetE1EEEvSK_.kd
    .uniform_work_group_size: 1
    .uses_dynamic_stack: false
    .vgpr_count:     0
    .vgpr_spill_count: 0
    .wavefront_size: 64
  - .agpr_count:     0
    .args:
      - .offset:         0
        .size:           88
        .value_kind:     by_value
    .group_segment_fixed_size: 0
    .kernarg_segment_align: 8
    .kernarg_segment_size: 88
    .language:       OpenCL C
    .language_version:
      - 2
      - 0
    .max_flat_workgroup_size: 256
    .name:           _ZN7rocprim17ROCPRIM_400000_NS6detail17trampoline_kernelINS0_14default_configENS1_36segmented_radix_sort_config_selectorIflEEZNS1_25segmented_radix_sort_implIS3_Lb0EPKfPfPKlPlN2at6native12_GLOBAL__N_18offset_tEEE10hipError_tPvRmT1_PNSt15iterator_traitsISK_E10value_typeET2_T3_PNSL_ISQ_E10value_typeET4_jRbjT5_SW_jjP12ihipStream_tbEUlT_E0_NS1_11comp_targetILNS1_3genE10ELNS1_11target_archE1200ELNS1_3gpuE4ELNS1_3repE0EEENS1_60segmented_radix_sort_warp_sort_medium_config_static_selectorELNS0_4arch9wavefront6targetE1EEEvSK_
    .private_segment_fixed_size: 0
    .sgpr_count:     4
    .sgpr_spill_count: 0
    .symbol:         _ZN7rocprim17ROCPRIM_400000_NS6detail17trampoline_kernelINS0_14default_configENS1_36segmented_radix_sort_config_selectorIflEEZNS1_25segmented_radix_sort_implIS3_Lb0EPKfPfPKlPlN2at6native12_GLOBAL__N_18offset_tEEE10hipError_tPvRmT1_PNSt15iterator_traitsISK_E10value_typeET2_T3_PNSL_ISQ_E10value_typeET4_jRbjT5_SW_jjP12ihipStream_tbEUlT_E0_NS1_11comp_targetILNS1_3genE10ELNS1_11target_archE1200ELNS1_3gpuE4ELNS1_3repE0EEENS1_60segmented_radix_sort_warp_sort_medium_config_static_selectorELNS0_4arch9wavefront6targetE1EEEvSK_.kd
    .uniform_work_group_size: 1
    .uses_dynamic_stack: false
    .vgpr_count:     0
    .vgpr_spill_count: 0
    .wavefront_size: 64
  - .agpr_count:     0
    .args:
      - .offset:         0
        .size:           88
        .value_kind:     by_value
    .group_segment_fixed_size: 0
    .kernarg_segment_align: 8
    .kernarg_segment_size: 88
    .language:       OpenCL C
    .language_version:
      - 2
      - 0
    .max_flat_workgroup_size: 256
    .name:           _ZN7rocprim17ROCPRIM_400000_NS6detail17trampoline_kernelINS0_14default_configENS1_36segmented_radix_sort_config_selectorIflEEZNS1_25segmented_radix_sort_implIS3_Lb0EPKfPfPKlPlN2at6native12_GLOBAL__N_18offset_tEEE10hipError_tPvRmT1_PNSt15iterator_traitsISK_E10value_typeET2_T3_PNSL_ISQ_E10value_typeET4_jRbjT5_SW_jjP12ihipStream_tbEUlT_E0_NS1_11comp_targetILNS1_3genE9ELNS1_11target_archE1100ELNS1_3gpuE3ELNS1_3repE0EEENS1_60segmented_radix_sort_warp_sort_medium_config_static_selectorELNS0_4arch9wavefront6targetE1EEEvSK_
    .private_segment_fixed_size: 0
    .sgpr_count:     4
    .sgpr_spill_count: 0
    .symbol:         _ZN7rocprim17ROCPRIM_400000_NS6detail17trampoline_kernelINS0_14default_configENS1_36segmented_radix_sort_config_selectorIflEEZNS1_25segmented_radix_sort_implIS3_Lb0EPKfPfPKlPlN2at6native12_GLOBAL__N_18offset_tEEE10hipError_tPvRmT1_PNSt15iterator_traitsISK_E10value_typeET2_T3_PNSL_ISQ_E10value_typeET4_jRbjT5_SW_jjP12ihipStream_tbEUlT_E0_NS1_11comp_targetILNS1_3genE9ELNS1_11target_archE1100ELNS1_3gpuE3ELNS1_3repE0EEENS1_60segmented_radix_sort_warp_sort_medium_config_static_selectorELNS0_4arch9wavefront6targetE1EEEvSK_.kd
    .uniform_work_group_size: 1
    .uses_dynamic_stack: false
    .vgpr_count:     0
    .vgpr_spill_count: 0
    .wavefront_size: 64
  - .agpr_count:     0
    .args:
      - .offset:         0
        .size:           88
        .value_kind:     by_value
    .group_segment_fixed_size: 0
    .kernarg_segment_align: 8
    .kernarg_segment_size: 88
    .language:       OpenCL C
    .language_version:
      - 2
      - 0
    .max_flat_workgroup_size: 256
    .name:           _ZN7rocprim17ROCPRIM_400000_NS6detail17trampoline_kernelINS0_14default_configENS1_36segmented_radix_sort_config_selectorIflEEZNS1_25segmented_radix_sort_implIS3_Lb0EPKfPfPKlPlN2at6native12_GLOBAL__N_18offset_tEEE10hipError_tPvRmT1_PNSt15iterator_traitsISK_E10value_typeET2_T3_PNSL_ISQ_E10value_typeET4_jRbjT5_SW_jjP12ihipStream_tbEUlT_E0_NS1_11comp_targetILNS1_3genE8ELNS1_11target_archE1030ELNS1_3gpuE2ELNS1_3repE0EEENS1_60segmented_radix_sort_warp_sort_medium_config_static_selectorELNS0_4arch9wavefront6targetE1EEEvSK_
    .private_segment_fixed_size: 0
    .sgpr_count:     4
    .sgpr_spill_count: 0
    .symbol:         _ZN7rocprim17ROCPRIM_400000_NS6detail17trampoline_kernelINS0_14default_configENS1_36segmented_radix_sort_config_selectorIflEEZNS1_25segmented_radix_sort_implIS3_Lb0EPKfPfPKlPlN2at6native12_GLOBAL__N_18offset_tEEE10hipError_tPvRmT1_PNSt15iterator_traitsISK_E10value_typeET2_T3_PNSL_ISQ_E10value_typeET4_jRbjT5_SW_jjP12ihipStream_tbEUlT_E0_NS1_11comp_targetILNS1_3genE8ELNS1_11target_archE1030ELNS1_3gpuE2ELNS1_3repE0EEENS1_60segmented_radix_sort_warp_sort_medium_config_static_selectorELNS0_4arch9wavefront6targetE1EEEvSK_.kd
    .uniform_work_group_size: 1
    .uses_dynamic_stack: false
    .vgpr_count:     0
    .vgpr_spill_count: 0
    .wavefront_size: 64
  - .agpr_count:     0
    .args:
      - .offset:         0
        .size:           88
        .value_kind:     by_value
    .group_segment_fixed_size: 0
    .kernarg_segment_align: 8
    .kernarg_segment_size: 88
    .language:       OpenCL C
    .language_version:
      - 2
      - 0
    .max_flat_workgroup_size: 256
    .name:           _ZN7rocprim17ROCPRIM_400000_NS6detail17trampoline_kernelINS0_14default_configENS1_36segmented_radix_sort_config_selectorIflEEZNS1_25segmented_radix_sort_implIS3_Lb0EPKfPfPKlPlN2at6native12_GLOBAL__N_18offset_tEEE10hipError_tPvRmT1_PNSt15iterator_traitsISK_E10value_typeET2_T3_PNSL_ISQ_E10value_typeET4_jRbjT5_SW_jjP12ihipStream_tbEUlT_E1_NS1_11comp_targetILNS1_3genE0ELNS1_11target_archE4294967295ELNS1_3gpuE0ELNS1_3repE0EEENS1_59segmented_radix_sort_warp_sort_small_config_static_selectorELNS0_4arch9wavefront6targetE1EEEvSK_
    .private_segment_fixed_size: 0
    .sgpr_count:     4
    .sgpr_spill_count: 0
    .symbol:         _ZN7rocprim17ROCPRIM_400000_NS6detail17trampoline_kernelINS0_14default_configENS1_36segmented_radix_sort_config_selectorIflEEZNS1_25segmented_radix_sort_implIS3_Lb0EPKfPfPKlPlN2at6native12_GLOBAL__N_18offset_tEEE10hipError_tPvRmT1_PNSt15iterator_traitsISK_E10value_typeET2_T3_PNSL_ISQ_E10value_typeET4_jRbjT5_SW_jjP12ihipStream_tbEUlT_E1_NS1_11comp_targetILNS1_3genE0ELNS1_11target_archE4294967295ELNS1_3gpuE0ELNS1_3repE0EEENS1_59segmented_radix_sort_warp_sort_small_config_static_selectorELNS0_4arch9wavefront6targetE1EEEvSK_.kd
    .uniform_work_group_size: 1
    .uses_dynamic_stack: false
    .vgpr_count:     0
    .vgpr_spill_count: 0
    .wavefront_size: 64
  - .agpr_count:     0
    .args:
      - .offset:         0
        .size:           88
        .value_kind:     by_value
    .group_segment_fixed_size: 0
    .kernarg_segment_align: 8
    .kernarg_segment_size: 88
    .language:       OpenCL C
    .language_version:
      - 2
      - 0
    .max_flat_workgroup_size: 256
    .name:           _ZN7rocprim17ROCPRIM_400000_NS6detail17trampoline_kernelINS0_14default_configENS1_36segmented_radix_sort_config_selectorIflEEZNS1_25segmented_radix_sort_implIS3_Lb0EPKfPfPKlPlN2at6native12_GLOBAL__N_18offset_tEEE10hipError_tPvRmT1_PNSt15iterator_traitsISK_E10value_typeET2_T3_PNSL_ISQ_E10value_typeET4_jRbjT5_SW_jjP12ihipStream_tbEUlT_E1_NS1_11comp_targetILNS1_3genE5ELNS1_11target_archE942ELNS1_3gpuE9ELNS1_3repE0EEENS1_59segmented_radix_sort_warp_sort_small_config_static_selectorELNS0_4arch9wavefront6targetE1EEEvSK_
    .private_segment_fixed_size: 0
    .sgpr_count:     4
    .sgpr_spill_count: 0
    .symbol:         _ZN7rocprim17ROCPRIM_400000_NS6detail17trampoline_kernelINS0_14default_configENS1_36segmented_radix_sort_config_selectorIflEEZNS1_25segmented_radix_sort_implIS3_Lb0EPKfPfPKlPlN2at6native12_GLOBAL__N_18offset_tEEE10hipError_tPvRmT1_PNSt15iterator_traitsISK_E10value_typeET2_T3_PNSL_ISQ_E10value_typeET4_jRbjT5_SW_jjP12ihipStream_tbEUlT_E1_NS1_11comp_targetILNS1_3genE5ELNS1_11target_archE942ELNS1_3gpuE9ELNS1_3repE0EEENS1_59segmented_radix_sort_warp_sort_small_config_static_selectorELNS0_4arch9wavefront6targetE1EEEvSK_.kd
    .uniform_work_group_size: 1
    .uses_dynamic_stack: false
    .vgpr_count:     0
    .vgpr_spill_count: 0
    .wavefront_size: 64
  - .agpr_count:     0
    .args:
      - .offset:         0
        .size:           88
        .value_kind:     by_value
      - .offset:         88
        .size:           4
        .value_kind:     hidden_block_count_x
      - .offset:         92
        .size:           4
        .value_kind:     hidden_block_count_y
      - .offset:         96
        .size:           4
        .value_kind:     hidden_block_count_z
      - .offset:         100
        .size:           2
        .value_kind:     hidden_group_size_x
      - .offset:         102
        .size:           2
        .value_kind:     hidden_group_size_y
      - .offset:         104
        .size:           2
        .value_kind:     hidden_group_size_z
      - .offset:         106
        .size:           2
        .value_kind:     hidden_remainder_x
      - .offset:         108
        .size:           2
        .value_kind:     hidden_remainder_y
      - .offset:         110
        .size:           2
        .value_kind:     hidden_remainder_z
      - .offset:         128
        .size:           8
        .value_kind:     hidden_global_offset_x
      - .offset:         136
        .size:           8
        .value_kind:     hidden_global_offset_y
      - .offset:         144
        .size:           8
        .value_kind:     hidden_global_offset_z
      - .offset:         152
        .size:           2
        .value_kind:     hidden_grid_dims
      - .offset:         168
        .size:           8
        .value_kind:     hidden_hostcall_buffer
      - .offset:         176
        .size:           8
        .value_kind:     hidden_multigrid_sync_arg
      - .offset:         184
        .size:           8
        .value_kind:     hidden_heap_v1
      - .offset:         192
        .size:           8
        .value_kind:     hidden_default_queue
      - .offset:         200
        .size:           8
        .value_kind:     hidden_completion_action
      - .offset:         288
        .size:           8
        .value_kind:     hidden_queue_ptr
    .group_segment_fixed_size: 12288
    .kernarg_segment_align: 8
    .kernarg_segment_size: 344
    .language:       OpenCL C
    .language_version:
      - 2
      - 0
    .max_flat_workgroup_size: 256
    .name:           _ZN7rocprim17ROCPRIM_400000_NS6detail17trampoline_kernelINS0_14default_configENS1_36segmented_radix_sort_config_selectorIflEEZNS1_25segmented_radix_sort_implIS3_Lb0EPKfPfPKlPlN2at6native12_GLOBAL__N_18offset_tEEE10hipError_tPvRmT1_PNSt15iterator_traitsISK_E10value_typeET2_T3_PNSL_ISQ_E10value_typeET4_jRbjT5_SW_jjP12ihipStream_tbEUlT_E1_NS1_11comp_targetILNS1_3genE4ELNS1_11target_archE910ELNS1_3gpuE8ELNS1_3repE0EEENS1_59segmented_radix_sort_warp_sort_small_config_static_selectorELNS0_4arch9wavefront6targetE1EEEvSK_
    .private_segment_fixed_size: 8
    .sgpr_count:     39
    .sgpr_spill_count: 0
    .symbol:         _ZN7rocprim17ROCPRIM_400000_NS6detail17trampoline_kernelINS0_14default_configENS1_36segmented_radix_sort_config_selectorIflEEZNS1_25segmented_radix_sort_implIS3_Lb0EPKfPfPKlPlN2at6native12_GLOBAL__N_18offset_tEEE10hipError_tPvRmT1_PNSt15iterator_traitsISK_E10value_typeET2_T3_PNSL_ISQ_E10value_typeET4_jRbjT5_SW_jjP12ihipStream_tbEUlT_E1_NS1_11comp_targetILNS1_3genE4ELNS1_11target_archE910ELNS1_3gpuE8ELNS1_3repE0EEENS1_59segmented_radix_sort_warp_sort_small_config_static_selectorELNS0_4arch9wavefront6targetE1EEEvSK_.kd
    .uniform_work_group_size: 1
    .uses_dynamic_stack: false
    .vgpr_count:     100
    .vgpr_spill_count: 0
    .wavefront_size: 64
  - .agpr_count:     0
    .args:
      - .offset:         0
        .size:           88
        .value_kind:     by_value
    .group_segment_fixed_size: 0
    .kernarg_segment_align: 8
    .kernarg_segment_size: 88
    .language:       OpenCL C
    .language_version:
      - 2
      - 0
    .max_flat_workgroup_size: 256
    .name:           _ZN7rocprim17ROCPRIM_400000_NS6detail17trampoline_kernelINS0_14default_configENS1_36segmented_radix_sort_config_selectorIflEEZNS1_25segmented_radix_sort_implIS3_Lb0EPKfPfPKlPlN2at6native12_GLOBAL__N_18offset_tEEE10hipError_tPvRmT1_PNSt15iterator_traitsISK_E10value_typeET2_T3_PNSL_ISQ_E10value_typeET4_jRbjT5_SW_jjP12ihipStream_tbEUlT_E1_NS1_11comp_targetILNS1_3genE3ELNS1_11target_archE908ELNS1_3gpuE7ELNS1_3repE0EEENS1_59segmented_radix_sort_warp_sort_small_config_static_selectorELNS0_4arch9wavefront6targetE1EEEvSK_
    .private_segment_fixed_size: 0
    .sgpr_count:     4
    .sgpr_spill_count: 0
    .symbol:         _ZN7rocprim17ROCPRIM_400000_NS6detail17trampoline_kernelINS0_14default_configENS1_36segmented_radix_sort_config_selectorIflEEZNS1_25segmented_radix_sort_implIS3_Lb0EPKfPfPKlPlN2at6native12_GLOBAL__N_18offset_tEEE10hipError_tPvRmT1_PNSt15iterator_traitsISK_E10value_typeET2_T3_PNSL_ISQ_E10value_typeET4_jRbjT5_SW_jjP12ihipStream_tbEUlT_E1_NS1_11comp_targetILNS1_3genE3ELNS1_11target_archE908ELNS1_3gpuE7ELNS1_3repE0EEENS1_59segmented_radix_sort_warp_sort_small_config_static_selectorELNS0_4arch9wavefront6targetE1EEEvSK_.kd
    .uniform_work_group_size: 1
    .uses_dynamic_stack: false
    .vgpr_count:     0
    .vgpr_spill_count: 0
    .wavefront_size: 64
  - .agpr_count:     0
    .args:
      - .offset:         0
        .size:           88
        .value_kind:     by_value
    .group_segment_fixed_size: 0
    .kernarg_segment_align: 8
    .kernarg_segment_size: 88
    .language:       OpenCL C
    .language_version:
      - 2
      - 0
    .max_flat_workgroup_size: 256
    .name:           _ZN7rocprim17ROCPRIM_400000_NS6detail17trampoline_kernelINS0_14default_configENS1_36segmented_radix_sort_config_selectorIflEEZNS1_25segmented_radix_sort_implIS3_Lb0EPKfPfPKlPlN2at6native12_GLOBAL__N_18offset_tEEE10hipError_tPvRmT1_PNSt15iterator_traitsISK_E10value_typeET2_T3_PNSL_ISQ_E10value_typeET4_jRbjT5_SW_jjP12ihipStream_tbEUlT_E1_NS1_11comp_targetILNS1_3genE2ELNS1_11target_archE906ELNS1_3gpuE6ELNS1_3repE0EEENS1_59segmented_radix_sort_warp_sort_small_config_static_selectorELNS0_4arch9wavefront6targetE1EEEvSK_
    .private_segment_fixed_size: 0
    .sgpr_count:     4
    .sgpr_spill_count: 0
    .symbol:         _ZN7rocprim17ROCPRIM_400000_NS6detail17trampoline_kernelINS0_14default_configENS1_36segmented_radix_sort_config_selectorIflEEZNS1_25segmented_radix_sort_implIS3_Lb0EPKfPfPKlPlN2at6native12_GLOBAL__N_18offset_tEEE10hipError_tPvRmT1_PNSt15iterator_traitsISK_E10value_typeET2_T3_PNSL_ISQ_E10value_typeET4_jRbjT5_SW_jjP12ihipStream_tbEUlT_E1_NS1_11comp_targetILNS1_3genE2ELNS1_11target_archE906ELNS1_3gpuE6ELNS1_3repE0EEENS1_59segmented_radix_sort_warp_sort_small_config_static_selectorELNS0_4arch9wavefront6targetE1EEEvSK_.kd
    .uniform_work_group_size: 1
    .uses_dynamic_stack: false
    .vgpr_count:     0
    .vgpr_spill_count: 0
    .wavefront_size: 64
  - .agpr_count:     0
    .args:
      - .offset:         0
        .size:           88
        .value_kind:     by_value
    .group_segment_fixed_size: 0
    .kernarg_segment_align: 8
    .kernarg_segment_size: 88
    .language:       OpenCL C
    .language_version:
      - 2
      - 0
    .max_flat_workgroup_size: 256
    .name:           _ZN7rocprim17ROCPRIM_400000_NS6detail17trampoline_kernelINS0_14default_configENS1_36segmented_radix_sort_config_selectorIflEEZNS1_25segmented_radix_sort_implIS3_Lb0EPKfPfPKlPlN2at6native12_GLOBAL__N_18offset_tEEE10hipError_tPvRmT1_PNSt15iterator_traitsISK_E10value_typeET2_T3_PNSL_ISQ_E10value_typeET4_jRbjT5_SW_jjP12ihipStream_tbEUlT_E1_NS1_11comp_targetILNS1_3genE10ELNS1_11target_archE1201ELNS1_3gpuE5ELNS1_3repE0EEENS1_59segmented_radix_sort_warp_sort_small_config_static_selectorELNS0_4arch9wavefront6targetE1EEEvSK_
    .private_segment_fixed_size: 0
    .sgpr_count:     4
    .sgpr_spill_count: 0
    .symbol:         _ZN7rocprim17ROCPRIM_400000_NS6detail17trampoline_kernelINS0_14default_configENS1_36segmented_radix_sort_config_selectorIflEEZNS1_25segmented_radix_sort_implIS3_Lb0EPKfPfPKlPlN2at6native12_GLOBAL__N_18offset_tEEE10hipError_tPvRmT1_PNSt15iterator_traitsISK_E10value_typeET2_T3_PNSL_ISQ_E10value_typeET4_jRbjT5_SW_jjP12ihipStream_tbEUlT_E1_NS1_11comp_targetILNS1_3genE10ELNS1_11target_archE1201ELNS1_3gpuE5ELNS1_3repE0EEENS1_59segmented_radix_sort_warp_sort_small_config_static_selectorELNS0_4arch9wavefront6targetE1EEEvSK_.kd
    .uniform_work_group_size: 1
    .uses_dynamic_stack: false
    .vgpr_count:     0
    .vgpr_spill_count: 0
    .wavefront_size: 64
  - .agpr_count:     0
    .args:
      - .offset:         0
        .size:           88
        .value_kind:     by_value
    .group_segment_fixed_size: 0
    .kernarg_segment_align: 8
    .kernarg_segment_size: 88
    .language:       OpenCL C
    .language_version:
      - 2
      - 0
    .max_flat_workgroup_size: 256
    .name:           _ZN7rocprim17ROCPRIM_400000_NS6detail17trampoline_kernelINS0_14default_configENS1_36segmented_radix_sort_config_selectorIflEEZNS1_25segmented_radix_sort_implIS3_Lb0EPKfPfPKlPlN2at6native12_GLOBAL__N_18offset_tEEE10hipError_tPvRmT1_PNSt15iterator_traitsISK_E10value_typeET2_T3_PNSL_ISQ_E10value_typeET4_jRbjT5_SW_jjP12ihipStream_tbEUlT_E1_NS1_11comp_targetILNS1_3genE10ELNS1_11target_archE1200ELNS1_3gpuE4ELNS1_3repE0EEENS1_59segmented_radix_sort_warp_sort_small_config_static_selectorELNS0_4arch9wavefront6targetE1EEEvSK_
    .private_segment_fixed_size: 0
    .sgpr_count:     4
    .sgpr_spill_count: 0
    .symbol:         _ZN7rocprim17ROCPRIM_400000_NS6detail17trampoline_kernelINS0_14default_configENS1_36segmented_radix_sort_config_selectorIflEEZNS1_25segmented_radix_sort_implIS3_Lb0EPKfPfPKlPlN2at6native12_GLOBAL__N_18offset_tEEE10hipError_tPvRmT1_PNSt15iterator_traitsISK_E10value_typeET2_T3_PNSL_ISQ_E10value_typeET4_jRbjT5_SW_jjP12ihipStream_tbEUlT_E1_NS1_11comp_targetILNS1_3genE10ELNS1_11target_archE1200ELNS1_3gpuE4ELNS1_3repE0EEENS1_59segmented_radix_sort_warp_sort_small_config_static_selectorELNS0_4arch9wavefront6targetE1EEEvSK_.kd
    .uniform_work_group_size: 1
    .uses_dynamic_stack: false
    .vgpr_count:     0
    .vgpr_spill_count: 0
    .wavefront_size: 64
  - .agpr_count:     0
    .args:
      - .offset:         0
        .size:           88
        .value_kind:     by_value
    .group_segment_fixed_size: 0
    .kernarg_segment_align: 8
    .kernarg_segment_size: 88
    .language:       OpenCL C
    .language_version:
      - 2
      - 0
    .max_flat_workgroup_size: 256
    .name:           _ZN7rocprim17ROCPRIM_400000_NS6detail17trampoline_kernelINS0_14default_configENS1_36segmented_radix_sort_config_selectorIflEEZNS1_25segmented_radix_sort_implIS3_Lb0EPKfPfPKlPlN2at6native12_GLOBAL__N_18offset_tEEE10hipError_tPvRmT1_PNSt15iterator_traitsISK_E10value_typeET2_T3_PNSL_ISQ_E10value_typeET4_jRbjT5_SW_jjP12ihipStream_tbEUlT_E1_NS1_11comp_targetILNS1_3genE9ELNS1_11target_archE1100ELNS1_3gpuE3ELNS1_3repE0EEENS1_59segmented_radix_sort_warp_sort_small_config_static_selectorELNS0_4arch9wavefront6targetE1EEEvSK_
    .private_segment_fixed_size: 0
    .sgpr_count:     4
    .sgpr_spill_count: 0
    .symbol:         _ZN7rocprim17ROCPRIM_400000_NS6detail17trampoline_kernelINS0_14default_configENS1_36segmented_radix_sort_config_selectorIflEEZNS1_25segmented_radix_sort_implIS3_Lb0EPKfPfPKlPlN2at6native12_GLOBAL__N_18offset_tEEE10hipError_tPvRmT1_PNSt15iterator_traitsISK_E10value_typeET2_T3_PNSL_ISQ_E10value_typeET4_jRbjT5_SW_jjP12ihipStream_tbEUlT_E1_NS1_11comp_targetILNS1_3genE9ELNS1_11target_archE1100ELNS1_3gpuE3ELNS1_3repE0EEENS1_59segmented_radix_sort_warp_sort_small_config_static_selectorELNS0_4arch9wavefront6targetE1EEEvSK_.kd
    .uniform_work_group_size: 1
    .uses_dynamic_stack: false
    .vgpr_count:     0
    .vgpr_spill_count: 0
    .wavefront_size: 64
  - .agpr_count:     0
    .args:
      - .offset:         0
        .size:           88
        .value_kind:     by_value
    .group_segment_fixed_size: 0
    .kernarg_segment_align: 8
    .kernarg_segment_size: 88
    .language:       OpenCL C
    .language_version:
      - 2
      - 0
    .max_flat_workgroup_size: 256
    .name:           _ZN7rocprim17ROCPRIM_400000_NS6detail17trampoline_kernelINS0_14default_configENS1_36segmented_radix_sort_config_selectorIflEEZNS1_25segmented_radix_sort_implIS3_Lb0EPKfPfPKlPlN2at6native12_GLOBAL__N_18offset_tEEE10hipError_tPvRmT1_PNSt15iterator_traitsISK_E10value_typeET2_T3_PNSL_ISQ_E10value_typeET4_jRbjT5_SW_jjP12ihipStream_tbEUlT_E1_NS1_11comp_targetILNS1_3genE8ELNS1_11target_archE1030ELNS1_3gpuE2ELNS1_3repE0EEENS1_59segmented_radix_sort_warp_sort_small_config_static_selectorELNS0_4arch9wavefront6targetE1EEEvSK_
    .private_segment_fixed_size: 0
    .sgpr_count:     4
    .sgpr_spill_count: 0
    .symbol:         _ZN7rocprim17ROCPRIM_400000_NS6detail17trampoline_kernelINS0_14default_configENS1_36segmented_radix_sort_config_selectorIflEEZNS1_25segmented_radix_sort_implIS3_Lb0EPKfPfPKlPlN2at6native12_GLOBAL__N_18offset_tEEE10hipError_tPvRmT1_PNSt15iterator_traitsISK_E10value_typeET2_T3_PNSL_ISQ_E10value_typeET4_jRbjT5_SW_jjP12ihipStream_tbEUlT_E1_NS1_11comp_targetILNS1_3genE8ELNS1_11target_archE1030ELNS1_3gpuE2ELNS1_3repE0EEENS1_59segmented_radix_sort_warp_sort_small_config_static_selectorELNS0_4arch9wavefront6targetE1EEEvSK_.kd
    .uniform_work_group_size: 1
    .uses_dynamic_stack: false
    .vgpr_count:     0
    .vgpr_spill_count: 0
    .wavefront_size: 64
  - .agpr_count:     0
    .args:
      - .offset:         0
        .size:           80
        .value_kind:     by_value
    .group_segment_fixed_size: 0
    .kernarg_segment_align: 8
    .kernarg_segment_size: 80
    .language:       OpenCL C
    .language_version:
      - 2
      - 0
    .max_flat_workgroup_size: 256
    .name:           _ZN7rocprim17ROCPRIM_400000_NS6detail17trampoline_kernelINS0_14default_configENS1_36segmented_radix_sort_config_selectorIflEEZNS1_25segmented_radix_sort_implIS3_Lb0EPKfPfPKlPlN2at6native12_GLOBAL__N_18offset_tEEE10hipError_tPvRmT1_PNSt15iterator_traitsISK_E10value_typeET2_T3_PNSL_ISQ_E10value_typeET4_jRbjT5_SW_jjP12ihipStream_tbEUlT_E2_NS1_11comp_targetILNS1_3genE0ELNS1_11target_archE4294967295ELNS1_3gpuE0ELNS1_3repE0EEENS1_30default_config_static_selectorELNS0_4arch9wavefront6targetE1EEEvSK_
    .private_segment_fixed_size: 0
    .sgpr_count:     4
    .sgpr_spill_count: 0
    .symbol:         _ZN7rocprim17ROCPRIM_400000_NS6detail17trampoline_kernelINS0_14default_configENS1_36segmented_radix_sort_config_selectorIflEEZNS1_25segmented_radix_sort_implIS3_Lb0EPKfPfPKlPlN2at6native12_GLOBAL__N_18offset_tEEE10hipError_tPvRmT1_PNSt15iterator_traitsISK_E10value_typeET2_T3_PNSL_ISQ_E10value_typeET4_jRbjT5_SW_jjP12ihipStream_tbEUlT_E2_NS1_11comp_targetILNS1_3genE0ELNS1_11target_archE4294967295ELNS1_3gpuE0ELNS1_3repE0EEENS1_30default_config_static_selectorELNS0_4arch9wavefront6targetE1EEEvSK_.kd
    .uniform_work_group_size: 1
    .uses_dynamic_stack: false
    .vgpr_count:     0
    .vgpr_spill_count: 0
    .wavefront_size: 64
  - .agpr_count:     0
    .args:
      - .offset:         0
        .size:           80
        .value_kind:     by_value
    .group_segment_fixed_size: 0
    .kernarg_segment_align: 8
    .kernarg_segment_size: 80
    .language:       OpenCL C
    .language_version:
      - 2
      - 0
    .max_flat_workgroup_size: 256
    .name:           _ZN7rocprim17ROCPRIM_400000_NS6detail17trampoline_kernelINS0_14default_configENS1_36segmented_radix_sort_config_selectorIflEEZNS1_25segmented_radix_sort_implIS3_Lb0EPKfPfPKlPlN2at6native12_GLOBAL__N_18offset_tEEE10hipError_tPvRmT1_PNSt15iterator_traitsISK_E10value_typeET2_T3_PNSL_ISQ_E10value_typeET4_jRbjT5_SW_jjP12ihipStream_tbEUlT_E2_NS1_11comp_targetILNS1_3genE5ELNS1_11target_archE942ELNS1_3gpuE9ELNS1_3repE0EEENS1_30default_config_static_selectorELNS0_4arch9wavefront6targetE1EEEvSK_
    .private_segment_fixed_size: 0
    .sgpr_count:     4
    .sgpr_spill_count: 0
    .symbol:         _ZN7rocprim17ROCPRIM_400000_NS6detail17trampoline_kernelINS0_14default_configENS1_36segmented_radix_sort_config_selectorIflEEZNS1_25segmented_radix_sort_implIS3_Lb0EPKfPfPKlPlN2at6native12_GLOBAL__N_18offset_tEEE10hipError_tPvRmT1_PNSt15iterator_traitsISK_E10value_typeET2_T3_PNSL_ISQ_E10value_typeET4_jRbjT5_SW_jjP12ihipStream_tbEUlT_E2_NS1_11comp_targetILNS1_3genE5ELNS1_11target_archE942ELNS1_3gpuE9ELNS1_3repE0EEENS1_30default_config_static_selectorELNS0_4arch9wavefront6targetE1EEEvSK_.kd
    .uniform_work_group_size: 1
    .uses_dynamic_stack: false
    .vgpr_count:     0
    .vgpr_spill_count: 0
    .wavefront_size: 64
  - .agpr_count:     0
    .args:
      - .offset:         0
        .size:           80
        .value_kind:     by_value
      - .offset:         80
        .size:           4
        .value_kind:     hidden_block_count_x
      - .offset:         84
        .size:           4
        .value_kind:     hidden_block_count_y
      - .offset:         88
        .size:           4
        .value_kind:     hidden_block_count_z
      - .offset:         92
        .size:           2
        .value_kind:     hidden_group_size_x
      - .offset:         94
        .size:           2
        .value_kind:     hidden_group_size_y
      - .offset:         96
        .size:           2
        .value_kind:     hidden_group_size_z
      - .offset:         98
        .size:           2
        .value_kind:     hidden_remainder_x
      - .offset:         100
        .size:           2
        .value_kind:     hidden_remainder_y
      - .offset:         102
        .size:           2
        .value_kind:     hidden_remainder_z
      - .offset:         120
        .size:           8
        .value_kind:     hidden_global_offset_x
      - .offset:         128
        .size:           8
        .value_kind:     hidden_global_offset_y
      - .offset:         136
        .size:           8
        .value_kind:     hidden_global_offset_z
      - .offset:         144
        .size:           2
        .value_kind:     hidden_grid_dims
      - .offset:         160
        .size:           8
        .value_kind:     hidden_hostcall_buffer
      - .offset:         168
        .size:           8
        .value_kind:     hidden_multigrid_sync_arg
      - .offset:         176
        .size:           8
        .value_kind:     hidden_heap_v1
      - .offset:         184
        .size:           8
        .value_kind:     hidden_default_queue
      - .offset:         192
        .size:           8
        .value_kind:     hidden_completion_action
      - .offset:         280
        .size:           8
        .value_kind:     hidden_queue_ptr
    .group_segment_fixed_size: 17424
    .kernarg_segment_align: 8
    .kernarg_segment_size: 336
    .language:       OpenCL C
    .language_version:
      - 2
      - 0
    .max_flat_workgroup_size: 256
    .name:           _ZN7rocprim17ROCPRIM_400000_NS6detail17trampoline_kernelINS0_14default_configENS1_36segmented_radix_sort_config_selectorIflEEZNS1_25segmented_radix_sort_implIS3_Lb0EPKfPfPKlPlN2at6native12_GLOBAL__N_18offset_tEEE10hipError_tPvRmT1_PNSt15iterator_traitsISK_E10value_typeET2_T3_PNSL_ISQ_E10value_typeET4_jRbjT5_SW_jjP12ihipStream_tbEUlT_E2_NS1_11comp_targetILNS1_3genE4ELNS1_11target_archE910ELNS1_3gpuE8ELNS1_3repE0EEENS1_30default_config_static_selectorELNS0_4arch9wavefront6targetE1EEEvSK_
    .private_segment_fixed_size: 8
    .sgpr_count:     94
    .sgpr_spill_count: 0
    .symbol:         _ZN7rocprim17ROCPRIM_400000_NS6detail17trampoline_kernelINS0_14default_configENS1_36segmented_radix_sort_config_selectorIflEEZNS1_25segmented_radix_sort_implIS3_Lb0EPKfPfPKlPlN2at6native12_GLOBAL__N_18offset_tEEE10hipError_tPvRmT1_PNSt15iterator_traitsISK_E10value_typeET2_T3_PNSL_ISQ_E10value_typeET4_jRbjT5_SW_jjP12ihipStream_tbEUlT_E2_NS1_11comp_targetILNS1_3genE4ELNS1_11target_archE910ELNS1_3gpuE8ELNS1_3repE0EEENS1_30default_config_static_selectorELNS0_4arch9wavefront6targetE1EEEvSK_.kd
    .uniform_work_group_size: 1
    .uses_dynamic_stack: false
    .vgpr_count:     195
    .vgpr_spill_count: 0
    .wavefront_size: 64
  - .agpr_count:     0
    .args:
      - .offset:         0
        .size:           80
        .value_kind:     by_value
    .group_segment_fixed_size: 0
    .kernarg_segment_align: 8
    .kernarg_segment_size: 80
    .language:       OpenCL C
    .language_version:
      - 2
      - 0
    .max_flat_workgroup_size: 256
    .name:           _ZN7rocprim17ROCPRIM_400000_NS6detail17trampoline_kernelINS0_14default_configENS1_36segmented_radix_sort_config_selectorIflEEZNS1_25segmented_radix_sort_implIS3_Lb0EPKfPfPKlPlN2at6native12_GLOBAL__N_18offset_tEEE10hipError_tPvRmT1_PNSt15iterator_traitsISK_E10value_typeET2_T3_PNSL_ISQ_E10value_typeET4_jRbjT5_SW_jjP12ihipStream_tbEUlT_E2_NS1_11comp_targetILNS1_3genE3ELNS1_11target_archE908ELNS1_3gpuE7ELNS1_3repE0EEENS1_30default_config_static_selectorELNS0_4arch9wavefront6targetE1EEEvSK_
    .private_segment_fixed_size: 0
    .sgpr_count:     4
    .sgpr_spill_count: 0
    .symbol:         _ZN7rocprim17ROCPRIM_400000_NS6detail17trampoline_kernelINS0_14default_configENS1_36segmented_radix_sort_config_selectorIflEEZNS1_25segmented_radix_sort_implIS3_Lb0EPKfPfPKlPlN2at6native12_GLOBAL__N_18offset_tEEE10hipError_tPvRmT1_PNSt15iterator_traitsISK_E10value_typeET2_T3_PNSL_ISQ_E10value_typeET4_jRbjT5_SW_jjP12ihipStream_tbEUlT_E2_NS1_11comp_targetILNS1_3genE3ELNS1_11target_archE908ELNS1_3gpuE7ELNS1_3repE0EEENS1_30default_config_static_selectorELNS0_4arch9wavefront6targetE1EEEvSK_.kd
    .uniform_work_group_size: 1
    .uses_dynamic_stack: false
    .vgpr_count:     0
    .vgpr_spill_count: 0
    .wavefront_size: 64
  - .agpr_count:     0
    .args:
      - .offset:         0
        .size:           80
        .value_kind:     by_value
    .group_segment_fixed_size: 0
    .kernarg_segment_align: 8
    .kernarg_segment_size: 80
    .language:       OpenCL C
    .language_version:
      - 2
      - 0
    .max_flat_workgroup_size: 256
    .name:           _ZN7rocprim17ROCPRIM_400000_NS6detail17trampoline_kernelINS0_14default_configENS1_36segmented_radix_sort_config_selectorIflEEZNS1_25segmented_radix_sort_implIS3_Lb0EPKfPfPKlPlN2at6native12_GLOBAL__N_18offset_tEEE10hipError_tPvRmT1_PNSt15iterator_traitsISK_E10value_typeET2_T3_PNSL_ISQ_E10value_typeET4_jRbjT5_SW_jjP12ihipStream_tbEUlT_E2_NS1_11comp_targetILNS1_3genE2ELNS1_11target_archE906ELNS1_3gpuE6ELNS1_3repE0EEENS1_30default_config_static_selectorELNS0_4arch9wavefront6targetE1EEEvSK_
    .private_segment_fixed_size: 0
    .sgpr_count:     4
    .sgpr_spill_count: 0
    .symbol:         _ZN7rocprim17ROCPRIM_400000_NS6detail17trampoline_kernelINS0_14default_configENS1_36segmented_radix_sort_config_selectorIflEEZNS1_25segmented_radix_sort_implIS3_Lb0EPKfPfPKlPlN2at6native12_GLOBAL__N_18offset_tEEE10hipError_tPvRmT1_PNSt15iterator_traitsISK_E10value_typeET2_T3_PNSL_ISQ_E10value_typeET4_jRbjT5_SW_jjP12ihipStream_tbEUlT_E2_NS1_11comp_targetILNS1_3genE2ELNS1_11target_archE906ELNS1_3gpuE6ELNS1_3repE0EEENS1_30default_config_static_selectorELNS0_4arch9wavefront6targetE1EEEvSK_.kd
    .uniform_work_group_size: 1
    .uses_dynamic_stack: false
    .vgpr_count:     0
    .vgpr_spill_count: 0
    .wavefront_size: 64
  - .agpr_count:     0
    .args:
      - .offset:         0
        .size:           80
        .value_kind:     by_value
    .group_segment_fixed_size: 0
    .kernarg_segment_align: 8
    .kernarg_segment_size: 80
    .language:       OpenCL C
    .language_version:
      - 2
      - 0
    .max_flat_workgroup_size: 256
    .name:           _ZN7rocprim17ROCPRIM_400000_NS6detail17trampoline_kernelINS0_14default_configENS1_36segmented_radix_sort_config_selectorIflEEZNS1_25segmented_radix_sort_implIS3_Lb0EPKfPfPKlPlN2at6native12_GLOBAL__N_18offset_tEEE10hipError_tPvRmT1_PNSt15iterator_traitsISK_E10value_typeET2_T3_PNSL_ISQ_E10value_typeET4_jRbjT5_SW_jjP12ihipStream_tbEUlT_E2_NS1_11comp_targetILNS1_3genE10ELNS1_11target_archE1201ELNS1_3gpuE5ELNS1_3repE0EEENS1_30default_config_static_selectorELNS0_4arch9wavefront6targetE1EEEvSK_
    .private_segment_fixed_size: 0
    .sgpr_count:     4
    .sgpr_spill_count: 0
    .symbol:         _ZN7rocprim17ROCPRIM_400000_NS6detail17trampoline_kernelINS0_14default_configENS1_36segmented_radix_sort_config_selectorIflEEZNS1_25segmented_radix_sort_implIS3_Lb0EPKfPfPKlPlN2at6native12_GLOBAL__N_18offset_tEEE10hipError_tPvRmT1_PNSt15iterator_traitsISK_E10value_typeET2_T3_PNSL_ISQ_E10value_typeET4_jRbjT5_SW_jjP12ihipStream_tbEUlT_E2_NS1_11comp_targetILNS1_3genE10ELNS1_11target_archE1201ELNS1_3gpuE5ELNS1_3repE0EEENS1_30default_config_static_selectorELNS0_4arch9wavefront6targetE1EEEvSK_.kd
    .uniform_work_group_size: 1
    .uses_dynamic_stack: false
    .vgpr_count:     0
    .vgpr_spill_count: 0
    .wavefront_size: 64
  - .agpr_count:     0
    .args:
      - .offset:         0
        .size:           80
        .value_kind:     by_value
    .group_segment_fixed_size: 0
    .kernarg_segment_align: 8
    .kernarg_segment_size: 80
    .language:       OpenCL C
    .language_version:
      - 2
      - 0
    .max_flat_workgroup_size: 128
    .name:           _ZN7rocprim17ROCPRIM_400000_NS6detail17trampoline_kernelINS0_14default_configENS1_36segmented_radix_sort_config_selectorIflEEZNS1_25segmented_radix_sort_implIS3_Lb0EPKfPfPKlPlN2at6native12_GLOBAL__N_18offset_tEEE10hipError_tPvRmT1_PNSt15iterator_traitsISK_E10value_typeET2_T3_PNSL_ISQ_E10value_typeET4_jRbjT5_SW_jjP12ihipStream_tbEUlT_E2_NS1_11comp_targetILNS1_3genE10ELNS1_11target_archE1200ELNS1_3gpuE4ELNS1_3repE0EEENS1_30default_config_static_selectorELNS0_4arch9wavefront6targetE1EEEvSK_
    .private_segment_fixed_size: 0
    .sgpr_count:     4
    .sgpr_spill_count: 0
    .symbol:         _ZN7rocprim17ROCPRIM_400000_NS6detail17trampoline_kernelINS0_14default_configENS1_36segmented_radix_sort_config_selectorIflEEZNS1_25segmented_radix_sort_implIS3_Lb0EPKfPfPKlPlN2at6native12_GLOBAL__N_18offset_tEEE10hipError_tPvRmT1_PNSt15iterator_traitsISK_E10value_typeET2_T3_PNSL_ISQ_E10value_typeET4_jRbjT5_SW_jjP12ihipStream_tbEUlT_E2_NS1_11comp_targetILNS1_3genE10ELNS1_11target_archE1200ELNS1_3gpuE4ELNS1_3repE0EEENS1_30default_config_static_selectorELNS0_4arch9wavefront6targetE1EEEvSK_.kd
    .uniform_work_group_size: 1
    .uses_dynamic_stack: false
    .vgpr_count:     0
    .vgpr_spill_count: 0
    .wavefront_size: 64
  - .agpr_count:     0
    .args:
      - .offset:         0
        .size:           80
        .value_kind:     by_value
    .group_segment_fixed_size: 0
    .kernarg_segment_align: 8
    .kernarg_segment_size: 80
    .language:       OpenCL C
    .language_version:
      - 2
      - 0
    .max_flat_workgroup_size: 256
    .name:           _ZN7rocprim17ROCPRIM_400000_NS6detail17trampoline_kernelINS0_14default_configENS1_36segmented_radix_sort_config_selectorIflEEZNS1_25segmented_radix_sort_implIS3_Lb0EPKfPfPKlPlN2at6native12_GLOBAL__N_18offset_tEEE10hipError_tPvRmT1_PNSt15iterator_traitsISK_E10value_typeET2_T3_PNSL_ISQ_E10value_typeET4_jRbjT5_SW_jjP12ihipStream_tbEUlT_E2_NS1_11comp_targetILNS1_3genE9ELNS1_11target_archE1100ELNS1_3gpuE3ELNS1_3repE0EEENS1_30default_config_static_selectorELNS0_4arch9wavefront6targetE1EEEvSK_
    .private_segment_fixed_size: 0
    .sgpr_count:     4
    .sgpr_spill_count: 0
    .symbol:         _ZN7rocprim17ROCPRIM_400000_NS6detail17trampoline_kernelINS0_14default_configENS1_36segmented_radix_sort_config_selectorIflEEZNS1_25segmented_radix_sort_implIS3_Lb0EPKfPfPKlPlN2at6native12_GLOBAL__N_18offset_tEEE10hipError_tPvRmT1_PNSt15iterator_traitsISK_E10value_typeET2_T3_PNSL_ISQ_E10value_typeET4_jRbjT5_SW_jjP12ihipStream_tbEUlT_E2_NS1_11comp_targetILNS1_3genE9ELNS1_11target_archE1100ELNS1_3gpuE3ELNS1_3repE0EEENS1_30default_config_static_selectorELNS0_4arch9wavefront6targetE1EEEvSK_.kd
    .uniform_work_group_size: 1
    .uses_dynamic_stack: false
    .vgpr_count:     0
    .vgpr_spill_count: 0
    .wavefront_size: 64
  - .agpr_count:     0
    .args:
      - .offset:         0
        .size:           80
        .value_kind:     by_value
    .group_segment_fixed_size: 0
    .kernarg_segment_align: 8
    .kernarg_segment_size: 80
    .language:       OpenCL C
    .language_version:
      - 2
      - 0
    .max_flat_workgroup_size: 256
    .name:           _ZN7rocprim17ROCPRIM_400000_NS6detail17trampoline_kernelINS0_14default_configENS1_36segmented_radix_sort_config_selectorIflEEZNS1_25segmented_radix_sort_implIS3_Lb0EPKfPfPKlPlN2at6native12_GLOBAL__N_18offset_tEEE10hipError_tPvRmT1_PNSt15iterator_traitsISK_E10value_typeET2_T3_PNSL_ISQ_E10value_typeET4_jRbjT5_SW_jjP12ihipStream_tbEUlT_E2_NS1_11comp_targetILNS1_3genE8ELNS1_11target_archE1030ELNS1_3gpuE2ELNS1_3repE0EEENS1_30default_config_static_selectorELNS0_4arch9wavefront6targetE1EEEvSK_
    .private_segment_fixed_size: 0
    .sgpr_count:     4
    .sgpr_spill_count: 0
    .symbol:         _ZN7rocprim17ROCPRIM_400000_NS6detail17trampoline_kernelINS0_14default_configENS1_36segmented_radix_sort_config_selectorIflEEZNS1_25segmented_radix_sort_implIS3_Lb0EPKfPfPKlPlN2at6native12_GLOBAL__N_18offset_tEEE10hipError_tPvRmT1_PNSt15iterator_traitsISK_E10value_typeET2_T3_PNSL_ISQ_E10value_typeET4_jRbjT5_SW_jjP12ihipStream_tbEUlT_E2_NS1_11comp_targetILNS1_3genE8ELNS1_11target_archE1030ELNS1_3gpuE2ELNS1_3repE0EEENS1_30default_config_static_selectorELNS0_4arch9wavefront6targetE1EEEvSK_.kd
    .uniform_work_group_size: 1
    .uses_dynamic_stack: false
    .vgpr_count:     0
    .vgpr_spill_count: 0
    .wavefront_size: 64
  - .agpr_count:     0
    .args:
      - .address_space:  global
        .offset:         0
        .size:           8
        .value_kind:     global_buffer
      - .address_space:  global
        .offset:         8
        .size:           8
        .value_kind:     global_buffer
      - .address_space:  global
        .offset:         16
        .size:           8
        .value_kind:     global_buffer
      - .address_space:  global
        .offset:         24
        .size:           8
        .value_kind:     global_buffer
      - .offset:         32
        .size:           4
        .value_kind:     by_value
      - .offset:         36
        .size:           4
        .value_kind:     by_value
      - .offset:         40
        .size:           4
        .value_kind:     hidden_block_count_x
      - .offset:         44
        .size:           4
        .value_kind:     hidden_block_count_y
      - .offset:         48
        .size:           4
        .value_kind:     hidden_block_count_z
      - .offset:         52
        .size:           2
        .value_kind:     hidden_group_size_x
      - .offset:         54
        .size:           2
        .value_kind:     hidden_group_size_y
      - .offset:         56
        .size:           2
        .value_kind:     hidden_group_size_z
      - .offset:         58
        .size:           2
        .value_kind:     hidden_remainder_x
      - .offset:         60
        .size:           2
        .value_kind:     hidden_remainder_y
      - .offset:         62
        .size:           2
        .value_kind:     hidden_remainder_z
      - .offset:         80
        .size:           8
        .value_kind:     hidden_global_offset_x
      - .offset:         88
        .size:           8
        .value_kind:     hidden_global_offset_y
      - .offset:         96
        .size:           8
        .value_kind:     hidden_global_offset_z
      - .offset:         104
        .size:           2
        .value_kind:     hidden_grid_dims
    .group_segment_fixed_size: 0
    .kernarg_segment_align: 8
    .kernarg_segment_size: 296
    .language:       OpenCL C
    .language_version:
      - 2
      - 0
    .max_flat_workgroup_size: 1024
    .name:           _ZN2at6native12_GLOBAL__N_123sort_postprocess_kernelIbEEvPKT_PS3_PlPK15HIP_vector_typeIiLj2EEii
    .private_segment_fixed_size: 0
    .sgpr_count:     21
    .sgpr_spill_count: 0
    .symbol:         _ZN2at6native12_GLOBAL__N_123sort_postprocess_kernelIbEEvPKT_PS3_PlPK15HIP_vector_typeIiLj2EEii.kd
    .uniform_work_group_size: 1
    .uses_dynamic_stack: false
    .vgpr_count:     20
    .vgpr_spill_count: 0
    .wavefront_size: 64
  - .agpr_count:     0
    .args:
      - .offset:         0
        .size:           176
        .value_kind:     by_value
    .group_segment_fixed_size: 0
    .kernarg_segment_align: 8
    .kernarg_segment_size: 176
    .language:       OpenCL C
    .language_version:
      - 2
      - 0
    .max_flat_workgroup_size: 256
    .name:           _ZN7rocprim17ROCPRIM_400000_NS6detail17trampoline_kernelINS0_13select_configILj256ELj13ELNS0_17block_load_methodE3ELS4_3ELS4_3ELNS0_20block_scan_algorithmE0ELj4294967295EEENS1_25partition_config_selectorILNS1_17partition_subalgoE4EjNS0_10empty_typeEbEEZZNS1_14partition_implILS8_4ELb0ES6_15HIP_vector_typeIjLj2EENS0_17counting_iteratorIjlEEPS9_SG_NS0_5tupleIJPjSI_NS0_16reverse_iteratorISI_EEEEENSH_IJSG_SG_SG_EEES9_SI_JZNS1_25segmented_radix_sort_implINS0_14default_configELb1EPKbPbPKlPlN2at6native12_GLOBAL__N_18offset_tEEE10hipError_tPvRmT1_PNSt15iterator_traitsIS12_E10value_typeET2_T3_PNS13_IS18_E10value_typeET4_jRbjT5_S1E_jjP12ihipStream_tbEUljE_ZNSN_ISO_Lb1ESQ_SR_ST_SU_SY_EESZ_S10_S11_S12_S16_S17_S18_S1B_S1C_jS1D_jS1E_S1E_jjS1G_bEUljE0_EEESZ_S10_S11_S18_S1C_S1E_T6_T7_T9_mT8_S1G_bDpT10_ENKUlT_T0_E_clISt17integral_constantIbLb0EES1U_EEDaS1P_S1Q_EUlS1P_E_NS1_11comp_targetILNS1_3genE0ELNS1_11target_archE4294967295ELNS1_3gpuE0ELNS1_3repE0EEENS1_30default_config_static_selectorELNS0_4arch9wavefront6targetE1EEEvS12_
    .private_segment_fixed_size: 0
    .sgpr_count:     4
    .sgpr_spill_count: 0
    .symbol:         _ZN7rocprim17ROCPRIM_400000_NS6detail17trampoline_kernelINS0_13select_configILj256ELj13ELNS0_17block_load_methodE3ELS4_3ELS4_3ELNS0_20block_scan_algorithmE0ELj4294967295EEENS1_25partition_config_selectorILNS1_17partition_subalgoE4EjNS0_10empty_typeEbEEZZNS1_14partition_implILS8_4ELb0ES6_15HIP_vector_typeIjLj2EENS0_17counting_iteratorIjlEEPS9_SG_NS0_5tupleIJPjSI_NS0_16reverse_iteratorISI_EEEEENSH_IJSG_SG_SG_EEES9_SI_JZNS1_25segmented_radix_sort_implINS0_14default_configELb1EPKbPbPKlPlN2at6native12_GLOBAL__N_18offset_tEEE10hipError_tPvRmT1_PNSt15iterator_traitsIS12_E10value_typeET2_T3_PNS13_IS18_E10value_typeET4_jRbjT5_S1E_jjP12ihipStream_tbEUljE_ZNSN_ISO_Lb1ESQ_SR_ST_SU_SY_EESZ_S10_S11_S12_S16_S17_S18_S1B_S1C_jS1D_jS1E_S1E_jjS1G_bEUljE0_EEESZ_S10_S11_S18_S1C_S1E_T6_T7_T9_mT8_S1G_bDpT10_ENKUlT_T0_E_clISt17integral_constantIbLb0EES1U_EEDaS1P_S1Q_EUlS1P_E_NS1_11comp_targetILNS1_3genE0ELNS1_11target_archE4294967295ELNS1_3gpuE0ELNS1_3repE0EEENS1_30default_config_static_selectorELNS0_4arch9wavefront6targetE1EEEvS12_.kd
    .uniform_work_group_size: 1
    .uses_dynamic_stack: false
    .vgpr_count:     0
    .vgpr_spill_count: 0
    .wavefront_size: 64
  - .agpr_count:     0
    .args:
      - .offset:         0
        .size:           176
        .value_kind:     by_value
    .group_segment_fixed_size: 0
    .kernarg_segment_align: 8
    .kernarg_segment_size: 176
    .language:       OpenCL C
    .language_version:
      - 2
      - 0
    .max_flat_workgroup_size: 256
    .name:           _ZN7rocprim17ROCPRIM_400000_NS6detail17trampoline_kernelINS0_13select_configILj256ELj13ELNS0_17block_load_methodE3ELS4_3ELS4_3ELNS0_20block_scan_algorithmE0ELj4294967295EEENS1_25partition_config_selectorILNS1_17partition_subalgoE4EjNS0_10empty_typeEbEEZZNS1_14partition_implILS8_4ELb0ES6_15HIP_vector_typeIjLj2EENS0_17counting_iteratorIjlEEPS9_SG_NS0_5tupleIJPjSI_NS0_16reverse_iteratorISI_EEEEENSH_IJSG_SG_SG_EEES9_SI_JZNS1_25segmented_radix_sort_implINS0_14default_configELb1EPKbPbPKlPlN2at6native12_GLOBAL__N_18offset_tEEE10hipError_tPvRmT1_PNSt15iterator_traitsIS12_E10value_typeET2_T3_PNS13_IS18_E10value_typeET4_jRbjT5_S1E_jjP12ihipStream_tbEUljE_ZNSN_ISO_Lb1ESQ_SR_ST_SU_SY_EESZ_S10_S11_S12_S16_S17_S18_S1B_S1C_jS1D_jS1E_S1E_jjS1G_bEUljE0_EEESZ_S10_S11_S18_S1C_S1E_T6_T7_T9_mT8_S1G_bDpT10_ENKUlT_T0_E_clISt17integral_constantIbLb0EES1U_EEDaS1P_S1Q_EUlS1P_E_NS1_11comp_targetILNS1_3genE5ELNS1_11target_archE942ELNS1_3gpuE9ELNS1_3repE0EEENS1_30default_config_static_selectorELNS0_4arch9wavefront6targetE1EEEvS12_
    .private_segment_fixed_size: 0
    .sgpr_count:     4
    .sgpr_spill_count: 0
    .symbol:         _ZN7rocprim17ROCPRIM_400000_NS6detail17trampoline_kernelINS0_13select_configILj256ELj13ELNS0_17block_load_methodE3ELS4_3ELS4_3ELNS0_20block_scan_algorithmE0ELj4294967295EEENS1_25partition_config_selectorILNS1_17partition_subalgoE4EjNS0_10empty_typeEbEEZZNS1_14partition_implILS8_4ELb0ES6_15HIP_vector_typeIjLj2EENS0_17counting_iteratorIjlEEPS9_SG_NS0_5tupleIJPjSI_NS0_16reverse_iteratorISI_EEEEENSH_IJSG_SG_SG_EEES9_SI_JZNS1_25segmented_radix_sort_implINS0_14default_configELb1EPKbPbPKlPlN2at6native12_GLOBAL__N_18offset_tEEE10hipError_tPvRmT1_PNSt15iterator_traitsIS12_E10value_typeET2_T3_PNS13_IS18_E10value_typeET4_jRbjT5_S1E_jjP12ihipStream_tbEUljE_ZNSN_ISO_Lb1ESQ_SR_ST_SU_SY_EESZ_S10_S11_S12_S16_S17_S18_S1B_S1C_jS1D_jS1E_S1E_jjS1G_bEUljE0_EEESZ_S10_S11_S18_S1C_S1E_T6_T7_T9_mT8_S1G_bDpT10_ENKUlT_T0_E_clISt17integral_constantIbLb0EES1U_EEDaS1P_S1Q_EUlS1P_E_NS1_11comp_targetILNS1_3genE5ELNS1_11target_archE942ELNS1_3gpuE9ELNS1_3repE0EEENS1_30default_config_static_selectorELNS0_4arch9wavefront6targetE1EEEvS12_.kd
    .uniform_work_group_size: 1
    .uses_dynamic_stack: false
    .vgpr_count:     0
    .vgpr_spill_count: 0
    .wavefront_size: 64
  - .agpr_count:     0
    .args:
      - .offset:         0
        .size:           176
        .value_kind:     by_value
    .group_segment_fixed_size: 13340
    .kernarg_segment_align: 8
    .kernarg_segment_size: 176
    .language:       OpenCL C
    .language_version:
      - 2
      - 0
    .max_flat_workgroup_size: 256
    .name:           _ZN7rocprim17ROCPRIM_400000_NS6detail17trampoline_kernelINS0_13select_configILj256ELj13ELNS0_17block_load_methodE3ELS4_3ELS4_3ELNS0_20block_scan_algorithmE0ELj4294967295EEENS1_25partition_config_selectorILNS1_17partition_subalgoE4EjNS0_10empty_typeEbEEZZNS1_14partition_implILS8_4ELb0ES6_15HIP_vector_typeIjLj2EENS0_17counting_iteratorIjlEEPS9_SG_NS0_5tupleIJPjSI_NS0_16reverse_iteratorISI_EEEEENSH_IJSG_SG_SG_EEES9_SI_JZNS1_25segmented_radix_sort_implINS0_14default_configELb1EPKbPbPKlPlN2at6native12_GLOBAL__N_18offset_tEEE10hipError_tPvRmT1_PNSt15iterator_traitsIS12_E10value_typeET2_T3_PNS13_IS18_E10value_typeET4_jRbjT5_S1E_jjP12ihipStream_tbEUljE_ZNSN_ISO_Lb1ESQ_SR_ST_SU_SY_EESZ_S10_S11_S12_S16_S17_S18_S1B_S1C_jS1D_jS1E_S1E_jjS1G_bEUljE0_EEESZ_S10_S11_S18_S1C_S1E_T6_T7_T9_mT8_S1G_bDpT10_ENKUlT_T0_E_clISt17integral_constantIbLb0EES1U_EEDaS1P_S1Q_EUlS1P_E_NS1_11comp_targetILNS1_3genE4ELNS1_11target_archE910ELNS1_3gpuE8ELNS1_3repE0EEENS1_30default_config_static_selectorELNS0_4arch9wavefront6targetE1EEEvS12_
    .private_segment_fixed_size: 0
    .sgpr_count:     94
    .sgpr_spill_count: 0
    .symbol:         _ZN7rocprim17ROCPRIM_400000_NS6detail17trampoline_kernelINS0_13select_configILj256ELj13ELNS0_17block_load_methodE3ELS4_3ELS4_3ELNS0_20block_scan_algorithmE0ELj4294967295EEENS1_25partition_config_selectorILNS1_17partition_subalgoE4EjNS0_10empty_typeEbEEZZNS1_14partition_implILS8_4ELb0ES6_15HIP_vector_typeIjLj2EENS0_17counting_iteratorIjlEEPS9_SG_NS0_5tupleIJPjSI_NS0_16reverse_iteratorISI_EEEEENSH_IJSG_SG_SG_EEES9_SI_JZNS1_25segmented_radix_sort_implINS0_14default_configELb1EPKbPbPKlPlN2at6native12_GLOBAL__N_18offset_tEEE10hipError_tPvRmT1_PNSt15iterator_traitsIS12_E10value_typeET2_T3_PNS13_IS18_E10value_typeET4_jRbjT5_S1E_jjP12ihipStream_tbEUljE_ZNSN_ISO_Lb1ESQ_SR_ST_SU_SY_EESZ_S10_S11_S12_S16_S17_S18_S1B_S1C_jS1D_jS1E_S1E_jjS1G_bEUljE0_EEESZ_S10_S11_S18_S1C_S1E_T6_T7_T9_mT8_S1G_bDpT10_ENKUlT_T0_E_clISt17integral_constantIbLb0EES1U_EEDaS1P_S1Q_EUlS1P_E_NS1_11comp_targetILNS1_3genE4ELNS1_11target_archE910ELNS1_3gpuE8ELNS1_3repE0EEENS1_30default_config_static_selectorELNS0_4arch9wavefront6targetE1EEEvS12_.kd
    .uniform_work_group_size: 1
    .uses_dynamic_stack: false
    .vgpr_count:     102
    .vgpr_spill_count: 0
    .wavefront_size: 64
  - .agpr_count:     0
    .args:
      - .offset:         0
        .size:           176
        .value_kind:     by_value
    .group_segment_fixed_size: 0
    .kernarg_segment_align: 8
    .kernarg_segment_size: 176
    .language:       OpenCL C
    .language_version:
      - 2
      - 0
    .max_flat_workgroup_size: 256
    .name:           _ZN7rocprim17ROCPRIM_400000_NS6detail17trampoline_kernelINS0_13select_configILj256ELj13ELNS0_17block_load_methodE3ELS4_3ELS4_3ELNS0_20block_scan_algorithmE0ELj4294967295EEENS1_25partition_config_selectorILNS1_17partition_subalgoE4EjNS0_10empty_typeEbEEZZNS1_14partition_implILS8_4ELb0ES6_15HIP_vector_typeIjLj2EENS0_17counting_iteratorIjlEEPS9_SG_NS0_5tupleIJPjSI_NS0_16reverse_iteratorISI_EEEEENSH_IJSG_SG_SG_EEES9_SI_JZNS1_25segmented_radix_sort_implINS0_14default_configELb1EPKbPbPKlPlN2at6native12_GLOBAL__N_18offset_tEEE10hipError_tPvRmT1_PNSt15iterator_traitsIS12_E10value_typeET2_T3_PNS13_IS18_E10value_typeET4_jRbjT5_S1E_jjP12ihipStream_tbEUljE_ZNSN_ISO_Lb1ESQ_SR_ST_SU_SY_EESZ_S10_S11_S12_S16_S17_S18_S1B_S1C_jS1D_jS1E_S1E_jjS1G_bEUljE0_EEESZ_S10_S11_S18_S1C_S1E_T6_T7_T9_mT8_S1G_bDpT10_ENKUlT_T0_E_clISt17integral_constantIbLb0EES1U_EEDaS1P_S1Q_EUlS1P_E_NS1_11comp_targetILNS1_3genE3ELNS1_11target_archE908ELNS1_3gpuE7ELNS1_3repE0EEENS1_30default_config_static_selectorELNS0_4arch9wavefront6targetE1EEEvS12_
    .private_segment_fixed_size: 0
    .sgpr_count:     4
    .sgpr_spill_count: 0
    .symbol:         _ZN7rocprim17ROCPRIM_400000_NS6detail17trampoline_kernelINS0_13select_configILj256ELj13ELNS0_17block_load_methodE3ELS4_3ELS4_3ELNS0_20block_scan_algorithmE0ELj4294967295EEENS1_25partition_config_selectorILNS1_17partition_subalgoE4EjNS0_10empty_typeEbEEZZNS1_14partition_implILS8_4ELb0ES6_15HIP_vector_typeIjLj2EENS0_17counting_iteratorIjlEEPS9_SG_NS0_5tupleIJPjSI_NS0_16reverse_iteratorISI_EEEEENSH_IJSG_SG_SG_EEES9_SI_JZNS1_25segmented_radix_sort_implINS0_14default_configELb1EPKbPbPKlPlN2at6native12_GLOBAL__N_18offset_tEEE10hipError_tPvRmT1_PNSt15iterator_traitsIS12_E10value_typeET2_T3_PNS13_IS18_E10value_typeET4_jRbjT5_S1E_jjP12ihipStream_tbEUljE_ZNSN_ISO_Lb1ESQ_SR_ST_SU_SY_EESZ_S10_S11_S12_S16_S17_S18_S1B_S1C_jS1D_jS1E_S1E_jjS1G_bEUljE0_EEESZ_S10_S11_S18_S1C_S1E_T6_T7_T9_mT8_S1G_bDpT10_ENKUlT_T0_E_clISt17integral_constantIbLb0EES1U_EEDaS1P_S1Q_EUlS1P_E_NS1_11comp_targetILNS1_3genE3ELNS1_11target_archE908ELNS1_3gpuE7ELNS1_3repE0EEENS1_30default_config_static_selectorELNS0_4arch9wavefront6targetE1EEEvS12_.kd
    .uniform_work_group_size: 1
    .uses_dynamic_stack: false
    .vgpr_count:     0
    .vgpr_spill_count: 0
    .wavefront_size: 64
  - .agpr_count:     0
    .args:
      - .offset:         0
        .size:           176
        .value_kind:     by_value
    .group_segment_fixed_size: 0
    .kernarg_segment_align: 8
    .kernarg_segment_size: 176
    .language:       OpenCL C
    .language_version:
      - 2
      - 0
    .max_flat_workgroup_size: 256
    .name:           _ZN7rocprim17ROCPRIM_400000_NS6detail17trampoline_kernelINS0_13select_configILj256ELj13ELNS0_17block_load_methodE3ELS4_3ELS4_3ELNS0_20block_scan_algorithmE0ELj4294967295EEENS1_25partition_config_selectorILNS1_17partition_subalgoE4EjNS0_10empty_typeEbEEZZNS1_14partition_implILS8_4ELb0ES6_15HIP_vector_typeIjLj2EENS0_17counting_iteratorIjlEEPS9_SG_NS0_5tupleIJPjSI_NS0_16reverse_iteratorISI_EEEEENSH_IJSG_SG_SG_EEES9_SI_JZNS1_25segmented_radix_sort_implINS0_14default_configELb1EPKbPbPKlPlN2at6native12_GLOBAL__N_18offset_tEEE10hipError_tPvRmT1_PNSt15iterator_traitsIS12_E10value_typeET2_T3_PNS13_IS18_E10value_typeET4_jRbjT5_S1E_jjP12ihipStream_tbEUljE_ZNSN_ISO_Lb1ESQ_SR_ST_SU_SY_EESZ_S10_S11_S12_S16_S17_S18_S1B_S1C_jS1D_jS1E_S1E_jjS1G_bEUljE0_EEESZ_S10_S11_S18_S1C_S1E_T6_T7_T9_mT8_S1G_bDpT10_ENKUlT_T0_E_clISt17integral_constantIbLb0EES1U_EEDaS1P_S1Q_EUlS1P_E_NS1_11comp_targetILNS1_3genE2ELNS1_11target_archE906ELNS1_3gpuE6ELNS1_3repE0EEENS1_30default_config_static_selectorELNS0_4arch9wavefront6targetE1EEEvS12_
    .private_segment_fixed_size: 0
    .sgpr_count:     4
    .sgpr_spill_count: 0
    .symbol:         _ZN7rocprim17ROCPRIM_400000_NS6detail17trampoline_kernelINS0_13select_configILj256ELj13ELNS0_17block_load_methodE3ELS4_3ELS4_3ELNS0_20block_scan_algorithmE0ELj4294967295EEENS1_25partition_config_selectorILNS1_17partition_subalgoE4EjNS0_10empty_typeEbEEZZNS1_14partition_implILS8_4ELb0ES6_15HIP_vector_typeIjLj2EENS0_17counting_iteratorIjlEEPS9_SG_NS0_5tupleIJPjSI_NS0_16reverse_iteratorISI_EEEEENSH_IJSG_SG_SG_EEES9_SI_JZNS1_25segmented_radix_sort_implINS0_14default_configELb1EPKbPbPKlPlN2at6native12_GLOBAL__N_18offset_tEEE10hipError_tPvRmT1_PNSt15iterator_traitsIS12_E10value_typeET2_T3_PNS13_IS18_E10value_typeET4_jRbjT5_S1E_jjP12ihipStream_tbEUljE_ZNSN_ISO_Lb1ESQ_SR_ST_SU_SY_EESZ_S10_S11_S12_S16_S17_S18_S1B_S1C_jS1D_jS1E_S1E_jjS1G_bEUljE0_EEESZ_S10_S11_S18_S1C_S1E_T6_T7_T9_mT8_S1G_bDpT10_ENKUlT_T0_E_clISt17integral_constantIbLb0EES1U_EEDaS1P_S1Q_EUlS1P_E_NS1_11comp_targetILNS1_3genE2ELNS1_11target_archE906ELNS1_3gpuE6ELNS1_3repE0EEENS1_30default_config_static_selectorELNS0_4arch9wavefront6targetE1EEEvS12_.kd
    .uniform_work_group_size: 1
    .uses_dynamic_stack: false
    .vgpr_count:     0
    .vgpr_spill_count: 0
    .wavefront_size: 64
  - .agpr_count:     0
    .args:
      - .offset:         0
        .size:           176
        .value_kind:     by_value
    .group_segment_fixed_size: 0
    .kernarg_segment_align: 8
    .kernarg_segment_size: 176
    .language:       OpenCL C
    .language_version:
      - 2
      - 0
    .max_flat_workgroup_size: 256
    .name:           _ZN7rocprim17ROCPRIM_400000_NS6detail17trampoline_kernelINS0_13select_configILj256ELj13ELNS0_17block_load_methodE3ELS4_3ELS4_3ELNS0_20block_scan_algorithmE0ELj4294967295EEENS1_25partition_config_selectorILNS1_17partition_subalgoE4EjNS0_10empty_typeEbEEZZNS1_14partition_implILS8_4ELb0ES6_15HIP_vector_typeIjLj2EENS0_17counting_iteratorIjlEEPS9_SG_NS0_5tupleIJPjSI_NS0_16reverse_iteratorISI_EEEEENSH_IJSG_SG_SG_EEES9_SI_JZNS1_25segmented_radix_sort_implINS0_14default_configELb1EPKbPbPKlPlN2at6native12_GLOBAL__N_18offset_tEEE10hipError_tPvRmT1_PNSt15iterator_traitsIS12_E10value_typeET2_T3_PNS13_IS18_E10value_typeET4_jRbjT5_S1E_jjP12ihipStream_tbEUljE_ZNSN_ISO_Lb1ESQ_SR_ST_SU_SY_EESZ_S10_S11_S12_S16_S17_S18_S1B_S1C_jS1D_jS1E_S1E_jjS1G_bEUljE0_EEESZ_S10_S11_S18_S1C_S1E_T6_T7_T9_mT8_S1G_bDpT10_ENKUlT_T0_E_clISt17integral_constantIbLb0EES1U_EEDaS1P_S1Q_EUlS1P_E_NS1_11comp_targetILNS1_3genE10ELNS1_11target_archE1200ELNS1_3gpuE4ELNS1_3repE0EEENS1_30default_config_static_selectorELNS0_4arch9wavefront6targetE1EEEvS12_
    .private_segment_fixed_size: 0
    .sgpr_count:     4
    .sgpr_spill_count: 0
    .symbol:         _ZN7rocprim17ROCPRIM_400000_NS6detail17trampoline_kernelINS0_13select_configILj256ELj13ELNS0_17block_load_methodE3ELS4_3ELS4_3ELNS0_20block_scan_algorithmE0ELj4294967295EEENS1_25partition_config_selectorILNS1_17partition_subalgoE4EjNS0_10empty_typeEbEEZZNS1_14partition_implILS8_4ELb0ES6_15HIP_vector_typeIjLj2EENS0_17counting_iteratorIjlEEPS9_SG_NS0_5tupleIJPjSI_NS0_16reverse_iteratorISI_EEEEENSH_IJSG_SG_SG_EEES9_SI_JZNS1_25segmented_radix_sort_implINS0_14default_configELb1EPKbPbPKlPlN2at6native12_GLOBAL__N_18offset_tEEE10hipError_tPvRmT1_PNSt15iterator_traitsIS12_E10value_typeET2_T3_PNS13_IS18_E10value_typeET4_jRbjT5_S1E_jjP12ihipStream_tbEUljE_ZNSN_ISO_Lb1ESQ_SR_ST_SU_SY_EESZ_S10_S11_S12_S16_S17_S18_S1B_S1C_jS1D_jS1E_S1E_jjS1G_bEUljE0_EEESZ_S10_S11_S18_S1C_S1E_T6_T7_T9_mT8_S1G_bDpT10_ENKUlT_T0_E_clISt17integral_constantIbLb0EES1U_EEDaS1P_S1Q_EUlS1P_E_NS1_11comp_targetILNS1_3genE10ELNS1_11target_archE1200ELNS1_3gpuE4ELNS1_3repE0EEENS1_30default_config_static_selectorELNS0_4arch9wavefront6targetE1EEEvS12_.kd
    .uniform_work_group_size: 1
    .uses_dynamic_stack: false
    .vgpr_count:     0
    .vgpr_spill_count: 0
    .wavefront_size: 64
  - .agpr_count:     0
    .args:
      - .offset:         0
        .size:           176
        .value_kind:     by_value
    .group_segment_fixed_size: 0
    .kernarg_segment_align: 8
    .kernarg_segment_size: 176
    .language:       OpenCL C
    .language_version:
      - 2
      - 0
    .max_flat_workgroup_size: 256
    .name:           _ZN7rocprim17ROCPRIM_400000_NS6detail17trampoline_kernelINS0_13select_configILj256ELj13ELNS0_17block_load_methodE3ELS4_3ELS4_3ELNS0_20block_scan_algorithmE0ELj4294967295EEENS1_25partition_config_selectorILNS1_17partition_subalgoE4EjNS0_10empty_typeEbEEZZNS1_14partition_implILS8_4ELb0ES6_15HIP_vector_typeIjLj2EENS0_17counting_iteratorIjlEEPS9_SG_NS0_5tupleIJPjSI_NS0_16reverse_iteratorISI_EEEEENSH_IJSG_SG_SG_EEES9_SI_JZNS1_25segmented_radix_sort_implINS0_14default_configELb1EPKbPbPKlPlN2at6native12_GLOBAL__N_18offset_tEEE10hipError_tPvRmT1_PNSt15iterator_traitsIS12_E10value_typeET2_T3_PNS13_IS18_E10value_typeET4_jRbjT5_S1E_jjP12ihipStream_tbEUljE_ZNSN_ISO_Lb1ESQ_SR_ST_SU_SY_EESZ_S10_S11_S12_S16_S17_S18_S1B_S1C_jS1D_jS1E_S1E_jjS1G_bEUljE0_EEESZ_S10_S11_S18_S1C_S1E_T6_T7_T9_mT8_S1G_bDpT10_ENKUlT_T0_E_clISt17integral_constantIbLb0EES1U_EEDaS1P_S1Q_EUlS1P_E_NS1_11comp_targetILNS1_3genE9ELNS1_11target_archE1100ELNS1_3gpuE3ELNS1_3repE0EEENS1_30default_config_static_selectorELNS0_4arch9wavefront6targetE1EEEvS12_
    .private_segment_fixed_size: 0
    .sgpr_count:     4
    .sgpr_spill_count: 0
    .symbol:         _ZN7rocprim17ROCPRIM_400000_NS6detail17trampoline_kernelINS0_13select_configILj256ELj13ELNS0_17block_load_methodE3ELS4_3ELS4_3ELNS0_20block_scan_algorithmE0ELj4294967295EEENS1_25partition_config_selectorILNS1_17partition_subalgoE4EjNS0_10empty_typeEbEEZZNS1_14partition_implILS8_4ELb0ES6_15HIP_vector_typeIjLj2EENS0_17counting_iteratorIjlEEPS9_SG_NS0_5tupleIJPjSI_NS0_16reverse_iteratorISI_EEEEENSH_IJSG_SG_SG_EEES9_SI_JZNS1_25segmented_radix_sort_implINS0_14default_configELb1EPKbPbPKlPlN2at6native12_GLOBAL__N_18offset_tEEE10hipError_tPvRmT1_PNSt15iterator_traitsIS12_E10value_typeET2_T3_PNS13_IS18_E10value_typeET4_jRbjT5_S1E_jjP12ihipStream_tbEUljE_ZNSN_ISO_Lb1ESQ_SR_ST_SU_SY_EESZ_S10_S11_S12_S16_S17_S18_S1B_S1C_jS1D_jS1E_S1E_jjS1G_bEUljE0_EEESZ_S10_S11_S18_S1C_S1E_T6_T7_T9_mT8_S1G_bDpT10_ENKUlT_T0_E_clISt17integral_constantIbLb0EES1U_EEDaS1P_S1Q_EUlS1P_E_NS1_11comp_targetILNS1_3genE9ELNS1_11target_archE1100ELNS1_3gpuE3ELNS1_3repE0EEENS1_30default_config_static_selectorELNS0_4arch9wavefront6targetE1EEEvS12_.kd
    .uniform_work_group_size: 1
    .uses_dynamic_stack: false
    .vgpr_count:     0
    .vgpr_spill_count: 0
    .wavefront_size: 64
  - .agpr_count:     0
    .args:
      - .offset:         0
        .size:           176
        .value_kind:     by_value
    .group_segment_fixed_size: 0
    .kernarg_segment_align: 8
    .kernarg_segment_size: 176
    .language:       OpenCL C
    .language_version:
      - 2
      - 0
    .max_flat_workgroup_size: 256
    .name:           _ZN7rocprim17ROCPRIM_400000_NS6detail17trampoline_kernelINS0_13select_configILj256ELj13ELNS0_17block_load_methodE3ELS4_3ELS4_3ELNS0_20block_scan_algorithmE0ELj4294967295EEENS1_25partition_config_selectorILNS1_17partition_subalgoE4EjNS0_10empty_typeEbEEZZNS1_14partition_implILS8_4ELb0ES6_15HIP_vector_typeIjLj2EENS0_17counting_iteratorIjlEEPS9_SG_NS0_5tupleIJPjSI_NS0_16reverse_iteratorISI_EEEEENSH_IJSG_SG_SG_EEES9_SI_JZNS1_25segmented_radix_sort_implINS0_14default_configELb1EPKbPbPKlPlN2at6native12_GLOBAL__N_18offset_tEEE10hipError_tPvRmT1_PNSt15iterator_traitsIS12_E10value_typeET2_T3_PNS13_IS18_E10value_typeET4_jRbjT5_S1E_jjP12ihipStream_tbEUljE_ZNSN_ISO_Lb1ESQ_SR_ST_SU_SY_EESZ_S10_S11_S12_S16_S17_S18_S1B_S1C_jS1D_jS1E_S1E_jjS1G_bEUljE0_EEESZ_S10_S11_S18_S1C_S1E_T6_T7_T9_mT8_S1G_bDpT10_ENKUlT_T0_E_clISt17integral_constantIbLb0EES1U_EEDaS1P_S1Q_EUlS1P_E_NS1_11comp_targetILNS1_3genE8ELNS1_11target_archE1030ELNS1_3gpuE2ELNS1_3repE0EEENS1_30default_config_static_selectorELNS0_4arch9wavefront6targetE1EEEvS12_
    .private_segment_fixed_size: 0
    .sgpr_count:     4
    .sgpr_spill_count: 0
    .symbol:         _ZN7rocprim17ROCPRIM_400000_NS6detail17trampoline_kernelINS0_13select_configILj256ELj13ELNS0_17block_load_methodE3ELS4_3ELS4_3ELNS0_20block_scan_algorithmE0ELj4294967295EEENS1_25partition_config_selectorILNS1_17partition_subalgoE4EjNS0_10empty_typeEbEEZZNS1_14partition_implILS8_4ELb0ES6_15HIP_vector_typeIjLj2EENS0_17counting_iteratorIjlEEPS9_SG_NS0_5tupleIJPjSI_NS0_16reverse_iteratorISI_EEEEENSH_IJSG_SG_SG_EEES9_SI_JZNS1_25segmented_radix_sort_implINS0_14default_configELb1EPKbPbPKlPlN2at6native12_GLOBAL__N_18offset_tEEE10hipError_tPvRmT1_PNSt15iterator_traitsIS12_E10value_typeET2_T3_PNS13_IS18_E10value_typeET4_jRbjT5_S1E_jjP12ihipStream_tbEUljE_ZNSN_ISO_Lb1ESQ_SR_ST_SU_SY_EESZ_S10_S11_S12_S16_S17_S18_S1B_S1C_jS1D_jS1E_S1E_jjS1G_bEUljE0_EEESZ_S10_S11_S18_S1C_S1E_T6_T7_T9_mT8_S1G_bDpT10_ENKUlT_T0_E_clISt17integral_constantIbLb0EES1U_EEDaS1P_S1Q_EUlS1P_E_NS1_11comp_targetILNS1_3genE8ELNS1_11target_archE1030ELNS1_3gpuE2ELNS1_3repE0EEENS1_30default_config_static_selectorELNS0_4arch9wavefront6targetE1EEEvS12_.kd
    .uniform_work_group_size: 1
    .uses_dynamic_stack: false
    .vgpr_count:     0
    .vgpr_spill_count: 0
    .wavefront_size: 64
  - .agpr_count:     0
    .args:
      - .offset:         0
        .size:           184
        .value_kind:     by_value
    .group_segment_fixed_size: 0
    .kernarg_segment_align: 8
    .kernarg_segment_size: 184
    .language:       OpenCL C
    .language_version:
      - 2
      - 0
    .max_flat_workgroup_size: 256
    .name:           _ZN7rocprim17ROCPRIM_400000_NS6detail17trampoline_kernelINS0_13select_configILj256ELj13ELNS0_17block_load_methodE3ELS4_3ELS4_3ELNS0_20block_scan_algorithmE0ELj4294967295EEENS1_25partition_config_selectorILNS1_17partition_subalgoE4EjNS0_10empty_typeEbEEZZNS1_14partition_implILS8_4ELb0ES6_15HIP_vector_typeIjLj2EENS0_17counting_iteratorIjlEEPS9_SG_NS0_5tupleIJPjSI_NS0_16reverse_iteratorISI_EEEEENSH_IJSG_SG_SG_EEES9_SI_JZNS1_25segmented_radix_sort_implINS0_14default_configELb1EPKbPbPKlPlN2at6native12_GLOBAL__N_18offset_tEEE10hipError_tPvRmT1_PNSt15iterator_traitsIS12_E10value_typeET2_T3_PNS13_IS18_E10value_typeET4_jRbjT5_S1E_jjP12ihipStream_tbEUljE_ZNSN_ISO_Lb1ESQ_SR_ST_SU_SY_EESZ_S10_S11_S12_S16_S17_S18_S1B_S1C_jS1D_jS1E_S1E_jjS1G_bEUljE0_EEESZ_S10_S11_S18_S1C_S1E_T6_T7_T9_mT8_S1G_bDpT10_ENKUlT_T0_E_clISt17integral_constantIbLb1EES1U_EEDaS1P_S1Q_EUlS1P_E_NS1_11comp_targetILNS1_3genE0ELNS1_11target_archE4294967295ELNS1_3gpuE0ELNS1_3repE0EEENS1_30default_config_static_selectorELNS0_4arch9wavefront6targetE1EEEvS12_
    .private_segment_fixed_size: 0
    .sgpr_count:     4
    .sgpr_spill_count: 0
    .symbol:         _ZN7rocprim17ROCPRIM_400000_NS6detail17trampoline_kernelINS0_13select_configILj256ELj13ELNS0_17block_load_methodE3ELS4_3ELS4_3ELNS0_20block_scan_algorithmE0ELj4294967295EEENS1_25partition_config_selectorILNS1_17partition_subalgoE4EjNS0_10empty_typeEbEEZZNS1_14partition_implILS8_4ELb0ES6_15HIP_vector_typeIjLj2EENS0_17counting_iteratorIjlEEPS9_SG_NS0_5tupleIJPjSI_NS0_16reverse_iteratorISI_EEEEENSH_IJSG_SG_SG_EEES9_SI_JZNS1_25segmented_radix_sort_implINS0_14default_configELb1EPKbPbPKlPlN2at6native12_GLOBAL__N_18offset_tEEE10hipError_tPvRmT1_PNSt15iterator_traitsIS12_E10value_typeET2_T3_PNS13_IS18_E10value_typeET4_jRbjT5_S1E_jjP12ihipStream_tbEUljE_ZNSN_ISO_Lb1ESQ_SR_ST_SU_SY_EESZ_S10_S11_S12_S16_S17_S18_S1B_S1C_jS1D_jS1E_S1E_jjS1G_bEUljE0_EEESZ_S10_S11_S18_S1C_S1E_T6_T7_T9_mT8_S1G_bDpT10_ENKUlT_T0_E_clISt17integral_constantIbLb1EES1U_EEDaS1P_S1Q_EUlS1P_E_NS1_11comp_targetILNS1_3genE0ELNS1_11target_archE4294967295ELNS1_3gpuE0ELNS1_3repE0EEENS1_30default_config_static_selectorELNS0_4arch9wavefront6targetE1EEEvS12_.kd
    .uniform_work_group_size: 1
    .uses_dynamic_stack: false
    .vgpr_count:     0
    .vgpr_spill_count: 0
    .wavefront_size: 64
  - .agpr_count:     0
    .args:
      - .offset:         0
        .size:           184
        .value_kind:     by_value
    .group_segment_fixed_size: 0
    .kernarg_segment_align: 8
    .kernarg_segment_size: 184
    .language:       OpenCL C
    .language_version:
      - 2
      - 0
    .max_flat_workgroup_size: 256
    .name:           _ZN7rocprim17ROCPRIM_400000_NS6detail17trampoline_kernelINS0_13select_configILj256ELj13ELNS0_17block_load_methodE3ELS4_3ELS4_3ELNS0_20block_scan_algorithmE0ELj4294967295EEENS1_25partition_config_selectorILNS1_17partition_subalgoE4EjNS0_10empty_typeEbEEZZNS1_14partition_implILS8_4ELb0ES6_15HIP_vector_typeIjLj2EENS0_17counting_iteratorIjlEEPS9_SG_NS0_5tupleIJPjSI_NS0_16reverse_iteratorISI_EEEEENSH_IJSG_SG_SG_EEES9_SI_JZNS1_25segmented_radix_sort_implINS0_14default_configELb1EPKbPbPKlPlN2at6native12_GLOBAL__N_18offset_tEEE10hipError_tPvRmT1_PNSt15iterator_traitsIS12_E10value_typeET2_T3_PNS13_IS18_E10value_typeET4_jRbjT5_S1E_jjP12ihipStream_tbEUljE_ZNSN_ISO_Lb1ESQ_SR_ST_SU_SY_EESZ_S10_S11_S12_S16_S17_S18_S1B_S1C_jS1D_jS1E_S1E_jjS1G_bEUljE0_EEESZ_S10_S11_S18_S1C_S1E_T6_T7_T9_mT8_S1G_bDpT10_ENKUlT_T0_E_clISt17integral_constantIbLb1EES1U_EEDaS1P_S1Q_EUlS1P_E_NS1_11comp_targetILNS1_3genE5ELNS1_11target_archE942ELNS1_3gpuE9ELNS1_3repE0EEENS1_30default_config_static_selectorELNS0_4arch9wavefront6targetE1EEEvS12_
    .private_segment_fixed_size: 0
    .sgpr_count:     4
    .sgpr_spill_count: 0
    .symbol:         _ZN7rocprim17ROCPRIM_400000_NS6detail17trampoline_kernelINS0_13select_configILj256ELj13ELNS0_17block_load_methodE3ELS4_3ELS4_3ELNS0_20block_scan_algorithmE0ELj4294967295EEENS1_25partition_config_selectorILNS1_17partition_subalgoE4EjNS0_10empty_typeEbEEZZNS1_14partition_implILS8_4ELb0ES6_15HIP_vector_typeIjLj2EENS0_17counting_iteratorIjlEEPS9_SG_NS0_5tupleIJPjSI_NS0_16reverse_iteratorISI_EEEEENSH_IJSG_SG_SG_EEES9_SI_JZNS1_25segmented_radix_sort_implINS0_14default_configELb1EPKbPbPKlPlN2at6native12_GLOBAL__N_18offset_tEEE10hipError_tPvRmT1_PNSt15iterator_traitsIS12_E10value_typeET2_T3_PNS13_IS18_E10value_typeET4_jRbjT5_S1E_jjP12ihipStream_tbEUljE_ZNSN_ISO_Lb1ESQ_SR_ST_SU_SY_EESZ_S10_S11_S12_S16_S17_S18_S1B_S1C_jS1D_jS1E_S1E_jjS1G_bEUljE0_EEESZ_S10_S11_S18_S1C_S1E_T6_T7_T9_mT8_S1G_bDpT10_ENKUlT_T0_E_clISt17integral_constantIbLb1EES1U_EEDaS1P_S1Q_EUlS1P_E_NS1_11comp_targetILNS1_3genE5ELNS1_11target_archE942ELNS1_3gpuE9ELNS1_3repE0EEENS1_30default_config_static_selectorELNS0_4arch9wavefront6targetE1EEEvS12_.kd
    .uniform_work_group_size: 1
    .uses_dynamic_stack: false
    .vgpr_count:     0
    .vgpr_spill_count: 0
    .wavefront_size: 64
  - .agpr_count:     0
    .args:
      - .offset:         0
        .size:           184
        .value_kind:     by_value
    .group_segment_fixed_size: 13340
    .kernarg_segment_align: 8
    .kernarg_segment_size: 184
    .language:       OpenCL C
    .language_version:
      - 2
      - 0
    .max_flat_workgroup_size: 256
    .name:           _ZN7rocprim17ROCPRIM_400000_NS6detail17trampoline_kernelINS0_13select_configILj256ELj13ELNS0_17block_load_methodE3ELS4_3ELS4_3ELNS0_20block_scan_algorithmE0ELj4294967295EEENS1_25partition_config_selectorILNS1_17partition_subalgoE4EjNS0_10empty_typeEbEEZZNS1_14partition_implILS8_4ELb0ES6_15HIP_vector_typeIjLj2EENS0_17counting_iteratorIjlEEPS9_SG_NS0_5tupleIJPjSI_NS0_16reverse_iteratorISI_EEEEENSH_IJSG_SG_SG_EEES9_SI_JZNS1_25segmented_radix_sort_implINS0_14default_configELb1EPKbPbPKlPlN2at6native12_GLOBAL__N_18offset_tEEE10hipError_tPvRmT1_PNSt15iterator_traitsIS12_E10value_typeET2_T3_PNS13_IS18_E10value_typeET4_jRbjT5_S1E_jjP12ihipStream_tbEUljE_ZNSN_ISO_Lb1ESQ_SR_ST_SU_SY_EESZ_S10_S11_S12_S16_S17_S18_S1B_S1C_jS1D_jS1E_S1E_jjS1G_bEUljE0_EEESZ_S10_S11_S18_S1C_S1E_T6_T7_T9_mT8_S1G_bDpT10_ENKUlT_T0_E_clISt17integral_constantIbLb1EES1U_EEDaS1P_S1Q_EUlS1P_E_NS1_11comp_targetILNS1_3genE4ELNS1_11target_archE910ELNS1_3gpuE8ELNS1_3repE0EEENS1_30default_config_static_selectorELNS0_4arch9wavefront6targetE1EEEvS12_
    .private_segment_fixed_size: 0
    .sgpr_count:     91
    .sgpr_spill_count: 0
    .symbol:         _ZN7rocprim17ROCPRIM_400000_NS6detail17trampoline_kernelINS0_13select_configILj256ELj13ELNS0_17block_load_methodE3ELS4_3ELS4_3ELNS0_20block_scan_algorithmE0ELj4294967295EEENS1_25partition_config_selectorILNS1_17partition_subalgoE4EjNS0_10empty_typeEbEEZZNS1_14partition_implILS8_4ELb0ES6_15HIP_vector_typeIjLj2EENS0_17counting_iteratorIjlEEPS9_SG_NS0_5tupleIJPjSI_NS0_16reverse_iteratorISI_EEEEENSH_IJSG_SG_SG_EEES9_SI_JZNS1_25segmented_radix_sort_implINS0_14default_configELb1EPKbPbPKlPlN2at6native12_GLOBAL__N_18offset_tEEE10hipError_tPvRmT1_PNSt15iterator_traitsIS12_E10value_typeET2_T3_PNS13_IS18_E10value_typeET4_jRbjT5_S1E_jjP12ihipStream_tbEUljE_ZNSN_ISO_Lb1ESQ_SR_ST_SU_SY_EESZ_S10_S11_S12_S16_S17_S18_S1B_S1C_jS1D_jS1E_S1E_jjS1G_bEUljE0_EEESZ_S10_S11_S18_S1C_S1E_T6_T7_T9_mT8_S1G_bDpT10_ENKUlT_T0_E_clISt17integral_constantIbLb1EES1U_EEDaS1P_S1Q_EUlS1P_E_NS1_11comp_targetILNS1_3genE4ELNS1_11target_archE910ELNS1_3gpuE8ELNS1_3repE0EEENS1_30default_config_static_selectorELNS0_4arch9wavefront6targetE1EEEvS12_.kd
    .uniform_work_group_size: 1
    .uses_dynamic_stack: false
    .vgpr_count:     107
    .vgpr_spill_count: 0
    .wavefront_size: 64
  - .agpr_count:     0
    .args:
      - .offset:         0
        .size:           184
        .value_kind:     by_value
    .group_segment_fixed_size: 0
    .kernarg_segment_align: 8
    .kernarg_segment_size: 184
    .language:       OpenCL C
    .language_version:
      - 2
      - 0
    .max_flat_workgroup_size: 256
    .name:           _ZN7rocprim17ROCPRIM_400000_NS6detail17trampoline_kernelINS0_13select_configILj256ELj13ELNS0_17block_load_methodE3ELS4_3ELS4_3ELNS0_20block_scan_algorithmE0ELj4294967295EEENS1_25partition_config_selectorILNS1_17partition_subalgoE4EjNS0_10empty_typeEbEEZZNS1_14partition_implILS8_4ELb0ES6_15HIP_vector_typeIjLj2EENS0_17counting_iteratorIjlEEPS9_SG_NS0_5tupleIJPjSI_NS0_16reverse_iteratorISI_EEEEENSH_IJSG_SG_SG_EEES9_SI_JZNS1_25segmented_radix_sort_implINS0_14default_configELb1EPKbPbPKlPlN2at6native12_GLOBAL__N_18offset_tEEE10hipError_tPvRmT1_PNSt15iterator_traitsIS12_E10value_typeET2_T3_PNS13_IS18_E10value_typeET4_jRbjT5_S1E_jjP12ihipStream_tbEUljE_ZNSN_ISO_Lb1ESQ_SR_ST_SU_SY_EESZ_S10_S11_S12_S16_S17_S18_S1B_S1C_jS1D_jS1E_S1E_jjS1G_bEUljE0_EEESZ_S10_S11_S18_S1C_S1E_T6_T7_T9_mT8_S1G_bDpT10_ENKUlT_T0_E_clISt17integral_constantIbLb1EES1U_EEDaS1P_S1Q_EUlS1P_E_NS1_11comp_targetILNS1_3genE3ELNS1_11target_archE908ELNS1_3gpuE7ELNS1_3repE0EEENS1_30default_config_static_selectorELNS0_4arch9wavefront6targetE1EEEvS12_
    .private_segment_fixed_size: 0
    .sgpr_count:     4
    .sgpr_spill_count: 0
    .symbol:         _ZN7rocprim17ROCPRIM_400000_NS6detail17trampoline_kernelINS0_13select_configILj256ELj13ELNS0_17block_load_methodE3ELS4_3ELS4_3ELNS0_20block_scan_algorithmE0ELj4294967295EEENS1_25partition_config_selectorILNS1_17partition_subalgoE4EjNS0_10empty_typeEbEEZZNS1_14partition_implILS8_4ELb0ES6_15HIP_vector_typeIjLj2EENS0_17counting_iteratorIjlEEPS9_SG_NS0_5tupleIJPjSI_NS0_16reverse_iteratorISI_EEEEENSH_IJSG_SG_SG_EEES9_SI_JZNS1_25segmented_radix_sort_implINS0_14default_configELb1EPKbPbPKlPlN2at6native12_GLOBAL__N_18offset_tEEE10hipError_tPvRmT1_PNSt15iterator_traitsIS12_E10value_typeET2_T3_PNS13_IS18_E10value_typeET4_jRbjT5_S1E_jjP12ihipStream_tbEUljE_ZNSN_ISO_Lb1ESQ_SR_ST_SU_SY_EESZ_S10_S11_S12_S16_S17_S18_S1B_S1C_jS1D_jS1E_S1E_jjS1G_bEUljE0_EEESZ_S10_S11_S18_S1C_S1E_T6_T7_T9_mT8_S1G_bDpT10_ENKUlT_T0_E_clISt17integral_constantIbLb1EES1U_EEDaS1P_S1Q_EUlS1P_E_NS1_11comp_targetILNS1_3genE3ELNS1_11target_archE908ELNS1_3gpuE7ELNS1_3repE0EEENS1_30default_config_static_selectorELNS0_4arch9wavefront6targetE1EEEvS12_.kd
    .uniform_work_group_size: 1
    .uses_dynamic_stack: false
    .vgpr_count:     0
    .vgpr_spill_count: 0
    .wavefront_size: 64
  - .agpr_count:     0
    .args:
      - .offset:         0
        .size:           184
        .value_kind:     by_value
    .group_segment_fixed_size: 0
    .kernarg_segment_align: 8
    .kernarg_segment_size: 184
    .language:       OpenCL C
    .language_version:
      - 2
      - 0
    .max_flat_workgroup_size: 256
    .name:           _ZN7rocprim17ROCPRIM_400000_NS6detail17trampoline_kernelINS0_13select_configILj256ELj13ELNS0_17block_load_methodE3ELS4_3ELS4_3ELNS0_20block_scan_algorithmE0ELj4294967295EEENS1_25partition_config_selectorILNS1_17partition_subalgoE4EjNS0_10empty_typeEbEEZZNS1_14partition_implILS8_4ELb0ES6_15HIP_vector_typeIjLj2EENS0_17counting_iteratorIjlEEPS9_SG_NS0_5tupleIJPjSI_NS0_16reverse_iteratorISI_EEEEENSH_IJSG_SG_SG_EEES9_SI_JZNS1_25segmented_radix_sort_implINS0_14default_configELb1EPKbPbPKlPlN2at6native12_GLOBAL__N_18offset_tEEE10hipError_tPvRmT1_PNSt15iterator_traitsIS12_E10value_typeET2_T3_PNS13_IS18_E10value_typeET4_jRbjT5_S1E_jjP12ihipStream_tbEUljE_ZNSN_ISO_Lb1ESQ_SR_ST_SU_SY_EESZ_S10_S11_S12_S16_S17_S18_S1B_S1C_jS1D_jS1E_S1E_jjS1G_bEUljE0_EEESZ_S10_S11_S18_S1C_S1E_T6_T7_T9_mT8_S1G_bDpT10_ENKUlT_T0_E_clISt17integral_constantIbLb1EES1U_EEDaS1P_S1Q_EUlS1P_E_NS1_11comp_targetILNS1_3genE2ELNS1_11target_archE906ELNS1_3gpuE6ELNS1_3repE0EEENS1_30default_config_static_selectorELNS0_4arch9wavefront6targetE1EEEvS12_
    .private_segment_fixed_size: 0
    .sgpr_count:     4
    .sgpr_spill_count: 0
    .symbol:         _ZN7rocprim17ROCPRIM_400000_NS6detail17trampoline_kernelINS0_13select_configILj256ELj13ELNS0_17block_load_methodE3ELS4_3ELS4_3ELNS0_20block_scan_algorithmE0ELj4294967295EEENS1_25partition_config_selectorILNS1_17partition_subalgoE4EjNS0_10empty_typeEbEEZZNS1_14partition_implILS8_4ELb0ES6_15HIP_vector_typeIjLj2EENS0_17counting_iteratorIjlEEPS9_SG_NS0_5tupleIJPjSI_NS0_16reverse_iteratorISI_EEEEENSH_IJSG_SG_SG_EEES9_SI_JZNS1_25segmented_radix_sort_implINS0_14default_configELb1EPKbPbPKlPlN2at6native12_GLOBAL__N_18offset_tEEE10hipError_tPvRmT1_PNSt15iterator_traitsIS12_E10value_typeET2_T3_PNS13_IS18_E10value_typeET4_jRbjT5_S1E_jjP12ihipStream_tbEUljE_ZNSN_ISO_Lb1ESQ_SR_ST_SU_SY_EESZ_S10_S11_S12_S16_S17_S18_S1B_S1C_jS1D_jS1E_S1E_jjS1G_bEUljE0_EEESZ_S10_S11_S18_S1C_S1E_T6_T7_T9_mT8_S1G_bDpT10_ENKUlT_T0_E_clISt17integral_constantIbLb1EES1U_EEDaS1P_S1Q_EUlS1P_E_NS1_11comp_targetILNS1_3genE2ELNS1_11target_archE906ELNS1_3gpuE6ELNS1_3repE0EEENS1_30default_config_static_selectorELNS0_4arch9wavefront6targetE1EEEvS12_.kd
    .uniform_work_group_size: 1
    .uses_dynamic_stack: false
    .vgpr_count:     0
    .vgpr_spill_count: 0
    .wavefront_size: 64
  - .agpr_count:     0
    .args:
      - .offset:         0
        .size:           184
        .value_kind:     by_value
    .group_segment_fixed_size: 0
    .kernarg_segment_align: 8
    .kernarg_segment_size: 184
    .language:       OpenCL C
    .language_version:
      - 2
      - 0
    .max_flat_workgroup_size: 256
    .name:           _ZN7rocprim17ROCPRIM_400000_NS6detail17trampoline_kernelINS0_13select_configILj256ELj13ELNS0_17block_load_methodE3ELS4_3ELS4_3ELNS0_20block_scan_algorithmE0ELj4294967295EEENS1_25partition_config_selectorILNS1_17partition_subalgoE4EjNS0_10empty_typeEbEEZZNS1_14partition_implILS8_4ELb0ES6_15HIP_vector_typeIjLj2EENS0_17counting_iteratorIjlEEPS9_SG_NS0_5tupleIJPjSI_NS0_16reverse_iteratorISI_EEEEENSH_IJSG_SG_SG_EEES9_SI_JZNS1_25segmented_radix_sort_implINS0_14default_configELb1EPKbPbPKlPlN2at6native12_GLOBAL__N_18offset_tEEE10hipError_tPvRmT1_PNSt15iterator_traitsIS12_E10value_typeET2_T3_PNS13_IS18_E10value_typeET4_jRbjT5_S1E_jjP12ihipStream_tbEUljE_ZNSN_ISO_Lb1ESQ_SR_ST_SU_SY_EESZ_S10_S11_S12_S16_S17_S18_S1B_S1C_jS1D_jS1E_S1E_jjS1G_bEUljE0_EEESZ_S10_S11_S18_S1C_S1E_T6_T7_T9_mT8_S1G_bDpT10_ENKUlT_T0_E_clISt17integral_constantIbLb1EES1U_EEDaS1P_S1Q_EUlS1P_E_NS1_11comp_targetILNS1_3genE10ELNS1_11target_archE1200ELNS1_3gpuE4ELNS1_3repE0EEENS1_30default_config_static_selectorELNS0_4arch9wavefront6targetE1EEEvS12_
    .private_segment_fixed_size: 0
    .sgpr_count:     4
    .sgpr_spill_count: 0
    .symbol:         _ZN7rocprim17ROCPRIM_400000_NS6detail17trampoline_kernelINS0_13select_configILj256ELj13ELNS0_17block_load_methodE3ELS4_3ELS4_3ELNS0_20block_scan_algorithmE0ELj4294967295EEENS1_25partition_config_selectorILNS1_17partition_subalgoE4EjNS0_10empty_typeEbEEZZNS1_14partition_implILS8_4ELb0ES6_15HIP_vector_typeIjLj2EENS0_17counting_iteratorIjlEEPS9_SG_NS0_5tupleIJPjSI_NS0_16reverse_iteratorISI_EEEEENSH_IJSG_SG_SG_EEES9_SI_JZNS1_25segmented_radix_sort_implINS0_14default_configELb1EPKbPbPKlPlN2at6native12_GLOBAL__N_18offset_tEEE10hipError_tPvRmT1_PNSt15iterator_traitsIS12_E10value_typeET2_T3_PNS13_IS18_E10value_typeET4_jRbjT5_S1E_jjP12ihipStream_tbEUljE_ZNSN_ISO_Lb1ESQ_SR_ST_SU_SY_EESZ_S10_S11_S12_S16_S17_S18_S1B_S1C_jS1D_jS1E_S1E_jjS1G_bEUljE0_EEESZ_S10_S11_S18_S1C_S1E_T6_T7_T9_mT8_S1G_bDpT10_ENKUlT_T0_E_clISt17integral_constantIbLb1EES1U_EEDaS1P_S1Q_EUlS1P_E_NS1_11comp_targetILNS1_3genE10ELNS1_11target_archE1200ELNS1_3gpuE4ELNS1_3repE0EEENS1_30default_config_static_selectorELNS0_4arch9wavefront6targetE1EEEvS12_.kd
    .uniform_work_group_size: 1
    .uses_dynamic_stack: false
    .vgpr_count:     0
    .vgpr_spill_count: 0
    .wavefront_size: 64
  - .agpr_count:     0
    .args:
      - .offset:         0
        .size:           184
        .value_kind:     by_value
    .group_segment_fixed_size: 0
    .kernarg_segment_align: 8
    .kernarg_segment_size: 184
    .language:       OpenCL C
    .language_version:
      - 2
      - 0
    .max_flat_workgroup_size: 256
    .name:           _ZN7rocprim17ROCPRIM_400000_NS6detail17trampoline_kernelINS0_13select_configILj256ELj13ELNS0_17block_load_methodE3ELS4_3ELS4_3ELNS0_20block_scan_algorithmE0ELj4294967295EEENS1_25partition_config_selectorILNS1_17partition_subalgoE4EjNS0_10empty_typeEbEEZZNS1_14partition_implILS8_4ELb0ES6_15HIP_vector_typeIjLj2EENS0_17counting_iteratorIjlEEPS9_SG_NS0_5tupleIJPjSI_NS0_16reverse_iteratorISI_EEEEENSH_IJSG_SG_SG_EEES9_SI_JZNS1_25segmented_radix_sort_implINS0_14default_configELb1EPKbPbPKlPlN2at6native12_GLOBAL__N_18offset_tEEE10hipError_tPvRmT1_PNSt15iterator_traitsIS12_E10value_typeET2_T3_PNS13_IS18_E10value_typeET4_jRbjT5_S1E_jjP12ihipStream_tbEUljE_ZNSN_ISO_Lb1ESQ_SR_ST_SU_SY_EESZ_S10_S11_S12_S16_S17_S18_S1B_S1C_jS1D_jS1E_S1E_jjS1G_bEUljE0_EEESZ_S10_S11_S18_S1C_S1E_T6_T7_T9_mT8_S1G_bDpT10_ENKUlT_T0_E_clISt17integral_constantIbLb1EES1U_EEDaS1P_S1Q_EUlS1P_E_NS1_11comp_targetILNS1_3genE9ELNS1_11target_archE1100ELNS1_3gpuE3ELNS1_3repE0EEENS1_30default_config_static_selectorELNS0_4arch9wavefront6targetE1EEEvS12_
    .private_segment_fixed_size: 0
    .sgpr_count:     4
    .sgpr_spill_count: 0
    .symbol:         _ZN7rocprim17ROCPRIM_400000_NS6detail17trampoline_kernelINS0_13select_configILj256ELj13ELNS0_17block_load_methodE3ELS4_3ELS4_3ELNS0_20block_scan_algorithmE0ELj4294967295EEENS1_25partition_config_selectorILNS1_17partition_subalgoE4EjNS0_10empty_typeEbEEZZNS1_14partition_implILS8_4ELb0ES6_15HIP_vector_typeIjLj2EENS0_17counting_iteratorIjlEEPS9_SG_NS0_5tupleIJPjSI_NS0_16reverse_iteratorISI_EEEEENSH_IJSG_SG_SG_EEES9_SI_JZNS1_25segmented_radix_sort_implINS0_14default_configELb1EPKbPbPKlPlN2at6native12_GLOBAL__N_18offset_tEEE10hipError_tPvRmT1_PNSt15iterator_traitsIS12_E10value_typeET2_T3_PNS13_IS18_E10value_typeET4_jRbjT5_S1E_jjP12ihipStream_tbEUljE_ZNSN_ISO_Lb1ESQ_SR_ST_SU_SY_EESZ_S10_S11_S12_S16_S17_S18_S1B_S1C_jS1D_jS1E_S1E_jjS1G_bEUljE0_EEESZ_S10_S11_S18_S1C_S1E_T6_T7_T9_mT8_S1G_bDpT10_ENKUlT_T0_E_clISt17integral_constantIbLb1EES1U_EEDaS1P_S1Q_EUlS1P_E_NS1_11comp_targetILNS1_3genE9ELNS1_11target_archE1100ELNS1_3gpuE3ELNS1_3repE0EEENS1_30default_config_static_selectorELNS0_4arch9wavefront6targetE1EEEvS12_.kd
    .uniform_work_group_size: 1
    .uses_dynamic_stack: false
    .vgpr_count:     0
    .vgpr_spill_count: 0
    .wavefront_size: 64
  - .agpr_count:     0
    .args:
      - .offset:         0
        .size:           184
        .value_kind:     by_value
    .group_segment_fixed_size: 0
    .kernarg_segment_align: 8
    .kernarg_segment_size: 184
    .language:       OpenCL C
    .language_version:
      - 2
      - 0
    .max_flat_workgroup_size: 256
    .name:           _ZN7rocprim17ROCPRIM_400000_NS6detail17trampoline_kernelINS0_13select_configILj256ELj13ELNS0_17block_load_methodE3ELS4_3ELS4_3ELNS0_20block_scan_algorithmE0ELj4294967295EEENS1_25partition_config_selectorILNS1_17partition_subalgoE4EjNS0_10empty_typeEbEEZZNS1_14partition_implILS8_4ELb0ES6_15HIP_vector_typeIjLj2EENS0_17counting_iteratorIjlEEPS9_SG_NS0_5tupleIJPjSI_NS0_16reverse_iteratorISI_EEEEENSH_IJSG_SG_SG_EEES9_SI_JZNS1_25segmented_radix_sort_implINS0_14default_configELb1EPKbPbPKlPlN2at6native12_GLOBAL__N_18offset_tEEE10hipError_tPvRmT1_PNSt15iterator_traitsIS12_E10value_typeET2_T3_PNS13_IS18_E10value_typeET4_jRbjT5_S1E_jjP12ihipStream_tbEUljE_ZNSN_ISO_Lb1ESQ_SR_ST_SU_SY_EESZ_S10_S11_S12_S16_S17_S18_S1B_S1C_jS1D_jS1E_S1E_jjS1G_bEUljE0_EEESZ_S10_S11_S18_S1C_S1E_T6_T7_T9_mT8_S1G_bDpT10_ENKUlT_T0_E_clISt17integral_constantIbLb1EES1U_EEDaS1P_S1Q_EUlS1P_E_NS1_11comp_targetILNS1_3genE8ELNS1_11target_archE1030ELNS1_3gpuE2ELNS1_3repE0EEENS1_30default_config_static_selectorELNS0_4arch9wavefront6targetE1EEEvS12_
    .private_segment_fixed_size: 0
    .sgpr_count:     4
    .sgpr_spill_count: 0
    .symbol:         _ZN7rocprim17ROCPRIM_400000_NS6detail17trampoline_kernelINS0_13select_configILj256ELj13ELNS0_17block_load_methodE3ELS4_3ELS4_3ELNS0_20block_scan_algorithmE0ELj4294967295EEENS1_25partition_config_selectorILNS1_17partition_subalgoE4EjNS0_10empty_typeEbEEZZNS1_14partition_implILS8_4ELb0ES6_15HIP_vector_typeIjLj2EENS0_17counting_iteratorIjlEEPS9_SG_NS0_5tupleIJPjSI_NS0_16reverse_iteratorISI_EEEEENSH_IJSG_SG_SG_EEES9_SI_JZNS1_25segmented_radix_sort_implINS0_14default_configELb1EPKbPbPKlPlN2at6native12_GLOBAL__N_18offset_tEEE10hipError_tPvRmT1_PNSt15iterator_traitsIS12_E10value_typeET2_T3_PNS13_IS18_E10value_typeET4_jRbjT5_S1E_jjP12ihipStream_tbEUljE_ZNSN_ISO_Lb1ESQ_SR_ST_SU_SY_EESZ_S10_S11_S12_S16_S17_S18_S1B_S1C_jS1D_jS1E_S1E_jjS1G_bEUljE0_EEESZ_S10_S11_S18_S1C_S1E_T6_T7_T9_mT8_S1G_bDpT10_ENKUlT_T0_E_clISt17integral_constantIbLb1EES1U_EEDaS1P_S1Q_EUlS1P_E_NS1_11comp_targetILNS1_3genE8ELNS1_11target_archE1030ELNS1_3gpuE2ELNS1_3repE0EEENS1_30default_config_static_selectorELNS0_4arch9wavefront6targetE1EEEvS12_.kd
    .uniform_work_group_size: 1
    .uses_dynamic_stack: false
    .vgpr_count:     0
    .vgpr_spill_count: 0
    .wavefront_size: 64
  - .agpr_count:     0
    .args:
      - .offset:         0
        .size:           176
        .value_kind:     by_value
    .group_segment_fixed_size: 0
    .kernarg_segment_align: 8
    .kernarg_segment_size: 176
    .language:       OpenCL C
    .language_version:
      - 2
      - 0
    .max_flat_workgroup_size: 256
    .name:           _ZN7rocprim17ROCPRIM_400000_NS6detail17trampoline_kernelINS0_13select_configILj256ELj13ELNS0_17block_load_methodE3ELS4_3ELS4_3ELNS0_20block_scan_algorithmE0ELj4294967295EEENS1_25partition_config_selectorILNS1_17partition_subalgoE4EjNS0_10empty_typeEbEEZZNS1_14partition_implILS8_4ELb0ES6_15HIP_vector_typeIjLj2EENS0_17counting_iteratorIjlEEPS9_SG_NS0_5tupleIJPjSI_NS0_16reverse_iteratorISI_EEEEENSH_IJSG_SG_SG_EEES9_SI_JZNS1_25segmented_radix_sort_implINS0_14default_configELb1EPKbPbPKlPlN2at6native12_GLOBAL__N_18offset_tEEE10hipError_tPvRmT1_PNSt15iterator_traitsIS12_E10value_typeET2_T3_PNS13_IS18_E10value_typeET4_jRbjT5_S1E_jjP12ihipStream_tbEUljE_ZNSN_ISO_Lb1ESQ_SR_ST_SU_SY_EESZ_S10_S11_S12_S16_S17_S18_S1B_S1C_jS1D_jS1E_S1E_jjS1G_bEUljE0_EEESZ_S10_S11_S18_S1C_S1E_T6_T7_T9_mT8_S1G_bDpT10_ENKUlT_T0_E_clISt17integral_constantIbLb1EES1T_IbLb0EEEEDaS1P_S1Q_EUlS1P_E_NS1_11comp_targetILNS1_3genE0ELNS1_11target_archE4294967295ELNS1_3gpuE0ELNS1_3repE0EEENS1_30default_config_static_selectorELNS0_4arch9wavefront6targetE1EEEvS12_
    .private_segment_fixed_size: 0
    .sgpr_count:     4
    .sgpr_spill_count: 0
    .symbol:         _ZN7rocprim17ROCPRIM_400000_NS6detail17trampoline_kernelINS0_13select_configILj256ELj13ELNS0_17block_load_methodE3ELS4_3ELS4_3ELNS0_20block_scan_algorithmE0ELj4294967295EEENS1_25partition_config_selectorILNS1_17partition_subalgoE4EjNS0_10empty_typeEbEEZZNS1_14partition_implILS8_4ELb0ES6_15HIP_vector_typeIjLj2EENS0_17counting_iteratorIjlEEPS9_SG_NS0_5tupleIJPjSI_NS0_16reverse_iteratorISI_EEEEENSH_IJSG_SG_SG_EEES9_SI_JZNS1_25segmented_radix_sort_implINS0_14default_configELb1EPKbPbPKlPlN2at6native12_GLOBAL__N_18offset_tEEE10hipError_tPvRmT1_PNSt15iterator_traitsIS12_E10value_typeET2_T3_PNS13_IS18_E10value_typeET4_jRbjT5_S1E_jjP12ihipStream_tbEUljE_ZNSN_ISO_Lb1ESQ_SR_ST_SU_SY_EESZ_S10_S11_S12_S16_S17_S18_S1B_S1C_jS1D_jS1E_S1E_jjS1G_bEUljE0_EEESZ_S10_S11_S18_S1C_S1E_T6_T7_T9_mT8_S1G_bDpT10_ENKUlT_T0_E_clISt17integral_constantIbLb1EES1T_IbLb0EEEEDaS1P_S1Q_EUlS1P_E_NS1_11comp_targetILNS1_3genE0ELNS1_11target_archE4294967295ELNS1_3gpuE0ELNS1_3repE0EEENS1_30default_config_static_selectorELNS0_4arch9wavefront6targetE1EEEvS12_.kd
    .uniform_work_group_size: 1
    .uses_dynamic_stack: false
    .vgpr_count:     0
    .vgpr_spill_count: 0
    .wavefront_size: 64
  - .agpr_count:     0
    .args:
      - .offset:         0
        .size:           176
        .value_kind:     by_value
    .group_segment_fixed_size: 0
    .kernarg_segment_align: 8
    .kernarg_segment_size: 176
    .language:       OpenCL C
    .language_version:
      - 2
      - 0
    .max_flat_workgroup_size: 256
    .name:           _ZN7rocprim17ROCPRIM_400000_NS6detail17trampoline_kernelINS0_13select_configILj256ELj13ELNS0_17block_load_methodE3ELS4_3ELS4_3ELNS0_20block_scan_algorithmE0ELj4294967295EEENS1_25partition_config_selectorILNS1_17partition_subalgoE4EjNS0_10empty_typeEbEEZZNS1_14partition_implILS8_4ELb0ES6_15HIP_vector_typeIjLj2EENS0_17counting_iteratorIjlEEPS9_SG_NS0_5tupleIJPjSI_NS0_16reverse_iteratorISI_EEEEENSH_IJSG_SG_SG_EEES9_SI_JZNS1_25segmented_radix_sort_implINS0_14default_configELb1EPKbPbPKlPlN2at6native12_GLOBAL__N_18offset_tEEE10hipError_tPvRmT1_PNSt15iterator_traitsIS12_E10value_typeET2_T3_PNS13_IS18_E10value_typeET4_jRbjT5_S1E_jjP12ihipStream_tbEUljE_ZNSN_ISO_Lb1ESQ_SR_ST_SU_SY_EESZ_S10_S11_S12_S16_S17_S18_S1B_S1C_jS1D_jS1E_S1E_jjS1G_bEUljE0_EEESZ_S10_S11_S18_S1C_S1E_T6_T7_T9_mT8_S1G_bDpT10_ENKUlT_T0_E_clISt17integral_constantIbLb1EES1T_IbLb0EEEEDaS1P_S1Q_EUlS1P_E_NS1_11comp_targetILNS1_3genE5ELNS1_11target_archE942ELNS1_3gpuE9ELNS1_3repE0EEENS1_30default_config_static_selectorELNS0_4arch9wavefront6targetE1EEEvS12_
    .private_segment_fixed_size: 0
    .sgpr_count:     4
    .sgpr_spill_count: 0
    .symbol:         _ZN7rocprim17ROCPRIM_400000_NS6detail17trampoline_kernelINS0_13select_configILj256ELj13ELNS0_17block_load_methodE3ELS4_3ELS4_3ELNS0_20block_scan_algorithmE0ELj4294967295EEENS1_25partition_config_selectorILNS1_17partition_subalgoE4EjNS0_10empty_typeEbEEZZNS1_14partition_implILS8_4ELb0ES6_15HIP_vector_typeIjLj2EENS0_17counting_iteratorIjlEEPS9_SG_NS0_5tupleIJPjSI_NS0_16reverse_iteratorISI_EEEEENSH_IJSG_SG_SG_EEES9_SI_JZNS1_25segmented_radix_sort_implINS0_14default_configELb1EPKbPbPKlPlN2at6native12_GLOBAL__N_18offset_tEEE10hipError_tPvRmT1_PNSt15iterator_traitsIS12_E10value_typeET2_T3_PNS13_IS18_E10value_typeET4_jRbjT5_S1E_jjP12ihipStream_tbEUljE_ZNSN_ISO_Lb1ESQ_SR_ST_SU_SY_EESZ_S10_S11_S12_S16_S17_S18_S1B_S1C_jS1D_jS1E_S1E_jjS1G_bEUljE0_EEESZ_S10_S11_S18_S1C_S1E_T6_T7_T9_mT8_S1G_bDpT10_ENKUlT_T0_E_clISt17integral_constantIbLb1EES1T_IbLb0EEEEDaS1P_S1Q_EUlS1P_E_NS1_11comp_targetILNS1_3genE5ELNS1_11target_archE942ELNS1_3gpuE9ELNS1_3repE0EEENS1_30default_config_static_selectorELNS0_4arch9wavefront6targetE1EEEvS12_.kd
    .uniform_work_group_size: 1
    .uses_dynamic_stack: false
    .vgpr_count:     0
    .vgpr_spill_count: 0
    .wavefront_size: 64
  - .agpr_count:     0
    .args:
      - .offset:         0
        .size:           176
        .value_kind:     by_value
    .group_segment_fixed_size: 13340
    .kernarg_segment_align: 8
    .kernarg_segment_size: 176
    .language:       OpenCL C
    .language_version:
      - 2
      - 0
    .max_flat_workgroup_size: 256
    .name:           _ZN7rocprim17ROCPRIM_400000_NS6detail17trampoline_kernelINS0_13select_configILj256ELj13ELNS0_17block_load_methodE3ELS4_3ELS4_3ELNS0_20block_scan_algorithmE0ELj4294967295EEENS1_25partition_config_selectorILNS1_17partition_subalgoE4EjNS0_10empty_typeEbEEZZNS1_14partition_implILS8_4ELb0ES6_15HIP_vector_typeIjLj2EENS0_17counting_iteratorIjlEEPS9_SG_NS0_5tupleIJPjSI_NS0_16reverse_iteratorISI_EEEEENSH_IJSG_SG_SG_EEES9_SI_JZNS1_25segmented_radix_sort_implINS0_14default_configELb1EPKbPbPKlPlN2at6native12_GLOBAL__N_18offset_tEEE10hipError_tPvRmT1_PNSt15iterator_traitsIS12_E10value_typeET2_T3_PNS13_IS18_E10value_typeET4_jRbjT5_S1E_jjP12ihipStream_tbEUljE_ZNSN_ISO_Lb1ESQ_SR_ST_SU_SY_EESZ_S10_S11_S12_S16_S17_S18_S1B_S1C_jS1D_jS1E_S1E_jjS1G_bEUljE0_EEESZ_S10_S11_S18_S1C_S1E_T6_T7_T9_mT8_S1G_bDpT10_ENKUlT_T0_E_clISt17integral_constantIbLb1EES1T_IbLb0EEEEDaS1P_S1Q_EUlS1P_E_NS1_11comp_targetILNS1_3genE4ELNS1_11target_archE910ELNS1_3gpuE8ELNS1_3repE0EEENS1_30default_config_static_selectorELNS0_4arch9wavefront6targetE1EEEvS12_
    .private_segment_fixed_size: 0
    .sgpr_count:     94
    .sgpr_spill_count: 0
    .symbol:         _ZN7rocprim17ROCPRIM_400000_NS6detail17trampoline_kernelINS0_13select_configILj256ELj13ELNS0_17block_load_methodE3ELS4_3ELS4_3ELNS0_20block_scan_algorithmE0ELj4294967295EEENS1_25partition_config_selectorILNS1_17partition_subalgoE4EjNS0_10empty_typeEbEEZZNS1_14partition_implILS8_4ELb0ES6_15HIP_vector_typeIjLj2EENS0_17counting_iteratorIjlEEPS9_SG_NS0_5tupleIJPjSI_NS0_16reverse_iteratorISI_EEEEENSH_IJSG_SG_SG_EEES9_SI_JZNS1_25segmented_radix_sort_implINS0_14default_configELb1EPKbPbPKlPlN2at6native12_GLOBAL__N_18offset_tEEE10hipError_tPvRmT1_PNSt15iterator_traitsIS12_E10value_typeET2_T3_PNS13_IS18_E10value_typeET4_jRbjT5_S1E_jjP12ihipStream_tbEUljE_ZNSN_ISO_Lb1ESQ_SR_ST_SU_SY_EESZ_S10_S11_S12_S16_S17_S18_S1B_S1C_jS1D_jS1E_S1E_jjS1G_bEUljE0_EEESZ_S10_S11_S18_S1C_S1E_T6_T7_T9_mT8_S1G_bDpT10_ENKUlT_T0_E_clISt17integral_constantIbLb1EES1T_IbLb0EEEEDaS1P_S1Q_EUlS1P_E_NS1_11comp_targetILNS1_3genE4ELNS1_11target_archE910ELNS1_3gpuE8ELNS1_3repE0EEENS1_30default_config_static_selectorELNS0_4arch9wavefront6targetE1EEEvS12_.kd
    .uniform_work_group_size: 1
    .uses_dynamic_stack: false
    .vgpr_count:     102
    .vgpr_spill_count: 0
    .wavefront_size: 64
  - .agpr_count:     0
    .args:
      - .offset:         0
        .size:           176
        .value_kind:     by_value
    .group_segment_fixed_size: 0
    .kernarg_segment_align: 8
    .kernarg_segment_size: 176
    .language:       OpenCL C
    .language_version:
      - 2
      - 0
    .max_flat_workgroup_size: 256
    .name:           _ZN7rocprim17ROCPRIM_400000_NS6detail17trampoline_kernelINS0_13select_configILj256ELj13ELNS0_17block_load_methodE3ELS4_3ELS4_3ELNS0_20block_scan_algorithmE0ELj4294967295EEENS1_25partition_config_selectorILNS1_17partition_subalgoE4EjNS0_10empty_typeEbEEZZNS1_14partition_implILS8_4ELb0ES6_15HIP_vector_typeIjLj2EENS0_17counting_iteratorIjlEEPS9_SG_NS0_5tupleIJPjSI_NS0_16reverse_iteratorISI_EEEEENSH_IJSG_SG_SG_EEES9_SI_JZNS1_25segmented_radix_sort_implINS0_14default_configELb1EPKbPbPKlPlN2at6native12_GLOBAL__N_18offset_tEEE10hipError_tPvRmT1_PNSt15iterator_traitsIS12_E10value_typeET2_T3_PNS13_IS18_E10value_typeET4_jRbjT5_S1E_jjP12ihipStream_tbEUljE_ZNSN_ISO_Lb1ESQ_SR_ST_SU_SY_EESZ_S10_S11_S12_S16_S17_S18_S1B_S1C_jS1D_jS1E_S1E_jjS1G_bEUljE0_EEESZ_S10_S11_S18_S1C_S1E_T6_T7_T9_mT8_S1G_bDpT10_ENKUlT_T0_E_clISt17integral_constantIbLb1EES1T_IbLb0EEEEDaS1P_S1Q_EUlS1P_E_NS1_11comp_targetILNS1_3genE3ELNS1_11target_archE908ELNS1_3gpuE7ELNS1_3repE0EEENS1_30default_config_static_selectorELNS0_4arch9wavefront6targetE1EEEvS12_
    .private_segment_fixed_size: 0
    .sgpr_count:     4
    .sgpr_spill_count: 0
    .symbol:         _ZN7rocprim17ROCPRIM_400000_NS6detail17trampoline_kernelINS0_13select_configILj256ELj13ELNS0_17block_load_methodE3ELS4_3ELS4_3ELNS0_20block_scan_algorithmE0ELj4294967295EEENS1_25partition_config_selectorILNS1_17partition_subalgoE4EjNS0_10empty_typeEbEEZZNS1_14partition_implILS8_4ELb0ES6_15HIP_vector_typeIjLj2EENS0_17counting_iteratorIjlEEPS9_SG_NS0_5tupleIJPjSI_NS0_16reverse_iteratorISI_EEEEENSH_IJSG_SG_SG_EEES9_SI_JZNS1_25segmented_radix_sort_implINS0_14default_configELb1EPKbPbPKlPlN2at6native12_GLOBAL__N_18offset_tEEE10hipError_tPvRmT1_PNSt15iterator_traitsIS12_E10value_typeET2_T3_PNS13_IS18_E10value_typeET4_jRbjT5_S1E_jjP12ihipStream_tbEUljE_ZNSN_ISO_Lb1ESQ_SR_ST_SU_SY_EESZ_S10_S11_S12_S16_S17_S18_S1B_S1C_jS1D_jS1E_S1E_jjS1G_bEUljE0_EEESZ_S10_S11_S18_S1C_S1E_T6_T7_T9_mT8_S1G_bDpT10_ENKUlT_T0_E_clISt17integral_constantIbLb1EES1T_IbLb0EEEEDaS1P_S1Q_EUlS1P_E_NS1_11comp_targetILNS1_3genE3ELNS1_11target_archE908ELNS1_3gpuE7ELNS1_3repE0EEENS1_30default_config_static_selectorELNS0_4arch9wavefront6targetE1EEEvS12_.kd
    .uniform_work_group_size: 1
    .uses_dynamic_stack: false
    .vgpr_count:     0
    .vgpr_spill_count: 0
    .wavefront_size: 64
  - .agpr_count:     0
    .args:
      - .offset:         0
        .size:           176
        .value_kind:     by_value
    .group_segment_fixed_size: 0
    .kernarg_segment_align: 8
    .kernarg_segment_size: 176
    .language:       OpenCL C
    .language_version:
      - 2
      - 0
    .max_flat_workgroup_size: 256
    .name:           _ZN7rocprim17ROCPRIM_400000_NS6detail17trampoline_kernelINS0_13select_configILj256ELj13ELNS0_17block_load_methodE3ELS4_3ELS4_3ELNS0_20block_scan_algorithmE0ELj4294967295EEENS1_25partition_config_selectorILNS1_17partition_subalgoE4EjNS0_10empty_typeEbEEZZNS1_14partition_implILS8_4ELb0ES6_15HIP_vector_typeIjLj2EENS0_17counting_iteratorIjlEEPS9_SG_NS0_5tupleIJPjSI_NS0_16reverse_iteratorISI_EEEEENSH_IJSG_SG_SG_EEES9_SI_JZNS1_25segmented_radix_sort_implINS0_14default_configELb1EPKbPbPKlPlN2at6native12_GLOBAL__N_18offset_tEEE10hipError_tPvRmT1_PNSt15iterator_traitsIS12_E10value_typeET2_T3_PNS13_IS18_E10value_typeET4_jRbjT5_S1E_jjP12ihipStream_tbEUljE_ZNSN_ISO_Lb1ESQ_SR_ST_SU_SY_EESZ_S10_S11_S12_S16_S17_S18_S1B_S1C_jS1D_jS1E_S1E_jjS1G_bEUljE0_EEESZ_S10_S11_S18_S1C_S1E_T6_T7_T9_mT8_S1G_bDpT10_ENKUlT_T0_E_clISt17integral_constantIbLb1EES1T_IbLb0EEEEDaS1P_S1Q_EUlS1P_E_NS1_11comp_targetILNS1_3genE2ELNS1_11target_archE906ELNS1_3gpuE6ELNS1_3repE0EEENS1_30default_config_static_selectorELNS0_4arch9wavefront6targetE1EEEvS12_
    .private_segment_fixed_size: 0
    .sgpr_count:     4
    .sgpr_spill_count: 0
    .symbol:         _ZN7rocprim17ROCPRIM_400000_NS6detail17trampoline_kernelINS0_13select_configILj256ELj13ELNS0_17block_load_methodE3ELS4_3ELS4_3ELNS0_20block_scan_algorithmE0ELj4294967295EEENS1_25partition_config_selectorILNS1_17partition_subalgoE4EjNS0_10empty_typeEbEEZZNS1_14partition_implILS8_4ELb0ES6_15HIP_vector_typeIjLj2EENS0_17counting_iteratorIjlEEPS9_SG_NS0_5tupleIJPjSI_NS0_16reverse_iteratorISI_EEEEENSH_IJSG_SG_SG_EEES9_SI_JZNS1_25segmented_radix_sort_implINS0_14default_configELb1EPKbPbPKlPlN2at6native12_GLOBAL__N_18offset_tEEE10hipError_tPvRmT1_PNSt15iterator_traitsIS12_E10value_typeET2_T3_PNS13_IS18_E10value_typeET4_jRbjT5_S1E_jjP12ihipStream_tbEUljE_ZNSN_ISO_Lb1ESQ_SR_ST_SU_SY_EESZ_S10_S11_S12_S16_S17_S18_S1B_S1C_jS1D_jS1E_S1E_jjS1G_bEUljE0_EEESZ_S10_S11_S18_S1C_S1E_T6_T7_T9_mT8_S1G_bDpT10_ENKUlT_T0_E_clISt17integral_constantIbLb1EES1T_IbLb0EEEEDaS1P_S1Q_EUlS1P_E_NS1_11comp_targetILNS1_3genE2ELNS1_11target_archE906ELNS1_3gpuE6ELNS1_3repE0EEENS1_30default_config_static_selectorELNS0_4arch9wavefront6targetE1EEEvS12_.kd
    .uniform_work_group_size: 1
    .uses_dynamic_stack: false
    .vgpr_count:     0
    .vgpr_spill_count: 0
    .wavefront_size: 64
  - .agpr_count:     0
    .args:
      - .offset:         0
        .size:           176
        .value_kind:     by_value
    .group_segment_fixed_size: 0
    .kernarg_segment_align: 8
    .kernarg_segment_size: 176
    .language:       OpenCL C
    .language_version:
      - 2
      - 0
    .max_flat_workgroup_size: 256
    .name:           _ZN7rocprim17ROCPRIM_400000_NS6detail17trampoline_kernelINS0_13select_configILj256ELj13ELNS0_17block_load_methodE3ELS4_3ELS4_3ELNS0_20block_scan_algorithmE0ELj4294967295EEENS1_25partition_config_selectorILNS1_17partition_subalgoE4EjNS0_10empty_typeEbEEZZNS1_14partition_implILS8_4ELb0ES6_15HIP_vector_typeIjLj2EENS0_17counting_iteratorIjlEEPS9_SG_NS0_5tupleIJPjSI_NS0_16reverse_iteratorISI_EEEEENSH_IJSG_SG_SG_EEES9_SI_JZNS1_25segmented_radix_sort_implINS0_14default_configELb1EPKbPbPKlPlN2at6native12_GLOBAL__N_18offset_tEEE10hipError_tPvRmT1_PNSt15iterator_traitsIS12_E10value_typeET2_T3_PNS13_IS18_E10value_typeET4_jRbjT5_S1E_jjP12ihipStream_tbEUljE_ZNSN_ISO_Lb1ESQ_SR_ST_SU_SY_EESZ_S10_S11_S12_S16_S17_S18_S1B_S1C_jS1D_jS1E_S1E_jjS1G_bEUljE0_EEESZ_S10_S11_S18_S1C_S1E_T6_T7_T9_mT8_S1G_bDpT10_ENKUlT_T0_E_clISt17integral_constantIbLb1EES1T_IbLb0EEEEDaS1P_S1Q_EUlS1P_E_NS1_11comp_targetILNS1_3genE10ELNS1_11target_archE1200ELNS1_3gpuE4ELNS1_3repE0EEENS1_30default_config_static_selectorELNS0_4arch9wavefront6targetE1EEEvS12_
    .private_segment_fixed_size: 0
    .sgpr_count:     4
    .sgpr_spill_count: 0
    .symbol:         _ZN7rocprim17ROCPRIM_400000_NS6detail17trampoline_kernelINS0_13select_configILj256ELj13ELNS0_17block_load_methodE3ELS4_3ELS4_3ELNS0_20block_scan_algorithmE0ELj4294967295EEENS1_25partition_config_selectorILNS1_17partition_subalgoE4EjNS0_10empty_typeEbEEZZNS1_14partition_implILS8_4ELb0ES6_15HIP_vector_typeIjLj2EENS0_17counting_iteratorIjlEEPS9_SG_NS0_5tupleIJPjSI_NS0_16reverse_iteratorISI_EEEEENSH_IJSG_SG_SG_EEES9_SI_JZNS1_25segmented_radix_sort_implINS0_14default_configELb1EPKbPbPKlPlN2at6native12_GLOBAL__N_18offset_tEEE10hipError_tPvRmT1_PNSt15iterator_traitsIS12_E10value_typeET2_T3_PNS13_IS18_E10value_typeET4_jRbjT5_S1E_jjP12ihipStream_tbEUljE_ZNSN_ISO_Lb1ESQ_SR_ST_SU_SY_EESZ_S10_S11_S12_S16_S17_S18_S1B_S1C_jS1D_jS1E_S1E_jjS1G_bEUljE0_EEESZ_S10_S11_S18_S1C_S1E_T6_T7_T9_mT8_S1G_bDpT10_ENKUlT_T0_E_clISt17integral_constantIbLb1EES1T_IbLb0EEEEDaS1P_S1Q_EUlS1P_E_NS1_11comp_targetILNS1_3genE10ELNS1_11target_archE1200ELNS1_3gpuE4ELNS1_3repE0EEENS1_30default_config_static_selectorELNS0_4arch9wavefront6targetE1EEEvS12_.kd
    .uniform_work_group_size: 1
    .uses_dynamic_stack: false
    .vgpr_count:     0
    .vgpr_spill_count: 0
    .wavefront_size: 64
  - .agpr_count:     0
    .args:
      - .offset:         0
        .size:           176
        .value_kind:     by_value
    .group_segment_fixed_size: 0
    .kernarg_segment_align: 8
    .kernarg_segment_size: 176
    .language:       OpenCL C
    .language_version:
      - 2
      - 0
    .max_flat_workgroup_size: 256
    .name:           _ZN7rocprim17ROCPRIM_400000_NS6detail17trampoline_kernelINS0_13select_configILj256ELj13ELNS0_17block_load_methodE3ELS4_3ELS4_3ELNS0_20block_scan_algorithmE0ELj4294967295EEENS1_25partition_config_selectorILNS1_17partition_subalgoE4EjNS0_10empty_typeEbEEZZNS1_14partition_implILS8_4ELb0ES6_15HIP_vector_typeIjLj2EENS0_17counting_iteratorIjlEEPS9_SG_NS0_5tupleIJPjSI_NS0_16reverse_iteratorISI_EEEEENSH_IJSG_SG_SG_EEES9_SI_JZNS1_25segmented_radix_sort_implINS0_14default_configELb1EPKbPbPKlPlN2at6native12_GLOBAL__N_18offset_tEEE10hipError_tPvRmT1_PNSt15iterator_traitsIS12_E10value_typeET2_T3_PNS13_IS18_E10value_typeET4_jRbjT5_S1E_jjP12ihipStream_tbEUljE_ZNSN_ISO_Lb1ESQ_SR_ST_SU_SY_EESZ_S10_S11_S12_S16_S17_S18_S1B_S1C_jS1D_jS1E_S1E_jjS1G_bEUljE0_EEESZ_S10_S11_S18_S1C_S1E_T6_T7_T9_mT8_S1G_bDpT10_ENKUlT_T0_E_clISt17integral_constantIbLb1EES1T_IbLb0EEEEDaS1P_S1Q_EUlS1P_E_NS1_11comp_targetILNS1_3genE9ELNS1_11target_archE1100ELNS1_3gpuE3ELNS1_3repE0EEENS1_30default_config_static_selectorELNS0_4arch9wavefront6targetE1EEEvS12_
    .private_segment_fixed_size: 0
    .sgpr_count:     4
    .sgpr_spill_count: 0
    .symbol:         _ZN7rocprim17ROCPRIM_400000_NS6detail17trampoline_kernelINS0_13select_configILj256ELj13ELNS0_17block_load_methodE3ELS4_3ELS4_3ELNS0_20block_scan_algorithmE0ELj4294967295EEENS1_25partition_config_selectorILNS1_17partition_subalgoE4EjNS0_10empty_typeEbEEZZNS1_14partition_implILS8_4ELb0ES6_15HIP_vector_typeIjLj2EENS0_17counting_iteratorIjlEEPS9_SG_NS0_5tupleIJPjSI_NS0_16reverse_iteratorISI_EEEEENSH_IJSG_SG_SG_EEES9_SI_JZNS1_25segmented_radix_sort_implINS0_14default_configELb1EPKbPbPKlPlN2at6native12_GLOBAL__N_18offset_tEEE10hipError_tPvRmT1_PNSt15iterator_traitsIS12_E10value_typeET2_T3_PNS13_IS18_E10value_typeET4_jRbjT5_S1E_jjP12ihipStream_tbEUljE_ZNSN_ISO_Lb1ESQ_SR_ST_SU_SY_EESZ_S10_S11_S12_S16_S17_S18_S1B_S1C_jS1D_jS1E_S1E_jjS1G_bEUljE0_EEESZ_S10_S11_S18_S1C_S1E_T6_T7_T9_mT8_S1G_bDpT10_ENKUlT_T0_E_clISt17integral_constantIbLb1EES1T_IbLb0EEEEDaS1P_S1Q_EUlS1P_E_NS1_11comp_targetILNS1_3genE9ELNS1_11target_archE1100ELNS1_3gpuE3ELNS1_3repE0EEENS1_30default_config_static_selectorELNS0_4arch9wavefront6targetE1EEEvS12_.kd
    .uniform_work_group_size: 1
    .uses_dynamic_stack: false
    .vgpr_count:     0
    .vgpr_spill_count: 0
    .wavefront_size: 64
  - .agpr_count:     0
    .args:
      - .offset:         0
        .size:           176
        .value_kind:     by_value
    .group_segment_fixed_size: 0
    .kernarg_segment_align: 8
    .kernarg_segment_size: 176
    .language:       OpenCL C
    .language_version:
      - 2
      - 0
    .max_flat_workgroup_size: 256
    .name:           _ZN7rocprim17ROCPRIM_400000_NS6detail17trampoline_kernelINS0_13select_configILj256ELj13ELNS0_17block_load_methodE3ELS4_3ELS4_3ELNS0_20block_scan_algorithmE0ELj4294967295EEENS1_25partition_config_selectorILNS1_17partition_subalgoE4EjNS0_10empty_typeEbEEZZNS1_14partition_implILS8_4ELb0ES6_15HIP_vector_typeIjLj2EENS0_17counting_iteratorIjlEEPS9_SG_NS0_5tupleIJPjSI_NS0_16reverse_iteratorISI_EEEEENSH_IJSG_SG_SG_EEES9_SI_JZNS1_25segmented_radix_sort_implINS0_14default_configELb1EPKbPbPKlPlN2at6native12_GLOBAL__N_18offset_tEEE10hipError_tPvRmT1_PNSt15iterator_traitsIS12_E10value_typeET2_T3_PNS13_IS18_E10value_typeET4_jRbjT5_S1E_jjP12ihipStream_tbEUljE_ZNSN_ISO_Lb1ESQ_SR_ST_SU_SY_EESZ_S10_S11_S12_S16_S17_S18_S1B_S1C_jS1D_jS1E_S1E_jjS1G_bEUljE0_EEESZ_S10_S11_S18_S1C_S1E_T6_T7_T9_mT8_S1G_bDpT10_ENKUlT_T0_E_clISt17integral_constantIbLb1EES1T_IbLb0EEEEDaS1P_S1Q_EUlS1P_E_NS1_11comp_targetILNS1_3genE8ELNS1_11target_archE1030ELNS1_3gpuE2ELNS1_3repE0EEENS1_30default_config_static_selectorELNS0_4arch9wavefront6targetE1EEEvS12_
    .private_segment_fixed_size: 0
    .sgpr_count:     4
    .sgpr_spill_count: 0
    .symbol:         _ZN7rocprim17ROCPRIM_400000_NS6detail17trampoline_kernelINS0_13select_configILj256ELj13ELNS0_17block_load_methodE3ELS4_3ELS4_3ELNS0_20block_scan_algorithmE0ELj4294967295EEENS1_25partition_config_selectorILNS1_17partition_subalgoE4EjNS0_10empty_typeEbEEZZNS1_14partition_implILS8_4ELb0ES6_15HIP_vector_typeIjLj2EENS0_17counting_iteratorIjlEEPS9_SG_NS0_5tupleIJPjSI_NS0_16reverse_iteratorISI_EEEEENSH_IJSG_SG_SG_EEES9_SI_JZNS1_25segmented_radix_sort_implINS0_14default_configELb1EPKbPbPKlPlN2at6native12_GLOBAL__N_18offset_tEEE10hipError_tPvRmT1_PNSt15iterator_traitsIS12_E10value_typeET2_T3_PNS13_IS18_E10value_typeET4_jRbjT5_S1E_jjP12ihipStream_tbEUljE_ZNSN_ISO_Lb1ESQ_SR_ST_SU_SY_EESZ_S10_S11_S12_S16_S17_S18_S1B_S1C_jS1D_jS1E_S1E_jjS1G_bEUljE0_EEESZ_S10_S11_S18_S1C_S1E_T6_T7_T9_mT8_S1G_bDpT10_ENKUlT_T0_E_clISt17integral_constantIbLb1EES1T_IbLb0EEEEDaS1P_S1Q_EUlS1P_E_NS1_11comp_targetILNS1_3genE8ELNS1_11target_archE1030ELNS1_3gpuE2ELNS1_3repE0EEENS1_30default_config_static_selectorELNS0_4arch9wavefront6targetE1EEEvS12_.kd
    .uniform_work_group_size: 1
    .uses_dynamic_stack: false
    .vgpr_count:     0
    .vgpr_spill_count: 0
    .wavefront_size: 64
  - .agpr_count:     0
    .args:
      - .offset:         0
        .size:           184
        .value_kind:     by_value
    .group_segment_fixed_size: 0
    .kernarg_segment_align: 8
    .kernarg_segment_size: 184
    .language:       OpenCL C
    .language_version:
      - 2
      - 0
    .max_flat_workgroup_size: 256
    .name:           _ZN7rocprim17ROCPRIM_400000_NS6detail17trampoline_kernelINS0_13select_configILj256ELj13ELNS0_17block_load_methodE3ELS4_3ELS4_3ELNS0_20block_scan_algorithmE0ELj4294967295EEENS1_25partition_config_selectorILNS1_17partition_subalgoE4EjNS0_10empty_typeEbEEZZNS1_14partition_implILS8_4ELb0ES6_15HIP_vector_typeIjLj2EENS0_17counting_iteratorIjlEEPS9_SG_NS0_5tupleIJPjSI_NS0_16reverse_iteratorISI_EEEEENSH_IJSG_SG_SG_EEES9_SI_JZNS1_25segmented_radix_sort_implINS0_14default_configELb1EPKbPbPKlPlN2at6native12_GLOBAL__N_18offset_tEEE10hipError_tPvRmT1_PNSt15iterator_traitsIS12_E10value_typeET2_T3_PNS13_IS18_E10value_typeET4_jRbjT5_S1E_jjP12ihipStream_tbEUljE_ZNSN_ISO_Lb1ESQ_SR_ST_SU_SY_EESZ_S10_S11_S12_S16_S17_S18_S1B_S1C_jS1D_jS1E_S1E_jjS1G_bEUljE0_EEESZ_S10_S11_S18_S1C_S1E_T6_T7_T9_mT8_S1G_bDpT10_ENKUlT_T0_E_clISt17integral_constantIbLb0EES1T_IbLb1EEEEDaS1P_S1Q_EUlS1P_E_NS1_11comp_targetILNS1_3genE0ELNS1_11target_archE4294967295ELNS1_3gpuE0ELNS1_3repE0EEENS1_30default_config_static_selectorELNS0_4arch9wavefront6targetE1EEEvS12_
    .private_segment_fixed_size: 0
    .sgpr_count:     4
    .sgpr_spill_count: 0
    .symbol:         _ZN7rocprim17ROCPRIM_400000_NS6detail17trampoline_kernelINS0_13select_configILj256ELj13ELNS0_17block_load_methodE3ELS4_3ELS4_3ELNS0_20block_scan_algorithmE0ELj4294967295EEENS1_25partition_config_selectorILNS1_17partition_subalgoE4EjNS0_10empty_typeEbEEZZNS1_14partition_implILS8_4ELb0ES6_15HIP_vector_typeIjLj2EENS0_17counting_iteratorIjlEEPS9_SG_NS0_5tupleIJPjSI_NS0_16reverse_iteratorISI_EEEEENSH_IJSG_SG_SG_EEES9_SI_JZNS1_25segmented_radix_sort_implINS0_14default_configELb1EPKbPbPKlPlN2at6native12_GLOBAL__N_18offset_tEEE10hipError_tPvRmT1_PNSt15iterator_traitsIS12_E10value_typeET2_T3_PNS13_IS18_E10value_typeET4_jRbjT5_S1E_jjP12ihipStream_tbEUljE_ZNSN_ISO_Lb1ESQ_SR_ST_SU_SY_EESZ_S10_S11_S12_S16_S17_S18_S1B_S1C_jS1D_jS1E_S1E_jjS1G_bEUljE0_EEESZ_S10_S11_S18_S1C_S1E_T6_T7_T9_mT8_S1G_bDpT10_ENKUlT_T0_E_clISt17integral_constantIbLb0EES1T_IbLb1EEEEDaS1P_S1Q_EUlS1P_E_NS1_11comp_targetILNS1_3genE0ELNS1_11target_archE4294967295ELNS1_3gpuE0ELNS1_3repE0EEENS1_30default_config_static_selectorELNS0_4arch9wavefront6targetE1EEEvS12_.kd
    .uniform_work_group_size: 1
    .uses_dynamic_stack: false
    .vgpr_count:     0
    .vgpr_spill_count: 0
    .wavefront_size: 64
  - .agpr_count:     0
    .args:
      - .offset:         0
        .size:           184
        .value_kind:     by_value
    .group_segment_fixed_size: 0
    .kernarg_segment_align: 8
    .kernarg_segment_size: 184
    .language:       OpenCL C
    .language_version:
      - 2
      - 0
    .max_flat_workgroup_size: 256
    .name:           _ZN7rocprim17ROCPRIM_400000_NS6detail17trampoline_kernelINS0_13select_configILj256ELj13ELNS0_17block_load_methodE3ELS4_3ELS4_3ELNS0_20block_scan_algorithmE0ELj4294967295EEENS1_25partition_config_selectorILNS1_17partition_subalgoE4EjNS0_10empty_typeEbEEZZNS1_14partition_implILS8_4ELb0ES6_15HIP_vector_typeIjLj2EENS0_17counting_iteratorIjlEEPS9_SG_NS0_5tupleIJPjSI_NS0_16reverse_iteratorISI_EEEEENSH_IJSG_SG_SG_EEES9_SI_JZNS1_25segmented_radix_sort_implINS0_14default_configELb1EPKbPbPKlPlN2at6native12_GLOBAL__N_18offset_tEEE10hipError_tPvRmT1_PNSt15iterator_traitsIS12_E10value_typeET2_T3_PNS13_IS18_E10value_typeET4_jRbjT5_S1E_jjP12ihipStream_tbEUljE_ZNSN_ISO_Lb1ESQ_SR_ST_SU_SY_EESZ_S10_S11_S12_S16_S17_S18_S1B_S1C_jS1D_jS1E_S1E_jjS1G_bEUljE0_EEESZ_S10_S11_S18_S1C_S1E_T6_T7_T9_mT8_S1G_bDpT10_ENKUlT_T0_E_clISt17integral_constantIbLb0EES1T_IbLb1EEEEDaS1P_S1Q_EUlS1P_E_NS1_11comp_targetILNS1_3genE5ELNS1_11target_archE942ELNS1_3gpuE9ELNS1_3repE0EEENS1_30default_config_static_selectorELNS0_4arch9wavefront6targetE1EEEvS12_
    .private_segment_fixed_size: 0
    .sgpr_count:     4
    .sgpr_spill_count: 0
    .symbol:         _ZN7rocprim17ROCPRIM_400000_NS6detail17trampoline_kernelINS0_13select_configILj256ELj13ELNS0_17block_load_methodE3ELS4_3ELS4_3ELNS0_20block_scan_algorithmE0ELj4294967295EEENS1_25partition_config_selectorILNS1_17partition_subalgoE4EjNS0_10empty_typeEbEEZZNS1_14partition_implILS8_4ELb0ES6_15HIP_vector_typeIjLj2EENS0_17counting_iteratorIjlEEPS9_SG_NS0_5tupleIJPjSI_NS0_16reverse_iteratorISI_EEEEENSH_IJSG_SG_SG_EEES9_SI_JZNS1_25segmented_radix_sort_implINS0_14default_configELb1EPKbPbPKlPlN2at6native12_GLOBAL__N_18offset_tEEE10hipError_tPvRmT1_PNSt15iterator_traitsIS12_E10value_typeET2_T3_PNS13_IS18_E10value_typeET4_jRbjT5_S1E_jjP12ihipStream_tbEUljE_ZNSN_ISO_Lb1ESQ_SR_ST_SU_SY_EESZ_S10_S11_S12_S16_S17_S18_S1B_S1C_jS1D_jS1E_S1E_jjS1G_bEUljE0_EEESZ_S10_S11_S18_S1C_S1E_T6_T7_T9_mT8_S1G_bDpT10_ENKUlT_T0_E_clISt17integral_constantIbLb0EES1T_IbLb1EEEEDaS1P_S1Q_EUlS1P_E_NS1_11comp_targetILNS1_3genE5ELNS1_11target_archE942ELNS1_3gpuE9ELNS1_3repE0EEENS1_30default_config_static_selectorELNS0_4arch9wavefront6targetE1EEEvS12_.kd
    .uniform_work_group_size: 1
    .uses_dynamic_stack: false
    .vgpr_count:     0
    .vgpr_spill_count: 0
    .wavefront_size: 64
  - .agpr_count:     0
    .args:
      - .offset:         0
        .size:           184
        .value_kind:     by_value
    .group_segment_fixed_size: 13340
    .kernarg_segment_align: 8
    .kernarg_segment_size: 184
    .language:       OpenCL C
    .language_version:
      - 2
      - 0
    .max_flat_workgroup_size: 256
    .name:           _ZN7rocprim17ROCPRIM_400000_NS6detail17trampoline_kernelINS0_13select_configILj256ELj13ELNS0_17block_load_methodE3ELS4_3ELS4_3ELNS0_20block_scan_algorithmE0ELj4294967295EEENS1_25partition_config_selectorILNS1_17partition_subalgoE4EjNS0_10empty_typeEbEEZZNS1_14partition_implILS8_4ELb0ES6_15HIP_vector_typeIjLj2EENS0_17counting_iteratorIjlEEPS9_SG_NS0_5tupleIJPjSI_NS0_16reverse_iteratorISI_EEEEENSH_IJSG_SG_SG_EEES9_SI_JZNS1_25segmented_radix_sort_implINS0_14default_configELb1EPKbPbPKlPlN2at6native12_GLOBAL__N_18offset_tEEE10hipError_tPvRmT1_PNSt15iterator_traitsIS12_E10value_typeET2_T3_PNS13_IS18_E10value_typeET4_jRbjT5_S1E_jjP12ihipStream_tbEUljE_ZNSN_ISO_Lb1ESQ_SR_ST_SU_SY_EESZ_S10_S11_S12_S16_S17_S18_S1B_S1C_jS1D_jS1E_S1E_jjS1G_bEUljE0_EEESZ_S10_S11_S18_S1C_S1E_T6_T7_T9_mT8_S1G_bDpT10_ENKUlT_T0_E_clISt17integral_constantIbLb0EES1T_IbLb1EEEEDaS1P_S1Q_EUlS1P_E_NS1_11comp_targetILNS1_3genE4ELNS1_11target_archE910ELNS1_3gpuE8ELNS1_3repE0EEENS1_30default_config_static_selectorELNS0_4arch9wavefront6targetE1EEEvS12_
    .private_segment_fixed_size: 0
    .sgpr_count:     91
    .sgpr_spill_count: 0
    .symbol:         _ZN7rocprim17ROCPRIM_400000_NS6detail17trampoline_kernelINS0_13select_configILj256ELj13ELNS0_17block_load_methodE3ELS4_3ELS4_3ELNS0_20block_scan_algorithmE0ELj4294967295EEENS1_25partition_config_selectorILNS1_17partition_subalgoE4EjNS0_10empty_typeEbEEZZNS1_14partition_implILS8_4ELb0ES6_15HIP_vector_typeIjLj2EENS0_17counting_iteratorIjlEEPS9_SG_NS0_5tupleIJPjSI_NS0_16reverse_iteratorISI_EEEEENSH_IJSG_SG_SG_EEES9_SI_JZNS1_25segmented_radix_sort_implINS0_14default_configELb1EPKbPbPKlPlN2at6native12_GLOBAL__N_18offset_tEEE10hipError_tPvRmT1_PNSt15iterator_traitsIS12_E10value_typeET2_T3_PNS13_IS18_E10value_typeET4_jRbjT5_S1E_jjP12ihipStream_tbEUljE_ZNSN_ISO_Lb1ESQ_SR_ST_SU_SY_EESZ_S10_S11_S12_S16_S17_S18_S1B_S1C_jS1D_jS1E_S1E_jjS1G_bEUljE0_EEESZ_S10_S11_S18_S1C_S1E_T6_T7_T9_mT8_S1G_bDpT10_ENKUlT_T0_E_clISt17integral_constantIbLb0EES1T_IbLb1EEEEDaS1P_S1Q_EUlS1P_E_NS1_11comp_targetILNS1_3genE4ELNS1_11target_archE910ELNS1_3gpuE8ELNS1_3repE0EEENS1_30default_config_static_selectorELNS0_4arch9wavefront6targetE1EEEvS12_.kd
    .uniform_work_group_size: 1
    .uses_dynamic_stack: false
    .vgpr_count:     107
    .vgpr_spill_count: 0
    .wavefront_size: 64
  - .agpr_count:     0
    .args:
      - .offset:         0
        .size:           184
        .value_kind:     by_value
    .group_segment_fixed_size: 0
    .kernarg_segment_align: 8
    .kernarg_segment_size: 184
    .language:       OpenCL C
    .language_version:
      - 2
      - 0
    .max_flat_workgroup_size: 256
    .name:           _ZN7rocprim17ROCPRIM_400000_NS6detail17trampoline_kernelINS0_13select_configILj256ELj13ELNS0_17block_load_methodE3ELS4_3ELS4_3ELNS0_20block_scan_algorithmE0ELj4294967295EEENS1_25partition_config_selectorILNS1_17partition_subalgoE4EjNS0_10empty_typeEbEEZZNS1_14partition_implILS8_4ELb0ES6_15HIP_vector_typeIjLj2EENS0_17counting_iteratorIjlEEPS9_SG_NS0_5tupleIJPjSI_NS0_16reverse_iteratorISI_EEEEENSH_IJSG_SG_SG_EEES9_SI_JZNS1_25segmented_radix_sort_implINS0_14default_configELb1EPKbPbPKlPlN2at6native12_GLOBAL__N_18offset_tEEE10hipError_tPvRmT1_PNSt15iterator_traitsIS12_E10value_typeET2_T3_PNS13_IS18_E10value_typeET4_jRbjT5_S1E_jjP12ihipStream_tbEUljE_ZNSN_ISO_Lb1ESQ_SR_ST_SU_SY_EESZ_S10_S11_S12_S16_S17_S18_S1B_S1C_jS1D_jS1E_S1E_jjS1G_bEUljE0_EEESZ_S10_S11_S18_S1C_S1E_T6_T7_T9_mT8_S1G_bDpT10_ENKUlT_T0_E_clISt17integral_constantIbLb0EES1T_IbLb1EEEEDaS1P_S1Q_EUlS1P_E_NS1_11comp_targetILNS1_3genE3ELNS1_11target_archE908ELNS1_3gpuE7ELNS1_3repE0EEENS1_30default_config_static_selectorELNS0_4arch9wavefront6targetE1EEEvS12_
    .private_segment_fixed_size: 0
    .sgpr_count:     4
    .sgpr_spill_count: 0
    .symbol:         _ZN7rocprim17ROCPRIM_400000_NS6detail17trampoline_kernelINS0_13select_configILj256ELj13ELNS0_17block_load_methodE3ELS4_3ELS4_3ELNS0_20block_scan_algorithmE0ELj4294967295EEENS1_25partition_config_selectorILNS1_17partition_subalgoE4EjNS0_10empty_typeEbEEZZNS1_14partition_implILS8_4ELb0ES6_15HIP_vector_typeIjLj2EENS0_17counting_iteratorIjlEEPS9_SG_NS0_5tupleIJPjSI_NS0_16reverse_iteratorISI_EEEEENSH_IJSG_SG_SG_EEES9_SI_JZNS1_25segmented_radix_sort_implINS0_14default_configELb1EPKbPbPKlPlN2at6native12_GLOBAL__N_18offset_tEEE10hipError_tPvRmT1_PNSt15iterator_traitsIS12_E10value_typeET2_T3_PNS13_IS18_E10value_typeET4_jRbjT5_S1E_jjP12ihipStream_tbEUljE_ZNSN_ISO_Lb1ESQ_SR_ST_SU_SY_EESZ_S10_S11_S12_S16_S17_S18_S1B_S1C_jS1D_jS1E_S1E_jjS1G_bEUljE0_EEESZ_S10_S11_S18_S1C_S1E_T6_T7_T9_mT8_S1G_bDpT10_ENKUlT_T0_E_clISt17integral_constantIbLb0EES1T_IbLb1EEEEDaS1P_S1Q_EUlS1P_E_NS1_11comp_targetILNS1_3genE3ELNS1_11target_archE908ELNS1_3gpuE7ELNS1_3repE0EEENS1_30default_config_static_selectorELNS0_4arch9wavefront6targetE1EEEvS12_.kd
    .uniform_work_group_size: 1
    .uses_dynamic_stack: false
    .vgpr_count:     0
    .vgpr_spill_count: 0
    .wavefront_size: 64
  - .agpr_count:     0
    .args:
      - .offset:         0
        .size:           184
        .value_kind:     by_value
    .group_segment_fixed_size: 0
    .kernarg_segment_align: 8
    .kernarg_segment_size: 184
    .language:       OpenCL C
    .language_version:
      - 2
      - 0
    .max_flat_workgroup_size: 256
    .name:           _ZN7rocprim17ROCPRIM_400000_NS6detail17trampoline_kernelINS0_13select_configILj256ELj13ELNS0_17block_load_methodE3ELS4_3ELS4_3ELNS0_20block_scan_algorithmE0ELj4294967295EEENS1_25partition_config_selectorILNS1_17partition_subalgoE4EjNS0_10empty_typeEbEEZZNS1_14partition_implILS8_4ELb0ES6_15HIP_vector_typeIjLj2EENS0_17counting_iteratorIjlEEPS9_SG_NS0_5tupleIJPjSI_NS0_16reverse_iteratorISI_EEEEENSH_IJSG_SG_SG_EEES9_SI_JZNS1_25segmented_radix_sort_implINS0_14default_configELb1EPKbPbPKlPlN2at6native12_GLOBAL__N_18offset_tEEE10hipError_tPvRmT1_PNSt15iterator_traitsIS12_E10value_typeET2_T3_PNS13_IS18_E10value_typeET4_jRbjT5_S1E_jjP12ihipStream_tbEUljE_ZNSN_ISO_Lb1ESQ_SR_ST_SU_SY_EESZ_S10_S11_S12_S16_S17_S18_S1B_S1C_jS1D_jS1E_S1E_jjS1G_bEUljE0_EEESZ_S10_S11_S18_S1C_S1E_T6_T7_T9_mT8_S1G_bDpT10_ENKUlT_T0_E_clISt17integral_constantIbLb0EES1T_IbLb1EEEEDaS1P_S1Q_EUlS1P_E_NS1_11comp_targetILNS1_3genE2ELNS1_11target_archE906ELNS1_3gpuE6ELNS1_3repE0EEENS1_30default_config_static_selectorELNS0_4arch9wavefront6targetE1EEEvS12_
    .private_segment_fixed_size: 0
    .sgpr_count:     4
    .sgpr_spill_count: 0
    .symbol:         _ZN7rocprim17ROCPRIM_400000_NS6detail17trampoline_kernelINS0_13select_configILj256ELj13ELNS0_17block_load_methodE3ELS4_3ELS4_3ELNS0_20block_scan_algorithmE0ELj4294967295EEENS1_25partition_config_selectorILNS1_17partition_subalgoE4EjNS0_10empty_typeEbEEZZNS1_14partition_implILS8_4ELb0ES6_15HIP_vector_typeIjLj2EENS0_17counting_iteratorIjlEEPS9_SG_NS0_5tupleIJPjSI_NS0_16reverse_iteratorISI_EEEEENSH_IJSG_SG_SG_EEES9_SI_JZNS1_25segmented_radix_sort_implINS0_14default_configELb1EPKbPbPKlPlN2at6native12_GLOBAL__N_18offset_tEEE10hipError_tPvRmT1_PNSt15iterator_traitsIS12_E10value_typeET2_T3_PNS13_IS18_E10value_typeET4_jRbjT5_S1E_jjP12ihipStream_tbEUljE_ZNSN_ISO_Lb1ESQ_SR_ST_SU_SY_EESZ_S10_S11_S12_S16_S17_S18_S1B_S1C_jS1D_jS1E_S1E_jjS1G_bEUljE0_EEESZ_S10_S11_S18_S1C_S1E_T6_T7_T9_mT8_S1G_bDpT10_ENKUlT_T0_E_clISt17integral_constantIbLb0EES1T_IbLb1EEEEDaS1P_S1Q_EUlS1P_E_NS1_11comp_targetILNS1_3genE2ELNS1_11target_archE906ELNS1_3gpuE6ELNS1_3repE0EEENS1_30default_config_static_selectorELNS0_4arch9wavefront6targetE1EEEvS12_.kd
    .uniform_work_group_size: 1
    .uses_dynamic_stack: false
    .vgpr_count:     0
    .vgpr_spill_count: 0
    .wavefront_size: 64
  - .agpr_count:     0
    .args:
      - .offset:         0
        .size:           184
        .value_kind:     by_value
    .group_segment_fixed_size: 0
    .kernarg_segment_align: 8
    .kernarg_segment_size: 184
    .language:       OpenCL C
    .language_version:
      - 2
      - 0
    .max_flat_workgroup_size: 256
    .name:           _ZN7rocprim17ROCPRIM_400000_NS6detail17trampoline_kernelINS0_13select_configILj256ELj13ELNS0_17block_load_methodE3ELS4_3ELS4_3ELNS0_20block_scan_algorithmE0ELj4294967295EEENS1_25partition_config_selectorILNS1_17partition_subalgoE4EjNS0_10empty_typeEbEEZZNS1_14partition_implILS8_4ELb0ES6_15HIP_vector_typeIjLj2EENS0_17counting_iteratorIjlEEPS9_SG_NS0_5tupleIJPjSI_NS0_16reverse_iteratorISI_EEEEENSH_IJSG_SG_SG_EEES9_SI_JZNS1_25segmented_radix_sort_implINS0_14default_configELb1EPKbPbPKlPlN2at6native12_GLOBAL__N_18offset_tEEE10hipError_tPvRmT1_PNSt15iterator_traitsIS12_E10value_typeET2_T3_PNS13_IS18_E10value_typeET4_jRbjT5_S1E_jjP12ihipStream_tbEUljE_ZNSN_ISO_Lb1ESQ_SR_ST_SU_SY_EESZ_S10_S11_S12_S16_S17_S18_S1B_S1C_jS1D_jS1E_S1E_jjS1G_bEUljE0_EEESZ_S10_S11_S18_S1C_S1E_T6_T7_T9_mT8_S1G_bDpT10_ENKUlT_T0_E_clISt17integral_constantIbLb0EES1T_IbLb1EEEEDaS1P_S1Q_EUlS1P_E_NS1_11comp_targetILNS1_3genE10ELNS1_11target_archE1200ELNS1_3gpuE4ELNS1_3repE0EEENS1_30default_config_static_selectorELNS0_4arch9wavefront6targetE1EEEvS12_
    .private_segment_fixed_size: 0
    .sgpr_count:     4
    .sgpr_spill_count: 0
    .symbol:         _ZN7rocprim17ROCPRIM_400000_NS6detail17trampoline_kernelINS0_13select_configILj256ELj13ELNS0_17block_load_methodE3ELS4_3ELS4_3ELNS0_20block_scan_algorithmE0ELj4294967295EEENS1_25partition_config_selectorILNS1_17partition_subalgoE4EjNS0_10empty_typeEbEEZZNS1_14partition_implILS8_4ELb0ES6_15HIP_vector_typeIjLj2EENS0_17counting_iteratorIjlEEPS9_SG_NS0_5tupleIJPjSI_NS0_16reverse_iteratorISI_EEEEENSH_IJSG_SG_SG_EEES9_SI_JZNS1_25segmented_radix_sort_implINS0_14default_configELb1EPKbPbPKlPlN2at6native12_GLOBAL__N_18offset_tEEE10hipError_tPvRmT1_PNSt15iterator_traitsIS12_E10value_typeET2_T3_PNS13_IS18_E10value_typeET4_jRbjT5_S1E_jjP12ihipStream_tbEUljE_ZNSN_ISO_Lb1ESQ_SR_ST_SU_SY_EESZ_S10_S11_S12_S16_S17_S18_S1B_S1C_jS1D_jS1E_S1E_jjS1G_bEUljE0_EEESZ_S10_S11_S18_S1C_S1E_T6_T7_T9_mT8_S1G_bDpT10_ENKUlT_T0_E_clISt17integral_constantIbLb0EES1T_IbLb1EEEEDaS1P_S1Q_EUlS1P_E_NS1_11comp_targetILNS1_3genE10ELNS1_11target_archE1200ELNS1_3gpuE4ELNS1_3repE0EEENS1_30default_config_static_selectorELNS0_4arch9wavefront6targetE1EEEvS12_.kd
    .uniform_work_group_size: 1
    .uses_dynamic_stack: false
    .vgpr_count:     0
    .vgpr_spill_count: 0
    .wavefront_size: 64
  - .agpr_count:     0
    .args:
      - .offset:         0
        .size:           184
        .value_kind:     by_value
    .group_segment_fixed_size: 0
    .kernarg_segment_align: 8
    .kernarg_segment_size: 184
    .language:       OpenCL C
    .language_version:
      - 2
      - 0
    .max_flat_workgroup_size: 256
    .name:           _ZN7rocprim17ROCPRIM_400000_NS6detail17trampoline_kernelINS0_13select_configILj256ELj13ELNS0_17block_load_methodE3ELS4_3ELS4_3ELNS0_20block_scan_algorithmE0ELj4294967295EEENS1_25partition_config_selectorILNS1_17partition_subalgoE4EjNS0_10empty_typeEbEEZZNS1_14partition_implILS8_4ELb0ES6_15HIP_vector_typeIjLj2EENS0_17counting_iteratorIjlEEPS9_SG_NS0_5tupleIJPjSI_NS0_16reverse_iteratorISI_EEEEENSH_IJSG_SG_SG_EEES9_SI_JZNS1_25segmented_radix_sort_implINS0_14default_configELb1EPKbPbPKlPlN2at6native12_GLOBAL__N_18offset_tEEE10hipError_tPvRmT1_PNSt15iterator_traitsIS12_E10value_typeET2_T3_PNS13_IS18_E10value_typeET4_jRbjT5_S1E_jjP12ihipStream_tbEUljE_ZNSN_ISO_Lb1ESQ_SR_ST_SU_SY_EESZ_S10_S11_S12_S16_S17_S18_S1B_S1C_jS1D_jS1E_S1E_jjS1G_bEUljE0_EEESZ_S10_S11_S18_S1C_S1E_T6_T7_T9_mT8_S1G_bDpT10_ENKUlT_T0_E_clISt17integral_constantIbLb0EES1T_IbLb1EEEEDaS1P_S1Q_EUlS1P_E_NS1_11comp_targetILNS1_3genE9ELNS1_11target_archE1100ELNS1_3gpuE3ELNS1_3repE0EEENS1_30default_config_static_selectorELNS0_4arch9wavefront6targetE1EEEvS12_
    .private_segment_fixed_size: 0
    .sgpr_count:     4
    .sgpr_spill_count: 0
    .symbol:         _ZN7rocprim17ROCPRIM_400000_NS6detail17trampoline_kernelINS0_13select_configILj256ELj13ELNS0_17block_load_methodE3ELS4_3ELS4_3ELNS0_20block_scan_algorithmE0ELj4294967295EEENS1_25partition_config_selectorILNS1_17partition_subalgoE4EjNS0_10empty_typeEbEEZZNS1_14partition_implILS8_4ELb0ES6_15HIP_vector_typeIjLj2EENS0_17counting_iteratorIjlEEPS9_SG_NS0_5tupleIJPjSI_NS0_16reverse_iteratorISI_EEEEENSH_IJSG_SG_SG_EEES9_SI_JZNS1_25segmented_radix_sort_implINS0_14default_configELb1EPKbPbPKlPlN2at6native12_GLOBAL__N_18offset_tEEE10hipError_tPvRmT1_PNSt15iterator_traitsIS12_E10value_typeET2_T3_PNS13_IS18_E10value_typeET4_jRbjT5_S1E_jjP12ihipStream_tbEUljE_ZNSN_ISO_Lb1ESQ_SR_ST_SU_SY_EESZ_S10_S11_S12_S16_S17_S18_S1B_S1C_jS1D_jS1E_S1E_jjS1G_bEUljE0_EEESZ_S10_S11_S18_S1C_S1E_T6_T7_T9_mT8_S1G_bDpT10_ENKUlT_T0_E_clISt17integral_constantIbLb0EES1T_IbLb1EEEEDaS1P_S1Q_EUlS1P_E_NS1_11comp_targetILNS1_3genE9ELNS1_11target_archE1100ELNS1_3gpuE3ELNS1_3repE0EEENS1_30default_config_static_selectorELNS0_4arch9wavefront6targetE1EEEvS12_.kd
    .uniform_work_group_size: 1
    .uses_dynamic_stack: false
    .vgpr_count:     0
    .vgpr_spill_count: 0
    .wavefront_size: 64
  - .agpr_count:     0
    .args:
      - .offset:         0
        .size:           184
        .value_kind:     by_value
    .group_segment_fixed_size: 0
    .kernarg_segment_align: 8
    .kernarg_segment_size: 184
    .language:       OpenCL C
    .language_version:
      - 2
      - 0
    .max_flat_workgroup_size: 256
    .name:           _ZN7rocprim17ROCPRIM_400000_NS6detail17trampoline_kernelINS0_13select_configILj256ELj13ELNS0_17block_load_methodE3ELS4_3ELS4_3ELNS0_20block_scan_algorithmE0ELj4294967295EEENS1_25partition_config_selectorILNS1_17partition_subalgoE4EjNS0_10empty_typeEbEEZZNS1_14partition_implILS8_4ELb0ES6_15HIP_vector_typeIjLj2EENS0_17counting_iteratorIjlEEPS9_SG_NS0_5tupleIJPjSI_NS0_16reverse_iteratorISI_EEEEENSH_IJSG_SG_SG_EEES9_SI_JZNS1_25segmented_radix_sort_implINS0_14default_configELb1EPKbPbPKlPlN2at6native12_GLOBAL__N_18offset_tEEE10hipError_tPvRmT1_PNSt15iterator_traitsIS12_E10value_typeET2_T3_PNS13_IS18_E10value_typeET4_jRbjT5_S1E_jjP12ihipStream_tbEUljE_ZNSN_ISO_Lb1ESQ_SR_ST_SU_SY_EESZ_S10_S11_S12_S16_S17_S18_S1B_S1C_jS1D_jS1E_S1E_jjS1G_bEUljE0_EEESZ_S10_S11_S18_S1C_S1E_T6_T7_T9_mT8_S1G_bDpT10_ENKUlT_T0_E_clISt17integral_constantIbLb0EES1T_IbLb1EEEEDaS1P_S1Q_EUlS1P_E_NS1_11comp_targetILNS1_3genE8ELNS1_11target_archE1030ELNS1_3gpuE2ELNS1_3repE0EEENS1_30default_config_static_selectorELNS0_4arch9wavefront6targetE1EEEvS12_
    .private_segment_fixed_size: 0
    .sgpr_count:     4
    .sgpr_spill_count: 0
    .symbol:         _ZN7rocprim17ROCPRIM_400000_NS6detail17trampoline_kernelINS0_13select_configILj256ELj13ELNS0_17block_load_methodE3ELS4_3ELS4_3ELNS0_20block_scan_algorithmE0ELj4294967295EEENS1_25partition_config_selectorILNS1_17partition_subalgoE4EjNS0_10empty_typeEbEEZZNS1_14partition_implILS8_4ELb0ES6_15HIP_vector_typeIjLj2EENS0_17counting_iteratorIjlEEPS9_SG_NS0_5tupleIJPjSI_NS0_16reverse_iteratorISI_EEEEENSH_IJSG_SG_SG_EEES9_SI_JZNS1_25segmented_radix_sort_implINS0_14default_configELb1EPKbPbPKlPlN2at6native12_GLOBAL__N_18offset_tEEE10hipError_tPvRmT1_PNSt15iterator_traitsIS12_E10value_typeET2_T3_PNS13_IS18_E10value_typeET4_jRbjT5_S1E_jjP12ihipStream_tbEUljE_ZNSN_ISO_Lb1ESQ_SR_ST_SU_SY_EESZ_S10_S11_S12_S16_S17_S18_S1B_S1C_jS1D_jS1E_S1E_jjS1G_bEUljE0_EEESZ_S10_S11_S18_S1C_S1E_T6_T7_T9_mT8_S1G_bDpT10_ENKUlT_T0_E_clISt17integral_constantIbLb0EES1T_IbLb1EEEEDaS1P_S1Q_EUlS1P_E_NS1_11comp_targetILNS1_3genE8ELNS1_11target_archE1030ELNS1_3gpuE2ELNS1_3repE0EEENS1_30default_config_static_selectorELNS0_4arch9wavefront6targetE1EEEvS12_.kd
    .uniform_work_group_size: 1
    .uses_dynamic_stack: false
    .vgpr_count:     0
    .vgpr_spill_count: 0
    .wavefront_size: 64
  - .agpr_count:     0
    .args:
      - .offset:         0
        .size:           144
        .value_kind:     by_value
    .group_segment_fixed_size: 0
    .kernarg_segment_align: 8
    .kernarg_segment_size: 144
    .language:       OpenCL C
    .language_version:
      - 2
      - 0
    .max_flat_workgroup_size: 256
    .name:           _ZN7rocprim17ROCPRIM_400000_NS6detail17trampoline_kernelINS0_13select_configILj256ELj13ELNS0_17block_load_methodE3ELS4_3ELS4_3ELNS0_20block_scan_algorithmE0ELj4294967295EEENS1_25partition_config_selectorILNS1_17partition_subalgoE3EjNS0_10empty_typeEbEEZZNS1_14partition_implILS8_3ELb0ES6_jNS0_17counting_iteratorIjlEEPS9_SE_NS0_5tupleIJPjSE_EEENSF_IJSE_SE_EEES9_SG_JZNS1_25segmented_radix_sort_implINS0_14default_configELb1EPKbPbPKlPlN2at6native12_GLOBAL__N_18offset_tEEE10hipError_tPvRmT1_PNSt15iterator_traitsISY_E10value_typeET2_T3_PNSZ_IS14_E10value_typeET4_jRbjT5_S1A_jjP12ihipStream_tbEUljE_EEESV_SW_SX_S14_S18_S1A_T6_T7_T9_mT8_S1C_bDpT10_ENKUlT_T0_E_clISt17integral_constantIbLb0EES1P_EEDaS1K_S1L_EUlS1K_E_NS1_11comp_targetILNS1_3genE0ELNS1_11target_archE4294967295ELNS1_3gpuE0ELNS1_3repE0EEENS1_30default_config_static_selectorELNS0_4arch9wavefront6targetE1EEEvSY_
    .private_segment_fixed_size: 0
    .sgpr_count:     4
    .sgpr_spill_count: 0
    .symbol:         _ZN7rocprim17ROCPRIM_400000_NS6detail17trampoline_kernelINS0_13select_configILj256ELj13ELNS0_17block_load_methodE3ELS4_3ELS4_3ELNS0_20block_scan_algorithmE0ELj4294967295EEENS1_25partition_config_selectorILNS1_17partition_subalgoE3EjNS0_10empty_typeEbEEZZNS1_14partition_implILS8_3ELb0ES6_jNS0_17counting_iteratorIjlEEPS9_SE_NS0_5tupleIJPjSE_EEENSF_IJSE_SE_EEES9_SG_JZNS1_25segmented_radix_sort_implINS0_14default_configELb1EPKbPbPKlPlN2at6native12_GLOBAL__N_18offset_tEEE10hipError_tPvRmT1_PNSt15iterator_traitsISY_E10value_typeET2_T3_PNSZ_IS14_E10value_typeET4_jRbjT5_S1A_jjP12ihipStream_tbEUljE_EEESV_SW_SX_S14_S18_S1A_T6_T7_T9_mT8_S1C_bDpT10_ENKUlT_T0_E_clISt17integral_constantIbLb0EES1P_EEDaS1K_S1L_EUlS1K_E_NS1_11comp_targetILNS1_3genE0ELNS1_11target_archE4294967295ELNS1_3gpuE0ELNS1_3repE0EEENS1_30default_config_static_selectorELNS0_4arch9wavefront6targetE1EEEvSY_.kd
    .uniform_work_group_size: 1
    .uses_dynamic_stack: false
    .vgpr_count:     0
    .vgpr_spill_count: 0
    .wavefront_size: 64
  - .agpr_count:     0
    .args:
      - .offset:         0
        .size:           144
        .value_kind:     by_value
    .group_segment_fixed_size: 0
    .kernarg_segment_align: 8
    .kernarg_segment_size: 144
    .language:       OpenCL C
    .language_version:
      - 2
      - 0
    .max_flat_workgroup_size: 256
    .name:           _ZN7rocprim17ROCPRIM_400000_NS6detail17trampoline_kernelINS0_13select_configILj256ELj13ELNS0_17block_load_methodE3ELS4_3ELS4_3ELNS0_20block_scan_algorithmE0ELj4294967295EEENS1_25partition_config_selectorILNS1_17partition_subalgoE3EjNS0_10empty_typeEbEEZZNS1_14partition_implILS8_3ELb0ES6_jNS0_17counting_iteratorIjlEEPS9_SE_NS0_5tupleIJPjSE_EEENSF_IJSE_SE_EEES9_SG_JZNS1_25segmented_radix_sort_implINS0_14default_configELb1EPKbPbPKlPlN2at6native12_GLOBAL__N_18offset_tEEE10hipError_tPvRmT1_PNSt15iterator_traitsISY_E10value_typeET2_T3_PNSZ_IS14_E10value_typeET4_jRbjT5_S1A_jjP12ihipStream_tbEUljE_EEESV_SW_SX_S14_S18_S1A_T6_T7_T9_mT8_S1C_bDpT10_ENKUlT_T0_E_clISt17integral_constantIbLb0EES1P_EEDaS1K_S1L_EUlS1K_E_NS1_11comp_targetILNS1_3genE5ELNS1_11target_archE942ELNS1_3gpuE9ELNS1_3repE0EEENS1_30default_config_static_selectorELNS0_4arch9wavefront6targetE1EEEvSY_
    .private_segment_fixed_size: 0
    .sgpr_count:     4
    .sgpr_spill_count: 0
    .symbol:         _ZN7rocprim17ROCPRIM_400000_NS6detail17trampoline_kernelINS0_13select_configILj256ELj13ELNS0_17block_load_methodE3ELS4_3ELS4_3ELNS0_20block_scan_algorithmE0ELj4294967295EEENS1_25partition_config_selectorILNS1_17partition_subalgoE3EjNS0_10empty_typeEbEEZZNS1_14partition_implILS8_3ELb0ES6_jNS0_17counting_iteratorIjlEEPS9_SE_NS0_5tupleIJPjSE_EEENSF_IJSE_SE_EEES9_SG_JZNS1_25segmented_radix_sort_implINS0_14default_configELb1EPKbPbPKlPlN2at6native12_GLOBAL__N_18offset_tEEE10hipError_tPvRmT1_PNSt15iterator_traitsISY_E10value_typeET2_T3_PNSZ_IS14_E10value_typeET4_jRbjT5_S1A_jjP12ihipStream_tbEUljE_EEESV_SW_SX_S14_S18_S1A_T6_T7_T9_mT8_S1C_bDpT10_ENKUlT_T0_E_clISt17integral_constantIbLb0EES1P_EEDaS1K_S1L_EUlS1K_E_NS1_11comp_targetILNS1_3genE5ELNS1_11target_archE942ELNS1_3gpuE9ELNS1_3repE0EEENS1_30default_config_static_selectorELNS0_4arch9wavefront6targetE1EEEvSY_.kd
    .uniform_work_group_size: 1
    .uses_dynamic_stack: false
    .vgpr_count:     0
    .vgpr_spill_count: 0
    .wavefront_size: 64
  - .agpr_count:     0
    .args:
      - .offset:         0
        .size:           144
        .value_kind:     by_value
    .group_segment_fixed_size: 13324
    .kernarg_segment_align: 8
    .kernarg_segment_size: 144
    .language:       OpenCL C
    .language_version:
      - 2
      - 0
    .max_flat_workgroup_size: 256
    .name:           _ZN7rocprim17ROCPRIM_400000_NS6detail17trampoline_kernelINS0_13select_configILj256ELj13ELNS0_17block_load_methodE3ELS4_3ELS4_3ELNS0_20block_scan_algorithmE0ELj4294967295EEENS1_25partition_config_selectorILNS1_17partition_subalgoE3EjNS0_10empty_typeEbEEZZNS1_14partition_implILS8_3ELb0ES6_jNS0_17counting_iteratorIjlEEPS9_SE_NS0_5tupleIJPjSE_EEENSF_IJSE_SE_EEES9_SG_JZNS1_25segmented_radix_sort_implINS0_14default_configELb1EPKbPbPKlPlN2at6native12_GLOBAL__N_18offset_tEEE10hipError_tPvRmT1_PNSt15iterator_traitsISY_E10value_typeET2_T3_PNSZ_IS14_E10value_typeET4_jRbjT5_S1A_jjP12ihipStream_tbEUljE_EEESV_SW_SX_S14_S18_S1A_T6_T7_T9_mT8_S1C_bDpT10_ENKUlT_T0_E_clISt17integral_constantIbLb0EES1P_EEDaS1K_S1L_EUlS1K_E_NS1_11comp_targetILNS1_3genE4ELNS1_11target_archE910ELNS1_3gpuE8ELNS1_3repE0EEENS1_30default_config_static_selectorELNS0_4arch9wavefront6targetE1EEEvSY_
    .private_segment_fixed_size: 0
    .sgpr_count:     50
    .sgpr_spill_count: 0
    .symbol:         _ZN7rocprim17ROCPRIM_400000_NS6detail17trampoline_kernelINS0_13select_configILj256ELj13ELNS0_17block_load_methodE3ELS4_3ELS4_3ELNS0_20block_scan_algorithmE0ELj4294967295EEENS1_25partition_config_selectorILNS1_17partition_subalgoE3EjNS0_10empty_typeEbEEZZNS1_14partition_implILS8_3ELb0ES6_jNS0_17counting_iteratorIjlEEPS9_SE_NS0_5tupleIJPjSE_EEENSF_IJSE_SE_EEES9_SG_JZNS1_25segmented_radix_sort_implINS0_14default_configELb1EPKbPbPKlPlN2at6native12_GLOBAL__N_18offset_tEEE10hipError_tPvRmT1_PNSt15iterator_traitsISY_E10value_typeET2_T3_PNSZ_IS14_E10value_typeET4_jRbjT5_S1A_jjP12ihipStream_tbEUljE_EEESV_SW_SX_S14_S18_S1A_T6_T7_T9_mT8_S1C_bDpT10_ENKUlT_T0_E_clISt17integral_constantIbLb0EES1P_EEDaS1K_S1L_EUlS1K_E_NS1_11comp_targetILNS1_3genE4ELNS1_11target_archE910ELNS1_3gpuE8ELNS1_3repE0EEENS1_30default_config_static_selectorELNS0_4arch9wavefront6targetE1EEEvSY_.kd
    .uniform_work_group_size: 1
    .uses_dynamic_stack: false
    .vgpr_count:     61
    .vgpr_spill_count: 0
    .wavefront_size: 64
  - .agpr_count:     0
    .args:
      - .offset:         0
        .size:           144
        .value_kind:     by_value
    .group_segment_fixed_size: 0
    .kernarg_segment_align: 8
    .kernarg_segment_size: 144
    .language:       OpenCL C
    .language_version:
      - 2
      - 0
    .max_flat_workgroup_size: 256
    .name:           _ZN7rocprim17ROCPRIM_400000_NS6detail17trampoline_kernelINS0_13select_configILj256ELj13ELNS0_17block_load_methodE3ELS4_3ELS4_3ELNS0_20block_scan_algorithmE0ELj4294967295EEENS1_25partition_config_selectorILNS1_17partition_subalgoE3EjNS0_10empty_typeEbEEZZNS1_14partition_implILS8_3ELb0ES6_jNS0_17counting_iteratorIjlEEPS9_SE_NS0_5tupleIJPjSE_EEENSF_IJSE_SE_EEES9_SG_JZNS1_25segmented_radix_sort_implINS0_14default_configELb1EPKbPbPKlPlN2at6native12_GLOBAL__N_18offset_tEEE10hipError_tPvRmT1_PNSt15iterator_traitsISY_E10value_typeET2_T3_PNSZ_IS14_E10value_typeET4_jRbjT5_S1A_jjP12ihipStream_tbEUljE_EEESV_SW_SX_S14_S18_S1A_T6_T7_T9_mT8_S1C_bDpT10_ENKUlT_T0_E_clISt17integral_constantIbLb0EES1P_EEDaS1K_S1L_EUlS1K_E_NS1_11comp_targetILNS1_3genE3ELNS1_11target_archE908ELNS1_3gpuE7ELNS1_3repE0EEENS1_30default_config_static_selectorELNS0_4arch9wavefront6targetE1EEEvSY_
    .private_segment_fixed_size: 0
    .sgpr_count:     4
    .sgpr_spill_count: 0
    .symbol:         _ZN7rocprim17ROCPRIM_400000_NS6detail17trampoline_kernelINS0_13select_configILj256ELj13ELNS0_17block_load_methodE3ELS4_3ELS4_3ELNS0_20block_scan_algorithmE0ELj4294967295EEENS1_25partition_config_selectorILNS1_17partition_subalgoE3EjNS0_10empty_typeEbEEZZNS1_14partition_implILS8_3ELb0ES6_jNS0_17counting_iteratorIjlEEPS9_SE_NS0_5tupleIJPjSE_EEENSF_IJSE_SE_EEES9_SG_JZNS1_25segmented_radix_sort_implINS0_14default_configELb1EPKbPbPKlPlN2at6native12_GLOBAL__N_18offset_tEEE10hipError_tPvRmT1_PNSt15iterator_traitsISY_E10value_typeET2_T3_PNSZ_IS14_E10value_typeET4_jRbjT5_S1A_jjP12ihipStream_tbEUljE_EEESV_SW_SX_S14_S18_S1A_T6_T7_T9_mT8_S1C_bDpT10_ENKUlT_T0_E_clISt17integral_constantIbLb0EES1P_EEDaS1K_S1L_EUlS1K_E_NS1_11comp_targetILNS1_3genE3ELNS1_11target_archE908ELNS1_3gpuE7ELNS1_3repE0EEENS1_30default_config_static_selectorELNS0_4arch9wavefront6targetE1EEEvSY_.kd
    .uniform_work_group_size: 1
    .uses_dynamic_stack: false
    .vgpr_count:     0
    .vgpr_spill_count: 0
    .wavefront_size: 64
  - .agpr_count:     0
    .args:
      - .offset:         0
        .size:           144
        .value_kind:     by_value
    .group_segment_fixed_size: 0
    .kernarg_segment_align: 8
    .kernarg_segment_size: 144
    .language:       OpenCL C
    .language_version:
      - 2
      - 0
    .max_flat_workgroup_size: 256
    .name:           _ZN7rocprim17ROCPRIM_400000_NS6detail17trampoline_kernelINS0_13select_configILj256ELj13ELNS0_17block_load_methodE3ELS4_3ELS4_3ELNS0_20block_scan_algorithmE0ELj4294967295EEENS1_25partition_config_selectorILNS1_17partition_subalgoE3EjNS0_10empty_typeEbEEZZNS1_14partition_implILS8_3ELb0ES6_jNS0_17counting_iteratorIjlEEPS9_SE_NS0_5tupleIJPjSE_EEENSF_IJSE_SE_EEES9_SG_JZNS1_25segmented_radix_sort_implINS0_14default_configELb1EPKbPbPKlPlN2at6native12_GLOBAL__N_18offset_tEEE10hipError_tPvRmT1_PNSt15iterator_traitsISY_E10value_typeET2_T3_PNSZ_IS14_E10value_typeET4_jRbjT5_S1A_jjP12ihipStream_tbEUljE_EEESV_SW_SX_S14_S18_S1A_T6_T7_T9_mT8_S1C_bDpT10_ENKUlT_T0_E_clISt17integral_constantIbLb0EES1P_EEDaS1K_S1L_EUlS1K_E_NS1_11comp_targetILNS1_3genE2ELNS1_11target_archE906ELNS1_3gpuE6ELNS1_3repE0EEENS1_30default_config_static_selectorELNS0_4arch9wavefront6targetE1EEEvSY_
    .private_segment_fixed_size: 0
    .sgpr_count:     4
    .sgpr_spill_count: 0
    .symbol:         _ZN7rocprim17ROCPRIM_400000_NS6detail17trampoline_kernelINS0_13select_configILj256ELj13ELNS0_17block_load_methodE3ELS4_3ELS4_3ELNS0_20block_scan_algorithmE0ELj4294967295EEENS1_25partition_config_selectorILNS1_17partition_subalgoE3EjNS0_10empty_typeEbEEZZNS1_14partition_implILS8_3ELb0ES6_jNS0_17counting_iteratorIjlEEPS9_SE_NS0_5tupleIJPjSE_EEENSF_IJSE_SE_EEES9_SG_JZNS1_25segmented_radix_sort_implINS0_14default_configELb1EPKbPbPKlPlN2at6native12_GLOBAL__N_18offset_tEEE10hipError_tPvRmT1_PNSt15iterator_traitsISY_E10value_typeET2_T3_PNSZ_IS14_E10value_typeET4_jRbjT5_S1A_jjP12ihipStream_tbEUljE_EEESV_SW_SX_S14_S18_S1A_T6_T7_T9_mT8_S1C_bDpT10_ENKUlT_T0_E_clISt17integral_constantIbLb0EES1P_EEDaS1K_S1L_EUlS1K_E_NS1_11comp_targetILNS1_3genE2ELNS1_11target_archE906ELNS1_3gpuE6ELNS1_3repE0EEENS1_30default_config_static_selectorELNS0_4arch9wavefront6targetE1EEEvSY_.kd
    .uniform_work_group_size: 1
    .uses_dynamic_stack: false
    .vgpr_count:     0
    .vgpr_spill_count: 0
    .wavefront_size: 64
  - .agpr_count:     0
    .args:
      - .offset:         0
        .size:           144
        .value_kind:     by_value
    .group_segment_fixed_size: 0
    .kernarg_segment_align: 8
    .kernarg_segment_size: 144
    .language:       OpenCL C
    .language_version:
      - 2
      - 0
    .max_flat_workgroup_size: 256
    .name:           _ZN7rocprim17ROCPRIM_400000_NS6detail17trampoline_kernelINS0_13select_configILj256ELj13ELNS0_17block_load_methodE3ELS4_3ELS4_3ELNS0_20block_scan_algorithmE0ELj4294967295EEENS1_25partition_config_selectorILNS1_17partition_subalgoE3EjNS0_10empty_typeEbEEZZNS1_14partition_implILS8_3ELb0ES6_jNS0_17counting_iteratorIjlEEPS9_SE_NS0_5tupleIJPjSE_EEENSF_IJSE_SE_EEES9_SG_JZNS1_25segmented_radix_sort_implINS0_14default_configELb1EPKbPbPKlPlN2at6native12_GLOBAL__N_18offset_tEEE10hipError_tPvRmT1_PNSt15iterator_traitsISY_E10value_typeET2_T3_PNSZ_IS14_E10value_typeET4_jRbjT5_S1A_jjP12ihipStream_tbEUljE_EEESV_SW_SX_S14_S18_S1A_T6_T7_T9_mT8_S1C_bDpT10_ENKUlT_T0_E_clISt17integral_constantIbLb0EES1P_EEDaS1K_S1L_EUlS1K_E_NS1_11comp_targetILNS1_3genE10ELNS1_11target_archE1200ELNS1_3gpuE4ELNS1_3repE0EEENS1_30default_config_static_selectorELNS0_4arch9wavefront6targetE1EEEvSY_
    .private_segment_fixed_size: 0
    .sgpr_count:     4
    .sgpr_spill_count: 0
    .symbol:         _ZN7rocprim17ROCPRIM_400000_NS6detail17trampoline_kernelINS0_13select_configILj256ELj13ELNS0_17block_load_methodE3ELS4_3ELS4_3ELNS0_20block_scan_algorithmE0ELj4294967295EEENS1_25partition_config_selectorILNS1_17partition_subalgoE3EjNS0_10empty_typeEbEEZZNS1_14partition_implILS8_3ELb0ES6_jNS0_17counting_iteratorIjlEEPS9_SE_NS0_5tupleIJPjSE_EEENSF_IJSE_SE_EEES9_SG_JZNS1_25segmented_radix_sort_implINS0_14default_configELb1EPKbPbPKlPlN2at6native12_GLOBAL__N_18offset_tEEE10hipError_tPvRmT1_PNSt15iterator_traitsISY_E10value_typeET2_T3_PNSZ_IS14_E10value_typeET4_jRbjT5_S1A_jjP12ihipStream_tbEUljE_EEESV_SW_SX_S14_S18_S1A_T6_T7_T9_mT8_S1C_bDpT10_ENKUlT_T0_E_clISt17integral_constantIbLb0EES1P_EEDaS1K_S1L_EUlS1K_E_NS1_11comp_targetILNS1_3genE10ELNS1_11target_archE1200ELNS1_3gpuE4ELNS1_3repE0EEENS1_30default_config_static_selectorELNS0_4arch9wavefront6targetE1EEEvSY_.kd
    .uniform_work_group_size: 1
    .uses_dynamic_stack: false
    .vgpr_count:     0
    .vgpr_spill_count: 0
    .wavefront_size: 64
  - .agpr_count:     0
    .args:
      - .offset:         0
        .size:           144
        .value_kind:     by_value
    .group_segment_fixed_size: 0
    .kernarg_segment_align: 8
    .kernarg_segment_size: 144
    .language:       OpenCL C
    .language_version:
      - 2
      - 0
    .max_flat_workgroup_size: 256
    .name:           _ZN7rocprim17ROCPRIM_400000_NS6detail17trampoline_kernelINS0_13select_configILj256ELj13ELNS0_17block_load_methodE3ELS4_3ELS4_3ELNS0_20block_scan_algorithmE0ELj4294967295EEENS1_25partition_config_selectorILNS1_17partition_subalgoE3EjNS0_10empty_typeEbEEZZNS1_14partition_implILS8_3ELb0ES6_jNS0_17counting_iteratorIjlEEPS9_SE_NS0_5tupleIJPjSE_EEENSF_IJSE_SE_EEES9_SG_JZNS1_25segmented_radix_sort_implINS0_14default_configELb1EPKbPbPKlPlN2at6native12_GLOBAL__N_18offset_tEEE10hipError_tPvRmT1_PNSt15iterator_traitsISY_E10value_typeET2_T3_PNSZ_IS14_E10value_typeET4_jRbjT5_S1A_jjP12ihipStream_tbEUljE_EEESV_SW_SX_S14_S18_S1A_T6_T7_T9_mT8_S1C_bDpT10_ENKUlT_T0_E_clISt17integral_constantIbLb0EES1P_EEDaS1K_S1L_EUlS1K_E_NS1_11comp_targetILNS1_3genE9ELNS1_11target_archE1100ELNS1_3gpuE3ELNS1_3repE0EEENS1_30default_config_static_selectorELNS0_4arch9wavefront6targetE1EEEvSY_
    .private_segment_fixed_size: 0
    .sgpr_count:     4
    .sgpr_spill_count: 0
    .symbol:         _ZN7rocprim17ROCPRIM_400000_NS6detail17trampoline_kernelINS0_13select_configILj256ELj13ELNS0_17block_load_methodE3ELS4_3ELS4_3ELNS0_20block_scan_algorithmE0ELj4294967295EEENS1_25partition_config_selectorILNS1_17partition_subalgoE3EjNS0_10empty_typeEbEEZZNS1_14partition_implILS8_3ELb0ES6_jNS0_17counting_iteratorIjlEEPS9_SE_NS0_5tupleIJPjSE_EEENSF_IJSE_SE_EEES9_SG_JZNS1_25segmented_radix_sort_implINS0_14default_configELb1EPKbPbPKlPlN2at6native12_GLOBAL__N_18offset_tEEE10hipError_tPvRmT1_PNSt15iterator_traitsISY_E10value_typeET2_T3_PNSZ_IS14_E10value_typeET4_jRbjT5_S1A_jjP12ihipStream_tbEUljE_EEESV_SW_SX_S14_S18_S1A_T6_T7_T9_mT8_S1C_bDpT10_ENKUlT_T0_E_clISt17integral_constantIbLb0EES1P_EEDaS1K_S1L_EUlS1K_E_NS1_11comp_targetILNS1_3genE9ELNS1_11target_archE1100ELNS1_3gpuE3ELNS1_3repE0EEENS1_30default_config_static_selectorELNS0_4arch9wavefront6targetE1EEEvSY_.kd
    .uniform_work_group_size: 1
    .uses_dynamic_stack: false
    .vgpr_count:     0
    .vgpr_spill_count: 0
    .wavefront_size: 64
  - .agpr_count:     0
    .args:
      - .offset:         0
        .size:           144
        .value_kind:     by_value
    .group_segment_fixed_size: 0
    .kernarg_segment_align: 8
    .kernarg_segment_size: 144
    .language:       OpenCL C
    .language_version:
      - 2
      - 0
    .max_flat_workgroup_size: 256
    .name:           _ZN7rocprim17ROCPRIM_400000_NS6detail17trampoline_kernelINS0_13select_configILj256ELj13ELNS0_17block_load_methodE3ELS4_3ELS4_3ELNS0_20block_scan_algorithmE0ELj4294967295EEENS1_25partition_config_selectorILNS1_17partition_subalgoE3EjNS0_10empty_typeEbEEZZNS1_14partition_implILS8_3ELb0ES6_jNS0_17counting_iteratorIjlEEPS9_SE_NS0_5tupleIJPjSE_EEENSF_IJSE_SE_EEES9_SG_JZNS1_25segmented_radix_sort_implINS0_14default_configELb1EPKbPbPKlPlN2at6native12_GLOBAL__N_18offset_tEEE10hipError_tPvRmT1_PNSt15iterator_traitsISY_E10value_typeET2_T3_PNSZ_IS14_E10value_typeET4_jRbjT5_S1A_jjP12ihipStream_tbEUljE_EEESV_SW_SX_S14_S18_S1A_T6_T7_T9_mT8_S1C_bDpT10_ENKUlT_T0_E_clISt17integral_constantIbLb0EES1P_EEDaS1K_S1L_EUlS1K_E_NS1_11comp_targetILNS1_3genE8ELNS1_11target_archE1030ELNS1_3gpuE2ELNS1_3repE0EEENS1_30default_config_static_selectorELNS0_4arch9wavefront6targetE1EEEvSY_
    .private_segment_fixed_size: 0
    .sgpr_count:     4
    .sgpr_spill_count: 0
    .symbol:         _ZN7rocprim17ROCPRIM_400000_NS6detail17trampoline_kernelINS0_13select_configILj256ELj13ELNS0_17block_load_methodE3ELS4_3ELS4_3ELNS0_20block_scan_algorithmE0ELj4294967295EEENS1_25partition_config_selectorILNS1_17partition_subalgoE3EjNS0_10empty_typeEbEEZZNS1_14partition_implILS8_3ELb0ES6_jNS0_17counting_iteratorIjlEEPS9_SE_NS0_5tupleIJPjSE_EEENSF_IJSE_SE_EEES9_SG_JZNS1_25segmented_radix_sort_implINS0_14default_configELb1EPKbPbPKlPlN2at6native12_GLOBAL__N_18offset_tEEE10hipError_tPvRmT1_PNSt15iterator_traitsISY_E10value_typeET2_T3_PNSZ_IS14_E10value_typeET4_jRbjT5_S1A_jjP12ihipStream_tbEUljE_EEESV_SW_SX_S14_S18_S1A_T6_T7_T9_mT8_S1C_bDpT10_ENKUlT_T0_E_clISt17integral_constantIbLb0EES1P_EEDaS1K_S1L_EUlS1K_E_NS1_11comp_targetILNS1_3genE8ELNS1_11target_archE1030ELNS1_3gpuE2ELNS1_3repE0EEENS1_30default_config_static_selectorELNS0_4arch9wavefront6targetE1EEEvSY_.kd
    .uniform_work_group_size: 1
    .uses_dynamic_stack: false
    .vgpr_count:     0
    .vgpr_spill_count: 0
    .wavefront_size: 64
  - .agpr_count:     0
    .args:
      - .offset:         0
        .size:           152
        .value_kind:     by_value
    .group_segment_fixed_size: 0
    .kernarg_segment_align: 8
    .kernarg_segment_size: 152
    .language:       OpenCL C
    .language_version:
      - 2
      - 0
    .max_flat_workgroup_size: 256
    .name:           _ZN7rocprim17ROCPRIM_400000_NS6detail17trampoline_kernelINS0_13select_configILj256ELj13ELNS0_17block_load_methodE3ELS4_3ELS4_3ELNS0_20block_scan_algorithmE0ELj4294967295EEENS1_25partition_config_selectorILNS1_17partition_subalgoE3EjNS0_10empty_typeEbEEZZNS1_14partition_implILS8_3ELb0ES6_jNS0_17counting_iteratorIjlEEPS9_SE_NS0_5tupleIJPjSE_EEENSF_IJSE_SE_EEES9_SG_JZNS1_25segmented_radix_sort_implINS0_14default_configELb1EPKbPbPKlPlN2at6native12_GLOBAL__N_18offset_tEEE10hipError_tPvRmT1_PNSt15iterator_traitsISY_E10value_typeET2_T3_PNSZ_IS14_E10value_typeET4_jRbjT5_S1A_jjP12ihipStream_tbEUljE_EEESV_SW_SX_S14_S18_S1A_T6_T7_T9_mT8_S1C_bDpT10_ENKUlT_T0_E_clISt17integral_constantIbLb1EES1P_EEDaS1K_S1L_EUlS1K_E_NS1_11comp_targetILNS1_3genE0ELNS1_11target_archE4294967295ELNS1_3gpuE0ELNS1_3repE0EEENS1_30default_config_static_selectorELNS0_4arch9wavefront6targetE1EEEvSY_
    .private_segment_fixed_size: 0
    .sgpr_count:     4
    .sgpr_spill_count: 0
    .symbol:         _ZN7rocprim17ROCPRIM_400000_NS6detail17trampoline_kernelINS0_13select_configILj256ELj13ELNS0_17block_load_methodE3ELS4_3ELS4_3ELNS0_20block_scan_algorithmE0ELj4294967295EEENS1_25partition_config_selectorILNS1_17partition_subalgoE3EjNS0_10empty_typeEbEEZZNS1_14partition_implILS8_3ELb0ES6_jNS0_17counting_iteratorIjlEEPS9_SE_NS0_5tupleIJPjSE_EEENSF_IJSE_SE_EEES9_SG_JZNS1_25segmented_radix_sort_implINS0_14default_configELb1EPKbPbPKlPlN2at6native12_GLOBAL__N_18offset_tEEE10hipError_tPvRmT1_PNSt15iterator_traitsISY_E10value_typeET2_T3_PNSZ_IS14_E10value_typeET4_jRbjT5_S1A_jjP12ihipStream_tbEUljE_EEESV_SW_SX_S14_S18_S1A_T6_T7_T9_mT8_S1C_bDpT10_ENKUlT_T0_E_clISt17integral_constantIbLb1EES1P_EEDaS1K_S1L_EUlS1K_E_NS1_11comp_targetILNS1_3genE0ELNS1_11target_archE4294967295ELNS1_3gpuE0ELNS1_3repE0EEENS1_30default_config_static_selectorELNS0_4arch9wavefront6targetE1EEEvSY_.kd
    .uniform_work_group_size: 1
    .uses_dynamic_stack: false
    .vgpr_count:     0
    .vgpr_spill_count: 0
    .wavefront_size: 64
  - .agpr_count:     0
    .args:
      - .offset:         0
        .size:           152
        .value_kind:     by_value
    .group_segment_fixed_size: 0
    .kernarg_segment_align: 8
    .kernarg_segment_size: 152
    .language:       OpenCL C
    .language_version:
      - 2
      - 0
    .max_flat_workgroup_size: 256
    .name:           _ZN7rocprim17ROCPRIM_400000_NS6detail17trampoline_kernelINS0_13select_configILj256ELj13ELNS0_17block_load_methodE3ELS4_3ELS4_3ELNS0_20block_scan_algorithmE0ELj4294967295EEENS1_25partition_config_selectorILNS1_17partition_subalgoE3EjNS0_10empty_typeEbEEZZNS1_14partition_implILS8_3ELb0ES6_jNS0_17counting_iteratorIjlEEPS9_SE_NS0_5tupleIJPjSE_EEENSF_IJSE_SE_EEES9_SG_JZNS1_25segmented_radix_sort_implINS0_14default_configELb1EPKbPbPKlPlN2at6native12_GLOBAL__N_18offset_tEEE10hipError_tPvRmT1_PNSt15iterator_traitsISY_E10value_typeET2_T3_PNSZ_IS14_E10value_typeET4_jRbjT5_S1A_jjP12ihipStream_tbEUljE_EEESV_SW_SX_S14_S18_S1A_T6_T7_T9_mT8_S1C_bDpT10_ENKUlT_T0_E_clISt17integral_constantIbLb1EES1P_EEDaS1K_S1L_EUlS1K_E_NS1_11comp_targetILNS1_3genE5ELNS1_11target_archE942ELNS1_3gpuE9ELNS1_3repE0EEENS1_30default_config_static_selectorELNS0_4arch9wavefront6targetE1EEEvSY_
    .private_segment_fixed_size: 0
    .sgpr_count:     4
    .sgpr_spill_count: 0
    .symbol:         _ZN7rocprim17ROCPRIM_400000_NS6detail17trampoline_kernelINS0_13select_configILj256ELj13ELNS0_17block_load_methodE3ELS4_3ELS4_3ELNS0_20block_scan_algorithmE0ELj4294967295EEENS1_25partition_config_selectorILNS1_17partition_subalgoE3EjNS0_10empty_typeEbEEZZNS1_14partition_implILS8_3ELb0ES6_jNS0_17counting_iteratorIjlEEPS9_SE_NS0_5tupleIJPjSE_EEENSF_IJSE_SE_EEES9_SG_JZNS1_25segmented_radix_sort_implINS0_14default_configELb1EPKbPbPKlPlN2at6native12_GLOBAL__N_18offset_tEEE10hipError_tPvRmT1_PNSt15iterator_traitsISY_E10value_typeET2_T3_PNSZ_IS14_E10value_typeET4_jRbjT5_S1A_jjP12ihipStream_tbEUljE_EEESV_SW_SX_S14_S18_S1A_T6_T7_T9_mT8_S1C_bDpT10_ENKUlT_T0_E_clISt17integral_constantIbLb1EES1P_EEDaS1K_S1L_EUlS1K_E_NS1_11comp_targetILNS1_3genE5ELNS1_11target_archE942ELNS1_3gpuE9ELNS1_3repE0EEENS1_30default_config_static_selectorELNS0_4arch9wavefront6targetE1EEEvSY_.kd
    .uniform_work_group_size: 1
    .uses_dynamic_stack: false
    .vgpr_count:     0
    .vgpr_spill_count: 0
    .wavefront_size: 64
  - .agpr_count:     0
    .args:
      - .offset:         0
        .size:           152
        .value_kind:     by_value
    .group_segment_fixed_size: 13324
    .kernarg_segment_align: 8
    .kernarg_segment_size: 152
    .language:       OpenCL C
    .language_version:
      - 2
      - 0
    .max_flat_workgroup_size: 256
    .name:           _ZN7rocprim17ROCPRIM_400000_NS6detail17trampoline_kernelINS0_13select_configILj256ELj13ELNS0_17block_load_methodE3ELS4_3ELS4_3ELNS0_20block_scan_algorithmE0ELj4294967295EEENS1_25partition_config_selectorILNS1_17partition_subalgoE3EjNS0_10empty_typeEbEEZZNS1_14partition_implILS8_3ELb0ES6_jNS0_17counting_iteratorIjlEEPS9_SE_NS0_5tupleIJPjSE_EEENSF_IJSE_SE_EEES9_SG_JZNS1_25segmented_radix_sort_implINS0_14default_configELb1EPKbPbPKlPlN2at6native12_GLOBAL__N_18offset_tEEE10hipError_tPvRmT1_PNSt15iterator_traitsISY_E10value_typeET2_T3_PNSZ_IS14_E10value_typeET4_jRbjT5_S1A_jjP12ihipStream_tbEUljE_EEESV_SW_SX_S14_S18_S1A_T6_T7_T9_mT8_S1C_bDpT10_ENKUlT_T0_E_clISt17integral_constantIbLb1EES1P_EEDaS1K_S1L_EUlS1K_E_NS1_11comp_targetILNS1_3genE4ELNS1_11target_archE910ELNS1_3gpuE8ELNS1_3repE0EEENS1_30default_config_static_selectorELNS0_4arch9wavefront6targetE1EEEvSY_
    .private_segment_fixed_size: 0
    .sgpr_count:     48
    .sgpr_spill_count: 0
    .symbol:         _ZN7rocprim17ROCPRIM_400000_NS6detail17trampoline_kernelINS0_13select_configILj256ELj13ELNS0_17block_load_methodE3ELS4_3ELS4_3ELNS0_20block_scan_algorithmE0ELj4294967295EEENS1_25partition_config_selectorILNS1_17partition_subalgoE3EjNS0_10empty_typeEbEEZZNS1_14partition_implILS8_3ELb0ES6_jNS0_17counting_iteratorIjlEEPS9_SE_NS0_5tupleIJPjSE_EEENSF_IJSE_SE_EEES9_SG_JZNS1_25segmented_radix_sort_implINS0_14default_configELb1EPKbPbPKlPlN2at6native12_GLOBAL__N_18offset_tEEE10hipError_tPvRmT1_PNSt15iterator_traitsISY_E10value_typeET2_T3_PNSZ_IS14_E10value_typeET4_jRbjT5_S1A_jjP12ihipStream_tbEUljE_EEESV_SW_SX_S14_S18_S1A_T6_T7_T9_mT8_S1C_bDpT10_ENKUlT_T0_E_clISt17integral_constantIbLb1EES1P_EEDaS1K_S1L_EUlS1K_E_NS1_11comp_targetILNS1_3genE4ELNS1_11target_archE910ELNS1_3gpuE8ELNS1_3repE0EEENS1_30default_config_static_selectorELNS0_4arch9wavefront6targetE1EEEvSY_.kd
    .uniform_work_group_size: 1
    .uses_dynamic_stack: false
    .vgpr_count:     64
    .vgpr_spill_count: 0
    .wavefront_size: 64
  - .agpr_count:     0
    .args:
      - .offset:         0
        .size:           152
        .value_kind:     by_value
    .group_segment_fixed_size: 0
    .kernarg_segment_align: 8
    .kernarg_segment_size: 152
    .language:       OpenCL C
    .language_version:
      - 2
      - 0
    .max_flat_workgroup_size: 256
    .name:           _ZN7rocprim17ROCPRIM_400000_NS6detail17trampoline_kernelINS0_13select_configILj256ELj13ELNS0_17block_load_methodE3ELS4_3ELS4_3ELNS0_20block_scan_algorithmE0ELj4294967295EEENS1_25partition_config_selectorILNS1_17partition_subalgoE3EjNS0_10empty_typeEbEEZZNS1_14partition_implILS8_3ELb0ES6_jNS0_17counting_iteratorIjlEEPS9_SE_NS0_5tupleIJPjSE_EEENSF_IJSE_SE_EEES9_SG_JZNS1_25segmented_radix_sort_implINS0_14default_configELb1EPKbPbPKlPlN2at6native12_GLOBAL__N_18offset_tEEE10hipError_tPvRmT1_PNSt15iterator_traitsISY_E10value_typeET2_T3_PNSZ_IS14_E10value_typeET4_jRbjT5_S1A_jjP12ihipStream_tbEUljE_EEESV_SW_SX_S14_S18_S1A_T6_T7_T9_mT8_S1C_bDpT10_ENKUlT_T0_E_clISt17integral_constantIbLb1EES1P_EEDaS1K_S1L_EUlS1K_E_NS1_11comp_targetILNS1_3genE3ELNS1_11target_archE908ELNS1_3gpuE7ELNS1_3repE0EEENS1_30default_config_static_selectorELNS0_4arch9wavefront6targetE1EEEvSY_
    .private_segment_fixed_size: 0
    .sgpr_count:     4
    .sgpr_spill_count: 0
    .symbol:         _ZN7rocprim17ROCPRIM_400000_NS6detail17trampoline_kernelINS0_13select_configILj256ELj13ELNS0_17block_load_methodE3ELS4_3ELS4_3ELNS0_20block_scan_algorithmE0ELj4294967295EEENS1_25partition_config_selectorILNS1_17partition_subalgoE3EjNS0_10empty_typeEbEEZZNS1_14partition_implILS8_3ELb0ES6_jNS0_17counting_iteratorIjlEEPS9_SE_NS0_5tupleIJPjSE_EEENSF_IJSE_SE_EEES9_SG_JZNS1_25segmented_radix_sort_implINS0_14default_configELb1EPKbPbPKlPlN2at6native12_GLOBAL__N_18offset_tEEE10hipError_tPvRmT1_PNSt15iterator_traitsISY_E10value_typeET2_T3_PNSZ_IS14_E10value_typeET4_jRbjT5_S1A_jjP12ihipStream_tbEUljE_EEESV_SW_SX_S14_S18_S1A_T6_T7_T9_mT8_S1C_bDpT10_ENKUlT_T0_E_clISt17integral_constantIbLb1EES1P_EEDaS1K_S1L_EUlS1K_E_NS1_11comp_targetILNS1_3genE3ELNS1_11target_archE908ELNS1_3gpuE7ELNS1_3repE0EEENS1_30default_config_static_selectorELNS0_4arch9wavefront6targetE1EEEvSY_.kd
    .uniform_work_group_size: 1
    .uses_dynamic_stack: false
    .vgpr_count:     0
    .vgpr_spill_count: 0
    .wavefront_size: 64
  - .agpr_count:     0
    .args:
      - .offset:         0
        .size:           152
        .value_kind:     by_value
    .group_segment_fixed_size: 0
    .kernarg_segment_align: 8
    .kernarg_segment_size: 152
    .language:       OpenCL C
    .language_version:
      - 2
      - 0
    .max_flat_workgroup_size: 256
    .name:           _ZN7rocprim17ROCPRIM_400000_NS6detail17trampoline_kernelINS0_13select_configILj256ELj13ELNS0_17block_load_methodE3ELS4_3ELS4_3ELNS0_20block_scan_algorithmE0ELj4294967295EEENS1_25partition_config_selectorILNS1_17partition_subalgoE3EjNS0_10empty_typeEbEEZZNS1_14partition_implILS8_3ELb0ES6_jNS0_17counting_iteratorIjlEEPS9_SE_NS0_5tupleIJPjSE_EEENSF_IJSE_SE_EEES9_SG_JZNS1_25segmented_radix_sort_implINS0_14default_configELb1EPKbPbPKlPlN2at6native12_GLOBAL__N_18offset_tEEE10hipError_tPvRmT1_PNSt15iterator_traitsISY_E10value_typeET2_T3_PNSZ_IS14_E10value_typeET4_jRbjT5_S1A_jjP12ihipStream_tbEUljE_EEESV_SW_SX_S14_S18_S1A_T6_T7_T9_mT8_S1C_bDpT10_ENKUlT_T0_E_clISt17integral_constantIbLb1EES1P_EEDaS1K_S1L_EUlS1K_E_NS1_11comp_targetILNS1_3genE2ELNS1_11target_archE906ELNS1_3gpuE6ELNS1_3repE0EEENS1_30default_config_static_selectorELNS0_4arch9wavefront6targetE1EEEvSY_
    .private_segment_fixed_size: 0
    .sgpr_count:     4
    .sgpr_spill_count: 0
    .symbol:         _ZN7rocprim17ROCPRIM_400000_NS6detail17trampoline_kernelINS0_13select_configILj256ELj13ELNS0_17block_load_methodE3ELS4_3ELS4_3ELNS0_20block_scan_algorithmE0ELj4294967295EEENS1_25partition_config_selectorILNS1_17partition_subalgoE3EjNS0_10empty_typeEbEEZZNS1_14partition_implILS8_3ELb0ES6_jNS0_17counting_iteratorIjlEEPS9_SE_NS0_5tupleIJPjSE_EEENSF_IJSE_SE_EEES9_SG_JZNS1_25segmented_radix_sort_implINS0_14default_configELb1EPKbPbPKlPlN2at6native12_GLOBAL__N_18offset_tEEE10hipError_tPvRmT1_PNSt15iterator_traitsISY_E10value_typeET2_T3_PNSZ_IS14_E10value_typeET4_jRbjT5_S1A_jjP12ihipStream_tbEUljE_EEESV_SW_SX_S14_S18_S1A_T6_T7_T9_mT8_S1C_bDpT10_ENKUlT_T0_E_clISt17integral_constantIbLb1EES1P_EEDaS1K_S1L_EUlS1K_E_NS1_11comp_targetILNS1_3genE2ELNS1_11target_archE906ELNS1_3gpuE6ELNS1_3repE0EEENS1_30default_config_static_selectorELNS0_4arch9wavefront6targetE1EEEvSY_.kd
    .uniform_work_group_size: 1
    .uses_dynamic_stack: false
    .vgpr_count:     0
    .vgpr_spill_count: 0
    .wavefront_size: 64
  - .agpr_count:     0
    .args:
      - .offset:         0
        .size:           152
        .value_kind:     by_value
    .group_segment_fixed_size: 0
    .kernarg_segment_align: 8
    .kernarg_segment_size: 152
    .language:       OpenCL C
    .language_version:
      - 2
      - 0
    .max_flat_workgroup_size: 256
    .name:           _ZN7rocprim17ROCPRIM_400000_NS6detail17trampoline_kernelINS0_13select_configILj256ELj13ELNS0_17block_load_methodE3ELS4_3ELS4_3ELNS0_20block_scan_algorithmE0ELj4294967295EEENS1_25partition_config_selectorILNS1_17partition_subalgoE3EjNS0_10empty_typeEbEEZZNS1_14partition_implILS8_3ELb0ES6_jNS0_17counting_iteratorIjlEEPS9_SE_NS0_5tupleIJPjSE_EEENSF_IJSE_SE_EEES9_SG_JZNS1_25segmented_radix_sort_implINS0_14default_configELb1EPKbPbPKlPlN2at6native12_GLOBAL__N_18offset_tEEE10hipError_tPvRmT1_PNSt15iterator_traitsISY_E10value_typeET2_T3_PNSZ_IS14_E10value_typeET4_jRbjT5_S1A_jjP12ihipStream_tbEUljE_EEESV_SW_SX_S14_S18_S1A_T6_T7_T9_mT8_S1C_bDpT10_ENKUlT_T0_E_clISt17integral_constantIbLb1EES1P_EEDaS1K_S1L_EUlS1K_E_NS1_11comp_targetILNS1_3genE10ELNS1_11target_archE1200ELNS1_3gpuE4ELNS1_3repE0EEENS1_30default_config_static_selectorELNS0_4arch9wavefront6targetE1EEEvSY_
    .private_segment_fixed_size: 0
    .sgpr_count:     4
    .sgpr_spill_count: 0
    .symbol:         _ZN7rocprim17ROCPRIM_400000_NS6detail17trampoline_kernelINS0_13select_configILj256ELj13ELNS0_17block_load_methodE3ELS4_3ELS4_3ELNS0_20block_scan_algorithmE0ELj4294967295EEENS1_25partition_config_selectorILNS1_17partition_subalgoE3EjNS0_10empty_typeEbEEZZNS1_14partition_implILS8_3ELb0ES6_jNS0_17counting_iteratorIjlEEPS9_SE_NS0_5tupleIJPjSE_EEENSF_IJSE_SE_EEES9_SG_JZNS1_25segmented_radix_sort_implINS0_14default_configELb1EPKbPbPKlPlN2at6native12_GLOBAL__N_18offset_tEEE10hipError_tPvRmT1_PNSt15iterator_traitsISY_E10value_typeET2_T3_PNSZ_IS14_E10value_typeET4_jRbjT5_S1A_jjP12ihipStream_tbEUljE_EEESV_SW_SX_S14_S18_S1A_T6_T7_T9_mT8_S1C_bDpT10_ENKUlT_T0_E_clISt17integral_constantIbLb1EES1P_EEDaS1K_S1L_EUlS1K_E_NS1_11comp_targetILNS1_3genE10ELNS1_11target_archE1200ELNS1_3gpuE4ELNS1_3repE0EEENS1_30default_config_static_selectorELNS0_4arch9wavefront6targetE1EEEvSY_.kd
    .uniform_work_group_size: 1
    .uses_dynamic_stack: false
    .vgpr_count:     0
    .vgpr_spill_count: 0
    .wavefront_size: 64
  - .agpr_count:     0
    .args:
      - .offset:         0
        .size:           152
        .value_kind:     by_value
    .group_segment_fixed_size: 0
    .kernarg_segment_align: 8
    .kernarg_segment_size: 152
    .language:       OpenCL C
    .language_version:
      - 2
      - 0
    .max_flat_workgroup_size: 256
    .name:           _ZN7rocprim17ROCPRIM_400000_NS6detail17trampoline_kernelINS0_13select_configILj256ELj13ELNS0_17block_load_methodE3ELS4_3ELS4_3ELNS0_20block_scan_algorithmE0ELj4294967295EEENS1_25partition_config_selectorILNS1_17partition_subalgoE3EjNS0_10empty_typeEbEEZZNS1_14partition_implILS8_3ELb0ES6_jNS0_17counting_iteratorIjlEEPS9_SE_NS0_5tupleIJPjSE_EEENSF_IJSE_SE_EEES9_SG_JZNS1_25segmented_radix_sort_implINS0_14default_configELb1EPKbPbPKlPlN2at6native12_GLOBAL__N_18offset_tEEE10hipError_tPvRmT1_PNSt15iterator_traitsISY_E10value_typeET2_T3_PNSZ_IS14_E10value_typeET4_jRbjT5_S1A_jjP12ihipStream_tbEUljE_EEESV_SW_SX_S14_S18_S1A_T6_T7_T9_mT8_S1C_bDpT10_ENKUlT_T0_E_clISt17integral_constantIbLb1EES1P_EEDaS1K_S1L_EUlS1K_E_NS1_11comp_targetILNS1_3genE9ELNS1_11target_archE1100ELNS1_3gpuE3ELNS1_3repE0EEENS1_30default_config_static_selectorELNS0_4arch9wavefront6targetE1EEEvSY_
    .private_segment_fixed_size: 0
    .sgpr_count:     4
    .sgpr_spill_count: 0
    .symbol:         _ZN7rocprim17ROCPRIM_400000_NS6detail17trampoline_kernelINS0_13select_configILj256ELj13ELNS0_17block_load_methodE3ELS4_3ELS4_3ELNS0_20block_scan_algorithmE0ELj4294967295EEENS1_25partition_config_selectorILNS1_17partition_subalgoE3EjNS0_10empty_typeEbEEZZNS1_14partition_implILS8_3ELb0ES6_jNS0_17counting_iteratorIjlEEPS9_SE_NS0_5tupleIJPjSE_EEENSF_IJSE_SE_EEES9_SG_JZNS1_25segmented_radix_sort_implINS0_14default_configELb1EPKbPbPKlPlN2at6native12_GLOBAL__N_18offset_tEEE10hipError_tPvRmT1_PNSt15iterator_traitsISY_E10value_typeET2_T3_PNSZ_IS14_E10value_typeET4_jRbjT5_S1A_jjP12ihipStream_tbEUljE_EEESV_SW_SX_S14_S18_S1A_T6_T7_T9_mT8_S1C_bDpT10_ENKUlT_T0_E_clISt17integral_constantIbLb1EES1P_EEDaS1K_S1L_EUlS1K_E_NS1_11comp_targetILNS1_3genE9ELNS1_11target_archE1100ELNS1_3gpuE3ELNS1_3repE0EEENS1_30default_config_static_selectorELNS0_4arch9wavefront6targetE1EEEvSY_.kd
    .uniform_work_group_size: 1
    .uses_dynamic_stack: false
    .vgpr_count:     0
    .vgpr_spill_count: 0
    .wavefront_size: 64
  - .agpr_count:     0
    .args:
      - .offset:         0
        .size:           152
        .value_kind:     by_value
    .group_segment_fixed_size: 0
    .kernarg_segment_align: 8
    .kernarg_segment_size: 152
    .language:       OpenCL C
    .language_version:
      - 2
      - 0
    .max_flat_workgroup_size: 256
    .name:           _ZN7rocprim17ROCPRIM_400000_NS6detail17trampoline_kernelINS0_13select_configILj256ELj13ELNS0_17block_load_methodE3ELS4_3ELS4_3ELNS0_20block_scan_algorithmE0ELj4294967295EEENS1_25partition_config_selectorILNS1_17partition_subalgoE3EjNS0_10empty_typeEbEEZZNS1_14partition_implILS8_3ELb0ES6_jNS0_17counting_iteratorIjlEEPS9_SE_NS0_5tupleIJPjSE_EEENSF_IJSE_SE_EEES9_SG_JZNS1_25segmented_radix_sort_implINS0_14default_configELb1EPKbPbPKlPlN2at6native12_GLOBAL__N_18offset_tEEE10hipError_tPvRmT1_PNSt15iterator_traitsISY_E10value_typeET2_T3_PNSZ_IS14_E10value_typeET4_jRbjT5_S1A_jjP12ihipStream_tbEUljE_EEESV_SW_SX_S14_S18_S1A_T6_T7_T9_mT8_S1C_bDpT10_ENKUlT_T0_E_clISt17integral_constantIbLb1EES1P_EEDaS1K_S1L_EUlS1K_E_NS1_11comp_targetILNS1_3genE8ELNS1_11target_archE1030ELNS1_3gpuE2ELNS1_3repE0EEENS1_30default_config_static_selectorELNS0_4arch9wavefront6targetE1EEEvSY_
    .private_segment_fixed_size: 0
    .sgpr_count:     4
    .sgpr_spill_count: 0
    .symbol:         _ZN7rocprim17ROCPRIM_400000_NS6detail17trampoline_kernelINS0_13select_configILj256ELj13ELNS0_17block_load_methodE3ELS4_3ELS4_3ELNS0_20block_scan_algorithmE0ELj4294967295EEENS1_25partition_config_selectorILNS1_17partition_subalgoE3EjNS0_10empty_typeEbEEZZNS1_14partition_implILS8_3ELb0ES6_jNS0_17counting_iteratorIjlEEPS9_SE_NS0_5tupleIJPjSE_EEENSF_IJSE_SE_EEES9_SG_JZNS1_25segmented_radix_sort_implINS0_14default_configELb1EPKbPbPKlPlN2at6native12_GLOBAL__N_18offset_tEEE10hipError_tPvRmT1_PNSt15iterator_traitsISY_E10value_typeET2_T3_PNSZ_IS14_E10value_typeET4_jRbjT5_S1A_jjP12ihipStream_tbEUljE_EEESV_SW_SX_S14_S18_S1A_T6_T7_T9_mT8_S1C_bDpT10_ENKUlT_T0_E_clISt17integral_constantIbLb1EES1P_EEDaS1K_S1L_EUlS1K_E_NS1_11comp_targetILNS1_3genE8ELNS1_11target_archE1030ELNS1_3gpuE2ELNS1_3repE0EEENS1_30default_config_static_selectorELNS0_4arch9wavefront6targetE1EEEvSY_.kd
    .uniform_work_group_size: 1
    .uses_dynamic_stack: false
    .vgpr_count:     0
    .vgpr_spill_count: 0
    .wavefront_size: 64
  - .agpr_count:     0
    .args:
      - .offset:         0
        .size:           144
        .value_kind:     by_value
    .group_segment_fixed_size: 0
    .kernarg_segment_align: 8
    .kernarg_segment_size: 144
    .language:       OpenCL C
    .language_version:
      - 2
      - 0
    .max_flat_workgroup_size: 256
    .name:           _ZN7rocprim17ROCPRIM_400000_NS6detail17trampoline_kernelINS0_13select_configILj256ELj13ELNS0_17block_load_methodE3ELS4_3ELS4_3ELNS0_20block_scan_algorithmE0ELj4294967295EEENS1_25partition_config_selectorILNS1_17partition_subalgoE3EjNS0_10empty_typeEbEEZZNS1_14partition_implILS8_3ELb0ES6_jNS0_17counting_iteratorIjlEEPS9_SE_NS0_5tupleIJPjSE_EEENSF_IJSE_SE_EEES9_SG_JZNS1_25segmented_radix_sort_implINS0_14default_configELb1EPKbPbPKlPlN2at6native12_GLOBAL__N_18offset_tEEE10hipError_tPvRmT1_PNSt15iterator_traitsISY_E10value_typeET2_T3_PNSZ_IS14_E10value_typeET4_jRbjT5_S1A_jjP12ihipStream_tbEUljE_EEESV_SW_SX_S14_S18_S1A_T6_T7_T9_mT8_S1C_bDpT10_ENKUlT_T0_E_clISt17integral_constantIbLb1EES1O_IbLb0EEEEDaS1K_S1L_EUlS1K_E_NS1_11comp_targetILNS1_3genE0ELNS1_11target_archE4294967295ELNS1_3gpuE0ELNS1_3repE0EEENS1_30default_config_static_selectorELNS0_4arch9wavefront6targetE1EEEvSY_
    .private_segment_fixed_size: 0
    .sgpr_count:     4
    .sgpr_spill_count: 0
    .symbol:         _ZN7rocprim17ROCPRIM_400000_NS6detail17trampoline_kernelINS0_13select_configILj256ELj13ELNS0_17block_load_methodE3ELS4_3ELS4_3ELNS0_20block_scan_algorithmE0ELj4294967295EEENS1_25partition_config_selectorILNS1_17partition_subalgoE3EjNS0_10empty_typeEbEEZZNS1_14partition_implILS8_3ELb0ES6_jNS0_17counting_iteratorIjlEEPS9_SE_NS0_5tupleIJPjSE_EEENSF_IJSE_SE_EEES9_SG_JZNS1_25segmented_radix_sort_implINS0_14default_configELb1EPKbPbPKlPlN2at6native12_GLOBAL__N_18offset_tEEE10hipError_tPvRmT1_PNSt15iterator_traitsISY_E10value_typeET2_T3_PNSZ_IS14_E10value_typeET4_jRbjT5_S1A_jjP12ihipStream_tbEUljE_EEESV_SW_SX_S14_S18_S1A_T6_T7_T9_mT8_S1C_bDpT10_ENKUlT_T0_E_clISt17integral_constantIbLb1EES1O_IbLb0EEEEDaS1K_S1L_EUlS1K_E_NS1_11comp_targetILNS1_3genE0ELNS1_11target_archE4294967295ELNS1_3gpuE0ELNS1_3repE0EEENS1_30default_config_static_selectorELNS0_4arch9wavefront6targetE1EEEvSY_.kd
    .uniform_work_group_size: 1
    .uses_dynamic_stack: false
    .vgpr_count:     0
    .vgpr_spill_count: 0
    .wavefront_size: 64
  - .agpr_count:     0
    .args:
      - .offset:         0
        .size:           144
        .value_kind:     by_value
    .group_segment_fixed_size: 0
    .kernarg_segment_align: 8
    .kernarg_segment_size: 144
    .language:       OpenCL C
    .language_version:
      - 2
      - 0
    .max_flat_workgroup_size: 256
    .name:           _ZN7rocprim17ROCPRIM_400000_NS6detail17trampoline_kernelINS0_13select_configILj256ELj13ELNS0_17block_load_methodE3ELS4_3ELS4_3ELNS0_20block_scan_algorithmE0ELj4294967295EEENS1_25partition_config_selectorILNS1_17partition_subalgoE3EjNS0_10empty_typeEbEEZZNS1_14partition_implILS8_3ELb0ES6_jNS0_17counting_iteratorIjlEEPS9_SE_NS0_5tupleIJPjSE_EEENSF_IJSE_SE_EEES9_SG_JZNS1_25segmented_radix_sort_implINS0_14default_configELb1EPKbPbPKlPlN2at6native12_GLOBAL__N_18offset_tEEE10hipError_tPvRmT1_PNSt15iterator_traitsISY_E10value_typeET2_T3_PNSZ_IS14_E10value_typeET4_jRbjT5_S1A_jjP12ihipStream_tbEUljE_EEESV_SW_SX_S14_S18_S1A_T6_T7_T9_mT8_S1C_bDpT10_ENKUlT_T0_E_clISt17integral_constantIbLb1EES1O_IbLb0EEEEDaS1K_S1L_EUlS1K_E_NS1_11comp_targetILNS1_3genE5ELNS1_11target_archE942ELNS1_3gpuE9ELNS1_3repE0EEENS1_30default_config_static_selectorELNS0_4arch9wavefront6targetE1EEEvSY_
    .private_segment_fixed_size: 0
    .sgpr_count:     4
    .sgpr_spill_count: 0
    .symbol:         _ZN7rocprim17ROCPRIM_400000_NS6detail17trampoline_kernelINS0_13select_configILj256ELj13ELNS0_17block_load_methodE3ELS4_3ELS4_3ELNS0_20block_scan_algorithmE0ELj4294967295EEENS1_25partition_config_selectorILNS1_17partition_subalgoE3EjNS0_10empty_typeEbEEZZNS1_14partition_implILS8_3ELb0ES6_jNS0_17counting_iteratorIjlEEPS9_SE_NS0_5tupleIJPjSE_EEENSF_IJSE_SE_EEES9_SG_JZNS1_25segmented_radix_sort_implINS0_14default_configELb1EPKbPbPKlPlN2at6native12_GLOBAL__N_18offset_tEEE10hipError_tPvRmT1_PNSt15iterator_traitsISY_E10value_typeET2_T3_PNSZ_IS14_E10value_typeET4_jRbjT5_S1A_jjP12ihipStream_tbEUljE_EEESV_SW_SX_S14_S18_S1A_T6_T7_T9_mT8_S1C_bDpT10_ENKUlT_T0_E_clISt17integral_constantIbLb1EES1O_IbLb0EEEEDaS1K_S1L_EUlS1K_E_NS1_11comp_targetILNS1_3genE5ELNS1_11target_archE942ELNS1_3gpuE9ELNS1_3repE0EEENS1_30default_config_static_selectorELNS0_4arch9wavefront6targetE1EEEvSY_.kd
    .uniform_work_group_size: 1
    .uses_dynamic_stack: false
    .vgpr_count:     0
    .vgpr_spill_count: 0
    .wavefront_size: 64
  - .agpr_count:     0
    .args:
      - .offset:         0
        .size:           144
        .value_kind:     by_value
    .group_segment_fixed_size: 13324
    .kernarg_segment_align: 8
    .kernarg_segment_size: 144
    .language:       OpenCL C
    .language_version:
      - 2
      - 0
    .max_flat_workgroup_size: 256
    .name:           _ZN7rocprim17ROCPRIM_400000_NS6detail17trampoline_kernelINS0_13select_configILj256ELj13ELNS0_17block_load_methodE3ELS4_3ELS4_3ELNS0_20block_scan_algorithmE0ELj4294967295EEENS1_25partition_config_selectorILNS1_17partition_subalgoE3EjNS0_10empty_typeEbEEZZNS1_14partition_implILS8_3ELb0ES6_jNS0_17counting_iteratorIjlEEPS9_SE_NS0_5tupleIJPjSE_EEENSF_IJSE_SE_EEES9_SG_JZNS1_25segmented_radix_sort_implINS0_14default_configELb1EPKbPbPKlPlN2at6native12_GLOBAL__N_18offset_tEEE10hipError_tPvRmT1_PNSt15iterator_traitsISY_E10value_typeET2_T3_PNSZ_IS14_E10value_typeET4_jRbjT5_S1A_jjP12ihipStream_tbEUljE_EEESV_SW_SX_S14_S18_S1A_T6_T7_T9_mT8_S1C_bDpT10_ENKUlT_T0_E_clISt17integral_constantIbLb1EES1O_IbLb0EEEEDaS1K_S1L_EUlS1K_E_NS1_11comp_targetILNS1_3genE4ELNS1_11target_archE910ELNS1_3gpuE8ELNS1_3repE0EEENS1_30default_config_static_selectorELNS0_4arch9wavefront6targetE1EEEvSY_
    .private_segment_fixed_size: 0
    .sgpr_count:     50
    .sgpr_spill_count: 0
    .symbol:         _ZN7rocprim17ROCPRIM_400000_NS6detail17trampoline_kernelINS0_13select_configILj256ELj13ELNS0_17block_load_methodE3ELS4_3ELS4_3ELNS0_20block_scan_algorithmE0ELj4294967295EEENS1_25partition_config_selectorILNS1_17partition_subalgoE3EjNS0_10empty_typeEbEEZZNS1_14partition_implILS8_3ELb0ES6_jNS0_17counting_iteratorIjlEEPS9_SE_NS0_5tupleIJPjSE_EEENSF_IJSE_SE_EEES9_SG_JZNS1_25segmented_radix_sort_implINS0_14default_configELb1EPKbPbPKlPlN2at6native12_GLOBAL__N_18offset_tEEE10hipError_tPvRmT1_PNSt15iterator_traitsISY_E10value_typeET2_T3_PNSZ_IS14_E10value_typeET4_jRbjT5_S1A_jjP12ihipStream_tbEUljE_EEESV_SW_SX_S14_S18_S1A_T6_T7_T9_mT8_S1C_bDpT10_ENKUlT_T0_E_clISt17integral_constantIbLb1EES1O_IbLb0EEEEDaS1K_S1L_EUlS1K_E_NS1_11comp_targetILNS1_3genE4ELNS1_11target_archE910ELNS1_3gpuE8ELNS1_3repE0EEENS1_30default_config_static_selectorELNS0_4arch9wavefront6targetE1EEEvSY_.kd
    .uniform_work_group_size: 1
    .uses_dynamic_stack: false
    .vgpr_count:     61
    .vgpr_spill_count: 0
    .wavefront_size: 64
  - .agpr_count:     0
    .args:
      - .offset:         0
        .size:           144
        .value_kind:     by_value
    .group_segment_fixed_size: 0
    .kernarg_segment_align: 8
    .kernarg_segment_size: 144
    .language:       OpenCL C
    .language_version:
      - 2
      - 0
    .max_flat_workgroup_size: 256
    .name:           _ZN7rocprim17ROCPRIM_400000_NS6detail17trampoline_kernelINS0_13select_configILj256ELj13ELNS0_17block_load_methodE3ELS4_3ELS4_3ELNS0_20block_scan_algorithmE0ELj4294967295EEENS1_25partition_config_selectorILNS1_17partition_subalgoE3EjNS0_10empty_typeEbEEZZNS1_14partition_implILS8_3ELb0ES6_jNS0_17counting_iteratorIjlEEPS9_SE_NS0_5tupleIJPjSE_EEENSF_IJSE_SE_EEES9_SG_JZNS1_25segmented_radix_sort_implINS0_14default_configELb1EPKbPbPKlPlN2at6native12_GLOBAL__N_18offset_tEEE10hipError_tPvRmT1_PNSt15iterator_traitsISY_E10value_typeET2_T3_PNSZ_IS14_E10value_typeET4_jRbjT5_S1A_jjP12ihipStream_tbEUljE_EEESV_SW_SX_S14_S18_S1A_T6_T7_T9_mT8_S1C_bDpT10_ENKUlT_T0_E_clISt17integral_constantIbLb1EES1O_IbLb0EEEEDaS1K_S1L_EUlS1K_E_NS1_11comp_targetILNS1_3genE3ELNS1_11target_archE908ELNS1_3gpuE7ELNS1_3repE0EEENS1_30default_config_static_selectorELNS0_4arch9wavefront6targetE1EEEvSY_
    .private_segment_fixed_size: 0
    .sgpr_count:     4
    .sgpr_spill_count: 0
    .symbol:         _ZN7rocprim17ROCPRIM_400000_NS6detail17trampoline_kernelINS0_13select_configILj256ELj13ELNS0_17block_load_methodE3ELS4_3ELS4_3ELNS0_20block_scan_algorithmE0ELj4294967295EEENS1_25partition_config_selectorILNS1_17partition_subalgoE3EjNS0_10empty_typeEbEEZZNS1_14partition_implILS8_3ELb0ES6_jNS0_17counting_iteratorIjlEEPS9_SE_NS0_5tupleIJPjSE_EEENSF_IJSE_SE_EEES9_SG_JZNS1_25segmented_radix_sort_implINS0_14default_configELb1EPKbPbPKlPlN2at6native12_GLOBAL__N_18offset_tEEE10hipError_tPvRmT1_PNSt15iterator_traitsISY_E10value_typeET2_T3_PNSZ_IS14_E10value_typeET4_jRbjT5_S1A_jjP12ihipStream_tbEUljE_EEESV_SW_SX_S14_S18_S1A_T6_T7_T9_mT8_S1C_bDpT10_ENKUlT_T0_E_clISt17integral_constantIbLb1EES1O_IbLb0EEEEDaS1K_S1L_EUlS1K_E_NS1_11comp_targetILNS1_3genE3ELNS1_11target_archE908ELNS1_3gpuE7ELNS1_3repE0EEENS1_30default_config_static_selectorELNS0_4arch9wavefront6targetE1EEEvSY_.kd
    .uniform_work_group_size: 1
    .uses_dynamic_stack: false
    .vgpr_count:     0
    .vgpr_spill_count: 0
    .wavefront_size: 64
  - .agpr_count:     0
    .args:
      - .offset:         0
        .size:           144
        .value_kind:     by_value
    .group_segment_fixed_size: 0
    .kernarg_segment_align: 8
    .kernarg_segment_size: 144
    .language:       OpenCL C
    .language_version:
      - 2
      - 0
    .max_flat_workgroup_size: 256
    .name:           _ZN7rocprim17ROCPRIM_400000_NS6detail17trampoline_kernelINS0_13select_configILj256ELj13ELNS0_17block_load_methodE3ELS4_3ELS4_3ELNS0_20block_scan_algorithmE0ELj4294967295EEENS1_25partition_config_selectorILNS1_17partition_subalgoE3EjNS0_10empty_typeEbEEZZNS1_14partition_implILS8_3ELb0ES6_jNS0_17counting_iteratorIjlEEPS9_SE_NS0_5tupleIJPjSE_EEENSF_IJSE_SE_EEES9_SG_JZNS1_25segmented_radix_sort_implINS0_14default_configELb1EPKbPbPKlPlN2at6native12_GLOBAL__N_18offset_tEEE10hipError_tPvRmT1_PNSt15iterator_traitsISY_E10value_typeET2_T3_PNSZ_IS14_E10value_typeET4_jRbjT5_S1A_jjP12ihipStream_tbEUljE_EEESV_SW_SX_S14_S18_S1A_T6_T7_T9_mT8_S1C_bDpT10_ENKUlT_T0_E_clISt17integral_constantIbLb1EES1O_IbLb0EEEEDaS1K_S1L_EUlS1K_E_NS1_11comp_targetILNS1_3genE2ELNS1_11target_archE906ELNS1_3gpuE6ELNS1_3repE0EEENS1_30default_config_static_selectorELNS0_4arch9wavefront6targetE1EEEvSY_
    .private_segment_fixed_size: 0
    .sgpr_count:     4
    .sgpr_spill_count: 0
    .symbol:         _ZN7rocprim17ROCPRIM_400000_NS6detail17trampoline_kernelINS0_13select_configILj256ELj13ELNS0_17block_load_methodE3ELS4_3ELS4_3ELNS0_20block_scan_algorithmE0ELj4294967295EEENS1_25partition_config_selectorILNS1_17partition_subalgoE3EjNS0_10empty_typeEbEEZZNS1_14partition_implILS8_3ELb0ES6_jNS0_17counting_iteratorIjlEEPS9_SE_NS0_5tupleIJPjSE_EEENSF_IJSE_SE_EEES9_SG_JZNS1_25segmented_radix_sort_implINS0_14default_configELb1EPKbPbPKlPlN2at6native12_GLOBAL__N_18offset_tEEE10hipError_tPvRmT1_PNSt15iterator_traitsISY_E10value_typeET2_T3_PNSZ_IS14_E10value_typeET4_jRbjT5_S1A_jjP12ihipStream_tbEUljE_EEESV_SW_SX_S14_S18_S1A_T6_T7_T9_mT8_S1C_bDpT10_ENKUlT_T0_E_clISt17integral_constantIbLb1EES1O_IbLb0EEEEDaS1K_S1L_EUlS1K_E_NS1_11comp_targetILNS1_3genE2ELNS1_11target_archE906ELNS1_3gpuE6ELNS1_3repE0EEENS1_30default_config_static_selectorELNS0_4arch9wavefront6targetE1EEEvSY_.kd
    .uniform_work_group_size: 1
    .uses_dynamic_stack: false
    .vgpr_count:     0
    .vgpr_spill_count: 0
    .wavefront_size: 64
  - .agpr_count:     0
    .args:
      - .offset:         0
        .size:           144
        .value_kind:     by_value
    .group_segment_fixed_size: 0
    .kernarg_segment_align: 8
    .kernarg_segment_size: 144
    .language:       OpenCL C
    .language_version:
      - 2
      - 0
    .max_flat_workgroup_size: 256
    .name:           _ZN7rocprim17ROCPRIM_400000_NS6detail17trampoline_kernelINS0_13select_configILj256ELj13ELNS0_17block_load_methodE3ELS4_3ELS4_3ELNS0_20block_scan_algorithmE0ELj4294967295EEENS1_25partition_config_selectorILNS1_17partition_subalgoE3EjNS0_10empty_typeEbEEZZNS1_14partition_implILS8_3ELb0ES6_jNS0_17counting_iteratorIjlEEPS9_SE_NS0_5tupleIJPjSE_EEENSF_IJSE_SE_EEES9_SG_JZNS1_25segmented_radix_sort_implINS0_14default_configELb1EPKbPbPKlPlN2at6native12_GLOBAL__N_18offset_tEEE10hipError_tPvRmT1_PNSt15iterator_traitsISY_E10value_typeET2_T3_PNSZ_IS14_E10value_typeET4_jRbjT5_S1A_jjP12ihipStream_tbEUljE_EEESV_SW_SX_S14_S18_S1A_T6_T7_T9_mT8_S1C_bDpT10_ENKUlT_T0_E_clISt17integral_constantIbLb1EES1O_IbLb0EEEEDaS1K_S1L_EUlS1K_E_NS1_11comp_targetILNS1_3genE10ELNS1_11target_archE1200ELNS1_3gpuE4ELNS1_3repE0EEENS1_30default_config_static_selectorELNS0_4arch9wavefront6targetE1EEEvSY_
    .private_segment_fixed_size: 0
    .sgpr_count:     4
    .sgpr_spill_count: 0
    .symbol:         _ZN7rocprim17ROCPRIM_400000_NS6detail17trampoline_kernelINS0_13select_configILj256ELj13ELNS0_17block_load_methodE3ELS4_3ELS4_3ELNS0_20block_scan_algorithmE0ELj4294967295EEENS1_25partition_config_selectorILNS1_17partition_subalgoE3EjNS0_10empty_typeEbEEZZNS1_14partition_implILS8_3ELb0ES6_jNS0_17counting_iteratorIjlEEPS9_SE_NS0_5tupleIJPjSE_EEENSF_IJSE_SE_EEES9_SG_JZNS1_25segmented_radix_sort_implINS0_14default_configELb1EPKbPbPKlPlN2at6native12_GLOBAL__N_18offset_tEEE10hipError_tPvRmT1_PNSt15iterator_traitsISY_E10value_typeET2_T3_PNSZ_IS14_E10value_typeET4_jRbjT5_S1A_jjP12ihipStream_tbEUljE_EEESV_SW_SX_S14_S18_S1A_T6_T7_T9_mT8_S1C_bDpT10_ENKUlT_T0_E_clISt17integral_constantIbLb1EES1O_IbLb0EEEEDaS1K_S1L_EUlS1K_E_NS1_11comp_targetILNS1_3genE10ELNS1_11target_archE1200ELNS1_3gpuE4ELNS1_3repE0EEENS1_30default_config_static_selectorELNS0_4arch9wavefront6targetE1EEEvSY_.kd
    .uniform_work_group_size: 1
    .uses_dynamic_stack: false
    .vgpr_count:     0
    .vgpr_spill_count: 0
    .wavefront_size: 64
  - .agpr_count:     0
    .args:
      - .offset:         0
        .size:           144
        .value_kind:     by_value
    .group_segment_fixed_size: 0
    .kernarg_segment_align: 8
    .kernarg_segment_size: 144
    .language:       OpenCL C
    .language_version:
      - 2
      - 0
    .max_flat_workgroup_size: 256
    .name:           _ZN7rocprim17ROCPRIM_400000_NS6detail17trampoline_kernelINS0_13select_configILj256ELj13ELNS0_17block_load_methodE3ELS4_3ELS4_3ELNS0_20block_scan_algorithmE0ELj4294967295EEENS1_25partition_config_selectorILNS1_17partition_subalgoE3EjNS0_10empty_typeEbEEZZNS1_14partition_implILS8_3ELb0ES6_jNS0_17counting_iteratorIjlEEPS9_SE_NS0_5tupleIJPjSE_EEENSF_IJSE_SE_EEES9_SG_JZNS1_25segmented_radix_sort_implINS0_14default_configELb1EPKbPbPKlPlN2at6native12_GLOBAL__N_18offset_tEEE10hipError_tPvRmT1_PNSt15iterator_traitsISY_E10value_typeET2_T3_PNSZ_IS14_E10value_typeET4_jRbjT5_S1A_jjP12ihipStream_tbEUljE_EEESV_SW_SX_S14_S18_S1A_T6_T7_T9_mT8_S1C_bDpT10_ENKUlT_T0_E_clISt17integral_constantIbLb1EES1O_IbLb0EEEEDaS1K_S1L_EUlS1K_E_NS1_11comp_targetILNS1_3genE9ELNS1_11target_archE1100ELNS1_3gpuE3ELNS1_3repE0EEENS1_30default_config_static_selectorELNS0_4arch9wavefront6targetE1EEEvSY_
    .private_segment_fixed_size: 0
    .sgpr_count:     4
    .sgpr_spill_count: 0
    .symbol:         _ZN7rocprim17ROCPRIM_400000_NS6detail17trampoline_kernelINS0_13select_configILj256ELj13ELNS0_17block_load_methodE3ELS4_3ELS4_3ELNS0_20block_scan_algorithmE0ELj4294967295EEENS1_25partition_config_selectorILNS1_17partition_subalgoE3EjNS0_10empty_typeEbEEZZNS1_14partition_implILS8_3ELb0ES6_jNS0_17counting_iteratorIjlEEPS9_SE_NS0_5tupleIJPjSE_EEENSF_IJSE_SE_EEES9_SG_JZNS1_25segmented_radix_sort_implINS0_14default_configELb1EPKbPbPKlPlN2at6native12_GLOBAL__N_18offset_tEEE10hipError_tPvRmT1_PNSt15iterator_traitsISY_E10value_typeET2_T3_PNSZ_IS14_E10value_typeET4_jRbjT5_S1A_jjP12ihipStream_tbEUljE_EEESV_SW_SX_S14_S18_S1A_T6_T7_T9_mT8_S1C_bDpT10_ENKUlT_T0_E_clISt17integral_constantIbLb1EES1O_IbLb0EEEEDaS1K_S1L_EUlS1K_E_NS1_11comp_targetILNS1_3genE9ELNS1_11target_archE1100ELNS1_3gpuE3ELNS1_3repE0EEENS1_30default_config_static_selectorELNS0_4arch9wavefront6targetE1EEEvSY_.kd
    .uniform_work_group_size: 1
    .uses_dynamic_stack: false
    .vgpr_count:     0
    .vgpr_spill_count: 0
    .wavefront_size: 64
  - .agpr_count:     0
    .args:
      - .offset:         0
        .size:           144
        .value_kind:     by_value
    .group_segment_fixed_size: 0
    .kernarg_segment_align: 8
    .kernarg_segment_size: 144
    .language:       OpenCL C
    .language_version:
      - 2
      - 0
    .max_flat_workgroup_size: 256
    .name:           _ZN7rocprim17ROCPRIM_400000_NS6detail17trampoline_kernelINS0_13select_configILj256ELj13ELNS0_17block_load_methodE3ELS4_3ELS4_3ELNS0_20block_scan_algorithmE0ELj4294967295EEENS1_25partition_config_selectorILNS1_17partition_subalgoE3EjNS0_10empty_typeEbEEZZNS1_14partition_implILS8_3ELb0ES6_jNS0_17counting_iteratorIjlEEPS9_SE_NS0_5tupleIJPjSE_EEENSF_IJSE_SE_EEES9_SG_JZNS1_25segmented_radix_sort_implINS0_14default_configELb1EPKbPbPKlPlN2at6native12_GLOBAL__N_18offset_tEEE10hipError_tPvRmT1_PNSt15iterator_traitsISY_E10value_typeET2_T3_PNSZ_IS14_E10value_typeET4_jRbjT5_S1A_jjP12ihipStream_tbEUljE_EEESV_SW_SX_S14_S18_S1A_T6_T7_T9_mT8_S1C_bDpT10_ENKUlT_T0_E_clISt17integral_constantIbLb1EES1O_IbLb0EEEEDaS1K_S1L_EUlS1K_E_NS1_11comp_targetILNS1_3genE8ELNS1_11target_archE1030ELNS1_3gpuE2ELNS1_3repE0EEENS1_30default_config_static_selectorELNS0_4arch9wavefront6targetE1EEEvSY_
    .private_segment_fixed_size: 0
    .sgpr_count:     4
    .sgpr_spill_count: 0
    .symbol:         _ZN7rocprim17ROCPRIM_400000_NS6detail17trampoline_kernelINS0_13select_configILj256ELj13ELNS0_17block_load_methodE3ELS4_3ELS4_3ELNS0_20block_scan_algorithmE0ELj4294967295EEENS1_25partition_config_selectorILNS1_17partition_subalgoE3EjNS0_10empty_typeEbEEZZNS1_14partition_implILS8_3ELb0ES6_jNS0_17counting_iteratorIjlEEPS9_SE_NS0_5tupleIJPjSE_EEENSF_IJSE_SE_EEES9_SG_JZNS1_25segmented_radix_sort_implINS0_14default_configELb1EPKbPbPKlPlN2at6native12_GLOBAL__N_18offset_tEEE10hipError_tPvRmT1_PNSt15iterator_traitsISY_E10value_typeET2_T3_PNSZ_IS14_E10value_typeET4_jRbjT5_S1A_jjP12ihipStream_tbEUljE_EEESV_SW_SX_S14_S18_S1A_T6_T7_T9_mT8_S1C_bDpT10_ENKUlT_T0_E_clISt17integral_constantIbLb1EES1O_IbLb0EEEEDaS1K_S1L_EUlS1K_E_NS1_11comp_targetILNS1_3genE8ELNS1_11target_archE1030ELNS1_3gpuE2ELNS1_3repE0EEENS1_30default_config_static_selectorELNS0_4arch9wavefront6targetE1EEEvSY_.kd
    .uniform_work_group_size: 1
    .uses_dynamic_stack: false
    .vgpr_count:     0
    .vgpr_spill_count: 0
    .wavefront_size: 64
  - .agpr_count:     0
    .args:
      - .offset:         0
        .size:           152
        .value_kind:     by_value
    .group_segment_fixed_size: 0
    .kernarg_segment_align: 8
    .kernarg_segment_size: 152
    .language:       OpenCL C
    .language_version:
      - 2
      - 0
    .max_flat_workgroup_size: 256
    .name:           _ZN7rocprim17ROCPRIM_400000_NS6detail17trampoline_kernelINS0_13select_configILj256ELj13ELNS0_17block_load_methodE3ELS4_3ELS4_3ELNS0_20block_scan_algorithmE0ELj4294967295EEENS1_25partition_config_selectorILNS1_17partition_subalgoE3EjNS0_10empty_typeEbEEZZNS1_14partition_implILS8_3ELb0ES6_jNS0_17counting_iteratorIjlEEPS9_SE_NS0_5tupleIJPjSE_EEENSF_IJSE_SE_EEES9_SG_JZNS1_25segmented_radix_sort_implINS0_14default_configELb1EPKbPbPKlPlN2at6native12_GLOBAL__N_18offset_tEEE10hipError_tPvRmT1_PNSt15iterator_traitsISY_E10value_typeET2_T3_PNSZ_IS14_E10value_typeET4_jRbjT5_S1A_jjP12ihipStream_tbEUljE_EEESV_SW_SX_S14_S18_S1A_T6_T7_T9_mT8_S1C_bDpT10_ENKUlT_T0_E_clISt17integral_constantIbLb0EES1O_IbLb1EEEEDaS1K_S1L_EUlS1K_E_NS1_11comp_targetILNS1_3genE0ELNS1_11target_archE4294967295ELNS1_3gpuE0ELNS1_3repE0EEENS1_30default_config_static_selectorELNS0_4arch9wavefront6targetE1EEEvSY_
    .private_segment_fixed_size: 0
    .sgpr_count:     4
    .sgpr_spill_count: 0
    .symbol:         _ZN7rocprim17ROCPRIM_400000_NS6detail17trampoline_kernelINS0_13select_configILj256ELj13ELNS0_17block_load_methodE3ELS4_3ELS4_3ELNS0_20block_scan_algorithmE0ELj4294967295EEENS1_25partition_config_selectorILNS1_17partition_subalgoE3EjNS0_10empty_typeEbEEZZNS1_14partition_implILS8_3ELb0ES6_jNS0_17counting_iteratorIjlEEPS9_SE_NS0_5tupleIJPjSE_EEENSF_IJSE_SE_EEES9_SG_JZNS1_25segmented_radix_sort_implINS0_14default_configELb1EPKbPbPKlPlN2at6native12_GLOBAL__N_18offset_tEEE10hipError_tPvRmT1_PNSt15iterator_traitsISY_E10value_typeET2_T3_PNSZ_IS14_E10value_typeET4_jRbjT5_S1A_jjP12ihipStream_tbEUljE_EEESV_SW_SX_S14_S18_S1A_T6_T7_T9_mT8_S1C_bDpT10_ENKUlT_T0_E_clISt17integral_constantIbLb0EES1O_IbLb1EEEEDaS1K_S1L_EUlS1K_E_NS1_11comp_targetILNS1_3genE0ELNS1_11target_archE4294967295ELNS1_3gpuE0ELNS1_3repE0EEENS1_30default_config_static_selectorELNS0_4arch9wavefront6targetE1EEEvSY_.kd
    .uniform_work_group_size: 1
    .uses_dynamic_stack: false
    .vgpr_count:     0
    .vgpr_spill_count: 0
    .wavefront_size: 64
  - .agpr_count:     0
    .args:
      - .offset:         0
        .size:           152
        .value_kind:     by_value
    .group_segment_fixed_size: 0
    .kernarg_segment_align: 8
    .kernarg_segment_size: 152
    .language:       OpenCL C
    .language_version:
      - 2
      - 0
    .max_flat_workgroup_size: 256
    .name:           _ZN7rocprim17ROCPRIM_400000_NS6detail17trampoline_kernelINS0_13select_configILj256ELj13ELNS0_17block_load_methodE3ELS4_3ELS4_3ELNS0_20block_scan_algorithmE0ELj4294967295EEENS1_25partition_config_selectorILNS1_17partition_subalgoE3EjNS0_10empty_typeEbEEZZNS1_14partition_implILS8_3ELb0ES6_jNS0_17counting_iteratorIjlEEPS9_SE_NS0_5tupleIJPjSE_EEENSF_IJSE_SE_EEES9_SG_JZNS1_25segmented_radix_sort_implINS0_14default_configELb1EPKbPbPKlPlN2at6native12_GLOBAL__N_18offset_tEEE10hipError_tPvRmT1_PNSt15iterator_traitsISY_E10value_typeET2_T3_PNSZ_IS14_E10value_typeET4_jRbjT5_S1A_jjP12ihipStream_tbEUljE_EEESV_SW_SX_S14_S18_S1A_T6_T7_T9_mT8_S1C_bDpT10_ENKUlT_T0_E_clISt17integral_constantIbLb0EES1O_IbLb1EEEEDaS1K_S1L_EUlS1K_E_NS1_11comp_targetILNS1_3genE5ELNS1_11target_archE942ELNS1_3gpuE9ELNS1_3repE0EEENS1_30default_config_static_selectorELNS0_4arch9wavefront6targetE1EEEvSY_
    .private_segment_fixed_size: 0
    .sgpr_count:     4
    .sgpr_spill_count: 0
    .symbol:         _ZN7rocprim17ROCPRIM_400000_NS6detail17trampoline_kernelINS0_13select_configILj256ELj13ELNS0_17block_load_methodE3ELS4_3ELS4_3ELNS0_20block_scan_algorithmE0ELj4294967295EEENS1_25partition_config_selectorILNS1_17partition_subalgoE3EjNS0_10empty_typeEbEEZZNS1_14partition_implILS8_3ELb0ES6_jNS0_17counting_iteratorIjlEEPS9_SE_NS0_5tupleIJPjSE_EEENSF_IJSE_SE_EEES9_SG_JZNS1_25segmented_radix_sort_implINS0_14default_configELb1EPKbPbPKlPlN2at6native12_GLOBAL__N_18offset_tEEE10hipError_tPvRmT1_PNSt15iterator_traitsISY_E10value_typeET2_T3_PNSZ_IS14_E10value_typeET4_jRbjT5_S1A_jjP12ihipStream_tbEUljE_EEESV_SW_SX_S14_S18_S1A_T6_T7_T9_mT8_S1C_bDpT10_ENKUlT_T0_E_clISt17integral_constantIbLb0EES1O_IbLb1EEEEDaS1K_S1L_EUlS1K_E_NS1_11comp_targetILNS1_3genE5ELNS1_11target_archE942ELNS1_3gpuE9ELNS1_3repE0EEENS1_30default_config_static_selectorELNS0_4arch9wavefront6targetE1EEEvSY_.kd
    .uniform_work_group_size: 1
    .uses_dynamic_stack: false
    .vgpr_count:     0
    .vgpr_spill_count: 0
    .wavefront_size: 64
  - .agpr_count:     0
    .args:
      - .offset:         0
        .size:           152
        .value_kind:     by_value
    .group_segment_fixed_size: 13324
    .kernarg_segment_align: 8
    .kernarg_segment_size: 152
    .language:       OpenCL C
    .language_version:
      - 2
      - 0
    .max_flat_workgroup_size: 256
    .name:           _ZN7rocprim17ROCPRIM_400000_NS6detail17trampoline_kernelINS0_13select_configILj256ELj13ELNS0_17block_load_methodE3ELS4_3ELS4_3ELNS0_20block_scan_algorithmE0ELj4294967295EEENS1_25partition_config_selectorILNS1_17partition_subalgoE3EjNS0_10empty_typeEbEEZZNS1_14partition_implILS8_3ELb0ES6_jNS0_17counting_iteratorIjlEEPS9_SE_NS0_5tupleIJPjSE_EEENSF_IJSE_SE_EEES9_SG_JZNS1_25segmented_radix_sort_implINS0_14default_configELb1EPKbPbPKlPlN2at6native12_GLOBAL__N_18offset_tEEE10hipError_tPvRmT1_PNSt15iterator_traitsISY_E10value_typeET2_T3_PNSZ_IS14_E10value_typeET4_jRbjT5_S1A_jjP12ihipStream_tbEUljE_EEESV_SW_SX_S14_S18_S1A_T6_T7_T9_mT8_S1C_bDpT10_ENKUlT_T0_E_clISt17integral_constantIbLb0EES1O_IbLb1EEEEDaS1K_S1L_EUlS1K_E_NS1_11comp_targetILNS1_3genE4ELNS1_11target_archE910ELNS1_3gpuE8ELNS1_3repE0EEENS1_30default_config_static_selectorELNS0_4arch9wavefront6targetE1EEEvSY_
    .private_segment_fixed_size: 0
    .sgpr_count:     48
    .sgpr_spill_count: 0
    .symbol:         _ZN7rocprim17ROCPRIM_400000_NS6detail17trampoline_kernelINS0_13select_configILj256ELj13ELNS0_17block_load_methodE3ELS4_3ELS4_3ELNS0_20block_scan_algorithmE0ELj4294967295EEENS1_25partition_config_selectorILNS1_17partition_subalgoE3EjNS0_10empty_typeEbEEZZNS1_14partition_implILS8_3ELb0ES6_jNS0_17counting_iteratorIjlEEPS9_SE_NS0_5tupleIJPjSE_EEENSF_IJSE_SE_EEES9_SG_JZNS1_25segmented_radix_sort_implINS0_14default_configELb1EPKbPbPKlPlN2at6native12_GLOBAL__N_18offset_tEEE10hipError_tPvRmT1_PNSt15iterator_traitsISY_E10value_typeET2_T3_PNSZ_IS14_E10value_typeET4_jRbjT5_S1A_jjP12ihipStream_tbEUljE_EEESV_SW_SX_S14_S18_S1A_T6_T7_T9_mT8_S1C_bDpT10_ENKUlT_T0_E_clISt17integral_constantIbLb0EES1O_IbLb1EEEEDaS1K_S1L_EUlS1K_E_NS1_11comp_targetILNS1_3genE4ELNS1_11target_archE910ELNS1_3gpuE8ELNS1_3repE0EEENS1_30default_config_static_selectorELNS0_4arch9wavefront6targetE1EEEvSY_.kd
    .uniform_work_group_size: 1
    .uses_dynamic_stack: false
    .vgpr_count:     64
    .vgpr_spill_count: 0
    .wavefront_size: 64
  - .agpr_count:     0
    .args:
      - .offset:         0
        .size:           152
        .value_kind:     by_value
    .group_segment_fixed_size: 0
    .kernarg_segment_align: 8
    .kernarg_segment_size: 152
    .language:       OpenCL C
    .language_version:
      - 2
      - 0
    .max_flat_workgroup_size: 256
    .name:           _ZN7rocprim17ROCPRIM_400000_NS6detail17trampoline_kernelINS0_13select_configILj256ELj13ELNS0_17block_load_methodE3ELS4_3ELS4_3ELNS0_20block_scan_algorithmE0ELj4294967295EEENS1_25partition_config_selectorILNS1_17partition_subalgoE3EjNS0_10empty_typeEbEEZZNS1_14partition_implILS8_3ELb0ES6_jNS0_17counting_iteratorIjlEEPS9_SE_NS0_5tupleIJPjSE_EEENSF_IJSE_SE_EEES9_SG_JZNS1_25segmented_radix_sort_implINS0_14default_configELb1EPKbPbPKlPlN2at6native12_GLOBAL__N_18offset_tEEE10hipError_tPvRmT1_PNSt15iterator_traitsISY_E10value_typeET2_T3_PNSZ_IS14_E10value_typeET4_jRbjT5_S1A_jjP12ihipStream_tbEUljE_EEESV_SW_SX_S14_S18_S1A_T6_T7_T9_mT8_S1C_bDpT10_ENKUlT_T0_E_clISt17integral_constantIbLb0EES1O_IbLb1EEEEDaS1K_S1L_EUlS1K_E_NS1_11comp_targetILNS1_3genE3ELNS1_11target_archE908ELNS1_3gpuE7ELNS1_3repE0EEENS1_30default_config_static_selectorELNS0_4arch9wavefront6targetE1EEEvSY_
    .private_segment_fixed_size: 0
    .sgpr_count:     4
    .sgpr_spill_count: 0
    .symbol:         _ZN7rocprim17ROCPRIM_400000_NS6detail17trampoline_kernelINS0_13select_configILj256ELj13ELNS0_17block_load_methodE3ELS4_3ELS4_3ELNS0_20block_scan_algorithmE0ELj4294967295EEENS1_25partition_config_selectorILNS1_17partition_subalgoE3EjNS0_10empty_typeEbEEZZNS1_14partition_implILS8_3ELb0ES6_jNS0_17counting_iteratorIjlEEPS9_SE_NS0_5tupleIJPjSE_EEENSF_IJSE_SE_EEES9_SG_JZNS1_25segmented_radix_sort_implINS0_14default_configELb1EPKbPbPKlPlN2at6native12_GLOBAL__N_18offset_tEEE10hipError_tPvRmT1_PNSt15iterator_traitsISY_E10value_typeET2_T3_PNSZ_IS14_E10value_typeET4_jRbjT5_S1A_jjP12ihipStream_tbEUljE_EEESV_SW_SX_S14_S18_S1A_T6_T7_T9_mT8_S1C_bDpT10_ENKUlT_T0_E_clISt17integral_constantIbLb0EES1O_IbLb1EEEEDaS1K_S1L_EUlS1K_E_NS1_11comp_targetILNS1_3genE3ELNS1_11target_archE908ELNS1_3gpuE7ELNS1_3repE0EEENS1_30default_config_static_selectorELNS0_4arch9wavefront6targetE1EEEvSY_.kd
    .uniform_work_group_size: 1
    .uses_dynamic_stack: false
    .vgpr_count:     0
    .vgpr_spill_count: 0
    .wavefront_size: 64
  - .agpr_count:     0
    .args:
      - .offset:         0
        .size:           152
        .value_kind:     by_value
    .group_segment_fixed_size: 0
    .kernarg_segment_align: 8
    .kernarg_segment_size: 152
    .language:       OpenCL C
    .language_version:
      - 2
      - 0
    .max_flat_workgroup_size: 256
    .name:           _ZN7rocprim17ROCPRIM_400000_NS6detail17trampoline_kernelINS0_13select_configILj256ELj13ELNS0_17block_load_methodE3ELS4_3ELS4_3ELNS0_20block_scan_algorithmE0ELj4294967295EEENS1_25partition_config_selectorILNS1_17partition_subalgoE3EjNS0_10empty_typeEbEEZZNS1_14partition_implILS8_3ELb0ES6_jNS0_17counting_iteratorIjlEEPS9_SE_NS0_5tupleIJPjSE_EEENSF_IJSE_SE_EEES9_SG_JZNS1_25segmented_radix_sort_implINS0_14default_configELb1EPKbPbPKlPlN2at6native12_GLOBAL__N_18offset_tEEE10hipError_tPvRmT1_PNSt15iterator_traitsISY_E10value_typeET2_T3_PNSZ_IS14_E10value_typeET4_jRbjT5_S1A_jjP12ihipStream_tbEUljE_EEESV_SW_SX_S14_S18_S1A_T6_T7_T9_mT8_S1C_bDpT10_ENKUlT_T0_E_clISt17integral_constantIbLb0EES1O_IbLb1EEEEDaS1K_S1L_EUlS1K_E_NS1_11comp_targetILNS1_3genE2ELNS1_11target_archE906ELNS1_3gpuE6ELNS1_3repE0EEENS1_30default_config_static_selectorELNS0_4arch9wavefront6targetE1EEEvSY_
    .private_segment_fixed_size: 0
    .sgpr_count:     4
    .sgpr_spill_count: 0
    .symbol:         _ZN7rocprim17ROCPRIM_400000_NS6detail17trampoline_kernelINS0_13select_configILj256ELj13ELNS0_17block_load_methodE3ELS4_3ELS4_3ELNS0_20block_scan_algorithmE0ELj4294967295EEENS1_25partition_config_selectorILNS1_17partition_subalgoE3EjNS0_10empty_typeEbEEZZNS1_14partition_implILS8_3ELb0ES6_jNS0_17counting_iteratorIjlEEPS9_SE_NS0_5tupleIJPjSE_EEENSF_IJSE_SE_EEES9_SG_JZNS1_25segmented_radix_sort_implINS0_14default_configELb1EPKbPbPKlPlN2at6native12_GLOBAL__N_18offset_tEEE10hipError_tPvRmT1_PNSt15iterator_traitsISY_E10value_typeET2_T3_PNSZ_IS14_E10value_typeET4_jRbjT5_S1A_jjP12ihipStream_tbEUljE_EEESV_SW_SX_S14_S18_S1A_T6_T7_T9_mT8_S1C_bDpT10_ENKUlT_T0_E_clISt17integral_constantIbLb0EES1O_IbLb1EEEEDaS1K_S1L_EUlS1K_E_NS1_11comp_targetILNS1_3genE2ELNS1_11target_archE906ELNS1_3gpuE6ELNS1_3repE0EEENS1_30default_config_static_selectorELNS0_4arch9wavefront6targetE1EEEvSY_.kd
    .uniform_work_group_size: 1
    .uses_dynamic_stack: false
    .vgpr_count:     0
    .vgpr_spill_count: 0
    .wavefront_size: 64
  - .agpr_count:     0
    .args:
      - .offset:         0
        .size:           152
        .value_kind:     by_value
    .group_segment_fixed_size: 0
    .kernarg_segment_align: 8
    .kernarg_segment_size: 152
    .language:       OpenCL C
    .language_version:
      - 2
      - 0
    .max_flat_workgroup_size: 256
    .name:           _ZN7rocprim17ROCPRIM_400000_NS6detail17trampoline_kernelINS0_13select_configILj256ELj13ELNS0_17block_load_methodE3ELS4_3ELS4_3ELNS0_20block_scan_algorithmE0ELj4294967295EEENS1_25partition_config_selectorILNS1_17partition_subalgoE3EjNS0_10empty_typeEbEEZZNS1_14partition_implILS8_3ELb0ES6_jNS0_17counting_iteratorIjlEEPS9_SE_NS0_5tupleIJPjSE_EEENSF_IJSE_SE_EEES9_SG_JZNS1_25segmented_radix_sort_implINS0_14default_configELb1EPKbPbPKlPlN2at6native12_GLOBAL__N_18offset_tEEE10hipError_tPvRmT1_PNSt15iterator_traitsISY_E10value_typeET2_T3_PNSZ_IS14_E10value_typeET4_jRbjT5_S1A_jjP12ihipStream_tbEUljE_EEESV_SW_SX_S14_S18_S1A_T6_T7_T9_mT8_S1C_bDpT10_ENKUlT_T0_E_clISt17integral_constantIbLb0EES1O_IbLb1EEEEDaS1K_S1L_EUlS1K_E_NS1_11comp_targetILNS1_3genE10ELNS1_11target_archE1200ELNS1_3gpuE4ELNS1_3repE0EEENS1_30default_config_static_selectorELNS0_4arch9wavefront6targetE1EEEvSY_
    .private_segment_fixed_size: 0
    .sgpr_count:     4
    .sgpr_spill_count: 0
    .symbol:         _ZN7rocprim17ROCPRIM_400000_NS6detail17trampoline_kernelINS0_13select_configILj256ELj13ELNS0_17block_load_methodE3ELS4_3ELS4_3ELNS0_20block_scan_algorithmE0ELj4294967295EEENS1_25partition_config_selectorILNS1_17partition_subalgoE3EjNS0_10empty_typeEbEEZZNS1_14partition_implILS8_3ELb0ES6_jNS0_17counting_iteratorIjlEEPS9_SE_NS0_5tupleIJPjSE_EEENSF_IJSE_SE_EEES9_SG_JZNS1_25segmented_radix_sort_implINS0_14default_configELb1EPKbPbPKlPlN2at6native12_GLOBAL__N_18offset_tEEE10hipError_tPvRmT1_PNSt15iterator_traitsISY_E10value_typeET2_T3_PNSZ_IS14_E10value_typeET4_jRbjT5_S1A_jjP12ihipStream_tbEUljE_EEESV_SW_SX_S14_S18_S1A_T6_T7_T9_mT8_S1C_bDpT10_ENKUlT_T0_E_clISt17integral_constantIbLb0EES1O_IbLb1EEEEDaS1K_S1L_EUlS1K_E_NS1_11comp_targetILNS1_3genE10ELNS1_11target_archE1200ELNS1_3gpuE4ELNS1_3repE0EEENS1_30default_config_static_selectorELNS0_4arch9wavefront6targetE1EEEvSY_.kd
    .uniform_work_group_size: 1
    .uses_dynamic_stack: false
    .vgpr_count:     0
    .vgpr_spill_count: 0
    .wavefront_size: 64
  - .agpr_count:     0
    .args:
      - .offset:         0
        .size:           152
        .value_kind:     by_value
    .group_segment_fixed_size: 0
    .kernarg_segment_align: 8
    .kernarg_segment_size: 152
    .language:       OpenCL C
    .language_version:
      - 2
      - 0
    .max_flat_workgroup_size: 256
    .name:           _ZN7rocprim17ROCPRIM_400000_NS6detail17trampoline_kernelINS0_13select_configILj256ELj13ELNS0_17block_load_methodE3ELS4_3ELS4_3ELNS0_20block_scan_algorithmE0ELj4294967295EEENS1_25partition_config_selectorILNS1_17partition_subalgoE3EjNS0_10empty_typeEbEEZZNS1_14partition_implILS8_3ELb0ES6_jNS0_17counting_iteratorIjlEEPS9_SE_NS0_5tupleIJPjSE_EEENSF_IJSE_SE_EEES9_SG_JZNS1_25segmented_radix_sort_implINS0_14default_configELb1EPKbPbPKlPlN2at6native12_GLOBAL__N_18offset_tEEE10hipError_tPvRmT1_PNSt15iterator_traitsISY_E10value_typeET2_T3_PNSZ_IS14_E10value_typeET4_jRbjT5_S1A_jjP12ihipStream_tbEUljE_EEESV_SW_SX_S14_S18_S1A_T6_T7_T9_mT8_S1C_bDpT10_ENKUlT_T0_E_clISt17integral_constantIbLb0EES1O_IbLb1EEEEDaS1K_S1L_EUlS1K_E_NS1_11comp_targetILNS1_3genE9ELNS1_11target_archE1100ELNS1_3gpuE3ELNS1_3repE0EEENS1_30default_config_static_selectorELNS0_4arch9wavefront6targetE1EEEvSY_
    .private_segment_fixed_size: 0
    .sgpr_count:     4
    .sgpr_spill_count: 0
    .symbol:         _ZN7rocprim17ROCPRIM_400000_NS6detail17trampoline_kernelINS0_13select_configILj256ELj13ELNS0_17block_load_methodE3ELS4_3ELS4_3ELNS0_20block_scan_algorithmE0ELj4294967295EEENS1_25partition_config_selectorILNS1_17partition_subalgoE3EjNS0_10empty_typeEbEEZZNS1_14partition_implILS8_3ELb0ES6_jNS0_17counting_iteratorIjlEEPS9_SE_NS0_5tupleIJPjSE_EEENSF_IJSE_SE_EEES9_SG_JZNS1_25segmented_radix_sort_implINS0_14default_configELb1EPKbPbPKlPlN2at6native12_GLOBAL__N_18offset_tEEE10hipError_tPvRmT1_PNSt15iterator_traitsISY_E10value_typeET2_T3_PNSZ_IS14_E10value_typeET4_jRbjT5_S1A_jjP12ihipStream_tbEUljE_EEESV_SW_SX_S14_S18_S1A_T6_T7_T9_mT8_S1C_bDpT10_ENKUlT_T0_E_clISt17integral_constantIbLb0EES1O_IbLb1EEEEDaS1K_S1L_EUlS1K_E_NS1_11comp_targetILNS1_3genE9ELNS1_11target_archE1100ELNS1_3gpuE3ELNS1_3repE0EEENS1_30default_config_static_selectorELNS0_4arch9wavefront6targetE1EEEvSY_.kd
    .uniform_work_group_size: 1
    .uses_dynamic_stack: false
    .vgpr_count:     0
    .vgpr_spill_count: 0
    .wavefront_size: 64
  - .agpr_count:     0
    .args:
      - .offset:         0
        .size:           152
        .value_kind:     by_value
    .group_segment_fixed_size: 0
    .kernarg_segment_align: 8
    .kernarg_segment_size: 152
    .language:       OpenCL C
    .language_version:
      - 2
      - 0
    .max_flat_workgroup_size: 256
    .name:           _ZN7rocprim17ROCPRIM_400000_NS6detail17trampoline_kernelINS0_13select_configILj256ELj13ELNS0_17block_load_methodE3ELS4_3ELS4_3ELNS0_20block_scan_algorithmE0ELj4294967295EEENS1_25partition_config_selectorILNS1_17partition_subalgoE3EjNS0_10empty_typeEbEEZZNS1_14partition_implILS8_3ELb0ES6_jNS0_17counting_iteratorIjlEEPS9_SE_NS0_5tupleIJPjSE_EEENSF_IJSE_SE_EEES9_SG_JZNS1_25segmented_radix_sort_implINS0_14default_configELb1EPKbPbPKlPlN2at6native12_GLOBAL__N_18offset_tEEE10hipError_tPvRmT1_PNSt15iterator_traitsISY_E10value_typeET2_T3_PNSZ_IS14_E10value_typeET4_jRbjT5_S1A_jjP12ihipStream_tbEUljE_EEESV_SW_SX_S14_S18_S1A_T6_T7_T9_mT8_S1C_bDpT10_ENKUlT_T0_E_clISt17integral_constantIbLb0EES1O_IbLb1EEEEDaS1K_S1L_EUlS1K_E_NS1_11comp_targetILNS1_3genE8ELNS1_11target_archE1030ELNS1_3gpuE2ELNS1_3repE0EEENS1_30default_config_static_selectorELNS0_4arch9wavefront6targetE1EEEvSY_
    .private_segment_fixed_size: 0
    .sgpr_count:     4
    .sgpr_spill_count: 0
    .symbol:         _ZN7rocprim17ROCPRIM_400000_NS6detail17trampoline_kernelINS0_13select_configILj256ELj13ELNS0_17block_load_methodE3ELS4_3ELS4_3ELNS0_20block_scan_algorithmE0ELj4294967295EEENS1_25partition_config_selectorILNS1_17partition_subalgoE3EjNS0_10empty_typeEbEEZZNS1_14partition_implILS8_3ELb0ES6_jNS0_17counting_iteratorIjlEEPS9_SE_NS0_5tupleIJPjSE_EEENSF_IJSE_SE_EEES9_SG_JZNS1_25segmented_radix_sort_implINS0_14default_configELb1EPKbPbPKlPlN2at6native12_GLOBAL__N_18offset_tEEE10hipError_tPvRmT1_PNSt15iterator_traitsISY_E10value_typeET2_T3_PNSZ_IS14_E10value_typeET4_jRbjT5_S1A_jjP12ihipStream_tbEUljE_EEESV_SW_SX_S14_S18_S1A_T6_T7_T9_mT8_S1C_bDpT10_ENKUlT_T0_E_clISt17integral_constantIbLb0EES1O_IbLb1EEEEDaS1K_S1L_EUlS1K_E_NS1_11comp_targetILNS1_3genE8ELNS1_11target_archE1030ELNS1_3gpuE2ELNS1_3repE0EEENS1_30default_config_static_selectorELNS0_4arch9wavefront6targetE1EEEvSY_.kd
    .uniform_work_group_size: 1
    .uses_dynamic_stack: false
    .vgpr_count:     0
    .vgpr_spill_count: 0
    .wavefront_size: 64
  - .agpr_count:     0
    .args:
      - .offset:         0
        .size:           96
        .value_kind:     by_value
    .group_segment_fixed_size: 0
    .kernarg_segment_align: 8
    .kernarg_segment_size: 96
    .language:       OpenCL C
    .language_version:
      - 2
      - 0
    .max_flat_workgroup_size: 256
    .name:           _ZN7rocprim17ROCPRIM_400000_NS6detail17trampoline_kernelINS0_14default_configENS1_36segmented_radix_sort_config_selectorIblEEZNS1_25segmented_radix_sort_implIS3_Lb1EPKbPbPKlPlN2at6native12_GLOBAL__N_18offset_tEEE10hipError_tPvRmT1_PNSt15iterator_traitsISK_E10value_typeET2_T3_PNSL_ISQ_E10value_typeET4_jRbjT5_SW_jjP12ihipStream_tbEUlT_E_NS1_11comp_targetILNS1_3genE0ELNS1_11target_archE4294967295ELNS1_3gpuE0ELNS1_3repE0EEENS1_30default_config_static_selectorELNS0_4arch9wavefront6targetE1EEEvSK_
    .private_segment_fixed_size: 0
    .sgpr_count:     4
    .sgpr_spill_count: 0
    .symbol:         _ZN7rocprim17ROCPRIM_400000_NS6detail17trampoline_kernelINS0_14default_configENS1_36segmented_radix_sort_config_selectorIblEEZNS1_25segmented_radix_sort_implIS3_Lb1EPKbPbPKlPlN2at6native12_GLOBAL__N_18offset_tEEE10hipError_tPvRmT1_PNSt15iterator_traitsISK_E10value_typeET2_T3_PNSL_ISQ_E10value_typeET4_jRbjT5_SW_jjP12ihipStream_tbEUlT_E_NS1_11comp_targetILNS1_3genE0ELNS1_11target_archE4294967295ELNS1_3gpuE0ELNS1_3repE0EEENS1_30default_config_static_selectorELNS0_4arch9wavefront6targetE1EEEvSK_.kd
    .uniform_work_group_size: 1
    .uses_dynamic_stack: false
    .vgpr_count:     0
    .vgpr_spill_count: 0
    .wavefront_size: 64
  - .agpr_count:     0
    .args:
      - .offset:         0
        .size:           96
        .value_kind:     by_value
    .group_segment_fixed_size: 0
    .kernarg_segment_align: 8
    .kernarg_segment_size: 96
    .language:       OpenCL C
    .language_version:
      - 2
      - 0
    .max_flat_workgroup_size: 256
    .name:           _ZN7rocprim17ROCPRIM_400000_NS6detail17trampoline_kernelINS0_14default_configENS1_36segmented_radix_sort_config_selectorIblEEZNS1_25segmented_radix_sort_implIS3_Lb1EPKbPbPKlPlN2at6native12_GLOBAL__N_18offset_tEEE10hipError_tPvRmT1_PNSt15iterator_traitsISK_E10value_typeET2_T3_PNSL_ISQ_E10value_typeET4_jRbjT5_SW_jjP12ihipStream_tbEUlT_E_NS1_11comp_targetILNS1_3genE5ELNS1_11target_archE942ELNS1_3gpuE9ELNS1_3repE0EEENS1_30default_config_static_selectorELNS0_4arch9wavefront6targetE1EEEvSK_
    .private_segment_fixed_size: 0
    .sgpr_count:     4
    .sgpr_spill_count: 0
    .symbol:         _ZN7rocprim17ROCPRIM_400000_NS6detail17trampoline_kernelINS0_14default_configENS1_36segmented_radix_sort_config_selectorIblEEZNS1_25segmented_radix_sort_implIS3_Lb1EPKbPbPKlPlN2at6native12_GLOBAL__N_18offset_tEEE10hipError_tPvRmT1_PNSt15iterator_traitsISK_E10value_typeET2_T3_PNSL_ISQ_E10value_typeET4_jRbjT5_SW_jjP12ihipStream_tbEUlT_E_NS1_11comp_targetILNS1_3genE5ELNS1_11target_archE942ELNS1_3gpuE9ELNS1_3repE0EEENS1_30default_config_static_selectorELNS0_4arch9wavefront6targetE1EEEvSK_.kd
    .uniform_work_group_size: 1
    .uses_dynamic_stack: false
    .vgpr_count:     0
    .vgpr_spill_count: 0
    .wavefront_size: 64
  - .agpr_count:     0
    .args:
      - .offset:         0
        .size:           96
        .value_kind:     by_value
      - .offset:         96
        .size:           4
        .value_kind:     hidden_block_count_x
      - .offset:         100
        .size:           4
        .value_kind:     hidden_block_count_y
      - .offset:         104
        .size:           4
        .value_kind:     hidden_block_count_z
      - .offset:         108
        .size:           2
        .value_kind:     hidden_group_size_x
      - .offset:         110
        .size:           2
        .value_kind:     hidden_group_size_y
      - .offset:         112
        .size:           2
        .value_kind:     hidden_group_size_z
      - .offset:         114
        .size:           2
        .value_kind:     hidden_remainder_x
      - .offset:         116
        .size:           2
        .value_kind:     hidden_remainder_y
      - .offset:         118
        .size:           2
        .value_kind:     hidden_remainder_z
      - .offset:         136
        .size:           8
        .value_kind:     hidden_global_offset_x
      - .offset:         144
        .size:           8
        .value_kind:     hidden_global_offset_y
      - .offset:         152
        .size:           8
        .value_kind:     hidden_global_offset_z
      - .offset:         160
        .size:           2
        .value_kind:     hidden_grid_dims
      - .offset:         176
        .size:           8
        .value_kind:     hidden_hostcall_buffer
      - .offset:         184
        .size:           8
        .value_kind:     hidden_multigrid_sync_arg
      - .offset:         192
        .size:           8
        .value_kind:     hidden_heap_v1
      - .offset:         200
        .size:           8
        .value_kind:     hidden_default_queue
      - .offset:         208
        .size:           8
        .value_kind:     hidden_completion_action
      - .offset:         296
        .size:           8
        .value_kind:     hidden_queue_ptr
    .group_segment_fixed_size: 17424
    .kernarg_segment_align: 8
    .kernarg_segment_size: 352
    .language:       OpenCL C
    .language_version:
      - 2
      - 0
    .max_flat_workgroup_size: 256
    .name:           _ZN7rocprim17ROCPRIM_400000_NS6detail17trampoline_kernelINS0_14default_configENS1_36segmented_radix_sort_config_selectorIblEEZNS1_25segmented_radix_sort_implIS3_Lb1EPKbPbPKlPlN2at6native12_GLOBAL__N_18offset_tEEE10hipError_tPvRmT1_PNSt15iterator_traitsISK_E10value_typeET2_T3_PNSL_ISQ_E10value_typeET4_jRbjT5_SW_jjP12ihipStream_tbEUlT_E_NS1_11comp_targetILNS1_3genE4ELNS1_11target_archE910ELNS1_3gpuE8ELNS1_3repE0EEENS1_30default_config_static_selectorELNS0_4arch9wavefront6targetE1EEEvSK_
    .private_segment_fixed_size: 8
    .sgpr_count:     93
    .sgpr_spill_count: 0
    .symbol:         _ZN7rocprim17ROCPRIM_400000_NS6detail17trampoline_kernelINS0_14default_configENS1_36segmented_radix_sort_config_selectorIblEEZNS1_25segmented_radix_sort_implIS3_Lb1EPKbPbPKlPlN2at6native12_GLOBAL__N_18offset_tEEE10hipError_tPvRmT1_PNSt15iterator_traitsISK_E10value_typeET2_T3_PNSL_ISQ_E10value_typeET4_jRbjT5_SW_jjP12ihipStream_tbEUlT_E_NS1_11comp_targetILNS1_3genE4ELNS1_11target_archE910ELNS1_3gpuE8ELNS1_3repE0EEENS1_30default_config_static_selectorELNS0_4arch9wavefront6targetE1EEEvSK_.kd
    .uniform_work_group_size: 1
    .uses_dynamic_stack: false
    .vgpr_count:     168
    .vgpr_spill_count: 0
    .wavefront_size: 64
  - .agpr_count:     0
    .args:
      - .offset:         0
        .size:           96
        .value_kind:     by_value
    .group_segment_fixed_size: 0
    .kernarg_segment_align: 8
    .kernarg_segment_size: 96
    .language:       OpenCL C
    .language_version:
      - 2
      - 0
    .max_flat_workgroup_size: 256
    .name:           _ZN7rocprim17ROCPRIM_400000_NS6detail17trampoline_kernelINS0_14default_configENS1_36segmented_radix_sort_config_selectorIblEEZNS1_25segmented_radix_sort_implIS3_Lb1EPKbPbPKlPlN2at6native12_GLOBAL__N_18offset_tEEE10hipError_tPvRmT1_PNSt15iterator_traitsISK_E10value_typeET2_T3_PNSL_ISQ_E10value_typeET4_jRbjT5_SW_jjP12ihipStream_tbEUlT_E_NS1_11comp_targetILNS1_3genE3ELNS1_11target_archE908ELNS1_3gpuE7ELNS1_3repE0EEENS1_30default_config_static_selectorELNS0_4arch9wavefront6targetE1EEEvSK_
    .private_segment_fixed_size: 0
    .sgpr_count:     4
    .sgpr_spill_count: 0
    .symbol:         _ZN7rocprim17ROCPRIM_400000_NS6detail17trampoline_kernelINS0_14default_configENS1_36segmented_radix_sort_config_selectorIblEEZNS1_25segmented_radix_sort_implIS3_Lb1EPKbPbPKlPlN2at6native12_GLOBAL__N_18offset_tEEE10hipError_tPvRmT1_PNSt15iterator_traitsISK_E10value_typeET2_T3_PNSL_ISQ_E10value_typeET4_jRbjT5_SW_jjP12ihipStream_tbEUlT_E_NS1_11comp_targetILNS1_3genE3ELNS1_11target_archE908ELNS1_3gpuE7ELNS1_3repE0EEENS1_30default_config_static_selectorELNS0_4arch9wavefront6targetE1EEEvSK_.kd
    .uniform_work_group_size: 1
    .uses_dynamic_stack: false
    .vgpr_count:     0
    .vgpr_spill_count: 0
    .wavefront_size: 64
  - .agpr_count:     0
    .args:
      - .offset:         0
        .size:           96
        .value_kind:     by_value
    .group_segment_fixed_size: 0
    .kernarg_segment_align: 8
    .kernarg_segment_size: 96
    .language:       OpenCL C
    .language_version:
      - 2
      - 0
    .max_flat_workgroup_size: 256
    .name:           _ZN7rocprim17ROCPRIM_400000_NS6detail17trampoline_kernelINS0_14default_configENS1_36segmented_radix_sort_config_selectorIblEEZNS1_25segmented_radix_sort_implIS3_Lb1EPKbPbPKlPlN2at6native12_GLOBAL__N_18offset_tEEE10hipError_tPvRmT1_PNSt15iterator_traitsISK_E10value_typeET2_T3_PNSL_ISQ_E10value_typeET4_jRbjT5_SW_jjP12ihipStream_tbEUlT_E_NS1_11comp_targetILNS1_3genE2ELNS1_11target_archE906ELNS1_3gpuE6ELNS1_3repE0EEENS1_30default_config_static_selectorELNS0_4arch9wavefront6targetE1EEEvSK_
    .private_segment_fixed_size: 0
    .sgpr_count:     4
    .sgpr_spill_count: 0
    .symbol:         _ZN7rocprim17ROCPRIM_400000_NS6detail17trampoline_kernelINS0_14default_configENS1_36segmented_radix_sort_config_selectorIblEEZNS1_25segmented_radix_sort_implIS3_Lb1EPKbPbPKlPlN2at6native12_GLOBAL__N_18offset_tEEE10hipError_tPvRmT1_PNSt15iterator_traitsISK_E10value_typeET2_T3_PNSL_ISQ_E10value_typeET4_jRbjT5_SW_jjP12ihipStream_tbEUlT_E_NS1_11comp_targetILNS1_3genE2ELNS1_11target_archE906ELNS1_3gpuE6ELNS1_3repE0EEENS1_30default_config_static_selectorELNS0_4arch9wavefront6targetE1EEEvSK_.kd
    .uniform_work_group_size: 1
    .uses_dynamic_stack: false
    .vgpr_count:     0
    .vgpr_spill_count: 0
    .wavefront_size: 64
  - .agpr_count:     0
    .args:
      - .offset:         0
        .size:           96
        .value_kind:     by_value
    .group_segment_fixed_size: 0
    .kernarg_segment_align: 8
    .kernarg_segment_size: 96
    .language:       OpenCL C
    .language_version:
      - 2
      - 0
    .max_flat_workgroup_size: 256
    .name:           _ZN7rocprim17ROCPRIM_400000_NS6detail17trampoline_kernelINS0_14default_configENS1_36segmented_radix_sort_config_selectorIblEEZNS1_25segmented_radix_sort_implIS3_Lb1EPKbPbPKlPlN2at6native12_GLOBAL__N_18offset_tEEE10hipError_tPvRmT1_PNSt15iterator_traitsISK_E10value_typeET2_T3_PNSL_ISQ_E10value_typeET4_jRbjT5_SW_jjP12ihipStream_tbEUlT_E_NS1_11comp_targetILNS1_3genE10ELNS1_11target_archE1201ELNS1_3gpuE5ELNS1_3repE0EEENS1_30default_config_static_selectorELNS0_4arch9wavefront6targetE1EEEvSK_
    .private_segment_fixed_size: 0
    .sgpr_count:     4
    .sgpr_spill_count: 0
    .symbol:         _ZN7rocprim17ROCPRIM_400000_NS6detail17trampoline_kernelINS0_14default_configENS1_36segmented_radix_sort_config_selectorIblEEZNS1_25segmented_radix_sort_implIS3_Lb1EPKbPbPKlPlN2at6native12_GLOBAL__N_18offset_tEEE10hipError_tPvRmT1_PNSt15iterator_traitsISK_E10value_typeET2_T3_PNSL_ISQ_E10value_typeET4_jRbjT5_SW_jjP12ihipStream_tbEUlT_E_NS1_11comp_targetILNS1_3genE10ELNS1_11target_archE1201ELNS1_3gpuE5ELNS1_3repE0EEENS1_30default_config_static_selectorELNS0_4arch9wavefront6targetE1EEEvSK_.kd
    .uniform_work_group_size: 1
    .uses_dynamic_stack: false
    .vgpr_count:     0
    .vgpr_spill_count: 0
    .wavefront_size: 64
  - .agpr_count:     0
    .args:
      - .offset:         0
        .size:           96
        .value_kind:     by_value
    .group_segment_fixed_size: 0
    .kernarg_segment_align: 8
    .kernarg_segment_size: 96
    .language:       OpenCL C
    .language_version:
      - 2
      - 0
    .max_flat_workgroup_size: 128
    .name:           _ZN7rocprim17ROCPRIM_400000_NS6detail17trampoline_kernelINS0_14default_configENS1_36segmented_radix_sort_config_selectorIblEEZNS1_25segmented_radix_sort_implIS3_Lb1EPKbPbPKlPlN2at6native12_GLOBAL__N_18offset_tEEE10hipError_tPvRmT1_PNSt15iterator_traitsISK_E10value_typeET2_T3_PNSL_ISQ_E10value_typeET4_jRbjT5_SW_jjP12ihipStream_tbEUlT_E_NS1_11comp_targetILNS1_3genE10ELNS1_11target_archE1200ELNS1_3gpuE4ELNS1_3repE0EEENS1_30default_config_static_selectorELNS0_4arch9wavefront6targetE1EEEvSK_
    .private_segment_fixed_size: 0
    .sgpr_count:     4
    .sgpr_spill_count: 0
    .symbol:         _ZN7rocprim17ROCPRIM_400000_NS6detail17trampoline_kernelINS0_14default_configENS1_36segmented_radix_sort_config_selectorIblEEZNS1_25segmented_radix_sort_implIS3_Lb1EPKbPbPKlPlN2at6native12_GLOBAL__N_18offset_tEEE10hipError_tPvRmT1_PNSt15iterator_traitsISK_E10value_typeET2_T3_PNSL_ISQ_E10value_typeET4_jRbjT5_SW_jjP12ihipStream_tbEUlT_E_NS1_11comp_targetILNS1_3genE10ELNS1_11target_archE1200ELNS1_3gpuE4ELNS1_3repE0EEENS1_30default_config_static_selectorELNS0_4arch9wavefront6targetE1EEEvSK_.kd
    .uniform_work_group_size: 1
    .uses_dynamic_stack: false
    .vgpr_count:     0
    .vgpr_spill_count: 0
    .wavefront_size: 64
  - .agpr_count:     0
    .args:
      - .offset:         0
        .size:           96
        .value_kind:     by_value
    .group_segment_fixed_size: 0
    .kernarg_segment_align: 8
    .kernarg_segment_size: 96
    .language:       OpenCL C
    .language_version:
      - 2
      - 0
    .max_flat_workgroup_size: 256
    .name:           _ZN7rocprim17ROCPRIM_400000_NS6detail17trampoline_kernelINS0_14default_configENS1_36segmented_radix_sort_config_selectorIblEEZNS1_25segmented_radix_sort_implIS3_Lb1EPKbPbPKlPlN2at6native12_GLOBAL__N_18offset_tEEE10hipError_tPvRmT1_PNSt15iterator_traitsISK_E10value_typeET2_T3_PNSL_ISQ_E10value_typeET4_jRbjT5_SW_jjP12ihipStream_tbEUlT_E_NS1_11comp_targetILNS1_3genE9ELNS1_11target_archE1100ELNS1_3gpuE3ELNS1_3repE0EEENS1_30default_config_static_selectorELNS0_4arch9wavefront6targetE1EEEvSK_
    .private_segment_fixed_size: 0
    .sgpr_count:     4
    .sgpr_spill_count: 0
    .symbol:         _ZN7rocprim17ROCPRIM_400000_NS6detail17trampoline_kernelINS0_14default_configENS1_36segmented_radix_sort_config_selectorIblEEZNS1_25segmented_radix_sort_implIS3_Lb1EPKbPbPKlPlN2at6native12_GLOBAL__N_18offset_tEEE10hipError_tPvRmT1_PNSt15iterator_traitsISK_E10value_typeET2_T3_PNSL_ISQ_E10value_typeET4_jRbjT5_SW_jjP12ihipStream_tbEUlT_E_NS1_11comp_targetILNS1_3genE9ELNS1_11target_archE1100ELNS1_3gpuE3ELNS1_3repE0EEENS1_30default_config_static_selectorELNS0_4arch9wavefront6targetE1EEEvSK_.kd
    .uniform_work_group_size: 1
    .uses_dynamic_stack: false
    .vgpr_count:     0
    .vgpr_spill_count: 0
    .wavefront_size: 64
  - .agpr_count:     0
    .args:
      - .offset:         0
        .size:           96
        .value_kind:     by_value
    .group_segment_fixed_size: 0
    .kernarg_segment_align: 8
    .kernarg_segment_size: 96
    .language:       OpenCL C
    .language_version:
      - 2
      - 0
    .max_flat_workgroup_size: 256
    .name:           _ZN7rocprim17ROCPRIM_400000_NS6detail17trampoline_kernelINS0_14default_configENS1_36segmented_radix_sort_config_selectorIblEEZNS1_25segmented_radix_sort_implIS3_Lb1EPKbPbPKlPlN2at6native12_GLOBAL__N_18offset_tEEE10hipError_tPvRmT1_PNSt15iterator_traitsISK_E10value_typeET2_T3_PNSL_ISQ_E10value_typeET4_jRbjT5_SW_jjP12ihipStream_tbEUlT_E_NS1_11comp_targetILNS1_3genE8ELNS1_11target_archE1030ELNS1_3gpuE2ELNS1_3repE0EEENS1_30default_config_static_selectorELNS0_4arch9wavefront6targetE1EEEvSK_
    .private_segment_fixed_size: 0
    .sgpr_count:     4
    .sgpr_spill_count: 0
    .symbol:         _ZN7rocprim17ROCPRIM_400000_NS6detail17trampoline_kernelINS0_14default_configENS1_36segmented_radix_sort_config_selectorIblEEZNS1_25segmented_radix_sort_implIS3_Lb1EPKbPbPKlPlN2at6native12_GLOBAL__N_18offset_tEEE10hipError_tPvRmT1_PNSt15iterator_traitsISK_E10value_typeET2_T3_PNSL_ISQ_E10value_typeET4_jRbjT5_SW_jjP12ihipStream_tbEUlT_E_NS1_11comp_targetILNS1_3genE8ELNS1_11target_archE1030ELNS1_3gpuE2ELNS1_3repE0EEENS1_30default_config_static_selectorELNS0_4arch9wavefront6targetE1EEEvSK_.kd
    .uniform_work_group_size: 1
    .uses_dynamic_stack: false
    .vgpr_count:     0
    .vgpr_spill_count: 0
    .wavefront_size: 64
  - .agpr_count:     0
    .args:
      - .offset:         0
        .size:           88
        .value_kind:     by_value
    .group_segment_fixed_size: 0
    .kernarg_segment_align: 8
    .kernarg_segment_size: 88
    .language:       OpenCL C
    .language_version:
      - 2
      - 0
    .max_flat_workgroup_size: 256
    .name:           _ZN7rocprim17ROCPRIM_400000_NS6detail17trampoline_kernelINS0_14default_configENS1_36segmented_radix_sort_config_selectorIblEEZNS1_25segmented_radix_sort_implIS3_Lb1EPKbPbPKlPlN2at6native12_GLOBAL__N_18offset_tEEE10hipError_tPvRmT1_PNSt15iterator_traitsISK_E10value_typeET2_T3_PNSL_ISQ_E10value_typeET4_jRbjT5_SW_jjP12ihipStream_tbEUlT_E0_NS1_11comp_targetILNS1_3genE0ELNS1_11target_archE4294967295ELNS1_3gpuE0ELNS1_3repE0EEENS1_60segmented_radix_sort_warp_sort_medium_config_static_selectorELNS0_4arch9wavefront6targetE1EEEvSK_
    .private_segment_fixed_size: 0
    .sgpr_count:     4
    .sgpr_spill_count: 0
    .symbol:         _ZN7rocprim17ROCPRIM_400000_NS6detail17trampoline_kernelINS0_14default_configENS1_36segmented_radix_sort_config_selectorIblEEZNS1_25segmented_radix_sort_implIS3_Lb1EPKbPbPKlPlN2at6native12_GLOBAL__N_18offset_tEEE10hipError_tPvRmT1_PNSt15iterator_traitsISK_E10value_typeET2_T3_PNSL_ISQ_E10value_typeET4_jRbjT5_SW_jjP12ihipStream_tbEUlT_E0_NS1_11comp_targetILNS1_3genE0ELNS1_11target_archE4294967295ELNS1_3gpuE0ELNS1_3repE0EEENS1_60segmented_radix_sort_warp_sort_medium_config_static_selectorELNS0_4arch9wavefront6targetE1EEEvSK_.kd
    .uniform_work_group_size: 1
    .uses_dynamic_stack: false
    .vgpr_count:     0
    .vgpr_spill_count: 0
    .wavefront_size: 64
  - .agpr_count:     0
    .args:
      - .offset:         0
        .size:           88
        .value_kind:     by_value
    .group_segment_fixed_size: 0
    .kernarg_segment_align: 8
    .kernarg_segment_size: 88
    .language:       OpenCL C
    .language_version:
      - 2
      - 0
    .max_flat_workgroup_size: 256
    .name:           _ZN7rocprim17ROCPRIM_400000_NS6detail17trampoline_kernelINS0_14default_configENS1_36segmented_radix_sort_config_selectorIblEEZNS1_25segmented_radix_sort_implIS3_Lb1EPKbPbPKlPlN2at6native12_GLOBAL__N_18offset_tEEE10hipError_tPvRmT1_PNSt15iterator_traitsISK_E10value_typeET2_T3_PNSL_ISQ_E10value_typeET4_jRbjT5_SW_jjP12ihipStream_tbEUlT_E0_NS1_11comp_targetILNS1_3genE5ELNS1_11target_archE942ELNS1_3gpuE9ELNS1_3repE0EEENS1_60segmented_radix_sort_warp_sort_medium_config_static_selectorELNS0_4arch9wavefront6targetE1EEEvSK_
    .private_segment_fixed_size: 0
    .sgpr_count:     4
    .sgpr_spill_count: 0
    .symbol:         _ZN7rocprim17ROCPRIM_400000_NS6detail17trampoline_kernelINS0_14default_configENS1_36segmented_radix_sort_config_selectorIblEEZNS1_25segmented_radix_sort_implIS3_Lb1EPKbPbPKlPlN2at6native12_GLOBAL__N_18offset_tEEE10hipError_tPvRmT1_PNSt15iterator_traitsISK_E10value_typeET2_T3_PNSL_ISQ_E10value_typeET4_jRbjT5_SW_jjP12ihipStream_tbEUlT_E0_NS1_11comp_targetILNS1_3genE5ELNS1_11target_archE942ELNS1_3gpuE9ELNS1_3repE0EEENS1_60segmented_radix_sort_warp_sort_medium_config_static_selectorELNS0_4arch9wavefront6targetE1EEEvSK_.kd
    .uniform_work_group_size: 1
    .uses_dynamic_stack: false
    .vgpr_count:     0
    .vgpr_spill_count: 0
    .wavefront_size: 64
  - .agpr_count:     0
    .args:
      - .offset:         0
        .size:           88
        .value_kind:     by_value
      - .offset:         88
        .size:           4
        .value_kind:     hidden_block_count_x
      - .offset:         92
        .size:           4
        .value_kind:     hidden_block_count_y
      - .offset:         96
        .size:           4
        .value_kind:     hidden_block_count_z
      - .offset:         100
        .size:           2
        .value_kind:     hidden_group_size_x
      - .offset:         102
        .size:           2
        .value_kind:     hidden_group_size_y
      - .offset:         104
        .size:           2
        .value_kind:     hidden_group_size_z
      - .offset:         106
        .size:           2
        .value_kind:     hidden_remainder_x
      - .offset:         108
        .size:           2
        .value_kind:     hidden_remainder_y
      - .offset:         110
        .size:           2
        .value_kind:     hidden_remainder_z
      - .offset:         128
        .size:           8
        .value_kind:     hidden_global_offset_x
      - .offset:         136
        .size:           8
        .value_kind:     hidden_global_offset_y
      - .offset:         144
        .size:           8
        .value_kind:     hidden_global_offset_z
      - .offset:         152
        .size:           2
        .value_kind:     hidden_grid_dims
      - .offset:         168
        .size:           8
        .value_kind:     hidden_hostcall_buffer
      - .offset:         176
        .size:           8
        .value_kind:     hidden_multigrid_sync_arg
      - .offset:         184
        .size:           8
        .value_kind:     hidden_heap_v1
      - .offset:         192
        .size:           8
        .value_kind:     hidden_default_queue
      - .offset:         200
        .size:           8
        .value_kind:     hidden_completion_action
      - .offset:         288
        .size:           8
        .value_kind:     hidden_queue_ptr
    .group_segment_fixed_size: 18432
    .kernarg_segment_align: 8
    .kernarg_segment_size: 344
    .language:       OpenCL C
    .language_version:
      - 2
      - 0
    .max_flat_workgroup_size: 256
    .name:           _ZN7rocprim17ROCPRIM_400000_NS6detail17trampoline_kernelINS0_14default_configENS1_36segmented_radix_sort_config_selectorIblEEZNS1_25segmented_radix_sort_implIS3_Lb1EPKbPbPKlPlN2at6native12_GLOBAL__N_18offset_tEEE10hipError_tPvRmT1_PNSt15iterator_traitsISK_E10value_typeET2_T3_PNSL_ISQ_E10value_typeET4_jRbjT5_SW_jjP12ihipStream_tbEUlT_E0_NS1_11comp_targetILNS1_3genE4ELNS1_11target_archE910ELNS1_3gpuE8ELNS1_3repE0EEENS1_60segmented_radix_sort_warp_sort_medium_config_static_selectorELNS0_4arch9wavefront6targetE1EEEvSK_
    .private_segment_fixed_size: 8
    .sgpr_count:     66
    .sgpr_spill_count: 0
    .symbol:         _ZN7rocprim17ROCPRIM_400000_NS6detail17trampoline_kernelINS0_14default_configENS1_36segmented_radix_sort_config_selectorIblEEZNS1_25segmented_radix_sort_implIS3_Lb1EPKbPbPKlPlN2at6native12_GLOBAL__N_18offset_tEEE10hipError_tPvRmT1_PNSt15iterator_traitsISK_E10value_typeET2_T3_PNSL_ISQ_E10value_typeET4_jRbjT5_SW_jjP12ihipStream_tbEUlT_E0_NS1_11comp_targetILNS1_3genE4ELNS1_11target_archE910ELNS1_3gpuE8ELNS1_3repE0EEENS1_60segmented_radix_sort_warp_sort_medium_config_static_selectorELNS0_4arch9wavefront6targetE1EEEvSK_.kd
    .uniform_work_group_size: 1
    .uses_dynamic_stack: false
    .vgpr_count:     71
    .vgpr_spill_count: 0
    .wavefront_size: 64
  - .agpr_count:     0
    .args:
      - .offset:         0
        .size:           88
        .value_kind:     by_value
    .group_segment_fixed_size: 0
    .kernarg_segment_align: 8
    .kernarg_segment_size: 88
    .language:       OpenCL C
    .language_version:
      - 2
      - 0
    .max_flat_workgroup_size: 256
    .name:           _ZN7rocprim17ROCPRIM_400000_NS6detail17trampoline_kernelINS0_14default_configENS1_36segmented_radix_sort_config_selectorIblEEZNS1_25segmented_radix_sort_implIS3_Lb1EPKbPbPKlPlN2at6native12_GLOBAL__N_18offset_tEEE10hipError_tPvRmT1_PNSt15iterator_traitsISK_E10value_typeET2_T3_PNSL_ISQ_E10value_typeET4_jRbjT5_SW_jjP12ihipStream_tbEUlT_E0_NS1_11comp_targetILNS1_3genE3ELNS1_11target_archE908ELNS1_3gpuE7ELNS1_3repE0EEENS1_60segmented_radix_sort_warp_sort_medium_config_static_selectorELNS0_4arch9wavefront6targetE1EEEvSK_
    .private_segment_fixed_size: 0
    .sgpr_count:     4
    .sgpr_spill_count: 0
    .symbol:         _ZN7rocprim17ROCPRIM_400000_NS6detail17trampoline_kernelINS0_14default_configENS1_36segmented_radix_sort_config_selectorIblEEZNS1_25segmented_radix_sort_implIS3_Lb1EPKbPbPKlPlN2at6native12_GLOBAL__N_18offset_tEEE10hipError_tPvRmT1_PNSt15iterator_traitsISK_E10value_typeET2_T3_PNSL_ISQ_E10value_typeET4_jRbjT5_SW_jjP12ihipStream_tbEUlT_E0_NS1_11comp_targetILNS1_3genE3ELNS1_11target_archE908ELNS1_3gpuE7ELNS1_3repE0EEENS1_60segmented_radix_sort_warp_sort_medium_config_static_selectorELNS0_4arch9wavefront6targetE1EEEvSK_.kd
    .uniform_work_group_size: 1
    .uses_dynamic_stack: false
    .vgpr_count:     0
    .vgpr_spill_count: 0
    .wavefront_size: 64
  - .agpr_count:     0
    .args:
      - .offset:         0
        .size:           88
        .value_kind:     by_value
    .group_segment_fixed_size: 0
    .kernarg_segment_align: 8
    .kernarg_segment_size: 88
    .language:       OpenCL C
    .language_version:
      - 2
      - 0
    .max_flat_workgroup_size: 256
    .name:           _ZN7rocprim17ROCPRIM_400000_NS6detail17trampoline_kernelINS0_14default_configENS1_36segmented_radix_sort_config_selectorIblEEZNS1_25segmented_radix_sort_implIS3_Lb1EPKbPbPKlPlN2at6native12_GLOBAL__N_18offset_tEEE10hipError_tPvRmT1_PNSt15iterator_traitsISK_E10value_typeET2_T3_PNSL_ISQ_E10value_typeET4_jRbjT5_SW_jjP12ihipStream_tbEUlT_E0_NS1_11comp_targetILNS1_3genE2ELNS1_11target_archE906ELNS1_3gpuE6ELNS1_3repE0EEENS1_60segmented_radix_sort_warp_sort_medium_config_static_selectorELNS0_4arch9wavefront6targetE1EEEvSK_
    .private_segment_fixed_size: 0
    .sgpr_count:     4
    .sgpr_spill_count: 0
    .symbol:         _ZN7rocprim17ROCPRIM_400000_NS6detail17trampoline_kernelINS0_14default_configENS1_36segmented_radix_sort_config_selectorIblEEZNS1_25segmented_radix_sort_implIS3_Lb1EPKbPbPKlPlN2at6native12_GLOBAL__N_18offset_tEEE10hipError_tPvRmT1_PNSt15iterator_traitsISK_E10value_typeET2_T3_PNSL_ISQ_E10value_typeET4_jRbjT5_SW_jjP12ihipStream_tbEUlT_E0_NS1_11comp_targetILNS1_3genE2ELNS1_11target_archE906ELNS1_3gpuE6ELNS1_3repE0EEENS1_60segmented_radix_sort_warp_sort_medium_config_static_selectorELNS0_4arch9wavefront6targetE1EEEvSK_.kd
    .uniform_work_group_size: 1
    .uses_dynamic_stack: false
    .vgpr_count:     0
    .vgpr_spill_count: 0
    .wavefront_size: 64
  - .agpr_count:     0
    .args:
      - .offset:         0
        .size:           88
        .value_kind:     by_value
    .group_segment_fixed_size: 0
    .kernarg_segment_align: 8
    .kernarg_segment_size: 88
    .language:       OpenCL C
    .language_version:
      - 2
      - 0
    .max_flat_workgroup_size: 256
    .name:           _ZN7rocprim17ROCPRIM_400000_NS6detail17trampoline_kernelINS0_14default_configENS1_36segmented_radix_sort_config_selectorIblEEZNS1_25segmented_radix_sort_implIS3_Lb1EPKbPbPKlPlN2at6native12_GLOBAL__N_18offset_tEEE10hipError_tPvRmT1_PNSt15iterator_traitsISK_E10value_typeET2_T3_PNSL_ISQ_E10value_typeET4_jRbjT5_SW_jjP12ihipStream_tbEUlT_E0_NS1_11comp_targetILNS1_3genE10ELNS1_11target_archE1201ELNS1_3gpuE5ELNS1_3repE0EEENS1_60segmented_radix_sort_warp_sort_medium_config_static_selectorELNS0_4arch9wavefront6targetE1EEEvSK_
    .private_segment_fixed_size: 0
    .sgpr_count:     4
    .sgpr_spill_count: 0
    .symbol:         _ZN7rocprim17ROCPRIM_400000_NS6detail17trampoline_kernelINS0_14default_configENS1_36segmented_radix_sort_config_selectorIblEEZNS1_25segmented_radix_sort_implIS3_Lb1EPKbPbPKlPlN2at6native12_GLOBAL__N_18offset_tEEE10hipError_tPvRmT1_PNSt15iterator_traitsISK_E10value_typeET2_T3_PNSL_ISQ_E10value_typeET4_jRbjT5_SW_jjP12ihipStream_tbEUlT_E0_NS1_11comp_targetILNS1_3genE10ELNS1_11target_archE1201ELNS1_3gpuE5ELNS1_3repE0EEENS1_60segmented_radix_sort_warp_sort_medium_config_static_selectorELNS0_4arch9wavefront6targetE1EEEvSK_.kd
    .uniform_work_group_size: 1
    .uses_dynamic_stack: false
    .vgpr_count:     0
    .vgpr_spill_count: 0
    .wavefront_size: 64
  - .agpr_count:     0
    .args:
      - .offset:         0
        .size:           88
        .value_kind:     by_value
    .group_segment_fixed_size: 0
    .kernarg_segment_align: 8
    .kernarg_segment_size: 88
    .language:       OpenCL C
    .language_version:
      - 2
      - 0
    .max_flat_workgroup_size: 256
    .name:           _ZN7rocprim17ROCPRIM_400000_NS6detail17trampoline_kernelINS0_14default_configENS1_36segmented_radix_sort_config_selectorIblEEZNS1_25segmented_radix_sort_implIS3_Lb1EPKbPbPKlPlN2at6native12_GLOBAL__N_18offset_tEEE10hipError_tPvRmT1_PNSt15iterator_traitsISK_E10value_typeET2_T3_PNSL_ISQ_E10value_typeET4_jRbjT5_SW_jjP12ihipStream_tbEUlT_E0_NS1_11comp_targetILNS1_3genE10ELNS1_11target_archE1200ELNS1_3gpuE4ELNS1_3repE0EEENS1_60segmented_radix_sort_warp_sort_medium_config_static_selectorELNS0_4arch9wavefront6targetE1EEEvSK_
    .private_segment_fixed_size: 0
    .sgpr_count:     4
    .sgpr_spill_count: 0
    .symbol:         _ZN7rocprim17ROCPRIM_400000_NS6detail17trampoline_kernelINS0_14default_configENS1_36segmented_radix_sort_config_selectorIblEEZNS1_25segmented_radix_sort_implIS3_Lb1EPKbPbPKlPlN2at6native12_GLOBAL__N_18offset_tEEE10hipError_tPvRmT1_PNSt15iterator_traitsISK_E10value_typeET2_T3_PNSL_ISQ_E10value_typeET4_jRbjT5_SW_jjP12ihipStream_tbEUlT_E0_NS1_11comp_targetILNS1_3genE10ELNS1_11target_archE1200ELNS1_3gpuE4ELNS1_3repE0EEENS1_60segmented_radix_sort_warp_sort_medium_config_static_selectorELNS0_4arch9wavefront6targetE1EEEvSK_.kd
    .uniform_work_group_size: 1
    .uses_dynamic_stack: false
    .vgpr_count:     0
    .vgpr_spill_count: 0
    .wavefront_size: 64
  - .agpr_count:     0
    .args:
      - .offset:         0
        .size:           88
        .value_kind:     by_value
    .group_segment_fixed_size: 0
    .kernarg_segment_align: 8
    .kernarg_segment_size: 88
    .language:       OpenCL C
    .language_version:
      - 2
      - 0
    .max_flat_workgroup_size: 256
    .name:           _ZN7rocprim17ROCPRIM_400000_NS6detail17trampoline_kernelINS0_14default_configENS1_36segmented_radix_sort_config_selectorIblEEZNS1_25segmented_radix_sort_implIS3_Lb1EPKbPbPKlPlN2at6native12_GLOBAL__N_18offset_tEEE10hipError_tPvRmT1_PNSt15iterator_traitsISK_E10value_typeET2_T3_PNSL_ISQ_E10value_typeET4_jRbjT5_SW_jjP12ihipStream_tbEUlT_E0_NS1_11comp_targetILNS1_3genE9ELNS1_11target_archE1100ELNS1_3gpuE3ELNS1_3repE0EEENS1_60segmented_radix_sort_warp_sort_medium_config_static_selectorELNS0_4arch9wavefront6targetE1EEEvSK_
    .private_segment_fixed_size: 0
    .sgpr_count:     4
    .sgpr_spill_count: 0
    .symbol:         _ZN7rocprim17ROCPRIM_400000_NS6detail17trampoline_kernelINS0_14default_configENS1_36segmented_radix_sort_config_selectorIblEEZNS1_25segmented_radix_sort_implIS3_Lb1EPKbPbPKlPlN2at6native12_GLOBAL__N_18offset_tEEE10hipError_tPvRmT1_PNSt15iterator_traitsISK_E10value_typeET2_T3_PNSL_ISQ_E10value_typeET4_jRbjT5_SW_jjP12ihipStream_tbEUlT_E0_NS1_11comp_targetILNS1_3genE9ELNS1_11target_archE1100ELNS1_3gpuE3ELNS1_3repE0EEENS1_60segmented_radix_sort_warp_sort_medium_config_static_selectorELNS0_4arch9wavefront6targetE1EEEvSK_.kd
    .uniform_work_group_size: 1
    .uses_dynamic_stack: false
    .vgpr_count:     0
    .vgpr_spill_count: 0
    .wavefront_size: 64
  - .agpr_count:     0
    .args:
      - .offset:         0
        .size:           88
        .value_kind:     by_value
    .group_segment_fixed_size: 0
    .kernarg_segment_align: 8
    .kernarg_segment_size: 88
    .language:       OpenCL C
    .language_version:
      - 2
      - 0
    .max_flat_workgroup_size: 256
    .name:           _ZN7rocprim17ROCPRIM_400000_NS6detail17trampoline_kernelINS0_14default_configENS1_36segmented_radix_sort_config_selectorIblEEZNS1_25segmented_radix_sort_implIS3_Lb1EPKbPbPKlPlN2at6native12_GLOBAL__N_18offset_tEEE10hipError_tPvRmT1_PNSt15iterator_traitsISK_E10value_typeET2_T3_PNSL_ISQ_E10value_typeET4_jRbjT5_SW_jjP12ihipStream_tbEUlT_E0_NS1_11comp_targetILNS1_3genE8ELNS1_11target_archE1030ELNS1_3gpuE2ELNS1_3repE0EEENS1_60segmented_radix_sort_warp_sort_medium_config_static_selectorELNS0_4arch9wavefront6targetE1EEEvSK_
    .private_segment_fixed_size: 0
    .sgpr_count:     4
    .sgpr_spill_count: 0
    .symbol:         _ZN7rocprim17ROCPRIM_400000_NS6detail17trampoline_kernelINS0_14default_configENS1_36segmented_radix_sort_config_selectorIblEEZNS1_25segmented_radix_sort_implIS3_Lb1EPKbPbPKlPlN2at6native12_GLOBAL__N_18offset_tEEE10hipError_tPvRmT1_PNSt15iterator_traitsISK_E10value_typeET2_T3_PNSL_ISQ_E10value_typeET4_jRbjT5_SW_jjP12ihipStream_tbEUlT_E0_NS1_11comp_targetILNS1_3genE8ELNS1_11target_archE1030ELNS1_3gpuE2ELNS1_3repE0EEENS1_60segmented_radix_sort_warp_sort_medium_config_static_selectorELNS0_4arch9wavefront6targetE1EEEvSK_.kd
    .uniform_work_group_size: 1
    .uses_dynamic_stack: false
    .vgpr_count:     0
    .vgpr_spill_count: 0
    .wavefront_size: 64
  - .agpr_count:     0
    .args:
      - .offset:         0
        .size:           88
        .value_kind:     by_value
    .group_segment_fixed_size: 0
    .kernarg_segment_align: 8
    .kernarg_segment_size: 88
    .language:       OpenCL C
    .language_version:
      - 2
      - 0
    .max_flat_workgroup_size: 256
    .name:           _ZN7rocprim17ROCPRIM_400000_NS6detail17trampoline_kernelINS0_14default_configENS1_36segmented_radix_sort_config_selectorIblEEZNS1_25segmented_radix_sort_implIS3_Lb1EPKbPbPKlPlN2at6native12_GLOBAL__N_18offset_tEEE10hipError_tPvRmT1_PNSt15iterator_traitsISK_E10value_typeET2_T3_PNSL_ISQ_E10value_typeET4_jRbjT5_SW_jjP12ihipStream_tbEUlT_E1_NS1_11comp_targetILNS1_3genE0ELNS1_11target_archE4294967295ELNS1_3gpuE0ELNS1_3repE0EEENS1_59segmented_radix_sort_warp_sort_small_config_static_selectorELNS0_4arch9wavefront6targetE1EEEvSK_
    .private_segment_fixed_size: 0
    .sgpr_count:     4
    .sgpr_spill_count: 0
    .symbol:         _ZN7rocprim17ROCPRIM_400000_NS6detail17trampoline_kernelINS0_14default_configENS1_36segmented_radix_sort_config_selectorIblEEZNS1_25segmented_radix_sort_implIS3_Lb1EPKbPbPKlPlN2at6native12_GLOBAL__N_18offset_tEEE10hipError_tPvRmT1_PNSt15iterator_traitsISK_E10value_typeET2_T3_PNSL_ISQ_E10value_typeET4_jRbjT5_SW_jjP12ihipStream_tbEUlT_E1_NS1_11comp_targetILNS1_3genE0ELNS1_11target_archE4294967295ELNS1_3gpuE0ELNS1_3repE0EEENS1_59segmented_radix_sort_warp_sort_small_config_static_selectorELNS0_4arch9wavefront6targetE1EEEvSK_.kd
    .uniform_work_group_size: 1
    .uses_dynamic_stack: false
    .vgpr_count:     0
    .vgpr_spill_count: 0
    .wavefront_size: 64
  - .agpr_count:     0
    .args:
      - .offset:         0
        .size:           88
        .value_kind:     by_value
    .group_segment_fixed_size: 0
    .kernarg_segment_align: 8
    .kernarg_segment_size: 88
    .language:       OpenCL C
    .language_version:
      - 2
      - 0
    .max_flat_workgroup_size: 256
    .name:           _ZN7rocprim17ROCPRIM_400000_NS6detail17trampoline_kernelINS0_14default_configENS1_36segmented_radix_sort_config_selectorIblEEZNS1_25segmented_radix_sort_implIS3_Lb1EPKbPbPKlPlN2at6native12_GLOBAL__N_18offset_tEEE10hipError_tPvRmT1_PNSt15iterator_traitsISK_E10value_typeET2_T3_PNSL_ISQ_E10value_typeET4_jRbjT5_SW_jjP12ihipStream_tbEUlT_E1_NS1_11comp_targetILNS1_3genE5ELNS1_11target_archE942ELNS1_3gpuE9ELNS1_3repE0EEENS1_59segmented_radix_sort_warp_sort_small_config_static_selectorELNS0_4arch9wavefront6targetE1EEEvSK_
    .private_segment_fixed_size: 0
    .sgpr_count:     4
    .sgpr_spill_count: 0
    .symbol:         _ZN7rocprim17ROCPRIM_400000_NS6detail17trampoline_kernelINS0_14default_configENS1_36segmented_radix_sort_config_selectorIblEEZNS1_25segmented_radix_sort_implIS3_Lb1EPKbPbPKlPlN2at6native12_GLOBAL__N_18offset_tEEE10hipError_tPvRmT1_PNSt15iterator_traitsISK_E10value_typeET2_T3_PNSL_ISQ_E10value_typeET4_jRbjT5_SW_jjP12ihipStream_tbEUlT_E1_NS1_11comp_targetILNS1_3genE5ELNS1_11target_archE942ELNS1_3gpuE9ELNS1_3repE0EEENS1_59segmented_radix_sort_warp_sort_small_config_static_selectorELNS0_4arch9wavefront6targetE1EEEvSK_.kd
    .uniform_work_group_size: 1
    .uses_dynamic_stack: false
    .vgpr_count:     0
    .vgpr_spill_count: 0
    .wavefront_size: 64
  - .agpr_count:     0
    .args:
      - .offset:         0
        .size:           88
        .value_kind:     by_value
      - .offset:         88
        .size:           4
        .value_kind:     hidden_block_count_x
      - .offset:         92
        .size:           4
        .value_kind:     hidden_block_count_y
      - .offset:         96
        .size:           4
        .value_kind:     hidden_block_count_z
      - .offset:         100
        .size:           2
        .value_kind:     hidden_group_size_x
      - .offset:         102
        .size:           2
        .value_kind:     hidden_group_size_y
      - .offset:         104
        .size:           2
        .value_kind:     hidden_group_size_z
      - .offset:         106
        .size:           2
        .value_kind:     hidden_remainder_x
      - .offset:         108
        .size:           2
        .value_kind:     hidden_remainder_y
      - .offset:         110
        .size:           2
        .value_kind:     hidden_remainder_z
      - .offset:         128
        .size:           8
        .value_kind:     hidden_global_offset_x
      - .offset:         136
        .size:           8
        .value_kind:     hidden_global_offset_y
      - .offset:         144
        .size:           8
        .value_kind:     hidden_global_offset_z
      - .offset:         152
        .size:           2
        .value_kind:     hidden_grid_dims
      - .offset:         168
        .size:           8
        .value_kind:     hidden_hostcall_buffer
      - .offset:         176
        .size:           8
        .value_kind:     hidden_multigrid_sync_arg
      - .offset:         184
        .size:           8
        .value_kind:     hidden_heap_v1
      - .offset:         192
        .size:           8
        .value_kind:     hidden_default_queue
      - .offset:         200
        .size:           8
        .value_kind:     hidden_completion_action
      - .offset:         288
        .size:           8
        .value_kind:     hidden_queue_ptr
    .group_segment_fixed_size: 9216
    .kernarg_segment_align: 8
    .kernarg_segment_size: 344
    .language:       OpenCL C
    .language_version:
      - 2
      - 0
    .max_flat_workgroup_size: 256
    .name:           _ZN7rocprim17ROCPRIM_400000_NS6detail17trampoline_kernelINS0_14default_configENS1_36segmented_radix_sort_config_selectorIblEEZNS1_25segmented_radix_sort_implIS3_Lb1EPKbPbPKlPlN2at6native12_GLOBAL__N_18offset_tEEE10hipError_tPvRmT1_PNSt15iterator_traitsISK_E10value_typeET2_T3_PNSL_ISQ_E10value_typeET4_jRbjT5_SW_jjP12ihipStream_tbEUlT_E1_NS1_11comp_targetILNS1_3genE4ELNS1_11target_archE910ELNS1_3gpuE8ELNS1_3repE0EEENS1_59segmented_radix_sort_warp_sort_small_config_static_selectorELNS0_4arch9wavefront6targetE1EEEvSK_
    .private_segment_fixed_size: 0
    .sgpr_count:     56
    .sgpr_spill_count: 0
    .symbol:         _ZN7rocprim17ROCPRIM_400000_NS6detail17trampoline_kernelINS0_14default_configENS1_36segmented_radix_sort_config_selectorIblEEZNS1_25segmented_radix_sort_implIS3_Lb1EPKbPbPKlPlN2at6native12_GLOBAL__N_18offset_tEEE10hipError_tPvRmT1_PNSt15iterator_traitsISK_E10value_typeET2_T3_PNSL_ISQ_E10value_typeET4_jRbjT5_SW_jjP12ihipStream_tbEUlT_E1_NS1_11comp_targetILNS1_3genE4ELNS1_11target_archE910ELNS1_3gpuE8ELNS1_3repE0EEENS1_59segmented_radix_sort_warp_sort_small_config_static_selectorELNS0_4arch9wavefront6targetE1EEEvSK_.kd
    .uniform_work_group_size: 1
    .uses_dynamic_stack: false
    .vgpr_count:     85
    .vgpr_spill_count: 0
    .wavefront_size: 64
  - .agpr_count:     0
    .args:
      - .offset:         0
        .size:           88
        .value_kind:     by_value
    .group_segment_fixed_size: 0
    .kernarg_segment_align: 8
    .kernarg_segment_size: 88
    .language:       OpenCL C
    .language_version:
      - 2
      - 0
    .max_flat_workgroup_size: 256
    .name:           _ZN7rocprim17ROCPRIM_400000_NS6detail17trampoline_kernelINS0_14default_configENS1_36segmented_radix_sort_config_selectorIblEEZNS1_25segmented_radix_sort_implIS3_Lb1EPKbPbPKlPlN2at6native12_GLOBAL__N_18offset_tEEE10hipError_tPvRmT1_PNSt15iterator_traitsISK_E10value_typeET2_T3_PNSL_ISQ_E10value_typeET4_jRbjT5_SW_jjP12ihipStream_tbEUlT_E1_NS1_11comp_targetILNS1_3genE3ELNS1_11target_archE908ELNS1_3gpuE7ELNS1_3repE0EEENS1_59segmented_radix_sort_warp_sort_small_config_static_selectorELNS0_4arch9wavefront6targetE1EEEvSK_
    .private_segment_fixed_size: 0
    .sgpr_count:     4
    .sgpr_spill_count: 0
    .symbol:         _ZN7rocprim17ROCPRIM_400000_NS6detail17trampoline_kernelINS0_14default_configENS1_36segmented_radix_sort_config_selectorIblEEZNS1_25segmented_radix_sort_implIS3_Lb1EPKbPbPKlPlN2at6native12_GLOBAL__N_18offset_tEEE10hipError_tPvRmT1_PNSt15iterator_traitsISK_E10value_typeET2_T3_PNSL_ISQ_E10value_typeET4_jRbjT5_SW_jjP12ihipStream_tbEUlT_E1_NS1_11comp_targetILNS1_3genE3ELNS1_11target_archE908ELNS1_3gpuE7ELNS1_3repE0EEENS1_59segmented_radix_sort_warp_sort_small_config_static_selectorELNS0_4arch9wavefront6targetE1EEEvSK_.kd
    .uniform_work_group_size: 1
    .uses_dynamic_stack: false
    .vgpr_count:     0
    .vgpr_spill_count: 0
    .wavefront_size: 64
  - .agpr_count:     0
    .args:
      - .offset:         0
        .size:           88
        .value_kind:     by_value
    .group_segment_fixed_size: 0
    .kernarg_segment_align: 8
    .kernarg_segment_size: 88
    .language:       OpenCL C
    .language_version:
      - 2
      - 0
    .max_flat_workgroup_size: 256
    .name:           _ZN7rocprim17ROCPRIM_400000_NS6detail17trampoline_kernelINS0_14default_configENS1_36segmented_radix_sort_config_selectorIblEEZNS1_25segmented_radix_sort_implIS3_Lb1EPKbPbPKlPlN2at6native12_GLOBAL__N_18offset_tEEE10hipError_tPvRmT1_PNSt15iterator_traitsISK_E10value_typeET2_T3_PNSL_ISQ_E10value_typeET4_jRbjT5_SW_jjP12ihipStream_tbEUlT_E1_NS1_11comp_targetILNS1_3genE2ELNS1_11target_archE906ELNS1_3gpuE6ELNS1_3repE0EEENS1_59segmented_radix_sort_warp_sort_small_config_static_selectorELNS0_4arch9wavefront6targetE1EEEvSK_
    .private_segment_fixed_size: 0
    .sgpr_count:     4
    .sgpr_spill_count: 0
    .symbol:         _ZN7rocprim17ROCPRIM_400000_NS6detail17trampoline_kernelINS0_14default_configENS1_36segmented_radix_sort_config_selectorIblEEZNS1_25segmented_radix_sort_implIS3_Lb1EPKbPbPKlPlN2at6native12_GLOBAL__N_18offset_tEEE10hipError_tPvRmT1_PNSt15iterator_traitsISK_E10value_typeET2_T3_PNSL_ISQ_E10value_typeET4_jRbjT5_SW_jjP12ihipStream_tbEUlT_E1_NS1_11comp_targetILNS1_3genE2ELNS1_11target_archE906ELNS1_3gpuE6ELNS1_3repE0EEENS1_59segmented_radix_sort_warp_sort_small_config_static_selectorELNS0_4arch9wavefront6targetE1EEEvSK_.kd
    .uniform_work_group_size: 1
    .uses_dynamic_stack: false
    .vgpr_count:     0
    .vgpr_spill_count: 0
    .wavefront_size: 64
  - .agpr_count:     0
    .args:
      - .offset:         0
        .size:           88
        .value_kind:     by_value
    .group_segment_fixed_size: 0
    .kernarg_segment_align: 8
    .kernarg_segment_size: 88
    .language:       OpenCL C
    .language_version:
      - 2
      - 0
    .max_flat_workgroup_size: 256
    .name:           _ZN7rocprim17ROCPRIM_400000_NS6detail17trampoline_kernelINS0_14default_configENS1_36segmented_radix_sort_config_selectorIblEEZNS1_25segmented_radix_sort_implIS3_Lb1EPKbPbPKlPlN2at6native12_GLOBAL__N_18offset_tEEE10hipError_tPvRmT1_PNSt15iterator_traitsISK_E10value_typeET2_T3_PNSL_ISQ_E10value_typeET4_jRbjT5_SW_jjP12ihipStream_tbEUlT_E1_NS1_11comp_targetILNS1_3genE10ELNS1_11target_archE1201ELNS1_3gpuE5ELNS1_3repE0EEENS1_59segmented_radix_sort_warp_sort_small_config_static_selectorELNS0_4arch9wavefront6targetE1EEEvSK_
    .private_segment_fixed_size: 0
    .sgpr_count:     4
    .sgpr_spill_count: 0
    .symbol:         _ZN7rocprim17ROCPRIM_400000_NS6detail17trampoline_kernelINS0_14default_configENS1_36segmented_radix_sort_config_selectorIblEEZNS1_25segmented_radix_sort_implIS3_Lb1EPKbPbPKlPlN2at6native12_GLOBAL__N_18offset_tEEE10hipError_tPvRmT1_PNSt15iterator_traitsISK_E10value_typeET2_T3_PNSL_ISQ_E10value_typeET4_jRbjT5_SW_jjP12ihipStream_tbEUlT_E1_NS1_11comp_targetILNS1_3genE10ELNS1_11target_archE1201ELNS1_3gpuE5ELNS1_3repE0EEENS1_59segmented_radix_sort_warp_sort_small_config_static_selectorELNS0_4arch9wavefront6targetE1EEEvSK_.kd
    .uniform_work_group_size: 1
    .uses_dynamic_stack: false
    .vgpr_count:     0
    .vgpr_spill_count: 0
    .wavefront_size: 64
  - .agpr_count:     0
    .args:
      - .offset:         0
        .size:           88
        .value_kind:     by_value
    .group_segment_fixed_size: 0
    .kernarg_segment_align: 8
    .kernarg_segment_size: 88
    .language:       OpenCL C
    .language_version:
      - 2
      - 0
    .max_flat_workgroup_size: 256
    .name:           _ZN7rocprim17ROCPRIM_400000_NS6detail17trampoline_kernelINS0_14default_configENS1_36segmented_radix_sort_config_selectorIblEEZNS1_25segmented_radix_sort_implIS3_Lb1EPKbPbPKlPlN2at6native12_GLOBAL__N_18offset_tEEE10hipError_tPvRmT1_PNSt15iterator_traitsISK_E10value_typeET2_T3_PNSL_ISQ_E10value_typeET4_jRbjT5_SW_jjP12ihipStream_tbEUlT_E1_NS1_11comp_targetILNS1_3genE10ELNS1_11target_archE1200ELNS1_3gpuE4ELNS1_3repE0EEENS1_59segmented_radix_sort_warp_sort_small_config_static_selectorELNS0_4arch9wavefront6targetE1EEEvSK_
    .private_segment_fixed_size: 0
    .sgpr_count:     4
    .sgpr_spill_count: 0
    .symbol:         _ZN7rocprim17ROCPRIM_400000_NS6detail17trampoline_kernelINS0_14default_configENS1_36segmented_radix_sort_config_selectorIblEEZNS1_25segmented_radix_sort_implIS3_Lb1EPKbPbPKlPlN2at6native12_GLOBAL__N_18offset_tEEE10hipError_tPvRmT1_PNSt15iterator_traitsISK_E10value_typeET2_T3_PNSL_ISQ_E10value_typeET4_jRbjT5_SW_jjP12ihipStream_tbEUlT_E1_NS1_11comp_targetILNS1_3genE10ELNS1_11target_archE1200ELNS1_3gpuE4ELNS1_3repE0EEENS1_59segmented_radix_sort_warp_sort_small_config_static_selectorELNS0_4arch9wavefront6targetE1EEEvSK_.kd
    .uniform_work_group_size: 1
    .uses_dynamic_stack: false
    .vgpr_count:     0
    .vgpr_spill_count: 0
    .wavefront_size: 64
  - .agpr_count:     0
    .args:
      - .offset:         0
        .size:           88
        .value_kind:     by_value
    .group_segment_fixed_size: 0
    .kernarg_segment_align: 8
    .kernarg_segment_size: 88
    .language:       OpenCL C
    .language_version:
      - 2
      - 0
    .max_flat_workgroup_size: 256
    .name:           _ZN7rocprim17ROCPRIM_400000_NS6detail17trampoline_kernelINS0_14default_configENS1_36segmented_radix_sort_config_selectorIblEEZNS1_25segmented_radix_sort_implIS3_Lb1EPKbPbPKlPlN2at6native12_GLOBAL__N_18offset_tEEE10hipError_tPvRmT1_PNSt15iterator_traitsISK_E10value_typeET2_T3_PNSL_ISQ_E10value_typeET4_jRbjT5_SW_jjP12ihipStream_tbEUlT_E1_NS1_11comp_targetILNS1_3genE9ELNS1_11target_archE1100ELNS1_3gpuE3ELNS1_3repE0EEENS1_59segmented_radix_sort_warp_sort_small_config_static_selectorELNS0_4arch9wavefront6targetE1EEEvSK_
    .private_segment_fixed_size: 0
    .sgpr_count:     4
    .sgpr_spill_count: 0
    .symbol:         _ZN7rocprim17ROCPRIM_400000_NS6detail17trampoline_kernelINS0_14default_configENS1_36segmented_radix_sort_config_selectorIblEEZNS1_25segmented_radix_sort_implIS3_Lb1EPKbPbPKlPlN2at6native12_GLOBAL__N_18offset_tEEE10hipError_tPvRmT1_PNSt15iterator_traitsISK_E10value_typeET2_T3_PNSL_ISQ_E10value_typeET4_jRbjT5_SW_jjP12ihipStream_tbEUlT_E1_NS1_11comp_targetILNS1_3genE9ELNS1_11target_archE1100ELNS1_3gpuE3ELNS1_3repE0EEENS1_59segmented_radix_sort_warp_sort_small_config_static_selectorELNS0_4arch9wavefront6targetE1EEEvSK_.kd
    .uniform_work_group_size: 1
    .uses_dynamic_stack: false
    .vgpr_count:     0
    .vgpr_spill_count: 0
    .wavefront_size: 64
  - .agpr_count:     0
    .args:
      - .offset:         0
        .size:           88
        .value_kind:     by_value
    .group_segment_fixed_size: 0
    .kernarg_segment_align: 8
    .kernarg_segment_size: 88
    .language:       OpenCL C
    .language_version:
      - 2
      - 0
    .max_flat_workgroup_size: 256
    .name:           _ZN7rocprim17ROCPRIM_400000_NS6detail17trampoline_kernelINS0_14default_configENS1_36segmented_radix_sort_config_selectorIblEEZNS1_25segmented_radix_sort_implIS3_Lb1EPKbPbPKlPlN2at6native12_GLOBAL__N_18offset_tEEE10hipError_tPvRmT1_PNSt15iterator_traitsISK_E10value_typeET2_T3_PNSL_ISQ_E10value_typeET4_jRbjT5_SW_jjP12ihipStream_tbEUlT_E1_NS1_11comp_targetILNS1_3genE8ELNS1_11target_archE1030ELNS1_3gpuE2ELNS1_3repE0EEENS1_59segmented_radix_sort_warp_sort_small_config_static_selectorELNS0_4arch9wavefront6targetE1EEEvSK_
    .private_segment_fixed_size: 0
    .sgpr_count:     4
    .sgpr_spill_count: 0
    .symbol:         _ZN7rocprim17ROCPRIM_400000_NS6detail17trampoline_kernelINS0_14default_configENS1_36segmented_radix_sort_config_selectorIblEEZNS1_25segmented_radix_sort_implIS3_Lb1EPKbPbPKlPlN2at6native12_GLOBAL__N_18offset_tEEE10hipError_tPvRmT1_PNSt15iterator_traitsISK_E10value_typeET2_T3_PNSL_ISQ_E10value_typeET4_jRbjT5_SW_jjP12ihipStream_tbEUlT_E1_NS1_11comp_targetILNS1_3genE8ELNS1_11target_archE1030ELNS1_3gpuE2ELNS1_3repE0EEENS1_59segmented_radix_sort_warp_sort_small_config_static_selectorELNS0_4arch9wavefront6targetE1EEEvSK_.kd
    .uniform_work_group_size: 1
    .uses_dynamic_stack: false
    .vgpr_count:     0
    .vgpr_spill_count: 0
    .wavefront_size: 64
  - .agpr_count:     0
    .args:
      - .offset:         0
        .size:           80
        .value_kind:     by_value
    .group_segment_fixed_size: 0
    .kernarg_segment_align: 8
    .kernarg_segment_size: 80
    .language:       OpenCL C
    .language_version:
      - 2
      - 0
    .max_flat_workgroup_size: 256
    .name:           _ZN7rocprim17ROCPRIM_400000_NS6detail17trampoline_kernelINS0_14default_configENS1_36segmented_radix_sort_config_selectorIblEEZNS1_25segmented_radix_sort_implIS3_Lb1EPKbPbPKlPlN2at6native12_GLOBAL__N_18offset_tEEE10hipError_tPvRmT1_PNSt15iterator_traitsISK_E10value_typeET2_T3_PNSL_ISQ_E10value_typeET4_jRbjT5_SW_jjP12ihipStream_tbEUlT_E2_NS1_11comp_targetILNS1_3genE0ELNS1_11target_archE4294967295ELNS1_3gpuE0ELNS1_3repE0EEENS1_30default_config_static_selectorELNS0_4arch9wavefront6targetE1EEEvSK_
    .private_segment_fixed_size: 0
    .sgpr_count:     4
    .sgpr_spill_count: 0
    .symbol:         _ZN7rocprim17ROCPRIM_400000_NS6detail17trampoline_kernelINS0_14default_configENS1_36segmented_radix_sort_config_selectorIblEEZNS1_25segmented_radix_sort_implIS3_Lb1EPKbPbPKlPlN2at6native12_GLOBAL__N_18offset_tEEE10hipError_tPvRmT1_PNSt15iterator_traitsISK_E10value_typeET2_T3_PNSL_ISQ_E10value_typeET4_jRbjT5_SW_jjP12ihipStream_tbEUlT_E2_NS1_11comp_targetILNS1_3genE0ELNS1_11target_archE4294967295ELNS1_3gpuE0ELNS1_3repE0EEENS1_30default_config_static_selectorELNS0_4arch9wavefront6targetE1EEEvSK_.kd
    .uniform_work_group_size: 1
    .uses_dynamic_stack: false
    .vgpr_count:     0
    .vgpr_spill_count: 0
    .wavefront_size: 64
  - .agpr_count:     0
    .args:
      - .offset:         0
        .size:           80
        .value_kind:     by_value
    .group_segment_fixed_size: 0
    .kernarg_segment_align: 8
    .kernarg_segment_size: 80
    .language:       OpenCL C
    .language_version:
      - 2
      - 0
    .max_flat_workgroup_size: 256
    .name:           _ZN7rocprim17ROCPRIM_400000_NS6detail17trampoline_kernelINS0_14default_configENS1_36segmented_radix_sort_config_selectorIblEEZNS1_25segmented_radix_sort_implIS3_Lb1EPKbPbPKlPlN2at6native12_GLOBAL__N_18offset_tEEE10hipError_tPvRmT1_PNSt15iterator_traitsISK_E10value_typeET2_T3_PNSL_ISQ_E10value_typeET4_jRbjT5_SW_jjP12ihipStream_tbEUlT_E2_NS1_11comp_targetILNS1_3genE5ELNS1_11target_archE942ELNS1_3gpuE9ELNS1_3repE0EEENS1_30default_config_static_selectorELNS0_4arch9wavefront6targetE1EEEvSK_
    .private_segment_fixed_size: 0
    .sgpr_count:     4
    .sgpr_spill_count: 0
    .symbol:         _ZN7rocprim17ROCPRIM_400000_NS6detail17trampoline_kernelINS0_14default_configENS1_36segmented_radix_sort_config_selectorIblEEZNS1_25segmented_radix_sort_implIS3_Lb1EPKbPbPKlPlN2at6native12_GLOBAL__N_18offset_tEEE10hipError_tPvRmT1_PNSt15iterator_traitsISK_E10value_typeET2_T3_PNSL_ISQ_E10value_typeET4_jRbjT5_SW_jjP12ihipStream_tbEUlT_E2_NS1_11comp_targetILNS1_3genE5ELNS1_11target_archE942ELNS1_3gpuE9ELNS1_3repE0EEENS1_30default_config_static_selectorELNS0_4arch9wavefront6targetE1EEEvSK_.kd
    .uniform_work_group_size: 1
    .uses_dynamic_stack: false
    .vgpr_count:     0
    .vgpr_spill_count: 0
    .wavefront_size: 64
  - .agpr_count:     0
    .args:
      - .offset:         0
        .size:           80
        .value_kind:     by_value
      - .offset:         80
        .size:           4
        .value_kind:     hidden_block_count_x
      - .offset:         84
        .size:           4
        .value_kind:     hidden_block_count_y
      - .offset:         88
        .size:           4
        .value_kind:     hidden_block_count_z
      - .offset:         92
        .size:           2
        .value_kind:     hidden_group_size_x
      - .offset:         94
        .size:           2
        .value_kind:     hidden_group_size_y
      - .offset:         96
        .size:           2
        .value_kind:     hidden_group_size_z
      - .offset:         98
        .size:           2
        .value_kind:     hidden_remainder_x
      - .offset:         100
        .size:           2
        .value_kind:     hidden_remainder_y
      - .offset:         102
        .size:           2
        .value_kind:     hidden_remainder_z
      - .offset:         120
        .size:           8
        .value_kind:     hidden_global_offset_x
      - .offset:         128
        .size:           8
        .value_kind:     hidden_global_offset_y
      - .offset:         136
        .size:           8
        .value_kind:     hidden_global_offset_z
      - .offset:         144
        .size:           2
        .value_kind:     hidden_grid_dims
      - .offset:         160
        .size:           8
        .value_kind:     hidden_hostcall_buffer
      - .offset:         168
        .size:           8
        .value_kind:     hidden_multigrid_sync_arg
      - .offset:         176
        .size:           8
        .value_kind:     hidden_heap_v1
      - .offset:         184
        .size:           8
        .value_kind:     hidden_default_queue
      - .offset:         192
        .size:           8
        .value_kind:     hidden_completion_action
      - .offset:         280
        .size:           8
        .value_kind:     hidden_queue_ptr
    .group_segment_fixed_size: 17424
    .kernarg_segment_align: 8
    .kernarg_segment_size: 336
    .language:       OpenCL C
    .language_version:
      - 2
      - 0
    .max_flat_workgroup_size: 256
    .name:           _ZN7rocprim17ROCPRIM_400000_NS6detail17trampoline_kernelINS0_14default_configENS1_36segmented_radix_sort_config_selectorIblEEZNS1_25segmented_radix_sort_implIS3_Lb1EPKbPbPKlPlN2at6native12_GLOBAL__N_18offset_tEEE10hipError_tPvRmT1_PNSt15iterator_traitsISK_E10value_typeET2_T3_PNSL_ISQ_E10value_typeET4_jRbjT5_SW_jjP12ihipStream_tbEUlT_E2_NS1_11comp_targetILNS1_3genE4ELNS1_11target_archE910ELNS1_3gpuE8ELNS1_3repE0EEENS1_30default_config_static_selectorELNS0_4arch9wavefront6targetE1EEEvSK_
    .private_segment_fixed_size: 8
    .sgpr_count:     93
    .sgpr_spill_count: 0
    .symbol:         _ZN7rocprim17ROCPRIM_400000_NS6detail17trampoline_kernelINS0_14default_configENS1_36segmented_radix_sort_config_selectorIblEEZNS1_25segmented_radix_sort_implIS3_Lb1EPKbPbPKlPlN2at6native12_GLOBAL__N_18offset_tEEE10hipError_tPvRmT1_PNSt15iterator_traitsISK_E10value_typeET2_T3_PNSL_ISQ_E10value_typeET4_jRbjT5_SW_jjP12ihipStream_tbEUlT_E2_NS1_11comp_targetILNS1_3genE4ELNS1_11target_archE910ELNS1_3gpuE8ELNS1_3repE0EEENS1_30default_config_static_selectorELNS0_4arch9wavefront6targetE1EEEvSK_.kd
    .uniform_work_group_size: 1
    .uses_dynamic_stack: false
    .vgpr_count:     168
    .vgpr_spill_count: 0
    .wavefront_size: 64
  - .agpr_count:     0
    .args:
      - .offset:         0
        .size:           80
        .value_kind:     by_value
    .group_segment_fixed_size: 0
    .kernarg_segment_align: 8
    .kernarg_segment_size: 80
    .language:       OpenCL C
    .language_version:
      - 2
      - 0
    .max_flat_workgroup_size: 256
    .name:           _ZN7rocprim17ROCPRIM_400000_NS6detail17trampoline_kernelINS0_14default_configENS1_36segmented_radix_sort_config_selectorIblEEZNS1_25segmented_radix_sort_implIS3_Lb1EPKbPbPKlPlN2at6native12_GLOBAL__N_18offset_tEEE10hipError_tPvRmT1_PNSt15iterator_traitsISK_E10value_typeET2_T3_PNSL_ISQ_E10value_typeET4_jRbjT5_SW_jjP12ihipStream_tbEUlT_E2_NS1_11comp_targetILNS1_3genE3ELNS1_11target_archE908ELNS1_3gpuE7ELNS1_3repE0EEENS1_30default_config_static_selectorELNS0_4arch9wavefront6targetE1EEEvSK_
    .private_segment_fixed_size: 0
    .sgpr_count:     4
    .sgpr_spill_count: 0
    .symbol:         _ZN7rocprim17ROCPRIM_400000_NS6detail17trampoline_kernelINS0_14default_configENS1_36segmented_radix_sort_config_selectorIblEEZNS1_25segmented_radix_sort_implIS3_Lb1EPKbPbPKlPlN2at6native12_GLOBAL__N_18offset_tEEE10hipError_tPvRmT1_PNSt15iterator_traitsISK_E10value_typeET2_T3_PNSL_ISQ_E10value_typeET4_jRbjT5_SW_jjP12ihipStream_tbEUlT_E2_NS1_11comp_targetILNS1_3genE3ELNS1_11target_archE908ELNS1_3gpuE7ELNS1_3repE0EEENS1_30default_config_static_selectorELNS0_4arch9wavefront6targetE1EEEvSK_.kd
    .uniform_work_group_size: 1
    .uses_dynamic_stack: false
    .vgpr_count:     0
    .vgpr_spill_count: 0
    .wavefront_size: 64
  - .agpr_count:     0
    .args:
      - .offset:         0
        .size:           80
        .value_kind:     by_value
    .group_segment_fixed_size: 0
    .kernarg_segment_align: 8
    .kernarg_segment_size: 80
    .language:       OpenCL C
    .language_version:
      - 2
      - 0
    .max_flat_workgroup_size: 256
    .name:           _ZN7rocprim17ROCPRIM_400000_NS6detail17trampoline_kernelINS0_14default_configENS1_36segmented_radix_sort_config_selectorIblEEZNS1_25segmented_radix_sort_implIS3_Lb1EPKbPbPKlPlN2at6native12_GLOBAL__N_18offset_tEEE10hipError_tPvRmT1_PNSt15iterator_traitsISK_E10value_typeET2_T3_PNSL_ISQ_E10value_typeET4_jRbjT5_SW_jjP12ihipStream_tbEUlT_E2_NS1_11comp_targetILNS1_3genE2ELNS1_11target_archE906ELNS1_3gpuE6ELNS1_3repE0EEENS1_30default_config_static_selectorELNS0_4arch9wavefront6targetE1EEEvSK_
    .private_segment_fixed_size: 0
    .sgpr_count:     4
    .sgpr_spill_count: 0
    .symbol:         _ZN7rocprim17ROCPRIM_400000_NS6detail17trampoline_kernelINS0_14default_configENS1_36segmented_radix_sort_config_selectorIblEEZNS1_25segmented_radix_sort_implIS3_Lb1EPKbPbPKlPlN2at6native12_GLOBAL__N_18offset_tEEE10hipError_tPvRmT1_PNSt15iterator_traitsISK_E10value_typeET2_T3_PNSL_ISQ_E10value_typeET4_jRbjT5_SW_jjP12ihipStream_tbEUlT_E2_NS1_11comp_targetILNS1_3genE2ELNS1_11target_archE906ELNS1_3gpuE6ELNS1_3repE0EEENS1_30default_config_static_selectorELNS0_4arch9wavefront6targetE1EEEvSK_.kd
    .uniform_work_group_size: 1
    .uses_dynamic_stack: false
    .vgpr_count:     0
    .vgpr_spill_count: 0
    .wavefront_size: 64
  - .agpr_count:     0
    .args:
      - .offset:         0
        .size:           80
        .value_kind:     by_value
    .group_segment_fixed_size: 0
    .kernarg_segment_align: 8
    .kernarg_segment_size: 80
    .language:       OpenCL C
    .language_version:
      - 2
      - 0
    .max_flat_workgroup_size: 256
    .name:           _ZN7rocprim17ROCPRIM_400000_NS6detail17trampoline_kernelINS0_14default_configENS1_36segmented_radix_sort_config_selectorIblEEZNS1_25segmented_radix_sort_implIS3_Lb1EPKbPbPKlPlN2at6native12_GLOBAL__N_18offset_tEEE10hipError_tPvRmT1_PNSt15iterator_traitsISK_E10value_typeET2_T3_PNSL_ISQ_E10value_typeET4_jRbjT5_SW_jjP12ihipStream_tbEUlT_E2_NS1_11comp_targetILNS1_3genE10ELNS1_11target_archE1201ELNS1_3gpuE5ELNS1_3repE0EEENS1_30default_config_static_selectorELNS0_4arch9wavefront6targetE1EEEvSK_
    .private_segment_fixed_size: 0
    .sgpr_count:     4
    .sgpr_spill_count: 0
    .symbol:         _ZN7rocprim17ROCPRIM_400000_NS6detail17trampoline_kernelINS0_14default_configENS1_36segmented_radix_sort_config_selectorIblEEZNS1_25segmented_radix_sort_implIS3_Lb1EPKbPbPKlPlN2at6native12_GLOBAL__N_18offset_tEEE10hipError_tPvRmT1_PNSt15iterator_traitsISK_E10value_typeET2_T3_PNSL_ISQ_E10value_typeET4_jRbjT5_SW_jjP12ihipStream_tbEUlT_E2_NS1_11comp_targetILNS1_3genE10ELNS1_11target_archE1201ELNS1_3gpuE5ELNS1_3repE0EEENS1_30default_config_static_selectorELNS0_4arch9wavefront6targetE1EEEvSK_.kd
    .uniform_work_group_size: 1
    .uses_dynamic_stack: false
    .vgpr_count:     0
    .vgpr_spill_count: 0
    .wavefront_size: 64
  - .agpr_count:     0
    .args:
      - .offset:         0
        .size:           80
        .value_kind:     by_value
    .group_segment_fixed_size: 0
    .kernarg_segment_align: 8
    .kernarg_segment_size: 80
    .language:       OpenCL C
    .language_version:
      - 2
      - 0
    .max_flat_workgroup_size: 128
    .name:           _ZN7rocprim17ROCPRIM_400000_NS6detail17trampoline_kernelINS0_14default_configENS1_36segmented_radix_sort_config_selectorIblEEZNS1_25segmented_radix_sort_implIS3_Lb1EPKbPbPKlPlN2at6native12_GLOBAL__N_18offset_tEEE10hipError_tPvRmT1_PNSt15iterator_traitsISK_E10value_typeET2_T3_PNSL_ISQ_E10value_typeET4_jRbjT5_SW_jjP12ihipStream_tbEUlT_E2_NS1_11comp_targetILNS1_3genE10ELNS1_11target_archE1200ELNS1_3gpuE4ELNS1_3repE0EEENS1_30default_config_static_selectorELNS0_4arch9wavefront6targetE1EEEvSK_
    .private_segment_fixed_size: 0
    .sgpr_count:     4
    .sgpr_spill_count: 0
    .symbol:         _ZN7rocprim17ROCPRIM_400000_NS6detail17trampoline_kernelINS0_14default_configENS1_36segmented_radix_sort_config_selectorIblEEZNS1_25segmented_radix_sort_implIS3_Lb1EPKbPbPKlPlN2at6native12_GLOBAL__N_18offset_tEEE10hipError_tPvRmT1_PNSt15iterator_traitsISK_E10value_typeET2_T3_PNSL_ISQ_E10value_typeET4_jRbjT5_SW_jjP12ihipStream_tbEUlT_E2_NS1_11comp_targetILNS1_3genE10ELNS1_11target_archE1200ELNS1_3gpuE4ELNS1_3repE0EEENS1_30default_config_static_selectorELNS0_4arch9wavefront6targetE1EEEvSK_.kd
    .uniform_work_group_size: 1
    .uses_dynamic_stack: false
    .vgpr_count:     0
    .vgpr_spill_count: 0
    .wavefront_size: 64
  - .agpr_count:     0
    .args:
      - .offset:         0
        .size:           80
        .value_kind:     by_value
    .group_segment_fixed_size: 0
    .kernarg_segment_align: 8
    .kernarg_segment_size: 80
    .language:       OpenCL C
    .language_version:
      - 2
      - 0
    .max_flat_workgroup_size: 256
    .name:           _ZN7rocprim17ROCPRIM_400000_NS6detail17trampoline_kernelINS0_14default_configENS1_36segmented_radix_sort_config_selectorIblEEZNS1_25segmented_radix_sort_implIS3_Lb1EPKbPbPKlPlN2at6native12_GLOBAL__N_18offset_tEEE10hipError_tPvRmT1_PNSt15iterator_traitsISK_E10value_typeET2_T3_PNSL_ISQ_E10value_typeET4_jRbjT5_SW_jjP12ihipStream_tbEUlT_E2_NS1_11comp_targetILNS1_3genE9ELNS1_11target_archE1100ELNS1_3gpuE3ELNS1_3repE0EEENS1_30default_config_static_selectorELNS0_4arch9wavefront6targetE1EEEvSK_
    .private_segment_fixed_size: 0
    .sgpr_count:     4
    .sgpr_spill_count: 0
    .symbol:         _ZN7rocprim17ROCPRIM_400000_NS6detail17trampoline_kernelINS0_14default_configENS1_36segmented_radix_sort_config_selectorIblEEZNS1_25segmented_radix_sort_implIS3_Lb1EPKbPbPKlPlN2at6native12_GLOBAL__N_18offset_tEEE10hipError_tPvRmT1_PNSt15iterator_traitsISK_E10value_typeET2_T3_PNSL_ISQ_E10value_typeET4_jRbjT5_SW_jjP12ihipStream_tbEUlT_E2_NS1_11comp_targetILNS1_3genE9ELNS1_11target_archE1100ELNS1_3gpuE3ELNS1_3repE0EEENS1_30default_config_static_selectorELNS0_4arch9wavefront6targetE1EEEvSK_.kd
    .uniform_work_group_size: 1
    .uses_dynamic_stack: false
    .vgpr_count:     0
    .vgpr_spill_count: 0
    .wavefront_size: 64
  - .agpr_count:     0
    .args:
      - .offset:         0
        .size:           80
        .value_kind:     by_value
    .group_segment_fixed_size: 0
    .kernarg_segment_align: 8
    .kernarg_segment_size: 80
    .language:       OpenCL C
    .language_version:
      - 2
      - 0
    .max_flat_workgroup_size: 256
    .name:           _ZN7rocprim17ROCPRIM_400000_NS6detail17trampoline_kernelINS0_14default_configENS1_36segmented_radix_sort_config_selectorIblEEZNS1_25segmented_radix_sort_implIS3_Lb1EPKbPbPKlPlN2at6native12_GLOBAL__N_18offset_tEEE10hipError_tPvRmT1_PNSt15iterator_traitsISK_E10value_typeET2_T3_PNSL_ISQ_E10value_typeET4_jRbjT5_SW_jjP12ihipStream_tbEUlT_E2_NS1_11comp_targetILNS1_3genE8ELNS1_11target_archE1030ELNS1_3gpuE2ELNS1_3repE0EEENS1_30default_config_static_selectorELNS0_4arch9wavefront6targetE1EEEvSK_
    .private_segment_fixed_size: 0
    .sgpr_count:     4
    .sgpr_spill_count: 0
    .symbol:         _ZN7rocprim17ROCPRIM_400000_NS6detail17trampoline_kernelINS0_14default_configENS1_36segmented_radix_sort_config_selectorIblEEZNS1_25segmented_radix_sort_implIS3_Lb1EPKbPbPKlPlN2at6native12_GLOBAL__N_18offset_tEEE10hipError_tPvRmT1_PNSt15iterator_traitsISK_E10value_typeET2_T3_PNSL_ISQ_E10value_typeET4_jRbjT5_SW_jjP12ihipStream_tbEUlT_E2_NS1_11comp_targetILNS1_3genE8ELNS1_11target_archE1030ELNS1_3gpuE2ELNS1_3repE0EEENS1_30default_config_static_selectorELNS0_4arch9wavefront6targetE1EEEvSK_.kd
    .uniform_work_group_size: 1
    .uses_dynamic_stack: false
    .vgpr_count:     0
    .vgpr_spill_count: 0
    .wavefront_size: 64
  - .agpr_count:     0
    .args:
      - .offset:         0
        .size:           176
        .value_kind:     by_value
    .group_segment_fixed_size: 0
    .kernarg_segment_align: 8
    .kernarg_segment_size: 176
    .language:       OpenCL C
    .language_version:
      - 2
      - 0
    .max_flat_workgroup_size: 256
    .name:           _ZN7rocprim17ROCPRIM_400000_NS6detail17trampoline_kernelINS0_13select_configILj256ELj13ELNS0_17block_load_methodE3ELS4_3ELS4_3ELNS0_20block_scan_algorithmE0ELj4294967295EEENS1_25partition_config_selectorILNS1_17partition_subalgoE4EjNS0_10empty_typeEbEEZZNS1_14partition_implILS8_4ELb0ES6_15HIP_vector_typeIjLj2EENS0_17counting_iteratorIjlEEPS9_SG_NS0_5tupleIJPjSI_NS0_16reverse_iteratorISI_EEEEENSH_IJSG_SG_SG_EEES9_SI_JZNS1_25segmented_radix_sort_implINS0_14default_configELb0EPKbPbPKlPlN2at6native12_GLOBAL__N_18offset_tEEE10hipError_tPvRmT1_PNSt15iterator_traitsIS12_E10value_typeET2_T3_PNS13_IS18_E10value_typeET4_jRbjT5_S1E_jjP12ihipStream_tbEUljE_ZNSN_ISO_Lb0ESQ_SR_ST_SU_SY_EESZ_S10_S11_S12_S16_S17_S18_S1B_S1C_jS1D_jS1E_S1E_jjS1G_bEUljE0_EEESZ_S10_S11_S18_S1C_S1E_T6_T7_T9_mT8_S1G_bDpT10_ENKUlT_T0_E_clISt17integral_constantIbLb0EES1U_EEDaS1P_S1Q_EUlS1P_E_NS1_11comp_targetILNS1_3genE0ELNS1_11target_archE4294967295ELNS1_3gpuE0ELNS1_3repE0EEENS1_30default_config_static_selectorELNS0_4arch9wavefront6targetE1EEEvS12_
    .private_segment_fixed_size: 0
    .sgpr_count:     4
    .sgpr_spill_count: 0
    .symbol:         _ZN7rocprim17ROCPRIM_400000_NS6detail17trampoline_kernelINS0_13select_configILj256ELj13ELNS0_17block_load_methodE3ELS4_3ELS4_3ELNS0_20block_scan_algorithmE0ELj4294967295EEENS1_25partition_config_selectorILNS1_17partition_subalgoE4EjNS0_10empty_typeEbEEZZNS1_14partition_implILS8_4ELb0ES6_15HIP_vector_typeIjLj2EENS0_17counting_iteratorIjlEEPS9_SG_NS0_5tupleIJPjSI_NS0_16reverse_iteratorISI_EEEEENSH_IJSG_SG_SG_EEES9_SI_JZNS1_25segmented_radix_sort_implINS0_14default_configELb0EPKbPbPKlPlN2at6native12_GLOBAL__N_18offset_tEEE10hipError_tPvRmT1_PNSt15iterator_traitsIS12_E10value_typeET2_T3_PNS13_IS18_E10value_typeET4_jRbjT5_S1E_jjP12ihipStream_tbEUljE_ZNSN_ISO_Lb0ESQ_SR_ST_SU_SY_EESZ_S10_S11_S12_S16_S17_S18_S1B_S1C_jS1D_jS1E_S1E_jjS1G_bEUljE0_EEESZ_S10_S11_S18_S1C_S1E_T6_T7_T9_mT8_S1G_bDpT10_ENKUlT_T0_E_clISt17integral_constantIbLb0EES1U_EEDaS1P_S1Q_EUlS1P_E_NS1_11comp_targetILNS1_3genE0ELNS1_11target_archE4294967295ELNS1_3gpuE0ELNS1_3repE0EEENS1_30default_config_static_selectorELNS0_4arch9wavefront6targetE1EEEvS12_.kd
    .uniform_work_group_size: 1
    .uses_dynamic_stack: false
    .vgpr_count:     0
    .vgpr_spill_count: 0
    .wavefront_size: 64
  - .agpr_count:     0
    .args:
      - .offset:         0
        .size:           176
        .value_kind:     by_value
    .group_segment_fixed_size: 0
    .kernarg_segment_align: 8
    .kernarg_segment_size: 176
    .language:       OpenCL C
    .language_version:
      - 2
      - 0
    .max_flat_workgroup_size: 256
    .name:           _ZN7rocprim17ROCPRIM_400000_NS6detail17trampoline_kernelINS0_13select_configILj256ELj13ELNS0_17block_load_methodE3ELS4_3ELS4_3ELNS0_20block_scan_algorithmE0ELj4294967295EEENS1_25partition_config_selectorILNS1_17partition_subalgoE4EjNS0_10empty_typeEbEEZZNS1_14partition_implILS8_4ELb0ES6_15HIP_vector_typeIjLj2EENS0_17counting_iteratorIjlEEPS9_SG_NS0_5tupleIJPjSI_NS0_16reverse_iteratorISI_EEEEENSH_IJSG_SG_SG_EEES9_SI_JZNS1_25segmented_radix_sort_implINS0_14default_configELb0EPKbPbPKlPlN2at6native12_GLOBAL__N_18offset_tEEE10hipError_tPvRmT1_PNSt15iterator_traitsIS12_E10value_typeET2_T3_PNS13_IS18_E10value_typeET4_jRbjT5_S1E_jjP12ihipStream_tbEUljE_ZNSN_ISO_Lb0ESQ_SR_ST_SU_SY_EESZ_S10_S11_S12_S16_S17_S18_S1B_S1C_jS1D_jS1E_S1E_jjS1G_bEUljE0_EEESZ_S10_S11_S18_S1C_S1E_T6_T7_T9_mT8_S1G_bDpT10_ENKUlT_T0_E_clISt17integral_constantIbLb0EES1U_EEDaS1P_S1Q_EUlS1P_E_NS1_11comp_targetILNS1_3genE5ELNS1_11target_archE942ELNS1_3gpuE9ELNS1_3repE0EEENS1_30default_config_static_selectorELNS0_4arch9wavefront6targetE1EEEvS12_
    .private_segment_fixed_size: 0
    .sgpr_count:     4
    .sgpr_spill_count: 0
    .symbol:         _ZN7rocprim17ROCPRIM_400000_NS6detail17trampoline_kernelINS0_13select_configILj256ELj13ELNS0_17block_load_methodE3ELS4_3ELS4_3ELNS0_20block_scan_algorithmE0ELj4294967295EEENS1_25partition_config_selectorILNS1_17partition_subalgoE4EjNS0_10empty_typeEbEEZZNS1_14partition_implILS8_4ELb0ES6_15HIP_vector_typeIjLj2EENS0_17counting_iteratorIjlEEPS9_SG_NS0_5tupleIJPjSI_NS0_16reverse_iteratorISI_EEEEENSH_IJSG_SG_SG_EEES9_SI_JZNS1_25segmented_radix_sort_implINS0_14default_configELb0EPKbPbPKlPlN2at6native12_GLOBAL__N_18offset_tEEE10hipError_tPvRmT1_PNSt15iterator_traitsIS12_E10value_typeET2_T3_PNS13_IS18_E10value_typeET4_jRbjT5_S1E_jjP12ihipStream_tbEUljE_ZNSN_ISO_Lb0ESQ_SR_ST_SU_SY_EESZ_S10_S11_S12_S16_S17_S18_S1B_S1C_jS1D_jS1E_S1E_jjS1G_bEUljE0_EEESZ_S10_S11_S18_S1C_S1E_T6_T7_T9_mT8_S1G_bDpT10_ENKUlT_T0_E_clISt17integral_constantIbLb0EES1U_EEDaS1P_S1Q_EUlS1P_E_NS1_11comp_targetILNS1_3genE5ELNS1_11target_archE942ELNS1_3gpuE9ELNS1_3repE0EEENS1_30default_config_static_selectorELNS0_4arch9wavefront6targetE1EEEvS12_.kd
    .uniform_work_group_size: 1
    .uses_dynamic_stack: false
    .vgpr_count:     0
    .vgpr_spill_count: 0
    .wavefront_size: 64
  - .agpr_count:     0
    .args:
      - .offset:         0
        .size:           176
        .value_kind:     by_value
    .group_segment_fixed_size: 13340
    .kernarg_segment_align: 8
    .kernarg_segment_size: 176
    .language:       OpenCL C
    .language_version:
      - 2
      - 0
    .max_flat_workgroup_size: 256
    .name:           _ZN7rocprim17ROCPRIM_400000_NS6detail17trampoline_kernelINS0_13select_configILj256ELj13ELNS0_17block_load_methodE3ELS4_3ELS4_3ELNS0_20block_scan_algorithmE0ELj4294967295EEENS1_25partition_config_selectorILNS1_17partition_subalgoE4EjNS0_10empty_typeEbEEZZNS1_14partition_implILS8_4ELb0ES6_15HIP_vector_typeIjLj2EENS0_17counting_iteratorIjlEEPS9_SG_NS0_5tupleIJPjSI_NS0_16reverse_iteratorISI_EEEEENSH_IJSG_SG_SG_EEES9_SI_JZNS1_25segmented_radix_sort_implINS0_14default_configELb0EPKbPbPKlPlN2at6native12_GLOBAL__N_18offset_tEEE10hipError_tPvRmT1_PNSt15iterator_traitsIS12_E10value_typeET2_T3_PNS13_IS18_E10value_typeET4_jRbjT5_S1E_jjP12ihipStream_tbEUljE_ZNSN_ISO_Lb0ESQ_SR_ST_SU_SY_EESZ_S10_S11_S12_S16_S17_S18_S1B_S1C_jS1D_jS1E_S1E_jjS1G_bEUljE0_EEESZ_S10_S11_S18_S1C_S1E_T6_T7_T9_mT8_S1G_bDpT10_ENKUlT_T0_E_clISt17integral_constantIbLb0EES1U_EEDaS1P_S1Q_EUlS1P_E_NS1_11comp_targetILNS1_3genE4ELNS1_11target_archE910ELNS1_3gpuE8ELNS1_3repE0EEENS1_30default_config_static_selectorELNS0_4arch9wavefront6targetE1EEEvS12_
    .private_segment_fixed_size: 0
    .sgpr_count:     94
    .sgpr_spill_count: 0
    .symbol:         _ZN7rocprim17ROCPRIM_400000_NS6detail17trampoline_kernelINS0_13select_configILj256ELj13ELNS0_17block_load_methodE3ELS4_3ELS4_3ELNS0_20block_scan_algorithmE0ELj4294967295EEENS1_25partition_config_selectorILNS1_17partition_subalgoE4EjNS0_10empty_typeEbEEZZNS1_14partition_implILS8_4ELb0ES6_15HIP_vector_typeIjLj2EENS0_17counting_iteratorIjlEEPS9_SG_NS0_5tupleIJPjSI_NS0_16reverse_iteratorISI_EEEEENSH_IJSG_SG_SG_EEES9_SI_JZNS1_25segmented_radix_sort_implINS0_14default_configELb0EPKbPbPKlPlN2at6native12_GLOBAL__N_18offset_tEEE10hipError_tPvRmT1_PNSt15iterator_traitsIS12_E10value_typeET2_T3_PNS13_IS18_E10value_typeET4_jRbjT5_S1E_jjP12ihipStream_tbEUljE_ZNSN_ISO_Lb0ESQ_SR_ST_SU_SY_EESZ_S10_S11_S12_S16_S17_S18_S1B_S1C_jS1D_jS1E_S1E_jjS1G_bEUljE0_EEESZ_S10_S11_S18_S1C_S1E_T6_T7_T9_mT8_S1G_bDpT10_ENKUlT_T0_E_clISt17integral_constantIbLb0EES1U_EEDaS1P_S1Q_EUlS1P_E_NS1_11comp_targetILNS1_3genE4ELNS1_11target_archE910ELNS1_3gpuE8ELNS1_3repE0EEENS1_30default_config_static_selectorELNS0_4arch9wavefront6targetE1EEEvS12_.kd
    .uniform_work_group_size: 1
    .uses_dynamic_stack: false
    .vgpr_count:     102
    .vgpr_spill_count: 0
    .wavefront_size: 64
  - .agpr_count:     0
    .args:
      - .offset:         0
        .size:           176
        .value_kind:     by_value
    .group_segment_fixed_size: 0
    .kernarg_segment_align: 8
    .kernarg_segment_size: 176
    .language:       OpenCL C
    .language_version:
      - 2
      - 0
    .max_flat_workgroup_size: 256
    .name:           _ZN7rocprim17ROCPRIM_400000_NS6detail17trampoline_kernelINS0_13select_configILj256ELj13ELNS0_17block_load_methodE3ELS4_3ELS4_3ELNS0_20block_scan_algorithmE0ELj4294967295EEENS1_25partition_config_selectorILNS1_17partition_subalgoE4EjNS0_10empty_typeEbEEZZNS1_14partition_implILS8_4ELb0ES6_15HIP_vector_typeIjLj2EENS0_17counting_iteratorIjlEEPS9_SG_NS0_5tupleIJPjSI_NS0_16reverse_iteratorISI_EEEEENSH_IJSG_SG_SG_EEES9_SI_JZNS1_25segmented_radix_sort_implINS0_14default_configELb0EPKbPbPKlPlN2at6native12_GLOBAL__N_18offset_tEEE10hipError_tPvRmT1_PNSt15iterator_traitsIS12_E10value_typeET2_T3_PNS13_IS18_E10value_typeET4_jRbjT5_S1E_jjP12ihipStream_tbEUljE_ZNSN_ISO_Lb0ESQ_SR_ST_SU_SY_EESZ_S10_S11_S12_S16_S17_S18_S1B_S1C_jS1D_jS1E_S1E_jjS1G_bEUljE0_EEESZ_S10_S11_S18_S1C_S1E_T6_T7_T9_mT8_S1G_bDpT10_ENKUlT_T0_E_clISt17integral_constantIbLb0EES1U_EEDaS1P_S1Q_EUlS1P_E_NS1_11comp_targetILNS1_3genE3ELNS1_11target_archE908ELNS1_3gpuE7ELNS1_3repE0EEENS1_30default_config_static_selectorELNS0_4arch9wavefront6targetE1EEEvS12_
    .private_segment_fixed_size: 0
    .sgpr_count:     4
    .sgpr_spill_count: 0
    .symbol:         _ZN7rocprim17ROCPRIM_400000_NS6detail17trampoline_kernelINS0_13select_configILj256ELj13ELNS0_17block_load_methodE3ELS4_3ELS4_3ELNS0_20block_scan_algorithmE0ELj4294967295EEENS1_25partition_config_selectorILNS1_17partition_subalgoE4EjNS0_10empty_typeEbEEZZNS1_14partition_implILS8_4ELb0ES6_15HIP_vector_typeIjLj2EENS0_17counting_iteratorIjlEEPS9_SG_NS0_5tupleIJPjSI_NS0_16reverse_iteratorISI_EEEEENSH_IJSG_SG_SG_EEES9_SI_JZNS1_25segmented_radix_sort_implINS0_14default_configELb0EPKbPbPKlPlN2at6native12_GLOBAL__N_18offset_tEEE10hipError_tPvRmT1_PNSt15iterator_traitsIS12_E10value_typeET2_T3_PNS13_IS18_E10value_typeET4_jRbjT5_S1E_jjP12ihipStream_tbEUljE_ZNSN_ISO_Lb0ESQ_SR_ST_SU_SY_EESZ_S10_S11_S12_S16_S17_S18_S1B_S1C_jS1D_jS1E_S1E_jjS1G_bEUljE0_EEESZ_S10_S11_S18_S1C_S1E_T6_T7_T9_mT8_S1G_bDpT10_ENKUlT_T0_E_clISt17integral_constantIbLb0EES1U_EEDaS1P_S1Q_EUlS1P_E_NS1_11comp_targetILNS1_3genE3ELNS1_11target_archE908ELNS1_3gpuE7ELNS1_3repE0EEENS1_30default_config_static_selectorELNS0_4arch9wavefront6targetE1EEEvS12_.kd
    .uniform_work_group_size: 1
    .uses_dynamic_stack: false
    .vgpr_count:     0
    .vgpr_spill_count: 0
    .wavefront_size: 64
  - .agpr_count:     0
    .args:
      - .offset:         0
        .size:           176
        .value_kind:     by_value
    .group_segment_fixed_size: 0
    .kernarg_segment_align: 8
    .kernarg_segment_size: 176
    .language:       OpenCL C
    .language_version:
      - 2
      - 0
    .max_flat_workgroup_size: 256
    .name:           _ZN7rocprim17ROCPRIM_400000_NS6detail17trampoline_kernelINS0_13select_configILj256ELj13ELNS0_17block_load_methodE3ELS4_3ELS4_3ELNS0_20block_scan_algorithmE0ELj4294967295EEENS1_25partition_config_selectorILNS1_17partition_subalgoE4EjNS0_10empty_typeEbEEZZNS1_14partition_implILS8_4ELb0ES6_15HIP_vector_typeIjLj2EENS0_17counting_iteratorIjlEEPS9_SG_NS0_5tupleIJPjSI_NS0_16reverse_iteratorISI_EEEEENSH_IJSG_SG_SG_EEES9_SI_JZNS1_25segmented_radix_sort_implINS0_14default_configELb0EPKbPbPKlPlN2at6native12_GLOBAL__N_18offset_tEEE10hipError_tPvRmT1_PNSt15iterator_traitsIS12_E10value_typeET2_T3_PNS13_IS18_E10value_typeET4_jRbjT5_S1E_jjP12ihipStream_tbEUljE_ZNSN_ISO_Lb0ESQ_SR_ST_SU_SY_EESZ_S10_S11_S12_S16_S17_S18_S1B_S1C_jS1D_jS1E_S1E_jjS1G_bEUljE0_EEESZ_S10_S11_S18_S1C_S1E_T6_T7_T9_mT8_S1G_bDpT10_ENKUlT_T0_E_clISt17integral_constantIbLb0EES1U_EEDaS1P_S1Q_EUlS1P_E_NS1_11comp_targetILNS1_3genE2ELNS1_11target_archE906ELNS1_3gpuE6ELNS1_3repE0EEENS1_30default_config_static_selectorELNS0_4arch9wavefront6targetE1EEEvS12_
    .private_segment_fixed_size: 0
    .sgpr_count:     4
    .sgpr_spill_count: 0
    .symbol:         _ZN7rocprim17ROCPRIM_400000_NS6detail17trampoline_kernelINS0_13select_configILj256ELj13ELNS0_17block_load_methodE3ELS4_3ELS4_3ELNS0_20block_scan_algorithmE0ELj4294967295EEENS1_25partition_config_selectorILNS1_17partition_subalgoE4EjNS0_10empty_typeEbEEZZNS1_14partition_implILS8_4ELb0ES6_15HIP_vector_typeIjLj2EENS0_17counting_iteratorIjlEEPS9_SG_NS0_5tupleIJPjSI_NS0_16reverse_iteratorISI_EEEEENSH_IJSG_SG_SG_EEES9_SI_JZNS1_25segmented_radix_sort_implINS0_14default_configELb0EPKbPbPKlPlN2at6native12_GLOBAL__N_18offset_tEEE10hipError_tPvRmT1_PNSt15iterator_traitsIS12_E10value_typeET2_T3_PNS13_IS18_E10value_typeET4_jRbjT5_S1E_jjP12ihipStream_tbEUljE_ZNSN_ISO_Lb0ESQ_SR_ST_SU_SY_EESZ_S10_S11_S12_S16_S17_S18_S1B_S1C_jS1D_jS1E_S1E_jjS1G_bEUljE0_EEESZ_S10_S11_S18_S1C_S1E_T6_T7_T9_mT8_S1G_bDpT10_ENKUlT_T0_E_clISt17integral_constantIbLb0EES1U_EEDaS1P_S1Q_EUlS1P_E_NS1_11comp_targetILNS1_3genE2ELNS1_11target_archE906ELNS1_3gpuE6ELNS1_3repE0EEENS1_30default_config_static_selectorELNS0_4arch9wavefront6targetE1EEEvS12_.kd
    .uniform_work_group_size: 1
    .uses_dynamic_stack: false
    .vgpr_count:     0
    .vgpr_spill_count: 0
    .wavefront_size: 64
  - .agpr_count:     0
    .args:
      - .offset:         0
        .size:           176
        .value_kind:     by_value
    .group_segment_fixed_size: 0
    .kernarg_segment_align: 8
    .kernarg_segment_size: 176
    .language:       OpenCL C
    .language_version:
      - 2
      - 0
    .max_flat_workgroup_size: 256
    .name:           _ZN7rocprim17ROCPRIM_400000_NS6detail17trampoline_kernelINS0_13select_configILj256ELj13ELNS0_17block_load_methodE3ELS4_3ELS4_3ELNS0_20block_scan_algorithmE0ELj4294967295EEENS1_25partition_config_selectorILNS1_17partition_subalgoE4EjNS0_10empty_typeEbEEZZNS1_14partition_implILS8_4ELb0ES6_15HIP_vector_typeIjLj2EENS0_17counting_iteratorIjlEEPS9_SG_NS0_5tupleIJPjSI_NS0_16reverse_iteratorISI_EEEEENSH_IJSG_SG_SG_EEES9_SI_JZNS1_25segmented_radix_sort_implINS0_14default_configELb0EPKbPbPKlPlN2at6native12_GLOBAL__N_18offset_tEEE10hipError_tPvRmT1_PNSt15iterator_traitsIS12_E10value_typeET2_T3_PNS13_IS18_E10value_typeET4_jRbjT5_S1E_jjP12ihipStream_tbEUljE_ZNSN_ISO_Lb0ESQ_SR_ST_SU_SY_EESZ_S10_S11_S12_S16_S17_S18_S1B_S1C_jS1D_jS1E_S1E_jjS1G_bEUljE0_EEESZ_S10_S11_S18_S1C_S1E_T6_T7_T9_mT8_S1G_bDpT10_ENKUlT_T0_E_clISt17integral_constantIbLb0EES1U_EEDaS1P_S1Q_EUlS1P_E_NS1_11comp_targetILNS1_3genE10ELNS1_11target_archE1200ELNS1_3gpuE4ELNS1_3repE0EEENS1_30default_config_static_selectorELNS0_4arch9wavefront6targetE1EEEvS12_
    .private_segment_fixed_size: 0
    .sgpr_count:     4
    .sgpr_spill_count: 0
    .symbol:         _ZN7rocprim17ROCPRIM_400000_NS6detail17trampoline_kernelINS0_13select_configILj256ELj13ELNS0_17block_load_methodE3ELS4_3ELS4_3ELNS0_20block_scan_algorithmE0ELj4294967295EEENS1_25partition_config_selectorILNS1_17partition_subalgoE4EjNS0_10empty_typeEbEEZZNS1_14partition_implILS8_4ELb0ES6_15HIP_vector_typeIjLj2EENS0_17counting_iteratorIjlEEPS9_SG_NS0_5tupleIJPjSI_NS0_16reverse_iteratorISI_EEEEENSH_IJSG_SG_SG_EEES9_SI_JZNS1_25segmented_radix_sort_implINS0_14default_configELb0EPKbPbPKlPlN2at6native12_GLOBAL__N_18offset_tEEE10hipError_tPvRmT1_PNSt15iterator_traitsIS12_E10value_typeET2_T3_PNS13_IS18_E10value_typeET4_jRbjT5_S1E_jjP12ihipStream_tbEUljE_ZNSN_ISO_Lb0ESQ_SR_ST_SU_SY_EESZ_S10_S11_S12_S16_S17_S18_S1B_S1C_jS1D_jS1E_S1E_jjS1G_bEUljE0_EEESZ_S10_S11_S18_S1C_S1E_T6_T7_T9_mT8_S1G_bDpT10_ENKUlT_T0_E_clISt17integral_constantIbLb0EES1U_EEDaS1P_S1Q_EUlS1P_E_NS1_11comp_targetILNS1_3genE10ELNS1_11target_archE1200ELNS1_3gpuE4ELNS1_3repE0EEENS1_30default_config_static_selectorELNS0_4arch9wavefront6targetE1EEEvS12_.kd
    .uniform_work_group_size: 1
    .uses_dynamic_stack: false
    .vgpr_count:     0
    .vgpr_spill_count: 0
    .wavefront_size: 64
  - .agpr_count:     0
    .args:
      - .offset:         0
        .size:           176
        .value_kind:     by_value
    .group_segment_fixed_size: 0
    .kernarg_segment_align: 8
    .kernarg_segment_size: 176
    .language:       OpenCL C
    .language_version:
      - 2
      - 0
    .max_flat_workgroup_size: 256
    .name:           _ZN7rocprim17ROCPRIM_400000_NS6detail17trampoline_kernelINS0_13select_configILj256ELj13ELNS0_17block_load_methodE3ELS4_3ELS4_3ELNS0_20block_scan_algorithmE0ELj4294967295EEENS1_25partition_config_selectorILNS1_17partition_subalgoE4EjNS0_10empty_typeEbEEZZNS1_14partition_implILS8_4ELb0ES6_15HIP_vector_typeIjLj2EENS0_17counting_iteratorIjlEEPS9_SG_NS0_5tupleIJPjSI_NS0_16reverse_iteratorISI_EEEEENSH_IJSG_SG_SG_EEES9_SI_JZNS1_25segmented_radix_sort_implINS0_14default_configELb0EPKbPbPKlPlN2at6native12_GLOBAL__N_18offset_tEEE10hipError_tPvRmT1_PNSt15iterator_traitsIS12_E10value_typeET2_T3_PNS13_IS18_E10value_typeET4_jRbjT5_S1E_jjP12ihipStream_tbEUljE_ZNSN_ISO_Lb0ESQ_SR_ST_SU_SY_EESZ_S10_S11_S12_S16_S17_S18_S1B_S1C_jS1D_jS1E_S1E_jjS1G_bEUljE0_EEESZ_S10_S11_S18_S1C_S1E_T6_T7_T9_mT8_S1G_bDpT10_ENKUlT_T0_E_clISt17integral_constantIbLb0EES1U_EEDaS1P_S1Q_EUlS1P_E_NS1_11comp_targetILNS1_3genE9ELNS1_11target_archE1100ELNS1_3gpuE3ELNS1_3repE0EEENS1_30default_config_static_selectorELNS0_4arch9wavefront6targetE1EEEvS12_
    .private_segment_fixed_size: 0
    .sgpr_count:     4
    .sgpr_spill_count: 0
    .symbol:         _ZN7rocprim17ROCPRIM_400000_NS6detail17trampoline_kernelINS0_13select_configILj256ELj13ELNS0_17block_load_methodE3ELS4_3ELS4_3ELNS0_20block_scan_algorithmE0ELj4294967295EEENS1_25partition_config_selectorILNS1_17partition_subalgoE4EjNS0_10empty_typeEbEEZZNS1_14partition_implILS8_4ELb0ES6_15HIP_vector_typeIjLj2EENS0_17counting_iteratorIjlEEPS9_SG_NS0_5tupleIJPjSI_NS0_16reverse_iteratorISI_EEEEENSH_IJSG_SG_SG_EEES9_SI_JZNS1_25segmented_radix_sort_implINS0_14default_configELb0EPKbPbPKlPlN2at6native12_GLOBAL__N_18offset_tEEE10hipError_tPvRmT1_PNSt15iterator_traitsIS12_E10value_typeET2_T3_PNS13_IS18_E10value_typeET4_jRbjT5_S1E_jjP12ihipStream_tbEUljE_ZNSN_ISO_Lb0ESQ_SR_ST_SU_SY_EESZ_S10_S11_S12_S16_S17_S18_S1B_S1C_jS1D_jS1E_S1E_jjS1G_bEUljE0_EEESZ_S10_S11_S18_S1C_S1E_T6_T7_T9_mT8_S1G_bDpT10_ENKUlT_T0_E_clISt17integral_constantIbLb0EES1U_EEDaS1P_S1Q_EUlS1P_E_NS1_11comp_targetILNS1_3genE9ELNS1_11target_archE1100ELNS1_3gpuE3ELNS1_3repE0EEENS1_30default_config_static_selectorELNS0_4arch9wavefront6targetE1EEEvS12_.kd
    .uniform_work_group_size: 1
    .uses_dynamic_stack: false
    .vgpr_count:     0
    .vgpr_spill_count: 0
    .wavefront_size: 64
  - .agpr_count:     0
    .args:
      - .offset:         0
        .size:           176
        .value_kind:     by_value
    .group_segment_fixed_size: 0
    .kernarg_segment_align: 8
    .kernarg_segment_size: 176
    .language:       OpenCL C
    .language_version:
      - 2
      - 0
    .max_flat_workgroup_size: 256
    .name:           _ZN7rocprim17ROCPRIM_400000_NS6detail17trampoline_kernelINS0_13select_configILj256ELj13ELNS0_17block_load_methodE3ELS4_3ELS4_3ELNS0_20block_scan_algorithmE0ELj4294967295EEENS1_25partition_config_selectorILNS1_17partition_subalgoE4EjNS0_10empty_typeEbEEZZNS1_14partition_implILS8_4ELb0ES6_15HIP_vector_typeIjLj2EENS0_17counting_iteratorIjlEEPS9_SG_NS0_5tupleIJPjSI_NS0_16reverse_iteratorISI_EEEEENSH_IJSG_SG_SG_EEES9_SI_JZNS1_25segmented_radix_sort_implINS0_14default_configELb0EPKbPbPKlPlN2at6native12_GLOBAL__N_18offset_tEEE10hipError_tPvRmT1_PNSt15iterator_traitsIS12_E10value_typeET2_T3_PNS13_IS18_E10value_typeET4_jRbjT5_S1E_jjP12ihipStream_tbEUljE_ZNSN_ISO_Lb0ESQ_SR_ST_SU_SY_EESZ_S10_S11_S12_S16_S17_S18_S1B_S1C_jS1D_jS1E_S1E_jjS1G_bEUljE0_EEESZ_S10_S11_S18_S1C_S1E_T6_T7_T9_mT8_S1G_bDpT10_ENKUlT_T0_E_clISt17integral_constantIbLb0EES1U_EEDaS1P_S1Q_EUlS1P_E_NS1_11comp_targetILNS1_3genE8ELNS1_11target_archE1030ELNS1_3gpuE2ELNS1_3repE0EEENS1_30default_config_static_selectorELNS0_4arch9wavefront6targetE1EEEvS12_
    .private_segment_fixed_size: 0
    .sgpr_count:     4
    .sgpr_spill_count: 0
    .symbol:         _ZN7rocprim17ROCPRIM_400000_NS6detail17trampoline_kernelINS0_13select_configILj256ELj13ELNS0_17block_load_methodE3ELS4_3ELS4_3ELNS0_20block_scan_algorithmE0ELj4294967295EEENS1_25partition_config_selectorILNS1_17partition_subalgoE4EjNS0_10empty_typeEbEEZZNS1_14partition_implILS8_4ELb0ES6_15HIP_vector_typeIjLj2EENS0_17counting_iteratorIjlEEPS9_SG_NS0_5tupleIJPjSI_NS0_16reverse_iteratorISI_EEEEENSH_IJSG_SG_SG_EEES9_SI_JZNS1_25segmented_radix_sort_implINS0_14default_configELb0EPKbPbPKlPlN2at6native12_GLOBAL__N_18offset_tEEE10hipError_tPvRmT1_PNSt15iterator_traitsIS12_E10value_typeET2_T3_PNS13_IS18_E10value_typeET4_jRbjT5_S1E_jjP12ihipStream_tbEUljE_ZNSN_ISO_Lb0ESQ_SR_ST_SU_SY_EESZ_S10_S11_S12_S16_S17_S18_S1B_S1C_jS1D_jS1E_S1E_jjS1G_bEUljE0_EEESZ_S10_S11_S18_S1C_S1E_T6_T7_T9_mT8_S1G_bDpT10_ENKUlT_T0_E_clISt17integral_constantIbLb0EES1U_EEDaS1P_S1Q_EUlS1P_E_NS1_11comp_targetILNS1_3genE8ELNS1_11target_archE1030ELNS1_3gpuE2ELNS1_3repE0EEENS1_30default_config_static_selectorELNS0_4arch9wavefront6targetE1EEEvS12_.kd
    .uniform_work_group_size: 1
    .uses_dynamic_stack: false
    .vgpr_count:     0
    .vgpr_spill_count: 0
    .wavefront_size: 64
  - .agpr_count:     0
    .args:
      - .offset:         0
        .size:           184
        .value_kind:     by_value
    .group_segment_fixed_size: 0
    .kernarg_segment_align: 8
    .kernarg_segment_size: 184
    .language:       OpenCL C
    .language_version:
      - 2
      - 0
    .max_flat_workgroup_size: 256
    .name:           _ZN7rocprim17ROCPRIM_400000_NS6detail17trampoline_kernelINS0_13select_configILj256ELj13ELNS0_17block_load_methodE3ELS4_3ELS4_3ELNS0_20block_scan_algorithmE0ELj4294967295EEENS1_25partition_config_selectorILNS1_17partition_subalgoE4EjNS0_10empty_typeEbEEZZNS1_14partition_implILS8_4ELb0ES6_15HIP_vector_typeIjLj2EENS0_17counting_iteratorIjlEEPS9_SG_NS0_5tupleIJPjSI_NS0_16reverse_iteratorISI_EEEEENSH_IJSG_SG_SG_EEES9_SI_JZNS1_25segmented_radix_sort_implINS0_14default_configELb0EPKbPbPKlPlN2at6native12_GLOBAL__N_18offset_tEEE10hipError_tPvRmT1_PNSt15iterator_traitsIS12_E10value_typeET2_T3_PNS13_IS18_E10value_typeET4_jRbjT5_S1E_jjP12ihipStream_tbEUljE_ZNSN_ISO_Lb0ESQ_SR_ST_SU_SY_EESZ_S10_S11_S12_S16_S17_S18_S1B_S1C_jS1D_jS1E_S1E_jjS1G_bEUljE0_EEESZ_S10_S11_S18_S1C_S1E_T6_T7_T9_mT8_S1G_bDpT10_ENKUlT_T0_E_clISt17integral_constantIbLb1EES1U_EEDaS1P_S1Q_EUlS1P_E_NS1_11comp_targetILNS1_3genE0ELNS1_11target_archE4294967295ELNS1_3gpuE0ELNS1_3repE0EEENS1_30default_config_static_selectorELNS0_4arch9wavefront6targetE1EEEvS12_
    .private_segment_fixed_size: 0
    .sgpr_count:     4
    .sgpr_spill_count: 0
    .symbol:         _ZN7rocprim17ROCPRIM_400000_NS6detail17trampoline_kernelINS0_13select_configILj256ELj13ELNS0_17block_load_methodE3ELS4_3ELS4_3ELNS0_20block_scan_algorithmE0ELj4294967295EEENS1_25partition_config_selectorILNS1_17partition_subalgoE4EjNS0_10empty_typeEbEEZZNS1_14partition_implILS8_4ELb0ES6_15HIP_vector_typeIjLj2EENS0_17counting_iteratorIjlEEPS9_SG_NS0_5tupleIJPjSI_NS0_16reverse_iteratorISI_EEEEENSH_IJSG_SG_SG_EEES9_SI_JZNS1_25segmented_radix_sort_implINS0_14default_configELb0EPKbPbPKlPlN2at6native12_GLOBAL__N_18offset_tEEE10hipError_tPvRmT1_PNSt15iterator_traitsIS12_E10value_typeET2_T3_PNS13_IS18_E10value_typeET4_jRbjT5_S1E_jjP12ihipStream_tbEUljE_ZNSN_ISO_Lb0ESQ_SR_ST_SU_SY_EESZ_S10_S11_S12_S16_S17_S18_S1B_S1C_jS1D_jS1E_S1E_jjS1G_bEUljE0_EEESZ_S10_S11_S18_S1C_S1E_T6_T7_T9_mT8_S1G_bDpT10_ENKUlT_T0_E_clISt17integral_constantIbLb1EES1U_EEDaS1P_S1Q_EUlS1P_E_NS1_11comp_targetILNS1_3genE0ELNS1_11target_archE4294967295ELNS1_3gpuE0ELNS1_3repE0EEENS1_30default_config_static_selectorELNS0_4arch9wavefront6targetE1EEEvS12_.kd
    .uniform_work_group_size: 1
    .uses_dynamic_stack: false
    .vgpr_count:     0
    .vgpr_spill_count: 0
    .wavefront_size: 64
  - .agpr_count:     0
    .args:
      - .offset:         0
        .size:           184
        .value_kind:     by_value
    .group_segment_fixed_size: 0
    .kernarg_segment_align: 8
    .kernarg_segment_size: 184
    .language:       OpenCL C
    .language_version:
      - 2
      - 0
    .max_flat_workgroup_size: 256
    .name:           _ZN7rocprim17ROCPRIM_400000_NS6detail17trampoline_kernelINS0_13select_configILj256ELj13ELNS0_17block_load_methodE3ELS4_3ELS4_3ELNS0_20block_scan_algorithmE0ELj4294967295EEENS1_25partition_config_selectorILNS1_17partition_subalgoE4EjNS0_10empty_typeEbEEZZNS1_14partition_implILS8_4ELb0ES6_15HIP_vector_typeIjLj2EENS0_17counting_iteratorIjlEEPS9_SG_NS0_5tupleIJPjSI_NS0_16reverse_iteratorISI_EEEEENSH_IJSG_SG_SG_EEES9_SI_JZNS1_25segmented_radix_sort_implINS0_14default_configELb0EPKbPbPKlPlN2at6native12_GLOBAL__N_18offset_tEEE10hipError_tPvRmT1_PNSt15iterator_traitsIS12_E10value_typeET2_T3_PNS13_IS18_E10value_typeET4_jRbjT5_S1E_jjP12ihipStream_tbEUljE_ZNSN_ISO_Lb0ESQ_SR_ST_SU_SY_EESZ_S10_S11_S12_S16_S17_S18_S1B_S1C_jS1D_jS1E_S1E_jjS1G_bEUljE0_EEESZ_S10_S11_S18_S1C_S1E_T6_T7_T9_mT8_S1G_bDpT10_ENKUlT_T0_E_clISt17integral_constantIbLb1EES1U_EEDaS1P_S1Q_EUlS1P_E_NS1_11comp_targetILNS1_3genE5ELNS1_11target_archE942ELNS1_3gpuE9ELNS1_3repE0EEENS1_30default_config_static_selectorELNS0_4arch9wavefront6targetE1EEEvS12_
    .private_segment_fixed_size: 0
    .sgpr_count:     4
    .sgpr_spill_count: 0
    .symbol:         _ZN7rocprim17ROCPRIM_400000_NS6detail17trampoline_kernelINS0_13select_configILj256ELj13ELNS0_17block_load_methodE3ELS4_3ELS4_3ELNS0_20block_scan_algorithmE0ELj4294967295EEENS1_25partition_config_selectorILNS1_17partition_subalgoE4EjNS0_10empty_typeEbEEZZNS1_14partition_implILS8_4ELb0ES6_15HIP_vector_typeIjLj2EENS0_17counting_iteratorIjlEEPS9_SG_NS0_5tupleIJPjSI_NS0_16reverse_iteratorISI_EEEEENSH_IJSG_SG_SG_EEES9_SI_JZNS1_25segmented_radix_sort_implINS0_14default_configELb0EPKbPbPKlPlN2at6native12_GLOBAL__N_18offset_tEEE10hipError_tPvRmT1_PNSt15iterator_traitsIS12_E10value_typeET2_T3_PNS13_IS18_E10value_typeET4_jRbjT5_S1E_jjP12ihipStream_tbEUljE_ZNSN_ISO_Lb0ESQ_SR_ST_SU_SY_EESZ_S10_S11_S12_S16_S17_S18_S1B_S1C_jS1D_jS1E_S1E_jjS1G_bEUljE0_EEESZ_S10_S11_S18_S1C_S1E_T6_T7_T9_mT8_S1G_bDpT10_ENKUlT_T0_E_clISt17integral_constantIbLb1EES1U_EEDaS1P_S1Q_EUlS1P_E_NS1_11comp_targetILNS1_3genE5ELNS1_11target_archE942ELNS1_3gpuE9ELNS1_3repE0EEENS1_30default_config_static_selectorELNS0_4arch9wavefront6targetE1EEEvS12_.kd
    .uniform_work_group_size: 1
    .uses_dynamic_stack: false
    .vgpr_count:     0
    .vgpr_spill_count: 0
    .wavefront_size: 64
  - .agpr_count:     0
    .args:
      - .offset:         0
        .size:           184
        .value_kind:     by_value
    .group_segment_fixed_size: 13340
    .kernarg_segment_align: 8
    .kernarg_segment_size: 184
    .language:       OpenCL C
    .language_version:
      - 2
      - 0
    .max_flat_workgroup_size: 256
    .name:           _ZN7rocprim17ROCPRIM_400000_NS6detail17trampoline_kernelINS0_13select_configILj256ELj13ELNS0_17block_load_methodE3ELS4_3ELS4_3ELNS0_20block_scan_algorithmE0ELj4294967295EEENS1_25partition_config_selectorILNS1_17partition_subalgoE4EjNS0_10empty_typeEbEEZZNS1_14partition_implILS8_4ELb0ES6_15HIP_vector_typeIjLj2EENS0_17counting_iteratorIjlEEPS9_SG_NS0_5tupleIJPjSI_NS0_16reverse_iteratorISI_EEEEENSH_IJSG_SG_SG_EEES9_SI_JZNS1_25segmented_radix_sort_implINS0_14default_configELb0EPKbPbPKlPlN2at6native12_GLOBAL__N_18offset_tEEE10hipError_tPvRmT1_PNSt15iterator_traitsIS12_E10value_typeET2_T3_PNS13_IS18_E10value_typeET4_jRbjT5_S1E_jjP12ihipStream_tbEUljE_ZNSN_ISO_Lb0ESQ_SR_ST_SU_SY_EESZ_S10_S11_S12_S16_S17_S18_S1B_S1C_jS1D_jS1E_S1E_jjS1G_bEUljE0_EEESZ_S10_S11_S18_S1C_S1E_T6_T7_T9_mT8_S1G_bDpT10_ENKUlT_T0_E_clISt17integral_constantIbLb1EES1U_EEDaS1P_S1Q_EUlS1P_E_NS1_11comp_targetILNS1_3genE4ELNS1_11target_archE910ELNS1_3gpuE8ELNS1_3repE0EEENS1_30default_config_static_selectorELNS0_4arch9wavefront6targetE1EEEvS12_
    .private_segment_fixed_size: 0
    .sgpr_count:     91
    .sgpr_spill_count: 0
    .symbol:         _ZN7rocprim17ROCPRIM_400000_NS6detail17trampoline_kernelINS0_13select_configILj256ELj13ELNS0_17block_load_methodE3ELS4_3ELS4_3ELNS0_20block_scan_algorithmE0ELj4294967295EEENS1_25partition_config_selectorILNS1_17partition_subalgoE4EjNS0_10empty_typeEbEEZZNS1_14partition_implILS8_4ELb0ES6_15HIP_vector_typeIjLj2EENS0_17counting_iteratorIjlEEPS9_SG_NS0_5tupleIJPjSI_NS0_16reverse_iteratorISI_EEEEENSH_IJSG_SG_SG_EEES9_SI_JZNS1_25segmented_radix_sort_implINS0_14default_configELb0EPKbPbPKlPlN2at6native12_GLOBAL__N_18offset_tEEE10hipError_tPvRmT1_PNSt15iterator_traitsIS12_E10value_typeET2_T3_PNS13_IS18_E10value_typeET4_jRbjT5_S1E_jjP12ihipStream_tbEUljE_ZNSN_ISO_Lb0ESQ_SR_ST_SU_SY_EESZ_S10_S11_S12_S16_S17_S18_S1B_S1C_jS1D_jS1E_S1E_jjS1G_bEUljE0_EEESZ_S10_S11_S18_S1C_S1E_T6_T7_T9_mT8_S1G_bDpT10_ENKUlT_T0_E_clISt17integral_constantIbLb1EES1U_EEDaS1P_S1Q_EUlS1P_E_NS1_11comp_targetILNS1_3genE4ELNS1_11target_archE910ELNS1_3gpuE8ELNS1_3repE0EEENS1_30default_config_static_selectorELNS0_4arch9wavefront6targetE1EEEvS12_.kd
    .uniform_work_group_size: 1
    .uses_dynamic_stack: false
    .vgpr_count:     107
    .vgpr_spill_count: 0
    .wavefront_size: 64
  - .agpr_count:     0
    .args:
      - .offset:         0
        .size:           184
        .value_kind:     by_value
    .group_segment_fixed_size: 0
    .kernarg_segment_align: 8
    .kernarg_segment_size: 184
    .language:       OpenCL C
    .language_version:
      - 2
      - 0
    .max_flat_workgroup_size: 256
    .name:           _ZN7rocprim17ROCPRIM_400000_NS6detail17trampoline_kernelINS0_13select_configILj256ELj13ELNS0_17block_load_methodE3ELS4_3ELS4_3ELNS0_20block_scan_algorithmE0ELj4294967295EEENS1_25partition_config_selectorILNS1_17partition_subalgoE4EjNS0_10empty_typeEbEEZZNS1_14partition_implILS8_4ELb0ES6_15HIP_vector_typeIjLj2EENS0_17counting_iteratorIjlEEPS9_SG_NS0_5tupleIJPjSI_NS0_16reverse_iteratorISI_EEEEENSH_IJSG_SG_SG_EEES9_SI_JZNS1_25segmented_radix_sort_implINS0_14default_configELb0EPKbPbPKlPlN2at6native12_GLOBAL__N_18offset_tEEE10hipError_tPvRmT1_PNSt15iterator_traitsIS12_E10value_typeET2_T3_PNS13_IS18_E10value_typeET4_jRbjT5_S1E_jjP12ihipStream_tbEUljE_ZNSN_ISO_Lb0ESQ_SR_ST_SU_SY_EESZ_S10_S11_S12_S16_S17_S18_S1B_S1C_jS1D_jS1E_S1E_jjS1G_bEUljE0_EEESZ_S10_S11_S18_S1C_S1E_T6_T7_T9_mT8_S1G_bDpT10_ENKUlT_T0_E_clISt17integral_constantIbLb1EES1U_EEDaS1P_S1Q_EUlS1P_E_NS1_11comp_targetILNS1_3genE3ELNS1_11target_archE908ELNS1_3gpuE7ELNS1_3repE0EEENS1_30default_config_static_selectorELNS0_4arch9wavefront6targetE1EEEvS12_
    .private_segment_fixed_size: 0
    .sgpr_count:     4
    .sgpr_spill_count: 0
    .symbol:         _ZN7rocprim17ROCPRIM_400000_NS6detail17trampoline_kernelINS0_13select_configILj256ELj13ELNS0_17block_load_methodE3ELS4_3ELS4_3ELNS0_20block_scan_algorithmE0ELj4294967295EEENS1_25partition_config_selectorILNS1_17partition_subalgoE4EjNS0_10empty_typeEbEEZZNS1_14partition_implILS8_4ELb0ES6_15HIP_vector_typeIjLj2EENS0_17counting_iteratorIjlEEPS9_SG_NS0_5tupleIJPjSI_NS0_16reverse_iteratorISI_EEEEENSH_IJSG_SG_SG_EEES9_SI_JZNS1_25segmented_radix_sort_implINS0_14default_configELb0EPKbPbPKlPlN2at6native12_GLOBAL__N_18offset_tEEE10hipError_tPvRmT1_PNSt15iterator_traitsIS12_E10value_typeET2_T3_PNS13_IS18_E10value_typeET4_jRbjT5_S1E_jjP12ihipStream_tbEUljE_ZNSN_ISO_Lb0ESQ_SR_ST_SU_SY_EESZ_S10_S11_S12_S16_S17_S18_S1B_S1C_jS1D_jS1E_S1E_jjS1G_bEUljE0_EEESZ_S10_S11_S18_S1C_S1E_T6_T7_T9_mT8_S1G_bDpT10_ENKUlT_T0_E_clISt17integral_constantIbLb1EES1U_EEDaS1P_S1Q_EUlS1P_E_NS1_11comp_targetILNS1_3genE3ELNS1_11target_archE908ELNS1_3gpuE7ELNS1_3repE0EEENS1_30default_config_static_selectorELNS0_4arch9wavefront6targetE1EEEvS12_.kd
    .uniform_work_group_size: 1
    .uses_dynamic_stack: false
    .vgpr_count:     0
    .vgpr_spill_count: 0
    .wavefront_size: 64
  - .agpr_count:     0
    .args:
      - .offset:         0
        .size:           184
        .value_kind:     by_value
    .group_segment_fixed_size: 0
    .kernarg_segment_align: 8
    .kernarg_segment_size: 184
    .language:       OpenCL C
    .language_version:
      - 2
      - 0
    .max_flat_workgroup_size: 256
    .name:           _ZN7rocprim17ROCPRIM_400000_NS6detail17trampoline_kernelINS0_13select_configILj256ELj13ELNS0_17block_load_methodE3ELS4_3ELS4_3ELNS0_20block_scan_algorithmE0ELj4294967295EEENS1_25partition_config_selectorILNS1_17partition_subalgoE4EjNS0_10empty_typeEbEEZZNS1_14partition_implILS8_4ELb0ES6_15HIP_vector_typeIjLj2EENS0_17counting_iteratorIjlEEPS9_SG_NS0_5tupleIJPjSI_NS0_16reverse_iteratorISI_EEEEENSH_IJSG_SG_SG_EEES9_SI_JZNS1_25segmented_radix_sort_implINS0_14default_configELb0EPKbPbPKlPlN2at6native12_GLOBAL__N_18offset_tEEE10hipError_tPvRmT1_PNSt15iterator_traitsIS12_E10value_typeET2_T3_PNS13_IS18_E10value_typeET4_jRbjT5_S1E_jjP12ihipStream_tbEUljE_ZNSN_ISO_Lb0ESQ_SR_ST_SU_SY_EESZ_S10_S11_S12_S16_S17_S18_S1B_S1C_jS1D_jS1E_S1E_jjS1G_bEUljE0_EEESZ_S10_S11_S18_S1C_S1E_T6_T7_T9_mT8_S1G_bDpT10_ENKUlT_T0_E_clISt17integral_constantIbLb1EES1U_EEDaS1P_S1Q_EUlS1P_E_NS1_11comp_targetILNS1_3genE2ELNS1_11target_archE906ELNS1_3gpuE6ELNS1_3repE0EEENS1_30default_config_static_selectorELNS0_4arch9wavefront6targetE1EEEvS12_
    .private_segment_fixed_size: 0
    .sgpr_count:     4
    .sgpr_spill_count: 0
    .symbol:         _ZN7rocprim17ROCPRIM_400000_NS6detail17trampoline_kernelINS0_13select_configILj256ELj13ELNS0_17block_load_methodE3ELS4_3ELS4_3ELNS0_20block_scan_algorithmE0ELj4294967295EEENS1_25partition_config_selectorILNS1_17partition_subalgoE4EjNS0_10empty_typeEbEEZZNS1_14partition_implILS8_4ELb0ES6_15HIP_vector_typeIjLj2EENS0_17counting_iteratorIjlEEPS9_SG_NS0_5tupleIJPjSI_NS0_16reverse_iteratorISI_EEEEENSH_IJSG_SG_SG_EEES9_SI_JZNS1_25segmented_radix_sort_implINS0_14default_configELb0EPKbPbPKlPlN2at6native12_GLOBAL__N_18offset_tEEE10hipError_tPvRmT1_PNSt15iterator_traitsIS12_E10value_typeET2_T3_PNS13_IS18_E10value_typeET4_jRbjT5_S1E_jjP12ihipStream_tbEUljE_ZNSN_ISO_Lb0ESQ_SR_ST_SU_SY_EESZ_S10_S11_S12_S16_S17_S18_S1B_S1C_jS1D_jS1E_S1E_jjS1G_bEUljE0_EEESZ_S10_S11_S18_S1C_S1E_T6_T7_T9_mT8_S1G_bDpT10_ENKUlT_T0_E_clISt17integral_constantIbLb1EES1U_EEDaS1P_S1Q_EUlS1P_E_NS1_11comp_targetILNS1_3genE2ELNS1_11target_archE906ELNS1_3gpuE6ELNS1_3repE0EEENS1_30default_config_static_selectorELNS0_4arch9wavefront6targetE1EEEvS12_.kd
    .uniform_work_group_size: 1
    .uses_dynamic_stack: false
    .vgpr_count:     0
    .vgpr_spill_count: 0
    .wavefront_size: 64
  - .agpr_count:     0
    .args:
      - .offset:         0
        .size:           184
        .value_kind:     by_value
    .group_segment_fixed_size: 0
    .kernarg_segment_align: 8
    .kernarg_segment_size: 184
    .language:       OpenCL C
    .language_version:
      - 2
      - 0
    .max_flat_workgroup_size: 256
    .name:           _ZN7rocprim17ROCPRIM_400000_NS6detail17trampoline_kernelINS0_13select_configILj256ELj13ELNS0_17block_load_methodE3ELS4_3ELS4_3ELNS0_20block_scan_algorithmE0ELj4294967295EEENS1_25partition_config_selectorILNS1_17partition_subalgoE4EjNS0_10empty_typeEbEEZZNS1_14partition_implILS8_4ELb0ES6_15HIP_vector_typeIjLj2EENS0_17counting_iteratorIjlEEPS9_SG_NS0_5tupleIJPjSI_NS0_16reverse_iteratorISI_EEEEENSH_IJSG_SG_SG_EEES9_SI_JZNS1_25segmented_radix_sort_implINS0_14default_configELb0EPKbPbPKlPlN2at6native12_GLOBAL__N_18offset_tEEE10hipError_tPvRmT1_PNSt15iterator_traitsIS12_E10value_typeET2_T3_PNS13_IS18_E10value_typeET4_jRbjT5_S1E_jjP12ihipStream_tbEUljE_ZNSN_ISO_Lb0ESQ_SR_ST_SU_SY_EESZ_S10_S11_S12_S16_S17_S18_S1B_S1C_jS1D_jS1E_S1E_jjS1G_bEUljE0_EEESZ_S10_S11_S18_S1C_S1E_T6_T7_T9_mT8_S1G_bDpT10_ENKUlT_T0_E_clISt17integral_constantIbLb1EES1U_EEDaS1P_S1Q_EUlS1P_E_NS1_11comp_targetILNS1_3genE10ELNS1_11target_archE1200ELNS1_3gpuE4ELNS1_3repE0EEENS1_30default_config_static_selectorELNS0_4arch9wavefront6targetE1EEEvS12_
    .private_segment_fixed_size: 0
    .sgpr_count:     4
    .sgpr_spill_count: 0
    .symbol:         _ZN7rocprim17ROCPRIM_400000_NS6detail17trampoline_kernelINS0_13select_configILj256ELj13ELNS0_17block_load_methodE3ELS4_3ELS4_3ELNS0_20block_scan_algorithmE0ELj4294967295EEENS1_25partition_config_selectorILNS1_17partition_subalgoE4EjNS0_10empty_typeEbEEZZNS1_14partition_implILS8_4ELb0ES6_15HIP_vector_typeIjLj2EENS0_17counting_iteratorIjlEEPS9_SG_NS0_5tupleIJPjSI_NS0_16reverse_iteratorISI_EEEEENSH_IJSG_SG_SG_EEES9_SI_JZNS1_25segmented_radix_sort_implINS0_14default_configELb0EPKbPbPKlPlN2at6native12_GLOBAL__N_18offset_tEEE10hipError_tPvRmT1_PNSt15iterator_traitsIS12_E10value_typeET2_T3_PNS13_IS18_E10value_typeET4_jRbjT5_S1E_jjP12ihipStream_tbEUljE_ZNSN_ISO_Lb0ESQ_SR_ST_SU_SY_EESZ_S10_S11_S12_S16_S17_S18_S1B_S1C_jS1D_jS1E_S1E_jjS1G_bEUljE0_EEESZ_S10_S11_S18_S1C_S1E_T6_T7_T9_mT8_S1G_bDpT10_ENKUlT_T0_E_clISt17integral_constantIbLb1EES1U_EEDaS1P_S1Q_EUlS1P_E_NS1_11comp_targetILNS1_3genE10ELNS1_11target_archE1200ELNS1_3gpuE4ELNS1_3repE0EEENS1_30default_config_static_selectorELNS0_4arch9wavefront6targetE1EEEvS12_.kd
    .uniform_work_group_size: 1
    .uses_dynamic_stack: false
    .vgpr_count:     0
    .vgpr_spill_count: 0
    .wavefront_size: 64
  - .agpr_count:     0
    .args:
      - .offset:         0
        .size:           184
        .value_kind:     by_value
    .group_segment_fixed_size: 0
    .kernarg_segment_align: 8
    .kernarg_segment_size: 184
    .language:       OpenCL C
    .language_version:
      - 2
      - 0
    .max_flat_workgroup_size: 256
    .name:           _ZN7rocprim17ROCPRIM_400000_NS6detail17trampoline_kernelINS0_13select_configILj256ELj13ELNS0_17block_load_methodE3ELS4_3ELS4_3ELNS0_20block_scan_algorithmE0ELj4294967295EEENS1_25partition_config_selectorILNS1_17partition_subalgoE4EjNS0_10empty_typeEbEEZZNS1_14partition_implILS8_4ELb0ES6_15HIP_vector_typeIjLj2EENS0_17counting_iteratorIjlEEPS9_SG_NS0_5tupleIJPjSI_NS0_16reverse_iteratorISI_EEEEENSH_IJSG_SG_SG_EEES9_SI_JZNS1_25segmented_radix_sort_implINS0_14default_configELb0EPKbPbPKlPlN2at6native12_GLOBAL__N_18offset_tEEE10hipError_tPvRmT1_PNSt15iterator_traitsIS12_E10value_typeET2_T3_PNS13_IS18_E10value_typeET4_jRbjT5_S1E_jjP12ihipStream_tbEUljE_ZNSN_ISO_Lb0ESQ_SR_ST_SU_SY_EESZ_S10_S11_S12_S16_S17_S18_S1B_S1C_jS1D_jS1E_S1E_jjS1G_bEUljE0_EEESZ_S10_S11_S18_S1C_S1E_T6_T7_T9_mT8_S1G_bDpT10_ENKUlT_T0_E_clISt17integral_constantIbLb1EES1U_EEDaS1P_S1Q_EUlS1P_E_NS1_11comp_targetILNS1_3genE9ELNS1_11target_archE1100ELNS1_3gpuE3ELNS1_3repE0EEENS1_30default_config_static_selectorELNS0_4arch9wavefront6targetE1EEEvS12_
    .private_segment_fixed_size: 0
    .sgpr_count:     4
    .sgpr_spill_count: 0
    .symbol:         _ZN7rocprim17ROCPRIM_400000_NS6detail17trampoline_kernelINS0_13select_configILj256ELj13ELNS0_17block_load_methodE3ELS4_3ELS4_3ELNS0_20block_scan_algorithmE0ELj4294967295EEENS1_25partition_config_selectorILNS1_17partition_subalgoE4EjNS0_10empty_typeEbEEZZNS1_14partition_implILS8_4ELb0ES6_15HIP_vector_typeIjLj2EENS0_17counting_iteratorIjlEEPS9_SG_NS0_5tupleIJPjSI_NS0_16reverse_iteratorISI_EEEEENSH_IJSG_SG_SG_EEES9_SI_JZNS1_25segmented_radix_sort_implINS0_14default_configELb0EPKbPbPKlPlN2at6native12_GLOBAL__N_18offset_tEEE10hipError_tPvRmT1_PNSt15iterator_traitsIS12_E10value_typeET2_T3_PNS13_IS18_E10value_typeET4_jRbjT5_S1E_jjP12ihipStream_tbEUljE_ZNSN_ISO_Lb0ESQ_SR_ST_SU_SY_EESZ_S10_S11_S12_S16_S17_S18_S1B_S1C_jS1D_jS1E_S1E_jjS1G_bEUljE0_EEESZ_S10_S11_S18_S1C_S1E_T6_T7_T9_mT8_S1G_bDpT10_ENKUlT_T0_E_clISt17integral_constantIbLb1EES1U_EEDaS1P_S1Q_EUlS1P_E_NS1_11comp_targetILNS1_3genE9ELNS1_11target_archE1100ELNS1_3gpuE3ELNS1_3repE0EEENS1_30default_config_static_selectorELNS0_4arch9wavefront6targetE1EEEvS12_.kd
    .uniform_work_group_size: 1
    .uses_dynamic_stack: false
    .vgpr_count:     0
    .vgpr_spill_count: 0
    .wavefront_size: 64
  - .agpr_count:     0
    .args:
      - .offset:         0
        .size:           184
        .value_kind:     by_value
    .group_segment_fixed_size: 0
    .kernarg_segment_align: 8
    .kernarg_segment_size: 184
    .language:       OpenCL C
    .language_version:
      - 2
      - 0
    .max_flat_workgroup_size: 256
    .name:           _ZN7rocprim17ROCPRIM_400000_NS6detail17trampoline_kernelINS0_13select_configILj256ELj13ELNS0_17block_load_methodE3ELS4_3ELS4_3ELNS0_20block_scan_algorithmE0ELj4294967295EEENS1_25partition_config_selectorILNS1_17partition_subalgoE4EjNS0_10empty_typeEbEEZZNS1_14partition_implILS8_4ELb0ES6_15HIP_vector_typeIjLj2EENS0_17counting_iteratorIjlEEPS9_SG_NS0_5tupleIJPjSI_NS0_16reverse_iteratorISI_EEEEENSH_IJSG_SG_SG_EEES9_SI_JZNS1_25segmented_radix_sort_implINS0_14default_configELb0EPKbPbPKlPlN2at6native12_GLOBAL__N_18offset_tEEE10hipError_tPvRmT1_PNSt15iterator_traitsIS12_E10value_typeET2_T3_PNS13_IS18_E10value_typeET4_jRbjT5_S1E_jjP12ihipStream_tbEUljE_ZNSN_ISO_Lb0ESQ_SR_ST_SU_SY_EESZ_S10_S11_S12_S16_S17_S18_S1B_S1C_jS1D_jS1E_S1E_jjS1G_bEUljE0_EEESZ_S10_S11_S18_S1C_S1E_T6_T7_T9_mT8_S1G_bDpT10_ENKUlT_T0_E_clISt17integral_constantIbLb1EES1U_EEDaS1P_S1Q_EUlS1P_E_NS1_11comp_targetILNS1_3genE8ELNS1_11target_archE1030ELNS1_3gpuE2ELNS1_3repE0EEENS1_30default_config_static_selectorELNS0_4arch9wavefront6targetE1EEEvS12_
    .private_segment_fixed_size: 0
    .sgpr_count:     4
    .sgpr_spill_count: 0
    .symbol:         _ZN7rocprim17ROCPRIM_400000_NS6detail17trampoline_kernelINS0_13select_configILj256ELj13ELNS0_17block_load_methodE3ELS4_3ELS4_3ELNS0_20block_scan_algorithmE0ELj4294967295EEENS1_25partition_config_selectorILNS1_17partition_subalgoE4EjNS0_10empty_typeEbEEZZNS1_14partition_implILS8_4ELb0ES6_15HIP_vector_typeIjLj2EENS0_17counting_iteratorIjlEEPS9_SG_NS0_5tupleIJPjSI_NS0_16reverse_iteratorISI_EEEEENSH_IJSG_SG_SG_EEES9_SI_JZNS1_25segmented_radix_sort_implINS0_14default_configELb0EPKbPbPKlPlN2at6native12_GLOBAL__N_18offset_tEEE10hipError_tPvRmT1_PNSt15iterator_traitsIS12_E10value_typeET2_T3_PNS13_IS18_E10value_typeET4_jRbjT5_S1E_jjP12ihipStream_tbEUljE_ZNSN_ISO_Lb0ESQ_SR_ST_SU_SY_EESZ_S10_S11_S12_S16_S17_S18_S1B_S1C_jS1D_jS1E_S1E_jjS1G_bEUljE0_EEESZ_S10_S11_S18_S1C_S1E_T6_T7_T9_mT8_S1G_bDpT10_ENKUlT_T0_E_clISt17integral_constantIbLb1EES1U_EEDaS1P_S1Q_EUlS1P_E_NS1_11comp_targetILNS1_3genE8ELNS1_11target_archE1030ELNS1_3gpuE2ELNS1_3repE0EEENS1_30default_config_static_selectorELNS0_4arch9wavefront6targetE1EEEvS12_.kd
    .uniform_work_group_size: 1
    .uses_dynamic_stack: false
    .vgpr_count:     0
    .vgpr_spill_count: 0
    .wavefront_size: 64
  - .agpr_count:     0
    .args:
      - .offset:         0
        .size:           176
        .value_kind:     by_value
    .group_segment_fixed_size: 0
    .kernarg_segment_align: 8
    .kernarg_segment_size: 176
    .language:       OpenCL C
    .language_version:
      - 2
      - 0
    .max_flat_workgroup_size: 256
    .name:           _ZN7rocprim17ROCPRIM_400000_NS6detail17trampoline_kernelINS0_13select_configILj256ELj13ELNS0_17block_load_methodE3ELS4_3ELS4_3ELNS0_20block_scan_algorithmE0ELj4294967295EEENS1_25partition_config_selectorILNS1_17partition_subalgoE4EjNS0_10empty_typeEbEEZZNS1_14partition_implILS8_4ELb0ES6_15HIP_vector_typeIjLj2EENS0_17counting_iteratorIjlEEPS9_SG_NS0_5tupleIJPjSI_NS0_16reverse_iteratorISI_EEEEENSH_IJSG_SG_SG_EEES9_SI_JZNS1_25segmented_radix_sort_implINS0_14default_configELb0EPKbPbPKlPlN2at6native12_GLOBAL__N_18offset_tEEE10hipError_tPvRmT1_PNSt15iterator_traitsIS12_E10value_typeET2_T3_PNS13_IS18_E10value_typeET4_jRbjT5_S1E_jjP12ihipStream_tbEUljE_ZNSN_ISO_Lb0ESQ_SR_ST_SU_SY_EESZ_S10_S11_S12_S16_S17_S18_S1B_S1C_jS1D_jS1E_S1E_jjS1G_bEUljE0_EEESZ_S10_S11_S18_S1C_S1E_T6_T7_T9_mT8_S1G_bDpT10_ENKUlT_T0_E_clISt17integral_constantIbLb1EES1T_IbLb0EEEEDaS1P_S1Q_EUlS1P_E_NS1_11comp_targetILNS1_3genE0ELNS1_11target_archE4294967295ELNS1_3gpuE0ELNS1_3repE0EEENS1_30default_config_static_selectorELNS0_4arch9wavefront6targetE1EEEvS12_
    .private_segment_fixed_size: 0
    .sgpr_count:     4
    .sgpr_spill_count: 0
    .symbol:         _ZN7rocprim17ROCPRIM_400000_NS6detail17trampoline_kernelINS0_13select_configILj256ELj13ELNS0_17block_load_methodE3ELS4_3ELS4_3ELNS0_20block_scan_algorithmE0ELj4294967295EEENS1_25partition_config_selectorILNS1_17partition_subalgoE4EjNS0_10empty_typeEbEEZZNS1_14partition_implILS8_4ELb0ES6_15HIP_vector_typeIjLj2EENS0_17counting_iteratorIjlEEPS9_SG_NS0_5tupleIJPjSI_NS0_16reverse_iteratorISI_EEEEENSH_IJSG_SG_SG_EEES9_SI_JZNS1_25segmented_radix_sort_implINS0_14default_configELb0EPKbPbPKlPlN2at6native12_GLOBAL__N_18offset_tEEE10hipError_tPvRmT1_PNSt15iterator_traitsIS12_E10value_typeET2_T3_PNS13_IS18_E10value_typeET4_jRbjT5_S1E_jjP12ihipStream_tbEUljE_ZNSN_ISO_Lb0ESQ_SR_ST_SU_SY_EESZ_S10_S11_S12_S16_S17_S18_S1B_S1C_jS1D_jS1E_S1E_jjS1G_bEUljE0_EEESZ_S10_S11_S18_S1C_S1E_T6_T7_T9_mT8_S1G_bDpT10_ENKUlT_T0_E_clISt17integral_constantIbLb1EES1T_IbLb0EEEEDaS1P_S1Q_EUlS1P_E_NS1_11comp_targetILNS1_3genE0ELNS1_11target_archE4294967295ELNS1_3gpuE0ELNS1_3repE0EEENS1_30default_config_static_selectorELNS0_4arch9wavefront6targetE1EEEvS12_.kd
    .uniform_work_group_size: 1
    .uses_dynamic_stack: false
    .vgpr_count:     0
    .vgpr_spill_count: 0
    .wavefront_size: 64
  - .agpr_count:     0
    .args:
      - .offset:         0
        .size:           176
        .value_kind:     by_value
    .group_segment_fixed_size: 0
    .kernarg_segment_align: 8
    .kernarg_segment_size: 176
    .language:       OpenCL C
    .language_version:
      - 2
      - 0
    .max_flat_workgroup_size: 256
    .name:           _ZN7rocprim17ROCPRIM_400000_NS6detail17trampoline_kernelINS0_13select_configILj256ELj13ELNS0_17block_load_methodE3ELS4_3ELS4_3ELNS0_20block_scan_algorithmE0ELj4294967295EEENS1_25partition_config_selectorILNS1_17partition_subalgoE4EjNS0_10empty_typeEbEEZZNS1_14partition_implILS8_4ELb0ES6_15HIP_vector_typeIjLj2EENS0_17counting_iteratorIjlEEPS9_SG_NS0_5tupleIJPjSI_NS0_16reverse_iteratorISI_EEEEENSH_IJSG_SG_SG_EEES9_SI_JZNS1_25segmented_radix_sort_implINS0_14default_configELb0EPKbPbPKlPlN2at6native12_GLOBAL__N_18offset_tEEE10hipError_tPvRmT1_PNSt15iterator_traitsIS12_E10value_typeET2_T3_PNS13_IS18_E10value_typeET4_jRbjT5_S1E_jjP12ihipStream_tbEUljE_ZNSN_ISO_Lb0ESQ_SR_ST_SU_SY_EESZ_S10_S11_S12_S16_S17_S18_S1B_S1C_jS1D_jS1E_S1E_jjS1G_bEUljE0_EEESZ_S10_S11_S18_S1C_S1E_T6_T7_T9_mT8_S1G_bDpT10_ENKUlT_T0_E_clISt17integral_constantIbLb1EES1T_IbLb0EEEEDaS1P_S1Q_EUlS1P_E_NS1_11comp_targetILNS1_3genE5ELNS1_11target_archE942ELNS1_3gpuE9ELNS1_3repE0EEENS1_30default_config_static_selectorELNS0_4arch9wavefront6targetE1EEEvS12_
    .private_segment_fixed_size: 0
    .sgpr_count:     4
    .sgpr_spill_count: 0
    .symbol:         _ZN7rocprim17ROCPRIM_400000_NS6detail17trampoline_kernelINS0_13select_configILj256ELj13ELNS0_17block_load_methodE3ELS4_3ELS4_3ELNS0_20block_scan_algorithmE0ELj4294967295EEENS1_25partition_config_selectorILNS1_17partition_subalgoE4EjNS0_10empty_typeEbEEZZNS1_14partition_implILS8_4ELb0ES6_15HIP_vector_typeIjLj2EENS0_17counting_iteratorIjlEEPS9_SG_NS0_5tupleIJPjSI_NS0_16reverse_iteratorISI_EEEEENSH_IJSG_SG_SG_EEES9_SI_JZNS1_25segmented_radix_sort_implINS0_14default_configELb0EPKbPbPKlPlN2at6native12_GLOBAL__N_18offset_tEEE10hipError_tPvRmT1_PNSt15iterator_traitsIS12_E10value_typeET2_T3_PNS13_IS18_E10value_typeET4_jRbjT5_S1E_jjP12ihipStream_tbEUljE_ZNSN_ISO_Lb0ESQ_SR_ST_SU_SY_EESZ_S10_S11_S12_S16_S17_S18_S1B_S1C_jS1D_jS1E_S1E_jjS1G_bEUljE0_EEESZ_S10_S11_S18_S1C_S1E_T6_T7_T9_mT8_S1G_bDpT10_ENKUlT_T0_E_clISt17integral_constantIbLb1EES1T_IbLb0EEEEDaS1P_S1Q_EUlS1P_E_NS1_11comp_targetILNS1_3genE5ELNS1_11target_archE942ELNS1_3gpuE9ELNS1_3repE0EEENS1_30default_config_static_selectorELNS0_4arch9wavefront6targetE1EEEvS12_.kd
    .uniform_work_group_size: 1
    .uses_dynamic_stack: false
    .vgpr_count:     0
    .vgpr_spill_count: 0
    .wavefront_size: 64
  - .agpr_count:     0
    .args:
      - .offset:         0
        .size:           176
        .value_kind:     by_value
    .group_segment_fixed_size: 13340
    .kernarg_segment_align: 8
    .kernarg_segment_size: 176
    .language:       OpenCL C
    .language_version:
      - 2
      - 0
    .max_flat_workgroup_size: 256
    .name:           _ZN7rocprim17ROCPRIM_400000_NS6detail17trampoline_kernelINS0_13select_configILj256ELj13ELNS0_17block_load_methodE3ELS4_3ELS4_3ELNS0_20block_scan_algorithmE0ELj4294967295EEENS1_25partition_config_selectorILNS1_17partition_subalgoE4EjNS0_10empty_typeEbEEZZNS1_14partition_implILS8_4ELb0ES6_15HIP_vector_typeIjLj2EENS0_17counting_iteratorIjlEEPS9_SG_NS0_5tupleIJPjSI_NS0_16reverse_iteratorISI_EEEEENSH_IJSG_SG_SG_EEES9_SI_JZNS1_25segmented_radix_sort_implINS0_14default_configELb0EPKbPbPKlPlN2at6native12_GLOBAL__N_18offset_tEEE10hipError_tPvRmT1_PNSt15iterator_traitsIS12_E10value_typeET2_T3_PNS13_IS18_E10value_typeET4_jRbjT5_S1E_jjP12ihipStream_tbEUljE_ZNSN_ISO_Lb0ESQ_SR_ST_SU_SY_EESZ_S10_S11_S12_S16_S17_S18_S1B_S1C_jS1D_jS1E_S1E_jjS1G_bEUljE0_EEESZ_S10_S11_S18_S1C_S1E_T6_T7_T9_mT8_S1G_bDpT10_ENKUlT_T0_E_clISt17integral_constantIbLb1EES1T_IbLb0EEEEDaS1P_S1Q_EUlS1P_E_NS1_11comp_targetILNS1_3genE4ELNS1_11target_archE910ELNS1_3gpuE8ELNS1_3repE0EEENS1_30default_config_static_selectorELNS0_4arch9wavefront6targetE1EEEvS12_
    .private_segment_fixed_size: 0
    .sgpr_count:     94
    .sgpr_spill_count: 0
    .symbol:         _ZN7rocprim17ROCPRIM_400000_NS6detail17trampoline_kernelINS0_13select_configILj256ELj13ELNS0_17block_load_methodE3ELS4_3ELS4_3ELNS0_20block_scan_algorithmE0ELj4294967295EEENS1_25partition_config_selectorILNS1_17partition_subalgoE4EjNS0_10empty_typeEbEEZZNS1_14partition_implILS8_4ELb0ES6_15HIP_vector_typeIjLj2EENS0_17counting_iteratorIjlEEPS9_SG_NS0_5tupleIJPjSI_NS0_16reverse_iteratorISI_EEEEENSH_IJSG_SG_SG_EEES9_SI_JZNS1_25segmented_radix_sort_implINS0_14default_configELb0EPKbPbPKlPlN2at6native12_GLOBAL__N_18offset_tEEE10hipError_tPvRmT1_PNSt15iterator_traitsIS12_E10value_typeET2_T3_PNS13_IS18_E10value_typeET4_jRbjT5_S1E_jjP12ihipStream_tbEUljE_ZNSN_ISO_Lb0ESQ_SR_ST_SU_SY_EESZ_S10_S11_S12_S16_S17_S18_S1B_S1C_jS1D_jS1E_S1E_jjS1G_bEUljE0_EEESZ_S10_S11_S18_S1C_S1E_T6_T7_T9_mT8_S1G_bDpT10_ENKUlT_T0_E_clISt17integral_constantIbLb1EES1T_IbLb0EEEEDaS1P_S1Q_EUlS1P_E_NS1_11comp_targetILNS1_3genE4ELNS1_11target_archE910ELNS1_3gpuE8ELNS1_3repE0EEENS1_30default_config_static_selectorELNS0_4arch9wavefront6targetE1EEEvS12_.kd
    .uniform_work_group_size: 1
    .uses_dynamic_stack: false
    .vgpr_count:     102
    .vgpr_spill_count: 0
    .wavefront_size: 64
  - .agpr_count:     0
    .args:
      - .offset:         0
        .size:           176
        .value_kind:     by_value
    .group_segment_fixed_size: 0
    .kernarg_segment_align: 8
    .kernarg_segment_size: 176
    .language:       OpenCL C
    .language_version:
      - 2
      - 0
    .max_flat_workgroup_size: 256
    .name:           _ZN7rocprim17ROCPRIM_400000_NS6detail17trampoline_kernelINS0_13select_configILj256ELj13ELNS0_17block_load_methodE3ELS4_3ELS4_3ELNS0_20block_scan_algorithmE0ELj4294967295EEENS1_25partition_config_selectorILNS1_17partition_subalgoE4EjNS0_10empty_typeEbEEZZNS1_14partition_implILS8_4ELb0ES6_15HIP_vector_typeIjLj2EENS0_17counting_iteratorIjlEEPS9_SG_NS0_5tupleIJPjSI_NS0_16reverse_iteratorISI_EEEEENSH_IJSG_SG_SG_EEES9_SI_JZNS1_25segmented_radix_sort_implINS0_14default_configELb0EPKbPbPKlPlN2at6native12_GLOBAL__N_18offset_tEEE10hipError_tPvRmT1_PNSt15iterator_traitsIS12_E10value_typeET2_T3_PNS13_IS18_E10value_typeET4_jRbjT5_S1E_jjP12ihipStream_tbEUljE_ZNSN_ISO_Lb0ESQ_SR_ST_SU_SY_EESZ_S10_S11_S12_S16_S17_S18_S1B_S1C_jS1D_jS1E_S1E_jjS1G_bEUljE0_EEESZ_S10_S11_S18_S1C_S1E_T6_T7_T9_mT8_S1G_bDpT10_ENKUlT_T0_E_clISt17integral_constantIbLb1EES1T_IbLb0EEEEDaS1P_S1Q_EUlS1P_E_NS1_11comp_targetILNS1_3genE3ELNS1_11target_archE908ELNS1_3gpuE7ELNS1_3repE0EEENS1_30default_config_static_selectorELNS0_4arch9wavefront6targetE1EEEvS12_
    .private_segment_fixed_size: 0
    .sgpr_count:     4
    .sgpr_spill_count: 0
    .symbol:         _ZN7rocprim17ROCPRIM_400000_NS6detail17trampoline_kernelINS0_13select_configILj256ELj13ELNS0_17block_load_methodE3ELS4_3ELS4_3ELNS0_20block_scan_algorithmE0ELj4294967295EEENS1_25partition_config_selectorILNS1_17partition_subalgoE4EjNS0_10empty_typeEbEEZZNS1_14partition_implILS8_4ELb0ES6_15HIP_vector_typeIjLj2EENS0_17counting_iteratorIjlEEPS9_SG_NS0_5tupleIJPjSI_NS0_16reverse_iteratorISI_EEEEENSH_IJSG_SG_SG_EEES9_SI_JZNS1_25segmented_radix_sort_implINS0_14default_configELb0EPKbPbPKlPlN2at6native12_GLOBAL__N_18offset_tEEE10hipError_tPvRmT1_PNSt15iterator_traitsIS12_E10value_typeET2_T3_PNS13_IS18_E10value_typeET4_jRbjT5_S1E_jjP12ihipStream_tbEUljE_ZNSN_ISO_Lb0ESQ_SR_ST_SU_SY_EESZ_S10_S11_S12_S16_S17_S18_S1B_S1C_jS1D_jS1E_S1E_jjS1G_bEUljE0_EEESZ_S10_S11_S18_S1C_S1E_T6_T7_T9_mT8_S1G_bDpT10_ENKUlT_T0_E_clISt17integral_constantIbLb1EES1T_IbLb0EEEEDaS1P_S1Q_EUlS1P_E_NS1_11comp_targetILNS1_3genE3ELNS1_11target_archE908ELNS1_3gpuE7ELNS1_3repE0EEENS1_30default_config_static_selectorELNS0_4arch9wavefront6targetE1EEEvS12_.kd
    .uniform_work_group_size: 1
    .uses_dynamic_stack: false
    .vgpr_count:     0
    .vgpr_spill_count: 0
    .wavefront_size: 64
  - .agpr_count:     0
    .args:
      - .offset:         0
        .size:           176
        .value_kind:     by_value
    .group_segment_fixed_size: 0
    .kernarg_segment_align: 8
    .kernarg_segment_size: 176
    .language:       OpenCL C
    .language_version:
      - 2
      - 0
    .max_flat_workgroup_size: 256
    .name:           _ZN7rocprim17ROCPRIM_400000_NS6detail17trampoline_kernelINS0_13select_configILj256ELj13ELNS0_17block_load_methodE3ELS4_3ELS4_3ELNS0_20block_scan_algorithmE0ELj4294967295EEENS1_25partition_config_selectorILNS1_17partition_subalgoE4EjNS0_10empty_typeEbEEZZNS1_14partition_implILS8_4ELb0ES6_15HIP_vector_typeIjLj2EENS0_17counting_iteratorIjlEEPS9_SG_NS0_5tupleIJPjSI_NS0_16reverse_iteratorISI_EEEEENSH_IJSG_SG_SG_EEES9_SI_JZNS1_25segmented_radix_sort_implINS0_14default_configELb0EPKbPbPKlPlN2at6native12_GLOBAL__N_18offset_tEEE10hipError_tPvRmT1_PNSt15iterator_traitsIS12_E10value_typeET2_T3_PNS13_IS18_E10value_typeET4_jRbjT5_S1E_jjP12ihipStream_tbEUljE_ZNSN_ISO_Lb0ESQ_SR_ST_SU_SY_EESZ_S10_S11_S12_S16_S17_S18_S1B_S1C_jS1D_jS1E_S1E_jjS1G_bEUljE0_EEESZ_S10_S11_S18_S1C_S1E_T6_T7_T9_mT8_S1G_bDpT10_ENKUlT_T0_E_clISt17integral_constantIbLb1EES1T_IbLb0EEEEDaS1P_S1Q_EUlS1P_E_NS1_11comp_targetILNS1_3genE2ELNS1_11target_archE906ELNS1_3gpuE6ELNS1_3repE0EEENS1_30default_config_static_selectorELNS0_4arch9wavefront6targetE1EEEvS12_
    .private_segment_fixed_size: 0
    .sgpr_count:     4
    .sgpr_spill_count: 0
    .symbol:         _ZN7rocprim17ROCPRIM_400000_NS6detail17trampoline_kernelINS0_13select_configILj256ELj13ELNS0_17block_load_methodE3ELS4_3ELS4_3ELNS0_20block_scan_algorithmE0ELj4294967295EEENS1_25partition_config_selectorILNS1_17partition_subalgoE4EjNS0_10empty_typeEbEEZZNS1_14partition_implILS8_4ELb0ES6_15HIP_vector_typeIjLj2EENS0_17counting_iteratorIjlEEPS9_SG_NS0_5tupleIJPjSI_NS0_16reverse_iteratorISI_EEEEENSH_IJSG_SG_SG_EEES9_SI_JZNS1_25segmented_radix_sort_implINS0_14default_configELb0EPKbPbPKlPlN2at6native12_GLOBAL__N_18offset_tEEE10hipError_tPvRmT1_PNSt15iterator_traitsIS12_E10value_typeET2_T3_PNS13_IS18_E10value_typeET4_jRbjT5_S1E_jjP12ihipStream_tbEUljE_ZNSN_ISO_Lb0ESQ_SR_ST_SU_SY_EESZ_S10_S11_S12_S16_S17_S18_S1B_S1C_jS1D_jS1E_S1E_jjS1G_bEUljE0_EEESZ_S10_S11_S18_S1C_S1E_T6_T7_T9_mT8_S1G_bDpT10_ENKUlT_T0_E_clISt17integral_constantIbLb1EES1T_IbLb0EEEEDaS1P_S1Q_EUlS1P_E_NS1_11comp_targetILNS1_3genE2ELNS1_11target_archE906ELNS1_3gpuE6ELNS1_3repE0EEENS1_30default_config_static_selectorELNS0_4arch9wavefront6targetE1EEEvS12_.kd
    .uniform_work_group_size: 1
    .uses_dynamic_stack: false
    .vgpr_count:     0
    .vgpr_spill_count: 0
    .wavefront_size: 64
  - .agpr_count:     0
    .args:
      - .offset:         0
        .size:           176
        .value_kind:     by_value
    .group_segment_fixed_size: 0
    .kernarg_segment_align: 8
    .kernarg_segment_size: 176
    .language:       OpenCL C
    .language_version:
      - 2
      - 0
    .max_flat_workgroup_size: 256
    .name:           _ZN7rocprim17ROCPRIM_400000_NS6detail17trampoline_kernelINS0_13select_configILj256ELj13ELNS0_17block_load_methodE3ELS4_3ELS4_3ELNS0_20block_scan_algorithmE0ELj4294967295EEENS1_25partition_config_selectorILNS1_17partition_subalgoE4EjNS0_10empty_typeEbEEZZNS1_14partition_implILS8_4ELb0ES6_15HIP_vector_typeIjLj2EENS0_17counting_iteratorIjlEEPS9_SG_NS0_5tupleIJPjSI_NS0_16reverse_iteratorISI_EEEEENSH_IJSG_SG_SG_EEES9_SI_JZNS1_25segmented_radix_sort_implINS0_14default_configELb0EPKbPbPKlPlN2at6native12_GLOBAL__N_18offset_tEEE10hipError_tPvRmT1_PNSt15iterator_traitsIS12_E10value_typeET2_T3_PNS13_IS18_E10value_typeET4_jRbjT5_S1E_jjP12ihipStream_tbEUljE_ZNSN_ISO_Lb0ESQ_SR_ST_SU_SY_EESZ_S10_S11_S12_S16_S17_S18_S1B_S1C_jS1D_jS1E_S1E_jjS1G_bEUljE0_EEESZ_S10_S11_S18_S1C_S1E_T6_T7_T9_mT8_S1G_bDpT10_ENKUlT_T0_E_clISt17integral_constantIbLb1EES1T_IbLb0EEEEDaS1P_S1Q_EUlS1P_E_NS1_11comp_targetILNS1_3genE10ELNS1_11target_archE1200ELNS1_3gpuE4ELNS1_3repE0EEENS1_30default_config_static_selectorELNS0_4arch9wavefront6targetE1EEEvS12_
    .private_segment_fixed_size: 0
    .sgpr_count:     4
    .sgpr_spill_count: 0
    .symbol:         _ZN7rocprim17ROCPRIM_400000_NS6detail17trampoline_kernelINS0_13select_configILj256ELj13ELNS0_17block_load_methodE3ELS4_3ELS4_3ELNS0_20block_scan_algorithmE0ELj4294967295EEENS1_25partition_config_selectorILNS1_17partition_subalgoE4EjNS0_10empty_typeEbEEZZNS1_14partition_implILS8_4ELb0ES6_15HIP_vector_typeIjLj2EENS0_17counting_iteratorIjlEEPS9_SG_NS0_5tupleIJPjSI_NS0_16reverse_iteratorISI_EEEEENSH_IJSG_SG_SG_EEES9_SI_JZNS1_25segmented_radix_sort_implINS0_14default_configELb0EPKbPbPKlPlN2at6native12_GLOBAL__N_18offset_tEEE10hipError_tPvRmT1_PNSt15iterator_traitsIS12_E10value_typeET2_T3_PNS13_IS18_E10value_typeET4_jRbjT5_S1E_jjP12ihipStream_tbEUljE_ZNSN_ISO_Lb0ESQ_SR_ST_SU_SY_EESZ_S10_S11_S12_S16_S17_S18_S1B_S1C_jS1D_jS1E_S1E_jjS1G_bEUljE0_EEESZ_S10_S11_S18_S1C_S1E_T6_T7_T9_mT8_S1G_bDpT10_ENKUlT_T0_E_clISt17integral_constantIbLb1EES1T_IbLb0EEEEDaS1P_S1Q_EUlS1P_E_NS1_11comp_targetILNS1_3genE10ELNS1_11target_archE1200ELNS1_3gpuE4ELNS1_3repE0EEENS1_30default_config_static_selectorELNS0_4arch9wavefront6targetE1EEEvS12_.kd
    .uniform_work_group_size: 1
    .uses_dynamic_stack: false
    .vgpr_count:     0
    .vgpr_spill_count: 0
    .wavefront_size: 64
  - .agpr_count:     0
    .args:
      - .offset:         0
        .size:           176
        .value_kind:     by_value
    .group_segment_fixed_size: 0
    .kernarg_segment_align: 8
    .kernarg_segment_size: 176
    .language:       OpenCL C
    .language_version:
      - 2
      - 0
    .max_flat_workgroup_size: 256
    .name:           _ZN7rocprim17ROCPRIM_400000_NS6detail17trampoline_kernelINS0_13select_configILj256ELj13ELNS0_17block_load_methodE3ELS4_3ELS4_3ELNS0_20block_scan_algorithmE0ELj4294967295EEENS1_25partition_config_selectorILNS1_17partition_subalgoE4EjNS0_10empty_typeEbEEZZNS1_14partition_implILS8_4ELb0ES6_15HIP_vector_typeIjLj2EENS0_17counting_iteratorIjlEEPS9_SG_NS0_5tupleIJPjSI_NS0_16reverse_iteratorISI_EEEEENSH_IJSG_SG_SG_EEES9_SI_JZNS1_25segmented_radix_sort_implINS0_14default_configELb0EPKbPbPKlPlN2at6native12_GLOBAL__N_18offset_tEEE10hipError_tPvRmT1_PNSt15iterator_traitsIS12_E10value_typeET2_T3_PNS13_IS18_E10value_typeET4_jRbjT5_S1E_jjP12ihipStream_tbEUljE_ZNSN_ISO_Lb0ESQ_SR_ST_SU_SY_EESZ_S10_S11_S12_S16_S17_S18_S1B_S1C_jS1D_jS1E_S1E_jjS1G_bEUljE0_EEESZ_S10_S11_S18_S1C_S1E_T6_T7_T9_mT8_S1G_bDpT10_ENKUlT_T0_E_clISt17integral_constantIbLb1EES1T_IbLb0EEEEDaS1P_S1Q_EUlS1P_E_NS1_11comp_targetILNS1_3genE9ELNS1_11target_archE1100ELNS1_3gpuE3ELNS1_3repE0EEENS1_30default_config_static_selectorELNS0_4arch9wavefront6targetE1EEEvS12_
    .private_segment_fixed_size: 0
    .sgpr_count:     4
    .sgpr_spill_count: 0
    .symbol:         _ZN7rocprim17ROCPRIM_400000_NS6detail17trampoline_kernelINS0_13select_configILj256ELj13ELNS0_17block_load_methodE3ELS4_3ELS4_3ELNS0_20block_scan_algorithmE0ELj4294967295EEENS1_25partition_config_selectorILNS1_17partition_subalgoE4EjNS0_10empty_typeEbEEZZNS1_14partition_implILS8_4ELb0ES6_15HIP_vector_typeIjLj2EENS0_17counting_iteratorIjlEEPS9_SG_NS0_5tupleIJPjSI_NS0_16reverse_iteratorISI_EEEEENSH_IJSG_SG_SG_EEES9_SI_JZNS1_25segmented_radix_sort_implINS0_14default_configELb0EPKbPbPKlPlN2at6native12_GLOBAL__N_18offset_tEEE10hipError_tPvRmT1_PNSt15iterator_traitsIS12_E10value_typeET2_T3_PNS13_IS18_E10value_typeET4_jRbjT5_S1E_jjP12ihipStream_tbEUljE_ZNSN_ISO_Lb0ESQ_SR_ST_SU_SY_EESZ_S10_S11_S12_S16_S17_S18_S1B_S1C_jS1D_jS1E_S1E_jjS1G_bEUljE0_EEESZ_S10_S11_S18_S1C_S1E_T6_T7_T9_mT8_S1G_bDpT10_ENKUlT_T0_E_clISt17integral_constantIbLb1EES1T_IbLb0EEEEDaS1P_S1Q_EUlS1P_E_NS1_11comp_targetILNS1_3genE9ELNS1_11target_archE1100ELNS1_3gpuE3ELNS1_3repE0EEENS1_30default_config_static_selectorELNS0_4arch9wavefront6targetE1EEEvS12_.kd
    .uniform_work_group_size: 1
    .uses_dynamic_stack: false
    .vgpr_count:     0
    .vgpr_spill_count: 0
    .wavefront_size: 64
  - .agpr_count:     0
    .args:
      - .offset:         0
        .size:           176
        .value_kind:     by_value
    .group_segment_fixed_size: 0
    .kernarg_segment_align: 8
    .kernarg_segment_size: 176
    .language:       OpenCL C
    .language_version:
      - 2
      - 0
    .max_flat_workgroup_size: 256
    .name:           _ZN7rocprim17ROCPRIM_400000_NS6detail17trampoline_kernelINS0_13select_configILj256ELj13ELNS0_17block_load_methodE3ELS4_3ELS4_3ELNS0_20block_scan_algorithmE0ELj4294967295EEENS1_25partition_config_selectorILNS1_17partition_subalgoE4EjNS0_10empty_typeEbEEZZNS1_14partition_implILS8_4ELb0ES6_15HIP_vector_typeIjLj2EENS0_17counting_iteratorIjlEEPS9_SG_NS0_5tupleIJPjSI_NS0_16reverse_iteratorISI_EEEEENSH_IJSG_SG_SG_EEES9_SI_JZNS1_25segmented_radix_sort_implINS0_14default_configELb0EPKbPbPKlPlN2at6native12_GLOBAL__N_18offset_tEEE10hipError_tPvRmT1_PNSt15iterator_traitsIS12_E10value_typeET2_T3_PNS13_IS18_E10value_typeET4_jRbjT5_S1E_jjP12ihipStream_tbEUljE_ZNSN_ISO_Lb0ESQ_SR_ST_SU_SY_EESZ_S10_S11_S12_S16_S17_S18_S1B_S1C_jS1D_jS1E_S1E_jjS1G_bEUljE0_EEESZ_S10_S11_S18_S1C_S1E_T6_T7_T9_mT8_S1G_bDpT10_ENKUlT_T0_E_clISt17integral_constantIbLb1EES1T_IbLb0EEEEDaS1P_S1Q_EUlS1P_E_NS1_11comp_targetILNS1_3genE8ELNS1_11target_archE1030ELNS1_3gpuE2ELNS1_3repE0EEENS1_30default_config_static_selectorELNS0_4arch9wavefront6targetE1EEEvS12_
    .private_segment_fixed_size: 0
    .sgpr_count:     4
    .sgpr_spill_count: 0
    .symbol:         _ZN7rocprim17ROCPRIM_400000_NS6detail17trampoline_kernelINS0_13select_configILj256ELj13ELNS0_17block_load_methodE3ELS4_3ELS4_3ELNS0_20block_scan_algorithmE0ELj4294967295EEENS1_25partition_config_selectorILNS1_17partition_subalgoE4EjNS0_10empty_typeEbEEZZNS1_14partition_implILS8_4ELb0ES6_15HIP_vector_typeIjLj2EENS0_17counting_iteratorIjlEEPS9_SG_NS0_5tupleIJPjSI_NS0_16reverse_iteratorISI_EEEEENSH_IJSG_SG_SG_EEES9_SI_JZNS1_25segmented_radix_sort_implINS0_14default_configELb0EPKbPbPKlPlN2at6native12_GLOBAL__N_18offset_tEEE10hipError_tPvRmT1_PNSt15iterator_traitsIS12_E10value_typeET2_T3_PNS13_IS18_E10value_typeET4_jRbjT5_S1E_jjP12ihipStream_tbEUljE_ZNSN_ISO_Lb0ESQ_SR_ST_SU_SY_EESZ_S10_S11_S12_S16_S17_S18_S1B_S1C_jS1D_jS1E_S1E_jjS1G_bEUljE0_EEESZ_S10_S11_S18_S1C_S1E_T6_T7_T9_mT8_S1G_bDpT10_ENKUlT_T0_E_clISt17integral_constantIbLb1EES1T_IbLb0EEEEDaS1P_S1Q_EUlS1P_E_NS1_11comp_targetILNS1_3genE8ELNS1_11target_archE1030ELNS1_3gpuE2ELNS1_3repE0EEENS1_30default_config_static_selectorELNS0_4arch9wavefront6targetE1EEEvS12_.kd
    .uniform_work_group_size: 1
    .uses_dynamic_stack: false
    .vgpr_count:     0
    .vgpr_spill_count: 0
    .wavefront_size: 64
  - .agpr_count:     0
    .args:
      - .offset:         0
        .size:           184
        .value_kind:     by_value
    .group_segment_fixed_size: 0
    .kernarg_segment_align: 8
    .kernarg_segment_size: 184
    .language:       OpenCL C
    .language_version:
      - 2
      - 0
    .max_flat_workgroup_size: 256
    .name:           _ZN7rocprim17ROCPRIM_400000_NS6detail17trampoline_kernelINS0_13select_configILj256ELj13ELNS0_17block_load_methodE3ELS4_3ELS4_3ELNS0_20block_scan_algorithmE0ELj4294967295EEENS1_25partition_config_selectorILNS1_17partition_subalgoE4EjNS0_10empty_typeEbEEZZNS1_14partition_implILS8_4ELb0ES6_15HIP_vector_typeIjLj2EENS0_17counting_iteratorIjlEEPS9_SG_NS0_5tupleIJPjSI_NS0_16reverse_iteratorISI_EEEEENSH_IJSG_SG_SG_EEES9_SI_JZNS1_25segmented_radix_sort_implINS0_14default_configELb0EPKbPbPKlPlN2at6native12_GLOBAL__N_18offset_tEEE10hipError_tPvRmT1_PNSt15iterator_traitsIS12_E10value_typeET2_T3_PNS13_IS18_E10value_typeET4_jRbjT5_S1E_jjP12ihipStream_tbEUljE_ZNSN_ISO_Lb0ESQ_SR_ST_SU_SY_EESZ_S10_S11_S12_S16_S17_S18_S1B_S1C_jS1D_jS1E_S1E_jjS1G_bEUljE0_EEESZ_S10_S11_S18_S1C_S1E_T6_T7_T9_mT8_S1G_bDpT10_ENKUlT_T0_E_clISt17integral_constantIbLb0EES1T_IbLb1EEEEDaS1P_S1Q_EUlS1P_E_NS1_11comp_targetILNS1_3genE0ELNS1_11target_archE4294967295ELNS1_3gpuE0ELNS1_3repE0EEENS1_30default_config_static_selectorELNS0_4arch9wavefront6targetE1EEEvS12_
    .private_segment_fixed_size: 0
    .sgpr_count:     4
    .sgpr_spill_count: 0
    .symbol:         _ZN7rocprim17ROCPRIM_400000_NS6detail17trampoline_kernelINS0_13select_configILj256ELj13ELNS0_17block_load_methodE3ELS4_3ELS4_3ELNS0_20block_scan_algorithmE0ELj4294967295EEENS1_25partition_config_selectorILNS1_17partition_subalgoE4EjNS0_10empty_typeEbEEZZNS1_14partition_implILS8_4ELb0ES6_15HIP_vector_typeIjLj2EENS0_17counting_iteratorIjlEEPS9_SG_NS0_5tupleIJPjSI_NS0_16reverse_iteratorISI_EEEEENSH_IJSG_SG_SG_EEES9_SI_JZNS1_25segmented_radix_sort_implINS0_14default_configELb0EPKbPbPKlPlN2at6native12_GLOBAL__N_18offset_tEEE10hipError_tPvRmT1_PNSt15iterator_traitsIS12_E10value_typeET2_T3_PNS13_IS18_E10value_typeET4_jRbjT5_S1E_jjP12ihipStream_tbEUljE_ZNSN_ISO_Lb0ESQ_SR_ST_SU_SY_EESZ_S10_S11_S12_S16_S17_S18_S1B_S1C_jS1D_jS1E_S1E_jjS1G_bEUljE0_EEESZ_S10_S11_S18_S1C_S1E_T6_T7_T9_mT8_S1G_bDpT10_ENKUlT_T0_E_clISt17integral_constantIbLb0EES1T_IbLb1EEEEDaS1P_S1Q_EUlS1P_E_NS1_11comp_targetILNS1_3genE0ELNS1_11target_archE4294967295ELNS1_3gpuE0ELNS1_3repE0EEENS1_30default_config_static_selectorELNS0_4arch9wavefront6targetE1EEEvS12_.kd
    .uniform_work_group_size: 1
    .uses_dynamic_stack: false
    .vgpr_count:     0
    .vgpr_spill_count: 0
    .wavefront_size: 64
  - .agpr_count:     0
    .args:
      - .offset:         0
        .size:           184
        .value_kind:     by_value
    .group_segment_fixed_size: 0
    .kernarg_segment_align: 8
    .kernarg_segment_size: 184
    .language:       OpenCL C
    .language_version:
      - 2
      - 0
    .max_flat_workgroup_size: 256
    .name:           _ZN7rocprim17ROCPRIM_400000_NS6detail17trampoline_kernelINS0_13select_configILj256ELj13ELNS0_17block_load_methodE3ELS4_3ELS4_3ELNS0_20block_scan_algorithmE0ELj4294967295EEENS1_25partition_config_selectorILNS1_17partition_subalgoE4EjNS0_10empty_typeEbEEZZNS1_14partition_implILS8_4ELb0ES6_15HIP_vector_typeIjLj2EENS0_17counting_iteratorIjlEEPS9_SG_NS0_5tupleIJPjSI_NS0_16reverse_iteratorISI_EEEEENSH_IJSG_SG_SG_EEES9_SI_JZNS1_25segmented_radix_sort_implINS0_14default_configELb0EPKbPbPKlPlN2at6native12_GLOBAL__N_18offset_tEEE10hipError_tPvRmT1_PNSt15iterator_traitsIS12_E10value_typeET2_T3_PNS13_IS18_E10value_typeET4_jRbjT5_S1E_jjP12ihipStream_tbEUljE_ZNSN_ISO_Lb0ESQ_SR_ST_SU_SY_EESZ_S10_S11_S12_S16_S17_S18_S1B_S1C_jS1D_jS1E_S1E_jjS1G_bEUljE0_EEESZ_S10_S11_S18_S1C_S1E_T6_T7_T9_mT8_S1G_bDpT10_ENKUlT_T0_E_clISt17integral_constantIbLb0EES1T_IbLb1EEEEDaS1P_S1Q_EUlS1P_E_NS1_11comp_targetILNS1_3genE5ELNS1_11target_archE942ELNS1_3gpuE9ELNS1_3repE0EEENS1_30default_config_static_selectorELNS0_4arch9wavefront6targetE1EEEvS12_
    .private_segment_fixed_size: 0
    .sgpr_count:     4
    .sgpr_spill_count: 0
    .symbol:         _ZN7rocprim17ROCPRIM_400000_NS6detail17trampoline_kernelINS0_13select_configILj256ELj13ELNS0_17block_load_methodE3ELS4_3ELS4_3ELNS0_20block_scan_algorithmE0ELj4294967295EEENS1_25partition_config_selectorILNS1_17partition_subalgoE4EjNS0_10empty_typeEbEEZZNS1_14partition_implILS8_4ELb0ES6_15HIP_vector_typeIjLj2EENS0_17counting_iteratorIjlEEPS9_SG_NS0_5tupleIJPjSI_NS0_16reverse_iteratorISI_EEEEENSH_IJSG_SG_SG_EEES9_SI_JZNS1_25segmented_radix_sort_implINS0_14default_configELb0EPKbPbPKlPlN2at6native12_GLOBAL__N_18offset_tEEE10hipError_tPvRmT1_PNSt15iterator_traitsIS12_E10value_typeET2_T3_PNS13_IS18_E10value_typeET4_jRbjT5_S1E_jjP12ihipStream_tbEUljE_ZNSN_ISO_Lb0ESQ_SR_ST_SU_SY_EESZ_S10_S11_S12_S16_S17_S18_S1B_S1C_jS1D_jS1E_S1E_jjS1G_bEUljE0_EEESZ_S10_S11_S18_S1C_S1E_T6_T7_T9_mT8_S1G_bDpT10_ENKUlT_T0_E_clISt17integral_constantIbLb0EES1T_IbLb1EEEEDaS1P_S1Q_EUlS1P_E_NS1_11comp_targetILNS1_3genE5ELNS1_11target_archE942ELNS1_3gpuE9ELNS1_3repE0EEENS1_30default_config_static_selectorELNS0_4arch9wavefront6targetE1EEEvS12_.kd
    .uniform_work_group_size: 1
    .uses_dynamic_stack: false
    .vgpr_count:     0
    .vgpr_spill_count: 0
    .wavefront_size: 64
  - .agpr_count:     0
    .args:
      - .offset:         0
        .size:           184
        .value_kind:     by_value
    .group_segment_fixed_size: 13340
    .kernarg_segment_align: 8
    .kernarg_segment_size: 184
    .language:       OpenCL C
    .language_version:
      - 2
      - 0
    .max_flat_workgroup_size: 256
    .name:           _ZN7rocprim17ROCPRIM_400000_NS6detail17trampoline_kernelINS0_13select_configILj256ELj13ELNS0_17block_load_methodE3ELS4_3ELS4_3ELNS0_20block_scan_algorithmE0ELj4294967295EEENS1_25partition_config_selectorILNS1_17partition_subalgoE4EjNS0_10empty_typeEbEEZZNS1_14partition_implILS8_4ELb0ES6_15HIP_vector_typeIjLj2EENS0_17counting_iteratorIjlEEPS9_SG_NS0_5tupleIJPjSI_NS0_16reverse_iteratorISI_EEEEENSH_IJSG_SG_SG_EEES9_SI_JZNS1_25segmented_radix_sort_implINS0_14default_configELb0EPKbPbPKlPlN2at6native12_GLOBAL__N_18offset_tEEE10hipError_tPvRmT1_PNSt15iterator_traitsIS12_E10value_typeET2_T3_PNS13_IS18_E10value_typeET4_jRbjT5_S1E_jjP12ihipStream_tbEUljE_ZNSN_ISO_Lb0ESQ_SR_ST_SU_SY_EESZ_S10_S11_S12_S16_S17_S18_S1B_S1C_jS1D_jS1E_S1E_jjS1G_bEUljE0_EEESZ_S10_S11_S18_S1C_S1E_T6_T7_T9_mT8_S1G_bDpT10_ENKUlT_T0_E_clISt17integral_constantIbLb0EES1T_IbLb1EEEEDaS1P_S1Q_EUlS1P_E_NS1_11comp_targetILNS1_3genE4ELNS1_11target_archE910ELNS1_3gpuE8ELNS1_3repE0EEENS1_30default_config_static_selectorELNS0_4arch9wavefront6targetE1EEEvS12_
    .private_segment_fixed_size: 0
    .sgpr_count:     91
    .sgpr_spill_count: 0
    .symbol:         _ZN7rocprim17ROCPRIM_400000_NS6detail17trampoline_kernelINS0_13select_configILj256ELj13ELNS0_17block_load_methodE3ELS4_3ELS4_3ELNS0_20block_scan_algorithmE0ELj4294967295EEENS1_25partition_config_selectorILNS1_17partition_subalgoE4EjNS0_10empty_typeEbEEZZNS1_14partition_implILS8_4ELb0ES6_15HIP_vector_typeIjLj2EENS0_17counting_iteratorIjlEEPS9_SG_NS0_5tupleIJPjSI_NS0_16reverse_iteratorISI_EEEEENSH_IJSG_SG_SG_EEES9_SI_JZNS1_25segmented_radix_sort_implINS0_14default_configELb0EPKbPbPKlPlN2at6native12_GLOBAL__N_18offset_tEEE10hipError_tPvRmT1_PNSt15iterator_traitsIS12_E10value_typeET2_T3_PNS13_IS18_E10value_typeET4_jRbjT5_S1E_jjP12ihipStream_tbEUljE_ZNSN_ISO_Lb0ESQ_SR_ST_SU_SY_EESZ_S10_S11_S12_S16_S17_S18_S1B_S1C_jS1D_jS1E_S1E_jjS1G_bEUljE0_EEESZ_S10_S11_S18_S1C_S1E_T6_T7_T9_mT8_S1G_bDpT10_ENKUlT_T0_E_clISt17integral_constantIbLb0EES1T_IbLb1EEEEDaS1P_S1Q_EUlS1P_E_NS1_11comp_targetILNS1_3genE4ELNS1_11target_archE910ELNS1_3gpuE8ELNS1_3repE0EEENS1_30default_config_static_selectorELNS0_4arch9wavefront6targetE1EEEvS12_.kd
    .uniform_work_group_size: 1
    .uses_dynamic_stack: false
    .vgpr_count:     107
    .vgpr_spill_count: 0
    .wavefront_size: 64
  - .agpr_count:     0
    .args:
      - .offset:         0
        .size:           184
        .value_kind:     by_value
    .group_segment_fixed_size: 0
    .kernarg_segment_align: 8
    .kernarg_segment_size: 184
    .language:       OpenCL C
    .language_version:
      - 2
      - 0
    .max_flat_workgroup_size: 256
    .name:           _ZN7rocprim17ROCPRIM_400000_NS6detail17trampoline_kernelINS0_13select_configILj256ELj13ELNS0_17block_load_methodE3ELS4_3ELS4_3ELNS0_20block_scan_algorithmE0ELj4294967295EEENS1_25partition_config_selectorILNS1_17partition_subalgoE4EjNS0_10empty_typeEbEEZZNS1_14partition_implILS8_4ELb0ES6_15HIP_vector_typeIjLj2EENS0_17counting_iteratorIjlEEPS9_SG_NS0_5tupleIJPjSI_NS0_16reverse_iteratorISI_EEEEENSH_IJSG_SG_SG_EEES9_SI_JZNS1_25segmented_radix_sort_implINS0_14default_configELb0EPKbPbPKlPlN2at6native12_GLOBAL__N_18offset_tEEE10hipError_tPvRmT1_PNSt15iterator_traitsIS12_E10value_typeET2_T3_PNS13_IS18_E10value_typeET4_jRbjT5_S1E_jjP12ihipStream_tbEUljE_ZNSN_ISO_Lb0ESQ_SR_ST_SU_SY_EESZ_S10_S11_S12_S16_S17_S18_S1B_S1C_jS1D_jS1E_S1E_jjS1G_bEUljE0_EEESZ_S10_S11_S18_S1C_S1E_T6_T7_T9_mT8_S1G_bDpT10_ENKUlT_T0_E_clISt17integral_constantIbLb0EES1T_IbLb1EEEEDaS1P_S1Q_EUlS1P_E_NS1_11comp_targetILNS1_3genE3ELNS1_11target_archE908ELNS1_3gpuE7ELNS1_3repE0EEENS1_30default_config_static_selectorELNS0_4arch9wavefront6targetE1EEEvS12_
    .private_segment_fixed_size: 0
    .sgpr_count:     4
    .sgpr_spill_count: 0
    .symbol:         _ZN7rocprim17ROCPRIM_400000_NS6detail17trampoline_kernelINS0_13select_configILj256ELj13ELNS0_17block_load_methodE3ELS4_3ELS4_3ELNS0_20block_scan_algorithmE0ELj4294967295EEENS1_25partition_config_selectorILNS1_17partition_subalgoE4EjNS0_10empty_typeEbEEZZNS1_14partition_implILS8_4ELb0ES6_15HIP_vector_typeIjLj2EENS0_17counting_iteratorIjlEEPS9_SG_NS0_5tupleIJPjSI_NS0_16reverse_iteratorISI_EEEEENSH_IJSG_SG_SG_EEES9_SI_JZNS1_25segmented_radix_sort_implINS0_14default_configELb0EPKbPbPKlPlN2at6native12_GLOBAL__N_18offset_tEEE10hipError_tPvRmT1_PNSt15iterator_traitsIS12_E10value_typeET2_T3_PNS13_IS18_E10value_typeET4_jRbjT5_S1E_jjP12ihipStream_tbEUljE_ZNSN_ISO_Lb0ESQ_SR_ST_SU_SY_EESZ_S10_S11_S12_S16_S17_S18_S1B_S1C_jS1D_jS1E_S1E_jjS1G_bEUljE0_EEESZ_S10_S11_S18_S1C_S1E_T6_T7_T9_mT8_S1G_bDpT10_ENKUlT_T0_E_clISt17integral_constantIbLb0EES1T_IbLb1EEEEDaS1P_S1Q_EUlS1P_E_NS1_11comp_targetILNS1_3genE3ELNS1_11target_archE908ELNS1_3gpuE7ELNS1_3repE0EEENS1_30default_config_static_selectorELNS0_4arch9wavefront6targetE1EEEvS12_.kd
    .uniform_work_group_size: 1
    .uses_dynamic_stack: false
    .vgpr_count:     0
    .vgpr_spill_count: 0
    .wavefront_size: 64
  - .agpr_count:     0
    .args:
      - .offset:         0
        .size:           184
        .value_kind:     by_value
    .group_segment_fixed_size: 0
    .kernarg_segment_align: 8
    .kernarg_segment_size: 184
    .language:       OpenCL C
    .language_version:
      - 2
      - 0
    .max_flat_workgroup_size: 256
    .name:           _ZN7rocprim17ROCPRIM_400000_NS6detail17trampoline_kernelINS0_13select_configILj256ELj13ELNS0_17block_load_methodE3ELS4_3ELS4_3ELNS0_20block_scan_algorithmE0ELj4294967295EEENS1_25partition_config_selectorILNS1_17partition_subalgoE4EjNS0_10empty_typeEbEEZZNS1_14partition_implILS8_4ELb0ES6_15HIP_vector_typeIjLj2EENS0_17counting_iteratorIjlEEPS9_SG_NS0_5tupleIJPjSI_NS0_16reverse_iteratorISI_EEEEENSH_IJSG_SG_SG_EEES9_SI_JZNS1_25segmented_radix_sort_implINS0_14default_configELb0EPKbPbPKlPlN2at6native12_GLOBAL__N_18offset_tEEE10hipError_tPvRmT1_PNSt15iterator_traitsIS12_E10value_typeET2_T3_PNS13_IS18_E10value_typeET4_jRbjT5_S1E_jjP12ihipStream_tbEUljE_ZNSN_ISO_Lb0ESQ_SR_ST_SU_SY_EESZ_S10_S11_S12_S16_S17_S18_S1B_S1C_jS1D_jS1E_S1E_jjS1G_bEUljE0_EEESZ_S10_S11_S18_S1C_S1E_T6_T7_T9_mT8_S1G_bDpT10_ENKUlT_T0_E_clISt17integral_constantIbLb0EES1T_IbLb1EEEEDaS1P_S1Q_EUlS1P_E_NS1_11comp_targetILNS1_3genE2ELNS1_11target_archE906ELNS1_3gpuE6ELNS1_3repE0EEENS1_30default_config_static_selectorELNS0_4arch9wavefront6targetE1EEEvS12_
    .private_segment_fixed_size: 0
    .sgpr_count:     4
    .sgpr_spill_count: 0
    .symbol:         _ZN7rocprim17ROCPRIM_400000_NS6detail17trampoline_kernelINS0_13select_configILj256ELj13ELNS0_17block_load_methodE3ELS4_3ELS4_3ELNS0_20block_scan_algorithmE0ELj4294967295EEENS1_25partition_config_selectorILNS1_17partition_subalgoE4EjNS0_10empty_typeEbEEZZNS1_14partition_implILS8_4ELb0ES6_15HIP_vector_typeIjLj2EENS0_17counting_iteratorIjlEEPS9_SG_NS0_5tupleIJPjSI_NS0_16reverse_iteratorISI_EEEEENSH_IJSG_SG_SG_EEES9_SI_JZNS1_25segmented_radix_sort_implINS0_14default_configELb0EPKbPbPKlPlN2at6native12_GLOBAL__N_18offset_tEEE10hipError_tPvRmT1_PNSt15iterator_traitsIS12_E10value_typeET2_T3_PNS13_IS18_E10value_typeET4_jRbjT5_S1E_jjP12ihipStream_tbEUljE_ZNSN_ISO_Lb0ESQ_SR_ST_SU_SY_EESZ_S10_S11_S12_S16_S17_S18_S1B_S1C_jS1D_jS1E_S1E_jjS1G_bEUljE0_EEESZ_S10_S11_S18_S1C_S1E_T6_T7_T9_mT8_S1G_bDpT10_ENKUlT_T0_E_clISt17integral_constantIbLb0EES1T_IbLb1EEEEDaS1P_S1Q_EUlS1P_E_NS1_11comp_targetILNS1_3genE2ELNS1_11target_archE906ELNS1_3gpuE6ELNS1_3repE0EEENS1_30default_config_static_selectorELNS0_4arch9wavefront6targetE1EEEvS12_.kd
    .uniform_work_group_size: 1
    .uses_dynamic_stack: false
    .vgpr_count:     0
    .vgpr_spill_count: 0
    .wavefront_size: 64
  - .agpr_count:     0
    .args:
      - .offset:         0
        .size:           184
        .value_kind:     by_value
    .group_segment_fixed_size: 0
    .kernarg_segment_align: 8
    .kernarg_segment_size: 184
    .language:       OpenCL C
    .language_version:
      - 2
      - 0
    .max_flat_workgroup_size: 256
    .name:           _ZN7rocprim17ROCPRIM_400000_NS6detail17trampoline_kernelINS0_13select_configILj256ELj13ELNS0_17block_load_methodE3ELS4_3ELS4_3ELNS0_20block_scan_algorithmE0ELj4294967295EEENS1_25partition_config_selectorILNS1_17partition_subalgoE4EjNS0_10empty_typeEbEEZZNS1_14partition_implILS8_4ELb0ES6_15HIP_vector_typeIjLj2EENS0_17counting_iteratorIjlEEPS9_SG_NS0_5tupleIJPjSI_NS0_16reverse_iteratorISI_EEEEENSH_IJSG_SG_SG_EEES9_SI_JZNS1_25segmented_radix_sort_implINS0_14default_configELb0EPKbPbPKlPlN2at6native12_GLOBAL__N_18offset_tEEE10hipError_tPvRmT1_PNSt15iterator_traitsIS12_E10value_typeET2_T3_PNS13_IS18_E10value_typeET4_jRbjT5_S1E_jjP12ihipStream_tbEUljE_ZNSN_ISO_Lb0ESQ_SR_ST_SU_SY_EESZ_S10_S11_S12_S16_S17_S18_S1B_S1C_jS1D_jS1E_S1E_jjS1G_bEUljE0_EEESZ_S10_S11_S18_S1C_S1E_T6_T7_T9_mT8_S1G_bDpT10_ENKUlT_T0_E_clISt17integral_constantIbLb0EES1T_IbLb1EEEEDaS1P_S1Q_EUlS1P_E_NS1_11comp_targetILNS1_3genE10ELNS1_11target_archE1200ELNS1_3gpuE4ELNS1_3repE0EEENS1_30default_config_static_selectorELNS0_4arch9wavefront6targetE1EEEvS12_
    .private_segment_fixed_size: 0
    .sgpr_count:     4
    .sgpr_spill_count: 0
    .symbol:         _ZN7rocprim17ROCPRIM_400000_NS6detail17trampoline_kernelINS0_13select_configILj256ELj13ELNS0_17block_load_methodE3ELS4_3ELS4_3ELNS0_20block_scan_algorithmE0ELj4294967295EEENS1_25partition_config_selectorILNS1_17partition_subalgoE4EjNS0_10empty_typeEbEEZZNS1_14partition_implILS8_4ELb0ES6_15HIP_vector_typeIjLj2EENS0_17counting_iteratorIjlEEPS9_SG_NS0_5tupleIJPjSI_NS0_16reverse_iteratorISI_EEEEENSH_IJSG_SG_SG_EEES9_SI_JZNS1_25segmented_radix_sort_implINS0_14default_configELb0EPKbPbPKlPlN2at6native12_GLOBAL__N_18offset_tEEE10hipError_tPvRmT1_PNSt15iterator_traitsIS12_E10value_typeET2_T3_PNS13_IS18_E10value_typeET4_jRbjT5_S1E_jjP12ihipStream_tbEUljE_ZNSN_ISO_Lb0ESQ_SR_ST_SU_SY_EESZ_S10_S11_S12_S16_S17_S18_S1B_S1C_jS1D_jS1E_S1E_jjS1G_bEUljE0_EEESZ_S10_S11_S18_S1C_S1E_T6_T7_T9_mT8_S1G_bDpT10_ENKUlT_T0_E_clISt17integral_constantIbLb0EES1T_IbLb1EEEEDaS1P_S1Q_EUlS1P_E_NS1_11comp_targetILNS1_3genE10ELNS1_11target_archE1200ELNS1_3gpuE4ELNS1_3repE0EEENS1_30default_config_static_selectorELNS0_4arch9wavefront6targetE1EEEvS12_.kd
    .uniform_work_group_size: 1
    .uses_dynamic_stack: false
    .vgpr_count:     0
    .vgpr_spill_count: 0
    .wavefront_size: 64
  - .agpr_count:     0
    .args:
      - .offset:         0
        .size:           184
        .value_kind:     by_value
    .group_segment_fixed_size: 0
    .kernarg_segment_align: 8
    .kernarg_segment_size: 184
    .language:       OpenCL C
    .language_version:
      - 2
      - 0
    .max_flat_workgroup_size: 256
    .name:           _ZN7rocprim17ROCPRIM_400000_NS6detail17trampoline_kernelINS0_13select_configILj256ELj13ELNS0_17block_load_methodE3ELS4_3ELS4_3ELNS0_20block_scan_algorithmE0ELj4294967295EEENS1_25partition_config_selectorILNS1_17partition_subalgoE4EjNS0_10empty_typeEbEEZZNS1_14partition_implILS8_4ELb0ES6_15HIP_vector_typeIjLj2EENS0_17counting_iteratorIjlEEPS9_SG_NS0_5tupleIJPjSI_NS0_16reverse_iteratorISI_EEEEENSH_IJSG_SG_SG_EEES9_SI_JZNS1_25segmented_radix_sort_implINS0_14default_configELb0EPKbPbPKlPlN2at6native12_GLOBAL__N_18offset_tEEE10hipError_tPvRmT1_PNSt15iterator_traitsIS12_E10value_typeET2_T3_PNS13_IS18_E10value_typeET4_jRbjT5_S1E_jjP12ihipStream_tbEUljE_ZNSN_ISO_Lb0ESQ_SR_ST_SU_SY_EESZ_S10_S11_S12_S16_S17_S18_S1B_S1C_jS1D_jS1E_S1E_jjS1G_bEUljE0_EEESZ_S10_S11_S18_S1C_S1E_T6_T7_T9_mT8_S1G_bDpT10_ENKUlT_T0_E_clISt17integral_constantIbLb0EES1T_IbLb1EEEEDaS1P_S1Q_EUlS1P_E_NS1_11comp_targetILNS1_3genE9ELNS1_11target_archE1100ELNS1_3gpuE3ELNS1_3repE0EEENS1_30default_config_static_selectorELNS0_4arch9wavefront6targetE1EEEvS12_
    .private_segment_fixed_size: 0
    .sgpr_count:     4
    .sgpr_spill_count: 0
    .symbol:         _ZN7rocprim17ROCPRIM_400000_NS6detail17trampoline_kernelINS0_13select_configILj256ELj13ELNS0_17block_load_methodE3ELS4_3ELS4_3ELNS0_20block_scan_algorithmE0ELj4294967295EEENS1_25partition_config_selectorILNS1_17partition_subalgoE4EjNS0_10empty_typeEbEEZZNS1_14partition_implILS8_4ELb0ES6_15HIP_vector_typeIjLj2EENS0_17counting_iteratorIjlEEPS9_SG_NS0_5tupleIJPjSI_NS0_16reverse_iteratorISI_EEEEENSH_IJSG_SG_SG_EEES9_SI_JZNS1_25segmented_radix_sort_implINS0_14default_configELb0EPKbPbPKlPlN2at6native12_GLOBAL__N_18offset_tEEE10hipError_tPvRmT1_PNSt15iterator_traitsIS12_E10value_typeET2_T3_PNS13_IS18_E10value_typeET4_jRbjT5_S1E_jjP12ihipStream_tbEUljE_ZNSN_ISO_Lb0ESQ_SR_ST_SU_SY_EESZ_S10_S11_S12_S16_S17_S18_S1B_S1C_jS1D_jS1E_S1E_jjS1G_bEUljE0_EEESZ_S10_S11_S18_S1C_S1E_T6_T7_T9_mT8_S1G_bDpT10_ENKUlT_T0_E_clISt17integral_constantIbLb0EES1T_IbLb1EEEEDaS1P_S1Q_EUlS1P_E_NS1_11comp_targetILNS1_3genE9ELNS1_11target_archE1100ELNS1_3gpuE3ELNS1_3repE0EEENS1_30default_config_static_selectorELNS0_4arch9wavefront6targetE1EEEvS12_.kd
    .uniform_work_group_size: 1
    .uses_dynamic_stack: false
    .vgpr_count:     0
    .vgpr_spill_count: 0
    .wavefront_size: 64
  - .agpr_count:     0
    .args:
      - .offset:         0
        .size:           184
        .value_kind:     by_value
    .group_segment_fixed_size: 0
    .kernarg_segment_align: 8
    .kernarg_segment_size: 184
    .language:       OpenCL C
    .language_version:
      - 2
      - 0
    .max_flat_workgroup_size: 256
    .name:           _ZN7rocprim17ROCPRIM_400000_NS6detail17trampoline_kernelINS0_13select_configILj256ELj13ELNS0_17block_load_methodE3ELS4_3ELS4_3ELNS0_20block_scan_algorithmE0ELj4294967295EEENS1_25partition_config_selectorILNS1_17partition_subalgoE4EjNS0_10empty_typeEbEEZZNS1_14partition_implILS8_4ELb0ES6_15HIP_vector_typeIjLj2EENS0_17counting_iteratorIjlEEPS9_SG_NS0_5tupleIJPjSI_NS0_16reverse_iteratorISI_EEEEENSH_IJSG_SG_SG_EEES9_SI_JZNS1_25segmented_radix_sort_implINS0_14default_configELb0EPKbPbPKlPlN2at6native12_GLOBAL__N_18offset_tEEE10hipError_tPvRmT1_PNSt15iterator_traitsIS12_E10value_typeET2_T3_PNS13_IS18_E10value_typeET4_jRbjT5_S1E_jjP12ihipStream_tbEUljE_ZNSN_ISO_Lb0ESQ_SR_ST_SU_SY_EESZ_S10_S11_S12_S16_S17_S18_S1B_S1C_jS1D_jS1E_S1E_jjS1G_bEUljE0_EEESZ_S10_S11_S18_S1C_S1E_T6_T7_T9_mT8_S1G_bDpT10_ENKUlT_T0_E_clISt17integral_constantIbLb0EES1T_IbLb1EEEEDaS1P_S1Q_EUlS1P_E_NS1_11comp_targetILNS1_3genE8ELNS1_11target_archE1030ELNS1_3gpuE2ELNS1_3repE0EEENS1_30default_config_static_selectorELNS0_4arch9wavefront6targetE1EEEvS12_
    .private_segment_fixed_size: 0
    .sgpr_count:     4
    .sgpr_spill_count: 0
    .symbol:         _ZN7rocprim17ROCPRIM_400000_NS6detail17trampoline_kernelINS0_13select_configILj256ELj13ELNS0_17block_load_methodE3ELS4_3ELS4_3ELNS0_20block_scan_algorithmE0ELj4294967295EEENS1_25partition_config_selectorILNS1_17partition_subalgoE4EjNS0_10empty_typeEbEEZZNS1_14partition_implILS8_4ELb0ES6_15HIP_vector_typeIjLj2EENS0_17counting_iteratorIjlEEPS9_SG_NS0_5tupleIJPjSI_NS0_16reverse_iteratorISI_EEEEENSH_IJSG_SG_SG_EEES9_SI_JZNS1_25segmented_radix_sort_implINS0_14default_configELb0EPKbPbPKlPlN2at6native12_GLOBAL__N_18offset_tEEE10hipError_tPvRmT1_PNSt15iterator_traitsIS12_E10value_typeET2_T3_PNS13_IS18_E10value_typeET4_jRbjT5_S1E_jjP12ihipStream_tbEUljE_ZNSN_ISO_Lb0ESQ_SR_ST_SU_SY_EESZ_S10_S11_S12_S16_S17_S18_S1B_S1C_jS1D_jS1E_S1E_jjS1G_bEUljE0_EEESZ_S10_S11_S18_S1C_S1E_T6_T7_T9_mT8_S1G_bDpT10_ENKUlT_T0_E_clISt17integral_constantIbLb0EES1T_IbLb1EEEEDaS1P_S1Q_EUlS1P_E_NS1_11comp_targetILNS1_3genE8ELNS1_11target_archE1030ELNS1_3gpuE2ELNS1_3repE0EEENS1_30default_config_static_selectorELNS0_4arch9wavefront6targetE1EEEvS12_.kd
    .uniform_work_group_size: 1
    .uses_dynamic_stack: false
    .vgpr_count:     0
    .vgpr_spill_count: 0
    .wavefront_size: 64
  - .agpr_count:     0
    .args:
      - .offset:         0
        .size:           144
        .value_kind:     by_value
    .group_segment_fixed_size: 0
    .kernarg_segment_align: 8
    .kernarg_segment_size: 144
    .language:       OpenCL C
    .language_version:
      - 2
      - 0
    .max_flat_workgroup_size: 256
    .name:           _ZN7rocprim17ROCPRIM_400000_NS6detail17trampoline_kernelINS0_13select_configILj256ELj13ELNS0_17block_load_methodE3ELS4_3ELS4_3ELNS0_20block_scan_algorithmE0ELj4294967295EEENS1_25partition_config_selectorILNS1_17partition_subalgoE3EjNS0_10empty_typeEbEEZZNS1_14partition_implILS8_3ELb0ES6_jNS0_17counting_iteratorIjlEEPS9_SE_NS0_5tupleIJPjSE_EEENSF_IJSE_SE_EEES9_SG_JZNS1_25segmented_radix_sort_implINS0_14default_configELb0EPKbPbPKlPlN2at6native12_GLOBAL__N_18offset_tEEE10hipError_tPvRmT1_PNSt15iterator_traitsISY_E10value_typeET2_T3_PNSZ_IS14_E10value_typeET4_jRbjT5_S1A_jjP12ihipStream_tbEUljE_EEESV_SW_SX_S14_S18_S1A_T6_T7_T9_mT8_S1C_bDpT10_ENKUlT_T0_E_clISt17integral_constantIbLb0EES1P_EEDaS1K_S1L_EUlS1K_E_NS1_11comp_targetILNS1_3genE0ELNS1_11target_archE4294967295ELNS1_3gpuE0ELNS1_3repE0EEENS1_30default_config_static_selectorELNS0_4arch9wavefront6targetE1EEEvSY_
    .private_segment_fixed_size: 0
    .sgpr_count:     4
    .sgpr_spill_count: 0
    .symbol:         _ZN7rocprim17ROCPRIM_400000_NS6detail17trampoline_kernelINS0_13select_configILj256ELj13ELNS0_17block_load_methodE3ELS4_3ELS4_3ELNS0_20block_scan_algorithmE0ELj4294967295EEENS1_25partition_config_selectorILNS1_17partition_subalgoE3EjNS0_10empty_typeEbEEZZNS1_14partition_implILS8_3ELb0ES6_jNS0_17counting_iteratorIjlEEPS9_SE_NS0_5tupleIJPjSE_EEENSF_IJSE_SE_EEES9_SG_JZNS1_25segmented_radix_sort_implINS0_14default_configELb0EPKbPbPKlPlN2at6native12_GLOBAL__N_18offset_tEEE10hipError_tPvRmT1_PNSt15iterator_traitsISY_E10value_typeET2_T3_PNSZ_IS14_E10value_typeET4_jRbjT5_S1A_jjP12ihipStream_tbEUljE_EEESV_SW_SX_S14_S18_S1A_T6_T7_T9_mT8_S1C_bDpT10_ENKUlT_T0_E_clISt17integral_constantIbLb0EES1P_EEDaS1K_S1L_EUlS1K_E_NS1_11comp_targetILNS1_3genE0ELNS1_11target_archE4294967295ELNS1_3gpuE0ELNS1_3repE0EEENS1_30default_config_static_selectorELNS0_4arch9wavefront6targetE1EEEvSY_.kd
    .uniform_work_group_size: 1
    .uses_dynamic_stack: false
    .vgpr_count:     0
    .vgpr_spill_count: 0
    .wavefront_size: 64
  - .agpr_count:     0
    .args:
      - .offset:         0
        .size:           144
        .value_kind:     by_value
    .group_segment_fixed_size: 0
    .kernarg_segment_align: 8
    .kernarg_segment_size: 144
    .language:       OpenCL C
    .language_version:
      - 2
      - 0
    .max_flat_workgroup_size: 256
    .name:           _ZN7rocprim17ROCPRIM_400000_NS6detail17trampoline_kernelINS0_13select_configILj256ELj13ELNS0_17block_load_methodE3ELS4_3ELS4_3ELNS0_20block_scan_algorithmE0ELj4294967295EEENS1_25partition_config_selectorILNS1_17partition_subalgoE3EjNS0_10empty_typeEbEEZZNS1_14partition_implILS8_3ELb0ES6_jNS0_17counting_iteratorIjlEEPS9_SE_NS0_5tupleIJPjSE_EEENSF_IJSE_SE_EEES9_SG_JZNS1_25segmented_radix_sort_implINS0_14default_configELb0EPKbPbPKlPlN2at6native12_GLOBAL__N_18offset_tEEE10hipError_tPvRmT1_PNSt15iterator_traitsISY_E10value_typeET2_T3_PNSZ_IS14_E10value_typeET4_jRbjT5_S1A_jjP12ihipStream_tbEUljE_EEESV_SW_SX_S14_S18_S1A_T6_T7_T9_mT8_S1C_bDpT10_ENKUlT_T0_E_clISt17integral_constantIbLb0EES1P_EEDaS1K_S1L_EUlS1K_E_NS1_11comp_targetILNS1_3genE5ELNS1_11target_archE942ELNS1_3gpuE9ELNS1_3repE0EEENS1_30default_config_static_selectorELNS0_4arch9wavefront6targetE1EEEvSY_
    .private_segment_fixed_size: 0
    .sgpr_count:     4
    .sgpr_spill_count: 0
    .symbol:         _ZN7rocprim17ROCPRIM_400000_NS6detail17trampoline_kernelINS0_13select_configILj256ELj13ELNS0_17block_load_methodE3ELS4_3ELS4_3ELNS0_20block_scan_algorithmE0ELj4294967295EEENS1_25partition_config_selectorILNS1_17partition_subalgoE3EjNS0_10empty_typeEbEEZZNS1_14partition_implILS8_3ELb0ES6_jNS0_17counting_iteratorIjlEEPS9_SE_NS0_5tupleIJPjSE_EEENSF_IJSE_SE_EEES9_SG_JZNS1_25segmented_radix_sort_implINS0_14default_configELb0EPKbPbPKlPlN2at6native12_GLOBAL__N_18offset_tEEE10hipError_tPvRmT1_PNSt15iterator_traitsISY_E10value_typeET2_T3_PNSZ_IS14_E10value_typeET4_jRbjT5_S1A_jjP12ihipStream_tbEUljE_EEESV_SW_SX_S14_S18_S1A_T6_T7_T9_mT8_S1C_bDpT10_ENKUlT_T0_E_clISt17integral_constantIbLb0EES1P_EEDaS1K_S1L_EUlS1K_E_NS1_11comp_targetILNS1_3genE5ELNS1_11target_archE942ELNS1_3gpuE9ELNS1_3repE0EEENS1_30default_config_static_selectorELNS0_4arch9wavefront6targetE1EEEvSY_.kd
    .uniform_work_group_size: 1
    .uses_dynamic_stack: false
    .vgpr_count:     0
    .vgpr_spill_count: 0
    .wavefront_size: 64
  - .agpr_count:     0
    .args:
      - .offset:         0
        .size:           144
        .value_kind:     by_value
    .group_segment_fixed_size: 13324
    .kernarg_segment_align: 8
    .kernarg_segment_size: 144
    .language:       OpenCL C
    .language_version:
      - 2
      - 0
    .max_flat_workgroup_size: 256
    .name:           _ZN7rocprim17ROCPRIM_400000_NS6detail17trampoline_kernelINS0_13select_configILj256ELj13ELNS0_17block_load_methodE3ELS4_3ELS4_3ELNS0_20block_scan_algorithmE0ELj4294967295EEENS1_25partition_config_selectorILNS1_17partition_subalgoE3EjNS0_10empty_typeEbEEZZNS1_14partition_implILS8_3ELb0ES6_jNS0_17counting_iteratorIjlEEPS9_SE_NS0_5tupleIJPjSE_EEENSF_IJSE_SE_EEES9_SG_JZNS1_25segmented_radix_sort_implINS0_14default_configELb0EPKbPbPKlPlN2at6native12_GLOBAL__N_18offset_tEEE10hipError_tPvRmT1_PNSt15iterator_traitsISY_E10value_typeET2_T3_PNSZ_IS14_E10value_typeET4_jRbjT5_S1A_jjP12ihipStream_tbEUljE_EEESV_SW_SX_S14_S18_S1A_T6_T7_T9_mT8_S1C_bDpT10_ENKUlT_T0_E_clISt17integral_constantIbLb0EES1P_EEDaS1K_S1L_EUlS1K_E_NS1_11comp_targetILNS1_3genE4ELNS1_11target_archE910ELNS1_3gpuE8ELNS1_3repE0EEENS1_30default_config_static_selectorELNS0_4arch9wavefront6targetE1EEEvSY_
    .private_segment_fixed_size: 0
    .sgpr_count:     50
    .sgpr_spill_count: 0
    .symbol:         _ZN7rocprim17ROCPRIM_400000_NS6detail17trampoline_kernelINS0_13select_configILj256ELj13ELNS0_17block_load_methodE3ELS4_3ELS4_3ELNS0_20block_scan_algorithmE0ELj4294967295EEENS1_25partition_config_selectorILNS1_17partition_subalgoE3EjNS0_10empty_typeEbEEZZNS1_14partition_implILS8_3ELb0ES6_jNS0_17counting_iteratorIjlEEPS9_SE_NS0_5tupleIJPjSE_EEENSF_IJSE_SE_EEES9_SG_JZNS1_25segmented_radix_sort_implINS0_14default_configELb0EPKbPbPKlPlN2at6native12_GLOBAL__N_18offset_tEEE10hipError_tPvRmT1_PNSt15iterator_traitsISY_E10value_typeET2_T3_PNSZ_IS14_E10value_typeET4_jRbjT5_S1A_jjP12ihipStream_tbEUljE_EEESV_SW_SX_S14_S18_S1A_T6_T7_T9_mT8_S1C_bDpT10_ENKUlT_T0_E_clISt17integral_constantIbLb0EES1P_EEDaS1K_S1L_EUlS1K_E_NS1_11comp_targetILNS1_3genE4ELNS1_11target_archE910ELNS1_3gpuE8ELNS1_3repE0EEENS1_30default_config_static_selectorELNS0_4arch9wavefront6targetE1EEEvSY_.kd
    .uniform_work_group_size: 1
    .uses_dynamic_stack: false
    .vgpr_count:     61
    .vgpr_spill_count: 0
    .wavefront_size: 64
  - .agpr_count:     0
    .args:
      - .offset:         0
        .size:           144
        .value_kind:     by_value
    .group_segment_fixed_size: 0
    .kernarg_segment_align: 8
    .kernarg_segment_size: 144
    .language:       OpenCL C
    .language_version:
      - 2
      - 0
    .max_flat_workgroup_size: 256
    .name:           _ZN7rocprim17ROCPRIM_400000_NS6detail17trampoline_kernelINS0_13select_configILj256ELj13ELNS0_17block_load_methodE3ELS4_3ELS4_3ELNS0_20block_scan_algorithmE0ELj4294967295EEENS1_25partition_config_selectorILNS1_17partition_subalgoE3EjNS0_10empty_typeEbEEZZNS1_14partition_implILS8_3ELb0ES6_jNS0_17counting_iteratorIjlEEPS9_SE_NS0_5tupleIJPjSE_EEENSF_IJSE_SE_EEES9_SG_JZNS1_25segmented_radix_sort_implINS0_14default_configELb0EPKbPbPKlPlN2at6native12_GLOBAL__N_18offset_tEEE10hipError_tPvRmT1_PNSt15iterator_traitsISY_E10value_typeET2_T3_PNSZ_IS14_E10value_typeET4_jRbjT5_S1A_jjP12ihipStream_tbEUljE_EEESV_SW_SX_S14_S18_S1A_T6_T7_T9_mT8_S1C_bDpT10_ENKUlT_T0_E_clISt17integral_constantIbLb0EES1P_EEDaS1K_S1L_EUlS1K_E_NS1_11comp_targetILNS1_3genE3ELNS1_11target_archE908ELNS1_3gpuE7ELNS1_3repE0EEENS1_30default_config_static_selectorELNS0_4arch9wavefront6targetE1EEEvSY_
    .private_segment_fixed_size: 0
    .sgpr_count:     4
    .sgpr_spill_count: 0
    .symbol:         _ZN7rocprim17ROCPRIM_400000_NS6detail17trampoline_kernelINS0_13select_configILj256ELj13ELNS0_17block_load_methodE3ELS4_3ELS4_3ELNS0_20block_scan_algorithmE0ELj4294967295EEENS1_25partition_config_selectorILNS1_17partition_subalgoE3EjNS0_10empty_typeEbEEZZNS1_14partition_implILS8_3ELb0ES6_jNS0_17counting_iteratorIjlEEPS9_SE_NS0_5tupleIJPjSE_EEENSF_IJSE_SE_EEES9_SG_JZNS1_25segmented_radix_sort_implINS0_14default_configELb0EPKbPbPKlPlN2at6native12_GLOBAL__N_18offset_tEEE10hipError_tPvRmT1_PNSt15iterator_traitsISY_E10value_typeET2_T3_PNSZ_IS14_E10value_typeET4_jRbjT5_S1A_jjP12ihipStream_tbEUljE_EEESV_SW_SX_S14_S18_S1A_T6_T7_T9_mT8_S1C_bDpT10_ENKUlT_T0_E_clISt17integral_constantIbLb0EES1P_EEDaS1K_S1L_EUlS1K_E_NS1_11comp_targetILNS1_3genE3ELNS1_11target_archE908ELNS1_3gpuE7ELNS1_3repE0EEENS1_30default_config_static_selectorELNS0_4arch9wavefront6targetE1EEEvSY_.kd
    .uniform_work_group_size: 1
    .uses_dynamic_stack: false
    .vgpr_count:     0
    .vgpr_spill_count: 0
    .wavefront_size: 64
  - .agpr_count:     0
    .args:
      - .offset:         0
        .size:           144
        .value_kind:     by_value
    .group_segment_fixed_size: 0
    .kernarg_segment_align: 8
    .kernarg_segment_size: 144
    .language:       OpenCL C
    .language_version:
      - 2
      - 0
    .max_flat_workgroup_size: 256
    .name:           _ZN7rocprim17ROCPRIM_400000_NS6detail17trampoline_kernelINS0_13select_configILj256ELj13ELNS0_17block_load_methodE3ELS4_3ELS4_3ELNS0_20block_scan_algorithmE0ELj4294967295EEENS1_25partition_config_selectorILNS1_17partition_subalgoE3EjNS0_10empty_typeEbEEZZNS1_14partition_implILS8_3ELb0ES6_jNS0_17counting_iteratorIjlEEPS9_SE_NS0_5tupleIJPjSE_EEENSF_IJSE_SE_EEES9_SG_JZNS1_25segmented_radix_sort_implINS0_14default_configELb0EPKbPbPKlPlN2at6native12_GLOBAL__N_18offset_tEEE10hipError_tPvRmT1_PNSt15iterator_traitsISY_E10value_typeET2_T3_PNSZ_IS14_E10value_typeET4_jRbjT5_S1A_jjP12ihipStream_tbEUljE_EEESV_SW_SX_S14_S18_S1A_T6_T7_T9_mT8_S1C_bDpT10_ENKUlT_T0_E_clISt17integral_constantIbLb0EES1P_EEDaS1K_S1L_EUlS1K_E_NS1_11comp_targetILNS1_3genE2ELNS1_11target_archE906ELNS1_3gpuE6ELNS1_3repE0EEENS1_30default_config_static_selectorELNS0_4arch9wavefront6targetE1EEEvSY_
    .private_segment_fixed_size: 0
    .sgpr_count:     4
    .sgpr_spill_count: 0
    .symbol:         _ZN7rocprim17ROCPRIM_400000_NS6detail17trampoline_kernelINS0_13select_configILj256ELj13ELNS0_17block_load_methodE3ELS4_3ELS4_3ELNS0_20block_scan_algorithmE0ELj4294967295EEENS1_25partition_config_selectorILNS1_17partition_subalgoE3EjNS0_10empty_typeEbEEZZNS1_14partition_implILS8_3ELb0ES6_jNS0_17counting_iteratorIjlEEPS9_SE_NS0_5tupleIJPjSE_EEENSF_IJSE_SE_EEES9_SG_JZNS1_25segmented_radix_sort_implINS0_14default_configELb0EPKbPbPKlPlN2at6native12_GLOBAL__N_18offset_tEEE10hipError_tPvRmT1_PNSt15iterator_traitsISY_E10value_typeET2_T3_PNSZ_IS14_E10value_typeET4_jRbjT5_S1A_jjP12ihipStream_tbEUljE_EEESV_SW_SX_S14_S18_S1A_T6_T7_T9_mT8_S1C_bDpT10_ENKUlT_T0_E_clISt17integral_constantIbLb0EES1P_EEDaS1K_S1L_EUlS1K_E_NS1_11comp_targetILNS1_3genE2ELNS1_11target_archE906ELNS1_3gpuE6ELNS1_3repE0EEENS1_30default_config_static_selectorELNS0_4arch9wavefront6targetE1EEEvSY_.kd
    .uniform_work_group_size: 1
    .uses_dynamic_stack: false
    .vgpr_count:     0
    .vgpr_spill_count: 0
    .wavefront_size: 64
  - .agpr_count:     0
    .args:
      - .offset:         0
        .size:           144
        .value_kind:     by_value
    .group_segment_fixed_size: 0
    .kernarg_segment_align: 8
    .kernarg_segment_size: 144
    .language:       OpenCL C
    .language_version:
      - 2
      - 0
    .max_flat_workgroup_size: 256
    .name:           _ZN7rocprim17ROCPRIM_400000_NS6detail17trampoline_kernelINS0_13select_configILj256ELj13ELNS0_17block_load_methodE3ELS4_3ELS4_3ELNS0_20block_scan_algorithmE0ELj4294967295EEENS1_25partition_config_selectorILNS1_17partition_subalgoE3EjNS0_10empty_typeEbEEZZNS1_14partition_implILS8_3ELb0ES6_jNS0_17counting_iteratorIjlEEPS9_SE_NS0_5tupleIJPjSE_EEENSF_IJSE_SE_EEES9_SG_JZNS1_25segmented_radix_sort_implINS0_14default_configELb0EPKbPbPKlPlN2at6native12_GLOBAL__N_18offset_tEEE10hipError_tPvRmT1_PNSt15iterator_traitsISY_E10value_typeET2_T3_PNSZ_IS14_E10value_typeET4_jRbjT5_S1A_jjP12ihipStream_tbEUljE_EEESV_SW_SX_S14_S18_S1A_T6_T7_T9_mT8_S1C_bDpT10_ENKUlT_T0_E_clISt17integral_constantIbLb0EES1P_EEDaS1K_S1L_EUlS1K_E_NS1_11comp_targetILNS1_3genE10ELNS1_11target_archE1200ELNS1_3gpuE4ELNS1_3repE0EEENS1_30default_config_static_selectorELNS0_4arch9wavefront6targetE1EEEvSY_
    .private_segment_fixed_size: 0
    .sgpr_count:     4
    .sgpr_spill_count: 0
    .symbol:         _ZN7rocprim17ROCPRIM_400000_NS6detail17trampoline_kernelINS0_13select_configILj256ELj13ELNS0_17block_load_methodE3ELS4_3ELS4_3ELNS0_20block_scan_algorithmE0ELj4294967295EEENS1_25partition_config_selectorILNS1_17partition_subalgoE3EjNS0_10empty_typeEbEEZZNS1_14partition_implILS8_3ELb0ES6_jNS0_17counting_iteratorIjlEEPS9_SE_NS0_5tupleIJPjSE_EEENSF_IJSE_SE_EEES9_SG_JZNS1_25segmented_radix_sort_implINS0_14default_configELb0EPKbPbPKlPlN2at6native12_GLOBAL__N_18offset_tEEE10hipError_tPvRmT1_PNSt15iterator_traitsISY_E10value_typeET2_T3_PNSZ_IS14_E10value_typeET4_jRbjT5_S1A_jjP12ihipStream_tbEUljE_EEESV_SW_SX_S14_S18_S1A_T6_T7_T9_mT8_S1C_bDpT10_ENKUlT_T0_E_clISt17integral_constantIbLb0EES1P_EEDaS1K_S1L_EUlS1K_E_NS1_11comp_targetILNS1_3genE10ELNS1_11target_archE1200ELNS1_3gpuE4ELNS1_3repE0EEENS1_30default_config_static_selectorELNS0_4arch9wavefront6targetE1EEEvSY_.kd
    .uniform_work_group_size: 1
    .uses_dynamic_stack: false
    .vgpr_count:     0
    .vgpr_spill_count: 0
    .wavefront_size: 64
  - .agpr_count:     0
    .args:
      - .offset:         0
        .size:           144
        .value_kind:     by_value
    .group_segment_fixed_size: 0
    .kernarg_segment_align: 8
    .kernarg_segment_size: 144
    .language:       OpenCL C
    .language_version:
      - 2
      - 0
    .max_flat_workgroup_size: 256
    .name:           _ZN7rocprim17ROCPRIM_400000_NS6detail17trampoline_kernelINS0_13select_configILj256ELj13ELNS0_17block_load_methodE3ELS4_3ELS4_3ELNS0_20block_scan_algorithmE0ELj4294967295EEENS1_25partition_config_selectorILNS1_17partition_subalgoE3EjNS0_10empty_typeEbEEZZNS1_14partition_implILS8_3ELb0ES6_jNS0_17counting_iteratorIjlEEPS9_SE_NS0_5tupleIJPjSE_EEENSF_IJSE_SE_EEES9_SG_JZNS1_25segmented_radix_sort_implINS0_14default_configELb0EPKbPbPKlPlN2at6native12_GLOBAL__N_18offset_tEEE10hipError_tPvRmT1_PNSt15iterator_traitsISY_E10value_typeET2_T3_PNSZ_IS14_E10value_typeET4_jRbjT5_S1A_jjP12ihipStream_tbEUljE_EEESV_SW_SX_S14_S18_S1A_T6_T7_T9_mT8_S1C_bDpT10_ENKUlT_T0_E_clISt17integral_constantIbLb0EES1P_EEDaS1K_S1L_EUlS1K_E_NS1_11comp_targetILNS1_3genE9ELNS1_11target_archE1100ELNS1_3gpuE3ELNS1_3repE0EEENS1_30default_config_static_selectorELNS0_4arch9wavefront6targetE1EEEvSY_
    .private_segment_fixed_size: 0
    .sgpr_count:     4
    .sgpr_spill_count: 0
    .symbol:         _ZN7rocprim17ROCPRIM_400000_NS6detail17trampoline_kernelINS0_13select_configILj256ELj13ELNS0_17block_load_methodE3ELS4_3ELS4_3ELNS0_20block_scan_algorithmE0ELj4294967295EEENS1_25partition_config_selectorILNS1_17partition_subalgoE3EjNS0_10empty_typeEbEEZZNS1_14partition_implILS8_3ELb0ES6_jNS0_17counting_iteratorIjlEEPS9_SE_NS0_5tupleIJPjSE_EEENSF_IJSE_SE_EEES9_SG_JZNS1_25segmented_radix_sort_implINS0_14default_configELb0EPKbPbPKlPlN2at6native12_GLOBAL__N_18offset_tEEE10hipError_tPvRmT1_PNSt15iterator_traitsISY_E10value_typeET2_T3_PNSZ_IS14_E10value_typeET4_jRbjT5_S1A_jjP12ihipStream_tbEUljE_EEESV_SW_SX_S14_S18_S1A_T6_T7_T9_mT8_S1C_bDpT10_ENKUlT_T0_E_clISt17integral_constantIbLb0EES1P_EEDaS1K_S1L_EUlS1K_E_NS1_11comp_targetILNS1_3genE9ELNS1_11target_archE1100ELNS1_3gpuE3ELNS1_3repE0EEENS1_30default_config_static_selectorELNS0_4arch9wavefront6targetE1EEEvSY_.kd
    .uniform_work_group_size: 1
    .uses_dynamic_stack: false
    .vgpr_count:     0
    .vgpr_spill_count: 0
    .wavefront_size: 64
  - .agpr_count:     0
    .args:
      - .offset:         0
        .size:           144
        .value_kind:     by_value
    .group_segment_fixed_size: 0
    .kernarg_segment_align: 8
    .kernarg_segment_size: 144
    .language:       OpenCL C
    .language_version:
      - 2
      - 0
    .max_flat_workgroup_size: 256
    .name:           _ZN7rocprim17ROCPRIM_400000_NS6detail17trampoline_kernelINS0_13select_configILj256ELj13ELNS0_17block_load_methodE3ELS4_3ELS4_3ELNS0_20block_scan_algorithmE0ELj4294967295EEENS1_25partition_config_selectorILNS1_17partition_subalgoE3EjNS0_10empty_typeEbEEZZNS1_14partition_implILS8_3ELb0ES6_jNS0_17counting_iteratorIjlEEPS9_SE_NS0_5tupleIJPjSE_EEENSF_IJSE_SE_EEES9_SG_JZNS1_25segmented_radix_sort_implINS0_14default_configELb0EPKbPbPKlPlN2at6native12_GLOBAL__N_18offset_tEEE10hipError_tPvRmT1_PNSt15iterator_traitsISY_E10value_typeET2_T3_PNSZ_IS14_E10value_typeET4_jRbjT5_S1A_jjP12ihipStream_tbEUljE_EEESV_SW_SX_S14_S18_S1A_T6_T7_T9_mT8_S1C_bDpT10_ENKUlT_T0_E_clISt17integral_constantIbLb0EES1P_EEDaS1K_S1L_EUlS1K_E_NS1_11comp_targetILNS1_3genE8ELNS1_11target_archE1030ELNS1_3gpuE2ELNS1_3repE0EEENS1_30default_config_static_selectorELNS0_4arch9wavefront6targetE1EEEvSY_
    .private_segment_fixed_size: 0
    .sgpr_count:     4
    .sgpr_spill_count: 0
    .symbol:         _ZN7rocprim17ROCPRIM_400000_NS6detail17trampoline_kernelINS0_13select_configILj256ELj13ELNS0_17block_load_methodE3ELS4_3ELS4_3ELNS0_20block_scan_algorithmE0ELj4294967295EEENS1_25partition_config_selectorILNS1_17partition_subalgoE3EjNS0_10empty_typeEbEEZZNS1_14partition_implILS8_3ELb0ES6_jNS0_17counting_iteratorIjlEEPS9_SE_NS0_5tupleIJPjSE_EEENSF_IJSE_SE_EEES9_SG_JZNS1_25segmented_radix_sort_implINS0_14default_configELb0EPKbPbPKlPlN2at6native12_GLOBAL__N_18offset_tEEE10hipError_tPvRmT1_PNSt15iterator_traitsISY_E10value_typeET2_T3_PNSZ_IS14_E10value_typeET4_jRbjT5_S1A_jjP12ihipStream_tbEUljE_EEESV_SW_SX_S14_S18_S1A_T6_T7_T9_mT8_S1C_bDpT10_ENKUlT_T0_E_clISt17integral_constantIbLb0EES1P_EEDaS1K_S1L_EUlS1K_E_NS1_11comp_targetILNS1_3genE8ELNS1_11target_archE1030ELNS1_3gpuE2ELNS1_3repE0EEENS1_30default_config_static_selectorELNS0_4arch9wavefront6targetE1EEEvSY_.kd
    .uniform_work_group_size: 1
    .uses_dynamic_stack: false
    .vgpr_count:     0
    .vgpr_spill_count: 0
    .wavefront_size: 64
  - .agpr_count:     0
    .args:
      - .offset:         0
        .size:           152
        .value_kind:     by_value
    .group_segment_fixed_size: 0
    .kernarg_segment_align: 8
    .kernarg_segment_size: 152
    .language:       OpenCL C
    .language_version:
      - 2
      - 0
    .max_flat_workgroup_size: 256
    .name:           _ZN7rocprim17ROCPRIM_400000_NS6detail17trampoline_kernelINS0_13select_configILj256ELj13ELNS0_17block_load_methodE3ELS4_3ELS4_3ELNS0_20block_scan_algorithmE0ELj4294967295EEENS1_25partition_config_selectorILNS1_17partition_subalgoE3EjNS0_10empty_typeEbEEZZNS1_14partition_implILS8_3ELb0ES6_jNS0_17counting_iteratorIjlEEPS9_SE_NS0_5tupleIJPjSE_EEENSF_IJSE_SE_EEES9_SG_JZNS1_25segmented_radix_sort_implINS0_14default_configELb0EPKbPbPKlPlN2at6native12_GLOBAL__N_18offset_tEEE10hipError_tPvRmT1_PNSt15iterator_traitsISY_E10value_typeET2_T3_PNSZ_IS14_E10value_typeET4_jRbjT5_S1A_jjP12ihipStream_tbEUljE_EEESV_SW_SX_S14_S18_S1A_T6_T7_T9_mT8_S1C_bDpT10_ENKUlT_T0_E_clISt17integral_constantIbLb1EES1P_EEDaS1K_S1L_EUlS1K_E_NS1_11comp_targetILNS1_3genE0ELNS1_11target_archE4294967295ELNS1_3gpuE0ELNS1_3repE0EEENS1_30default_config_static_selectorELNS0_4arch9wavefront6targetE1EEEvSY_
    .private_segment_fixed_size: 0
    .sgpr_count:     4
    .sgpr_spill_count: 0
    .symbol:         _ZN7rocprim17ROCPRIM_400000_NS6detail17trampoline_kernelINS0_13select_configILj256ELj13ELNS0_17block_load_methodE3ELS4_3ELS4_3ELNS0_20block_scan_algorithmE0ELj4294967295EEENS1_25partition_config_selectorILNS1_17partition_subalgoE3EjNS0_10empty_typeEbEEZZNS1_14partition_implILS8_3ELb0ES6_jNS0_17counting_iteratorIjlEEPS9_SE_NS0_5tupleIJPjSE_EEENSF_IJSE_SE_EEES9_SG_JZNS1_25segmented_radix_sort_implINS0_14default_configELb0EPKbPbPKlPlN2at6native12_GLOBAL__N_18offset_tEEE10hipError_tPvRmT1_PNSt15iterator_traitsISY_E10value_typeET2_T3_PNSZ_IS14_E10value_typeET4_jRbjT5_S1A_jjP12ihipStream_tbEUljE_EEESV_SW_SX_S14_S18_S1A_T6_T7_T9_mT8_S1C_bDpT10_ENKUlT_T0_E_clISt17integral_constantIbLb1EES1P_EEDaS1K_S1L_EUlS1K_E_NS1_11comp_targetILNS1_3genE0ELNS1_11target_archE4294967295ELNS1_3gpuE0ELNS1_3repE0EEENS1_30default_config_static_selectorELNS0_4arch9wavefront6targetE1EEEvSY_.kd
    .uniform_work_group_size: 1
    .uses_dynamic_stack: false
    .vgpr_count:     0
    .vgpr_spill_count: 0
    .wavefront_size: 64
  - .agpr_count:     0
    .args:
      - .offset:         0
        .size:           152
        .value_kind:     by_value
    .group_segment_fixed_size: 0
    .kernarg_segment_align: 8
    .kernarg_segment_size: 152
    .language:       OpenCL C
    .language_version:
      - 2
      - 0
    .max_flat_workgroup_size: 256
    .name:           _ZN7rocprim17ROCPRIM_400000_NS6detail17trampoline_kernelINS0_13select_configILj256ELj13ELNS0_17block_load_methodE3ELS4_3ELS4_3ELNS0_20block_scan_algorithmE0ELj4294967295EEENS1_25partition_config_selectorILNS1_17partition_subalgoE3EjNS0_10empty_typeEbEEZZNS1_14partition_implILS8_3ELb0ES6_jNS0_17counting_iteratorIjlEEPS9_SE_NS0_5tupleIJPjSE_EEENSF_IJSE_SE_EEES9_SG_JZNS1_25segmented_radix_sort_implINS0_14default_configELb0EPKbPbPKlPlN2at6native12_GLOBAL__N_18offset_tEEE10hipError_tPvRmT1_PNSt15iterator_traitsISY_E10value_typeET2_T3_PNSZ_IS14_E10value_typeET4_jRbjT5_S1A_jjP12ihipStream_tbEUljE_EEESV_SW_SX_S14_S18_S1A_T6_T7_T9_mT8_S1C_bDpT10_ENKUlT_T0_E_clISt17integral_constantIbLb1EES1P_EEDaS1K_S1L_EUlS1K_E_NS1_11comp_targetILNS1_3genE5ELNS1_11target_archE942ELNS1_3gpuE9ELNS1_3repE0EEENS1_30default_config_static_selectorELNS0_4arch9wavefront6targetE1EEEvSY_
    .private_segment_fixed_size: 0
    .sgpr_count:     4
    .sgpr_spill_count: 0
    .symbol:         _ZN7rocprim17ROCPRIM_400000_NS6detail17trampoline_kernelINS0_13select_configILj256ELj13ELNS0_17block_load_methodE3ELS4_3ELS4_3ELNS0_20block_scan_algorithmE0ELj4294967295EEENS1_25partition_config_selectorILNS1_17partition_subalgoE3EjNS0_10empty_typeEbEEZZNS1_14partition_implILS8_3ELb0ES6_jNS0_17counting_iteratorIjlEEPS9_SE_NS0_5tupleIJPjSE_EEENSF_IJSE_SE_EEES9_SG_JZNS1_25segmented_radix_sort_implINS0_14default_configELb0EPKbPbPKlPlN2at6native12_GLOBAL__N_18offset_tEEE10hipError_tPvRmT1_PNSt15iterator_traitsISY_E10value_typeET2_T3_PNSZ_IS14_E10value_typeET4_jRbjT5_S1A_jjP12ihipStream_tbEUljE_EEESV_SW_SX_S14_S18_S1A_T6_T7_T9_mT8_S1C_bDpT10_ENKUlT_T0_E_clISt17integral_constantIbLb1EES1P_EEDaS1K_S1L_EUlS1K_E_NS1_11comp_targetILNS1_3genE5ELNS1_11target_archE942ELNS1_3gpuE9ELNS1_3repE0EEENS1_30default_config_static_selectorELNS0_4arch9wavefront6targetE1EEEvSY_.kd
    .uniform_work_group_size: 1
    .uses_dynamic_stack: false
    .vgpr_count:     0
    .vgpr_spill_count: 0
    .wavefront_size: 64
  - .agpr_count:     0
    .args:
      - .offset:         0
        .size:           152
        .value_kind:     by_value
    .group_segment_fixed_size: 13324
    .kernarg_segment_align: 8
    .kernarg_segment_size: 152
    .language:       OpenCL C
    .language_version:
      - 2
      - 0
    .max_flat_workgroup_size: 256
    .name:           _ZN7rocprim17ROCPRIM_400000_NS6detail17trampoline_kernelINS0_13select_configILj256ELj13ELNS0_17block_load_methodE3ELS4_3ELS4_3ELNS0_20block_scan_algorithmE0ELj4294967295EEENS1_25partition_config_selectorILNS1_17partition_subalgoE3EjNS0_10empty_typeEbEEZZNS1_14partition_implILS8_3ELb0ES6_jNS0_17counting_iteratorIjlEEPS9_SE_NS0_5tupleIJPjSE_EEENSF_IJSE_SE_EEES9_SG_JZNS1_25segmented_radix_sort_implINS0_14default_configELb0EPKbPbPKlPlN2at6native12_GLOBAL__N_18offset_tEEE10hipError_tPvRmT1_PNSt15iterator_traitsISY_E10value_typeET2_T3_PNSZ_IS14_E10value_typeET4_jRbjT5_S1A_jjP12ihipStream_tbEUljE_EEESV_SW_SX_S14_S18_S1A_T6_T7_T9_mT8_S1C_bDpT10_ENKUlT_T0_E_clISt17integral_constantIbLb1EES1P_EEDaS1K_S1L_EUlS1K_E_NS1_11comp_targetILNS1_3genE4ELNS1_11target_archE910ELNS1_3gpuE8ELNS1_3repE0EEENS1_30default_config_static_selectorELNS0_4arch9wavefront6targetE1EEEvSY_
    .private_segment_fixed_size: 0
    .sgpr_count:     48
    .sgpr_spill_count: 0
    .symbol:         _ZN7rocprim17ROCPRIM_400000_NS6detail17trampoline_kernelINS0_13select_configILj256ELj13ELNS0_17block_load_methodE3ELS4_3ELS4_3ELNS0_20block_scan_algorithmE0ELj4294967295EEENS1_25partition_config_selectorILNS1_17partition_subalgoE3EjNS0_10empty_typeEbEEZZNS1_14partition_implILS8_3ELb0ES6_jNS0_17counting_iteratorIjlEEPS9_SE_NS0_5tupleIJPjSE_EEENSF_IJSE_SE_EEES9_SG_JZNS1_25segmented_radix_sort_implINS0_14default_configELb0EPKbPbPKlPlN2at6native12_GLOBAL__N_18offset_tEEE10hipError_tPvRmT1_PNSt15iterator_traitsISY_E10value_typeET2_T3_PNSZ_IS14_E10value_typeET4_jRbjT5_S1A_jjP12ihipStream_tbEUljE_EEESV_SW_SX_S14_S18_S1A_T6_T7_T9_mT8_S1C_bDpT10_ENKUlT_T0_E_clISt17integral_constantIbLb1EES1P_EEDaS1K_S1L_EUlS1K_E_NS1_11comp_targetILNS1_3genE4ELNS1_11target_archE910ELNS1_3gpuE8ELNS1_3repE0EEENS1_30default_config_static_selectorELNS0_4arch9wavefront6targetE1EEEvSY_.kd
    .uniform_work_group_size: 1
    .uses_dynamic_stack: false
    .vgpr_count:     64
    .vgpr_spill_count: 0
    .wavefront_size: 64
  - .agpr_count:     0
    .args:
      - .offset:         0
        .size:           152
        .value_kind:     by_value
    .group_segment_fixed_size: 0
    .kernarg_segment_align: 8
    .kernarg_segment_size: 152
    .language:       OpenCL C
    .language_version:
      - 2
      - 0
    .max_flat_workgroup_size: 256
    .name:           _ZN7rocprim17ROCPRIM_400000_NS6detail17trampoline_kernelINS0_13select_configILj256ELj13ELNS0_17block_load_methodE3ELS4_3ELS4_3ELNS0_20block_scan_algorithmE0ELj4294967295EEENS1_25partition_config_selectorILNS1_17partition_subalgoE3EjNS0_10empty_typeEbEEZZNS1_14partition_implILS8_3ELb0ES6_jNS0_17counting_iteratorIjlEEPS9_SE_NS0_5tupleIJPjSE_EEENSF_IJSE_SE_EEES9_SG_JZNS1_25segmented_radix_sort_implINS0_14default_configELb0EPKbPbPKlPlN2at6native12_GLOBAL__N_18offset_tEEE10hipError_tPvRmT1_PNSt15iterator_traitsISY_E10value_typeET2_T3_PNSZ_IS14_E10value_typeET4_jRbjT5_S1A_jjP12ihipStream_tbEUljE_EEESV_SW_SX_S14_S18_S1A_T6_T7_T9_mT8_S1C_bDpT10_ENKUlT_T0_E_clISt17integral_constantIbLb1EES1P_EEDaS1K_S1L_EUlS1K_E_NS1_11comp_targetILNS1_3genE3ELNS1_11target_archE908ELNS1_3gpuE7ELNS1_3repE0EEENS1_30default_config_static_selectorELNS0_4arch9wavefront6targetE1EEEvSY_
    .private_segment_fixed_size: 0
    .sgpr_count:     4
    .sgpr_spill_count: 0
    .symbol:         _ZN7rocprim17ROCPRIM_400000_NS6detail17trampoline_kernelINS0_13select_configILj256ELj13ELNS0_17block_load_methodE3ELS4_3ELS4_3ELNS0_20block_scan_algorithmE0ELj4294967295EEENS1_25partition_config_selectorILNS1_17partition_subalgoE3EjNS0_10empty_typeEbEEZZNS1_14partition_implILS8_3ELb0ES6_jNS0_17counting_iteratorIjlEEPS9_SE_NS0_5tupleIJPjSE_EEENSF_IJSE_SE_EEES9_SG_JZNS1_25segmented_radix_sort_implINS0_14default_configELb0EPKbPbPKlPlN2at6native12_GLOBAL__N_18offset_tEEE10hipError_tPvRmT1_PNSt15iterator_traitsISY_E10value_typeET2_T3_PNSZ_IS14_E10value_typeET4_jRbjT5_S1A_jjP12ihipStream_tbEUljE_EEESV_SW_SX_S14_S18_S1A_T6_T7_T9_mT8_S1C_bDpT10_ENKUlT_T0_E_clISt17integral_constantIbLb1EES1P_EEDaS1K_S1L_EUlS1K_E_NS1_11comp_targetILNS1_3genE3ELNS1_11target_archE908ELNS1_3gpuE7ELNS1_3repE0EEENS1_30default_config_static_selectorELNS0_4arch9wavefront6targetE1EEEvSY_.kd
    .uniform_work_group_size: 1
    .uses_dynamic_stack: false
    .vgpr_count:     0
    .vgpr_spill_count: 0
    .wavefront_size: 64
  - .agpr_count:     0
    .args:
      - .offset:         0
        .size:           152
        .value_kind:     by_value
    .group_segment_fixed_size: 0
    .kernarg_segment_align: 8
    .kernarg_segment_size: 152
    .language:       OpenCL C
    .language_version:
      - 2
      - 0
    .max_flat_workgroup_size: 256
    .name:           _ZN7rocprim17ROCPRIM_400000_NS6detail17trampoline_kernelINS0_13select_configILj256ELj13ELNS0_17block_load_methodE3ELS4_3ELS4_3ELNS0_20block_scan_algorithmE0ELj4294967295EEENS1_25partition_config_selectorILNS1_17partition_subalgoE3EjNS0_10empty_typeEbEEZZNS1_14partition_implILS8_3ELb0ES6_jNS0_17counting_iteratorIjlEEPS9_SE_NS0_5tupleIJPjSE_EEENSF_IJSE_SE_EEES9_SG_JZNS1_25segmented_radix_sort_implINS0_14default_configELb0EPKbPbPKlPlN2at6native12_GLOBAL__N_18offset_tEEE10hipError_tPvRmT1_PNSt15iterator_traitsISY_E10value_typeET2_T3_PNSZ_IS14_E10value_typeET4_jRbjT5_S1A_jjP12ihipStream_tbEUljE_EEESV_SW_SX_S14_S18_S1A_T6_T7_T9_mT8_S1C_bDpT10_ENKUlT_T0_E_clISt17integral_constantIbLb1EES1P_EEDaS1K_S1L_EUlS1K_E_NS1_11comp_targetILNS1_3genE2ELNS1_11target_archE906ELNS1_3gpuE6ELNS1_3repE0EEENS1_30default_config_static_selectorELNS0_4arch9wavefront6targetE1EEEvSY_
    .private_segment_fixed_size: 0
    .sgpr_count:     4
    .sgpr_spill_count: 0
    .symbol:         _ZN7rocprim17ROCPRIM_400000_NS6detail17trampoline_kernelINS0_13select_configILj256ELj13ELNS0_17block_load_methodE3ELS4_3ELS4_3ELNS0_20block_scan_algorithmE0ELj4294967295EEENS1_25partition_config_selectorILNS1_17partition_subalgoE3EjNS0_10empty_typeEbEEZZNS1_14partition_implILS8_3ELb0ES6_jNS0_17counting_iteratorIjlEEPS9_SE_NS0_5tupleIJPjSE_EEENSF_IJSE_SE_EEES9_SG_JZNS1_25segmented_radix_sort_implINS0_14default_configELb0EPKbPbPKlPlN2at6native12_GLOBAL__N_18offset_tEEE10hipError_tPvRmT1_PNSt15iterator_traitsISY_E10value_typeET2_T3_PNSZ_IS14_E10value_typeET4_jRbjT5_S1A_jjP12ihipStream_tbEUljE_EEESV_SW_SX_S14_S18_S1A_T6_T7_T9_mT8_S1C_bDpT10_ENKUlT_T0_E_clISt17integral_constantIbLb1EES1P_EEDaS1K_S1L_EUlS1K_E_NS1_11comp_targetILNS1_3genE2ELNS1_11target_archE906ELNS1_3gpuE6ELNS1_3repE0EEENS1_30default_config_static_selectorELNS0_4arch9wavefront6targetE1EEEvSY_.kd
    .uniform_work_group_size: 1
    .uses_dynamic_stack: false
    .vgpr_count:     0
    .vgpr_spill_count: 0
    .wavefront_size: 64
  - .agpr_count:     0
    .args:
      - .offset:         0
        .size:           152
        .value_kind:     by_value
    .group_segment_fixed_size: 0
    .kernarg_segment_align: 8
    .kernarg_segment_size: 152
    .language:       OpenCL C
    .language_version:
      - 2
      - 0
    .max_flat_workgroup_size: 256
    .name:           _ZN7rocprim17ROCPRIM_400000_NS6detail17trampoline_kernelINS0_13select_configILj256ELj13ELNS0_17block_load_methodE3ELS4_3ELS4_3ELNS0_20block_scan_algorithmE0ELj4294967295EEENS1_25partition_config_selectorILNS1_17partition_subalgoE3EjNS0_10empty_typeEbEEZZNS1_14partition_implILS8_3ELb0ES6_jNS0_17counting_iteratorIjlEEPS9_SE_NS0_5tupleIJPjSE_EEENSF_IJSE_SE_EEES9_SG_JZNS1_25segmented_radix_sort_implINS0_14default_configELb0EPKbPbPKlPlN2at6native12_GLOBAL__N_18offset_tEEE10hipError_tPvRmT1_PNSt15iterator_traitsISY_E10value_typeET2_T3_PNSZ_IS14_E10value_typeET4_jRbjT5_S1A_jjP12ihipStream_tbEUljE_EEESV_SW_SX_S14_S18_S1A_T6_T7_T9_mT8_S1C_bDpT10_ENKUlT_T0_E_clISt17integral_constantIbLb1EES1P_EEDaS1K_S1L_EUlS1K_E_NS1_11comp_targetILNS1_3genE10ELNS1_11target_archE1200ELNS1_3gpuE4ELNS1_3repE0EEENS1_30default_config_static_selectorELNS0_4arch9wavefront6targetE1EEEvSY_
    .private_segment_fixed_size: 0
    .sgpr_count:     4
    .sgpr_spill_count: 0
    .symbol:         _ZN7rocprim17ROCPRIM_400000_NS6detail17trampoline_kernelINS0_13select_configILj256ELj13ELNS0_17block_load_methodE3ELS4_3ELS4_3ELNS0_20block_scan_algorithmE0ELj4294967295EEENS1_25partition_config_selectorILNS1_17partition_subalgoE3EjNS0_10empty_typeEbEEZZNS1_14partition_implILS8_3ELb0ES6_jNS0_17counting_iteratorIjlEEPS9_SE_NS0_5tupleIJPjSE_EEENSF_IJSE_SE_EEES9_SG_JZNS1_25segmented_radix_sort_implINS0_14default_configELb0EPKbPbPKlPlN2at6native12_GLOBAL__N_18offset_tEEE10hipError_tPvRmT1_PNSt15iterator_traitsISY_E10value_typeET2_T3_PNSZ_IS14_E10value_typeET4_jRbjT5_S1A_jjP12ihipStream_tbEUljE_EEESV_SW_SX_S14_S18_S1A_T6_T7_T9_mT8_S1C_bDpT10_ENKUlT_T0_E_clISt17integral_constantIbLb1EES1P_EEDaS1K_S1L_EUlS1K_E_NS1_11comp_targetILNS1_3genE10ELNS1_11target_archE1200ELNS1_3gpuE4ELNS1_3repE0EEENS1_30default_config_static_selectorELNS0_4arch9wavefront6targetE1EEEvSY_.kd
    .uniform_work_group_size: 1
    .uses_dynamic_stack: false
    .vgpr_count:     0
    .vgpr_spill_count: 0
    .wavefront_size: 64
  - .agpr_count:     0
    .args:
      - .offset:         0
        .size:           152
        .value_kind:     by_value
    .group_segment_fixed_size: 0
    .kernarg_segment_align: 8
    .kernarg_segment_size: 152
    .language:       OpenCL C
    .language_version:
      - 2
      - 0
    .max_flat_workgroup_size: 256
    .name:           _ZN7rocprim17ROCPRIM_400000_NS6detail17trampoline_kernelINS0_13select_configILj256ELj13ELNS0_17block_load_methodE3ELS4_3ELS4_3ELNS0_20block_scan_algorithmE0ELj4294967295EEENS1_25partition_config_selectorILNS1_17partition_subalgoE3EjNS0_10empty_typeEbEEZZNS1_14partition_implILS8_3ELb0ES6_jNS0_17counting_iteratorIjlEEPS9_SE_NS0_5tupleIJPjSE_EEENSF_IJSE_SE_EEES9_SG_JZNS1_25segmented_radix_sort_implINS0_14default_configELb0EPKbPbPKlPlN2at6native12_GLOBAL__N_18offset_tEEE10hipError_tPvRmT1_PNSt15iterator_traitsISY_E10value_typeET2_T3_PNSZ_IS14_E10value_typeET4_jRbjT5_S1A_jjP12ihipStream_tbEUljE_EEESV_SW_SX_S14_S18_S1A_T6_T7_T9_mT8_S1C_bDpT10_ENKUlT_T0_E_clISt17integral_constantIbLb1EES1P_EEDaS1K_S1L_EUlS1K_E_NS1_11comp_targetILNS1_3genE9ELNS1_11target_archE1100ELNS1_3gpuE3ELNS1_3repE0EEENS1_30default_config_static_selectorELNS0_4arch9wavefront6targetE1EEEvSY_
    .private_segment_fixed_size: 0
    .sgpr_count:     4
    .sgpr_spill_count: 0
    .symbol:         _ZN7rocprim17ROCPRIM_400000_NS6detail17trampoline_kernelINS0_13select_configILj256ELj13ELNS0_17block_load_methodE3ELS4_3ELS4_3ELNS0_20block_scan_algorithmE0ELj4294967295EEENS1_25partition_config_selectorILNS1_17partition_subalgoE3EjNS0_10empty_typeEbEEZZNS1_14partition_implILS8_3ELb0ES6_jNS0_17counting_iteratorIjlEEPS9_SE_NS0_5tupleIJPjSE_EEENSF_IJSE_SE_EEES9_SG_JZNS1_25segmented_radix_sort_implINS0_14default_configELb0EPKbPbPKlPlN2at6native12_GLOBAL__N_18offset_tEEE10hipError_tPvRmT1_PNSt15iterator_traitsISY_E10value_typeET2_T3_PNSZ_IS14_E10value_typeET4_jRbjT5_S1A_jjP12ihipStream_tbEUljE_EEESV_SW_SX_S14_S18_S1A_T6_T7_T9_mT8_S1C_bDpT10_ENKUlT_T0_E_clISt17integral_constantIbLb1EES1P_EEDaS1K_S1L_EUlS1K_E_NS1_11comp_targetILNS1_3genE9ELNS1_11target_archE1100ELNS1_3gpuE3ELNS1_3repE0EEENS1_30default_config_static_selectorELNS0_4arch9wavefront6targetE1EEEvSY_.kd
    .uniform_work_group_size: 1
    .uses_dynamic_stack: false
    .vgpr_count:     0
    .vgpr_spill_count: 0
    .wavefront_size: 64
  - .agpr_count:     0
    .args:
      - .offset:         0
        .size:           152
        .value_kind:     by_value
    .group_segment_fixed_size: 0
    .kernarg_segment_align: 8
    .kernarg_segment_size: 152
    .language:       OpenCL C
    .language_version:
      - 2
      - 0
    .max_flat_workgroup_size: 256
    .name:           _ZN7rocprim17ROCPRIM_400000_NS6detail17trampoline_kernelINS0_13select_configILj256ELj13ELNS0_17block_load_methodE3ELS4_3ELS4_3ELNS0_20block_scan_algorithmE0ELj4294967295EEENS1_25partition_config_selectorILNS1_17partition_subalgoE3EjNS0_10empty_typeEbEEZZNS1_14partition_implILS8_3ELb0ES6_jNS0_17counting_iteratorIjlEEPS9_SE_NS0_5tupleIJPjSE_EEENSF_IJSE_SE_EEES9_SG_JZNS1_25segmented_radix_sort_implINS0_14default_configELb0EPKbPbPKlPlN2at6native12_GLOBAL__N_18offset_tEEE10hipError_tPvRmT1_PNSt15iterator_traitsISY_E10value_typeET2_T3_PNSZ_IS14_E10value_typeET4_jRbjT5_S1A_jjP12ihipStream_tbEUljE_EEESV_SW_SX_S14_S18_S1A_T6_T7_T9_mT8_S1C_bDpT10_ENKUlT_T0_E_clISt17integral_constantIbLb1EES1P_EEDaS1K_S1L_EUlS1K_E_NS1_11comp_targetILNS1_3genE8ELNS1_11target_archE1030ELNS1_3gpuE2ELNS1_3repE0EEENS1_30default_config_static_selectorELNS0_4arch9wavefront6targetE1EEEvSY_
    .private_segment_fixed_size: 0
    .sgpr_count:     4
    .sgpr_spill_count: 0
    .symbol:         _ZN7rocprim17ROCPRIM_400000_NS6detail17trampoline_kernelINS0_13select_configILj256ELj13ELNS0_17block_load_methodE3ELS4_3ELS4_3ELNS0_20block_scan_algorithmE0ELj4294967295EEENS1_25partition_config_selectorILNS1_17partition_subalgoE3EjNS0_10empty_typeEbEEZZNS1_14partition_implILS8_3ELb0ES6_jNS0_17counting_iteratorIjlEEPS9_SE_NS0_5tupleIJPjSE_EEENSF_IJSE_SE_EEES9_SG_JZNS1_25segmented_radix_sort_implINS0_14default_configELb0EPKbPbPKlPlN2at6native12_GLOBAL__N_18offset_tEEE10hipError_tPvRmT1_PNSt15iterator_traitsISY_E10value_typeET2_T3_PNSZ_IS14_E10value_typeET4_jRbjT5_S1A_jjP12ihipStream_tbEUljE_EEESV_SW_SX_S14_S18_S1A_T6_T7_T9_mT8_S1C_bDpT10_ENKUlT_T0_E_clISt17integral_constantIbLb1EES1P_EEDaS1K_S1L_EUlS1K_E_NS1_11comp_targetILNS1_3genE8ELNS1_11target_archE1030ELNS1_3gpuE2ELNS1_3repE0EEENS1_30default_config_static_selectorELNS0_4arch9wavefront6targetE1EEEvSY_.kd
    .uniform_work_group_size: 1
    .uses_dynamic_stack: false
    .vgpr_count:     0
    .vgpr_spill_count: 0
    .wavefront_size: 64
  - .agpr_count:     0
    .args:
      - .offset:         0
        .size:           144
        .value_kind:     by_value
    .group_segment_fixed_size: 0
    .kernarg_segment_align: 8
    .kernarg_segment_size: 144
    .language:       OpenCL C
    .language_version:
      - 2
      - 0
    .max_flat_workgroup_size: 256
    .name:           _ZN7rocprim17ROCPRIM_400000_NS6detail17trampoline_kernelINS0_13select_configILj256ELj13ELNS0_17block_load_methodE3ELS4_3ELS4_3ELNS0_20block_scan_algorithmE0ELj4294967295EEENS1_25partition_config_selectorILNS1_17partition_subalgoE3EjNS0_10empty_typeEbEEZZNS1_14partition_implILS8_3ELb0ES6_jNS0_17counting_iteratorIjlEEPS9_SE_NS0_5tupleIJPjSE_EEENSF_IJSE_SE_EEES9_SG_JZNS1_25segmented_radix_sort_implINS0_14default_configELb0EPKbPbPKlPlN2at6native12_GLOBAL__N_18offset_tEEE10hipError_tPvRmT1_PNSt15iterator_traitsISY_E10value_typeET2_T3_PNSZ_IS14_E10value_typeET4_jRbjT5_S1A_jjP12ihipStream_tbEUljE_EEESV_SW_SX_S14_S18_S1A_T6_T7_T9_mT8_S1C_bDpT10_ENKUlT_T0_E_clISt17integral_constantIbLb1EES1O_IbLb0EEEEDaS1K_S1L_EUlS1K_E_NS1_11comp_targetILNS1_3genE0ELNS1_11target_archE4294967295ELNS1_3gpuE0ELNS1_3repE0EEENS1_30default_config_static_selectorELNS0_4arch9wavefront6targetE1EEEvSY_
    .private_segment_fixed_size: 0
    .sgpr_count:     4
    .sgpr_spill_count: 0
    .symbol:         _ZN7rocprim17ROCPRIM_400000_NS6detail17trampoline_kernelINS0_13select_configILj256ELj13ELNS0_17block_load_methodE3ELS4_3ELS4_3ELNS0_20block_scan_algorithmE0ELj4294967295EEENS1_25partition_config_selectorILNS1_17partition_subalgoE3EjNS0_10empty_typeEbEEZZNS1_14partition_implILS8_3ELb0ES6_jNS0_17counting_iteratorIjlEEPS9_SE_NS0_5tupleIJPjSE_EEENSF_IJSE_SE_EEES9_SG_JZNS1_25segmented_radix_sort_implINS0_14default_configELb0EPKbPbPKlPlN2at6native12_GLOBAL__N_18offset_tEEE10hipError_tPvRmT1_PNSt15iterator_traitsISY_E10value_typeET2_T3_PNSZ_IS14_E10value_typeET4_jRbjT5_S1A_jjP12ihipStream_tbEUljE_EEESV_SW_SX_S14_S18_S1A_T6_T7_T9_mT8_S1C_bDpT10_ENKUlT_T0_E_clISt17integral_constantIbLb1EES1O_IbLb0EEEEDaS1K_S1L_EUlS1K_E_NS1_11comp_targetILNS1_3genE0ELNS1_11target_archE4294967295ELNS1_3gpuE0ELNS1_3repE0EEENS1_30default_config_static_selectorELNS0_4arch9wavefront6targetE1EEEvSY_.kd
    .uniform_work_group_size: 1
    .uses_dynamic_stack: false
    .vgpr_count:     0
    .vgpr_spill_count: 0
    .wavefront_size: 64
  - .agpr_count:     0
    .args:
      - .offset:         0
        .size:           144
        .value_kind:     by_value
    .group_segment_fixed_size: 0
    .kernarg_segment_align: 8
    .kernarg_segment_size: 144
    .language:       OpenCL C
    .language_version:
      - 2
      - 0
    .max_flat_workgroup_size: 256
    .name:           _ZN7rocprim17ROCPRIM_400000_NS6detail17trampoline_kernelINS0_13select_configILj256ELj13ELNS0_17block_load_methodE3ELS4_3ELS4_3ELNS0_20block_scan_algorithmE0ELj4294967295EEENS1_25partition_config_selectorILNS1_17partition_subalgoE3EjNS0_10empty_typeEbEEZZNS1_14partition_implILS8_3ELb0ES6_jNS0_17counting_iteratorIjlEEPS9_SE_NS0_5tupleIJPjSE_EEENSF_IJSE_SE_EEES9_SG_JZNS1_25segmented_radix_sort_implINS0_14default_configELb0EPKbPbPKlPlN2at6native12_GLOBAL__N_18offset_tEEE10hipError_tPvRmT1_PNSt15iterator_traitsISY_E10value_typeET2_T3_PNSZ_IS14_E10value_typeET4_jRbjT5_S1A_jjP12ihipStream_tbEUljE_EEESV_SW_SX_S14_S18_S1A_T6_T7_T9_mT8_S1C_bDpT10_ENKUlT_T0_E_clISt17integral_constantIbLb1EES1O_IbLb0EEEEDaS1K_S1L_EUlS1K_E_NS1_11comp_targetILNS1_3genE5ELNS1_11target_archE942ELNS1_3gpuE9ELNS1_3repE0EEENS1_30default_config_static_selectorELNS0_4arch9wavefront6targetE1EEEvSY_
    .private_segment_fixed_size: 0
    .sgpr_count:     4
    .sgpr_spill_count: 0
    .symbol:         _ZN7rocprim17ROCPRIM_400000_NS6detail17trampoline_kernelINS0_13select_configILj256ELj13ELNS0_17block_load_methodE3ELS4_3ELS4_3ELNS0_20block_scan_algorithmE0ELj4294967295EEENS1_25partition_config_selectorILNS1_17partition_subalgoE3EjNS0_10empty_typeEbEEZZNS1_14partition_implILS8_3ELb0ES6_jNS0_17counting_iteratorIjlEEPS9_SE_NS0_5tupleIJPjSE_EEENSF_IJSE_SE_EEES9_SG_JZNS1_25segmented_radix_sort_implINS0_14default_configELb0EPKbPbPKlPlN2at6native12_GLOBAL__N_18offset_tEEE10hipError_tPvRmT1_PNSt15iterator_traitsISY_E10value_typeET2_T3_PNSZ_IS14_E10value_typeET4_jRbjT5_S1A_jjP12ihipStream_tbEUljE_EEESV_SW_SX_S14_S18_S1A_T6_T7_T9_mT8_S1C_bDpT10_ENKUlT_T0_E_clISt17integral_constantIbLb1EES1O_IbLb0EEEEDaS1K_S1L_EUlS1K_E_NS1_11comp_targetILNS1_3genE5ELNS1_11target_archE942ELNS1_3gpuE9ELNS1_3repE0EEENS1_30default_config_static_selectorELNS0_4arch9wavefront6targetE1EEEvSY_.kd
    .uniform_work_group_size: 1
    .uses_dynamic_stack: false
    .vgpr_count:     0
    .vgpr_spill_count: 0
    .wavefront_size: 64
  - .agpr_count:     0
    .args:
      - .offset:         0
        .size:           144
        .value_kind:     by_value
    .group_segment_fixed_size: 13324
    .kernarg_segment_align: 8
    .kernarg_segment_size: 144
    .language:       OpenCL C
    .language_version:
      - 2
      - 0
    .max_flat_workgroup_size: 256
    .name:           _ZN7rocprim17ROCPRIM_400000_NS6detail17trampoline_kernelINS0_13select_configILj256ELj13ELNS0_17block_load_methodE3ELS4_3ELS4_3ELNS0_20block_scan_algorithmE0ELj4294967295EEENS1_25partition_config_selectorILNS1_17partition_subalgoE3EjNS0_10empty_typeEbEEZZNS1_14partition_implILS8_3ELb0ES6_jNS0_17counting_iteratorIjlEEPS9_SE_NS0_5tupleIJPjSE_EEENSF_IJSE_SE_EEES9_SG_JZNS1_25segmented_radix_sort_implINS0_14default_configELb0EPKbPbPKlPlN2at6native12_GLOBAL__N_18offset_tEEE10hipError_tPvRmT1_PNSt15iterator_traitsISY_E10value_typeET2_T3_PNSZ_IS14_E10value_typeET4_jRbjT5_S1A_jjP12ihipStream_tbEUljE_EEESV_SW_SX_S14_S18_S1A_T6_T7_T9_mT8_S1C_bDpT10_ENKUlT_T0_E_clISt17integral_constantIbLb1EES1O_IbLb0EEEEDaS1K_S1L_EUlS1K_E_NS1_11comp_targetILNS1_3genE4ELNS1_11target_archE910ELNS1_3gpuE8ELNS1_3repE0EEENS1_30default_config_static_selectorELNS0_4arch9wavefront6targetE1EEEvSY_
    .private_segment_fixed_size: 0
    .sgpr_count:     50
    .sgpr_spill_count: 0
    .symbol:         _ZN7rocprim17ROCPRIM_400000_NS6detail17trampoline_kernelINS0_13select_configILj256ELj13ELNS0_17block_load_methodE3ELS4_3ELS4_3ELNS0_20block_scan_algorithmE0ELj4294967295EEENS1_25partition_config_selectorILNS1_17partition_subalgoE3EjNS0_10empty_typeEbEEZZNS1_14partition_implILS8_3ELb0ES6_jNS0_17counting_iteratorIjlEEPS9_SE_NS0_5tupleIJPjSE_EEENSF_IJSE_SE_EEES9_SG_JZNS1_25segmented_radix_sort_implINS0_14default_configELb0EPKbPbPKlPlN2at6native12_GLOBAL__N_18offset_tEEE10hipError_tPvRmT1_PNSt15iterator_traitsISY_E10value_typeET2_T3_PNSZ_IS14_E10value_typeET4_jRbjT5_S1A_jjP12ihipStream_tbEUljE_EEESV_SW_SX_S14_S18_S1A_T6_T7_T9_mT8_S1C_bDpT10_ENKUlT_T0_E_clISt17integral_constantIbLb1EES1O_IbLb0EEEEDaS1K_S1L_EUlS1K_E_NS1_11comp_targetILNS1_3genE4ELNS1_11target_archE910ELNS1_3gpuE8ELNS1_3repE0EEENS1_30default_config_static_selectorELNS0_4arch9wavefront6targetE1EEEvSY_.kd
    .uniform_work_group_size: 1
    .uses_dynamic_stack: false
    .vgpr_count:     61
    .vgpr_spill_count: 0
    .wavefront_size: 64
  - .agpr_count:     0
    .args:
      - .offset:         0
        .size:           144
        .value_kind:     by_value
    .group_segment_fixed_size: 0
    .kernarg_segment_align: 8
    .kernarg_segment_size: 144
    .language:       OpenCL C
    .language_version:
      - 2
      - 0
    .max_flat_workgroup_size: 256
    .name:           _ZN7rocprim17ROCPRIM_400000_NS6detail17trampoline_kernelINS0_13select_configILj256ELj13ELNS0_17block_load_methodE3ELS4_3ELS4_3ELNS0_20block_scan_algorithmE0ELj4294967295EEENS1_25partition_config_selectorILNS1_17partition_subalgoE3EjNS0_10empty_typeEbEEZZNS1_14partition_implILS8_3ELb0ES6_jNS0_17counting_iteratorIjlEEPS9_SE_NS0_5tupleIJPjSE_EEENSF_IJSE_SE_EEES9_SG_JZNS1_25segmented_radix_sort_implINS0_14default_configELb0EPKbPbPKlPlN2at6native12_GLOBAL__N_18offset_tEEE10hipError_tPvRmT1_PNSt15iterator_traitsISY_E10value_typeET2_T3_PNSZ_IS14_E10value_typeET4_jRbjT5_S1A_jjP12ihipStream_tbEUljE_EEESV_SW_SX_S14_S18_S1A_T6_T7_T9_mT8_S1C_bDpT10_ENKUlT_T0_E_clISt17integral_constantIbLb1EES1O_IbLb0EEEEDaS1K_S1L_EUlS1K_E_NS1_11comp_targetILNS1_3genE3ELNS1_11target_archE908ELNS1_3gpuE7ELNS1_3repE0EEENS1_30default_config_static_selectorELNS0_4arch9wavefront6targetE1EEEvSY_
    .private_segment_fixed_size: 0
    .sgpr_count:     4
    .sgpr_spill_count: 0
    .symbol:         _ZN7rocprim17ROCPRIM_400000_NS6detail17trampoline_kernelINS0_13select_configILj256ELj13ELNS0_17block_load_methodE3ELS4_3ELS4_3ELNS0_20block_scan_algorithmE0ELj4294967295EEENS1_25partition_config_selectorILNS1_17partition_subalgoE3EjNS0_10empty_typeEbEEZZNS1_14partition_implILS8_3ELb0ES6_jNS0_17counting_iteratorIjlEEPS9_SE_NS0_5tupleIJPjSE_EEENSF_IJSE_SE_EEES9_SG_JZNS1_25segmented_radix_sort_implINS0_14default_configELb0EPKbPbPKlPlN2at6native12_GLOBAL__N_18offset_tEEE10hipError_tPvRmT1_PNSt15iterator_traitsISY_E10value_typeET2_T3_PNSZ_IS14_E10value_typeET4_jRbjT5_S1A_jjP12ihipStream_tbEUljE_EEESV_SW_SX_S14_S18_S1A_T6_T7_T9_mT8_S1C_bDpT10_ENKUlT_T0_E_clISt17integral_constantIbLb1EES1O_IbLb0EEEEDaS1K_S1L_EUlS1K_E_NS1_11comp_targetILNS1_3genE3ELNS1_11target_archE908ELNS1_3gpuE7ELNS1_3repE0EEENS1_30default_config_static_selectorELNS0_4arch9wavefront6targetE1EEEvSY_.kd
    .uniform_work_group_size: 1
    .uses_dynamic_stack: false
    .vgpr_count:     0
    .vgpr_spill_count: 0
    .wavefront_size: 64
  - .agpr_count:     0
    .args:
      - .offset:         0
        .size:           144
        .value_kind:     by_value
    .group_segment_fixed_size: 0
    .kernarg_segment_align: 8
    .kernarg_segment_size: 144
    .language:       OpenCL C
    .language_version:
      - 2
      - 0
    .max_flat_workgroup_size: 256
    .name:           _ZN7rocprim17ROCPRIM_400000_NS6detail17trampoline_kernelINS0_13select_configILj256ELj13ELNS0_17block_load_methodE3ELS4_3ELS4_3ELNS0_20block_scan_algorithmE0ELj4294967295EEENS1_25partition_config_selectorILNS1_17partition_subalgoE3EjNS0_10empty_typeEbEEZZNS1_14partition_implILS8_3ELb0ES6_jNS0_17counting_iteratorIjlEEPS9_SE_NS0_5tupleIJPjSE_EEENSF_IJSE_SE_EEES9_SG_JZNS1_25segmented_radix_sort_implINS0_14default_configELb0EPKbPbPKlPlN2at6native12_GLOBAL__N_18offset_tEEE10hipError_tPvRmT1_PNSt15iterator_traitsISY_E10value_typeET2_T3_PNSZ_IS14_E10value_typeET4_jRbjT5_S1A_jjP12ihipStream_tbEUljE_EEESV_SW_SX_S14_S18_S1A_T6_T7_T9_mT8_S1C_bDpT10_ENKUlT_T0_E_clISt17integral_constantIbLb1EES1O_IbLb0EEEEDaS1K_S1L_EUlS1K_E_NS1_11comp_targetILNS1_3genE2ELNS1_11target_archE906ELNS1_3gpuE6ELNS1_3repE0EEENS1_30default_config_static_selectorELNS0_4arch9wavefront6targetE1EEEvSY_
    .private_segment_fixed_size: 0
    .sgpr_count:     4
    .sgpr_spill_count: 0
    .symbol:         _ZN7rocprim17ROCPRIM_400000_NS6detail17trampoline_kernelINS0_13select_configILj256ELj13ELNS0_17block_load_methodE3ELS4_3ELS4_3ELNS0_20block_scan_algorithmE0ELj4294967295EEENS1_25partition_config_selectorILNS1_17partition_subalgoE3EjNS0_10empty_typeEbEEZZNS1_14partition_implILS8_3ELb0ES6_jNS0_17counting_iteratorIjlEEPS9_SE_NS0_5tupleIJPjSE_EEENSF_IJSE_SE_EEES9_SG_JZNS1_25segmented_radix_sort_implINS0_14default_configELb0EPKbPbPKlPlN2at6native12_GLOBAL__N_18offset_tEEE10hipError_tPvRmT1_PNSt15iterator_traitsISY_E10value_typeET2_T3_PNSZ_IS14_E10value_typeET4_jRbjT5_S1A_jjP12ihipStream_tbEUljE_EEESV_SW_SX_S14_S18_S1A_T6_T7_T9_mT8_S1C_bDpT10_ENKUlT_T0_E_clISt17integral_constantIbLb1EES1O_IbLb0EEEEDaS1K_S1L_EUlS1K_E_NS1_11comp_targetILNS1_3genE2ELNS1_11target_archE906ELNS1_3gpuE6ELNS1_3repE0EEENS1_30default_config_static_selectorELNS0_4arch9wavefront6targetE1EEEvSY_.kd
    .uniform_work_group_size: 1
    .uses_dynamic_stack: false
    .vgpr_count:     0
    .vgpr_spill_count: 0
    .wavefront_size: 64
  - .agpr_count:     0
    .args:
      - .offset:         0
        .size:           144
        .value_kind:     by_value
    .group_segment_fixed_size: 0
    .kernarg_segment_align: 8
    .kernarg_segment_size: 144
    .language:       OpenCL C
    .language_version:
      - 2
      - 0
    .max_flat_workgroup_size: 256
    .name:           _ZN7rocprim17ROCPRIM_400000_NS6detail17trampoline_kernelINS0_13select_configILj256ELj13ELNS0_17block_load_methodE3ELS4_3ELS4_3ELNS0_20block_scan_algorithmE0ELj4294967295EEENS1_25partition_config_selectorILNS1_17partition_subalgoE3EjNS0_10empty_typeEbEEZZNS1_14partition_implILS8_3ELb0ES6_jNS0_17counting_iteratorIjlEEPS9_SE_NS0_5tupleIJPjSE_EEENSF_IJSE_SE_EEES9_SG_JZNS1_25segmented_radix_sort_implINS0_14default_configELb0EPKbPbPKlPlN2at6native12_GLOBAL__N_18offset_tEEE10hipError_tPvRmT1_PNSt15iterator_traitsISY_E10value_typeET2_T3_PNSZ_IS14_E10value_typeET4_jRbjT5_S1A_jjP12ihipStream_tbEUljE_EEESV_SW_SX_S14_S18_S1A_T6_T7_T9_mT8_S1C_bDpT10_ENKUlT_T0_E_clISt17integral_constantIbLb1EES1O_IbLb0EEEEDaS1K_S1L_EUlS1K_E_NS1_11comp_targetILNS1_3genE10ELNS1_11target_archE1200ELNS1_3gpuE4ELNS1_3repE0EEENS1_30default_config_static_selectorELNS0_4arch9wavefront6targetE1EEEvSY_
    .private_segment_fixed_size: 0
    .sgpr_count:     4
    .sgpr_spill_count: 0
    .symbol:         _ZN7rocprim17ROCPRIM_400000_NS6detail17trampoline_kernelINS0_13select_configILj256ELj13ELNS0_17block_load_methodE3ELS4_3ELS4_3ELNS0_20block_scan_algorithmE0ELj4294967295EEENS1_25partition_config_selectorILNS1_17partition_subalgoE3EjNS0_10empty_typeEbEEZZNS1_14partition_implILS8_3ELb0ES6_jNS0_17counting_iteratorIjlEEPS9_SE_NS0_5tupleIJPjSE_EEENSF_IJSE_SE_EEES9_SG_JZNS1_25segmented_radix_sort_implINS0_14default_configELb0EPKbPbPKlPlN2at6native12_GLOBAL__N_18offset_tEEE10hipError_tPvRmT1_PNSt15iterator_traitsISY_E10value_typeET2_T3_PNSZ_IS14_E10value_typeET4_jRbjT5_S1A_jjP12ihipStream_tbEUljE_EEESV_SW_SX_S14_S18_S1A_T6_T7_T9_mT8_S1C_bDpT10_ENKUlT_T0_E_clISt17integral_constantIbLb1EES1O_IbLb0EEEEDaS1K_S1L_EUlS1K_E_NS1_11comp_targetILNS1_3genE10ELNS1_11target_archE1200ELNS1_3gpuE4ELNS1_3repE0EEENS1_30default_config_static_selectorELNS0_4arch9wavefront6targetE1EEEvSY_.kd
    .uniform_work_group_size: 1
    .uses_dynamic_stack: false
    .vgpr_count:     0
    .vgpr_spill_count: 0
    .wavefront_size: 64
  - .agpr_count:     0
    .args:
      - .offset:         0
        .size:           144
        .value_kind:     by_value
    .group_segment_fixed_size: 0
    .kernarg_segment_align: 8
    .kernarg_segment_size: 144
    .language:       OpenCL C
    .language_version:
      - 2
      - 0
    .max_flat_workgroup_size: 256
    .name:           _ZN7rocprim17ROCPRIM_400000_NS6detail17trampoline_kernelINS0_13select_configILj256ELj13ELNS0_17block_load_methodE3ELS4_3ELS4_3ELNS0_20block_scan_algorithmE0ELj4294967295EEENS1_25partition_config_selectorILNS1_17partition_subalgoE3EjNS0_10empty_typeEbEEZZNS1_14partition_implILS8_3ELb0ES6_jNS0_17counting_iteratorIjlEEPS9_SE_NS0_5tupleIJPjSE_EEENSF_IJSE_SE_EEES9_SG_JZNS1_25segmented_radix_sort_implINS0_14default_configELb0EPKbPbPKlPlN2at6native12_GLOBAL__N_18offset_tEEE10hipError_tPvRmT1_PNSt15iterator_traitsISY_E10value_typeET2_T3_PNSZ_IS14_E10value_typeET4_jRbjT5_S1A_jjP12ihipStream_tbEUljE_EEESV_SW_SX_S14_S18_S1A_T6_T7_T9_mT8_S1C_bDpT10_ENKUlT_T0_E_clISt17integral_constantIbLb1EES1O_IbLb0EEEEDaS1K_S1L_EUlS1K_E_NS1_11comp_targetILNS1_3genE9ELNS1_11target_archE1100ELNS1_3gpuE3ELNS1_3repE0EEENS1_30default_config_static_selectorELNS0_4arch9wavefront6targetE1EEEvSY_
    .private_segment_fixed_size: 0
    .sgpr_count:     4
    .sgpr_spill_count: 0
    .symbol:         _ZN7rocprim17ROCPRIM_400000_NS6detail17trampoline_kernelINS0_13select_configILj256ELj13ELNS0_17block_load_methodE3ELS4_3ELS4_3ELNS0_20block_scan_algorithmE0ELj4294967295EEENS1_25partition_config_selectorILNS1_17partition_subalgoE3EjNS0_10empty_typeEbEEZZNS1_14partition_implILS8_3ELb0ES6_jNS0_17counting_iteratorIjlEEPS9_SE_NS0_5tupleIJPjSE_EEENSF_IJSE_SE_EEES9_SG_JZNS1_25segmented_radix_sort_implINS0_14default_configELb0EPKbPbPKlPlN2at6native12_GLOBAL__N_18offset_tEEE10hipError_tPvRmT1_PNSt15iterator_traitsISY_E10value_typeET2_T3_PNSZ_IS14_E10value_typeET4_jRbjT5_S1A_jjP12ihipStream_tbEUljE_EEESV_SW_SX_S14_S18_S1A_T6_T7_T9_mT8_S1C_bDpT10_ENKUlT_T0_E_clISt17integral_constantIbLb1EES1O_IbLb0EEEEDaS1K_S1L_EUlS1K_E_NS1_11comp_targetILNS1_3genE9ELNS1_11target_archE1100ELNS1_3gpuE3ELNS1_3repE0EEENS1_30default_config_static_selectorELNS0_4arch9wavefront6targetE1EEEvSY_.kd
    .uniform_work_group_size: 1
    .uses_dynamic_stack: false
    .vgpr_count:     0
    .vgpr_spill_count: 0
    .wavefront_size: 64
  - .agpr_count:     0
    .args:
      - .offset:         0
        .size:           144
        .value_kind:     by_value
    .group_segment_fixed_size: 0
    .kernarg_segment_align: 8
    .kernarg_segment_size: 144
    .language:       OpenCL C
    .language_version:
      - 2
      - 0
    .max_flat_workgroup_size: 256
    .name:           _ZN7rocprim17ROCPRIM_400000_NS6detail17trampoline_kernelINS0_13select_configILj256ELj13ELNS0_17block_load_methodE3ELS4_3ELS4_3ELNS0_20block_scan_algorithmE0ELj4294967295EEENS1_25partition_config_selectorILNS1_17partition_subalgoE3EjNS0_10empty_typeEbEEZZNS1_14partition_implILS8_3ELb0ES6_jNS0_17counting_iteratorIjlEEPS9_SE_NS0_5tupleIJPjSE_EEENSF_IJSE_SE_EEES9_SG_JZNS1_25segmented_radix_sort_implINS0_14default_configELb0EPKbPbPKlPlN2at6native12_GLOBAL__N_18offset_tEEE10hipError_tPvRmT1_PNSt15iterator_traitsISY_E10value_typeET2_T3_PNSZ_IS14_E10value_typeET4_jRbjT5_S1A_jjP12ihipStream_tbEUljE_EEESV_SW_SX_S14_S18_S1A_T6_T7_T9_mT8_S1C_bDpT10_ENKUlT_T0_E_clISt17integral_constantIbLb1EES1O_IbLb0EEEEDaS1K_S1L_EUlS1K_E_NS1_11comp_targetILNS1_3genE8ELNS1_11target_archE1030ELNS1_3gpuE2ELNS1_3repE0EEENS1_30default_config_static_selectorELNS0_4arch9wavefront6targetE1EEEvSY_
    .private_segment_fixed_size: 0
    .sgpr_count:     4
    .sgpr_spill_count: 0
    .symbol:         _ZN7rocprim17ROCPRIM_400000_NS6detail17trampoline_kernelINS0_13select_configILj256ELj13ELNS0_17block_load_methodE3ELS4_3ELS4_3ELNS0_20block_scan_algorithmE0ELj4294967295EEENS1_25partition_config_selectorILNS1_17partition_subalgoE3EjNS0_10empty_typeEbEEZZNS1_14partition_implILS8_3ELb0ES6_jNS0_17counting_iteratorIjlEEPS9_SE_NS0_5tupleIJPjSE_EEENSF_IJSE_SE_EEES9_SG_JZNS1_25segmented_radix_sort_implINS0_14default_configELb0EPKbPbPKlPlN2at6native12_GLOBAL__N_18offset_tEEE10hipError_tPvRmT1_PNSt15iterator_traitsISY_E10value_typeET2_T3_PNSZ_IS14_E10value_typeET4_jRbjT5_S1A_jjP12ihipStream_tbEUljE_EEESV_SW_SX_S14_S18_S1A_T6_T7_T9_mT8_S1C_bDpT10_ENKUlT_T0_E_clISt17integral_constantIbLb1EES1O_IbLb0EEEEDaS1K_S1L_EUlS1K_E_NS1_11comp_targetILNS1_3genE8ELNS1_11target_archE1030ELNS1_3gpuE2ELNS1_3repE0EEENS1_30default_config_static_selectorELNS0_4arch9wavefront6targetE1EEEvSY_.kd
    .uniform_work_group_size: 1
    .uses_dynamic_stack: false
    .vgpr_count:     0
    .vgpr_spill_count: 0
    .wavefront_size: 64
  - .agpr_count:     0
    .args:
      - .offset:         0
        .size:           152
        .value_kind:     by_value
    .group_segment_fixed_size: 0
    .kernarg_segment_align: 8
    .kernarg_segment_size: 152
    .language:       OpenCL C
    .language_version:
      - 2
      - 0
    .max_flat_workgroup_size: 256
    .name:           _ZN7rocprim17ROCPRIM_400000_NS6detail17trampoline_kernelINS0_13select_configILj256ELj13ELNS0_17block_load_methodE3ELS4_3ELS4_3ELNS0_20block_scan_algorithmE0ELj4294967295EEENS1_25partition_config_selectorILNS1_17partition_subalgoE3EjNS0_10empty_typeEbEEZZNS1_14partition_implILS8_3ELb0ES6_jNS0_17counting_iteratorIjlEEPS9_SE_NS0_5tupleIJPjSE_EEENSF_IJSE_SE_EEES9_SG_JZNS1_25segmented_radix_sort_implINS0_14default_configELb0EPKbPbPKlPlN2at6native12_GLOBAL__N_18offset_tEEE10hipError_tPvRmT1_PNSt15iterator_traitsISY_E10value_typeET2_T3_PNSZ_IS14_E10value_typeET4_jRbjT5_S1A_jjP12ihipStream_tbEUljE_EEESV_SW_SX_S14_S18_S1A_T6_T7_T9_mT8_S1C_bDpT10_ENKUlT_T0_E_clISt17integral_constantIbLb0EES1O_IbLb1EEEEDaS1K_S1L_EUlS1K_E_NS1_11comp_targetILNS1_3genE0ELNS1_11target_archE4294967295ELNS1_3gpuE0ELNS1_3repE0EEENS1_30default_config_static_selectorELNS0_4arch9wavefront6targetE1EEEvSY_
    .private_segment_fixed_size: 0
    .sgpr_count:     4
    .sgpr_spill_count: 0
    .symbol:         _ZN7rocprim17ROCPRIM_400000_NS6detail17trampoline_kernelINS0_13select_configILj256ELj13ELNS0_17block_load_methodE3ELS4_3ELS4_3ELNS0_20block_scan_algorithmE0ELj4294967295EEENS1_25partition_config_selectorILNS1_17partition_subalgoE3EjNS0_10empty_typeEbEEZZNS1_14partition_implILS8_3ELb0ES6_jNS0_17counting_iteratorIjlEEPS9_SE_NS0_5tupleIJPjSE_EEENSF_IJSE_SE_EEES9_SG_JZNS1_25segmented_radix_sort_implINS0_14default_configELb0EPKbPbPKlPlN2at6native12_GLOBAL__N_18offset_tEEE10hipError_tPvRmT1_PNSt15iterator_traitsISY_E10value_typeET2_T3_PNSZ_IS14_E10value_typeET4_jRbjT5_S1A_jjP12ihipStream_tbEUljE_EEESV_SW_SX_S14_S18_S1A_T6_T7_T9_mT8_S1C_bDpT10_ENKUlT_T0_E_clISt17integral_constantIbLb0EES1O_IbLb1EEEEDaS1K_S1L_EUlS1K_E_NS1_11comp_targetILNS1_3genE0ELNS1_11target_archE4294967295ELNS1_3gpuE0ELNS1_3repE0EEENS1_30default_config_static_selectorELNS0_4arch9wavefront6targetE1EEEvSY_.kd
    .uniform_work_group_size: 1
    .uses_dynamic_stack: false
    .vgpr_count:     0
    .vgpr_spill_count: 0
    .wavefront_size: 64
  - .agpr_count:     0
    .args:
      - .offset:         0
        .size:           152
        .value_kind:     by_value
    .group_segment_fixed_size: 0
    .kernarg_segment_align: 8
    .kernarg_segment_size: 152
    .language:       OpenCL C
    .language_version:
      - 2
      - 0
    .max_flat_workgroup_size: 256
    .name:           _ZN7rocprim17ROCPRIM_400000_NS6detail17trampoline_kernelINS0_13select_configILj256ELj13ELNS0_17block_load_methodE3ELS4_3ELS4_3ELNS0_20block_scan_algorithmE0ELj4294967295EEENS1_25partition_config_selectorILNS1_17partition_subalgoE3EjNS0_10empty_typeEbEEZZNS1_14partition_implILS8_3ELb0ES6_jNS0_17counting_iteratorIjlEEPS9_SE_NS0_5tupleIJPjSE_EEENSF_IJSE_SE_EEES9_SG_JZNS1_25segmented_radix_sort_implINS0_14default_configELb0EPKbPbPKlPlN2at6native12_GLOBAL__N_18offset_tEEE10hipError_tPvRmT1_PNSt15iterator_traitsISY_E10value_typeET2_T3_PNSZ_IS14_E10value_typeET4_jRbjT5_S1A_jjP12ihipStream_tbEUljE_EEESV_SW_SX_S14_S18_S1A_T6_T7_T9_mT8_S1C_bDpT10_ENKUlT_T0_E_clISt17integral_constantIbLb0EES1O_IbLb1EEEEDaS1K_S1L_EUlS1K_E_NS1_11comp_targetILNS1_3genE5ELNS1_11target_archE942ELNS1_3gpuE9ELNS1_3repE0EEENS1_30default_config_static_selectorELNS0_4arch9wavefront6targetE1EEEvSY_
    .private_segment_fixed_size: 0
    .sgpr_count:     4
    .sgpr_spill_count: 0
    .symbol:         _ZN7rocprim17ROCPRIM_400000_NS6detail17trampoline_kernelINS0_13select_configILj256ELj13ELNS0_17block_load_methodE3ELS4_3ELS4_3ELNS0_20block_scan_algorithmE0ELj4294967295EEENS1_25partition_config_selectorILNS1_17partition_subalgoE3EjNS0_10empty_typeEbEEZZNS1_14partition_implILS8_3ELb0ES6_jNS0_17counting_iteratorIjlEEPS9_SE_NS0_5tupleIJPjSE_EEENSF_IJSE_SE_EEES9_SG_JZNS1_25segmented_radix_sort_implINS0_14default_configELb0EPKbPbPKlPlN2at6native12_GLOBAL__N_18offset_tEEE10hipError_tPvRmT1_PNSt15iterator_traitsISY_E10value_typeET2_T3_PNSZ_IS14_E10value_typeET4_jRbjT5_S1A_jjP12ihipStream_tbEUljE_EEESV_SW_SX_S14_S18_S1A_T6_T7_T9_mT8_S1C_bDpT10_ENKUlT_T0_E_clISt17integral_constantIbLb0EES1O_IbLb1EEEEDaS1K_S1L_EUlS1K_E_NS1_11comp_targetILNS1_3genE5ELNS1_11target_archE942ELNS1_3gpuE9ELNS1_3repE0EEENS1_30default_config_static_selectorELNS0_4arch9wavefront6targetE1EEEvSY_.kd
    .uniform_work_group_size: 1
    .uses_dynamic_stack: false
    .vgpr_count:     0
    .vgpr_spill_count: 0
    .wavefront_size: 64
  - .agpr_count:     0
    .args:
      - .offset:         0
        .size:           152
        .value_kind:     by_value
    .group_segment_fixed_size: 13324
    .kernarg_segment_align: 8
    .kernarg_segment_size: 152
    .language:       OpenCL C
    .language_version:
      - 2
      - 0
    .max_flat_workgroup_size: 256
    .name:           _ZN7rocprim17ROCPRIM_400000_NS6detail17trampoline_kernelINS0_13select_configILj256ELj13ELNS0_17block_load_methodE3ELS4_3ELS4_3ELNS0_20block_scan_algorithmE0ELj4294967295EEENS1_25partition_config_selectorILNS1_17partition_subalgoE3EjNS0_10empty_typeEbEEZZNS1_14partition_implILS8_3ELb0ES6_jNS0_17counting_iteratorIjlEEPS9_SE_NS0_5tupleIJPjSE_EEENSF_IJSE_SE_EEES9_SG_JZNS1_25segmented_radix_sort_implINS0_14default_configELb0EPKbPbPKlPlN2at6native12_GLOBAL__N_18offset_tEEE10hipError_tPvRmT1_PNSt15iterator_traitsISY_E10value_typeET2_T3_PNSZ_IS14_E10value_typeET4_jRbjT5_S1A_jjP12ihipStream_tbEUljE_EEESV_SW_SX_S14_S18_S1A_T6_T7_T9_mT8_S1C_bDpT10_ENKUlT_T0_E_clISt17integral_constantIbLb0EES1O_IbLb1EEEEDaS1K_S1L_EUlS1K_E_NS1_11comp_targetILNS1_3genE4ELNS1_11target_archE910ELNS1_3gpuE8ELNS1_3repE0EEENS1_30default_config_static_selectorELNS0_4arch9wavefront6targetE1EEEvSY_
    .private_segment_fixed_size: 0
    .sgpr_count:     48
    .sgpr_spill_count: 0
    .symbol:         _ZN7rocprim17ROCPRIM_400000_NS6detail17trampoline_kernelINS0_13select_configILj256ELj13ELNS0_17block_load_methodE3ELS4_3ELS4_3ELNS0_20block_scan_algorithmE0ELj4294967295EEENS1_25partition_config_selectorILNS1_17partition_subalgoE3EjNS0_10empty_typeEbEEZZNS1_14partition_implILS8_3ELb0ES6_jNS0_17counting_iteratorIjlEEPS9_SE_NS0_5tupleIJPjSE_EEENSF_IJSE_SE_EEES9_SG_JZNS1_25segmented_radix_sort_implINS0_14default_configELb0EPKbPbPKlPlN2at6native12_GLOBAL__N_18offset_tEEE10hipError_tPvRmT1_PNSt15iterator_traitsISY_E10value_typeET2_T3_PNSZ_IS14_E10value_typeET4_jRbjT5_S1A_jjP12ihipStream_tbEUljE_EEESV_SW_SX_S14_S18_S1A_T6_T7_T9_mT8_S1C_bDpT10_ENKUlT_T0_E_clISt17integral_constantIbLb0EES1O_IbLb1EEEEDaS1K_S1L_EUlS1K_E_NS1_11comp_targetILNS1_3genE4ELNS1_11target_archE910ELNS1_3gpuE8ELNS1_3repE0EEENS1_30default_config_static_selectorELNS0_4arch9wavefront6targetE1EEEvSY_.kd
    .uniform_work_group_size: 1
    .uses_dynamic_stack: false
    .vgpr_count:     64
    .vgpr_spill_count: 0
    .wavefront_size: 64
  - .agpr_count:     0
    .args:
      - .offset:         0
        .size:           152
        .value_kind:     by_value
    .group_segment_fixed_size: 0
    .kernarg_segment_align: 8
    .kernarg_segment_size: 152
    .language:       OpenCL C
    .language_version:
      - 2
      - 0
    .max_flat_workgroup_size: 256
    .name:           _ZN7rocprim17ROCPRIM_400000_NS6detail17trampoline_kernelINS0_13select_configILj256ELj13ELNS0_17block_load_methodE3ELS4_3ELS4_3ELNS0_20block_scan_algorithmE0ELj4294967295EEENS1_25partition_config_selectorILNS1_17partition_subalgoE3EjNS0_10empty_typeEbEEZZNS1_14partition_implILS8_3ELb0ES6_jNS0_17counting_iteratorIjlEEPS9_SE_NS0_5tupleIJPjSE_EEENSF_IJSE_SE_EEES9_SG_JZNS1_25segmented_radix_sort_implINS0_14default_configELb0EPKbPbPKlPlN2at6native12_GLOBAL__N_18offset_tEEE10hipError_tPvRmT1_PNSt15iterator_traitsISY_E10value_typeET2_T3_PNSZ_IS14_E10value_typeET4_jRbjT5_S1A_jjP12ihipStream_tbEUljE_EEESV_SW_SX_S14_S18_S1A_T6_T7_T9_mT8_S1C_bDpT10_ENKUlT_T0_E_clISt17integral_constantIbLb0EES1O_IbLb1EEEEDaS1K_S1L_EUlS1K_E_NS1_11comp_targetILNS1_3genE3ELNS1_11target_archE908ELNS1_3gpuE7ELNS1_3repE0EEENS1_30default_config_static_selectorELNS0_4arch9wavefront6targetE1EEEvSY_
    .private_segment_fixed_size: 0
    .sgpr_count:     4
    .sgpr_spill_count: 0
    .symbol:         _ZN7rocprim17ROCPRIM_400000_NS6detail17trampoline_kernelINS0_13select_configILj256ELj13ELNS0_17block_load_methodE3ELS4_3ELS4_3ELNS0_20block_scan_algorithmE0ELj4294967295EEENS1_25partition_config_selectorILNS1_17partition_subalgoE3EjNS0_10empty_typeEbEEZZNS1_14partition_implILS8_3ELb0ES6_jNS0_17counting_iteratorIjlEEPS9_SE_NS0_5tupleIJPjSE_EEENSF_IJSE_SE_EEES9_SG_JZNS1_25segmented_radix_sort_implINS0_14default_configELb0EPKbPbPKlPlN2at6native12_GLOBAL__N_18offset_tEEE10hipError_tPvRmT1_PNSt15iterator_traitsISY_E10value_typeET2_T3_PNSZ_IS14_E10value_typeET4_jRbjT5_S1A_jjP12ihipStream_tbEUljE_EEESV_SW_SX_S14_S18_S1A_T6_T7_T9_mT8_S1C_bDpT10_ENKUlT_T0_E_clISt17integral_constantIbLb0EES1O_IbLb1EEEEDaS1K_S1L_EUlS1K_E_NS1_11comp_targetILNS1_3genE3ELNS1_11target_archE908ELNS1_3gpuE7ELNS1_3repE0EEENS1_30default_config_static_selectorELNS0_4arch9wavefront6targetE1EEEvSY_.kd
    .uniform_work_group_size: 1
    .uses_dynamic_stack: false
    .vgpr_count:     0
    .vgpr_spill_count: 0
    .wavefront_size: 64
  - .agpr_count:     0
    .args:
      - .offset:         0
        .size:           152
        .value_kind:     by_value
    .group_segment_fixed_size: 0
    .kernarg_segment_align: 8
    .kernarg_segment_size: 152
    .language:       OpenCL C
    .language_version:
      - 2
      - 0
    .max_flat_workgroup_size: 256
    .name:           _ZN7rocprim17ROCPRIM_400000_NS6detail17trampoline_kernelINS0_13select_configILj256ELj13ELNS0_17block_load_methodE3ELS4_3ELS4_3ELNS0_20block_scan_algorithmE0ELj4294967295EEENS1_25partition_config_selectorILNS1_17partition_subalgoE3EjNS0_10empty_typeEbEEZZNS1_14partition_implILS8_3ELb0ES6_jNS0_17counting_iteratorIjlEEPS9_SE_NS0_5tupleIJPjSE_EEENSF_IJSE_SE_EEES9_SG_JZNS1_25segmented_radix_sort_implINS0_14default_configELb0EPKbPbPKlPlN2at6native12_GLOBAL__N_18offset_tEEE10hipError_tPvRmT1_PNSt15iterator_traitsISY_E10value_typeET2_T3_PNSZ_IS14_E10value_typeET4_jRbjT5_S1A_jjP12ihipStream_tbEUljE_EEESV_SW_SX_S14_S18_S1A_T6_T7_T9_mT8_S1C_bDpT10_ENKUlT_T0_E_clISt17integral_constantIbLb0EES1O_IbLb1EEEEDaS1K_S1L_EUlS1K_E_NS1_11comp_targetILNS1_3genE2ELNS1_11target_archE906ELNS1_3gpuE6ELNS1_3repE0EEENS1_30default_config_static_selectorELNS0_4arch9wavefront6targetE1EEEvSY_
    .private_segment_fixed_size: 0
    .sgpr_count:     4
    .sgpr_spill_count: 0
    .symbol:         _ZN7rocprim17ROCPRIM_400000_NS6detail17trampoline_kernelINS0_13select_configILj256ELj13ELNS0_17block_load_methodE3ELS4_3ELS4_3ELNS0_20block_scan_algorithmE0ELj4294967295EEENS1_25partition_config_selectorILNS1_17partition_subalgoE3EjNS0_10empty_typeEbEEZZNS1_14partition_implILS8_3ELb0ES6_jNS0_17counting_iteratorIjlEEPS9_SE_NS0_5tupleIJPjSE_EEENSF_IJSE_SE_EEES9_SG_JZNS1_25segmented_radix_sort_implINS0_14default_configELb0EPKbPbPKlPlN2at6native12_GLOBAL__N_18offset_tEEE10hipError_tPvRmT1_PNSt15iterator_traitsISY_E10value_typeET2_T3_PNSZ_IS14_E10value_typeET4_jRbjT5_S1A_jjP12ihipStream_tbEUljE_EEESV_SW_SX_S14_S18_S1A_T6_T7_T9_mT8_S1C_bDpT10_ENKUlT_T0_E_clISt17integral_constantIbLb0EES1O_IbLb1EEEEDaS1K_S1L_EUlS1K_E_NS1_11comp_targetILNS1_3genE2ELNS1_11target_archE906ELNS1_3gpuE6ELNS1_3repE0EEENS1_30default_config_static_selectorELNS0_4arch9wavefront6targetE1EEEvSY_.kd
    .uniform_work_group_size: 1
    .uses_dynamic_stack: false
    .vgpr_count:     0
    .vgpr_spill_count: 0
    .wavefront_size: 64
  - .agpr_count:     0
    .args:
      - .offset:         0
        .size:           152
        .value_kind:     by_value
    .group_segment_fixed_size: 0
    .kernarg_segment_align: 8
    .kernarg_segment_size: 152
    .language:       OpenCL C
    .language_version:
      - 2
      - 0
    .max_flat_workgroup_size: 256
    .name:           _ZN7rocprim17ROCPRIM_400000_NS6detail17trampoline_kernelINS0_13select_configILj256ELj13ELNS0_17block_load_methodE3ELS4_3ELS4_3ELNS0_20block_scan_algorithmE0ELj4294967295EEENS1_25partition_config_selectorILNS1_17partition_subalgoE3EjNS0_10empty_typeEbEEZZNS1_14partition_implILS8_3ELb0ES6_jNS0_17counting_iteratorIjlEEPS9_SE_NS0_5tupleIJPjSE_EEENSF_IJSE_SE_EEES9_SG_JZNS1_25segmented_radix_sort_implINS0_14default_configELb0EPKbPbPKlPlN2at6native12_GLOBAL__N_18offset_tEEE10hipError_tPvRmT1_PNSt15iterator_traitsISY_E10value_typeET2_T3_PNSZ_IS14_E10value_typeET4_jRbjT5_S1A_jjP12ihipStream_tbEUljE_EEESV_SW_SX_S14_S18_S1A_T6_T7_T9_mT8_S1C_bDpT10_ENKUlT_T0_E_clISt17integral_constantIbLb0EES1O_IbLb1EEEEDaS1K_S1L_EUlS1K_E_NS1_11comp_targetILNS1_3genE10ELNS1_11target_archE1200ELNS1_3gpuE4ELNS1_3repE0EEENS1_30default_config_static_selectorELNS0_4arch9wavefront6targetE1EEEvSY_
    .private_segment_fixed_size: 0
    .sgpr_count:     4
    .sgpr_spill_count: 0
    .symbol:         _ZN7rocprim17ROCPRIM_400000_NS6detail17trampoline_kernelINS0_13select_configILj256ELj13ELNS0_17block_load_methodE3ELS4_3ELS4_3ELNS0_20block_scan_algorithmE0ELj4294967295EEENS1_25partition_config_selectorILNS1_17partition_subalgoE3EjNS0_10empty_typeEbEEZZNS1_14partition_implILS8_3ELb0ES6_jNS0_17counting_iteratorIjlEEPS9_SE_NS0_5tupleIJPjSE_EEENSF_IJSE_SE_EEES9_SG_JZNS1_25segmented_radix_sort_implINS0_14default_configELb0EPKbPbPKlPlN2at6native12_GLOBAL__N_18offset_tEEE10hipError_tPvRmT1_PNSt15iterator_traitsISY_E10value_typeET2_T3_PNSZ_IS14_E10value_typeET4_jRbjT5_S1A_jjP12ihipStream_tbEUljE_EEESV_SW_SX_S14_S18_S1A_T6_T7_T9_mT8_S1C_bDpT10_ENKUlT_T0_E_clISt17integral_constantIbLb0EES1O_IbLb1EEEEDaS1K_S1L_EUlS1K_E_NS1_11comp_targetILNS1_3genE10ELNS1_11target_archE1200ELNS1_3gpuE4ELNS1_3repE0EEENS1_30default_config_static_selectorELNS0_4arch9wavefront6targetE1EEEvSY_.kd
    .uniform_work_group_size: 1
    .uses_dynamic_stack: false
    .vgpr_count:     0
    .vgpr_spill_count: 0
    .wavefront_size: 64
  - .agpr_count:     0
    .args:
      - .offset:         0
        .size:           152
        .value_kind:     by_value
    .group_segment_fixed_size: 0
    .kernarg_segment_align: 8
    .kernarg_segment_size: 152
    .language:       OpenCL C
    .language_version:
      - 2
      - 0
    .max_flat_workgroup_size: 256
    .name:           _ZN7rocprim17ROCPRIM_400000_NS6detail17trampoline_kernelINS0_13select_configILj256ELj13ELNS0_17block_load_methodE3ELS4_3ELS4_3ELNS0_20block_scan_algorithmE0ELj4294967295EEENS1_25partition_config_selectorILNS1_17partition_subalgoE3EjNS0_10empty_typeEbEEZZNS1_14partition_implILS8_3ELb0ES6_jNS0_17counting_iteratorIjlEEPS9_SE_NS0_5tupleIJPjSE_EEENSF_IJSE_SE_EEES9_SG_JZNS1_25segmented_radix_sort_implINS0_14default_configELb0EPKbPbPKlPlN2at6native12_GLOBAL__N_18offset_tEEE10hipError_tPvRmT1_PNSt15iterator_traitsISY_E10value_typeET2_T3_PNSZ_IS14_E10value_typeET4_jRbjT5_S1A_jjP12ihipStream_tbEUljE_EEESV_SW_SX_S14_S18_S1A_T6_T7_T9_mT8_S1C_bDpT10_ENKUlT_T0_E_clISt17integral_constantIbLb0EES1O_IbLb1EEEEDaS1K_S1L_EUlS1K_E_NS1_11comp_targetILNS1_3genE9ELNS1_11target_archE1100ELNS1_3gpuE3ELNS1_3repE0EEENS1_30default_config_static_selectorELNS0_4arch9wavefront6targetE1EEEvSY_
    .private_segment_fixed_size: 0
    .sgpr_count:     4
    .sgpr_spill_count: 0
    .symbol:         _ZN7rocprim17ROCPRIM_400000_NS6detail17trampoline_kernelINS0_13select_configILj256ELj13ELNS0_17block_load_methodE3ELS4_3ELS4_3ELNS0_20block_scan_algorithmE0ELj4294967295EEENS1_25partition_config_selectorILNS1_17partition_subalgoE3EjNS0_10empty_typeEbEEZZNS1_14partition_implILS8_3ELb0ES6_jNS0_17counting_iteratorIjlEEPS9_SE_NS0_5tupleIJPjSE_EEENSF_IJSE_SE_EEES9_SG_JZNS1_25segmented_radix_sort_implINS0_14default_configELb0EPKbPbPKlPlN2at6native12_GLOBAL__N_18offset_tEEE10hipError_tPvRmT1_PNSt15iterator_traitsISY_E10value_typeET2_T3_PNSZ_IS14_E10value_typeET4_jRbjT5_S1A_jjP12ihipStream_tbEUljE_EEESV_SW_SX_S14_S18_S1A_T6_T7_T9_mT8_S1C_bDpT10_ENKUlT_T0_E_clISt17integral_constantIbLb0EES1O_IbLb1EEEEDaS1K_S1L_EUlS1K_E_NS1_11comp_targetILNS1_3genE9ELNS1_11target_archE1100ELNS1_3gpuE3ELNS1_3repE0EEENS1_30default_config_static_selectorELNS0_4arch9wavefront6targetE1EEEvSY_.kd
    .uniform_work_group_size: 1
    .uses_dynamic_stack: false
    .vgpr_count:     0
    .vgpr_spill_count: 0
    .wavefront_size: 64
  - .agpr_count:     0
    .args:
      - .offset:         0
        .size:           152
        .value_kind:     by_value
    .group_segment_fixed_size: 0
    .kernarg_segment_align: 8
    .kernarg_segment_size: 152
    .language:       OpenCL C
    .language_version:
      - 2
      - 0
    .max_flat_workgroup_size: 256
    .name:           _ZN7rocprim17ROCPRIM_400000_NS6detail17trampoline_kernelINS0_13select_configILj256ELj13ELNS0_17block_load_methodE3ELS4_3ELS4_3ELNS0_20block_scan_algorithmE0ELj4294967295EEENS1_25partition_config_selectorILNS1_17partition_subalgoE3EjNS0_10empty_typeEbEEZZNS1_14partition_implILS8_3ELb0ES6_jNS0_17counting_iteratorIjlEEPS9_SE_NS0_5tupleIJPjSE_EEENSF_IJSE_SE_EEES9_SG_JZNS1_25segmented_radix_sort_implINS0_14default_configELb0EPKbPbPKlPlN2at6native12_GLOBAL__N_18offset_tEEE10hipError_tPvRmT1_PNSt15iterator_traitsISY_E10value_typeET2_T3_PNSZ_IS14_E10value_typeET4_jRbjT5_S1A_jjP12ihipStream_tbEUljE_EEESV_SW_SX_S14_S18_S1A_T6_T7_T9_mT8_S1C_bDpT10_ENKUlT_T0_E_clISt17integral_constantIbLb0EES1O_IbLb1EEEEDaS1K_S1L_EUlS1K_E_NS1_11comp_targetILNS1_3genE8ELNS1_11target_archE1030ELNS1_3gpuE2ELNS1_3repE0EEENS1_30default_config_static_selectorELNS0_4arch9wavefront6targetE1EEEvSY_
    .private_segment_fixed_size: 0
    .sgpr_count:     4
    .sgpr_spill_count: 0
    .symbol:         _ZN7rocprim17ROCPRIM_400000_NS6detail17trampoline_kernelINS0_13select_configILj256ELj13ELNS0_17block_load_methodE3ELS4_3ELS4_3ELNS0_20block_scan_algorithmE0ELj4294967295EEENS1_25partition_config_selectorILNS1_17partition_subalgoE3EjNS0_10empty_typeEbEEZZNS1_14partition_implILS8_3ELb0ES6_jNS0_17counting_iteratorIjlEEPS9_SE_NS0_5tupleIJPjSE_EEENSF_IJSE_SE_EEES9_SG_JZNS1_25segmented_radix_sort_implINS0_14default_configELb0EPKbPbPKlPlN2at6native12_GLOBAL__N_18offset_tEEE10hipError_tPvRmT1_PNSt15iterator_traitsISY_E10value_typeET2_T3_PNSZ_IS14_E10value_typeET4_jRbjT5_S1A_jjP12ihipStream_tbEUljE_EEESV_SW_SX_S14_S18_S1A_T6_T7_T9_mT8_S1C_bDpT10_ENKUlT_T0_E_clISt17integral_constantIbLb0EES1O_IbLb1EEEEDaS1K_S1L_EUlS1K_E_NS1_11comp_targetILNS1_3genE8ELNS1_11target_archE1030ELNS1_3gpuE2ELNS1_3repE0EEENS1_30default_config_static_selectorELNS0_4arch9wavefront6targetE1EEEvSY_.kd
    .uniform_work_group_size: 1
    .uses_dynamic_stack: false
    .vgpr_count:     0
    .vgpr_spill_count: 0
    .wavefront_size: 64
  - .agpr_count:     0
    .args:
      - .offset:         0
        .size:           96
        .value_kind:     by_value
    .group_segment_fixed_size: 0
    .kernarg_segment_align: 8
    .kernarg_segment_size: 96
    .language:       OpenCL C
    .language_version:
      - 2
      - 0
    .max_flat_workgroup_size: 256
    .name:           _ZN7rocprim17ROCPRIM_400000_NS6detail17trampoline_kernelINS0_14default_configENS1_36segmented_radix_sort_config_selectorIblEEZNS1_25segmented_radix_sort_implIS3_Lb0EPKbPbPKlPlN2at6native12_GLOBAL__N_18offset_tEEE10hipError_tPvRmT1_PNSt15iterator_traitsISK_E10value_typeET2_T3_PNSL_ISQ_E10value_typeET4_jRbjT5_SW_jjP12ihipStream_tbEUlT_E_NS1_11comp_targetILNS1_3genE0ELNS1_11target_archE4294967295ELNS1_3gpuE0ELNS1_3repE0EEENS1_30default_config_static_selectorELNS0_4arch9wavefront6targetE1EEEvSK_
    .private_segment_fixed_size: 0
    .sgpr_count:     4
    .sgpr_spill_count: 0
    .symbol:         _ZN7rocprim17ROCPRIM_400000_NS6detail17trampoline_kernelINS0_14default_configENS1_36segmented_radix_sort_config_selectorIblEEZNS1_25segmented_radix_sort_implIS3_Lb0EPKbPbPKlPlN2at6native12_GLOBAL__N_18offset_tEEE10hipError_tPvRmT1_PNSt15iterator_traitsISK_E10value_typeET2_T3_PNSL_ISQ_E10value_typeET4_jRbjT5_SW_jjP12ihipStream_tbEUlT_E_NS1_11comp_targetILNS1_3genE0ELNS1_11target_archE4294967295ELNS1_3gpuE0ELNS1_3repE0EEENS1_30default_config_static_selectorELNS0_4arch9wavefront6targetE1EEEvSK_.kd
    .uniform_work_group_size: 1
    .uses_dynamic_stack: false
    .vgpr_count:     0
    .vgpr_spill_count: 0
    .wavefront_size: 64
  - .agpr_count:     0
    .args:
      - .offset:         0
        .size:           96
        .value_kind:     by_value
    .group_segment_fixed_size: 0
    .kernarg_segment_align: 8
    .kernarg_segment_size: 96
    .language:       OpenCL C
    .language_version:
      - 2
      - 0
    .max_flat_workgroup_size: 256
    .name:           _ZN7rocprim17ROCPRIM_400000_NS6detail17trampoline_kernelINS0_14default_configENS1_36segmented_radix_sort_config_selectorIblEEZNS1_25segmented_radix_sort_implIS3_Lb0EPKbPbPKlPlN2at6native12_GLOBAL__N_18offset_tEEE10hipError_tPvRmT1_PNSt15iterator_traitsISK_E10value_typeET2_T3_PNSL_ISQ_E10value_typeET4_jRbjT5_SW_jjP12ihipStream_tbEUlT_E_NS1_11comp_targetILNS1_3genE5ELNS1_11target_archE942ELNS1_3gpuE9ELNS1_3repE0EEENS1_30default_config_static_selectorELNS0_4arch9wavefront6targetE1EEEvSK_
    .private_segment_fixed_size: 0
    .sgpr_count:     4
    .sgpr_spill_count: 0
    .symbol:         _ZN7rocprim17ROCPRIM_400000_NS6detail17trampoline_kernelINS0_14default_configENS1_36segmented_radix_sort_config_selectorIblEEZNS1_25segmented_radix_sort_implIS3_Lb0EPKbPbPKlPlN2at6native12_GLOBAL__N_18offset_tEEE10hipError_tPvRmT1_PNSt15iterator_traitsISK_E10value_typeET2_T3_PNSL_ISQ_E10value_typeET4_jRbjT5_SW_jjP12ihipStream_tbEUlT_E_NS1_11comp_targetILNS1_3genE5ELNS1_11target_archE942ELNS1_3gpuE9ELNS1_3repE0EEENS1_30default_config_static_selectorELNS0_4arch9wavefront6targetE1EEEvSK_.kd
    .uniform_work_group_size: 1
    .uses_dynamic_stack: false
    .vgpr_count:     0
    .vgpr_spill_count: 0
    .wavefront_size: 64
  - .agpr_count:     0
    .args:
      - .offset:         0
        .size:           96
        .value_kind:     by_value
      - .offset:         96
        .size:           4
        .value_kind:     hidden_block_count_x
      - .offset:         100
        .size:           4
        .value_kind:     hidden_block_count_y
      - .offset:         104
        .size:           4
        .value_kind:     hidden_block_count_z
      - .offset:         108
        .size:           2
        .value_kind:     hidden_group_size_x
      - .offset:         110
        .size:           2
        .value_kind:     hidden_group_size_y
      - .offset:         112
        .size:           2
        .value_kind:     hidden_group_size_z
      - .offset:         114
        .size:           2
        .value_kind:     hidden_remainder_x
      - .offset:         116
        .size:           2
        .value_kind:     hidden_remainder_y
      - .offset:         118
        .size:           2
        .value_kind:     hidden_remainder_z
      - .offset:         136
        .size:           8
        .value_kind:     hidden_global_offset_x
      - .offset:         144
        .size:           8
        .value_kind:     hidden_global_offset_y
      - .offset:         152
        .size:           8
        .value_kind:     hidden_global_offset_z
      - .offset:         160
        .size:           2
        .value_kind:     hidden_grid_dims
      - .offset:         176
        .size:           8
        .value_kind:     hidden_hostcall_buffer
      - .offset:         184
        .size:           8
        .value_kind:     hidden_multigrid_sync_arg
      - .offset:         192
        .size:           8
        .value_kind:     hidden_heap_v1
      - .offset:         200
        .size:           8
        .value_kind:     hidden_default_queue
      - .offset:         208
        .size:           8
        .value_kind:     hidden_completion_action
      - .offset:         296
        .size:           8
        .value_kind:     hidden_queue_ptr
    .group_segment_fixed_size: 17424
    .kernarg_segment_align: 8
    .kernarg_segment_size: 352
    .language:       OpenCL C
    .language_version:
      - 2
      - 0
    .max_flat_workgroup_size: 256
    .name:           _ZN7rocprim17ROCPRIM_400000_NS6detail17trampoline_kernelINS0_14default_configENS1_36segmented_radix_sort_config_selectorIblEEZNS1_25segmented_radix_sort_implIS3_Lb0EPKbPbPKlPlN2at6native12_GLOBAL__N_18offset_tEEE10hipError_tPvRmT1_PNSt15iterator_traitsISK_E10value_typeET2_T3_PNSL_ISQ_E10value_typeET4_jRbjT5_SW_jjP12ihipStream_tbEUlT_E_NS1_11comp_targetILNS1_3genE4ELNS1_11target_archE910ELNS1_3gpuE8ELNS1_3repE0EEENS1_30default_config_static_selectorELNS0_4arch9wavefront6targetE1EEEvSK_
    .private_segment_fixed_size: 8
    .sgpr_count:     86
    .sgpr_spill_count: 0
    .symbol:         _ZN7rocprim17ROCPRIM_400000_NS6detail17trampoline_kernelINS0_14default_configENS1_36segmented_radix_sort_config_selectorIblEEZNS1_25segmented_radix_sort_implIS3_Lb0EPKbPbPKlPlN2at6native12_GLOBAL__N_18offset_tEEE10hipError_tPvRmT1_PNSt15iterator_traitsISK_E10value_typeET2_T3_PNSL_ISQ_E10value_typeET4_jRbjT5_SW_jjP12ihipStream_tbEUlT_E_NS1_11comp_targetILNS1_3genE4ELNS1_11target_archE910ELNS1_3gpuE8ELNS1_3repE0EEENS1_30default_config_static_selectorELNS0_4arch9wavefront6targetE1EEEvSK_.kd
    .uniform_work_group_size: 1
    .uses_dynamic_stack: false
    .vgpr_count:     179
    .vgpr_spill_count: 0
    .wavefront_size: 64
  - .agpr_count:     0
    .args:
      - .offset:         0
        .size:           96
        .value_kind:     by_value
    .group_segment_fixed_size: 0
    .kernarg_segment_align: 8
    .kernarg_segment_size: 96
    .language:       OpenCL C
    .language_version:
      - 2
      - 0
    .max_flat_workgroup_size: 256
    .name:           _ZN7rocprim17ROCPRIM_400000_NS6detail17trampoline_kernelINS0_14default_configENS1_36segmented_radix_sort_config_selectorIblEEZNS1_25segmented_radix_sort_implIS3_Lb0EPKbPbPKlPlN2at6native12_GLOBAL__N_18offset_tEEE10hipError_tPvRmT1_PNSt15iterator_traitsISK_E10value_typeET2_T3_PNSL_ISQ_E10value_typeET4_jRbjT5_SW_jjP12ihipStream_tbEUlT_E_NS1_11comp_targetILNS1_3genE3ELNS1_11target_archE908ELNS1_3gpuE7ELNS1_3repE0EEENS1_30default_config_static_selectorELNS0_4arch9wavefront6targetE1EEEvSK_
    .private_segment_fixed_size: 0
    .sgpr_count:     4
    .sgpr_spill_count: 0
    .symbol:         _ZN7rocprim17ROCPRIM_400000_NS6detail17trampoline_kernelINS0_14default_configENS1_36segmented_radix_sort_config_selectorIblEEZNS1_25segmented_radix_sort_implIS3_Lb0EPKbPbPKlPlN2at6native12_GLOBAL__N_18offset_tEEE10hipError_tPvRmT1_PNSt15iterator_traitsISK_E10value_typeET2_T3_PNSL_ISQ_E10value_typeET4_jRbjT5_SW_jjP12ihipStream_tbEUlT_E_NS1_11comp_targetILNS1_3genE3ELNS1_11target_archE908ELNS1_3gpuE7ELNS1_3repE0EEENS1_30default_config_static_selectorELNS0_4arch9wavefront6targetE1EEEvSK_.kd
    .uniform_work_group_size: 1
    .uses_dynamic_stack: false
    .vgpr_count:     0
    .vgpr_spill_count: 0
    .wavefront_size: 64
  - .agpr_count:     0
    .args:
      - .offset:         0
        .size:           96
        .value_kind:     by_value
    .group_segment_fixed_size: 0
    .kernarg_segment_align: 8
    .kernarg_segment_size: 96
    .language:       OpenCL C
    .language_version:
      - 2
      - 0
    .max_flat_workgroup_size: 256
    .name:           _ZN7rocprim17ROCPRIM_400000_NS6detail17trampoline_kernelINS0_14default_configENS1_36segmented_radix_sort_config_selectorIblEEZNS1_25segmented_radix_sort_implIS3_Lb0EPKbPbPKlPlN2at6native12_GLOBAL__N_18offset_tEEE10hipError_tPvRmT1_PNSt15iterator_traitsISK_E10value_typeET2_T3_PNSL_ISQ_E10value_typeET4_jRbjT5_SW_jjP12ihipStream_tbEUlT_E_NS1_11comp_targetILNS1_3genE2ELNS1_11target_archE906ELNS1_3gpuE6ELNS1_3repE0EEENS1_30default_config_static_selectorELNS0_4arch9wavefront6targetE1EEEvSK_
    .private_segment_fixed_size: 0
    .sgpr_count:     4
    .sgpr_spill_count: 0
    .symbol:         _ZN7rocprim17ROCPRIM_400000_NS6detail17trampoline_kernelINS0_14default_configENS1_36segmented_radix_sort_config_selectorIblEEZNS1_25segmented_radix_sort_implIS3_Lb0EPKbPbPKlPlN2at6native12_GLOBAL__N_18offset_tEEE10hipError_tPvRmT1_PNSt15iterator_traitsISK_E10value_typeET2_T3_PNSL_ISQ_E10value_typeET4_jRbjT5_SW_jjP12ihipStream_tbEUlT_E_NS1_11comp_targetILNS1_3genE2ELNS1_11target_archE906ELNS1_3gpuE6ELNS1_3repE0EEENS1_30default_config_static_selectorELNS0_4arch9wavefront6targetE1EEEvSK_.kd
    .uniform_work_group_size: 1
    .uses_dynamic_stack: false
    .vgpr_count:     0
    .vgpr_spill_count: 0
    .wavefront_size: 64
  - .agpr_count:     0
    .args:
      - .offset:         0
        .size:           96
        .value_kind:     by_value
    .group_segment_fixed_size: 0
    .kernarg_segment_align: 8
    .kernarg_segment_size: 96
    .language:       OpenCL C
    .language_version:
      - 2
      - 0
    .max_flat_workgroup_size: 256
    .name:           _ZN7rocprim17ROCPRIM_400000_NS6detail17trampoline_kernelINS0_14default_configENS1_36segmented_radix_sort_config_selectorIblEEZNS1_25segmented_radix_sort_implIS3_Lb0EPKbPbPKlPlN2at6native12_GLOBAL__N_18offset_tEEE10hipError_tPvRmT1_PNSt15iterator_traitsISK_E10value_typeET2_T3_PNSL_ISQ_E10value_typeET4_jRbjT5_SW_jjP12ihipStream_tbEUlT_E_NS1_11comp_targetILNS1_3genE10ELNS1_11target_archE1201ELNS1_3gpuE5ELNS1_3repE0EEENS1_30default_config_static_selectorELNS0_4arch9wavefront6targetE1EEEvSK_
    .private_segment_fixed_size: 0
    .sgpr_count:     4
    .sgpr_spill_count: 0
    .symbol:         _ZN7rocprim17ROCPRIM_400000_NS6detail17trampoline_kernelINS0_14default_configENS1_36segmented_radix_sort_config_selectorIblEEZNS1_25segmented_radix_sort_implIS3_Lb0EPKbPbPKlPlN2at6native12_GLOBAL__N_18offset_tEEE10hipError_tPvRmT1_PNSt15iterator_traitsISK_E10value_typeET2_T3_PNSL_ISQ_E10value_typeET4_jRbjT5_SW_jjP12ihipStream_tbEUlT_E_NS1_11comp_targetILNS1_3genE10ELNS1_11target_archE1201ELNS1_3gpuE5ELNS1_3repE0EEENS1_30default_config_static_selectorELNS0_4arch9wavefront6targetE1EEEvSK_.kd
    .uniform_work_group_size: 1
    .uses_dynamic_stack: false
    .vgpr_count:     0
    .vgpr_spill_count: 0
    .wavefront_size: 64
  - .agpr_count:     0
    .args:
      - .offset:         0
        .size:           96
        .value_kind:     by_value
    .group_segment_fixed_size: 0
    .kernarg_segment_align: 8
    .kernarg_segment_size: 96
    .language:       OpenCL C
    .language_version:
      - 2
      - 0
    .max_flat_workgroup_size: 128
    .name:           _ZN7rocprim17ROCPRIM_400000_NS6detail17trampoline_kernelINS0_14default_configENS1_36segmented_radix_sort_config_selectorIblEEZNS1_25segmented_radix_sort_implIS3_Lb0EPKbPbPKlPlN2at6native12_GLOBAL__N_18offset_tEEE10hipError_tPvRmT1_PNSt15iterator_traitsISK_E10value_typeET2_T3_PNSL_ISQ_E10value_typeET4_jRbjT5_SW_jjP12ihipStream_tbEUlT_E_NS1_11comp_targetILNS1_3genE10ELNS1_11target_archE1200ELNS1_3gpuE4ELNS1_3repE0EEENS1_30default_config_static_selectorELNS0_4arch9wavefront6targetE1EEEvSK_
    .private_segment_fixed_size: 0
    .sgpr_count:     4
    .sgpr_spill_count: 0
    .symbol:         _ZN7rocprim17ROCPRIM_400000_NS6detail17trampoline_kernelINS0_14default_configENS1_36segmented_radix_sort_config_selectorIblEEZNS1_25segmented_radix_sort_implIS3_Lb0EPKbPbPKlPlN2at6native12_GLOBAL__N_18offset_tEEE10hipError_tPvRmT1_PNSt15iterator_traitsISK_E10value_typeET2_T3_PNSL_ISQ_E10value_typeET4_jRbjT5_SW_jjP12ihipStream_tbEUlT_E_NS1_11comp_targetILNS1_3genE10ELNS1_11target_archE1200ELNS1_3gpuE4ELNS1_3repE0EEENS1_30default_config_static_selectorELNS0_4arch9wavefront6targetE1EEEvSK_.kd
    .uniform_work_group_size: 1
    .uses_dynamic_stack: false
    .vgpr_count:     0
    .vgpr_spill_count: 0
    .wavefront_size: 64
  - .agpr_count:     0
    .args:
      - .offset:         0
        .size:           96
        .value_kind:     by_value
    .group_segment_fixed_size: 0
    .kernarg_segment_align: 8
    .kernarg_segment_size: 96
    .language:       OpenCL C
    .language_version:
      - 2
      - 0
    .max_flat_workgroup_size: 256
    .name:           _ZN7rocprim17ROCPRIM_400000_NS6detail17trampoline_kernelINS0_14default_configENS1_36segmented_radix_sort_config_selectorIblEEZNS1_25segmented_radix_sort_implIS3_Lb0EPKbPbPKlPlN2at6native12_GLOBAL__N_18offset_tEEE10hipError_tPvRmT1_PNSt15iterator_traitsISK_E10value_typeET2_T3_PNSL_ISQ_E10value_typeET4_jRbjT5_SW_jjP12ihipStream_tbEUlT_E_NS1_11comp_targetILNS1_3genE9ELNS1_11target_archE1100ELNS1_3gpuE3ELNS1_3repE0EEENS1_30default_config_static_selectorELNS0_4arch9wavefront6targetE1EEEvSK_
    .private_segment_fixed_size: 0
    .sgpr_count:     4
    .sgpr_spill_count: 0
    .symbol:         _ZN7rocprim17ROCPRIM_400000_NS6detail17trampoline_kernelINS0_14default_configENS1_36segmented_radix_sort_config_selectorIblEEZNS1_25segmented_radix_sort_implIS3_Lb0EPKbPbPKlPlN2at6native12_GLOBAL__N_18offset_tEEE10hipError_tPvRmT1_PNSt15iterator_traitsISK_E10value_typeET2_T3_PNSL_ISQ_E10value_typeET4_jRbjT5_SW_jjP12ihipStream_tbEUlT_E_NS1_11comp_targetILNS1_3genE9ELNS1_11target_archE1100ELNS1_3gpuE3ELNS1_3repE0EEENS1_30default_config_static_selectorELNS0_4arch9wavefront6targetE1EEEvSK_.kd
    .uniform_work_group_size: 1
    .uses_dynamic_stack: false
    .vgpr_count:     0
    .vgpr_spill_count: 0
    .wavefront_size: 64
  - .agpr_count:     0
    .args:
      - .offset:         0
        .size:           96
        .value_kind:     by_value
    .group_segment_fixed_size: 0
    .kernarg_segment_align: 8
    .kernarg_segment_size: 96
    .language:       OpenCL C
    .language_version:
      - 2
      - 0
    .max_flat_workgroup_size: 256
    .name:           _ZN7rocprim17ROCPRIM_400000_NS6detail17trampoline_kernelINS0_14default_configENS1_36segmented_radix_sort_config_selectorIblEEZNS1_25segmented_radix_sort_implIS3_Lb0EPKbPbPKlPlN2at6native12_GLOBAL__N_18offset_tEEE10hipError_tPvRmT1_PNSt15iterator_traitsISK_E10value_typeET2_T3_PNSL_ISQ_E10value_typeET4_jRbjT5_SW_jjP12ihipStream_tbEUlT_E_NS1_11comp_targetILNS1_3genE8ELNS1_11target_archE1030ELNS1_3gpuE2ELNS1_3repE0EEENS1_30default_config_static_selectorELNS0_4arch9wavefront6targetE1EEEvSK_
    .private_segment_fixed_size: 0
    .sgpr_count:     4
    .sgpr_spill_count: 0
    .symbol:         _ZN7rocprim17ROCPRIM_400000_NS6detail17trampoline_kernelINS0_14default_configENS1_36segmented_radix_sort_config_selectorIblEEZNS1_25segmented_radix_sort_implIS3_Lb0EPKbPbPKlPlN2at6native12_GLOBAL__N_18offset_tEEE10hipError_tPvRmT1_PNSt15iterator_traitsISK_E10value_typeET2_T3_PNSL_ISQ_E10value_typeET4_jRbjT5_SW_jjP12ihipStream_tbEUlT_E_NS1_11comp_targetILNS1_3genE8ELNS1_11target_archE1030ELNS1_3gpuE2ELNS1_3repE0EEENS1_30default_config_static_selectorELNS0_4arch9wavefront6targetE1EEEvSK_.kd
    .uniform_work_group_size: 1
    .uses_dynamic_stack: false
    .vgpr_count:     0
    .vgpr_spill_count: 0
    .wavefront_size: 64
  - .agpr_count:     0
    .args:
      - .offset:         0
        .size:           88
        .value_kind:     by_value
    .group_segment_fixed_size: 0
    .kernarg_segment_align: 8
    .kernarg_segment_size: 88
    .language:       OpenCL C
    .language_version:
      - 2
      - 0
    .max_flat_workgroup_size: 256
    .name:           _ZN7rocprim17ROCPRIM_400000_NS6detail17trampoline_kernelINS0_14default_configENS1_36segmented_radix_sort_config_selectorIblEEZNS1_25segmented_radix_sort_implIS3_Lb0EPKbPbPKlPlN2at6native12_GLOBAL__N_18offset_tEEE10hipError_tPvRmT1_PNSt15iterator_traitsISK_E10value_typeET2_T3_PNSL_ISQ_E10value_typeET4_jRbjT5_SW_jjP12ihipStream_tbEUlT_E0_NS1_11comp_targetILNS1_3genE0ELNS1_11target_archE4294967295ELNS1_3gpuE0ELNS1_3repE0EEENS1_60segmented_radix_sort_warp_sort_medium_config_static_selectorELNS0_4arch9wavefront6targetE1EEEvSK_
    .private_segment_fixed_size: 0
    .sgpr_count:     4
    .sgpr_spill_count: 0
    .symbol:         _ZN7rocprim17ROCPRIM_400000_NS6detail17trampoline_kernelINS0_14default_configENS1_36segmented_radix_sort_config_selectorIblEEZNS1_25segmented_radix_sort_implIS3_Lb0EPKbPbPKlPlN2at6native12_GLOBAL__N_18offset_tEEE10hipError_tPvRmT1_PNSt15iterator_traitsISK_E10value_typeET2_T3_PNSL_ISQ_E10value_typeET4_jRbjT5_SW_jjP12ihipStream_tbEUlT_E0_NS1_11comp_targetILNS1_3genE0ELNS1_11target_archE4294967295ELNS1_3gpuE0ELNS1_3repE0EEENS1_60segmented_radix_sort_warp_sort_medium_config_static_selectorELNS0_4arch9wavefront6targetE1EEEvSK_.kd
    .uniform_work_group_size: 1
    .uses_dynamic_stack: false
    .vgpr_count:     0
    .vgpr_spill_count: 0
    .wavefront_size: 64
  - .agpr_count:     0
    .args:
      - .offset:         0
        .size:           88
        .value_kind:     by_value
    .group_segment_fixed_size: 0
    .kernarg_segment_align: 8
    .kernarg_segment_size: 88
    .language:       OpenCL C
    .language_version:
      - 2
      - 0
    .max_flat_workgroup_size: 256
    .name:           _ZN7rocprim17ROCPRIM_400000_NS6detail17trampoline_kernelINS0_14default_configENS1_36segmented_radix_sort_config_selectorIblEEZNS1_25segmented_radix_sort_implIS3_Lb0EPKbPbPKlPlN2at6native12_GLOBAL__N_18offset_tEEE10hipError_tPvRmT1_PNSt15iterator_traitsISK_E10value_typeET2_T3_PNSL_ISQ_E10value_typeET4_jRbjT5_SW_jjP12ihipStream_tbEUlT_E0_NS1_11comp_targetILNS1_3genE5ELNS1_11target_archE942ELNS1_3gpuE9ELNS1_3repE0EEENS1_60segmented_radix_sort_warp_sort_medium_config_static_selectorELNS0_4arch9wavefront6targetE1EEEvSK_
    .private_segment_fixed_size: 0
    .sgpr_count:     4
    .sgpr_spill_count: 0
    .symbol:         _ZN7rocprim17ROCPRIM_400000_NS6detail17trampoline_kernelINS0_14default_configENS1_36segmented_radix_sort_config_selectorIblEEZNS1_25segmented_radix_sort_implIS3_Lb0EPKbPbPKlPlN2at6native12_GLOBAL__N_18offset_tEEE10hipError_tPvRmT1_PNSt15iterator_traitsISK_E10value_typeET2_T3_PNSL_ISQ_E10value_typeET4_jRbjT5_SW_jjP12ihipStream_tbEUlT_E0_NS1_11comp_targetILNS1_3genE5ELNS1_11target_archE942ELNS1_3gpuE9ELNS1_3repE0EEENS1_60segmented_radix_sort_warp_sort_medium_config_static_selectorELNS0_4arch9wavefront6targetE1EEEvSK_.kd
    .uniform_work_group_size: 1
    .uses_dynamic_stack: false
    .vgpr_count:     0
    .vgpr_spill_count: 0
    .wavefront_size: 64
  - .agpr_count:     0
    .args:
      - .offset:         0
        .size:           88
        .value_kind:     by_value
      - .offset:         88
        .size:           4
        .value_kind:     hidden_block_count_x
      - .offset:         92
        .size:           4
        .value_kind:     hidden_block_count_y
      - .offset:         96
        .size:           4
        .value_kind:     hidden_block_count_z
      - .offset:         100
        .size:           2
        .value_kind:     hidden_group_size_x
      - .offset:         102
        .size:           2
        .value_kind:     hidden_group_size_y
      - .offset:         104
        .size:           2
        .value_kind:     hidden_group_size_z
      - .offset:         106
        .size:           2
        .value_kind:     hidden_remainder_x
      - .offset:         108
        .size:           2
        .value_kind:     hidden_remainder_y
      - .offset:         110
        .size:           2
        .value_kind:     hidden_remainder_z
      - .offset:         128
        .size:           8
        .value_kind:     hidden_global_offset_x
      - .offset:         136
        .size:           8
        .value_kind:     hidden_global_offset_y
      - .offset:         144
        .size:           8
        .value_kind:     hidden_global_offset_z
      - .offset:         152
        .size:           2
        .value_kind:     hidden_grid_dims
      - .offset:         168
        .size:           8
        .value_kind:     hidden_hostcall_buffer
      - .offset:         176
        .size:           8
        .value_kind:     hidden_multigrid_sync_arg
      - .offset:         184
        .size:           8
        .value_kind:     hidden_heap_v1
      - .offset:         192
        .size:           8
        .value_kind:     hidden_default_queue
      - .offset:         200
        .size:           8
        .value_kind:     hidden_completion_action
      - .offset:         288
        .size:           8
        .value_kind:     hidden_queue_ptr
    .group_segment_fixed_size: 18432
    .kernarg_segment_align: 8
    .kernarg_segment_size: 344
    .language:       OpenCL C
    .language_version:
      - 2
      - 0
    .max_flat_workgroup_size: 256
    .name:           _ZN7rocprim17ROCPRIM_400000_NS6detail17trampoline_kernelINS0_14default_configENS1_36segmented_radix_sort_config_selectorIblEEZNS1_25segmented_radix_sort_implIS3_Lb0EPKbPbPKlPlN2at6native12_GLOBAL__N_18offset_tEEE10hipError_tPvRmT1_PNSt15iterator_traitsISK_E10value_typeET2_T3_PNSL_ISQ_E10value_typeET4_jRbjT5_SW_jjP12ihipStream_tbEUlT_E0_NS1_11comp_targetILNS1_3genE4ELNS1_11target_archE910ELNS1_3gpuE8ELNS1_3repE0EEENS1_60segmented_radix_sort_warp_sort_medium_config_static_selectorELNS0_4arch9wavefront6targetE1EEEvSK_
    .private_segment_fixed_size: 8
    .sgpr_count:     68
    .sgpr_spill_count: 0
    .symbol:         _ZN7rocprim17ROCPRIM_400000_NS6detail17trampoline_kernelINS0_14default_configENS1_36segmented_radix_sort_config_selectorIblEEZNS1_25segmented_radix_sort_implIS3_Lb0EPKbPbPKlPlN2at6native12_GLOBAL__N_18offset_tEEE10hipError_tPvRmT1_PNSt15iterator_traitsISK_E10value_typeET2_T3_PNSL_ISQ_E10value_typeET4_jRbjT5_SW_jjP12ihipStream_tbEUlT_E0_NS1_11comp_targetILNS1_3genE4ELNS1_11target_archE910ELNS1_3gpuE8ELNS1_3repE0EEENS1_60segmented_radix_sort_warp_sort_medium_config_static_selectorELNS0_4arch9wavefront6targetE1EEEvSK_.kd
    .uniform_work_group_size: 1
    .uses_dynamic_stack: false
    .vgpr_count:     69
    .vgpr_spill_count: 0
    .wavefront_size: 64
  - .agpr_count:     0
    .args:
      - .offset:         0
        .size:           88
        .value_kind:     by_value
    .group_segment_fixed_size: 0
    .kernarg_segment_align: 8
    .kernarg_segment_size: 88
    .language:       OpenCL C
    .language_version:
      - 2
      - 0
    .max_flat_workgroup_size: 256
    .name:           _ZN7rocprim17ROCPRIM_400000_NS6detail17trampoline_kernelINS0_14default_configENS1_36segmented_radix_sort_config_selectorIblEEZNS1_25segmented_radix_sort_implIS3_Lb0EPKbPbPKlPlN2at6native12_GLOBAL__N_18offset_tEEE10hipError_tPvRmT1_PNSt15iterator_traitsISK_E10value_typeET2_T3_PNSL_ISQ_E10value_typeET4_jRbjT5_SW_jjP12ihipStream_tbEUlT_E0_NS1_11comp_targetILNS1_3genE3ELNS1_11target_archE908ELNS1_3gpuE7ELNS1_3repE0EEENS1_60segmented_radix_sort_warp_sort_medium_config_static_selectorELNS0_4arch9wavefront6targetE1EEEvSK_
    .private_segment_fixed_size: 0
    .sgpr_count:     4
    .sgpr_spill_count: 0
    .symbol:         _ZN7rocprim17ROCPRIM_400000_NS6detail17trampoline_kernelINS0_14default_configENS1_36segmented_radix_sort_config_selectorIblEEZNS1_25segmented_radix_sort_implIS3_Lb0EPKbPbPKlPlN2at6native12_GLOBAL__N_18offset_tEEE10hipError_tPvRmT1_PNSt15iterator_traitsISK_E10value_typeET2_T3_PNSL_ISQ_E10value_typeET4_jRbjT5_SW_jjP12ihipStream_tbEUlT_E0_NS1_11comp_targetILNS1_3genE3ELNS1_11target_archE908ELNS1_3gpuE7ELNS1_3repE0EEENS1_60segmented_radix_sort_warp_sort_medium_config_static_selectorELNS0_4arch9wavefront6targetE1EEEvSK_.kd
    .uniform_work_group_size: 1
    .uses_dynamic_stack: false
    .vgpr_count:     0
    .vgpr_spill_count: 0
    .wavefront_size: 64
  - .agpr_count:     0
    .args:
      - .offset:         0
        .size:           88
        .value_kind:     by_value
    .group_segment_fixed_size: 0
    .kernarg_segment_align: 8
    .kernarg_segment_size: 88
    .language:       OpenCL C
    .language_version:
      - 2
      - 0
    .max_flat_workgroup_size: 256
    .name:           _ZN7rocprim17ROCPRIM_400000_NS6detail17trampoline_kernelINS0_14default_configENS1_36segmented_radix_sort_config_selectorIblEEZNS1_25segmented_radix_sort_implIS3_Lb0EPKbPbPKlPlN2at6native12_GLOBAL__N_18offset_tEEE10hipError_tPvRmT1_PNSt15iterator_traitsISK_E10value_typeET2_T3_PNSL_ISQ_E10value_typeET4_jRbjT5_SW_jjP12ihipStream_tbEUlT_E0_NS1_11comp_targetILNS1_3genE2ELNS1_11target_archE906ELNS1_3gpuE6ELNS1_3repE0EEENS1_60segmented_radix_sort_warp_sort_medium_config_static_selectorELNS0_4arch9wavefront6targetE1EEEvSK_
    .private_segment_fixed_size: 0
    .sgpr_count:     4
    .sgpr_spill_count: 0
    .symbol:         _ZN7rocprim17ROCPRIM_400000_NS6detail17trampoline_kernelINS0_14default_configENS1_36segmented_radix_sort_config_selectorIblEEZNS1_25segmented_radix_sort_implIS3_Lb0EPKbPbPKlPlN2at6native12_GLOBAL__N_18offset_tEEE10hipError_tPvRmT1_PNSt15iterator_traitsISK_E10value_typeET2_T3_PNSL_ISQ_E10value_typeET4_jRbjT5_SW_jjP12ihipStream_tbEUlT_E0_NS1_11comp_targetILNS1_3genE2ELNS1_11target_archE906ELNS1_3gpuE6ELNS1_3repE0EEENS1_60segmented_radix_sort_warp_sort_medium_config_static_selectorELNS0_4arch9wavefront6targetE1EEEvSK_.kd
    .uniform_work_group_size: 1
    .uses_dynamic_stack: false
    .vgpr_count:     0
    .vgpr_spill_count: 0
    .wavefront_size: 64
  - .agpr_count:     0
    .args:
      - .offset:         0
        .size:           88
        .value_kind:     by_value
    .group_segment_fixed_size: 0
    .kernarg_segment_align: 8
    .kernarg_segment_size: 88
    .language:       OpenCL C
    .language_version:
      - 2
      - 0
    .max_flat_workgroup_size: 256
    .name:           _ZN7rocprim17ROCPRIM_400000_NS6detail17trampoline_kernelINS0_14default_configENS1_36segmented_radix_sort_config_selectorIblEEZNS1_25segmented_radix_sort_implIS3_Lb0EPKbPbPKlPlN2at6native12_GLOBAL__N_18offset_tEEE10hipError_tPvRmT1_PNSt15iterator_traitsISK_E10value_typeET2_T3_PNSL_ISQ_E10value_typeET4_jRbjT5_SW_jjP12ihipStream_tbEUlT_E0_NS1_11comp_targetILNS1_3genE10ELNS1_11target_archE1201ELNS1_3gpuE5ELNS1_3repE0EEENS1_60segmented_radix_sort_warp_sort_medium_config_static_selectorELNS0_4arch9wavefront6targetE1EEEvSK_
    .private_segment_fixed_size: 0
    .sgpr_count:     4
    .sgpr_spill_count: 0
    .symbol:         _ZN7rocprim17ROCPRIM_400000_NS6detail17trampoline_kernelINS0_14default_configENS1_36segmented_radix_sort_config_selectorIblEEZNS1_25segmented_radix_sort_implIS3_Lb0EPKbPbPKlPlN2at6native12_GLOBAL__N_18offset_tEEE10hipError_tPvRmT1_PNSt15iterator_traitsISK_E10value_typeET2_T3_PNSL_ISQ_E10value_typeET4_jRbjT5_SW_jjP12ihipStream_tbEUlT_E0_NS1_11comp_targetILNS1_3genE10ELNS1_11target_archE1201ELNS1_3gpuE5ELNS1_3repE0EEENS1_60segmented_radix_sort_warp_sort_medium_config_static_selectorELNS0_4arch9wavefront6targetE1EEEvSK_.kd
    .uniform_work_group_size: 1
    .uses_dynamic_stack: false
    .vgpr_count:     0
    .vgpr_spill_count: 0
    .wavefront_size: 64
  - .agpr_count:     0
    .args:
      - .offset:         0
        .size:           88
        .value_kind:     by_value
    .group_segment_fixed_size: 0
    .kernarg_segment_align: 8
    .kernarg_segment_size: 88
    .language:       OpenCL C
    .language_version:
      - 2
      - 0
    .max_flat_workgroup_size: 256
    .name:           _ZN7rocprim17ROCPRIM_400000_NS6detail17trampoline_kernelINS0_14default_configENS1_36segmented_radix_sort_config_selectorIblEEZNS1_25segmented_radix_sort_implIS3_Lb0EPKbPbPKlPlN2at6native12_GLOBAL__N_18offset_tEEE10hipError_tPvRmT1_PNSt15iterator_traitsISK_E10value_typeET2_T3_PNSL_ISQ_E10value_typeET4_jRbjT5_SW_jjP12ihipStream_tbEUlT_E0_NS1_11comp_targetILNS1_3genE10ELNS1_11target_archE1200ELNS1_3gpuE4ELNS1_3repE0EEENS1_60segmented_radix_sort_warp_sort_medium_config_static_selectorELNS0_4arch9wavefront6targetE1EEEvSK_
    .private_segment_fixed_size: 0
    .sgpr_count:     4
    .sgpr_spill_count: 0
    .symbol:         _ZN7rocprim17ROCPRIM_400000_NS6detail17trampoline_kernelINS0_14default_configENS1_36segmented_radix_sort_config_selectorIblEEZNS1_25segmented_radix_sort_implIS3_Lb0EPKbPbPKlPlN2at6native12_GLOBAL__N_18offset_tEEE10hipError_tPvRmT1_PNSt15iterator_traitsISK_E10value_typeET2_T3_PNSL_ISQ_E10value_typeET4_jRbjT5_SW_jjP12ihipStream_tbEUlT_E0_NS1_11comp_targetILNS1_3genE10ELNS1_11target_archE1200ELNS1_3gpuE4ELNS1_3repE0EEENS1_60segmented_radix_sort_warp_sort_medium_config_static_selectorELNS0_4arch9wavefront6targetE1EEEvSK_.kd
    .uniform_work_group_size: 1
    .uses_dynamic_stack: false
    .vgpr_count:     0
    .vgpr_spill_count: 0
    .wavefront_size: 64
  - .agpr_count:     0
    .args:
      - .offset:         0
        .size:           88
        .value_kind:     by_value
    .group_segment_fixed_size: 0
    .kernarg_segment_align: 8
    .kernarg_segment_size: 88
    .language:       OpenCL C
    .language_version:
      - 2
      - 0
    .max_flat_workgroup_size: 256
    .name:           _ZN7rocprim17ROCPRIM_400000_NS6detail17trampoline_kernelINS0_14default_configENS1_36segmented_radix_sort_config_selectorIblEEZNS1_25segmented_radix_sort_implIS3_Lb0EPKbPbPKlPlN2at6native12_GLOBAL__N_18offset_tEEE10hipError_tPvRmT1_PNSt15iterator_traitsISK_E10value_typeET2_T3_PNSL_ISQ_E10value_typeET4_jRbjT5_SW_jjP12ihipStream_tbEUlT_E0_NS1_11comp_targetILNS1_3genE9ELNS1_11target_archE1100ELNS1_3gpuE3ELNS1_3repE0EEENS1_60segmented_radix_sort_warp_sort_medium_config_static_selectorELNS0_4arch9wavefront6targetE1EEEvSK_
    .private_segment_fixed_size: 0
    .sgpr_count:     4
    .sgpr_spill_count: 0
    .symbol:         _ZN7rocprim17ROCPRIM_400000_NS6detail17trampoline_kernelINS0_14default_configENS1_36segmented_radix_sort_config_selectorIblEEZNS1_25segmented_radix_sort_implIS3_Lb0EPKbPbPKlPlN2at6native12_GLOBAL__N_18offset_tEEE10hipError_tPvRmT1_PNSt15iterator_traitsISK_E10value_typeET2_T3_PNSL_ISQ_E10value_typeET4_jRbjT5_SW_jjP12ihipStream_tbEUlT_E0_NS1_11comp_targetILNS1_3genE9ELNS1_11target_archE1100ELNS1_3gpuE3ELNS1_3repE0EEENS1_60segmented_radix_sort_warp_sort_medium_config_static_selectorELNS0_4arch9wavefront6targetE1EEEvSK_.kd
    .uniform_work_group_size: 1
    .uses_dynamic_stack: false
    .vgpr_count:     0
    .vgpr_spill_count: 0
    .wavefront_size: 64
  - .agpr_count:     0
    .args:
      - .offset:         0
        .size:           88
        .value_kind:     by_value
    .group_segment_fixed_size: 0
    .kernarg_segment_align: 8
    .kernarg_segment_size: 88
    .language:       OpenCL C
    .language_version:
      - 2
      - 0
    .max_flat_workgroup_size: 256
    .name:           _ZN7rocprim17ROCPRIM_400000_NS6detail17trampoline_kernelINS0_14default_configENS1_36segmented_radix_sort_config_selectorIblEEZNS1_25segmented_radix_sort_implIS3_Lb0EPKbPbPKlPlN2at6native12_GLOBAL__N_18offset_tEEE10hipError_tPvRmT1_PNSt15iterator_traitsISK_E10value_typeET2_T3_PNSL_ISQ_E10value_typeET4_jRbjT5_SW_jjP12ihipStream_tbEUlT_E0_NS1_11comp_targetILNS1_3genE8ELNS1_11target_archE1030ELNS1_3gpuE2ELNS1_3repE0EEENS1_60segmented_radix_sort_warp_sort_medium_config_static_selectorELNS0_4arch9wavefront6targetE1EEEvSK_
    .private_segment_fixed_size: 0
    .sgpr_count:     4
    .sgpr_spill_count: 0
    .symbol:         _ZN7rocprim17ROCPRIM_400000_NS6detail17trampoline_kernelINS0_14default_configENS1_36segmented_radix_sort_config_selectorIblEEZNS1_25segmented_radix_sort_implIS3_Lb0EPKbPbPKlPlN2at6native12_GLOBAL__N_18offset_tEEE10hipError_tPvRmT1_PNSt15iterator_traitsISK_E10value_typeET2_T3_PNSL_ISQ_E10value_typeET4_jRbjT5_SW_jjP12ihipStream_tbEUlT_E0_NS1_11comp_targetILNS1_3genE8ELNS1_11target_archE1030ELNS1_3gpuE2ELNS1_3repE0EEENS1_60segmented_radix_sort_warp_sort_medium_config_static_selectorELNS0_4arch9wavefront6targetE1EEEvSK_.kd
    .uniform_work_group_size: 1
    .uses_dynamic_stack: false
    .vgpr_count:     0
    .vgpr_spill_count: 0
    .wavefront_size: 64
  - .agpr_count:     0
    .args:
      - .offset:         0
        .size:           88
        .value_kind:     by_value
    .group_segment_fixed_size: 0
    .kernarg_segment_align: 8
    .kernarg_segment_size: 88
    .language:       OpenCL C
    .language_version:
      - 2
      - 0
    .max_flat_workgroup_size: 256
    .name:           _ZN7rocprim17ROCPRIM_400000_NS6detail17trampoline_kernelINS0_14default_configENS1_36segmented_radix_sort_config_selectorIblEEZNS1_25segmented_radix_sort_implIS3_Lb0EPKbPbPKlPlN2at6native12_GLOBAL__N_18offset_tEEE10hipError_tPvRmT1_PNSt15iterator_traitsISK_E10value_typeET2_T3_PNSL_ISQ_E10value_typeET4_jRbjT5_SW_jjP12ihipStream_tbEUlT_E1_NS1_11comp_targetILNS1_3genE0ELNS1_11target_archE4294967295ELNS1_3gpuE0ELNS1_3repE0EEENS1_59segmented_radix_sort_warp_sort_small_config_static_selectorELNS0_4arch9wavefront6targetE1EEEvSK_
    .private_segment_fixed_size: 0
    .sgpr_count:     4
    .sgpr_spill_count: 0
    .symbol:         _ZN7rocprim17ROCPRIM_400000_NS6detail17trampoline_kernelINS0_14default_configENS1_36segmented_radix_sort_config_selectorIblEEZNS1_25segmented_radix_sort_implIS3_Lb0EPKbPbPKlPlN2at6native12_GLOBAL__N_18offset_tEEE10hipError_tPvRmT1_PNSt15iterator_traitsISK_E10value_typeET2_T3_PNSL_ISQ_E10value_typeET4_jRbjT5_SW_jjP12ihipStream_tbEUlT_E1_NS1_11comp_targetILNS1_3genE0ELNS1_11target_archE4294967295ELNS1_3gpuE0ELNS1_3repE0EEENS1_59segmented_radix_sort_warp_sort_small_config_static_selectorELNS0_4arch9wavefront6targetE1EEEvSK_.kd
    .uniform_work_group_size: 1
    .uses_dynamic_stack: false
    .vgpr_count:     0
    .vgpr_spill_count: 0
    .wavefront_size: 64
  - .agpr_count:     0
    .args:
      - .offset:         0
        .size:           88
        .value_kind:     by_value
    .group_segment_fixed_size: 0
    .kernarg_segment_align: 8
    .kernarg_segment_size: 88
    .language:       OpenCL C
    .language_version:
      - 2
      - 0
    .max_flat_workgroup_size: 256
    .name:           _ZN7rocprim17ROCPRIM_400000_NS6detail17trampoline_kernelINS0_14default_configENS1_36segmented_radix_sort_config_selectorIblEEZNS1_25segmented_radix_sort_implIS3_Lb0EPKbPbPKlPlN2at6native12_GLOBAL__N_18offset_tEEE10hipError_tPvRmT1_PNSt15iterator_traitsISK_E10value_typeET2_T3_PNSL_ISQ_E10value_typeET4_jRbjT5_SW_jjP12ihipStream_tbEUlT_E1_NS1_11comp_targetILNS1_3genE5ELNS1_11target_archE942ELNS1_3gpuE9ELNS1_3repE0EEENS1_59segmented_radix_sort_warp_sort_small_config_static_selectorELNS0_4arch9wavefront6targetE1EEEvSK_
    .private_segment_fixed_size: 0
    .sgpr_count:     4
    .sgpr_spill_count: 0
    .symbol:         _ZN7rocprim17ROCPRIM_400000_NS6detail17trampoline_kernelINS0_14default_configENS1_36segmented_radix_sort_config_selectorIblEEZNS1_25segmented_radix_sort_implIS3_Lb0EPKbPbPKlPlN2at6native12_GLOBAL__N_18offset_tEEE10hipError_tPvRmT1_PNSt15iterator_traitsISK_E10value_typeET2_T3_PNSL_ISQ_E10value_typeET4_jRbjT5_SW_jjP12ihipStream_tbEUlT_E1_NS1_11comp_targetILNS1_3genE5ELNS1_11target_archE942ELNS1_3gpuE9ELNS1_3repE0EEENS1_59segmented_radix_sort_warp_sort_small_config_static_selectorELNS0_4arch9wavefront6targetE1EEEvSK_.kd
    .uniform_work_group_size: 1
    .uses_dynamic_stack: false
    .vgpr_count:     0
    .vgpr_spill_count: 0
    .wavefront_size: 64
  - .agpr_count:     0
    .args:
      - .offset:         0
        .size:           88
        .value_kind:     by_value
      - .offset:         88
        .size:           4
        .value_kind:     hidden_block_count_x
      - .offset:         92
        .size:           4
        .value_kind:     hidden_block_count_y
      - .offset:         96
        .size:           4
        .value_kind:     hidden_block_count_z
      - .offset:         100
        .size:           2
        .value_kind:     hidden_group_size_x
      - .offset:         102
        .size:           2
        .value_kind:     hidden_group_size_y
      - .offset:         104
        .size:           2
        .value_kind:     hidden_group_size_z
      - .offset:         106
        .size:           2
        .value_kind:     hidden_remainder_x
      - .offset:         108
        .size:           2
        .value_kind:     hidden_remainder_y
      - .offset:         110
        .size:           2
        .value_kind:     hidden_remainder_z
      - .offset:         128
        .size:           8
        .value_kind:     hidden_global_offset_x
      - .offset:         136
        .size:           8
        .value_kind:     hidden_global_offset_y
      - .offset:         144
        .size:           8
        .value_kind:     hidden_global_offset_z
      - .offset:         152
        .size:           2
        .value_kind:     hidden_grid_dims
      - .offset:         168
        .size:           8
        .value_kind:     hidden_hostcall_buffer
      - .offset:         176
        .size:           8
        .value_kind:     hidden_multigrid_sync_arg
      - .offset:         184
        .size:           8
        .value_kind:     hidden_heap_v1
      - .offset:         192
        .size:           8
        .value_kind:     hidden_default_queue
      - .offset:         200
        .size:           8
        .value_kind:     hidden_completion_action
      - .offset:         288
        .size:           8
        .value_kind:     hidden_queue_ptr
    .group_segment_fixed_size: 9216
    .kernarg_segment_align: 8
    .kernarg_segment_size: 344
    .language:       OpenCL C
    .language_version:
      - 2
      - 0
    .max_flat_workgroup_size: 256
    .name:           _ZN7rocprim17ROCPRIM_400000_NS6detail17trampoline_kernelINS0_14default_configENS1_36segmented_radix_sort_config_selectorIblEEZNS1_25segmented_radix_sort_implIS3_Lb0EPKbPbPKlPlN2at6native12_GLOBAL__N_18offset_tEEE10hipError_tPvRmT1_PNSt15iterator_traitsISK_E10value_typeET2_T3_PNSL_ISQ_E10value_typeET4_jRbjT5_SW_jjP12ihipStream_tbEUlT_E1_NS1_11comp_targetILNS1_3genE4ELNS1_11target_archE910ELNS1_3gpuE8ELNS1_3repE0EEENS1_59segmented_radix_sort_warp_sort_small_config_static_selectorELNS0_4arch9wavefront6targetE1EEEvSK_
    .private_segment_fixed_size: 0
    .sgpr_count:     56
    .sgpr_spill_count: 0
    .symbol:         _ZN7rocprim17ROCPRIM_400000_NS6detail17trampoline_kernelINS0_14default_configENS1_36segmented_radix_sort_config_selectorIblEEZNS1_25segmented_radix_sort_implIS3_Lb0EPKbPbPKlPlN2at6native12_GLOBAL__N_18offset_tEEE10hipError_tPvRmT1_PNSt15iterator_traitsISK_E10value_typeET2_T3_PNSL_ISQ_E10value_typeET4_jRbjT5_SW_jjP12ihipStream_tbEUlT_E1_NS1_11comp_targetILNS1_3genE4ELNS1_11target_archE910ELNS1_3gpuE8ELNS1_3repE0EEENS1_59segmented_radix_sort_warp_sort_small_config_static_selectorELNS0_4arch9wavefront6targetE1EEEvSK_.kd
    .uniform_work_group_size: 1
    .uses_dynamic_stack: false
    .vgpr_count:     67
    .vgpr_spill_count: 0
    .wavefront_size: 64
  - .agpr_count:     0
    .args:
      - .offset:         0
        .size:           88
        .value_kind:     by_value
    .group_segment_fixed_size: 0
    .kernarg_segment_align: 8
    .kernarg_segment_size: 88
    .language:       OpenCL C
    .language_version:
      - 2
      - 0
    .max_flat_workgroup_size: 256
    .name:           _ZN7rocprim17ROCPRIM_400000_NS6detail17trampoline_kernelINS0_14default_configENS1_36segmented_radix_sort_config_selectorIblEEZNS1_25segmented_radix_sort_implIS3_Lb0EPKbPbPKlPlN2at6native12_GLOBAL__N_18offset_tEEE10hipError_tPvRmT1_PNSt15iterator_traitsISK_E10value_typeET2_T3_PNSL_ISQ_E10value_typeET4_jRbjT5_SW_jjP12ihipStream_tbEUlT_E1_NS1_11comp_targetILNS1_3genE3ELNS1_11target_archE908ELNS1_3gpuE7ELNS1_3repE0EEENS1_59segmented_radix_sort_warp_sort_small_config_static_selectorELNS0_4arch9wavefront6targetE1EEEvSK_
    .private_segment_fixed_size: 0
    .sgpr_count:     4
    .sgpr_spill_count: 0
    .symbol:         _ZN7rocprim17ROCPRIM_400000_NS6detail17trampoline_kernelINS0_14default_configENS1_36segmented_radix_sort_config_selectorIblEEZNS1_25segmented_radix_sort_implIS3_Lb0EPKbPbPKlPlN2at6native12_GLOBAL__N_18offset_tEEE10hipError_tPvRmT1_PNSt15iterator_traitsISK_E10value_typeET2_T3_PNSL_ISQ_E10value_typeET4_jRbjT5_SW_jjP12ihipStream_tbEUlT_E1_NS1_11comp_targetILNS1_3genE3ELNS1_11target_archE908ELNS1_3gpuE7ELNS1_3repE0EEENS1_59segmented_radix_sort_warp_sort_small_config_static_selectorELNS0_4arch9wavefront6targetE1EEEvSK_.kd
    .uniform_work_group_size: 1
    .uses_dynamic_stack: false
    .vgpr_count:     0
    .vgpr_spill_count: 0
    .wavefront_size: 64
  - .agpr_count:     0
    .args:
      - .offset:         0
        .size:           88
        .value_kind:     by_value
    .group_segment_fixed_size: 0
    .kernarg_segment_align: 8
    .kernarg_segment_size: 88
    .language:       OpenCL C
    .language_version:
      - 2
      - 0
    .max_flat_workgroup_size: 256
    .name:           _ZN7rocprim17ROCPRIM_400000_NS6detail17trampoline_kernelINS0_14default_configENS1_36segmented_radix_sort_config_selectorIblEEZNS1_25segmented_radix_sort_implIS3_Lb0EPKbPbPKlPlN2at6native12_GLOBAL__N_18offset_tEEE10hipError_tPvRmT1_PNSt15iterator_traitsISK_E10value_typeET2_T3_PNSL_ISQ_E10value_typeET4_jRbjT5_SW_jjP12ihipStream_tbEUlT_E1_NS1_11comp_targetILNS1_3genE2ELNS1_11target_archE906ELNS1_3gpuE6ELNS1_3repE0EEENS1_59segmented_radix_sort_warp_sort_small_config_static_selectorELNS0_4arch9wavefront6targetE1EEEvSK_
    .private_segment_fixed_size: 0
    .sgpr_count:     4
    .sgpr_spill_count: 0
    .symbol:         _ZN7rocprim17ROCPRIM_400000_NS6detail17trampoline_kernelINS0_14default_configENS1_36segmented_radix_sort_config_selectorIblEEZNS1_25segmented_radix_sort_implIS3_Lb0EPKbPbPKlPlN2at6native12_GLOBAL__N_18offset_tEEE10hipError_tPvRmT1_PNSt15iterator_traitsISK_E10value_typeET2_T3_PNSL_ISQ_E10value_typeET4_jRbjT5_SW_jjP12ihipStream_tbEUlT_E1_NS1_11comp_targetILNS1_3genE2ELNS1_11target_archE906ELNS1_3gpuE6ELNS1_3repE0EEENS1_59segmented_radix_sort_warp_sort_small_config_static_selectorELNS0_4arch9wavefront6targetE1EEEvSK_.kd
    .uniform_work_group_size: 1
    .uses_dynamic_stack: false
    .vgpr_count:     0
    .vgpr_spill_count: 0
    .wavefront_size: 64
  - .agpr_count:     0
    .args:
      - .offset:         0
        .size:           88
        .value_kind:     by_value
    .group_segment_fixed_size: 0
    .kernarg_segment_align: 8
    .kernarg_segment_size: 88
    .language:       OpenCL C
    .language_version:
      - 2
      - 0
    .max_flat_workgroup_size: 256
    .name:           _ZN7rocprim17ROCPRIM_400000_NS6detail17trampoline_kernelINS0_14default_configENS1_36segmented_radix_sort_config_selectorIblEEZNS1_25segmented_radix_sort_implIS3_Lb0EPKbPbPKlPlN2at6native12_GLOBAL__N_18offset_tEEE10hipError_tPvRmT1_PNSt15iterator_traitsISK_E10value_typeET2_T3_PNSL_ISQ_E10value_typeET4_jRbjT5_SW_jjP12ihipStream_tbEUlT_E1_NS1_11comp_targetILNS1_3genE10ELNS1_11target_archE1201ELNS1_3gpuE5ELNS1_3repE0EEENS1_59segmented_radix_sort_warp_sort_small_config_static_selectorELNS0_4arch9wavefront6targetE1EEEvSK_
    .private_segment_fixed_size: 0
    .sgpr_count:     4
    .sgpr_spill_count: 0
    .symbol:         _ZN7rocprim17ROCPRIM_400000_NS6detail17trampoline_kernelINS0_14default_configENS1_36segmented_radix_sort_config_selectorIblEEZNS1_25segmented_radix_sort_implIS3_Lb0EPKbPbPKlPlN2at6native12_GLOBAL__N_18offset_tEEE10hipError_tPvRmT1_PNSt15iterator_traitsISK_E10value_typeET2_T3_PNSL_ISQ_E10value_typeET4_jRbjT5_SW_jjP12ihipStream_tbEUlT_E1_NS1_11comp_targetILNS1_3genE10ELNS1_11target_archE1201ELNS1_3gpuE5ELNS1_3repE0EEENS1_59segmented_radix_sort_warp_sort_small_config_static_selectorELNS0_4arch9wavefront6targetE1EEEvSK_.kd
    .uniform_work_group_size: 1
    .uses_dynamic_stack: false
    .vgpr_count:     0
    .vgpr_spill_count: 0
    .wavefront_size: 64
  - .agpr_count:     0
    .args:
      - .offset:         0
        .size:           88
        .value_kind:     by_value
    .group_segment_fixed_size: 0
    .kernarg_segment_align: 8
    .kernarg_segment_size: 88
    .language:       OpenCL C
    .language_version:
      - 2
      - 0
    .max_flat_workgroup_size: 256
    .name:           _ZN7rocprim17ROCPRIM_400000_NS6detail17trampoline_kernelINS0_14default_configENS1_36segmented_radix_sort_config_selectorIblEEZNS1_25segmented_radix_sort_implIS3_Lb0EPKbPbPKlPlN2at6native12_GLOBAL__N_18offset_tEEE10hipError_tPvRmT1_PNSt15iterator_traitsISK_E10value_typeET2_T3_PNSL_ISQ_E10value_typeET4_jRbjT5_SW_jjP12ihipStream_tbEUlT_E1_NS1_11comp_targetILNS1_3genE10ELNS1_11target_archE1200ELNS1_3gpuE4ELNS1_3repE0EEENS1_59segmented_radix_sort_warp_sort_small_config_static_selectorELNS0_4arch9wavefront6targetE1EEEvSK_
    .private_segment_fixed_size: 0
    .sgpr_count:     4
    .sgpr_spill_count: 0
    .symbol:         _ZN7rocprim17ROCPRIM_400000_NS6detail17trampoline_kernelINS0_14default_configENS1_36segmented_radix_sort_config_selectorIblEEZNS1_25segmented_radix_sort_implIS3_Lb0EPKbPbPKlPlN2at6native12_GLOBAL__N_18offset_tEEE10hipError_tPvRmT1_PNSt15iterator_traitsISK_E10value_typeET2_T3_PNSL_ISQ_E10value_typeET4_jRbjT5_SW_jjP12ihipStream_tbEUlT_E1_NS1_11comp_targetILNS1_3genE10ELNS1_11target_archE1200ELNS1_3gpuE4ELNS1_3repE0EEENS1_59segmented_radix_sort_warp_sort_small_config_static_selectorELNS0_4arch9wavefront6targetE1EEEvSK_.kd
    .uniform_work_group_size: 1
    .uses_dynamic_stack: false
    .vgpr_count:     0
    .vgpr_spill_count: 0
    .wavefront_size: 64
  - .agpr_count:     0
    .args:
      - .offset:         0
        .size:           88
        .value_kind:     by_value
    .group_segment_fixed_size: 0
    .kernarg_segment_align: 8
    .kernarg_segment_size: 88
    .language:       OpenCL C
    .language_version:
      - 2
      - 0
    .max_flat_workgroup_size: 256
    .name:           _ZN7rocprim17ROCPRIM_400000_NS6detail17trampoline_kernelINS0_14default_configENS1_36segmented_radix_sort_config_selectorIblEEZNS1_25segmented_radix_sort_implIS3_Lb0EPKbPbPKlPlN2at6native12_GLOBAL__N_18offset_tEEE10hipError_tPvRmT1_PNSt15iterator_traitsISK_E10value_typeET2_T3_PNSL_ISQ_E10value_typeET4_jRbjT5_SW_jjP12ihipStream_tbEUlT_E1_NS1_11comp_targetILNS1_3genE9ELNS1_11target_archE1100ELNS1_3gpuE3ELNS1_3repE0EEENS1_59segmented_radix_sort_warp_sort_small_config_static_selectorELNS0_4arch9wavefront6targetE1EEEvSK_
    .private_segment_fixed_size: 0
    .sgpr_count:     4
    .sgpr_spill_count: 0
    .symbol:         _ZN7rocprim17ROCPRIM_400000_NS6detail17trampoline_kernelINS0_14default_configENS1_36segmented_radix_sort_config_selectorIblEEZNS1_25segmented_radix_sort_implIS3_Lb0EPKbPbPKlPlN2at6native12_GLOBAL__N_18offset_tEEE10hipError_tPvRmT1_PNSt15iterator_traitsISK_E10value_typeET2_T3_PNSL_ISQ_E10value_typeET4_jRbjT5_SW_jjP12ihipStream_tbEUlT_E1_NS1_11comp_targetILNS1_3genE9ELNS1_11target_archE1100ELNS1_3gpuE3ELNS1_3repE0EEENS1_59segmented_radix_sort_warp_sort_small_config_static_selectorELNS0_4arch9wavefront6targetE1EEEvSK_.kd
    .uniform_work_group_size: 1
    .uses_dynamic_stack: false
    .vgpr_count:     0
    .vgpr_spill_count: 0
    .wavefront_size: 64
  - .agpr_count:     0
    .args:
      - .offset:         0
        .size:           88
        .value_kind:     by_value
    .group_segment_fixed_size: 0
    .kernarg_segment_align: 8
    .kernarg_segment_size: 88
    .language:       OpenCL C
    .language_version:
      - 2
      - 0
    .max_flat_workgroup_size: 256
    .name:           _ZN7rocprim17ROCPRIM_400000_NS6detail17trampoline_kernelINS0_14default_configENS1_36segmented_radix_sort_config_selectorIblEEZNS1_25segmented_radix_sort_implIS3_Lb0EPKbPbPKlPlN2at6native12_GLOBAL__N_18offset_tEEE10hipError_tPvRmT1_PNSt15iterator_traitsISK_E10value_typeET2_T3_PNSL_ISQ_E10value_typeET4_jRbjT5_SW_jjP12ihipStream_tbEUlT_E1_NS1_11comp_targetILNS1_3genE8ELNS1_11target_archE1030ELNS1_3gpuE2ELNS1_3repE0EEENS1_59segmented_radix_sort_warp_sort_small_config_static_selectorELNS0_4arch9wavefront6targetE1EEEvSK_
    .private_segment_fixed_size: 0
    .sgpr_count:     4
    .sgpr_spill_count: 0
    .symbol:         _ZN7rocprim17ROCPRIM_400000_NS6detail17trampoline_kernelINS0_14default_configENS1_36segmented_radix_sort_config_selectorIblEEZNS1_25segmented_radix_sort_implIS3_Lb0EPKbPbPKlPlN2at6native12_GLOBAL__N_18offset_tEEE10hipError_tPvRmT1_PNSt15iterator_traitsISK_E10value_typeET2_T3_PNSL_ISQ_E10value_typeET4_jRbjT5_SW_jjP12ihipStream_tbEUlT_E1_NS1_11comp_targetILNS1_3genE8ELNS1_11target_archE1030ELNS1_3gpuE2ELNS1_3repE0EEENS1_59segmented_radix_sort_warp_sort_small_config_static_selectorELNS0_4arch9wavefront6targetE1EEEvSK_.kd
    .uniform_work_group_size: 1
    .uses_dynamic_stack: false
    .vgpr_count:     0
    .vgpr_spill_count: 0
    .wavefront_size: 64
  - .agpr_count:     0
    .args:
      - .offset:         0
        .size:           80
        .value_kind:     by_value
    .group_segment_fixed_size: 0
    .kernarg_segment_align: 8
    .kernarg_segment_size: 80
    .language:       OpenCL C
    .language_version:
      - 2
      - 0
    .max_flat_workgroup_size: 256
    .name:           _ZN7rocprim17ROCPRIM_400000_NS6detail17trampoline_kernelINS0_14default_configENS1_36segmented_radix_sort_config_selectorIblEEZNS1_25segmented_radix_sort_implIS3_Lb0EPKbPbPKlPlN2at6native12_GLOBAL__N_18offset_tEEE10hipError_tPvRmT1_PNSt15iterator_traitsISK_E10value_typeET2_T3_PNSL_ISQ_E10value_typeET4_jRbjT5_SW_jjP12ihipStream_tbEUlT_E2_NS1_11comp_targetILNS1_3genE0ELNS1_11target_archE4294967295ELNS1_3gpuE0ELNS1_3repE0EEENS1_30default_config_static_selectorELNS0_4arch9wavefront6targetE1EEEvSK_
    .private_segment_fixed_size: 0
    .sgpr_count:     4
    .sgpr_spill_count: 0
    .symbol:         _ZN7rocprim17ROCPRIM_400000_NS6detail17trampoline_kernelINS0_14default_configENS1_36segmented_radix_sort_config_selectorIblEEZNS1_25segmented_radix_sort_implIS3_Lb0EPKbPbPKlPlN2at6native12_GLOBAL__N_18offset_tEEE10hipError_tPvRmT1_PNSt15iterator_traitsISK_E10value_typeET2_T3_PNSL_ISQ_E10value_typeET4_jRbjT5_SW_jjP12ihipStream_tbEUlT_E2_NS1_11comp_targetILNS1_3genE0ELNS1_11target_archE4294967295ELNS1_3gpuE0ELNS1_3repE0EEENS1_30default_config_static_selectorELNS0_4arch9wavefront6targetE1EEEvSK_.kd
    .uniform_work_group_size: 1
    .uses_dynamic_stack: false
    .vgpr_count:     0
    .vgpr_spill_count: 0
    .wavefront_size: 64
  - .agpr_count:     0
    .args:
      - .offset:         0
        .size:           80
        .value_kind:     by_value
    .group_segment_fixed_size: 0
    .kernarg_segment_align: 8
    .kernarg_segment_size: 80
    .language:       OpenCL C
    .language_version:
      - 2
      - 0
    .max_flat_workgroup_size: 256
    .name:           _ZN7rocprim17ROCPRIM_400000_NS6detail17trampoline_kernelINS0_14default_configENS1_36segmented_radix_sort_config_selectorIblEEZNS1_25segmented_radix_sort_implIS3_Lb0EPKbPbPKlPlN2at6native12_GLOBAL__N_18offset_tEEE10hipError_tPvRmT1_PNSt15iterator_traitsISK_E10value_typeET2_T3_PNSL_ISQ_E10value_typeET4_jRbjT5_SW_jjP12ihipStream_tbEUlT_E2_NS1_11comp_targetILNS1_3genE5ELNS1_11target_archE942ELNS1_3gpuE9ELNS1_3repE0EEENS1_30default_config_static_selectorELNS0_4arch9wavefront6targetE1EEEvSK_
    .private_segment_fixed_size: 0
    .sgpr_count:     4
    .sgpr_spill_count: 0
    .symbol:         _ZN7rocprim17ROCPRIM_400000_NS6detail17trampoline_kernelINS0_14default_configENS1_36segmented_radix_sort_config_selectorIblEEZNS1_25segmented_radix_sort_implIS3_Lb0EPKbPbPKlPlN2at6native12_GLOBAL__N_18offset_tEEE10hipError_tPvRmT1_PNSt15iterator_traitsISK_E10value_typeET2_T3_PNSL_ISQ_E10value_typeET4_jRbjT5_SW_jjP12ihipStream_tbEUlT_E2_NS1_11comp_targetILNS1_3genE5ELNS1_11target_archE942ELNS1_3gpuE9ELNS1_3repE0EEENS1_30default_config_static_selectorELNS0_4arch9wavefront6targetE1EEEvSK_.kd
    .uniform_work_group_size: 1
    .uses_dynamic_stack: false
    .vgpr_count:     0
    .vgpr_spill_count: 0
    .wavefront_size: 64
  - .agpr_count:     0
    .args:
      - .offset:         0
        .size:           80
        .value_kind:     by_value
      - .offset:         80
        .size:           4
        .value_kind:     hidden_block_count_x
      - .offset:         84
        .size:           4
        .value_kind:     hidden_block_count_y
      - .offset:         88
        .size:           4
        .value_kind:     hidden_block_count_z
      - .offset:         92
        .size:           2
        .value_kind:     hidden_group_size_x
      - .offset:         94
        .size:           2
        .value_kind:     hidden_group_size_y
      - .offset:         96
        .size:           2
        .value_kind:     hidden_group_size_z
      - .offset:         98
        .size:           2
        .value_kind:     hidden_remainder_x
      - .offset:         100
        .size:           2
        .value_kind:     hidden_remainder_y
      - .offset:         102
        .size:           2
        .value_kind:     hidden_remainder_z
      - .offset:         120
        .size:           8
        .value_kind:     hidden_global_offset_x
      - .offset:         128
        .size:           8
        .value_kind:     hidden_global_offset_y
      - .offset:         136
        .size:           8
        .value_kind:     hidden_global_offset_z
      - .offset:         144
        .size:           2
        .value_kind:     hidden_grid_dims
      - .offset:         160
        .size:           8
        .value_kind:     hidden_hostcall_buffer
      - .offset:         168
        .size:           8
        .value_kind:     hidden_multigrid_sync_arg
      - .offset:         176
        .size:           8
        .value_kind:     hidden_heap_v1
      - .offset:         184
        .size:           8
        .value_kind:     hidden_default_queue
      - .offset:         192
        .size:           8
        .value_kind:     hidden_completion_action
      - .offset:         280
        .size:           8
        .value_kind:     hidden_queue_ptr
    .group_segment_fixed_size: 17424
    .kernarg_segment_align: 8
    .kernarg_segment_size: 336
    .language:       OpenCL C
    .language_version:
      - 2
      - 0
    .max_flat_workgroup_size: 256
    .name:           _ZN7rocprim17ROCPRIM_400000_NS6detail17trampoline_kernelINS0_14default_configENS1_36segmented_radix_sort_config_selectorIblEEZNS1_25segmented_radix_sort_implIS3_Lb0EPKbPbPKlPlN2at6native12_GLOBAL__N_18offset_tEEE10hipError_tPvRmT1_PNSt15iterator_traitsISK_E10value_typeET2_T3_PNSL_ISQ_E10value_typeET4_jRbjT5_SW_jjP12ihipStream_tbEUlT_E2_NS1_11comp_targetILNS1_3genE4ELNS1_11target_archE910ELNS1_3gpuE8ELNS1_3repE0EEENS1_30default_config_static_selectorELNS0_4arch9wavefront6targetE1EEEvSK_
    .private_segment_fixed_size: 8
    .sgpr_count:     86
    .sgpr_spill_count: 0
    .symbol:         _ZN7rocprim17ROCPRIM_400000_NS6detail17trampoline_kernelINS0_14default_configENS1_36segmented_radix_sort_config_selectorIblEEZNS1_25segmented_radix_sort_implIS3_Lb0EPKbPbPKlPlN2at6native12_GLOBAL__N_18offset_tEEE10hipError_tPvRmT1_PNSt15iterator_traitsISK_E10value_typeET2_T3_PNSL_ISQ_E10value_typeET4_jRbjT5_SW_jjP12ihipStream_tbEUlT_E2_NS1_11comp_targetILNS1_3genE4ELNS1_11target_archE910ELNS1_3gpuE8ELNS1_3repE0EEENS1_30default_config_static_selectorELNS0_4arch9wavefront6targetE1EEEvSK_.kd
    .uniform_work_group_size: 1
    .uses_dynamic_stack: false
    .vgpr_count:     179
    .vgpr_spill_count: 0
    .wavefront_size: 64
  - .agpr_count:     0
    .args:
      - .offset:         0
        .size:           80
        .value_kind:     by_value
    .group_segment_fixed_size: 0
    .kernarg_segment_align: 8
    .kernarg_segment_size: 80
    .language:       OpenCL C
    .language_version:
      - 2
      - 0
    .max_flat_workgroup_size: 256
    .name:           _ZN7rocprim17ROCPRIM_400000_NS6detail17trampoline_kernelINS0_14default_configENS1_36segmented_radix_sort_config_selectorIblEEZNS1_25segmented_radix_sort_implIS3_Lb0EPKbPbPKlPlN2at6native12_GLOBAL__N_18offset_tEEE10hipError_tPvRmT1_PNSt15iterator_traitsISK_E10value_typeET2_T3_PNSL_ISQ_E10value_typeET4_jRbjT5_SW_jjP12ihipStream_tbEUlT_E2_NS1_11comp_targetILNS1_3genE3ELNS1_11target_archE908ELNS1_3gpuE7ELNS1_3repE0EEENS1_30default_config_static_selectorELNS0_4arch9wavefront6targetE1EEEvSK_
    .private_segment_fixed_size: 0
    .sgpr_count:     4
    .sgpr_spill_count: 0
    .symbol:         _ZN7rocprim17ROCPRIM_400000_NS6detail17trampoline_kernelINS0_14default_configENS1_36segmented_radix_sort_config_selectorIblEEZNS1_25segmented_radix_sort_implIS3_Lb0EPKbPbPKlPlN2at6native12_GLOBAL__N_18offset_tEEE10hipError_tPvRmT1_PNSt15iterator_traitsISK_E10value_typeET2_T3_PNSL_ISQ_E10value_typeET4_jRbjT5_SW_jjP12ihipStream_tbEUlT_E2_NS1_11comp_targetILNS1_3genE3ELNS1_11target_archE908ELNS1_3gpuE7ELNS1_3repE0EEENS1_30default_config_static_selectorELNS0_4arch9wavefront6targetE1EEEvSK_.kd
    .uniform_work_group_size: 1
    .uses_dynamic_stack: false
    .vgpr_count:     0
    .vgpr_spill_count: 0
    .wavefront_size: 64
  - .agpr_count:     0
    .args:
      - .offset:         0
        .size:           80
        .value_kind:     by_value
    .group_segment_fixed_size: 0
    .kernarg_segment_align: 8
    .kernarg_segment_size: 80
    .language:       OpenCL C
    .language_version:
      - 2
      - 0
    .max_flat_workgroup_size: 256
    .name:           _ZN7rocprim17ROCPRIM_400000_NS6detail17trampoline_kernelINS0_14default_configENS1_36segmented_radix_sort_config_selectorIblEEZNS1_25segmented_radix_sort_implIS3_Lb0EPKbPbPKlPlN2at6native12_GLOBAL__N_18offset_tEEE10hipError_tPvRmT1_PNSt15iterator_traitsISK_E10value_typeET2_T3_PNSL_ISQ_E10value_typeET4_jRbjT5_SW_jjP12ihipStream_tbEUlT_E2_NS1_11comp_targetILNS1_3genE2ELNS1_11target_archE906ELNS1_3gpuE6ELNS1_3repE0EEENS1_30default_config_static_selectorELNS0_4arch9wavefront6targetE1EEEvSK_
    .private_segment_fixed_size: 0
    .sgpr_count:     4
    .sgpr_spill_count: 0
    .symbol:         _ZN7rocprim17ROCPRIM_400000_NS6detail17trampoline_kernelINS0_14default_configENS1_36segmented_radix_sort_config_selectorIblEEZNS1_25segmented_radix_sort_implIS3_Lb0EPKbPbPKlPlN2at6native12_GLOBAL__N_18offset_tEEE10hipError_tPvRmT1_PNSt15iterator_traitsISK_E10value_typeET2_T3_PNSL_ISQ_E10value_typeET4_jRbjT5_SW_jjP12ihipStream_tbEUlT_E2_NS1_11comp_targetILNS1_3genE2ELNS1_11target_archE906ELNS1_3gpuE6ELNS1_3repE0EEENS1_30default_config_static_selectorELNS0_4arch9wavefront6targetE1EEEvSK_.kd
    .uniform_work_group_size: 1
    .uses_dynamic_stack: false
    .vgpr_count:     0
    .vgpr_spill_count: 0
    .wavefront_size: 64
  - .agpr_count:     0
    .args:
      - .offset:         0
        .size:           80
        .value_kind:     by_value
    .group_segment_fixed_size: 0
    .kernarg_segment_align: 8
    .kernarg_segment_size: 80
    .language:       OpenCL C
    .language_version:
      - 2
      - 0
    .max_flat_workgroup_size: 256
    .name:           _ZN7rocprim17ROCPRIM_400000_NS6detail17trampoline_kernelINS0_14default_configENS1_36segmented_radix_sort_config_selectorIblEEZNS1_25segmented_radix_sort_implIS3_Lb0EPKbPbPKlPlN2at6native12_GLOBAL__N_18offset_tEEE10hipError_tPvRmT1_PNSt15iterator_traitsISK_E10value_typeET2_T3_PNSL_ISQ_E10value_typeET4_jRbjT5_SW_jjP12ihipStream_tbEUlT_E2_NS1_11comp_targetILNS1_3genE10ELNS1_11target_archE1201ELNS1_3gpuE5ELNS1_3repE0EEENS1_30default_config_static_selectorELNS0_4arch9wavefront6targetE1EEEvSK_
    .private_segment_fixed_size: 0
    .sgpr_count:     4
    .sgpr_spill_count: 0
    .symbol:         _ZN7rocprim17ROCPRIM_400000_NS6detail17trampoline_kernelINS0_14default_configENS1_36segmented_radix_sort_config_selectorIblEEZNS1_25segmented_radix_sort_implIS3_Lb0EPKbPbPKlPlN2at6native12_GLOBAL__N_18offset_tEEE10hipError_tPvRmT1_PNSt15iterator_traitsISK_E10value_typeET2_T3_PNSL_ISQ_E10value_typeET4_jRbjT5_SW_jjP12ihipStream_tbEUlT_E2_NS1_11comp_targetILNS1_3genE10ELNS1_11target_archE1201ELNS1_3gpuE5ELNS1_3repE0EEENS1_30default_config_static_selectorELNS0_4arch9wavefront6targetE1EEEvSK_.kd
    .uniform_work_group_size: 1
    .uses_dynamic_stack: false
    .vgpr_count:     0
    .vgpr_spill_count: 0
    .wavefront_size: 64
  - .agpr_count:     0
    .args:
      - .offset:         0
        .size:           80
        .value_kind:     by_value
    .group_segment_fixed_size: 0
    .kernarg_segment_align: 8
    .kernarg_segment_size: 80
    .language:       OpenCL C
    .language_version:
      - 2
      - 0
    .max_flat_workgroup_size: 128
    .name:           _ZN7rocprim17ROCPRIM_400000_NS6detail17trampoline_kernelINS0_14default_configENS1_36segmented_radix_sort_config_selectorIblEEZNS1_25segmented_radix_sort_implIS3_Lb0EPKbPbPKlPlN2at6native12_GLOBAL__N_18offset_tEEE10hipError_tPvRmT1_PNSt15iterator_traitsISK_E10value_typeET2_T3_PNSL_ISQ_E10value_typeET4_jRbjT5_SW_jjP12ihipStream_tbEUlT_E2_NS1_11comp_targetILNS1_3genE10ELNS1_11target_archE1200ELNS1_3gpuE4ELNS1_3repE0EEENS1_30default_config_static_selectorELNS0_4arch9wavefront6targetE1EEEvSK_
    .private_segment_fixed_size: 0
    .sgpr_count:     4
    .sgpr_spill_count: 0
    .symbol:         _ZN7rocprim17ROCPRIM_400000_NS6detail17trampoline_kernelINS0_14default_configENS1_36segmented_radix_sort_config_selectorIblEEZNS1_25segmented_radix_sort_implIS3_Lb0EPKbPbPKlPlN2at6native12_GLOBAL__N_18offset_tEEE10hipError_tPvRmT1_PNSt15iterator_traitsISK_E10value_typeET2_T3_PNSL_ISQ_E10value_typeET4_jRbjT5_SW_jjP12ihipStream_tbEUlT_E2_NS1_11comp_targetILNS1_3genE10ELNS1_11target_archE1200ELNS1_3gpuE4ELNS1_3repE0EEENS1_30default_config_static_selectorELNS0_4arch9wavefront6targetE1EEEvSK_.kd
    .uniform_work_group_size: 1
    .uses_dynamic_stack: false
    .vgpr_count:     0
    .vgpr_spill_count: 0
    .wavefront_size: 64
  - .agpr_count:     0
    .args:
      - .offset:         0
        .size:           80
        .value_kind:     by_value
    .group_segment_fixed_size: 0
    .kernarg_segment_align: 8
    .kernarg_segment_size: 80
    .language:       OpenCL C
    .language_version:
      - 2
      - 0
    .max_flat_workgroup_size: 256
    .name:           _ZN7rocprim17ROCPRIM_400000_NS6detail17trampoline_kernelINS0_14default_configENS1_36segmented_radix_sort_config_selectorIblEEZNS1_25segmented_radix_sort_implIS3_Lb0EPKbPbPKlPlN2at6native12_GLOBAL__N_18offset_tEEE10hipError_tPvRmT1_PNSt15iterator_traitsISK_E10value_typeET2_T3_PNSL_ISQ_E10value_typeET4_jRbjT5_SW_jjP12ihipStream_tbEUlT_E2_NS1_11comp_targetILNS1_3genE9ELNS1_11target_archE1100ELNS1_3gpuE3ELNS1_3repE0EEENS1_30default_config_static_selectorELNS0_4arch9wavefront6targetE1EEEvSK_
    .private_segment_fixed_size: 0
    .sgpr_count:     4
    .sgpr_spill_count: 0
    .symbol:         _ZN7rocprim17ROCPRIM_400000_NS6detail17trampoline_kernelINS0_14default_configENS1_36segmented_radix_sort_config_selectorIblEEZNS1_25segmented_radix_sort_implIS3_Lb0EPKbPbPKlPlN2at6native12_GLOBAL__N_18offset_tEEE10hipError_tPvRmT1_PNSt15iterator_traitsISK_E10value_typeET2_T3_PNSL_ISQ_E10value_typeET4_jRbjT5_SW_jjP12ihipStream_tbEUlT_E2_NS1_11comp_targetILNS1_3genE9ELNS1_11target_archE1100ELNS1_3gpuE3ELNS1_3repE0EEENS1_30default_config_static_selectorELNS0_4arch9wavefront6targetE1EEEvSK_.kd
    .uniform_work_group_size: 1
    .uses_dynamic_stack: false
    .vgpr_count:     0
    .vgpr_spill_count: 0
    .wavefront_size: 64
  - .agpr_count:     0
    .args:
      - .offset:         0
        .size:           80
        .value_kind:     by_value
    .group_segment_fixed_size: 0
    .kernarg_segment_align: 8
    .kernarg_segment_size: 80
    .language:       OpenCL C
    .language_version:
      - 2
      - 0
    .max_flat_workgroup_size: 256
    .name:           _ZN7rocprim17ROCPRIM_400000_NS6detail17trampoline_kernelINS0_14default_configENS1_36segmented_radix_sort_config_selectorIblEEZNS1_25segmented_radix_sort_implIS3_Lb0EPKbPbPKlPlN2at6native12_GLOBAL__N_18offset_tEEE10hipError_tPvRmT1_PNSt15iterator_traitsISK_E10value_typeET2_T3_PNSL_ISQ_E10value_typeET4_jRbjT5_SW_jjP12ihipStream_tbEUlT_E2_NS1_11comp_targetILNS1_3genE8ELNS1_11target_archE1030ELNS1_3gpuE2ELNS1_3repE0EEENS1_30default_config_static_selectorELNS0_4arch9wavefront6targetE1EEEvSK_
    .private_segment_fixed_size: 0
    .sgpr_count:     4
    .sgpr_spill_count: 0
    .symbol:         _ZN7rocprim17ROCPRIM_400000_NS6detail17trampoline_kernelINS0_14default_configENS1_36segmented_radix_sort_config_selectorIblEEZNS1_25segmented_radix_sort_implIS3_Lb0EPKbPbPKlPlN2at6native12_GLOBAL__N_18offset_tEEE10hipError_tPvRmT1_PNSt15iterator_traitsISK_E10value_typeET2_T3_PNSL_ISQ_E10value_typeET4_jRbjT5_SW_jjP12ihipStream_tbEUlT_E2_NS1_11comp_targetILNS1_3genE8ELNS1_11target_archE1030ELNS1_3gpuE2ELNS1_3repE0EEENS1_30default_config_static_selectorELNS0_4arch9wavefront6targetE1EEEvSK_.kd
    .uniform_work_group_size: 1
    .uses_dynamic_stack: false
    .vgpr_count:     0
    .vgpr_spill_count: 0
    .wavefront_size: 64
  - .agpr_count:     0
    .args:
      - .address_space:  global
        .offset:         0
        .size:           8
        .value_kind:     global_buffer
      - .address_space:  global
        .offset:         8
        .size:           8
        .value_kind:     global_buffer
      - .address_space:  global
        .offset:         16
        .size:           8
        .value_kind:     global_buffer
      - .address_space:  global
        .offset:         24
        .size:           8
        .value_kind:     global_buffer
      - .offset:         32
        .size:           4
        .value_kind:     by_value
      - .offset:         36
        .size:           4
        .value_kind:     by_value
      - .offset:         40
        .size:           4
        .value_kind:     hidden_block_count_x
      - .offset:         44
        .size:           4
        .value_kind:     hidden_block_count_y
      - .offset:         48
        .size:           4
        .value_kind:     hidden_block_count_z
      - .offset:         52
        .size:           2
        .value_kind:     hidden_group_size_x
      - .offset:         54
        .size:           2
        .value_kind:     hidden_group_size_y
      - .offset:         56
        .size:           2
        .value_kind:     hidden_group_size_z
      - .offset:         58
        .size:           2
        .value_kind:     hidden_remainder_x
      - .offset:         60
        .size:           2
        .value_kind:     hidden_remainder_y
      - .offset:         62
        .size:           2
        .value_kind:     hidden_remainder_z
      - .offset:         80
        .size:           8
        .value_kind:     hidden_global_offset_x
      - .offset:         88
        .size:           8
        .value_kind:     hidden_global_offset_y
      - .offset:         96
        .size:           8
        .value_kind:     hidden_global_offset_z
      - .offset:         104
        .size:           2
        .value_kind:     hidden_grid_dims
    .group_segment_fixed_size: 0
    .kernarg_segment_align: 8
    .kernarg_segment_size: 296
    .language:       OpenCL C
    .language_version:
      - 2
      - 0
    .max_flat_workgroup_size: 1024
    .name:           _ZN2at6native12_GLOBAL__N_123sort_postprocess_kernelIN3c104HalfEEEvPKT_PS5_PlPK15HIP_vector_typeIiLj2EEii
    .private_segment_fixed_size: 0
    .sgpr_count:     22
    .sgpr_spill_count: 0
    .symbol:         _ZN2at6native12_GLOBAL__N_123sort_postprocess_kernelIN3c104HalfEEEvPKT_PS5_PlPK15HIP_vector_typeIiLj2EEii.kd
    .uniform_work_group_size: 1
    .uses_dynamic_stack: false
    .vgpr_count:     22
    .vgpr_spill_count: 0
    .wavefront_size: 64
  - .agpr_count:     0
    .args:
      - .offset:         0
        .size:           176
        .value_kind:     by_value
    .group_segment_fixed_size: 0
    .kernarg_segment_align: 8
    .kernarg_segment_size: 176
    .language:       OpenCL C
    .language_version:
      - 2
      - 0
    .max_flat_workgroup_size: 256
    .name:           _ZN7rocprim17ROCPRIM_400000_NS6detail17trampoline_kernelINS0_13select_configILj256ELj13ELNS0_17block_load_methodE3ELS4_3ELS4_3ELNS0_20block_scan_algorithmE0ELj4294967295EEENS1_25partition_config_selectorILNS1_17partition_subalgoE4EjNS0_10empty_typeEbEEZZNS1_14partition_implILS8_4ELb0ES6_15HIP_vector_typeIjLj2EENS0_17counting_iteratorIjlEEPS9_SG_NS0_5tupleIJPjSI_NS0_16reverse_iteratorISI_EEEEENSH_IJSG_SG_SG_EEES9_SI_JZNS1_25segmented_radix_sort_implINS0_14default_configELb1EPK6__halfPSP_PKlPlN2at6native12_GLOBAL__N_18offset_tEEE10hipError_tPvRmT1_PNSt15iterator_traitsIS13_E10value_typeET2_T3_PNS14_IS19_E10value_typeET4_jRbjT5_S1F_jjP12ihipStream_tbEUljE_ZNSN_ISO_Lb1ESR_SS_SU_SV_SZ_EES10_S11_S12_S13_S17_S18_S19_S1C_S1D_jS1E_jS1F_S1F_jjS1H_bEUljE0_EEES10_S11_S12_S19_S1D_S1F_T6_T7_T9_mT8_S1H_bDpT10_ENKUlT_T0_E_clISt17integral_constantIbLb0EES1V_EEDaS1Q_S1R_EUlS1Q_E_NS1_11comp_targetILNS1_3genE0ELNS1_11target_archE4294967295ELNS1_3gpuE0ELNS1_3repE0EEENS1_30default_config_static_selectorELNS0_4arch9wavefront6targetE1EEEvS13_
    .private_segment_fixed_size: 0
    .sgpr_count:     4
    .sgpr_spill_count: 0
    .symbol:         _ZN7rocprim17ROCPRIM_400000_NS6detail17trampoline_kernelINS0_13select_configILj256ELj13ELNS0_17block_load_methodE3ELS4_3ELS4_3ELNS0_20block_scan_algorithmE0ELj4294967295EEENS1_25partition_config_selectorILNS1_17partition_subalgoE4EjNS0_10empty_typeEbEEZZNS1_14partition_implILS8_4ELb0ES6_15HIP_vector_typeIjLj2EENS0_17counting_iteratorIjlEEPS9_SG_NS0_5tupleIJPjSI_NS0_16reverse_iteratorISI_EEEEENSH_IJSG_SG_SG_EEES9_SI_JZNS1_25segmented_radix_sort_implINS0_14default_configELb1EPK6__halfPSP_PKlPlN2at6native12_GLOBAL__N_18offset_tEEE10hipError_tPvRmT1_PNSt15iterator_traitsIS13_E10value_typeET2_T3_PNS14_IS19_E10value_typeET4_jRbjT5_S1F_jjP12ihipStream_tbEUljE_ZNSN_ISO_Lb1ESR_SS_SU_SV_SZ_EES10_S11_S12_S13_S17_S18_S19_S1C_S1D_jS1E_jS1F_S1F_jjS1H_bEUljE0_EEES10_S11_S12_S19_S1D_S1F_T6_T7_T9_mT8_S1H_bDpT10_ENKUlT_T0_E_clISt17integral_constantIbLb0EES1V_EEDaS1Q_S1R_EUlS1Q_E_NS1_11comp_targetILNS1_3genE0ELNS1_11target_archE4294967295ELNS1_3gpuE0ELNS1_3repE0EEENS1_30default_config_static_selectorELNS0_4arch9wavefront6targetE1EEEvS13_.kd
    .uniform_work_group_size: 1
    .uses_dynamic_stack: false
    .vgpr_count:     0
    .vgpr_spill_count: 0
    .wavefront_size: 64
  - .agpr_count:     0
    .args:
      - .offset:         0
        .size:           176
        .value_kind:     by_value
    .group_segment_fixed_size: 0
    .kernarg_segment_align: 8
    .kernarg_segment_size: 176
    .language:       OpenCL C
    .language_version:
      - 2
      - 0
    .max_flat_workgroup_size: 256
    .name:           _ZN7rocprim17ROCPRIM_400000_NS6detail17trampoline_kernelINS0_13select_configILj256ELj13ELNS0_17block_load_methodE3ELS4_3ELS4_3ELNS0_20block_scan_algorithmE0ELj4294967295EEENS1_25partition_config_selectorILNS1_17partition_subalgoE4EjNS0_10empty_typeEbEEZZNS1_14partition_implILS8_4ELb0ES6_15HIP_vector_typeIjLj2EENS0_17counting_iteratorIjlEEPS9_SG_NS0_5tupleIJPjSI_NS0_16reverse_iteratorISI_EEEEENSH_IJSG_SG_SG_EEES9_SI_JZNS1_25segmented_radix_sort_implINS0_14default_configELb1EPK6__halfPSP_PKlPlN2at6native12_GLOBAL__N_18offset_tEEE10hipError_tPvRmT1_PNSt15iterator_traitsIS13_E10value_typeET2_T3_PNS14_IS19_E10value_typeET4_jRbjT5_S1F_jjP12ihipStream_tbEUljE_ZNSN_ISO_Lb1ESR_SS_SU_SV_SZ_EES10_S11_S12_S13_S17_S18_S19_S1C_S1D_jS1E_jS1F_S1F_jjS1H_bEUljE0_EEES10_S11_S12_S19_S1D_S1F_T6_T7_T9_mT8_S1H_bDpT10_ENKUlT_T0_E_clISt17integral_constantIbLb0EES1V_EEDaS1Q_S1R_EUlS1Q_E_NS1_11comp_targetILNS1_3genE5ELNS1_11target_archE942ELNS1_3gpuE9ELNS1_3repE0EEENS1_30default_config_static_selectorELNS0_4arch9wavefront6targetE1EEEvS13_
    .private_segment_fixed_size: 0
    .sgpr_count:     4
    .sgpr_spill_count: 0
    .symbol:         _ZN7rocprim17ROCPRIM_400000_NS6detail17trampoline_kernelINS0_13select_configILj256ELj13ELNS0_17block_load_methodE3ELS4_3ELS4_3ELNS0_20block_scan_algorithmE0ELj4294967295EEENS1_25partition_config_selectorILNS1_17partition_subalgoE4EjNS0_10empty_typeEbEEZZNS1_14partition_implILS8_4ELb0ES6_15HIP_vector_typeIjLj2EENS0_17counting_iteratorIjlEEPS9_SG_NS0_5tupleIJPjSI_NS0_16reverse_iteratorISI_EEEEENSH_IJSG_SG_SG_EEES9_SI_JZNS1_25segmented_radix_sort_implINS0_14default_configELb1EPK6__halfPSP_PKlPlN2at6native12_GLOBAL__N_18offset_tEEE10hipError_tPvRmT1_PNSt15iterator_traitsIS13_E10value_typeET2_T3_PNS14_IS19_E10value_typeET4_jRbjT5_S1F_jjP12ihipStream_tbEUljE_ZNSN_ISO_Lb1ESR_SS_SU_SV_SZ_EES10_S11_S12_S13_S17_S18_S19_S1C_S1D_jS1E_jS1F_S1F_jjS1H_bEUljE0_EEES10_S11_S12_S19_S1D_S1F_T6_T7_T9_mT8_S1H_bDpT10_ENKUlT_T0_E_clISt17integral_constantIbLb0EES1V_EEDaS1Q_S1R_EUlS1Q_E_NS1_11comp_targetILNS1_3genE5ELNS1_11target_archE942ELNS1_3gpuE9ELNS1_3repE0EEENS1_30default_config_static_selectorELNS0_4arch9wavefront6targetE1EEEvS13_.kd
    .uniform_work_group_size: 1
    .uses_dynamic_stack: false
    .vgpr_count:     0
    .vgpr_spill_count: 0
    .wavefront_size: 64
  - .agpr_count:     0
    .args:
      - .offset:         0
        .size:           176
        .value_kind:     by_value
    .group_segment_fixed_size: 13340
    .kernarg_segment_align: 8
    .kernarg_segment_size: 176
    .language:       OpenCL C
    .language_version:
      - 2
      - 0
    .max_flat_workgroup_size: 256
    .name:           _ZN7rocprim17ROCPRIM_400000_NS6detail17trampoline_kernelINS0_13select_configILj256ELj13ELNS0_17block_load_methodE3ELS4_3ELS4_3ELNS0_20block_scan_algorithmE0ELj4294967295EEENS1_25partition_config_selectorILNS1_17partition_subalgoE4EjNS0_10empty_typeEbEEZZNS1_14partition_implILS8_4ELb0ES6_15HIP_vector_typeIjLj2EENS0_17counting_iteratorIjlEEPS9_SG_NS0_5tupleIJPjSI_NS0_16reverse_iteratorISI_EEEEENSH_IJSG_SG_SG_EEES9_SI_JZNS1_25segmented_radix_sort_implINS0_14default_configELb1EPK6__halfPSP_PKlPlN2at6native12_GLOBAL__N_18offset_tEEE10hipError_tPvRmT1_PNSt15iterator_traitsIS13_E10value_typeET2_T3_PNS14_IS19_E10value_typeET4_jRbjT5_S1F_jjP12ihipStream_tbEUljE_ZNSN_ISO_Lb1ESR_SS_SU_SV_SZ_EES10_S11_S12_S13_S17_S18_S19_S1C_S1D_jS1E_jS1F_S1F_jjS1H_bEUljE0_EEES10_S11_S12_S19_S1D_S1F_T6_T7_T9_mT8_S1H_bDpT10_ENKUlT_T0_E_clISt17integral_constantIbLb0EES1V_EEDaS1Q_S1R_EUlS1Q_E_NS1_11comp_targetILNS1_3genE4ELNS1_11target_archE910ELNS1_3gpuE8ELNS1_3repE0EEENS1_30default_config_static_selectorELNS0_4arch9wavefront6targetE1EEEvS13_
    .private_segment_fixed_size: 0
    .sgpr_count:     94
    .sgpr_spill_count: 0
    .symbol:         _ZN7rocprim17ROCPRIM_400000_NS6detail17trampoline_kernelINS0_13select_configILj256ELj13ELNS0_17block_load_methodE3ELS4_3ELS4_3ELNS0_20block_scan_algorithmE0ELj4294967295EEENS1_25partition_config_selectorILNS1_17partition_subalgoE4EjNS0_10empty_typeEbEEZZNS1_14partition_implILS8_4ELb0ES6_15HIP_vector_typeIjLj2EENS0_17counting_iteratorIjlEEPS9_SG_NS0_5tupleIJPjSI_NS0_16reverse_iteratorISI_EEEEENSH_IJSG_SG_SG_EEES9_SI_JZNS1_25segmented_radix_sort_implINS0_14default_configELb1EPK6__halfPSP_PKlPlN2at6native12_GLOBAL__N_18offset_tEEE10hipError_tPvRmT1_PNSt15iterator_traitsIS13_E10value_typeET2_T3_PNS14_IS19_E10value_typeET4_jRbjT5_S1F_jjP12ihipStream_tbEUljE_ZNSN_ISO_Lb1ESR_SS_SU_SV_SZ_EES10_S11_S12_S13_S17_S18_S19_S1C_S1D_jS1E_jS1F_S1F_jjS1H_bEUljE0_EEES10_S11_S12_S19_S1D_S1F_T6_T7_T9_mT8_S1H_bDpT10_ENKUlT_T0_E_clISt17integral_constantIbLb0EES1V_EEDaS1Q_S1R_EUlS1Q_E_NS1_11comp_targetILNS1_3genE4ELNS1_11target_archE910ELNS1_3gpuE8ELNS1_3repE0EEENS1_30default_config_static_selectorELNS0_4arch9wavefront6targetE1EEEvS13_.kd
    .uniform_work_group_size: 1
    .uses_dynamic_stack: false
    .vgpr_count:     102
    .vgpr_spill_count: 0
    .wavefront_size: 64
  - .agpr_count:     0
    .args:
      - .offset:         0
        .size:           176
        .value_kind:     by_value
    .group_segment_fixed_size: 0
    .kernarg_segment_align: 8
    .kernarg_segment_size: 176
    .language:       OpenCL C
    .language_version:
      - 2
      - 0
    .max_flat_workgroup_size: 256
    .name:           _ZN7rocprim17ROCPRIM_400000_NS6detail17trampoline_kernelINS0_13select_configILj256ELj13ELNS0_17block_load_methodE3ELS4_3ELS4_3ELNS0_20block_scan_algorithmE0ELj4294967295EEENS1_25partition_config_selectorILNS1_17partition_subalgoE4EjNS0_10empty_typeEbEEZZNS1_14partition_implILS8_4ELb0ES6_15HIP_vector_typeIjLj2EENS0_17counting_iteratorIjlEEPS9_SG_NS0_5tupleIJPjSI_NS0_16reverse_iteratorISI_EEEEENSH_IJSG_SG_SG_EEES9_SI_JZNS1_25segmented_radix_sort_implINS0_14default_configELb1EPK6__halfPSP_PKlPlN2at6native12_GLOBAL__N_18offset_tEEE10hipError_tPvRmT1_PNSt15iterator_traitsIS13_E10value_typeET2_T3_PNS14_IS19_E10value_typeET4_jRbjT5_S1F_jjP12ihipStream_tbEUljE_ZNSN_ISO_Lb1ESR_SS_SU_SV_SZ_EES10_S11_S12_S13_S17_S18_S19_S1C_S1D_jS1E_jS1F_S1F_jjS1H_bEUljE0_EEES10_S11_S12_S19_S1D_S1F_T6_T7_T9_mT8_S1H_bDpT10_ENKUlT_T0_E_clISt17integral_constantIbLb0EES1V_EEDaS1Q_S1R_EUlS1Q_E_NS1_11comp_targetILNS1_3genE3ELNS1_11target_archE908ELNS1_3gpuE7ELNS1_3repE0EEENS1_30default_config_static_selectorELNS0_4arch9wavefront6targetE1EEEvS13_
    .private_segment_fixed_size: 0
    .sgpr_count:     4
    .sgpr_spill_count: 0
    .symbol:         _ZN7rocprim17ROCPRIM_400000_NS6detail17trampoline_kernelINS0_13select_configILj256ELj13ELNS0_17block_load_methodE3ELS4_3ELS4_3ELNS0_20block_scan_algorithmE0ELj4294967295EEENS1_25partition_config_selectorILNS1_17partition_subalgoE4EjNS0_10empty_typeEbEEZZNS1_14partition_implILS8_4ELb0ES6_15HIP_vector_typeIjLj2EENS0_17counting_iteratorIjlEEPS9_SG_NS0_5tupleIJPjSI_NS0_16reverse_iteratorISI_EEEEENSH_IJSG_SG_SG_EEES9_SI_JZNS1_25segmented_radix_sort_implINS0_14default_configELb1EPK6__halfPSP_PKlPlN2at6native12_GLOBAL__N_18offset_tEEE10hipError_tPvRmT1_PNSt15iterator_traitsIS13_E10value_typeET2_T3_PNS14_IS19_E10value_typeET4_jRbjT5_S1F_jjP12ihipStream_tbEUljE_ZNSN_ISO_Lb1ESR_SS_SU_SV_SZ_EES10_S11_S12_S13_S17_S18_S19_S1C_S1D_jS1E_jS1F_S1F_jjS1H_bEUljE0_EEES10_S11_S12_S19_S1D_S1F_T6_T7_T9_mT8_S1H_bDpT10_ENKUlT_T0_E_clISt17integral_constantIbLb0EES1V_EEDaS1Q_S1R_EUlS1Q_E_NS1_11comp_targetILNS1_3genE3ELNS1_11target_archE908ELNS1_3gpuE7ELNS1_3repE0EEENS1_30default_config_static_selectorELNS0_4arch9wavefront6targetE1EEEvS13_.kd
    .uniform_work_group_size: 1
    .uses_dynamic_stack: false
    .vgpr_count:     0
    .vgpr_spill_count: 0
    .wavefront_size: 64
  - .agpr_count:     0
    .args:
      - .offset:         0
        .size:           176
        .value_kind:     by_value
    .group_segment_fixed_size: 0
    .kernarg_segment_align: 8
    .kernarg_segment_size: 176
    .language:       OpenCL C
    .language_version:
      - 2
      - 0
    .max_flat_workgroup_size: 256
    .name:           _ZN7rocprim17ROCPRIM_400000_NS6detail17trampoline_kernelINS0_13select_configILj256ELj13ELNS0_17block_load_methodE3ELS4_3ELS4_3ELNS0_20block_scan_algorithmE0ELj4294967295EEENS1_25partition_config_selectorILNS1_17partition_subalgoE4EjNS0_10empty_typeEbEEZZNS1_14partition_implILS8_4ELb0ES6_15HIP_vector_typeIjLj2EENS0_17counting_iteratorIjlEEPS9_SG_NS0_5tupleIJPjSI_NS0_16reverse_iteratorISI_EEEEENSH_IJSG_SG_SG_EEES9_SI_JZNS1_25segmented_radix_sort_implINS0_14default_configELb1EPK6__halfPSP_PKlPlN2at6native12_GLOBAL__N_18offset_tEEE10hipError_tPvRmT1_PNSt15iterator_traitsIS13_E10value_typeET2_T3_PNS14_IS19_E10value_typeET4_jRbjT5_S1F_jjP12ihipStream_tbEUljE_ZNSN_ISO_Lb1ESR_SS_SU_SV_SZ_EES10_S11_S12_S13_S17_S18_S19_S1C_S1D_jS1E_jS1F_S1F_jjS1H_bEUljE0_EEES10_S11_S12_S19_S1D_S1F_T6_T7_T9_mT8_S1H_bDpT10_ENKUlT_T0_E_clISt17integral_constantIbLb0EES1V_EEDaS1Q_S1R_EUlS1Q_E_NS1_11comp_targetILNS1_3genE2ELNS1_11target_archE906ELNS1_3gpuE6ELNS1_3repE0EEENS1_30default_config_static_selectorELNS0_4arch9wavefront6targetE1EEEvS13_
    .private_segment_fixed_size: 0
    .sgpr_count:     4
    .sgpr_spill_count: 0
    .symbol:         _ZN7rocprim17ROCPRIM_400000_NS6detail17trampoline_kernelINS0_13select_configILj256ELj13ELNS0_17block_load_methodE3ELS4_3ELS4_3ELNS0_20block_scan_algorithmE0ELj4294967295EEENS1_25partition_config_selectorILNS1_17partition_subalgoE4EjNS0_10empty_typeEbEEZZNS1_14partition_implILS8_4ELb0ES6_15HIP_vector_typeIjLj2EENS0_17counting_iteratorIjlEEPS9_SG_NS0_5tupleIJPjSI_NS0_16reverse_iteratorISI_EEEEENSH_IJSG_SG_SG_EEES9_SI_JZNS1_25segmented_radix_sort_implINS0_14default_configELb1EPK6__halfPSP_PKlPlN2at6native12_GLOBAL__N_18offset_tEEE10hipError_tPvRmT1_PNSt15iterator_traitsIS13_E10value_typeET2_T3_PNS14_IS19_E10value_typeET4_jRbjT5_S1F_jjP12ihipStream_tbEUljE_ZNSN_ISO_Lb1ESR_SS_SU_SV_SZ_EES10_S11_S12_S13_S17_S18_S19_S1C_S1D_jS1E_jS1F_S1F_jjS1H_bEUljE0_EEES10_S11_S12_S19_S1D_S1F_T6_T7_T9_mT8_S1H_bDpT10_ENKUlT_T0_E_clISt17integral_constantIbLb0EES1V_EEDaS1Q_S1R_EUlS1Q_E_NS1_11comp_targetILNS1_3genE2ELNS1_11target_archE906ELNS1_3gpuE6ELNS1_3repE0EEENS1_30default_config_static_selectorELNS0_4arch9wavefront6targetE1EEEvS13_.kd
    .uniform_work_group_size: 1
    .uses_dynamic_stack: false
    .vgpr_count:     0
    .vgpr_spill_count: 0
    .wavefront_size: 64
  - .agpr_count:     0
    .args:
      - .offset:         0
        .size:           176
        .value_kind:     by_value
    .group_segment_fixed_size: 0
    .kernarg_segment_align: 8
    .kernarg_segment_size: 176
    .language:       OpenCL C
    .language_version:
      - 2
      - 0
    .max_flat_workgroup_size: 256
    .name:           _ZN7rocprim17ROCPRIM_400000_NS6detail17trampoline_kernelINS0_13select_configILj256ELj13ELNS0_17block_load_methodE3ELS4_3ELS4_3ELNS0_20block_scan_algorithmE0ELj4294967295EEENS1_25partition_config_selectorILNS1_17partition_subalgoE4EjNS0_10empty_typeEbEEZZNS1_14partition_implILS8_4ELb0ES6_15HIP_vector_typeIjLj2EENS0_17counting_iteratorIjlEEPS9_SG_NS0_5tupleIJPjSI_NS0_16reverse_iteratorISI_EEEEENSH_IJSG_SG_SG_EEES9_SI_JZNS1_25segmented_radix_sort_implINS0_14default_configELb1EPK6__halfPSP_PKlPlN2at6native12_GLOBAL__N_18offset_tEEE10hipError_tPvRmT1_PNSt15iterator_traitsIS13_E10value_typeET2_T3_PNS14_IS19_E10value_typeET4_jRbjT5_S1F_jjP12ihipStream_tbEUljE_ZNSN_ISO_Lb1ESR_SS_SU_SV_SZ_EES10_S11_S12_S13_S17_S18_S19_S1C_S1D_jS1E_jS1F_S1F_jjS1H_bEUljE0_EEES10_S11_S12_S19_S1D_S1F_T6_T7_T9_mT8_S1H_bDpT10_ENKUlT_T0_E_clISt17integral_constantIbLb0EES1V_EEDaS1Q_S1R_EUlS1Q_E_NS1_11comp_targetILNS1_3genE10ELNS1_11target_archE1200ELNS1_3gpuE4ELNS1_3repE0EEENS1_30default_config_static_selectorELNS0_4arch9wavefront6targetE1EEEvS13_
    .private_segment_fixed_size: 0
    .sgpr_count:     4
    .sgpr_spill_count: 0
    .symbol:         _ZN7rocprim17ROCPRIM_400000_NS6detail17trampoline_kernelINS0_13select_configILj256ELj13ELNS0_17block_load_methodE3ELS4_3ELS4_3ELNS0_20block_scan_algorithmE0ELj4294967295EEENS1_25partition_config_selectorILNS1_17partition_subalgoE4EjNS0_10empty_typeEbEEZZNS1_14partition_implILS8_4ELb0ES6_15HIP_vector_typeIjLj2EENS0_17counting_iteratorIjlEEPS9_SG_NS0_5tupleIJPjSI_NS0_16reverse_iteratorISI_EEEEENSH_IJSG_SG_SG_EEES9_SI_JZNS1_25segmented_radix_sort_implINS0_14default_configELb1EPK6__halfPSP_PKlPlN2at6native12_GLOBAL__N_18offset_tEEE10hipError_tPvRmT1_PNSt15iterator_traitsIS13_E10value_typeET2_T3_PNS14_IS19_E10value_typeET4_jRbjT5_S1F_jjP12ihipStream_tbEUljE_ZNSN_ISO_Lb1ESR_SS_SU_SV_SZ_EES10_S11_S12_S13_S17_S18_S19_S1C_S1D_jS1E_jS1F_S1F_jjS1H_bEUljE0_EEES10_S11_S12_S19_S1D_S1F_T6_T7_T9_mT8_S1H_bDpT10_ENKUlT_T0_E_clISt17integral_constantIbLb0EES1V_EEDaS1Q_S1R_EUlS1Q_E_NS1_11comp_targetILNS1_3genE10ELNS1_11target_archE1200ELNS1_3gpuE4ELNS1_3repE0EEENS1_30default_config_static_selectorELNS0_4arch9wavefront6targetE1EEEvS13_.kd
    .uniform_work_group_size: 1
    .uses_dynamic_stack: false
    .vgpr_count:     0
    .vgpr_spill_count: 0
    .wavefront_size: 64
  - .agpr_count:     0
    .args:
      - .offset:         0
        .size:           176
        .value_kind:     by_value
    .group_segment_fixed_size: 0
    .kernarg_segment_align: 8
    .kernarg_segment_size: 176
    .language:       OpenCL C
    .language_version:
      - 2
      - 0
    .max_flat_workgroup_size: 256
    .name:           _ZN7rocprim17ROCPRIM_400000_NS6detail17trampoline_kernelINS0_13select_configILj256ELj13ELNS0_17block_load_methodE3ELS4_3ELS4_3ELNS0_20block_scan_algorithmE0ELj4294967295EEENS1_25partition_config_selectorILNS1_17partition_subalgoE4EjNS0_10empty_typeEbEEZZNS1_14partition_implILS8_4ELb0ES6_15HIP_vector_typeIjLj2EENS0_17counting_iteratorIjlEEPS9_SG_NS0_5tupleIJPjSI_NS0_16reverse_iteratorISI_EEEEENSH_IJSG_SG_SG_EEES9_SI_JZNS1_25segmented_radix_sort_implINS0_14default_configELb1EPK6__halfPSP_PKlPlN2at6native12_GLOBAL__N_18offset_tEEE10hipError_tPvRmT1_PNSt15iterator_traitsIS13_E10value_typeET2_T3_PNS14_IS19_E10value_typeET4_jRbjT5_S1F_jjP12ihipStream_tbEUljE_ZNSN_ISO_Lb1ESR_SS_SU_SV_SZ_EES10_S11_S12_S13_S17_S18_S19_S1C_S1D_jS1E_jS1F_S1F_jjS1H_bEUljE0_EEES10_S11_S12_S19_S1D_S1F_T6_T7_T9_mT8_S1H_bDpT10_ENKUlT_T0_E_clISt17integral_constantIbLb0EES1V_EEDaS1Q_S1R_EUlS1Q_E_NS1_11comp_targetILNS1_3genE9ELNS1_11target_archE1100ELNS1_3gpuE3ELNS1_3repE0EEENS1_30default_config_static_selectorELNS0_4arch9wavefront6targetE1EEEvS13_
    .private_segment_fixed_size: 0
    .sgpr_count:     4
    .sgpr_spill_count: 0
    .symbol:         _ZN7rocprim17ROCPRIM_400000_NS6detail17trampoline_kernelINS0_13select_configILj256ELj13ELNS0_17block_load_methodE3ELS4_3ELS4_3ELNS0_20block_scan_algorithmE0ELj4294967295EEENS1_25partition_config_selectorILNS1_17partition_subalgoE4EjNS0_10empty_typeEbEEZZNS1_14partition_implILS8_4ELb0ES6_15HIP_vector_typeIjLj2EENS0_17counting_iteratorIjlEEPS9_SG_NS0_5tupleIJPjSI_NS0_16reverse_iteratorISI_EEEEENSH_IJSG_SG_SG_EEES9_SI_JZNS1_25segmented_radix_sort_implINS0_14default_configELb1EPK6__halfPSP_PKlPlN2at6native12_GLOBAL__N_18offset_tEEE10hipError_tPvRmT1_PNSt15iterator_traitsIS13_E10value_typeET2_T3_PNS14_IS19_E10value_typeET4_jRbjT5_S1F_jjP12ihipStream_tbEUljE_ZNSN_ISO_Lb1ESR_SS_SU_SV_SZ_EES10_S11_S12_S13_S17_S18_S19_S1C_S1D_jS1E_jS1F_S1F_jjS1H_bEUljE0_EEES10_S11_S12_S19_S1D_S1F_T6_T7_T9_mT8_S1H_bDpT10_ENKUlT_T0_E_clISt17integral_constantIbLb0EES1V_EEDaS1Q_S1R_EUlS1Q_E_NS1_11comp_targetILNS1_3genE9ELNS1_11target_archE1100ELNS1_3gpuE3ELNS1_3repE0EEENS1_30default_config_static_selectorELNS0_4arch9wavefront6targetE1EEEvS13_.kd
    .uniform_work_group_size: 1
    .uses_dynamic_stack: false
    .vgpr_count:     0
    .vgpr_spill_count: 0
    .wavefront_size: 64
  - .agpr_count:     0
    .args:
      - .offset:         0
        .size:           176
        .value_kind:     by_value
    .group_segment_fixed_size: 0
    .kernarg_segment_align: 8
    .kernarg_segment_size: 176
    .language:       OpenCL C
    .language_version:
      - 2
      - 0
    .max_flat_workgroup_size: 256
    .name:           _ZN7rocprim17ROCPRIM_400000_NS6detail17trampoline_kernelINS0_13select_configILj256ELj13ELNS0_17block_load_methodE3ELS4_3ELS4_3ELNS0_20block_scan_algorithmE0ELj4294967295EEENS1_25partition_config_selectorILNS1_17partition_subalgoE4EjNS0_10empty_typeEbEEZZNS1_14partition_implILS8_4ELb0ES6_15HIP_vector_typeIjLj2EENS0_17counting_iteratorIjlEEPS9_SG_NS0_5tupleIJPjSI_NS0_16reverse_iteratorISI_EEEEENSH_IJSG_SG_SG_EEES9_SI_JZNS1_25segmented_radix_sort_implINS0_14default_configELb1EPK6__halfPSP_PKlPlN2at6native12_GLOBAL__N_18offset_tEEE10hipError_tPvRmT1_PNSt15iterator_traitsIS13_E10value_typeET2_T3_PNS14_IS19_E10value_typeET4_jRbjT5_S1F_jjP12ihipStream_tbEUljE_ZNSN_ISO_Lb1ESR_SS_SU_SV_SZ_EES10_S11_S12_S13_S17_S18_S19_S1C_S1D_jS1E_jS1F_S1F_jjS1H_bEUljE0_EEES10_S11_S12_S19_S1D_S1F_T6_T7_T9_mT8_S1H_bDpT10_ENKUlT_T0_E_clISt17integral_constantIbLb0EES1V_EEDaS1Q_S1R_EUlS1Q_E_NS1_11comp_targetILNS1_3genE8ELNS1_11target_archE1030ELNS1_3gpuE2ELNS1_3repE0EEENS1_30default_config_static_selectorELNS0_4arch9wavefront6targetE1EEEvS13_
    .private_segment_fixed_size: 0
    .sgpr_count:     4
    .sgpr_spill_count: 0
    .symbol:         _ZN7rocprim17ROCPRIM_400000_NS6detail17trampoline_kernelINS0_13select_configILj256ELj13ELNS0_17block_load_methodE3ELS4_3ELS4_3ELNS0_20block_scan_algorithmE0ELj4294967295EEENS1_25partition_config_selectorILNS1_17partition_subalgoE4EjNS0_10empty_typeEbEEZZNS1_14partition_implILS8_4ELb0ES6_15HIP_vector_typeIjLj2EENS0_17counting_iteratorIjlEEPS9_SG_NS0_5tupleIJPjSI_NS0_16reverse_iteratorISI_EEEEENSH_IJSG_SG_SG_EEES9_SI_JZNS1_25segmented_radix_sort_implINS0_14default_configELb1EPK6__halfPSP_PKlPlN2at6native12_GLOBAL__N_18offset_tEEE10hipError_tPvRmT1_PNSt15iterator_traitsIS13_E10value_typeET2_T3_PNS14_IS19_E10value_typeET4_jRbjT5_S1F_jjP12ihipStream_tbEUljE_ZNSN_ISO_Lb1ESR_SS_SU_SV_SZ_EES10_S11_S12_S13_S17_S18_S19_S1C_S1D_jS1E_jS1F_S1F_jjS1H_bEUljE0_EEES10_S11_S12_S19_S1D_S1F_T6_T7_T9_mT8_S1H_bDpT10_ENKUlT_T0_E_clISt17integral_constantIbLb0EES1V_EEDaS1Q_S1R_EUlS1Q_E_NS1_11comp_targetILNS1_3genE8ELNS1_11target_archE1030ELNS1_3gpuE2ELNS1_3repE0EEENS1_30default_config_static_selectorELNS0_4arch9wavefront6targetE1EEEvS13_.kd
    .uniform_work_group_size: 1
    .uses_dynamic_stack: false
    .vgpr_count:     0
    .vgpr_spill_count: 0
    .wavefront_size: 64
  - .agpr_count:     0
    .args:
      - .offset:         0
        .size:           184
        .value_kind:     by_value
    .group_segment_fixed_size: 0
    .kernarg_segment_align: 8
    .kernarg_segment_size: 184
    .language:       OpenCL C
    .language_version:
      - 2
      - 0
    .max_flat_workgroup_size: 256
    .name:           _ZN7rocprim17ROCPRIM_400000_NS6detail17trampoline_kernelINS0_13select_configILj256ELj13ELNS0_17block_load_methodE3ELS4_3ELS4_3ELNS0_20block_scan_algorithmE0ELj4294967295EEENS1_25partition_config_selectorILNS1_17partition_subalgoE4EjNS0_10empty_typeEbEEZZNS1_14partition_implILS8_4ELb0ES6_15HIP_vector_typeIjLj2EENS0_17counting_iteratorIjlEEPS9_SG_NS0_5tupleIJPjSI_NS0_16reverse_iteratorISI_EEEEENSH_IJSG_SG_SG_EEES9_SI_JZNS1_25segmented_radix_sort_implINS0_14default_configELb1EPK6__halfPSP_PKlPlN2at6native12_GLOBAL__N_18offset_tEEE10hipError_tPvRmT1_PNSt15iterator_traitsIS13_E10value_typeET2_T3_PNS14_IS19_E10value_typeET4_jRbjT5_S1F_jjP12ihipStream_tbEUljE_ZNSN_ISO_Lb1ESR_SS_SU_SV_SZ_EES10_S11_S12_S13_S17_S18_S19_S1C_S1D_jS1E_jS1F_S1F_jjS1H_bEUljE0_EEES10_S11_S12_S19_S1D_S1F_T6_T7_T9_mT8_S1H_bDpT10_ENKUlT_T0_E_clISt17integral_constantIbLb1EES1V_EEDaS1Q_S1R_EUlS1Q_E_NS1_11comp_targetILNS1_3genE0ELNS1_11target_archE4294967295ELNS1_3gpuE0ELNS1_3repE0EEENS1_30default_config_static_selectorELNS0_4arch9wavefront6targetE1EEEvS13_
    .private_segment_fixed_size: 0
    .sgpr_count:     4
    .sgpr_spill_count: 0
    .symbol:         _ZN7rocprim17ROCPRIM_400000_NS6detail17trampoline_kernelINS0_13select_configILj256ELj13ELNS0_17block_load_methodE3ELS4_3ELS4_3ELNS0_20block_scan_algorithmE0ELj4294967295EEENS1_25partition_config_selectorILNS1_17partition_subalgoE4EjNS0_10empty_typeEbEEZZNS1_14partition_implILS8_4ELb0ES6_15HIP_vector_typeIjLj2EENS0_17counting_iteratorIjlEEPS9_SG_NS0_5tupleIJPjSI_NS0_16reverse_iteratorISI_EEEEENSH_IJSG_SG_SG_EEES9_SI_JZNS1_25segmented_radix_sort_implINS0_14default_configELb1EPK6__halfPSP_PKlPlN2at6native12_GLOBAL__N_18offset_tEEE10hipError_tPvRmT1_PNSt15iterator_traitsIS13_E10value_typeET2_T3_PNS14_IS19_E10value_typeET4_jRbjT5_S1F_jjP12ihipStream_tbEUljE_ZNSN_ISO_Lb1ESR_SS_SU_SV_SZ_EES10_S11_S12_S13_S17_S18_S19_S1C_S1D_jS1E_jS1F_S1F_jjS1H_bEUljE0_EEES10_S11_S12_S19_S1D_S1F_T6_T7_T9_mT8_S1H_bDpT10_ENKUlT_T0_E_clISt17integral_constantIbLb1EES1V_EEDaS1Q_S1R_EUlS1Q_E_NS1_11comp_targetILNS1_3genE0ELNS1_11target_archE4294967295ELNS1_3gpuE0ELNS1_3repE0EEENS1_30default_config_static_selectorELNS0_4arch9wavefront6targetE1EEEvS13_.kd
    .uniform_work_group_size: 1
    .uses_dynamic_stack: false
    .vgpr_count:     0
    .vgpr_spill_count: 0
    .wavefront_size: 64
  - .agpr_count:     0
    .args:
      - .offset:         0
        .size:           184
        .value_kind:     by_value
    .group_segment_fixed_size: 0
    .kernarg_segment_align: 8
    .kernarg_segment_size: 184
    .language:       OpenCL C
    .language_version:
      - 2
      - 0
    .max_flat_workgroup_size: 256
    .name:           _ZN7rocprim17ROCPRIM_400000_NS6detail17trampoline_kernelINS0_13select_configILj256ELj13ELNS0_17block_load_methodE3ELS4_3ELS4_3ELNS0_20block_scan_algorithmE0ELj4294967295EEENS1_25partition_config_selectorILNS1_17partition_subalgoE4EjNS0_10empty_typeEbEEZZNS1_14partition_implILS8_4ELb0ES6_15HIP_vector_typeIjLj2EENS0_17counting_iteratorIjlEEPS9_SG_NS0_5tupleIJPjSI_NS0_16reverse_iteratorISI_EEEEENSH_IJSG_SG_SG_EEES9_SI_JZNS1_25segmented_radix_sort_implINS0_14default_configELb1EPK6__halfPSP_PKlPlN2at6native12_GLOBAL__N_18offset_tEEE10hipError_tPvRmT1_PNSt15iterator_traitsIS13_E10value_typeET2_T3_PNS14_IS19_E10value_typeET4_jRbjT5_S1F_jjP12ihipStream_tbEUljE_ZNSN_ISO_Lb1ESR_SS_SU_SV_SZ_EES10_S11_S12_S13_S17_S18_S19_S1C_S1D_jS1E_jS1F_S1F_jjS1H_bEUljE0_EEES10_S11_S12_S19_S1D_S1F_T6_T7_T9_mT8_S1H_bDpT10_ENKUlT_T0_E_clISt17integral_constantIbLb1EES1V_EEDaS1Q_S1R_EUlS1Q_E_NS1_11comp_targetILNS1_3genE5ELNS1_11target_archE942ELNS1_3gpuE9ELNS1_3repE0EEENS1_30default_config_static_selectorELNS0_4arch9wavefront6targetE1EEEvS13_
    .private_segment_fixed_size: 0
    .sgpr_count:     4
    .sgpr_spill_count: 0
    .symbol:         _ZN7rocprim17ROCPRIM_400000_NS6detail17trampoline_kernelINS0_13select_configILj256ELj13ELNS0_17block_load_methodE3ELS4_3ELS4_3ELNS0_20block_scan_algorithmE0ELj4294967295EEENS1_25partition_config_selectorILNS1_17partition_subalgoE4EjNS0_10empty_typeEbEEZZNS1_14partition_implILS8_4ELb0ES6_15HIP_vector_typeIjLj2EENS0_17counting_iteratorIjlEEPS9_SG_NS0_5tupleIJPjSI_NS0_16reverse_iteratorISI_EEEEENSH_IJSG_SG_SG_EEES9_SI_JZNS1_25segmented_radix_sort_implINS0_14default_configELb1EPK6__halfPSP_PKlPlN2at6native12_GLOBAL__N_18offset_tEEE10hipError_tPvRmT1_PNSt15iterator_traitsIS13_E10value_typeET2_T3_PNS14_IS19_E10value_typeET4_jRbjT5_S1F_jjP12ihipStream_tbEUljE_ZNSN_ISO_Lb1ESR_SS_SU_SV_SZ_EES10_S11_S12_S13_S17_S18_S19_S1C_S1D_jS1E_jS1F_S1F_jjS1H_bEUljE0_EEES10_S11_S12_S19_S1D_S1F_T6_T7_T9_mT8_S1H_bDpT10_ENKUlT_T0_E_clISt17integral_constantIbLb1EES1V_EEDaS1Q_S1R_EUlS1Q_E_NS1_11comp_targetILNS1_3genE5ELNS1_11target_archE942ELNS1_3gpuE9ELNS1_3repE0EEENS1_30default_config_static_selectorELNS0_4arch9wavefront6targetE1EEEvS13_.kd
    .uniform_work_group_size: 1
    .uses_dynamic_stack: false
    .vgpr_count:     0
    .vgpr_spill_count: 0
    .wavefront_size: 64
  - .agpr_count:     0
    .args:
      - .offset:         0
        .size:           184
        .value_kind:     by_value
    .group_segment_fixed_size: 13340
    .kernarg_segment_align: 8
    .kernarg_segment_size: 184
    .language:       OpenCL C
    .language_version:
      - 2
      - 0
    .max_flat_workgroup_size: 256
    .name:           _ZN7rocprim17ROCPRIM_400000_NS6detail17trampoline_kernelINS0_13select_configILj256ELj13ELNS0_17block_load_methodE3ELS4_3ELS4_3ELNS0_20block_scan_algorithmE0ELj4294967295EEENS1_25partition_config_selectorILNS1_17partition_subalgoE4EjNS0_10empty_typeEbEEZZNS1_14partition_implILS8_4ELb0ES6_15HIP_vector_typeIjLj2EENS0_17counting_iteratorIjlEEPS9_SG_NS0_5tupleIJPjSI_NS0_16reverse_iteratorISI_EEEEENSH_IJSG_SG_SG_EEES9_SI_JZNS1_25segmented_radix_sort_implINS0_14default_configELb1EPK6__halfPSP_PKlPlN2at6native12_GLOBAL__N_18offset_tEEE10hipError_tPvRmT1_PNSt15iterator_traitsIS13_E10value_typeET2_T3_PNS14_IS19_E10value_typeET4_jRbjT5_S1F_jjP12ihipStream_tbEUljE_ZNSN_ISO_Lb1ESR_SS_SU_SV_SZ_EES10_S11_S12_S13_S17_S18_S19_S1C_S1D_jS1E_jS1F_S1F_jjS1H_bEUljE0_EEES10_S11_S12_S19_S1D_S1F_T6_T7_T9_mT8_S1H_bDpT10_ENKUlT_T0_E_clISt17integral_constantIbLb1EES1V_EEDaS1Q_S1R_EUlS1Q_E_NS1_11comp_targetILNS1_3genE4ELNS1_11target_archE910ELNS1_3gpuE8ELNS1_3repE0EEENS1_30default_config_static_selectorELNS0_4arch9wavefront6targetE1EEEvS13_
    .private_segment_fixed_size: 0
    .sgpr_count:     91
    .sgpr_spill_count: 0
    .symbol:         _ZN7rocprim17ROCPRIM_400000_NS6detail17trampoline_kernelINS0_13select_configILj256ELj13ELNS0_17block_load_methodE3ELS4_3ELS4_3ELNS0_20block_scan_algorithmE0ELj4294967295EEENS1_25partition_config_selectorILNS1_17partition_subalgoE4EjNS0_10empty_typeEbEEZZNS1_14partition_implILS8_4ELb0ES6_15HIP_vector_typeIjLj2EENS0_17counting_iteratorIjlEEPS9_SG_NS0_5tupleIJPjSI_NS0_16reverse_iteratorISI_EEEEENSH_IJSG_SG_SG_EEES9_SI_JZNS1_25segmented_radix_sort_implINS0_14default_configELb1EPK6__halfPSP_PKlPlN2at6native12_GLOBAL__N_18offset_tEEE10hipError_tPvRmT1_PNSt15iterator_traitsIS13_E10value_typeET2_T3_PNS14_IS19_E10value_typeET4_jRbjT5_S1F_jjP12ihipStream_tbEUljE_ZNSN_ISO_Lb1ESR_SS_SU_SV_SZ_EES10_S11_S12_S13_S17_S18_S19_S1C_S1D_jS1E_jS1F_S1F_jjS1H_bEUljE0_EEES10_S11_S12_S19_S1D_S1F_T6_T7_T9_mT8_S1H_bDpT10_ENKUlT_T0_E_clISt17integral_constantIbLb1EES1V_EEDaS1Q_S1R_EUlS1Q_E_NS1_11comp_targetILNS1_3genE4ELNS1_11target_archE910ELNS1_3gpuE8ELNS1_3repE0EEENS1_30default_config_static_selectorELNS0_4arch9wavefront6targetE1EEEvS13_.kd
    .uniform_work_group_size: 1
    .uses_dynamic_stack: false
    .vgpr_count:     107
    .vgpr_spill_count: 0
    .wavefront_size: 64
  - .agpr_count:     0
    .args:
      - .offset:         0
        .size:           184
        .value_kind:     by_value
    .group_segment_fixed_size: 0
    .kernarg_segment_align: 8
    .kernarg_segment_size: 184
    .language:       OpenCL C
    .language_version:
      - 2
      - 0
    .max_flat_workgroup_size: 256
    .name:           _ZN7rocprim17ROCPRIM_400000_NS6detail17trampoline_kernelINS0_13select_configILj256ELj13ELNS0_17block_load_methodE3ELS4_3ELS4_3ELNS0_20block_scan_algorithmE0ELj4294967295EEENS1_25partition_config_selectorILNS1_17partition_subalgoE4EjNS0_10empty_typeEbEEZZNS1_14partition_implILS8_4ELb0ES6_15HIP_vector_typeIjLj2EENS0_17counting_iteratorIjlEEPS9_SG_NS0_5tupleIJPjSI_NS0_16reverse_iteratorISI_EEEEENSH_IJSG_SG_SG_EEES9_SI_JZNS1_25segmented_radix_sort_implINS0_14default_configELb1EPK6__halfPSP_PKlPlN2at6native12_GLOBAL__N_18offset_tEEE10hipError_tPvRmT1_PNSt15iterator_traitsIS13_E10value_typeET2_T3_PNS14_IS19_E10value_typeET4_jRbjT5_S1F_jjP12ihipStream_tbEUljE_ZNSN_ISO_Lb1ESR_SS_SU_SV_SZ_EES10_S11_S12_S13_S17_S18_S19_S1C_S1D_jS1E_jS1F_S1F_jjS1H_bEUljE0_EEES10_S11_S12_S19_S1D_S1F_T6_T7_T9_mT8_S1H_bDpT10_ENKUlT_T0_E_clISt17integral_constantIbLb1EES1V_EEDaS1Q_S1R_EUlS1Q_E_NS1_11comp_targetILNS1_3genE3ELNS1_11target_archE908ELNS1_3gpuE7ELNS1_3repE0EEENS1_30default_config_static_selectorELNS0_4arch9wavefront6targetE1EEEvS13_
    .private_segment_fixed_size: 0
    .sgpr_count:     4
    .sgpr_spill_count: 0
    .symbol:         _ZN7rocprim17ROCPRIM_400000_NS6detail17trampoline_kernelINS0_13select_configILj256ELj13ELNS0_17block_load_methodE3ELS4_3ELS4_3ELNS0_20block_scan_algorithmE0ELj4294967295EEENS1_25partition_config_selectorILNS1_17partition_subalgoE4EjNS0_10empty_typeEbEEZZNS1_14partition_implILS8_4ELb0ES6_15HIP_vector_typeIjLj2EENS0_17counting_iteratorIjlEEPS9_SG_NS0_5tupleIJPjSI_NS0_16reverse_iteratorISI_EEEEENSH_IJSG_SG_SG_EEES9_SI_JZNS1_25segmented_radix_sort_implINS0_14default_configELb1EPK6__halfPSP_PKlPlN2at6native12_GLOBAL__N_18offset_tEEE10hipError_tPvRmT1_PNSt15iterator_traitsIS13_E10value_typeET2_T3_PNS14_IS19_E10value_typeET4_jRbjT5_S1F_jjP12ihipStream_tbEUljE_ZNSN_ISO_Lb1ESR_SS_SU_SV_SZ_EES10_S11_S12_S13_S17_S18_S19_S1C_S1D_jS1E_jS1F_S1F_jjS1H_bEUljE0_EEES10_S11_S12_S19_S1D_S1F_T6_T7_T9_mT8_S1H_bDpT10_ENKUlT_T0_E_clISt17integral_constantIbLb1EES1V_EEDaS1Q_S1R_EUlS1Q_E_NS1_11comp_targetILNS1_3genE3ELNS1_11target_archE908ELNS1_3gpuE7ELNS1_3repE0EEENS1_30default_config_static_selectorELNS0_4arch9wavefront6targetE1EEEvS13_.kd
    .uniform_work_group_size: 1
    .uses_dynamic_stack: false
    .vgpr_count:     0
    .vgpr_spill_count: 0
    .wavefront_size: 64
  - .agpr_count:     0
    .args:
      - .offset:         0
        .size:           184
        .value_kind:     by_value
    .group_segment_fixed_size: 0
    .kernarg_segment_align: 8
    .kernarg_segment_size: 184
    .language:       OpenCL C
    .language_version:
      - 2
      - 0
    .max_flat_workgroup_size: 256
    .name:           _ZN7rocprim17ROCPRIM_400000_NS6detail17trampoline_kernelINS0_13select_configILj256ELj13ELNS0_17block_load_methodE3ELS4_3ELS4_3ELNS0_20block_scan_algorithmE0ELj4294967295EEENS1_25partition_config_selectorILNS1_17partition_subalgoE4EjNS0_10empty_typeEbEEZZNS1_14partition_implILS8_4ELb0ES6_15HIP_vector_typeIjLj2EENS0_17counting_iteratorIjlEEPS9_SG_NS0_5tupleIJPjSI_NS0_16reverse_iteratorISI_EEEEENSH_IJSG_SG_SG_EEES9_SI_JZNS1_25segmented_radix_sort_implINS0_14default_configELb1EPK6__halfPSP_PKlPlN2at6native12_GLOBAL__N_18offset_tEEE10hipError_tPvRmT1_PNSt15iterator_traitsIS13_E10value_typeET2_T3_PNS14_IS19_E10value_typeET4_jRbjT5_S1F_jjP12ihipStream_tbEUljE_ZNSN_ISO_Lb1ESR_SS_SU_SV_SZ_EES10_S11_S12_S13_S17_S18_S19_S1C_S1D_jS1E_jS1F_S1F_jjS1H_bEUljE0_EEES10_S11_S12_S19_S1D_S1F_T6_T7_T9_mT8_S1H_bDpT10_ENKUlT_T0_E_clISt17integral_constantIbLb1EES1V_EEDaS1Q_S1R_EUlS1Q_E_NS1_11comp_targetILNS1_3genE2ELNS1_11target_archE906ELNS1_3gpuE6ELNS1_3repE0EEENS1_30default_config_static_selectorELNS0_4arch9wavefront6targetE1EEEvS13_
    .private_segment_fixed_size: 0
    .sgpr_count:     4
    .sgpr_spill_count: 0
    .symbol:         _ZN7rocprim17ROCPRIM_400000_NS6detail17trampoline_kernelINS0_13select_configILj256ELj13ELNS0_17block_load_methodE3ELS4_3ELS4_3ELNS0_20block_scan_algorithmE0ELj4294967295EEENS1_25partition_config_selectorILNS1_17partition_subalgoE4EjNS0_10empty_typeEbEEZZNS1_14partition_implILS8_4ELb0ES6_15HIP_vector_typeIjLj2EENS0_17counting_iteratorIjlEEPS9_SG_NS0_5tupleIJPjSI_NS0_16reverse_iteratorISI_EEEEENSH_IJSG_SG_SG_EEES9_SI_JZNS1_25segmented_radix_sort_implINS0_14default_configELb1EPK6__halfPSP_PKlPlN2at6native12_GLOBAL__N_18offset_tEEE10hipError_tPvRmT1_PNSt15iterator_traitsIS13_E10value_typeET2_T3_PNS14_IS19_E10value_typeET4_jRbjT5_S1F_jjP12ihipStream_tbEUljE_ZNSN_ISO_Lb1ESR_SS_SU_SV_SZ_EES10_S11_S12_S13_S17_S18_S19_S1C_S1D_jS1E_jS1F_S1F_jjS1H_bEUljE0_EEES10_S11_S12_S19_S1D_S1F_T6_T7_T9_mT8_S1H_bDpT10_ENKUlT_T0_E_clISt17integral_constantIbLb1EES1V_EEDaS1Q_S1R_EUlS1Q_E_NS1_11comp_targetILNS1_3genE2ELNS1_11target_archE906ELNS1_3gpuE6ELNS1_3repE0EEENS1_30default_config_static_selectorELNS0_4arch9wavefront6targetE1EEEvS13_.kd
    .uniform_work_group_size: 1
    .uses_dynamic_stack: false
    .vgpr_count:     0
    .vgpr_spill_count: 0
    .wavefront_size: 64
  - .agpr_count:     0
    .args:
      - .offset:         0
        .size:           184
        .value_kind:     by_value
    .group_segment_fixed_size: 0
    .kernarg_segment_align: 8
    .kernarg_segment_size: 184
    .language:       OpenCL C
    .language_version:
      - 2
      - 0
    .max_flat_workgroup_size: 256
    .name:           _ZN7rocprim17ROCPRIM_400000_NS6detail17trampoline_kernelINS0_13select_configILj256ELj13ELNS0_17block_load_methodE3ELS4_3ELS4_3ELNS0_20block_scan_algorithmE0ELj4294967295EEENS1_25partition_config_selectorILNS1_17partition_subalgoE4EjNS0_10empty_typeEbEEZZNS1_14partition_implILS8_4ELb0ES6_15HIP_vector_typeIjLj2EENS0_17counting_iteratorIjlEEPS9_SG_NS0_5tupleIJPjSI_NS0_16reverse_iteratorISI_EEEEENSH_IJSG_SG_SG_EEES9_SI_JZNS1_25segmented_radix_sort_implINS0_14default_configELb1EPK6__halfPSP_PKlPlN2at6native12_GLOBAL__N_18offset_tEEE10hipError_tPvRmT1_PNSt15iterator_traitsIS13_E10value_typeET2_T3_PNS14_IS19_E10value_typeET4_jRbjT5_S1F_jjP12ihipStream_tbEUljE_ZNSN_ISO_Lb1ESR_SS_SU_SV_SZ_EES10_S11_S12_S13_S17_S18_S19_S1C_S1D_jS1E_jS1F_S1F_jjS1H_bEUljE0_EEES10_S11_S12_S19_S1D_S1F_T6_T7_T9_mT8_S1H_bDpT10_ENKUlT_T0_E_clISt17integral_constantIbLb1EES1V_EEDaS1Q_S1R_EUlS1Q_E_NS1_11comp_targetILNS1_3genE10ELNS1_11target_archE1200ELNS1_3gpuE4ELNS1_3repE0EEENS1_30default_config_static_selectorELNS0_4arch9wavefront6targetE1EEEvS13_
    .private_segment_fixed_size: 0
    .sgpr_count:     4
    .sgpr_spill_count: 0
    .symbol:         _ZN7rocprim17ROCPRIM_400000_NS6detail17trampoline_kernelINS0_13select_configILj256ELj13ELNS0_17block_load_methodE3ELS4_3ELS4_3ELNS0_20block_scan_algorithmE0ELj4294967295EEENS1_25partition_config_selectorILNS1_17partition_subalgoE4EjNS0_10empty_typeEbEEZZNS1_14partition_implILS8_4ELb0ES6_15HIP_vector_typeIjLj2EENS0_17counting_iteratorIjlEEPS9_SG_NS0_5tupleIJPjSI_NS0_16reverse_iteratorISI_EEEEENSH_IJSG_SG_SG_EEES9_SI_JZNS1_25segmented_radix_sort_implINS0_14default_configELb1EPK6__halfPSP_PKlPlN2at6native12_GLOBAL__N_18offset_tEEE10hipError_tPvRmT1_PNSt15iterator_traitsIS13_E10value_typeET2_T3_PNS14_IS19_E10value_typeET4_jRbjT5_S1F_jjP12ihipStream_tbEUljE_ZNSN_ISO_Lb1ESR_SS_SU_SV_SZ_EES10_S11_S12_S13_S17_S18_S19_S1C_S1D_jS1E_jS1F_S1F_jjS1H_bEUljE0_EEES10_S11_S12_S19_S1D_S1F_T6_T7_T9_mT8_S1H_bDpT10_ENKUlT_T0_E_clISt17integral_constantIbLb1EES1V_EEDaS1Q_S1R_EUlS1Q_E_NS1_11comp_targetILNS1_3genE10ELNS1_11target_archE1200ELNS1_3gpuE4ELNS1_3repE0EEENS1_30default_config_static_selectorELNS0_4arch9wavefront6targetE1EEEvS13_.kd
    .uniform_work_group_size: 1
    .uses_dynamic_stack: false
    .vgpr_count:     0
    .vgpr_spill_count: 0
    .wavefront_size: 64
  - .agpr_count:     0
    .args:
      - .offset:         0
        .size:           184
        .value_kind:     by_value
    .group_segment_fixed_size: 0
    .kernarg_segment_align: 8
    .kernarg_segment_size: 184
    .language:       OpenCL C
    .language_version:
      - 2
      - 0
    .max_flat_workgroup_size: 256
    .name:           _ZN7rocprim17ROCPRIM_400000_NS6detail17trampoline_kernelINS0_13select_configILj256ELj13ELNS0_17block_load_methodE3ELS4_3ELS4_3ELNS0_20block_scan_algorithmE0ELj4294967295EEENS1_25partition_config_selectorILNS1_17partition_subalgoE4EjNS0_10empty_typeEbEEZZNS1_14partition_implILS8_4ELb0ES6_15HIP_vector_typeIjLj2EENS0_17counting_iteratorIjlEEPS9_SG_NS0_5tupleIJPjSI_NS0_16reverse_iteratorISI_EEEEENSH_IJSG_SG_SG_EEES9_SI_JZNS1_25segmented_radix_sort_implINS0_14default_configELb1EPK6__halfPSP_PKlPlN2at6native12_GLOBAL__N_18offset_tEEE10hipError_tPvRmT1_PNSt15iterator_traitsIS13_E10value_typeET2_T3_PNS14_IS19_E10value_typeET4_jRbjT5_S1F_jjP12ihipStream_tbEUljE_ZNSN_ISO_Lb1ESR_SS_SU_SV_SZ_EES10_S11_S12_S13_S17_S18_S19_S1C_S1D_jS1E_jS1F_S1F_jjS1H_bEUljE0_EEES10_S11_S12_S19_S1D_S1F_T6_T7_T9_mT8_S1H_bDpT10_ENKUlT_T0_E_clISt17integral_constantIbLb1EES1V_EEDaS1Q_S1R_EUlS1Q_E_NS1_11comp_targetILNS1_3genE9ELNS1_11target_archE1100ELNS1_3gpuE3ELNS1_3repE0EEENS1_30default_config_static_selectorELNS0_4arch9wavefront6targetE1EEEvS13_
    .private_segment_fixed_size: 0
    .sgpr_count:     4
    .sgpr_spill_count: 0
    .symbol:         _ZN7rocprim17ROCPRIM_400000_NS6detail17trampoline_kernelINS0_13select_configILj256ELj13ELNS0_17block_load_methodE3ELS4_3ELS4_3ELNS0_20block_scan_algorithmE0ELj4294967295EEENS1_25partition_config_selectorILNS1_17partition_subalgoE4EjNS0_10empty_typeEbEEZZNS1_14partition_implILS8_4ELb0ES6_15HIP_vector_typeIjLj2EENS0_17counting_iteratorIjlEEPS9_SG_NS0_5tupleIJPjSI_NS0_16reverse_iteratorISI_EEEEENSH_IJSG_SG_SG_EEES9_SI_JZNS1_25segmented_radix_sort_implINS0_14default_configELb1EPK6__halfPSP_PKlPlN2at6native12_GLOBAL__N_18offset_tEEE10hipError_tPvRmT1_PNSt15iterator_traitsIS13_E10value_typeET2_T3_PNS14_IS19_E10value_typeET4_jRbjT5_S1F_jjP12ihipStream_tbEUljE_ZNSN_ISO_Lb1ESR_SS_SU_SV_SZ_EES10_S11_S12_S13_S17_S18_S19_S1C_S1D_jS1E_jS1F_S1F_jjS1H_bEUljE0_EEES10_S11_S12_S19_S1D_S1F_T6_T7_T9_mT8_S1H_bDpT10_ENKUlT_T0_E_clISt17integral_constantIbLb1EES1V_EEDaS1Q_S1R_EUlS1Q_E_NS1_11comp_targetILNS1_3genE9ELNS1_11target_archE1100ELNS1_3gpuE3ELNS1_3repE0EEENS1_30default_config_static_selectorELNS0_4arch9wavefront6targetE1EEEvS13_.kd
    .uniform_work_group_size: 1
    .uses_dynamic_stack: false
    .vgpr_count:     0
    .vgpr_spill_count: 0
    .wavefront_size: 64
  - .agpr_count:     0
    .args:
      - .offset:         0
        .size:           184
        .value_kind:     by_value
    .group_segment_fixed_size: 0
    .kernarg_segment_align: 8
    .kernarg_segment_size: 184
    .language:       OpenCL C
    .language_version:
      - 2
      - 0
    .max_flat_workgroup_size: 256
    .name:           _ZN7rocprim17ROCPRIM_400000_NS6detail17trampoline_kernelINS0_13select_configILj256ELj13ELNS0_17block_load_methodE3ELS4_3ELS4_3ELNS0_20block_scan_algorithmE0ELj4294967295EEENS1_25partition_config_selectorILNS1_17partition_subalgoE4EjNS0_10empty_typeEbEEZZNS1_14partition_implILS8_4ELb0ES6_15HIP_vector_typeIjLj2EENS0_17counting_iteratorIjlEEPS9_SG_NS0_5tupleIJPjSI_NS0_16reverse_iteratorISI_EEEEENSH_IJSG_SG_SG_EEES9_SI_JZNS1_25segmented_radix_sort_implINS0_14default_configELb1EPK6__halfPSP_PKlPlN2at6native12_GLOBAL__N_18offset_tEEE10hipError_tPvRmT1_PNSt15iterator_traitsIS13_E10value_typeET2_T3_PNS14_IS19_E10value_typeET4_jRbjT5_S1F_jjP12ihipStream_tbEUljE_ZNSN_ISO_Lb1ESR_SS_SU_SV_SZ_EES10_S11_S12_S13_S17_S18_S19_S1C_S1D_jS1E_jS1F_S1F_jjS1H_bEUljE0_EEES10_S11_S12_S19_S1D_S1F_T6_T7_T9_mT8_S1H_bDpT10_ENKUlT_T0_E_clISt17integral_constantIbLb1EES1V_EEDaS1Q_S1R_EUlS1Q_E_NS1_11comp_targetILNS1_3genE8ELNS1_11target_archE1030ELNS1_3gpuE2ELNS1_3repE0EEENS1_30default_config_static_selectorELNS0_4arch9wavefront6targetE1EEEvS13_
    .private_segment_fixed_size: 0
    .sgpr_count:     4
    .sgpr_spill_count: 0
    .symbol:         _ZN7rocprim17ROCPRIM_400000_NS6detail17trampoline_kernelINS0_13select_configILj256ELj13ELNS0_17block_load_methodE3ELS4_3ELS4_3ELNS0_20block_scan_algorithmE0ELj4294967295EEENS1_25partition_config_selectorILNS1_17partition_subalgoE4EjNS0_10empty_typeEbEEZZNS1_14partition_implILS8_4ELb0ES6_15HIP_vector_typeIjLj2EENS0_17counting_iteratorIjlEEPS9_SG_NS0_5tupleIJPjSI_NS0_16reverse_iteratorISI_EEEEENSH_IJSG_SG_SG_EEES9_SI_JZNS1_25segmented_radix_sort_implINS0_14default_configELb1EPK6__halfPSP_PKlPlN2at6native12_GLOBAL__N_18offset_tEEE10hipError_tPvRmT1_PNSt15iterator_traitsIS13_E10value_typeET2_T3_PNS14_IS19_E10value_typeET4_jRbjT5_S1F_jjP12ihipStream_tbEUljE_ZNSN_ISO_Lb1ESR_SS_SU_SV_SZ_EES10_S11_S12_S13_S17_S18_S19_S1C_S1D_jS1E_jS1F_S1F_jjS1H_bEUljE0_EEES10_S11_S12_S19_S1D_S1F_T6_T7_T9_mT8_S1H_bDpT10_ENKUlT_T0_E_clISt17integral_constantIbLb1EES1V_EEDaS1Q_S1R_EUlS1Q_E_NS1_11comp_targetILNS1_3genE8ELNS1_11target_archE1030ELNS1_3gpuE2ELNS1_3repE0EEENS1_30default_config_static_selectorELNS0_4arch9wavefront6targetE1EEEvS13_.kd
    .uniform_work_group_size: 1
    .uses_dynamic_stack: false
    .vgpr_count:     0
    .vgpr_spill_count: 0
    .wavefront_size: 64
  - .agpr_count:     0
    .args:
      - .offset:         0
        .size:           176
        .value_kind:     by_value
    .group_segment_fixed_size: 0
    .kernarg_segment_align: 8
    .kernarg_segment_size: 176
    .language:       OpenCL C
    .language_version:
      - 2
      - 0
    .max_flat_workgroup_size: 256
    .name:           _ZN7rocprim17ROCPRIM_400000_NS6detail17trampoline_kernelINS0_13select_configILj256ELj13ELNS0_17block_load_methodE3ELS4_3ELS4_3ELNS0_20block_scan_algorithmE0ELj4294967295EEENS1_25partition_config_selectorILNS1_17partition_subalgoE4EjNS0_10empty_typeEbEEZZNS1_14partition_implILS8_4ELb0ES6_15HIP_vector_typeIjLj2EENS0_17counting_iteratorIjlEEPS9_SG_NS0_5tupleIJPjSI_NS0_16reverse_iteratorISI_EEEEENSH_IJSG_SG_SG_EEES9_SI_JZNS1_25segmented_radix_sort_implINS0_14default_configELb1EPK6__halfPSP_PKlPlN2at6native12_GLOBAL__N_18offset_tEEE10hipError_tPvRmT1_PNSt15iterator_traitsIS13_E10value_typeET2_T3_PNS14_IS19_E10value_typeET4_jRbjT5_S1F_jjP12ihipStream_tbEUljE_ZNSN_ISO_Lb1ESR_SS_SU_SV_SZ_EES10_S11_S12_S13_S17_S18_S19_S1C_S1D_jS1E_jS1F_S1F_jjS1H_bEUljE0_EEES10_S11_S12_S19_S1D_S1F_T6_T7_T9_mT8_S1H_bDpT10_ENKUlT_T0_E_clISt17integral_constantIbLb1EES1U_IbLb0EEEEDaS1Q_S1R_EUlS1Q_E_NS1_11comp_targetILNS1_3genE0ELNS1_11target_archE4294967295ELNS1_3gpuE0ELNS1_3repE0EEENS1_30default_config_static_selectorELNS0_4arch9wavefront6targetE1EEEvS13_
    .private_segment_fixed_size: 0
    .sgpr_count:     4
    .sgpr_spill_count: 0
    .symbol:         _ZN7rocprim17ROCPRIM_400000_NS6detail17trampoline_kernelINS0_13select_configILj256ELj13ELNS0_17block_load_methodE3ELS4_3ELS4_3ELNS0_20block_scan_algorithmE0ELj4294967295EEENS1_25partition_config_selectorILNS1_17partition_subalgoE4EjNS0_10empty_typeEbEEZZNS1_14partition_implILS8_4ELb0ES6_15HIP_vector_typeIjLj2EENS0_17counting_iteratorIjlEEPS9_SG_NS0_5tupleIJPjSI_NS0_16reverse_iteratorISI_EEEEENSH_IJSG_SG_SG_EEES9_SI_JZNS1_25segmented_radix_sort_implINS0_14default_configELb1EPK6__halfPSP_PKlPlN2at6native12_GLOBAL__N_18offset_tEEE10hipError_tPvRmT1_PNSt15iterator_traitsIS13_E10value_typeET2_T3_PNS14_IS19_E10value_typeET4_jRbjT5_S1F_jjP12ihipStream_tbEUljE_ZNSN_ISO_Lb1ESR_SS_SU_SV_SZ_EES10_S11_S12_S13_S17_S18_S19_S1C_S1D_jS1E_jS1F_S1F_jjS1H_bEUljE0_EEES10_S11_S12_S19_S1D_S1F_T6_T7_T9_mT8_S1H_bDpT10_ENKUlT_T0_E_clISt17integral_constantIbLb1EES1U_IbLb0EEEEDaS1Q_S1R_EUlS1Q_E_NS1_11comp_targetILNS1_3genE0ELNS1_11target_archE4294967295ELNS1_3gpuE0ELNS1_3repE0EEENS1_30default_config_static_selectorELNS0_4arch9wavefront6targetE1EEEvS13_.kd
    .uniform_work_group_size: 1
    .uses_dynamic_stack: false
    .vgpr_count:     0
    .vgpr_spill_count: 0
    .wavefront_size: 64
  - .agpr_count:     0
    .args:
      - .offset:         0
        .size:           176
        .value_kind:     by_value
    .group_segment_fixed_size: 0
    .kernarg_segment_align: 8
    .kernarg_segment_size: 176
    .language:       OpenCL C
    .language_version:
      - 2
      - 0
    .max_flat_workgroup_size: 256
    .name:           _ZN7rocprim17ROCPRIM_400000_NS6detail17trampoline_kernelINS0_13select_configILj256ELj13ELNS0_17block_load_methodE3ELS4_3ELS4_3ELNS0_20block_scan_algorithmE0ELj4294967295EEENS1_25partition_config_selectorILNS1_17partition_subalgoE4EjNS0_10empty_typeEbEEZZNS1_14partition_implILS8_4ELb0ES6_15HIP_vector_typeIjLj2EENS0_17counting_iteratorIjlEEPS9_SG_NS0_5tupleIJPjSI_NS0_16reverse_iteratorISI_EEEEENSH_IJSG_SG_SG_EEES9_SI_JZNS1_25segmented_radix_sort_implINS0_14default_configELb1EPK6__halfPSP_PKlPlN2at6native12_GLOBAL__N_18offset_tEEE10hipError_tPvRmT1_PNSt15iterator_traitsIS13_E10value_typeET2_T3_PNS14_IS19_E10value_typeET4_jRbjT5_S1F_jjP12ihipStream_tbEUljE_ZNSN_ISO_Lb1ESR_SS_SU_SV_SZ_EES10_S11_S12_S13_S17_S18_S19_S1C_S1D_jS1E_jS1F_S1F_jjS1H_bEUljE0_EEES10_S11_S12_S19_S1D_S1F_T6_T7_T9_mT8_S1H_bDpT10_ENKUlT_T0_E_clISt17integral_constantIbLb1EES1U_IbLb0EEEEDaS1Q_S1R_EUlS1Q_E_NS1_11comp_targetILNS1_3genE5ELNS1_11target_archE942ELNS1_3gpuE9ELNS1_3repE0EEENS1_30default_config_static_selectorELNS0_4arch9wavefront6targetE1EEEvS13_
    .private_segment_fixed_size: 0
    .sgpr_count:     4
    .sgpr_spill_count: 0
    .symbol:         _ZN7rocprim17ROCPRIM_400000_NS6detail17trampoline_kernelINS0_13select_configILj256ELj13ELNS0_17block_load_methodE3ELS4_3ELS4_3ELNS0_20block_scan_algorithmE0ELj4294967295EEENS1_25partition_config_selectorILNS1_17partition_subalgoE4EjNS0_10empty_typeEbEEZZNS1_14partition_implILS8_4ELb0ES6_15HIP_vector_typeIjLj2EENS0_17counting_iteratorIjlEEPS9_SG_NS0_5tupleIJPjSI_NS0_16reverse_iteratorISI_EEEEENSH_IJSG_SG_SG_EEES9_SI_JZNS1_25segmented_radix_sort_implINS0_14default_configELb1EPK6__halfPSP_PKlPlN2at6native12_GLOBAL__N_18offset_tEEE10hipError_tPvRmT1_PNSt15iterator_traitsIS13_E10value_typeET2_T3_PNS14_IS19_E10value_typeET4_jRbjT5_S1F_jjP12ihipStream_tbEUljE_ZNSN_ISO_Lb1ESR_SS_SU_SV_SZ_EES10_S11_S12_S13_S17_S18_S19_S1C_S1D_jS1E_jS1F_S1F_jjS1H_bEUljE0_EEES10_S11_S12_S19_S1D_S1F_T6_T7_T9_mT8_S1H_bDpT10_ENKUlT_T0_E_clISt17integral_constantIbLb1EES1U_IbLb0EEEEDaS1Q_S1R_EUlS1Q_E_NS1_11comp_targetILNS1_3genE5ELNS1_11target_archE942ELNS1_3gpuE9ELNS1_3repE0EEENS1_30default_config_static_selectorELNS0_4arch9wavefront6targetE1EEEvS13_.kd
    .uniform_work_group_size: 1
    .uses_dynamic_stack: false
    .vgpr_count:     0
    .vgpr_spill_count: 0
    .wavefront_size: 64
  - .agpr_count:     0
    .args:
      - .offset:         0
        .size:           176
        .value_kind:     by_value
    .group_segment_fixed_size: 13340
    .kernarg_segment_align: 8
    .kernarg_segment_size: 176
    .language:       OpenCL C
    .language_version:
      - 2
      - 0
    .max_flat_workgroup_size: 256
    .name:           _ZN7rocprim17ROCPRIM_400000_NS6detail17trampoline_kernelINS0_13select_configILj256ELj13ELNS0_17block_load_methodE3ELS4_3ELS4_3ELNS0_20block_scan_algorithmE0ELj4294967295EEENS1_25partition_config_selectorILNS1_17partition_subalgoE4EjNS0_10empty_typeEbEEZZNS1_14partition_implILS8_4ELb0ES6_15HIP_vector_typeIjLj2EENS0_17counting_iteratorIjlEEPS9_SG_NS0_5tupleIJPjSI_NS0_16reverse_iteratorISI_EEEEENSH_IJSG_SG_SG_EEES9_SI_JZNS1_25segmented_radix_sort_implINS0_14default_configELb1EPK6__halfPSP_PKlPlN2at6native12_GLOBAL__N_18offset_tEEE10hipError_tPvRmT1_PNSt15iterator_traitsIS13_E10value_typeET2_T3_PNS14_IS19_E10value_typeET4_jRbjT5_S1F_jjP12ihipStream_tbEUljE_ZNSN_ISO_Lb1ESR_SS_SU_SV_SZ_EES10_S11_S12_S13_S17_S18_S19_S1C_S1D_jS1E_jS1F_S1F_jjS1H_bEUljE0_EEES10_S11_S12_S19_S1D_S1F_T6_T7_T9_mT8_S1H_bDpT10_ENKUlT_T0_E_clISt17integral_constantIbLb1EES1U_IbLb0EEEEDaS1Q_S1R_EUlS1Q_E_NS1_11comp_targetILNS1_3genE4ELNS1_11target_archE910ELNS1_3gpuE8ELNS1_3repE0EEENS1_30default_config_static_selectorELNS0_4arch9wavefront6targetE1EEEvS13_
    .private_segment_fixed_size: 0
    .sgpr_count:     94
    .sgpr_spill_count: 0
    .symbol:         _ZN7rocprim17ROCPRIM_400000_NS6detail17trampoline_kernelINS0_13select_configILj256ELj13ELNS0_17block_load_methodE3ELS4_3ELS4_3ELNS0_20block_scan_algorithmE0ELj4294967295EEENS1_25partition_config_selectorILNS1_17partition_subalgoE4EjNS0_10empty_typeEbEEZZNS1_14partition_implILS8_4ELb0ES6_15HIP_vector_typeIjLj2EENS0_17counting_iteratorIjlEEPS9_SG_NS0_5tupleIJPjSI_NS0_16reverse_iteratorISI_EEEEENSH_IJSG_SG_SG_EEES9_SI_JZNS1_25segmented_radix_sort_implINS0_14default_configELb1EPK6__halfPSP_PKlPlN2at6native12_GLOBAL__N_18offset_tEEE10hipError_tPvRmT1_PNSt15iterator_traitsIS13_E10value_typeET2_T3_PNS14_IS19_E10value_typeET4_jRbjT5_S1F_jjP12ihipStream_tbEUljE_ZNSN_ISO_Lb1ESR_SS_SU_SV_SZ_EES10_S11_S12_S13_S17_S18_S19_S1C_S1D_jS1E_jS1F_S1F_jjS1H_bEUljE0_EEES10_S11_S12_S19_S1D_S1F_T6_T7_T9_mT8_S1H_bDpT10_ENKUlT_T0_E_clISt17integral_constantIbLb1EES1U_IbLb0EEEEDaS1Q_S1R_EUlS1Q_E_NS1_11comp_targetILNS1_3genE4ELNS1_11target_archE910ELNS1_3gpuE8ELNS1_3repE0EEENS1_30default_config_static_selectorELNS0_4arch9wavefront6targetE1EEEvS13_.kd
    .uniform_work_group_size: 1
    .uses_dynamic_stack: false
    .vgpr_count:     102
    .vgpr_spill_count: 0
    .wavefront_size: 64
  - .agpr_count:     0
    .args:
      - .offset:         0
        .size:           176
        .value_kind:     by_value
    .group_segment_fixed_size: 0
    .kernarg_segment_align: 8
    .kernarg_segment_size: 176
    .language:       OpenCL C
    .language_version:
      - 2
      - 0
    .max_flat_workgroup_size: 256
    .name:           _ZN7rocprim17ROCPRIM_400000_NS6detail17trampoline_kernelINS0_13select_configILj256ELj13ELNS0_17block_load_methodE3ELS4_3ELS4_3ELNS0_20block_scan_algorithmE0ELj4294967295EEENS1_25partition_config_selectorILNS1_17partition_subalgoE4EjNS0_10empty_typeEbEEZZNS1_14partition_implILS8_4ELb0ES6_15HIP_vector_typeIjLj2EENS0_17counting_iteratorIjlEEPS9_SG_NS0_5tupleIJPjSI_NS0_16reverse_iteratorISI_EEEEENSH_IJSG_SG_SG_EEES9_SI_JZNS1_25segmented_radix_sort_implINS0_14default_configELb1EPK6__halfPSP_PKlPlN2at6native12_GLOBAL__N_18offset_tEEE10hipError_tPvRmT1_PNSt15iterator_traitsIS13_E10value_typeET2_T3_PNS14_IS19_E10value_typeET4_jRbjT5_S1F_jjP12ihipStream_tbEUljE_ZNSN_ISO_Lb1ESR_SS_SU_SV_SZ_EES10_S11_S12_S13_S17_S18_S19_S1C_S1D_jS1E_jS1F_S1F_jjS1H_bEUljE0_EEES10_S11_S12_S19_S1D_S1F_T6_T7_T9_mT8_S1H_bDpT10_ENKUlT_T0_E_clISt17integral_constantIbLb1EES1U_IbLb0EEEEDaS1Q_S1R_EUlS1Q_E_NS1_11comp_targetILNS1_3genE3ELNS1_11target_archE908ELNS1_3gpuE7ELNS1_3repE0EEENS1_30default_config_static_selectorELNS0_4arch9wavefront6targetE1EEEvS13_
    .private_segment_fixed_size: 0
    .sgpr_count:     4
    .sgpr_spill_count: 0
    .symbol:         _ZN7rocprim17ROCPRIM_400000_NS6detail17trampoline_kernelINS0_13select_configILj256ELj13ELNS0_17block_load_methodE3ELS4_3ELS4_3ELNS0_20block_scan_algorithmE0ELj4294967295EEENS1_25partition_config_selectorILNS1_17partition_subalgoE4EjNS0_10empty_typeEbEEZZNS1_14partition_implILS8_4ELb0ES6_15HIP_vector_typeIjLj2EENS0_17counting_iteratorIjlEEPS9_SG_NS0_5tupleIJPjSI_NS0_16reverse_iteratorISI_EEEEENSH_IJSG_SG_SG_EEES9_SI_JZNS1_25segmented_radix_sort_implINS0_14default_configELb1EPK6__halfPSP_PKlPlN2at6native12_GLOBAL__N_18offset_tEEE10hipError_tPvRmT1_PNSt15iterator_traitsIS13_E10value_typeET2_T3_PNS14_IS19_E10value_typeET4_jRbjT5_S1F_jjP12ihipStream_tbEUljE_ZNSN_ISO_Lb1ESR_SS_SU_SV_SZ_EES10_S11_S12_S13_S17_S18_S19_S1C_S1D_jS1E_jS1F_S1F_jjS1H_bEUljE0_EEES10_S11_S12_S19_S1D_S1F_T6_T7_T9_mT8_S1H_bDpT10_ENKUlT_T0_E_clISt17integral_constantIbLb1EES1U_IbLb0EEEEDaS1Q_S1R_EUlS1Q_E_NS1_11comp_targetILNS1_3genE3ELNS1_11target_archE908ELNS1_3gpuE7ELNS1_3repE0EEENS1_30default_config_static_selectorELNS0_4arch9wavefront6targetE1EEEvS13_.kd
    .uniform_work_group_size: 1
    .uses_dynamic_stack: false
    .vgpr_count:     0
    .vgpr_spill_count: 0
    .wavefront_size: 64
  - .agpr_count:     0
    .args:
      - .offset:         0
        .size:           176
        .value_kind:     by_value
    .group_segment_fixed_size: 0
    .kernarg_segment_align: 8
    .kernarg_segment_size: 176
    .language:       OpenCL C
    .language_version:
      - 2
      - 0
    .max_flat_workgroup_size: 256
    .name:           _ZN7rocprim17ROCPRIM_400000_NS6detail17trampoline_kernelINS0_13select_configILj256ELj13ELNS0_17block_load_methodE3ELS4_3ELS4_3ELNS0_20block_scan_algorithmE0ELj4294967295EEENS1_25partition_config_selectorILNS1_17partition_subalgoE4EjNS0_10empty_typeEbEEZZNS1_14partition_implILS8_4ELb0ES6_15HIP_vector_typeIjLj2EENS0_17counting_iteratorIjlEEPS9_SG_NS0_5tupleIJPjSI_NS0_16reverse_iteratorISI_EEEEENSH_IJSG_SG_SG_EEES9_SI_JZNS1_25segmented_radix_sort_implINS0_14default_configELb1EPK6__halfPSP_PKlPlN2at6native12_GLOBAL__N_18offset_tEEE10hipError_tPvRmT1_PNSt15iterator_traitsIS13_E10value_typeET2_T3_PNS14_IS19_E10value_typeET4_jRbjT5_S1F_jjP12ihipStream_tbEUljE_ZNSN_ISO_Lb1ESR_SS_SU_SV_SZ_EES10_S11_S12_S13_S17_S18_S19_S1C_S1D_jS1E_jS1F_S1F_jjS1H_bEUljE0_EEES10_S11_S12_S19_S1D_S1F_T6_T7_T9_mT8_S1H_bDpT10_ENKUlT_T0_E_clISt17integral_constantIbLb1EES1U_IbLb0EEEEDaS1Q_S1R_EUlS1Q_E_NS1_11comp_targetILNS1_3genE2ELNS1_11target_archE906ELNS1_3gpuE6ELNS1_3repE0EEENS1_30default_config_static_selectorELNS0_4arch9wavefront6targetE1EEEvS13_
    .private_segment_fixed_size: 0
    .sgpr_count:     4
    .sgpr_spill_count: 0
    .symbol:         _ZN7rocprim17ROCPRIM_400000_NS6detail17trampoline_kernelINS0_13select_configILj256ELj13ELNS0_17block_load_methodE3ELS4_3ELS4_3ELNS0_20block_scan_algorithmE0ELj4294967295EEENS1_25partition_config_selectorILNS1_17partition_subalgoE4EjNS0_10empty_typeEbEEZZNS1_14partition_implILS8_4ELb0ES6_15HIP_vector_typeIjLj2EENS0_17counting_iteratorIjlEEPS9_SG_NS0_5tupleIJPjSI_NS0_16reverse_iteratorISI_EEEEENSH_IJSG_SG_SG_EEES9_SI_JZNS1_25segmented_radix_sort_implINS0_14default_configELb1EPK6__halfPSP_PKlPlN2at6native12_GLOBAL__N_18offset_tEEE10hipError_tPvRmT1_PNSt15iterator_traitsIS13_E10value_typeET2_T3_PNS14_IS19_E10value_typeET4_jRbjT5_S1F_jjP12ihipStream_tbEUljE_ZNSN_ISO_Lb1ESR_SS_SU_SV_SZ_EES10_S11_S12_S13_S17_S18_S19_S1C_S1D_jS1E_jS1F_S1F_jjS1H_bEUljE0_EEES10_S11_S12_S19_S1D_S1F_T6_T7_T9_mT8_S1H_bDpT10_ENKUlT_T0_E_clISt17integral_constantIbLb1EES1U_IbLb0EEEEDaS1Q_S1R_EUlS1Q_E_NS1_11comp_targetILNS1_3genE2ELNS1_11target_archE906ELNS1_3gpuE6ELNS1_3repE0EEENS1_30default_config_static_selectorELNS0_4arch9wavefront6targetE1EEEvS13_.kd
    .uniform_work_group_size: 1
    .uses_dynamic_stack: false
    .vgpr_count:     0
    .vgpr_spill_count: 0
    .wavefront_size: 64
  - .agpr_count:     0
    .args:
      - .offset:         0
        .size:           176
        .value_kind:     by_value
    .group_segment_fixed_size: 0
    .kernarg_segment_align: 8
    .kernarg_segment_size: 176
    .language:       OpenCL C
    .language_version:
      - 2
      - 0
    .max_flat_workgroup_size: 256
    .name:           _ZN7rocprim17ROCPRIM_400000_NS6detail17trampoline_kernelINS0_13select_configILj256ELj13ELNS0_17block_load_methodE3ELS4_3ELS4_3ELNS0_20block_scan_algorithmE0ELj4294967295EEENS1_25partition_config_selectorILNS1_17partition_subalgoE4EjNS0_10empty_typeEbEEZZNS1_14partition_implILS8_4ELb0ES6_15HIP_vector_typeIjLj2EENS0_17counting_iteratorIjlEEPS9_SG_NS0_5tupleIJPjSI_NS0_16reverse_iteratorISI_EEEEENSH_IJSG_SG_SG_EEES9_SI_JZNS1_25segmented_radix_sort_implINS0_14default_configELb1EPK6__halfPSP_PKlPlN2at6native12_GLOBAL__N_18offset_tEEE10hipError_tPvRmT1_PNSt15iterator_traitsIS13_E10value_typeET2_T3_PNS14_IS19_E10value_typeET4_jRbjT5_S1F_jjP12ihipStream_tbEUljE_ZNSN_ISO_Lb1ESR_SS_SU_SV_SZ_EES10_S11_S12_S13_S17_S18_S19_S1C_S1D_jS1E_jS1F_S1F_jjS1H_bEUljE0_EEES10_S11_S12_S19_S1D_S1F_T6_T7_T9_mT8_S1H_bDpT10_ENKUlT_T0_E_clISt17integral_constantIbLb1EES1U_IbLb0EEEEDaS1Q_S1R_EUlS1Q_E_NS1_11comp_targetILNS1_3genE10ELNS1_11target_archE1200ELNS1_3gpuE4ELNS1_3repE0EEENS1_30default_config_static_selectorELNS0_4arch9wavefront6targetE1EEEvS13_
    .private_segment_fixed_size: 0
    .sgpr_count:     4
    .sgpr_spill_count: 0
    .symbol:         _ZN7rocprim17ROCPRIM_400000_NS6detail17trampoline_kernelINS0_13select_configILj256ELj13ELNS0_17block_load_methodE3ELS4_3ELS4_3ELNS0_20block_scan_algorithmE0ELj4294967295EEENS1_25partition_config_selectorILNS1_17partition_subalgoE4EjNS0_10empty_typeEbEEZZNS1_14partition_implILS8_4ELb0ES6_15HIP_vector_typeIjLj2EENS0_17counting_iteratorIjlEEPS9_SG_NS0_5tupleIJPjSI_NS0_16reverse_iteratorISI_EEEEENSH_IJSG_SG_SG_EEES9_SI_JZNS1_25segmented_radix_sort_implINS0_14default_configELb1EPK6__halfPSP_PKlPlN2at6native12_GLOBAL__N_18offset_tEEE10hipError_tPvRmT1_PNSt15iterator_traitsIS13_E10value_typeET2_T3_PNS14_IS19_E10value_typeET4_jRbjT5_S1F_jjP12ihipStream_tbEUljE_ZNSN_ISO_Lb1ESR_SS_SU_SV_SZ_EES10_S11_S12_S13_S17_S18_S19_S1C_S1D_jS1E_jS1F_S1F_jjS1H_bEUljE0_EEES10_S11_S12_S19_S1D_S1F_T6_T7_T9_mT8_S1H_bDpT10_ENKUlT_T0_E_clISt17integral_constantIbLb1EES1U_IbLb0EEEEDaS1Q_S1R_EUlS1Q_E_NS1_11comp_targetILNS1_3genE10ELNS1_11target_archE1200ELNS1_3gpuE4ELNS1_3repE0EEENS1_30default_config_static_selectorELNS0_4arch9wavefront6targetE1EEEvS13_.kd
    .uniform_work_group_size: 1
    .uses_dynamic_stack: false
    .vgpr_count:     0
    .vgpr_spill_count: 0
    .wavefront_size: 64
  - .agpr_count:     0
    .args:
      - .offset:         0
        .size:           176
        .value_kind:     by_value
    .group_segment_fixed_size: 0
    .kernarg_segment_align: 8
    .kernarg_segment_size: 176
    .language:       OpenCL C
    .language_version:
      - 2
      - 0
    .max_flat_workgroup_size: 256
    .name:           _ZN7rocprim17ROCPRIM_400000_NS6detail17trampoline_kernelINS0_13select_configILj256ELj13ELNS0_17block_load_methodE3ELS4_3ELS4_3ELNS0_20block_scan_algorithmE0ELj4294967295EEENS1_25partition_config_selectorILNS1_17partition_subalgoE4EjNS0_10empty_typeEbEEZZNS1_14partition_implILS8_4ELb0ES6_15HIP_vector_typeIjLj2EENS0_17counting_iteratorIjlEEPS9_SG_NS0_5tupleIJPjSI_NS0_16reverse_iteratorISI_EEEEENSH_IJSG_SG_SG_EEES9_SI_JZNS1_25segmented_radix_sort_implINS0_14default_configELb1EPK6__halfPSP_PKlPlN2at6native12_GLOBAL__N_18offset_tEEE10hipError_tPvRmT1_PNSt15iterator_traitsIS13_E10value_typeET2_T3_PNS14_IS19_E10value_typeET4_jRbjT5_S1F_jjP12ihipStream_tbEUljE_ZNSN_ISO_Lb1ESR_SS_SU_SV_SZ_EES10_S11_S12_S13_S17_S18_S19_S1C_S1D_jS1E_jS1F_S1F_jjS1H_bEUljE0_EEES10_S11_S12_S19_S1D_S1F_T6_T7_T9_mT8_S1H_bDpT10_ENKUlT_T0_E_clISt17integral_constantIbLb1EES1U_IbLb0EEEEDaS1Q_S1R_EUlS1Q_E_NS1_11comp_targetILNS1_3genE9ELNS1_11target_archE1100ELNS1_3gpuE3ELNS1_3repE0EEENS1_30default_config_static_selectorELNS0_4arch9wavefront6targetE1EEEvS13_
    .private_segment_fixed_size: 0
    .sgpr_count:     4
    .sgpr_spill_count: 0
    .symbol:         _ZN7rocprim17ROCPRIM_400000_NS6detail17trampoline_kernelINS0_13select_configILj256ELj13ELNS0_17block_load_methodE3ELS4_3ELS4_3ELNS0_20block_scan_algorithmE0ELj4294967295EEENS1_25partition_config_selectorILNS1_17partition_subalgoE4EjNS0_10empty_typeEbEEZZNS1_14partition_implILS8_4ELb0ES6_15HIP_vector_typeIjLj2EENS0_17counting_iteratorIjlEEPS9_SG_NS0_5tupleIJPjSI_NS0_16reverse_iteratorISI_EEEEENSH_IJSG_SG_SG_EEES9_SI_JZNS1_25segmented_radix_sort_implINS0_14default_configELb1EPK6__halfPSP_PKlPlN2at6native12_GLOBAL__N_18offset_tEEE10hipError_tPvRmT1_PNSt15iterator_traitsIS13_E10value_typeET2_T3_PNS14_IS19_E10value_typeET4_jRbjT5_S1F_jjP12ihipStream_tbEUljE_ZNSN_ISO_Lb1ESR_SS_SU_SV_SZ_EES10_S11_S12_S13_S17_S18_S19_S1C_S1D_jS1E_jS1F_S1F_jjS1H_bEUljE0_EEES10_S11_S12_S19_S1D_S1F_T6_T7_T9_mT8_S1H_bDpT10_ENKUlT_T0_E_clISt17integral_constantIbLb1EES1U_IbLb0EEEEDaS1Q_S1R_EUlS1Q_E_NS1_11comp_targetILNS1_3genE9ELNS1_11target_archE1100ELNS1_3gpuE3ELNS1_3repE0EEENS1_30default_config_static_selectorELNS0_4arch9wavefront6targetE1EEEvS13_.kd
    .uniform_work_group_size: 1
    .uses_dynamic_stack: false
    .vgpr_count:     0
    .vgpr_spill_count: 0
    .wavefront_size: 64
  - .agpr_count:     0
    .args:
      - .offset:         0
        .size:           176
        .value_kind:     by_value
    .group_segment_fixed_size: 0
    .kernarg_segment_align: 8
    .kernarg_segment_size: 176
    .language:       OpenCL C
    .language_version:
      - 2
      - 0
    .max_flat_workgroup_size: 256
    .name:           _ZN7rocprim17ROCPRIM_400000_NS6detail17trampoline_kernelINS0_13select_configILj256ELj13ELNS0_17block_load_methodE3ELS4_3ELS4_3ELNS0_20block_scan_algorithmE0ELj4294967295EEENS1_25partition_config_selectorILNS1_17partition_subalgoE4EjNS0_10empty_typeEbEEZZNS1_14partition_implILS8_4ELb0ES6_15HIP_vector_typeIjLj2EENS0_17counting_iteratorIjlEEPS9_SG_NS0_5tupleIJPjSI_NS0_16reverse_iteratorISI_EEEEENSH_IJSG_SG_SG_EEES9_SI_JZNS1_25segmented_radix_sort_implINS0_14default_configELb1EPK6__halfPSP_PKlPlN2at6native12_GLOBAL__N_18offset_tEEE10hipError_tPvRmT1_PNSt15iterator_traitsIS13_E10value_typeET2_T3_PNS14_IS19_E10value_typeET4_jRbjT5_S1F_jjP12ihipStream_tbEUljE_ZNSN_ISO_Lb1ESR_SS_SU_SV_SZ_EES10_S11_S12_S13_S17_S18_S19_S1C_S1D_jS1E_jS1F_S1F_jjS1H_bEUljE0_EEES10_S11_S12_S19_S1D_S1F_T6_T7_T9_mT8_S1H_bDpT10_ENKUlT_T0_E_clISt17integral_constantIbLb1EES1U_IbLb0EEEEDaS1Q_S1R_EUlS1Q_E_NS1_11comp_targetILNS1_3genE8ELNS1_11target_archE1030ELNS1_3gpuE2ELNS1_3repE0EEENS1_30default_config_static_selectorELNS0_4arch9wavefront6targetE1EEEvS13_
    .private_segment_fixed_size: 0
    .sgpr_count:     4
    .sgpr_spill_count: 0
    .symbol:         _ZN7rocprim17ROCPRIM_400000_NS6detail17trampoline_kernelINS0_13select_configILj256ELj13ELNS0_17block_load_methodE3ELS4_3ELS4_3ELNS0_20block_scan_algorithmE0ELj4294967295EEENS1_25partition_config_selectorILNS1_17partition_subalgoE4EjNS0_10empty_typeEbEEZZNS1_14partition_implILS8_4ELb0ES6_15HIP_vector_typeIjLj2EENS0_17counting_iteratorIjlEEPS9_SG_NS0_5tupleIJPjSI_NS0_16reverse_iteratorISI_EEEEENSH_IJSG_SG_SG_EEES9_SI_JZNS1_25segmented_radix_sort_implINS0_14default_configELb1EPK6__halfPSP_PKlPlN2at6native12_GLOBAL__N_18offset_tEEE10hipError_tPvRmT1_PNSt15iterator_traitsIS13_E10value_typeET2_T3_PNS14_IS19_E10value_typeET4_jRbjT5_S1F_jjP12ihipStream_tbEUljE_ZNSN_ISO_Lb1ESR_SS_SU_SV_SZ_EES10_S11_S12_S13_S17_S18_S19_S1C_S1D_jS1E_jS1F_S1F_jjS1H_bEUljE0_EEES10_S11_S12_S19_S1D_S1F_T6_T7_T9_mT8_S1H_bDpT10_ENKUlT_T0_E_clISt17integral_constantIbLb1EES1U_IbLb0EEEEDaS1Q_S1R_EUlS1Q_E_NS1_11comp_targetILNS1_3genE8ELNS1_11target_archE1030ELNS1_3gpuE2ELNS1_3repE0EEENS1_30default_config_static_selectorELNS0_4arch9wavefront6targetE1EEEvS13_.kd
    .uniform_work_group_size: 1
    .uses_dynamic_stack: false
    .vgpr_count:     0
    .vgpr_spill_count: 0
    .wavefront_size: 64
  - .agpr_count:     0
    .args:
      - .offset:         0
        .size:           184
        .value_kind:     by_value
    .group_segment_fixed_size: 0
    .kernarg_segment_align: 8
    .kernarg_segment_size: 184
    .language:       OpenCL C
    .language_version:
      - 2
      - 0
    .max_flat_workgroup_size: 256
    .name:           _ZN7rocprim17ROCPRIM_400000_NS6detail17trampoline_kernelINS0_13select_configILj256ELj13ELNS0_17block_load_methodE3ELS4_3ELS4_3ELNS0_20block_scan_algorithmE0ELj4294967295EEENS1_25partition_config_selectorILNS1_17partition_subalgoE4EjNS0_10empty_typeEbEEZZNS1_14partition_implILS8_4ELb0ES6_15HIP_vector_typeIjLj2EENS0_17counting_iteratorIjlEEPS9_SG_NS0_5tupleIJPjSI_NS0_16reverse_iteratorISI_EEEEENSH_IJSG_SG_SG_EEES9_SI_JZNS1_25segmented_radix_sort_implINS0_14default_configELb1EPK6__halfPSP_PKlPlN2at6native12_GLOBAL__N_18offset_tEEE10hipError_tPvRmT1_PNSt15iterator_traitsIS13_E10value_typeET2_T3_PNS14_IS19_E10value_typeET4_jRbjT5_S1F_jjP12ihipStream_tbEUljE_ZNSN_ISO_Lb1ESR_SS_SU_SV_SZ_EES10_S11_S12_S13_S17_S18_S19_S1C_S1D_jS1E_jS1F_S1F_jjS1H_bEUljE0_EEES10_S11_S12_S19_S1D_S1F_T6_T7_T9_mT8_S1H_bDpT10_ENKUlT_T0_E_clISt17integral_constantIbLb0EES1U_IbLb1EEEEDaS1Q_S1R_EUlS1Q_E_NS1_11comp_targetILNS1_3genE0ELNS1_11target_archE4294967295ELNS1_3gpuE0ELNS1_3repE0EEENS1_30default_config_static_selectorELNS0_4arch9wavefront6targetE1EEEvS13_
    .private_segment_fixed_size: 0
    .sgpr_count:     4
    .sgpr_spill_count: 0
    .symbol:         _ZN7rocprim17ROCPRIM_400000_NS6detail17trampoline_kernelINS0_13select_configILj256ELj13ELNS0_17block_load_methodE3ELS4_3ELS4_3ELNS0_20block_scan_algorithmE0ELj4294967295EEENS1_25partition_config_selectorILNS1_17partition_subalgoE4EjNS0_10empty_typeEbEEZZNS1_14partition_implILS8_4ELb0ES6_15HIP_vector_typeIjLj2EENS0_17counting_iteratorIjlEEPS9_SG_NS0_5tupleIJPjSI_NS0_16reverse_iteratorISI_EEEEENSH_IJSG_SG_SG_EEES9_SI_JZNS1_25segmented_radix_sort_implINS0_14default_configELb1EPK6__halfPSP_PKlPlN2at6native12_GLOBAL__N_18offset_tEEE10hipError_tPvRmT1_PNSt15iterator_traitsIS13_E10value_typeET2_T3_PNS14_IS19_E10value_typeET4_jRbjT5_S1F_jjP12ihipStream_tbEUljE_ZNSN_ISO_Lb1ESR_SS_SU_SV_SZ_EES10_S11_S12_S13_S17_S18_S19_S1C_S1D_jS1E_jS1F_S1F_jjS1H_bEUljE0_EEES10_S11_S12_S19_S1D_S1F_T6_T7_T9_mT8_S1H_bDpT10_ENKUlT_T0_E_clISt17integral_constantIbLb0EES1U_IbLb1EEEEDaS1Q_S1R_EUlS1Q_E_NS1_11comp_targetILNS1_3genE0ELNS1_11target_archE4294967295ELNS1_3gpuE0ELNS1_3repE0EEENS1_30default_config_static_selectorELNS0_4arch9wavefront6targetE1EEEvS13_.kd
    .uniform_work_group_size: 1
    .uses_dynamic_stack: false
    .vgpr_count:     0
    .vgpr_spill_count: 0
    .wavefront_size: 64
  - .agpr_count:     0
    .args:
      - .offset:         0
        .size:           184
        .value_kind:     by_value
    .group_segment_fixed_size: 0
    .kernarg_segment_align: 8
    .kernarg_segment_size: 184
    .language:       OpenCL C
    .language_version:
      - 2
      - 0
    .max_flat_workgroup_size: 256
    .name:           _ZN7rocprim17ROCPRIM_400000_NS6detail17trampoline_kernelINS0_13select_configILj256ELj13ELNS0_17block_load_methodE3ELS4_3ELS4_3ELNS0_20block_scan_algorithmE0ELj4294967295EEENS1_25partition_config_selectorILNS1_17partition_subalgoE4EjNS0_10empty_typeEbEEZZNS1_14partition_implILS8_4ELb0ES6_15HIP_vector_typeIjLj2EENS0_17counting_iteratorIjlEEPS9_SG_NS0_5tupleIJPjSI_NS0_16reverse_iteratorISI_EEEEENSH_IJSG_SG_SG_EEES9_SI_JZNS1_25segmented_radix_sort_implINS0_14default_configELb1EPK6__halfPSP_PKlPlN2at6native12_GLOBAL__N_18offset_tEEE10hipError_tPvRmT1_PNSt15iterator_traitsIS13_E10value_typeET2_T3_PNS14_IS19_E10value_typeET4_jRbjT5_S1F_jjP12ihipStream_tbEUljE_ZNSN_ISO_Lb1ESR_SS_SU_SV_SZ_EES10_S11_S12_S13_S17_S18_S19_S1C_S1D_jS1E_jS1F_S1F_jjS1H_bEUljE0_EEES10_S11_S12_S19_S1D_S1F_T6_T7_T9_mT8_S1H_bDpT10_ENKUlT_T0_E_clISt17integral_constantIbLb0EES1U_IbLb1EEEEDaS1Q_S1R_EUlS1Q_E_NS1_11comp_targetILNS1_3genE5ELNS1_11target_archE942ELNS1_3gpuE9ELNS1_3repE0EEENS1_30default_config_static_selectorELNS0_4arch9wavefront6targetE1EEEvS13_
    .private_segment_fixed_size: 0
    .sgpr_count:     4
    .sgpr_spill_count: 0
    .symbol:         _ZN7rocprim17ROCPRIM_400000_NS6detail17trampoline_kernelINS0_13select_configILj256ELj13ELNS0_17block_load_methodE3ELS4_3ELS4_3ELNS0_20block_scan_algorithmE0ELj4294967295EEENS1_25partition_config_selectorILNS1_17partition_subalgoE4EjNS0_10empty_typeEbEEZZNS1_14partition_implILS8_4ELb0ES6_15HIP_vector_typeIjLj2EENS0_17counting_iteratorIjlEEPS9_SG_NS0_5tupleIJPjSI_NS0_16reverse_iteratorISI_EEEEENSH_IJSG_SG_SG_EEES9_SI_JZNS1_25segmented_radix_sort_implINS0_14default_configELb1EPK6__halfPSP_PKlPlN2at6native12_GLOBAL__N_18offset_tEEE10hipError_tPvRmT1_PNSt15iterator_traitsIS13_E10value_typeET2_T3_PNS14_IS19_E10value_typeET4_jRbjT5_S1F_jjP12ihipStream_tbEUljE_ZNSN_ISO_Lb1ESR_SS_SU_SV_SZ_EES10_S11_S12_S13_S17_S18_S19_S1C_S1D_jS1E_jS1F_S1F_jjS1H_bEUljE0_EEES10_S11_S12_S19_S1D_S1F_T6_T7_T9_mT8_S1H_bDpT10_ENKUlT_T0_E_clISt17integral_constantIbLb0EES1U_IbLb1EEEEDaS1Q_S1R_EUlS1Q_E_NS1_11comp_targetILNS1_3genE5ELNS1_11target_archE942ELNS1_3gpuE9ELNS1_3repE0EEENS1_30default_config_static_selectorELNS0_4arch9wavefront6targetE1EEEvS13_.kd
    .uniform_work_group_size: 1
    .uses_dynamic_stack: false
    .vgpr_count:     0
    .vgpr_spill_count: 0
    .wavefront_size: 64
  - .agpr_count:     0
    .args:
      - .offset:         0
        .size:           184
        .value_kind:     by_value
    .group_segment_fixed_size: 13340
    .kernarg_segment_align: 8
    .kernarg_segment_size: 184
    .language:       OpenCL C
    .language_version:
      - 2
      - 0
    .max_flat_workgroup_size: 256
    .name:           _ZN7rocprim17ROCPRIM_400000_NS6detail17trampoline_kernelINS0_13select_configILj256ELj13ELNS0_17block_load_methodE3ELS4_3ELS4_3ELNS0_20block_scan_algorithmE0ELj4294967295EEENS1_25partition_config_selectorILNS1_17partition_subalgoE4EjNS0_10empty_typeEbEEZZNS1_14partition_implILS8_4ELb0ES6_15HIP_vector_typeIjLj2EENS0_17counting_iteratorIjlEEPS9_SG_NS0_5tupleIJPjSI_NS0_16reverse_iteratorISI_EEEEENSH_IJSG_SG_SG_EEES9_SI_JZNS1_25segmented_radix_sort_implINS0_14default_configELb1EPK6__halfPSP_PKlPlN2at6native12_GLOBAL__N_18offset_tEEE10hipError_tPvRmT1_PNSt15iterator_traitsIS13_E10value_typeET2_T3_PNS14_IS19_E10value_typeET4_jRbjT5_S1F_jjP12ihipStream_tbEUljE_ZNSN_ISO_Lb1ESR_SS_SU_SV_SZ_EES10_S11_S12_S13_S17_S18_S19_S1C_S1D_jS1E_jS1F_S1F_jjS1H_bEUljE0_EEES10_S11_S12_S19_S1D_S1F_T6_T7_T9_mT8_S1H_bDpT10_ENKUlT_T0_E_clISt17integral_constantIbLb0EES1U_IbLb1EEEEDaS1Q_S1R_EUlS1Q_E_NS1_11comp_targetILNS1_3genE4ELNS1_11target_archE910ELNS1_3gpuE8ELNS1_3repE0EEENS1_30default_config_static_selectorELNS0_4arch9wavefront6targetE1EEEvS13_
    .private_segment_fixed_size: 0
    .sgpr_count:     91
    .sgpr_spill_count: 0
    .symbol:         _ZN7rocprim17ROCPRIM_400000_NS6detail17trampoline_kernelINS0_13select_configILj256ELj13ELNS0_17block_load_methodE3ELS4_3ELS4_3ELNS0_20block_scan_algorithmE0ELj4294967295EEENS1_25partition_config_selectorILNS1_17partition_subalgoE4EjNS0_10empty_typeEbEEZZNS1_14partition_implILS8_4ELb0ES6_15HIP_vector_typeIjLj2EENS0_17counting_iteratorIjlEEPS9_SG_NS0_5tupleIJPjSI_NS0_16reverse_iteratorISI_EEEEENSH_IJSG_SG_SG_EEES9_SI_JZNS1_25segmented_radix_sort_implINS0_14default_configELb1EPK6__halfPSP_PKlPlN2at6native12_GLOBAL__N_18offset_tEEE10hipError_tPvRmT1_PNSt15iterator_traitsIS13_E10value_typeET2_T3_PNS14_IS19_E10value_typeET4_jRbjT5_S1F_jjP12ihipStream_tbEUljE_ZNSN_ISO_Lb1ESR_SS_SU_SV_SZ_EES10_S11_S12_S13_S17_S18_S19_S1C_S1D_jS1E_jS1F_S1F_jjS1H_bEUljE0_EEES10_S11_S12_S19_S1D_S1F_T6_T7_T9_mT8_S1H_bDpT10_ENKUlT_T0_E_clISt17integral_constantIbLb0EES1U_IbLb1EEEEDaS1Q_S1R_EUlS1Q_E_NS1_11comp_targetILNS1_3genE4ELNS1_11target_archE910ELNS1_3gpuE8ELNS1_3repE0EEENS1_30default_config_static_selectorELNS0_4arch9wavefront6targetE1EEEvS13_.kd
    .uniform_work_group_size: 1
    .uses_dynamic_stack: false
    .vgpr_count:     107
    .vgpr_spill_count: 0
    .wavefront_size: 64
  - .agpr_count:     0
    .args:
      - .offset:         0
        .size:           184
        .value_kind:     by_value
    .group_segment_fixed_size: 0
    .kernarg_segment_align: 8
    .kernarg_segment_size: 184
    .language:       OpenCL C
    .language_version:
      - 2
      - 0
    .max_flat_workgroup_size: 256
    .name:           _ZN7rocprim17ROCPRIM_400000_NS6detail17trampoline_kernelINS0_13select_configILj256ELj13ELNS0_17block_load_methodE3ELS4_3ELS4_3ELNS0_20block_scan_algorithmE0ELj4294967295EEENS1_25partition_config_selectorILNS1_17partition_subalgoE4EjNS0_10empty_typeEbEEZZNS1_14partition_implILS8_4ELb0ES6_15HIP_vector_typeIjLj2EENS0_17counting_iteratorIjlEEPS9_SG_NS0_5tupleIJPjSI_NS0_16reverse_iteratorISI_EEEEENSH_IJSG_SG_SG_EEES9_SI_JZNS1_25segmented_radix_sort_implINS0_14default_configELb1EPK6__halfPSP_PKlPlN2at6native12_GLOBAL__N_18offset_tEEE10hipError_tPvRmT1_PNSt15iterator_traitsIS13_E10value_typeET2_T3_PNS14_IS19_E10value_typeET4_jRbjT5_S1F_jjP12ihipStream_tbEUljE_ZNSN_ISO_Lb1ESR_SS_SU_SV_SZ_EES10_S11_S12_S13_S17_S18_S19_S1C_S1D_jS1E_jS1F_S1F_jjS1H_bEUljE0_EEES10_S11_S12_S19_S1D_S1F_T6_T7_T9_mT8_S1H_bDpT10_ENKUlT_T0_E_clISt17integral_constantIbLb0EES1U_IbLb1EEEEDaS1Q_S1R_EUlS1Q_E_NS1_11comp_targetILNS1_3genE3ELNS1_11target_archE908ELNS1_3gpuE7ELNS1_3repE0EEENS1_30default_config_static_selectorELNS0_4arch9wavefront6targetE1EEEvS13_
    .private_segment_fixed_size: 0
    .sgpr_count:     4
    .sgpr_spill_count: 0
    .symbol:         _ZN7rocprim17ROCPRIM_400000_NS6detail17trampoline_kernelINS0_13select_configILj256ELj13ELNS0_17block_load_methodE3ELS4_3ELS4_3ELNS0_20block_scan_algorithmE0ELj4294967295EEENS1_25partition_config_selectorILNS1_17partition_subalgoE4EjNS0_10empty_typeEbEEZZNS1_14partition_implILS8_4ELb0ES6_15HIP_vector_typeIjLj2EENS0_17counting_iteratorIjlEEPS9_SG_NS0_5tupleIJPjSI_NS0_16reverse_iteratorISI_EEEEENSH_IJSG_SG_SG_EEES9_SI_JZNS1_25segmented_radix_sort_implINS0_14default_configELb1EPK6__halfPSP_PKlPlN2at6native12_GLOBAL__N_18offset_tEEE10hipError_tPvRmT1_PNSt15iterator_traitsIS13_E10value_typeET2_T3_PNS14_IS19_E10value_typeET4_jRbjT5_S1F_jjP12ihipStream_tbEUljE_ZNSN_ISO_Lb1ESR_SS_SU_SV_SZ_EES10_S11_S12_S13_S17_S18_S19_S1C_S1D_jS1E_jS1F_S1F_jjS1H_bEUljE0_EEES10_S11_S12_S19_S1D_S1F_T6_T7_T9_mT8_S1H_bDpT10_ENKUlT_T0_E_clISt17integral_constantIbLb0EES1U_IbLb1EEEEDaS1Q_S1R_EUlS1Q_E_NS1_11comp_targetILNS1_3genE3ELNS1_11target_archE908ELNS1_3gpuE7ELNS1_3repE0EEENS1_30default_config_static_selectorELNS0_4arch9wavefront6targetE1EEEvS13_.kd
    .uniform_work_group_size: 1
    .uses_dynamic_stack: false
    .vgpr_count:     0
    .vgpr_spill_count: 0
    .wavefront_size: 64
  - .agpr_count:     0
    .args:
      - .offset:         0
        .size:           184
        .value_kind:     by_value
    .group_segment_fixed_size: 0
    .kernarg_segment_align: 8
    .kernarg_segment_size: 184
    .language:       OpenCL C
    .language_version:
      - 2
      - 0
    .max_flat_workgroup_size: 256
    .name:           _ZN7rocprim17ROCPRIM_400000_NS6detail17trampoline_kernelINS0_13select_configILj256ELj13ELNS0_17block_load_methodE3ELS4_3ELS4_3ELNS0_20block_scan_algorithmE0ELj4294967295EEENS1_25partition_config_selectorILNS1_17partition_subalgoE4EjNS0_10empty_typeEbEEZZNS1_14partition_implILS8_4ELb0ES6_15HIP_vector_typeIjLj2EENS0_17counting_iteratorIjlEEPS9_SG_NS0_5tupleIJPjSI_NS0_16reverse_iteratorISI_EEEEENSH_IJSG_SG_SG_EEES9_SI_JZNS1_25segmented_radix_sort_implINS0_14default_configELb1EPK6__halfPSP_PKlPlN2at6native12_GLOBAL__N_18offset_tEEE10hipError_tPvRmT1_PNSt15iterator_traitsIS13_E10value_typeET2_T3_PNS14_IS19_E10value_typeET4_jRbjT5_S1F_jjP12ihipStream_tbEUljE_ZNSN_ISO_Lb1ESR_SS_SU_SV_SZ_EES10_S11_S12_S13_S17_S18_S19_S1C_S1D_jS1E_jS1F_S1F_jjS1H_bEUljE0_EEES10_S11_S12_S19_S1D_S1F_T6_T7_T9_mT8_S1H_bDpT10_ENKUlT_T0_E_clISt17integral_constantIbLb0EES1U_IbLb1EEEEDaS1Q_S1R_EUlS1Q_E_NS1_11comp_targetILNS1_3genE2ELNS1_11target_archE906ELNS1_3gpuE6ELNS1_3repE0EEENS1_30default_config_static_selectorELNS0_4arch9wavefront6targetE1EEEvS13_
    .private_segment_fixed_size: 0
    .sgpr_count:     4
    .sgpr_spill_count: 0
    .symbol:         _ZN7rocprim17ROCPRIM_400000_NS6detail17trampoline_kernelINS0_13select_configILj256ELj13ELNS0_17block_load_methodE3ELS4_3ELS4_3ELNS0_20block_scan_algorithmE0ELj4294967295EEENS1_25partition_config_selectorILNS1_17partition_subalgoE4EjNS0_10empty_typeEbEEZZNS1_14partition_implILS8_4ELb0ES6_15HIP_vector_typeIjLj2EENS0_17counting_iteratorIjlEEPS9_SG_NS0_5tupleIJPjSI_NS0_16reverse_iteratorISI_EEEEENSH_IJSG_SG_SG_EEES9_SI_JZNS1_25segmented_radix_sort_implINS0_14default_configELb1EPK6__halfPSP_PKlPlN2at6native12_GLOBAL__N_18offset_tEEE10hipError_tPvRmT1_PNSt15iterator_traitsIS13_E10value_typeET2_T3_PNS14_IS19_E10value_typeET4_jRbjT5_S1F_jjP12ihipStream_tbEUljE_ZNSN_ISO_Lb1ESR_SS_SU_SV_SZ_EES10_S11_S12_S13_S17_S18_S19_S1C_S1D_jS1E_jS1F_S1F_jjS1H_bEUljE0_EEES10_S11_S12_S19_S1D_S1F_T6_T7_T9_mT8_S1H_bDpT10_ENKUlT_T0_E_clISt17integral_constantIbLb0EES1U_IbLb1EEEEDaS1Q_S1R_EUlS1Q_E_NS1_11comp_targetILNS1_3genE2ELNS1_11target_archE906ELNS1_3gpuE6ELNS1_3repE0EEENS1_30default_config_static_selectorELNS0_4arch9wavefront6targetE1EEEvS13_.kd
    .uniform_work_group_size: 1
    .uses_dynamic_stack: false
    .vgpr_count:     0
    .vgpr_spill_count: 0
    .wavefront_size: 64
  - .agpr_count:     0
    .args:
      - .offset:         0
        .size:           184
        .value_kind:     by_value
    .group_segment_fixed_size: 0
    .kernarg_segment_align: 8
    .kernarg_segment_size: 184
    .language:       OpenCL C
    .language_version:
      - 2
      - 0
    .max_flat_workgroup_size: 256
    .name:           _ZN7rocprim17ROCPRIM_400000_NS6detail17trampoline_kernelINS0_13select_configILj256ELj13ELNS0_17block_load_methodE3ELS4_3ELS4_3ELNS0_20block_scan_algorithmE0ELj4294967295EEENS1_25partition_config_selectorILNS1_17partition_subalgoE4EjNS0_10empty_typeEbEEZZNS1_14partition_implILS8_4ELb0ES6_15HIP_vector_typeIjLj2EENS0_17counting_iteratorIjlEEPS9_SG_NS0_5tupleIJPjSI_NS0_16reverse_iteratorISI_EEEEENSH_IJSG_SG_SG_EEES9_SI_JZNS1_25segmented_radix_sort_implINS0_14default_configELb1EPK6__halfPSP_PKlPlN2at6native12_GLOBAL__N_18offset_tEEE10hipError_tPvRmT1_PNSt15iterator_traitsIS13_E10value_typeET2_T3_PNS14_IS19_E10value_typeET4_jRbjT5_S1F_jjP12ihipStream_tbEUljE_ZNSN_ISO_Lb1ESR_SS_SU_SV_SZ_EES10_S11_S12_S13_S17_S18_S19_S1C_S1D_jS1E_jS1F_S1F_jjS1H_bEUljE0_EEES10_S11_S12_S19_S1D_S1F_T6_T7_T9_mT8_S1H_bDpT10_ENKUlT_T0_E_clISt17integral_constantIbLb0EES1U_IbLb1EEEEDaS1Q_S1R_EUlS1Q_E_NS1_11comp_targetILNS1_3genE10ELNS1_11target_archE1200ELNS1_3gpuE4ELNS1_3repE0EEENS1_30default_config_static_selectorELNS0_4arch9wavefront6targetE1EEEvS13_
    .private_segment_fixed_size: 0
    .sgpr_count:     4
    .sgpr_spill_count: 0
    .symbol:         _ZN7rocprim17ROCPRIM_400000_NS6detail17trampoline_kernelINS0_13select_configILj256ELj13ELNS0_17block_load_methodE3ELS4_3ELS4_3ELNS0_20block_scan_algorithmE0ELj4294967295EEENS1_25partition_config_selectorILNS1_17partition_subalgoE4EjNS0_10empty_typeEbEEZZNS1_14partition_implILS8_4ELb0ES6_15HIP_vector_typeIjLj2EENS0_17counting_iteratorIjlEEPS9_SG_NS0_5tupleIJPjSI_NS0_16reverse_iteratorISI_EEEEENSH_IJSG_SG_SG_EEES9_SI_JZNS1_25segmented_radix_sort_implINS0_14default_configELb1EPK6__halfPSP_PKlPlN2at6native12_GLOBAL__N_18offset_tEEE10hipError_tPvRmT1_PNSt15iterator_traitsIS13_E10value_typeET2_T3_PNS14_IS19_E10value_typeET4_jRbjT5_S1F_jjP12ihipStream_tbEUljE_ZNSN_ISO_Lb1ESR_SS_SU_SV_SZ_EES10_S11_S12_S13_S17_S18_S19_S1C_S1D_jS1E_jS1F_S1F_jjS1H_bEUljE0_EEES10_S11_S12_S19_S1D_S1F_T6_T7_T9_mT8_S1H_bDpT10_ENKUlT_T0_E_clISt17integral_constantIbLb0EES1U_IbLb1EEEEDaS1Q_S1R_EUlS1Q_E_NS1_11comp_targetILNS1_3genE10ELNS1_11target_archE1200ELNS1_3gpuE4ELNS1_3repE0EEENS1_30default_config_static_selectorELNS0_4arch9wavefront6targetE1EEEvS13_.kd
    .uniform_work_group_size: 1
    .uses_dynamic_stack: false
    .vgpr_count:     0
    .vgpr_spill_count: 0
    .wavefront_size: 64
  - .agpr_count:     0
    .args:
      - .offset:         0
        .size:           184
        .value_kind:     by_value
    .group_segment_fixed_size: 0
    .kernarg_segment_align: 8
    .kernarg_segment_size: 184
    .language:       OpenCL C
    .language_version:
      - 2
      - 0
    .max_flat_workgroup_size: 256
    .name:           _ZN7rocprim17ROCPRIM_400000_NS6detail17trampoline_kernelINS0_13select_configILj256ELj13ELNS0_17block_load_methodE3ELS4_3ELS4_3ELNS0_20block_scan_algorithmE0ELj4294967295EEENS1_25partition_config_selectorILNS1_17partition_subalgoE4EjNS0_10empty_typeEbEEZZNS1_14partition_implILS8_4ELb0ES6_15HIP_vector_typeIjLj2EENS0_17counting_iteratorIjlEEPS9_SG_NS0_5tupleIJPjSI_NS0_16reverse_iteratorISI_EEEEENSH_IJSG_SG_SG_EEES9_SI_JZNS1_25segmented_radix_sort_implINS0_14default_configELb1EPK6__halfPSP_PKlPlN2at6native12_GLOBAL__N_18offset_tEEE10hipError_tPvRmT1_PNSt15iterator_traitsIS13_E10value_typeET2_T3_PNS14_IS19_E10value_typeET4_jRbjT5_S1F_jjP12ihipStream_tbEUljE_ZNSN_ISO_Lb1ESR_SS_SU_SV_SZ_EES10_S11_S12_S13_S17_S18_S19_S1C_S1D_jS1E_jS1F_S1F_jjS1H_bEUljE0_EEES10_S11_S12_S19_S1D_S1F_T6_T7_T9_mT8_S1H_bDpT10_ENKUlT_T0_E_clISt17integral_constantIbLb0EES1U_IbLb1EEEEDaS1Q_S1R_EUlS1Q_E_NS1_11comp_targetILNS1_3genE9ELNS1_11target_archE1100ELNS1_3gpuE3ELNS1_3repE0EEENS1_30default_config_static_selectorELNS0_4arch9wavefront6targetE1EEEvS13_
    .private_segment_fixed_size: 0
    .sgpr_count:     4
    .sgpr_spill_count: 0
    .symbol:         _ZN7rocprim17ROCPRIM_400000_NS6detail17trampoline_kernelINS0_13select_configILj256ELj13ELNS0_17block_load_methodE3ELS4_3ELS4_3ELNS0_20block_scan_algorithmE0ELj4294967295EEENS1_25partition_config_selectorILNS1_17partition_subalgoE4EjNS0_10empty_typeEbEEZZNS1_14partition_implILS8_4ELb0ES6_15HIP_vector_typeIjLj2EENS0_17counting_iteratorIjlEEPS9_SG_NS0_5tupleIJPjSI_NS0_16reverse_iteratorISI_EEEEENSH_IJSG_SG_SG_EEES9_SI_JZNS1_25segmented_radix_sort_implINS0_14default_configELb1EPK6__halfPSP_PKlPlN2at6native12_GLOBAL__N_18offset_tEEE10hipError_tPvRmT1_PNSt15iterator_traitsIS13_E10value_typeET2_T3_PNS14_IS19_E10value_typeET4_jRbjT5_S1F_jjP12ihipStream_tbEUljE_ZNSN_ISO_Lb1ESR_SS_SU_SV_SZ_EES10_S11_S12_S13_S17_S18_S19_S1C_S1D_jS1E_jS1F_S1F_jjS1H_bEUljE0_EEES10_S11_S12_S19_S1D_S1F_T6_T7_T9_mT8_S1H_bDpT10_ENKUlT_T0_E_clISt17integral_constantIbLb0EES1U_IbLb1EEEEDaS1Q_S1R_EUlS1Q_E_NS1_11comp_targetILNS1_3genE9ELNS1_11target_archE1100ELNS1_3gpuE3ELNS1_3repE0EEENS1_30default_config_static_selectorELNS0_4arch9wavefront6targetE1EEEvS13_.kd
    .uniform_work_group_size: 1
    .uses_dynamic_stack: false
    .vgpr_count:     0
    .vgpr_spill_count: 0
    .wavefront_size: 64
  - .agpr_count:     0
    .args:
      - .offset:         0
        .size:           184
        .value_kind:     by_value
    .group_segment_fixed_size: 0
    .kernarg_segment_align: 8
    .kernarg_segment_size: 184
    .language:       OpenCL C
    .language_version:
      - 2
      - 0
    .max_flat_workgroup_size: 256
    .name:           _ZN7rocprim17ROCPRIM_400000_NS6detail17trampoline_kernelINS0_13select_configILj256ELj13ELNS0_17block_load_methodE3ELS4_3ELS4_3ELNS0_20block_scan_algorithmE0ELj4294967295EEENS1_25partition_config_selectorILNS1_17partition_subalgoE4EjNS0_10empty_typeEbEEZZNS1_14partition_implILS8_4ELb0ES6_15HIP_vector_typeIjLj2EENS0_17counting_iteratorIjlEEPS9_SG_NS0_5tupleIJPjSI_NS0_16reverse_iteratorISI_EEEEENSH_IJSG_SG_SG_EEES9_SI_JZNS1_25segmented_radix_sort_implINS0_14default_configELb1EPK6__halfPSP_PKlPlN2at6native12_GLOBAL__N_18offset_tEEE10hipError_tPvRmT1_PNSt15iterator_traitsIS13_E10value_typeET2_T3_PNS14_IS19_E10value_typeET4_jRbjT5_S1F_jjP12ihipStream_tbEUljE_ZNSN_ISO_Lb1ESR_SS_SU_SV_SZ_EES10_S11_S12_S13_S17_S18_S19_S1C_S1D_jS1E_jS1F_S1F_jjS1H_bEUljE0_EEES10_S11_S12_S19_S1D_S1F_T6_T7_T9_mT8_S1H_bDpT10_ENKUlT_T0_E_clISt17integral_constantIbLb0EES1U_IbLb1EEEEDaS1Q_S1R_EUlS1Q_E_NS1_11comp_targetILNS1_3genE8ELNS1_11target_archE1030ELNS1_3gpuE2ELNS1_3repE0EEENS1_30default_config_static_selectorELNS0_4arch9wavefront6targetE1EEEvS13_
    .private_segment_fixed_size: 0
    .sgpr_count:     4
    .sgpr_spill_count: 0
    .symbol:         _ZN7rocprim17ROCPRIM_400000_NS6detail17trampoline_kernelINS0_13select_configILj256ELj13ELNS0_17block_load_methodE3ELS4_3ELS4_3ELNS0_20block_scan_algorithmE0ELj4294967295EEENS1_25partition_config_selectorILNS1_17partition_subalgoE4EjNS0_10empty_typeEbEEZZNS1_14partition_implILS8_4ELb0ES6_15HIP_vector_typeIjLj2EENS0_17counting_iteratorIjlEEPS9_SG_NS0_5tupleIJPjSI_NS0_16reverse_iteratorISI_EEEEENSH_IJSG_SG_SG_EEES9_SI_JZNS1_25segmented_radix_sort_implINS0_14default_configELb1EPK6__halfPSP_PKlPlN2at6native12_GLOBAL__N_18offset_tEEE10hipError_tPvRmT1_PNSt15iterator_traitsIS13_E10value_typeET2_T3_PNS14_IS19_E10value_typeET4_jRbjT5_S1F_jjP12ihipStream_tbEUljE_ZNSN_ISO_Lb1ESR_SS_SU_SV_SZ_EES10_S11_S12_S13_S17_S18_S19_S1C_S1D_jS1E_jS1F_S1F_jjS1H_bEUljE0_EEES10_S11_S12_S19_S1D_S1F_T6_T7_T9_mT8_S1H_bDpT10_ENKUlT_T0_E_clISt17integral_constantIbLb0EES1U_IbLb1EEEEDaS1Q_S1R_EUlS1Q_E_NS1_11comp_targetILNS1_3genE8ELNS1_11target_archE1030ELNS1_3gpuE2ELNS1_3repE0EEENS1_30default_config_static_selectorELNS0_4arch9wavefront6targetE1EEEvS13_.kd
    .uniform_work_group_size: 1
    .uses_dynamic_stack: false
    .vgpr_count:     0
    .vgpr_spill_count: 0
    .wavefront_size: 64
  - .agpr_count:     0
    .args:
      - .offset:         0
        .size:           144
        .value_kind:     by_value
    .group_segment_fixed_size: 0
    .kernarg_segment_align: 8
    .kernarg_segment_size: 144
    .language:       OpenCL C
    .language_version:
      - 2
      - 0
    .max_flat_workgroup_size: 256
    .name:           _ZN7rocprim17ROCPRIM_400000_NS6detail17trampoline_kernelINS0_13select_configILj256ELj13ELNS0_17block_load_methodE3ELS4_3ELS4_3ELNS0_20block_scan_algorithmE0ELj4294967295EEENS1_25partition_config_selectorILNS1_17partition_subalgoE3EjNS0_10empty_typeEbEEZZNS1_14partition_implILS8_3ELb0ES6_jNS0_17counting_iteratorIjlEEPS9_SE_NS0_5tupleIJPjSE_EEENSF_IJSE_SE_EEES9_SG_JZNS1_25segmented_radix_sort_implINS0_14default_configELb1EPK6__halfPSL_PKlPlN2at6native12_GLOBAL__N_18offset_tEEE10hipError_tPvRmT1_PNSt15iterator_traitsISZ_E10value_typeET2_T3_PNS10_IS15_E10value_typeET4_jRbjT5_S1B_jjP12ihipStream_tbEUljE_EEESW_SX_SY_S15_S19_S1B_T6_T7_T9_mT8_S1D_bDpT10_ENKUlT_T0_E_clISt17integral_constantIbLb0EES1Q_EEDaS1L_S1M_EUlS1L_E_NS1_11comp_targetILNS1_3genE0ELNS1_11target_archE4294967295ELNS1_3gpuE0ELNS1_3repE0EEENS1_30default_config_static_selectorELNS0_4arch9wavefront6targetE1EEEvSZ_
    .private_segment_fixed_size: 0
    .sgpr_count:     4
    .sgpr_spill_count: 0
    .symbol:         _ZN7rocprim17ROCPRIM_400000_NS6detail17trampoline_kernelINS0_13select_configILj256ELj13ELNS0_17block_load_methodE3ELS4_3ELS4_3ELNS0_20block_scan_algorithmE0ELj4294967295EEENS1_25partition_config_selectorILNS1_17partition_subalgoE3EjNS0_10empty_typeEbEEZZNS1_14partition_implILS8_3ELb0ES6_jNS0_17counting_iteratorIjlEEPS9_SE_NS0_5tupleIJPjSE_EEENSF_IJSE_SE_EEES9_SG_JZNS1_25segmented_radix_sort_implINS0_14default_configELb1EPK6__halfPSL_PKlPlN2at6native12_GLOBAL__N_18offset_tEEE10hipError_tPvRmT1_PNSt15iterator_traitsISZ_E10value_typeET2_T3_PNS10_IS15_E10value_typeET4_jRbjT5_S1B_jjP12ihipStream_tbEUljE_EEESW_SX_SY_S15_S19_S1B_T6_T7_T9_mT8_S1D_bDpT10_ENKUlT_T0_E_clISt17integral_constantIbLb0EES1Q_EEDaS1L_S1M_EUlS1L_E_NS1_11comp_targetILNS1_3genE0ELNS1_11target_archE4294967295ELNS1_3gpuE0ELNS1_3repE0EEENS1_30default_config_static_selectorELNS0_4arch9wavefront6targetE1EEEvSZ_.kd
    .uniform_work_group_size: 1
    .uses_dynamic_stack: false
    .vgpr_count:     0
    .vgpr_spill_count: 0
    .wavefront_size: 64
  - .agpr_count:     0
    .args:
      - .offset:         0
        .size:           144
        .value_kind:     by_value
    .group_segment_fixed_size: 0
    .kernarg_segment_align: 8
    .kernarg_segment_size: 144
    .language:       OpenCL C
    .language_version:
      - 2
      - 0
    .max_flat_workgroup_size: 256
    .name:           _ZN7rocprim17ROCPRIM_400000_NS6detail17trampoline_kernelINS0_13select_configILj256ELj13ELNS0_17block_load_methodE3ELS4_3ELS4_3ELNS0_20block_scan_algorithmE0ELj4294967295EEENS1_25partition_config_selectorILNS1_17partition_subalgoE3EjNS0_10empty_typeEbEEZZNS1_14partition_implILS8_3ELb0ES6_jNS0_17counting_iteratorIjlEEPS9_SE_NS0_5tupleIJPjSE_EEENSF_IJSE_SE_EEES9_SG_JZNS1_25segmented_radix_sort_implINS0_14default_configELb1EPK6__halfPSL_PKlPlN2at6native12_GLOBAL__N_18offset_tEEE10hipError_tPvRmT1_PNSt15iterator_traitsISZ_E10value_typeET2_T3_PNS10_IS15_E10value_typeET4_jRbjT5_S1B_jjP12ihipStream_tbEUljE_EEESW_SX_SY_S15_S19_S1B_T6_T7_T9_mT8_S1D_bDpT10_ENKUlT_T0_E_clISt17integral_constantIbLb0EES1Q_EEDaS1L_S1M_EUlS1L_E_NS1_11comp_targetILNS1_3genE5ELNS1_11target_archE942ELNS1_3gpuE9ELNS1_3repE0EEENS1_30default_config_static_selectorELNS0_4arch9wavefront6targetE1EEEvSZ_
    .private_segment_fixed_size: 0
    .sgpr_count:     4
    .sgpr_spill_count: 0
    .symbol:         _ZN7rocprim17ROCPRIM_400000_NS6detail17trampoline_kernelINS0_13select_configILj256ELj13ELNS0_17block_load_methodE3ELS4_3ELS4_3ELNS0_20block_scan_algorithmE0ELj4294967295EEENS1_25partition_config_selectorILNS1_17partition_subalgoE3EjNS0_10empty_typeEbEEZZNS1_14partition_implILS8_3ELb0ES6_jNS0_17counting_iteratorIjlEEPS9_SE_NS0_5tupleIJPjSE_EEENSF_IJSE_SE_EEES9_SG_JZNS1_25segmented_radix_sort_implINS0_14default_configELb1EPK6__halfPSL_PKlPlN2at6native12_GLOBAL__N_18offset_tEEE10hipError_tPvRmT1_PNSt15iterator_traitsISZ_E10value_typeET2_T3_PNS10_IS15_E10value_typeET4_jRbjT5_S1B_jjP12ihipStream_tbEUljE_EEESW_SX_SY_S15_S19_S1B_T6_T7_T9_mT8_S1D_bDpT10_ENKUlT_T0_E_clISt17integral_constantIbLb0EES1Q_EEDaS1L_S1M_EUlS1L_E_NS1_11comp_targetILNS1_3genE5ELNS1_11target_archE942ELNS1_3gpuE9ELNS1_3repE0EEENS1_30default_config_static_selectorELNS0_4arch9wavefront6targetE1EEEvSZ_.kd
    .uniform_work_group_size: 1
    .uses_dynamic_stack: false
    .vgpr_count:     0
    .vgpr_spill_count: 0
    .wavefront_size: 64
  - .agpr_count:     0
    .args:
      - .offset:         0
        .size:           144
        .value_kind:     by_value
    .group_segment_fixed_size: 13324
    .kernarg_segment_align: 8
    .kernarg_segment_size: 144
    .language:       OpenCL C
    .language_version:
      - 2
      - 0
    .max_flat_workgroup_size: 256
    .name:           _ZN7rocprim17ROCPRIM_400000_NS6detail17trampoline_kernelINS0_13select_configILj256ELj13ELNS0_17block_load_methodE3ELS4_3ELS4_3ELNS0_20block_scan_algorithmE0ELj4294967295EEENS1_25partition_config_selectorILNS1_17partition_subalgoE3EjNS0_10empty_typeEbEEZZNS1_14partition_implILS8_3ELb0ES6_jNS0_17counting_iteratorIjlEEPS9_SE_NS0_5tupleIJPjSE_EEENSF_IJSE_SE_EEES9_SG_JZNS1_25segmented_radix_sort_implINS0_14default_configELb1EPK6__halfPSL_PKlPlN2at6native12_GLOBAL__N_18offset_tEEE10hipError_tPvRmT1_PNSt15iterator_traitsISZ_E10value_typeET2_T3_PNS10_IS15_E10value_typeET4_jRbjT5_S1B_jjP12ihipStream_tbEUljE_EEESW_SX_SY_S15_S19_S1B_T6_T7_T9_mT8_S1D_bDpT10_ENKUlT_T0_E_clISt17integral_constantIbLb0EES1Q_EEDaS1L_S1M_EUlS1L_E_NS1_11comp_targetILNS1_3genE4ELNS1_11target_archE910ELNS1_3gpuE8ELNS1_3repE0EEENS1_30default_config_static_selectorELNS0_4arch9wavefront6targetE1EEEvSZ_
    .private_segment_fixed_size: 0
    .sgpr_count:     50
    .sgpr_spill_count: 0
    .symbol:         _ZN7rocprim17ROCPRIM_400000_NS6detail17trampoline_kernelINS0_13select_configILj256ELj13ELNS0_17block_load_methodE3ELS4_3ELS4_3ELNS0_20block_scan_algorithmE0ELj4294967295EEENS1_25partition_config_selectorILNS1_17partition_subalgoE3EjNS0_10empty_typeEbEEZZNS1_14partition_implILS8_3ELb0ES6_jNS0_17counting_iteratorIjlEEPS9_SE_NS0_5tupleIJPjSE_EEENSF_IJSE_SE_EEES9_SG_JZNS1_25segmented_radix_sort_implINS0_14default_configELb1EPK6__halfPSL_PKlPlN2at6native12_GLOBAL__N_18offset_tEEE10hipError_tPvRmT1_PNSt15iterator_traitsISZ_E10value_typeET2_T3_PNS10_IS15_E10value_typeET4_jRbjT5_S1B_jjP12ihipStream_tbEUljE_EEESW_SX_SY_S15_S19_S1B_T6_T7_T9_mT8_S1D_bDpT10_ENKUlT_T0_E_clISt17integral_constantIbLb0EES1Q_EEDaS1L_S1M_EUlS1L_E_NS1_11comp_targetILNS1_3genE4ELNS1_11target_archE910ELNS1_3gpuE8ELNS1_3repE0EEENS1_30default_config_static_selectorELNS0_4arch9wavefront6targetE1EEEvSZ_.kd
    .uniform_work_group_size: 1
    .uses_dynamic_stack: false
    .vgpr_count:     61
    .vgpr_spill_count: 0
    .wavefront_size: 64
  - .agpr_count:     0
    .args:
      - .offset:         0
        .size:           144
        .value_kind:     by_value
    .group_segment_fixed_size: 0
    .kernarg_segment_align: 8
    .kernarg_segment_size: 144
    .language:       OpenCL C
    .language_version:
      - 2
      - 0
    .max_flat_workgroup_size: 256
    .name:           _ZN7rocprim17ROCPRIM_400000_NS6detail17trampoline_kernelINS0_13select_configILj256ELj13ELNS0_17block_load_methodE3ELS4_3ELS4_3ELNS0_20block_scan_algorithmE0ELj4294967295EEENS1_25partition_config_selectorILNS1_17partition_subalgoE3EjNS0_10empty_typeEbEEZZNS1_14partition_implILS8_3ELb0ES6_jNS0_17counting_iteratorIjlEEPS9_SE_NS0_5tupleIJPjSE_EEENSF_IJSE_SE_EEES9_SG_JZNS1_25segmented_radix_sort_implINS0_14default_configELb1EPK6__halfPSL_PKlPlN2at6native12_GLOBAL__N_18offset_tEEE10hipError_tPvRmT1_PNSt15iterator_traitsISZ_E10value_typeET2_T3_PNS10_IS15_E10value_typeET4_jRbjT5_S1B_jjP12ihipStream_tbEUljE_EEESW_SX_SY_S15_S19_S1B_T6_T7_T9_mT8_S1D_bDpT10_ENKUlT_T0_E_clISt17integral_constantIbLb0EES1Q_EEDaS1L_S1M_EUlS1L_E_NS1_11comp_targetILNS1_3genE3ELNS1_11target_archE908ELNS1_3gpuE7ELNS1_3repE0EEENS1_30default_config_static_selectorELNS0_4arch9wavefront6targetE1EEEvSZ_
    .private_segment_fixed_size: 0
    .sgpr_count:     4
    .sgpr_spill_count: 0
    .symbol:         _ZN7rocprim17ROCPRIM_400000_NS6detail17trampoline_kernelINS0_13select_configILj256ELj13ELNS0_17block_load_methodE3ELS4_3ELS4_3ELNS0_20block_scan_algorithmE0ELj4294967295EEENS1_25partition_config_selectorILNS1_17partition_subalgoE3EjNS0_10empty_typeEbEEZZNS1_14partition_implILS8_3ELb0ES6_jNS0_17counting_iteratorIjlEEPS9_SE_NS0_5tupleIJPjSE_EEENSF_IJSE_SE_EEES9_SG_JZNS1_25segmented_radix_sort_implINS0_14default_configELb1EPK6__halfPSL_PKlPlN2at6native12_GLOBAL__N_18offset_tEEE10hipError_tPvRmT1_PNSt15iterator_traitsISZ_E10value_typeET2_T3_PNS10_IS15_E10value_typeET4_jRbjT5_S1B_jjP12ihipStream_tbEUljE_EEESW_SX_SY_S15_S19_S1B_T6_T7_T9_mT8_S1D_bDpT10_ENKUlT_T0_E_clISt17integral_constantIbLb0EES1Q_EEDaS1L_S1M_EUlS1L_E_NS1_11comp_targetILNS1_3genE3ELNS1_11target_archE908ELNS1_3gpuE7ELNS1_3repE0EEENS1_30default_config_static_selectorELNS0_4arch9wavefront6targetE1EEEvSZ_.kd
    .uniform_work_group_size: 1
    .uses_dynamic_stack: false
    .vgpr_count:     0
    .vgpr_spill_count: 0
    .wavefront_size: 64
  - .agpr_count:     0
    .args:
      - .offset:         0
        .size:           144
        .value_kind:     by_value
    .group_segment_fixed_size: 0
    .kernarg_segment_align: 8
    .kernarg_segment_size: 144
    .language:       OpenCL C
    .language_version:
      - 2
      - 0
    .max_flat_workgroup_size: 256
    .name:           _ZN7rocprim17ROCPRIM_400000_NS6detail17trampoline_kernelINS0_13select_configILj256ELj13ELNS0_17block_load_methodE3ELS4_3ELS4_3ELNS0_20block_scan_algorithmE0ELj4294967295EEENS1_25partition_config_selectorILNS1_17partition_subalgoE3EjNS0_10empty_typeEbEEZZNS1_14partition_implILS8_3ELb0ES6_jNS0_17counting_iteratorIjlEEPS9_SE_NS0_5tupleIJPjSE_EEENSF_IJSE_SE_EEES9_SG_JZNS1_25segmented_radix_sort_implINS0_14default_configELb1EPK6__halfPSL_PKlPlN2at6native12_GLOBAL__N_18offset_tEEE10hipError_tPvRmT1_PNSt15iterator_traitsISZ_E10value_typeET2_T3_PNS10_IS15_E10value_typeET4_jRbjT5_S1B_jjP12ihipStream_tbEUljE_EEESW_SX_SY_S15_S19_S1B_T6_T7_T9_mT8_S1D_bDpT10_ENKUlT_T0_E_clISt17integral_constantIbLb0EES1Q_EEDaS1L_S1M_EUlS1L_E_NS1_11comp_targetILNS1_3genE2ELNS1_11target_archE906ELNS1_3gpuE6ELNS1_3repE0EEENS1_30default_config_static_selectorELNS0_4arch9wavefront6targetE1EEEvSZ_
    .private_segment_fixed_size: 0
    .sgpr_count:     4
    .sgpr_spill_count: 0
    .symbol:         _ZN7rocprim17ROCPRIM_400000_NS6detail17trampoline_kernelINS0_13select_configILj256ELj13ELNS0_17block_load_methodE3ELS4_3ELS4_3ELNS0_20block_scan_algorithmE0ELj4294967295EEENS1_25partition_config_selectorILNS1_17partition_subalgoE3EjNS0_10empty_typeEbEEZZNS1_14partition_implILS8_3ELb0ES6_jNS0_17counting_iteratorIjlEEPS9_SE_NS0_5tupleIJPjSE_EEENSF_IJSE_SE_EEES9_SG_JZNS1_25segmented_radix_sort_implINS0_14default_configELb1EPK6__halfPSL_PKlPlN2at6native12_GLOBAL__N_18offset_tEEE10hipError_tPvRmT1_PNSt15iterator_traitsISZ_E10value_typeET2_T3_PNS10_IS15_E10value_typeET4_jRbjT5_S1B_jjP12ihipStream_tbEUljE_EEESW_SX_SY_S15_S19_S1B_T6_T7_T9_mT8_S1D_bDpT10_ENKUlT_T0_E_clISt17integral_constantIbLb0EES1Q_EEDaS1L_S1M_EUlS1L_E_NS1_11comp_targetILNS1_3genE2ELNS1_11target_archE906ELNS1_3gpuE6ELNS1_3repE0EEENS1_30default_config_static_selectorELNS0_4arch9wavefront6targetE1EEEvSZ_.kd
    .uniform_work_group_size: 1
    .uses_dynamic_stack: false
    .vgpr_count:     0
    .vgpr_spill_count: 0
    .wavefront_size: 64
  - .agpr_count:     0
    .args:
      - .offset:         0
        .size:           144
        .value_kind:     by_value
    .group_segment_fixed_size: 0
    .kernarg_segment_align: 8
    .kernarg_segment_size: 144
    .language:       OpenCL C
    .language_version:
      - 2
      - 0
    .max_flat_workgroup_size: 256
    .name:           _ZN7rocprim17ROCPRIM_400000_NS6detail17trampoline_kernelINS0_13select_configILj256ELj13ELNS0_17block_load_methodE3ELS4_3ELS4_3ELNS0_20block_scan_algorithmE0ELj4294967295EEENS1_25partition_config_selectorILNS1_17partition_subalgoE3EjNS0_10empty_typeEbEEZZNS1_14partition_implILS8_3ELb0ES6_jNS0_17counting_iteratorIjlEEPS9_SE_NS0_5tupleIJPjSE_EEENSF_IJSE_SE_EEES9_SG_JZNS1_25segmented_radix_sort_implINS0_14default_configELb1EPK6__halfPSL_PKlPlN2at6native12_GLOBAL__N_18offset_tEEE10hipError_tPvRmT1_PNSt15iterator_traitsISZ_E10value_typeET2_T3_PNS10_IS15_E10value_typeET4_jRbjT5_S1B_jjP12ihipStream_tbEUljE_EEESW_SX_SY_S15_S19_S1B_T6_T7_T9_mT8_S1D_bDpT10_ENKUlT_T0_E_clISt17integral_constantIbLb0EES1Q_EEDaS1L_S1M_EUlS1L_E_NS1_11comp_targetILNS1_3genE10ELNS1_11target_archE1200ELNS1_3gpuE4ELNS1_3repE0EEENS1_30default_config_static_selectorELNS0_4arch9wavefront6targetE1EEEvSZ_
    .private_segment_fixed_size: 0
    .sgpr_count:     4
    .sgpr_spill_count: 0
    .symbol:         _ZN7rocprim17ROCPRIM_400000_NS6detail17trampoline_kernelINS0_13select_configILj256ELj13ELNS0_17block_load_methodE3ELS4_3ELS4_3ELNS0_20block_scan_algorithmE0ELj4294967295EEENS1_25partition_config_selectorILNS1_17partition_subalgoE3EjNS0_10empty_typeEbEEZZNS1_14partition_implILS8_3ELb0ES6_jNS0_17counting_iteratorIjlEEPS9_SE_NS0_5tupleIJPjSE_EEENSF_IJSE_SE_EEES9_SG_JZNS1_25segmented_radix_sort_implINS0_14default_configELb1EPK6__halfPSL_PKlPlN2at6native12_GLOBAL__N_18offset_tEEE10hipError_tPvRmT1_PNSt15iterator_traitsISZ_E10value_typeET2_T3_PNS10_IS15_E10value_typeET4_jRbjT5_S1B_jjP12ihipStream_tbEUljE_EEESW_SX_SY_S15_S19_S1B_T6_T7_T9_mT8_S1D_bDpT10_ENKUlT_T0_E_clISt17integral_constantIbLb0EES1Q_EEDaS1L_S1M_EUlS1L_E_NS1_11comp_targetILNS1_3genE10ELNS1_11target_archE1200ELNS1_3gpuE4ELNS1_3repE0EEENS1_30default_config_static_selectorELNS0_4arch9wavefront6targetE1EEEvSZ_.kd
    .uniform_work_group_size: 1
    .uses_dynamic_stack: false
    .vgpr_count:     0
    .vgpr_spill_count: 0
    .wavefront_size: 64
  - .agpr_count:     0
    .args:
      - .offset:         0
        .size:           144
        .value_kind:     by_value
    .group_segment_fixed_size: 0
    .kernarg_segment_align: 8
    .kernarg_segment_size: 144
    .language:       OpenCL C
    .language_version:
      - 2
      - 0
    .max_flat_workgroup_size: 256
    .name:           _ZN7rocprim17ROCPRIM_400000_NS6detail17trampoline_kernelINS0_13select_configILj256ELj13ELNS0_17block_load_methodE3ELS4_3ELS4_3ELNS0_20block_scan_algorithmE0ELj4294967295EEENS1_25partition_config_selectorILNS1_17partition_subalgoE3EjNS0_10empty_typeEbEEZZNS1_14partition_implILS8_3ELb0ES6_jNS0_17counting_iteratorIjlEEPS9_SE_NS0_5tupleIJPjSE_EEENSF_IJSE_SE_EEES9_SG_JZNS1_25segmented_radix_sort_implINS0_14default_configELb1EPK6__halfPSL_PKlPlN2at6native12_GLOBAL__N_18offset_tEEE10hipError_tPvRmT1_PNSt15iterator_traitsISZ_E10value_typeET2_T3_PNS10_IS15_E10value_typeET4_jRbjT5_S1B_jjP12ihipStream_tbEUljE_EEESW_SX_SY_S15_S19_S1B_T6_T7_T9_mT8_S1D_bDpT10_ENKUlT_T0_E_clISt17integral_constantIbLb0EES1Q_EEDaS1L_S1M_EUlS1L_E_NS1_11comp_targetILNS1_3genE9ELNS1_11target_archE1100ELNS1_3gpuE3ELNS1_3repE0EEENS1_30default_config_static_selectorELNS0_4arch9wavefront6targetE1EEEvSZ_
    .private_segment_fixed_size: 0
    .sgpr_count:     4
    .sgpr_spill_count: 0
    .symbol:         _ZN7rocprim17ROCPRIM_400000_NS6detail17trampoline_kernelINS0_13select_configILj256ELj13ELNS0_17block_load_methodE3ELS4_3ELS4_3ELNS0_20block_scan_algorithmE0ELj4294967295EEENS1_25partition_config_selectorILNS1_17partition_subalgoE3EjNS0_10empty_typeEbEEZZNS1_14partition_implILS8_3ELb0ES6_jNS0_17counting_iteratorIjlEEPS9_SE_NS0_5tupleIJPjSE_EEENSF_IJSE_SE_EEES9_SG_JZNS1_25segmented_radix_sort_implINS0_14default_configELb1EPK6__halfPSL_PKlPlN2at6native12_GLOBAL__N_18offset_tEEE10hipError_tPvRmT1_PNSt15iterator_traitsISZ_E10value_typeET2_T3_PNS10_IS15_E10value_typeET4_jRbjT5_S1B_jjP12ihipStream_tbEUljE_EEESW_SX_SY_S15_S19_S1B_T6_T7_T9_mT8_S1D_bDpT10_ENKUlT_T0_E_clISt17integral_constantIbLb0EES1Q_EEDaS1L_S1M_EUlS1L_E_NS1_11comp_targetILNS1_3genE9ELNS1_11target_archE1100ELNS1_3gpuE3ELNS1_3repE0EEENS1_30default_config_static_selectorELNS0_4arch9wavefront6targetE1EEEvSZ_.kd
    .uniform_work_group_size: 1
    .uses_dynamic_stack: false
    .vgpr_count:     0
    .vgpr_spill_count: 0
    .wavefront_size: 64
  - .agpr_count:     0
    .args:
      - .offset:         0
        .size:           144
        .value_kind:     by_value
    .group_segment_fixed_size: 0
    .kernarg_segment_align: 8
    .kernarg_segment_size: 144
    .language:       OpenCL C
    .language_version:
      - 2
      - 0
    .max_flat_workgroup_size: 256
    .name:           _ZN7rocprim17ROCPRIM_400000_NS6detail17trampoline_kernelINS0_13select_configILj256ELj13ELNS0_17block_load_methodE3ELS4_3ELS4_3ELNS0_20block_scan_algorithmE0ELj4294967295EEENS1_25partition_config_selectorILNS1_17partition_subalgoE3EjNS0_10empty_typeEbEEZZNS1_14partition_implILS8_3ELb0ES6_jNS0_17counting_iteratorIjlEEPS9_SE_NS0_5tupleIJPjSE_EEENSF_IJSE_SE_EEES9_SG_JZNS1_25segmented_radix_sort_implINS0_14default_configELb1EPK6__halfPSL_PKlPlN2at6native12_GLOBAL__N_18offset_tEEE10hipError_tPvRmT1_PNSt15iterator_traitsISZ_E10value_typeET2_T3_PNS10_IS15_E10value_typeET4_jRbjT5_S1B_jjP12ihipStream_tbEUljE_EEESW_SX_SY_S15_S19_S1B_T6_T7_T9_mT8_S1D_bDpT10_ENKUlT_T0_E_clISt17integral_constantIbLb0EES1Q_EEDaS1L_S1M_EUlS1L_E_NS1_11comp_targetILNS1_3genE8ELNS1_11target_archE1030ELNS1_3gpuE2ELNS1_3repE0EEENS1_30default_config_static_selectorELNS0_4arch9wavefront6targetE1EEEvSZ_
    .private_segment_fixed_size: 0
    .sgpr_count:     4
    .sgpr_spill_count: 0
    .symbol:         _ZN7rocprim17ROCPRIM_400000_NS6detail17trampoline_kernelINS0_13select_configILj256ELj13ELNS0_17block_load_methodE3ELS4_3ELS4_3ELNS0_20block_scan_algorithmE0ELj4294967295EEENS1_25partition_config_selectorILNS1_17partition_subalgoE3EjNS0_10empty_typeEbEEZZNS1_14partition_implILS8_3ELb0ES6_jNS0_17counting_iteratorIjlEEPS9_SE_NS0_5tupleIJPjSE_EEENSF_IJSE_SE_EEES9_SG_JZNS1_25segmented_radix_sort_implINS0_14default_configELb1EPK6__halfPSL_PKlPlN2at6native12_GLOBAL__N_18offset_tEEE10hipError_tPvRmT1_PNSt15iterator_traitsISZ_E10value_typeET2_T3_PNS10_IS15_E10value_typeET4_jRbjT5_S1B_jjP12ihipStream_tbEUljE_EEESW_SX_SY_S15_S19_S1B_T6_T7_T9_mT8_S1D_bDpT10_ENKUlT_T0_E_clISt17integral_constantIbLb0EES1Q_EEDaS1L_S1M_EUlS1L_E_NS1_11comp_targetILNS1_3genE8ELNS1_11target_archE1030ELNS1_3gpuE2ELNS1_3repE0EEENS1_30default_config_static_selectorELNS0_4arch9wavefront6targetE1EEEvSZ_.kd
    .uniform_work_group_size: 1
    .uses_dynamic_stack: false
    .vgpr_count:     0
    .vgpr_spill_count: 0
    .wavefront_size: 64
  - .agpr_count:     0
    .args:
      - .offset:         0
        .size:           152
        .value_kind:     by_value
    .group_segment_fixed_size: 0
    .kernarg_segment_align: 8
    .kernarg_segment_size: 152
    .language:       OpenCL C
    .language_version:
      - 2
      - 0
    .max_flat_workgroup_size: 256
    .name:           _ZN7rocprim17ROCPRIM_400000_NS6detail17trampoline_kernelINS0_13select_configILj256ELj13ELNS0_17block_load_methodE3ELS4_3ELS4_3ELNS0_20block_scan_algorithmE0ELj4294967295EEENS1_25partition_config_selectorILNS1_17partition_subalgoE3EjNS0_10empty_typeEbEEZZNS1_14partition_implILS8_3ELb0ES6_jNS0_17counting_iteratorIjlEEPS9_SE_NS0_5tupleIJPjSE_EEENSF_IJSE_SE_EEES9_SG_JZNS1_25segmented_radix_sort_implINS0_14default_configELb1EPK6__halfPSL_PKlPlN2at6native12_GLOBAL__N_18offset_tEEE10hipError_tPvRmT1_PNSt15iterator_traitsISZ_E10value_typeET2_T3_PNS10_IS15_E10value_typeET4_jRbjT5_S1B_jjP12ihipStream_tbEUljE_EEESW_SX_SY_S15_S19_S1B_T6_T7_T9_mT8_S1D_bDpT10_ENKUlT_T0_E_clISt17integral_constantIbLb1EES1Q_EEDaS1L_S1M_EUlS1L_E_NS1_11comp_targetILNS1_3genE0ELNS1_11target_archE4294967295ELNS1_3gpuE0ELNS1_3repE0EEENS1_30default_config_static_selectorELNS0_4arch9wavefront6targetE1EEEvSZ_
    .private_segment_fixed_size: 0
    .sgpr_count:     4
    .sgpr_spill_count: 0
    .symbol:         _ZN7rocprim17ROCPRIM_400000_NS6detail17trampoline_kernelINS0_13select_configILj256ELj13ELNS0_17block_load_methodE3ELS4_3ELS4_3ELNS0_20block_scan_algorithmE0ELj4294967295EEENS1_25partition_config_selectorILNS1_17partition_subalgoE3EjNS0_10empty_typeEbEEZZNS1_14partition_implILS8_3ELb0ES6_jNS0_17counting_iteratorIjlEEPS9_SE_NS0_5tupleIJPjSE_EEENSF_IJSE_SE_EEES9_SG_JZNS1_25segmented_radix_sort_implINS0_14default_configELb1EPK6__halfPSL_PKlPlN2at6native12_GLOBAL__N_18offset_tEEE10hipError_tPvRmT1_PNSt15iterator_traitsISZ_E10value_typeET2_T3_PNS10_IS15_E10value_typeET4_jRbjT5_S1B_jjP12ihipStream_tbEUljE_EEESW_SX_SY_S15_S19_S1B_T6_T7_T9_mT8_S1D_bDpT10_ENKUlT_T0_E_clISt17integral_constantIbLb1EES1Q_EEDaS1L_S1M_EUlS1L_E_NS1_11comp_targetILNS1_3genE0ELNS1_11target_archE4294967295ELNS1_3gpuE0ELNS1_3repE0EEENS1_30default_config_static_selectorELNS0_4arch9wavefront6targetE1EEEvSZ_.kd
    .uniform_work_group_size: 1
    .uses_dynamic_stack: false
    .vgpr_count:     0
    .vgpr_spill_count: 0
    .wavefront_size: 64
  - .agpr_count:     0
    .args:
      - .offset:         0
        .size:           152
        .value_kind:     by_value
    .group_segment_fixed_size: 0
    .kernarg_segment_align: 8
    .kernarg_segment_size: 152
    .language:       OpenCL C
    .language_version:
      - 2
      - 0
    .max_flat_workgroup_size: 256
    .name:           _ZN7rocprim17ROCPRIM_400000_NS6detail17trampoline_kernelINS0_13select_configILj256ELj13ELNS0_17block_load_methodE3ELS4_3ELS4_3ELNS0_20block_scan_algorithmE0ELj4294967295EEENS1_25partition_config_selectorILNS1_17partition_subalgoE3EjNS0_10empty_typeEbEEZZNS1_14partition_implILS8_3ELb0ES6_jNS0_17counting_iteratorIjlEEPS9_SE_NS0_5tupleIJPjSE_EEENSF_IJSE_SE_EEES9_SG_JZNS1_25segmented_radix_sort_implINS0_14default_configELb1EPK6__halfPSL_PKlPlN2at6native12_GLOBAL__N_18offset_tEEE10hipError_tPvRmT1_PNSt15iterator_traitsISZ_E10value_typeET2_T3_PNS10_IS15_E10value_typeET4_jRbjT5_S1B_jjP12ihipStream_tbEUljE_EEESW_SX_SY_S15_S19_S1B_T6_T7_T9_mT8_S1D_bDpT10_ENKUlT_T0_E_clISt17integral_constantIbLb1EES1Q_EEDaS1L_S1M_EUlS1L_E_NS1_11comp_targetILNS1_3genE5ELNS1_11target_archE942ELNS1_3gpuE9ELNS1_3repE0EEENS1_30default_config_static_selectorELNS0_4arch9wavefront6targetE1EEEvSZ_
    .private_segment_fixed_size: 0
    .sgpr_count:     4
    .sgpr_spill_count: 0
    .symbol:         _ZN7rocprim17ROCPRIM_400000_NS6detail17trampoline_kernelINS0_13select_configILj256ELj13ELNS0_17block_load_methodE3ELS4_3ELS4_3ELNS0_20block_scan_algorithmE0ELj4294967295EEENS1_25partition_config_selectorILNS1_17partition_subalgoE3EjNS0_10empty_typeEbEEZZNS1_14partition_implILS8_3ELb0ES6_jNS0_17counting_iteratorIjlEEPS9_SE_NS0_5tupleIJPjSE_EEENSF_IJSE_SE_EEES9_SG_JZNS1_25segmented_radix_sort_implINS0_14default_configELb1EPK6__halfPSL_PKlPlN2at6native12_GLOBAL__N_18offset_tEEE10hipError_tPvRmT1_PNSt15iterator_traitsISZ_E10value_typeET2_T3_PNS10_IS15_E10value_typeET4_jRbjT5_S1B_jjP12ihipStream_tbEUljE_EEESW_SX_SY_S15_S19_S1B_T6_T7_T9_mT8_S1D_bDpT10_ENKUlT_T0_E_clISt17integral_constantIbLb1EES1Q_EEDaS1L_S1M_EUlS1L_E_NS1_11comp_targetILNS1_3genE5ELNS1_11target_archE942ELNS1_3gpuE9ELNS1_3repE0EEENS1_30default_config_static_selectorELNS0_4arch9wavefront6targetE1EEEvSZ_.kd
    .uniform_work_group_size: 1
    .uses_dynamic_stack: false
    .vgpr_count:     0
    .vgpr_spill_count: 0
    .wavefront_size: 64
  - .agpr_count:     0
    .args:
      - .offset:         0
        .size:           152
        .value_kind:     by_value
    .group_segment_fixed_size: 13324
    .kernarg_segment_align: 8
    .kernarg_segment_size: 152
    .language:       OpenCL C
    .language_version:
      - 2
      - 0
    .max_flat_workgroup_size: 256
    .name:           _ZN7rocprim17ROCPRIM_400000_NS6detail17trampoline_kernelINS0_13select_configILj256ELj13ELNS0_17block_load_methodE3ELS4_3ELS4_3ELNS0_20block_scan_algorithmE0ELj4294967295EEENS1_25partition_config_selectorILNS1_17partition_subalgoE3EjNS0_10empty_typeEbEEZZNS1_14partition_implILS8_3ELb0ES6_jNS0_17counting_iteratorIjlEEPS9_SE_NS0_5tupleIJPjSE_EEENSF_IJSE_SE_EEES9_SG_JZNS1_25segmented_radix_sort_implINS0_14default_configELb1EPK6__halfPSL_PKlPlN2at6native12_GLOBAL__N_18offset_tEEE10hipError_tPvRmT1_PNSt15iterator_traitsISZ_E10value_typeET2_T3_PNS10_IS15_E10value_typeET4_jRbjT5_S1B_jjP12ihipStream_tbEUljE_EEESW_SX_SY_S15_S19_S1B_T6_T7_T9_mT8_S1D_bDpT10_ENKUlT_T0_E_clISt17integral_constantIbLb1EES1Q_EEDaS1L_S1M_EUlS1L_E_NS1_11comp_targetILNS1_3genE4ELNS1_11target_archE910ELNS1_3gpuE8ELNS1_3repE0EEENS1_30default_config_static_selectorELNS0_4arch9wavefront6targetE1EEEvSZ_
    .private_segment_fixed_size: 0
    .sgpr_count:     48
    .sgpr_spill_count: 0
    .symbol:         _ZN7rocprim17ROCPRIM_400000_NS6detail17trampoline_kernelINS0_13select_configILj256ELj13ELNS0_17block_load_methodE3ELS4_3ELS4_3ELNS0_20block_scan_algorithmE0ELj4294967295EEENS1_25partition_config_selectorILNS1_17partition_subalgoE3EjNS0_10empty_typeEbEEZZNS1_14partition_implILS8_3ELb0ES6_jNS0_17counting_iteratorIjlEEPS9_SE_NS0_5tupleIJPjSE_EEENSF_IJSE_SE_EEES9_SG_JZNS1_25segmented_radix_sort_implINS0_14default_configELb1EPK6__halfPSL_PKlPlN2at6native12_GLOBAL__N_18offset_tEEE10hipError_tPvRmT1_PNSt15iterator_traitsISZ_E10value_typeET2_T3_PNS10_IS15_E10value_typeET4_jRbjT5_S1B_jjP12ihipStream_tbEUljE_EEESW_SX_SY_S15_S19_S1B_T6_T7_T9_mT8_S1D_bDpT10_ENKUlT_T0_E_clISt17integral_constantIbLb1EES1Q_EEDaS1L_S1M_EUlS1L_E_NS1_11comp_targetILNS1_3genE4ELNS1_11target_archE910ELNS1_3gpuE8ELNS1_3repE0EEENS1_30default_config_static_selectorELNS0_4arch9wavefront6targetE1EEEvSZ_.kd
    .uniform_work_group_size: 1
    .uses_dynamic_stack: false
    .vgpr_count:     64
    .vgpr_spill_count: 0
    .wavefront_size: 64
  - .agpr_count:     0
    .args:
      - .offset:         0
        .size:           152
        .value_kind:     by_value
    .group_segment_fixed_size: 0
    .kernarg_segment_align: 8
    .kernarg_segment_size: 152
    .language:       OpenCL C
    .language_version:
      - 2
      - 0
    .max_flat_workgroup_size: 256
    .name:           _ZN7rocprim17ROCPRIM_400000_NS6detail17trampoline_kernelINS0_13select_configILj256ELj13ELNS0_17block_load_methodE3ELS4_3ELS4_3ELNS0_20block_scan_algorithmE0ELj4294967295EEENS1_25partition_config_selectorILNS1_17partition_subalgoE3EjNS0_10empty_typeEbEEZZNS1_14partition_implILS8_3ELb0ES6_jNS0_17counting_iteratorIjlEEPS9_SE_NS0_5tupleIJPjSE_EEENSF_IJSE_SE_EEES9_SG_JZNS1_25segmented_radix_sort_implINS0_14default_configELb1EPK6__halfPSL_PKlPlN2at6native12_GLOBAL__N_18offset_tEEE10hipError_tPvRmT1_PNSt15iterator_traitsISZ_E10value_typeET2_T3_PNS10_IS15_E10value_typeET4_jRbjT5_S1B_jjP12ihipStream_tbEUljE_EEESW_SX_SY_S15_S19_S1B_T6_T7_T9_mT8_S1D_bDpT10_ENKUlT_T0_E_clISt17integral_constantIbLb1EES1Q_EEDaS1L_S1M_EUlS1L_E_NS1_11comp_targetILNS1_3genE3ELNS1_11target_archE908ELNS1_3gpuE7ELNS1_3repE0EEENS1_30default_config_static_selectorELNS0_4arch9wavefront6targetE1EEEvSZ_
    .private_segment_fixed_size: 0
    .sgpr_count:     4
    .sgpr_spill_count: 0
    .symbol:         _ZN7rocprim17ROCPRIM_400000_NS6detail17trampoline_kernelINS0_13select_configILj256ELj13ELNS0_17block_load_methodE3ELS4_3ELS4_3ELNS0_20block_scan_algorithmE0ELj4294967295EEENS1_25partition_config_selectorILNS1_17partition_subalgoE3EjNS0_10empty_typeEbEEZZNS1_14partition_implILS8_3ELb0ES6_jNS0_17counting_iteratorIjlEEPS9_SE_NS0_5tupleIJPjSE_EEENSF_IJSE_SE_EEES9_SG_JZNS1_25segmented_radix_sort_implINS0_14default_configELb1EPK6__halfPSL_PKlPlN2at6native12_GLOBAL__N_18offset_tEEE10hipError_tPvRmT1_PNSt15iterator_traitsISZ_E10value_typeET2_T3_PNS10_IS15_E10value_typeET4_jRbjT5_S1B_jjP12ihipStream_tbEUljE_EEESW_SX_SY_S15_S19_S1B_T6_T7_T9_mT8_S1D_bDpT10_ENKUlT_T0_E_clISt17integral_constantIbLb1EES1Q_EEDaS1L_S1M_EUlS1L_E_NS1_11comp_targetILNS1_3genE3ELNS1_11target_archE908ELNS1_3gpuE7ELNS1_3repE0EEENS1_30default_config_static_selectorELNS0_4arch9wavefront6targetE1EEEvSZ_.kd
    .uniform_work_group_size: 1
    .uses_dynamic_stack: false
    .vgpr_count:     0
    .vgpr_spill_count: 0
    .wavefront_size: 64
  - .agpr_count:     0
    .args:
      - .offset:         0
        .size:           152
        .value_kind:     by_value
    .group_segment_fixed_size: 0
    .kernarg_segment_align: 8
    .kernarg_segment_size: 152
    .language:       OpenCL C
    .language_version:
      - 2
      - 0
    .max_flat_workgroup_size: 256
    .name:           _ZN7rocprim17ROCPRIM_400000_NS6detail17trampoline_kernelINS0_13select_configILj256ELj13ELNS0_17block_load_methodE3ELS4_3ELS4_3ELNS0_20block_scan_algorithmE0ELj4294967295EEENS1_25partition_config_selectorILNS1_17partition_subalgoE3EjNS0_10empty_typeEbEEZZNS1_14partition_implILS8_3ELb0ES6_jNS0_17counting_iteratorIjlEEPS9_SE_NS0_5tupleIJPjSE_EEENSF_IJSE_SE_EEES9_SG_JZNS1_25segmented_radix_sort_implINS0_14default_configELb1EPK6__halfPSL_PKlPlN2at6native12_GLOBAL__N_18offset_tEEE10hipError_tPvRmT1_PNSt15iterator_traitsISZ_E10value_typeET2_T3_PNS10_IS15_E10value_typeET4_jRbjT5_S1B_jjP12ihipStream_tbEUljE_EEESW_SX_SY_S15_S19_S1B_T6_T7_T9_mT8_S1D_bDpT10_ENKUlT_T0_E_clISt17integral_constantIbLb1EES1Q_EEDaS1L_S1M_EUlS1L_E_NS1_11comp_targetILNS1_3genE2ELNS1_11target_archE906ELNS1_3gpuE6ELNS1_3repE0EEENS1_30default_config_static_selectorELNS0_4arch9wavefront6targetE1EEEvSZ_
    .private_segment_fixed_size: 0
    .sgpr_count:     4
    .sgpr_spill_count: 0
    .symbol:         _ZN7rocprim17ROCPRIM_400000_NS6detail17trampoline_kernelINS0_13select_configILj256ELj13ELNS0_17block_load_methodE3ELS4_3ELS4_3ELNS0_20block_scan_algorithmE0ELj4294967295EEENS1_25partition_config_selectorILNS1_17partition_subalgoE3EjNS0_10empty_typeEbEEZZNS1_14partition_implILS8_3ELb0ES6_jNS0_17counting_iteratorIjlEEPS9_SE_NS0_5tupleIJPjSE_EEENSF_IJSE_SE_EEES9_SG_JZNS1_25segmented_radix_sort_implINS0_14default_configELb1EPK6__halfPSL_PKlPlN2at6native12_GLOBAL__N_18offset_tEEE10hipError_tPvRmT1_PNSt15iterator_traitsISZ_E10value_typeET2_T3_PNS10_IS15_E10value_typeET4_jRbjT5_S1B_jjP12ihipStream_tbEUljE_EEESW_SX_SY_S15_S19_S1B_T6_T7_T9_mT8_S1D_bDpT10_ENKUlT_T0_E_clISt17integral_constantIbLb1EES1Q_EEDaS1L_S1M_EUlS1L_E_NS1_11comp_targetILNS1_3genE2ELNS1_11target_archE906ELNS1_3gpuE6ELNS1_3repE0EEENS1_30default_config_static_selectorELNS0_4arch9wavefront6targetE1EEEvSZ_.kd
    .uniform_work_group_size: 1
    .uses_dynamic_stack: false
    .vgpr_count:     0
    .vgpr_spill_count: 0
    .wavefront_size: 64
  - .agpr_count:     0
    .args:
      - .offset:         0
        .size:           152
        .value_kind:     by_value
    .group_segment_fixed_size: 0
    .kernarg_segment_align: 8
    .kernarg_segment_size: 152
    .language:       OpenCL C
    .language_version:
      - 2
      - 0
    .max_flat_workgroup_size: 256
    .name:           _ZN7rocprim17ROCPRIM_400000_NS6detail17trampoline_kernelINS0_13select_configILj256ELj13ELNS0_17block_load_methodE3ELS4_3ELS4_3ELNS0_20block_scan_algorithmE0ELj4294967295EEENS1_25partition_config_selectorILNS1_17partition_subalgoE3EjNS0_10empty_typeEbEEZZNS1_14partition_implILS8_3ELb0ES6_jNS0_17counting_iteratorIjlEEPS9_SE_NS0_5tupleIJPjSE_EEENSF_IJSE_SE_EEES9_SG_JZNS1_25segmented_radix_sort_implINS0_14default_configELb1EPK6__halfPSL_PKlPlN2at6native12_GLOBAL__N_18offset_tEEE10hipError_tPvRmT1_PNSt15iterator_traitsISZ_E10value_typeET2_T3_PNS10_IS15_E10value_typeET4_jRbjT5_S1B_jjP12ihipStream_tbEUljE_EEESW_SX_SY_S15_S19_S1B_T6_T7_T9_mT8_S1D_bDpT10_ENKUlT_T0_E_clISt17integral_constantIbLb1EES1Q_EEDaS1L_S1M_EUlS1L_E_NS1_11comp_targetILNS1_3genE10ELNS1_11target_archE1200ELNS1_3gpuE4ELNS1_3repE0EEENS1_30default_config_static_selectorELNS0_4arch9wavefront6targetE1EEEvSZ_
    .private_segment_fixed_size: 0
    .sgpr_count:     4
    .sgpr_spill_count: 0
    .symbol:         _ZN7rocprim17ROCPRIM_400000_NS6detail17trampoline_kernelINS0_13select_configILj256ELj13ELNS0_17block_load_methodE3ELS4_3ELS4_3ELNS0_20block_scan_algorithmE0ELj4294967295EEENS1_25partition_config_selectorILNS1_17partition_subalgoE3EjNS0_10empty_typeEbEEZZNS1_14partition_implILS8_3ELb0ES6_jNS0_17counting_iteratorIjlEEPS9_SE_NS0_5tupleIJPjSE_EEENSF_IJSE_SE_EEES9_SG_JZNS1_25segmented_radix_sort_implINS0_14default_configELb1EPK6__halfPSL_PKlPlN2at6native12_GLOBAL__N_18offset_tEEE10hipError_tPvRmT1_PNSt15iterator_traitsISZ_E10value_typeET2_T3_PNS10_IS15_E10value_typeET4_jRbjT5_S1B_jjP12ihipStream_tbEUljE_EEESW_SX_SY_S15_S19_S1B_T6_T7_T9_mT8_S1D_bDpT10_ENKUlT_T0_E_clISt17integral_constantIbLb1EES1Q_EEDaS1L_S1M_EUlS1L_E_NS1_11comp_targetILNS1_3genE10ELNS1_11target_archE1200ELNS1_3gpuE4ELNS1_3repE0EEENS1_30default_config_static_selectorELNS0_4arch9wavefront6targetE1EEEvSZ_.kd
    .uniform_work_group_size: 1
    .uses_dynamic_stack: false
    .vgpr_count:     0
    .vgpr_spill_count: 0
    .wavefront_size: 64
  - .agpr_count:     0
    .args:
      - .offset:         0
        .size:           152
        .value_kind:     by_value
    .group_segment_fixed_size: 0
    .kernarg_segment_align: 8
    .kernarg_segment_size: 152
    .language:       OpenCL C
    .language_version:
      - 2
      - 0
    .max_flat_workgroup_size: 256
    .name:           _ZN7rocprim17ROCPRIM_400000_NS6detail17trampoline_kernelINS0_13select_configILj256ELj13ELNS0_17block_load_methodE3ELS4_3ELS4_3ELNS0_20block_scan_algorithmE0ELj4294967295EEENS1_25partition_config_selectorILNS1_17partition_subalgoE3EjNS0_10empty_typeEbEEZZNS1_14partition_implILS8_3ELb0ES6_jNS0_17counting_iteratorIjlEEPS9_SE_NS0_5tupleIJPjSE_EEENSF_IJSE_SE_EEES9_SG_JZNS1_25segmented_radix_sort_implINS0_14default_configELb1EPK6__halfPSL_PKlPlN2at6native12_GLOBAL__N_18offset_tEEE10hipError_tPvRmT1_PNSt15iterator_traitsISZ_E10value_typeET2_T3_PNS10_IS15_E10value_typeET4_jRbjT5_S1B_jjP12ihipStream_tbEUljE_EEESW_SX_SY_S15_S19_S1B_T6_T7_T9_mT8_S1D_bDpT10_ENKUlT_T0_E_clISt17integral_constantIbLb1EES1Q_EEDaS1L_S1M_EUlS1L_E_NS1_11comp_targetILNS1_3genE9ELNS1_11target_archE1100ELNS1_3gpuE3ELNS1_3repE0EEENS1_30default_config_static_selectorELNS0_4arch9wavefront6targetE1EEEvSZ_
    .private_segment_fixed_size: 0
    .sgpr_count:     4
    .sgpr_spill_count: 0
    .symbol:         _ZN7rocprim17ROCPRIM_400000_NS6detail17trampoline_kernelINS0_13select_configILj256ELj13ELNS0_17block_load_methodE3ELS4_3ELS4_3ELNS0_20block_scan_algorithmE0ELj4294967295EEENS1_25partition_config_selectorILNS1_17partition_subalgoE3EjNS0_10empty_typeEbEEZZNS1_14partition_implILS8_3ELb0ES6_jNS0_17counting_iteratorIjlEEPS9_SE_NS0_5tupleIJPjSE_EEENSF_IJSE_SE_EEES9_SG_JZNS1_25segmented_radix_sort_implINS0_14default_configELb1EPK6__halfPSL_PKlPlN2at6native12_GLOBAL__N_18offset_tEEE10hipError_tPvRmT1_PNSt15iterator_traitsISZ_E10value_typeET2_T3_PNS10_IS15_E10value_typeET4_jRbjT5_S1B_jjP12ihipStream_tbEUljE_EEESW_SX_SY_S15_S19_S1B_T6_T7_T9_mT8_S1D_bDpT10_ENKUlT_T0_E_clISt17integral_constantIbLb1EES1Q_EEDaS1L_S1M_EUlS1L_E_NS1_11comp_targetILNS1_3genE9ELNS1_11target_archE1100ELNS1_3gpuE3ELNS1_3repE0EEENS1_30default_config_static_selectorELNS0_4arch9wavefront6targetE1EEEvSZ_.kd
    .uniform_work_group_size: 1
    .uses_dynamic_stack: false
    .vgpr_count:     0
    .vgpr_spill_count: 0
    .wavefront_size: 64
  - .agpr_count:     0
    .args:
      - .offset:         0
        .size:           152
        .value_kind:     by_value
    .group_segment_fixed_size: 0
    .kernarg_segment_align: 8
    .kernarg_segment_size: 152
    .language:       OpenCL C
    .language_version:
      - 2
      - 0
    .max_flat_workgroup_size: 256
    .name:           _ZN7rocprim17ROCPRIM_400000_NS6detail17trampoline_kernelINS0_13select_configILj256ELj13ELNS0_17block_load_methodE3ELS4_3ELS4_3ELNS0_20block_scan_algorithmE0ELj4294967295EEENS1_25partition_config_selectorILNS1_17partition_subalgoE3EjNS0_10empty_typeEbEEZZNS1_14partition_implILS8_3ELb0ES6_jNS0_17counting_iteratorIjlEEPS9_SE_NS0_5tupleIJPjSE_EEENSF_IJSE_SE_EEES9_SG_JZNS1_25segmented_radix_sort_implINS0_14default_configELb1EPK6__halfPSL_PKlPlN2at6native12_GLOBAL__N_18offset_tEEE10hipError_tPvRmT1_PNSt15iterator_traitsISZ_E10value_typeET2_T3_PNS10_IS15_E10value_typeET4_jRbjT5_S1B_jjP12ihipStream_tbEUljE_EEESW_SX_SY_S15_S19_S1B_T6_T7_T9_mT8_S1D_bDpT10_ENKUlT_T0_E_clISt17integral_constantIbLb1EES1Q_EEDaS1L_S1M_EUlS1L_E_NS1_11comp_targetILNS1_3genE8ELNS1_11target_archE1030ELNS1_3gpuE2ELNS1_3repE0EEENS1_30default_config_static_selectorELNS0_4arch9wavefront6targetE1EEEvSZ_
    .private_segment_fixed_size: 0
    .sgpr_count:     4
    .sgpr_spill_count: 0
    .symbol:         _ZN7rocprim17ROCPRIM_400000_NS6detail17trampoline_kernelINS0_13select_configILj256ELj13ELNS0_17block_load_methodE3ELS4_3ELS4_3ELNS0_20block_scan_algorithmE0ELj4294967295EEENS1_25partition_config_selectorILNS1_17partition_subalgoE3EjNS0_10empty_typeEbEEZZNS1_14partition_implILS8_3ELb0ES6_jNS0_17counting_iteratorIjlEEPS9_SE_NS0_5tupleIJPjSE_EEENSF_IJSE_SE_EEES9_SG_JZNS1_25segmented_radix_sort_implINS0_14default_configELb1EPK6__halfPSL_PKlPlN2at6native12_GLOBAL__N_18offset_tEEE10hipError_tPvRmT1_PNSt15iterator_traitsISZ_E10value_typeET2_T3_PNS10_IS15_E10value_typeET4_jRbjT5_S1B_jjP12ihipStream_tbEUljE_EEESW_SX_SY_S15_S19_S1B_T6_T7_T9_mT8_S1D_bDpT10_ENKUlT_T0_E_clISt17integral_constantIbLb1EES1Q_EEDaS1L_S1M_EUlS1L_E_NS1_11comp_targetILNS1_3genE8ELNS1_11target_archE1030ELNS1_3gpuE2ELNS1_3repE0EEENS1_30default_config_static_selectorELNS0_4arch9wavefront6targetE1EEEvSZ_.kd
    .uniform_work_group_size: 1
    .uses_dynamic_stack: false
    .vgpr_count:     0
    .vgpr_spill_count: 0
    .wavefront_size: 64
  - .agpr_count:     0
    .args:
      - .offset:         0
        .size:           144
        .value_kind:     by_value
    .group_segment_fixed_size: 0
    .kernarg_segment_align: 8
    .kernarg_segment_size: 144
    .language:       OpenCL C
    .language_version:
      - 2
      - 0
    .max_flat_workgroup_size: 256
    .name:           _ZN7rocprim17ROCPRIM_400000_NS6detail17trampoline_kernelINS0_13select_configILj256ELj13ELNS0_17block_load_methodE3ELS4_3ELS4_3ELNS0_20block_scan_algorithmE0ELj4294967295EEENS1_25partition_config_selectorILNS1_17partition_subalgoE3EjNS0_10empty_typeEbEEZZNS1_14partition_implILS8_3ELb0ES6_jNS0_17counting_iteratorIjlEEPS9_SE_NS0_5tupleIJPjSE_EEENSF_IJSE_SE_EEES9_SG_JZNS1_25segmented_radix_sort_implINS0_14default_configELb1EPK6__halfPSL_PKlPlN2at6native12_GLOBAL__N_18offset_tEEE10hipError_tPvRmT1_PNSt15iterator_traitsISZ_E10value_typeET2_T3_PNS10_IS15_E10value_typeET4_jRbjT5_S1B_jjP12ihipStream_tbEUljE_EEESW_SX_SY_S15_S19_S1B_T6_T7_T9_mT8_S1D_bDpT10_ENKUlT_T0_E_clISt17integral_constantIbLb1EES1P_IbLb0EEEEDaS1L_S1M_EUlS1L_E_NS1_11comp_targetILNS1_3genE0ELNS1_11target_archE4294967295ELNS1_3gpuE0ELNS1_3repE0EEENS1_30default_config_static_selectorELNS0_4arch9wavefront6targetE1EEEvSZ_
    .private_segment_fixed_size: 0
    .sgpr_count:     4
    .sgpr_spill_count: 0
    .symbol:         _ZN7rocprim17ROCPRIM_400000_NS6detail17trampoline_kernelINS0_13select_configILj256ELj13ELNS0_17block_load_methodE3ELS4_3ELS4_3ELNS0_20block_scan_algorithmE0ELj4294967295EEENS1_25partition_config_selectorILNS1_17partition_subalgoE3EjNS0_10empty_typeEbEEZZNS1_14partition_implILS8_3ELb0ES6_jNS0_17counting_iteratorIjlEEPS9_SE_NS0_5tupleIJPjSE_EEENSF_IJSE_SE_EEES9_SG_JZNS1_25segmented_radix_sort_implINS0_14default_configELb1EPK6__halfPSL_PKlPlN2at6native12_GLOBAL__N_18offset_tEEE10hipError_tPvRmT1_PNSt15iterator_traitsISZ_E10value_typeET2_T3_PNS10_IS15_E10value_typeET4_jRbjT5_S1B_jjP12ihipStream_tbEUljE_EEESW_SX_SY_S15_S19_S1B_T6_T7_T9_mT8_S1D_bDpT10_ENKUlT_T0_E_clISt17integral_constantIbLb1EES1P_IbLb0EEEEDaS1L_S1M_EUlS1L_E_NS1_11comp_targetILNS1_3genE0ELNS1_11target_archE4294967295ELNS1_3gpuE0ELNS1_3repE0EEENS1_30default_config_static_selectorELNS0_4arch9wavefront6targetE1EEEvSZ_.kd
    .uniform_work_group_size: 1
    .uses_dynamic_stack: false
    .vgpr_count:     0
    .vgpr_spill_count: 0
    .wavefront_size: 64
  - .agpr_count:     0
    .args:
      - .offset:         0
        .size:           144
        .value_kind:     by_value
    .group_segment_fixed_size: 0
    .kernarg_segment_align: 8
    .kernarg_segment_size: 144
    .language:       OpenCL C
    .language_version:
      - 2
      - 0
    .max_flat_workgroup_size: 256
    .name:           _ZN7rocprim17ROCPRIM_400000_NS6detail17trampoline_kernelINS0_13select_configILj256ELj13ELNS0_17block_load_methodE3ELS4_3ELS4_3ELNS0_20block_scan_algorithmE0ELj4294967295EEENS1_25partition_config_selectorILNS1_17partition_subalgoE3EjNS0_10empty_typeEbEEZZNS1_14partition_implILS8_3ELb0ES6_jNS0_17counting_iteratorIjlEEPS9_SE_NS0_5tupleIJPjSE_EEENSF_IJSE_SE_EEES9_SG_JZNS1_25segmented_radix_sort_implINS0_14default_configELb1EPK6__halfPSL_PKlPlN2at6native12_GLOBAL__N_18offset_tEEE10hipError_tPvRmT1_PNSt15iterator_traitsISZ_E10value_typeET2_T3_PNS10_IS15_E10value_typeET4_jRbjT5_S1B_jjP12ihipStream_tbEUljE_EEESW_SX_SY_S15_S19_S1B_T6_T7_T9_mT8_S1D_bDpT10_ENKUlT_T0_E_clISt17integral_constantIbLb1EES1P_IbLb0EEEEDaS1L_S1M_EUlS1L_E_NS1_11comp_targetILNS1_3genE5ELNS1_11target_archE942ELNS1_3gpuE9ELNS1_3repE0EEENS1_30default_config_static_selectorELNS0_4arch9wavefront6targetE1EEEvSZ_
    .private_segment_fixed_size: 0
    .sgpr_count:     4
    .sgpr_spill_count: 0
    .symbol:         _ZN7rocprim17ROCPRIM_400000_NS6detail17trampoline_kernelINS0_13select_configILj256ELj13ELNS0_17block_load_methodE3ELS4_3ELS4_3ELNS0_20block_scan_algorithmE0ELj4294967295EEENS1_25partition_config_selectorILNS1_17partition_subalgoE3EjNS0_10empty_typeEbEEZZNS1_14partition_implILS8_3ELb0ES6_jNS0_17counting_iteratorIjlEEPS9_SE_NS0_5tupleIJPjSE_EEENSF_IJSE_SE_EEES9_SG_JZNS1_25segmented_radix_sort_implINS0_14default_configELb1EPK6__halfPSL_PKlPlN2at6native12_GLOBAL__N_18offset_tEEE10hipError_tPvRmT1_PNSt15iterator_traitsISZ_E10value_typeET2_T3_PNS10_IS15_E10value_typeET4_jRbjT5_S1B_jjP12ihipStream_tbEUljE_EEESW_SX_SY_S15_S19_S1B_T6_T7_T9_mT8_S1D_bDpT10_ENKUlT_T0_E_clISt17integral_constantIbLb1EES1P_IbLb0EEEEDaS1L_S1M_EUlS1L_E_NS1_11comp_targetILNS1_3genE5ELNS1_11target_archE942ELNS1_3gpuE9ELNS1_3repE0EEENS1_30default_config_static_selectorELNS0_4arch9wavefront6targetE1EEEvSZ_.kd
    .uniform_work_group_size: 1
    .uses_dynamic_stack: false
    .vgpr_count:     0
    .vgpr_spill_count: 0
    .wavefront_size: 64
  - .agpr_count:     0
    .args:
      - .offset:         0
        .size:           144
        .value_kind:     by_value
    .group_segment_fixed_size: 13324
    .kernarg_segment_align: 8
    .kernarg_segment_size: 144
    .language:       OpenCL C
    .language_version:
      - 2
      - 0
    .max_flat_workgroup_size: 256
    .name:           _ZN7rocprim17ROCPRIM_400000_NS6detail17trampoline_kernelINS0_13select_configILj256ELj13ELNS0_17block_load_methodE3ELS4_3ELS4_3ELNS0_20block_scan_algorithmE0ELj4294967295EEENS1_25partition_config_selectorILNS1_17partition_subalgoE3EjNS0_10empty_typeEbEEZZNS1_14partition_implILS8_3ELb0ES6_jNS0_17counting_iteratorIjlEEPS9_SE_NS0_5tupleIJPjSE_EEENSF_IJSE_SE_EEES9_SG_JZNS1_25segmented_radix_sort_implINS0_14default_configELb1EPK6__halfPSL_PKlPlN2at6native12_GLOBAL__N_18offset_tEEE10hipError_tPvRmT1_PNSt15iterator_traitsISZ_E10value_typeET2_T3_PNS10_IS15_E10value_typeET4_jRbjT5_S1B_jjP12ihipStream_tbEUljE_EEESW_SX_SY_S15_S19_S1B_T6_T7_T9_mT8_S1D_bDpT10_ENKUlT_T0_E_clISt17integral_constantIbLb1EES1P_IbLb0EEEEDaS1L_S1M_EUlS1L_E_NS1_11comp_targetILNS1_3genE4ELNS1_11target_archE910ELNS1_3gpuE8ELNS1_3repE0EEENS1_30default_config_static_selectorELNS0_4arch9wavefront6targetE1EEEvSZ_
    .private_segment_fixed_size: 0
    .sgpr_count:     50
    .sgpr_spill_count: 0
    .symbol:         _ZN7rocprim17ROCPRIM_400000_NS6detail17trampoline_kernelINS0_13select_configILj256ELj13ELNS0_17block_load_methodE3ELS4_3ELS4_3ELNS0_20block_scan_algorithmE0ELj4294967295EEENS1_25partition_config_selectorILNS1_17partition_subalgoE3EjNS0_10empty_typeEbEEZZNS1_14partition_implILS8_3ELb0ES6_jNS0_17counting_iteratorIjlEEPS9_SE_NS0_5tupleIJPjSE_EEENSF_IJSE_SE_EEES9_SG_JZNS1_25segmented_radix_sort_implINS0_14default_configELb1EPK6__halfPSL_PKlPlN2at6native12_GLOBAL__N_18offset_tEEE10hipError_tPvRmT1_PNSt15iterator_traitsISZ_E10value_typeET2_T3_PNS10_IS15_E10value_typeET4_jRbjT5_S1B_jjP12ihipStream_tbEUljE_EEESW_SX_SY_S15_S19_S1B_T6_T7_T9_mT8_S1D_bDpT10_ENKUlT_T0_E_clISt17integral_constantIbLb1EES1P_IbLb0EEEEDaS1L_S1M_EUlS1L_E_NS1_11comp_targetILNS1_3genE4ELNS1_11target_archE910ELNS1_3gpuE8ELNS1_3repE0EEENS1_30default_config_static_selectorELNS0_4arch9wavefront6targetE1EEEvSZ_.kd
    .uniform_work_group_size: 1
    .uses_dynamic_stack: false
    .vgpr_count:     61
    .vgpr_spill_count: 0
    .wavefront_size: 64
  - .agpr_count:     0
    .args:
      - .offset:         0
        .size:           144
        .value_kind:     by_value
    .group_segment_fixed_size: 0
    .kernarg_segment_align: 8
    .kernarg_segment_size: 144
    .language:       OpenCL C
    .language_version:
      - 2
      - 0
    .max_flat_workgroup_size: 256
    .name:           _ZN7rocprim17ROCPRIM_400000_NS6detail17trampoline_kernelINS0_13select_configILj256ELj13ELNS0_17block_load_methodE3ELS4_3ELS4_3ELNS0_20block_scan_algorithmE0ELj4294967295EEENS1_25partition_config_selectorILNS1_17partition_subalgoE3EjNS0_10empty_typeEbEEZZNS1_14partition_implILS8_3ELb0ES6_jNS0_17counting_iteratorIjlEEPS9_SE_NS0_5tupleIJPjSE_EEENSF_IJSE_SE_EEES9_SG_JZNS1_25segmented_radix_sort_implINS0_14default_configELb1EPK6__halfPSL_PKlPlN2at6native12_GLOBAL__N_18offset_tEEE10hipError_tPvRmT1_PNSt15iterator_traitsISZ_E10value_typeET2_T3_PNS10_IS15_E10value_typeET4_jRbjT5_S1B_jjP12ihipStream_tbEUljE_EEESW_SX_SY_S15_S19_S1B_T6_T7_T9_mT8_S1D_bDpT10_ENKUlT_T0_E_clISt17integral_constantIbLb1EES1P_IbLb0EEEEDaS1L_S1M_EUlS1L_E_NS1_11comp_targetILNS1_3genE3ELNS1_11target_archE908ELNS1_3gpuE7ELNS1_3repE0EEENS1_30default_config_static_selectorELNS0_4arch9wavefront6targetE1EEEvSZ_
    .private_segment_fixed_size: 0
    .sgpr_count:     4
    .sgpr_spill_count: 0
    .symbol:         _ZN7rocprim17ROCPRIM_400000_NS6detail17trampoline_kernelINS0_13select_configILj256ELj13ELNS0_17block_load_methodE3ELS4_3ELS4_3ELNS0_20block_scan_algorithmE0ELj4294967295EEENS1_25partition_config_selectorILNS1_17partition_subalgoE3EjNS0_10empty_typeEbEEZZNS1_14partition_implILS8_3ELb0ES6_jNS0_17counting_iteratorIjlEEPS9_SE_NS0_5tupleIJPjSE_EEENSF_IJSE_SE_EEES9_SG_JZNS1_25segmented_radix_sort_implINS0_14default_configELb1EPK6__halfPSL_PKlPlN2at6native12_GLOBAL__N_18offset_tEEE10hipError_tPvRmT1_PNSt15iterator_traitsISZ_E10value_typeET2_T3_PNS10_IS15_E10value_typeET4_jRbjT5_S1B_jjP12ihipStream_tbEUljE_EEESW_SX_SY_S15_S19_S1B_T6_T7_T9_mT8_S1D_bDpT10_ENKUlT_T0_E_clISt17integral_constantIbLb1EES1P_IbLb0EEEEDaS1L_S1M_EUlS1L_E_NS1_11comp_targetILNS1_3genE3ELNS1_11target_archE908ELNS1_3gpuE7ELNS1_3repE0EEENS1_30default_config_static_selectorELNS0_4arch9wavefront6targetE1EEEvSZ_.kd
    .uniform_work_group_size: 1
    .uses_dynamic_stack: false
    .vgpr_count:     0
    .vgpr_spill_count: 0
    .wavefront_size: 64
  - .agpr_count:     0
    .args:
      - .offset:         0
        .size:           144
        .value_kind:     by_value
    .group_segment_fixed_size: 0
    .kernarg_segment_align: 8
    .kernarg_segment_size: 144
    .language:       OpenCL C
    .language_version:
      - 2
      - 0
    .max_flat_workgroup_size: 256
    .name:           _ZN7rocprim17ROCPRIM_400000_NS6detail17trampoline_kernelINS0_13select_configILj256ELj13ELNS0_17block_load_methodE3ELS4_3ELS4_3ELNS0_20block_scan_algorithmE0ELj4294967295EEENS1_25partition_config_selectorILNS1_17partition_subalgoE3EjNS0_10empty_typeEbEEZZNS1_14partition_implILS8_3ELb0ES6_jNS0_17counting_iteratorIjlEEPS9_SE_NS0_5tupleIJPjSE_EEENSF_IJSE_SE_EEES9_SG_JZNS1_25segmented_radix_sort_implINS0_14default_configELb1EPK6__halfPSL_PKlPlN2at6native12_GLOBAL__N_18offset_tEEE10hipError_tPvRmT1_PNSt15iterator_traitsISZ_E10value_typeET2_T3_PNS10_IS15_E10value_typeET4_jRbjT5_S1B_jjP12ihipStream_tbEUljE_EEESW_SX_SY_S15_S19_S1B_T6_T7_T9_mT8_S1D_bDpT10_ENKUlT_T0_E_clISt17integral_constantIbLb1EES1P_IbLb0EEEEDaS1L_S1M_EUlS1L_E_NS1_11comp_targetILNS1_3genE2ELNS1_11target_archE906ELNS1_3gpuE6ELNS1_3repE0EEENS1_30default_config_static_selectorELNS0_4arch9wavefront6targetE1EEEvSZ_
    .private_segment_fixed_size: 0
    .sgpr_count:     4
    .sgpr_spill_count: 0
    .symbol:         _ZN7rocprim17ROCPRIM_400000_NS6detail17trampoline_kernelINS0_13select_configILj256ELj13ELNS0_17block_load_methodE3ELS4_3ELS4_3ELNS0_20block_scan_algorithmE0ELj4294967295EEENS1_25partition_config_selectorILNS1_17partition_subalgoE3EjNS0_10empty_typeEbEEZZNS1_14partition_implILS8_3ELb0ES6_jNS0_17counting_iteratorIjlEEPS9_SE_NS0_5tupleIJPjSE_EEENSF_IJSE_SE_EEES9_SG_JZNS1_25segmented_radix_sort_implINS0_14default_configELb1EPK6__halfPSL_PKlPlN2at6native12_GLOBAL__N_18offset_tEEE10hipError_tPvRmT1_PNSt15iterator_traitsISZ_E10value_typeET2_T3_PNS10_IS15_E10value_typeET4_jRbjT5_S1B_jjP12ihipStream_tbEUljE_EEESW_SX_SY_S15_S19_S1B_T6_T7_T9_mT8_S1D_bDpT10_ENKUlT_T0_E_clISt17integral_constantIbLb1EES1P_IbLb0EEEEDaS1L_S1M_EUlS1L_E_NS1_11comp_targetILNS1_3genE2ELNS1_11target_archE906ELNS1_3gpuE6ELNS1_3repE0EEENS1_30default_config_static_selectorELNS0_4arch9wavefront6targetE1EEEvSZ_.kd
    .uniform_work_group_size: 1
    .uses_dynamic_stack: false
    .vgpr_count:     0
    .vgpr_spill_count: 0
    .wavefront_size: 64
  - .agpr_count:     0
    .args:
      - .offset:         0
        .size:           144
        .value_kind:     by_value
    .group_segment_fixed_size: 0
    .kernarg_segment_align: 8
    .kernarg_segment_size: 144
    .language:       OpenCL C
    .language_version:
      - 2
      - 0
    .max_flat_workgroup_size: 256
    .name:           _ZN7rocprim17ROCPRIM_400000_NS6detail17trampoline_kernelINS0_13select_configILj256ELj13ELNS0_17block_load_methodE3ELS4_3ELS4_3ELNS0_20block_scan_algorithmE0ELj4294967295EEENS1_25partition_config_selectorILNS1_17partition_subalgoE3EjNS0_10empty_typeEbEEZZNS1_14partition_implILS8_3ELb0ES6_jNS0_17counting_iteratorIjlEEPS9_SE_NS0_5tupleIJPjSE_EEENSF_IJSE_SE_EEES9_SG_JZNS1_25segmented_radix_sort_implINS0_14default_configELb1EPK6__halfPSL_PKlPlN2at6native12_GLOBAL__N_18offset_tEEE10hipError_tPvRmT1_PNSt15iterator_traitsISZ_E10value_typeET2_T3_PNS10_IS15_E10value_typeET4_jRbjT5_S1B_jjP12ihipStream_tbEUljE_EEESW_SX_SY_S15_S19_S1B_T6_T7_T9_mT8_S1D_bDpT10_ENKUlT_T0_E_clISt17integral_constantIbLb1EES1P_IbLb0EEEEDaS1L_S1M_EUlS1L_E_NS1_11comp_targetILNS1_3genE10ELNS1_11target_archE1200ELNS1_3gpuE4ELNS1_3repE0EEENS1_30default_config_static_selectorELNS0_4arch9wavefront6targetE1EEEvSZ_
    .private_segment_fixed_size: 0
    .sgpr_count:     4
    .sgpr_spill_count: 0
    .symbol:         _ZN7rocprim17ROCPRIM_400000_NS6detail17trampoline_kernelINS0_13select_configILj256ELj13ELNS0_17block_load_methodE3ELS4_3ELS4_3ELNS0_20block_scan_algorithmE0ELj4294967295EEENS1_25partition_config_selectorILNS1_17partition_subalgoE3EjNS0_10empty_typeEbEEZZNS1_14partition_implILS8_3ELb0ES6_jNS0_17counting_iteratorIjlEEPS9_SE_NS0_5tupleIJPjSE_EEENSF_IJSE_SE_EEES9_SG_JZNS1_25segmented_radix_sort_implINS0_14default_configELb1EPK6__halfPSL_PKlPlN2at6native12_GLOBAL__N_18offset_tEEE10hipError_tPvRmT1_PNSt15iterator_traitsISZ_E10value_typeET2_T3_PNS10_IS15_E10value_typeET4_jRbjT5_S1B_jjP12ihipStream_tbEUljE_EEESW_SX_SY_S15_S19_S1B_T6_T7_T9_mT8_S1D_bDpT10_ENKUlT_T0_E_clISt17integral_constantIbLb1EES1P_IbLb0EEEEDaS1L_S1M_EUlS1L_E_NS1_11comp_targetILNS1_3genE10ELNS1_11target_archE1200ELNS1_3gpuE4ELNS1_3repE0EEENS1_30default_config_static_selectorELNS0_4arch9wavefront6targetE1EEEvSZ_.kd
    .uniform_work_group_size: 1
    .uses_dynamic_stack: false
    .vgpr_count:     0
    .vgpr_spill_count: 0
    .wavefront_size: 64
  - .agpr_count:     0
    .args:
      - .offset:         0
        .size:           144
        .value_kind:     by_value
    .group_segment_fixed_size: 0
    .kernarg_segment_align: 8
    .kernarg_segment_size: 144
    .language:       OpenCL C
    .language_version:
      - 2
      - 0
    .max_flat_workgroup_size: 256
    .name:           _ZN7rocprim17ROCPRIM_400000_NS6detail17trampoline_kernelINS0_13select_configILj256ELj13ELNS0_17block_load_methodE3ELS4_3ELS4_3ELNS0_20block_scan_algorithmE0ELj4294967295EEENS1_25partition_config_selectorILNS1_17partition_subalgoE3EjNS0_10empty_typeEbEEZZNS1_14partition_implILS8_3ELb0ES6_jNS0_17counting_iteratorIjlEEPS9_SE_NS0_5tupleIJPjSE_EEENSF_IJSE_SE_EEES9_SG_JZNS1_25segmented_radix_sort_implINS0_14default_configELb1EPK6__halfPSL_PKlPlN2at6native12_GLOBAL__N_18offset_tEEE10hipError_tPvRmT1_PNSt15iterator_traitsISZ_E10value_typeET2_T3_PNS10_IS15_E10value_typeET4_jRbjT5_S1B_jjP12ihipStream_tbEUljE_EEESW_SX_SY_S15_S19_S1B_T6_T7_T9_mT8_S1D_bDpT10_ENKUlT_T0_E_clISt17integral_constantIbLb1EES1P_IbLb0EEEEDaS1L_S1M_EUlS1L_E_NS1_11comp_targetILNS1_3genE9ELNS1_11target_archE1100ELNS1_3gpuE3ELNS1_3repE0EEENS1_30default_config_static_selectorELNS0_4arch9wavefront6targetE1EEEvSZ_
    .private_segment_fixed_size: 0
    .sgpr_count:     4
    .sgpr_spill_count: 0
    .symbol:         _ZN7rocprim17ROCPRIM_400000_NS6detail17trampoline_kernelINS0_13select_configILj256ELj13ELNS0_17block_load_methodE3ELS4_3ELS4_3ELNS0_20block_scan_algorithmE0ELj4294967295EEENS1_25partition_config_selectorILNS1_17partition_subalgoE3EjNS0_10empty_typeEbEEZZNS1_14partition_implILS8_3ELb0ES6_jNS0_17counting_iteratorIjlEEPS9_SE_NS0_5tupleIJPjSE_EEENSF_IJSE_SE_EEES9_SG_JZNS1_25segmented_radix_sort_implINS0_14default_configELb1EPK6__halfPSL_PKlPlN2at6native12_GLOBAL__N_18offset_tEEE10hipError_tPvRmT1_PNSt15iterator_traitsISZ_E10value_typeET2_T3_PNS10_IS15_E10value_typeET4_jRbjT5_S1B_jjP12ihipStream_tbEUljE_EEESW_SX_SY_S15_S19_S1B_T6_T7_T9_mT8_S1D_bDpT10_ENKUlT_T0_E_clISt17integral_constantIbLb1EES1P_IbLb0EEEEDaS1L_S1M_EUlS1L_E_NS1_11comp_targetILNS1_3genE9ELNS1_11target_archE1100ELNS1_3gpuE3ELNS1_3repE0EEENS1_30default_config_static_selectorELNS0_4arch9wavefront6targetE1EEEvSZ_.kd
    .uniform_work_group_size: 1
    .uses_dynamic_stack: false
    .vgpr_count:     0
    .vgpr_spill_count: 0
    .wavefront_size: 64
  - .agpr_count:     0
    .args:
      - .offset:         0
        .size:           144
        .value_kind:     by_value
    .group_segment_fixed_size: 0
    .kernarg_segment_align: 8
    .kernarg_segment_size: 144
    .language:       OpenCL C
    .language_version:
      - 2
      - 0
    .max_flat_workgroup_size: 256
    .name:           _ZN7rocprim17ROCPRIM_400000_NS6detail17trampoline_kernelINS0_13select_configILj256ELj13ELNS0_17block_load_methodE3ELS4_3ELS4_3ELNS0_20block_scan_algorithmE0ELj4294967295EEENS1_25partition_config_selectorILNS1_17partition_subalgoE3EjNS0_10empty_typeEbEEZZNS1_14partition_implILS8_3ELb0ES6_jNS0_17counting_iteratorIjlEEPS9_SE_NS0_5tupleIJPjSE_EEENSF_IJSE_SE_EEES9_SG_JZNS1_25segmented_radix_sort_implINS0_14default_configELb1EPK6__halfPSL_PKlPlN2at6native12_GLOBAL__N_18offset_tEEE10hipError_tPvRmT1_PNSt15iterator_traitsISZ_E10value_typeET2_T3_PNS10_IS15_E10value_typeET4_jRbjT5_S1B_jjP12ihipStream_tbEUljE_EEESW_SX_SY_S15_S19_S1B_T6_T7_T9_mT8_S1D_bDpT10_ENKUlT_T0_E_clISt17integral_constantIbLb1EES1P_IbLb0EEEEDaS1L_S1M_EUlS1L_E_NS1_11comp_targetILNS1_3genE8ELNS1_11target_archE1030ELNS1_3gpuE2ELNS1_3repE0EEENS1_30default_config_static_selectorELNS0_4arch9wavefront6targetE1EEEvSZ_
    .private_segment_fixed_size: 0
    .sgpr_count:     4
    .sgpr_spill_count: 0
    .symbol:         _ZN7rocprim17ROCPRIM_400000_NS6detail17trampoline_kernelINS0_13select_configILj256ELj13ELNS0_17block_load_methodE3ELS4_3ELS4_3ELNS0_20block_scan_algorithmE0ELj4294967295EEENS1_25partition_config_selectorILNS1_17partition_subalgoE3EjNS0_10empty_typeEbEEZZNS1_14partition_implILS8_3ELb0ES6_jNS0_17counting_iteratorIjlEEPS9_SE_NS0_5tupleIJPjSE_EEENSF_IJSE_SE_EEES9_SG_JZNS1_25segmented_radix_sort_implINS0_14default_configELb1EPK6__halfPSL_PKlPlN2at6native12_GLOBAL__N_18offset_tEEE10hipError_tPvRmT1_PNSt15iterator_traitsISZ_E10value_typeET2_T3_PNS10_IS15_E10value_typeET4_jRbjT5_S1B_jjP12ihipStream_tbEUljE_EEESW_SX_SY_S15_S19_S1B_T6_T7_T9_mT8_S1D_bDpT10_ENKUlT_T0_E_clISt17integral_constantIbLb1EES1P_IbLb0EEEEDaS1L_S1M_EUlS1L_E_NS1_11comp_targetILNS1_3genE8ELNS1_11target_archE1030ELNS1_3gpuE2ELNS1_3repE0EEENS1_30default_config_static_selectorELNS0_4arch9wavefront6targetE1EEEvSZ_.kd
    .uniform_work_group_size: 1
    .uses_dynamic_stack: false
    .vgpr_count:     0
    .vgpr_spill_count: 0
    .wavefront_size: 64
  - .agpr_count:     0
    .args:
      - .offset:         0
        .size:           152
        .value_kind:     by_value
    .group_segment_fixed_size: 0
    .kernarg_segment_align: 8
    .kernarg_segment_size: 152
    .language:       OpenCL C
    .language_version:
      - 2
      - 0
    .max_flat_workgroup_size: 256
    .name:           _ZN7rocprim17ROCPRIM_400000_NS6detail17trampoline_kernelINS0_13select_configILj256ELj13ELNS0_17block_load_methodE3ELS4_3ELS4_3ELNS0_20block_scan_algorithmE0ELj4294967295EEENS1_25partition_config_selectorILNS1_17partition_subalgoE3EjNS0_10empty_typeEbEEZZNS1_14partition_implILS8_3ELb0ES6_jNS0_17counting_iteratorIjlEEPS9_SE_NS0_5tupleIJPjSE_EEENSF_IJSE_SE_EEES9_SG_JZNS1_25segmented_radix_sort_implINS0_14default_configELb1EPK6__halfPSL_PKlPlN2at6native12_GLOBAL__N_18offset_tEEE10hipError_tPvRmT1_PNSt15iterator_traitsISZ_E10value_typeET2_T3_PNS10_IS15_E10value_typeET4_jRbjT5_S1B_jjP12ihipStream_tbEUljE_EEESW_SX_SY_S15_S19_S1B_T6_T7_T9_mT8_S1D_bDpT10_ENKUlT_T0_E_clISt17integral_constantIbLb0EES1P_IbLb1EEEEDaS1L_S1M_EUlS1L_E_NS1_11comp_targetILNS1_3genE0ELNS1_11target_archE4294967295ELNS1_3gpuE0ELNS1_3repE0EEENS1_30default_config_static_selectorELNS0_4arch9wavefront6targetE1EEEvSZ_
    .private_segment_fixed_size: 0
    .sgpr_count:     4
    .sgpr_spill_count: 0
    .symbol:         _ZN7rocprim17ROCPRIM_400000_NS6detail17trampoline_kernelINS0_13select_configILj256ELj13ELNS0_17block_load_methodE3ELS4_3ELS4_3ELNS0_20block_scan_algorithmE0ELj4294967295EEENS1_25partition_config_selectorILNS1_17partition_subalgoE3EjNS0_10empty_typeEbEEZZNS1_14partition_implILS8_3ELb0ES6_jNS0_17counting_iteratorIjlEEPS9_SE_NS0_5tupleIJPjSE_EEENSF_IJSE_SE_EEES9_SG_JZNS1_25segmented_radix_sort_implINS0_14default_configELb1EPK6__halfPSL_PKlPlN2at6native12_GLOBAL__N_18offset_tEEE10hipError_tPvRmT1_PNSt15iterator_traitsISZ_E10value_typeET2_T3_PNS10_IS15_E10value_typeET4_jRbjT5_S1B_jjP12ihipStream_tbEUljE_EEESW_SX_SY_S15_S19_S1B_T6_T7_T9_mT8_S1D_bDpT10_ENKUlT_T0_E_clISt17integral_constantIbLb0EES1P_IbLb1EEEEDaS1L_S1M_EUlS1L_E_NS1_11comp_targetILNS1_3genE0ELNS1_11target_archE4294967295ELNS1_3gpuE0ELNS1_3repE0EEENS1_30default_config_static_selectorELNS0_4arch9wavefront6targetE1EEEvSZ_.kd
    .uniform_work_group_size: 1
    .uses_dynamic_stack: false
    .vgpr_count:     0
    .vgpr_spill_count: 0
    .wavefront_size: 64
  - .agpr_count:     0
    .args:
      - .offset:         0
        .size:           152
        .value_kind:     by_value
    .group_segment_fixed_size: 0
    .kernarg_segment_align: 8
    .kernarg_segment_size: 152
    .language:       OpenCL C
    .language_version:
      - 2
      - 0
    .max_flat_workgroup_size: 256
    .name:           _ZN7rocprim17ROCPRIM_400000_NS6detail17trampoline_kernelINS0_13select_configILj256ELj13ELNS0_17block_load_methodE3ELS4_3ELS4_3ELNS0_20block_scan_algorithmE0ELj4294967295EEENS1_25partition_config_selectorILNS1_17partition_subalgoE3EjNS0_10empty_typeEbEEZZNS1_14partition_implILS8_3ELb0ES6_jNS0_17counting_iteratorIjlEEPS9_SE_NS0_5tupleIJPjSE_EEENSF_IJSE_SE_EEES9_SG_JZNS1_25segmented_radix_sort_implINS0_14default_configELb1EPK6__halfPSL_PKlPlN2at6native12_GLOBAL__N_18offset_tEEE10hipError_tPvRmT1_PNSt15iterator_traitsISZ_E10value_typeET2_T3_PNS10_IS15_E10value_typeET4_jRbjT5_S1B_jjP12ihipStream_tbEUljE_EEESW_SX_SY_S15_S19_S1B_T6_T7_T9_mT8_S1D_bDpT10_ENKUlT_T0_E_clISt17integral_constantIbLb0EES1P_IbLb1EEEEDaS1L_S1M_EUlS1L_E_NS1_11comp_targetILNS1_3genE5ELNS1_11target_archE942ELNS1_3gpuE9ELNS1_3repE0EEENS1_30default_config_static_selectorELNS0_4arch9wavefront6targetE1EEEvSZ_
    .private_segment_fixed_size: 0
    .sgpr_count:     4
    .sgpr_spill_count: 0
    .symbol:         _ZN7rocprim17ROCPRIM_400000_NS6detail17trampoline_kernelINS0_13select_configILj256ELj13ELNS0_17block_load_methodE3ELS4_3ELS4_3ELNS0_20block_scan_algorithmE0ELj4294967295EEENS1_25partition_config_selectorILNS1_17partition_subalgoE3EjNS0_10empty_typeEbEEZZNS1_14partition_implILS8_3ELb0ES6_jNS0_17counting_iteratorIjlEEPS9_SE_NS0_5tupleIJPjSE_EEENSF_IJSE_SE_EEES9_SG_JZNS1_25segmented_radix_sort_implINS0_14default_configELb1EPK6__halfPSL_PKlPlN2at6native12_GLOBAL__N_18offset_tEEE10hipError_tPvRmT1_PNSt15iterator_traitsISZ_E10value_typeET2_T3_PNS10_IS15_E10value_typeET4_jRbjT5_S1B_jjP12ihipStream_tbEUljE_EEESW_SX_SY_S15_S19_S1B_T6_T7_T9_mT8_S1D_bDpT10_ENKUlT_T0_E_clISt17integral_constantIbLb0EES1P_IbLb1EEEEDaS1L_S1M_EUlS1L_E_NS1_11comp_targetILNS1_3genE5ELNS1_11target_archE942ELNS1_3gpuE9ELNS1_3repE0EEENS1_30default_config_static_selectorELNS0_4arch9wavefront6targetE1EEEvSZ_.kd
    .uniform_work_group_size: 1
    .uses_dynamic_stack: false
    .vgpr_count:     0
    .vgpr_spill_count: 0
    .wavefront_size: 64
  - .agpr_count:     0
    .args:
      - .offset:         0
        .size:           152
        .value_kind:     by_value
    .group_segment_fixed_size: 13324
    .kernarg_segment_align: 8
    .kernarg_segment_size: 152
    .language:       OpenCL C
    .language_version:
      - 2
      - 0
    .max_flat_workgroup_size: 256
    .name:           _ZN7rocprim17ROCPRIM_400000_NS6detail17trampoline_kernelINS0_13select_configILj256ELj13ELNS0_17block_load_methodE3ELS4_3ELS4_3ELNS0_20block_scan_algorithmE0ELj4294967295EEENS1_25partition_config_selectorILNS1_17partition_subalgoE3EjNS0_10empty_typeEbEEZZNS1_14partition_implILS8_3ELb0ES6_jNS0_17counting_iteratorIjlEEPS9_SE_NS0_5tupleIJPjSE_EEENSF_IJSE_SE_EEES9_SG_JZNS1_25segmented_radix_sort_implINS0_14default_configELb1EPK6__halfPSL_PKlPlN2at6native12_GLOBAL__N_18offset_tEEE10hipError_tPvRmT1_PNSt15iterator_traitsISZ_E10value_typeET2_T3_PNS10_IS15_E10value_typeET4_jRbjT5_S1B_jjP12ihipStream_tbEUljE_EEESW_SX_SY_S15_S19_S1B_T6_T7_T9_mT8_S1D_bDpT10_ENKUlT_T0_E_clISt17integral_constantIbLb0EES1P_IbLb1EEEEDaS1L_S1M_EUlS1L_E_NS1_11comp_targetILNS1_3genE4ELNS1_11target_archE910ELNS1_3gpuE8ELNS1_3repE0EEENS1_30default_config_static_selectorELNS0_4arch9wavefront6targetE1EEEvSZ_
    .private_segment_fixed_size: 0
    .sgpr_count:     48
    .sgpr_spill_count: 0
    .symbol:         _ZN7rocprim17ROCPRIM_400000_NS6detail17trampoline_kernelINS0_13select_configILj256ELj13ELNS0_17block_load_methodE3ELS4_3ELS4_3ELNS0_20block_scan_algorithmE0ELj4294967295EEENS1_25partition_config_selectorILNS1_17partition_subalgoE3EjNS0_10empty_typeEbEEZZNS1_14partition_implILS8_3ELb0ES6_jNS0_17counting_iteratorIjlEEPS9_SE_NS0_5tupleIJPjSE_EEENSF_IJSE_SE_EEES9_SG_JZNS1_25segmented_radix_sort_implINS0_14default_configELb1EPK6__halfPSL_PKlPlN2at6native12_GLOBAL__N_18offset_tEEE10hipError_tPvRmT1_PNSt15iterator_traitsISZ_E10value_typeET2_T3_PNS10_IS15_E10value_typeET4_jRbjT5_S1B_jjP12ihipStream_tbEUljE_EEESW_SX_SY_S15_S19_S1B_T6_T7_T9_mT8_S1D_bDpT10_ENKUlT_T0_E_clISt17integral_constantIbLb0EES1P_IbLb1EEEEDaS1L_S1M_EUlS1L_E_NS1_11comp_targetILNS1_3genE4ELNS1_11target_archE910ELNS1_3gpuE8ELNS1_3repE0EEENS1_30default_config_static_selectorELNS0_4arch9wavefront6targetE1EEEvSZ_.kd
    .uniform_work_group_size: 1
    .uses_dynamic_stack: false
    .vgpr_count:     64
    .vgpr_spill_count: 0
    .wavefront_size: 64
  - .agpr_count:     0
    .args:
      - .offset:         0
        .size:           152
        .value_kind:     by_value
    .group_segment_fixed_size: 0
    .kernarg_segment_align: 8
    .kernarg_segment_size: 152
    .language:       OpenCL C
    .language_version:
      - 2
      - 0
    .max_flat_workgroup_size: 256
    .name:           _ZN7rocprim17ROCPRIM_400000_NS6detail17trampoline_kernelINS0_13select_configILj256ELj13ELNS0_17block_load_methodE3ELS4_3ELS4_3ELNS0_20block_scan_algorithmE0ELj4294967295EEENS1_25partition_config_selectorILNS1_17partition_subalgoE3EjNS0_10empty_typeEbEEZZNS1_14partition_implILS8_3ELb0ES6_jNS0_17counting_iteratorIjlEEPS9_SE_NS0_5tupleIJPjSE_EEENSF_IJSE_SE_EEES9_SG_JZNS1_25segmented_radix_sort_implINS0_14default_configELb1EPK6__halfPSL_PKlPlN2at6native12_GLOBAL__N_18offset_tEEE10hipError_tPvRmT1_PNSt15iterator_traitsISZ_E10value_typeET2_T3_PNS10_IS15_E10value_typeET4_jRbjT5_S1B_jjP12ihipStream_tbEUljE_EEESW_SX_SY_S15_S19_S1B_T6_T7_T9_mT8_S1D_bDpT10_ENKUlT_T0_E_clISt17integral_constantIbLb0EES1P_IbLb1EEEEDaS1L_S1M_EUlS1L_E_NS1_11comp_targetILNS1_3genE3ELNS1_11target_archE908ELNS1_3gpuE7ELNS1_3repE0EEENS1_30default_config_static_selectorELNS0_4arch9wavefront6targetE1EEEvSZ_
    .private_segment_fixed_size: 0
    .sgpr_count:     4
    .sgpr_spill_count: 0
    .symbol:         _ZN7rocprim17ROCPRIM_400000_NS6detail17trampoline_kernelINS0_13select_configILj256ELj13ELNS0_17block_load_methodE3ELS4_3ELS4_3ELNS0_20block_scan_algorithmE0ELj4294967295EEENS1_25partition_config_selectorILNS1_17partition_subalgoE3EjNS0_10empty_typeEbEEZZNS1_14partition_implILS8_3ELb0ES6_jNS0_17counting_iteratorIjlEEPS9_SE_NS0_5tupleIJPjSE_EEENSF_IJSE_SE_EEES9_SG_JZNS1_25segmented_radix_sort_implINS0_14default_configELb1EPK6__halfPSL_PKlPlN2at6native12_GLOBAL__N_18offset_tEEE10hipError_tPvRmT1_PNSt15iterator_traitsISZ_E10value_typeET2_T3_PNS10_IS15_E10value_typeET4_jRbjT5_S1B_jjP12ihipStream_tbEUljE_EEESW_SX_SY_S15_S19_S1B_T6_T7_T9_mT8_S1D_bDpT10_ENKUlT_T0_E_clISt17integral_constantIbLb0EES1P_IbLb1EEEEDaS1L_S1M_EUlS1L_E_NS1_11comp_targetILNS1_3genE3ELNS1_11target_archE908ELNS1_3gpuE7ELNS1_3repE0EEENS1_30default_config_static_selectorELNS0_4arch9wavefront6targetE1EEEvSZ_.kd
    .uniform_work_group_size: 1
    .uses_dynamic_stack: false
    .vgpr_count:     0
    .vgpr_spill_count: 0
    .wavefront_size: 64
  - .agpr_count:     0
    .args:
      - .offset:         0
        .size:           152
        .value_kind:     by_value
    .group_segment_fixed_size: 0
    .kernarg_segment_align: 8
    .kernarg_segment_size: 152
    .language:       OpenCL C
    .language_version:
      - 2
      - 0
    .max_flat_workgroup_size: 256
    .name:           _ZN7rocprim17ROCPRIM_400000_NS6detail17trampoline_kernelINS0_13select_configILj256ELj13ELNS0_17block_load_methodE3ELS4_3ELS4_3ELNS0_20block_scan_algorithmE0ELj4294967295EEENS1_25partition_config_selectorILNS1_17partition_subalgoE3EjNS0_10empty_typeEbEEZZNS1_14partition_implILS8_3ELb0ES6_jNS0_17counting_iteratorIjlEEPS9_SE_NS0_5tupleIJPjSE_EEENSF_IJSE_SE_EEES9_SG_JZNS1_25segmented_radix_sort_implINS0_14default_configELb1EPK6__halfPSL_PKlPlN2at6native12_GLOBAL__N_18offset_tEEE10hipError_tPvRmT1_PNSt15iterator_traitsISZ_E10value_typeET2_T3_PNS10_IS15_E10value_typeET4_jRbjT5_S1B_jjP12ihipStream_tbEUljE_EEESW_SX_SY_S15_S19_S1B_T6_T7_T9_mT8_S1D_bDpT10_ENKUlT_T0_E_clISt17integral_constantIbLb0EES1P_IbLb1EEEEDaS1L_S1M_EUlS1L_E_NS1_11comp_targetILNS1_3genE2ELNS1_11target_archE906ELNS1_3gpuE6ELNS1_3repE0EEENS1_30default_config_static_selectorELNS0_4arch9wavefront6targetE1EEEvSZ_
    .private_segment_fixed_size: 0
    .sgpr_count:     4
    .sgpr_spill_count: 0
    .symbol:         _ZN7rocprim17ROCPRIM_400000_NS6detail17trampoline_kernelINS0_13select_configILj256ELj13ELNS0_17block_load_methodE3ELS4_3ELS4_3ELNS0_20block_scan_algorithmE0ELj4294967295EEENS1_25partition_config_selectorILNS1_17partition_subalgoE3EjNS0_10empty_typeEbEEZZNS1_14partition_implILS8_3ELb0ES6_jNS0_17counting_iteratorIjlEEPS9_SE_NS0_5tupleIJPjSE_EEENSF_IJSE_SE_EEES9_SG_JZNS1_25segmented_radix_sort_implINS0_14default_configELb1EPK6__halfPSL_PKlPlN2at6native12_GLOBAL__N_18offset_tEEE10hipError_tPvRmT1_PNSt15iterator_traitsISZ_E10value_typeET2_T3_PNS10_IS15_E10value_typeET4_jRbjT5_S1B_jjP12ihipStream_tbEUljE_EEESW_SX_SY_S15_S19_S1B_T6_T7_T9_mT8_S1D_bDpT10_ENKUlT_T0_E_clISt17integral_constantIbLb0EES1P_IbLb1EEEEDaS1L_S1M_EUlS1L_E_NS1_11comp_targetILNS1_3genE2ELNS1_11target_archE906ELNS1_3gpuE6ELNS1_3repE0EEENS1_30default_config_static_selectorELNS0_4arch9wavefront6targetE1EEEvSZ_.kd
    .uniform_work_group_size: 1
    .uses_dynamic_stack: false
    .vgpr_count:     0
    .vgpr_spill_count: 0
    .wavefront_size: 64
  - .agpr_count:     0
    .args:
      - .offset:         0
        .size:           152
        .value_kind:     by_value
    .group_segment_fixed_size: 0
    .kernarg_segment_align: 8
    .kernarg_segment_size: 152
    .language:       OpenCL C
    .language_version:
      - 2
      - 0
    .max_flat_workgroup_size: 256
    .name:           _ZN7rocprim17ROCPRIM_400000_NS6detail17trampoline_kernelINS0_13select_configILj256ELj13ELNS0_17block_load_methodE3ELS4_3ELS4_3ELNS0_20block_scan_algorithmE0ELj4294967295EEENS1_25partition_config_selectorILNS1_17partition_subalgoE3EjNS0_10empty_typeEbEEZZNS1_14partition_implILS8_3ELb0ES6_jNS0_17counting_iteratorIjlEEPS9_SE_NS0_5tupleIJPjSE_EEENSF_IJSE_SE_EEES9_SG_JZNS1_25segmented_radix_sort_implINS0_14default_configELb1EPK6__halfPSL_PKlPlN2at6native12_GLOBAL__N_18offset_tEEE10hipError_tPvRmT1_PNSt15iterator_traitsISZ_E10value_typeET2_T3_PNS10_IS15_E10value_typeET4_jRbjT5_S1B_jjP12ihipStream_tbEUljE_EEESW_SX_SY_S15_S19_S1B_T6_T7_T9_mT8_S1D_bDpT10_ENKUlT_T0_E_clISt17integral_constantIbLb0EES1P_IbLb1EEEEDaS1L_S1M_EUlS1L_E_NS1_11comp_targetILNS1_3genE10ELNS1_11target_archE1200ELNS1_3gpuE4ELNS1_3repE0EEENS1_30default_config_static_selectorELNS0_4arch9wavefront6targetE1EEEvSZ_
    .private_segment_fixed_size: 0
    .sgpr_count:     4
    .sgpr_spill_count: 0
    .symbol:         _ZN7rocprim17ROCPRIM_400000_NS6detail17trampoline_kernelINS0_13select_configILj256ELj13ELNS0_17block_load_methodE3ELS4_3ELS4_3ELNS0_20block_scan_algorithmE0ELj4294967295EEENS1_25partition_config_selectorILNS1_17partition_subalgoE3EjNS0_10empty_typeEbEEZZNS1_14partition_implILS8_3ELb0ES6_jNS0_17counting_iteratorIjlEEPS9_SE_NS0_5tupleIJPjSE_EEENSF_IJSE_SE_EEES9_SG_JZNS1_25segmented_radix_sort_implINS0_14default_configELb1EPK6__halfPSL_PKlPlN2at6native12_GLOBAL__N_18offset_tEEE10hipError_tPvRmT1_PNSt15iterator_traitsISZ_E10value_typeET2_T3_PNS10_IS15_E10value_typeET4_jRbjT5_S1B_jjP12ihipStream_tbEUljE_EEESW_SX_SY_S15_S19_S1B_T6_T7_T9_mT8_S1D_bDpT10_ENKUlT_T0_E_clISt17integral_constantIbLb0EES1P_IbLb1EEEEDaS1L_S1M_EUlS1L_E_NS1_11comp_targetILNS1_3genE10ELNS1_11target_archE1200ELNS1_3gpuE4ELNS1_3repE0EEENS1_30default_config_static_selectorELNS0_4arch9wavefront6targetE1EEEvSZ_.kd
    .uniform_work_group_size: 1
    .uses_dynamic_stack: false
    .vgpr_count:     0
    .vgpr_spill_count: 0
    .wavefront_size: 64
  - .agpr_count:     0
    .args:
      - .offset:         0
        .size:           152
        .value_kind:     by_value
    .group_segment_fixed_size: 0
    .kernarg_segment_align: 8
    .kernarg_segment_size: 152
    .language:       OpenCL C
    .language_version:
      - 2
      - 0
    .max_flat_workgroup_size: 256
    .name:           _ZN7rocprim17ROCPRIM_400000_NS6detail17trampoline_kernelINS0_13select_configILj256ELj13ELNS0_17block_load_methodE3ELS4_3ELS4_3ELNS0_20block_scan_algorithmE0ELj4294967295EEENS1_25partition_config_selectorILNS1_17partition_subalgoE3EjNS0_10empty_typeEbEEZZNS1_14partition_implILS8_3ELb0ES6_jNS0_17counting_iteratorIjlEEPS9_SE_NS0_5tupleIJPjSE_EEENSF_IJSE_SE_EEES9_SG_JZNS1_25segmented_radix_sort_implINS0_14default_configELb1EPK6__halfPSL_PKlPlN2at6native12_GLOBAL__N_18offset_tEEE10hipError_tPvRmT1_PNSt15iterator_traitsISZ_E10value_typeET2_T3_PNS10_IS15_E10value_typeET4_jRbjT5_S1B_jjP12ihipStream_tbEUljE_EEESW_SX_SY_S15_S19_S1B_T6_T7_T9_mT8_S1D_bDpT10_ENKUlT_T0_E_clISt17integral_constantIbLb0EES1P_IbLb1EEEEDaS1L_S1M_EUlS1L_E_NS1_11comp_targetILNS1_3genE9ELNS1_11target_archE1100ELNS1_3gpuE3ELNS1_3repE0EEENS1_30default_config_static_selectorELNS0_4arch9wavefront6targetE1EEEvSZ_
    .private_segment_fixed_size: 0
    .sgpr_count:     4
    .sgpr_spill_count: 0
    .symbol:         _ZN7rocprim17ROCPRIM_400000_NS6detail17trampoline_kernelINS0_13select_configILj256ELj13ELNS0_17block_load_methodE3ELS4_3ELS4_3ELNS0_20block_scan_algorithmE0ELj4294967295EEENS1_25partition_config_selectorILNS1_17partition_subalgoE3EjNS0_10empty_typeEbEEZZNS1_14partition_implILS8_3ELb0ES6_jNS0_17counting_iteratorIjlEEPS9_SE_NS0_5tupleIJPjSE_EEENSF_IJSE_SE_EEES9_SG_JZNS1_25segmented_radix_sort_implINS0_14default_configELb1EPK6__halfPSL_PKlPlN2at6native12_GLOBAL__N_18offset_tEEE10hipError_tPvRmT1_PNSt15iterator_traitsISZ_E10value_typeET2_T3_PNS10_IS15_E10value_typeET4_jRbjT5_S1B_jjP12ihipStream_tbEUljE_EEESW_SX_SY_S15_S19_S1B_T6_T7_T9_mT8_S1D_bDpT10_ENKUlT_T0_E_clISt17integral_constantIbLb0EES1P_IbLb1EEEEDaS1L_S1M_EUlS1L_E_NS1_11comp_targetILNS1_3genE9ELNS1_11target_archE1100ELNS1_3gpuE3ELNS1_3repE0EEENS1_30default_config_static_selectorELNS0_4arch9wavefront6targetE1EEEvSZ_.kd
    .uniform_work_group_size: 1
    .uses_dynamic_stack: false
    .vgpr_count:     0
    .vgpr_spill_count: 0
    .wavefront_size: 64
  - .agpr_count:     0
    .args:
      - .offset:         0
        .size:           152
        .value_kind:     by_value
    .group_segment_fixed_size: 0
    .kernarg_segment_align: 8
    .kernarg_segment_size: 152
    .language:       OpenCL C
    .language_version:
      - 2
      - 0
    .max_flat_workgroup_size: 256
    .name:           _ZN7rocprim17ROCPRIM_400000_NS6detail17trampoline_kernelINS0_13select_configILj256ELj13ELNS0_17block_load_methodE3ELS4_3ELS4_3ELNS0_20block_scan_algorithmE0ELj4294967295EEENS1_25partition_config_selectorILNS1_17partition_subalgoE3EjNS0_10empty_typeEbEEZZNS1_14partition_implILS8_3ELb0ES6_jNS0_17counting_iteratorIjlEEPS9_SE_NS0_5tupleIJPjSE_EEENSF_IJSE_SE_EEES9_SG_JZNS1_25segmented_radix_sort_implINS0_14default_configELb1EPK6__halfPSL_PKlPlN2at6native12_GLOBAL__N_18offset_tEEE10hipError_tPvRmT1_PNSt15iterator_traitsISZ_E10value_typeET2_T3_PNS10_IS15_E10value_typeET4_jRbjT5_S1B_jjP12ihipStream_tbEUljE_EEESW_SX_SY_S15_S19_S1B_T6_T7_T9_mT8_S1D_bDpT10_ENKUlT_T0_E_clISt17integral_constantIbLb0EES1P_IbLb1EEEEDaS1L_S1M_EUlS1L_E_NS1_11comp_targetILNS1_3genE8ELNS1_11target_archE1030ELNS1_3gpuE2ELNS1_3repE0EEENS1_30default_config_static_selectorELNS0_4arch9wavefront6targetE1EEEvSZ_
    .private_segment_fixed_size: 0
    .sgpr_count:     4
    .sgpr_spill_count: 0
    .symbol:         _ZN7rocprim17ROCPRIM_400000_NS6detail17trampoline_kernelINS0_13select_configILj256ELj13ELNS0_17block_load_methodE3ELS4_3ELS4_3ELNS0_20block_scan_algorithmE0ELj4294967295EEENS1_25partition_config_selectorILNS1_17partition_subalgoE3EjNS0_10empty_typeEbEEZZNS1_14partition_implILS8_3ELb0ES6_jNS0_17counting_iteratorIjlEEPS9_SE_NS0_5tupleIJPjSE_EEENSF_IJSE_SE_EEES9_SG_JZNS1_25segmented_radix_sort_implINS0_14default_configELb1EPK6__halfPSL_PKlPlN2at6native12_GLOBAL__N_18offset_tEEE10hipError_tPvRmT1_PNSt15iterator_traitsISZ_E10value_typeET2_T3_PNS10_IS15_E10value_typeET4_jRbjT5_S1B_jjP12ihipStream_tbEUljE_EEESW_SX_SY_S15_S19_S1B_T6_T7_T9_mT8_S1D_bDpT10_ENKUlT_T0_E_clISt17integral_constantIbLb0EES1P_IbLb1EEEEDaS1L_S1M_EUlS1L_E_NS1_11comp_targetILNS1_3genE8ELNS1_11target_archE1030ELNS1_3gpuE2ELNS1_3repE0EEENS1_30default_config_static_selectorELNS0_4arch9wavefront6targetE1EEEvSZ_.kd
    .uniform_work_group_size: 1
    .uses_dynamic_stack: false
    .vgpr_count:     0
    .vgpr_spill_count: 0
    .wavefront_size: 64
  - .agpr_count:     0
    .args:
      - .offset:         0
        .size:           96
        .value_kind:     by_value
    .group_segment_fixed_size: 0
    .kernarg_segment_align: 8
    .kernarg_segment_size: 96
    .language:       OpenCL C
    .language_version:
      - 2
      - 0
    .max_flat_workgroup_size: 256
    .name:           _ZN7rocprim17ROCPRIM_400000_NS6detail17trampoline_kernelINS0_14default_configENS1_36segmented_radix_sort_config_selectorI6__halflEEZNS1_25segmented_radix_sort_implIS3_Lb1EPKS5_PS5_PKlPlN2at6native12_GLOBAL__N_18offset_tEEE10hipError_tPvRmT1_PNSt15iterator_traitsISL_E10value_typeET2_T3_PNSM_ISR_E10value_typeET4_jRbjT5_SX_jjP12ihipStream_tbEUlT_E_NS1_11comp_targetILNS1_3genE0ELNS1_11target_archE4294967295ELNS1_3gpuE0ELNS1_3repE0EEENS1_30default_config_static_selectorELNS0_4arch9wavefront6targetE1EEEvSL_
    .private_segment_fixed_size: 0
    .sgpr_count:     4
    .sgpr_spill_count: 0
    .symbol:         _ZN7rocprim17ROCPRIM_400000_NS6detail17trampoline_kernelINS0_14default_configENS1_36segmented_radix_sort_config_selectorI6__halflEEZNS1_25segmented_radix_sort_implIS3_Lb1EPKS5_PS5_PKlPlN2at6native12_GLOBAL__N_18offset_tEEE10hipError_tPvRmT1_PNSt15iterator_traitsISL_E10value_typeET2_T3_PNSM_ISR_E10value_typeET4_jRbjT5_SX_jjP12ihipStream_tbEUlT_E_NS1_11comp_targetILNS1_3genE0ELNS1_11target_archE4294967295ELNS1_3gpuE0ELNS1_3repE0EEENS1_30default_config_static_selectorELNS0_4arch9wavefront6targetE1EEEvSL_.kd
    .uniform_work_group_size: 1
    .uses_dynamic_stack: false
    .vgpr_count:     0
    .vgpr_spill_count: 0
    .wavefront_size: 64
  - .agpr_count:     0
    .args:
      - .offset:         0
        .size:           96
        .value_kind:     by_value
    .group_segment_fixed_size: 0
    .kernarg_segment_align: 8
    .kernarg_segment_size: 96
    .language:       OpenCL C
    .language_version:
      - 2
      - 0
    .max_flat_workgroup_size: 256
    .name:           _ZN7rocprim17ROCPRIM_400000_NS6detail17trampoline_kernelINS0_14default_configENS1_36segmented_radix_sort_config_selectorI6__halflEEZNS1_25segmented_radix_sort_implIS3_Lb1EPKS5_PS5_PKlPlN2at6native12_GLOBAL__N_18offset_tEEE10hipError_tPvRmT1_PNSt15iterator_traitsISL_E10value_typeET2_T3_PNSM_ISR_E10value_typeET4_jRbjT5_SX_jjP12ihipStream_tbEUlT_E_NS1_11comp_targetILNS1_3genE5ELNS1_11target_archE942ELNS1_3gpuE9ELNS1_3repE0EEENS1_30default_config_static_selectorELNS0_4arch9wavefront6targetE1EEEvSL_
    .private_segment_fixed_size: 0
    .sgpr_count:     4
    .sgpr_spill_count: 0
    .symbol:         _ZN7rocprim17ROCPRIM_400000_NS6detail17trampoline_kernelINS0_14default_configENS1_36segmented_radix_sort_config_selectorI6__halflEEZNS1_25segmented_radix_sort_implIS3_Lb1EPKS5_PS5_PKlPlN2at6native12_GLOBAL__N_18offset_tEEE10hipError_tPvRmT1_PNSt15iterator_traitsISL_E10value_typeET2_T3_PNSM_ISR_E10value_typeET4_jRbjT5_SX_jjP12ihipStream_tbEUlT_E_NS1_11comp_targetILNS1_3genE5ELNS1_11target_archE942ELNS1_3gpuE9ELNS1_3repE0EEENS1_30default_config_static_selectorELNS0_4arch9wavefront6targetE1EEEvSL_.kd
    .uniform_work_group_size: 1
    .uses_dynamic_stack: false
    .vgpr_count:     0
    .vgpr_spill_count: 0
    .wavefront_size: 64
  - .agpr_count:     0
    .args:
      - .offset:         0
        .size:           96
        .value_kind:     by_value
      - .offset:         96
        .size:           4
        .value_kind:     hidden_block_count_x
      - .offset:         100
        .size:           4
        .value_kind:     hidden_block_count_y
      - .offset:         104
        .size:           4
        .value_kind:     hidden_block_count_z
      - .offset:         108
        .size:           2
        .value_kind:     hidden_group_size_x
      - .offset:         110
        .size:           2
        .value_kind:     hidden_group_size_y
      - .offset:         112
        .size:           2
        .value_kind:     hidden_group_size_z
      - .offset:         114
        .size:           2
        .value_kind:     hidden_remainder_x
      - .offset:         116
        .size:           2
        .value_kind:     hidden_remainder_y
      - .offset:         118
        .size:           2
        .value_kind:     hidden_remainder_z
      - .offset:         136
        .size:           8
        .value_kind:     hidden_global_offset_x
      - .offset:         144
        .size:           8
        .value_kind:     hidden_global_offset_y
      - .offset:         152
        .size:           8
        .value_kind:     hidden_global_offset_z
      - .offset:         160
        .size:           2
        .value_kind:     hidden_grid_dims
      - .offset:         176
        .size:           8
        .value_kind:     hidden_hostcall_buffer
      - .offset:         184
        .size:           8
        .value_kind:     hidden_multigrid_sync_arg
      - .offset:         192
        .size:           8
        .value_kind:     hidden_heap_v1
      - .offset:         200
        .size:           8
        .value_kind:     hidden_default_queue
      - .offset:         208
        .size:           8
        .value_kind:     hidden_completion_action
      - .offset:         296
        .size:           8
        .value_kind:     hidden_queue_ptr
    .group_segment_fixed_size: 17424
    .kernarg_segment_align: 8
    .kernarg_segment_size: 352
    .language:       OpenCL C
    .language_version:
      - 2
      - 0
    .max_flat_workgroup_size: 256
    .name:           _ZN7rocprim17ROCPRIM_400000_NS6detail17trampoline_kernelINS0_14default_configENS1_36segmented_radix_sort_config_selectorI6__halflEEZNS1_25segmented_radix_sort_implIS3_Lb1EPKS5_PS5_PKlPlN2at6native12_GLOBAL__N_18offset_tEEE10hipError_tPvRmT1_PNSt15iterator_traitsISL_E10value_typeET2_T3_PNSM_ISR_E10value_typeET4_jRbjT5_SX_jjP12ihipStream_tbEUlT_E_NS1_11comp_targetILNS1_3genE4ELNS1_11target_archE910ELNS1_3gpuE8ELNS1_3repE0EEENS1_30default_config_static_selectorELNS0_4arch9wavefront6targetE1EEEvSL_
    .private_segment_fixed_size: 8
    .sgpr_count:     87
    .sgpr_spill_count: 0
    .symbol:         _ZN7rocprim17ROCPRIM_400000_NS6detail17trampoline_kernelINS0_14default_configENS1_36segmented_radix_sort_config_selectorI6__halflEEZNS1_25segmented_radix_sort_implIS3_Lb1EPKS5_PS5_PKlPlN2at6native12_GLOBAL__N_18offset_tEEE10hipError_tPvRmT1_PNSt15iterator_traitsISL_E10value_typeET2_T3_PNSM_ISR_E10value_typeET4_jRbjT5_SX_jjP12ihipStream_tbEUlT_E_NS1_11comp_targetILNS1_3genE4ELNS1_11target_archE910ELNS1_3gpuE8ELNS1_3repE0EEENS1_30default_config_static_selectorELNS0_4arch9wavefront6targetE1EEEvSL_.kd
    .uniform_work_group_size: 1
    .uses_dynamic_stack: false
    .vgpr_count:     178
    .vgpr_spill_count: 0
    .wavefront_size: 64
  - .agpr_count:     0
    .args:
      - .offset:         0
        .size:           96
        .value_kind:     by_value
    .group_segment_fixed_size: 0
    .kernarg_segment_align: 8
    .kernarg_segment_size: 96
    .language:       OpenCL C
    .language_version:
      - 2
      - 0
    .max_flat_workgroup_size: 256
    .name:           _ZN7rocprim17ROCPRIM_400000_NS6detail17trampoline_kernelINS0_14default_configENS1_36segmented_radix_sort_config_selectorI6__halflEEZNS1_25segmented_radix_sort_implIS3_Lb1EPKS5_PS5_PKlPlN2at6native12_GLOBAL__N_18offset_tEEE10hipError_tPvRmT1_PNSt15iterator_traitsISL_E10value_typeET2_T3_PNSM_ISR_E10value_typeET4_jRbjT5_SX_jjP12ihipStream_tbEUlT_E_NS1_11comp_targetILNS1_3genE3ELNS1_11target_archE908ELNS1_3gpuE7ELNS1_3repE0EEENS1_30default_config_static_selectorELNS0_4arch9wavefront6targetE1EEEvSL_
    .private_segment_fixed_size: 0
    .sgpr_count:     4
    .sgpr_spill_count: 0
    .symbol:         _ZN7rocprim17ROCPRIM_400000_NS6detail17trampoline_kernelINS0_14default_configENS1_36segmented_radix_sort_config_selectorI6__halflEEZNS1_25segmented_radix_sort_implIS3_Lb1EPKS5_PS5_PKlPlN2at6native12_GLOBAL__N_18offset_tEEE10hipError_tPvRmT1_PNSt15iterator_traitsISL_E10value_typeET2_T3_PNSM_ISR_E10value_typeET4_jRbjT5_SX_jjP12ihipStream_tbEUlT_E_NS1_11comp_targetILNS1_3genE3ELNS1_11target_archE908ELNS1_3gpuE7ELNS1_3repE0EEENS1_30default_config_static_selectorELNS0_4arch9wavefront6targetE1EEEvSL_.kd
    .uniform_work_group_size: 1
    .uses_dynamic_stack: false
    .vgpr_count:     0
    .vgpr_spill_count: 0
    .wavefront_size: 64
  - .agpr_count:     0
    .args:
      - .offset:         0
        .size:           96
        .value_kind:     by_value
    .group_segment_fixed_size: 0
    .kernarg_segment_align: 8
    .kernarg_segment_size: 96
    .language:       OpenCL C
    .language_version:
      - 2
      - 0
    .max_flat_workgroup_size: 256
    .name:           _ZN7rocprim17ROCPRIM_400000_NS6detail17trampoline_kernelINS0_14default_configENS1_36segmented_radix_sort_config_selectorI6__halflEEZNS1_25segmented_radix_sort_implIS3_Lb1EPKS5_PS5_PKlPlN2at6native12_GLOBAL__N_18offset_tEEE10hipError_tPvRmT1_PNSt15iterator_traitsISL_E10value_typeET2_T3_PNSM_ISR_E10value_typeET4_jRbjT5_SX_jjP12ihipStream_tbEUlT_E_NS1_11comp_targetILNS1_3genE2ELNS1_11target_archE906ELNS1_3gpuE6ELNS1_3repE0EEENS1_30default_config_static_selectorELNS0_4arch9wavefront6targetE1EEEvSL_
    .private_segment_fixed_size: 0
    .sgpr_count:     4
    .sgpr_spill_count: 0
    .symbol:         _ZN7rocprim17ROCPRIM_400000_NS6detail17trampoline_kernelINS0_14default_configENS1_36segmented_radix_sort_config_selectorI6__halflEEZNS1_25segmented_radix_sort_implIS3_Lb1EPKS5_PS5_PKlPlN2at6native12_GLOBAL__N_18offset_tEEE10hipError_tPvRmT1_PNSt15iterator_traitsISL_E10value_typeET2_T3_PNSM_ISR_E10value_typeET4_jRbjT5_SX_jjP12ihipStream_tbEUlT_E_NS1_11comp_targetILNS1_3genE2ELNS1_11target_archE906ELNS1_3gpuE6ELNS1_3repE0EEENS1_30default_config_static_selectorELNS0_4arch9wavefront6targetE1EEEvSL_.kd
    .uniform_work_group_size: 1
    .uses_dynamic_stack: false
    .vgpr_count:     0
    .vgpr_spill_count: 0
    .wavefront_size: 64
  - .agpr_count:     0
    .args:
      - .offset:         0
        .size:           96
        .value_kind:     by_value
    .group_segment_fixed_size: 0
    .kernarg_segment_align: 8
    .kernarg_segment_size: 96
    .language:       OpenCL C
    .language_version:
      - 2
      - 0
    .max_flat_workgroup_size: 256
    .name:           _ZN7rocprim17ROCPRIM_400000_NS6detail17trampoline_kernelINS0_14default_configENS1_36segmented_radix_sort_config_selectorI6__halflEEZNS1_25segmented_radix_sort_implIS3_Lb1EPKS5_PS5_PKlPlN2at6native12_GLOBAL__N_18offset_tEEE10hipError_tPvRmT1_PNSt15iterator_traitsISL_E10value_typeET2_T3_PNSM_ISR_E10value_typeET4_jRbjT5_SX_jjP12ihipStream_tbEUlT_E_NS1_11comp_targetILNS1_3genE10ELNS1_11target_archE1201ELNS1_3gpuE5ELNS1_3repE0EEENS1_30default_config_static_selectorELNS0_4arch9wavefront6targetE1EEEvSL_
    .private_segment_fixed_size: 0
    .sgpr_count:     4
    .sgpr_spill_count: 0
    .symbol:         _ZN7rocprim17ROCPRIM_400000_NS6detail17trampoline_kernelINS0_14default_configENS1_36segmented_radix_sort_config_selectorI6__halflEEZNS1_25segmented_radix_sort_implIS3_Lb1EPKS5_PS5_PKlPlN2at6native12_GLOBAL__N_18offset_tEEE10hipError_tPvRmT1_PNSt15iterator_traitsISL_E10value_typeET2_T3_PNSM_ISR_E10value_typeET4_jRbjT5_SX_jjP12ihipStream_tbEUlT_E_NS1_11comp_targetILNS1_3genE10ELNS1_11target_archE1201ELNS1_3gpuE5ELNS1_3repE0EEENS1_30default_config_static_selectorELNS0_4arch9wavefront6targetE1EEEvSL_.kd
    .uniform_work_group_size: 1
    .uses_dynamic_stack: false
    .vgpr_count:     0
    .vgpr_spill_count: 0
    .wavefront_size: 64
  - .agpr_count:     0
    .args:
      - .offset:         0
        .size:           96
        .value_kind:     by_value
    .group_segment_fixed_size: 0
    .kernarg_segment_align: 8
    .kernarg_segment_size: 96
    .language:       OpenCL C
    .language_version:
      - 2
      - 0
    .max_flat_workgroup_size: 128
    .name:           _ZN7rocprim17ROCPRIM_400000_NS6detail17trampoline_kernelINS0_14default_configENS1_36segmented_radix_sort_config_selectorI6__halflEEZNS1_25segmented_radix_sort_implIS3_Lb1EPKS5_PS5_PKlPlN2at6native12_GLOBAL__N_18offset_tEEE10hipError_tPvRmT1_PNSt15iterator_traitsISL_E10value_typeET2_T3_PNSM_ISR_E10value_typeET4_jRbjT5_SX_jjP12ihipStream_tbEUlT_E_NS1_11comp_targetILNS1_3genE10ELNS1_11target_archE1200ELNS1_3gpuE4ELNS1_3repE0EEENS1_30default_config_static_selectorELNS0_4arch9wavefront6targetE1EEEvSL_
    .private_segment_fixed_size: 0
    .sgpr_count:     4
    .sgpr_spill_count: 0
    .symbol:         _ZN7rocprim17ROCPRIM_400000_NS6detail17trampoline_kernelINS0_14default_configENS1_36segmented_radix_sort_config_selectorI6__halflEEZNS1_25segmented_radix_sort_implIS3_Lb1EPKS5_PS5_PKlPlN2at6native12_GLOBAL__N_18offset_tEEE10hipError_tPvRmT1_PNSt15iterator_traitsISL_E10value_typeET2_T3_PNSM_ISR_E10value_typeET4_jRbjT5_SX_jjP12ihipStream_tbEUlT_E_NS1_11comp_targetILNS1_3genE10ELNS1_11target_archE1200ELNS1_3gpuE4ELNS1_3repE0EEENS1_30default_config_static_selectorELNS0_4arch9wavefront6targetE1EEEvSL_.kd
    .uniform_work_group_size: 1
    .uses_dynamic_stack: false
    .vgpr_count:     0
    .vgpr_spill_count: 0
    .wavefront_size: 64
  - .agpr_count:     0
    .args:
      - .offset:         0
        .size:           96
        .value_kind:     by_value
    .group_segment_fixed_size: 0
    .kernarg_segment_align: 8
    .kernarg_segment_size: 96
    .language:       OpenCL C
    .language_version:
      - 2
      - 0
    .max_flat_workgroup_size: 256
    .name:           _ZN7rocprim17ROCPRIM_400000_NS6detail17trampoline_kernelINS0_14default_configENS1_36segmented_radix_sort_config_selectorI6__halflEEZNS1_25segmented_radix_sort_implIS3_Lb1EPKS5_PS5_PKlPlN2at6native12_GLOBAL__N_18offset_tEEE10hipError_tPvRmT1_PNSt15iterator_traitsISL_E10value_typeET2_T3_PNSM_ISR_E10value_typeET4_jRbjT5_SX_jjP12ihipStream_tbEUlT_E_NS1_11comp_targetILNS1_3genE9ELNS1_11target_archE1100ELNS1_3gpuE3ELNS1_3repE0EEENS1_30default_config_static_selectorELNS0_4arch9wavefront6targetE1EEEvSL_
    .private_segment_fixed_size: 0
    .sgpr_count:     4
    .sgpr_spill_count: 0
    .symbol:         _ZN7rocprim17ROCPRIM_400000_NS6detail17trampoline_kernelINS0_14default_configENS1_36segmented_radix_sort_config_selectorI6__halflEEZNS1_25segmented_radix_sort_implIS3_Lb1EPKS5_PS5_PKlPlN2at6native12_GLOBAL__N_18offset_tEEE10hipError_tPvRmT1_PNSt15iterator_traitsISL_E10value_typeET2_T3_PNSM_ISR_E10value_typeET4_jRbjT5_SX_jjP12ihipStream_tbEUlT_E_NS1_11comp_targetILNS1_3genE9ELNS1_11target_archE1100ELNS1_3gpuE3ELNS1_3repE0EEENS1_30default_config_static_selectorELNS0_4arch9wavefront6targetE1EEEvSL_.kd
    .uniform_work_group_size: 1
    .uses_dynamic_stack: false
    .vgpr_count:     0
    .vgpr_spill_count: 0
    .wavefront_size: 64
  - .agpr_count:     0
    .args:
      - .offset:         0
        .size:           96
        .value_kind:     by_value
    .group_segment_fixed_size: 0
    .kernarg_segment_align: 8
    .kernarg_segment_size: 96
    .language:       OpenCL C
    .language_version:
      - 2
      - 0
    .max_flat_workgroup_size: 256
    .name:           _ZN7rocprim17ROCPRIM_400000_NS6detail17trampoline_kernelINS0_14default_configENS1_36segmented_radix_sort_config_selectorI6__halflEEZNS1_25segmented_radix_sort_implIS3_Lb1EPKS5_PS5_PKlPlN2at6native12_GLOBAL__N_18offset_tEEE10hipError_tPvRmT1_PNSt15iterator_traitsISL_E10value_typeET2_T3_PNSM_ISR_E10value_typeET4_jRbjT5_SX_jjP12ihipStream_tbEUlT_E_NS1_11comp_targetILNS1_3genE8ELNS1_11target_archE1030ELNS1_3gpuE2ELNS1_3repE0EEENS1_30default_config_static_selectorELNS0_4arch9wavefront6targetE1EEEvSL_
    .private_segment_fixed_size: 0
    .sgpr_count:     4
    .sgpr_spill_count: 0
    .symbol:         _ZN7rocprim17ROCPRIM_400000_NS6detail17trampoline_kernelINS0_14default_configENS1_36segmented_radix_sort_config_selectorI6__halflEEZNS1_25segmented_radix_sort_implIS3_Lb1EPKS5_PS5_PKlPlN2at6native12_GLOBAL__N_18offset_tEEE10hipError_tPvRmT1_PNSt15iterator_traitsISL_E10value_typeET2_T3_PNSM_ISR_E10value_typeET4_jRbjT5_SX_jjP12ihipStream_tbEUlT_E_NS1_11comp_targetILNS1_3genE8ELNS1_11target_archE1030ELNS1_3gpuE2ELNS1_3repE0EEENS1_30default_config_static_selectorELNS0_4arch9wavefront6targetE1EEEvSL_.kd
    .uniform_work_group_size: 1
    .uses_dynamic_stack: false
    .vgpr_count:     0
    .vgpr_spill_count: 0
    .wavefront_size: 64
  - .agpr_count:     0
    .args:
      - .offset:         0
        .size:           88
        .value_kind:     by_value
    .group_segment_fixed_size: 0
    .kernarg_segment_align: 8
    .kernarg_segment_size: 88
    .language:       OpenCL C
    .language_version:
      - 2
      - 0
    .max_flat_workgroup_size: 256
    .name:           _ZN7rocprim17ROCPRIM_400000_NS6detail17trampoline_kernelINS0_14default_configENS1_36segmented_radix_sort_config_selectorI6__halflEEZNS1_25segmented_radix_sort_implIS3_Lb1EPKS5_PS5_PKlPlN2at6native12_GLOBAL__N_18offset_tEEE10hipError_tPvRmT1_PNSt15iterator_traitsISL_E10value_typeET2_T3_PNSM_ISR_E10value_typeET4_jRbjT5_SX_jjP12ihipStream_tbEUlT_E0_NS1_11comp_targetILNS1_3genE0ELNS1_11target_archE4294967295ELNS1_3gpuE0ELNS1_3repE0EEENS1_60segmented_radix_sort_warp_sort_medium_config_static_selectorELNS0_4arch9wavefront6targetE1EEEvSL_
    .private_segment_fixed_size: 0
    .sgpr_count:     4
    .sgpr_spill_count: 0
    .symbol:         _ZN7rocprim17ROCPRIM_400000_NS6detail17trampoline_kernelINS0_14default_configENS1_36segmented_radix_sort_config_selectorI6__halflEEZNS1_25segmented_radix_sort_implIS3_Lb1EPKS5_PS5_PKlPlN2at6native12_GLOBAL__N_18offset_tEEE10hipError_tPvRmT1_PNSt15iterator_traitsISL_E10value_typeET2_T3_PNSM_ISR_E10value_typeET4_jRbjT5_SX_jjP12ihipStream_tbEUlT_E0_NS1_11comp_targetILNS1_3genE0ELNS1_11target_archE4294967295ELNS1_3gpuE0ELNS1_3repE0EEENS1_60segmented_radix_sort_warp_sort_medium_config_static_selectorELNS0_4arch9wavefront6targetE1EEEvSL_.kd
    .uniform_work_group_size: 1
    .uses_dynamic_stack: false
    .vgpr_count:     0
    .vgpr_spill_count: 0
    .wavefront_size: 64
  - .agpr_count:     0
    .args:
      - .offset:         0
        .size:           88
        .value_kind:     by_value
    .group_segment_fixed_size: 0
    .kernarg_segment_align: 8
    .kernarg_segment_size: 88
    .language:       OpenCL C
    .language_version:
      - 2
      - 0
    .max_flat_workgroup_size: 256
    .name:           _ZN7rocprim17ROCPRIM_400000_NS6detail17trampoline_kernelINS0_14default_configENS1_36segmented_radix_sort_config_selectorI6__halflEEZNS1_25segmented_radix_sort_implIS3_Lb1EPKS5_PS5_PKlPlN2at6native12_GLOBAL__N_18offset_tEEE10hipError_tPvRmT1_PNSt15iterator_traitsISL_E10value_typeET2_T3_PNSM_ISR_E10value_typeET4_jRbjT5_SX_jjP12ihipStream_tbEUlT_E0_NS1_11comp_targetILNS1_3genE5ELNS1_11target_archE942ELNS1_3gpuE9ELNS1_3repE0EEENS1_60segmented_radix_sort_warp_sort_medium_config_static_selectorELNS0_4arch9wavefront6targetE1EEEvSL_
    .private_segment_fixed_size: 0
    .sgpr_count:     4
    .sgpr_spill_count: 0
    .symbol:         _ZN7rocprim17ROCPRIM_400000_NS6detail17trampoline_kernelINS0_14default_configENS1_36segmented_radix_sort_config_selectorI6__halflEEZNS1_25segmented_radix_sort_implIS3_Lb1EPKS5_PS5_PKlPlN2at6native12_GLOBAL__N_18offset_tEEE10hipError_tPvRmT1_PNSt15iterator_traitsISL_E10value_typeET2_T3_PNSM_ISR_E10value_typeET4_jRbjT5_SX_jjP12ihipStream_tbEUlT_E0_NS1_11comp_targetILNS1_3genE5ELNS1_11target_archE942ELNS1_3gpuE9ELNS1_3repE0EEENS1_60segmented_radix_sort_warp_sort_medium_config_static_selectorELNS0_4arch9wavefront6targetE1EEEvSL_.kd
    .uniform_work_group_size: 1
    .uses_dynamic_stack: false
    .vgpr_count:     0
    .vgpr_spill_count: 0
    .wavefront_size: 64
  - .agpr_count:     0
    .args:
      - .offset:         0
        .size:           88
        .value_kind:     by_value
      - .offset:         88
        .size:           4
        .value_kind:     hidden_block_count_x
      - .offset:         92
        .size:           4
        .value_kind:     hidden_block_count_y
      - .offset:         96
        .size:           4
        .value_kind:     hidden_block_count_z
      - .offset:         100
        .size:           2
        .value_kind:     hidden_group_size_x
      - .offset:         102
        .size:           2
        .value_kind:     hidden_group_size_y
      - .offset:         104
        .size:           2
        .value_kind:     hidden_group_size_z
      - .offset:         106
        .size:           2
        .value_kind:     hidden_remainder_x
      - .offset:         108
        .size:           2
        .value_kind:     hidden_remainder_y
      - .offset:         110
        .size:           2
        .value_kind:     hidden_remainder_z
      - .offset:         128
        .size:           8
        .value_kind:     hidden_global_offset_x
      - .offset:         136
        .size:           8
        .value_kind:     hidden_global_offset_y
      - .offset:         144
        .size:           8
        .value_kind:     hidden_global_offset_z
      - .offset:         152
        .size:           2
        .value_kind:     hidden_grid_dims
      - .offset:         168
        .size:           8
        .value_kind:     hidden_hostcall_buffer
      - .offset:         176
        .size:           8
        .value_kind:     hidden_multigrid_sync_arg
      - .offset:         184
        .size:           8
        .value_kind:     hidden_heap_v1
      - .offset:         192
        .size:           8
        .value_kind:     hidden_default_queue
      - .offset:         200
        .size:           8
        .value_kind:     hidden_completion_action
      - .offset:         288
        .size:           8
        .value_kind:     hidden_queue_ptr
    .group_segment_fixed_size: 20480
    .kernarg_segment_align: 8
    .kernarg_segment_size: 344
    .language:       OpenCL C
    .language_version:
      - 2
      - 0
    .max_flat_workgroup_size: 256
    .name:           _ZN7rocprim17ROCPRIM_400000_NS6detail17trampoline_kernelINS0_14default_configENS1_36segmented_radix_sort_config_selectorI6__halflEEZNS1_25segmented_radix_sort_implIS3_Lb1EPKS5_PS5_PKlPlN2at6native12_GLOBAL__N_18offset_tEEE10hipError_tPvRmT1_PNSt15iterator_traitsISL_E10value_typeET2_T3_PNSM_ISR_E10value_typeET4_jRbjT5_SX_jjP12ihipStream_tbEUlT_E0_NS1_11comp_targetILNS1_3genE4ELNS1_11target_archE910ELNS1_3gpuE8ELNS1_3repE0EEENS1_60segmented_radix_sort_warp_sort_medium_config_static_selectorELNS0_4arch9wavefront6targetE1EEEvSL_
    .private_segment_fixed_size: 8
    .sgpr_count:     66
    .sgpr_spill_count: 0
    .symbol:         _ZN7rocprim17ROCPRIM_400000_NS6detail17trampoline_kernelINS0_14default_configENS1_36segmented_radix_sort_config_selectorI6__halflEEZNS1_25segmented_radix_sort_implIS3_Lb1EPKS5_PS5_PKlPlN2at6native12_GLOBAL__N_18offset_tEEE10hipError_tPvRmT1_PNSt15iterator_traitsISL_E10value_typeET2_T3_PNSM_ISR_E10value_typeET4_jRbjT5_SX_jjP12ihipStream_tbEUlT_E0_NS1_11comp_targetILNS1_3genE4ELNS1_11target_archE910ELNS1_3gpuE8ELNS1_3repE0EEENS1_60segmented_radix_sort_warp_sort_medium_config_static_selectorELNS0_4arch9wavefront6targetE1EEEvSL_.kd
    .uniform_work_group_size: 1
    .uses_dynamic_stack: false
    .vgpr_count:     81
    .vgpr_spill_count: 0
    .wavefront_size: 64
  - .agpr_count:     0
    .args:
      - .offset:         0
        .size:           88
        .value_kind:     by_value
    .group_segment_fixed_size: 0
    .kernarg_segment_align: 8
    .kernarg_segment_size: 88
    .language:       OpenCL C
    .language_version:
      - 2
      - 0
    .max_flat_workgroup_size: 256
    .name:           _ZN7rocprim17ROCPRIM_400000_NS6detail17trampoline_kernelINS0_14default_configENS1_36segmented_radix_sort_config_selectorI6__halflEEZNS1_25segmented_radix_sort_implIS3_Lb1EPKS5_PS5_PKlPlN2at6native12_GLOBAL__N_18offset_tEEE10hipError_tPvRmT1_PNSt15iterator_traitsISL_E10value_typeET2_T3_PNSM_ISR_E10value_typeET4_jRbjT5_SX_jjP12ihipStream_tbEUlT_E0_NS1_11comp_targetILNS1_3genE3ELNS1_11target_archE908ELNS1_3gpuE7ELNS1_3repE0EEENS1_60segmented_radix_sort_warp_sort_medium_config_static_selectorELNS0_4arch9wavefront6targetE1EEEvSL_
    .private_segment_fixed_size: 0
    .sgpr_count:     4
    .sgpr_spill_count: 0
    .symbol:         _ZN7rocprim17ROCPRIM_400000_NS6detail17trampoline_kernelINS0_14default_configENS1_36segmented_radix_sort_config_selectorI6__halflEEZNS1_25segmented_radix_sort_implIS3_Lb1EPKS5_PS5_PKlPlN2at6native12_GLOBAL__N_18offset_tEEE10hipError_tPvRmT1_PNSt15iterator_traitsISL_E10value_typeET2_T3_PNSM_ISR_E10value_typeET4_jRbjT5_SX_jjP12ihipStream_tbEUlT_E0_NS1_11comp_targetILNS1_3genE3ELNS1_11target_archE908ELNS1_3gpuE7ELNS1_3repE0EEENS1_60segmented_radix_sort_warp_sort_medium_config_static_selectorELNS0_4arch9wavefront6targetE1EEEvSL_.kd
    .uniform_work_group_size: 1
    .uses_dynamic_stack: false
    .vgpr_count:     0
    .vgpr_spill_count: 0
    .wavefront_size: 64
  - .agpr_count:     0
    .args:
      - .offset:         0
        .size:           88
        .value_kind:     by_value
    .group_segment_fixed_size: 0
    .kernarg_segment_align: 8
    .kernarg_segment_size: 88
    .language:       OpenCL C
    .language_version:
      - 2
      - 0
    .max_flat_workgroup_size: 256
    .name:           _ZN7rocprim17ROCPRIM_400000_NS6detail17trampoline_kernelINS0_14default_configENS1_36segmented_radix_sort_config_selectorI6__halflEEZNS1_25segmented_radix_sort_implIS3_Lb1EPKS5_PS5_PKlPlN2at6native12_GLOBAL__N_18offset_tEEE10hipError_tPvRmT1_PNSt15iterator_traitsISL_E10value_typeET2_T3_PNSM_ISR_E10value_typeET4_jRbjT5_SX_jjP12ihipStream_tbEUlT_E0_NS1_11comp_targetILNS1_3genE2ELNS1_11target_archE906ELNS1_3gpuE6ELNS1_3repE0EEENS1_60segmented_radix_sort_warp_sort_medium_config_static_selectorELNS0_4arch9wavefront6targetE1EEEvSL_
    .private_segment_fixed_size: 0
    .sgpr_count:     4
    .sgpr_spill_count: 0
    .symbol:         _ZN7rocprim17ROCPRIM_400000_NS6detail17trampoline_kernelINS0_14default_configENS1_36segmented_radix_sort_config_selectorI6__halflEEZNS1_25segmented_radix_sort_implIS3_Lb1EPKS5_PS5_PKlPlN2at6native12_GLOBAL__N_18offset_tEEE10hipError_tPvRmT1_PNSt15iterator_traitsISL_E10value_typeET2_T3_PNSM_ISR_E10value_typeET4_jRbjT5_SX_jjP12ihipStream_tbEUlT_E0_NS1_11comp_targetILNS1_3genE2ELNS1_11target_archE906ELNS1_3gpuE6ELNS1_3repE0EEENS1_60segmented_radix_sort_warp_sort_medium_config_static_selectorELNS0_4arch9wavefront6targetE1EEEvSL_.kd
    .uniform_work_group_size: 1
    .uses_dynamic_stack: false
    .vgpr_count:     0
    .vgpr_spill_count: 0
    .wavefront_size: 64
  - .agpr_count:     0
    .args:
      - .offset:         0
        .size:           88
        .value_kind:     by_value
    .group_segment_fixed_size: 0
    .kernarg_segment_align: 8
    .kernarg_segment_size: 88
    .language:       OpenCL C
    .language_version:
      - 2
      - 0
    .max_flat_workgroup_size: 256
    .name:           _ZN7rocprim17ROCPRIM_400000_NS6detail17trampoline_kernelINS0_14default_configENS1_36segmented_radix_sort_config_selectorI6__halflEEZNS1_25segmented_radix_sort_implIS3_Lb1EPKS5_PS5_PKlPlN2at6native12_GLOBAL__N_18offset_tEEE10hipError_tPvRmT1_PNSt15iterator_traitsISL_E10value_typeET2_T3_PNSM_ISR_E10value_typeET4_jRbjT5_SX_jjP12ihipStream_tbEUlT_E0_NS1_11comp_targetILNS1_3genE10ELNS1_11target_archE1201ELNS1_3gpuE5ELNS1_3repE0EEENS1_60segmented_radix_sort_warp_sort_medium_config_static_selectorELNS0_4arch9wavefront6targetE1EEEvSL_
    .private_segment_fixed_size: 0
    .sgpr_count:     4
    .sgpr_spill_count: 0
    .symbol:         _ZN7rocprim17ROCPRIM_400000_NS6detail17trampoline_kernelINS0_14default_configENS1_36segmented_radix_sort_config_selectorI6__halflEEZNS1_25segmented_radix_sort_implIS3_Lb1EPKS5_PS5_PKlPlN2at6native12_GLOBAL__N_18offset_tEEE10hipError_tPvRmT1_PNSt15iterator_traitsISL_E10value_typeET2_T3_PNSM_ISR_E10value_typeET4_jRbjT5_SX_jjP12ihipStream_tbEUlT_E0_NS1_11comp_targetILNS1_3genE10ELNS1_11target_archE1201ELNS1_3gpuE5ELNS1_3repE0EEENS1_60segmented_radix_sort_warp_sort_medium_config_static_selectorELNS0_4arch9wavefront6targetE1EEEvSL_.kd
    .uniform_work_group_size: 1
    .uses_dynamic_stack: false
    .vgpr_count:     0
    .vgpr_spill_count: 0
    .wavefront_size: 64
  - .agpr_count:     0
    .args:
      - .offset:         0
        .size:           88
        .value_kind:     by_value
    .group_segment_fixed_size: 0
    .kernarg_segment_align: 8
    .kernarg_segment_size: 88
    .language:       OpenCL C
    .language_version:
      - 2
      - 0
    .max_flat_workgroup_size: 256
    .name:           _ZN7rocprim17ROCPRIM_400000_NS6detail17trampoline_kernelINS0_14default_configENS1_36segmented_radix_sort_config_selectorI6__halflEEZNS1_25segmented_radix_sort_implIS3_Lb1EPKS5_PS5_PKlPlN2at6native12_GLOBAL__N_18offset_tEEE10hipError_tPvRmT1_PNSt15iterator_traitsISL_E10value_typeET2_T3_PNSM_ISR_E10value_typeET4_jRbjT5_SX_jjP12ihipStream_tbEUlT_E0_NS1_11comp_targetILNS1_3genE10ELNS1_11target_archE1200ELNS1_3gpuE4ELNS1_3repE0EEENS1_60segmented_radix_sort_warp_sort_medium_config_static_selectorELNS0_4arch9wavefront6targetE1EEEvSL_
    .private_segment_fixed_size: 0
    .sgpr_count:     4
    .sgpr_spill_count: 0
    .symbol:         _ZN7rocprim17ROCPRIM_400000_NS6detail17trampoline_kernelINS0_14default_configENS1_36segmented_radix_sort_config_selectorI6__halflEEZNS1_25segmented_radix_sort_implIS3_Lb1EPKS5_PS5_PKlPlN2at6native12_GLOBAL__N_18offset_tEEE10hipError_tPvRmT1_PNSt15iterator_traitsISL_E10value_typeET2_T3_PNSM_ISR_E10value_typeET4_jRbjT5_SX_jjP12ihipStream_tbEUlT_E0_NS1_11comp_targetILNS1_3genE10ELNS1_11target_archE1200ELNS1_3gpuE4ELNS1_3repE0EEENS1_60segmented_radix_sort_warp_sort_medium_config_static_selectorELNS0_4arch9wavefront6targetE1EEEvSL_.kd
    .uniform_work_group_size: 1
    .uses_dynamic_stack: false
    .vgpr_count:     0
    .vgpr_spill_count: 0
    .wavefront_size: 64
  - .agpr_count:     0
    .args:
      - .offset:         0
        .size:           88
        .value_kind:     by_value
    .group_segment_fixed_size: 0
    .kernarg_segment_align: 8
    .kernarg_segment_size: 88
    .language:       OpenCL C
    .language_version:
      - 2
      - 0
    .max_flat_workgroup_size: 256
    .name:           _ZN7rocprim17ROCPRIM_400000_NS6detail17trampoline_kernelINS0_14default_configENS1_36segmented_radix_sort_config_selectorI6__halflEEZNS1_25segmented_radix_sort_implIS3_Lb1EPKS5_PS5_PKlPlN2at6native12_GLOBAL__N_18offset_tEEE10hipError_tPvRmT1_PNSt15iterator_traitsISL_E10value_typeET2_T3_PNSM_ISR_E10value_typeET4_jRbjT5_SX_jjP12ihipStream_tbEUlT_E0_NS1_11comp_targetILNS1_3genE9ELNS1_11target_archE1100ELNS1_3gpuE3ELNS1_3repE0EEENS1_60segmented_radix_sort_warp_sort_medium_config_static_selectorELNS0_4arch9wavefront6targetE1EEEvSL_
    .private_segment_fixed_size: 0
    .sgpr_count:     4
    .sgpr_spill_count: 0
    .symbol:         _ZN7rocprim17ROCPRIM_400000_NS6detail17trampoline_kernelINS0_14default_configENS1_36segmented_radix_sort_config_selectorI6__halflEEZNS1_25segmented_radix_sort_implIS3_Lb1EPKS5_PS5_PKlPlN2at6native12_GLOBAL__N_18offset_tEEE10hipError_tPvRmT1_PNSt15iterator_traitsISL_E10value_typeET2_T3_PNSM_ISR_E10value_typeET4_jRbjT5_SX_jjP12ihipStream_tbEUlT_E0_NS1_11comp_targetILNS1_3genE9ELNS1_11target_archE1100ELNS1_3gpuE3ELNS1_3repE0EEENS1_60segmented_radix_sort_warp_sort_medium_config_static_selectorELNS0_4arch9wavefront6targetE1EEEvSL_.kd
    .uniform_work_group_size: 1
    .uses_dynamic_stack: false
    .vgpr_count:     0
    .vgpr_spill_count: 0
    .wavefront_size: 64
  - .agpr_count:     0
    .args:
      - .offset:         0
        .size:           88
        .value_kind:     by_value
    .group_segment_fixed_size: 0
    .kernarg_segment_align: 8
    .kernarg_segment_size: 88
    .language:       OpenCL C
    .language_version:
      - 2
      - 0
    .max_flat_workgroup_size: 256
    .name:           _ZN7rocprim17ROCPRIM_400000_NS6detail17trampoline_kernelINS0_14default_configENS1_36segmented_radix_sort_config_selectorI6__halflEEZNS1_25segmented_radix_sort_implIS3_Lb1EPKS5_PS5_PKlPlN2at6native12_GLOBAL__N_18offset_tEEE10hipError_tPvRmT1_PNSt15iterator_traitsISL_E10value_typeET2_T3_PNSM_ISR_E10value_typeET4_jRbjT5_SX_jjP12ihipStream_tbEUlT_E0_NS1_11comp_targetILNS1_3genE8ELNS1_11target_archE1030ELNS1_3gpuE2ELNS1_3repE0EEENS1_60segmented_radix_sort_warp_sort_medium_config_static_selectorELNS0_4arch9wavefront6targetE1EEEvSL_
    .private_segment_fixed_size: 0
    .sgpr_count:     4
    .sgpr_spill_count: 0
    .symbol:         _ZN7rocprim17ROCPRIM_400000_NS6detail17trampoline_kernelINS0_14default_configENS1_36segmented_radix_sort_config_selectorI6__halflEEZNS1_25segmented_radix_sort_implIS3_Lb1EPKS5_PS5_PKlPlN2at6native12_GLOBAL__N_18offset_tEEE10hipError_tPvRmT1_PNSt15iterator_traitsISL_E10value_typeET2_T3_PNSM_ISR_E10value_typeET4_jRbjT5_SX_jjP12ihipStream_tbEUlT_E0_NS1_11comp_targetILNS1_3genE8ELNS1_11target_archE1030ELNS1_3gpuE2ELNS1_3repE0EEENS1_60segmented_radix_sort_warp_sort_medium_config_static_selectorELNS0_4arch9wavefront6targetE1EEEvSL_.kd
    .uniform_work_group_size: 1
    .uses_dynamic_stack: false
    .vgpr_count:     0
    .vgpr_spill_count: 0
    .wavefront_size: 64
  - .agpr_count:     0
    .args:
      - .offset:         0
        .size:           88
        .value_kind:     by_value
    .group_segment_fixed_size: 0
    .kernarg_segment_align: 8
    .kernarg_segment_size: 88
    .language:       OpenCL C
    .language_version:
      - 2
      - 0
    .max_flat_workgroup_size: 256
    .name:           _ZN7rocprim17ROCPRIM_400000_NS6detail17trampoline_kernelINS0_14default_configENS1_36segmented_radix_sort_config_selectorI6__halflEEZNS1_25segmented_radix_sort_implIS3_Lb1EPKS5_PS5_PKlPlN2at6native12_GLOBAL__N_18offset_tEEE10hipError_tPvRmT1_PNSt15iterator_traitsISL_E10value_typeET2_T3_PNSM_ISR_E10value_typeET4_jRbjT5_SX_jjP12ihipStream_tbEUlT_E1_NS1_11comp_targetILNS1_3genE0ELNS1_11target_archE4294967295ELNS1_3gpuE0ELNS1_3repE0EEENS1_59segmented_radix_sort_warp_sort_small_config_static_selectorELNS0_4arch9wavefront6targetE1EEEvSL_
    .private_segment_fixed_size: 0
    .sgpr_count:     4
    .sgpr_spill_count: 0
    .symbol:         _ZN7rocprim17ROCPRIM_400000_NS6detail17trampoline_kernelINS0_14default_configENS1_36segmented_radix_sort_config_selectorI6__halflEEZNS1_25segmented_radix_sort_implIS3_Lb1EPKS5_PS5_PKlPlN2at6native12_GLOBAL__N_18offset_tEEE10hipError_tPvRmT1_PNSt15iterator_traitsISL_E10value_typeET2_T3_PNSM_ISR_E10value_typeET4_jRbjT5_SX_jjP12ihipStream_tbEUlT_E1_NS1_11comp_targetILNS1_3genE0ELNS1_11target_archE4294967295ELNS1_3gpuE0ELNS1_3repE0EEENS1_59segmented_radix_sort_warp_sort_small_config_static_selectorELNS0_4arch9wavefront6targetE1EEEvSL_.kd
    .uniform_work_group_size: 1
    .uses_dynamic_stack: false
    .vgpr_count:     0
    .vgpr_spill_count: 0
    .wavefront_size: 64
  - .agpr_count:     0
    .args:
      - .offset:         0
        .size:           88
        .value_kind:     by_value
    .group_segment_fixed_size: 0
    .kernarg_segment_align: 8
    .kernarg_segment_size: 88
    .language:       OpenCL C
    .language_version:
      - 2
      - 0
    .max_flat_workgroup_size: 256
    .name:           _ZN7rocprim17ROCPRIM_400000_NS6detail17trampoline_kernelINS0_14default_configENS1_36segmented_radix_sort_config_selectorI6__halflEEZNS1_25segmented_radix_sort_implIS3_Lb1EPKS5_PS5_PKlPlN2at6native12_GLOBAL__N_18offset_tEEE10hipError_tPvRmT1_PNSt15iterator_traitsISL_E10value_typeET2_T3_PNSM_ISR_E10value_typeET4_jRbjT5_SX_jjP12ihipStream_tbEUlT_E1_NS1_11comp_targetILNS1_3genE5ELNS1_11target_archE942ELNS1_3gpuE9ELNS1_3repE0EEENS1_59segmented_radix_sort_warp_sort_small_config_static_selectorELNS0_4arch9wavefront6targetE1EEEvSL_
    .private_segment_fixed_size: 0
    .sgpr_count:     4
    .sgpr_spill_count: 0
    .symbol:         _ZN7rocprim17ROCPRIM_400000_NS6detail17trampoline_kernelINS0_14default_configENS1_36segmented_radix_sort_config_selectorI6__halflEEZNS1_25segmented_radix_sort_implIS3_Lb1EPKS5_PS5_PKlPlN2at6native12_GLOBAL__N_18offset_tEEE10hipError_tPvRmT1_PNSt15iterator_traitsISL_E10value_typeET2_T3_PNSM_ISR_E10value_typeET4_jRbjT5_SX_jjP12ihipStream_tbEUlT_E1_NS1_11comp_targetILNS1_3genE5ELNS1_11target_archE942ELNS1_3gpuE9ELNS1_3repE0EEENS1_59segmented_radix_sort_warp_sort_small_config_static_selectorELNS0_4arch9wavefront6targetE1EEEvSL_.kd
    .uniform_work_group_size: 1
    .uses_dynamic_stack: false
    .vgpr_count:     0
    .vgpr_spill_count: 0
    .wavefront_size: 64
  - .agpr_count:     0
    .args:
      - .offset:         0
        .size:           88
        .value_kind:     by_value
      - .offset:         88
        .size:           4
        .value_kind:     hidden_block_count_x
      - .offset:         92
        .size:           4
        .value_kind:     hidden_block_count_y
      - .offset:         96
        .size:           4
        .value_kind:     hidden_block_count_z
      - .offset:         100
        .size:           2
        .value_kind:     hidden_group_size_x
      - .offset:         102
        .size:           2
        .value_kind:     hidden_group_size_y
      - .offset:         104
        .size:           2
        .value_kind:     hidden_group_size_z
      - .offset:         106
        .size:           2
        .value_kind:     hidden_remainder_x
      - .offset:         108
        .size:           2
        .value_kind:     hidden_remainder_y
      - .offset:         110
        .size:           2
        .value_kind:     hidden_remainder_z
      - .offset:         128
        .size:           8
        .value_kind:     hidden_global_offset_x
      - .offset:         136
        .size:           8
        .value_kind:     hidden_global_offset_y
      - .offset:         144
        .size:           8
        .value_kind:     hidden_global_offset_z
      - .offset:         152
        .size:           2
        .value_kind:     hidden_grid_dims
      - .offset:         168
        .size:           8
        .value_kind:     hidden_hostcall_buffer
      - .offset:         176
        .size:           8
        .value_kind:     hidden_multigrid_sync_arg
      - .offset:         184
        .size:           8
        .value_kind:     hidden_heap_v1
      - .offset:         192
        .size:           8
        .value_kind:     hidden_default_queue
      - .offset:         200
        .size:           8
        .value_kind:     hidden_completion_action
      - .offset:         288
        .size:           8
        .value_kind:     hidden_queue_ptr
    .group_segment_fixed_size: 10240
    .kernarg_segment_align: 8
    .kernarg_segment_size: 344
    .language:       OpenCL C
    .language_version:
      - 2
      - 0
    .max_flat_workgroup_size: 256
    .name:           _ZN7rocprim17ROCPRIM_400000_NS6detail17trampoline_kernelINS0_14default_configENS1_36segmented_radix_sort_config_selectorI6__halflEEZNS1_25segmented_radix_sort_implIS3_Lb1EPKS5_PS5_PKlPlN2at6native12_GLOBAL__N_18offset_tEEE10hipError_tPvRmT1_PNSt15iterator_traitsISL_E10value_typeET2_T3_PNSM_ISR_E10value_typeET4_jRbjT5_SX_jjP12ihipStream_tbEUlT_E1_NS1_11comp_targetILNS1_3genE4ELNS1_11target_archE910ELNS1_3gpuE8ELNS1_3repE0EEENS1_59segmented_radix_sort_warp_sort_small_config_static_selectorELNS0_4arch9wavefront6targetE1EEEvSL_
    .private_segment_fixed_size: 8
    .sgpr_count:     39
    .sgpr_spill_count: 0
    .symbol:         _ZN7rocprim17ROCPRIM_400000_NS6detail17trampoline_kernelINS0_14default_configENS1_36segmented_radix_sort_config_selectorI6__halflEEZNS1_25segmented_radix_sort_implIS3_Lb1EPKS5_PS5_PKlPlN2at6native12_GLOBAL__N_18offset_tEEE10hipError_tPvRmT1_PNSt15iterator_traitsISL_E10value_typeET2_T3_PNSM_ISR_E10value_typeET4_jRbjT5_SX_jjP12ihipStream_tbEUlT_E1_NS1_11comp_targetILNS1_3genE4ELNS1_11target_archE910ELNS1_3gpuE8ELNS1_3repE0EEENS1_59segmented_radix_sort_warp_sort_small_config_static_selectorELNS0_4arch9wavefront6targetE1EEEvSL_.kd
    .uniform_work_group_size: 1
    .uses_dynamic_stack: false
    .vgpr_count:     70
    .vgpr_spill_count: 0
    .wavefront_size: 64
  - .agpr_count:     0
    .args:
      - .offset:         0
        .size:           88
        .value_kind:     by_value
    .group_segment_fixed_size: 0
    .kernarg_segment_align: 8
    .kernarg_segment_size: 88
    .language:       OpenCL C
    .language_version:
      - 2
      - 0
    .max_flat_workgroup_size: 256
    .name:           _ZN7rocprim17ROCPRIM_400000_NS6detail17trampoline_kernelINS0_14default_configENS1_36segmented_radix_sort_config_selectorI6__halflEEZNS1_25segmented_radix_sort_implIS3_Lb1EPKS5_PS5_PKlPlN2at6native12_GLOBAL__N_18offset_tEEE10hipError_tPvRmT1_PNSt15iterator_traitsISL_E10value_typeET2_T3_PNSM_ISR_E10value_typeET4_jRbjT5_SX_jjP12ihipStream_tbEUlT_E1_NS1_11comp_targetILNS1_3genE3ELNS1_11target_archE908ELNS1_3gpuE7ELNS1_3repE0EEENS1_59segmented_radix_sort_warp_sort_small_config_static_selectorELNS0_4arch9wavefront6targetE1EEEvSL_
    .private_segment_fixed_size: 0
    .sgpr_count:     4
    .sgpr_spill_count: 0
    .symbol:         _ZN7rocprim17ROCPRIM_400000_NS6detail17trampoline_kernelINS0_14default_configENS1_36segmented_radix_sort_config_selectorI6__halflEEZNS1_25segmented_radix_sort_implIS3_Lb1EPKS5_PS5_PKlPlN2at6native12_GLOBAL__N_18offset_tEEE10hipError_tPvRmT1_PNSt15iterator_traitsISL_E10value_typeET2_T3_PNSM_ISR_E10value_typeET4_jRbjT5_SX_jjP12ihipStream_tbEUlT_E1_NS1_11comp_targetILNS1_3genE3ELNS1_11target_archE908ELNS1_3gpuE7ELNS1_3repE0EEENS1_59segmented_radix_sort_warp_sort_small_config_static_selectorELNS0_4arch9wavefront6targetE1EEEvSL_.kd
    .uniform_work_group_size: 1
    .uses_dynamic_stack: false
    .vgpr_count:     0
    .vgpr_spill_count: 0
    .wavefront_size: 64
  - .agpr_count:     0
    .args:
      - .offset:         0
        .size:           88
        .value_kind:     by_value
    .group_segment_fixed_size: 0
    .kernarg_segment_align: 8
    .kernarg_segment_size: 88
    .language:       OpenCL C
    .language_version:
      - 2
      - 0
    .max_flat_workgroup_size: 256
    .name:           _ZN7rocprim17ROCPRIM_400000_NS6detail17trampoline_kernelINS0_14default_configENS1_36segmented_radix_sort_config_selectorI6__halflEEZNS1_25segmented_radix_sort_implIS3_Lb1EPKS5_PS5_PKlPlN2at6native12_GLOBAL__N_18offset_tEEE10hipError_tPvRmT1_PNSt15iterator_traitsISL_E10value_typeET2_T3_PNSM_ISR_E10value_typeET4_jRbjT5_SX_jjP12ihipStream_tbEUlT_E1_NS1_11comp_targetILNS1_3genE2ELNS1_11target_archE906ELNS1_3gpuE6ELNS1_3repE0EEENS1_59segmented_radix_sort_warp_sort_small_config_static_selectorELNS0_4arch9wavefront6targetE1EEEvSL_
    .private_segment_fixed_size: 0
    .sgpr_count:     4
    .sgpr_spill_count: 0
    .symbol:         _ZN7rocprim17ROCPRIM_400000_NS6detail17trampoline_kernelINS0_14default_configENS1_36segmented_radix_sort_config_selectorI6__halflEEZNS1_25segmented_radix_sort_implIS3_Lb1EPKS5_PS5_PKlPlN2at6native12_GLOBAL__N_18offset_tEEE10hipError_tPvRmT1_PNSt15iterator_traitsISL_E10value_typeET2_T3_PNSM_ISR_E10value_typeET4_jRbjT5_SX_jjP12ihipStream_tbEUlT_E1_NS1_11comp_targetILNS1_3genE2ELNS1_11target_archE906ELNS1_3gpuE6ELNS1_3repE0EEENS1_59segmented_radix_sort_warp_sort_small_config_static_selectorELNS0_4arch9wavefront6targetE1EEEvSL_.kd
    .uniform_work_group_size: 1
    .uses_dynamic_stack: false
    .vgpr_count:     0
    .vgpr_spill_count: 0
    .wavefront_size: 64
  - .agpr_count:     0
    .args:
      - .offset:         0
        .size:           88
        .value_kind:     by_value
    .group_segment_fixed_size: 0
    .kernarg_segment_align: 8
    .kernarg_segment_size: 88
    .language:       OpenCL C
    .language_version:
      - 2
      - 0
    .max_flat_workgroup_size: 256
    .name:           _ZN7rocprim17ROCPRIM_400000_NS6detail17trampoline_kernelINS0_14default_configENS1_36segmented_radix_sort_config_selectorI6__halflEEZNS1_25segmented_radix_sort_implIS3_Lb1EPKS5_PS5_PKlPlN2at6native12_GLOBAL__N_18offset_tEEE10hipError_tPvRmT1_PNSt15iterator_traitsISL_E10value_typeET2_T3_PNSM_ISR_E10value_typeET4_jRbjT5_SX_jjP12ihipStream_tbEUlT_E1_NS1_11comp_targetILNS1_3genE10ELNS1_11target_archE1201ELNS1_3gpuE5ELNS1_3repE0EEENS1_59segmented_radix_sort_warp_sort_small_config_static_selectorELNS0_4arch9wavefront6targetE1EEEvSL_
    .private_segment_fixed_size: 0
    .sgpr_count:     4
    .sgpr_spill_count: 0
    .symbol:         _ZN7rocprim17ROCPRIM_400000_NS6detail17trampoline_kernelINS0_14default_configENS1_36segmented_radix_sort_config_selectorI6__halflEEZNS1_25segmented_radix_sort_implIS3_Lb1EPKS5_PS5_PKlPlN2at6native12_GLOBAL__N_18offset_tEEE10hipError_tPvRmT1_PNSt15iterator_traitsISL_E10value_typeET2_T3_PNSM_ISR_E10value_typeET4_jRbjT5_SX_jjP12ihipStream_tbEUlT_E1_NS1_11comp_targetILNS1_3genE10ELNS1_11target_archE1201ELNS1_3gpuE5ELNS1_3repE0EEENS1_59segmented_radix_sort_warp_sort_small_config_static_selectorELNS0_4arch9wavefront6targetE1EEEvSL_.kd
    .uniform_work_group_size: 1
    .uses_dynamic_stack: false
    .vgpr_count:     0
    .vgpr_spill_count: 0
    .wavefront_size: 64
  - .agpr_count:     0
    .args:
      - .offset:         0
        .size:           88
        .value_kind:     by_value
    .group_segment_fixed_size: 0
    .kernarg_segment_align: 8
    .kernarg_segment_size: 88
    .language:       OpenCL C
    .language_version:
      - 2
      - 0
    .max_flat_workgroup_size: 256
    .name:           _ZN7rocprim17ROCPRIM_400000_NS6detail17trampoline_kernelINS0_14default_configENS1_36segmented_radix_sort_config_selectorI6__halflEEZNS1_25segmented_radix_sort_implIS3_Lb1EPKS5_PS5_PKlPlN2at6native12_GLOBAL__N_18offset_tEEE10hipError_tPvRmT1_PNSt15iterator_traitsISL_E10value_typeET2_T3_PNSM_ISR_E10value_typeET4_jRbjT5_SX_jjP12ihipStream_tbEUlT_E1_NS1_11comp_targetILNS1_3genE10ELNS1_11target_archE1200ELNS1_3gpuE4ELNS1_3repE0EEENS1_59segmented_radix_sort_warp_sort_small_config_static_selectorELNS0_4arch9wavefront6targetE1EEEvSL_
    .private_segment_fixed_size: 0
    .sgpr_count:     4
    .sgpr_spill_count: 0
    .symbol:         _ZN7rocprim17ROCPRIM_400000_NS6detail17trampoline_kernelINS0_14default_configENS1_36segmented_radix_sort_config_selectorI6__halflEEZNS1_25segmented_radix_sort_implIS3_Lb1EPKS5_PS5_PKlPlN2at6native12_GLOBAL__N_18offset_tEEE10hipError_tPvRmT1_PNSt15iterator_traitsISL_E10value_typeET2_T3_PNSM_ISR_E10value_typeET4_jRbjT5_SX_jjP12ihipStream_tbEUlT_E1_NS1_11comp_targetILNS1_3genE10ELNS1_11target_archE1200ELNS1_3gpuE4ELNS1_3repE0EEENS1_59segmented_radix_sort_warp_sort_small_config_static_selectorELNS0_4arch9wavefront6targetE1EEEvSL_.kd
    .uniform_work_group_size: 1
    .uses_dynamic_stack: false
    .vgpr_count:     0
    .vgpr_spill_count: 0
    .wavefront_size: 64
  - .agpr_count:     0
    .args:
      - .offset:         0
        .size:           88
        .value_kind:     by_value
    .group_segment_fixed_size: 0
    .kernarg_segment_align: 8
    .kernarg_segment_size: 88
    .language:       OpenCL C
    .language_version:
      - 2
      - 0
    .max_flat_workgroup_size: 256
    .name:           _ZN7rocprim17ROCPRIM_400000_NS6detail17trampoline_kernelINS0_14default_configENS1_36segmented_radix_sort_config_selectorI6__halflEEZNS1_25segmented_radix_sort_implIS3_Lb1EPKS5_PS5_PKlPlN2at6native12_GLOBAL__N_18offset_tEEE10hipError_tPvRmT1_PNSt15iterator_traitsISL_E10value_typeET2_T3_PNSM_ISR_E10value_typeET4_jRbjT5_SX_jjP12ihipStream_tbEUlT_E1_NS1_11comp_targetILNS1_3genE9ELNS1_11target_archE1100ELNS1_3gpuE3ELNS1_3repE0EEENS1_59segmented_radix_sort_warp_sort_small_config_static_selectorELNS0_4arch9wavefront6targetE1EEEvSL_
    .private_segment_fixed_size: 0
    .sgpr_count:     4
    .sgpr_spill_count: 0
    .symbol:         _ZN7rocprim17ROCPRIM_400000_NS6detail17trampoline_kernelINS0_14default_configENS1_36segmented_radix_sort_config_selectorI6__halflEEZNS1_25segmented_radix_sort_implIS3_Lb1EPKS5_PS5_PKlPlN2at6native12_GLOBAL__N_18offset_tEEE10hipError_tPvRmT1_PNSt15iterator_traitsISL_E10value_typeET2_T3_PNSM_ISR_E10value_typeET4_jRbjT5_SX_jjP12ihipStream_tbEUlT_E1_NS1_11comp_targetILNS1_3genE9ELNS1_11target_archE1100ELNS1_3gpuE3ELNS1_3repE0EEENS1_59segmented_radix_sort_warp_sort_small_config_static_selectorELNS0_4arch9wavefront6targetE1EEEvSL_.kd
    .uniform_work_group_size: 1
    .uses_dynamic_stack: false
    .vgpr_count:     0
    .vgpr_spill_count: 0
    .wavefront_size: 64
  - .agpr_count:     0
    .args:
      - .offset:         0
        .size:           88
        .value_kind:     by_value
    .group_segment_fixed_size: 0
    .kernarg_segment_align: 8
    .kernarg_segment_size: 88
    .language:       OpenCL C
    .language_version:
      - 2
      - 0
    .max_flat_workgroup_size: 256
    .name:           _ZN7rocprim17ROCPRIM_400000_NS6detail17trampoline_kernelINS0_14default_configENS1_36segmented_radix_sort_config_selectorI6__halflEEZNS1_25segmented_radix_sort_implIS3_Lb1EPKS5_PS5_PKlPlN2at6native12_GLOBAL__N_18offset_tEEE10hipError_tPvRmT1_PNSt15iterator_traitsISL_E10value_typeET2_T3_PNSM_ISR_E10value_typeET4_jRbjT5_SX_jjP12ihipStream_tbEUlT_E1_NS1_11comp_targetILNS1_3genE8ELNS1_11target_archE1030ELNS1_3gpuE2ELNS1_3repE0EEENS1_59segmented_radix_sort_warp_sort_small_config_static_selectorELNS0_4arch9wavefront6targetE1EEEvSL_
    .private_segment_fixed_size: 0
    .sgpr_count:     4
    .sgpr_spill_count: 0
    .symbol:         _ZN7rocprim17ROCPRIM_400000_NS6detail17trampoline_kernelINS0_14default_configENS1_36segmented_radix_sort_config_selectorI6__halflEEZNS1_25segmented_radix_sort_implIS3_Lb1EPKS5_PS5_PKlPlN2at6native12_GLOBAL__N_18offset_tEEE10hipError_tPvRmT1_PNSt15iterator_traitsISL_E10value_typeET2_T3_PNSM_ISR_E10value_typeET4_jRbjT5_SX_jjP12ihipStream_tbEUlT_E1_NS1_11comp_targetILNS1_3genE8ELNS1_11target_archE1030ELNS1_3gpuE2ELNS1_3repE0EEENS1_59segmented_radix_sort_warp_sort_small_config_static_selectorELNS0_4arch9wavefront6targetE1EEEvSL_.kd
    .uniform_work_group_size: 1
    .uses_dynamic_stack: false
    .vgpr_count:     0
    .vgpr_spill_count: 0
    .wavefront_size: 64
  - .agpr_count:     0
    .args:
      - .offset:         0
        .size:           80
        .value_kind:     by_value
    .group_segment_fixed_size: 0
    .kernarg_segment_align: 8
    .kernarg_segment_size: 80
    .language:       OpenCL C
    .language_version:
      - 2
      - 0
    .max_flat_workgroup_size: 256
    .name:           _ZN7rocprim17ROCPRIM_400000_NS6detail17trampoline_kernelINS0_14default_configENS1_36segmented_radix_sort_config_selectorI6__halflEEZNS1_25segmented_radix_sort_implIS3_Lb1EPKS5_PS5_PKlPlN2at6native12_GLOBAL__N_18offset_tEEE10hipError_tPvRmT1_PNSt15iterator_traitsISL_E10value_typeET2_T3_PNSM_ISR_E10value_typeET4_jRbjT5_SX_jjP12ihipStream_tbEUlT_E2_NS1_11comp_targetILNS1_3genE0ELNS1_11target_archE4294967295ELNS1_3gpuE0ELNS1_3repE0EEENS1_30default_config_static_selectorELNS0_4arch9wavefront6targetE1EEEvSL_
    .private_segment_fixed_size: 0
    .sgpr_count:     4
    .sgpr_spill_count: 0
    .symbol:         _ZN7rocprim17ROCPRIM_400000_NS6detail17trampoline_kernelINS0_14default_configENS1_36segmented_radix_sort_config_selectorI6__halflEEZNS1_25segmented_radix_sort_implIS3_Lb1EPKS5_PS5_PKlPlN2at6native12_GLOBAL__N_18offset_tEEE10hipError_tPvRmT1_PNSt15iterator_traitsISL_E10value_typeET2_T3_PNSM_ISR_E10value_typeET4_jRbjT5_SX_jjP12ihipStream_tbEUlT_E2_NS1_11comp_targetILNS1_3genE0ELNS1_11target_archE4294967295ELNS1_3gpuE0ELNS1_3repE0EEENS1_30default_config_static_selectorELNS0_4arch9wavefront6targetE1EEEvSL_.kd
    .uniform_work_group_size: 1
    .uses_dynamic_stack: false
    .vgpr_count:     0
    .vgpr_spill_count: 0
    .wavefront_size: 64
  - .agpr_count:     0
    .args:
      - .offset:         0
        .size:           80
        .value_kind:     by_value
    .group_segment_fixed_size: 0
    .kernarg_segment_align: 8
    .kernarg_segment_size: 80
    .language:       OpenCL C
    .language_version:
      - 2
      - 0
    .max_flat_workgroup_size: 256
    .name:           _ZN7rocprim17ROCPRIM_400000_NS6detail17trampoline_kernelINS0_14default_configENS1_36segmented_radix_sort_config_selectorI6__halflEEZNS1_25segmented_radix_sort_implIS3_Lb1EPKS5_PS5_PKlPlN2at6native12_GLOBAL__N_18offset_tEEE10hipError_tPvRmT1_PNSt15iterator_traitsISL_E10value_typeET2_T3_PNSM_ISR_E10value_typeET4_jRbjT5_SX_jjP12ihipStream_tbEUlT_E2_NS1_11comp_targetILNS1_3genE5ELNS1_11target_archE942ELNS1_3gpuE9ELNS1_3repE0EEENS1_30default_config_static_selectorELNS0_4arch9wavefront6targetE1EEEvSL_
    .private_segment_fixed_size: 0
    .sgpr_count:     4
    .sgpr_spill_count: 0
    .symbol:         _ZN7rocprim17ROCPRIM_400000_NS6detail17trampoline_kernelINS0_14default_configENS1_36segmented_radix_sort_config_selectorI6__halflEEZNS1_25segmented_radix_sort_implIS3_Lb1EPKS5_PS5_PKlPlN2at6native12_GLOBAL__N_18offset_tEEE10hipError_tPvRmT1_PNSt15iterator_traitsISL_E10value_typeET2_T3_PNSM_ISR_E10value_typeET4_jRbjT5_SX_jjP12ihipStream_tbEUlT_E2_NS1_11comp_targetILNS1_3genE5ELNS1_11target_archE942ELNS1_3gpuE9ELNS1_3repE0EEENS1_30default_config_static_selectorELNS0_4arch9wavefront6targetE1EEEvSL_.kd
    .uniform_work_group_size: 1
    .uses_dynamic_stack: false
    .vgpr_count:     0
    .vgpr_spill_count: 0
    .wavefront_size: 64
  - .agpr_count:     0
    .args:
      - .offset:         0
        .size:           80
        .value_kind:     by_value
      - .offset:         80
        .size:           4
        .value_kind:     hidden_block_count_x
      - .offset:         84
        .size:           4
        .value_kind:     hidden_block_count_y
      - .offset:         88
        .size:           4
        .value_kind:     hidden_block_count_z
      - .offset:         92
        .size:           2
        .value_kind:     hidden_group_size_x
      - .offset:         94
        .size:           2
        .value_kind:     hidden_group_size_y
      - .offset:         96
        .size:           2
        .value_kind:     hidden_group_size_z
      - .offset:         98
        .size:           2
        .value_kind:     hidden_remainder_x
      - .offset:         100
        .size:           2
        .value_kind:     hidden_remainder_y
      - .offset:         102
        .size:           2
        .value_kind:     hidden_remainder_z
      - .offset:         120
        .size:           8
        .value_kind:     hidden_global_offset_x
      - .offset:         128
        .size:           8
        .value_kind:     hidden_global_offset_y
      - .offset:         136
        .size:           8
        .value_kind:     hidden_global_offset_z
      - .offset:         144
        .size:           2
        .value_kind:     hidden_grid_dims
      - .offset:         160
        .size:           8
        .value_kind:     hidden_hostcall_buffer
      - .offset:         168
        .size:           8
        .value_kind:     hidden_multigrid_sync_arg
      - .offset:         176
        .size:           8
        .value_kind:     hidden_heap_v1
      - .offset:         184
        .size:           8
        .value_kind:     hidden_default_queue
      - .offset:         192
        .size:           8
        .value_kind:     hidden_completion_action
      - .offset:         280
        .size:           8
        .value_kind:     hidden_queue_ptr
    .group_segment_fixed_size: 17424
    .kernarg_segment_align: 8
    .kernarg_segment_size: 336
    .language:       OpenCL C
    .language_version:
      - 2
      - 0
    .max_flat_workgroup_size: 256
    .name:           _ZN7rocprim17ROCPRIM_400000_NS6detail17trampoline_kernelINS0_14default_configENS1_36segmented_radix_sort_config_selectorI6__halflEEZNS1_25segmented_radix_sort_implIS3_Lb1EPKS5_PS5_PKlPlN2at6native12_GLOBAL__N_18offset_tEEE10hipError_tPvRmT1_PNSt15iterator_traitsISL_E10value_typeET2_T3_PNSM_ISR_E10value_typeET4_jRbjT5_SX_jjP12ihipStream_tbEUlT_E2_NS1_11comp_targetILNS1_3genE4ELNS1_11target_archE910ELNS1_3gpuE8ELNS1_3repE0EEENS1_30default_config_static_selectorELNS0_4arch9wavefront6targetE1EEEvSL_
    .private_segment_fixed_size: 8
    .sgpr_count:     87
    .sgpr_spill_count: 0
    .symbol:         _ZN7rocprim17ROCPRIM_400000_NS6detail17trampoline_kernelINS0_14default_configENS1_36segmented_radix_sort_config_selectorI6__halflEEZNS1_25segmented_radix_sort_implIS3_Lb1EPKS5_PS5_PKlPlN2at6native12_GLOBAL__N_18offset_tEEE10hipError_tPvRmT1_PNSt15iterator_traitsISL_E10value_typeET2_T3_PNSM_ISR_E10value_typeET4_jRbjT5_SX_jjP12ihipStream_tbEUlT_E2_NS1_11comp_targetILNS1_3genE4ELNS1_11target_archE910ELNS1_3gpuE8ELNS1_3repE0EEENS1_30default_config_static_selectorELNS0_4arch9wavefront6targetE1EEEvSL_.kd
    .uniform_work_group_size: 1
    .uses_dynamic_stack: false
    .vgpr_count:     178
    .vgpr_spill_count: 0
    .wavefront_size: 64
  - .agpr_count:     0
    .args:
      - .offset:         0
        .size:           80
        .value_kind:     by_value
    .group_segment_fixed_size: 0
    .kernarg_segment_align: 8
    .kernarg_segment_size: 80
    .language:       OpenCL C
    .language_version:
      - 2
      - 0
    .max_flat_workgroup_size: 256
    .name:           _ZN7rocprim17ROCPRIM_400000_NS6detail17trampoline_kernelINS0_14default_configENS1_36segmented_radix_sort_config_selectorI6__halflEEZNS1_25segmented_radix_sort_implIS3_Lb1EPKS5_PS5_PKlPlN2at6native12_GLOBAL__N_18offset_tEEE10hipError_tPvRmT1_PNSt15iterator_traitsISL_E10value_typeET2_T3_PNSM_ISR_E10value_typeET4_jRbjT5_SX_jjP12ihipStream_tbEUlT_E2_NS1_11comp_targetILNS1_3genE3ELNS1_11target_archE908ELNS1_3gpuE7ELNS1_3repE0EEENS1_30default_config_static_selectorELNS0_4arch9wavefront6targetE1EEEvSL_
    .private_segment_fixed_size: 0
    .sgpr_count:     4
    .sgpr_spill_count: 0
    .symbol:         _ZN7rocprim17ROCPRIM_400000_NS6detail17trampoline_kernelINS0_14default_configENS1_36segmented_radix_sort_config_selectorI6__halflEEZNS1_25segmented_radix_sort_implIS3_Lb1EPKS5_PS5_PKlPlN2at6native12_GLOBAL__N_18offset_tEEE10hipError_tPvRmT1_PNSt15iterator_traitsISL_E10value_typeET2_T3_PNSM_ISR_E10value_typeET4_jRbjT5_SX_jjP12ihipStream_tbEUlT_E2_NS1_11comp_targetILNS1_3genE3ELNS1_11target_archE908ELNS1_3gpuE7ELNS1_3repE0EEENS1_30default_config_static_selectorELNS0_4arch9wavefront6targetE1EEEvSL_.kd
    .uniform_work_group_size: 1
    .uses_dynamic_stack: false
    .vgpr_count:     0
    .vgpr_spill_count: 0
    .wavefront_size: 64
  - .agpr_count:     0
    .args:
      - .offset:         0
        .size:           80
        .value_kind:     by_value
    .group_segment_fixed_size: 0
    .kernarg_segment_align: 8
    .kernarg_segment_size: 80
    .language:       OpenCL C
    .language_version:
      - 2
      - 0
    .max_flat_workgroup_size: 256
    .name:           _ZN7rocprim17ROCPRIM_400000_NS6detail17trampoline_kernelINS0_14default_configENS1_36segmented_radix_sort_config_selectorI6__halflEEZNS1_25segmented_radix_sort_implIS3_Lb1EPKS5_PS5_PKlPlN2at6native12_GLOBAL__N_18offset_tEEE10hipError_tPvRmT1_PNSt15iterator_traitsISL_E10value_typeET2_T3_PNSM_ISR_E10value_typeET4_jRbjT5_SX_jjP12ihipStream_tbEUlT_E2_NS1_11comp_targetILNS1_3genE2ELNS1_11target_archE906ELNS1_3gpuE6ELNS1_3repE0EEENS1_30default_config_static_selectorELNS0_4arch9wavefront6targetE1EEEvSL_
    .private_segment_fixed_size: 0
    .sgpr_count:     4
    .sgpr_spill_count: 0
    .symbol:         _ZN7rocprim17ROCPRIM_400000_NS6detail17trampoline_kernelINS0_14default_configENS1_36segmented_radix_sort_config_selectorI6__halflEEZNS1_25segmented_radix_sort_implIS3_Lb1EPKS5_PS5_PKlPlN2at6native12_GLOBAL__N_18offset_tEEE10hipError_tPvRmT1_PNSt15iterator_traitsISL_E10value_typeET2_T3_PNSM_ISR_E10value_typeET4_jRbjT5_SX_jjP12ihipStream_tbEUlT_E2_NS1_11comp_targetILNS1_3genE2ELNS1_11target_archE906ELNS1_3gpuE6ELNS1_3repE0EEENS1_30default_config_static_selectorELNS0_4arch9wavefront6targetE1EEEvSL_.kd
    .uniform_work_group_size: 1
    .uses_dynamic_stack: false
    .vgpr_count:     0
    .vgpr_spill_count: 0
    .wavefront_size: 64
  - .agpr_count:     0
    .args:
      - .offset:         0
        .size:           80
        .value_kind:     by_value
    .group_segment_fixed_size: 0
    .kernarg_segment_align: 8
    .kernarg_segment_size: 80
    .language:       OpenCL C
    .language_version:
      - 2
      - 0
    .max_flat_workgroup_size: 256
    .name:           _ZN7rocprim17ROCPRIM_400000_NS6detail17trampoline_kernelINS0_14default_configENS1_36segmented_radix_sort_config_selectorI6__halflEEZNS1_25segmented_radix_sort_implIS3_Lb1EPKS5_PS5_PKlPlN2at6native12_GLOBAL__N_18offset_tEEE10hipError_tPvRmT1_PNSt15iterator_traitsISL_E10value_typeET2_T3_PNSM_ISR_E10value_typeET4_jRbjT5_SX_jjP12ihipStream_tbEUlT_E2_NS1_11comp_targetILNS1_3genE10ELNS1_11target_archE1201ELNS1_3gpuE5ELNS1_3repE0EEENS1_30default_config_static_selectorELNS0_4arch9wavefront6targetE1EEEvSL_
    .private_segment_fixed_size: 0
    .sgpr_count:     4
    .sgpr_spill_count: 0
    .symbol:         _ZN7rocprim17ROCPRIM_400000_NS6detail17trampoline_kernelINS0_14default_configENS1_36segmented_radix_sort_config_selectorI6__halflEEZNS1_25segmented_radix_sort_implIS3_Lb1EPKS5_PS5_PKlPlN2at6native12_GLOBAL__N_18offset_tEEE10hipError_tPvRmT1_PNSt15iterator_traitsISL_E10value_typeET2_T3_PNSM_ISR_E10value_typeET4_jRbjT5_SX_jjP12ihipStream_tbEUlT_E2_NS1_11comp_targetILNS1_3genE10ELNS1_11target_archE1201ELNS1_3gpuE5ELNS1_3repE0EEENS1_30default_config_static_selectorELNS0_4arch9wavefront6targetE1EEEvSL_.kd
    .uniform_work_group_size: 1
    .uses_dynamic_stack: false
    .vgpr_count:     0
    .vgpr_spill_count: 0
    .wavefront_size: 64
  - .agpr_count:     0
    .args:
      - .offset:         0
        .size:           80
        .value_kind:     by_value
    .group_segment_fixed_size: 0
    .kernarg_segment_align: 8
    .kernarg_segment_size: 80
    .language:       OpenCL C
    .language_version:
      - 2
      - 0
    .max_flat_workgroup_size: 128
    .name:           _ZN7rocprim17ROCPRIM_400000_NS6detail17trampoline_kernelINS0_14default_configENS1_36segmented_radix_sort_config_selectorI6__halflEEZNS1_25segmented_radix_sort_implIS3_Lb1EPKS5_PS5_PKlPlN2at6native12_GLOBAL__N_18offset_tEEE10hipError_tPvRmT1_PNSt15iterator_traitsISL_E10value_typeET2_T3_PNSM_ISR_E10value_typeET4_jRbjT5_SX_jjP12ihipStream_tbEUlT_E2_NS1_11comp_targetILNS1_3genE10ELNS1_11target_archE1200ELNS1_3gpuE4ELNS1_3repE0EEENS1_30default_config_static_selectorELNS0_4arch9wavefront6targetE1EEEvSL_
    .private_segment_fixed_size: 0
    .sgpr_count:     4
    .sgpr_spill_count: 0
    .symbol:         _ZN7rocprim17ROCPRIM_400000_NS6detail17trampoline_kernelINS0_14default_configENS1_36segmented_radix_sort_config_selectorI6__halflEEZNS1_25segmented_radix_sort_implIS3_Lb1EPKS5_PS5_PKlPlN2at6native12_GLOBAL__N_18offset_tEEE10hipError_tPvRmT1_PNSt15iterator_traitsISL_E10value_typeET2_T3_PNSM_ISR_E10value_typeET4_jRbjT5_SX_jjP12ihipStream_tbEUlT_E2_NS1_11comp_targetILNS1_3genE10ELNS1_11target_archE1200ELNS1_3gpuE4ELNS1_3repE0EEENS1_30default_config_static_selectorELNS0_4arch9wavefront6targetE1EEEvSL_.kd
    .uniform_work_group_size: 1
    .uses_dynamic_stack: false
    .vgpr_count:     0
    .vgpr_spill_count: 0
    .wavefront_size: 64
  - .agpr_count:     0
    .args:
      - .offset:         0
        .size:           80
        .value_kind:     by_value
    .group_segment_fixed_size: 0
    .kernarg_segment_align: 8
    .kernarg_segment_size: 80
    .language:       OpenCL C
    .language_version:
      - 2
      - 0
    .max_flat_workgroup_size: 256
    .name:           _ZN7rocprim17ROCPRIM_400000_NS6detail17trampoline_kernelINS0_14default_configENS1_36segmented_radix_sort_config_selectorI6__halflEEZNS1_25segmented_radix_sort_implIS3_Lb1EPKS5_PS5_PKlPlN2at6native12_GLOBAL__N_18offset_tEEE10hipError_tPvRmT1_PNSt15iterator_traitsISL_E10value_typeET2_T3_PNSM_ISR_E10value_typeET4_jRbjT5_SX_jjP12ihipStream_tbEUlT_E2_NS1_11comp_targetILNS1_3genE9ELNS1_11target_archE1100ELNS1_3gpuE3ELNS1_3repE0EEENS1_30default_config_static_selectorELNS0_4arch9wavefront6targetE1EEEvSL_
    .private_segment_fixed_size: 0
    .sgpr_count:     4
    .sgpr_spill_count: 0
    .symbol:         _ZN7rocprim17ROCPRIM_400000_NS6detail17trampoline_kernelINS0_14default_configENS1_36segmented_radix_sort_config_selectorI6__halflEEZNS1_25segmented_radix_sort_implIS3_Lb1EPKS5_PS5_PKlPlN2at6native12_GLOBAL__N_18offset_tEEE10hipError_tPvRmT1_PNSt15iterator_traitsISL_E10value_typeET2_T3_PNSM_ISR_E10value_typeET4_jRbjT5_SX_jjP12ihipStream_tbEUlT_E2_NS1_11comp_targetILNS1_3genE9ELNS1_11target_archE1100ELNS1_3gpuE3ELNS1_3repE0EEENS1_30default_config_static_selectorELNS0_4arch9wavefront6targetE1EEEvSL_.kd
    .uniform_work_group_size: 1
    .uses_dynamic_stack: false
    .vgpr_count:     0
    .vgpr_spill_count: 0
    .wavefront_size: 64
  - .agpr_count:     0
    .args:
      - .offset:         0
        .size:           80
        .value_kind:     by_value
    .group_segment_fixed_size: 0
    .kernarg_segment_align: 8
    .kernarg_segment_size: 80
    .language:       OpenCL C
    .language_version:
      - 2
      - 0
    .max_flat_workgroup_size: 256
    .name:           _ZN7rocprim17ROCPRIM_400000_NS6detail17trampoline_kernelINS0_14default_configENS1_36segmented_radix_sort_config_selectorI6__halflEEZNS1_25segmented_radix_sort_implIS3_Lb1EPKS5_PS5_PKlPlN2at6native12_GLOBAL__N_18offset_tEEE10hipError_tPvRmT1_PNSt15iterator_traitsISL_E10value_typeET2_T3_PNSM_ISR_E10value_typeET4_jRbjT5_SX_jjP12ihipStream_tbEUlT_E2_NS1_11comp_targetILNS1_3genE8ELNS1_11target_archE1030ELNS1_3gpuE2ELNS1_3repE0EEENS1_30default_config_static_selectorELNS0_4arch9wavefront6targetE1EEEvSL_
    .private_segment_fixed_size: 0
    .sgpr_count:     4
    .sgpr_spill_count: 0
    .symbol:         _ZN7rocprim17ROCPRIM_400000_NS6detail17trampoline_kernelINS0_14default_configENS1_36segmented_radix_sort_config_selectorI6__halflEEZNS1_25segmented_radix_sort_implIS3_Lb1EPKS5_PS5_PKlPlN2at6native12_GLOBAL__N_18offset_tEEE10hipError_tPvRmT1_PNSt15iterator_traitsISL_E10value_typeET2_T3_PNSM_ISR_E10value_typeET4_jRbjT5_SX_jjP12ihipStream_tbEUlT_E2_NS1_11comp_targetILNS1_3genE8ELNS1_11target_archE1030ELNS1_3gpuE2ELNS1_3repE0EEENS1_30default_config_static_selectorELNS0_4arch9wavefront6targetE1EEEvSL_.kd
    .uniform_work_group_size: 1
    .uses_dynamic_stack: false
    .vgpr_count:     0
    .vgpr_spill_count: 0
    .wavefront_size: 64
  - .agpr_count:     0
    .args:
      - .offset:         0
        .size:           176
        .value_kind:     by_value
    .group_segment_fixed_size: 0
    .kernarg_segment_align: 8
    .kernarg_segment_size: 176
    .language:       OpenCL C
    .language_version:
      - 2
      - 0
    .max_flat_workgroup_size: 256
    .name:           _ZN7rocprim17ROCPRIM_400000_NS6detail17trampoline_kernelINS0_13select_configILj256ELj13ELNS0_17block_load_methodE3ELS4_3ELS4_3ELNS0_20block_scan_algorithmE0ELj4294967295EEENS1_25partition_config_selectorILNS1_17partition_subalgoE4EjNS0_10empty_typeEbEEZZNS1_14partition_implILS8_4ELb0ES6_15HIP_vector_typeIjLj2EENS0_17counting_iteratorIjlEEPS9_SG_NS0_5tupleIJPjSI_NS0_16reverse_iteratorISI_EEEEENSH_IJSG_SG_SG_EEES9_SI_JZNS1_25segmented_radix_sort_implINS0_14default_configELb0EPK6__halfPSP_PKlPlN2at6native12_GLOBAL__N_18offset_tEEE10hipError_tPvRmT1_PNSt15iterator_traitsIS13_E10value_typeET2_T3_PNS14_IS19_E10value_typeET4_jRbjT5_S1F_jjP12ihipStream_tbEUljE_ZNSN_ISO_Lb0ESR_SS_SU_SV_SZ_EES10_S11_S12_S13_S17_S18_S19_S1C_S1D_jS1E_jS1F_S1F_jjS1H_bEUljE0_EEES10_S11_S12_S19_S1D_S1F_T6_T7_T9_mT8_S1H_bDpT10_ENKUlT_T0_E_clISt17integral_constantIbLb0EES1V_EEDaS1Q_S1R_EUlS1Q_E_NS1_11comp_targetILNS1_3genE0ELNS1_11target_archE4294967295ELNS1_3gpuE0ELNS1_3repE0EEENS1_30default_config_static_selectorELNS0_4arch9wavefront6targetE1EEEvS13_
    .private_segment_fixed_size: 0
    .sgpr_count:     4
    .sgpr_spill_count: 0
    .symbol:         _ZN7rocprim17ROCPRIM_400000_NS6detail17trampoline_kernelINS0_13select_configILj256ELj13ELNS0_17block_load_methodE3ELS4_3ELS4_3ELNS0_20block_scan_algorithmE0ELj4294967295EEENS1_25partition_config_selectorILNS1_17partition_subalgoE4EjNS0_10empty_typeEbEEZZNS1_14partition_implILS8_4ELb0ES6_15HIP_vector_typeIjLj2EENS0_17counting_iteratorIjlEEPS9_SG_NS0_5tupleIJPjSI_NS0_16reverse_iteratorISI_EEEEENSH_IJSG_SG_SG_EEES9_SI_JZNS1_25segmented_radix_sort_implINS0_14default_configELb0EPK6__halfPSP_PKlPlN2at6native12_GLOBAL__N_18offset_tEEE10hipError_tPvRmT1_PNSt15iterator_traitsIS13_E10value_typeET2_T3_PNS14_IS19_E10value_typeET4_jRbjT5_S1F_jjP12ihipStream_tbEUljE_ZNSN_ISO_Lb0ESR_SS_SU_SV_SZ_EES10_S11_S12_S13_S17_S18_S19_S1C_S1D_jS1E_jS1F_S1F_jjS1H_bEUljE0_EEES10_S11_S12_S19_S1D_S1F_T6_T7_T9_mT8_S1H_bDpT10_ENKUlT_T0_E_clISt17integral_constantIbLb0EES1V_EEDaS1Q_S1R_EUlS1Q_E_NS1_11comp_targetILNS1_3genE0ELNS1_11target_archE4294967295ELNS1_3gpuE0ELNS1_3repE0EEENS1_30default_config_static_selectorELNS0_4arch9wavefront6targetE1EEEvS13_.kd
    .uniform_work_group_size: 1
    .uses_dynamic_stack: false
    .vgpr_count:     0
    .vgpr_spill_count: 0
    .wavefront_size: 64
  - .agpr_count:     0
    .args:
      - .offset:         0
        .size:           176
        .value_kind:     by_value
    .group_segment_fixed_size: 0
    .kernarg_segment_align: 8
    .kernarg_segment_size: 176
    .language:       OpenCL C
    .language_version:
      - 2
      - 0
    .max_flat_workgroup_size: 256
    .name:           _ZN7rocprim17ROCPRIM_400000_NS6detail17trampoline_kernelINS0_13select_configILj256ELj13ELNS0_17block_load_methodE3ELS4_3ELS4_3ELNS0_20block_scan_algorithmE0ELj4294967295EEENS1_25partition_config_selectorILNS1_17partition_subalgoE4EjNS0_10empty_typeEbEEZZNS1_14partition_implILS8_4ELb0ES6_15HIP_vector_typeIjLj2EENS0_17counting_iteratorIjlEEPS9_SG_NS0_5tupleIJPjSI_NS0_16reverse_iteratorISI_EEEEENSH_IJSG_SG_SG_EEES9_SI_JZNS1_25segmented_radix_sort_implINS0_14default_configELb0EPK6__halfPSP_PKlPlN2at6native12_GLOBAL__N_18offset_tEEE10hipError_tPvRmT1_PNSt15iterator_traitsIS13_E10value_typeET2_T3_PNS14_IS19_E10value_typeET4_jRbjT5_S1F_jjP12ihipStream_tbEUljE_ZNSN_ISO_Lb0ESR_SS_SU_SV_SZ_EES10_S11_S12_S13_S17_S18_S19_S1C_S1D_jS1E_jS1F_S1F_jjS1H_bEUljE0_EEES10_S11_S12_S19_S1D_S1F_T6_T7_T9_mT8_S1H_bDpT10_ENKUlT_T0_E_clISt17integral_constantIbLb0EES1V_EEDaS1Q_S1R_EUlS1Q_E_NS1_11comp_targetILNS1_3genE5ELNS1_11target_archE942ELNS1_3gpuE9ELNS1_3repE0EEENS1_30default_config_static_selectorELNS0_4arch9wavefront6targetE1EEEvS13_
    .private_segment_fixed_size: 0
    .sgpr_count:     4
    .sgpr_spill_count: 0
    .symbol:         _ZN7rocprim17ROCPRIM_400000_NS6detail17trampoline_kernelINS0_13select_configILj256ELj13ELNS0_17block_load_methodE3ELS4_3ELS4_3ELNS0_20block_scan_algorithmE0ELj4294967295EEENS1_25partition_config_selectorILNS1_17partition_subalgoE4EjNS0_10empty_typeEbEEZZNS1_14partition_implILS8_4ELb0ES6_15HIP_vector_typeIjLj2EENS0_17counting_iteratorIjlEEPS9_SG_NS0_5tupleIJPjSI_NS0_16reverse_iteratorISI_EEEEENSH_IJSG_SG_SG_EEES9_SI_JZNS1_25segmented_radix_sort_implINS0_14default_configELb0EPK6__halfPSP_PKlPlN2at6native12_GLOBAL__N_18offset_tEEE10hipError_tPvRmT1_PNSt15iterator_traitsIS13_E10value_typeET2_T3_PNS14_IS19_E10value_typeET4_jRbjT5_S1F_jjP12ihipStream_tbEUljE_ZNSN_ISO_Lb0ESR_SS_SU_SV_SZ_EES10_S11_S12_S13_S17_S18_S19_S1C_S1D_jS1E_jS1F_S1F_jjS1H_bEUljE0_EEES10_S11_S12_S19_S1D_S1F_T6_T7_T9_mT8_S1H_bDpT10_ENKUlT_T0_E_clISt17integral_constantIbLb0EES1V_EEDaS1Q_S1R_EUlS1Q_E_NS1_11comp_targetILNS1_3genE5ELNS1_11target_archE942ELNS1_3gpuE9ELNS1_3repE0EEENS1_30default_config_static_selectorELNS0_4arch9wavefront6targetE1EEEvS13_.kd
    .uniform_work_group_size: 1
    .uses_dynamic_stack: false
    .vgpr_count:     0
    .vgpr_spill_count: 0
    .wavefront_size: 64
  - .agpr_count:     0
    .args:
      - .offset:         0
        .size:           176
        .value_kind:     by_value
    .group_segment_fixed_size: 13340
    .kernarg_segment_align: 8
    .kernarg_segment_size: 176
    .language:       OpenCL C
    .language_version:
      - 2
      - 0
    .max_flat_workgroup_size: 256
    .name:           _ZN7rocprim17ROCPRIM_400000_NS6detail17trampoline_kernelINS0_13select_configILj256ELj13ELNS0_17block_load_methodE3ELS4_3ELS4_3ELNS0_20block_scan_algorithmE0ELj4294967295EEENS1_25partition_config_selectorILNS1_17partition_subalgoE4EjNS0_10empty_typeEbEEZZNS1_14partition_implILS8_4ELb0ES6_15HIP_vector_typeIjLj2EENS0_17counting_iteratorIjlEEPS9_SG_NS0_5tupleIJPjSI_NS0_16reverse_iteratorISI_EEEEENSH_IJSG_SG_SG_EEES9_SI_JZNS1_25segmented_radix_sort_implINS0_14default_configELb0EPK6__halfPSP_PKlPlN2at6native12_GLOBAL__N_18offset_tEEE10hipError_tPvRmT1_PNSt15iterator_traitsIS13_E10value_typeET2_T3_PNS14_IS19_E10value_typeET4_jRbjT5_S1F_jjP12ihipStream_tbEUljE_ZNSN_ISO_Lb0ESR_SS_SU_SV_SZ_EES10_S11_S12_S13_S17_S18_S19_S1C_S1D_jS1E_jS1F_S1F_jjS1H_bEUljE0_EEES10_S11_S12_S19_S1D_S1F_T6_T7_T9_mT8_S1H_bDpT10_ENKUlT_T0_E_clISt17integral_constantIbLb0EES1V_EEDaS1Q_S1R_EUlS1Q_E_NS1_11comp_targetILNS1_3genE4ELNS1_11target_archE910ELNS1_3gpuE8ELNS1_3repE0EEENS1_30default_config_static_selectorELNS0_4arch9wavefront6targetE1EEEvS13_
    .private_segment_fixed_size: 0
    .sgpr_count:     94
    .sgpr_spill_count: 0
    .symbol:         _ZN7rocprim17ROCPRIM_400000_NS6detail17trampoline_kernelINS0_13select_configILj256ELj13ELNS0_17block_load_methodE3ELS4_3ELS4_3ELNS0_20block_scan_algorithmE0ELj4294967295EEENS1_25partition_config_selectorILNS1_17partition_subalgoE4EjNS0_10empty_typeEbEEZZNS1_14partition_implILS8_4ELb0ES6_15HIP_vector_typeIjLj2EENS0_17counting_iteratorIjlEEPS9_SG_NS0_5tupleIJPjSI_NS0_16reverse_iteratorISI_EEEEENSH_IJSG_SG_SG_EEES9_SI_JZNS1_25segmented_radix_sort_implINS0_14default_configELb0EPK6__halfPSP_PKlPlN2at6native12_GLOBAL__N_18offset_tEEE10hipError_tPvRmT1_PNSt15iterator_traitsIS13_E10value_typeET2_T3_PNS14_IS19_E10value_typeET4_jRbjT5_S1F_jjP12ihipStream_tbEUljE_ZNSN_ISO_Lb0ESR_SS_SU_SV_SZ_EES10_S11_S12_S13_S17_S18_S19_S1C_S1D_jS1E_jS1F_S1F_jjS1H_bEUljE0_EEES10_S11_S12_S19_S1D_S1F_T6_T7_T9_mT8_S1H_bDpT10_ENKUlT_T0_E_clISt17integral_constantIbLb0EES1V_EEDaS1Q_S1R_EUlS1Q_E_NS1_11comp_targetILNS1_3genE4ELNS1_11target_archE910ELNS1_3gpuE8ELNS1_3repE0EEENS1_30default_config_static_selectorELNS0_4arch9wavefront6targetE1EEEvS13_.kd
    .uniform_work_group_size: 1
    .uses_dynamic_stack: false
    .vgpr_count:     102
    .vgpr_spill_count: 0
    .wavefront_size: 64
  - .agpr_count:     0
    .args:
      - .offset:         0
        .size:           176
        .value_kind:     by_value
    .group_segment_fixed_size: 0
    .kernarg_segment_align: 8
    .kernarg_segment_size: 176
    .language:       OpenCL C
    .language_version:
      - 2
      - 0
    .max_flat_workgroup_size: 256
    .name:           _ZN7rocprim17ROCPRIM_400000_NS6detail17trampoline_kernelINS0_13select_configILj256ELj13ELNS0_17block_load_methodE3ELS4_3ELS4_3ELNS0_20block_scan_algorithmE0ELj4294967295EEENS1_25partition_config_selectorILNS1_17partition_subalgoE4EjNS0_10empty_typeEbEEZZNS1_14partition_implILS8_4ELb0ES6_15HIP_vector_typeIjLj2EENS0_17counting_iteratorIjlEEPS9_SG_NS0_5tupleIJPjSI_NS0_16reverse_iteratorISI_EEEEENSH_IJSG_SG_SG_EEES9_SI_JZNS1_25segmented_radix_sort_implINS0_14default_configELb0EPK6__halfPSP_PKlPlN2at6native12_GLOBAL__N_18offset_tEEE10hipError_tPvRmT1_PNSt15iterator_traitsIS13_E10value_typeET2_T3_PNS14_IS19_E10value_typeET4_jRbjT5_S1F_jjP12ihipStream_tbEUljE_ZNSN_ISO_Lb0ESR_SS_SU_SV_SZ_EES10_S11_S12_S13_S17_S18_S19_S1C_S1D_jS1E_jS1F_S1F_jjS1H_bEUljE0_EEES10_S11_S12_S19_S1D_S1F_T6_T7_T9_mT8_S1H_bDpT10_ENKUlT_T0_E_clISt17integral_constantIbLb0EES1V_EEDaS1Q_S1R_EUlS1Q_E_NS1_11comp_targetILNS1_3genE3ELNS1_11target_archE908ELNS1_3gpuE7ELNS1_3repE0EEENS1_30default_config_static_selectorELNS0_4arch9wavefront6targetE1EEEvS13_
    .private_segment_fixed_size: 0
    .sgpr_count:     4
    .sgpr_spill_count: 0
    .symbol:         _ZN7rocprim17ROCPRIM_400000_NS6detail17trampoline_kernelINS0_13select_configILj256ELj13ELNS0_17block_load_methodE3ELS4_3ELS4_3ELNS0_20block_scan_algorithmE0ELj4294967295EEENS1_25partition_config_selectorILNS1_17partition_subalgoE4EjNS0_10empty_typeEbEEZZNS1_14partition_implILS8_4ELb0ES6_15HIP_vector_typeIjLj2EENS0_17counting_iteratorIjlEEPS9_SG_NS0_5tupleIJPjSI_NS0_16reverse_iteratorISI_EEEEENSH_IJSG_SG_SG_EEES9_SI_JZNS1_25segmented_radix_sort_implINS0_14default_configELb0EPK6__halfPSP_PKlPlN2at6native12_GLOBAL__N_18offset_tEEE10hipError_tPvRmT1_PNSt15iterator_traitsIS13_E10value_typeET2_T3_PNS14_IS19_E10value_typeET4_jRbjT5_S1F_jjP12ihipStream_tbEUljE_ZNSN_ISO_Lb0ESR_SS_SU_SV_SZ_EES10_S11_S12_S13_S17_S18_S19_S1C_S1D_jS1E_jS1F_S1F_jjS1H_bEUljE0_EEES10_S11_S12_S19_S1D_S1F_T6_T7_T9_mT8_S1H_bDpT10_ENKUlT_T0_E_clISt17integral_constantIbLb0EES1V_EEDaS1Q_S1R_EUlS1Q_E_NS1_11comp_targetILNS1_3genE3ELNS1_11target_archE908ELNS1_3gpuE7ELNS1_3repE0EEENS1_30default_config_static_selectorELNS0_4arch9wavefront6targetE1EEEvS13_.kd
    .uniform_work_group_size: 1
    .uses_dynamic_stack: false
    .vgpr_count:     0
    .vgpr_spill_count: 0
    .wavefront_size: 64
  - .agpr_count:     0
    .args:
      - .offset:         0
        .size:           176
        .value_kind:     by_value
    .group_segment_fixed_size: 0
    .kernarg_segment_align: 8
    .kernarg_segment_size: 176
    .language:       OpenCL C
    .language_version:
      - 2
      - 0
    .max_flat_workgroup_size: 256
    .name:           _ZN7rocprim17ROCPRIM_400000_NS6detail17trampoline_kernelINS0_13select_configILj256ELj13ELNS0_17block_load_methodE3ELS4_3ELS4_3ELNS0_20block_scan_algorithmE0ELj4294967295EEENS1_25partition_config_selectorILNS1_17partition_subalgoE4EjNS0_10empty_typeEbEEZZNS1_14partition_implILS8_4ELb0ES6_15HIP_vector_typeIjLj2EENS0_17counting_iteratorIjlEEPS9_SG_NS0_5tupleIJPjSI_NS0_16reverse_iteratorISI_EEEEENSH_IJSG_SG_SG_EEES9_SI_JZNS1_25segmented_radix_sort_implINS0_14default_configELb0EPK6__halfPSP_PKlPlN2at6native12_GLOBAL__N_18offset_tEEE10hipError_tPvRmT1_PNSt15iterator_traitsIS13_E10value_typeET2_T3_PNS14_IS19_E10value_typeET4_jRbjT5_S1F_jjP12ihipStream_tbEUljE_ZNSN_ISO_Lb0ESR_SS_SU_SV_SZ_EES10_S11_S12_S13_S17_S18_S19_S1C_S1D_jS1E_jS1F_S1F_jjS1H_bEUljE0_EEES10_S11_S12_S19_S1D_S1F_T6_T7_T9_mT8_S1H_bDpT10_ENKUlT_T0_E_clISt17integral_constantIbLb0EES1V_EEDaS1Q_S1R_EUlS1Q_E_NS1_11comp_targetILNS1_3genE2ELNS1_11target_archE906ELNS1_3gpuE6ELNS1_3repE0EEENS1_30default_config_static_selectorELNS0_4arch9wavefront6targetE1EEEvS13_
    .private_segment_fixed_size: 0
    .sgpr_count:     4
    .sgpr_spill_count: 0
    .symbol:         _ZN7rocprim17ROCPRIM_400000_NS6detail17trampoline_kernelINS0_13select_configILj256ELj13ELNS0_17block_load_methodE3ELS4_3ELS4_3ELNS0_20block_scan_algorithmE0ELj4294967295EEENS1_25partition_config_selectorILNS1_17partition_subalgoE4EjNS0_10empty_typeEbEEZZNS1_14partition_implILS8_4ELb0ES6_15HIP_vector_typeIjLj2EENS0_17counting_iteratorIjlEEPS9_SG_NS0_5tupleIJPjSI_NS0_16reverse_iteratorISI_EEEEENSH_IJSG_SG_SG_EEES9_SI_JZNS1_25segmented_radix_sort_implINS0_14default_configELb0EPK6__halfPSP_PKlPlN2at6native12_GLOBAL__N_18offset_tEEE10hipError_tPvRmT1_PNSt15iterator_traitsIS13_E10value_typeET2_T3_PNS14_IS19_E10value_typeET4_jRbjT5_S1F_jjP12ihipStream_tbEUljE_ZNSN_ISO_Lb0ESR_SS_SU_SV_SZ_EES10_S11_S12_S13_S17_S18_S19_S1C_S1D_jS1E_jS1F_S1F_jjS1H_bEUljE0_EEES10_S11_S12_S19_S1D_S1F_T6_T7_T9_mT8_S1H_bDpT10_ENKUlT_T0_E_clISt17integral_constantIbLb0EES1V_EEDaS1Q_S1R_EUlS1Q_E_NS1_11comp_targetILNS1_3genE2ELNS1_11target_archE906ELNS1_3gpuE6ELNS1_3repE0EEENS1_30default_config_static_selectorELNS0_4arch9wavefront6targetE1EEEvS13_.kd
    .uniform_work_group_size: 1
    .uses_dynamic_stack: false
    .vgpr_count:     0
    .vgpr_spill_count: 0
    .wavefront_size: 64
  - .agpr_count:     0
    .args:
      - .offset:         0
        .size:           176
        .value_kind:     by_value
    .group_segment_fixed_size: 0
    .kernarg_segment_align: 8
    .kernarg_segment_size: 176
    .language:       OpenCL C
    .language_version:
      - 2
      - 0
    .max_flat_workgroup_size: 256
    .name:           _ZN7rocprim17ROCPRIM_400000_NS6detail17trampoline_kernelINS0_13select_configILj256ELj13ELNS0_17block_load_methodE3ELS4_3ELS4_3ELNS0_20block_scan_algorithmE0ELj4294967295EEENS1_25partition_config_selectorILNS1_17partition_subalgoE4EjNS0_10empty_typeEbEEZZNS1_14partition_implILS8_4ELb0ES6_15HIP_vector_typeIjLj2EENS0_17counting_iteratorIjlEEPS9_SG_NS0_5tupleIJPjSI_NS0_16reverse_iteratorISI_EEEEENSH_IJSG_SG_SG_EEES9_SI_JZNS1_25segmented_radix_sort_implINS0_14default_configELb0EPK6__halfPSP_PKlPlN2at6native12_GLOBAL__N_18offset_tEEE10hipError_tPvRmT1_PNSt15iterator_traitsIS13_E10value_typeET2_T3_PNS14_IS19_E10value_typeET4_jRbjT5_S1F_jjP12ihipStream_tbEUljE_ZNSN_ISO_Lb0ESR_SS_SU_SV_SZ_EES10_S11_S12_S13_S17_S18_S19_S1C_S1D_jS1E_jS1F_S1F_jjS1H_bEUljE0_EEES10_S11_S12_S19_S1D_S1F_T6_T7_T9_mT8_S1H_bDpT10_ENKUlT_T0_E_clISt17integral_constantIbLb0EES1V_EEDaS1Q_S1R_EUlS1Q_E_NS1_11comp_targetILNS1_3genE10ELNS1_11target_archE1200ELNS1_3gpuE4ELNS1_3repE0EEENS1_30default_config_static_selectorELNS0_4arch9wavefront6targetE1EEEvS13_
    .private_segment_fixed_size: 0
    .sgpr_count:     4
    .sgpr_spill_count: 0
    .symbol:         _ZN7rocprim17ROCPRIM_400000_NS6detail17trampoline_kernelINS0_13select_configILj256ELj13ELNS0_17block_load_methodE3ELS4_3ELS4_3ELNS0_20block_scan_algorithmE0ELj4294967295EEENS1_25partition_config_selectorILNS1_17partition_subalgoE4EjNS0_10empty_typeEbEEZZNS1_14partition_implILS8_4ELb0ES6_15HIP_vector_typeIjLj2EENS0_17counting_iteratorIjlEEPS9_SG_NS0_5tupleIJPjSI_NS0_16reverse_iteratorISI_EEEEENSH_IJSG_SG_SG_EEES9_SI_JZNS1_25segmented_radix_sort_implINS0_14default_configELb0EPK6__halfPSP_PKlPlN2at6native12_GLOBAL__N_18offset_tEEE10hipError_tPvRmT1_PNSt15iterator_traitsIS13_E10value_typeET2_T3_PNS14_IS19_E10value_typeET4_jRbjT5_S1F_jjP12ihipStream_tbEUljE_ZNSN_ISO_Lb0ESR_SS_SU_SV_SZ_EES10_S11_S12_S13_S17_S18_S19_S1C_S1D_jS1E_jS1F_S1F_jjS1H_bEUljE0_EEES10_S11_S12_S19_S1D_S1F_T6_T7_T9_mT8_S1H_bDpT10_ENKUlT_T0_E_clISt17integral_constantIbLb0EES1V_EEDaS1Q_S1R_EUlS1Q_E_NS1_11comp_targetILNS1_3genE10ELNS1_11target_archE1200ELNS1_3gpuE4ELNS1_3repE0EEENS1_30default_config_static_selectorELNS0_4arch9wavefront6targetE1EEEvS13_.kd
    .uniform_work_group_size: 1
    .uses_dynamic_stack: false
    .vgpr_count:     0
    .vgpr_spill_count: 0
    .wavefront_size: 64
  - .agpr_count:     0
    .args:
      - .offset:         0
        .size:           176
        .value_kind:     by_value
    .group_segment_fixed_size: 0
    .kernarg_segment_align: 8
    .kernarg_segment_size: 176
    .language:       OpenCL C
    .language_version:
      - 2
      - 0
    .max_flat_workgroup_size: 256
    .name:           _ZN7rocprim17ROCPRIM_400000_NS6detail17trampoline_kernelINS0_13select_configILj256ELj13ELNS0_17block_load_methodE3ELS4_3ELS4_3ELNS0_20block_scan_algorithmE0ELj4294967295EEENS1_25partition_config_selectorILNS1_17partition_subalgoE4EjNS0_10empty_typeEbEEZZNS1_14partition_implILS8_4ELb0ES6_15HIP_vector_typeIjLj2EENS0_17counting_iteratorIjlEEPS9_SG_NS0_5tupleIJPjSI_NS0_16reverse_iteratorISI_EEEEENSH_IJSG_SG_SG_EEES9_SI_JZNS1_25segmented_radix_sort_implINS0_14default_configELb0EPK6__halfPSP_PKlPlN2at6native12_GLOBAL__N_18offset_tEEE10hipError_tPvRmT1_PNSt15iterator_traitsIS13_E10value_typeET2_T3_PNS14_IS19_E10value_typeET4_jRbjT5_S1F_jjP12ihipStream_tbEUljE_ZNSN_ISO_Lb0ESR_SS_SU_SV_SZ_EES10_S11_S12_S13_S17_S18_S19_S1C_S1D_jS1E_jS1F_S1F_jjS1H_bEUljE0_EEES10_S11_S12_S19_S1D_S1F_T6_T7_T9_mT8_S1H_bDpT10_ENKUlT_T0_E_clISt17integral_constantIbLb0EES1V_EEDaS1Q_S1R_EUlS1Q_E_NS1_11comp_targetILNS1_3genE9ELNS1_11target_archE1100ELNS1_3gpuE3ELNS1_3repE0EEENS1_30default_config_static_selectorELNS0_4arch9wavefront6targetE1EEEvS13_
    .private_segment_fixed_size: 0
    .sgpr_count:     4
    .sgpr_spill_count: 0
    .symbol:         _ZN7rocprim17ROCPRIM_400000_NS6detail17trampoline_kernelINS0_13select_configILj256ELj13ELNS0_17block_load_methodE3ELS4_3ELS4_3ELNS0_20block_scan_algorithmE0ELj4294967295EEENS1_25partition_config_selectorILNS1_17partition_subalgoE4EjNS0_10empty_typeEbEEZZNS1_14partition_implILS8_4ELb0ES6_15HIP_vector_typeIjLj2EENS0_17counting_iteratorIjlEEPS9_SG_NS0_5tupleIJPjSI_NS0_16reverse_iteratorISI_EEEEENSH_IJSG_SG_SG_EEES9_SI_JZNS1_25segmented_radix_sort_implINS0_14default_configELb0EPK6__halfPSP_PKlPlN2at6native12_GLOBAL__N_18offset_tEEE10hipError_tPvRmT1_PNSt15iterator_traitsIS13_E10value_typeET2_T3_PNS14_IS19_E10value_typeET4_jRbjT5_S1F_jjP12ihipStream_tbEUljE_ZNSN_ISO_Lb0ESR_SS_SU_SV_SZ_EES10_S11_S12_S13_S17_S18_S19_S1C_S1D_jS1E_jS1F_S1F_jjS1H_bEUljE0_EEES10_S11_S12_S19_S1D_S1F_T6_T7_T9_mT8_S1H_bDpT10_ENKUlT_T0_E_clISt17integral_constantIbLb0EES1V_EEDaS1Q_S1R_EUlS1Q_E_NS1_11comp_targetILNS1_3genE9ELNS1_11target_archE1100ELNS1_3gpuE3ELNS1_3repE0EEENS1_30default_config_static_selectorELNS0_4arch9wavefront6targetE1EEEvS13_.kd
    .uniform_work_group_size: 1
    .uses_dynamic_stack: false
    .vgpr_count:     0
    .vgpr_spill_count: 0
    .wavefront_size: 64
  - .agpr_count:     0
    .args:
      - .offset:         0
        .size:           176
        .value_kind:     by_value
    .group_segment_fixed_size: 0
    .kernarg_segment_align: 8
    .kernarg_segment_size: 176
    .language:       OpenCL C
    .language_version:
      - 2
      - 0
    .max_flat_workgroup_size: 256
    .name:           _ZN7rocprim17ROCPRIM_400000_NS6detail17trampoline_kernelINS0_13select_configILj256ELj13ELNS0_17block_load_methodE3ELS4_3ELS4_3ELNS0_20block_scan_algorithmE0ELj4294967295EEENS1_25partition_config_selectorILNS1_17partition_subalgoE4EjNS0_10empty_typeEbEEZZNS1_14partition_implILS8_4ELb0ES6_15HIP_vector_typeIjLj2EENS0_17counting_iteratorIjlEEPS9_SG_NS0_5tupleIJPjSI_NS0_16reverse_iteratorISI_EEEEENSH_IJSG_SG_SG_EEES9_SI_JZNS1_25segmented_radix_sort_implINS0_14default_configELb0EPK6__halfPSP_PKlPlN2at6native12_GLOBAL__N_18offset_tEEE10hipError_tPvRmT1_PNSt15iterator_traitsIS13_E10value_typeET2_T3_PNS14_IS19_E10value_typeET4_jRbjT5_S1F_jjP12ihipStream_tbEUljE_ZNSN_ISO_Lb0ESR_SS_SU_SV_SZ_EES10_S11_S12_S13_S17_S18_S19_S1C_S1D_jS1E_jS1F_S1F_jjS1H_bEUljE0_EEES10_S11_S12_S19_S1D_S1F_T6_T7_T9_mT8_S1H_bDpT10_ENKUlT_T0_E_clISt17integral_constantIbLb0EES1V_EEDaS1Q_S1R_EUlS1Q_E_NS1_11comp_targetILNS1_3genE8ELNS1_11target_archE1030ELNS1_3gpuE2ELNS1_3repE0EEENS1_30default_config_static_selectorELNS0_4arch9wavefront6targetE1EEEvS13_
    .private_segment_fixed_size: 0
    .sgpr_count:     4
    .sgpr_spill_count: 0
    .symbol:         _ZN7rocprim17ROCPRIM_400000_NS6detail17trampoline_kernelINS0_13select_configILj256ELj13ELNS0_17block_load_methodE3ELS4_3ELS4_3ELNS0_20block_scan_algorithmE0ELj4294967295EEENS1_25partition_config_selectorILNS1_17partition_subalgoE4EjNS0_10empty_typeEbEEZZNS1_14partition_implILS8_4ELb0ES6_15HIP_vector_typeIjLj2EENS0_17counting_iteratorIjlEEPS9_SG_NS0_5tupleIJPjSI_NS0_16reverse_iteratorISI_EEEEENSH_IJSG_SG_SG_EEES9_SI_JZNS1_25segmented_radix_sort_implINS0_14default_configELb0EPK6__halfPSP_PKlPlN2at6native12_GLOBAL__N_18offset_tEEE10hipError_tPvRmT1_PNSt15iterator_traitsIS13_E10value_typeET2_T3_PNS14_IS19_E10value_typeET4_jRbjT5_S1F_jjP12ihipStream_tbEUljE_ZNSN_ISO_Lb0ESR_SS_SU_SV_SZ_EES10_S11_S12_S13_S17_S18_S19_S1C_S1D_jS1E_jS1F_S1F_jjS1H_bEUljE0_EEES10_S11_S12_S19_S1D_S1F_T6_T7_T9_mT8_S1H_bDpT10_ENKUlT_T0_E_clISt17integral_constantIbLb0EES1V_EEDaS1Q_S1R_EUlS1Q_E_NS1_11comp_targetILNS1_3genE8ELNS1_11target_archE1030ELNS1_3gpuE2ELNS1_3repE0EEENS1_30default_config_static_selectorELNS0_4arch9wavefront6targetE1EEEvS13_.kd
    .uniform_work_group_size: 1
    .uses_dynamic_stack: false
    .vgpr_count:     0
    .vgpr_spill_count: 0
    .wavefront_size: 64
  - .agpr_count:     0
    .args:
      - .offset:         0
        .size:           184
        .value_kind:     by_value
    .group_segment_fixed_size: 0
    .kernarg_segment_align: 8
    .kernarg_segment_size: 184
    .language:       OpenCL C
    .language_version:
      - 2
      - 0
    .max_flat_workgroup_size: 256
    .name:           _ZN7rocprim17ROCPRIM_400000_NS6detail17trampoline_kernelINS0_13select_configILj256ELj13ELNS0_17block_load_methodE3ELS4_3ELS4_3ELNS0_20block_scan_algorithmE0ELj4294967295EEENS1_25partition_config_selectorILNS1_17partition_subalgoE4EjNS0_10empty_typeEbEEZZNS1_14partition_implILS8_4ELb0ES6_15HIP_vector_typeIjLj2EENS0_17counting_iteratorIjlEEPS9_SG_NS0_5tupleIJPjSI_NS0_16reverse_iteratorISI_EEEEENSH_IJSG_SG_SG_EEES9_SI_JZNS1_25segmented_radix_sort_implINS0_14default_configELb0EPK6__halfPSP_PKlPlN2at6native12_GLOBAL__N_18offset_tEEE10hipError_tPvRmT1_PNSt15iterator_traitsIS13_E10value_typeET2_T3_PNS14_IS19_E10value_typeET4_jRbjT5_S1F_jjP12ihipStream_tbEUljE_ZNSN_ISO_Lb0ESR_SS_SU_SV_SZ_EES10_S11_S12_S13_S17_S18_S19_S1C_S1D_jS1E_jS1F_S1F_jjS1H_bEUljE0_EEES10_S11_S12_S19_S1D_S1F_T6_T7_T9_mT8_S1H_bDpT10_ENKUlT_T0_E_clISt17integral_constantIbLb1EES1V_EEDaS1Q_S1R_EUlS1Q_E_NS1_11comp_targetILNS1_3genE0ELNS1_11target_archE4294967295ELNS1_3gpuE0ELNS1_3repE0EEENS1_30default_config_static_selectorELNS0_4arch9wavefront6targetE1EEEvS13_
    .private_segment_fixed_size: 0
    .sgpr_count:     4
    .sgpr_spill_count: 0
    .symbol:         _ZN7rocprim17ROCPRIM_400000_NS6detail17trampoline_kernelINS0_13select_configILj256ELj13ELNS0_17block_load_methodE3ELS4_3ELS4_3ELNS0_20block_scan_algorithmE0ELj4294967295EEENS1_25partition_config_selectorILNS1_17partition_subalgoE4EjNS0_10empty_typeEbEEZZNS1_14partition_implILS8_4ELb0ES6_15HIP_vector_typeIjLj2EENS0_17counting_iteratorIjlEEPS9_SG_NS0_5tupleIJPjSI_NS0_16reverse_iteratorISI_EEEEENSH_IJSG_SG_SG_EEES9_SI_JZNS1_25segmented_radix_sort_implINS0_14default_configELb0EPK6__halfPSP_PKlPlN2at6native12_GLOBAL__N_18offset_tEEE10hipError_tPvRmT1_PNSt15iterator_traitsIS13_E10value_typeET2_T3_PNS14_IS19_E10value_typeET4_jRbjT5_S1F_jjP12ihipStream_tbEUljE_ZNSN_ISO_Lb0ESR_SS_SU_SV_SZ_EES10_S11_S12_S13_S17_S18_S19_S1C_S1D_jS1E_jS1F_S1F_jjS1H_bEUljE0_EEES10_S11_S12_S19_S1D_S1F_T6_T7_T9_mT8_S1H_bDpT10_ENKUlT_T0_E_clISt17integral_constantIbLb1EES1V_EEDaS1Q_S1R_EUlS1Q_E_NS1_11comp_targetILNS1_3genE0ELNS1_11target_archE4294967295ELNS1_3gpuE0ELNS1_3repE0EEENS1_30default_config_static_selectorELNS0_4arch9wavefront6targetE1EEEvS13_.kd
    .uniform_work_group_size: 1
    .uses_dynamic_stack: false
    .vgpr_count:     0
    .vgpr_spill_count: 0
    .wavefront_size: 64
  - .agpr_count:     0
    .args:
      - .offset:         0
        .size:           184
        .value_kind:     by_value
    .group_segment_fixed_size: 0
    .kernarg_segment_align: 8
    .kernarg_segment_size: 184
    .language:       OpenCL C
    .language_version:
      - 2
      - 0
    .max_flat_workgroup_size: 256
    .name:           _ZN7rocprim17ROCPRIM_400000_NS6detail17trampoline_kernelINS0_13select_configILj256ELj13ELNS0_17block_load_methodE3ELS4_3ELS4_3ELNS0_20block_scan_algorithmE0ELj4294967295EEENS1_25partition_config_selectorILNS1_17partition_subalgoE4EjNS0_10empty_typeEbEEZZNS1_14partition_implILS8_4ELb0ES6_15HIP_vector_typeIjLj2EENS0_17counting_iteratorIjlEEPS9_SG_NS0_5tupleIJPjSI_NS0_16reverse_iteratorISI_EEEEENSH_IJSG_SG_SG_EEES9_SI_JZNS1_25segmented_radix_sort_implINS0_14default_configELb0EPK6__halfPSP_PKlPlN2at6native12_GLOBAL__N_18offset_tEEE10hipError_tPvRmT1_PNSt15iterator_traitsIS13_E10value_typeET2_T3_PNS14_IS19_E10value_typeET4_jRbjT5_S1F_jjP12ihipStream_tbEUljE_ZNSN_ISO_Lb0ESR_SS_SU_SV_SZ_EES10_S11_S12_S13_S17_S18_S19_S1C_S1D_jS1E_jS1F_S1F_jjS1H_bEUljE0_EEES10_S11_S12_S19_S1D_S1F_T6_T7_T9_mT8_S1H_bDpT10_ENKUlT_T0_E_clISt17integral_constantIbLb1EES1V_EEDaS1Q_S1R_EUlS1Q_E_NS1_11comp_targetILNS1_3genE5ELNS1_11target_archE942ELNS1_3gpuE9ELNS1_3repE0EEENS1_30default_config_static_selectorELNS0_4arch9wavefront6targetE1EEEvS13_
    .private_segment_fixed_size: 0
    .sgpr_count:     4
    .sgpr_spill_count: 0
    .symbol:         _ZN7rocprim17ROCPRIM_400000_NS6detail17trampoline_kernelINS0_13select_configILj256ELj13ELNS0_17block_load_methodE3ELS4_3ELS4_3ELNS0_20block_scan_algorithmE0ELj4294967295EEENS1_25partition_config_selectorILNS1_17partition_subalgoE4EjNS0_10empty_typeEbEEZZNS1_14partition_implILS8_4ELb0ES6_15HIP_vector_typeIjLj2EENS0_17counting_iteratorIjlEEPS9_SG_NS0_5tupleIJPjSI_NS0_16reverse_iteratorISI_EEEEENSH_IJSG_SG_SG_EEES9_SI_JZNS1_25segmented_radix_sort_implINS0_14default_configELb0EPK6__halfPSP_PKlPlN2at6native12_GLOBAL__N_18offset_tEEE10hipError_tPvRmT1_PNSt15iterator_traitsIS13_E10value_typeET2_T3_PNS14_IS19_E10value_typeET4_jRbjT5_S1F_jjP12ihipStream_tbEUljE_ZNSN_ISO_Lb0ESR_SS_SU_SV_SZ_EES10_S11_S12_S13_S17_S18_S19_S1C_S1D_jS1E_jS1F_S1F_jjS1H_bEUljE0_EEES10_S11_S12_S19_S1D_S1F_T6_T7_T9_mT8_S1H_bDpT10_ENKUlT_T0_E_clISt17integral_constantIbLb1EES1V_EEDaS1Q_S1R_EUlS1Q_E_NS1_11comp_targetILNS1_3genE5ELNS1_11target_archE942ELNS1_3gpuE9ELNS1_3repE0EEENS1_30default_config_static_selectorELNS0_4arch9wavefront6targetE1EEEvS13_.kd
    .uniform_work_group_size: 1
    .uses_dynamic_stack: false
    .vgpr_count:     0
    .vgpr_spill_count: 0
    .wavefront_size: 64
  - .agpr_count:     0
    .args:
      - .offset:         0
        .size:           184
        .value_kind:     by_value
    .group_segment_fixed_size: 13340
    .kernarg_segment_align: 8
    .kernarg_segment_size: 184
    .language:       OpenCL C
    .language_version:
      - 2
      - 0
    .max_flat_workgroup_size: 256
    .name:           _ZN7rocprim17ROCPRIM_400000_NS6detail17trampoline_kernelINS0_13select_configILj256ELj13ELNS0_17block_load_methodE3ELS4_3ELS4_3ELNS0_20block_scan_algorithmE0ELj4294967295EEENS1_25partition_config_selectorILNS1_17partition_subalgoE4EjNS0_10empty_typeEbEEZZNS1_14partition_implILS8_4ELb0ES6_15HIP_vector_typeIjLj2EENS0_17counting_iteratorIjlEEPS9_SG_NS0_5tupleIJPjSI_NS0_16reverse_iteratorISI_EEEEENSH_IJSG_SG_SG_EEES9_SI_JZNS1_25segmented_radix_sort_implINS0_14default_configELb0EPK6__halfPSP_PKlPlN2at6native12_GLOBAL__N_18offset_tEEE10hipError_tPvRmT1_PNSt15iterator_traitsIS13_E10value_typeET2_T3_PNS14_IS19_E10value_typeET4_jRbjT5_S1F_jjP12ihipStream_tbEUljE_ZNSN_ISO_Lb0ESR_SS_SU_SV_SZ_EES10_S11_S12_S13_S17_S18_S19_S1C_S1D_jS1E_jS1F_S1F_jjS1H_bEUljE0_EEES10_S11_S12_S19_S1D_S1F_T6_T7_T9_mT8_S1H_bDpT10_ENKUlT_T0_E_clISt17integral_constantIbLb1EES1V_EEDaS1Q_S1R_EUlS1Q_E_NS1_11comp_targetILNS1_3genE4ELNS1_11target_archE910ELNS1_3gpuE8ELNS1_3repE0EEENS1_30default_config_static_selectorELNS0_4arch9wavefront6targetE1EEEvS13_
    .private_segment_fixed_size: 0
    .sgpr_count:     91
    .sgpr_spill_count: 0
    .symbol:         _ZN7rocprim17ROCPRIM_400000_NS6detail17trampoline_kernelINS0_13select_configILj256ELj13ELNS0_17block_load_methodE3ELS4_3ELS4_3ELNS0_20block_scan_algorithmE0ELj4294967295EEENS1_25partition_config_selectorILNS1_17partition_subalgoE4EjNS0_10empty_typeEbEEZZNS1_14partition_implILS8_4ELb0ES6_15HIP_vector_typeIjLj2EENS0_17counting_iteratorIjlEEPS9_SG_NS0_5tupleIJPjSI_NS0_16reverse_iteratorISI_EEEEENSH_IJSG_SG_SG_EEES9_SI_JZNS1_25segmented_radix_sort_implINS0_14default_configELb0EPK6__halfPSP_PKlPlN2at6native12_GLOBAL__N_18offset_tEEE10hipError_tPvRmT1_PNSt15iterator_traitsIS13_E10value_typeET2_T3_PNS14_IS19_E10value_typeET4_jRbjT5_S1F_jjP12ihipStream_tbEUljE_ZNSN_ISO_Lb0ESR_SS_SU_SV_SZ_EES10_S11_S12_S13_S17_S18_S19_S1C_S1D_jS1E_jS1F_S1F_jjS1H_bEUljE0_EEES10_S11_S12_S19_S1D_S1F_T6_T7_T9_mT8_S1H_bDpT10_ENKUlT_T0_E_clISt17integral_constantIbLb1EES1V_EEDaS1Q_S1R_EUlS1Q_E_NS1_11comp_targetILNS1_3genE4ELNS1_11target_archE910ELNS1_3gpuE8ELNS1_3repE0EEENS1_30default_config_static_selectorELNS0_4arch9wavefront6targetE1EEEvS13_.kd
    .uniform_work_group_size: 1
    .uses_dynamic_stack: false
    .vgpr_count:     107
    .vgpr_spill_count: 0
    .wavefront_size: 64
  - .agpr_count:     0
    .args:
      - .offset:         0
        .size:           184
        .value_kind:     by_value
    .group_segment_fixed_size: 0
    .kernarg_segment_align: 8
    .kernarg_segment_size: 184
    .language:       OpenCL C
    .language_version:
      - 2
      - 0
    .max_flat_workgroup_size: 256
    .name:           _ZN7rocprim17ROCPRIM_400000_NS6detail17trampoline_kernelINS0_13select_configILj256ELj13ELNS0_17block_load_methodE3ELS4_3ELS4_3ELNS0_20block_scan_algorithmE0ELj4294967295EEENS1_25partition_config_selectorILNS1_17partition_subalgoE4EjNS0_10empty_typeEbEEZZNS1_14partition_implILS8_4ELb0ES6_15HIP_vector_typeIjLj2EENS0_17counting_iteratorIjlEEPS9_SG_NS0_5tupleIJPjSI_NS0_16reverse_iteratorISI_EEEEENSH_IJSG_SG_SG_EEES9_SI_JZNS1_25segmented_radix_sort_implINS0_14default_configELb0EPK6__halfPSP_PKlPlN2at6native12_GLOBAL__N_18offset_tEEE10hipError_tPvRmT1_PNSt15iterator_traitsIS13_E10value_typeET2_T3_PNS14_IS19_E10value_typeET4_jRbjT5_S1F_jjP12ihipStream_tbEUljE_ZNSN_ISO_Lb0ESR_SS_SU_SV_SZ_EES10_S11_S12_S13_S17_S18_S19_S1C_S1D_jS1E_jS1F_S1F_jjS1H_bEUljE0_EEES10_S11_S12_S19_S1D_S1F_T6_T7_T9_mT8_S1H_bDpT10_ENKUlT_T0_E_clISt17integral_constantIbLb1EES1V_EEDaS1Q_S1R_EUlS1Q_E_NS1_11comp_targetILNS1_3genE3ELNS1_11target_archE908ELNS1_3gpuE7ELNS1_3repE0EEENS1_30default_config_static_selectorELNS0_4arch9wavefront6targetE1EEEvS13_
    .private_segment_fixed_size: 0
    .sgpr_count:     4
    .sgpr_spill_count: 0
    .symbol:         _ZN7rocprim17ROCPRIM_400000_NS6detail17trampoline_kernelINS0_13select_configILj256ELj13ELNS0_17block_load_methodE3ELS4_3ELS4_3ELNS0_20block_scan_algorithmE0ELj4294967295EEENS1_25partition_config_selectorILNS1_17partition_subalgoE4EjNS0_10empty_typeEbEEZZNS1_14partition_implILS8_4ELb0ES6_15HIP_vector_typeIjLj2EENS0_17counting_iteratorIjlEEPS9_SG_NS0_5tupleIJPjSI_NS0_16reverse_iteratorISI_EEEEENSH_IJSG_SG_SG_EEES9_SI_JZNS1_25segmented_radix_sort_implINS0_14default_configELb0EPK6__halfPSP_PKlPlN2at6native12_GLOBAL__N_18offset_tEEE10hipError_tPvRmT1_PNSt15iterator_traitsIS13_E10value_typeET2_T3_PNS14_IS19_E10value_typeET4_jRbjT5_S1F_jjP12ihipStream_tbEUljE_ZNSN_ISO_Lb0ESR_SS_SU_SV_SZ_EES10_S11_S12_S13_S17_S18_S19_S1C_S1D_jS1E_jS1F_S1F_jjS1H_bEUljE0_EEES10_S11_S12_S19_S1D_S1F_T6_T7_T9_mT8_S1H_bDpT10_ENKUlT_T0_E_clISt17integral_constantIbLb1EES1V_EEDaS1Q_S1R_EUlS1Q_E_NS1_11comp_targetILNS1_3genE3ELNS1_11target_archE908ELNS1_3gpuE7ELNS1_3repE0EEENS1_30default_config_static_selectorELNS0_4arch9wavefront6targetE1EEEvS13_.kd
    .uniform_work_group_size: 1
    .uses_dynamic_stack: false
    .vgpr_count:     0
    .vgpr_spill_count: 0
    .wavefront_size: 64
  - .agpr_count:     0
    .args:
      - .offset:         0
        .size:           184
        .value_kind:     by_value
    .group_segment_fixed_size: 0
    .kernarg_segment_align: 8
    .kernarg_segment_size: 184
    .language:       OpenCL C
    .language_version:
      - 2
      - 0
    .max_flat_workgroup_size: 256
    .name:           _ZN7rocprim17ROCPRIM_400000_NS6detail17trampoline_kernelINS0_13select_configILj256ELj13ELNS0_17block_load_methodE3ELS4_3ELS4_3ELNS0_20block_scan_algorithmE0ELj4294967295EEENS1_25partition_config_selectorILNS1_17partition_subalgoE4EjNS0_10empty_typeEbEEZZNS1_14partition_implILS8_4ELb0ES6_15HIP_vector_typeIjLj2EENS0_17counting_iteratorIjlEEPS9_SG_NS0_5tupleIJPjSI_NS0_16reverse_iteratorISI_EEEEENSH_IJSG_SG_SG_EEES9_SI_JZNS1_25segmented_radix_sort_implINS0_14default_configELb0EPK6__halfPSP_PKlPlN2at6native12_GLOBAL__N_18offset_tEEE10hipError_tPvRmT1_PNSt15iterator_traitsIS13_E10value_typeET2_T3_PNS14_IS19_E10value_typeET4_jRbjT5_S1F_jjP12ihipStream_tbEUljE_ZNSN_ISO_Lb0ESR_SS_SU_SV_SZ_EES10_S11_S12_S13_S17_S18_S19_S1C_S1D_jS1E_jS1F_S1F_jjS1H_bEUljE0_EEES10_S11_S12_S19_S1D_S1F_T6_T7_T9_mT8_S1H_bDpT10_ENKUlT_T0_E_clISt17integral_constantIbLb1EES1V_EEDaS1Q_S1R_EUlS1Q_E_NS1_11comp_targetILNS1_3genE2ELNS1_11target_archE906ELNS1_3gpuE6ELNS1_3repE0EEENS1_30default_config_static_selectorELNS0_4arch9wavefront6targetE1EEEvS13_
    .private_segment_fixed_size: 0
    .sgpr_count:     4
    .sgpr_spill_count: 0
    .symbol:         _ZN7rocprim17ROCPRIM_400000_NS6detail17trampoline_kernelINS0_13select_configILj256ELj13ELNS0_17block_load_methodE3ELS4_3ELS4_3ELNS0_20block_scan_algorithmE0ELj4294967295EEENS1_25partition_config_selectorILNS1_17partition_subalgoE4EjNS0_10empty_typeEbEEZZNS1_14partition_implILS8_4ELb0ES6_15HIP_vector_typeIjLj2EENS0_17counting_iteratorIjlEEPS9_SG_NS0_5tupleIJPjSI_NS0_16reverse_iteratorISI_EEEEENSH_IJSG_SG_SG_EEES9_SI_JZNS1_25segmented_radix_sort_implINS0_14default_configELb0EPK6__halfPSP_PKlPlN2at6native12_GLOBAL__N_18offset_tEEE10hipError_tPvRmT1_PNSt15iterator_traitsIS13_E10value_typeET2_T3_PNS14_IS19_E10value_typeET4_jRbjT5_S1F_jjP12ihipStream_tbEUljE_ZNSN_ISO_Lb0ESR_SS_SU_SV_SZ_EES10_S11_S12_S13_S17_S18_S19_S1C_S1D_jS1E_jS1F_S1F_jjS1H_bEUljE0_EEES10_S11_S12_S19_S1D_S1F_T6_T7_T9_mT8_S1H_bDpT10_ENKUlT_T0_E_clISt17integral_constantIbLb1EES1V_EEDaS1Q_S1R_EUlS1Q_E_NS1_11comp_targetILNS1_3genE2ELNS1_11target_archE906ELNS1_3gpuE6ELNS1_3repE0EEENS1_30default_config_static_selectorELNS0_4arch9wavefront6targetE1EEEvS13_.kd
    .uniform_work_group_size: 1
    .uses_dynamic_stack: false
    .vgpr_count:     0
    .vgpr_spill_count: 0
    .wavefront_size: 64
  - .agpr_count:     0
    .args:
      - .offset:         0
        .size:           184
        .value_kind:     by_value
    .group_segment_fixed_size: 0
    .kernarg_segment_align: 8
    .kernarg_segment_size: 184
    .language:       OpenCL C
    .language_version:
      - 2
      - 0
    .max_flat_workgroup_size: 256
    .name:           _ZN7rocprim17ROCPRIM_400000_NS6detail17trampoline_kernelINS0_13select_configILj256ELj13ELNS0_17block_load_methodE3ELS4_3ELS4_3ELNS0_20block_scan_algorithmE0ELj4294967295EEENS1_25partition_config_selectorILNS1_17partition_subalgoE4EjNS0_10empty_typeEbEEZZNS1_14partition_implILS8_4ELb0ES6_15HIP_vector_typeIjLj2EENS0_17counting_iteratorIjlEEPS9_SG_NS0_5tupleIJPjSI_NS0_16reverse_iteratorISI_EEEEENSH_IJSG_SG_SG_EEES9_SI_JZNS1_25segmented_radix_sort_implINS0_14default_configELb0EPK6__halfPSP_PKlPlN2at6native12_GLOBAL__N_18offset_tEEE10hipError_tPvRmT1_PNSt15iterator_traitsIS13_E10value_typeET2_T3_PNS14_IS19_E10value_typeET4_jRbjT5_S1F_jjP12ihipStream_tbEUljE_ZNSN_ISO_Lb0ESR_SS_SU_SV_SZ_EES10_S11_S12_S13_S17_S18_S19_S1C_S1D_jS1E_jS1F_S1F_jjS1H_bEUljE0_EEES10_S11_S12_S19_S1D_S1F_T6_T7_T9_mT8_S1H_bDpT10_ENKUlT_T0_E_clISt17integral_constantIbLb1EES1V_EEDaS1Q_S1R_EUlS1Q_E_NS1_11comp_targetILNS1_3genE10ELNS1_11target_archE1200ELNS1_3gpuE4ELNS1_3repE0EEENS1_30default_config_static_selectorELNS0_4arch9wavefront6targetE1EEEvS13_
    .private_segment_fixed_size: 0
    .sgpr_count:     4
    .sgpr_spill_count: 0
    .symbol:         _ZN7rocprim17ROCPRIM_400000_NS6detail17trampoline_kernelINS0_13select_configILj256ELj13ELNS0_17block_load_methodE3ELS4_3ELS4_3ELNS0_20block_scan_algorithmE0ELj4294967295EEENS1_25partition_config_selectorILNS1_17partition_subalgoE4EjNS0_10empty_typeEbEEZZNS1_14partition_implILS8_4ELb0ES6_15HIP_vector_typeIjLj2EENS0_17counting_iteratorIjlEEPS9_SG_NS0_5tupleIJPjSI_NS0_16reverse_iteratorISI_EEEEENSH_IJSG_SG_SG_EEES9_SI_JZNS1_25segmented_radix_sort_implINS0_14default_configELb0EPK6__halfPSP_PKlPlN2at6native12_GLOBAL__N_18offset_tEEE10hipError_tPvRmT1_PNSt15iterator_traitsIS13_E10value_typeET2_T3_PNS14_IS19_E10value_typeET4_jRbjT5_S1F_jjP12ihipStream_tbEUljE_ZNSN_ISO_Lb0ESR_SS_SU_SV_SZ_EES10_S11_S12_S13_S17_S18_S19_S1C_S1D_jS1E_jS1F_S1F_jjS1H_bEUljE0_EEES10_S11_S12_S19_S1D_S1F_T6_T7_T9_mT8_S1H_bDpT10_ENKUlT_T0_E_clISt17integral_constantIbLb1EES1V_EEDaS1Q_S1R_EUlS1Q_E_NS1_11comp_targetILNS1_3genE10ELNS1_11target_archE1200ELNS1_3gpuE4ELNS1_3repE0EEENS1_30default_config_static_selectorELNS0_4arch9wavefront6targetE1EEEvS13_.kd
    .uniform_work_group_size: 1
    .uses_dynamic_stack: false
    .vgpr_count:     0
    .vgpr_spill_count: 0
    .wavefront_size: 64
  - .agpr_count:     0
    .args:
      - .offset:         0
        .size:           184
        .value_kind:     by_value
    .group_segment_fixed_size: 0
    .kernarg_segment_align: 8
    .kernarg_segment_size: 184
    .language:       OpenCL C
    .language_version:
      - 2
      - 0
    .max_flat_workgroup_size: 256
    .name:           _ZN7rocprim17ROCPRIM_400000_NS6detail17trampoline_kernelINS0_13select_configILj256ELj13ELNS0_17block_load_methodE3ELS4_3ELS4_3ELNS0_20block_scan_algorithmE0ELj4294967295EEENS1_25partition_config_selectorILNS1_17partition_subalgoE4EjNS0_10empty_typeEbEEZZNS1_14partition_implILS8_4ELb0ES6_15HIP_vector_typeIjLj2EENS0_17counting_iteratorIjlEEPS9_SG_NS0_5tupleIJPjSI_NS0_16reverse_iteratorISI_EEEEENSH_IJSG_SG_SG_EEES9_SI_JZNS1_25segmented_radix_sort_implINS0_14default_configELb0EPK6__halfPSP_PKlPlN2at6native12_GLOBAL__N_18offset_tEEE10hipError_tPvRmT1_PNSt15iterator_traitsIS13_E10value_typeET2_T3_PNS14_IS19_E10value_typeET4_jRbjT5_S1F_jjP12ihipStream_tbEUljE_ZNSN_ISO_Lb0ESR_SS_SU_SV_SZ_EES10_S11_S12_S13_S17_S18_S19_S1C_S1D_jS1E_jS1F_S1F_jjS1H_bEUljE0_EEES10_S11_S12_S19_S1D_S1F_T6_T7_T9_mT8_S1H_bDpT10_ENKUlT_T0_E_clISt17integral_constantIbLb1EES1V_EEDaS1Q_S1R_EUlS1Q_E_NS1_11comp_targetILNS1_3genE9ELNS1_11target_archE1100ELNS1_3gpuE3ELNS1_3repE0EEENS1_30default_config_static_selectorELNS0_4arch9wavefront6targetE1EEEvS13_
    .private_segment_fixed_size: 0
    .sgpr_count:     4
    .sgpr_spill_count: 0
    .symbol:         _ZN7rocprim17ROCPRIM_400000_NS6detail17trampoline_kernelINS0_13select_configILj256ELj13ELNS0_17block_load_methodE3ELS4_3ELS4_3ELNS0_20block_scan_algorithmE0ELj4294967295EEENS1_25partition_config_selectorILNS1_17partition_subalgoE4EjNS0_10empty_typeEbEEZZNS1_14partition_implILS8_4ELb0ES6_15HIP_vector_typeIjLj2EENS0_17counting_iteratorIjlEEPS9_SG_NS0_5tupleIJPjSI_NS0_16reverse_iteratorISI_EEEEENSH_IJSG_SG_SG_EEES9_SI_JZNS1_25segmented_radix_sort_implINS0_14default_configELb0EPK6__halfPSP_PKlPlN2at6native12_GLOBAL__N_18offset_tEEE10hipError_tPvRmT1_PNSt15iterator_traitsIS13_E10value_typeET2_T3_PNS14_IS19_E10value_typeET4_jRbjT5_S1F_jjP12ihipStream_tbEUljE_ZNSN_ISO_Lb0ESR_SS_SU_SV_SZ_EES10_S11_S12_S13_S17_S18_S19_S1C_S1D_jS1E_jS1F_S1F_jjS1H_bEUljE0_EEES10_S11_S12_S19_S1D_S1F_T6_T7_T9_mT8_S1H_bDpT10_ENKUlT_T0_E_clISt17integral_constantIbLb1EES1V_EEDaS1Q_S1R_EUlS1Q_E_NS1_11comp_targetILNS1_3genE9ELNS1_11target_archE1100ELNS1_3gpuE3ELNS1_3repE0EEENS1_30default_config_static_selectorELNS0_4arch9wavefront6targetE1EEEvS13_.kd
    .uniform_work_group_size: 1
    .uses_dynamic_stack: false
    .vgpr_count:     0
    .vgpr_spill_count: 0
    .wavefront_size: 64
  - .agpr_count:     0
    .args:
      - .offset:         0
        .size:           184
        .value_kind:     by_value
    .group_segment_fixed_size: 0
    .kernarg_segment_align: 8
    .kernarg_segment_size: 184
    .language:       OpenCL C
    .language_version:
      - 2
      - 0
    .max_flat_workgroup_size: 256
    .name:           _ZN7rocprim17ROCPRIM_400000_NS6detail17trampoline_kernelINS0_13select_configILj256ELj13ELNS0_17block_load_methodE3ELS4_3ELS4_3ELNS0_20block_scan_algorithmE0ELj4294967295EEENS1_25partition_config_selectorILNS1_17partition_subalgoE4EjNS0_10empty_typeEbEEZZNS1_14partition_implILS8_4ELb0ES6_15HIP_vector_typeIjLj2EENS0_17counting_iteratorIjlEEPS9_SG_NS0_5tupleIJPjSI_NS0_16reverse_iteratorISI_EEEEENSH_IJSG_SG_SG_EEES9_SI_JZNS1_25segmented_radix_sort_implINS0_14default_configELb0EPK6__halfPSP_PKlPlN2at6native12_GLOBAL__N_18offset_tEEE10hipError_tPvRmT1_PNSt15iterator_traitsIS13_E10value_typeET2_T3_PNS14_IS19_E10value_typeET4_jRbjT5_S1F_jjP12ihipStream_tbEUljE_ZNSN_ISO_Lb0ESR_SS_SU_SV_SZ_EES10_S11_S12_S13_S17_S18_S19_S1C_S1D_jS1E_jS1F_S1F_jjS1H_bEUljE0_EEES10_S11_S12_S19_S1D_S1F_T6_T7_T9_mT8_S1H_bDpT10_ENKUlT_T0_E_clISt17integral_constantIbLb1EES1V_EEDaS1Q_S1R_EUlS1Q_E_NS1_11comp_targetILNS1_3genE8ELNS1_11target_archE1030ELNS1_3gpuE2ELNS1_3repE0EEENS1_30default_config_static_selectorELNS0_4arch9wavefront6targetE1EEEvS13_
    .private_segment_fixed_size: 0
    .sgpr_count:     4
    .sgpr_spill_count: 0
    .symbol:         _ZN7rocprim17ROCPRIM_400000_NS6detail17trampoline_kernelINS0_13select_configILj256ELj13ELNS0_17block_load_methodE3ELS4_3ELS4_3ELNS0_20block_scan_algorithmE0ELj4294967295EEENS1_25partition_config_selectorILNS1_17partition_subalgoE4EjNS0_10empty_typeEbEEZZNS1_14partition_implILS8_4ELb0ES6_15HIP_vector_typeIjLj2EENS0_17counting_iteratorIjlEEPS9_SG_NS0_5tupleIJPjSI_NS0_16reverse_iteratorISI_EEEEENSH_IJSG_SG_SG_EEES9_SI_JZNS1_25segmented_radix_sort_implINS0_14default_configELb0EPK6__halfPSP_PKlPlN2at6native12_GLOBAL__N_18offset_tEEE10hipError_tPvRmT1_PNSt15iterator_traitsIS13_E10value_typeET2_T3_PNS14_IS19_E10value_typeET4_jRbjT5_S1F_jjP12ihipStream_tbEUljE_ZNSN_ISO_Lb0ESR_SS_SU_SV_SZ_EES10_S11_S12_S13_S17_S18_S19_S1C_S1D_jS1E_jS1F_S1F_jjS1H_bEUljE0_EEES10_S11_S12_S19_S1D_S1F_T6_T7_T9_mT8_S1H_bDpT10_ENKUlT_T0_E_clISt17integral_constantIbLb1EES1V_EEDaS1Q_S1R_EUlS1Q_E_NS1_11comp_targetILNS1_3genE8ELNS1_11target_archE1030ELNS1_3gpuE2ELNS1_3repE0EEENS1_30default_config_static_selectorELNS0_4arch9wavefront6targetE1EEEvS13_.kd
    .uniform_work_group_size: 1
    .uses_dynamic_stack: false
    .vgpr_count:     0
    .vgpr_spill_count: 0
    .wavefront_size: 64
  - .agpr_count:     0
    .args:
      - .offset:         0
        .size:           176
        .value_kind:     by_value
    .group_segment_fixed_size: 0
    .kernarg_segment_align: 8
    .kernarg_segment_size: 176
    .language:       OpenCL C
    .language_version:
      - 2
      - 0
    .max_flat_workgroup_size: 256
    .name:           _ZN7rocprim17ROCPRIM_400000_NS6detail17trampoline_kernelINS0_13select_configILj256ELj13ELNS0_17block_load_methodE3ELS4_3ELS4_3ELNS0_20block_scan_algorithmE0ELj4294967295EEENS1_25partition_config_selectorILNS1_17partition_subalgoE4EjNS0_10empty_typeEbEEZZNS1_14partition_implILS8_4ELb0ES6_15HIP_vector_typeIjLj2EENS0_17counting_iteratorIjlEEPS9_SG_NS0_5tupleIJPjSI_NS0_16reverse_iteratorISI_EEEEENSH_IJSG_SG_SG_EEES9_SI_JZNS1_25segmented_radix_sort_implINS0_14default_configELb0EPK6__halfPSP_PKlPlN2at6native12_GLOBAL__N_18offset_tEEE10hipError_tPvRmT1_PNSt15iterator_traitsIS13_E10value_typeET2_T3_PNS14_IS19_E10value_typeET4_jRbjT5_S1F_jjP12ihipStream_tbEUljE_ZNSN_ISO_Lb0ESR_SS_SU_SV_SZ_EES10_S11_S12_S13_S17_S18_S19_S1C_S1D_jS1E_jS1F_S1F_jjS1H_bEUljE0_EEES10_S11_S12_S19_S1D_S1F_T6_T7_T9_mT8_S1H_bDpT10_ENKUlT_T0_E_clISt17integral_constantIbLb1EES1U_IbLb0EEEEDaS1Q_S1R_EUlS1Q_E_NS1_11comp_targetILNS1_3genE0ELNS1_11target_archE4294967295ELNS1_3gpuE0ELNS1_3repE0EEENS1_30default_config_static_selectorELNS0_4arch9wavefront6targetE1EEEvS13_
    .private_segment_fixed_size: 0
    .sgpr_count:     4
    .sgpr_spill_count: 0
    .symbol:         _ZN7rocprim17ROCPRIM_400000_NS6detail17trampoline_kernelINS0_13select_configILj256ELj13ELNS0_17block_load_methodE3ELS4_3ELS4_3ELNS0_20block_scan_algorithmE0ELj4294967295EEENS1_25partition_config_selectorILNS1_17partition_subalgoE4EjNS0_10empty_typeEbEEZZNS1_14partition_implILS8_4ELb0ES6_15HIP_vector_typeIjLj2EENS0_17counting_iteratorIjlEEPS9_SG_NS0_5tupleIJPjSI_NS0_16reverse_iteratorISI_EEEEENSH_IJSG_SG_SG_EEES9_SI_JZNS1_25segmented_radix_sort_implINS0_14default_configELb0EPK6__halfPSP_PKlPlN2at6native12_GLOBAL__N_18offset_tEEE10hipError_tPvRmT1_PNSt15iterator_traitsIS13_E10value_typeET2_T3_PNS14_IS19_E10value_typeET4_jRbjT5_S1F_jjP12ihipStream_tbEUljE_ZNSN_ISO_Lb0ESR_SS_SU_SV_SZ_EES10_S11_S12_S13_S17_S18_S19_S1C_S1D_jS1E_jS1F_S1F_jjS1H_bEUljE0_EEES10_S11_S12_S19_S1D_S1F_T6_T7_T9_mT8_S1H_bDpT10_ENKUlT_T0_E_clISt17integral_constantIbLb1EES1U_IbLb0EEEEDaS1Q_S1R_EUlS1Q_E_NS1_11comp_targetILNS1_3genE0ELNS1_11target_archE4294967295ELNS1_3gpuE0ELNS1_3repE0EEENS1_30default_config_static_selectorELNS0_4arch9wavefront6targetE1EEEvS13_.kd
    .uniform_work_group_size: 1
    .uses_dynamic_stack: false
    .vgpr_count:     0
    .vgpr_spill_count: 0
    .wavefront_size: 64
  - .agpr_count:     0
    .args:
      - .offset:         0
        .size:           176
        .value_kind:     by_value
    .group_segment_fixed_size: 0
    .kernarg_segment_align: 8
    .kernarg_segment_size: 176
    .language:       OpenCL C
    .language_version:
      - 2
      - 0
    .max_flat_workgroup_size: 256
    .name:           _ZN7rocprim17ROCPRIM_400000_NS6detail17trampoline_kernelINS0_13select_configILj256ELj13ELNS0_17block_load_methodE3ELS4_3ELS4_3ELNS0_20block_scan_algorithmE0ELj4294967295EEENS1_25partition_config_selectorILNS1_17partition_subalgoE4EjNS0_10empty_typeEbEEZZNS1_14partition_implILS8_4ELb0ES6_15HIP_vector_typeIjLj2EENS0_17counting_iteratorIjlEEPS9_SG_NS0_5tupleIJPjSI_NS0_16reverse_iteratorISI_EEEEENSH_IJSG_SG_SG_EEES9_SI_JZNS1_25segmented_radix_sort_implINS0_14default_configELb0EPK6__halfPSP_PKlPlN2at6native12_GLOBAL__N_18offset_tEEE10hipError_tPvRmT1_PNSt15iterator_traitsIS13_E10value_typeET2_T3_PNS14_IS19_E10value_typeET4_jRbjT5_S1F_jjP12ihipStream_tbEUljE_ZNSN_ISO_Lb0ESR_SS_SU_SV_SZ_EES10_S11_S12_S13_S17_S18_S19_S1C_S1D_jS1E_jS1F_S1F_jjS1H_bEUljE0_EEES10_S11_S12_S19_S1D_S1F_T6_T7_T9_mT8_S1H_bDpT10_ENKUlT_T0_E_clISt17integral_constantIbLb1EES1U_IbLb0EEEEDaS1Q_S1R_EUlS1Q_E_NS1_11comp_targetILNS1_3genE5ELNS1_11target_archE942ELNS1_3gpuE9ELNS1_3repE0EEENS1_30default_config_static_selectorELNS0_4arch9wavefront6targetE1EEEvS13_
    .private_segment_fixed_size: 0
    .sgpr_count:     4
    .sgpr_spill_count: 0
    .symbol:         _ZN7rocprim17ROCPRIM_400000_NS6detail17trampoline_kernelINS0_13select_configILj256ELj13ELNS0_17block_load_methodE3ELS4_3ELS4_3ELNS0_20block_scan_algorithmE0ELj4294967295EEENS1_25partition_config_selectorILNS1_17partition_subalgoE4EjNS0_10empty_typeEbEEZZNS1_14partition_implILS8_4ELb0ES6_15HIP_vector_typeIjLj2EENS0_17counting_iteratorIjlEEPS9_SG_NS0_5tupleIJPjSI_NS0_16reverse_iteratorISI_EEEEENSH_IJSG_SG_SG_EEES9_SI_JZNS1_25segmented_radix_sort_implINS0_14default_configELb0EPK6__halfPSP_PKlPlN2at6native12_GLOBAL__N_18offset_tEEE10hipError_tPvRmT1_PNSt15iterator_traitsIS13_E10value_typeET2_T3_PNS14_IS19_E10value_typeET4_jRbjT5_S1F_jjP12ihipStream_tbEUljE_ZNSN_ISO_Lb0ESR_SS_SU_SV_SZ_EES10_S11_S12_S13_S17_S18_S19_S1C_S1D_jS1E_jS1F_S1F_jjS1H_bEUljE0_EEES10_S11_S12_S19_S1D_S1F_T6_T7_T9_mT8_S1H_bDpT10_ENKUlT_T0_E_clISt17integral_constantIbLb1EES1U_IbLb0EEEEDaS1Q_S1R_EUlS1Q_E_NS1_11comp_targetILNS1_3genE5ELNS1_11target_archE942ELNS1_3gpuE9ELNS1_3repE0EEENS1_30default_config_static_selectorELNS0_4arch9wavefront6targetE1EEEvS13_.kd
    .uniform_work_group_size: 1
    .uses_dynamic_stack: false
    .vgpr_count:     0
    .vgpr_spill_count: 0
    .wavefront_size: 64
  - .agpr_count:     0
    .args:
      - .offset:         0
        .size:           176
        .value_kind:     by_value
    .group_segment_fixed_size: 13340
    .kernarg_segment_align: 8
    .kernarg_segment_size: 176
    .language:       OpenCL C
    .language_version:
      - 2
      - 0
    .max_flat_workgroup_size: 256
    .name:           _ZN7rocprim17ROCPRIM_400000_NS6detail17trampoline_kernelINS0_13select_configILj256ELj13ELNS0_17block_load_methodE3ELS4_3ELS4_3ELNS0_20block_scan_algorithmE0ELj4294967295EEENS1_25partition_config_selectorILNS1_17partition_subalgoE4EjNS0_10empty_typeEbEEZZNS1_14partition_implILS8_4ELb0ES6_15HIP_vector_typeIjLj2EENS0_17counting_iteratorIjlEEPS9_SG_NS0_5tupleIJPjSI_NS0_16reverse_iteratorISI_EEEEENSH_IJSG_SG_SG_EEES9_SI_JZNS1_25segmented_radix_sort_implINS0_14default_configELb0EPK6__halfPSP_PKlPlN2at6native12_GLOBAL__N_18offset_tEEE10hipError_tPvRmT1_PNSt15iterator_traitsIS13_E10value_typeET2_T3_PNS14_IS19_E10value_typeET4_jRbjT5_S1F_jjP12ihipStream_tbEUljE_ZNSN_ISO_Lb0ESR_SS_SU_SV_SZ_EES10_S11_S12_S13_S17_S18_S19_S1C_S1D_jS1E_jS1F_S1F_jjS1H_bEUljE0_EEES10_S11_S12_S19_S1D_S1F_T6_T7_T9_mT8_S1H_bDpT10_ENKUlT_T0_E_clISt17integral_constantIbLb1EES1U_IbLb0EEEEDaS1Q_S1R_EUlS1Q_E_NS1_11comp_targetILNS1_3genE4ELNS1_11target_archE910ELNS1_3gpuE8ELNS1_3repE0EEENS1_30default_config_static_selectorELNS0_4arch9wavefront6targetE1EEEvS13_
    .private_segment_fixed_size: 0
    .sgpr_count:     94
    .sgpr_spill_count: 0
    .symbol:         _ZN7rocprim17ROCPRIM_400000_NS6detail17trampoline_kernelINS0_13select_configILj256ELj13ELNS0_17block_load_methodE3ELS4_3ELS4_3ELNS0_20block_scan_algorithmE0ELj4294967295EEENS1_25partition_config_selectorILNS1_17partition_subalgoE4EjNS0_10empty_typeEbEEZZNS1_14partition_implILS8_4ELb0ES6_15HIP_vector_typeIjLj2EENS0_17counting_iteratorIjlEEPS9_SG_NS0_5tupleIJPjSI_NS0_16reverse_iteratorISI_EEEEENSH_IJSG_SG_SG_EEES9_SI_JZNS1_25segmented_radix_sort_implINS0_14default_configELb0EPK6__halfPSP_PKlPlN2at6native12_GLOBAL__N_18offset_tEEE10hipError_tPvRmT1_PNSt15iterator_traitsIS13_E10value_typeET2_T3_PNS14_IS19_E10value_typeET4_jRbjT5_S1F_jjP12ihipStream_tbEUljE_ZNSN_ISO_Lb0ESR_SS_SU_SV_SZ_EES10_S11_S12_S13_S17_S18_S19_S1C_S1D_jS1E_jS1F_S1F_jjS1H_bEUljE0_EEES10_S11_S12_S19_S1D_S1F_T6_T7_T9_mT8_S1H_bDpT10_ENKUlT_T0_E_clISt17integral_constantIbLb1EES1U_IbLb0EEEEDaS1Q_S1R_EUlS1Q_E_NS1_11comp_targetILNS1_3genE4ELNS1_11target_archE910ELNS1_3gpuE8ELNS1_3repE0EEENS1_30default_config_static_selectorELNS0_4arch9wavefront6targetE1EEEvS13_.kd
    .uniform_work_group_size: 1
    .uses_dynamic_stack: false
    .vgpr_count:     102
    .vgpr_spill_count: 0
    .wavefront_size: 64
  - .agpr_count:     0
    .args:
      - .offset:         0
        .size:           176
        .value_kind:     by_value
    .group_segment_fixed_size: 0
    .kernarg_segment_align: 8
    .kernarg_segment_size: 176
    .language:       OpenCL C
    .language_version:
      - 2
      - 0
    .max_flat_workgroup_size: 256
    .name:           _ZN7rocprim17ROCPRIM_400000_NS6detail17trampoline_kernelINS0_13select_configILj256ELj13ELNS0_17block_load_methodE3ELS4_3ELS4_3ELNS0_20block_scan_algorithmE0ELj4294967295EEENS1_25partition_config_selectorILNS1_17partition_subalgoE4EjNS0_10empty_typeEbEEZZNS1_14partition_implILS8_4ELb0ES6_15HIP_vector_typeIjLj2EENS0_17counting_iteratorIjlEEPS9_SG_NS0_5tupleIJPjSI_NS0_16reverse_iteratorISI_EEEEENSH_IJSG_SG_SG_EEES9_SI_JZNS1_25segmented_radix_sort_implINS0_14default_configELb0EPK6__halfPSP_PKlPlN2at6native12_GLOBAL__N_18offset_tEEE10hipError_tPvRmT1_PNSt15iterator_traitsIS13_E10value_typeET2_T3_PNS14_IS19_E10value_typeET4_jRbjT5_S1F_jjP12ihipStream_tbEUljE_ZNSN_ISO_Lb0ESR_SS_SU_SV_SZ_EES10_S11_S12_S13_S17_S18_S19_S1C_S1D_jS1E_jS1F_S1F_jjS1H_bEUljE0_EEES10_S11_S12_S19_S1D_S1F_T6_T7_T9_mT8_S1H_bDpT10_ENKUlT_T0_E_clISt17integral_constantIbLb1EES1U_IbLb0EEEEDaS1Q_S1R_EUlS1Q_E_NS1_11comp_targetILNS1_3genE3ELNS1_11target_archE908ELNS1_3gpuE7ELNS1_3repE0EEENS1_30default_config_static_selectorELNS0_4arch9wavefront6targetE1EEEvS13_
    .private_segment_fixed_size: 0
    .sgpr_count:     4
    .sgpr_spill_count: 0
    .symbol:         _ZN7rocprim17ROCPRIM_400000_NS6detail17trampoline_kernelINS0_13select_configILj256ELj13ELNS0_17block_load_methodE3ELS4_3ELS4_3ELNS0_20block_scan_algorithmE0ELj4294967295EEENS1_25partition_config_selectorILNS1_17partition_subalgoE4EjNS0_10empty_typeEbEEZZNS1_14partition_implILS8_4ELb0ES6_15HIP_vector_typeIjLj2EENS0_17counting_iteratorIjlEEPS9_SG_NS0_5tupleIJPjSI_NS0_16reverse_iteratorISI_EEEEENSH_IJSG_SG_SG_EEES9_SI_JZNS1_25segmented_radix_sort_implINS0_14default_configELb0EPK6__halfPSP_PKlPlN2at6native12_GLOBAL__N_18offset_tEEE10hipError_tPvRmT1_PNSt15iterator_traitsIS13_E10value_typeET2_T3_PNS14_IS19_E10value_typeET4_jRbjT5_S1F_jjP12ihipStream_tbEUljE_ZNSN_ISO_Lb0ESR_SS_SU_SV_SZ_EES10_S11_S12_S13_S17_S18_S19_S1C_S1D_jS1E_jS1F_S1F_jjS1H_bEUljE0_EEES10_S11_S12_S19_S1D_S1F_T6_T7_T9_mT8_S1H_bDpT10_ENKUlT_T0_E_clISt17integral_constantIbLb1EES1U_IbLb0EEEEDaS1Q_S1R_EUlS1Q_E_NS1_11comp_targetILNS1_3genE3ELNS1_11target_archE908ELNS1_3gpuE7ELNS1_3repE0EEENS1_30default_config_static_selectorELNS0_4arch9wavefront6targetE1EEEvS13_.kd
    .uniform_work_group_size: 1
    .uses_dynamic_stack: false
    .vgpr_count:     0
    .vgpr_spill_count: 0
    .wavefront_size: 64
  - .agpr_count:     0
    .args:
      - .offset:         0
        .size:           176
        .value_kind:     by_value
    .group_segment_fixed_size: 0
    .kernarg_segment_align: 8
    .kernarg_segment_size: 176
    .language:       OpenCL C
    .language_version:
      - 2
      - 0
    .max_flat_workgroup_size: 256
    .name:           _ZN7rocprim17ROCPRIM_400000_NS6detail17trampoline_kernelINS0_13select_configILj256ELj13ELNS0_17block_load_methodE3ELS4_3ELS4_3ELNS0_20block_scan_algorithmE0ELj4294967295EEENS1_25partition_config_selectorILNS1_17partition_subalgoE4EjNS0_10empty_typeEbEEZZNS1_14partition_implILS8_4ELb0ES6_15HIP_vector_typeIjLj2EENS0_17counting_iteratorIjlEEPS9_SG_NS0_5tupleIJPjSI_NS0_16reverse_iteratorISI_EEEEENSH_IJSG_SG_SG_EEES9_SI_JZNS1_25segmented_radix_sort_implINS0_14default_configELb0EPK6__halfPSP_PKlPlN2at6native12_GLOBAL__N_18offset_tEEE10hipError_tPvRmT1_PNSt15iterator_traitsIS13_E10value_typeET2_T3_PNS14_IS19_E10value_typeET4_jRbjT5_S1F_jjP12ihipStream_tbEUljE_ZNSN_ISO_Lb0ESR_SS_SU_SV_SZ_EES10_S11_S12_S13_S17_S18_S19_S1C_S1D_jS1E_jS1F_S1F_jjS1H_bEUljE0_EEES10_S11_S12_S19_S1D_S1F_T6_T7_T9_mT8_S1H_bDpT10_ENKUlT_T0_E_clISt17integral_constantIbLb1EES1U_IbLb0EEEEDaS1Q_S1R_EUlS1Q_E_NS1_11comp_targetILNS1_3genE2ELNS1_11target_archE906ELNS1_3gpuE6ELNS1_3repE0EEENS1_30default_config_static_selectorELNS0_4arch9wavefront6targetE1EEEvS13_
    .private_segment_fixed_size: 0
    .sgpr_count:     4
    .sgpr_spill_count: 0
    .symbol:         _ZN7rocprim17ROCPRIM_400000_NS6detail17trampoline_kernelINS0_13select_configILj256ELj13ELNS0_17block_load_methodE3ELS4_3ELS4_3ELNS0_20block_scan_algorithmE0ELj4294967295EEENS1_25partition_config_selectorILNS1_17partition_subalgoE4EjNS0_10empty_typeEbEEZZNS1_14partition_implILS8_4ELb0ES6_15HIP_vector_typeIjLj2EENS0_17counting_iteratorIjlEEPS9_SG_NS0_5tupleIJPjSI_NS0_16reverse_iteratorISI_EEEEENSH_IJSG_SG_SG_EEES9_SI_JZNS1_25segmented_radix_sort_implINS0_14default_configELb0EPK6__halfPSP_PKlPlN2at6native12_GLOBAL__N_18offset_tEEE10hipError_tPvRmT1_PNSt15iterator_traitsIS13_E10value_typeET2_T3_PNS14_IS19_E10value_typeET4_jRbjT5_S1F_jjP12ihipStream_tbEUljE_ZNSN_ISO_Lb0ESR_SS_SU_SV_SZ_EES10_S11_S12_S13_S17_S18_S19_S1C_S1D_jS1E_jS1F_S1F_jjS1H_bEUljE0_EEES10_S11_S12_S19_S1D_S1F_T6_T7_T9_mT8_S1H_bDpT10_ENKUlT_T0_E_clISt17integral_constantIbLb1EES1U_IbLb0EEEEDaS1Q_S1R_EUlS1Q_E_NS1_11comp_targetILNS1_3genE2ELNS1_11target_archE906ELNS1_3gpuE6ELNS1_3repE0EEENS1_30default_config_static_selectorELNS0_4arch9wavefront6targetE1EEEvS13_.kd
    .uniform_work_group_size: 1
    .uses_dynamic_stack: false
    .vgpr_count:     0
    .vgpr_spill_count: 0
    .wavefront_size: 64
  - .agpr_count:     0
    .args:
      - .offset:         0
        .size:           176
        .value_kind:     by_value
    .group_segment_fixed_size: 0
    .kernarg_segment_align: 8
    .kernarg_segment_size: 176
    .language:       OpenCL C
    .language_version:
      - 2
      - 0
    .max_flat_workgroup_size: 256
    .name:           _ZN7rocprim17ROCPRIM_400000_NS6detail17trampoline_kernelINS0_13select_configILj256ELj13ELNS0_17block_load_methodE3ELS4_3ELS4_3ELNS0_20block_scan_algorithmE0ELj4294967295EEENS1_25partition_config_selectorILNS1_17partition_subalgoE4EjNS0_10empty_typeEbEEZZNS1_14partition_implILS8_4ELb0ES6_15HIP_vector_typeIjLj2EENS0_17counting_iteratorIjlEEPS9_SG_NS0_5tupleIJPjSI_NS0_16reverse_iteratorISI_EEEEENSH_IJSG_SG_SG_EEES9_SI_JZNS1_25segmented_radix_sort_implINS0_14default_configELb0EPK6__halfPSP_PKlPlN2at6native12_GLOBAL__N_18offset_tEEE10hipError_tPvRmT1_PNSt15iterator_traitsIS13_E10value_typeET2_T3_PNS14_IS19_E10value_typeET4_jRbjT5_S1F_jjP12ihipStream_tbEUljE_ZNSN_ISO_Lb0ESR_SS_SU_SV_SZ_EES10_S11_S12_S13_S17_S18_S19_S1C_S1D_jS1E_jS1F_S1F_jjS1H_bEUljE0_EEES10_S11_S12_S19_S1D_S1F_T6_T7_T9_mT8_S1H_bDpT10_ENKUlT_T0_E_clISt17integral_constantIbLb1EES1U_IbLb0EEEEDaS1Q_S1R_EUlS1Q_E_NS1_11comp_targetILNS1_3genE10ELNS1_11target_archE1200ELNS1_3gpuE4ELNS1_3repE0EEENS1_30default_config_static_selectorELNS0_4arch9wavefront6targetE1EEEvS13_
    .private_segment_fixed_size: 0
    .sgpr_count:     4
    .sgpr_spill_count: 0
    .symbol:         _ZN7rocprim17ROCPRIM_400000_NS6detail17trampoline_kernelINS0_13select_configILj256ELj13ELNS0_17block_load_methodE3ELS4_3ELS4_3ELNS0_20block_scan_algorithmE0ELj4294967295EEENS1_25partition_config_selectorILNS1_17partition_subalgoE4EjNS0_10empty_typeEbEEZZNS1_14partition_implILS8_4ELb0ES6_15HIP_vector_typeIjLj2EENS0_17counting_iteratorIjlEEPS9_SG_NS0_5tupleIJPjSI_NS0_16reverse_iteratorISI_EEEEENSH_IJSG_SG_SG_EEES9_SI_JZNS1_25segmented_radix_sort_implINS0_14default_configELb0EPK6__halfPSP_PKlPlN2at6native12_GLOBAL__N_18offset_tEEE10hipError_tPvRmT1_PNSt15iterator_traitsIS13_E10value_typeET2_T3_PNS14_IS19_E10value_typeET4_jRbjT5_S1F_jjP12ihipStream_tbEUljE_ZNSN_ISO_Lb0ESR_SS_SU_SV_SZ_EES10_S11_S12_S13_S17_S18_S19_S1C_S1D_jS1E_jS1F_S1F_jjS1H_bEUljE0_EEES10_S11_S12_S19_S1D_S1F_T6_T7_T9_mT8_S1H_bDpT10_ENKUlT_T0_E_clISt17integral_constantIbLb1EES1U_IbLb0EEEEDaS1Q_S1R_EUlS1Q_E_NS1_11comp_targetILNS1_3genE10ELNS1_11target_archE1200ELNS1_3gpuE4ELNS1_3repE0EEENS1_30default_config_static_selectorELNS0_4arch9wavefront6targetE1EEEvS13_.kd
    .uniform_work_group_size: 1
    .uses_dynamic_stack: false
    .vgpr_count:     0
    .vgpr_spill_count: 0
    .wavefront_size: 64
  - .agpr_count:     0
    .args:
      - .offset:         0
        .size:           176
        .value_kind:     by_value
    .group_segment_fixed_size: 0
    .kernarg_segment_align: 8
    .kernarg_segment_size: 176
    .language:       OpenCL C
    .language_version:
      - 2
      - 0
    .max_flat_workgroup_size: 256
    .name:           _ZN7rocprim17ROCPRIM_400000_NS6detail17trampoline_kernelINS0_13select_configILj256ELj13ELNS0_17block_load_methodE3ELS4_3ELS4_3ELNS0_20block_scan_algorithmE0ELj4294967295EEENS1_25partition_config_selectorILNS1_17partition_subalgoE4EjNS0_10empty_typeEbEEZZNS1_14partition_implILS8_4ELb0ES6_15HIP_vector_typeIjLj2EENS0_17counting_iteratorIjlEEPS9_SG_NS0_5tupleIJPjSI_NS0_16reverse_iteratorISI_EEEEENSH_IJSG_SG_SG_EEES9_SI_JZNS1_25segmented_radix_sort_implINS0_14default_configELb0EPK6__halfPSP_PKlPlN2at6native12_GLOBAL__N_18offset_tEEE10hipError_tPvRmT1_PNSt15iterator_traitsIS13_E10value_typeET2_T3_PNS14_IS19_E10value_typeET4_jRbjT5_S1F_jjP12ihipStream_tbEUljE_ZNSN_ISO_Lb0ESR_SS_SU_SV_SZ_EES10_S11_S12_S13_S17_S18_S19_S1C_S1D_jS1E_jS1F_S1F_jjS1H_bEUljE0_EEES10_S11_S12_S19_S1D_S1F_T6_T7_T9_mT8_S1H_bDpT10_ENKUlT_T0_E_clISt17integral_constantIbLb1EES1U_IbLb0EEEEDaS1Q_S1R_EUlS1Q_E_NS1_11comp_targetILNS1_3genE9ELNS1_11target_archE1100ELNS1_3gpuE3ELNS1_3repE0EEENS1_30default_config_static_selectorELNS0_4arch9wavefront6targetE1EEEvS13_
    .private_segment_fixed_size: 0
    .sgpr_count:     4
    .sgpr_spill_count: 0
    .symbol:         _ZN7rocprim17ROCPRIM_400000_NS6detail17trampoline_kernelINS0_13select_configILj256ELj13ELNS0_17block_load_methodE3ELS4_3ELS4_3ELNS0_20block_scan_algorithmE0ELj4294967295EEENS1_25partition_config_selectorILNS1_17partition_subalgoE4EjNS0_10empty_typeEbEEZZNS1_14partition_implILS8_4ELb0ES6_15HIP_vector_typeIjLj2EENS0_17counting_iteratorIjlEEPS9_SG_NS0_5tupleIJPjSI_NS0_16reverse_iteratorISI_EEEEENSH_IJSG_SG_SG_EEES9_SI_JZNS1_25segmented_radix_sort_implINS0_14default_configELb0EPK6__halfPSP_PKlPlN2at6native12_GLOBAL__N_18offset_tEEE10hipError_tPvRmT1_PNSt15iterator_traitsIS13_E10value_typeET2_T3_PNS14_IS19_E10value_typeET4_jRbjT5_S1F_jjP12ihipStream_tbEUljE_ZNSN_ISO_Lb0ESR_SS_SU_SV_SZ_EES10_S11_S12_S13_S17_S18_S19_S1C_S1D_jS1E_jS1F_S1F_jjS1H_bEUljE0_EEES10_S11_S12_S19_S1D_S1F_T6_T7_T9_mT8_S1H_bDpT10_ENKUlT_T0_E_clISt17integral_constantIbLb1EES1U_IbLb0EEEEDaS1Q_S1R_EUlS1Q_E_NS1_11comp_targetILNS1_3genE9ELNS1_11target_archE1100ELNS1_3gpuE3ELNS1_3repE0EEENS1_30default_config_static_selectorELNS0_4arch9wavefront6targetE1EEEvS13_.kd
    .uniform_work_group_size: 1
    .uses_dynamic_stack: false
    .vgpr_count:     0
    .vgpr_spill_count: 0
    .wavefront_size: 64
  - .agpr_count:     0
    .args:
      - .offset:         0
        .size:           176
        .value_kind:     by_value
    .group_segment_fixed_size: 0
    .kernarg_segment_align: 8
    .kernarg_segment_size: 176
    .language:       OpenCL C
    .language_version:
      - 2
      - 0
    .max_flat_workgroup_size: 256
    .name:           _ZN7rocprim17ROCPRIM_400000_NS6detail17trampoline_kernelINS0_13select_configILj256ELj13ELNS0_17block_load_methodE3ELS4_3ELS4_3ELNS0_20block_scan_algorithmE0ELj4294967295EEENS1_25partition_config_selectorILNS1_17partition_subalgoE4EjNS0_10empty_typeEbEEZZNS1_14partition_implILS8_4ELb0ES6_15HIP_vector_typeIjLj2EENS0_17counting_iteratorIjlEEPS9_SG_NS0_5tupleIJPjSI_NS0_16reverse_iteratorISI_EEEEENSH_IJSG_SG_SG_EEES9_SI_JZNS1_25segmented_radix_sort_implINS0_14default_configELb0EPK6__halfPSP_PKlPlN2at6native12_GLOBAL__N_18offset_tEEE10hipError_tPvRmT1_PNSt15iterator_traitsIS13_E10value_typeET2_T3_PNS14_IS19_E10value_typeET4_jRbjT5_S1F_jjP12ihipStream_tbEUljE_ZNSN_ISO_Lb0ESR_SS_SU_SV_SZ_EES10_S11_S12_S13_S17_S18_S19_S1C_S1D_jS1E_jS1F_S1F_jjS1H_bEUljE0_EEES10_S11_S12_S19_S1D_S1F_T6_T7_T9_mT8_S1H_bDpT10_ENKUlT_T0_E_clISt17integral_constantIbLb1EES1U_IbLb0EEEEDaS1Q_S1R_EUlS1Q_E_NS1_11comp_targetILNS1_3genE8ELNS1_11target_archE1030ELNS1_3gpuE2ELNS1_3repE0EEENS1_30default_config_static_selectorELNS0_4arch9wavefront6targetE1EEEvS13_
    .private_segment_fixed_size: 0
    .sgpr_count:     4
    .sgpr_spill_count: 0
    .symbol:         _ZN7rocprim17ROCPRIM_400000_NS6detail17trampoline_kernelINS0_13select_configILj256ELj13ELNS0_17block_load_methodE3ELS4_3ELS4_3ELNS0_20block_scan_algorithmE0ELj4294967295EEENS1_25partition_config_selectorILNS1_17partition_subalgoE4EjNS0_10empty_typeEbEEZZNS1_14partition_implILS8_4ELb0ES6_15HIP_vector_typeIjLj2EENS0_17counting_iteratorIjlEEPS9_SG_NS0_5tupleIJPjSI_NS0_16reverse_iteratorISI_EEEEENSH_IJSG_SG_SG_EEES9_SI_JZNS1_25segmented_radix_sort_implINS0_14default_configELb0EPK6__halfPSP_PKlPlN2at6native12_GLOBAL__N_18offset_tEEE10hipError_tPvRmT1_PNSt15iterator_traitsIS13_E10value_typeET2_T3_PNS14_IS19_E10value_typeET4_jRbjT5_S1F_jjP12ihipStream_tbEUljE_ZNSN_ISO_Lb0ESR_SS_SU_SV_SZ_EES10_S11_S12_S13_S17_S18_S19_S1C_S1D_jS1E_jS1F_S1F_jjS1H_bEUljE0_EEES10_S11_S12_S19_S1D_S1F_T6_T7_T9_mT8_S1H_bDpT10_ENKUlT_T0_E_clISt17integral_constantIbLb1EES1U_IbLb0EEEEDaS1Q_S1R_EUlS1Q_E_NS1_11comp_targetILNS1_3genE8ELNS1_11target_archE1030ELNS1_3gpuE2ELNS1_3repE0EEENS1_30default_config_static_selectorELNS0_4arch9wavefront6targetE1EEEvS13_.kd
    .uniform_work_group_size: 1
    .uses_dynamic_stack: false
    .vgpr_count:     0
    .vgpr_spill_count: 0
    .wavefront_size: 64
  - .agpr_count:     0
    .args:
      - .offset:         0
        .size:           184
        .value_kind:     by_value
    .group_segment_fixed_size: 0
    .kernarg_segment_align: 8
    .kernarg_segment_size: 184
    .language:       OpenCL C
    .language_version:
      - 2
      - 0
    .max_flat_workgroup_size: 256
    .name:           _ZN7rocprim17ROCPRIM_400000_NS6detail17trampoline_kernelINS0_13select_configILj256ELj13ELNS0_17block_load_methodE3ELS4_3ELS4_3ELNS0_20block_scan_algorithmE0ELj4294967295EEENS1_25partition_config_selectorILNS1_17partition_subalgoE4EjNS0_10empty_typeEbEEZZNS1_14partition_implILS8_4ELb0ES6_15HIP_vector_typeIjLj2EENS0_17counting_iteratorIjlEEPS9_SG_NS0_5tupleIJPjSI_NS0_16reverse_iteratorISI_EEEEENSH_IJSG_SG_SG_EEES9_SI_JZNS1_25segmented_radix_sort_implINS0_14default_configELb0EPK6__halfPSP_PKlPlN2at6native12_GLOBAL__N_18offset_tEEE10hipError_tPvRmT1_PNSt15iterator_traitsIS13_E10value_typeET2_T3_PNS14_IS19_E10value_typeET4_jRbjT5_S1F_jjP12ihipStream_tbEUljE_ZNSN_ISO_Lb0ESR_SS_SU_SV_SZ_EES10_S11_S12_S13_S17_S18_S19_S1C_S1D_jS1E_jS1F_S1F_jjS1H_bEUljE0_EEES10_S11_S12_S19_S1D_S1F_T6_T7_T9_mT8_S1H_bDpT10_ENKUlT_T0_E_clISt17integral_constantIbLb0EES1U_IbLb1EEEEDaS1Q_S1R_EUlS1Q_E_NS1_11comp_targetILNS1_3genE0ELNS1_11target_archE4294967295ELNS1_3gpuE0ELNS1_3repE0EEENS1_30default_config_static_selectorELNS0_4arch9wavefront6targetE1EEEvS13_
    .private_segment_fixed_size: 0
    .sgpr_count:     4
    .sgpr_spill_count: 0
    .symbol:         _ZN7rocprim17ROCPRIM_400000_NS6detail17trampoline_kernelINS0_13select_configILj256ELj13ELNS0_17block_load_methodE3ELS4_3ELS4_3ELNS0_20block_scan_algorithmE0ELj4294967295EEENS1_25partition_config_selectorILNS1_17partition_subalgoE4EjNS0_10empty_typeEbEEZZNS1_14partition_implILS8_4ELb0ES6_15HIP_vector_typeIjLj2EENS0_17counting_iteratorIjlEEPS9_SG_NS0_5tupleIJPjSI_NS0_16reverse_iteratorISI_EEEEENSH_IJSG_SG_SG_EEES9_SI_JZNS1_25segmented_radix_sort_implINS0_14default_configELb0EPK6__halfPSP_PKlPlN2at6native12_GLOBAL__N_18offset_tEEE10hipError_tPvRmT1_PNSt15iterator_traitsIS13_E10value_typeET2_T3_PNS14_IS19_E10value_typeET4_jRbjT5_S1F_jjP12ihipStream_tbEUljE_ZNSN_ISO_Lb0ESR_SS_SU_SV_SZ_EES10_S11_S12_S13_S17_S18_S19_S1C_S1D_jS1E_jS1F_S1F_jjS1H_bEUljE0_EEES10_S11_S12_S19_S1D_S1F_T6_T7_T9_mT8_S1H_bDpT10_ENKUlT_T0_E_clISt17integral_constantIbLb0EES1U_IbLb1EEEEDaS1Q_S1R_EUlS1Q_E_NS1_11comp_targetILNS1_3genE0ELNS1_11target_archE4294967295ELNS1_3gpuE0ELNS1_3repE0EEENS1_30default_config_static_selectorELNS0_4arch9wavefront6targetE1EEEvS13_.kd
    .uniform_work_group_size: 1
    .uses_dynamic_stack: false
    .vgpr_count:     0
    .vgpr_spill_count: 0
    .wavefront_size: 64
  - .agpr_count:     0
    .args:
      - .offset:         0
        .size:           184
        .value_kind:     by_value
    .group_segment_fixed_size: 0
    .kernarg_segment_align: 8
    .kernarg_segment_size: 184
    .language:       OpenCL C
    .language_version:
      - 2
      - 0
    .max_flat_workgroup_size: 256
    .name:           _ZN7rocprim17ROCPRIM_400000_NS6detail17trampoline_kernelINS0_13select_configILj256ELj13ELNS0_17block_load_methodE3ELS4_3ELS4_3ELNS0_20block_scan_algorithmE0ELj4294967295EEENS1_25partition_config_selectorILNS1_17partition_subalgoE4EjNS0_10empty_typeEbEEZZNS1_14partition_implILS8_4ELb0ES6_15HIP_vector_typeIjLj2EENS0_17counting_iteratorIjlEEPS9_SG_NS0_5tupleIJPjSI_NS0_16reverse_iteratorISI_EEEEENSH_IJSG_SG_SG_EEES9_SI_JZNS1_25segmented_radix_sort_implINS0_14default_configELb0EPK6__halfPSP_PKlPlN2at6native12_GLOBAL__N_18offset_tEEE10hipError_tPvRmT1_PNSt15iterator_traitsIS13_E10value_typeET2_T3_PNS14_IS19_E10value_typeET4_jRbjT5_S1F_jjP12ihipStream_tbEUljE_ZNSN_ISO_Lb0ESR_SS_SU_SV_SZ_EES10_S11_S12_S13_S17_S18_S19_S1C_S1D_jS1E_jS1F_S1F_jjS1H_bEUljE0_EEES10_S11_S12_S19_S1D_S1F_T6_T7_T9_mT8_S1H_bDpT10_ENKUlT_T0_E_clISt17integral_constantIbLb0EES1U_IbLb1EEEEDaS1Q_S1R_EUlS1Q_E_NS1_11comp_targetILNS1_3genE5ELNS1_11target_archE942ELNS1_3gpuE9ELNS1_3repE0EEENS1_30default_config_static_selectorELNS0_4arch9wavefront6targetE1EEEvS13_
    .private_segment_fixed_size: 0
    .sgpr_count:     4
    .sgpr_spill_count: 0
    .symbol:         _ZN7rocprim17ROCPRIM_400000_NS6detail17trampoline_kernelINS0_13select_configILj256ELj13ELNS0_17block_load_methodE3ELS4_3ELS4_3ELNS0_20block_scan_algorithmE0ELj4294967295EEENS1_25partition_config_selectorILNS1_17partition_subalgoE4EjNS0_10empty_typeEbEEZZNS1_14partition_implILS8_4ELb0ES6_15HIP_vector_typeIjLj2EENS0_17counting_iteratorIjlEEPS9_SG_NS0_5tupleIJPjSI_NS0_16reverse_iteratorISI_EEEEENSH_IJSG_SG_SG_EEES9_SI_JZNS1_25segmented_radix_sort_implINS0_14default_configELb0EPK6__halfPSP_PKlPlN2at6native12_GLOBAL__N_18offset_tEEE10hipError_tPvRmT1_PNSt15iterator_traitsIS13_E10value_typeET2_T3_PNS14_IS19_E10value_typeET4_jRbjT5_S1F_jjP12ihipStream_tbEUljE_ZNSN_ISO_Lb0ESR_SS_SU_SV_SZ_EES10_S11_S12_S13_S17_S18_S19_S1C_S1D_jS1E_jS1F_S1F_jjS1H_bEUljE0_EEES10_S11_S12_S19_S1D_S1F_T6_T7_T9_mT8_S1H_bDpT10_ENKUlT_T0_E_clISt17integral_constantIbLb0EES1U_IbLb1EEEEDaS1Q_S1R_EUlS1Q_E_NS1_11comp_targetILNS1_3genE5ELNS1_11target_archE942ELNS1_3gpuE9ELNS1_3repE0EEENS1_30default_config_static_selectorELNS0_4arch9wavefront6targetE1EEEvS13_.kd
    .uniform_work_group_size: 1
    .uses_dynamic_stack: false
    .vgpr_count:     0
    .vgpr_spill_count: 0
    .wavefront_size: 64
  - .agpr_count:     0
    .args:
      - .offset:         0
        .size:           184
        .value_kind:     by_value
    .group_segment_fixed_size: 13340
    .kernarg_segment_align: 8
    .kernarg_segment_size: 184
    .language:       OpenCL C
    .language_version:
      - 2
      - 0
    .max_flat_workgroup_size: 256
    .name:           _ZN7rocprim17ROCPRIM_400000_NS6detail17trampoline_kernelINS0_13select_configILj256ELj13ELNS0_17block_load_methodE3ELS4_3ELS4_3ELNS0_20block_scan_algorithmE0ELj4294967295EEENS1_25partition_config_selectorILNS1_17partition_subalgoE4EjNS0_10empty_typeEbEEZZNS1_14partition_implILS8_4ELb0ES6_15HIP_vector_typeIjLj2EENS0_17counting_iteratorIjlEEPS9_SG_NS0_5tupleIJPjSI_NS0_16reverse_iteratorISI_EEEEENSH_IJSG_SG_SG_EEES9_SI_JZNS1_25segmented_radix_sort_implINS0_14default_configELb0EPK6__halfPSP_PKlPlN2at6native12_GLOBAL__N_18offset_tEEE10hipError_tPvRmT1_PNSt15iterator_traitsIS13_E10value_typeET2_T3_PNS14_IS19_E10value_typeET4_jRbjT5_S1F_jjP12ihipStream_tbEUljE_ZNSN_ISO_Lb0ESR_SS_SU_SV_SZ_EES10_S11_S12_S13_S17_S18_S19_S1C_S1D_jS1E_jS1F_S1F_jjS1H_bEUljE0_EEES10_S11_S12_S19_S1D_S1F_T6_T7_T9_mT8_S1H_bDpT10_ENKUlT_T0_E_clISt17integral_constantIbLb0EES1U_IbLb1EEEEDaS1Q_S1R_EUlS1Q_E_NS1_11comp_targetILNS1_3genE4ELNS1_11target_archE910ELNS1_3gpuE8ELNS1_3repE0EEENS1_30default_config_static_selectorELNS0_4arch9wavefront6targetE1EEEvS13_
    .private_segment_fixed_size: 0
    .sgpr_count:     91
    .sgpr_spill_count: 0
    .symbol:         _ZN7rocprim17ROCPRIM_400000_NS6detail17trampoline_kernelINS0_13select_configILj256ELj13ELNS0_17block_load_methodE3ELS4_3ELS4_3ELNS0_20block_scan_algorithmE0ELj4294967295EEENS1_25partition_config_selectorILNS1_17partition_subalgoE4EjNS0_10empty_typeEbEEZZNS1_14partition_implILS8_4ELb0ES6_15HIP_vector_typeIjLj2EENS0_17counting_iteratorIjlEEPS9_SG_NS0_5tupleIJPjSI_NS0_16reverse_iteratorISI_EEEEENSH_IJSG_SG_SG_EEES9_SI_JZNS1_25segmented_radix_sort_implINS0_14default_configELb0EPK6__halfPSP_PKlPlN2at6native12_GLOBAL__N_18offset_tEEE10hipError_tPvRmT1_PNSt15iterator_traitsIS13_E10value_typeET2_T3_PNS14_IS19_E10value_typeET4_jRbjT5_S1F_jjP12ihipStream_tbEUljE_ZNSN_ISO_Lb0ESR_SS_SU_SV_SZ_EES10_S11_S12_S13_S17_S18_S19_S1C_S1D_jS1E_jS1F_S1F_jjS1H_bEUljE0_EEES10_S11_S12_S19_S1D_S1F_T6_T7_T9_mT8_S1H_bDpT10_ENKUlT_T0_E_clISt17integral_constantIbLb0EES1U_IbLb1EEEEDaS1Q_S1R_EUlS1Q_E_NS1_11comp_targetILNS1_3genE4ELNS1_11target_archE910ELNS1_3gpuE8ELNS1_3repE0EEENS1_30default_config_static_selectorELNS0_4arch9wavefront6targetE1EEEvS13_.kd
    .uniform_work_group_size: 1
    .uses_dynamic_stack: false
    .vgpr_count:     107
    .vgpr_spill_count: 0
    .wavefront_size: 64
  - .agpr_count:     0
    .args:
      - .offset:         0
        .size:           184
        .value_kind:     by_value
    .group_segment_fixed_size: 0
    .kernarg_segment_align: 8
    .kernarg_segment_size: 184
    .language:       OpenCL C
    .language_version:
      - 2
      - 0
    .max_flat_workgroup_size: 256
    .name:           _ZN7rocprim17ROCPRIM_400000_NS6detail17trampoline_kernelINS0_13select_configILj256ELj13ELNS0_17block_load_methodE3ELS4_3ELS4_3ELNS0_20block_scan_algorithmE0ELj4294967295EEENS1_25partition_config_selectorILNS1_17partition_subalgoE4EjNS0_10empty_typeEbEEZZNS1_14partition_implILS8_4ELb0ES6_15HIP_vector_typeIjLj2EENS0_17counting_iteratorIjlEEPS9_SG_NS0_5tupleIJPjSI_NS0_16reverse_iteratorISI_EEEEENSH_IJSG_SG_SG_EEES9_SI_JZNS1_25segmented_radix_sort_implINS0_14default_configELb0EPK6__halfPSP_PKlPlN2at6native12_GLOBAL__N_18offset_tEEE10hipError_tPvRmT1_PNSt15iterator_traitsIS13_E10value_typeET2_T3_PNS14_IS19_E10value_typeET4_jRbjT5_S1F_jjP12ihipStream_tbEUljE_ZNSN_ISO_Lb0ESR_SS_SU_SV_SZ_EES10_S11_S12_S13_S17_S18_S19_S1C_S1D_jS1E_jS1F_S1F_jjS1H_bEUljE0_EEES10_S11_S12_S19_S1D_S1F_T6_T7_T9_mT8_S1H_bDpT10_ENKUlT_T0_E_clISt17integral_constantIbLb0EES1U_IbLb1EEEEDaS1Q_S1R_EUlS1Q_E_NS1_11comp_targetILNS1_3genE3ELNS1_11target_archE908ELNS1_3gpuE7ELNS1_3repE0EEENS1_30default_config_static_selectorELNS0_4arch9wavefront6targetE1EEEvS13_
    .private_segment_fixed_size: 0
    .sgpr_count:     4
    .sgpr_spill_count: 0
    .symbol:         _ZN7rocprim17ROCPRIM_400000_NS6detail17trampoline_kernelINS0_13select_configILj256ELj13ELNS0_17block_load_methodE3ELS4_3ELS4_3ELNS0_20block_scan_algorithmE0ELj4294967295EEENS1_25partition_config_selectorILNS1_17partition_subalgoE4EjNS0_10empty_typeEbEEZZNS1_14partition_implILS8_4ELb0ES6_15HIP_vector_typeIjLj2EENS0_17counting_iteratorIjlEEPS9_SG_NS0_5tupleIJPjSI_NS0_16reverse_iteratorISI_EEEEENSH_IJSG_SG_SG_EEES9_SI_JZNS1_25segmented_radix_sort_implINS0_14default_configELb0EPK6__halfPSP_PKlPlN2at6native12_GLOBAL__N_18offset_tEEE10hipError_tPvRmT1_PNSt15iterator_traitsIS13_E10value_typeET2_T3_PNS14_IS19_E10value_typeET4_jRbjT5_S1F_jjP12ihipStream_tbEUljE_ZNSN_ISO_Lb0ESR_SS_SU_SV_SZ_EES10_S11_S12_S13_S17_S18_S19_S1C_S1D_jS1E_jS1F_S1F_jjS1H_bEUljE0_EEES10_S11_S12_S19_S1D_S1F_T6_T7_T9_mT8_S1H_bDpT10_ENKUlT_T0_E_clISt17integral_constantIbLb0EES1U_IbLb1EEEEDaS1Q_S1R_EUlS1Q_E_NS1_11comp_targetILNS1_3genE3ELNS1_11target_archE908ELNS1_3gpuE7ELNS1_3repE0EEENS1_30default_config_static_selectorELNS0_4arch9wavefront6targetE1EEEvS13_.kd
    .uniform_work_group_size: 1
    .uses_dynamic_stack: false
    .vgpr_count:     0
    .vgpr_spill_count: 0
    .wavefront_size: 64
  - .agpr_count:     0
    .args:
      - .offset:         0
        .size:           184
        .value_kind:     by_value
    .group_segment_fixed_size: 0
    .kernarg_segment_align: 8
    .kernarg_segment_size: 184
    .language:       OpenCL C
    .language_version:
      - 2
      - 0
    .max_flat_workgroup_size: 256
    .name:           _ZN7rocprim17ROCPRIM_400000_NS6detail17trampoline_kernelINS0_13select_configILj256ELj13ELNS0_17block_load_methodE3ELS4_3ELS4_3ELNS0_20block_scan_algorithmE0ELj4294967295EEENS1_25partition_config_selectorILNS1_17partition_subalgoE4EjNS0_10empty_typeEbEEZZNS1_14partition_implILS8_4ELb0ES6_15HIP_vector_typeIjLj2EENS0_17counting_iteratorIjlEEPS9_SG_NS0_5tupleIJPjSI_NS0_16reverse_iteratorISI_EEEEENSH_IJSG_SG_SG_EEES9_SI_JZNS1_25segmented_radix_sort_implINS0_14default_configELb0EPK6__halfPSP_PKlPlN2at6native12_GLOBAL__N_18offset_tEEE10hipError_tPvRmT1_PNSt15iterator_traitsIS13_E10value_typeET2_T3_PNS14_IS19_E10value_typeET4_jRbjT5_S1F_jjP12ihipStream_tbEUljE_ZNSN_ISO_Lb0ESR_SS_SU_SV_SZ_EES10_S11_S12_S13_S17_S18_S19_S1C_S1D_jS1E_jS1F_S1F_jjS1H_bEUljE0_EEES10_S11_S12_S19_S1D_S1F_T6_T7_T9_mT8_S1H_bDpT10_ENKUlT_T0_E_clISt17integral_constantIbLb0EES1U_IbLb1EEEEDaS1Q_S1R_EUlS1Q_E_NS1_11comp_targetILNS1_3genE2ELNS1_11target_archE906ELNS1_3gpuE6ELNS1_3repE0EEENS1_30default_config_static_selectorELNS0_4arch9wavefront6targetE1EEEvS13_
    .private_segment_fixed_size: 0
    .sgpr_count:     4
    .sgpr_spill_count: 0
    .symbol:         _ZN7rocprim17ROCPRIM_400000_NS6detail17trampoline_kernelINS0_13select_configILj256ELj13ELNS0_17block_load_methodE3ELS4_3ELS4_3ELNS0_20block_scan_algorithmE0ELj4294967295EEENS1_25partition_config_selectorILNS1_17partition_subalgoE4EjNS0_10empty_typeEbEEZZNS1_14partition_implILS8_4ELb0ES6_15HIP_vector_typeIjLj2EENS0_17counting_iteratorIjlEEPS9_SG_NS0_5tupleIJPjSI_NS0_16reverse_iteratorISI_EEEEENSH_IJSG_SG_SG_EEES9_SI_JZNS1_25segmented_radix_sort_implINS0_14default_configELb0EPK6__halfPSP_PKlPlN2at6native12_GLOBAL__N_18offset_tEEE10hipError_tPvRmT1_PNSt15iterator_traitsIS13_E10value_typeET2_T3_PNS14_IS19_E10value_typeET4_jRbjT5_S1F_jjP12ihipStream_tbEUljE_ZNSN_ISO_Lb0ESR_SS_SU_SV_SZ_EES10_S11_S12_S13_S17_S18_S19_S1C_S1D_jS1E_jS1F_S1F_jjS1H_bEUljE0_EEES10_S11_S12_S19_S1D_S1F_T6_T7_T9_mT8_S1H_bDpT10_ENKUlT_T0_E_clISt17integral_constantIbLb0EES1U_IbLb1EEEEDaS1Q_S1R_EUlS1Q_E_NS1_11comp_targetILNS1_3genE2ELNS1_11target_archE906ELNS1_3gpuE6ELNS1_3repE0EEENS1_30default_config_static_selectorELNS0_4arch9wavefront6targetE1EEEvS13_.kd
    .uniform_work_group_size: 1
    .uses_dynamic_stack: false
    .vgpr_count:     0
    .vgpr_spill_count: 0
    .wavefront_size: 64
  - .agpr_count:     0
    .args:
      - .offset:         0
        .size:           184
        .value_kind:     by_value
    .group_segment_fixed_size: 0
    .kernarg_segment_align: 8
    .kernarg_segment_size: 184
    .language:       OpenCL C
    .language_version:
      - 2
      - 0
    .max_flat_workgroup_size: 256
    .name:           _ZN7rocprim17ROCPRIM_400000_NS6detail17trampoline_kernelINS0_13select_configILj256ELj13ELNS0_17block_load_methodE3ELS4_3ELS4_3ELNS0_20block_scan_algorithmE0ELj4294967295EEENS1_25partition_config_selectorILNS1_17partition_subalgoE4EjNS0_10empty_typeEbEEZZNS1_14partition_implILS8_4ELb0ES6_15HIP_vector_typeIjLj2EENS0_17counting_iteratorIjlEEPS9_SG_NS0_5tupleIJPjSI_NS0_16reverse_iteratorISI_EEEEENSH_IJSG_SG_SG_EEES9_SI_JZNS1_25segmented_radix_sort_implINS0_14default_configELb0EPK6__halfPSP_PKlPlN2at6native12_GLOBAL__N_18offset_tEEE10hipError_tPvRmT1_PNSt15iterator_traitsIS13_E10value_typeET2_T3_PNS14_IS19_E10value_typeET4_jRbjT5_S1F_jjP12ihipStream_tbEUljE_ZNSN_ISO_Lb0ESR_SS_SU_SV_SZ_EES10_S11_S12_S13_S17_S18_S19_S1C_S1D_jS1E_jS1F_S1F_jjS1H_bEUljE0_EEES10_S11_S12_S19_S1D_S1F_T6_T7_T9_mT8_S1H_bDpT10_ENKUlT_T0_E_clISt17integral_constantIbLb0EES1U_IbLb1EEEEDaS1Q_S1R_EUlS1Q_E_NS1_11comp_targetILNS1_3genE10ELNS1_11target_archE1200ELNS1_3gpuE4ELNS1_3repE0EEENS1_30default_config_static_selectorELNS0_4arch9wavefront6targetE1EEEvS13_
    .private_segment_fixed_size: 0
    .sgpr_count:     4
    .sgpr_spill_count: 0
    .symbol:         _ZN7rocprim17ROCPRIM_400000_NS6detail17trampoline_kernelINS0_13select_configILj256ELj13ELNS0_17block_load_methodE3ELS4_3ELS4_3ELNS0_20block_scan_algorithmE0ELj4294967295EEENS1_25partition_config_selectorILNS1_17partition_subalgoE4EjNS0_10empty_typeEbEEZZNS1_14partition_implILS8_4ELb0ES6_15HIP_vector_typeIjLj2EENS0_17counting_iteratorIjlEEPS9_SG_NS0_5tupleIJPjSI_NS0_16reverse_iteratorISI_EEEEENSH_IJSG_SG_SG_EEES9_SI_JZNS1_25segmented_radix_sort_implINS0_14default_configELb0EPK6__halfPSP_PKlPlN2at6native12_GLOBAL__N_18offset_tEEE10hipError_tPvRmT1_PNSt15iterator_traitsIS13_E10value_typeET2_T3_PNS14_IS19_E10value_typeET4_jRbjT5_S1F_jjP12ihipStream_tbEUljE_ZNSN_ISO_Lb0ESR_SS_SU_SV_SZ_EES10_S11_S12_S13_S17_S18_S19_S1C_S1D_jS1E_jS1F_S1F_jjS1H_bEUljE0_EEES10_S11_S12_S19_S1D_S1F_T6_T7_T9_mT8_S1H_bDpT10_ENKUlT_T0_E_clISt17integral_constantIbLb0EES1U_IbLb1EEEEDaS1Q_S1R_EUlS1Q_E_NS1_11comp_targetILNS1_3genE10ELNS1_11target_archE1200ELNS1_3gpuE4ELNS1_3repE0EEENS1_30default_config_static_selectorELNS0_4arch9wavefront6targetE1EEEvS13_.kd
    .uniform_work_group_size: 1
    .uses_dynamic_stack: false
    .vgpr_count:     0
    .vgpr_spill_count: 0
    .wavefront_size: 64
  - .agpr_count:     0
    .args:
      - .offset:         0
        .size:           184
        .value_kind:     by_value
    .group_segment_fixed_size: 0
    .kernarg_segment_align: 8
    .kernarg_segment_size: 184
    .language:       OpenCL C
    .language_version:
      - 2
      - 0
    .max_flat_workgroup_size: 256
    .name:           _ZN7rocprim17ROCPRIM_400000_NS6detail17trampoline_kernelINS0_13select_configILj256ELj13ELNS0_17block_load_methodE3ELS4_3ELS4_3ELNS0_20block_scan_algorithmE0ELj4294967295EEENS1_25partition_config_selectorILNS1_17partition_subalgoE4EjNS0_10empty_typeEbEEZZNS1_14partition_implILS8_4ELb0ES6_15HIP_vector_typeIjLj2EENS0_17counting_iteratorIjlEEPS9_SG_NS0_5tupleIJPjSI_NS0_16reverse_iteratorISI_EEEEENSH_IJSG_SG_SG_EEES9_SI_JZNS1_25segmented_radix_sort_implINS0_14default_configELb0EPK6__halfPSP_PKlPlN2at6native12_GLOBAL__N_18offset_tEEE10hipError_tPvRmT1_PNSt15iterator_traitsIS13_E10value_typeET2_T3_PNS14_IS19_E10value_typeET4_jRbjT5_S1F_jjP12ihipStream_tbEUljE_ZNSN_ISO_Lb0ESR_SS_SU_SV_SZ_EES10_S11_S12_S13_S17_S18_S19_S1C_S1D_jS1E_jS1F_S1F_jjS1H_bEUljE0_EEES10_S11_S12_S19_S1D_S1F_T6_T7_T9_mT8_S1H_bDpT10_ENKUlT_T0_E_clISt17integral_constantIbLb0EES1U_IbLb1EEEEDaS1Q_S1R_EUlS1Q_E_NS1_11comp_targetILNS1_3genE9ELNS1_11target_archE1100ELNS1_3gpuE3ELNS1_3repE0EEENS1_30default_config_static_selectorELNS0_4arch9wavefront6targetE1EEEvS13_
    .private_segment_fixed_size: 0
    .sgpr_count:     4
    .sgpr_spill_count: 0
    .symbol:         _ZN7rocprim17ROCPRIM_400000_NS6detail17trampoline_kernelINS0_13select_configILj256ELj13ELNS0_17block_load_methodE3ELS4_3ELS4_3ELNS0_20block_scan_algorithmE0ELj4294967295EEENS1_25partition_config_selectorILNS1_17partition_subalgoE4EjNS0_10empty_typeEbEEZZNS1_14partition_implILS8_4ELb0ES6_15HIP_vector_typeIjLj2EENS0_17counting_iteratorIjlEEPS9_SG_NS0_5tupleIJPjSI_NS0_16reverse_iteratorISI_EEEEENSH_IJSG_SG_SG_EEES9_SI_JZNS1_25segmented_radix_sort_implINS0_14default_configELb0EPK6__halfPSP_PKlPlN2at6native12_GLOBAL__N_18offset_tEEE10hipError_tPvRmT1_PNSt15iterator_traitsIS13_E10value_typeET2_T3_PNS14_IS19_E10value_typeET4_jRbjT5_S1F_jjP12ihipStream_tbEUljE_ZNSN_ISO_Lb0ESR_SS_SU_SV_SZ_EES10_S11_S12_S13_S17_S18_S19_S1C_S1D_jS1E_jS1F_S1F_jjS1H_bEUljE0_EEES10_S11_S12_S19_S1D_S1F_T6_T7_T9_mT8_S1H_bDpT10_ENKUlT_T0_E_clISt17integral_constantIbLb0EES1U_IbLb1EEEEDaS1Q_S1R_EUlS1Q_E_NS1_11comp_targetILNS1_3genE9ELNS1_11target_archE1100ELNS1_3gpuE3ELNS1_3repE0EEENS1_30default_config_static_selectorELNS0_4arch9wavefront6targetE1EEEvS13_.kd
    .uniform_work_group_size: 1
    .uses_dynamic_stack: false
    .vgpr_count:     0
    .vgpr_spill_count: 0
    .wavefront_size: 64
  - .agpr_count:     0
    .args:
      - .offset:         0
        .size:           184
        .value_kind:     by_value
    .group_segment_fixed_size: 0
    .kernarg_segment_align: 8
    .kernarg_segment_size: 184
    .language:       OpenCL C
    .language_version:
      - 2
      - 0
    .max_flat_workgroup_size: 256
    .name:           _ZN7rocprim17ROCPRIM_400000_NS6detail17trampoline_kernelINS0_13select_configILj256ELj13ELNS0_17block_load_methodE3ELS4_3ELS4_3ELNS0_20block_scan_algorithmE0ELj4294967295EEENS1_25partition_config_selectorILNS1_17partition_subalgoE4EjNS0_10empty_typeEbEEZZNS1_14partition_implILS8_4ELb0ES6_15HIP_vector_typeIjLj2EENS0_17counting_iteratorIjlEEPS9_SG_NS0_5tupleIJPjSI_NS0_16reverse_iteratorISI_EEEEENSH_IJSG_SG_SG_EEES9_SI_JZNS1_25segmented_radix_sort_implINS0_14default_configELb0EPK6__halfPSP_PKlPlN2at6native12_GLOBAL__N_18offset_tEEE10hipError_tPvRmT1_PNSt15iterator_traitsIS13_E10value_typeET2_T3_PNS14_IS19_E10value_typeET4_jRbjT5_S1F_jjP12ihipStream_tbEUljE_ZNSN_ISO_Lb0ESR_SS_SU_SV_SZ_EES10_S11_S12_S13_S17_S18_S19_S1C_S1D_jS1E_jS1F_S1F_jjS1H_bEUljE0_EEES10_S11_S12_S19_S1D_S1F_T6_T7_T9_mT8_S1H_bDpT10_ENKUlT_T0_E_clISt17integral_constantIbLb0EES1U_IbLb1EEEEDaS1Q_S1R_EUlS1Q_E_NS1_11comp_targetILNS1_3genE8ELNS1_11target_archE1030ELNS1_3gpuE2ELNS1_3repE0EEENS1_30default_config_static_selectorELNS0_4arch9wavefront6targetE1EEEvS13_
    .private_segment_fixed_size: 0
    .sgpr_count:     4
    .sgpr_spill_count: 0
    .symbol:         _ZN7rocprim17ROCPRIM_400000_NS6detail17trampoline_kernelINS0_13select_configILj256ELj13ELNS0_17block_load_methodE3ELS4_3ELS4_3ELNS0_20block_scan_algorithmE0ELj4294967295EEENS1_25partition_config_selectorILNS1_17partition_subalgoE4EjNS0_10empty_typeEbEEZZNS1_14partition_implILS8_4ELb0ES6_15HIP_vector_typeIjLj2EENS0_17counting_iteratorIjlEEPS9_SG_NS0_5tupleIJPjSI_NS0_16reverse_iteratorISI_EEEEENSH_IJSG_SG_SG_EEES9_SI_JZNS1_25segmented_radix_sort_implINS0_14default_configELb0EPK6__halfPSP_PKlPlN2at6native12_GLOBAL__N_18offset_tEEE10hipError_tPvRmT1_PNSt15iterator_traitsIS13_E10value_typeET2_T3_PNS14_IS19_E10value_typeET4_jRbjT5_S1F_jjP12ihipStream_tbEUljE_ZNSN_ISO_Lb0ESR_SS_SU_SV_SZ_EES10_S11_S12_S13_S17_S18_S19_S1C_S1D_jS1E_jS1F_S1F_jjS1H_bEUljE0_EEES10_S11_S12_S19_S1D_S1F_T6_T7_T9_mT8_S1H_bDpT10_ENKUlT_T0_E_clISt17integral_constantIbLb0EES1U_IbLb1EEEEDaS1Q_S1R_EUlS1Q_E_NS1_11comp_targetILNS1_3genE8ELNS1_11target_archE1030ELNS1_3gpuE2ELNS1_3repE0EEENS1_30default_config_static_selectorELNS0_4arch9wavefront6targetE1EEEvS13_.kd
    .uniform_work_group_size: 1
    .uses_dynamic_stack: false
    .vgpr_count:     0
    .vgpr_spill_count: 0
    .wavefront_size: 64
  - .agpr_count:     0
    .args:
      - .offset:         0
        .size:           144
        .value_kind:     by_value
    .group_segment_fixed_size: 0
    .kernarg_segment_align: 8
    .kernarg_segment_size: 144
    .language:       OpenCL C
    .language_version:
      - 2
      - 0
    .max_flat_workgroup_size: 256
    .name:           _ZN7rocprim17ROCPRIM_400000_NS6detail17trampoline_kernelINS0_13select_configILj256ELj13ELNS0_17block_load_methodE3ELS4_3ELS4_3ELNS0_20block_scan_algorithmE0ELj4294967295EEENS1_25partition_config_selectorILNS1_17partition_subalgoE3EjNS0_10empty_typeEbEEZZNS1_14partition_implILS8_3ELb0ES6_jNS0_17counting_iteratorIjlEEPS9_SE_NS0_5tupleIJPjSE_EEENSF_IJSE_SE_EEES9_SG_JZNS1_25segmented_radix_sort_implINS0_14default_configELb0EPK6__halfPSL_PKlPlN2at6native12_GLOBAL__N_18offset_tEEE10hipError_tPvRmT1_PNSt15iterator_traitsISZ_E10value_typeET2_T3_PNS10_IS15_E10value_typeET4_jRbjT5_S1B_jjP12ihipStream_tbEUljE_EEESW_SX_SY_S15_S19_S1B_T6_T7_T9_mT8_S1D_bDpT10_ENKUlT_T0_E_clISt17integral_constantIbLb0EES1Q_EEDaS1L_S1M_EUlS1L_E_NS1_11comp_targetILNS1_3genE0ELNS1_11target_archE4294967295ELNS1_3gpuE0ELNS1_3repE0EEENS1_30default_config_static_selectorELNS0_4arch9wavefront6targetE1EEEvSZ_
    .private_segment_fixed_size: 0
    .sgpr_count:     4
    .sgpr_spill_count: 0
    .symbol:         _ZN7rocprim17ROCPRIM_400000_NS6detail17trampoline_kernelINS0_13select_configILj256ELj13ELNS0_17block_load_methodE3ELS4_3ELS4_3ELNS0_20block_scan_algorithmE0ELj4294967295EEENS1_25partition_config_selectorILNS1_17partition_subalgoE3EjNS0_10empty_typeEbEEZZNS1_14partition_implILS8_3ELb0ES6_jNS0_17counting_iteratorIjlEEPS9_SE_NS0_5tupleIJPjSE_EEENSF_IJSE_SE_EEES9_SG_JZNS1_25segmented_radix_sort_implINS0_14default_configELb0EPK6__halfPSL_PKlPlN2at6native12_GLOBAL__N_18offset_tEEE10hipError_tPvRmT1_PNSt15iterator_traitsISZ_E10value_typeET2_T3_PNS10_IS15_E10value_typeET4_jRbjT5_S1B_jjP12ihipStream_tbEUljE_EEESW_SX_SY_S15_S19_S1B_T6_T7_T9_mT8_S1D_bDpT10_ENKUlT_T0_E_clISt17integral_constantIbLb0EES1Q_EEDaS1L_S1M_EUlS1L_E_NS1_11comp_targetILNS1_3genE0ELNS1_11target_archE4294967295ELNS1_3gpuE0ELNS1_3repE0EEENS1_30default_config_static_selectorELNS0_4arch9wavefront6targetE1EEEvSZ_.kd
    .uniform_work_group_size: 1
    .uses_dynamic_stack: false
    .vgpr_count:     0
    .vgpr_spill_count: 0
    .wavefront_size: 64
  - .agpr_count:     0
    .args:
      - .offset:         0
        .size:           144
        .value_kind:     by_value
    .group_segment_fixed_size: 0
    .kernarg_segment_align: 8
    .kernarg_segment_size: 144
    .language:       OpenCL C
    .language_version:
      - 2
      - 0
    .max_flat_workgroup_size: 256
    .name:           _ZN7rocprim17ROCPRIM_400000_NS6detail17trampoline_kernelINS0_13select_configILj256ELj13ELNS0_17block_load_methodE3ELS4_3ELS4_3ELNS0_20block_scan_algorithmE0ELj4294967295EEENS1_25partition_config_selectorILNS1_17partition_subalgoE3EjNS0_10empty_typeEbEEZZNS1_14partition_implILS8_3ELb0ES6_jNS0_17counting_iteratorIjlEEPS9_SE_NS0_5tupleIJPjSE_EEENSF_IJSE_SE_EEES9_SG_JZNS1_25segmented_radix_sort_implINS0_14default_configELb0EPK6__halfPSL_PKlPlN2at6native12_GLOBAL__N_18offset_tEEE10hipError_tPvRmT1_PNSt15iterator_traitsISZ_E10value_typeET2_T3_PNS10_IS15_E10value_typeET4_jRbjT5_S1B_jjP12ihipStream_tbEUljE_EEESW_SX_SY_S15_S19_S1B_T6_T7_T9_mT8_S1D_bDpT10_ENKUlT_T0_E_clISt17integral_constantIbLb0EES1Q_EEDaS1L_S1M_EUlS1L_E_NS1_11comp_targetILNS1_3genE5ELNS1_11target_archE942ELNS1_3gpuE9ELNS1_3repE0EEENS1_30default_config_static_selectorELNS0_4arch9wavefront6targetE1EEEvSZ_
    .private_segment_fixed_size: 0
    .sgpr_count:     4
    .sgpr_spill_count: 0
    .symbol:         _ZN7rocprim17ROCPRIM_400000_NS6detail17trampoline_kernelINS0_13select_configILj256ELj13ELNS0_17block_load_methodE3ELS4_3ELS4_3ELNS0_20block_scan_algorithmE0ELj4294967295EEENS1_25partition_config_selectorILNS1_17partition_subalgoE3EjNS0_10empty_typeEbEEZZNS1_14partition_implILS8_3ELb0ES6_jNS0_17counting_iteratorIjlEEPS9_SE_NS0_5tupleIJPjSE_EEENSF_IJSE_SE_EEES9_SG_JZNS1_25segmented_radix_sort_implINS0_14default_configELb0EPK6__halfPSL_PKlPlN2at6native12_GLOBAL__N_18offset_tEEE10hipError_tPvRmT1_PNSt15iterator_traitsISZ_E10value_typeET2_T3_PNS10_IS15_E10value_typeET4_jRbjT5_S1B_jjP12ihipStream_tbEUljE_EEESW_SX_SY_S15_S19_S1B_T6_T7_T9_mT8_S1D_bDpT10_ENKUlT_T0_E_clISt17integral_constantIbLb0EES1Q_EEDaS1L_S1M_EUlS1L_E_NS1_11comp_targetILNS1_3genE5ELNS1_11target_archE942ELNS1_3gpuE9ELNS1_3repE0EEENS1_30default_config_static_selectorELNS0_4arch9wavefront6targetE1EEEvSZ_.kd
    .uniform_work_group_size: 1
    .uses_dynamic_stack: false
    .vgpr_count:     0
    .vgpr_spill_count: 0
    .wavefront_size: 64
  - .agpr_count:     0
    .args:
      - .offset:         0
        .size:           144
        .value_kind:     by_value
    .group_segment_fixed_size: 13324
    .kernarg_segment_align: 8
    .kernarg_segment_size: 144
    .language:       OpenCL C
    .language_version:
      - 2
      - 0
    .max_flat_workgroup_size: 256
    .name:           _ZN7rocprim17ROCPRIM_400000_NS6detail17trampoline_kernelINS0_13select_configILj256ELj13ELNS0_17block_load_methodE3ELS4_3ELS4_3ELNS0_20block_scan_algorithmE0ELj4294967295EEENS1_25partition_config_selectorILNS1_17partition_subalgoE3EjNS0_10empty_typeEbEEZZNS1_14partition_implILS8_3ELb0ES6_jNS0_17counting_iteratorIjlEEPS9_SE_NS0_5tupleIJPjSE_EEENSF_IJSE_SE_EEES9_SG_JZNS1_25segmented_radix_sort_implINS0_14default_configELb0EPK6__halfPSL_PKlPlN2at6native12_GLOBAL__N_18offset_tEEE10hipError_tPvRmT1_PNSt15iterator_traitsISZ_E10value_typeET2_T3_PNS10_IS15_E10value_typeET4_jRbjT5_S1B_jjP12ihipStream_tbEUljE_EEESW_SX_SY_S15_S19_S1B_T6_T7_T9_mT8_S1D_bDpT10_ENKUlT_T0_E_clISt17integral_constantIbLb0EES1Q_EEDaS1L_S1M_EUlS1L_E_NS1_11comp_targetILNS1_3genE4ELNS1_11target_archE910ELNS1_3gpuE8ELNS1_3repE0EEENS1_30default_config_static_selectorELNS0_4arch9wavefront6targetE1EEEvSZ_
    .private_segment_fixed_size: 0
    .sgpr_count:     50
    .sgpr_spill_count: 0
    .symbol:         _ZN7rocprim17ROCPRIM_400000_NS6detail17trampoline_kernelINS0_13select_configILj256ELj13ELNS0_17block_load_methodE3ELS4_3ELS4_3ELNS0_20block_scan_algorithmE0ELj4294967295EEENS1_25partition_config_selectorILNS1_17partition_subalgoE3EjNS0_10empty_typeEbEEZZNS1_14partition_implILS8_3ELb0ES6_jNS0_17counting_iteratorIjlEEPS9_SE_NS0_5tupleIJPjSE_EEENSF_IJSE_SE_EEES9_SG_JZNS1_25segmented_radix_sort_implINS0_14default_configELb0EPK6__halfPSL_PKlPlN2at6native12_GLOBAL__N_18offset_tEEE10hipError_tPvRmT1_PNSt15iterator_traitsISZ_E10value_typeET2_T3_PNS10_IS15_E10value_typeET4_jRbjT5_S1B_jjP12ihipStream_tbEUljE_EEESW_SX_SY_S15_S19_S1B_T6_T7_T9_mT8_S1D_bDpT10_ENKUlT_T0_E_clISt17integral_constantIbLb0EES1Q_EEDaS1L_S1M_EUlS1L_E_NS1_11comp_targetILNS1_3genE4ELNS1_11target_archE910ELNS1_3gpuE8ELNS1_3repE0EEENS1_30default_config_static_selectorELNS0_4arch9wavefront6targetE1EEEvSZ_.kd
    .uniform_work_group_size: 1
    .uses_dynamic_stack: false
    .vgpr_count:     61
    .vgpr_spill_count: 0
    .wavefront_size: 64
  - .agpr_count:     0
    .args:
      - .offset:         0
        .size:           144
        .value_kind:     by_value
    .group_segment_fixed_size: 0
    .kernarg_segment_align: 8
    .kernarg_segment_size: 144
    .language:       OpenCL C
    .language_version:
      - 2
      - 0
    .max_flat_workgroup_size: 256
    .name:           _ZN7rocprim17ROCPRIM_400000_NS6detail17trampoline_kernelINS0_13select_configILj256ELj13ELNS0_17block_load_methodE3ELS4_3ELS4_3ELNS0_20block_scan_algorithmE0ELj4294967295EEENS1_25partition_config_selectorILNS1_17partition_subalgoE3EjNS0_10empty_typeEbEEZZNS1_14partition_implILS8_3ELb0ES6_jNS0_17counting_iteratorIjlEEPS9_SE_NS0_5tupleIJPjSE_EEENSF_IJSE_SE_EEES9_SG_JZNS1_25segmented_radix_sort_implINS0_14default_configELb0EPK6__halfPSL_PKlPlN2at6native12_GLOBAL__N_18offset_tEEE10hipError_tPvRmT1_PNSt15iterator_traitsISZ_E10value_typeET2_T3_PNS10_IS15_E10value_typeET4_jRbjT5_S1B_jjP12ihipStream_tbEUljE_EEESW_SX_SY_S15_S19_S1B_T6_T7_T9_mT8_S1D_bDpT10_ENKUlT_T0_E_clISt17integral_constantIbLb0EES1Q_EEDaS1L_S1M_EUlS1L_E_NS1_11comp_targetILNS1_3genE3ELNS1_11target_archE908ELNS1_3gpuE7ELNS1_3repE0EEENS1_30default_config_static_selectorELNS0_4arch9wavefront6targetE1EEEvSZ_
    .private_segment_fixed_size: 0
    .sgpr_count:     4
    .sgpr_spill_count: 0
    .symbol:         _ZN7rocprim17ROCPRIM_400000_NS6detail17trampoline_kernelINS0_13select_configILj256ELj13ELNS0_17block_load_methodE3ELS4_3ELS4_3ELNS0_20block_scan_algorithmE0ELj4294967295EEENS1_25partition_config_selectorILNS1_17partition_subalgoE3EjNS0_10empty_typeEbEEZZNS1_14partition_implILS8_3ELb0ES6_jNS0_17counting_iteratorIjlEEPS9_SE_NS0_5tupleIJPjSE_EEENSF_IJSE_SE_EEES9_SG_JZNS1_25segmented_radix_sort_implINS0_14default_configELb0EPK6__halfPSL_PKlPlN2at6native12_GLOBAL__N_18offset_tEEE10hipError_tPvRmT1_PNSt15iterator_traitsISZ_E10value_typeET2_T3_PNS10_IS15_E10value_typeET4_jRbjT5_S1B_jjP12ihipStream_tbEUljE_EEESW_SX_SY_S15_S19_S1B_T6_T7_T9_mT8_S1D_bDpT10_ENKUlT_T0_E_clISt17integral_constantIbLb0EES1Q_EEDaS1L_S1M_EUlS1L_E_NS1_11comp_targetILNS1_3genE3ELNS1_11target_archE908ELNS1_3gpuE7ELNS1_3repE0EEENS1_30default_config_static_selectorELNS0_4arch9wavefront6targetE1EEEvSZ_.kd
    .uniform_work_group_size: 1
    .uses_dynamic_stack: false
    .vgpr_count:     0
    .vgpr_spill_count: 0
    .wavefront_size: 64
  - .agpr_count:     0
    .args:
      - .offset:         0
        .size:           144
        .value_kind:     by_value
    .group_segment_fixed_size: 0
    .kernarg_segment_align: 8
    .kernarg_segment_size: 144
    .language:       OpenCL C
    .language_version:
      - 2
      - 0
    .max_flat_workgroup_size: 256
    .name:           _ZN7rocprim17ROCPRIM_400000_NS6detail17trampoline_kernelINS0_13select_configILj256ELj13ELNS0_17block_load_methodE3ELS4_3ELS4_3ELNS0_20block_scan_algorithmE0ELj4294967295EEENS1_25partition_config_selectorILNS1_17partition_subalgoE3EjNS0_10empty_typeEbEEZZNS1_14partition_implILS8_3ELb0ES6_jNS0_17counting_iteratorIjlEEPS9_SE_NS0_5tupleIJPjSE_EEENSF_IJSE_SE_EEES9_SG_JZNS1_25segmented_radix_sort_implINS0_14default_configELb0EPK6__halfPSL_PKlPlN2at6native12_GLOBAL__N_18offset_tEEE10hipError_tPvRmT1_PNSt15iterator_traitsISZ_E10value_typeET2_T3_PNS10_IS15_E10value_typeET4_jRbjT5_S1B_jjP12ihipStream_tbEUljE_EEESW_SX_SY_S15_S19_S1B_T6_T7_T9_mT8_S1D_bDpT10_ENKUlT_T0_E_clISt17integral_constantIbLb0EES1Q_EEDaS1L_S1M_EUlS1L_E_NS1_11comp_targetILNS1_3genE2ELNS1_11target_archE906ELNS1_3gpuE6ELNS1_3repE0EEENS1_30default_config_static_selectorELNS0_4arch9wavefront6targetE1EEEvSZ_
    .private_segment_fixed_size: 0
    .sgpr_count:     4
    .sgpr_spill_count: 0
    .symbol:         _ZN7rocprim17ROCPRIM_400000_NS6detail17trampoline_kernelINS0_13select_configILj256ELj13ELNS0_17block_load_methodE3ELS4_3ELS4_3ELNS0_20block_scan_algorithmE0ELj4294967295EEENS1_25partition_config_selectorILNS1_17partition_subalgoE3EjNS0_10empty_typeEbEEZZNS1_14partition_implILS8_3ELb0ES6_jNS0_17counting_iteratorIjlEEPS9_SE_NS0_5tupleIJPjSE_EEENSF_IJSE_SE_EEES9_SG_JZNS1_25segmented_radix_sort_implINS0_14default_configELb0EPK6__halfPSL_PKlPlN2at6native12_GLOBAL__N_18offset_tEEE10hipError_tPvRmT1_PNSt15iterator_traitsISZ_E10value_typeET2_T3_PNS10_IS15_E10value_typeET4_jRbjT5_S1B_jjP12ihipStream_tbEUljE_EEESW_SX_SY_S15_S19_S1B_T6_T7_T9_mT8_S1D_bDpT10_ENKUlT_T0_E_clISt17integral_constantIbLb0EES1Q_EEDaS1L_S1M_EUlS1L_E_NS1_11comp_targetILNS1_3genE2ELNS1_11target_archE906ELNS1_3gpuE6ELNS1_3repE0EEENS1_30default_config_static_selectorELNS0_4arch9wavefront6targetE1EEEvSZ_.kd
    .uniform_work_group_size: 1
    .uses_dynamic_stack: false
    .vgpr_count:     0
    .vgpr_spill_count: 0
    .wavefront_size: 64
  - .agpr_count:     0
    .args:
      - .offset:         0
        .size:           144
        .value_kind:     by_value
    .group_segment_fixed_size: 0
    .kernarg_segment_align: 8
    .kernarg_segment_size: 144
    .language:       OpenCL C
    .language_version:
      - 2
      - 0
    .max_flat_workgroup_size: 256
    .name:           _ZN7rocprim17ROCPRIM_400000_NS6detail17trampoline_kernelINS0_13select_configILj256ELj13ELNS0_17block_load_methodE3ELS4_3ELS4_3ELNS0_20block_scan_algorithmE0ELj4294967295EEENS1_25partition_config_selectorILNS1_17partition_subalgoE3EjNS0_10empty_typeEbEEZZNS1_14partition_implILS8_3ELb0ES6_jNS0_17counting_iteratorIjlEEPS9_SE_NS0_5tupleIJPjSE_EEENSF_IJSE_SE_EEES9_SG_JZNS1_25segmented_radix_sort_implINS0_14default_configELb0EPK6__halfPSL_PKlPlN2at6native12_GLOBAL__N_18offset_tEEE10hipError_tPvRmT1_PNSt15iterator_traitsISZ_E10value_typeET2_T3_PNS10_IS15_E10value_typeET4_jRbjT5_S1B_jjP12ihipStream_tbEUljE_EEESW_SX_SY_S15_S19_S1B_T6_T7_T9_mT8_S1D_bDpT10_ENKUlT_T0_E_clISt17integral_constantIbLb0EES1Q_EEDaS1L_S1M_EUlS1L_E_NS1_11comp_targetILNS1_3genE10ELNS1_11target_archE1200ELNS1_3gpuE4ELNS1_3repE0EEENS1_30default_config_static_selectorELNS0_4arch9wavefront6targetE1EEEvSZ_
    .private_segment_fixed_size: 0
    .sgpr_count:     4
    .sgpr_spill_count: 0
    .symbol:         _ZN7rocprim17ROCPRIM_400000_NS6detail17trampoline_kernelINS0_13select_configILj256ELj13ELNS0_17block_load_methodE3ELS4_3ELS4_3ELNS0_20block_scan_algorithmE0ELj4294967295EEENS1_25partition_config_selectorILNS1_17partition_subalgoE3EjNS0_10empty_typeEbEEZZNS1_14partition_implILS8_3ELb0ES6_jNS0_17counting_iteratorIjlEEPS9_SE_NS0_5tupleIJPjSE_EEENSF_IJSE_SE_EEES9_SG_JZNS1_25segmented_radix_sort_implINS0_14default_configELb0EPK6__halfPSL_PKlPlN2at6native12_GLOBAL__N_18offset_tEEE10hipError_tPvRmT1_PNSt15iterator_traitsISZ_E10value_typeET2_T3_PNS10_IS15_E10value_typeET4_jRbjT5_S1B_jjP12ihipStream_tbEUljE_EEESW_SX_SY_S15_S19_S1B_T6_T7_T9_mT8_S1D_bDpT10_ENKUlT_T0_E_clISt17integral_constantIbLb0EES1Q_EEDaS1L_S1M_EUlS1L_E_NS1_11comp_targetILNS1_3genE10ELNS1_11target_archE1200ELNS1_3gpuE4ELNS1_3repE0EEENS1_30default_config_static_selectorELNS0_4arch9wavefront6targetE1EEEvSZ_.kd
    .uniform_work_group_size: 1
    .uses_dynamic_stack: false
    .vgpr_count:     0
    .vgpr_spill_count: 0
    .wavefront_size: 64
  - .agpr_count:     0
    .args:
      - .offset:         0
        .size:           144
        .value_kind:     by_value
    .group_segment_fixed_size: 0
    .kernarg_segment_align: 8
    .kernarg_segment_size: 144
    .language:       OpenCL C
    .language_version:
      - 2
      - 0
    .max_flat_workgroup_size: 256
    .name:           _ZN7rocprim17ROCPRIM_400000_NS6detail17trampoline_kernelINS0_13select_configILj256ELj13ELNS0_17block_load_methodE3ELS4_3ELS4_3ELNS0_20block_scan_algorithmE0ELj4294967295EEENS1_25partition_config_selectorILNS1_17partition_subalgoE3EjNS0_10empty_typeEbEEZZNS1_14partition_implILS8_3ELb0ES6_jNS0_17counting_iteratorIjlEEPS9_SE_NS0_5tupleIJPjSE_EEENSF_IJSE_SE_EEES9_SG_JZNS1_25segmented_radix_sort_implINS0_14default_configELb0EPK6__halfPSL_PKlPlN2at6native12_GLOBAL__N_18offset_tEEE10hipError_tPvRmT1_PNSt15iterator_traitsISZ_E10value_typeET2_T3_PNS10_IS15_E10value_typeET4_jRbjT5_S1B_jjP12ihipStream_tbEUljE_EEESW_SX_SY_S15_S19_S1B_T6_T7_T9_mT8_S1D_bDpT10_ENKUlT_T0_E_clISt17integral_constantIbLb0EES1Q_EEDaS1L_S1M_EUlS1L_E_NS1_11comp_targetILNS1_3genE9ELNS1_11target_archE1100ELNS1_3gpuE3ELNS1_3repE0EEENS1_30default_config_static_selectorELNS0_4arch9wavefront6targetE1EEEvSZ_
    .private_segment_fixed_size: 0
    .sgpr_count:     4
    .sgpr_spill_count: 0
    .symbol:         _ZN7rocprim17ROCPRIM_400000_NS6detail17trampoline_kernelINS0_13select_configILj256ELj13ELNS0_17block_load_methodE3ELS4_3ELS4_3ELNS0_20block_scan_algorithmE0ELj4294967295EEENS1_25partition_config_selectorILNS1_17partition_subalgoE3EjNS0_10empty_typeEbEEZZNS1_14partition_implILS8_3ELb0ES6_jNS0_17counting_iteratorIjlEEPS9_SE_NS0_5tupleIJPjSE_EEENSF_IJSE_SE_EEES9_SG_JZNS1_25segmented_radix_sort_implINS0_14default_configELb0EPK6__halfPSL_PKlPlN2at6native12_GLOBAL__N_18offset_tEEE10hipError_tPvRmT1_PNSt15iterator_traitsISZ_E10value_typeET2_T3_PNS10_IS15_E10value_typeET4_jRbjT5_S1B_jjP12ihipStream_tbEUljE_EEESW_SX_SY_S15_S19_S1B_T6_T7_T9_mT8_S1D_bDpT10_ENKUlT_T0_E_clISt17integral_constantIbLb0EES1Q_EEDaS1L_S1M_EUlS1L_E_NS1_11comp_targetILNS1_3genE9ELNS1_11target_archE1100ELNS1_3gpuE3ELNS1_3repE0EEENS1_30default_config_static_selectorELNS0_4arch9wavefront6targetE1EEEvSZ_.kd
    .uniform_work_group_size: 1
    .uses_dynamic_stack: false
    .vgpr_count:     0
    .vgpr_spill_count: 0
    .wavefront_size: 64
  - .agpr_count:     0
    .args:
      - .offset:         0
        .size:           144
        .value_kind:     by_value
    .group_segment_fixed_size: 0
    .kernarg_segment_align: 8
    .kernarg_segment_size: 144
    .language:       OpenCL C
    .language_version:
      - 2
      - 0
    .max_flat_workgroup_size: 256
    .name:           _ZN7rocprim17ROCPRIM_400000_NS6detail17trampoline_kernelINS0_13select_configILj256ELj13ELNS0_17block_load_methodE3ELS4_3ELS4_3ELNS0_20block_scan_algorithmE0ELj4294967295EEENS1_25partition_config_selectorILNS1_17partition_subalgoE3EjNS0_10empty_typeEbEEZZNS1_14partition_implILS8_3ELb0ES6_jNS0_17counting_iteratorIjlEEPS9_SE_NS0_5tupleIJPjSE_EEENSF_IJSE_SE_EEES9_SG_JZNS1_25segmented_radix_sort_implINS0_14default_configELb0EPK6__halfPSL_PKlPlN2at6native12_GLOBAL__N_18offset_tEEE10hipError_tPvRmT1_PNSt15iterator_traitsISZ_E10value_typeET2_T3_PNS10_IS15_E10value_typeET4_jRbjT5_S1B_jjP12ihipStream_tbEUljE_EEESW_SX_SY_S15_S19_S1B_T6_T7_T9_mT8_S1D_bDpT10_ENKUlT_T0_E_clISt17integral_constantIbLb0EES1Q_EEDaS1L_S1M_EUlS1L_E_NS1_11comp_targetILNS1_3genE8ELNS1_11target_archE1030ELNS1_3gpuE2ELNS1_3repE0EEENS1_30default_config_static_selectorELNS0_4arch9wavefront6targetE1EEEvSZ_
    .private_segment_fixed_size: 0
    .sgpr_count:     4
    .sgpr_spill_count: 0
    .symbol:         _ZN7rocprim17ROCPRIM_400000_NS6detail17trampoline_kernelINS0_13select_configILj256ELj13ELNS0_17block_load_methodE3ELS4_3ELS4_3ELNS0_20block_scan_algorithmE0ELj4294967295EEENS1_25partition_config_selectorILNS1_17partition_subalgoE3EjNS0_10empty_typeEbEEZZNS1_14partition_implILS8_3ELb0ES6_jNS0_17counting_iteratorIjlEEPS9_SE_NS0_5tupleIJPjSE_EEENSF_IJSE_SE_EEES9_SG_JZNS1_25segmented_radix_sort_implINS0_14default_configELb0EPK6__halfPSL_PKlPlN2at6native12_GLOBAL__N_18offset_tEEE10hipError_tPvRmT1_PNSt15iterator_traitsISZ_E10value_typeET2_T3_PNS10_IS15_E10value_typeET4_jRbjT5_S1B_jjP12ihipStream_tbEUljE_EEESW_SX_SY_S15_S19_S1B_T6_T7_T9_mT8_S1D_bDpT10_ENKUlT_T0_E_clISt17integral_constantIbLb0EES1Q_EEDaS1L_S1M_EUlS1L_E_NS1_11comp_targetILNS1_3genE8ELNS1_11target_archE1030ELNS1_3gpuE2ELNS1_3repE0EEENS1_30default_config_static_selectorELNS0_4arch9wavefront6targetE1EEEvSZ_.kd
    .uniform_work_group_size: 1
    .uses_dynamic_stack: false
    .vgpr_count:     0
    .vgpr_spill_count: 0
    .wavefront_size: 64
  - .agpr_count:     0
    .args:
      - .offset:         0
        .size:           152
        .value_kind:     by_value
    .group_segment_fixed_size: 0
    .kernarg_segment_align: 8
    .kernarg_segment_size: 152
    .language:       OpenCL C
    .language_version:
      - 2
      - 0
    .max_flat_workgroup_size: 256
    .name:           _ZN7rocprim17ROCPRIM_400000_NS6detail17trampoline_kernelINS0_13select_configILj256ELj13ELNS0_17block_load_methodE3ELS4_3ELS4_3ELNS0_20block_scan_algorithmE0ELj4294967295EEENS1_25partition_config_selectorILNS1_17partition_subalgoE3EjNS0_10empty_typeEbEEZZNS1_14partition_implILS8_3ELb0ES6_jNS0_17counting_iteratorIjlEEPS9_SE_NS0_5tupleIJPjSE_EEENSF_IJSE_SE_EEES9_SG_JZNS1_25segmented_radix_sort_implINS0_14default_configELb0EPK6__halfPSL_PKlPlN2at6native12_GLOBAL__N_18offset_tEEE10hipError_tPvRmT1_PNSt15iterator_traitsISZ_E10value_typeET2_T3_PNS10_IS15_E10value_typeET4_jRbjT5_S1B_jjP12ihipStream_tbEUljE_EEESW_SX_SY_S15_S19_S1B_T6_T7_T9_mT8_S1D_bDpT10_ENKUlT_T0_E_clISt17integral_constantIbLb1EES1Q_EEDaS1L_S1M_EUlS1L_E_NS1_11comp_targetILNS1_3genE0ELNS1_11target_archE4294967295ELNS1_3gpuE0ELNS1_3repE0EEENS1_30default_config_static_selectorELNS0_4arch9wavefront6targetE1EEEvSZ_
    .private_segment_fixed_size: 0
    .sgpr_count:     4
    .sgpr_spill_count: 0
    .symbol:         _ZN7rocprim17ROCPRIM_400000_NS6detail17trampoline_kernelINS0_13select_configILj256ELj13ELNS0_17block_load_methodE3ELS4_3ELS4_3ELNS0_20block_scan_algorithmE0ELj4294967295EEENS1_25partition_config_selectorILNS1_17partition_subalgoE3EjNS0_10empty_typeEbEEZZNS1_14partition_implILS8_3ELb0ES6_jNS0_17counting_iteratorIjlEEPS9_SE_NS0_5tupleIJPjSE_EEENSF_IJSE_SE_EEES9_SG_JZNS1_25segmented_radix_sort_implINS0_14default_configELb0EPK6__halfPSL_PKlPlN2at6native12_GLOBAL__N_18offset_tEEE10hipError_tPvRmT1_PNSt15iterator_traitsISZ_E10value_typeET2_T3_PNS10_IS15_E10value_typeET4_jRbjT5_S1B_jjP12ihipStream_tbEUljE_EEESW_SX_SY_S15_S19_S1B_T6_T7_T9_mT8_S1D_bDpT10_ENKUlT_T0_E_clISt17integral_constantIbLb1EES1Q_EEDaS1L_S1M_EUlS1L_E_NS1_11comp_targetILNS1_3genE0ELNS1_11target_archE4294967295ELNS1_3gpuE0ELNS1_3repE0EEENS1_30default_config_static_selectorELNS0_4arch9wavefront6targetE1EEEvSZ_.kd
    .uniform_work_group_size: 1
    .uses_dynamic_stack: false
    .vgpr_count:     0
    .vgpr_spill_count: 0
    .wavefront_size: 64
  - .agpr_count:     0
    .args:
      - .offset:         0
        .size:           152
        .value_kind:     by_value
    .group_segment_fixed_size: 0
    .kernarg_segment_align: 8
    .kernarg_segment_size: 152
    .language:       OpenCL C
    .language_version:
      - 2
      - 0
    .max_flat_workgroup_size: 256
    .name:           _ZN7rocprim17ROCPRIM_400000_NS6detail17trampoline_kernelINS0_13select_configILj256ELj13ELNS0_17block_load_methodE3ELS4_3ELS4_3ELNS0_20block_scan_algorithmE0ELj4294967295EEENS1_25partition_config_selectorILNS1_17partition_subalgoE3EjNS0_10empty_typeEbEEZZNS1_14partition_implILS8_3ELb0ES6_jNS0_17counting_iteratorIjlEEPS9_SE_NS0_5tupleIJPjSE_EEENSF_IJSE_SE_EEES9_SG_JZNS1_25segmented_radix_sort_implINS0_14default_configELb0EPK6__halfPSL_PKlPlN2at6native12_GLOBAL__N_18offset_tEEE10hipError_tPvRmT1_PNSt15iterator_traitsISZ_E10value_typeET2_T3_PNS10_IS15_E10value_typeET4_jRbjT5_S1B_jjP12ihipStream_tbEUljE_EEESW_SX_SY_S15_S19_S1B_T6_T7_T9_mT8_S1D_bDpT10_ENKUlT_T0_E_clISt17integral_constantIbLb1EES1Q_EEDaS1L_S1M_EUlS1L_E_NS1_11comp_targetILNS1_3genE5ELNS1_11target_archE942ELNS1_3gpuE9ELNS1_3repE0EEENS1_30default_config_static_selectorELNS0_4arch9wavefront6targetE1EEEvSZ_
    .private_segment_fixed_size: 0
    .sgpr_count:     4
    .sgpr_spill_count: 0
    .symbol:         _ZN7rocprim17ROCPRIM_400000_NS6detail17trampoline_kernelINS0_13select_configILj256ELj13ELNS0_17block_load_methodE3ELS4_3ELS4_3ELNS0_20block_scan_algorithmE0ELj4294967295EEENS1_25partition_config_selectorILNS1_17partition_subalgoE3EjNS0_10empty_typeEbEEZZNS1_14partition_implILS8_3ELb0ES6_jNS0_17counting_iteratorIjlEEPS9_SE_NS0_5tupleIJPjSE_EEENSF_IJSE_SE_EEES9_SG_JZNS1_25segmented_radix_sort_implINS0_14default_configELb0EPK6__halfPSL_PKlPlN2at6native12_GLOBAL__N_18offset_tEEE10hipError_tPvRmT1_PNSt15iterator_traitsISZ_E10value_typeET2_T3_PNS10_IS15_E10value_typeET4_jRbjT5_S1B_jjP12ihipStream_tbEUljE_EEESW_SX_SY_S15_S19_S1B_T6_T7_T9_mT8_S1D_bDpT10_ENKUlT_T0_E_clISt17integral_constantIbLb1EES1Q_EEDaS1L_S1M_EUlS1L_E_NS1_11comp_targetILNS1_3genE5ELNS1_11target_archE942ELNS1_3gpuE9ELNS1_3repE0EEENS1_30default_config_static_selectorELNS0_4arch9wavefront6targetE1EEEvSZ_.kd
    .uniform_work_group_size: 1
    .uses_dynamic_stack: false
    .vgpr_count:     0
    .vgpr_spill_count: 0
    .wavefront_size: 64
  - .agpr_count:     0
    .args:
      - .offset:         0
        .size:           152
        .value_kind:     by_value
    .group_segment_fixed_size: 13324
    .kernarg_segment_align: 8
    .kernarg_segment_size: 152
    .language:       OpenCL C
    .language_version:
      - 2
      - 0
    .max_flat_workgroup_size: 256
    .name:           _ZN7rocprim17ROCPRIM_400000_NS6detail17trampoline_kernelINS0_13select_configILj256ELj13ELNS0_17block_load_methodE3ELS4_3ELS4_3ELNS0_20block_scan_algorithmE0ELj4294967295EEENS1_25partition_config_selectorILNS1_17partition_subalgoE3EjNS0_10empty_typeEbEEZZNS1_14partition_implILS8_3ELb0ES6_jNS0_17counting_iteratorIjlEEPS9_SE_NS0_5tupleIJPjSE_EEENSF_IJSE_SE_EEES9_SG_JZNS1_25segmented_radix_sort_implINS0_14default_configELb0EPK6__halfPSL_PKlPlN2at6native12_GLOBAL__N_18offset_tEEE10hipError_tPvRmT1_PNSt15iterator_traitsISZ_E10value_typeET2_T3_PNS10_IS15_E10value_typeET4_jRbjT5_S1B_jjP12ihipStream_tbEUljE_EEESW_SX_SY_S15_S19_S1B_T6_T7_T9_mT8_S1D_bDpT10_ENKUlT_T0_E_clISt17integral_constantIbLb1EES1Q_EEDaS1L_S1M_EUlS1L_E_NS1_11comp_targetILNS1_3genE4ELNS1_11target_archE910ELNS1_3gpuE8ELNS1_3repE0EEENS1_30default_config_static_selectorELNS0_4arch9wavefront6targetE1EEEvSZ_
    .private_segment_fixed_size: 0
    .sgpr_count:     48
    .sgpr_spill_count: 0
    .symbol:         _ZN7rocprim17ROCPRIM_400000_NS6detail17trampoline_kernelINS0_13select_configILj256ELj13ELNS0_17block_load_methodE3ELS4_3ELS4_3ELNS0_20block_scan_algorithmE0ELj4294967295EEENS1_25partition_config_selectorILNS1_17partition_subalgoE3EjNS0_10empty_typeEbEEZZNS1_14partition_implILS8_3ELb0ES6_jNS0_17counting_iteratorIjlEEPS9_SE_NS0_5tupleIJPjSE_EEENSF_IJSE_SE_EEES9_SG_JZNS1_25segmented_radix_sort_implINS0_14default_configELb0EPK6__halfPSL_PKlPlN2at6native12_GLOBAL__N_18offset_tEEE10hipError_tPvRmT1_PNSt15iterator_traitsISZ_E10value_typeET2_T3_PNS10_IS15_E10value_typeET4_jRbjT5_S1B_jjP12ihipStream_tbEUljE_EEESW_SX_SY_S15_S19_S1B_T6_T7_T9_mT8_S1D_bDpT10_ENKUlT_T0_E_clISt17integral_constantIbLb1EES1Q_EEDaS1L_S1M_EUlS1L_E_NS1_11comp_targetILNS1_3genE4ELNS1_11target_archE910ELNS1_3gpuE8ELNS1_3repE0EEENS1_30default_config_static_selectorELNS0_4arch9wavefront6targetE1EEEvSZ_.kd
    .uniform_work_group_size: 1
    .uses_dynamic_stack: false
    .vgpr_count:     64
    .vgpr_spill_count: 0
    .wavefront_size: 64
  - .agpr_count:     0
    .args:
      - .offset:         0
        .size:           152
        .value_kind:     by_value
    .group_segment_fixed_size: 0
    .kernarg_segment_align: 8
    .kernarg_segment_size: 152
    .language:       OpenCL C
    .language_version:
      - 2
      - 0
    .max_flat_workgroup_size: 256
    .name:           _ZN7rocprim17ROCPRIM_400000_NS6detail17trampoline_kernelINS0_13select_configILj256ELj13ELNS0_17block_load_methodE3ELS4_3ELS4_3ELNS0_20block_scan_algorithmE0ELj4294967295EEENS1_25partition_config_selectorILNS1_17partition_subalgoE3EjNS0_10empty_typeEbEEZZNS1_14partition_implILS8_3ELb0ES6_jNS0_17counting_iteratorIjlEEPS9_SE_NS0_5tupleIJPjSE_EEENSF_IJSE_SE_EEES9_SG_JZNS1_25segmented_radix_sort_implINS0_14default_configELb0EPK6__halfPSL_PKlPlN2at6native12_GLOBAL__N_18offset_tEEE10hipError_tPvRmT1_PNSt15iterator_traitsISZ_E10value_typeET2_T3_PNS10_IS15_E10value_typeET4_jRbjT5_S1B_jjP12ihipStream_tbEUljE_EEESW_SX_SY_S15_S19_S1B_T6_T7_T9_mT8_S1D_bDpT10_ENKUlT_T0_E_clISt17integral_constantIbLb1EES1Q_EEDaS1L_S1M_EUlS1L_E_NS1_11comp_targetILNS1_3genE3ELNS1_11target_archE908ELNS1_3gpuE7ELNS1_3repE0EEENS1_30default_config_static_selectorELNS0_4arch9wavefront6targetE1EEEvSZ_
    .private_segment_fixed_size: 0
    .sgpr_count:     4
    .sgpr_spill_count: 0
    .symbol:         _ZN7rocprim17ROCPRIM_400000_NS6detail17trampoline_kernelINS0_13select_configILj256ELj13ELNS0_17block_load_methodE3ELS4_3ELS4_3ELNS0_20block_scan_algorithmE0ELj4294967295EEENS1_25partition_config_selectorILNS1_17partition_subalgoE3EjNS0_10empty_typeEbEEZZNS1_14partition_implILS8_3ELb0ES6_jNS0_17counting_iteratorIjlEEPS9_SE_NS0_5tupleIJPjSE_EEENSF_IJSE_SE_EEES9_SG_JZNS1_25segmented_radix_sort_implINS0_14default_configELb0EPK6__halfPSL_PKlPlN2at6native12_GLOBAL__N_18offset_tEEE10hipError_tPvRmT1_PNSt15iterator_traitsISZ_E10value_typeET2_T3_PNS10_IS15_E10value_typeET4_jRbjT5_S1B_jjP12ihipStream_tbEUljE_EEESW_SX_SY_S15_S19_S1B_T6_T7_T9_mT8_S1D_bDpT10_ENKUlT_T0_E_clISt17integral_constantIbLb1EES1Q_EEDaS1L_S1M_EUlS1L_E_NS1_11comp_targetILNS1_3genE3ELNS1_11target_archE908ELNS1_3gpuE7ELNS1_3repE0EEENS1_30default_config_static_selectorELNS0_4arch9wavefront6targetE1EEEvSZ_.kd
    .uniform_work_group_size: 1
    .uses_dynamic_stack: false
    .vgpr_count:     0
    .vgpr_spill_count: 0
    .wavefront_size: 64
  - .agpr_count:     0
    .args:
      - .offset:         0
        .size:           152
        .value_kind:     by_value
    .group_segment_fixed_size: 0
    .kernarg_segment_align: 8
    .kernarg_segment_size: 152
    .language:       OpenCL C
    .language_version:
      - 2
      - 0
    .max_flat_workgroup_size: 256
    .name:           _ZN7rocprim17ROCPRIM_400000_NS6detail17trampoline_kernelINS0_13select_configILj256ELj13ELNS0_17block_load_methodE3ELS4_3ELS4_3ELNS0_20block_scan_algorithmE0ELj4294967295EEENS1_25partition_config_selectorILNS1_17partition_subalgoE3EjNS0_10empty_typeEbEEZZNS1_14partition_implILS8_3ELb0ES6_jNS0_17counting_iteratorIjlEEPS9_SE_NS0_5tupleIJPjSE_EEENSF_IJSE_SE_EEES9_SG_JZNS1_25segmented_radix_sort_implINS0_14default_configELb0EPK6__halfPSL_PKlPlN2at6native12_GLOBAL__N_18offset_tEEE10hipError_tPvRmT1_PNSt15iterator_traitsISZ_E10value_typeET2_T3_PNS10_IS15_E10value_typeET4_jRbjT5_S1B_jjP12ihipStream_tbEUljE_EEESW_SX_SY_S15_S19_S1B_T6_T7_T9_mT8_S1D_bDpT10_ENKUlT_T0_E_clISt17integral_constantIbLb1EES1Q_EEDaS1L_S1M_EUlS1L_E_NS1_11comp_targetILNS1_3genE2ELNS1_11target_archE906ELNS1_3gpuE6ELNS1_3repE0EEENS1_30default_config_static_selectorELNS0_4arch9wavefront6targetE1EEEvSZ_
    .private_segment_fixed_size: 0
    .sgpr_count:     4
    .sgpr_spill_count: 0
    .symbol:         _ZN7rocprim17ROCPRIM_400000_NS6detail17trampoline_kernelINS0_13select_configILj256ELj13ELNS0_17block_load_methodE3ELS4_3ELS4_3ELNS0_20block_scan_algorithmE0ELj4294967295EEENS1_25partition_config_selectorILNS1_17partition_subalgoE3EjNS0_10empty_typeEbEEZZNS1_14partition_implILS8_3ELb0ES6_jNS0_17counting_iteratorIjlEEPS9_SE_NS0_5tupleIJPjSE_EEENSF_IJSE_SE_EEES9_SG_JZNS1_25segmented_radix_sort_implINS0_14default_configELb0EPK6__halfPSL_PKlPlN2at6native12_GLOBAL__N_18offset_tEEE10hipError_tPvRmT1_PNSt15iterator_traitsISZ_E10value_typeET2_T3_PNS10_IS15_E10value_typeET4_jRbjT5_S1B_jjP12ihipStream_tbEUljE_EEESW_SX_SY_S15_S19_S1B_T6_T7_T9_mT8_S1D_bDpT10_ENKUlT_T0_E_clISt17integral_constantIbLb1EES1Q_EEDaS1L_S1M_EUlS1L_E_NS1_11comp_targetILNS1_3genE2ELNS1_11target_archE906ELNS1_3gpuE6ELNS1_3repE0EEENS1_30default_config_static_selectorELNS0_4arch9wavefront6targetE1EEEvSZ_.kd
    .uniform_work_group_size: 1
    .uses_dynamic_stack: false
    .vgpr_count:     0
    .vgpr_spill_count: 0
    .wavefront_size: 64
  - .agpr_count:     0
    .args:
      - .offset:         0
        .size:           152
        .value_kind:     by_value
    .group_segment_fixed_size: 0
    .kernarg_segment_align: 8
    .kernarg_segment_size: 152
    .language:       OpenCL C
    .language_version:
      - 2
      - 0
    .max_flat_workgroup_size: 256
    .name:           _ZN7rocprim17ROCPRIM_400000_NS6detail17trampoline_kernelINS0_13select_configILj256ELj13ELNS0_17block_load_methodE3ELS4_3ELS4_3ELNS0_20block_scan_algorithmE0ELj4294967295EEENS1_25partition_config_selectorILNS1_17partition_subalgoE3EjNS0_10empty_typeEbEEZZNS1_14partition_implILS8_3ELb0ES6_jNS0_17counting_iteratorIjlEEPS9_SE_NS0_5tupleIJPjSE_EEENSF_IJSE_SE_EEES9_SG_JZNS1_25segmented_radix_sort_implINS0_14default_configELb0EPK6__halfPSL_PKlPlN2at6native12_GLOBAL__N_18offset_tEEE10hipError_tPvRmT1_PNSt15iterator_traitsISZ_E10value_typeET2_T3_PNS10_IS15_E10value_typeET4_jRbjT5_S1B_jjP12ihipStream_tbEUljE_EEESW_SX_SY_S15_S19_S1B_T6_T7_T9_mT8_S1D_bDpT10_ENKUlT_T0_E_clISt17integral_constantIbLb1EES1Q_EEDaS1L_S1M_EUlS1L_E_NS1_11comp_targetILNS1_3genE10ELNS1_11target_archE1200ELNS1_3gpuE4ELNS1_3repE0EEENS1_30default_config_static_selectorELNS0_4arch9wavefront6targetE1EEEvSZ_
    .private_segment_fixed_size: 0
    .sgpr_count:     4
    .sgpr_spill_count: 0
    .symbol:         _ZN7rocprim17ROCPRIM_400000_NS6detail17trampoline_kernelINS0_13select_configILj256ELj13ELNS0_17block_load_methodE3ELS4_3ELS4_3ELNS0_20block_scan_algorithmE0ELj4294967295EEENS1_25partition_config_selectorILNS1_17partition_subalgoE3EjNS0_10empty_typeEbEEZZNS1_14partition_implILS8_3ELb0ES6_jNS0_17counting_iteratorIjlEEPS9_SE_NS0_5tupleIJPjSE_EEENSF_IJSE_SE_EEES9_SG_JZNS1_25segmented_radix_sort_implINS0_14default_configELb0EPK6__halfPSL_PKlPlN2at6native12_GLOBAL__N_18offset_tEEE10hipError_tPvRmT1_PNSt15iterator_traitsISZ_E10value_typeET2_T3_PNS10_IS15_E10value_typeET4_jRbjT5_S1B_jjP12ihipStream_tbEUljE_EEESW_SX_SY_S15_S19_S1B_T6_T7_T9_mT8_S1D_bDpT10_ENKUlT_T0_E_clISt17integral_constantIbLb1EES1Q_EEDaS1L_S1M_EUlS1L_E_NS1_11comp_targetILNS1_3genE10ELNS1_11target_archE1200ELNS1_3gpuE4ELNS1_3repE0EEENS1_30default_config_static_selectorELNS0_4arch9wavefront6targetE1EEEvSZ_.kd
    .uniform_work_group_size: 1
    .uses_dynamic_stack: false
    .vgpr_count:     0
    .vgpr_spill_count: 0
    .wavefront_size: 64
  - .agpr_count:     0
    .args:
      - .offset:         0
        .size:           152
        .value_kind:     by_value
    .group_segment_fixed_size: 0
    .kernarg_segment_align: 8
    .kernarg_segment_size: 152
    .language:       OpenCL C
    .language_version:
      - 2
      - 0
    .max_flat_workgroup_size: 256
    .name:           _ZN7rocprim17ROCPRIM_400000_NS6detail17trampoline_kernelINS0_13select_configILj256ELj13ELNS0_17block_load_methodE3ELS4_3ELS4_3ELNS0_20block_scan_algorithmE0ELj4294967295EEENS1_25partition_config_selectorILNS1_17partition_subalgoE3EjNS0_10empty_typeEbEEZZNS1_14partition_implILS8_3ELb0ES6_jNS0_17counting_iteratorIjlEEPS9_SE_NS0_5tupleIJPjSE_EEENSF_IJSE_SE_EEES9_SG_JZNS1_25segmented_radix_sort_implINS0_14default_configELb0EPK6__halfPSL_PKlPlN2at6native12_GLOBAL__N_18offset_tEEE10hipError_tPvRmT1_PNSt15iterator_traitsISZ_E10value_typeET2_T3_PNS10_IS15_E10value_typeET4_jRbjT5_S1B_jjP12ihipStream_tbEUljE_EEESW_SX_SY_S15_S19_S1B_T6_T7_T9_mT8_S1D_bDpT10_ENKUlT_T0_E_clISt17integral_constantIbLb1EES1Q_EEDaS1L_S1M_EUlS1L_E_NS1_11comp_targetILNS1_3genE9ELNS1_11target_archE1100ELNS1_3gpuE3ELNS1_3repE0EEENS1_30default_config_static_selectorELNS0_4arch9wavefront6targetE1EEEvSZ_
    .private_segment_fixed_size: 0
    .sgpr_count:     4
    .sgpr_spill_count: 0
    .symbol:         _ZN7rocprim17ROCPRIM_400000_NS6detail17trampoline_kernelINS0_13select_configILj256ELj13ELNS0_17block_load_methodE3ELS4_3ELS4_3ELNS0_20block_scan_algorithmE0ELj4294967295EEENS1_25partition_config_selectorILNS1_17partition_subalgoE3EjNS0_10empty_typeEbEEZZNS1_14partition_implILS8_3ELb0ES6_jNS0_17counting_iteratorIjlEEPS9_SE_NS0_5tupleIJPjSE_EEENSF_IJSE_SE_EEES9_SG_JZNS1_25segmented_radix_sort_implINS0_14default_configELb0EPK6__halfPSL_PKlPlN2at6native12_GLOBAL__N_18offset_tEEE10hipError_tPvRmT1_PNSt15iterator_traitsISZ_E10value_typeET2_T3_PNS10_IS15_E10value_typeET4_jRbjT5_S1B_jjP12ihipStream_tbEUljE_EEESW_SX_SY_S15_S19_S1B_T6_T7_T9_mT8_S1D_bDpT10_ENKUlT_T0_E_clISt17integral_constantIbLb1EES1Q_EEDaS1L_S1M_EUlS1L_E_NS1_11comp_targetILNS1_3genE9ELNS1_11target_archE1100ELNS1_3gpuE3ELNS1_3repE0EEENS1_30default_config_static_selectorELNS0_4arch9wavefront6targetE1EEEvSZ_.kd
    .uniform_work_group_size: 1
    .uses_dynamic_stack: false
    .vgpr_count:     0
    .vgpr_spill_count: 0
    .wavefront_size: 64
  - .agpr_count:     0
    .args:
      - .offset:         0
        .size:           152
        .value_kind:     by_value
    .group_segment_fixed_size: 0
    .kernarg_segment_align: 8
    .kernarg_segment_size: 152
    .language:       OpenCL C
    .language_version:
      - 2
      - 0
    .max_flat_workgroup_size: 256
    .name:           _ZN7rocprim17ROCPRIM_400000_NS6detail17trampoline_kernelINS0_13select_configILj256ELj13ELNS0_17block_load_methodE3ELS4_3ELS4_3ELNS0_20block_scan_algorithmE0ELj4294967295EEENS1_25partition_config_selectorILNS1_17partition_subalgoE3EjNS0_10empty_typeEbEEZZNS1_14partition_implILS8_3ELb0ES6_jNS0_17counting_iteratorIjlEEPS9_SE_NS0_5tupleIJPjSE_EEENSF_IJSE_SE_EEES9_SG_JZNS1_25segmented_radix_sort_implINS0_14default_configELb0EPK6__halfPSL_PKlPlN2at6native12_GLOBAL__N_18offset_tEEE10hipError_tPvRmT1_PNSt15iterator_traitsISZ_E10value_typeET2_T3_PNS10_IS15_E10value_typeET4_jRbjT5_S1B_jjP12ihipStream_tbEUljE_EEESW_SX_SY_S15_S19_S1B_T6_T7_T9_mT8_S1D_bDpT10_ENKUlT_T0_E_clISt17integral_constantIbLb1EES1Q_EEDaS1L_S1M_EUlS1L_E_NS1_11comp_targetILNS1_3genE8ELNS1_11target_archE1030ELNS1_3gpuE2ELNS1_3repE0EEENS1_30default_config_static_selectorELNS0_4arch9wavefront6targetE1EEEvSZ_
    .private_segment_fixed_size: 0
    .sgpr_count:     4
    .sgpr_spill_count: 0
    .symbol:         _ZN7rocprim17ROCPRIM_400000_NS6detail17trampoline_kernelINS0_13select_configILj256ELj13ELNS0_17block_load_methodE3ELS4_3ELS4_3ELNS0_20block_scan_algorithmE0ELj4294967295EEENS1_25partition_config_selectorILNS1_17partition_subalgoE3EjNS0_10empty_typeEbEEZZNS1_14partition_implILS8_3ELb0ES6_jNS0_17counting_iteratorIjlEEPS9_SE_NS0_5tupleIJPjSE_EEENSF_IJSE_SE_EEES9_SG_JZNS1_25segmented_radix_sort_implINS0_14default_configELb0EPK6__halfPSL_PKlPlN2at6native12_GLOBAL__N_18offset_tEEE10hipError_tPvRmT1_PNSt15iterator_traitsISZ_E10value_typeET2_T3_PNS10_IS15_E10value_typeET4_jRbjT5_S1B_jjP12ihipStream_tbEUljE_EEESW_SX_SY_S15_S19_S1B_T6_T7_T9_mT8_S1D_bDpT10_ENKUlT_T0_E_clISt17integral_constantIbLb1EES1Q_EEDaS1L_S1M_EUlS1L_E_NS1_11comp_targetILNS1_3genE8ELNS1_11target_archE1030ELNS1_3gpuE2ELNS1_3repE0EEENS1_30default_config_static_selectorELNS0_4arch9wavefront6targetE1EEEvSZ_.kd
    .uniform_work_group_size: 1
    .uses_dynamic_stack: false
    .vgpr_count:     0
    .vgpr_spill_count: 0
    .wavefront_size: 64
  - .agpr_count:     0
    .args:
      - .offset:         0
        .size:           144
        .value_kind:     by_value
    .group_segment_fixed_size: 0
    .kernarg_segment_align: 8
    .kernarg_segment_size: 144
    .language:       OpenCL C
    .language_version:
      - 2
      - 0
    .max_flat_workgroup_size: 256
    .name:           _ZN7rocprim17ROCPRIM_400000_NS6detail17trampoline_kernelINS0_13select_configILj256ELj13ELNS0_17block_load_methodE3ELS4_3ELS4_3ELNS0_20block_scan_algorithmE0ELj4294967295EEENS1_25partition_config_selectorILNS1_17partition_subalgoE3EjNS0_10empty_typeEbEEZZNS1_14partition_implILS8_3ELb0ES6_jNS0_17counting_iteratorIjlEEPS9_SE_NS0_5tupleIJPjSE_EEENSF_IJSE_SE_EEES9_SG_JZNS1_25segmented_radix_sort_implINS0_14default_configELb0EPK6__halfPSL_PKlPlN2at6native12_GLOBAL__N_18offset_tEEE10hipError_tPvRmT1_PNSt15iterator_traitsISZ_E10value_typeET2_T3_PNS10_IS15_E10value_typeET4_jRbjT5_S1B_jjP12ihipStream_tbEUljE_EEESW_SX_SY_S15_S19_S1B_T6_T7_T9_mT8_S1D_bDpT10_ENKUlT_T0_E_clISt17integral_constantIbLb1EES1P_IbLb0EEEEDaS1L_S1M_EUlS1L_E_NS1_11comp_targetILNS1_3genE0ELNS1_11target_archE4294967295ELNS1_3gpuE0ELNS1_3repE0EEENS1_30default_config_static_selectorELNS0_4arch9wavefront6targetE1EEEvSZ_
    .private_segment_fixed_size: 0
    .sgpr_count:     4
    .sgpr_spill_count: 0
    .symbol:         _ZN7rocprim17ROCPRIM_400000_NS6detail17trampoline_kernelINS0_13select_configILj256ELj13ELNS0_17block_load_methodE3ELS4_3ELS4_3ELNS0_20block_scan_algorithmE0ELj4294967295EEENS1_25partition_config_selectorILNS1_17partition_subalgoE3EjNS0_10empty_typeEbEEZZNS1_14partition_implILS8_3ELb0ES6_jNS0_17counting_iteratorIjlEEPS9_SE_NS0_5tupleIJPjSE_EEENSF_IJSE_SE_EEES9_SG_JZNS1_25segmented_radix_sort_implINS0_14default_configELb0EPK6__halfPSL_PKlPlN2at6native12_GLOBAL__N_18offset_tEEE10hipError_tPvRmT1_PNSt15iterator_traitsISZ_E10value_typeET2_T3_PNS10_IS15_E10value_typeET4_jRbjT5_S1B_jjP12ihipStream_tbEUljE_EEESW_SX_SY_S15_S19_S1B_T6_T7_T9_mT8_S1D_bDpT10_ENKUlT_T0_E_clISt17integral_constantIbLb1EES1P_IbLb0EEEEDaS1L_S1M_EUlS1L_E_NS1_11comp_targetILNS1_3genE0ELNS1_11target_archE4294967295ELNS1_3gpuE0ELNS1_3repE0EEENS1_30default_config_static_selectorELNS0_4arch9wavefront6targetE1EEEvSZ_.kd
    .uniform_work_group_size: 1
    .uses_dynamic_stack: false
    .vgpr_count:     0
    .vgpr_spill_count: 0
    .wavefront_size: 64
  - .agpr_count:     0
    .args:
      - .offset:         0
        .size:           144
        .value_kind:     by_value
    .group_segment_fixed_size: 0
    .kernarg_segment_align: 8
    .kernarg_segment_size: 144
    .language:       OpenCL C
    .language_version:
      - 2
      - 0
    .max_flat_workgroup_size: 256
    .name:           _ZN7rocprim17ROCPRIM_400000_NS6detail17trampoline_kernelINS0_13select_configILj256ELj13ELNS0_17block_load_methodE3ELS4_3ELS4_3ELNS0_20block_scan_algorithmE0ELj4294967295EEENS1_25partition_config_selectorILNS1_17partition_subalgoE3EjNS0_10empty_typeEbEEZZNS1_14partition_implILS8_3ELb0ES6_jNS0_17counting_iteratorIjlEEPS9_SE_NS0_5tupleIJPjSE_EEENSF_IJSE_SE_EEES9_SG_JZNS1_25segmented_radix_sort_implINS0_14default_configELb0EPK6__halfPSL_PKlPlN2at6native12_GLOBAL__N_18offset_tEEE10hipError_tPvRmT1_PNSt15iterator_traitsISZ_E10value_typeET2_T3_PNS10_IS15_E10value_typeET4_jRbjT5_S1B_jjP12ihipStream_tbEUljE_EEESW_SX_SY_S15_S19_S1B_T6_T7_T9_mT8_S1D_bDpT10_ENKUlT_T0_E_clISt17integral_constantIbLb1EES1P_IbLb0EEEEDaS1L_S1M_EUlS1L_E_NS1_11comp_targetILNS1_3genE5ELNS1_11target_archE942ELNS1_3gpuE9ELNS1_3repE0EEENS1_30default_config_static_selectorELNS0_4arch9wavefront6targetE1EEEvSZ_
    .private_segment_fixed_size: 0
    .sgpr_count:     4
    .sgpr_spill_count: 0
    .symbol:         _ZN7rocprim17ROCPRIM_400000_NS6detail17trampoline_kernelINS0_13select_configILj256ELj13ELNS0_17block_load_methodE3ELS4_3ELS4_3ELNS0_20block_scan_algorithmE0ELj4294967295EEENS1_25partition_config_selectorILNS1_17partition_subalgoE3EjNS0_10empty_typeEbEEZZNS1_14partition_implILS8_3ELb0ES6_jNS0_17counting_iteratorIjlEEPS9_SE_NS0_5tupleIJPjSE_EEENSF_IJSE_SE_EEES9_SG_JZNS1_25segmented_radix_sort_implINS0_14default_configELb0EPK6__halfPSL_PKlPlN2at6native12_GLOBAL__N_18offset_tEEE10hipError_tPvRmT1_PNSt15iterator_traitsISZ_E10value_typeET2_T3_PNS10_IS15_E10value_typeET4_jRbjT5_S1B_jjP12ihipStream_tbEUljE_EEESW_SX_SY_S15_S19_S1B_T6_T7_T9_mT8_S1D_bDpT10_ENKUlT_T0_E_clISt17integral_constantIbLb1EES1P_IbLb0EEEEDaS1L_S1M_EUlS1L_E_NS1_11comp_targetILNS1_3genE5ELNS1_11target_archE942ELNS1_3gpuE9ELNS1_3repE0EEENS1_30default_config_static_selectorELNS0_4arch9wavefront6targetE1EEEvSZ_.kd
    .uniform_work_group_size: 1
    .uses_dynamic_stack: false
    .vgpr_count:     0
    .vgpr_spill_count: 0
    .wavefront_size: 64
  - .agpr_count:     0
    .args:
      - .offset:         0
        .size:           144
        .value_kind:     by_value
    .group_segment_fixed_size: 13324
    .kernarg_segment_align: 8
    .kernarg_segment_size: 144
    .language:       OpenCL C
    .language_version:
      - 2
      - 0
    .max_flat_workgroup_size: 256
    .name:           _ZN7rocprim17ROCPRIM_400000_NS6detail17trampoline_kernelINS0_13select_configILj256ELj13ELNS0_17block_load_methodE3ELS4_3ELS4_3ELNS0_20block_scan_algorithmE0ELj4294967295EEENS1_25partition_config_selectorILNS1_17partition_subalgoE3EjNS0_10empty_typeEbEEZZNS1_14partition_implILS8_3ELb0ES6_jNS0_17counting_iteratorIjlEEPS9_SE_NS0_5tupleIJPjSE_EEENSF_IJSE_SE_EEES9_SG_JZNS1_25segmented_radix_sort_implINS0_14default_configELb0EPK6__halfPSL_PKlPlN2at6native12_GLOBAL__N_18offset_tEEE10hipError_tPvRmT1_PNSt15iterator_traitsISZ_E10value_typeET2_T3_PNS10_IS15_E10value_typeET4_jRbjT5_S1B_jjP12ihipStream_tbEUljE_EEESW_SX_SY_S15_S19_S1B_T6_T7_T9_mT8_S1D_bDpT10_ENKUlT_T0_E_clISt17integral_constantIbLb1EES1P_IbLb0EEEEDaS1L_S1M_EUlS1L_E_NS1_11comp_targetILNS1_3genE4ELNS1_11target_archE910ELNS1_3gpuE8ELNS1_3repE0EEENS1_30default_config_static_selectorELNS0_4arch9wavefront6targetE1EEEvSZ_
    .private_segment_fixed_size: 0
    .sgpr_count:     50
    .sgpr_spill_count: 0
    .symbol:         _ZN7rocprim17ROCPRIM_400000_NS6detail17trampoline_kernelINS0_13select_configILj256ELj13ELNS0_17block_load_methodE3ELS4_3ELS4_3ELNS0_20block_scan_algorithmE0ELj4294967295EEENS1_25partition_config_selectorILNS1_17partition_subalgoE3EjNS0_10empty_typeEbEEZZNS1_14partition_implILS8_3ELb0ES6_jNS0_17counting_iteratorIjlEEPS9_SE_NS0_5tupleIJPjSE_EEENSF_IJSE_SE_EEES9_SG_JZNS1_25segmented_radix_sort_implINS0_14default_configELb0EPK6__halfPSL_PKlPlN2at6native12_GLOBAL__N_18offset_tEEE10hipError_tPvRmT1_PNSt15iterator_traitsISZ_E10value_typeET2_T3_PNS10_IS15_E10value_typeET4_jRbjT5_S1B_jjP12ihipStream_tbEUljE_EEESW_SX_SY_S15_S19_S1B_T6_T7_T9_mT8_S1D_bDpT10_ENKUlT_T0_E_clISt17integral_constantIbLb1EES1P_IbLb0EEEEDaS1L_S1M_EUlS1L_E_NS1_11comp_targetILNS1_3genE4ELNS1_11target_archE910ELNS1_3gpuE8ELNS1_3repE0EEENS1_30default_config_static_selectorELNS0_4arch9wavefront6targetE1EEEvSZ_.kd
    .uniform_work_group_size: 1
    .uses_dynamic_stack: false
    .vgpr_count:     61
    .vgpr_spill_count: 0
    .wavefront_size: 64
  - .agpr_count:     0
    .args:
      - .offset:         0
        .size:           144
        .value_kind:     by_value
    .group_segment_fixed_size: 0
    .kernarg_segment_align: 8
    .kernarg_segment_size: 144
    .language:       OpenCL C
    .language_version:
      - 2
      - 0
    .max_flat_workgroup_size: 256
    .name:           _ZN7rocprim17ROCPRIM_400000_NS6detail17trampoline_kernelINS0_13select_configILj256ELj13ELNS0_17block_load_methodE3ELS4_3ELS4_3ELNS0_20block_scan_algorithmE0ELj4294967295EEENS1_25partition_config_selectorILNS1_17partition_subalgoE3EjNS0_10empty_typeEbEEZZNS1_14partition_implILS8_3ELb0ES6_jNS0_17counting_iteratorIjlEEPS9_SE_NS0_5tupleIJPjSE_EEENSF_IJSE_SE_EEES9_SG_JZNS1_25segmented_radix_sort_implINS0_14default_configELb0EPK6__halfPSL_PKlPlN2at6native12_GLOBAL__N_18offset_tEEE10hipError_tPvRmT1_PNSt15iterator_traitsISZ_E10value_typeET2_T3_PNS10_IS15_E10value_typeET4_jRbjT5_S1B_jjP12ihipStream_tbEUljE_EEESW_SX_SY_S15_S19_S1B_T6_T7_T9_mT8_S1D_bDpT10_ENKUlT_T0_E_clISt17integral_constantIbLb1EES1P_IbLb0EEEEDaS1L_S1M_EUlS1L_E_NS1_11comp_targetILNS1_3genE3ELNS1_11target_archE908ELNS1_3gpuE7ELNS1_3repE0EEENS1_30default_config_static_selectorELNS0_4arch9wavefront6targetE1EEEvSZ_
    .private_segment_fixed_size: 0
    .sgpr_count:     4
    .sgpr_spill_count: 0
    .symbol:         _ZN7rocprim17ROCPRIM_400000_NS6detail17trampoline_kernelINS0_13select_configILj256ELj13ELNS0_17block_load_methodE3ELS4_3ELS4_3ELNS0_20block_scan_algorithmE0ELj4294967295EEENS1_25partition_config_selectorILNS1_17partition_subalgoE3EjNS0_10empty_typeEbEEZZNS1_14partition_implILS8_3ELb0ES6_jNS0_17counting_iteratorIjlEEPS9_SE_NS0_5tupleIJPjSE_EEENSF_IJSE_SE_EEES9_SG_JZNS1_25segmented_radix_sort_implINS0_14default_configELb0EPK6__halfPSL_PKlPlN2at6native12_GLOBAL__N_18offset_tEEE10hipError_tPvRmT1_PNSt15iterator_traitsISZ_E10value_typeET2_T3_PNS10_IS15_E10value_typeET4_jRbjT5_S1B_jjP12ihipStream_tbEUljE_EEESW_SX_SY_S15_S19_S1B_T6_T7_T9_mT8_S1D_bDpT10_ENKUlT_T0_E_clISt17integral_constantIbLb1EES1P_IbLb0EEEEDaS1L_S1M_EUlS1L_E_NS1_11comp_targetILNS1_3genE3ELNS1_11target_archE908ELNS1_3gpuE7ELNS1_3repE0EEENS1_30default_config_static_selectorELNS0_4arch9wavefront6targetE1EEEvSZ_.kd
    .uniform_work_group_size: 1
    .uses_dynamic_stack: false
    .vgpr_count:     0
    .vgpr_spill_count: 0
    .wavefront_size: 64
  - .agpr_count:     0
    .args:
      - .offset:         0
        .size:           144
        .value_kind:     by_value
    .group_segment_fixed_size: 0
    .kernarg_segment_align: 8
    .kernarg_segment_size: 144
    .language:       OpenCL C
    .language_version:
      - 2
      - 0
    .max_flat_workgroup_size: 256
    .name:           _ZN7rocprim17ROCPRIM_400000_NS6detail17trampoline_kernelINS0_13select_configILj256ELj13ELNS0_17block_load_methodE3ELS4_3ELS4_3ELNS0_20block_scan_algorithmE0ELj4294967295EEENS1_25partition_config_selectorILNS1_17partition_subalgoE3EjNS0_10empty_typeEbEEZZNS1_14partition_implILS8_3ELb0ES6_jNS0_17counting_iteratorIjlEEPS9_SE_NS0_5tupleIJPjSE_EEENSF_IJSE_SE_EEES9_SG_JZNS1_25segmented_radix_sort_implINS0_14default_configELb0EPK6__halfPSL_PKlPlN2at6native12_GLOBAL__N_18offset_tEEE10hipError_tPvRmT1_PNSt15iterator_traitsISZ_E10value_typeET2_T3_PNS10_IS15_E10value_typeET4_jRbjT5_S1B_jjP12ihipStream_tbEUljE_EEESW_SX_SY_S15_S19_S1B_T6_T7_T9_mT8_S1D_bDpT10_ENKUlT_T0_E_clISt17integral_constantIbLb1EES1P_IbLb0EEEEDaS1L_S1M_EUlS1L_E_NS1_11comp_targetILNS1_3genE2ELNS1_11target_archE906ELNS1_3gpuE6ELNS1_3repE0EEENS1_30default_config_static_selectorELNS0_4arch9wavefront6targetE1EEEvSZ_
    .private_segment_fixed_size: 0
    .sgpr_count:     4
    .sgpr_spill_count: 0
    .symbol:         _ZN7rocprim17ROCPRIM_400000_NS6detail17trampoline_kernelINS0_13select_configILj256ELj13ELNS0_17block_load_methodE3ELS4_3ELS4_3ELNS0_20block_scan_algorithmE0ELj4294967295EEENS1_25partition_config_selectorILNS1_17partition_subalgoE3EjNS0_10empty_typeEbEEZZNS1_14partition_implILS8_3ELb0ES6_jNS0_17counting_iteratorIjlEEPS9_SE_NS0_5tupleIJPjSE_EEENSF_IJSE_SE_EEES9_SG_JZNS1_25segmented_radix_sort_implINS0_14default_configELb0EPK6__halfPSL_PKlPlN2at6native12_GLOBAL__N_18offset_tEEE10hipError_tPvRmT1_PNSt15iterator_traitsISZ_E10value_typeET2_T3_PNS10_IS15_E10value_typeET4_jRbjT5_S1B_jjP12ihipStream_tbEUljE_EEESW_SX_SY_S15_S19_S1B_T6_T7_T9_mT8_S1D_bDpT10_ENKUlT_T0_E_clISt17integral_constantIbLb1EES1P_IbLb0EEEEDaS1L_S1M_EUlS1L_E_NS1_11comp_targetILNS1_3genE2ELNS1_11target_archE906ELNS1_3gpuE6ELNS1_3repE0EEENS1_30default_config_static_selectorELNS0_4arch9wavefront6targetE1EEEvSZ_.kd
    .uniform_work_group_size: 1
    .uses_dynamic_stack: false
    .vgpr_count:     0
    .vgpr_spill_count: 0
    .wavefront_size: 64
  - .agpr_count:     0
    .args:
      - .offset:         0
        .size:           144
        .value_kind:     by_value
    .group_segment_fixed_size: 0
    .kernarg_segment_align: 8
    .kernarg_segment_size: 144
    .language:       OpenCL C
    .language_version:
      - 2
      - 0
    .max_flat_workgroup_size: 256
    .name:           _ZN7rocprim17ROCPRIM_400000_NS6detail17trampoline_kernelINS0_13select_configILj256ELj13ELNS0_17block_load_methodE3ELS4_3ELS4_3ELNS0_20block_scan_algorithmE0ELj4294967295EEENS1_25partition_config_selectorILNS1_17partition_subalgoE3EjNS0_10empty_typeEbEEZZNS1_14partition_implILS8_3ELb0ES6_jNS0_17counting_iteratorIjlEEPS9_SE_NS0_5tupleIJPjSE_EEENSF_IJSE_SE_EEES9_SG_JZNS1_25segmented_radix_sort_implINS0_14default_configELb0EPK6__halfPSL_PKlPlN2at6native12_GLOBAL__N_18offset_tEEE10hipError_tPvRmT1_PNSt15iterator_traitsISZ_E10value_typeET2_T3_PNS10_IS15_E10value_typeET4_jRbjT5_S1B_jjP12ihipStream_tbEUljE_EEESW_SX_SY_S15_S19_S1B_T6_T7_T9_mT8_S1D_bDpT10_ENKUlT_T0_E_clISt17integral_constantIbLb1EES1P_IbLb0EEEEDaS1L_S1M_EUlS1L_E_NS1_11comp_targetILNS1_3genE10ELNS1_11target_archE1200ELNS1_3gpuE4ELNS1_3repE0EEENS1_30default_config_static_selectorELNS0_4arch9wavefront6targetE1EEEvSZ_
    .private_segment_fixed_size: 0
    .sgpr_count:     4
    .sgpr_spill_count: 0
    .symbol:         _ZN7rocprim17ROCPRIM_400000_NS6detail17trampoline_kernelINS0_13select_configILj256ELj13ELNS0_17block_load_methodE3ELS4_3ELS4_3ELNS0_20block_scan_algorithmE0ELj4294967295EEENS1_25partition_config_selectorILNS1_17partition_subalgoE3EjNS0_10empty_typeEbEEZZNS1_14partition_implILS8_3ELb0ES6_jNS0_17counting_iteratorIjlEEPS9_SE_NS0_5tupleIJPjSE_EEENSF_IJSE_SE_EEES9_SG_JZNS1_25segmented_radix_sort_implINS0_14default_configELb0EPK6__halfPSL_PKlPlN2at6native12_GLOBAL__N_18offset_tEEE10hipError_tPvRmT1_PNSt15iterator_traitsISZ_E10value_typeET2_T3_PNS10_IS15_E10value_typeET4_jRbjT5_S1B_jjP12ihipStream_tbEUljE_EEESW_SX_SY_S15_S19_S1B_T6_T7_T9_mT8_S1D_bDpT10_ENKUlT_T0_E_clISt17integral_constantIbLb1EES1P_IbLb0EEEEDaS1L_S1M_EUlS1L_E_NS1_11comp_targetILNS1_3genE10ELNS1_11target_archE1200ELNS1_3gpuE4ELNS1_3repE0EEENS1_30default_config_static_selectorELNS0_4arch9wavefront6targetE1EEEvSZ_.kd
    .uniform_work_group_size: 1
    .uses_dynamic_stack: false
    .vgpr_count:     0
    .vgpr_spill_count: 0
    .wavefront_size: 64
  - .agpr_count:     0
    .args:
      - .offset:         0
        .size:           144
        .value_kind:     by_value
    .group_segment_fixed_size: 0
    .kernarg_segment_align: 8
    .kernarg_segment_size: 144
    .language:       OpenCL C
    .language_version:
      - 2
      - 0
    .max_flat_workgroup_size: 256
    .name:           _ZN7rocprim17ROCPRIM_400000_NS6detail17trampoline_kernelINS0_13select_configILj256ELj13ELNS0_17block_load_methodE3ELS4_3ELS4_3ELNS0_20block_scan_algorithmE0ELj4294967295EEENS1_25partition_config_selectorILNS1_17partition_subalgoE3EjNS0_10empty_typeEbEEZZNS1_14partition_implILS8_3ELb0ES6_jNS0_17counting_iteratorIjlEEPS9_SE_NS0_5tupleIJPjSE_EEENSF_IJSE_SE_EEES9_SG_JZNS1_25segmented_radix_sort_implINS0_14default_configELb0EPK6__halfPSL_PKlPlN2at6native12_GLOBAL__N_18offset_tEEE10hipError_tPvRmT1_PNSt15iterator_traitsISZ_E10value_typeET2_T3_PNS10_IS15_E10value_typeET4_jRbjT5_S1B_jjP12ihipStream_tbEUljE_EEESW_SX_SY_S15_S19_S1B_T6_T7_T9_mT8_S1D_bDpT10_ENKUlT_T0_E_clISt17integral_constantIbLb1EES1P_IbLb0EEEEDaS1L_S1M_EUlS1L_E_NS1_11comp_targetILNS1_3genE9ELNS1_11target_archE1100ELNS1_3gpuE3ELNS1_3repE0EEENS1_30default_config_static_selectorELNS0_4arch9wavefront6targetE1EEEvSZ_
    .private_segment_fixed_size: 0
    .sgpr_count:     4
    .sgpr_spill_count: 0
    .symbol:         _ZN7rocprim17ROCPRIM_400000_NS6detail17trampoline_kernelINS0_13select_configILj256ELj13ELNS0_17block_load_methodE3ELS4_3ELS4_3ELNS0_20block_scan_algorithmE0ELj4294967295EEENS1_25partition_config_selectorILNS1_17partition_subalgoE3EjNS0_10empty_typeEbEEZZNS1_14partition_implILS8_3ELb0ES6_jNS0_17counting_iteratorIjlEEPS9_SE_NS0_5tupleIJPjSE_EEENSF_IJSE_SE_EEES9_SG_JZNS1_25segmented_radix_sort_implINS0_14default_configELb0EPK6__halfPSL_PKlPlN2at6native12_GLOBAL__N_18offset_tEEE10hipError_tPvRmT1_PNSt15iterator_traitsISZ_E10value_typeET2_T3_PNS10_IS15_E10value_typeET4_jRbjT5_S1B_jjP12ihipStream_tbEUljE_EEESW_SX_SY_S15_S19_S1B_T6_T7_T9_mT8_S1D_bDpT10_ENKUlT_T0_E_clISt17integral_constantIbLb1EES1P_IbLb0EEEEDaS1L_S1M_EUlS1L_E_NS1_11comp_targetILNS1_3genE9ELNS1_11target_archE1100ELNS1_3gpuE3ELNS1_3repE0EEENS1_30default_config_static_selectorELNS0_4arch9wavefront6targetE1EEEvSZ_.kd
    .uniform_work_group_size: 1
    .uses_dynamic_stack: false
    .vgpr_count:     0
    .vgpr_spill_count: 0
    .wavefront_size: 64
  - .agpr_count:     0
    .args:
      - .offset:         0
        .size:           144
        .value_kind:     by_value
    .group_segment_fixed_size: 0
    .kernarg_segment_align: 8
    .kernarg_segment_size: 144
    .language:       OpenCL C
    .language_version:
      - 2
      - 0
    .max_flat_workgroup_size: 256
    .name:           _ZN7rocprim17ROCPRIM_400000_NS6detail17trampoline_kernelINS0_13select_configILj256ELj13ELNS0_17block_load_methodE3ELS4_3ELS4_3ELNS0_20block_scan_algorithmE0ELj4294967295EEENS1_25partition_config_selectorILNS1_17partition_subalgoE3EjNS0_10empty_typeEbEEZZNS1_14partition_implILS8_3ELb0ES6_jNS0_17counting_iteratorIjlEEPS9_SE_NS0_5tupleIJPjSE_EEENSF_IJSE_SE_EEES9_SG_JZNS1_25segmented_radix_sort_implINS0_14default_configELb0EPK6__halfPSL_PKlPlN2at6native12_GLOBAL__N_18offset_tEEE10hipError_tPvRmT1_PNSt15iterator_traitsISZ_E10value_typeET2_T3_PNS10_IS15_E10value_typeET4_jRbjT5_S1B_jjP12ihipStream_tbEUljE_EEESW_SX_SY_S15_S19_S1B_T6_T7_T9_mT8_S1D_bDpT10_ENKUlT_T0_E_clISt17integral_constantIbLb1EES1P_IbLb0EEEEDaS1L_S1M_EUlS1L_E_NS1_11comp_targetILNS1_3genE8ELNS1_11target_archE1030ELNS1_3gpuE2ELNS1_3repE0EEENS1_30default_config_static_selectorELNS0_4arch9wavefront6targetE1EEEvSZ_
    .private_segment_fixed_size: 0
    .sgpr_count:     4
    .sgpr_spill_count: 0
    .symbol:         _ZN7rocprim17ROCPRIM_400000_NS6detail17trampoline_kernelINS0_13select_configILj256ELj13ELNS0_17block_load_methodE3ELS4_3ELS4_3ELNS0_20block_scan_algorithmE0ELj4294967295EEENS1_25partition_config_selectorILNS1_17partition_subalgoE3EjNS0_10empty_typeEbEEZZNS1_14partition_implILS8_3ELb0ES6_jNS0_17counting_iteratorIjlEEPS9_SE_NS0_5tupleIJPjSE_EEENSF_IJSE_SE_EEES9_SG_JZNS1_25segmented_radix_sort_implINS0_14default_configELb0EPK6__halfPSL_PKlPlN2at6native12_GLOBAL__N_18offset_tEEE10hipError_tPvRmT1_PNSt15iterator_traitsISZ_E10value_typeET2_T3_PNS10_IS15_E10value_typeET4_jRbjT5_S1B_jjP12ihipStream_tbEUljE_EEESW_SX_SY_S15_S19_S1B_T6_T7_T9_mT8_S1D_bDpT10_ENKUlT_T0_E_clISt17integral_constantIbLb1EES1P_IbLb0EEEEDaS1L_S1M_EUlS1L_E_NS1_11comp_targetILNS1_3genE8ELNS1_11target_archE1030ELNS1_3gpuE2ELNS1_3repE0EEENS1_30default_config_static_selectorELNS0_4arch9wavefront6targetE1EEEvSZ_.kd
    .uniform_work_group_size: 1
    .uses_dynamic_stack: false
    .vgpr_count:     0
    .vgpr_spill_count: 0
    .wavefront_size: 64
  - .agpr_count:     0
    .args:
      - .offset:         0
        .size:           152
        .value_kind:     by_value
    .group_segment_fixed_size: 0
    .kernarg_segment_align: 8
    .kernarg_segment_size: 152
    .language:       OpenCL C
    .language_version:
      - 2
      - 0
    .max_flat_workgroup_size: 256
    .name:           _ZN7rocprim17ROCPRIM_400000_NS6detail17trampoline_kernelINS0_13select_configILj256ELj13ELNS0_17block_load_methodE3ELS4_3ELS4_3ELNS0_20block_scan_algorithmE0ELj4294967295EEENS1_25partition_config_selectorILNS1_17partition_subalgoE3EjNS0_10empty_typeEbEEZZNS1_14partition_implILS8_3ELb0ES6_jNS0_17counting_iteratorIjlEEPS9_SE_NS0_5tupleIJPjSE_EEENSF_IJSE_SE_EEES9_SG_JZNS1_25segmented_radix_sort_implINS0_14default_configELb0EPK6__halfPSL_PKlPlN2at6native12_GLOBAL__N_18offset_tEEE10hipError_tPvRmT1_PNSt15iterator_traitsISZ_E10value_typeET2_T3_PNS10_IS15_E10value_typeET4_jRbjT5_S1B_jjP12ihipStream_tbEUljE_EEESW_SX_SY_S15_S19_S1B_T6_T7_T9_mT8_S1D_bDpT10_ENKUlT_T0_E_clISt17integral_constantIbLb0EES1P_IbLb1EEEEDaS1L_S1M_EUlS1L_E_NS1_11comp_targetILNS1_3genE0ELNS1_11target_archE4294967295ELNS1_3gpuE0ELNS1_3repE0EEENS1_30default_config_static_selectorELNS0_4arch9wavefront6targetE1EEEvSZ_
    .private_segment_fixed_size: 0
    .sgpr_count:     4
    .sgpr_spill_count: 0
    .symbol:         _ZN7rocprim17ROCPRIM_400000_NS6detail17trampoline_kernelINS0_13select_configILj256ELj13ELNS0_17block_load_methodE3ELS4_3ELS4_3ELNS0_20block_scan_algorithmE0ELj4294967295EEENS1_25partition_config_selectorILNS1_17partition_subalgoE3EjNS0_10empty_typeEbEEZZNS1_14partition_implILS8_3ELb0ES6_jNS0_17counting_iteratorIjlEEPS9_SE_NS0_5tupleIJPjSE_EEENSF_IJSE_SE_EEES9_SG_JZNS1_25segmented_radix_sort_implINS0_14default_configELb0EPK6__halfPSL_PKlPlN2at6native12_GLOBAL__N_18offset_tEEE10hipError_tPvRmT1_PNSt15iterator_traitsISZ_E10value_typeET2_T3_PNS10_IS15_E10value_typeET4_jRbjT5_S1B_jjP12ihipStream_tbEUljE_EEESW_SX_SY_S15_S19_S1B_T6_T7_T9_mT8_S1D_bDpT10_ENKUlT_T0_E_clISt17integral_constantIbLb0EES1P_IbLb1EEEEDaS1L_S1M_EUlS1L_E_NS1_11comp_targetILNS1_3genE0ELNS1_11target_archE4294967295ELNS1_3gpuE0ELNS1_3repE0EEENS1_30default_config_static_selectorELNS0_4arch9wavefront6targetE1EEEvSZ_.kd
    .uniform_work_group_size: 1
    .uses_dynamic_stack: false
    .vgpr_count:     0
    .vgpr_spill_count: 0
    .wavefront_size: 64
  - .agpr_count:     0
    .args:
      - .offset:         0
        .size:           152
        .value_kind:     by_value
    .group_segment_fixed_size: 0
    .kernarg_segment_align: 8
    .kernarg_segment_size: 152
    .language:       OpenCL C
    .language_version:
      - 2
      - 0
    .max_flat_workgroup_size: 256
    .name:           _ZN7rocprim17ROCPRIM_400000_NS6detail17trampoline_kernelINS0_13select_configILj256ELj13ELNS0_17block_load_methodE3ELS4_3ELS4_3ELNS0_20block_scan_algorithmE0ELj4294967295EEENS1_25partition_config_selectorILNS1_17partition_subalgoE3EjNS0_10empty_typeEbEEZZNS1_14partition_implILS8_3ELb0ES6_jNS0_17counting_iteratorIjlEEPS9_SE_NS0_5tupleIJPjSE_EEENSF_IJSE_SE_EEES9_SG_JZNS1_25segmented_radix_sort_implINS0_14default_configELb0EPK6__halfPSL_PKlPlN2at6native12_GLOBAL__N_18offset_tEEE10hipError_tPvRmT1_PNSt15iterator_traitsISZ_E10value_typeET2_T3_PNS10_IS15_E10value_typeET4_jRbjT5_S1B_jjP12ihipStream_tbEUljE_EEESW_SX_SY_S15_S19_S1B_T6_T7_T9_mT8_S1D_bDpT10_ENKUlT_T0_E_clISt17integral_constantIbLb0EES1P_IbLb1EEEEDaS1L_S1M_EUlS1L_E_NS1_11comp_targetILNS1_3genE5ELNS1_11target_archE942ELNS1_3gpuE9ELNS1_3repE0EEENS1_30default_config_static_selectorELNS0_4arch9wavefront6targetE1EEEvSZ_
    .private_segment_fixed_size: 0
    .sgpr_count:     4
    .sgpr_spill_count: 0
    .symbol:         _ZN7rocprim17ROCPRIM_400000_NS6detail17trampoline_kernelINS0_13select_configILj256ELj13ELNS0_17block_load_methodE3ELS4_3ELS4_3ELNS0_20block_scan_algorithmE0ELj4294967295EEENS1_25partition_config_selectorILNS1_17partition_subalgoE3EjNS0_10empty_typeEbEEZZNS1_14partition_implILS8_3ELb0ES6_jNS0_17counting_iteratorIjlEEPS9_SE_NS0_5tupleIJPjSE_EEENSF_IJSE_SE_EEES9_SG_JZNS1_25segmented_radix_sort_implINS0_14default_configELb0EPK6__halfPSL_PKlPlN2at6native12_GLOBAL__N_18offset_tEEE10hipError_tPvRmT1_PNSt15iterator_traitsISZ_E10value_typeET2_T3_PNS10_IS15_E10value_typeET4_jRbjT5_S1B_jjP12ihipStream_tbEUljE_EEESW_SX_SY_S15_S19_S1B_T6_T7_T9_mT8_S1D_bDpT10_ENKUlT_T0_E_clISt17integral_constantIbLb0EES1P_IbLb1EEEEDaS1L_S1M_EUlS1L_E_NS1_11comp_targetILNS1_3genE5ELNS1_11target_archE942ELNS1_3gpuE9ELNS1_3repE0EEENS1_30default_config_static_selectorELNS0_4arch9wavefront6targetE1EEEvSZ_.kd
    .uniform_work_group_size: 1
    .uses_dynamic_stack: false
    .vgpr_count:     0
    .vgpr_spill_count: 0
    .wavefront_size: 64
  - .agpr_count:     0
    .args:
      - .offset:         0
        .size:           152
        .value_kind:     by_value
    .group_segment_fixed_size: 13324
    .kernarg_segment_align: 8
    .kernarg_segment_size: 152
    .language:       OpenCL C
    .language_version:
      - 2
      - 0
    .max_flat_workgroup_size: 256
    .name:           _ZN7rocprim17ROCPRIM_400000_NS6detail17trampoline_kernelINS0_13select_configILj256ELj13ELNS0_17block_load_methodE3ELS4_3ELS4_3ELNS0_20block_scan_algorithmE0ELj4294967295EEENS1_25partition_config_selectorILNS1_17partition_subalgoE3EjNS0_10empty_typeEbEEZZNS1_14partition_implILS8_3ELb0ES6_jNS0_17counting_iteratorIjlEEPS9_SE_NS0_5tupleIJPjSE_EEENSF_IJSE_SE_EEES9_SG_JZNS1_25segmented_radix_sort_implINS0_14default_configELb0EPK6__halfPSL_PKlPlN2at6native12_GLOBAL__N_18offset_tEEE10hipError_tPvRmT1_PNSt15iterator_traitsISZ_E10value_typeET2_T3_PNS10_IS15_E10value_typeET4_jRbjT5_S1B_jjP12ihipStream_tbEUljE_EEESW_SX_SY_S15_S19_S1B_T6_T7_T9_mT8_S1D_bDpT10_ENKUlT_T0_E_clISt17integral_constantIbLb0EES1P_IbLb1EEEEDaS1L_S1M_EUlS1L_E_NS1_11comp_targetILNS1_3genE4ELNS1_11target_archE910ELNS1_3gpuE8ELNS1_3repE0EEENS1_30default_config_static_selectorELNS0_4arch9wavefront6targetE1EEEvSZ_
    .private_segment_fixed_size: 0
    .sgpr_count:     48
    .sgpr_spill_count: 0
    .symbol:         _ZN7rocprim17ROCPRIM_400000_NS6detail17trampoline_kernelINS0_13select_configILj256ELj13ELNS0_17block_load_methodE3ELS4_3ELS4_3ELNS0_20block_scan_algorithmE0ELj4294967295EEENS1_25partition_config_selectorILNS1_17partition_subalgoE3EjNS0_10empty_typeEbEEZZNS1_14partition_implILS8_3ELb0ES6_jNS0_17counting_iteratorIjlEEPS9_SE_NS0_5tupleIJPjSE_EEENSF_IJSE_SE_EEES9_SG_JZNS1_25segmented_radix_sort_implINS0_14default_configELb0EPK6__halfPSL_PKlPlN2at6native12_GLOBAL__N_18offset_tEEE10hipError_tPvRmT1_PNSt15iterator_traitsISZ_E10value_typeET2_T3_PNS10_IS15_E10value_typeET4_jRbjT5_S1B_jjP12ihipStream_tbEUljE_EEESW_SX_SY_S15_S19_S1B_T6_T7_T9_mT8_S1D_bDpT10_ENKUlT_T0_E_clISt17integral_constantIbLb0EES1P_IbLb1EEEEDaS1L_S1M_EUlS1L_E_NS1_11comp_targetILNS1_3genE4ELNS1_11target_archE910ELNS1_3gpuE8ELNS1_3repE0EEENS1_30default_config_static_selectorELNS0_4arch9wavefront6targetE1EEEvSZ_.kd
    .uniform_work_group_size: 1
    .uses_dynamic_stack: false
    .vgpr_count:     64
    .vgpr_spill_count: 0
    .wavefront_size: 64
  - .agpr_count:     0
    .args:
      - .offset:         0
        .size:           152
        .value_kind:     by_value
    .group_segment_fixed_size: 0
    .kernarg_segment_align: 8
    .kernarg_segment_size: 152
    .language:       OpenCL C
    .language_version:
      - 2
      - 0
    .max_flat_workgroup_size: 256
    .name:           _ZN7rocprim17ROCPRIM_400000_NS6detail17trampoline_kernelINS0_13select_configILj256ELj13ELNS0_17block_load_methodE3ELS4_3ELS4_3ELNS0_20block_scan_algorithmE0ELj4294967295EEENS1_25partition_config_selectorILNS1_17partition_subalgoE3EjNS0_10empty_typeEbEEZZNS1_14partition_implILS8_3ELb0ES6_jNS0_17counting_iteratorIjlEEPS9_SE_NS0_5tupleIJPjSE_EEENSF_IJSE_SE_EEES9_SG_JZNS1_25segmented_radix_sort_implINS0_14default_configELb0EPK6__halfPSL_PKlPlN2at6native12_GLOBAL__N_18offset_tEEE10hipError_tPvRmT1_PNSt15iterator_traitsISZ_E10value_typeET2_T3_PNS10_IS15_E10value_typeET4_jRbjT5_S1B_jjP12ihipStream_tbEUljE_EEESW_SX_SY_S15_S19_S1B_T6_T7_T9_mT8_S1D_bDpT10_ENKUlT_T0_E_clISt17integral_constantIbLb0EES1P_IbLb1EEEEDaS1L_S1M_EUlS1L_E_NS1_11comp_targetILNS1_3genE3ELNS1_11target_archE908ELNS1_3gpuE7ELNS1_3repE0EEENS1_30default_config_static_selectorELNS0_4arch9wavefront6targetE1EEEvSZ_
    .private_segment_fixed_size: 0
    .sgpr_count:     4
    .sgpr_spill_count: 0
    .symbol:         _ZN7rocprim17ROCPRIM_400000_NS6detail17trampoline_kernelINS0_13select_configILj256ELj13ELNS0_17block_load_methodE3ELS4_3ELS4_3ELNS0_20block_scan_algorithmE0ELj4294967295EEENS1_25partition_config_selectorILNS1_17partition_subalgoE3EjNS0_10empty_typeEbEEZZNS1_14partition_implILS8_3ELb0ES6_jNS0_17counting_iteratorIjlEEPS9_SE_NS0_5tupleIJPjSE_EEENSF_IJSE_SE_EEES9_SG_JZNS1_25segmented_radix_sort_implINS0_14default_configELb0EPK6__halfPSL_PKlPlN2at6native12_GLOBAL__N_18offset_tEEE10hipError_tPvRmT1_PNSt15iterator_traitsISZ_E10value_typeET2_T3_PNS10_IS15_E10value_typeET4_jRbjT5_S1B_jjP12ihipStream_tbEUljE_EEESW_SX_SY_S15_S19_S1B_T6_T7_T9_mT8_S1D_bDpT10_ENKUlT_T0_E_clISt17integral_constantIbLb0EES1P_IbLb1EEEEDaS1L_S1M_EUlS1L_E_NS1_11comp_targetILNS1_3genE3ELNS1_11target_archE908ELNS1_3gpuE7ELNS1_3repE0EEENS1_30default_config_static_selectorELNS0_4arch9wavefront6targetE1EEEvSZ_.kd
    .uniform_work_group_size: 1
    .uses_dynamic_stack: false
    .vgpr_count:     0
    .vgpr_spill_count: 0
    .wavefront_size: 64
  - .agpr_count:     0
    .args:
      - .offset:         0
        .size:           152
        .value_kind:     by_value
    .group_segment_fixed_size: 0
    .kernarg_segment_align: 8
    .kernarg_segment_size: 152
    .language:       OpenCL C
    .language_version:
      - 2
      - 0
    .max_flat_workgroup_size: 256
    .name:           _ZN7rocprim17ROCPRIM_400000_NS6detail17trampoline_kernelINS0_13select_configILj256ELj13ELNS0_17block_load_methodE3ELS4_3ELS4_3ELNS0_20block_scan_algorithmE0ELj4294967295EEENS1_25partition_config_selectorILNS1_17partition_subalgoE3EjNS0_10empty_typeEbEEZZNS1_14partition_implILS8_3ELb0ES6_jNS0_17counting_iteratorIjlEEPS9_SE_NS0_5tupleIJPjSE_EEENSF_IJSE_SE_EEES9_SG_JZNS1_25segmented_radix_sort_implINS0_14default_configELb0EPK6__halfPSL_PKlPlN2at6native12_GLOBAL__N_18offset_tEEE10hipError_tPvRmT1_PNSt15iterator_traitsISZ_E10value_typeET2_T3_PNS10_IS15_E10value_typeET4_jRbjT5_S1B_jjP12ihipStream_tbEUljE_EEESW_SX_SY_S15_S19_S1B_T6_T7_T9_mT8_S1D_bDpT10_ENKUlT_T0_E_clISt17integral_constantIbLb0EES1P_IbLb1EEEEDaS1L_S1M_EUlS1L_E_NS1_11comp_targetILNS1_3genE2ELNS1_11target_archE906ELNS1_3gpuE6ELNS1_3repE0EEENS1_30default_config_static_selectorELNS0_4arch9wavefront6targetE1EEEvSZ_
    .private_segment_fixed_size: 0
    .sgpr_count:     4
    .sgpr_spill_count: 0
    .symbol:         _ZN7rocprim17ROCPRIM_400000_NS6detail17trampoline_kernelINS0_13select_configILj256ELj13ELNS0_17block_load_methodE3ELS4_3ELS4_3ELNS0_20block_scan_algorithmE0ELj4294967295EEENS1_25partition_config_selectorILNS1_17partition_subalgoE3EjNS0_10empty_typeEbEEZZNS1_14partition_implILS8_3ELb0ES6_jNS0_17counting_iteratorIjlEEPS9_SE_NS0_5tupleIJPjSE_EEENSF_IJSE_SE_EEES9_SG_JZNS1_25segmented_radix_sort_implINS0_14default_configELb0EPK6__halfPSL_PKlPlN2at6native12_GLOBAL__N_18offset_tEEE10hipError_tPvRmT1_PNSt15iterator_traitsISZ_E10value_typeET2_T3_PNS10_IS15_E10value_typeET4_jRbjT5_S1B_jjP12ihipStream_tbEUljE_EEESW_SX_SY_S15_S19_S1B_T6_T7_T9_mT8_S1D_bDpT10_ENKUlT_T0_E_clISt17integral_constantIbLb0EES1P_IbLb1EEEEDaS1L_S1M_EUlS1L_E_NS1_11comp_targetILNS1_3genE2ELNS1_11target_archE906ELNS1_3gpuE6ELNS1_3repE0EEENS1_30default_config_static_selectorELNS0_4arch9wavefront6targetE1EEEvSZ_.kd
    .uniform_work_group_size: 1
    .uses_dynamic_stack: false
    .vgpr_count:     0
    .vgpr_spill_count: 0
    .wavefront_size: 64
  - .agpr_count:     0
    .args:
      - .offset:         0
        .size:           152
        .value_kind:     by_value
    .group_segment_fixed_size: 0
    .kernarg_segment_align: 8
    .kernarg_segment_size: 152
    .language:       OpenCL C
    .language_version:
      - 2
      - 0
    .max_flat_workgroup_size: 256
    .name:           _ZN7rocprim17ROCPRIM_400000_NS6detail17trampoline_kernelINS0_13select_configILj256ELj13ELNS0_17block_load_methodE3ELS4_3ELS4_3ELNS0_20block_scan_algorithmE0ELj4294967295EEENS1_25partition_config_selectorILNS1_17partition_subalgoE3EjNS0_10empty_typeEbEEZZNS1_14partition_implILS8_3ELb0ES6_jNS0_17counting_iteratorIjlEEPS9_SE_NS0_5tupleIJPjSE_EEENSF_IJSE_SE_EEES9_SG_JZNS1_25segmented_radix_sort_implINS0_14default_configELb0EPK6__halfPSL_PKlPlN2at6native12_GLOBAL__N_18offset_tEEE10hipError_tPvRmT1_PNSt15iterator_traitsISZ_E10value_typeET2_T3_PNS10_IS15_E10value_typeET4_jRbjT5_S1B_jjP12ihipStream_tbEUljE_EEESW_SX_SY_S15_S19_S1B_T6_T7_T9_mT8_S1D_bDpT10_ENKUlT_T0_E_clISt17integral_constantIbLb0EES1P_IbLb1EEEEDaS1L_S1M_EUlS1L_E_NS1_11comp_targetILNS1_3genE10ELNS1_11target_archE1200ELNS1_3gpuE4ELNS1_3repE0EEENS1_30default_config_static_selectorELNS0_4arch9wavefront6targetE1EEEvSZ_
    .private_segment_fixed_size: 0
    .sgpr_count:     4
    .sgpr_spill_count: 0
    .symbol:         _ZN7rocprim17ROCPRIM_400000_NS6detail17trampoline_kernelINS0_13select_configILj256ELj13ELNS0_17block_load_methodE3ELS4_3ELS4_3ELNS0_20block_scan_algorithmE0ELj4294967295EEENS1_25partition_config_selectorILNS1_17partition_subalgoE3EjNS0_10empty_typeEbEEZZNS1_14partition_implILS8_3ELb0ES6_jNS0_17counting_iteratorIjlEEPS9_SE_NS0_5tupleIJPjSE_EEENSF_IJSE_SE_EEES9_SG_JZNS1_25segmented_radix_sort_implINS0_14default_configELb0EPK6__halfPSL_PKlPlN2at6native12_GLOBAL__N_18offset_tEEE10hipError_tPvRmT1_PNSt15iterator_traitsISZ_E10value_typeET2_T3_PNS10_IS15_E10value_typeET4_jRbjT5_S1B_jjP12ihipStream_tbEUljE_EEESW_SX_SY_S15_S19_S1B_T6_T7_T9_mT8_S1D_bDpT10_ENKUlT_T0_E_clISt17integral_constantIbLb0EES1P_IbLb1EEEEDaS1L_S1M_EUlS1L_E_NS1_11comp_targetILNS1_3genE10ELNS1_11target_archE1200ELNS1_3gpuE4ELNS1_3repE0EEENS1_30default_config_static_selectorELNS0_4arch9wavefront6targetE1EEEvSZ_.kd
    .uniform_work_group_size: 1
    .uses_dynamic_stack: false
    .vgpr_count:     0
    .vgpr_spill_count: 0
    .wavefront_size: 64
  - .agpr_count:     0
    .args:
      - .offset:         0
        .size:           152
        .value_kind:     by_value
    .group_segment_fixed_size: 0
    .kernarg_segment_align: 8
    .kernarg_segment_size: 152
    .language:       OpenCL C
    .language_version:
      - 2
      - 0
    .max_flat_workgroup_size: 256
    .name:           _ZN7rocprim17ROCPRIM_400000_NS6detail17trampoline_kernelINS0_13select_configILj256ELj13ELNS0_17block_load_methodE3ELS4_3ELS4_3ELNS0_20block_scan_algorithmE0ELj4294967295EEENS1_25partition_config_selectorILNS1_17partition_subalgoE3EjNS0_10empty_typeEbEEZZNS1_14partition_implILS8_3ELb0ES6_jNS0_17counting_iteratorIjlEEPS9_SE_NS0_5tupleIJPjSE_EEENSF_IJSE_SE_EEES9_SG_JZNS1_25segmented_radix_sort_implINS0_14default_configELb0EPK6__halfPSL_PKlPlN2at6native12_GLOBAL__N_18offset_tEEE10hipError_tPvRmT1_PNSt15iterator_traitsISZ_E10value_typeET2_T3_PNS10_IS15_E10value_typeET4_jRbjT5_S1B_jjP12ihipStream_tbEUljE_EEESW_SX_SY_S15_S19_S1B_T6_T7_T9_mT8_S1D_bDpT10_ENKUlT_T0_E_clISt17integral_constantIbLb0EES1P_IbLb1EEEEDaS1L_S1M_EUlS1L_E_NS1_11comp_targetILNS1_3genE9ELNS1_11target_archE1100ELNS1_3gpuE3ELNS1_3repE0EEENS1_30default_config_static_selectorELNS0_4arch9wavefront6targetE1EEEvSZ_
    .private_segment_fixed_size: 0
    .sgpr_count:     4
    .sgpr_spill_count: 0
    .symbol:         _ZN7rocprim17ROCPRIM_400000_NS6detail17trampoline_kernelINS0_13select_configILj256ELj13ELNS0_17block_load_methodE3ELS4_3ELS4_3ELNS0_20block_scan_algorithmE0ELj4294967295EEENS1_25partition_config_selectorILNS1_17partition_subalgoE3EjNS0_10empty_typeEbEEZZNS1_14partition_implILS8_3ELb0ES6_jNS0_17counting_iteratorIjlEEPS9_SE_NS0_5tupleIJPjSE_EEENSF_IJSE_SE_EEES9_SG_JZNS1_25segmented_radix_sort_implINS0_14default_configELb0EPK6__halfPSL_PKlPlN2at6native12_GLOBAL__N_18offset_tEEE10hipError_tPvRmT1_PNSt15iterator_traitsISZ_E10value_typeET2_T3_PNS10_IS15_E10value_typeET4_jRbjT5_S1B_jjP12ihipStream_tbEUljE_EEESW_SX_SY_S15_S19_S1B_T6_T7_T9_mT8_S1D_bDpT10_ENKUlT_T0_E_clISt17integral_constantIbLb0EES1P_IbLb1EEEEDaS1L_S1M_EUlS1L_E_NS1_11comp_targetILNS1_3genE9ELNS1_11target_archE1100ELNS1_3gpuE3ELNS1_3repE0EEENS1_30default_config_static_selectorELNS0_4arch9wavefront6targetE1EEEvSZ_.kd
    .uniform_work_group_size: 1
    .uses_dynamic_stack: false
    .vgpr_count:     0
    .vgpr_spill_count: 0
    .wavefront_size: 64
  - .agpr_count:     0
    .args:
      - .offset:         0
        .size:           152
        .value_kind:     by_value
    .group_segment_fixed_size: 0
    .kernarg_segment_align: 8
    .kernarg_segment_size: 152
    .language:       OpenCL C
    .language_version:
      - 2
      - 0
    .max_flat_workgroup_size: 256
    .name:           _ZN7rocprim17ROCPRIM_400000_NS6detail17trampoline_kernelINS0_13select_configILj256ELj13ELNS0_17block_load_methodE3ELS4_3ELS4_3ELNS0_20block_scan_algorithmE0ELj4294967295EEENS1_25partition_config_selectorILNS1_17partition_subalgoE3EjNS0_10empty_typeEbEEZZNS1_14partition_implILS8_3ELb0ES6_jNS0_17counting_iteratorIjlEEPS9_SE_NS0_5tupleIJPjSE_EEENSF_IJSE_SE_EEES9_SG_JZNS1_25segmented_radix_sort_implINS0_14default_configELb0EPK6__halfPSL_PKlPlN2at6native12_GLOBAL__N_18offset_tEEE10hipError_tPvRmT1_PNSt15iterator_traitsISZ_E10value_typeET2_T3_PNS10_IS15_E10value_typeET4_jRbjT5_S1B_jjP12ihipStream_tbEUljE_EEESW_SX_SY_S15_S19_S1B_T6_T7_T9_mT8_S1D_bDpT10_ENKUlT_T0_E_clISt17integral_constantIbLb0EES1P_IbLb1EEEEDaS1L_S1M_EUlS1L_E_NS1_11comp_targetILNS1_3genE8ELNS1_11target_archE1030ELNS1_3gpuE2ELNS1_3repE0EEENS1_30default_config_static_selectorELNS0_4arch9wavefront6targetE1EEEvSZ_
    .private_segment_fixed_size: 0
    .sgpr_count:     4
    .sgpr_spill_count: 0
    .symbol:         _ZN7rocprim17ROCPRIM_400000_NS6detail17trampoline_kernelINS0_13select_configILj256ELj13ELNS0_17block_load_methodE3ELS4_3ELS4_3ELNS0_20block_scan_algorithmE0ELj4294967295EEENS1_25partition_config_selectorILNS1_17partition_subalgoE3EjNS0_10empty_typeEbEEZZNS1_14partition_implILS8_3ELb0ES6_jNS0_17counting_iteratorIjlEEPS9_SE_NS0_5tupleIJPjSE_EEENSF_IJSE_SE_EEES9_SG_JZNS1_25segmented_radix_sort_implINS0_14default_configELb0EPK6__halfPSL_PKlPlN2at6native12_GLOBAL__N_18offset_tEEE10hipError_tPvRmT1_PNSt15iterator_traitsISZ_E10value_typeET2_T3_PNS10_IS15_E10value_typeET4_jRbjT5_S1B_jjP12ihipStream_tbEUljE_EEESW_SX_SY_S15_S19_S1B_T6_T7_T9_mT8_S1D_bDpT10_ENKUlT_T0_E_clISt17integral_constantIbLb0EES1P_IbLb1EEEEDaS1L_S1M_EUlS1L_E_NS1_11comp_targetILNS1_3genE8ELNS1_11target_archE1030ELNS1_3gpuE2ELNS1_3repE0EEENS1_30default_config_static_selectorELNS0_4arch9wavefront6targetE1EEEvSZ_.kd
    .uniform_work_group_size: 1
    .uses_dynamic_stack: false
    .vgpr_count:     0
    .vgpr_spill_count: 0
    .wavefront_size: 64
  - .agpr_count:     0
    .args:
      - .offset:         0
        .size:           96
        .value_kind:     by_value
    .group_segment_fixed_size: 0
    .kernarg_segment_align: 8
    .kernarg_segment_size: 96
    .language:       OpenCL C
    .language_version:
      - 2
      - 0
    .max_flat_workgroup_size: 256
    .name:           _ZN7rocprim17ROCPRIM_400000_NS6detail17trampoline_kernelINS0_14default_configENS1_36segmented_radix_sort_config_selectorI6__halflEEZNS1_25segmented_radix_sort_implIS3_Lb0EPKS5_PS5_PKlPlN2at6native12_GLOBAL__N_18offset_tEEE10hipError_tPvRmT1_PNSt15iterator_traitsISL_E10value_typeET2_T3_PNSM_ISR_E10value_typeET4_jRbjT5_SX_jjP12ihipStream_tbEUlT_E_NS1_11comp_targetILNS1_3genE0ELNS1_11target_archE4294967295ELNS1_3gpuE0ELNS1_3repE0EEENS1_30default_config_static_selectorELNS0_4arch9wavefront6targetE1EEEvSL_
    .private_segment_fixed_size: 0
    .sgpr_count:     4
    .sgpr_spill_count: 0
    .symbol:         _ZN7rocprim17ROCPRIM_400000_NS6detail17trampoline_kernelINS0_14default_configENS1_36segmented_radix_sort_config_selectorI6__halflEEZNS1_25segmented_radix_sort_implIS3_Lb0EPKS5_PS5_PKlPlN2at6native12_GLOBAL__N_18offset_tEEE10hipError_tPvRmT1_PNSt15iterator_traitsISL_E10value_typeET2_T3_PNSM_ISR_E10value_typeET4_jRbjT5_SX_jjP12ihipStream_tbEUlT_E_NS1_11comp_targetILNS1_3genE0ELNS1_11target_archE4294967295ELNS1_3gpuE0ELNS1_3repE0EEENS1_30default_config_static_selectorELNS0_4arch9wavefront6targetE1EEEvSL_.kd
    .uniform_work_group_size: 1
    .uses_dynamic_stack: false
    .vgpr_count:     0
    .vgpr_spill_count: 0
    .wavefront_size: 64
  - .agpr_count:     0
    .args:
      - .offset:         0
        .size:           96
        .value_kind:     by_value
    .group_segment_fixed_size: 0
    .kernarg_segment_align: 8
    .kernarg_segment_size: 96
    .language:       OpenCL C
    .language_version:
      - 2
      - 0
    .max_flat_workgroup_size: 256
    .name:           _ZN7rocprim17ROCPRIM_400000_NS6detail17trampoline_kernelINS0_14default_configENS1_36segmented_radix_sort_config_selectorI6__halflEEZNS1_25segmented_radix_sort_implIS3_Lb0EPKS5_PS5_PKlPlN2at6native12_GLOBAL__N_18offset_tEEE10hipError_tPvRmT1_PNSt15iterator_traitsISL_E10value_typeET2_T3_PNSM_ISR_E10value_typeET4_jRbjT5_SX_jjP12ihipStream_tbEUlT_E_NS1_11comp_targetILNS1_3genE5ELNS1_11target_archE942ELNS1_3gpuE9ELNS1_3repE0EEENS1_30default_config_static_selectorELNS0_4arch9wavefront6targetE1EEEvSL_
    .private_segment_fixed_size: 0
    .sgpr_count:     4
    .sgpr_spill_count: 0
    .symbol:         _ZN7rocprim17ROCPRIM_400000_NS6detail17trampoline_kernelINS0_14default_configENS1_36segmented_radix_sort_config_selectorI6__halflEEZNS1_25segmented_radix_sort_implIS3_Lb0EPKS5_PS5_PKlPlN2at6native12_GLOBAL__N_18offset_tEEE10hipError_tPvRmT1_PNSt15iterator_traitsISL_E10value_typeET2_T3_PNSM_ISR_E10value_typeET4_jRbjT5_SX_jjP12ihipStream_tbEUlT_E_NS1_11comp_targetILNS1_3genE5ELNS1_11target_archE942ELNS1_3gpuE9ELNS1_3repE0EEENS1_30default_config_static_selectorELNS0_4arch9wavefront6targetE1EEEvSL_.kd
    .uniform_work_group_size: 1
    .uses_dynamic_stack: false
    .vgpr_count:     0
    .vgpr_spill_count: 0
    .wavefront_size: 64
  - .agpr_count:     0
    .args:
      - .offset:         0
        .size:           96
        .value_kind:     by_value
      - .offset:         96
        .size:           4
        .value_kind:     hidden_block_count_x
      - .offset:         100
        .size:           4
        .value_kind:     hidden_block_count_y
      - .offset:         104
        .size:           4
        .value_kind:     hidden_block_count_z
      - .offset:         108
        .size:           2
        .value_kind:     hidden_group_size_x
      - .offset:         110
        .size:           2
        .value_kind:     hidden_group_size_y
      - .offset:         112
        .size:           2
        .value_kind:     hidden_group_size_z
      - .offset:         114
        .size:           2
        .value_kind:     hidden_remainder_x
      - .offset:         116
        .size:           2
        .value_kind:     hidden_remainder_y
      - .offset:         118
        .size:           2
        .value_kind:     hidden_remainder_z
      - .offset:         136
        .size:           8
        .value_kind:     hidden_global_offset_x
      - .offset:         144
        .size:           8
        .value_kind:     hidden_global_offset_y
      - .offset:         152
        .size:           8
        .value_kind:     hidden_global_offset_z
      - .offset:         160
        .size:           2
        .value_kind:     hidden_grid_dims
      - .offset:         176
        .size:           8
        .value_kind:     hidden_hostcall_buffer
      - .offset:         184
        .size:           8
        .value_kind:     hidden_multigrid_sync_arg
      - .offset:         192
        .size:           8
        .value_kind:     hidden_heap_v1
      - .offset:         200
        .size:           8
        .value_kind:     hidden_default_queue
      - .offset:         208
        .size:           8
        .value_kind:     hidden_completion_action
      - .offset:         296
        .size:           8
        .value_kind:     hidden_queue_ptr
    .group_segment_fixed_size: 17424
    .kernarg_segment_align: 8
    .kernarg_segment_size: 352
    .language:       OpenCL C
    .language_version:
      - 2
      - 0
    .max_flat_workgroup_size: 256
    .name:           _ZN7rocprim17ROCPRIM_400000_NS6detail17trampoline_kernelINS0_14default_configENS1_36segmented_radix_sort_config_selectorI6__halflEEZNS1_25segmented_radix_sort_implIS3_Lb0EPKS5_PS5_PKlPlN2at6native12_GLOBAL__N_18offset_tEEE10hipError_tPvRmT1_PNSt15iterator_traitsISL_E10value_typeET2_T3_PNSM_ISR_E10value_typeET4_jRbjT5_SX_jjP12ihipStream_tbEUlT_E_NS1_11comp_targetILNS1_3genE4ELNS1_11target_archE910ELNS1_3gpuE8ELNS1_3repE0EEENS1_30default_config_static_selectorELNS0_4arch9wavefront6targetE1EEEvSL_
    .private_segment_fixed_size: 8
    .sgpr_count:     87
    .sgpr_spill_count: 0
    .symbol:         _ZN7rocprim17ROCPRIM_400000_NS6detail17trampoline_kernelINS0_14default_configENS1_36segmented_radix_sort_config_selectorI6__halflEEZNS1_25segmented_radix_sort_implIS3_Lb0EPKS5_PS5_PKlPlN2at6native12_GLOBAL__N_18offset_tEEE10hipError_tPvRmT1_PNSt15iterator_traitsISL_E10value_typeET2_T3_PNSM_ISR_E10value_typeET4_jRbjT5_SX_jjP12ihipStream_tbEUlT_E_NS1_11comp_targetILNS1_3genE4ELNS1_11target_archE910ELNS1_3gpuE8ELNS1_3repE0EEENS1_30default_config_static_selectorELNS0_4arch9wavefront6targetE1EEEvSL_.kd
    .uniform_work_group_size: 1
    .uses_dynamic_stack: false
    .vgpr_count:     178
    .vgpr_spill_count: 0
    .wavefront_size: 64
  - .agpr_count:     0
    .args:
      - .offset:         0
        .size:           96
        .value_kind:     by_value
    .group_segment_fixed_size: 0
    .kernarg_segment_align: 8
    .kernarg_segment_size: 96
    .language:       OpenCL C
    .language_version:
      - 2
      - 0
    .max_flat_workgroup_size: 256
    .name:           _ZN7rocprim17ROCPRIM_400000_NS6detail17trampoline_kernelINS0_14default_configENS1_36segmented_radix_sort_config_selectorI6__halflEEZNS1_25segmented_radix_sort_implIS3_Lb0EPKS5_PS5_PKlPlN2at6native12_GLOBAL__N_18offset_tEEE10hipError_tPvRmT1_PNSt15iterator_traitsISL_E10value_typeET2_T3_PNSM_ISR_E10value_typeET4_jRbjT5_SX_jjP12ihipStream_tbEUlT_E_NS1_11comp_targetILNS1_3genE3ELNS1_11target_archE908ELNS1_3gpuE7ELNS1_3repE0EEENS1_30default_config_static_selectorELNS0_4arch9wavefront6targetE1EEEvSL_
    .private_segment_fixed_size: 0
    .sgpr_count:     4
    .sgpr_spill_count: 0
    .symbol:         _ZN7rocprim17ROCPRIM_400000_NS6detail17trampoline_kernelINS0_14default_configENS1_36segmented_radix_sort_config_selectorI6__halflEEZNS1_25segmented_radix_sort_implIS3_Lb0EPKS5_PS5_PKlPlN2at6native12_GLOBAL__N_18offset_tEEE10hipError_tPvRmT1_PNSt15iterator_traitsISL_E10value_typeET2_T3_PNSM_ISR_E10value_typeET4_jRbjT5_SX_jjP12ihipStream_tbEUlT_E_NS1_11comp_targetILNS1_3genE3ELNS1_11target_archE908ELNS1_3gpuE7ELNS1_3repE0EEENS1_30default_config_static_selectorELNS0_4arch9wavefront6targetE1EEEvSL_.kd
    .uniform_work_group_size: 1
    .uses_dynamic_stack: false
    .vgpr_count:     0
    .vgpr_spill_count: 0
    .wavefront_size: 64
  - .agpr_count:     0
    .args:
      - .offset:         0
        .size:           96
        .value_kind:     by_value
    .group_segment_fixed_size: 0
    .kernarg_segment_align: 8
    .kernarg_segment_size: 96
    .language:       OpenCL C
    .language_version:
      - 2
      - 0
    .max_flat_workgroup_size: 256
    .name:           _ZN7rocprim17ROCPRIM_400000_NS6detail17trampoline_kernelINS0_14default_configENS1_36segmented_radix_sort_config_selectorI6__halflEEZNS1_25segmented_radix_sort_implIS3_Lb0EPKS5_PS5_PKlPlN2at6native12_GLOBAL__N_18offset_tEEE10hipError_tPvRmT1_PNSt15iterator_traitsISL_E10value_typeET2_T3_PNSM_ISR_E10value_typeET4_jRbjT5_SX_jjP12ihipStream_tbEUlT_E_NS1_11comp_targetILNS1_3genE2ELNS1_11target_archE906ELNS1_3gpuE6ELNS1_3repE0EEENS1_30default_config_static_selectorELNS0_4arch9wavefront6targetE1EEEvSL_
    .private_segment_fixed_size: 0
    .sgpr_count:     4
    .sgpr_spill_count: 0
    .symbol:         _ZN7rocprim17ROCPRIM_400000_NS6detail17trampoline_kernelINS0_14default_configENS1_36segmented_radix_sort_config_selectorI6__halflEEZNS1_25segmented_radix_sort_implIS3_Lb0EPKS5_PS5_PKlPlN2at6native12_GLOBAL__N_18offset_tEEE10hipError_tPvRmT1_PNSt15iterator_traitsISL_E10value_typeET2_T3_PNSM_ISR_E10value_typeET4_jRbjT5_SX_jjP12ihipStream_tbEUlT_E_NS1_11comp_targetILNS1_3genE2ELNS1_11target_archE906ELNS1_3gpuE6ELNS1_3repE0EEENS1_30default_config_static_selectorELNS0_4arch9wavefront6targetE1EEEvSL_.kd
    .uniform_work_group_size: 1
    .uses_dynamic_stack: false
    .vgpr_count:     0
    .vgpr_spill_count: 0
    .wavefront_size: 64
  - .agpr_count:     0
    .args:
      - .offset:         0
        .size:           96
        .value_kind:     by_value
    .group_segment_fixed_size: 0
    .kernarg_segment_align: 8
    .kernarg_segment_size: 96
    .language:       OpenCL C
    .language_version:
      - 2
      - 0
    .max_flat_workgroup_size: 256
    .name:           _ZN7rocprim17ROCPRIM_400000_NS6detail17trampoline_kernelINS0_14default_configENS1_36segmented_radix_sort_config_selectorI6__halflEEZNS1_25segmented_radix_sort_implIS3_Lb0EPKS5_PS5_PKlPlN2at6native12_GLOBAL__N_18offset_tEEE10hipError_tPvRmT1_PNSt15iterator_traitsISL_E10value_typeET2_T3_PNSM_ISR_E10value_typeET4_jRbjT5_SX_jjP12ihipStream_tbEUlT_E_NS1_11comp_targetILNS1_3genE10ELNS1_11target_archE1201ELNS1_3gpuE5ELNS1_3repE0EEENS1_30default_config_static_selectorELNS0_4arch9wavefront6targetE1EEEvSL_
    .private_segment_fixed_size: 0
    .sgpr_count:     4
    .sgpr_spill_count: 0
    .symbol:         _ZN7rocprim17ROCPRIM_400000_NS6detail17trampoline_kernelINS0_14default_configENS1_36segmented_radix_sort_config_selectorI6__halflEEZNS1_25segmented_radix_sort_implIS3_Lb0EPKS5_PS5_PKlPlN2at6native12_GLOBAL__N_18offset_tEEE10hipError_tPvRmT1_PNSt15iterator_traitsISL_E10value_typeET2_T3_PNSM_ISR_E10value_typeET4_jRbjT5_SX_jjP12ihipStream_tbEUlT_E_NS1_11comp_targetILNS1_3genE10ELNS1_11target_archE1201ELNS1_3gpuE5ELNS1_3repE0EEENS1_30default_config_static_selectorELNS0_4arch9wavefront6targetE1EEEvSL_.kd
    .uniform_work_group_size: 1
    .uses_dynamic_stack: false
    .vgpr_count:     0
    .vgpr_spill_count: 0
    .wavefront_size: 64
  - .agpr_count:     0
    .args:
      - .offset:         0
        .size:           96
        .value_kind:     by_value
    .group_segment_fixed_size: 0
    .kernarg_segment_align: 8
    .kernarg_segment_size: 96
    .language:       OpenCL C
    .language_version:
      - 2
      - 0
    .max_flat_workgroup_size: 128
    .name:           _ZN7rocprim17ROCPRIM_400000_NS6detail17trampoline_kernelINS0_14default_configENS1_36segmented_radix_sort_config_selectorI6__halflEEZNS1_25segmented_radix_sort_implIS3_Lb0EPKS5_PS5_PKlPlN2at6native12_GLOBAL__N_18offset_tEEE10hipError_tPvRmT1_PNSt15iterator_traitsISL_E10value_typeET2_T3_PNSM_ISR_E10value_typeET4_jRbjT5_SX_jjP12ihipStream_tbEUlT_E_NS1_11comp_targetILNS1_3genE10ELNS1_11target_archE1200ELNS1_3gpuE4ELNS1_3repE0EEENS1_30default_config_static_selectorELNS0_4arch9wavefront6targetE1EEEvSL_
    .private_segment_fixed_size: 0
    .sgpr_count:     4
    .sgpr_spill_count: 0
    .symbol:         _ZN7rocprim17ROCPRIM_400000_NS6detail17trampoline_kernelINS0_14default_configENS1_36segmented_radix_sort_config_selectorI6__halflEEZNS1_25segmented_radix_sort_implIS3_Lb0EPKS5_PS5_PKlPlN2at6native12_GLOBAL__N_18offset_tEEE10hipError_tPvRmT1_PNSt15iterator_traitsISL_E10value_typeET2_T3_PNSM_ISR_E10value_typeET4_jRbjT5_SX_jjP12ihipStream_tbEUlT_E_NS1_11comp_targetILNS1_3genE10ELNS1_11target_archE1200ELNS1_3gpuE4ELNS1_3repE0EEENS1_30default_config_static_selectorELNS0_4arch9wavefront6targetE1EEEvSL_.kd
    .uniform_work_group_size: 1
    .uses_dynamic_stack: false
    .vgpr_count:     0
    .vgpr_spill_count: 0
    .wavefront_size: 64
  - .agpr_count:     0
    .args:
      - .offset:         0
        .size:           96
        .value_kind:     by_value
    .group_segment_fixed_size: 0
    .kernarg_segment_align: 8
    .kernarg_segment_size: 96
    .language:       OpenCL C
    .language_version:
      - 2
      - 0
    .max_flat_workgroup_size: 256
    .name:           _ZN7rocprim17ROCPRIM_400000_NS6detail17trampoline_kernelINS0_14default_configENS1_36segmented_radix_sort_config_selectorI6__halflEEZNS1_25segmented_radix_sort_implIS3_Lb0EPKS5_PS5_PKlPlN2at6native12_GLOBAL__N_18offset_tEEE10hipError_tPvRmT1_PNSt15iterator_traitsISL_E10value_typeET2_T3_PNSM_ISR_E10value_typeET4_jRbjT5_SX_jjP12ihipStream_tbEUlT_E_NS1_11comp_targetILNS1_3genE9ELNS1_11target_archE1100ELNS1_3gpuE3ELNS1_3repE0EEENS1_30default_config_static_selectorELNS0_4arch9wavefront6targetE1EEEvSL_
    .private_segment_fixed_size: 0
    .sgpr_count:     4
    .sgpr_spill_count: 0
    .symbol:         _ZN7rocprim17ROCPRIM_400000_NS6detail17trampoline_kernelINS0_14default_configENS1_36segmented_radix_sort_config_selectorI6__halflEEZNS1_25segmented_radix_sort_implIS3_Lb0EPKS5_PS5_PKlPlN2at6native12_GLOBAL__N_18offset_tEEE10hipError_tPvRmT1_PNSt15iterator_traitsISL_E10value_typeET2_T3_PNSM_ISR_E10value_typeET4_jRbjT5_SX_jjP12ihipStream_tbEUlT_E_NS1_11comp_targetILNS1_3genE9ELNS1_11target_archE1100ELNS1_3gpuE3ELNS1_3repE0EEENS1_30default_config_static_selectorELNS0_4arch9wavefront6targetE1EEEvSL_.kd
    .uniform_work_group_size: 1
    .uses_dynamic_stack: false
    .vgpr_count:     0
    .vgpr_spill_count: 0
    .wavefront_size: 64
  - .agpr_count:     0
    .args:
      - .offset:         0
        .size:           96
        .value_kind:     by_value
    .group_segment_fixed_size: 0
    .kernarg_segment_align: 8
    .kernarg_segment_size: 96
    .language:       OpenCL C
    .language_version:
      - 2
      - 0
    .max_flat_workgroup_size: 256
    .name:           _ZN7rocprim17ROCPRIM_400000_NS6detail17trampoline_kernelINS0_14default_configENS1_36segmented_radix_sort_config_selectorI6__halflEEZNS1_25segmented_radix_sort_implIS3_Lb0EPKS5_PS5_PKlPlN2at6native12_GLOBAL__N_18offset_tEEE10hipError_tPvRmT1_PNSt15iterator_traitsISL_E10value_typeET2_T3_PNSM_ISR_E10value_typeET4_jRbjT5_SX_jjP12ihipStream_tbEUlT_E_NS1_11comp_targetILNS1_3genE8ELNS1_11target_archE1030ELNS1_3gpuE2ELNS1_3repE0EEENS1_30default_config_static_selectorELNS0_4arch9wavefront6targetE1EEEvSL_
    .private_segment_fixed_size: 0
    .sgpr_count:     4
    .sgpr_spill_count: 0
    .symbol:         _ZN7rocprim17ROCPRIM_400000_NS6detail17trampoline_kernelINS0_14default_configENS1_36segmented_radix_sort_config_selectorI6__halflEEZNS1_25segmented_radix_sort_implIS3_Lb0EPKS5_PS5_PKlPlN2at6native12_GLOBAL__N_18offset_tEEE10hipError_tPvRmT1_PNSt15iterator_traitsISL_E10value_typeET2_T3_PNSM_ISR_E10value_typeET4_jRbjT5_SX_jjP12ihipStream_tbEUlT_E_NS1_11comp_targetILNS1_3genE8ELNS1_11target_archE1030ELNS1_3gpuE2ELNS1_3repE0EEENS1_30default_config_static_selectorELNS0_4arch9wavefront6targetE1EEEvSL_.kd
    .uniform_work_group_size: 1
    .uses_dynamic_stack: false
    .vgpr_count:     0
    .vgpr_spill_count: 0
    .wavefront_size: 64
  - .agpr_count:     0
    .args:
      - .offset:         0
        .size:           88
        .value_kind:     by_value
    .group_segment_fixed_size: 0
    .kernarg_segment_align: 8
    .kernarg_segment_size: 88
    .language:       OpenCL C
    .language_version:
      - 2
      - 0
    .max_flat_workgroup_size: 256
    .name:           _ZN7rocprim17ROCPRIM_400000_NS6detail17trampoline_kernelINS0_14default_configENS1_36segmented_radix_sort_config_selectorI6__halflEEZNS1_25segmented_radix_sort_implIS3_Lb0EPKS5_PS5_PKlPlN2at6native12_GLOBAL__N_18offset_tEEE10hipError_tPvRmT1_PNSt15iterator_traitsISL_E10value_typeET2_T3_PNSM_ISR_E10value_typeET4_jRbjT5_SX_jjP12ihipStream_tbEUlT_E0_NS1_11comp_targetILNS1_3genE0ELNS1_11target_archE4294967295ELNS1_3gpuE0ELNS1_3repE0EEENS1_60segmented_radix_sort_warp_sort_medium_config_static_selectorELNS0_4arch9wavefront6targetE1EEEvSL_
    .private_segment_fixed_size: 0
    .sgpr_count:     4
    .sgpr_spill_count: 0
    .symbol:         _ZN7rocprim17ROCPRIM_400000_NS6detail17trampoline_kernelINS0_14default_configENS1_36segmented_radix_sort_config_selectorI6__halflEEZNS1_25segmented_radix_sort_implIS3_Lb0EPKS5_PS5_PKlPlN2at6native12_GLOBAL__N_18offset_tEEE10hipError_tPvRmT1_PNSt15iterator_traitsISL_E10value_typeET2_T3_PNSM_ISR_E10value_typeET4_jRbjT5_SX_jjP12ihipStream_tbEUlT_E0_NS1_11comp_targetILNS1_3genE0ELNS1_11target_archE4294967295ELNS1_3gpuE0ELNS1_3repE0EEENS1_60segmented_radix_sort_warp_sort_medium_config_static_selectorELNS0_4arch9wavefront6targetE1EEEvSL_.kd
    .uniform_work_group_size: 1
    .uses_dynamic_stack: false
    .vgpr_count:     0
    .vgpr_spill_count: 0
    .wavefront_size: 64
  - .agpr_count:     0
    .args:
      - .offset:         0
        .size:           88
        .value_kind:     by_value
    .group_segment_fixed_size: 0
    .kernarg_segment_align: 8
    .kernarg_segment_size: 88
    .language:       OpenCL C
    .language_version:
      - 2
      - 0
    .max_flat_workgroup_size: 256
    .name:           _ZN7rocprim17ROCPRIM_400000_NS6detail17trampoline_kernelINS0_14default_configENS1_36segmented_radix_sort_config_selectorI6__halflEEZNS1_25segmented_radix_sort_implIS3_Lb0EPKS5_PS5_PKlPlN2at6native12_GLOBAL__N_18offset_tEEE10hipError_tPvRmT1_PNSt15iterator_traitsISL_E10value_typeET2_T3_PNSM_ISR_E10value_typeET4_jRbjT5_SX_jjP12ihipStream_tbEUlT_E0_NS1_11comp_targetILNS1_3genE5ELNS1_11target_archE942ELNS1_3gpuE9ELNS1_3repE0EEENS1_60segmented_radix_sort_warp_sort_medium_config_static_selectorELNS0_4arch9wavefront6targetE1EEEvSL_
    .private_segment_fixed_size: 0
    .sgpr_count:     4
    .sgpr_spill_count: 0
    .symbol:         _ZN7rocprim17ROCPRIM_400000_NS6detail17trampoline_kernelINS0_14default_configENS1_36segmented_radix_sort_config_selectorI6__halflEEZNS1_25segmented_radix_sort_implIS3_Lb0EPKS5_PS5_PKlPlN2at6native12_GLOBAL__N_18offset_tEEE10hipError_tPvRmT1_PNSt15iterator_traitsISL_E10value_typeET2_T3_PNSM_ISR_E10value_typeET4_jRbjT5_SX_jjP12ihipStream_tbEUlT_E0_NS1_11comp_targetILNS1_3genE5ELNS1_11target_archE942ELNS1_3gpuE9ELNS1_3repE0EEENS1_60segmented_radix_sort_warp_sort_medium_config_static_selectorELNS0_4arch9wavefront6targetE1EEEvSL_.kd
    .uniform_work_group_size: 1
    .uses_dynamic_stack: false
    .vgpr_count:     0
    .vgpr_spill_count: 0
    .wavefront_size: 64
  - .agpr_count:     0
    .args:
      - .offset:         0
        .size:           88
        .value_kind:     by_value
      - .offset:         88
        .size:           4
        .value_kind:     hidden_block_count_x
      - .offset:         92
        .size:           4
        .value_kind:     hidden_block_count_y
      - .offset:         96
        .size:           4
        .value_kind:     hidden_block_count_z
      - .offset:         100
        .size:           2
        .value_kind:     hidden_group_size_x
      - .offset:         102
        .size:           2
        .value_kind:     hidden_group_size_y
      - .offset:         104
        .size:           2
        .value_kind:     hidden_group_size_z
      - .offset:         106
        .size:           2
        .value_kind:     hidden_remainder_x
      - .offset:         108
        .size:           2
        .value_kind:     hidden_remainder_y
      - .offset:         110
        .size:           2
        .value_kind:     hidden_remainder_z
      - .offset:         128
        .size:           8
        .value_kind:     hidden_global_offset_x
      - .offset:         136
        .size:           8
        .value_kind:     hidden_global_offset_y
      - .offset:         144
        .size:           8
        .value_kind:     hidden_global_offset_z
      - .offset:         152
        .size:           2
        .value_kind:     hidden_grid_dims
      - .offset:         168
        .size:           8
        .value_kind:     hidden_hostcall_buffer
      - .offset:         176
        .size:           8
        .value_kind:     hidden_multigrid_sync_arg
      - .offset:         184
        .size:           8
        .value_kind:     hidden_heap_v1
      - .offset:         192
        .size:           8
        .value_kind:     hidden_default_queue
      - .offset:         200
        .size:           8
        .value_kind:     hidden_completion_action
      - .offset:         288
        .size:           8
        .value_kind:     hidden_queue_ptr
    .group_segment_fixed_size: 20480
    .kernarg_segment_align: 8
    .kernarg_segment_size: 344
    .language:       OpenCL C
    .language_version:
      - 2
      - 0
    .max_flat_workgroup_size: 256
    .name:           _ZN7rocprim17ROCPRIM_400000_NS6detail17trampoline_kernelINS0_14default_configENS1_36segmented_radix_sort_config_selectorI6__halflEEZNS1_25segmented_radix_sort_implIS3_Lb0EPKS5_PS5_PKlPlN2at6native12_GLOBAL__N_18offset_tEEE10hipError_tPvRmT1_PNSt15iterator_traitsISL_E10value_typeET2_T3_PNSM_ISR_E10value_typeET4_jRbjT5_SX_jjP12ihipStream_tbEUlT_E0_NS1_11comp_targetILNS1_3genE4ELNS1_11target_archE910ELNS1_3gpuE8ELNS1_3repE0EEENS1_60segmented_radix_sort_warp_sort_medium_config_static_selectorELNS0_4arch9wavefront6targetE1EEEvSL_
    .private_segment_fixed_size: 8
    .sgpr_count:     66
    .sgpr_spill_count: 0
    .symbol:         _ZN7rocprim17ROCPRIM_400000_NS6detail17trampoline_kernelINS0_14default_configENS1_36segmented_radix_sort_config_selectorI6__halflEEZNS1_25segmented_radix_sort_implIS3_Lb0EPKS5_PS5_PKlPlN2at6native12_GLOBAL__N_18offset_tEEE10hipError_tPvRmT1_PNSt15iterator_traitsISL_E10value_typeET2_T3_PNSM_ISR_E10value_typeET4_jRbjT5_SX_jjP12ihipStream_tbEUlT_E0_NS1_11comp_targetILNS1_3genE4ELNS1_11target_archE910ELNS1_3gpuE8ELNS1_3repE0EEENS1_60segmented_radix_sort_warp_sort_medium_config_static_selectorELNS0_4arch9wavefront6targetE1EEEvSL_.kd
    .uniform_work_group_size: 1
    .uses_dynamic_stack: false
    .vgpr_count:     72
    .vgpr_spill_count: 0
    .wavefront_size: 64
  - .agpr_count:     0
    .args:
      - .offset:         0
        .size:           88
        .value_kind:     by_value
    .group_segment_fixed_size: 0
    .kernarg_segment_align: 8
    .kernarg_segment_size: 88
    .language:       OpenCL C
    .language_version:
      - 2
      - 0
    .max_flat_workgroup_size: 256
    .name:           _ZN7rocprim17ROCPRIM_400000_NS6detail17trampoline_kernelINS0_14default_configENS1_36segmented_radix_sort_config_selectorI6__halflEEZNS1_25segmented_radix_sort_implIS3_Lb0EPKS5_PS5_PKlPlN2at6native12_GLOBAL__N_18offset_tEEE10hipError_tPvRmT1_PNSt15iterator_traitsISL_E10value_typeET2_T3_PNSM_ISR_E10value_typeET4_jRbjT5_SX_jjP12ihipStream_tbEUlT_E0_NS1_11comp_targetILNS1_3genE3ELNS1_11target_archE908ELNS1_3gpuE7ELNS1_3repE0EEENS1_60segmented_radix_sort_warp_sort_medium_config_static_selectorELNS0_4arch9wavefront6targetE1EEEvSL_
    .private_segment_fixed_size: 0
    .sgpr_count:     4
    .sgpr_spill_count: 0
    .symbol:         _ZN7rocprim17ROCPRIM_400000_NS6detail17trampoline_kernelINS0_14default_configENS1_36segmented_radix_sort_config_selectorI6__halflEEZNS1_25segmented_radix_sort_implIS3_Lb0EPKS5_PS5_PKlPlN2at6native12_GLOBAL__N_18offset_tEEE10hipError_tPvRmT1_PNSt15iterator_traitsISL_E10value_typeET2_T3_PNSM_ISR_E10value_typeET4_jRbjT5_SX_jjP12ihipStream_tbEUlT_E0_NS1_11comp_targetILNS1_3genE3ELNS1_11target_archE908ELNS1_3gpuE7ELNS1_3repE0EEENS1_60segmented_radix_sort_warp_sort_medium_config_static_selectorELNS0_4arch9wavefront6targetE1EEEvSL_.kd
    .uniform_work_group_size: 1
    .uses_dynamic_stack: false
    .vgpr_count:     0
    .vgpr_spill_count: 0
    .wavefront_size: 64
  - .agpr_count:     0
    .args:
      - .offset:         0
        .size:           88
        .value_kind:     by_value
    .group_segment_fixed_size: 0
    .kernarg_segment_align: 8
    .kernarg_segment_size: 88
    .language:       OpenCL C
    .language_version:
      - 2
      - 0
    .max_flat_workgroup_size: 256
    .name:           _ZN7rocprim17ROCPRIM_400000_NS6detail17trampoline_kernelINS0_14default_configENS1_36segmented_radix_sort_config_selectorI6__halflEEZNS1_25segmented_radix_sort_implIS3_Lb0EPKS5_PS5_PKlPlN2at6native12_GLOBAL__N_18offset_tEEE10hipError_tPvRmT1_PNSt15iterator_traitsISL_E10value_typeET2_T3_PNSM_ISR_E10value_typeET4_jRbjT5_SX_jjP12ihipStream_tbEUlT_E0_NS1_11comp_targetILNS1_3genE2ELNS1_11target_archE906ELNS1_3gpuE6ELNS1_3repE0EEENS1_60segmented_radix_sort_warp_sort_medium_config_static_selectorELNS0_4arch9wavefront6targetE1EEEvSL_
    .private_segment_fixed_size: 0
    .sgpr_count:     4
    .sgpr_spill_count: 0
    .symbol:         _ZN7rocprim17ROCPRIM_400000_NS6detail17trampoline_kernelINS0_14default_configENS1_36segmented_radix_sort_config_selectorI6__halflEEZNS1_25segmented_radix_sort_implIS3_Lb0EPKS5_PS5_PKlPlN2at6native12_GLOBAL__N_18offset_tEEE10hipError_tPvRmT1_PNSt15iterator_traitsISL_E10value_typeET2_T3_PNSM_ISR_E10value_typeET4_jRbjT5_SX_jjP12ihipStream_tbEUlT_E0_NS1_11comp_targetILNS1_3genE2ELNS1_11target_archE906ELNS1_3gpuE6ELNS1_3repE0EEENS1_60segmented_radix_sort_warp_sort_medium_config_static_selectorELNS0_4arch9wavefront6targetE1EEEvSL_.kd
    .uniform_work_group_size: 1
    .uses_dynamic_stack: false
    .vgpr_count:     0
    .vgpr_spill_count: 0
    .wavefront_size: 64
  - .agpr_count:     0
    .args:
      - .offset:         0
        .size:           88
        .value_kind:     by_value
    .group_segment_fixed_size: 0
    .kernarg_segment_align: 8
    .kernarg_segment_size: 88
    .language:       OpenCL C
    .language_version:
      - 2
      - 0
    .max_flat_workgroup_size: 256
    .name:           _ZN7rocprim17ROCPRIM_400000_NS6detail17trampoline_kernelINS0_14default_configENS1_36segmented_radix_sort_config_selectorI6__halflEEZNS1_25segmented_radix_sort_implIS3_Lb0EPKS5_PS5_PKlPlN2at6native12_GLOBAL__N_18offset_tEEE10hipError_tPvRmT1_PNSt15iterator_traitsISL_E10value_typeET2_T3_PNSM_ISR_E10value_typeET4_jRbjT5_SX_jjP12ihipStream_tbEUlT_E0_NS1_11comp_targetILNS1_3genE10ELNS1_11target_archE1201ELNS1_3gpuE5ELNS1_3repE0EEENS1_60segmented_radix_sort_warp_sort_medium_config_static_selectorELNS0_4arch9wavefront6targetE1EEEvSL_
    .private_segment_fixed_size: 0
    .sgpr_count:     4
    .sgpr_spill_count: 0
    .symbol:         _ZN7rocprim17ROCPRIM_400000_NS6detail17trampoline_kernelINS0_14default_configENS1_36segmented_radix_sort_config_selectorI6__halflEEZNS1_25segmented_radix_sort_implIS3_Lb0EPKS5_PS5_PKlPlN2at6native12_GLOBAL__N_18offset_tEEE10hipError_tPvRmT1_PNSt15iterator_traitsISL_E10value_typeET2_T3_PNSM_ISR_E10value_typeET4_jRbjT5_SX_jjP12ihipStream_tbEUlT_E0_NS1_11comp_targetILNS1_3genE10ELNS1_11target_archE1201ELNS1_3gpuE5ELNS1_3repE0EEENS1_60segmented_radix_sort_warp_sort_medium_config_static_selectorELNS0_4arch9wavefront6targetE1EEEvSL_.kd
    .uniform_work_group_size: 1
    .uses_dynamic_stack: false
    .vgpr_count:     0
    .vgpr_spill_count: 0
    .wavefront_size: 64
  - .agpr_count:     0
    .args:
      - .offset:         0
        .size:           88
        .value_kind:     by_value
    .group_segment_fixed_size: 0
    .kernarg_segment_align: 8
    .kernarg_segment_size: 88
    .language:       OpenCL C
    .language_version:
      - 2
      - 0
    .max_flat_workgroup_size: 256
    .name:           _ZN7rocprim17ROCPRIM_400000_NS6detail17trampoline_kernelINS0_14default_configENS1_36segmented_radix_sort_config_selectorI6__halflEEZNS1_25segmented_radix_sort_implIS3_Lb0EPKS5_PS5_PKlPlN2at6native12_GLOBAL__N_18offset_tEEE10hipError_tPvRmT1_PNSt15iterator_traitsISL_E10value_typeET2_T3_PNSM_ISR_E10value_typeET4_jRbjT5_SX_jjP12ihipStream_tbEUlT_E0_NS1_11comp_targetILNS1_3genE10ELNS1_11target_archE1200ELNS1_3gpuE4ELNS1_3repE0EEENS1_60segmented_radix_sort_warp_sort_medium_config_static_selectorELNS0_4arch9wavefront6targetE1EEEvSL_
    .private_segment_fixed_size: 0
    .sgpr_count:     4
    .sgpr_spill_count: 0
    .symbol:         _ZN7rocprim17ROCPRIM_400000_NS6detail17trampoline_kernelINS0_14default_configENS1_36segmented_radix_sort_config_selectorI6__halflEEZNS1_25segmented_radix_sort_implIS3_Lb0EPKS5_PS5_PKlPlN2at6native12_GLOBAL__N_18offset_tEEE10hipError_tPvRmT1_PNSt15iterator_traitsISL_E10value_typeET2_T3_PNSM_ISR_E10value_typeET4_jRbjT5_SX_jjP12ihipStream_tbEUlT_E0_NS1_11comp_targetILNS1_3genE10ELNS1_11target_archE1200ELNS1_3gpuE4ELNS1_3repE0EEENS1_60segmented_radix_sort_warp_sort_medium_config_static_selectorELNS0_4arch9wavefront6targetE1EEEvSL_.kd
    .uniform_work_group_size: 1
    .uses_dynamic_stack: false
    .vgpr_count:     0
    .vgpr_spill_count: 0
    .wavefront_size: 64
  - .agpr_count:     0
    .args:
      - .offset:         0
        .size:           88
        .value_kind:     by_value
    .group_segment_fixed_size: 0
    .kernarg_segment_align: 8
    .kernarg_segment_size: 88
    .language:       OpenCL C
    .language_version:
      - 2
      - 0
    .max_flat_workgroup_size: 256
    .name:           _ZN7rocprim17ROCPRIM_400000_NS6detail17trampoline_kernelINS0_14default_configENS1_36segmented_radix_sort_config_selectorI6__halflEEZNS1_25segmented_radix_sort_implIS3_Lb0EPKS5_PS5_PKlPlN2at6native12_GLOBAL__N_18offset_tEEE10hipError_tPvRmT1_PNSt15iterator_traitsISL_E10value_typeET2_T3_PNSM_ISR_E10value_typeET4_jRbjT5_SX_jjP12ihipStream_tbEUlT_E0_NS1_11comp_targetILNS1_3genE9ELNS1_11target_archE1100ELNS1_3gpuE3ELNS1_3repE0EEENS1_60segmented_radix_sort_warp_sort_medium_config_static_selectorELNS0_4arch9wavefront6targetE1EEEvSL_
    .private_segment_fixed_size: 0
    .sgpr_count:     4
    .sgpr_spill_count: 0
    .symbol:         _ZN7rocprim17ROCPRIM_400000_NS6detail17trampoline_kernelINS0_14default_configENS1_36segmented_radix_sort_config_selectorI6__halflEEZNS1_25segmented_radix_sort_implIS3_Lb0EPKS5_PS5_PKlPlN2at6native12_GLOBAL__N_18offset_tEEE10hipError_tPvRmT1_PNSt15iterator_traitsISL_E10value_typeET2_T3_PNSM_ISR_E10value_typeET4_jRbjT5_SX_jjP12ihipStream_tbEUlT_E0_NS1_11comp_targetILNS1_3genE9ELNS1_11target_archE1100ELNS1_3gpuE3ELNS1_3repE0EEENS1_60segmented_radix_sort_warp_sort_medium_config_static_selectorELNS0_4arch9wavefront6targetE1EEEvSL_.kd
    .uniform_work_group_size: 1
    .uses_dynamic_stack: false
    .vgpr_count:     0
    .vgpr_spill_count: 0
    .wavefront_size: 64
  - .agpr_count:     0
    .args:
      - .offset:         0
        .size:           88
        .value_kind:     by_value
    .group_segment_fixed_size: 0
    .kernarg_segment_align: 8
    .kernarg_segment_size: 88
    .language:       OpenCL C
    .language_version:
      - 2
      - 0
    .max_flat_workgroup_size: 256
    .name:           _ZN7rocprim17ROCPRIM_400000_NS6detail17trampoline_kernelINS0_14default_configENS1_36segmented_radix_sort_config_selectorI6__halflEEZNS1_25segmented_radix_sort_implIS3_Lb0EPKS5_PS5_PKlPlN2at6native12_GLOBAL__N_18offset_tEEE10hipError_tPvRmT1_PNSt15iterator_traitsISL_E10value_typeET2_T3_PNSM_ISR_E10value_typeET4_jRbjT5_SX_jjP12ihipStream_tbEUlT_E0_NS1_11comp_targetILNS1_3genE8ELNS1_11target_archE1030ELNS1_3gpuE2ELNS1_3repE0EEENS1_60segmented_radix_sort_warp_sort_medium_config_static_selectorELNS0_4arch9wavefront6targetE1EEEvSL_
    .private_segment_fixed_size: 0
    .sgpr_count:     4
    .sgpr_spill_count: 0
    .symbol:         _ZN7rocprim17ROCPRIM_400000_NS6detail17trampoline_kernelINS0_14default_configENS1_36segmented_radix_sort_config_selectorI6__halflEEZNS1_25segmented_radix_sort_implIS3_Lb0EPKS5_PS5_PKlPlN2at6native12_GLOBAL__N_18offset_tEEE10hipError_tPvRmT1_PNSt15iterator_traitsISL_E10value_typeET2_T3_PNSM_ISR_E10value_typeET4_jRbjT5_SX_jjP12ihipStream_tbEUlT_E0_NS1_11comp_targetILNS1_3genE8ELNS1_11target_archE1030ELNS1_3gpuE2ELNS1_3repE0EEENS1_60segmented_radix_sort_warp_sort_medium_config_static_selectorELNS0_4arch9wavefront6targetE1EEEvSL_.kd
    .uniform_work_group_size: 1
    .uses_dynamic_stack: false
    .vgpr_count:     0
    .vgpr_spill_count: 0
    .wavefront_size: 64
  - .agpr_count:     0
    .args:
      - .offset:         0
        .size:           88
        .value_kind:     by_value
    .group_segment_fixed_size: 0
    .kernarg_segment_align: 8
    .kernarg_segment_size: 88
    .language:       OpenCL C
    .language_version:
      - 2
      - 0
    .max_flat_workgroup_size: 256
    .name:           _ZN7rocprim17ROCPRIM_400000_NS6detail17trampoline_kernelINS0_14default_configENS1_36segmented_radix_sort_config_selectorI6__halflEEZNS1_25segmented_radix_sort_implIS3_Lb0EPKS5_PS5_PKlPlN2at6native12_GLOBAL__N_18offset_tEEE10hipError_tPvRmT1_PNSt15iterator_traitsISL_E10value_typeET2_T3_PNSM_ISR_E10value_typeET4_jRbjT5_SX_jjP12ihipStream_tbEUlT_E1_NS1_11comp_targetILNS1_3genE0ELNS1_11target_archE4294967295ELNS1_3gpuE0ELNS1_3repE0EEENS1_59segmented_radix_sort_warp_sort_small_config_static_selectorELNS0_4arch9wavefront6targetE1EEEvSL_
    .private_segment_fixed_size: 0
    .sgpr_count:     4
    .sgpr_spill_count: 0
    .symbol:         _ZN7rocprim17ROCPRIM_400000_NS6detail17trampoline_kernelINS0_14default_configENS1_36segmented_radix_sort_config_selectorI6__halflEEZNS1_25segmented_radix_sort_implIS3_Lb0EPKS5_PS5_PKlPlN2at6native12_GLOBAL__N_18offset_tEEE10hipError_tPvRmT1_PNSt15iterator_traitsISL_E10value_typeET2_T3_PNSM_ISR_E10value_typeET4_jRbjT5_SX_jjP12ihipStream_tbEUlT_E1_NS1_11comp_targetILNS1_3genE0ELNS1_11target_archE4294967295ELNS1_3gpuE0ELNS1_3repE0EEENS1_59segmented_radix_sort_warp_sort_small_config_static_selectorELNS0_4arch9wavefront6targetE1EEEvSL_.kd
    .uniform_work_group_size: 1
    .uses_dynamic_stack: false
    .vgpr_count:     0
    .vgpr_spill_count: 0
    .wavefront_size: 64
  - .agpr_count:     0
    .args:
      - .offset:         0
        .size:           88
        .value_kind:     by_value
    .group_segment_fixed_size: 0
    .kernarg_segment_align: 8
    .kernarg_segment_size: 88
    .language:       OpenCL C
    .language_version:
      - 2
      - 0
    .max_flat_workgroup_size: 256
    .name:           _ZN7rocprim17ROCPRIM_400000_NS6detail17trampoline_kernelINS0_14default_configENS1_36segmented_radix_sort_config_selectorI6__halflEEZNS1_25segmented_radix_sort_implIS3_Lb0EPKS5_PS5_PKlPlN2at6native12_GLOBAL__N_18offset_tEEE10hipError_tPvRmT1_PNSt15iterator_traitsISL_E10value_typeET2_T3_PNSM_ISR_E10value_typeET4_jRbjT5_SX_jjP12ihipStream_tbEUlT_E1_NS1_11comp_targetILNS1_3genE5ELNS1_11target_archE942ELNS1_3gpuE9ELNS1_3repE0EEENS1_59segmented_radix_sort_warp_sort_small_config_static_selectorELNS0_4arch9wavefront6targetE1EEEvSL_
    .private_segment_fixed_size: 0
    .sgpr_count:     4
    .sgpr_spill_count: 0
    .symbol:         _ZN7rocprim17ROCPRIM_400000_NS6detail17trampoline_kernelINS0_14default_configENS1_36segmented_radix_sort_config_selectorI6__halflEEZNS1_25segmented_radix_sort_implIS3_Lb0EPKS5_PS5_PKlPlN2at6native12_GLOBAL__N_18offset_tEEE10hipError_tPvRmT1_PNSt15iterator_traitsISL_E10value_typeET2_T3_PNSM_ISR_E10value_typeET4_jRbjT5_SX_jjP12ihipStream_tbEUlT_E1_NS1_11comp_targetILNS1_3genE5ELNS1_11target_archE942ELNS1_3gpuE9ELNS1_3repE0EEENS1_59segmented_radix_sort_warp_sort_small_config_static_selectorELNS0_4arch9wavefront6targetE1EEEvSL_.kd
    .uniform_work_group_size: 1
    .uses_dynamic_stack: false
    .vgpr_count:     0
    .vgpr_spill_count: 0
    .wavefront_size: 64
  - .agpr_count:     0
    .args:
      - .offset:         0
        .size:           88
        .value_kind:     by_value
      - .offset:         88
        .size:           4
        .value_kind:     hidden_block_count_x
      - .offset:         92
        .size:           4
        .value_kind:     hidden_block_count_y
      - .offset:         96
        .size:           4
        .value_kind:     hidden_block_count_z
      - .offset:         100
        .size:           2
        .value_kind:     hidden_group_size_x
      - .offset:         102
        .size:           2
        .value_kind:     hidden_group_size_y
      - .offset:         104
        .size:           2
        .value_kind:     hidden_group_size_z
      - .offset:         106
        .size:           2
        .value_kind:     hidden_remainder_x
      - .offset:         108
        .size:           2
        .value_kind:     hidden_remainder_y
      - .offset:         110
        .size:           2
        .value_kind:     hidden_remainder_z
      - .offset:         128
        .size:           8
        .value_kind:     hidden_global_offset_x
      - .offset:         136
        .size:           8
        .value_kind:     hidden_global_offset_y
      - .offset:         144
        .size:           8
        .value_kind:     hidden_global_offset_z
      - .offset:         152
        .size:           2
        .value_kind:     hidden_grid_dims
      - .offset:         168
        .size:           8
        .value_kind:     hidden_hostcall_buffer
      - .offset:         176
        .size:           8
        .value_kind:     hidden_multigrid_sync_arg
      - .offset:         184
        .size:           8
        .value_kind:     hidden_heap_v1
      - .offset:         192
        .size:           8
        .value_kind:     hidden_default_queue
      - .offset:         200
        .size:           8
        .value_kind:     hidden_completion_action
      - .offset:         288
        .size:           8
        .value_kind:     hidden_queue_ptr
    .group_segment_fixed_size: 10240
    .kernarg_segment_align: 8
    .kernarg_segment_size: 344
    .language:       OpenCL C
    .language_version:
      - 2
      - 0
    .max_flat_workgroup_size: 256
    .name:           _ZN7rocprim17ROCPRIM_400000_NS6detail17trampoline_kernelINS0_14default_configENS1_36segmented_radix_sort_config_selectorI6__halflEEZNS1_25segmented_radix_sort_implIS3_Lb0EPKS5_PS5_PKlPlN2at6native12_GLOBAL__N_18offset_tEEE10hipError_tPvRmT1_PNSt15iterator_traitsISL_E10value_typeET2_T3_PNSM_ISR_E10value_typeET4_jRbjT5_SX_jjP12ihipStream_tbEUlT_E1_NS1_11comp_targetILNS1_3genE4ELNS1_11target_archE910ELNS1_3gpuE8ELNS1_3repE0EEENS1_59segmented_radix_sort_warp_sort_small_config_static_selectorELNS0_4arch9wavefront6targetE1EEEvSL_
    .private_segment_fixed_size: 8
    .sgpr_count:     39
    .sgpr_spill_count: 0
    .symbol:         _ZN7rocprim17ROCPRIM_400000_NS6detail17trampoline_kernelINS0_14default_configENS1_36segmented_radix_sort_config_selectorI6__halflEEZNS1_25segmented_radix_sort_implIS3_Lb0EPKS5_PS5_PKlPlN2at6native12_GLOBAL__N_18offset_tEEE10hipError_tPvRmT1_PNSt15iterator_traitsISL_E10value_typeET2_T3_PNSM_ISR_E10value_typeET4_jRbjT5_SX_jjP12ihipStream_tbEUlT_E1_NS1_11comp_targetILNS1_3genE4ELNS1_11target_archE910ELNS1_3gpuE8ELNS1_3repE0EEENS1_59segmented_radix_sort_warp_sort_small_config_static_selectorELNS0_4arch9wavefront6targetE1EEEvSL_.kd
    .uniform_work_group_size: 1
    .uses_dynamic_stack: false
    .vgpr_count:     70
    .vgpr_spill_count: 0
    .wavefront_size: 64
  - .agpr_count:     0
    .args:
      - .offset:         0
        .size:           88
        .value_kind:     by_value
    .group_segment_fixed_size: 0
    .kernarg_segment_align: 8
    .kernarg_segment_size: 88
    .language:       OpenCL C
    .language_version:
      - 2
      - 0
    .max_flat_workgroup_size: 256
    .name:           _ZN7rocprim17ROCPRIM_400000_NS6detail17trampoline_kernelINS0_14default_configENS1_36segmented_radix_sort_config_selectorI6__halflEEZNS1_25segmented_radix_sort_implIS3_Lb0EPKS5_PS5_PKlPlN2at6native12_GLOBAL__N_18offset_tEEE10hipError_tPvRmT1_PNSt15iterator_traitsISL_E10value_typeET2_T3_PNSM_ISR_E10value_typeET4_jRbjT5_SX_jjP12ihipStream_tbEUlT_E1_NS1_11comp_targetILNS1_3genE3ELNS1_11target_archE908ELNS1_3gpuE7ELNS1_3repE0EEENS1_59segmented_radix_sort_warp_sort_small_config_static_selectorELNS0_4arch9wavefront6targetE1EEEvSL_
    .private_segment_fixed_size: 0
    .sgpr_count:     4
    .sgpr_spill_count: 0
    .symbol:         _ZN7rocprim17ROCPRIM_400000_NS6detail17trampoline_kernelINS0_14default_configENS1_36segmented_radix_sort_config_selectorI6__halflEEZNS1_25segmented_radix_sort_implIS3_Lb0EPKS5_PS5_PKlPlN2at6native12_GLOBAL__N_18offset_tEEE10hipError_tPvRmT1_PNSt15iterator_traitsISL_E10value_typeET2_T3_PNSM_ISR_E10value_typeET4_jRbjT5_SX_jjP12ihipStream_tbEUlT_E1_NS1_11comp_targetILNS1_3genE3ELNS1_11target_archE908ELNS1_3gpuE7ELNS1_3repE0EEENS1_59segmented_radix_sort_warp_sort_small_config_static_selectorELNS0_4arch9wavefront6targetE1EEEvSL_.kd
    .uniform_work_group_size: 1
    .uses_dynamic_stack: false
    .vgpr_count:     0
    .vgpr_spill_count: 0
    .wavefront_size: 64
  - .agpr_count:     0
    .args:
      - .offset:         0
        .size:           88
        .value_kind:     by_value
    .group_segment_fixed_size: 0
    .kernarg_segment_align: 8
    .kernarg_segment_size: 88
    .language:       OpenCL C
    .language_version:
      - 2
      - 0
    .max_flat_workgroup_size: 256
    .name:           _ZN7rocprim17ROCPRIM_400000_NS6detail17trampoline_kernelINS0_14default_configENS1_36segmented_radix_sort_config_selectorI6__halflEEZNS1_25segmented_radix_sort_implIS3_Lb0EPKS5_PS5_PKlPlN2at6native12_GLOBAL__N_18offset_tEEE10hipError_tPvRmT1_PNSt15iterator_traitsISL_E10value_typeET2_T3_PNSM_ISR_E10value_typeET4_jRbjT5_SX_jjP12ihipStream_tbEUlT_E1_NS1_11comp_targetILNS1_3genE2ELNS1_11target_archE906ELNS1_3gpuE6ELNS1_3repE0EEENS1_59segmented_radix_sort_warp_sort_small_config_static_selectorELNS0_4arch9wavefront6targetE1EEEvSL_
    .private_segment_fixed_size: 0
    .sgpr_count:     4
    .sgpr_spill_count: 0
    .symbol:         _ZN7rocprim17ROCPRIM_400000_NS6detail17trampoline_kernelINS0_14default_configENS1_36segmented_radix_sort_config_selectorI6__halflEEZNS1_25segmented_radix_sort_implIS3_Lb0EPKS5_PS5_PKlPlN2at6native12_GLOBAL__N_18offset_tEEE10hipError_tPvRmT1_PNSt15iterator_traitsISL_E10value_typeET2_T3_PNSM_ISR_E10value_typeET4_jRbjT5_SX_jjP12ihipStream_tbEUlT_E1_NS1_11comp_targetILNS1_3genE2ELNS1_11target_archE906ELNS1_3gpuE6ELNS1_3repE0EEENS1_59segmented_radix_sort_warp_sort_small_config_static_selectorELNS0_4arch9wavefront6targetE1EEEvSL_.kd
    .uniform_work_group_size: 1
    .uses_dynamic_stack: false
    .vgpr_count:     0
    .vgpr_spill_count: 0
    .wavefront_size: 64
  - .agpr_count:     0
    .args:
      - .offset:         0
        .size:           88
        .value_kind:     by_value
    .group_segment_fixed_size: 0
    .kernarg_segment_align: 8
    .kernarg_segment_size: 88
    .language:       OpenCL C
    .language_version:
      - 2
      - 0
    .max_flat_workgroup_size: 256
    .name:           _ZN7rocprim17ROCPRIM_400000_NS6detail17trampoline_kernelINS0_14default_configENS1_36segmented_radix_sort_config_selectorI6__halflEEZNS1_25segmented_radix_sort_implIS3_Lb0EPKS5_PS5_PKlPlN2at6native12_GLOBAL__N_18offset_tEEE10hipError_tPvRmT1_PNSt15iterator_traitsISL_E10value_typeET2_T3_PNSM_ISR_E10value_typeET4_jRbjT5_SX_jjP12ihipStream_tbEUlT_E1_NS1_11comp_targetILNS1_3genE10ELNS1_11target_archE1201ELNS1_3gpuE5ELNS1_3repE0EEENS1_59segmented_radix_sort_warp_sort_small_config_static_selectorELNS0_4arch9wavefront6targetE1EEEvSL_
    .private_segment_fixed_size: 0
    .sgpr_count:     4
    .sgpr_spill_count: 0
    .symbol:         _ZN7rocprim17ROCPRIM_400000_NS6detail17trampoline_kernelINS0_14default_configENS1_36segmented_radix_sort_config_selectorI6__halflEEZNS1_25segmented_radix_sort_implIS3_Lb0EPKS5_PS5_PKlPlN2at6native12_GLOBAL__N_18offset_tEEE10hipError_tPvRmT1_PNSt15iterator_traitsISL_E10value_typeET2_T3_PNSM_ISR_E10value_typeET4_jRbjT5_SX_jjP12ihipStream_tbEUlT_E1_NS1_11comp_targetILNS1_3genE10ELNS1_11target_archE1201ELNS1_3gpuE5ELNS1_3repE0EEENS1_59segmented_radix_sort_warp_sort_small_config_static_selectorELNS0_4arch9wavefront6targetE1EEEvSL_.kd
    .uniform_work_group_size: 1
    .uses_dynamic_stack: false
    .vgpr_count:     0
    .vgpr_spill_count: 0
    .wavefront_size: 64
  - .agpr_count:     0
    .args:
      - .offset:         0
        .size:           88
        .value_kind:     by_value
    .group_segment_fixed_size: 0
    .kernarg_segment_align: 8
    .kernarg_segment_size: 88
    .language:       OpenCL C
    .language_version:
      - 2
      - 0
    .max_flat_workgroup_size: 256
    .name:           _ZN7rocprim17ROCPRIM_400000_NS6detail17trampoline_kernelINS0_14default_configENS1_36segmented_radix_sort_config_selectorI6__halflEEZNS1_25segmented_radix_sort_implIS3_Lb0EPKS5_PS5_PKlPlN2at6native12_GLOBAL__N_18offset_tEEE10hipError_tPvRmT1_PNSt15iterator_traitsISL_E10value_typeET2_T3_PNSM_ISR_E10value_typeET4_jRbjT5_SX_jjP12ihipStream_tbEUlT_E1_NS1_11comp_targetILNS1_3genE10ELNS1_11target_archE1200ELNS1_3gpuE4ELNS1_3repE0EEENS1_59segmented_radix_sort_warp_sort_small_config_static_selectorELNS0_4arch9wavefront6targetE1EEEvSL_
    .private_segment_fixed_size: 0
    .sgpr_count:     4
    .sgpr_spill_count: 0
    .symbol:         _ZN7rocprim17ROCPRIM_400000_NS6detail17trampoline_kernelINS0_14default_configENS1_36segmented_radix_sort_config_selectorI6__halflEEZNS1_25segmented_radix_sort_implIS3_Lb0EPKS5_PS5_PKlPlN2at6native12_GLOBAL__N_18offset_tEEE10hipError_tPvRmT1_PNSt15iterator_traitsISL_E10value_typeET2_T3_PNSM_ISR_E10value_typeET4_jRbjT5_SX_jjP12ihipStream_tbEUlT_E1_NS1_11comp_targetILNS1_3genE10ELNS1_11target_archE1200ELNS1_3gpuE4ELNS1_3repE0EEENS1_59segmented_radix_sort_warp_sort_small_config_static_selectorELNS0_4arch9wavefront6targetE1EEEvSL_.kd
    .uniform_work_group_size: 1
    .uses_dynamic_stack: false
    .vgpr_count:     0
    .vgpr_spill_count: 0
    .wavefront_size: 64
  - .agpr_count:     0
    .args:
      - .offset:         0
        .size:           88
        .value_kind:     by_value
    .group_segment_fixed_size: 0
    .kernarg_segment_align: 8
    .kernarg_segment_size: 88
    .language:       OpenCL C
    .language_version:
      - 2
      - 0
    .max_flat_workgroup_size: 256
    .name:           _ZN7rocprim17ROCPRIM_400000_NS6detail17trampoline_kernelINS0_14default_configENS1_36segmented_radix_sort_config_selectorI6__halflEEZNS1_25segmented_radix_sort_implIS3_Lb0EPKS5_PS5_PKlPlN2at6native12_GLOBAL__N_18offset_tEEE10hipError_tPvRmT1_PNSt15iterator_traitsISL_E10value_typeET2_T3_PNSM_ISR_E10value_typeET4_jRbjT5_SX_jjP12ihipStream_tbEUlT_E1_NS1_11comp_targetILNS1_3genE9ELNS1_11target_archE1100ELNS1_3gpuE3ELNS1_3repE0EEENS1_59segmented_radix_sort_warp_sort_small_config_static_selectorELNS0_4arch9wavefront6targetE1EEEvSL_
    .private_segment_fixed_size: 0
    .sgpr_count:     4
    .sgpr_spill_count: 0
    .symbol:         _ZN7rocprim17ROCPRIM_400000_NS6detail17trampoline_kernelINS0_14default_configENS1_36segmented_radix_sort_config_selectorI6__halflEEZNS1_25segmented_radix_sort_implIS3_Lb0EPKS5_PS5_PKlPlN2at6native12_GLOBAL__N_18offset_tEEE10hipError_tPvRmT1_PNSt15iterator_traitsISL_E10value_typeET2_T3_PNSM_ISR_E10value_typeET4_jRbjT5_SX_jjP12ihipStream_tbEUlT_E1_NS1_11comp_targetILNS1_3genE9ELNS1_11target_archE1100ELNS1_3gpuE3ELNS1_3repE0EEENS1_59segmented_radix_sort_warp_sort_small_config_static_selectorELNS0_4arch9wavefront6targetE1EEEvSL_.kd
    .uniform_work_group_size: 1
    .uses_dynamic_stack: false
    .vgpr_count:     0
    .vgpr_spill_count: 0
    .wavefront_size: 64
  - .agpr_count:     0
    .args:
      - .offset:         0
        .size:           88
        .value_kind:     by_value
    .group_segment_fixed_size: 0
    .kernarg_segment_align: 8
    .kernarg_segment_size: 88
    .language:       OpenCL C
    .language_version:
      - 2
      - 0
    .max_flat_workgroup_size: 256
    .name:           _ZN7rocprim17ROCPRIM_400000_NS6detail17trampoline_kernelINS0_14default_configENS1_36segmented_radix_sort_config_selectorI6__halflEEZNS1_25segmented_radix_sort_implIS3_Lb0EPKS5_PS5_PKlPlN2at6native12_GLOBAL__N_18offset_tEEE10hipError_tPvRmT1_PNSt15iterator_traitsISL_E10value_typeET2_T3_PNSM_ISR_E10value_typeET4_jRbjT5_SX_jjP12ihipStream_tbEUlT_E1_NS1_11comp_targetILNS1_3genE8ELNS1_11target_archE1030ELNS1_3gpuE2ELNS1_3repE0EEENS1_59segmented_radix_sort_warp_sort_small_config_static_selectorELNS0_4arch9wavefront6targetE1EEEvSL_
    .private_segment_fixed_size: 0
    .sgpr_count:     4
    .sgpr_spill_count: 0
    .symbol:         _ZN7rocprim17ROCPRIM_400000_NS6detail17trampoline_kernelINS0_14default_configENS1_36segmented_radix_sort_config_selectorI6__halflEEZNS1_25segmented_radix_sort_implIS3_Lb0EPKS5_PS5_PKlPlN2at6native12_GLOBAL__N_18offset_tEEE10hipError_tPvRmT1_PNSt15iterator_traitsISL_E10value_typeET2_T3_PNSM_ISR_E10value_typeET4_jRbjT5_SX_jjP12ihipStream_tbEUlT_E1_NS1_11comp_targetILNS1_3genE8ELNS1_11target_archE1030ELNS1_3gpuE2ELNS1_3repE0EEENS1_59segmented_radix_sort_warp_sort_small_config_static_selectorELNS0_4arch9wavefront6targetE1EEEvSL_.kd
    .uniform_work_group_size: 1
    .uses_dynamic_stack: false
    .vgpr_count:     0
    .vgpr_spill_count: 0
    .wavefront_size: 64
  - .agpr_count:     0
    .args:
      - .offset:         0
        .size:           80
        .value_kind:     by_value
    .group_segment_fixed_size: 0
    .kernarg_segment_align: 8
    .kernarg_segment_size: 80
    .language:       OpenCL C
    .language_version:
      - 2
      - 0
    .max_flat_workgroup_size: 256
    .name:           _ZN7rocprim17ROCPRIM_400000_NS6detail17trampoline_kernelINS0_14default_configENS1_36segmented_radix_sort_config_selectorI6__halflEEZNS1_25segmented_radix_sort_implIS3_Lb0EPKS5_PS5_PKlPlN2at6native12_GLOBAL__N_18offset_tEEE10hipError_tPvRmT1_PNSt15iterator_traitsISL_E10value_typeET2_T3_PNSM_ISR_E10value_typeET4_jRbjT5_SX_jjP12ihipStream_tbEUlT_E2_NS1_11comp_targetILNS1_3genE0ELNS1_11target_archE4294967295ELNS1_3gpuE0ELNS1_3repE0EEENS1_30default_config_static_selectorELNS0_4arch9wavefront6targetE1EEEvSL_
    .private_segment_fixed_size: 0
    .sgpr_count:     4
    .sgpr_spill_count: 0
    .symbol:         _ZN7rocprim17ROCPRIM_400000_NS6detail17trampoline_kernelINS0_14default_configENS1_36segmented_radix_sort_config_selectorI6__halflEEZNS1_25segmented_radix_sort_implIS3_Lb0EPKS5_PS5_PKlPlN2at6native12_GLOBAL__N_18offset_tEEE10hipError_tPvRmT1_PNSt15iterator_traitsISL_E10value_typeET2_T3_PNSM_ISR_E10value_typeET4_jRbjT5_SX_jjP12ihipStream_tbEUlT_E2_NS1_11comp_targetILNS1_3genE0ELNS1_11target_archE4294967295ELNS1_3gpuE0ELNS1_3repE0EEENS1_30default_config_static_selectorELNS0_4arch9wavefront6targetE1EEEvSL_.kd
    .uniform_work_group_size: 1
    .uses_dynamic_stack: false
    .vgpr_count:     0
    .vgpr_spill_count: 0
    .wavefront_size: 64
  - .agpr_count:     0
    .args:
      - .offset:         0
        .size:           80
        .value_kind:     by_value
    .group_segment_fixed_size: 0
    .kernarg_segment_align: 8
    .kernarg_segment_size: 80
    .language:       OpenCL C
    .language_version:
      - 2
      - 0
    .max_flat_workgroup_size: 256
    .name:           _ZN7rocprim17ROCPRIM_400000_NS6detail17trampoline_kernelINS0_14default_configENS1_36segmented_radix_sort_config_selectorI6__halflEEZNS1_25segmented_radix_sort_implIS3_Lb0EPKS5_PS5_PKlPlN2at6native12_GLOBAL__N_18offset_tEEE10hipError_tPvRmT1_PNSt15iterator_traitsISL_E10value_typeET2_T3_PNSM_ISR_E10value_typeET4_jRbjT5_SX_jjP12ihipStream_tbEUlT_E2_NS1_11comp_targetILNS1_3genE5ELNS1_11target_archE942ELNS1_3gpuE9ELNS1_3repE0EEENS1_30default_config_static_selectorELNS0_4arch9wavefront6targetE1EEEvSL_
    .private_segment_fixed_size: 0
    .sgpr_count:     4
    .sgpr_spill_count: 0
    .symbol:         _ZN7rocprim17ROCPRIM_400000_NS6detail17trampoline_kernelINS0_14default_configENS1_36segmented_radix_sort_config_selectorI6__halflEEZNS1_25segmented_radix_sort_implIS3_Lb0EPKS5_PS5_PKlPlN2at6native12_GLOBAL__N_18offset_tEEE10hipError_tPvRmT1_PNSt15iterator_traitsISL_E10value_typeET2_T3_PNSM_ISR_E10value_typeET4_jRbjT5_SX_jjP12ihipStream_tbEUlT_E2_NS1_11comp_targetILNS1_3genE5ELNS1_11target_archE942ELNS1_3gpuE9ELNS1_3repE0EEENS1_30default_config_static_selectorELNS0_4arch9wavefront6targetE1EEEvSL_.kd
    .uniform_work_group_size: 1
    .uses_dynamic_stack: false
    .vgpr_count:     0
    .vgpr_spill_count: 0
    .wavefront_size: 64
  - .agpr_count:     0
    .args:
      - .offset:         0
        .size:           80
        .value_kind:     by_value
      - .offset:         80
        .size:           4
        .value_kind:     hidden_block_count_x
      - .offset:         84
        .size:           4
        .value_kind:     hidden_block_count_y
      - .offset:         88
        .size:           4
        .value_kind:     hidden_block_count_z
      - .offset:         92
        .size:           2
        .value_kind:     hidden_group_size_x
      - .offset:         94
        .size:           2
        .value_kind:     hidden_group_size_y
      - .offset:         96
        .size:           2
        .value_kind:     hidden_group_size_z
      - .offset:         98
        .size:           2
        .value_kind:     hidden_remainder_x
      - .offset:         100
        .size:           2
        .value_kind:     hidden_remainder_y
      - .offset:         102
        .size:           2
        .value_kind:     hidden_remainder_z
      - .offset:         120
        .size:           8
        .value_kind:     hidden_global_offset_x
      - .offset:         128
        .size:           8
        .value_kind:     hidden_global_offset_y
      - .offset:         136
        .size:           8
        .value_kind:     hidden_global_offset_z
      - .offset:         144
        .size:           2
        .value_kind:     hidden_grid_dims
      - .offset:         160
        .size:           8
        .value_kind:     hidden_hostcall_buffer
      - .offset:         168
        .size:           8
        .value_kind:     hidden_multigrid_sync_arg
      - .offset:         176
        .size:           8
        .value_kind:     hidden_heap_v1
      - .offset:         184
        .size:           8
        .value_kind:     hidden_default_queue
      - .offset:         192
        .size:           8
        .value_kind:     hidden_completion_action
      - .offset:         280
        .size:           8
        .value_kind:     hidden_queue_ptr
    .group_segment_fixed_size: 17424
    .kernarg_segment_align: 8
    .kernarg_segment_size: 336
    .language:       OpenCL C
    .language_version:
      - 2
      - 0
    .max_flat_workgroup_size: 256
    .name:           _ZN7rocprim17ROCPRIM_400000_NS6detail17trampoline_kernelINS0_14default_configENS1_36segmented_radix_sort_config_selectorI6__halflEEZNS1_25segmented_radix_sort_implIS3_Lb0EPKS5_PS5_PKlPlN2at6native12_GLOBAL__N_18offset_tEEE10hipError_tPvRmT1_PNSt15iterator_traitsISL_E10value_typeET2_T3_PNSM_ISR_E10value_typeET4_jRbjT5_SX_jjP12ihipStream_tbEUlT_E2_NS1_11comp_targetILNS1_3genE4ELNS1_11target_archE910ELNS1_3gpuE8ELNS1_3repE0EEENS1_30default_config_static_selectorELNS0_4arch9wavefront6targetE1EEEvSL_
    .private_segment_fixed_size: 8
    .sgpr_count:     87
    .sgpr_spill_count: 0
    .symbol:         _ZN7rocprim17ROCPRIM_400000_NS6detail17trampoline_kernelINS0_14default_configENS1_36segmented_radix_sort_config_selectorI6__halflEEZNS1_25segmented_radix_sort_implIS3_Lb0EPKS5_PS5_PKlPlN2at6native12_GLOBAL__N_18offset_tEEE10hipError_tPvRmT1_PNSt15iterator_traitsISL_E10value_typeET2_T3_PNSM_ISR_E10value_typeET4_jRbjT5_SX_jjP12ihipStream_tbEUlT_E2_NS1_11comp_targetILNS1_3genE4ELNS1_11target_archE910ELNS1_3gpuE8ELNS1_3repE0EEENS1_30default_config_static_selectorELNS0_4arch9wavefront6targetE1EEEvSL_.kd
    .uniform_work_group_size: 1
    .uses_dynamic_stack: false
    .vgpr_count:     178
    .vgpr_spill_count: 0
    .wavefront_size: 64
  - .agpr_count:     0
    .args:
      - .offset:         0
        .size:           80
        .value_kind:     by_value
    .group_segment_fixed_size: 0
    .kernarg_segment_align: 8
    .kernarg_segment_size: 80
    .language:       OpenCL C
    .language_version:
      - 2
      - 0
    .max_flat_workgroup_size: 256
    .name:           _ZN7rocprim17ROCPRIM_400000_NS6detail17trampoline_kernelINS0_14default_configENS1_36segmented_radix_sort_config_selectorI6__halflEEZNS1_25segmented_radix_sort_implIS3_Lb0EPKS5_PS5_PKlPlN2at6native12_GLOBAL__N_18offset_tEEE10hipError_tPvRmT1_PNSt15iterator_traitsISL_E10value_typeET2_T3_PNSM_ISR_E10value_typeET4_jRbjT5_SX_jjP12ihipStream_tbEUlT_E2_NS1_11comp_targetILNS1_3genE3ELNS1_11target_archE908ELNS1_3gpuE7ELNS1_3repE0EEENS1_30default_config_static_selectorELNS0_4arch9wavefront6targetE1EEEvSL_
    .private_segment_fixed_size: 0
    .sgpr_count:     4
    .sgpr_spill_count: 0
    .symbol:         _ZN7rocprim17ROCPRIM_400000_NS6detail17trampoline_kernelINS0_14default_configENS1_36segmented_radix_sort_config_selectorI6__halflEEZNS1_25segmented_radix_sort_implIS3_Lb0EPKS5_PS5_PKlPlN2at6native12_GLOBAL__N_18offset_tEEE10hipError_tPvRmT1_PNSt15iterator_traitsISL_E10value_typeET2_T3_PNSM_ISR_E10value_typeET4_jRbjT5_SX_jjP12ihipStream_tbEUlT_E2_NS1_11comp_targetILNS1_3genE3ELNS1_11target_archE908ELNS1_3gpuE7ELNS1_3repE0EEENS1_30default_config_static_selectorELNS0_4arch9wavefront6targetE1EEEvSL_.kd
    .uniform_work_group_size: 1
    .uses_dynamic_stack: false
    .vgpr_count:     0
    .vgpr_spill_count: 0
    .wavefront_size: 64
  - .agpr_count:     0
    .args:
      - .offset:         0
        .size:           80
        .value_kind:     by_value
    .group_segment_fixed_size: 0
    .kernarg_segment_align: 8
    .kernarg_segment_size: 80
    .language:       OpenCL C
    .language_version:
      - 2
      - 0
    .max_flat_workgroup_size: 256
    .name:           _ZN7rocprim17ROCPRIM_400000_NS6detail17trampoline_kernelINS0_14default_configENS1_36segmented_radix_sort_config_selectorI6__halflEEZNS1_25segmented_radix_sort_implIS3_Lb0EPKS5_PS5_PKlPlN2at6native12_GLOBAL__N_18offset_tEEE10hipError_tPvRmT1_PNSt15iterator_traitsISL_E10value_typeET2_T3_PNSM_ISR_E10value_typeET4_jRbjT5_SX_jjP12ihipStream_tbEUlT_E2_NS1_11comp_targetILNS1_3genE2ELNS1_11target_archE906ELNS1_3gpuE6ELNS1_3repE0EEENS1_30default_config_static_selectorELNS0_4arch9wavefront6targetE1EEEvSL_
    .private_segment_fixed_size: 0
    .sgpr_count:     4
    .sgpr_spill_count: 0
    .symbol:         _ZN7rocprim17ROCPRIM_400000_NS6detail17trampoline_kernelINS0_14default_configENS1_36segmented_radix_sort_config_selectorI6__halflEEZNS1_25segmented_radix_sort_implIS3_Lb0EPKS5_PS5_PKlPlN2at6native12_GLOBAL__N_18offset_tEEE10hipError_tPvRmT1_PNSt15iterator_traitsISL_E10value_typeET2_T3_PNSM_ISR_E10value_typeET4_jRbjT5_SX_jjP12ihipStream_tbEUlT_E2_NS1_11comp_targetILNS1_3genE2ELNS1_11target_archE906ELNS1_3gpuE6ELNS1_3repE0EEENS1_30default_config_static_selectorELNS0_4arch9wavefront6targetE1EEEvSL_.kd
    .uniform_work_group_size: 1
    .uses_dynamic_stack: false
    .vgpr_count:     0
    .vgpr_spill_count: 0
    .wavefront_size: 64
  - .agpr_count:     0
    .args:
      - .offset:         0
        .size:           80
        .value_kind:     by_value
    .group_segment_fixed_size: 0
    .kernarg_segment_align: 8
    .kernarg_segment_size: 80
    .language:       OpenCL C
    .language_version:
      - 2
      - 0
    .max_flat_workgroup_size: 256
    .name:           _ZN7rocprim17ROCPRIM_400000_NS6detail17trampoline_kernelINS0_14default_configENS1_36segmented_radix_sort_config_selectorI6__halflEEZNS1_25segmented_radix_sort_implIS3_Lb0EPKS5_PS5_PKlPlN2at6native12_GLOBAL__N_18offset_tEEE10hipError_tPvRmT1_PNSt15iterator_traitsISL_E10value_typeET2_T3_PNSM_ISR_E10value_typeET4_jRbjT5_SX_jjP12ihipStream_tbEUlT_E2_NS1_11comp_targetILNS1_3genE10ELNS1_11target_archE1201ELNS1_3gpuE5ELNS1_3repE0EEENS1_30default_config_static_selectorELNS0_4arch9wavefront6targetE1EEEvSL_
    .private_segment_fixed_size: 0
    .sgpr_count:     4
    .sgpr_spill_count: 0
    .symbol:         _ZN7rocprim17ROCPRIM_400000_NS6detail17trampoline_kernelINS0_14default_configENS1_36segmented_radix_sort_config_selectorI6__halflEEZNS1_25segmented_radix_sort_implIS3_Lb0EPKS5_PS5_PKlPlN2at6native12_GLOBAL__N_18offset_tEEE10hipError_tPvRmT1_PNSt15iterator_traitsISL_E10value_typeET2_T3_PNSM_ISR_E10value_typeET4_jRbjT5_SX_jjP12ihipStream_tbEUlT_E2_NS1_11comp_targetILNS1_3genE10ELNS1_11target_archE1201ELNS1_3gpuE5ELNS1_3repE0EEENS1_30default_config_static_selectorELNS0_4arch9wavefront6targetE1EEEvSL_.kd
    .uniform_work_group_size: 1
    .uses_dynamic_stack: false
    .vgpr_count:     0
    .vgpr_spill_count: 0
    .wavefront_size: 64
  - .agpr_count:     0
    .args:
      - .offset:         0
        .size:           80
        .value_kind:     by_value
    .group_segment_fixed_size: 0
    .kernarg_segment_align: 8
    .kernarg_segment_size: 80
    .language:       OpenCL C
    .language_version:
      - 2
      - 0
    .max_flat_workgroup_size: 128
    .name:           _ZN7rocprim17ROCPRIM_400000_NS6detail17trampoline_kernelINS0_14default_configENS1_36segmented_radix_sort_config_selectorI6__halflEEZNS1_25segmented_radix_sort_implIS3_Lb0EPKS5_PS5_PKlPlN2at6native12_GLOBAL__N_18offset_tEEE10hipError_tPvRmT1_PNSt15iterator_traitsISL_E10value_typeET2_T3_PNSM_ISR_E10value_typeET4_jRbjT5_SX_jjP12ihipStream_tbEUlT_E2_NS1_11comp_targetILNS1_3genE10ELNS1_11target_archE1200ELNS1_3gpuE4ELNS1_3repE0EEENS1_30default_config_static_selectorELNS0_4arch9wavefront6targetE1EEEvSL_
    .private_segment_fixed_size: 0
    .sgpr_count:     4
    .sgpr_spill_count: 0
    .symbol:         _ZN7rocprim17ROCPRIM_400000_NS6detail17trampoline_kernelINS0_14default_configENS1_36segmented_radix_sort_config_selectorI6__halflEEZNS1_25segmented_radix_sort_implIS3_Lb0EPKS5_PS5_PKlPlN2at6native12_GLOBAL__N_18offset_tEEE10hipError_tPvRmT1_PNSt15iterator_traitsISL_E10value_typeET2_T3_PNSM_ISR_E10value_typeET4_jRbjT5_SX_jjP12ihipStream_tbEUlT_E2_NS1_11comp_targetILNS1_3genE10ELNS1_11target_archE1200ELNS1_3gpuE4ELNS1_3repE0EEENS1_30default_config_static_selectorELNS0_4arch9wavefront6targetE1EEEvSL_.kd
    .uniform_work_group_size: 1
    .uses_dynamic_stack: false
    .vgpr_count:     0
    .vgpr_spill_count: 0
    .wavefront_size: 64
  - .agpr_count:     0
    .args:
      - .offset:         0
        .size:           80
        .value_kind:     by_value
    .group_segment_fixed_size: 0
    .kernarg_segment_align: 8
    .kernarg_segment_size: 80
    .language:       OpenCL C
    .language_version:
      - 2
      - 0
    .max_flat_workgroup_size: 256
    .name:           _ZN7rocprim17ROCPRIM_400000_NS6detail17trampoline_kernelINS0_14default_configENS1_36segmented_radix_sort_config_selectorI6__halflEEZNS1_25segmented_radix_sort_implIS3_Lb0EPKS5_PS5_PKlPlN2at6native12_GLOBAL__N_18offset_tEEE10hipError_tPvRmT1_PNSt15iterator_traitsISL_E10value_typeET2_T3_PNSM_ISR_E10value_typeET4_jRbjT5_SX_jjP12ihipStream_tbEUlT_E2_NS1_11comp_targetILNS1_3genE9ELNS1_11target_archE1100ELNS1_3gpuE3ELNS1_3repE0EEENS1_30default_config_static_selectorELNS0_4arch9wavefront6targetE1EEEvSL_
    .private_segment_fixed_size: 0
    .sgpr_count:     4
    .sgpr_spill_count: 0
    .symbol:         _ZN7rocprim17ROCPRIM_400000_NS6detail17trampoline_kernelINS0_14default_configENS1_36segmented_radix_sort_config_selectorI6__halflEEZNS1_25segmented_radix_sort_implIS3_Lb0EPKS5_PS5_PKlPlN2at6native12_GLOBAL__N_18offset_tEEE10hipError_tPvRmT1_PNSt15iterator_traitsISL_E10value_typeET2_T3_PNSM_ISR_E10value_typeET4_jRbjT5_SX_jjP12ihipStream_tbEUlT_E2_NS1_11comp_targetILNS1_3genE9ELNS1_11target_archE1100ELNS1_3gpuE3ELNS1_3repE0EEENS1_30default_config_static_selectorELNS0_4arch9wavefront6targetE1EEEvSL_.kd
    .uniform_work_group_size: 1
    .uses_dynamic_stack: false
    .vgpr_count:     0
    .vgpr_spill_count: 0
    .wavefront_size: 64
  - .agpr_count:     0
    .args:
      - .offset:         0
        .size:           80
        .value_kind:     by_value
    .group_segment_fixed_size: 0
    .kernarg_segment_align: 8
    .kernarg_segment_size: 80
    .language:       OpenCL C
    .language_version:
      - 2
      - 0
    .max_flat_workgroup_size: 256
    .name:           _ZN7rocprim17ROCPRIM_400000_NS6detail17trampoline_kernelINS0_14default_configENS1_36segmented_radix_sort_config_selectorI6__halflEEZNS1_25segmented_radix_sort_implIS3_Lb0EPKS5_PS5_PKlPlN2at6native12_GLOBAL__N_18offset_tEEE10hipError_tPvRmT1_PNSt15iterator_traitsISL_E10value_typeET2_T3_PNSM_ISR_E10value_typeET4_jRbjT5_SX_jjP12ihipStream_tbEUlT_E2_NS1_11comp_targetILNS1_3genE8ELNS1_11target_archE1030ELNS1_3gpuE2ELNS1_3repE0EEENS1_30default_config_static_selectorELNS0_4arch9wavefront6targetE1EEEvSL_
    .private_segment_fixed_size: 0
    .sgpr_count:     4
    .sgpr_spill_count: 0
    .symbol:         _ZN7rocprim17ROCPRIM_400000_NS6detail17trampoline_kernelINS0_14default_configENS1_36segmented_radix_sort_config_selectorI6__halflEEZNS1_25segmented_radix_sort_implIS3_Lb0EPKS5_PS5_PKlPlN2at6native12_GLOBAL__N_18offset_tEEE10hipError_tPvRmT1_PNSt15iterator_traitsISL_E10value_typeET2_T3_PNSM_ISR_E10value_typeET4_jRbjT5_SX_jjP12ihipStream_tbEUlT_E2_NS1_11comp_targetILNS1_3genE8ELNS1_11target_archE1030ELNS1_3gpuE2ELNS1_3repE0EEENS1_30default_config_static_selectorELNS0_4arch9wavefront6targetE1EEEvSL_.kd
    .uniform_work_group_size: 1
    .uses_dynamic_stack: false
    .vgpr_count:     0
    .vgpr_spill_count: 0
    .wavefront_size: 64
  - .agpr_count:     0
    .args:
      - .address_space:  global
        .offset:         0
        .size:           8
        .value_kind:     global_buffer
      - .address_space:  global
        .offset:         8
        .size:           8
        .value_kind:     global_buffer
      - .address_space:  global
        .offset:         16
        .size:           8
        .value_kind:     global_buffer
      - .address_space:  global
        .offset:         24
        .size:           8
        .value_kind:     global_buffer
      - .offset:         32
        .size:           4
        .value_kind:     by_value
      - .offset:         36
        .size:           4
        .value_kind:     by_value
      - .offset:         40
        .size:           4
        .value_kind:     hidden_block_count_x
      - .offset:         44
        .size:           4
        .value_kind:     hidden_block_count_y
      - .offset:         48
        .size:           4
        .value_kind:     hidden_block_count_z
      - .offset:         52
        .size:           2
        .value_kind:     hidden_group_size_x
      - .offset:         54
        .size:           2
        .value_kind:     hidden_group_size_y
      - .offset:         56
        .size:           2
        .value_kind:     hidden_group_size_z
      - .offset:         58
        .size:           2
        .value_kind:     hidden_remainder_x
      - .offset:         60
        .size:           2
        .value_kind:     hidden_remainder_y
      - .offset:         62
        .size:           2
        .value_kind:     hidden_remainder_z
      - .offset:         80
        .size:           8
        .value_kind:     hidden_global_offset_x
      - .offset:         88
        .size:           8
        .value_kind:     hidden_global_offset_y
      - .offset:         96
        .size:           8
        .value_kind:     hidden_global_offset_z
      - .offset:         104
        .size:           2
        .value_kind:     hidden_grid_dims
    .group_segment_fixed_size: 0
    .kernarg_segment_align: 8
    .kernarg_segment_size: 296
    .language:       OpenCL C
    .language_version:
      - 2
      - 0
    .max_flat_workgroup_size: 1024
    .name:           _ZN2at6native12_GLOBAL__N_123sort_postprocess_kernelIN3c108BFloat16EEEvPKT_PS5_PlPK15HIP_vector_typeIiLj2EEii
    .private_segment_fixed_size: 0
    .sgpr_count:     22
    .sgpr_spill_count: 0
    .symbol:         _ZN2at6native12_GLOBAL__N_123sort_postprocess_kernelIN3c108BFloat16EEEvPKT_PS5_PlPK15HIP_vector_typeIiLj2EEii.kd
    .uniform_work_group_size: 1
    .uses_dynamic_stack: false
    .vgpr_count:     22
    .vgpr_spill_count: 0
    .wavefront_size: 64
  - .agpr_count:     0
    .args:
      - .offset:         0
        .size:           176
        .value_kind:     by_value
    .group_segment_fixed_size: 0
    .kernarg_segment_align: 8
    .kernarg_segment_size: 176
    .language:       OpenCL C
    .language_version:
      - 2
      - 0
    .max_flat_workgroup_size: 256
    .name:           _ZN7rocprim17ROCPRIM_400000_NS6detail17trampoline_kernelINS0_13select_configILj256ELj13ELNS0_17block_load_methodE3ELS4_3ELS4_3ELNS0_20block_scan_algorithmE0ELj4294967295EEENS1_25partition_config_selectorILNS1_17partition_subalgoE4EjNS0_10empty_typeEbEEZZNS1_14partition_implILS8_4ELb0ES6_15HIP_vector_typeIjLj2EENS0_17counting_iteratorIjlEEPS9_SG_NS0_5tupleIJPjSI_NS0_16reverse_iteratorISI_EEEEENSH_IJSG_SG_SG_EEES9_SI_JZNS1_25segmented_radix_sort_implINS0_14default_configELb1EPK12hip_bfloat16PSP_PKlPlN2at6native12_GLOBAL__N_18offset_tEEE10hipError_tPvRmT1_PNSt15iterator_traitsIS13_E10value_typeET2_T3_PNS14_IS19_E10value_typeET4_jRbjT5_S1F_jjP12ihipStream_tbEUljE_ZNSN_ISO_Lb1ESR_SS_SU_SV_SZ_EES10_S11_S12_S13_S17_S18_S19_S1C_S1D_jS1E_jS1F_S1F_jjS1H_bEUljE0_EEES10_S11_S12_S19_S1D_S1F_T6_T7_T9_mT8_S1H_bDpT10_ENKUlT_T0_E_clISt17integral_constantIbLb0EES1V_EEDaS1Q_S1R_EUlS1Q_E_NS1_11comp_targetILNS1_3genE0ELNS1_11target_archE4294967295ELNS1_3gpuE0ELNS1_3repE0EEENS1_30default_config_static_selectorELNS0_4arch9wavefront6targetE1EEEvS13_
    .private_segment_fixed_size: 0
    .sgpr_count:     4
    .sgpr_spill_count: 0
    .symbol:         _ZN7rocprim17ROCPRIM_400000_NS6detail17trampoline_kernelINS0_13select_configILj256ELj13ELNS0_17block_load_methodE3ELS4_3ELS4_3ELNS0_20block_scan_algorithmE0ELj4294967295EEENS1_25partition_config_selectorILNS1_17partition_subalgoE4EjNS0_10empty_typeEbEEZZNS1_14partition_implILS8_4ELb0ES6_15HIP_vector_typeIjLj2EENS0_17counting_iteratorIjlEEPS9_SG_NS0_5tupleIJPjSI_NS0_16reverse_iteratorISI_EEEEENSH_IJSG_SG_SG_EEES9_SI_JZNS1_25segmented_radix_sort_implINS0_14default_configELb1EPK12hip_bfloat16PSP_PKlPlN2at6native12_GLOBAL__N_18offset_tEEE10hipError_tPvRmT1_PNSt15iterator_traitsIS13_E10value_typeET2_T3_PNS14_IS19_E10value_typeET4_jRbjT5_S1F_jjP12ihipStream_tbEUljE_ZNSN_ISO_Lb1ESR_SS_SU_SV_SZ_EES10_S11_S12_S13_S17_S18_S19_S1C_S1D_jS1E_jS1F_S1F_jjS1H_bEUljE0_EEES10_S11_S12_S19_S1D_S1F_T6_T7_T9_mT8_S1H_bDpT10_ENKUlT_T0_E_clISt17integral_constantIbLb0EES1V_EEDaS1Q_S1R_EUlS1Q_E_NS1_11comp_targetILNS1_3genE0ELNS1_11target_archE4294967295ELNS1_3gpuE0ELNS1_3repE0EEENS1_30default_config_static_selectorELNS0_4arch9wavefront6targetE1EEEvS13_.kd
    .uniform_work_group_size: 1
    .uses_dynamic_stack: false
    .vgpr_count:     0
    .vgpr_spill_count: 0
    .wavefront_size: 64
  - .agpr_count:     0
    .args:
      - .offset:         0
        .size:           176
        .value_kind:     by_value
    .group_segment_fixed_size: 0
    .kernarg_segment_align: 8
    .kernarg_segment_size: 176
    .language:       OpenCL C
    .language_version:
      - 2
      - 0
    .max_flat_workgroup_size: 256
    .name:           _ZN7rocprim17ROCPRIM_400000_NS6detail17trampoline_kernelINS0_13select_configILj256ELj13ELNS0_17block_load_methodE3ELS4_3ELS4_3ELNS0_20block_scan_algorithmE0ELj4294967295EEENS1_25partition_config_selectorILNS1_17partition_subalgoE4EjNS0_10empty_typeEbEEZZNS1_14partition_implILS8_4ELb0ES6_15HIP_vector_typeIjLj2EENS0_17counting_iteratorIjlEEPS9_SG_NS0_5tupleIJPjSI_NS0_16reverse_iteratorISI_EEEEENSH_IJSG_SG_SG_EEES9_SI_JZNS1_25segmented_radix_sort_implINS0_14default_configELb1EPK12hip_bfloat16PSP_PKlPlN2at6native12_GLOBAL__N_18offset_tEEE10hipError_tPvRmT1_PNSt15iterator_traitsIS13_E10value_typeET2_T3_PNS14_IS19_E10value_typeET4_jRbjT5_S1F_jjP12ihipStream_tbEUljE_ZNSN_ISO_Lb1ESR_SS_SU_SV_SZ_EES10_S11_S12_S13_S17_S18_S19_S1C_S1D_jS1E_jS1F_S1F_jjS1H_bEUljE0_EEES10_S11_S12_S19_S1D_S1F_T6_T7_T9_mT8_S1H_bDpT10_ENKUlT_T0_E_clISt17integral_constantIbLb0EES1V_EEDaS1Q_S1R_EUlS1Q_E_NS1_11comp_targetILNS1_3genE5ELNS1_11target_archE942ELNS1_3gpuE9ELNS1_3repE0EEENS1_30default_config_static_selectorELNS0_4arch9wavefront6targetE1EEEvS13_
    .private_segment_fixed_size: 0
    .sgpr_count:     4
    .sgpr_spill_count: 0
    .symbol:         _ZN7rocprim17ROCPRIM_400000_NS6detail17trampoline_kernelINS0_13select_configILj256ELj13ELNS0_17block_load_methodE3ELS4_3ELS4_3ELNS0_20block_scan_algorithmE0ELj4294967295EEENS1_25partition_config_selectorILNS1_17partition_subalgoE4EjNS0_10empty_typeEbEEZZNS1_14partition_implILS8_4ELb0ES6_15HIP_vector_typeIjLj2EENS0_17counting_iteratorIjlEEPS9_SG_NS0_5tupleIJPjSI_NS0_16reverse_iteratorISI_EEEEENSH_IJSG_SG_SG_EEES9_SI_JZNS1_25segmented_radix_sort_implINS0_14default_configELb1EPK12hip_bfloat16PSP_PKlPlN2at6native12_GLOBAL__N_18offset_tEEE10hipError_tPvRmT1_PNSt15iterator_traitsIS13_E10value_typeET2_T3_PNS14_IS19_E10value_typeET4_jRbjT5_S1F_jjP12ihipStream_tbEUljE_ZNSN_ISO_Lb1ESR_SS_SU_SV_SZ_EES10_S11_S12_S13_S17_S18_S19_S1C_S1D_jS1E_jS1F_S1F_jjS1H_bEUljE0_EEES10_S11_S12_S19_S1D_S1F_T6_T7_T9_mT8_S1H_bDpT10_ENKUlT_T0_E_clISt17integral_constantIbLb0EES1V_EEDaS1Q_S1R_EUlS1Q_E_NS1_11comp_targetILNS1_3genE5ELNS1_11target_archE942ELNS1_3gpuE9ELNS1_3repE0EEENS1_30default_config_static_selectorELNS0_4arch9wavefront6targetE1EEEvS13_.kd
    .uniform_work_group_size: 1
    .uses_dynamic_stack: false
    .vgpr_count:     0
    .vgpr_spill_count: 0
    .wavefront_size: 64
  - .agpr_count:     0
    .args:
      - .offset:         0
        .size:           176
        .value_kind:     by_value
    .group_segment_fixed_size: 13340
    .kernarg_segment_align: 8
    .kernarg_segment_size: 176
    .language:       OpenCL C
    .language_version:
      - 2
      - 0
    .max_flat_workgroup_size: 256
    .name:           _ZN7rocprim17ROCPRIM_400000_NS6detail17trampoline_kernelINS0_13select_configILj256ELj13ELNS0_17block_load_methodE3ELS4_3ELS4_3ELNS0_20block_scan_algorithmE0ELj4294967295EEENS1_25partition_config_selectorILNS1_17partition_subalgoE4EjNS0_10empty_typeEbEEZZNS1_14partition_implILS8_4ELb0ES6_15HIP_vector_typeIjLj2EENS0_17counting_iteratorIjlEEPS9_SG_NS0_5tupleIJPjSI_NS0_16reverse_iteratorISI_EEEEENSH_IJSG_SG_SG_EEES9_SI_JZNS1_25segmented_radix_sort_implINS0_14default_configELb1EPK12hip_bfloat16PSP_PKlPlN2at6native12_GLOBAL__N_18offset_tEEE10hipError_tPvRmT1_PNSt15iterator_traitsIS13_E10value_typeET2_T3_PNS14_IS19_E10value_typeET4_jRbjT5_S1F_jjP12ihipStream_tbEUljE_ZNSN_ISO_Lb1ESR_SS_SU_SV_SZ_EES10_S11_S12_S13_S17_S18_S19_S1C_S1D_jS1E_jS1F_S1F_jjS1H_bEUljE0_EEES10_S11_S12_S19_S1D_S1F_T6_T7_T9_mT8_S1H_bDpT10_ENKUlT_T0_E_clISt17integral_constantIbLb0EES1V_EEDaS1Q_S1R_EUlS1Q_E_NS1_11comp_targetILNS1_3genE4ELNS1_11target_archE910ELNS1_3gpuE8ELNS1_3repE0EEENS1_30default_config_static_selectorELNS0_4arch9wavefront6targetE1EEEvS13_
    .private_segment_fixed_size: 0
    .sgpr_count:     94
    .sgpr_spill_count: 0
    .symbol:         _ZN7rocprim17ROCPRIM_400000_NS6detail17trampoline_kernelINS0_13select_configILj256ELj13ELNS0_17block_load_methodE3ELS4_3ELS4_3ELNS0_20block_scan_algorithmE0ELj4294967295EEENS1_25partition_config_selectorILNS1_17partition_subalgoE4EjNS0_10empty_typeEbEEZZNS1_14partition_implILS8_4ELb0ES6_15HIP_vector_typeIjLj2EENS0_17counting_iteratorIjlEEPS9_SG_NS0_5tupleIJPjSI_NS0_16reverse_iteratorISI_EEEEENSH_IJSG_SG_SG_EEES9_SI_JZNS1_25segmented_radix_sort_implINS0_14default_configELb1EPK12hip_bfloat16PSP_PKlPlN2at6native12_GLOBAL__N_18offset_tEEE10hipError_tPvRmT1_PNSt15iterator_traitsIS13_E10value_typeET2_T3_PNS14_IS19_E10value_typeET4_jRbjT5_S1F_jjP12ihipStream_tbEUljE_ZNSN_ISO_Lb1ESR_SS_SU_SV_SZ_EES10_S11_S12_S13_S17_S18_S19_S1C_S1D_jS1E_jS1F_S1F_jjS1H_bEUljE0_EEES10_S11_S12_S19_S1D_S1F_T6_T7_T9_mT8_S1H_bDpT10_ENKUlT_T0_E_clISt17integral_constantIbLb0EES1V_EEDaS1Q_S1R_EUlS1Q_E_NS1_11comp_targetILNS1_3genE4ELNS1_11target_archE910ELNS1_3gpuE8ELNS1_3repE0EEENS1_30default_config_static_selectorELNS0_4arch9wavefront6targetE1EEEvS13_.kd
    .uniform_work_group_size: 1
    .uses_dynamic_stack: false
    .vgpr_count:     102
    .vgpr_spill_count: 0
    .wavefront_size: 64
  - .agpr_count:     0
    .args:
      - .offset:         0
        .size:           176
        .value_kind:     by_value
    .group_segment_fixed_size: 0
    .kernarg_segment_align: 8
    .kernarg_segment_size: 176
    .language:       OpenCL C
    .language_version:
      - 2
      - 0
    .max_flat_workgroup_size: 256
    .name:           _ZN7rocprim17ROCPRIM_400000_NS6detail17trampoline_kernelINS0_13select_configILj256ELj13ELNS0_17block_load_methodE3ELS4_3ELS4_3ELNS0_20block_scan_algorithmE0ELj4294967295EEENS1_25partition_config_selectorILNS1_17partition_subalgoE4EjNS0_10empty_typeEbEEZZNS1_14partition_implILS8_4ELb0ES6_15HIP_vector_typeIjLj2EENS0_17counting_iteratorIjlEEPS9_SG_NS0_5tupleIJPjSI_NS0_16reverse_iteratorISI_EEEEENSH_IJSG_SG_SG_EEES9_SI_JZNS1_25segmented_radix_sort_implINS0_14default_configELb1EPK12hip_bfloat16PSP_PKlPlN2at6native12_GLOBAL__N_18offset_tEEE10hipError_tPvRmT1_PNSt15iterator_traitsIS13_E10value_typeET2_T3_PNS14_IS19_E10value_typeET4_jRbjT5_S1F_jjP12ihipStream_tbEUljE_ZNSN_ISO_Lb1ESR_SS_SU_SV_SZ_EES10_S11_S12_S13_S17_S18_S19_S1C_S1D_jS1E_jS1F_S1F_jjS1H_bEUljE0_EEES10_S11_S12_S19_S1D_S1F_T6_T7_T9_mT8_S1H_bDpT10_ENKUlT_T0_E_clISt17integral_constantIbLb0EES1V_EEDaS1Q_S1R_EUlS1Q_E_NS1_11comp_targetILNS1_3genE3ELNS1_11target_archE908ELNS1_3gpuE7ELNS1_3repE0EEENS1_30default_config_static_selectorELNS0_4arch9wavefront6targetE1EEEvS13_
    .private_segment_fixed_size: 0
    .sgpr_count:     4
    .sgpr_spill_count: 0
    .symbol:         _ZN7rocprim17ROCPRIM_400000_NS6detail17trampoline_kernelINS0_13select_configILj256ELj13ELNS0_17block_load_methodE3ELS4_3ELS4_3ELNS0_20block_scan_algorithmE0ELj4294967295EEENS1_25partition_config_selectorILNS1_17partition_subalgoE4EjNS0_10empty_typeEbEEZZNS1_14partition_implILS8_4ELb0ES6_15HIP_vector_typeIjLj2EENS0_17counting_iteratorIjlEEPS9_SG_NS0_5tupleIJPjSI_NS0_16reverse_iteratorISI_EEEEENSH_IJSG_SG_SG_EEES9_SI_JZNS1_25segmented_radix_sort_implINS0_14default_configELb1EPK12hip_bfloat16PSP_PKlPlN2at6native12_GLOBAL__N_18offset_tEEE10hipError_tPvRmT1_PNSt15iterator_traitsIS13_E10value_typeET2_T3_PNS14_IS19_E10value_typeET4_jRbjT5_S1F_jjP12ihipStream_tbEUljE_ZNSN_ISO_Lb1ESR_SS_SU_SV_SZ_EES10_S11_S12_S13_S17_S18_S19_S1C_S1D_jS1E_jS1F_S1F_jjS1H_bEUljE0_EEES10_S11_S12_S19_S1D_S1F_T6_T7_T9_mT8_S1H_bDpT10_ENKUlT_T0_E_clISt17integral_constantIbLb0EES1V_EEDaS1Q_S1R_EUlS1Q_E_NS1_11comp_targetILNS1_3genE3ELNS1_11target_archE908ELNS1_3gpuE7ELNS1_3repE0EEENS1_30default_config_static_selectorELNS0_4arch9wavefront6targetE1EEEvS13_.kd
    .uniform_work_group_size: 1
    .uses_dynamic_stack: false
    .vgpr_count:     0
    .vgpr_spill_count: 0
    .wavefront_size: 64
  - .agpr_count:     0
    .args:
      - .offset:         0
        .size:           176
        .value_kind:     by_value
    .group_segment_fixed_size: 0
    .kernarg_segment_align: 8
    .kernarg_segment_size: 176
    .language:       OpenCL C
    .language_version:
      - 2
      - 0
    .max_flat_workgroup_size: 256
    .name:           _ZN7rocprim17ROCPRIM_400000_NS6detail17trampoline_kernelINS0_13select_configILj256ELj13ELNS0_17block_load_methodE3ELS4_3ELS4_3ELNS0_20block_scan_algorithmE0ELj4294967295EEENS1_25partition_config_selectorILNS1_17partition_subalgoE4EjNS0_10empty_typeEbEEZZNS1_14partition_implILS8_4ELb0ES6_15HIP_vector_typeIjLj2EENS0_17counting_iteratorIjlEEPS9_SG_NS0_5tupleIJPjSI_NS0_16reverse_iteratorISI_EEEEENSH_IJSG_SG_SG_EEES9_SI_JZNS1_25segmented_radix_sort_implINS0_14default_configELb1EPK12hip_bfloat16PSP_PKlPlN2at6native12_GLOBAL__N_18offset_tEEE10hipError_tPvRmT1_PNSt15iterator_traitsIS13_E10value_typeET2_T3_PNS14_IS19_E10value_typeET4_jRbjT5_S1F_jjP12ihipStream_tbEUljE_ZNSN_ISO_Lb1ESR_SS_SU_SV_SZ_EES10_S11_S12_S13_S17_S18_S19_S1C_S1D_jS1E_jS1F_S1F_jjS1H_bEUljE0_EEES10_S11_S12_S19_S1D_S1F_T6_T7_T9_mT8_S1H_bDpT10_ENKUlT_T0_E_clISt17integral_constantIbLb0EES1V_EEDaS1Q_S1R_EUlS1Q_E_NS1_11comp_targetILNS1_3genE2ELNS1_11target_archE906ELNS1_3gpuE6ELNS1_3repE0EEENS1_30default_config_static_selectorELNS0_4arch9wavefront6targetE1EEEvS13_
    .private_segment_fixed_size: 0
    .sgpr_count:     4
    .sgpr_spill_count: 0
    .symbol:         _ZN7rocprim17ROCPRIM_400000_NS6detail17trampoline_kernelINS0_13select_configILj256ELj13ELNS0_17block_load_methodE3ELS4_3ELS4_3ELNS0_20block_scan_algorithmE0ELj4294967295EEENS1_25partition_config_selectorILNS1_17partition_subalgoE4EjNS0_10empty_typeEbEEZZNS1_14partition_implILS8_4ELb0ES6_15HIP_vector_typeIjLj2EENS0_17counting_iteratorIjlEEPS9_SG_NS0_5tupleIJPjSI_NS0_16reverse_iteratorISI_EEEEENSH_IJSG_SG_SG_EEES9_SI_JZNS1_25segmented_radix_sort_implINS0_14default_configELb1EPK12hip_bfloat16PSP_PKlPlN2at6native12_GLOBAL__N_18offset_tEEE10hipError_tPvRmT1_PNSt15iterator_traitsIS13_E10value_typeET2_T3_PNS14_IS19_E10value_typeET4_jRbjT5_S1F_jjP12ihipStream_tbEUljE_ZNSN_ISO_Lb1ESR_SS_SU_SV_SZ_EES10_S11_S12_S13_S17_S18_S19_S1C_S1D_jS1E_jS1F_S1F_jjS1H_bEUljE0_EEES10_S11_S12_S19_S1D_S1F_T6_T7_T9_mT8_S1H_bDpT10_ENKUlT_T0_E_clISt17integral_constantIbLb0EES1V_EEDaS1Q_S1R_EUlS1Q_E_NS1_11comp_targetILNS1_3genE2ELNS1_11target_archE906ELNS1_3gpuE6ELNS1_3repE0EEENS1_30default_config_static_selectorELNS0_4arch9wavefront6targetE1EEEvS13_.kd
    .uniform_work_group_size: 1
    .uses_dynamic_stack: false
    .vgpr_count:     0
    .vgpr_spill_count: 0
    .wavefront_size: 64
  - .agpr_count:     0
    .args:
      - .offset:         0
        .size:           176
        .value_kind:     by_value
    .group_segment_fixed_size: 0
    .kernarg_segment_align: 8
    .kernarg_segment_size: 176
    .language:       OpenCL C
    .language_version:
      - 2
      - 0
    .max_flat_workgroup_size: 256
    .name:           _ZN7rocprim17ROCPRIM_400000_NS6detail17trampoline_kernelINS0_13select_configILj256ELj13ELNS0_17block_load_methodE3ELS4_3ELS4_3ELNS0_20block_scan_algorithmE0ELj4294967295EEENS1_25partition_config_selectorILNS1_17partition_subalgoE4EjNS0_10empty_typeEbEEZZNS1_14partition_implILS8_4ELb0ES6_15HIP_vector_typeIjLj2EENS0_17counting_iteratorIjlEEPS9_SG_NS0_5tupleIJPjSI_NS0_16reverse_iteratorISI_EEEEENSH_IJSG_SG_SG_EEES9_SI_JZNS1_25segmented_radix_sort_implINS0_14default_configELb1EPK12hip_bfloat16PSP_PKlPlN2at6native12_GLOBAL__N_18offset_tEEE10hipError_tPvRmT1_PNSt15iterator_traitsIS13_E10value_typeET2_T3_PNS14_IS19_E10value_typeET4_jRbjT5_S1F_jjP12ihipStream_tbEUljE_ZNSN_ISO_Lb1ESR_SS_SU_SV_SZ_EES10_S11_S12_S13_S17_S18_S19_S1C_S1D_jS1E_jS1F_S1F_jjS1H_bEUljE0_EEES10_S11_S12_S19_S1D_S1F_T6_T7_T9_mT8_S1H_bDpT10_ENKUlT_T0_E_clISt17integral_constantIbLb0EES1V_EEDaS1Q_S1R_EUlS1Q_E_NS1_11comp_targetILNS1_3genE10ELNS1_11target_archE1200ELNS1_3gpuE4ELNS1_3repE0EEENS1_30default_config_static_selectorELNS0_4arch9wavefront6targetE1EEEvS13_
    .private_segment_fixed_size: 0
    .sgpr_count:     4
    .sgpr_spill_count: 0
    .symbol:         _ZN7rocprim17ROCPRIM_400000_NS6detail17trampoline_kernelINS0_13select_configILj256ELj13ELNS0_17block_load_methodE3ELS4_3ELS4_3ELNS0_20block_scan_algorithmE0ELj4294967295EEENS1_25partition_config_selectorILNS1_17partition_subalgoE4EjNS0_10empty_typeEbEEZZNS1_14partition_implILS8_4ELb0ES6_15HIP_vector_typeIjLj2EENS0_17counting_iteratorIjlEEPS9_SG_NS0_5tupleIJPjSI_NS0_16reverse_iteratorISI_EEEEENSH_IJSG_SG_SG_EEES9_SI_JZNS1_25segmented_radix_sort_implINS0_14default_configELb1EPK12hip_bfloat16PSP_PKlPlN2at6native12_GLOBAL__N_18offset_tEEE10hipError_tPvRmT1_PNSt15iterator_traitsIS13_E10value_typeET2_T3_PNS14_IS19_E10value_typeET4_jRbjT5_S1F_jjP12ihipStream_tbEUljE_ZNSN_ISO_Lb1ESR_SS_SU_SV_SZ_EES10_S11_S12_S13_S17_S18_S19_S1C_S1D_jS1E_jS1F_S1F_jjS1H_bEUljE0_EEES10_S11_S12_S19_S1D_S1F_T6_T7_T9_mT8_S1H_bDpT10_ENKUlT_T0_E_clISt17integral_constantIbLb0EES1V_EEDaS1Q_S1R_EUlS1Q_E_NS1_11comp_targetILNS1_3genE10ELNS1_11target_archE1200ELNS1_3gpuE4ELNS1_3repE0EEENS1_30default_config_static_selectorELNS0_4arch9wavefront6targetE1EEEvS13_.kd
    .uniform_work_group_size: 1
    .uses_dynamic_stack: false
    .vgpr_count:     0
    .vgpr_spill_count: 0
    .wavefront_size: 64
  - .agpr_count:     0
    .args:
      - .offset:         0
        .size:           176
        .value_kind:     by_value
    .group_segment_fixed_size: 0
    .kernarg_segment_align: 8
    .kernarg_segment_size: 176
    .language:       OpenCL C
    .language_version:
      - 2
      - 0
    .max_flat_workgroup_size: 256
    .name:           _ZN7rocprim17ROCPRIM_400000_NS6detail17trampoline_kernelINS0_13select_configILj256ELj13ELNS0_17block_load_methodE3ELS4_3ELS4_3ELNS0_20block_scan_algorithmE0ELj4294967295EEENS1_25partition_config_selectorILNS1_17partition_subalgoE4EjNS0_10empty_typeEbEEZZNS1_14partition_implILS8_4ELb0ES6_15HIP_vector_typeIjLj2EENS0_17counting_iteratorIjlEEPS9_SG_NS0_5tupleIJPjSI_NS0_16reverse_iteratorISI_EEEEENSH_IJSG_SG_SG_EEES9_SI_JZNS1_25segmented_radix_sort_implINS0_14default_configELb1EPK12hip_bfloat16PSP_PKlPlN2at6native12_GLOBAL__N_18offset_tEEE10hipError_tPvRmT1_PNSt15iterator_traitsIS13_E10value_typeET2_T3_PNS14_IS19_E10value_typeET4_jRbjT5_S1F_jjP12ihipStream_tbEUljE_ZNSN_ISO_Lb1ESR_SS_SU_SV_SZ_EES10_S11_S12_S13_S17_S18_S19_S1C_S1D_jS1E_jS1F_S1F_jjS1H_bEUljE0_EEES10_S11_S12_S19_S1D_S1F_T6_T7_T9_mT8_S1H_bDpT10_ENKUlT_T0_E_clISt17integral_constantIbLb0EES1V_EEDaS1Q_S1R_EUlS1Q_E_NS1_11comp_targetILNS1_3genE9ELNS1_11target_archE1100ELNS1_3gpuE3ELNS1_3repE0EEENS1_30default_config_static_selectorELNS0_4arch9wavefront6targetE1EEEvS13_
    .private_segment_fixed_size: 0
    .sgpr_count:     4
    .sgpr_spill_count: 0
    .symbol:         _ZN7rocprim17ROCPRIM_400000_NS6detail17trampoline_kernelINS0_13select_configILj256ELj13ELNS0_17block_load_methodE3ELS4_3ELS4_3ELNS0_20block_scan_algorithmE0ELj4294967295EEENS1_25partition_config_selectorILNS1_17partition_subalgoE4EjNS0_10empty_typeEbEEZZNS1_14partition_implILS8_4ELb0ES6_15HIP_vector_typeIjLj2EENS0_17counting_iteratorIjlEEPS9_SG_NS0_5tupleIJPjSI_NS0_16reverse_iteratorISI_EEEEENSH_IJSG_SG_SG_EEES9_SI_JZNS1_25segmented_radix_sort_implINS0_14default_configELb1EPK12hip_bfloat16PSP_PKlPlN2at6native12_GLOBAL__N_18offset_tEEE10hipError_tPvRmT1_PNSt15iterator_traitsIS13_E10value_typeET2_T3_PNS14_IS19_E10value_typeET4_jRbjT5_S1F_jjP12ihipStream_tbEUljE_ZNSN_ISO_Lb1ESR_SS_SU_SV_SZ_EES10_S11_S12_S13_S17_S18_S19_S1C_S1D_jS1E_jS1F_S1F_jjS1H_bEUljE0_EEES10_S11_S12_S19_S1D_S1F_T6_T7_T9_mT8_S1H_bDpT10_ENKUlT_T0_E_clISt17integral_constantIbLb0EES1V_EEDaS1Q_S1R_EUlS1Q_E_NS1_11comp_targetILNS1_3genE9ELNS1_11target_archE1100ELNS1_3gpuE3ELNS1_3repE0EEENS1_30default_config_static_selectorELNS0_4arch9wavefront6targetE1EEEvS13_.kd
    .uniform_work_group_size: 1
    .uses_dynamic_stack: false
    .vgpr_count:     0
    .vgpr_spill_count: 0
    .wavefront_size: 64
  - .agpr_count:     0
    .args:
      - .offset:         0
        .size:           176
        .value_kind:     by_value
    .group_segment_fixed_size: 0
    .kernarg_segment_align: 8
    .kernarg_segment_size: 176
    .language:       OpenCL C
    .language_version:
      - 2
      - 0
    .max_flat_workgroup_size: 256
    .name:           _ZN7rocprim17ROCPRIM_400000_NS6detail17trampoline_kernelINS0_13select_configILj256ELj13ELNS0_17block_load_methodE3ELS4_3ELS4_3ELNS0_20block_scan_algorithmE0ELj4294967295EEENS1_25partition_config_selectorILNS1_17partition_subalgoE4EjNS0_10empty_typeEbEEZZNS1_14partition_implILS8_4ELb0ES6_15HIP_vector_typeIjLj2EENS0_17counting_iteratorIjlEEPS9_SG_NS0_5tupleIJPjSI_NS0_16reverse_iteratorISI_EEEEENSH_IJSG_SG_SG_EEES9_SI_JZNS1_25segmented_radix_sort_implINS0_14default_configELb1EPK12hip_bfloat16PSP_PKlPlN2at6native12_GLOBAL__N_18offset_tEEE10hipError_tPvRmT1_PNSt15iterator_traitsIS13_E10value_typeET2_T3_PNS14_IS19_E10value_typeET4_jRbjT5_S1F_jjP12ihipStream_tbEUljE_ZNSN_ISO_Lb1ESR_SS_SU_SV_SZ_EES10_S11_S12_S13_S17_S18_S19_S1C_S1D_jS1E_jS1F_S1F_jjS1H_bEUljE0_EEES10_S11_S12_S19_S1D_S1F_T6_T7_T9_mT8_S1H_bDpT10_ENKUlT_T0_E_clISt17integral_constantIbLb0EES1V_EEDaS1Q_S1R_EUlS1Q_E_NS1_11comp_targetILNS1_3genE8ELNS1_11target_archE1030ELNS1_3gpuE2ELNS1_3repE0EEENS1_30default_config_static_selectorELNS0_4arch9wavefront6targetE1EEEvS13_
    .private_segment_fixed_size: 0
    .sgpr_count:     4
    .sgpr_spill_count: 0
    .symbol:         _ZN7rocprim17ROCPRIM_400000_NS6detail17trampoline_kernelINS0_13select_configILj256ELj13ELNS0_17block_load_methodE3ELS4_3ELS4_3ELNS0_20block_scan_algorithmE0ELj4294967295EEENS1_25partition_config_selectorILNS1_17partition_subalgoE4EjNS0_10empty_typeEbEEZZNS1_14partition_implILS8_4ELb0ES6_15HIP_vector_typeIjLj2EENS0_17counting_iteratorIjlEEPS9_SG_NS0_5tupleIJPjSI_NS0_16reverse_iteratorISI_EEEEENSH_IJSG_SG_SG_EEES9_SI_JZNS1_25segmented_radix_sort_implINS0_14default_configELb1EPK12hip_bfloat16PSP_PKlPlN2at6native12_GLOBAL__N_18offset_tEEE10hipError_tPvRmT1_PNSt15iterator_traitsIS13_E10value_typeET2_T3_PNS14_IS19_E10value_typeET4_jRbjT5_S1F_jjP12ihipStream_tbEUljE_ZNSN_ISO_Lb1ESR_SS_SU_SV_SZ_EES10_S11_S12_S13_S17_S18_S19_S1C_S1D_jS1E_jS1F_S1F_jjS1H_bEUljE0_EEES10_S11_S12_S19_S1D_S1F_T6_T7_T9_mT8_S1H_bDpT10_ENKUlT_T0_E_clISt17integral_constantIbLb0EES1V_EEDaS1Q_S1R_EUlS1Q_E_NS1_11comp_targetILNS1_3genE8ELNS1_11target_archE1030ELNS1_3gpuE2ELNS1_3repE0EEENS1_30default_config_static_selectorELNS0_4arch9wavefront6targetE1EEEvS13_.kd
    .uniform_work_group_size: 1
    .uses_dynamic_stack: false
    .vgpr_count:     0
    .vgpr_spill_count: 0
    .wavefront_size: 64
  - .agpr_count:     0
    .args:
      - .offset:         0
        .size:           184
        .value_kind:     by_value
    .group_segment_fixed_size: 0
    .kernarg_segment_align: 8
    .kernarg_segment_size: 184
    .language:       OpenCL C
    .language_version:
      - 2
      - 0
    .max_flat_workgroup_size: 256
    .name:           _ZN7rocprim17ROCPRIM_400000_NS6detail17trampoline_kernelINS0_13select_configILj256ELj13ELNS0_17block_load_methodE3ELS4_3ELS4_3ELNS0_20block_scan_algorithmE0ELj4294967295EEENS1_25partition_config_selectorILNS1_17partition_subalgoE4EjNS0_10empty_typeEbEEZZNS1_14partition_implILS8_4ELb0ES6_15HIP_vector_typeIjLj2EENS0_17counting_iteratorIjlEEPS9_SG_NS0_5tupleIJPjSI_NS0_16reverse_iteratorISI_EEEEENSH_IJSG_SG_SG_EEES9_SI_JZNS1_25segmented_radix_sort_implINS0_14default_configELb1EPK12hip_bfloat16PSP_PKlPlN2at6native12_GLOBAL__N_18offset_tEEE10hipError_tPvRmT1_PNSt15iterator_traitsIS13_E10value_typeET2_T3_PNS14_IS19_E10value_typeET4_jRbjT5_S1F_jjP12ihipStream_tbEUljE_ZNSN_ISO_Lb1ESR_SS_SU_SV_SZ_EES10_S11_S12_S13_S17_S18_S19_S1C_S1D_jS1E_jS1F_S1F_jjS1H_bEUljE0_EEES10_S11_S12_S19_S1D_S1F_T6_T7_T9_mT8_S1H_bDpT10_ENKUlT_T0_E_clISt17integral_constantIbLb1EES1V_EEDaS1Q_S1R_EUlS1Q_E_NS1_11comp_targetILNS1_3genE0ELNS1_11target_archE4294967295ELNS1_3gpuE0ELNS1_3repE0EEENS1_30default_config_static_selectorELNS0_4arch9wavefront6targetE1EEEvS13_
    .private_segment_fixed_size: 0
    .sgpr_count:     4
    .sgpr_spill_count: 0
    .symbol:         _ZN7rocprim17ROCPRIM_400000_NS6detail17trampoline_kernelINS0_13select_configILj256ELj13ELNS0_17block_load_methodE3ELS4_3ELS4_3ELNS0_20block_scan_algorithmE0ELj4294967295EEENS1_25partition_config_selectorILNS1_17partition_subalgoE4EjNS0_10empty_typeEbEEZZNS1_14partition_implILS8_4ELb0ES6_15HIP_vector_typeIjLj2EENS0_17counting_iteratorIjlEEPS9_SG_NS0_5tupleIJPjSI_NS0_16reverse_iteratorISI_EEEEENSH_IJSG_SG_SG_EEES9_SI_JZNS1_25segmented_radix_sort_implINS0_14default_configELb1EPK12hip_bfloat16PSP_PKlPlN2at6native12_GLOBAL__N_18offset_tEEE10hipError_tPvRmT1_PNSt15iterator_traitsIS13_E10value_typeET2_T3_PNS14_IS19_E10value_typeET4_jRbjT5_S1F_jjP12ihipStream_tbEUljE_ZNSN_ISO_Lb1ESR_SS_SU_SV_SZ_EES10_S11_S12_S13_S17_S18_S19_S1C_S1D_jS1E_jS1F_S1F_jjS1H_bEUljE0_EEES10_S11_S12_S19_S1D_S1F_T6_T7_T9_mT8_S1H_bDpT10_ENKUlT_T0_E_clISt17integral_constantIbLb1EES1V_EEDaS1Q_S1R_EUlS1Q_E_NS1_11comp_targetILNS1_3genE0ELNS1_11target_archE4294967295ELNS1_3gpuE0ELNS1_3repE0EEENS1_30default_config_static_selectorELNS0_4arch9wavefront6targetE1EEEvS13_.kd
    .uniform_work_group_size: 1
    .uses_dynamic_stack: false
    .vgpr_count:     0
    .vgpr_spill_count: 0
    .wavefront_size: 64
  - .agpr_count:     0
    .args:
      - .offset:         0
        .size:           184
        .value_kind:     by_value
    .group_segment_fixed_size: 0
    .kernarg_segment_align: 8
    .kernarg_segment_size: 184
    .language:       OpenCL C
    .language_version:
      - 2
      - 0
    .max_flat_workgroup_size: 256
    .name:           _ZN7rocprim17ROCPRIM_400000_NS6detail17trampoline_kernelINS0_13select_configILj256ELj13ELNS0_17block_load_methodE3ELS4_3ELS4_3ELNS0_20block_scan_algorithmE0ELj4294967295EEENS1_25partition_config_selectorILNS1_17partition_subalgoE4EjNS0_10empty_typeEbEEZZNS1_14partition_implILS8_4ELb0ES6_15HIP_vector_typeIjLj2EENS0_17counting_iteratorIjlEEPS9_SG_NS0_5tupleIJPjSI_NS0_16reverse_iteratorISI_EEEEENSH_IJSG_SG_SG_EEES9_SI_JZNS1_25segmented_radix_sort_implINS0_14default_configELb1EPK12hip_bfloat16PSP_PKlPlN2at6native12_GLOBAL__N_18offset_tEEE10hipError_tPvRmT1_PNSt15iterator_traitsIS13_E10value_typeET2_T3_PNS14_IS19_E10value_typeET4_jRbjT5_S1F_jjP12ihipStream_tbEUljE_ZNSN_ISO_Lb1ESR_SS_SU_SV_SZ_EES10_S11_S12_S13_S17_S18_S19_S1C_S1D_jS1E_jS1F_S1F_jjS1H_bEUljE0_EEES10_S11_S12_S19_S1D_S1F_T6_T7_T9_mT8_S1H_bDpT10_ENKUlT_T0_E_clISt17integral_constantIbLb1EES1V_EEDaS1Q_S1R_EUlS1Q_E_NS1_11comp_targetILNS1_3genE5ELNS1_11target_archE942ELNS1_3gpuE9ELNS1_3repE0EEENS1_30default_config_static_selectorELNS0_4arch9wavefront6targetE1EEEvS13_
    .private_segment_fixed_size: 0
    .sgpr_count:     4
    .sgpr_spill_count: 0
    .symbol:         _ZN7rocprim17ROCPRIM_400000_NS6detail17trampoline_kernelINS0_13select_configILj256ELj13ELNS0_17block_load_methodE3ELS4_3ELS4_3ELNS0_20block_scan_algorithmE0ELj4294967295EEENS1_25partition_config_selectorILNS1_17partition_subalgoE4EjNS0_10empty_typeEbEEZZNS1_14partition_implILS8_4ELb0ES6_15HIP_vector_typeIjLj2EENS0_17counting_iteratorIjlEEPS9_SG_NS0_5tupleIJPjSI_NS0_16reverse_iteratorISI_EEEEENSH_IJSG_SG_SG_EEES9_SI_JZNS1_25segmented_radix_sort_implINS0_14default_configELb1EPK12hip_bfloat16PSP_PKlPlN2at6native12_GLOBAL__N_18offset_tEEE10hipError_tPvRmT1_PNSt15iterator_traitsIS13_E10value_typeET2_T3_PNS14_IS19_E10value_typeET4_jRbjT5_S1F_jjP12ihipStream_tbEUljE_ZNSN_ISO_Lb1ESR_SS_SU_SV_SZ_EES10_S11_S12_S13_S17_S18_S19_S1C_S1D_jS1E_jS1F_S1F_jjS1H_bEUljE0_EEES10_S11_S12_S19_S1D_S1F_T6_T7_T9_mT8_S1H_bDpT10_ENKUlT_T0_E_clISt17integral_constantIbLb1EES1V_EEDaS1Q_S1R_EUlS1Q_E_NS1_11comp_targetILNS1_3genE5ELNS1_11target_archE942ELNS1_3gpuE9ELNS1_3repE0EEENS1_30default_config_static_selectorELNS0_4arch9wavefront6targetE1EEEvS13_.kd
    .uniform_work_group_size: 1
    .uses_dynamic_stack: false
    .vgpr_count:     0
    .vgpr_spill_count: 0
    .wavefront_size: 64
  - .agpr_count:     0
    .args:
      - .offset:         0
        .size:           184
        .value_kind:     by_value
    .group_segment_fixed_size: 13340
    .kernarg_segment_align: 8
    .kernarg_segment_size: 184
    .language:       OpenCL C
    .language_version:
      - 2
      - 0
    .max_flat_workgroup_size: 256
    .name:           _ZN7rocprim17ROCPRIM_400000_NS6detail17trampoline_kernelINS0_13select_configILj256ELj13ELNS0_17block_load_methodE3ELS4_3ELS4_3ELNS0_20block_scan_algorithmE0ELj4294967295EEENS1_25partition_config_selectorILNS1_17partition_subalgoE4EjNS0_10empty_typeEbEEZZNS1_14partition_implILS8_4ELb0ES6_15HIP_vector_typeIjLj2EENS0_17counting_iteratorIjlEEPS9_SG_NS0_5tupleIJPjSI_NS0_16reverse_iteratorISI_EEEEENSH_IJSG_SG_SG_EEES9_SI_JZNS1_25segmented_radix_sort_implINS0_14default_configELb1EPK12hip_bfloat16PSP_PKlPlN2at6native12_GLOBAL__N_18offset_tEEE10hipError_tPvRmT1_PNSt15iterator_traitsIS13_E10value_typeET2_T3_PNS14_IS19_E10value_typeET4_jRbjT5_S1F_jjP12ihipStream_tbEUljE_ZNSN_ISO_Lb1ESR_SS_SU_SV_SZ_EES10_S11_S12_S13_S17_S18_S19_S1C_S1D_jS1E_jS1F_S1F_jjS1H_bEUljE0_EEES10_S11_S12_S19_S1D_S1F_T6_T7_T9_mT8_S1H_bDpT10_ENKUlT_T0_E_clISt17integral_constantIbLb1EES1V_EEDaS1Q_S1R_EUlS1Q_E_NS1_11comp_targetILNS1_3genE4ELNS1_11target_archE910ELNS1_3gpuE8ELNS1_3repE0EEENS1_30default_config_static_selectorELNS0_4arch9wavefront6targetE1EEEvS13_
    .private_segment_fixed_size: 0
    .sgpr_count:     91
    .sgpr_spill_count: 0
    .symbol:         _ZN7rocprim17ROCPRIM_400000_NS6detail17trampoline_kernelINS0_13select_configILj256ELj13ELNS0_17block_load_methodE3ELS4_3ELS4_3ELNS0_20block_scan_algorithmE0ELj4294967295EEENS1_25partition_config_selectorILNS1_17partition_subalgoE4EjNS0_10empty_typeEbEEZZNS1_14partition_implILS8_4ELb0ES6_15HIP_vector_typeIjLj2EENS0_17counting_iteratorIjlEEPS9_SG_NS0_5tupleIJPjSI_NS0_16reverse_iteratorISI_EEEEENSH_IJSG_SG_SG_EEES9_SI_JZNS1_25segmented_radix_sort_implINS0_14default_configELb1EPK12hip_bfloat16PSP_PKlPlN2at6native12_GLOBAL__N_18offset_tEEE10hipError_tPvRmT1_PNSt15iterator_traitsIS13_E10value_typeET2_T3_PNS14_IS19_E10value_typeET4_jRbjT5_S1F_jjP12ihipStream_tbEUljE_ZNSN_ISO_Lb1ESR_SS_SU_SV_SZ_EES10_S11_S12_S13_S17_S18_S19_S1C_S1D_jS1E_jS1F_S1F_jjS1H_bEUljE0_EEES10_S11_S12_S19_S1D_S1F_T6_T7_T9_mT8_S1H_bDpT10_ENKUlT_T0_E_clISt17integral_constantIbLb1EES1V_EEDaS1Q_S1R_EUlS1Q_E_NS1_11comp_targetILNS1_3genE4ELNS1_11target_archE910ELNS1_3gpuE8ELNS1_3repE0EEENS1_30default_config_static_selectorELNS0_4arch9wavefront6targetE1EEEvS13_.kd
    .uniform_work_group_size: 1
    .uses_dynamic_stack: false
    .vgpr_count:     107
    .vgpr_spill_count: 0
    .wavefront_size: 64
  - .agpr_count:     0
    .args:
      - .offset:         0
        .size:           184
        .value_kind:     by_value
    .group_segment_fixed_size: 0
    .kernarg_segment_align: 8
    .kernarg_segment_size: 184
    .language:       OpenCL C
    .language_version:
      - 2
      - 0
    .max_flat_workgroup_size: 256
    .name:           _ZN7rocprim17ROCPRIM_400000_NS6detail17trampoline_kernelINS0_13select_configILj256ELj13ELNS0_17block_load_methodE3ELS4_3ELS4_3ELNS0_20block_scan_algorithmE0ELj4294967295EEENS1_25partition_config_selectorILNS1_17partition_subalgoE4EjNS0_10empty_typeEbEEZZNS1_14partition_implILS8_4ELb0ES6_15HIP_vector_typeIjLj2EENS0_17counting_iteratorIjlEEPS9_SG_NS0_5tupleIJPjSI_NS0_16reverse_iteratorISI_EEEEENSH_IJSG_SG_SG_EEES9_SI_JZNS1_25segmented_radix_sort_implINS0_14default_configELb1EPK12hip_bfloat16PSP_PKlPlN2at6native12_GLOBAL__N_18offset_tEEE10hipError_tPvRmT1_PNSt15iterator_traitsIS13_E10value_typeET2_T3_PNS14_IS19_E10value_typeET4_jRbjT5_S1F_jjP12ihipStream_tbEUljE_ZNSN_ISO_Lb1ESR_SS_SU_SV_SZ_EES10_S11_S12_S13_S17_S18_S19_S1C_S1D_jS1E_jS1F_S1F_jjS1H_bEUljE0_EEES10_S11_S12_S19_S1D_S1F_T6_T7_T9_mT8_S1H_bDpT10_ENKUlT_T0_E_clISt17integral_constantIbLb1EES1V_EEDaS1Q_S1R_EUlS1Q_E_NS1_11comp_targetILNS1_3genE3ELNS1_11target_archE908ELNS1_3gpuE7ELNS1_3repE0EEENS1_30default_config_static_selectorELNS0_4arch9wavefront6targetE1EEEvS13_
    .private_segment_fixed_size: 0
    .sgpr_count:     4
    .sgpr_spill_count: 0
    .symbol:         _ZN7rocprim17ROCPRIM_400000_NS6detail17trampoline_kernelINS0_13select_configILj256ELj13ELNS0_17block_load_methodE3ELS4_3ELS4_3ELNS0_20block_scan_algorithmE0ELj4294967295EEENS1_25partition_config_selectorILNS1_17partition_subalgoE4EjNS0_10empty_typeEbEEZZNS1_14partition_implILS8_4ELb0ES6_15HIP_vector_typeIjLj2EENS0_17counting_iteratorIjlEEPS9_SG_NS0_5tupleIJPjSI_NS0_16reverse_iteratorISI_EEEEENSH_IJSG_SG_SG_EEES9_SI_JZNS1_25segmented_radix_sort_implINS0_14default_configELb1EPK12hip_bfloat16PSP_PKlPlN2at6native12_GLOBAL__N_18offset_tEEE10hipError_tPvRmT1_PNSt15iterator_traitsIS13_E10value_typeET2_T3_PNS14_IS19_E10value_typeET4_jRbjT5_S1F_jjP12ihipStream_tbEUljE_ZNSN_ISO_Lb1ESR_SS_SU_SV_SZ_EES10_S11_S12_S13_S17_S18_S19_S1C_S1D_jS1E_jS1F_S1F_jjS1H_bEUljE0_EEES10_S11_S12_S19_S1D_S1F_T6_T7_T9_mT8_S1H_bDpT10_ENKUlT_T0_E_clISt17integral_constantIbLb1EES1V_EEDaS1Q_S1R_EUlS1Q_E_NS1_11comp_targetILNS1_3genE3ELNS1_11target_archE908ELNS1_3gpuE7ELNS1_3repE0EEENS1_30default_config_static_selectorELNS0_4arch9wavefront6targetE1EEEvS13_.kd
    .uniform_work_group_size: 1
    .uses_dynamic_stack: false
    .vgpr_count:     0
    .vgpr_spill_count: 0
    .wavefront_size: 64
  - .agpr_count:     0
    .args:
      - .offset:         0
        .size:           184
        .value_kind:     by_value
    .group_segment_fixed_size: 0
    .kernarg_segment_align: 8
    .kernarg_segment_size: 184
    .language:       OpenCL C
    .language_version:
      - 2
      - 0
    .max_flat_workgroup_size: 256
    .name:           _ZN7rocprim17ROCPRIM_400000_NS6detail17trampoline_kernelINS0_13select_configILj256ELj13ELNS0_17block_load_methodE3ELS4_3ELS4_3ELNS0_20block_scan_algorithmE0ELj4294967295EEENS1_25partition_config_selectorILNS1_17partition_subalgoE4EjNS0_10empty_typeEbEEZZNS1_14partition_implILS8_4ELb0ES6_15HIP_vector_typeIjLj2EENS0_17counting_iteratorIjlEEPS9_SG_NS0_5tupleIJPjSI_NS0_16reverse_iteratorISI_EEEEENSH_IJSG_SG_SG_EEES9_SI_JZNS1_25segmented_radix_sort_implINS0_14default_configELb1EPK12hip_bfloat16PSP_PKlPlN2at6native12_GLOBAL__N_18offset_tEEE10hipError_tPvRmT1_PNSt15iterator_traitsIS13_E10value_typeET2_T3_PNS14_IS19_E10value_typeET4_jRbjT5_S1F_jjP12ihipStream_tbEUljE_ZNSN_ISO_Lb1ESR_SS_SU_SV_SZ_EES10_S11_S12_S13_S17_S18_S19_S1C_S1D_jS1E_jS1F_S1F_jjS1H_bEUljE0_EEES10_S11_S12_S19_S1D_S1F_T6_T7_T9_mT8_S1H_bDpT10_ENKUlT_T0_E_clISt17integral_constantIbLb1EES1V_EEDaS1Q_S1R_EUlS1Q_E_NS1_11comp_targetILNS1_3genE2ELNS1_11target_archE906ELNS1_3gpuE6ELNS1_3repE0EEENS1_30default_config_static_selectorELNS0_4arch9wavefront6targetE1EEEvS13_
    .private_segment_fixed_size: 0
    .sgpr_count:     4
    .sgpr_spill_count: 0
    .symbol:         _ZN7rocprim17ROCPRIM_400000_NS6detail17trampoline_kernelINS0_13select_configILj256ELj13ELNS0_17block_load_methodE3ELS4_3ELS4_3ELNS0_20block_scan_algorithmE0ELj4294967295EEENS1_25partition_config_selectorILNS1_17partition_subalgoE4EjNS0_10empty_typeEbEEZZNS1_14partition_implILS8_4ELb0ES6_15HIP_vector_typeIjLj2EENS0_17counting_iteratorIjlEEPS9_SG_NS0_5tupleIJPjSI_NS0_16reverse_iteratorISI_EEEEENSH_IJSG_SG_SG_EEES9_SI_JZNS1_25segmented_radix_sort_implINS0_14default_configELb1EPK12hip_bfloat16PSP_PKlPlN2at6native12_GLOBAL__N_18offset_tEEE10hipError_tPvRmT1_PNSt15iterator_traitsIS13_E10value_typeET2_T3_PNS14_IS19_E10value_typeET4_jRbjT5_S1F_jjP12ihipStream_tbEUljE_ZNSN_ISO_Lb1ESR_SS_SU_SV_SZ_EES10_S11_S12_S13_S17_S18_S19_S1C_S1D_jS1E_jS1F_S1F_jjS1H_bEUljE0_EEES10_S11_S12_S19_S1D_S1F_T6_T7_T9_mT8_S1H_bDpT10_ENKUlT_T0_E_clISt17integral_constantIbLb1EES1V_EEDaS1Q_S1R_EUlS1Q_E_NS1_11comp_targetILNS1_3genE2ELNS1_11target_archE906ELNS1_3gpuE6ELNS1_3repE0EEENS1_30default_config_static_selectorELNS0_4arch9wavefront6targetE1EEEvS13_.kd
    .uniform_work_group_size: 1
    .uses_dynamic_stack: false
    .vgpr_count:     0
    .vgpr_spill_count: 0
    .wavefront_size: 64
  - .agpr_count:     0
    .args:
      - .offset:         0
        .size:           184
        .value_kind:     by_value
    .group_segment_fixed_size: 0
    .kernarg_segment_align: 8
    .kernarg_segment_size: 184
    .language:       OpenCL C
    .language_version:
      - 2
      - 0
    .max_flat_workgroup_size: 256
    .name:           _ZN7rocprim17ROCPRIM_400000_NS6detail17trampoline_kernelINS0_13select_configILj256ELj13ELNS0_17block_load_methodE3ELS4_3ELS4_3ELNS0_20block_scan_algorithmE0ELj4294967295EEENS1_25partition_config_selectorILNS1_17partition_subalgoE4EjNS0_10empty_typeEbEEZZNS1_14partition_implILS8_4ELb0ES6_15HIP_vector_typeIjLj2EENS0_17counting_iteratorIjlEEPS9_SG_NS0_5tupleIJPjSI_NS0_16reverse_iteratorISI_EEEEENSH_IJSG_SG_SG_EEES9_SI_JZNS1_25segmented_radix_sort_implINS0_14default_configELb1EPK12hip_bfloat16PSP_PKlPlN2at6native12_GLOBAL__N_18offset_tEEE10hipError_tPvRmT1_PNSt15iterator_traitsIS13_E10value_typeET2_T3_PNS14_IS19_E10value_typeET4_jRbjT5_S1F_jjP12ihipStream_tbEUljE_ZNSN_ISO_Lb1ESR_SS_SU_SV_SZ_EES10_S11_S12_S13_S17_S18_S19_S1C_S1D_jS1E_jS1F_S1F_jjS1H_bEUljE0_EEES10_S11_S12_S19_S1D_S1F_T6_T7_T9_mT8_S1H_bDpT10_ENKUlT_T0_E_clISt17integral_constantIbLb1EES1V_EEDaS1Q_S1R_EUlS1Q_E_NS1_11comp_targetILNS1_3genE10ELNS1_11target_archE1200ELNS1_3gpuE4ELNS1_3repE0EEENS1_30default_config_static_selectorELNS0_4arch9wavefront6targetE1EEEvS13_
    .private_segment_fixed_size: 0
    .sgpr_count:     4
    .sgpr_spill_count: 0
    .symbol:         _ZN7rocprim17ROCPRIM_400000_NS6detail17trampoline_kernelINS0_13select_configILj256ELj13ELNS0_17block_load_methodE3ELS4_3ELS4_3ELNS0_20block_scan_algorithmE0ELj4294967295EEENS1_25partition_config_selectorILNS1_17partition_subalgoE4EjNS0_10empty_typeEbEEZZNS1_14partition_implILS8_4ELb0ES6_15HIP_vector_typeIjLj2EENS0_17counting_iteratorIjlEEPS9_SG_NS0_5tupleIJPjSI_NS0_16reverse_iteratorISI_EEEEENSH_IJSG_SG_SG_EEES9_SI_JZNS1_25segmented_radix_sort_implINS0_14default_configELb1EPK12hip_bfloat16PSP_PKlPlN2at6native12_GLOBAL__N_18offset_tEEE10hipError_tPvRmT1_PNSt15iterator_traitsIS13_E10value_typeET2_T3_PNS14_IS19_E10value_typeET4_jRbjT5_S1F_jjP12ihipStream_tbEUljE_ZNSN_ISO_Lb1ESR_SS_SU_SV_SZ_EES10_S11_S12_S13_S17_S18_S19_S1C_S1D_jS1E_jS1F_S1F_jjS1H_bEUljE0_EEES10_S11_S12_S19_S1D_S1F_T6_T7_T9_mT8_S1H_bDpT10_ENKUlT_T0_E_clISt17integral_constantIbLb1EES1V_EEDaS1Q_S1R_EUlS1Q_E_NS1_11comp_targetILNS1_3genE10ELNS1_11target_archE1200ELNS1_3gpuE4ELNS1_3repE0EEENS1_30default_config_static_selectorELNS0_4arch9wavefront6targetE1EEEvS13_.kd
    .uniform_work_group_size: 1
    .uses_dynamic_stack: false
    .vgpr_count:     0
    .vgpr_spill_count: 0
    .wavefront_size: 64
  - .agpr_count:     0
    .args:
      - .offset:         0
        .size:           184
        .value_kind:     by_value
    .group_segment_fixed_size: 0
    .kernarg_segment_align: 8
    .kernarg_segment_size: 184
    .language:       OpenCL C
    .language_version:
      - 2
      - 0
    .max_flat_workgroup_size: 256
    .name:           _ZN7rocprim17ROCPRIM_400000_NS6detail17trampoline_kernelINS0_13select_configILj256ELj13ELNS0_17block_load_methodE3ELS4_3ELS4_3ELNS0_20block_scan_algorithmE0ELj4294967295EEENS1_25partition_config_selectorILNS1_17partition_subalgoE4EjNS0_10empty_typeEbEEZZNS1_14partition_implILS8_4ELb0ES6_15HIP_vector_typeIjLj2EENS0_17counting_iteratorIjlEEPS9_SG_NS0_5tupleIJPjSI_NS0_16reverse_iteratorISI_EEEEENSH_IJSG_SG_SG_EEES9_SI_JZNS1_25segmented_radix_sort_implINS0_14default_configELb1EPK12hip_bfloat16PSP_PKlPlN2at6native12_GLOBAL__N_18offset_tEEE10hipError_tPvRmT1_PNSt15iterator_traitsIS13_E10value_typeET2_T3_PNS14_IS19_E10value_typeET4_jRbjT5_S1F_jjP12ihipStream_tbEUljE_ZNSN_ISO_Lb1ESR_SS_SU_SV_SZ_EES10_S11_S12_S13_S17_S18_S19_S1C_S1D_jS1E_jS1F_S1F_jjS1H_bEUljE0_EEES10_S11_S12_S19_S1D_S1F_T6_T7_T9_mT8_S1H_bDpT10_ENKUlT_T0_E_clISt17integral_constantIbLb1EES1V_EEDaS1Q_S1R_EUlS1Q_E_NS1_11comp_targetILNS1_3genE9ELNS1_11target_archE1100ELNS1_3gpuE3ELNS1_3repE0EEENS1_30default_config_static_selectorELNS0_4arch9wavefront6targetE1EEEvS13_
    .private_segment_fixed_size: 0
    .sgpr_count:     4
    .sgpr_spill_count: 0
    .symbol:         _ZN7rocprim17ROCPRIM_400000_NS6detail17trampoline_kernelINS0_13select_configILj256ELj13ELNS0_17block_load_methodE3ELS4_3ELS4_3ELNS0_20block_scan_algorithmE0ELj4294967295EEENS1_25partition_config_selectorILNS1_17partition_subalgoE4EjNS0_10empty_typeEbEEZZNS1_14partition_implILS8_4ELb0ES6_15HIP_vector_typeIjLj2EENS0_17counting_iteratorIjlEEPS9_SG_NS0_5tupleIJPjSI_NS0_16reverse_iteratorISI_EEEEENSH_IJSG_SG_SG_EEES9_SI_JZNS1_25segmented_radix_sort_implINS0_14default_configELb1EPK12hip_bfloat16PSP_PKlPlN2at6native12_GLOBAL__N_18offset_tEEE10hipError_tPvRmT1_PNSt15iterator_traitsIS13_E10value_typeET2_T3_PNS14_IS19_E10value_typeET4_jRbjT5_S1F_jjP12ihipStream_tbEUljE_ZNSN_ISO_Lb1ESR_SS_SU_SV_SZ_EES10_S11_S12_S13_S17_S18_S19_S1C_S1D_jS1E_jS1F_S1F_jjS1H_bEUljE0_EEES10_S11_S12_S19_S1D_S1F_T6_T7_T9_mT8_S1H_bDpT10_ENKUlT_T0_E_clISt17integral_constantIbLb1EES1V_EEDaS1Q_S1R_EUlS1Q_E_NS1_11comp_targetILNS1_3genE9ELNS1_11target_archE1100ELNS1_3gpuE3ELNS1_3repE0EEENS1_30default_config_static_selectorELNS0_4arch9wavefront6targetE1EEEvS13_.kd
    .uniform_work_group_size: 1
    .uses_dynamic_stack: false
    .vgpr_count:     0
    .vgpr_spill_count: 0
    .wavefront_size: 64
  - .agpr_count:     0
    .args:
      - .offset:         0
        .size:           184
        .value_kind:     by_value
    .group_segment_fixed_size: 0
    .kernarg_segment_align: 8
    .kernarg_segment_size: 184
    .language:       OpenCL C
    .language_version:
      - 2
      - 0
    .max_flat_workgroup_size: 256
    .name:           _ZN7rocprim17ROCPRIM_400000_NS6detail17trampoline_kernelINS0_13select_configILj256ELj13ELNS0_17block_load_methodE3ELS4_3ELS4_3ELNS0_20block_scan_algorithmE0ELj4294967295EEENS1_25partition_config_selectorILNS1_17partition_subalgoE4EjNS0_10empty_typeEbEEZZNS1_14partition_implILS8_4ELb0ES6_15HIP_vector_typeIjLj2EENS0_17counting_iteratorIjlEEPS9_SG_NS0_5tupleIJPjSI_NS0_16reverse_iteratorISI_EEEEENSH_IJSG_SG_SG_EEES9_SI_JZNS1_25segmented_radix_sort_implINS0_14default_configELb1EPK12hip_bfloat16PSP_PKlPlN2at6native12_GLOBAL__N_18offset_tEEE10hipError_tPvRmT1_PNSt15iterator_traitsIS13_E10value_typeET2_T3_PNS14_IS19_E10value_typeET4_jRbjT5_S1F_jjP12ihipStream_tbEUljE_ZNSN_ISO_Lb1ESR_SS_SU_SV_SZ_EES10_S11_S12_S13_S17_S18_S19_S1C_S1D_jS1E_jS1F_S1F_jjS1H_bEUljE0_EEES10_S11_S12_S19_S1D_S1F_T6_T7_T9_mT8_S1H_bDpT10_ENKUlT_T0_E_clISt17integral_constantIbLb1EES1V_EEDaS1Q_S1R_EUlS1Q_E_NS1_11comp_targetILNS1_3genE8ELNS1_11target_archE1030ELNS1_3gpuE2ELNS1_3repE0EEENS1_30default_config_static_selectorELNS0_4arch9wavefront6targetE1EEEvS13_
    .private_segment_fixed_size: 0
    .sgpr_count:     4
    .sgpr_spill_count: 0
    .symbol:         _ZN7rocprim17ROCPRIM_400000_NS6detail17trampoline_kernelINS0_13select_configILj256ELj13ELNS0_17block_load_methodE3ELS4_3ELS4_3ELNS0_20block_scan_algorithmE0ELj4294967295EEENS1_25partition_config_selectorILNS1_17partition_subalgoE4EjNS0_10empty_typeEbEEZZNS1_14partition_implILS8_4ELb0ES6_15HIP_vector_typeIjLj2EENS0_17counting_iteratorIjlEEPS9_SG_NS0_5tupleIJPjSI_NS0_16reverse_iteratorISI_EEEEENSH_IJSG_SG_SG_EEES9_SI_JZNS1_25segmented_radix_sort_implINS0_14default_configELb1EPK12hip_bfloat16PSP_PKlPlN2at6native12_GLOBAL__N_18offset_tEEE10hipError_tPvRmT1_PNSt15iterator_traitsIS13_E10value_typeET2_T3_PNS14_IS19_E10value_typeET4_jRbjT5_S1F_jjP12ihipStream_tbEUljE_ZNSN_ISO_Lb1ESR_SS_SU_SV_SZ_EES10_S11_S12_S13_S17_S18_S19_S1C_S1D_jS1E_jS1F_S1F_jjS1H_bEUljE0_EEES10_S11_S12_S19_S1D_S1F_T6_T7_T9_mT8_S1H_bDpT10_ENKUlT_T0_E_clISt17integral_constantIbLb1EES1V_EEDaS1Q_S1R_EUlS1Q_E_NS1_11comp_targetILNS1_3genE8ELNS1_11target_archE1030ELNS1_3gpuE2ELNS1_3repE0EEENS1_30default_config_static_selectorELNS0_4arch9wavefront6targetE1EEEvS13_.kd
    .uniform_work_group_size: 1
    .uses_dynamic_stack: false
    .vgpr_count:     0
    .vgpr_spill_count: 0
    .wavefront_size: 64
  - .agpr_count:     0
    .args:
      - .offset:         0
        .size:           176
        .value_kind:     by_value
    .group_segment_fixed_size: 0
    .kernarg_segment_align: 8
    .kernarg_segment_size: 176
    .language:       OpenCL C
    .language_version:
      - 2
      - 0
    .max_flat_workgroup_size: 256
    .name:           _ZN7rocprim17ROCPRIM_400000_NS6detail17trampoline_kernelINS0_13select_configILj256ELj13ELNS0_17block_load_methodE3ELS4_3ELS4_3ELNS0_20block_scan_algorithmE0ELj4294967295EEENS1_25partition_config_selectorILNS1_17partition_subalgoE4EjNS0_10empty_typeEbEEZZNS1_14partition_implILS8_4ELb0ES6_15HIP_vector_typeIjLj2EENS0_17counting_iteratorIjlEEPS9_SG_NS0_5tupleIJPjSI_NS0_16reverse_iteratorISI_EEEEENSH_IJSG_SG_SG_EEES9_SI_JZNS1_25segmented_radix_sort_implINS0_14default_configELb1EPK12hip_bfloat16PSP_PKlPlN2at6native12_GLOBAL__N_18offset_tEEE10hipError_tPvRmT1_PNSt15iterator_traitsIS13_E10value_typeET2_T3_PNS14_IS19_E10value_typeET4_jRbjT5_S1F_jjP12ihipStream_tbEUljE_ZNSN_ISO_Lb1ESR_SS_SU_SV_SZ_EES10_S11_S12_S13_S17_S18_S19_S1C_S1D_jS1E_jS1F_S1F_jjS1H_bEUljE0_EEES10_S11_S12_S19_S1D_S1F_T6_T7_T9_mT8_S1H_bDpT10_ENKUlT_T0_E_clISt17integral_constantIbLb1EES1U_IbLb0EEEEDaS1Q_S1R_EUlS1Q_E_NS1_11comp_targetILNS1_3genE0ELNS1_11target_archE4294967295ELNS1_3gpuE0ELNS1_3repE0EEENS1_30default_config_static_selectorELNS0_4arch9wavefront6targetE1EEEvS13_
    .private_segment_fixed_size: 0
    .sgpr_count:     4
    .sgpr_spill_count: 0
    .symbol:         _ZN7rocprim17ROCPRIM_400000_NS6detail17trampoline_kernelINS0_13select_configILj256ELj13ELNS0_17block_load_methodE3ELS4_3ELS4_3ELNS0_20block_scan_algorithmE0ELj4294967295EEENS1_25partition_config_selectorILNS1_17partition_subalgoE4EjNS0_10empty_typeEbEEZZNS1_14partition_implILS8_4ELb0ES6_15HIP_vector_typeIjLj2EENS0_17counting_iteratorIjlEEPS9_SG_NS0_5tupleIJPjSI_NS0_16reverse_iteratorISI_EEEEENSH_IJSG_SG_SG_EEES9_SI_JZNS1_25segmented_radix_sort_implINS0_14default_configELb1EPK12hip_bfloat16PSP_PKlPlN2at6native12_GLOBAL__N_18offset_tEEE10hipError_tPvRmT1_PNSt15iterator_traitsIS13_E10value_typeET2_T3_PNS14_IS19_E10value_typeET4_jRbjT5_S1F_jjP12ihipStream_tbEUljE_ZNSN_ISO_Lb1ESR_SS_SU_SV_SZ_EES10_S11_S12_S13_S17_S18_S19_S1C_S1D_jS1E_jS1F_S1F_jjS1H_bEUljE0_EEES10_S11_S12_S19_S1D_S1F_T6_T7_T9_mT8_S1H_bDpT10_ENKUlT_T0_E_clISt17integral_constantIbLb1EES1U_IbLb0EEEEDaS1Q_S1R_EUlS1Q_E_NS1_11comp_targetILNS1_3genE0ELNS1_11target_archE4294967295ELNS1_3gpuE0ELNS1_3repE0EEENS1_30default_config_static_selectorELNS0_4arch9wavefront6targetE1EEEvS13_.kd
    .uniform_work_group_size: 1
    .uses_dynamic_stack: false
    .vgpr_count:     0
    .vgpr_spill_count: 0
    .wavefront_size: 64
  - .agpr_count:     0
    .args:
      - .offset:         0
        .size:           176
        .value_kind:     by_value
    .group_segment_fixed_size: 0
    .kernarg_segment_align: 8
    .kernarg_segment_size: 176
    .language:       OpenCL C
    .language_version:
      - 2
      - 0
    .max_flat_workgroup_size: 256
    .name:           _ZN7rocprim17ROCPRIM_400000_NS6detail17trampoline_kernelINS0_13select_configILj256ELj13ELNS0_17block_load_methodE3ELS4_3ELS4_3ELNS0_20block_scan_algorithmE0ELj4294967295EEENS1_25partition_config_selectorILNS1_17partition_subalgoE4EjNS0_10empty_typeEbEEZZNS1_14partition_implILS8_4ELb0ES6_15HIP_vector_typeIjLj2EENS0_17counting_iteratorIjlEEPS9_SG_NS0_5tupleIJPjSI_NS0_16reverse_iteratorISI_EEEEENSH_IJSG_SG_SG_EEES9_SI_JZNS1_25segmented_radix_sort_implINS0_14default_configELb1EPK12hip_bfloat16PSP_PKlPlN2at6native12_GLOBAL__N_18offset_tEEE10hipError_tPvRmT1_PNSt15iterator_traitsIS13_E10value_typeET2_T3_PNS14_IS19_E10value_typeET4_jRbjT5_S1F_jjP12ihipStream_tbEUljE_ZNSN_ISO_Lb1ESR_SS_SU_SV_SZ_EES10_S11_S12_S13_S17_S18_S19_S1C_S1D_jS1E_jS1F_S1F_jjS1H_bEUljE0_EEES10_S11_S12_S19_S1D_S1F_T6_T7_T9_mT8_S1H_bDpT10_ENKUlT_T0_E_clISt17integral_constantIbLb1EES1U_IbLb0EEEEDaS1Q_S1R_EUlS1Q_E_NS1_11comp_targetILNS1_3genE5ELNS1_11target_archE942ELNS1_3gpuE9ELNS1_3repE0EEENS1_30default_config_static_selectorELNS0_4arch9wavefront6targetE1EEEvS13_
    .private_segment_fixed_size: 0
    .sgpr_count:     4
    .sgpr_spill_count: 0
    .symbol:         _ZN7rocprim17ROCPRIM_400000_NS6detail17trampoline_kernelINS0_13select_configILj256ELj13ELNS0_17block_load_methodE3ELS4_3ELS4_3ELNS0_20block_scan_algorithmE0ELj4294967295EEENS1_25partition_config_selectorILNS1_17partition_subalgoE4EjNS0_10empty_typeEbEEZZNS1_14partition_implILS8_4ELb0ES6_15HIP_vector_typeIjLj2EENS0_17counting_iteratorIjlEEPS9_SG_NS0_5tupleIJPjSI_NS0_16reverse_iteratorISI_EEEEENSH_IJSG_SG_SG_EEES9_SI_JZNS1_25segmented_radix_sort_implINS0_14default_configELb1EPK12hip_bfloat16PSP_PKlPlN2at6native12_GLOBAL__N_18offset_tEEE10hipError_tPvRmT1_PNSt15iterator_traitsIS13_E10value_typeET2_T3_PNS14_IS19_E10value_typeET4_jRbjT5_S1F_jjP12ihipStream_tbEUljE_ZNSN_ISO_Lb1ESR_SS_SU_SV_SZ_EES10_S11_S12_S13_S17_S18_S19_S1C_S1D_jS1E_jS1F_S1F_jjS1H_bEUljE0_EEES10_S11_S12_S19_S1D_S1F_T6_T7_T9_mT8_S1H_bDpT10_ENKUlT_T0_E_clISt17integral_constantIbLb1EES1U_IbLb0EEEEDaS1Q_S1R_EUlS1Q_E_NS1_11comp_targetILNS1_3genE5ELNS1_11target_archE942ELNS1_3gpuE9ELNS1_3repE0EEENS1_30default_config_static_selectorELNS0_4arch9wavefront6targetE1EEEvS13_.kd
    .uniform_work_group_size: 1
    .uses_dynamic_stack: false
    .vgpr_count:     0
    .vgpr_spill_count: 0
    .wavefront_size: 64
  - .agpr_count:     0
    .args:
      - .offset:         0
        .size:           176
        .value_kind:     by_value
    .group_segment_fixed_size: 13340
    .kernarg_segment_align: 8
    .kernarg_segment_size: 176
    .language:       OpenCL C
    .language_version:
      - 2
      - 0
    .max_flat_workgroup_size: 256
    .name:           _ZN7rocprim17ROCPRIM_400000_NS6detail17trampoline_kernelINS0_13select_configILj256ELj13ELNS0_17block_load_methodE3ELS4_3ELS4_3ELNS0_20block_scan_algorithmE0ELj4294967295EEENS1_25partition_config_selectorILNS1_17partition_subalgoE4EjNS0_10empty_typeEbEEZZNS1_14partition_implILS8_4ELb0ES6_15HIP_vector_typeIjLj2EENS0_17counting_iteratorIjlEEPS9_SG_NS0_5tupleIJPjSI_NS0_16reverse_iteratorISI_EEEEENSH_IJSG_SG_SG_EEES9_SI_JZNS1_25segmented_radix_sort_implINS0_14default_configELb1EPK12hip_bfloat16PSP_PKlPlN2at6native12_GLOBAL__N_18offset_tEEE10hipError_tPvRmT1_PNSt15iterator_traitsIS13_E10value_typeET2_T3_PNS14_IS19_E10value_typeET4_jRbjT5_S1F_jjP12ihipStream_tbEUljE_ZNSN_ISO_Lb1ESR_SS_SU_SV_SZ_EES10_S11_S12_S13_S17_S18_S19_S1C_S1D_jS1E_jS1F_S1F_jjS1H_bEUljE0_EEES10_S11_S12_S19_S1D_S1F_T6_T7_T9_mT8_S1H_bDpT10_ENKUlT_T0_E_clISt17integral_constantIbLb1EES1U_IbLb0EEEEDaS1Q_S1R_EUlS1Q_E_NS1_11comp_targetILNS1_3genE4ELNS1_11target_archE910ELNS1_3gpuE8ELNS1_3repE0EEENS1_30default_config_static_selectorELNS0_4arch9wavefront6targetE1EEEvS13_
    .private_segment_fixed_size: 0
    .sgpr_count:     94
    .sgpr_spill_count: 0
    .symbol:         _ZN7rocprim17ROCPRIM_400000_NS6detail17trampoline_kernelINS0_13select_configILj256ELj13ELNS0_17block_load_methodE3ELS4_3ELS4_3ELNS0_20block_scan_algorithmE0ELj4294967295EEENS1_25partition_config_selectorILNS1_17partition_subalgoE4EjNS0_10empty_typeEbEEZZNS1_14partition_implILS8_4ELb0ES6_15HIP_vector_typeIjLj2EENS0_17counting_iteratorIjlEEPS9_SG_NS0_5tupleIJPjSI_NS0_16reverse_iteratorISI_EEEEENSH_IJSG_SG_SG_EEES9_SI_JZNS1_25segmented_radix_sort_implINS0_14default_configELb1EPK12hip_bfloat16PSP_PKlPlN2at6native12_GLOBAL__N_18offset_tEEE10hipError_tPvRmT1_PNSt15iterator_traitsIS13_E10value_typeET2_T3_PNS14_IS19_E10value_typeET4_jRbjT5_S1F_jjP12ihipStream_tbEUljE_ZNSN_ISO_Lb1ESR_SS_SU_SV_SZ_EES10_S11_S12_S13_S17_S18_S19_S1C_S1D_jS1E_jS1F_S1F_jjS1H_bEUljE0_EEES10_S11_S12_S19_S1D_S1F_T6_T7_T9_mT8_S1H_bDpT10_ENKUlT_T0_E_clISt17integral_constantIbLb1EES1U_IbLb0EEEEDaS1Q_S1R_EUlS1Q_E_NS1_11comp_targetILNS1_3genE4ELNS1_11target_archE910ELNS1_3gpuE8ELNS1_3repE0EEENS1_30default_config_static_selectorELNS0_4arch9wavefront6targetE1EEEvS13_.kd
    .uniform_work_group_size: 1
    .uses_dynamic_stack: false
    .vgpr_count:     102
    .vgpr_spill_count: 0
    .wavefront_size: 64
  - .agpr_count:     0
    .args:
      - .offset:         0
        .size:           176
        .value_kind:     by_value
    .group_segment_fixed_size: 0
    .kernarg_segment_align: 8
    .kernarg_segment_size: 176
    .language:       OpenCL C
    .language_version:
      - 2
      - 0
    .max_flat_workgroup_size: 256
    .name:           _ZN7rocprim17ROCPRIM_400000_NS6detail17trampoline_kernelINS0_13select_configILj256ELj13ELNS0_17block_load_methodE3ELS4_3ELS4_3ELNS0_20block_scan_algorithmE0ELj4294967295EEENS1_25partition_config_selectorILNS1_17partition_subalgoE4EjNS0_10empty_typeEbEEZZNS1_14partition_implILS8_4ELb0ES6_15HIP_vector_typeIjLj2EENS0_17counting_iteratorIjlEEPS9_SG_NS0_5tupleIJPjSI_NS0_16reverse_iteratorISI_EEEEENSH_IJSG_SG_SG_EEES9_SI_JZNS1_25segmented_radix_sort_implINS0_14default_configELb1EPK12hip_bfloat16PSP_PKlPlN2at6native12_GLOBAL__N_18offset_tEEE10hipError_tPvRmT1_PNSt15iterator_traitsIS13_E10value_typeET2_T3_PNS14_IS19_E10value_typeET4_jRbjT5_S1F_jjP12ihipStream_tbEUljE_ZNSN_ISO_Lb1ESR_SS_SU_SV_SZ_EES10_S11_S12_S13_S17_S18_S19_S1C_S1D_jS1E_jS1F_S1F_jjS1H_bEUljE0_EEES10_S11_S12_S19_S1D_S1F_T6_T7_T9_mT8_S1H_bDpT10_ENKUlT_T0_E_clISt17integral_constantIbLb1EES1U_IbLb0EEEEDaS1Q_S1R_EUlS1Q_E_NS1_11comp_targetILNS1_3genE3ELNS1_11target_archE908ELNS1_3gpuE7ELNS1_3repE0EEENS1_30default_config_static_selectorELNS0_4arch9wavefront6targetE1EEEvS13_
    .private_segment_fixed_size: 0
    .sgpr_count:     4
    .sgpr_spill_count: 0
    .symbol:         _ZN7rocprim17ROCPRIM_400000_NS6detail17trampoline_kernelINS0_13select_configILj256ELj13ELNS0_17block_load_methodE3ELS4_3ELS4_3ELNS0_20block_scan_algorithmE0ELj4294967295EEENS1_25partition_config_selectorILNS1_17partition_subalgoE4EjNS0_10empty_typeEbEEZZNS1_14partition_implILS8_4ELb0ES6_15HIP_vector_typeIjLj2EENS0_17counting_iteratorIjlEEPS9_SG_NS0_5tupleIJPjSI_NS0_16reverse_iteratorISI_EEEEENSH_IJSG_SG_SG_EEES9_SI_JZNS1_25segmented_radix_sort_implINS0_14default_configELb1EPK12hip_bfloat16PSP_PKlPlN2at6native12_GLOBAL__N_18offset_tEEE10hipError_tPvRmT1_PNSt15iterator_traitsIS13_E10value_typeET2_T3_PNS14_IS19_E10value_typeET4_jRbjT5_S1F_jjP12ihipStream_tbEUljE_ZNSN_ISO_Lb1ESR_SS_SU_SV_SZ_EES10_S11_S12_S13_S17_S18_S19_S1C_S1D_jS1E_jS1F_S1F_jjS1H_bEUljE0_EEES10_S11_S12_S19_S1D_S1F_T6_T7_T9_mT8_S1H_bDpT10_ENKUlT_T0_E_clISt17integral_constantIbLb1EES1U_IbLb0EEEEDaS1Q_S1R_EUlS1Q_E_NS1_11comp_targetILNS1_3genE3ELNS1_11target_archE908ELNS1_3gpuE7ELNS1_3repE0EEENS1_30default_config_static_selectorELNS0_4arch9wavefront6targetE1EEEvS13_.kd
    .uniform_work_group_size: 1
    .uses_dynamic_stack: false
    .vgpr_count:     0
    .vgpr_spill_count: 0
    .wavefront_size: 64
  - .agpr_count:     0
    .args:
      - .offset:         0
        .size:           176
        .value_kind:     by_value
    .group_segment_fixed_size: 0
    .kernarg_segment_align: 8
    .kernarg_segment_size: 176
    .language:       OpenCL C
    .language_version:
      - 2
      - 0
    .max_flat_workgroup_size: 256
    .name:           _ZN7rocprim17ROCPRIM_400000_NS6detail17trampoline_kernelINS0_13select_configILj256ELj13ELNS0_17block_load_methodE3ELS4_3ELS4_3ELNS0_20block_scan_algorithmE0ELj4294967295EEENS1_25partition_config_selectorILNS1_17partition_subalgoE4EjNS0_10empty_typeEbEEZZNS1_14partition_implILS8_4ELb0ES6_15HIP_vector_typeIjLj2EENS0_17counting_iteratorIjlEEPS9_SG_NS0_5tupleIJPjSI_NS0_16reverse_iteratorISI_EEEEENSH_IJSG_SG_SG_EEES9_SI_JZNS1_25segmented_radix_sort_implINS0_14default_configELb1EPK12hip_bfloat16PSP_PKlPlN2at6native12_GLOBAL__N_18offset_tEEE10hipError_tPvRmT1_PNSt15iterator_traitsIS13_E10value_typeET2_T3_PNS14_IS19_E10value_typeET4_jRbjT5_S1F_jjP12ihipStream_tbEUljE_ZNSN_ISO_Lb1ESR_SS_SU_SV_SZ_EES10_S11_S12_S13_S17_S18_S19_S1C_S1D_jS1E_jS1F_S1F_jjS1H_bEUljE0_EEES10_S11_S12_S19_S1D_S1F_T6_T7_T9_mT8_S1H_bDpT10_ENKUlT_T0_E_clISt17integral_constantIbLb1EES1U_IbLb0EEEEDaS1Q_S1R_EUlS1Q_E_NS1_11comp_targetILNS1_3genE2ELNS1_11target_archE906ELNS1_3gpuE6ELNS1_3repE0EEENS1_30default_config_static_selectorELNS0_4arch9wavefront6targetE1EEEvS13_
    .private_segment_fixed_size: 0
    .sgpr_count:     4
    .sgpr_spill_count: 0
    .symbol:         _ZN7rocprim17ROCPRIM_400000_NS6detail17trampoline_kernelINS0_13select_configILj256ELj13ELNS0_17block_load_methodE3ELS4_3ELS4_3ELNS0_20block_scan_algorithmE0ELj4294967295EEENS1_25partition_config_selectorILNS1_17partition_subalgoE4EjNS0_10empty_typeEbEEZZNS1_14partition_implILS8_4ELb0ES6_15HIP_vector_typeIjLj2EENS0_17counting_iteratorIjlEEPS9_SG_NS0_5tupleIJPjSI_NS0_16reverse_iteratorISI_EEEEENSH_IJSG_SG_SG_EEES9_SI_JZNS1_25segmented_radix_sort_implINS0_14default_configELb1EPK12hip_bfloat16PSP_PKlPlN2at6native12_GLOBAL__N_18offset_tEEE10hipError_tPvRmT1_PNSt15iterator_traitsIS13_E10value_typeET2_T3_PNS14_IS19_E10value_typeET4_jRbjT5_S1F_jjP12ihipStream_tbEUljE_ZNSN_ISO_Lb1ESR_SS_SU_SV_SZ_EES10_S11_S12_S13_S17_S18_S19_S1C_S1D_jS1E_jS1F_S1F_jjS1H_bEUljE0_EEES10_S11_S12_S19_S1D_S1F_T6_T7_T9_mT8_S1H_bDpT10_ENKUlT_T0_E_clISt17integral_constantIbLb1EES1U_IbLb0EEEEDaS1Q_S1R_EUlS1Q_E_NS1_11comp_targetILNS1_3genE2ELNS1_11target_archE906ELNS1_3gpuE6ELNS1_3repE0EEENS1_30default_config_static_selectorELNS0_4arch9wavefront6targetE1EEEvS13_.kd
    .uniform_work_group_size: 1
    .uses_dynamic_stack: false
    .vgpr_count:     0
    .vgpr_spill_count: 0
    .wavefront_size: 64
  - .agpr_count:     0
    .args:
      - .offset:         0
        .size:           176
        .value_kind:     by_value
    .group_segment_fixed_size: 0
    .kernarg_segment_align: 8
    .kernarg_segment_size: 176
    .language:       OpenCL C
    .language_version:
      - 2
      - 0
    .max_flat_workgroup_size: 256
    .name:           _ZN7rocprim17ROCPRIM_400000_NS6detail17trampoline_kernelINS0_13select_configILj256ELj13ELNS0_17block_load_methodE3ELS4_3ELS4_3ELNS0_20block_scan_algorithmE0ELj4294967295EEENS1_25partition_config_selectorILNS1_17partition_subalgoE4EjNS0_10empty_typeEbEEZZNS1_14partition_implILS8_4ELb0ES6_15HIP_vector_typeIjLj2EENS0_17counting_iteratorIjlEEPS9_SG_NS0_5tupleIJPjSI_NS0_16reverse_iteratorISI_EEEEENSH_IJSG_SG_SG_EEES9_SI_JZNS1_25segmented_radix_sort_implINS0_14default_configELb1EPK12hip_bfloat16PSP_PKlPlN2at6native12_GLOBAL__N_18offset_tEEE10hipError_tPvRmT1_PNSt15iterator_traitsIS13_E10value_typeET2_T3_PNS14_IS19_E10value_typeET4_jRbjT5_S1F_jjP12ihipStream_tbEUljE_ZNSN_ISO_Lb1ESR_SS_SU_SV_SZ_EES10_S11_S12_S13_S17_S18_S19_S1C_S1D_jS1E_jS1F_S1F_jjS1H_bEUljE0_EEES10_S11_S12_S19_S1D_S1F_T6_T7_T9_mT8_S1H_bDpT10_ENKUlT_T0_E_clISt17integral_constantIbLb1EES1U_IbLb0EEEEDaS1Q_S1R_EUlS1Q_E_NS1_11comp_targetILNS1_3genE10ELNS1_11target_archE1200ELNS1_3gpuE4ELNS1_3repE0EEENS1_30default_config_static_selectorELNS0_4arch9wavefront6targetE1EEEvS13_
    .private_segment_fixed_size: 0
    .sgpr_count:     4
    .sgpr_spill_count: 0
    .symbol:         _ZN7rocprim17ROCPRIM_400000_NS6detail17trampoline_kernelINS0_13select_configILj256ELj13ELNS0_17block_load_methodE3ELS4_3ELS4_3ELNS0_20block_scan_algorithmE0ELj4294967295EEENS1_25partition_config_selectorILNS1_17partition_subalgoE4EjNS0_10empty_typeEbEEZZNS1_14partition_implILS8_4ELb0ES6_15HIP_vector_typeIjLj2EENS0_17counting_iteratorIjlEEPS9_SG_NS0_5tupleIJPjSI_NS0_16reverse_iteratorISI_EEEEENSH_IJSG_SG_SG_EEES9_SI_JZNS1_25segmented_radix_sort_implINS0_14default_configELb1EPK12hip_bfloat16PSP_PKlPlN2at6native12_GLOBAL__N_18offset_tEEE10hipError_tPvRmT1_PNSt15iterator_traitsIS13_E10value_typeET2_T3_PNS14_IS19_E10value_typeET4_jRbjT5_S1F_jjP12ihipStream_tbEUljE_ZNSN_ISO_Lb1ESR_SS_SU_SV_SZ_EES10_S11_S12_S13_S17_S18_S19_S1C_S1D_jS1E_jS1F_S1F_jjS1H_bEUljE0_EEES10_S11_S12_S19_S1D_S1F_T6_T7_T9_mT8_S1H_bDpT10_ENKUlT_T0_E_clISt17integral_constantIbLb1EES1U_IbLb0EEEEDaS1Q_S1R_EUlS1Q_E_NS1_11comp_targetILNS1_3genE10ELNS1_11target_archE1200ELNS1_3gpuE4ELNS1_3repE0EEENS1_30default_config_static_selectorELNS0_4arch9wavefront6targetE1EEEvS13_.kd
    .uniform_work_group_size: 1
    .uses_dynamic_stack: false
    .vgpr_count:     0
    .vgpr_spill_count: 0
    .wavefront_size: 64
  - .agpr_count:     0
    .args:
      - .offset:         0
        .size:           176
        .value_kind:     by_value
    .group_segment_fixed_size: 0
    .kernarg_segment_align: 8
    .kernarg_segment_size: 176
    .language:       OpenCL C
    .language_version:
      - 2
      - 0
    .max_flat_workgroup_size: 256
    .name:           _ZN7rocprim17ROCPRIM_400000_NS6detail17trampoline_kernelINS0_13select_configILj256ELj13ELNS0_17block_load_methodE3ELS4_3ELS4_3ELNS0_20block_scan_algorithmE0ELj4294967295EEENS1_25partition_config_selectorILNS1_17partition_subalgoE4EjNS0_10empty_typeEbEEZZNS1_14partition_implILS8_4ELb0ES6_15HIP_vector_typeIjLj2EENS0_17counting_iteratorIjlEEPS9_SG_NS0_5tupleIJPjSI_NS0_16reverse_iteratorISI_EEEEENSH_IJSG_SG_SG_EEES9_SI_JZNS1_25segmented_radix_sort_implINS0_14default_configELb1EPK12hip_bfloat16PSP_PKlPlN2at6native12_GLOBAL__N_18offset_tEEE10hipError_tPvRmT1_PNSt15iterator_traitsIS13_E10value_typeET2_T3_PNS14_IS19_E10value_typeET4_jRbjT5_S1F_jjP12ihipStream_tbEUljE_ZNSN_ISO_Lb1ESR_SS_SU_SV_SZ_EES10_S11_S12_S13_S17_S18_S19_S1C_S1D_jS1E_jS1F_S1F_jjS1H_bEUljE0_EEES10_S11_S12_S19_S1D_S1F_T6_T7_T9_mT8_S1H_bDpT10_ENKUlT_T0_E_clISt17integral_constantIbLb1EES1U_IbLb0EEEEDaS1Q_S1R_EUlS1Q_E_NS1_11comp_targetILNS1_3genE9ELNS1_11target_archE1100ELNS1_3gpuE3ELNS1_3repE0EEENS1_30default_config_static_selectorELNS0_4arch9wavefront6targetE1EEEvS13_
    .private_segment_fixed_size: 0
    .sgpr_count:     4
    .sgpr_spill_count: 0
    .symbol:         _ZN7rocprim17ROCPRIM_400000_NS6detail17trampoline_kernelINS0_13select_configILj256ELj13ELNS0_17block_load_methodE3ELS4_3ELS4_3ELNS0_20block_scan_algorithmE0ELj4294967295EEENS1_25partition_config_selectorILNS1_17partition_subalgoE4EjNS0_10empty_typeEbEEZZNS1_14partition_implILS8_4ELb0ES6_15HIP_vector_typeIjLj2EENS0_17counting_iteratorIjlEEPS9_SG_NS0_5tupleIJPjSI_NS0_16reverse_iteratorISI_EEEEENSH_IJSG_SG_SG_EEES9_SI_JZNS1_25segmented_radix_sort_implINS0_14default_configELb1EPK12hip_bfloat16PSP_PKlPlN2at6native12_GLOBAL__N_18offset_tEEE10hipError_tPvRmT1_PNSt15iterator_traitsIS13_E10value_typeET2_T3_PNS14_IS19_E10value_typeET4_jRbjT5_S1F_jjP12ihipStream_tbEUljE_ZNSN_ISO_Lb1ESR_SS_SU_SV_SZ_EES10_S11_S12_S13_S17_S18_S19_S1C_S1D_jS1E_jS1F_S1F_jjS1H_bEUljE0_EEES10_S11_S12_S19_S1D_S1F_T6_T7_T9_mT8_S1H_bDpT10_ENKUlT_T0_E_clISt17integral_constantIbLb1EES1U_IbLb0EEEEDaS1Q_S1R_EUlS1Q_E_NS1_11comp_targetILNS1_3genE9ELNS1_11target_archE1100ELNS1_3gpuE3ELNS1_3repE0EEENS1_30default_config_static_selectorELNS0_4arch9wavefront6targetE1EEEvS13_.kd
    .uniform_work_group_size: 1
    .uses_dynamic_stack: false
    .vgpr_count:     0
    .vgpr_spill_count: 0
    .wavefront_size: 64
  - .agpr_count:     0
    .args:
      - .offset:         0
        .size:           176
        .value_kind:     by_value
    .group_segment_fixed_size: 0
    .kernarg_segment_align: 8
    .kernarg_segment_size: 176
    .language:       OpenCL C
    .language_version:
      - 2
      - 0
    .max_flat_workgroup_size: 256
    .name:           _ZN7rocprim17ROCPRIM_400000_NS6detail17trampoline_kernelINS0_13select_configILj256ELj13ELNS0_17block_load_methodE3ELS4_3ELS4_3ELNS0_20block_scan_algorithmE0ELj4294967295EEENS1_25partition_config_selectorILNS1_17partition_subalgoE4EjNS0_10empty_typeEbEEZZNS1_14partition_implILS8_4ELb0ES6_15HIP_vector_typeIjLj2EENS0_17counting_iteratorIjlEEPS9_SG_NS0_5tupleIJPjSI_NS0_16reverse_iteratorISI_EEEEENSH_IJSG_SG_SG_EEES9_SI_JZNS1_25segmented_radix_sort_implINS0_14default_configELb1EPK12hip_bfloat16PSP_PKlPlN2at6native12_GLOBAL__N_18offset_tEEE10hipError_tPvRmT1_PNSt15iterator_traitsIS13_E10value_typeET2_T3_PNS14_IS19_E10value_typeET4_jRbjT5_S1F_jjP12ihipStream_tbEUljE_ZNSN_ISO_Lb1ESR_SS_SU_SV_SZ_EES10_S11_S12_S13_S17_S18_S19_S1C_S1D_jS1E_jS1F_S1F_jjS1H_bEUljE0_EEES10_S11_S12_S19_S1D_S1F_T6_T7_T9_mT8_S1H_bDpT10_ENKUlT_T0_E_clISt17integral_constantIbLb1EES1U_IbLb0EEEEDaS1Q_S1R_EUlS1Q_E_NS1_11comp_targetILNS1_3genE8ELNS1_11target_archE1030ELNS1_3gpuE2ELNS1_3repE0EEENS1_30default_config_static_selectorELNS0_4arch9wavefront6targetE1EEEvS13_
    .private_segment_fixed_size: 0
    .sgpr_count:     4
    .sgpr_spill_count: 0
    .symbol:         _ZN7rocprim17ROCPRIM_400000_NS6detail17trampoline_kernelINS0_13select_configILj256ELj13ELNS0_17block_load_methodE3ELS4_3ELS4_3ELNS0_20block_scan_algorithmE0ELj4294967295EEENS1_25partition_config_selectorILNS1_17partition_subalgoE4EjNS0_10empty_typeEbEEZZNS1_14partition_implILS8_4ELb0ES6_15HIP_vector_typeIjLj2EENS0_17counting_iteratorIjlEEPS9_SG_NS0_5tupleIJPjSI_NS0_16reverse_iteratorISI_EEEEENSH_IJSG_SG_SG_EEES9_SI_JZNS1_25segmented_radix_sort_implINS0_14default_configELb1EPK12hip_bfloat16PSP_PKlPlN2at6native12_GLOBAL__N_18offset_tEEE10hipError_tPvRmT1_PNSt15iterator_traitsIS13_E10value_typeET2_T3_PNS14_IS19_E10value_typeET4_jRbjT5_S1F_jjP12ihipStream_tbEUljE_ZNSN_ISO_Lb1ESR_SS_SU_SV_SZ_EES10_S11_S12_S13_S17_S18_S19_S1C_S1D_jS1E_jS1F_S1F_jjS1H_bEUljE0_EEES10_S11_S12_S19_S1D_S1F_T6_T7_T9_mT8_S1H_bDpT10_ENKUlT_T0_E_clISt17integral_constantIbLb1EES1U_IbLb0EEEEDaS1Q_S1R_EUlS1Q_E_NS1_11comp_targetILNS1_3genE8ELNS1_11target_archE1030ELNS1_3gpuE2ELNS1_3repE0EEENS1_30default_config_static_selectorELNS0_4arch9wavefront6targetE1EEEvS13_.kd
    .uniform_work_group_size: 1
    .uses_dynamic_stack: false
    .vgpr_count:     0
    .vgpr_spill_count: 0
    .wavefront_size: 64
  - .agpr_count:     0
    .args:
      - .offset:         0
        .size:           184
        .value_kind:     by_value
    .group_segment_fixed_size: 0
    .kernarg_segment_align: 8
    .kernarg_segment_size: 184
    .language:       OpenCL C
    .language_version:
      - 2
      - 0
    .max_flat_workgroup_size: 256
    .name:           _ZN7rocprim17ROCPRIM_400000_NS6detail17trampoline_kernelINS0_13select_configILj256ELj13ELNS0_17block_load_methodE3ELS4_3ELS4_3ELNS0_20block_scan_algorithmE0ELj4294967295EEENS1_25partition_config_selectorILNS1_17partition_subalgoE4EjNS0_10empty_typeEbEEZZNS1_14partition_implILS8_4ELb0ES6_15HIP_vector_typeIjLj2EENS0_17counting_iteratorIjlEEPS9_SG_NS0_5tupleIJPjSI_NS0_16reverse_iteratorISI_EEEEENSH_IJSG_SG_SG_EEES9_SI_JZNS1_25segmented_radix_sort_implINS0_14default_configELb1EPK12hip_bfloat16PSP_PKlPlN2at6native12_GLOBAL__N_18offset_tEEE10hipError_tPvRmT1_PNSt15iterator_traitsIS13_E10value_typeET2_T3_PNS14_IS19_E10value_typeET4_jRbjT5_S1F_jjP12ihipStream_tbEUljE_ZNSN_ISO_Lb1ESR_SS_SU_SV_SZ_EES10_S11_S12_S13_S17_S18_S19_S1C_S1D_jS1E_jS1F_S1F_jjS1H_bEUljE0_EEES10_S11_S12_S19_S1D_S1F_T6_T7_T9_mT8_S1H_bDpT10_ENKUlT_T0_E_clISt17integral_constantIbLb0EES1U_IbLb1EEEEDaS1Q_S1R_EUlS1Q_E_NS1_11comp_targetILNS1_3genE0ELNS1_11target_archE4294967295ELNS1_3gpuE0ELNS1_3repE0EEENS1_30default_config_static_selectorELNS0_4arch9wavefront6targetE1EEEvS13_
    .private_segment_fixed_size: 0
    .sgpr_count:     4
    .sgpr_spill_count: 0
    .symbol:         _ZN7rocprim17ROCPRIM_400000_NS6detail17trampoline_kernelINS0_13select_configILj256ELj13ELNS0_17block_load_methodE3ELS4_3ELS4_3ELNS0_20block_scan_algorithmE0ELj4294967295EEENS1_25partition_config_selectorILNS1_17partition_subalgoE4EjNS0_10empty_typeEbEEZZNS1_14partition_implILS8_4ELb0ES6_15HIP_vector_typeIjLj2EENS0_17counting_iteratorIjlEEPS9_SG_NS0_5tupleIJPjSI_NS0_16reverse_iteratorISI_EEEEENSH_IJSG_SG_SG_EEES9_SI_JZNS1_25segmented_radix_sort_implINS0_14default_configELb1EPK12hip_bfloat16PSP_PKlPlN2at6native12_GLOBAL__N_18offset_tEEE10hipError_tPvRmT1_PNSt15iterator_traitsIS13_E10value_typeET2_T3_PNS14_IS19_E10value_typeET4_jRbjT5_S1F_jjP12ihipStream_tbEUljE_ZNSN_ISO_Lb1ESR_SS_SU_SV_SZ_EES10_S11_S12_S13_S17_S18_S19_S1C_S1D_jS1E_jS1F_S1F_jjS1H_bEUljE0_EEES10_S11_S12_S19_S1D_S1F_T6_T7_T9_mT8_S1H_bDpT10_ENKUlT_T0_E_clISt17integral_constantIbLb0EES1U_IbLb1EEEEDaS1Q_S1R_EUlS1Q_E_NS1_11comp_targetILNS1_3genE0ELNS1_11target_archE4294967295ELNS1_3gpuE0ELNS1_3repE0EEENS1_30default_config_static_selectorELNS0_4arch9wavefront6targetE1EEEvS13_.kd
    .uniform_work_group_size: 1
    .uses_dynamic_stack: false
    .vgpr_count:     0
    .vgpr_spill_count: 0
    .wavefront_size: 64
  - .agpr_count:     0
    .args:
      - .offset:         0
        .size:           184
        .value_kind:     by_value
    .group_segment_fixed_size: 0
    .kernarg_segment_align: 8
    .kernarg_segment_size: 184
    .language:       OpenCL C
    .language_version:
      - 2
      - 0
    .max_flat_workgroup_size: 256
    .name:           _ZN7rocprim17ROCPRIM_400000_NS6detail17trampoline_kernelINS0_13select_configILj256ELj13ELNS0_17block_load_methodE3ELS4_3ELS4_3ELNS0_20block_scan_algorithmE0ELj4294967295EEENS1_25partition_config_selectorILNS1_17partition_subalgoE4EjNS0_10empty_typeEbEEZZNS1_14partition_implILS8_4ELb0ES6_15HIP_vector_typeIjLj2EENS0_17counting_iteratorIjlEEPS9_SG_NS0_5tupleIJPjSI_NS0_16reverse_iteratorISI_EEEEENSH_IJSG_SG_SG_EEES9_SI_JZNS1_25segmented_radix_sort_implINS0_14default_configELb1EPK12hip_bfloat16PSP_PKlPlN2at6native12_GLOBAL__N_18offset_tEEE10hipError_tPvRmT1_PNSt15iterator_traitsIS13_E10value_typeET2_T3_PNS14_IS19_E10value_typeET4_jRbjT5_S1F_jjP12ihipStream_tbEUljE_ZNSN_ISO_Lb1ESR_SS_SU_SV_SZ_EES10_S11_S12_S13_S17_S18_S19_S1C_S1D_jS1E_jS1F_S1F_jjS1H_bEUljE0_EEES10_S11_S12_S19_S1D_S1F_T6_T7_T9_mT8_S1H_bDpT10_ENKUlT_T0_E_clISt17integral_constantIbLb0EES1U_IbLb1EEEEDaS1Q_S1R_EUlS1Q_E_NS1_11comp_targetILNS1_3genE5ELNS1_11target_archE942ELNS1_3gpuE9ELNS1_3repE0EEENS1_30default_config_static_selectorELNS0_4arch9wavefront6targetE1EEEvS13_
    .private_segment_fixed_size: 0
    .sgpr_count:     4
    .sgpr_spill_count: 0
    .symbol:         _ZN7rocprim17ROCPRIM_400000_NS6detail17trampoline_kernelINS0_13select_configILj256ELj13ELNS0_17block_load_methodE3ELS4_3ELS4_3ELNS0_20block_scan_algorithmE0ELj4294967295EEENS1_25partition_config_selectorILNS1_17partition_subalgoE4EjNS0_10empty_typeEbEEZZNS1_14partition_implILS8_4ELb0ES6_15HIP_vector_typeIjLj2EENS0_17counting_iteratorIjlEEPS9_SG_NS0_5tupleIJPjSI_NS0_16reverse_iteratorISI_EEEEENSH_IJSG_SG_SG_EEES9_SI_JZNS1_25segmented_radix_sort_implINS0_14default_configELb1EPK12hip_bfloat16PSP_PKlPlN2at6native12_GLOBAL__N_18offset_tEEE10hipError_tPvRmT1_PNSt15iterator_traitsIS13_E10value_typeET2_T3_PNS14_IS19_E10value_typeET4_jRbjT5_S1F_jjP12ihipStream_tbEUljE_ZNSN_ISO_Lb1ESR_SS_SU_SV_SZ_EES10_S11_S12_S13_S17_S18_S19_S1C_S1D_jS1E_jS1F_S1F_jjS1H_bEUljE0_EEES10_S11_S12_S19_S1D_S1F_T6_T7_T9_mT8_S1H_bDpT10_ENKUlT_T0_E_clISt17integral_constantIbLb0EES1U_IbLb1EEEEDaS1Q_S1R_EUlS1Q_E_NS1_11comp_targetILNS1_3genE5ELNS1_11target_archE942ELNS1_3gpuE9ELNS1_3repE0EEENS1_30default_config_static_selectorELNS0_4arch9wavefront6targetE1EEEvS13_.kd
    .uniform_work_group_size: 1
    .uses_dynamic_stack: false
    .vgpr_count:     0
    .vgpr_spill_count: 0
    .wavefront_size: 64
  - .agpr_count:     0
    .args:
      - .offset:         0
        .size:           184
        .value_kind:     by_value
    .group_segment_fixed_size: 13340
    .kernarg_segment_align: 8
    .kernarg_segment_size: 184
    .language:       OpenCL C
    .language_version:
      - 2
      - 0
    .max_flat_workgroup_size: 256
    .name:           _ZN7rocprim17ROCPRIM_400000_NS6detail17trampoline_kernelINS0_13select_configILj256ELj13ELNS0_17block_load_methodE3ELS4_3ELS4_3ELNS0_20block_scan_algorithmE0ELj4294967295EEENS1_25partition_config_selectorILNS1_17partition_subalgoE4EjNS0_10empty_typeEbEEZZNS1_14partition_implILS8_4ELb0ES6_15HIP_vector_typeIjLj2EENS0_17counting_iteratorIjlEEPS9_SG_NS0_5tupleIJPjSI_NS0_16reverse_iteratorISI_EEEEENSH_IJSG_SG_SG_EEES9_SI_JZNS1_25segmented_radix_sort_implINS0_14default_configELb1EPK12hip_bfloat16PSP_PKlPlN2at6native12_GLOBAL__N_18offset_tEEE10hipError_tPvRmT1_PNSt15iterator_traitsIS13_E10value_typeET2_T3_PNS14_IS19_E10value_typeET4_jRbjT5_S1F_jjP12ihipStream_tbEUljE_ZNSN_ISO_Lb1ESR_SS_SU_SV_SZ_EES10_S11_S12_S13_S17_S18_S19_S1C_S1D_jS1E_jS1F_S1F_jjS1H_bEUljE0_EEES10_S11_S12_S19_S1D_S1F_T6_T7_T9_mT8_S1H_bDpT10_ENKUlT_T0_E_clISt17integral_constantIbLb0EES1U_IbLb1EEEEDaS1Q_S1R_EUlS1Q_E_NS1_11comp_targetILNS1_3genE4ELNS1_11target_archE910ELNS1_3gpuE8ELNS1_3repE0EEENS1_30default_config_static_selectorELNS0_4arch9wavefront6targetE1EEEvS13_
    .private_segment_fixed_size: 0
    .sgpr_count:     91
    .sgpr_spill_count: 0
    .symbol:         _ZN7rocprim17ROCPRIM_400000_NS6detail17trampoline_kernelINS0_13select_configILj256ELj13ELNS0_17block_load_methodE3ELS4_3ELS4_3ELNS0_20block_scan_algorithmE0ELj4294967295EEENS1_25partition_config_selectorILNS1_17partition_subalgoE4EjNS0_10empty_typeEbEEZZNS1_14partition_implILS8_4ELb0ES6_15HIP_vector_typeIjLj2EENS0_17counting_iteratorIjlEEPS9_SG_NS0_5tupleIJPjSI_NS0_16reverse_iteratorISI_EEEEENSH_IJSG_SG_SG_EEES9_SI_JZNS1_25segmented_radix_sort_implINS0_14default_configELb1EPK12hip_bfloat16PSP_PKlPlN2at6native12_GLOBAL__N_18offset_tEEE10hipError_tPvRmT1_PNSt15iterator_traitsIS13_E10value_typeET2_T3_PNS14_IS19_E10value_typeET4_jRbjT5_S1F_jjP12ihipStream_tbEUljE_ZNSN_ISO_Lb1ESR_SS_SU_SV_SZ_EES10_S11_S12_S13_S17_S18_S19_S1C_S1D_jS1E_jS1F_S1F_jjS1H_bEUljE0_EEES10_S11_S12_S19_S1D_S1F_T6_T7_T9_mT8_S1H_bDpT10_ENKUlT_T0_E_clISt17integral_constantIbLb0EES1U_IbLb1EEEEDaS1Q_S1R_EUlS1Q_E_NS1_11comp_targetILNS1_3genE4ELNS1_11target_archE910ELNS1_3gpuE8ELNS1_3repE0EEENS1_30default_config_static_selectorELNS0_4arch9wavefront6targetE1EEEvS13_.kd
    .uniform_work_group_size: 1
    .uses_dynamic_stack: false
    .vgpr_count:     107
    .vgpr_spill_count: 0
    .wavefront_size: 64
  - .agpr_count:     0
    .args:
      - .offset:         0
        .size:           184
        .value_kind:     by_value
    .group_segment_fixed_size: 0
    .kernarg_segment_align: 8
    .kernarg_segment_size: 184
    .language:       OpenCL C
    .language_version:
      - 2
      - 0
    .max_flat_workgroup_size: 256
    .name:           _ZN7rocprim17ROCPRIM_400000_NS6detail17trampoline_kernelINS0_13select_configILj256ELj13ELNS0_17block_load_methodE3ELS4_3ELS4_3ELNS0_20block_scan_algorithmE0ELj4294967295EEENS1_25partition_config_selectorILNS1_17partition_subalgoE4EjNS0_10empty_typeEbEEZZNS1_14partition_implILS8_4ELb0ES6_15HIP_vector_typeIjLj2EENS0_17counting_iteratorIjlEEPS9_SG_NS0_5tupleIJPjSI_NS0_16reverse_iteratorISI_EEEEENSH_IJSG_SG_SG_EEES9_SI_JZNS1_25segmented_radix_sort_implINS0_14default_configELb1EPK12hip_bfloat16PSP_PKlPlN2at6native12_GLOBAL__N_18offset_tEEE10hipError_tPvRmT1_PNSt15iterator_traitsIS13_E10value_typeET2_T3_PNS14_IS19_E10value_typeET4_jRbjT5_S1F_jjP12ihipStream_tbEUljE_ZNSN_ISO_Lb1ESR_SS_SU_SV_SZ_EES10_S11_S12_S13_S17_S18_S19_S1C_S1D_jS1E_jS1F_S1F_jjS1H_bEUljE0_EEES10_S11_S12_S19_S1D_S1F_T6_T7_T9_mT8_S1H_bDpT10_ENKUlT_T0_E_clISt17integral_constantIbLb0EES1U_IbLb1EEEEDaS1Q_S1R_EUlS1Q_E_NS1_11comp_targetILNS1_3genE3ELNS1_11target_archE908ELNS1_3gpuE7ELNS1_3repE0EEENS1_30default_config_static_selectorELNS0_4arch9wavefront6targetE1EEEvS13_
    .private_segment_fixed_size: 0
    .sgpr_count:     4
    .sgpr_spill_count: 0
    .symbol:         _ZN7rocprim17ROCPRIM_400000_NS6detail17trampoline_kernelINS0_13select_configILj256ELj13ELNS0_17block_load_methodE3ELS4_3ELS4_3ELNS0_20block_scan_algorithmE0ELj4294967295EEENS1_25partition_config_selectorILNS1_17partition_subalgoE4EjNS0_10empty_typeEbEEZZNS1_14partition_implILS8_4ELb0ES6_15HIP_vector_typeIjLj2EENS0_17counting_iteratorIjlEEPS9_SG_NS0_5tupleIJPjSI_NS0_16reverse_iteratorISI_EEEEENSH_IJSG_SG_SG_EEES9_SI_JZNS1_25segmented_radix_sort_implINS0_14default_configELb1EPK12hip_bfloat16PSP_PKlPlN2at6native12_GLOBAL__N_18offset_tEEE10hipError_tPvRmT1_PNSt15iterator_traitsIS13_E10value_typeET2_T3_PNS14_IS19_E10value_typeET4_jRbjT5_S1F_jjP12ihipStream_tbEUljE_ZNSN_ISO_Lb1ESR_SS_SU_SV_SZ_EES10_S11_S12_S13_S17_S18_S19_S1C_S1D_jS1E_jS1F_S1F_jjS1H_bEUljE0_EEES10_S11_S12_S19_S1D_S1F_T6_T7_T9_mT8_S1H_bDpT10_ENKUlT_T0_E_clISt17integral_constantIbLb0EES1U_IbLb1EEEEDaS1Q_S1R_EUlS1Q_E_NS1_11comp_targetILNS1_3genE3ELNS1_11target_archE908ELNS1_3gpuE7ELNS1_3repE0EEENS1_30default_config_static_selectorELNS0_4arch9wavefront6targetE1EEEvS13_.kd
    .uniform_work_group_size: 1
    .uses_dynamic_stack: false
    .vgpr_count:     0
    .vgpr_spill_count: 0
    .wavefront_size: 64
  - .agpr_count:     0
    .args:
      - .offset:         0
        .size:           184
        .value_kind:     by_value
    .group_segment_fixed_size: 0
    .kernarg_segment_align: 8
    .kernarg_segment_size: 184
    .language:       OpenCL C
    .language_version:
      - 2
      - 0
    .max_flat_workgroup_size: 256
    .name:           _ZN7rocprim17ROCPRIM_400000_NS6detail17trampoline_kernelINS0_13select_configILj256ELj13ELNS0_17block_load_methodE3ELS4_3ELS4_3ELNS0_20block_scan_algorithmE0ELj4294967295EEENS1_25partition_config_selectorILNS1_17partition_subalgoE4EjNS0_10empty_typeEbEEZZNS1_14partition_implILS8_4ELb0ES6_15HIP_vector_typeIjLj2EENS0_17counting_iteratorIjlEEPS9_SG_NS0_5tupleIJPjSI_NS0_16reverse_iteratorISI_EEEEENSH_IJSG_SG_SG_EEES9_SI_JZNS1_25segmented_radix_sort_implINS0_14default_configELb1EPK12hip_bfloat16PSP_PKlPlN2at6native12_GLOBAL__N_18offset_tEEE10hipError_tPvRmT1_PNSt15iterator_traitsIS13_E10value_typeET2_T3_PNS14_IS19_E10value_typeET4_jRbjT5_S1F_jjP12ihipStream_tbEUljE_ZNSN_ISO_Lb1ESR_SS_SU_SV_SZ_EES10_S11_S12_S13_S17_S18_S19_S1C_S1D_jS1E_jS1F_S1F_jjS1H_bEUljE0_EEES10_S11_S12_S19_S1D_S1F_T6_T7_T9_mT8_S1H_bDpT10_ENKUlT_T0_E_clISt17integral_constantIbLb0EES1U_IbLb1EEEEDaS1Q_S1R_EUlS1Q_E_NS1_11comp_targetILNS1_3genE2ELNS1_11target_archE906ELNS1_3gpuE6ELNS1_3repE0EEENS1_30default_config_static_selectorELNS0_4arch9wavefront6targetE1EEEvS13_
    .private_segment_fixed_size: 0
    .sgpr_count:     4
    .sgpr_spill_count: 0
    .symbol:         _ZN7rocprim17ROCPRIM_400000_NS6detail17trampoline_kernelINS0_13select_configILj256ELj13ELNS0_17block_load_methodE3ELS4_3ELS4_3ELNS0_20block_scan_algorithmE0ELj4294967295EEENS1_25partition_config_selectorILNS1_17partition_subalgoE4EjNS0_10empty_typeEbEEZZNS1_14partition_implILS8_4ELb0ES6_15HIP_vector_typeIjLj2EENS0_17counting_iteratorIjlEEPS9_SG_NS0_5tupleIJPjSI_NS0_16reverse_iteratorISI_EEEEENSH_IJSG_SG_SG_EEES9_SI_JZNS1_25segmented_radix_sort_implINS0_14default_configELb1EPK12hip_bfloat16PSP_PKlPlN2at6native12_GLOBAL__N_18offset_tEEE10hipError_tPvRmT1_PNSt15iterator_traitsIS13_E10value_typeET2_T3_PNS14_IS19_E10value_typeET4_jRbjT5_S1F_jjP12ihipStream_tbEUljE_ZNSN_ISO_Lb1ESR_SS_SU_SV_SZ_EES10_S11_S12_S13_S17_S18_S19_S1C_S1D_jS1E_jS1F_S1F_jjS1H_bEUljE0_EEES10_S11_S12_S19_S1D_S1F_T6_T7_T9_mT8_S1H_bDpT10_ENKUlT_T0_E_clISt17integral_constantIbLb0EES1U_IbLb1EEEEDaS1Q_S1R_EUlS1Q_E_NS1_11comp_targetILNS1_3genE2ELNS1_11target_archE906ELNS1_3gpuE6ELNS1_3repE0EEENS1_30default_config_static_selectorELNS0_4arch9wavefront6targetE1EEEvS13_.kd
    .uniform_work_group_size: 1
    .uses_dynamic_stack: false
    .vgpr_count:     0
    .vgpr_spill_count: 0
    .wavefront_size: 64
  - .agpr_count:     0
    .args:
      - .offset:         0
        .size:           184
        .value_kind:     by_value
    .group_segment_fixed_size: 0
    .kernarg_segment_align: 8
    .kernarg_segment_size: 184
    .language:       OpenCL C
    .language_version:
      - 2
      - 0
    .max_flat_workgroup_size: 256
    .name:           _ZN7rocprim17ROCPRIM_400000_NS6detail17trampoline_kernelINS0_13select_configILj256ELj13ELNS0_17block_load_methodE3ELS4_3ELS4_3ELNS0_20block_scan_algorithmE0ELj4294967295EEENS1_25partition_config_selectorILNS1_17partition_subalgoE4EjNS0_10empty_typeEbEEZZNS1_14partition_implILS8_4ELb0ES6_15HIP_vector_typeIjLj2EENS0_17counting_iteratorIjlEEPS9_SG_NS0_5tupleIJPjSI_NS0_16reverse_iteratorISI_EEEEENSH_IJSG_SG_SG_EEES9_SI_JZNS1_25segmented_radix_sort_implINS0_14default_configELb1EPK12hip_bfloat16PSP_PKlPlN2at6native12_GLOBAL__N_18offset_tEEE10hipError_tPvRmT1_PNSt15iterator_traitsIS13_E10value_typeET2_T3_PNS14_IS19_E10value_typeET4_jRbjT5_S1F_jjP12ihipStream_tbEUljE_ZNSN_ISO_Lb1ESR_SS_SU_SV_SZ_EES10_S11_S12_S13_S17_S18_S19_S1C_S1D_jS1E_jS1F_S1F_jjS1H_bEUljE0_EEES10_S11_S12_S19_S1D_S1F_T6_T7_T9_mT8_S1H_bDpT10_ENKUlT_T0_E_clISt17integral_constantIbLb0EES1U_IbLb1EEEEDaS1Q_S1R_EUlS1Q_E_NS1_11comp_targetILNS1_3genE10ELNS1_11target_archE1200ELNS1_3gpuE4ELNS1_3repE0EEENS1_30default_config_static_selectorELNS0_4arch9wavefront6targetE1EEEvS13_
    .private_segment_fixed_size: 0
    .sgpr_count:     4
    .sgpr_spill_count: 0
    .symbol:         _ZN7rocprim17ROCPRIM_400000_NS6detail17trampoline_kernelINS0_13select_configILj256ELj13ELNS0_17block_load_methodE3ELS4_3ELS4_3ELNS0_20block_scan_algorithmE0ELj4294967295EEENS1_25partition_config_selectorILNS1_17partition_subalgoE4EjNS0_10empty_typeEbEEZZNS1_14partition_implILS8_4ELb0ES6_15HIP_vector_typeIjLj2EENS0_17counting_iteratorIjlEEPS9_SG_NS0_5tupleIJPjSI_NS0_16reverse_iteratorISI_EEEEENSH_IJSG_SG_SG_EEES9_SI_JZNS1_25segmented_radix_sort_implINS0_14default_configELb1EPK12hip_bfloat16PSP_PKlPlN2at6native12_GLOBAL__N_18offset_tEEE10hipError_tPvRmT1_PNSt15iterator_traitsIS13_E10value_typeET2_T3_PNS14_IS19_E10value_typeET4_jRbjT5_S1F_jjP12ihipStream_tbEUljE_ZNSN_ISO_Lb1ESR_SS_SU_SV_SZ_EES10_S11_S12_S13_S17_S18_S19_S1C_S1D_jS1E_jS1F_S1F_jjS1H_bEUljE0_EEES10_S11_S12_S19_S1D_S1F_T6_T7_T9_mT8_S1H_bDpT10_ENKUlT_T0_E_clISt17integral_constantIbLb0EES1U_IbLb1EEEEDaS1Q_S1R_EUlS1Q_E_NS1_11comp_targetILNS1_3genE10ELNS1_11target_archE1200ELNS1_3gpuE4ELNS1_3repE0EEENS1_30default_config_static_selectorELNS0_4arch9wavefront6targetE1EEEvS13_.kd
    .uniform_work_group_size: 1
    .uses_dynamic_stack: false
    .vgpr_count:     0
    .vgpr_spill_count: 0
    .wavefront_size: 64
  - .agpr_count:     0
    .args:
      - .offset:         0
        .size:           184
        .value_kind:     by_value
    .group_segment_fixed_size: 0
    .kernarg_segment_align: 8
    .kernarg_segment_size: 184
    .language:       OpenCL C
    .language_version:
      - 2
      - 0
    .max_flat_workgroup_size: 256
    .name:           _ZN7rocprim17ROCPRIM_400000_NS6detail17trampoline_kernelINS0_13select_configILj256ELj13ELNS0_17block_load_methodE3ELS4_3ELS4_3ELNS0_20block_scan_algorithmE0ELj4294967295EEENS1_25partition_config_selectorILNS1_17partition_subalgoE4EjNS0_10empty_typeEbEEZZNS1_14partition_implILS8_4ELb0ES6_15HIP_vector_typeIjLj2EENS0_17counting_iteratorIjlEEPS9_SG_NS0_5tupleIJPjSI_NS0_16reverse_iteratorISI_EEEEENSH_IJSG_SG_SG_EEES9_SI_JZNS1_25segmented_radix_sort_implINS0_14default_configELb1EPK12hip_bfloat16PSP_PKlPlN2at6native12_GLOBAL__N_18offset_tEEE10hipError_tPvRmT1_PNSt15iterator_traitsIS13_E10value_typeET2_T3_PNS14_IS19_E10value_typeET4_jRbjT5_S1F_jjP12ihipStream_tbEUljE_ZNSN_ISO_Lb1ESR_SS_SU_SV_SZ_EES10_S11_S12_S13_S17_S18_S19_S1C_S1D_jS1E_jS1F_S1F_jjS1H_bEUljE0_EEES10_S11_S12_S19_S1D_S1F_T6_T7_T9_mT8_S1H_bDpT10_ENKUlT_T0_E_clISt17integral_constantIbLb0EES1U_IbLb1EEEEDaS1Q_S1R_EUlS1Q_E_NS1_11comp_targetILNS1_3genE9ELNS1_11target_archE1100ELNS1_3gpuE3ELNS1_3repE0EEENS1_30default_config_static_selectorELNS0_4arch9wavefront6targetE1EEEvS13_
    .private_segment_fixed_size: 0
    .sgpr_count:     4
    .sgpr_spill_count: 0
    .symbol:         _ZN7rocprim17ROCPRIM_400000_NS6detail17trampoline_kernelINS0_13select_configILj256ELj13ELNS0_17block_load_methodE3ELS4_3ELS4_3ELNS0_20block_scan_algorithmE0ELj4294967295EEENS1_25partition_config_selectorILNS1_17partition_subalgoE4EjNS0_10empty_typeEbEEZZNS1_14partition_implILS8_4ELb0ES6_15HIP_vector_typeIjLj2EENS0_17counting_iteratorIjlEEPS9_SG_NS0_5tupleIJPjSI_NS0_16reverse_iteratorISI_EEEEENSH_IJSG_SG_SG_EEES9_SI_JZNS1_25segmented_radix_sort_implINS0_14default_configELb1EPK12hip_bfloat16PSP_PKlPlN2at6native12_GLOBAL__N_18offset_tEEE10hipError_tPvRmT1_PNSt15iterator_traitsIS13_E10value_typeET2_T3_PNS14_IS19_E10value_typeET4_jRbjT5_S1F_jjP12ihipStream_tbEUljE_ZNSN_ISO_Lb1ESR_SS_SU_SV_SZ_EES10_S11_S12_S13_S17_S18_S19_S1C_S1D_jS1E_jS1F_S1F_jjS1H_bEUljE0_EEES10_S11_S12_S19_S1D_S1F_T6_T7_T9_mT8_S1H_bDpT10_ENKUlT_T0_E_clISt17integral_constantIbLb0EES1U_IbLb1EEEEDaS1Q_S1R_EUlS1Q_E_NS1_11comp_targetILNS1_3genE9ELNS1_11target_archE1100ELNS1_3gpuE3ELNS1_3repE0EEENS1_30default_config_static_selectorELNS0_4arch9wavefront6targetE1EEEvS13_.kd
    .uniform_work_group_size: 1
    .uses_dynamic_stack: false
    .vgpr_count:     0
    .vgpr_spill_count: 0
    .wavefront_size: 64
  - .agpr_count:     0
    .args:
      - .offset:         0
        .size:           184
        .value_kind:     by_value
    .group_segment_fixed_size: 0
    .kernarg_segment_align: 8
    .kernarg_segment_size: 184
    .language:       OpenCL C
    .language_version:
      - 2
      - 0
    .max_flat_workgroup_size: 256
    .name:           _ZN7rocprim17ROCPRIM_400000_NS6detail17trampoline_kernelINS0_13select_configILj256ELj13ELNS0_17block_load_methodE3ELS4_3ELS4_3ELNS0_20block_scan_algorithmE0ELj4294967295EEENS1_25partition_config_selectorILNS1_17partition_subalgoE4EjNS0_10empty_typeEbEEZZNS1_14partition_implILS8_4ELb0ES6_15HIP_vector_typeIjLj2EENS0_17counting_iteratorIjlEEPS9_SG_NS0_5tupleIJPjSI_NS0_16reverse_iteratorISI_EEEEENSH_IJSG_SG_SG_EEES9_SI_JZNS1_25segmented_radix_sort_implINS0_14default_configELb1EPK12hip_bfloat16PSP_PKlPlN2at6native12_GLOBAL__N_18offset_tEEE10hipError_tPvRmT1_PNSt15iterator_traitsIS13_E10value_typeET2_T3_PNS14_IS19_E10value_typeET4_jRbjT5_S1F_jjP12ihipStream_tbEUljE_ZNSN_ISO_Lb1ESR_SS_SU_SV_SZ_EES10_S11_S12_S13_S17_S18_S19_S1C_S1D_jS1E_jS1F_S1F_jjS1H_bEUljE0_EEES10_S11_S12_S19_S1D_S1F_T6_T7_T9_mT8_S1H_bDpT10_ENKUlT_T0_E_clISt17integral_constantIbLb0EES1U_IbLb1EEEEDaS1Q_S1R_EUlS1Q_E_NS1_11comp_targetILNS1_3genE8ELNS1_11target_archE1030ELNS1_3gpuE2ELNS1_3repE0EEENS1_30default_config_static_selectorELNS0_4arch9wavefront6targetE1EEEvS13_
    .private_segment_fixed_size: 0
    .sgpr_count:     4
    .sgpr_spill_count: 0
    .symbol:         _ZN7rocprim17ROCPRIM_400000_NS6detail17trampoline_kernelINS0_13select_configILj256ELj13ELNS0_17block_load_methodE3ELS4_3ELS4_3ELNS0_20block_scan_algorithmE0ELj4294967295EEENS1_25partition_config_selectorILNS1_17partition_subalgoE4EjNS0_10empty_typeEbEEZZNS1_14partition_implILS8_4ELb0ES6_15HIP_vector_typeIjLj2EENS0_17counting_iteratorIjlEEPS9_SG_NS0_5tupleIJPjSI_NS0_16reverse_iteratorISI_EEEEENSH_IJSG_SG_SG_EEES9_SI_JZNS1_25segmented_radix_sort_implINS0_14default_configELb1EPK12hip_bfloat16PSP_PKlPlN2at6native12_GLOBAL__N_18offset_tEEE10hipError_tPvRmT1_PNSt15iterator_traitsIS13_E10value_typeET2_T3_PNS14_IS19_E10value_typeET4_jRbjT5_S1F_jjP12ihipStream_tbEUljE_ZNSN_ISO_Lb1ESR_SS_SU_SV_SZ_EES10_S11_S12_S13_S17_S18_S19_S1C_S1D_jS1E_jS1F_S1F_jjS1H_bEUljE0_EEES10_S11_S12_S19_S1D_S1F_T6_T7_T9_mT8_S1H_bDpT10_ENKUlT_T0_E_clISt17integral_constantIbLb0EES1U_IbLb1EEEEDaS1Q_S1R_EUlS1Q_E_NS1_11comp_targetILNS1_3genE8ELNS1_11target_archE1030ELNS1_3gpuE2ELNS1_3repE0EEENS1_30default_config_static_selectorELNS0_4arch9wavefront6targetE1EEEvS13_.kd
    .uniform_work_group_size: 1
    .uses_dynamic_stack: false
    .vgpr_count:     0
    .vgpr_spill_count: 0
    .wavefront_size: 64
  - .agpr_count:     0
    .args:
      - .offset:         0
        .size:           144
        .value_kind:     by_value
    .group_segment_fixed_size: 0
    .kernarg_segment_align: 8
    .kernarg_segment_size: 144
    .language:       OpenCL C
    .language_version:
      - 2
      - 0
    .max_flat_workgroup_size: 256
    .name:           _ZN7rocprim17ROCPRIM_400000_NS6detail17trampoline_kernelINS0_13select_configILj256ELj13ELNS0_17block_load_methodE3ELS4_3ELS4_3ELNS0_20block_scan_algorithmE0ELj4294967295EEENS1_25partition_config_selectorILNS1_17partition_subalgoE3EjNS0_10empty_typeEbEEZZNS1_14partition_implILS8_3ELb0ES6_jNS0_17counting_iteratorIjlEEPS9_SE_NS0_5tupleIJPjSE_EEENSF_IJSE_SE_EEES9_SG_JZNS1_25segmented_radix_sort_implINS0_14default_configELb1EPK12hip_bfloat16PSL_PKlPlN2at6native12_GLOBAL__N_18offset_tEEE10hipError_tPvRmT1_PNSt15iterator_traitsISZ_E10value_typeET2_T3_PNS10_IS15_E10value_typeET4_jRbjT5_S1B_jjP12ihipStream_tbEUljE_EEESW_SX_SY_S15_S19_S1B_T6_T7_T9_mT8_S1D_bDpT10_ENKUlT_T0_E_clISt17integral_constantIbLb0EES1Q_EEDaS1L_S1M_EUlS1L_E_NS1_11comp_targetILNS1_3genE0ELNS1_11target_archE4294967295ELNS1_3gpuE0ELNS1_3repE0EEENS1_30default_config_static_selectorELNS0_4arch9wavefront6targetE1EEEvSZ_
    .private_segment_fixed_size: 0
    .sgpr_count:     4
    .sgpr_spill_count: 0
    .symbol:         _ZN7rocprim17ROCPRIM_400000_NS6detail17trampoline_kernelINS0_13select_configILj256ELj13ELNS0_17block_load_methodE3ELS4_3ELS4_3ELNS0_20block_scan_algorithmE0ELj4294967295EEENS1_25partition_config_selectorILNS1_17partition_subalgoE3EjNS0_10empty_typeEbEEZZNS1_14partition_implILS8_3ELb0ES6_jNS0_17counting_iteratorIjlEEPS9_SE_NS0_5tupleIJPjSE_EEENSF_IJSE_SE_EEES9_SG_JZNS1_25segmented_radix_sort_implINS0_14default_configELb1EPK12hip_bfloat16PSL_PKlPlN2at6native12_GLOBAL__N_18offset_tEEE10hipError_tPvRmT1_PNSt15iterator_traitsISZ_E10value_typeET2_T3_PNS10_IS15_E10value_typeET4_jRbjT5_S1B_jjP12ihipStream_tbEUljE_EEESW_SX_SY_S15_S19_S1B_T6_T7_T9_mT8_S1D_bDpT10_ENKUlT_T0_E_clISt17integral_constantIbLb0EES1Q_EEDaS1L_S1M_EUlS1L_E_NS1_11comp_targetILNS1_3genE0ELNS1_11target_archE4294967295ELNS1_3gpuE0ELNS1_3repE0EEENS1_30default_config_static_selectorELNS0_4arch9wavefront6targetE1EEEvSZ_.kd
    .uniform_work_group_size: 1
    .uses_dynamic_stack: false
    .vgpr_count:     0
    .vgpr_spill_count: 0
    .wavefront_size: 64
  - .agpr_count:     0
    .args:
      - .offset:         0
        .size:           144
        .value_kind:     by_value
    .group_segment_fixed_size: 0
    .kernarg_segment_align: 8
    .kernarg_segment_size: 144
    .language:       OpenCL C
    .language_version:
      - 2
      - 0
    .max_flat_workgroup_size: 256
    .name:           _ZN7rocprim17ROCPRIM_400000_NS6detail17trampoline_kernelINS0_13select_configILj256ELj13ELNS0_17block_load_methodE3ELS4_3ELS4_3ELNS0_20block_scan_algorithmE0ELj4294967295EEENS1_25partition_config_selectorILNS1_17partition_subalgoE3EjNS0_10empty_typeEbEEZZNS1_14partition_implILS8_3ELb0ES6_jNS0_17counting_iteratorIjlEEPS9_SE_NS0_5tupleIJPjSE_EEENSF_IJSE_SE_EEES9_SG_JZNS1_25segmented_radix_sort_implINS0_14default_configELb1EPK12hip_bfloat16PSL_PKlPlN2at6native12_GLOBAL__N_18offset_tEEE10hipError_tPvRmT1_PNSt15iterator_traitsISZ_E10value_typeET2_T3_PNS10_IS15_E10value_typeET4_jRbjT5_S1B_jjP12ihipStream_tbEUljE_EEESW_SX_SY_S15_S19_S1B_T6_T7_T9_mT8_S1D_bDpT10_ENKUlT_T0_E_clISt17integral_constantIbLb0EES1Q_EEDaS1L_S1M_EUlS1L_E_NS1_11comp_targetILNS1_3genE5ELNS1_11target_archE942ELNS1_3gpuE9ELNS1_3repE0EEENS1_30default_config_static_selectorELNS0_4arch9wavefront6targetE1EEEvSZ_
    .private_segment_fixed_size: 0
    .sgpr_count:     4
    .sgpr_spill_count: 0
    .symbol:         _ZN7rocprim17ROCPRIM_400000_NS6detail17trampoline_kernelINS0_13select_configILj256ELj13ELNS0_17block_load_methodE3ELS4_3ELS4_3ELNS0_20block_scan_algorithmE0ELj4294967295EEENS1_25partition_config_selectorILNS1_17partition_subalgoE3EjNS0_10empty_typeEbEEZZNS1_14partition_implILS8_3ELb0ES6_jNS0_17counting_iteratorIjlEEPS9_SE_NS0_5tupleIJPjSE_EEENSF_IJSE_SE_EEES9_SG_JZNS1_25segmented_radix_sort_implINS0_14default_configELb1EPK12hip_bfloat16PSL_PKlPlN2at6native12_GLOBAL__N_18offset_tEEE10hipError_tPvRmT1_PNSt15iterator_traitsISZ_E10value_typeET2_T3_PNS10_IS15_E10value_typeET4_jRbjT5_S1B_jjP12ihipStream_tbEUljE_EEESW_SX_SY_S15_S19_S1B_T6_T7_T9_mT8_S1D_bDpT10_ENKUlT_T0_E_clISt17integral_constantIbLb0EES1Q_EEDaS1L_S1M_EUlS1L_E_NS1_11comp_targetILNS1_3genE5ELNS1_11target_archE942ELNS1_3gpuE9ELNS1_3repE0EEENS1_30default_config_static_selectorELNS0_4arch9wavefront6targetE1EEEvSZ_.kd
    .uniform_work_group_size: 1
    .uses_dynamic_stack: false
    .vgpr_count:     0
    .vgpr_spill_count: 0
    .wavefront_size: 64
  - .agpr_count:     0
    .args:
      - .offset:         0
        .size:           144
        .value_kind:     by_value
    .group_segment_fixed_size: 13324
    .kernarg_segment_align: 8
    .kernarg_segment_size: 144
    .language:       OpenCL C
    .language_version:
      - 2
      - 0
    .max_flat_workgroup_size: 256
    .name:           _ZN7rocprim17ROCPRIM_400000_NS6detail17trampoline_kernelINS0_13select_configILj256ELj13ELNS0_17block_load_methodE3ELS4_3ELS4_3ELNS0_20block_scan_algorithmE0ELj4294967295EEENS1_25partition_config_selectorILNS1_17partition_subalgoE3EjNS0_10empty_typeEbEEZZNS1_14partition_implILS8_3ELb0ES6_jNS0_17counting_iteratorIjlEEPS9_SE_NS0_5tupleIJPjSE_EEENSF_IJSE_SE_EEES9_SG_JZNS1_25segmented_radix_sort_implINS0_14default_configELb1EPK12hip_bfloat16PSL_PKlPlN2at6native12_GLOBAL__N_18offset_tEEE10hipError_tPvRmT1_PNSt15iterator_traitsISZ_E10value_typeET2_T3_PNS10_IS15_E10value_typeET4_jRbjT5_S1B_jjP12ihipStream_tbEUljE_EEESW_SX_SY_S15_S19_S1B_T6_T7_T9_mT8_S1D_bDpT10_ENKUlT_T0_E_clISt17integral_constantIbLb0EES1Q_EEDaS1L_S1M_EUlS1L_E_NS1_11comp_targetILNS1_3genE4ELNS1_11target_archE910ELNS1_3gpuE8ELNS1_3repE0EEENS1_30default_config_static_selectorELNS0_4arch9wavefront6targetE1EEEvSZ_
    .private_segment_fixed_size: 0
    .sgpr_count:     50
    .sgpr_spill_count: 0
    .symbol:         _ZN7rocprim17ROCPRIM_400000_NS6detail17trampoline_kernelINS0_13select_configILj256ELj13ELNS0_17block_load_methodE3ELS4_3ELS4_3ELNS0_20block_scan_algorithmE0ELj4294967295EEENS1_25partition_config_selectorILNS1_17partition_subalgoE3EjNS0_10empty_typeEbEEZZNS1_14partition_implILS8_3ELb0ES6_jNS0_17counting_iteratorIjlEEPS9_SE_NS0_5tupleIJPjSE_EEENSF_IJSE_SE_EEES9_SG_JZNS1_25segmented_radix_sort_implINS0_14default_configELb1EPK12hip_bfloat16PSL_PKlPlN2at6native12_GLOBAL__N_18offset_tEEE10hipError_tPvRmT1_PNSt15iterator_traitsISZ_E10value_typeET2_T3_PNS10_IS15_E10value_typeET4_jRbjT5_S1B_jjP12ihipStream_tbEUljE_EEESW_SX_SY_S15_S19_S1B_T6_T7_T9_mT8_S1D_bDpT10_ENKUlT_T0_E_clISt17integral_constantIbLb0EES1Q_EEDaS1L_S1M_EUlS1L_E_NS1_11comp_targetILNS1_3genE4ELNS1_11target_archE910ELNS1_3gpuE8ELNS1_3repE0EEENS1_30default_config_static_selectorELNS0_4arch9wavefront6targetE1EEEvSZ_.kd
    .uniform_work_group_size: 1
    .uses_dynamic_stack: false
    .vgpr_count:     61
    .vgpr_spill_count: 0
    .wavefront_size: 64
  - .agpr_count:     0
    .args:
      - .offset:         0
        .size:           144
        .value_kind:     by_value
    .group_segment_fixed_size: 0
    .kernarg_segment_align: 8
    .kernarg_segment_size: 144
    .language:       OpenCL C
    .language_version:
      - 2
      - 0
    .max_flat_workgroup_size: 256
    .name:           _ZN7rocprim17ROCPRIM_400000_NS6detail17trampoline_kernelINS0_13select_configILj256ELj13ELNS0_17block_load_methodE3ELS4_3ELS4_3ELNS0_20block_scan_algorithmE0ELj4294967295EEENS1_25partition_config_selectorILNS1_17partition_subalgoE3EjNS0_10empty_typeEbEEZZNS1_14partition_implILS8_3ELb0ES6_jNS0_17counting_iteratorIjlEEPS9_SE_NS0_5tupleIJPjSE_EEENSF_IJSE_SE_EEES9_SG_JZNS1_25segmented_radix_sort_implINS0_14default_configELb1EPK12hip_bfloat16PSL_PKlPlN2at6native12_GLOBAL__N_18offset_tEEE10hipError_tPvRmT1_PNSt15iterator_traitsISZ_E10value_typeET2_T3_PNS10_IS15_E10value_typeET4_jRbjT5_S1B_jjP12ihipStream_tbEUljE_EEESW_SX_SY_S15_S19_S1B_T6_T7_T9_mT8_S1D_bDpT10_ENKUlT_T0_E_clISt17integral_constantIbLb0EES1Q_EEDaS1L_S1M_EUlS1L_E_NS1_11comp_targetILNS1_3genE3ELNS1_11target_archE908ELNS1_3gpuE7ELNS1_3repE0EEENS1_30default_config_static_selectorELNS0_4arch9wavefront6targetE1EEEvSZ_
    .private_segment_fixed_size: 0
    .sgpr_count:     4
    .sgpr_spill_count: 0
    .symbol:         _ZN7rocprim17ROCPRIM_400000_NS6detail17trampoline_kernelINS0_13select_configILj256ELj13ELNS0_17block_load_methodE3ELS4_3ELS4_3ELNS0_20block_scan_algorithmE0ELj4294967295EEENS1_25partition_config_selectorILNS1_17partition_subalgoE3EjNS0_10empty_typeEbEEZZNS1_14partition_implILS8_3ELb0ES6_jNS0_17counting_iteratorIjlEEPS9_SE_NS0_5tupleIJPjSE_EEENSF_IJSE_SE_EEES9_SG_JZNS1_25segmented_radix_sort_implINS0_14default_configELb1EPK12hip_bfloat16PSL_PKlPlN2at6native12_GLOBAL__N_18offset_tEEE10hipError_tPvRmT1_PNSt15iterator_traitsISZ_E10value_typeET2_T3_PNS10_IS15_E10value_typeET4_jRbjT5_S1B_jjP12ihipStream_tbEUljE_EEESW_SX_SY_S15_S19_S1B_T6_T7_T9_mT8_S1D_bDpT10_ENKUlT_T0_E_clISt17integral_constantIbLb0EES1Q_EEDaS1L_S1M_EUlS1L_E_NS1_11comp_targetILNS1_3genE3ELNS1_11target_archE908ELNS1_3gpuE7ELNS1_3repE0EEENS1_30default_config_static_selectorELNS0_4arch9wavefront6targetE1EEEvSZ_.kd
    .uniform_work_group_size: 1
    .uses_dynamic_stack: false
    .vgpr_count:     0
    .vgpr_spill_count: 0
    .wavefront_size: 64
  - .agpr_count:     0
    .args:
      - .offset:         0
        .size:           144
        .value_kind:     by_value
    .group_segment_fixed_size: 0
    .kernarg_segment_align: 8
    .kernarg_segment_size: 144
    .language:       OpenCL C
    .language_version:
      - 2
      - 0
    .max_flat_workgroup_size: 256
    .name:           _ZN7rocprim17ROCPRIM_400000_NS6detail17trampoline_kernelINS0_13select_configILj256ELj13ELNS0_17block_load_methodE3ELS4_3ELS4_3ELNS0_20block_scan_algorithmE0ELj4294967295EEENS1_25partition_config_selectorILNS1_17partition_subalgoE3EjNS0_10empty_typeEbEEZZNS1_14partition_implILS8_3ELb0ES6_jNS0_17counting_iteratorIjlEEPS9_SE_NS0_5tupleIJPjSE_EEENSF_IJSE_SE_EEES9_SG_JZNS1_25segmented_radix_sort_implINS0_14default_configELb1EPK12hip_bfloat16PSL_PKlPlN2at6native12_GLOBAL__N_18offset_tEEE10hipError_tPvRmT1_PNSt15iterator_traitsISZ_E10value_typeET2_T3_PNS10_IS15_E10value_typeET4_jRbjT5_S1B_jjP12ihipStream_tbEUljE_EEESW_SX_SY_S15_S19_S1B_T6_T7_T9_mT8_S1D_bDpT10_ENKUlT_T0_E_clISt17integral_constantIbLb0EES1Q_EEDaS1L_S1M_EUlS1L_E_NS1_11comp_targetILNS1_3genE2ELNS1_11target_archE906ELNS1_3gpuE6ELNS1_3repE0EEENS1_30default_config_static_selectorELNS0_4arch9wavefront6targetE1EEEvSZ_
    .private_segment_fixed_size: 0
    .sgpr_count:     4
    .sgpr_spill_count: 0
    .symbol:         _ZN7rocprim17ROCPRIM_400000_NS6detail17trampoline_kernelINS0_13select_configILj256ELj13ELNS0_17block_load_methodE3ELS4_3ELS4_3ELNS0_20block_scan_algorithmE0ELj4294967295EEENS1_25partition_config_selectorILNS1_17partition_subalgoE3EjNS0_10empty_typeEbEEZZNS1_14partition_implILS8_3ELb0ES6_jNS0_17counting_iteratorIjlEEPS9_SE_NS0_5tupleIJPjSE_EEENSF_IJSE_SE_EEES9_SG_JZNS1_25segmented_radix_sort_implINS0_14default_configELb1EPK12hip_bfloat16PSL_PKlPlN2at6native12_GLOBAL__N_18offset_tEEE10hipError_tPvRmT1_PNSt15iterator_traitsISZ_E10value_typeET2_T3_PNS10_IS15_E10value_typeET4_jRbjT5_S1B_jjP12ihipStream_tbEUljE_EEESW_SX_SY_S15_S19_S1B_T6_T7_T9_mT8_S1D_bDpT10_ENKUlT_T0_E_clISt17integral_constantIbLb0EES1Q_EEDaS1L_S1M_EUlS1L_E_NS1_11comp_targetILNS1_3genE2ELNS1_11target_archE906ELNS1_3gpuE6ELNS1_3repE0EEENS1_30default_config_static_selectorELNS0_4arch9wavefront6targetE1EEEvSZ_.kd
    .uniform_work_group_size: 1
    .uses_dynamic_stack: false
    .vgpr_count:     0
    .vgpr_spill_count: 0
    .wavefront_size: 64
  - .agpr_count:     0
    .args:
      - .offset:         0
        .size:           144
        .value_kind:     by_value
    .group_segment_fixed_size: 0
    .kernarg_segment_align: 8
    .kernarg_segment_size: 144
    .language:       OpenCL C
    .language_version:
      - 2
      - 0
    .max_flat_workgroup_size: 256
    .name:           _ZN7rocprim17ROCPRIM_400000_NS6detail17trampoline_kernelINS0_13select_configILj256ELj13ELNS0_17block_load_methodE3ELS4_3ELS4_3ELNS0_20block_scan_algorithmE0ELj4294967295EEENS1_25partition_config_selectorILNS1_17partition_subalgoE3EjNS0_10empty_typeEbEEZZNS1_14partition_implILS8_3ELb0ES6_jNS0_17counting_iteratorIjlEEPS9_SE_NS0_5tupleIJPjSE_EEENSF_IJSE_SE_EEES9_SG_JZNS1_25segmented_radix_sort_implINS0_14default_configELb1EPK12hip_bfloat16PSL_PKlPlN2at6native12_GLOBAL__N_18offset_tEEE10hipError_tPvRmT1_PNSt15iterator_traitsISZ_E10value_typeET2_T3_PNS10_IS15_E10value_typeET4_jRbjT5_S1B_jjP12ihipStream_tbEUljE_EEESW_SX_SY_S15_S19_S1B_T6_T7_T9_mT8_S1D_bDpT10_ENKUlT_T0_E_clISt17integral_constantIbLb0EES1Q_EEDaS1L_S1M_EUlS1L_E_NS1_11comp_targetILNS1_3genE10ELNS1_11target_archE1200ELNS1_3gpuE4ELNS1_3repE0EEENS1_30default_config_static_selectorELNS0_4arch9wavefront6targetE1EEEvSZ_
    .private_segment_fixed_size: 0
    .sgpr_count:     4
    .sgpr_spill_count: 0
    .symbol:         _ZN7rocprim17ROCPRIM_400000_NS6detail17trampoline_kernelINS0_13select_configILj256ELj13ELNS0_17block_load_methodE3ELS4_3ELS4_3ELNS0_20block_scan_algorithmE0ELj4294967295EEENS1_25partition_config_selectorILNS1_17partition_subalgoE3EjNS0_10empty_typeEbEEZZNS1_14partition_implILS8_3ELb0ES6_jNS0_17counting_iteratorIjlEEPS9_SE_NS0_5tupleIJPjSE_EEENSF_IJSE_SE_EEES9_SG_JZNS1_25segmented_radix_sort_implINS0_14default_configELb1EPK12hip_bfloat16PSL_PKlPlN2at6native12_GLOBAL__N_18offset_tEEE10hipError_tPvRmT1_PNSt15iterator_traitsISZ_E10value_typeET2_T3_PNS10_IS15_E10value_typeET4_jRbjT5_S1B_jjP12ihipStream_tbEUljE_EEESW_SX_SY_S15_S19_S1B_T6_T7_T9_mT8_S1D_bDpT10_ENKUlT_T0_E_clISt17integral_constantIbLb0EES1Q_EEDaS1L_S1M_EUlS1L_E_NS1_11comp_targetILNS1_3genE10ELNS1_11target_archE1200ELNS1_3gpuE4ELNS1_3repE0EEENS1_30default_config_static_selectorELNS0_4arch9wavefront6targetE1EEEvSZ_.kd
    .uniform_work_group_size: 1
    .uses_dynamic_stack: false
    .vgpr_count:     0
    .vgpr_spill_count: 0
    .wavefront_size: 64
  - .agpr_count:     0
    .args:
      - .offset:         0
        .size:           144
        .value_kind:     by_value
    .group_segment_fixed_size: 0
    .kernarg_segment_align: 8
    .kernarg_segment_size: 144
    .language:       OpenCL C
    .language_version:
      - 2
      - 0
    .max_flat_workgroup_size: 256
    .name:           _ZN7rocprim17ROCPRIM_400000_NS6detail17trampoline_kernelINS0_13select_configILj256ELj13ELNS0_17block_load_methodE3ELS4_3ELS4_3ELNS0_20block_scan_algorithmE0ELj4294967295EEENS1_25partition_config_selectorILNS1_17partition_subalgoE3EjNS0_10empty_typeEbEEZZNS1_14partition_implILS8_3ELb0ES6_jNS0_17counting_iteratorIjlEEPS9_SE_NS0_5tupleIJPjSE_EEENSF_IJSE_SE_EEES9_SG_JZNS1_25segmented_radix_sort_implINS0_14default_configELb1EPK12hip_bfloat16PSL_PKlPlN2at6native12_GLOBAL__N_18offset_tEEE10hipError_tPvRmT1_PNSt15iterator_traitsISZ_E10value_typeET2_T3_PNS10_IS15_E10value_typeET4_jRbjT5_S1B_jjP12ihipStream_tbEUljE_EEESW_SX_SY_S15_S19_S1B_T6_T7_T9_mT8_S1D_bDpT10_ENKUlT_T0_E_clISt17integral_constantIbLb0EES1Q_EEDaS1L_S1M_EUlS1L_E_NS1_11comp_targetILNS1_3genE9ELNS1_11target_archE1100ELNS1_3gpuE3ELNS1_3repE0EEENS1_30default_config_static_selectorELNS0_4arch9wavefront6targetE1EEEvSZ_
    .private_segment_fixed_size: 0
    .sgpr_count:     4
    .sgpr_spill_count: 0
    .symbol:         _ZN7rocprim17ROCPRIM_400000_NS6detail17trampoline_kernelINS0_13select_configILj256ELj13ELNS0_17block_load_methodE3ELS4_3ELS4_3ELNS0_20block_scan_algorithmE0ELj4294967295EEENS1_25partition_config_selectorILNS1_17partition_subalgoE3EjNS0_10empty_typeEbEEZZNS1_14partition_implILS8_3ELb0ES6_jNS0_17counting_iteratorIjlEEPS9_SE_NS0_5tupleIJPjSE_EEENSF_IJSE_SE_EEES9_SG_JZNS1_25segmented_radix_sort_implINS0_14default_configELb1EPK12hip_bfloat16PSL_PKlPlN2at6native12_GLOBAL__N_18offset_tEEE10hipError_tPvRmT1_PNSt15iterator_traitsISZ_E10value_typeET2_T3_PNS10_IS15_E10value_typeET4_jRbjT5_S1B_jjP12ihipStream_tbEUljE_EEESW_SX_SY_S15_S19_S1B_T6_T7_T9_mT8_S1D_bDpT10_ENKUlT_T0_E_clISt17integral_constantIbLb0EES1Q_EEDaS1L_S1M_EUlS1L_E_NS1_11comp_targetILNS1_3genE9ELNS1_11target_archE1100ELNS1_3gpuE3ELNS1_3repE0EEENS1_30default_config_static_selectorELNS0_4arch9wavefront6targetE1EEEvSZ_.kd
    .uniform_work_group_size: 1
    .uses_dynamic_stack: false
    .vgpr_count:     0
    .vgpr_spill_count: 0
    .wavefront_size: 64
  - .agpr_count:     0
    .args:
      - .offset:         0
        .size:           144
        .value_kind:     by_value
    .group_segment_fixed_size: 0
    .kernarg_segment_align: 8
    .kernarg_segment_size: 144
    .language:       OpenCL C
    .language_version:
      - 2
      - 0
    .max_flat_workgroup_size: 256
    .name:           _ZN7rocprim17ROCPRIM_400000_NS6detail17trampoline_kernelINS0_13select_configILj256ELj13ELNS0_17block_load_methodE3ELS4_3ELS4_3ELNS0_20block_scan_algorithmE0ELj4294967295EEENS1_25partition_config_selectorILNS1_17partition_subalgoE3EjNS0_10empty_typeEbEEZZNS1_14partition_implILS8_3ELb0ES6_jNS0_17counting_iteratorIjlEEPS9_SE_NS0_5tupleIJPjSE_EEENSF_IJSE_SE_EEES9_SG_JZNS1_25segmented_radix_sort_implINS0_14default_configELb1EPK12hip_bfloat16PSL_PKlPlN2at6native12_GLOBAL__N_18offset_tEEE10hipError_tPvRmT1_PNSt15iterator_traitsISZ_E10value_typeET2_T3_PNS10_IS15_E10value_typeET4_jRbjT5_S1B_jjP12ihipStream_tbEUljE_EEESW_SX_SY_S15_S19_S1B_T6_T7_T9_mT8_S1D_bDpT10_ENKUlT_T0_E_clISt17integral_constantIbLb0EES1Q_EEDaS1L_S1M_EUlS1L_E_NS1_11comp_targetILNS1_3genE8ELNS1_11target_archE1030ELNS1_3gpuE2ELNS1_3repE0EEENS1_30default_config_static_selectorELNS0_4arch9wavefront6targetE1EEEvSZ_
    .private_segment_fixed_size: 0
    .sgpr_count:     4
    .sgpr_spill_count: 0
    .symbol:         _ZN7rocprim17ROCPRIM_400000_NS6detail17trampoline_kernelINS0_13select_configILj256ELj13ELNS0_17block_load_methodE3ELS4_3ELS4_3ELNS0_20block_scan_algorithmE0ELj4294967295EEENS1_25partition_config_selectorILNS1_17partition_subalgoE3EjNS0_10empty_typeEbEEZZNS1_14partition_implILS8_3ELb0ES6_jNS0_17counting_iteratorIjlEEPS9_SE_NS0_5tupleIJPjSE_EEENSF_IJSE_SE_EEES9_SG_JZNS1_25segmented_radix_sort_implINS0_14default_configELb1EPK12hip_bfloat16PSL_PKlPlN2at6native12_GLOBAL__N_18offset_tEEE10hipError_tPvRmT1_PNSt15iterator_traitsISZ_E10value_typeET2_T3_PNS10_IS15_E10value_typeET4_jRbjT5_S1B_jjP12ihipStream_tbEUljE_EEESW_SX_SY_S15_S19_S1B_T6_T7_T9_mT8_S1D_bDpT10_ENKUlT_T0_E_clISt17integral_constantIbLb0EES1Q_EEDaS1L_S1M_EUlS1L_E_NS1_11comp_targetILNS1_3genE8ELNS1_11target_archE1030ELNS1_3gpuE2ELNS1_3repE0EEENS1_30default_config_static_selectorELNS0_4arch9wavefront6targetE1EEEvSZ_.kd
    .uniform_work_group_size: 1
    .uses_dynamic_stack: false
    .vgpr_count:     0
    .vgpr_spill_count: 0
    .wavefront_size: 64
  - .agpr_count:     0
    .args:
      - .offset:         0
        .size:           152
        .value_kind:     by_value
    .group_segment_fixed_size: 0
    .kernarg_segment_align: 8
    .kernarg_segment_size: 152
    .language:       OpenCL C
    .language_version:
      - 2
      - 0
    .max_flat_workgroup_size: 256
    .name:           _ZN7rocprim17ROCPRIM_400000_NS6detail17trampoline_kernelINS0_13select_configILj256ELj13ELNS0_17block_load_methodE3ELS4_3ELS4_3ELNS0_20block_scan_algorithmE0ELj4294967295EEENS1_25partition_config_selectorILNS1_17partition_subalgoE3EjNS0_10empty_typeEbEEZZNS1_14partition_implILS8_3ELb0ES6_jNS0_17counting_iteratorIjlEEPS9_SE_NS0_5tupleIJPjSE_EEENSF_IJSE_SE_EEES9_SG_JZNS1_25segmented_radix_sort_implINS0_14default_configELb1EPK12hip_bfloat16PSL_PKlPlN2at6native12_GLOBAL__N_18offset_tEEE10hipError_tPvRmT1_PNSt15iterator_traitsISZ_E10value_typeET2_T3_PNS10_IS15_E10value_typeET4_jRbjT5_S1B_jjP12ihipStream_tbEUljE_EEESW_SX_SY_S15_S19_S1B_T6_T7_T9_mT8_S1D_bDpT10_ENKUlT_T0_E_clISt17integral_constantIbLb1EES1Q_EEDaS1L_S1M_EUlS1L_E_NS1_11comp_targetILNS1_3genE0ELNS1_11target_archE4294967295ELNS1_3gpuE0ELNS1_3repE0EEENS1_30default_config_static_selectorELNS0_4arch9wavefront6targetE1EEEvSZ_
    .private_segment_fixed_size: 0
    .sgpr_count:     4
    .sgpr_spill_count: 0
    .symbol:         _ZN7rocprim17ROCPRIM_400000_NS6detail17trampoline_kernelINS0_13select_configILj256ELj13ELNS0_17block_load_methodE3ELS4_3ELS4_3ELNS0_20block_scan_algorithmE0ELj4294967295EEENS1_25partition_config_selectorILNS1_17partition_subalgoE3EjNS0_10empty_typeEbEEZZNS1_14partition_implILS8_3ELb0ES6_jNS0_17counting_iteratorIjlEEPS9_SE_NS0_5tupleIJPjSE_EEENSF_IJSE_SE_EEES9_SG_JZNS1_25segmented_radix_sort_implINS0_14default_configELb1EPK12hip_bfloat16PSL_PKlPlN2at6native12_GLOBAL__N_18offset_tEEE10hipError_tPvRmT1_PNSt15iterator_traitsISZ_E10value_typeET2_T3_PNS10_IS15_E10value_typeET4_jRbjT5_S1B_jjP12ihipStream_tbEUljE_EEESW_SX_SY_S15_S19_S1B_T6_T7_T9_mT8_S1D_bDpT10_ENKUlT_T0_E_clISt17integral_constantIbLb1EES1Q_EEDaS1L_S1M_EUlS1L_E_NS1_11comp_targetILNS1_3genE0ELNS1_11target_archE4294967295ELNS1_3gpuE0ELNS1_3repE0EEENS1_30default_config_static_selectorELNS0_4arch9wavefront6targetE1EEEvSZ_.kd
    .uniform_work_group_size: 1
    .uses_dynamic_stack: false
    .vgpr_count:     0
    .vgpr_spill_count: 0
    .wavefront_size: 64
  - .agpr_count:     0
    .args:
      - .offset:         0
        .size:           152
        .value_kind:     by_value
    .group_segment_fixed_size: 0
    .kernarg_segment_align: 8
    .kernarg_segment_size: 152
    .language:       OpenCL C
    .language_version:
      - 2
      - 0
    .max_flat_workgroup_size: 256
    .name:           _ZN7rocprim17ROCPRIM_400000_NS6detail17trampoline_kernelINS0_13select_configILj256ELj13ELNS0_17block_load_methodE3ELS4_3ELS4_3ELNS0_20block_scan_algorithmE0ELj4294967295EEENS1_25partition_config_selectorILNS1_17partition_subalgoE3EjNS0_10empty_typeEbEEZZNS1_14partition_implILS8_3ELb0ES6_jNS0_17counting_iteratorIjlEEPS9_SE_NS0_5tupleIJPjSE_EEENSF_IJSE_SE_EEES9_SG_JZNS1_25segmented_radix_sort_implINS0_14default_configELb1EPK12hip_bfloat16PSL_PKlPlN2at6native12_GLOBAL__N_18offset_tEEE10hipError_tPvRmT1_PNSt15iterator_traitsISZ_E10value_typeET2_T3_PNS10_IS15_E10value_typeET4_jRbjT5_S1B_jjP12ihipStream_tbEUljE_EEESW_SX_SY_S15_S19_S1B_T6_T7_T9_mT8_S1D_bDpT10_ENKUlT_T0_E_clISt17integral_constantIbLb1EES1Q_EEDaS1L_S1M_EUlS1L_E_NS1_11comp_targetILNS1_3genE5ELNS1_11target_archE942ELNS1_3gpuE9ELNS1_3repE0EEENS1_30default_config_static_selectorELNS0_4arch9wavefront6targetE1EEEvSZ_
    .private_segment_fixed_size: 0
    .sgpr_count:     4
    .sgpr_spill_count: 0
    .symbol:         _ZN7rocprim17ROCPRIM_400000_NS6detail17trampoline_kernelINS0_13select_configILj256ELj13ELNS0_17block_load_methodE3ELS4_3ELS4_3ELNS0_20block_scan_algorithmE0ELj4294967295EEENS1_25partition_config_selectorILNS1_17partition_subalgoE3EjNS0_10empty_typeEbEEZZNS1_14partition_implILS8_3ELb0ES6_jNS0_17counting_iteratorIjlEEPS9_SE_NS0_5tupleIJPjSE_EEENSF_IJSE_SE_EEES9_SG_JZNS1_25segmented_radix_sort_implINS0_14default_configELb1EPK12hip_bfloat16PSL_PKlPlN2at6native12_GLOBAL__N_18offset_tEEE10hipError_tPvRmT1_PNSt15iterator_traitsISZ_E10value_typeET2_T3_PNS10_IS15_E10value_typeET4_jRbjT5_S1B_jjP12ihipStream_tbEUljE_EEESW_SX_SY_S15_S19_S1B_T6_T7_T9_mT8_S1D_bDpT10_ENKUlT_T0_E_clISt17integral_constantIbLb1EES1Q_EEDaS1L_S1M_EUlS1L_E_NS1_11comp_targetILNS1_3genE5ELNS1_11target_archE942ELNS1_3gpuE9ELNS1_3repE0EEENS1_30default_config_static_selectorELNS0_4arch9wavefront6targetE1EEEvSZ_.kd
    .uniform_work_group_size: 1
    .uses_dynamic_stack: false
    .vgpr_count:     0
    .vgpr_spill_count: 0
    .wavefront_size: 64
  - .agpr_count:     0
    .args:
      - .offset:         0
        .size:           152
        .value_kind:     by_value
    .group_segment_fixed_size: 13324
    .kernarg_segment_align: 8
    .kernarg_segment_size: 152
    .language:       OpenCL C
    .language_version:
      - 2
      - 0
    .max_flat_workgroup_size: 256
    .name:           _ZN7rocprim17ROCPRIM_400000_NS6detail17trampoline_kernelINS0_13select_configILj256ELj13ELNS0_17block_load_methodE3ELS4_3ELS4_3ELNS0_20block_scan_algorithmE0ELj4294967295EEENS1_25partition_config_selectorILNS1_17partition_subalgoE3EjNS0_10empty_typeEbEEZZNS1_14partition_implILS8_3ELb0ES6_jNS0_17counting_iteratorIjlEEPS9_SE_NS0_5tupleIJPjSE_EEENSF_IJSE_SE_EEES9_SG_JZNS1_25segmented_radix_sort_implINS0_14default_configELb1EPK12hip_bfloat16PSL_PKlPlN2at6native12_GLOBAL__N_18offset_tEEE10hipError_tPvRmT1_PNSt15iterator_traitsISZ_E10value_typeET2_T3_PNS10_IS15_E10value_typeET4_jRbjT5_S1B_jjP12ihipStream_tbEUljE_EEESW_SX_SY_S15_S19_S1B_T6_T7_T9_mT8_S1D_bDpT10_ENKUlT_T0_E_clISt17integral_constantIbLb1EES1Q_EEDaS1L_S1M_EUlS1L_E_NS1_11comp_targetILNS1_3genE4ELNS1_11target_archE910ELNS1_3gpuE8ELNS1_3repE0EEENS1_30default_config_static_selectorELNS0_4arch9wavefront6targetE1EEEvSZ_
    .private_segment_fixed_size: 0
    .sgpr_count:     48
    .sgpr_spill_count: 0
    .symbol:         _ZN7rocprim17ROCPRIM_400000_NS6detail17trampoline_kernelINS0_13select_configILj256ELj13ELNS0_17block_load_methodE3ELS4_3ELS4_3ELNS0_20block_scan_algorithmE0ELj4294967295EEENS1_25partition_config_selectorILNS1_17partition_subalgoE3EjNS0_10empty_typeEbEEZZNS1_14partition_implILS8_3ELb0ES6_jNS0_17counting_iteratorIjlEEPS9_SE_NS0_5tupleIJPjSE_EEENSF_IJSE_SE_EEES9_SG_JZNS1_25segmented_radix_sort_implINS0_14default_configELb1EPK12hip_bfloat16PSL_PKlPlN2at6native12_GLOBAL__N_18offset_tEEE10hipError_tPvRmT1_PNSt15iterator_traitsISZ_E10value_typeET2_T3_PNS10_IS15_E10value_typeET4_jRbjT5_S1B_jjP12ihipStream_tbEUljE_EEESW_SX_SY_S15_S19_S1B_T6_T7_T9_mT8_S1D_bDpT10_ENKUlT_T0_E_clISt17integral_constantIbLb1EES1Q_EEDaS1L_S1M_EUlS1L_E_NS1_11comp_targetILNS1_3genE4ELNS1_11target_archE910ELNS1_3gpuE8ELNS1_3repE0EEENS1_30default_config_static_selectorELNS0_4arch9wavefront6targetE1EEEvSZ_.kd
    .uniform_work_group_size: 1
    .uses_dynamic_stack: false
    .vgpr_count:     64
    .vgpr_spill_count: 0
    .wavefront_size: 64
  - .agpr_count:     0
    .args:
      - .offset:         0
        .size:           152
        .value_kind:     by_value
    .group_segment_fixed_size: 0
    .kernarg_segment_align: 8
    .kernarg_segment_size: 152
    .language:       OpenCL C
    .language_version:
      - 2
      - 0
    .max_flat_workgroup_size: 256
    .name:           _ZN7rocprim17ROCPRIM_400000_NS6detail17trampoline_kernelINS0_13select_configILj256ELj13ELNS0_17block_load_methodE3ELS4_3ELS4_3ELNS0_20block_scan_algorithmE0ELj4294967295EEENS1_25partition_config_selectorILNS1_17partition_subalgoE3EjNS0_10empty_typeEbEEZZNS1_14partition_implILS8_3ELb0ES6_jNS0_17counting_iteratorIjlEEPS9_SE_NS0_5tupleIJPjSE_EEENSF_IJSE_SE_EEES9_SG_JZNS1_25segmented_radix_sort_implINS0_14default_configELb1EPK12hip_bfloat16PSL_PKlPlN2at6native12_GLOBAL__N_18offset_tEEE10hipError_tPvRmT1_PNSt15iterator_traitsISZ_E10value_typeET2_T3_PNS10_IS15_E10value_typeET4_jRbjT5_S1B_jjP12ihipStream_tbEUljE_EEESW_SX_SY_S15_S19_S1B_T6_T7_T9_mT8_S1D_bDpT10_ENKUlT_T0_E_clISt17integral_constantIbLb1EES1Q_EEDaS1L_S1M_EUlS1L_E_NS1_11comp_targetILNS1_3genE3ELNS1_11target_archE908ELNS1_3gpuE7ELNS1_3repE0EEENS1_30default_config_static_selectorELNS0_4arch9wavefront6targetE1EEEvSZ_
    .private_segment_fixed_size: 0
    .sgpr_count:     4
    .sgpr_spill_count: 0
    .symbol:         _ZN7rocprim17ROCPRIM_400000_NS6detail17trampoline_kernelINS0_13select_configILj256ELj13ELNS0_17block_load_methodE3ELS4_3ELS4_3ELNS0_20block_scan_algorithmE0ELj4294967295EEENS1_25partition_config_selectorILNS1_17partition_subalgoE3EjNS0_10empty_typeEbEEZZNS1_14partition_implILS8_3ELb0ES6_jNS0_17counting_iteratorIjlEEPS9_SE_NS0_5tupleIJPjSE_EEENSF_IJSE_SE_EEES9_SG_JZNS1_25segmented_radix_sort_implINS0_14default_configELb1EPK12hip_bfloat16PSL_PKlPlN2at6native12_GLOBAL__N_18offset_tEEE10hipError_tPvRmT1_PNSt15iterator_traitsISZ_E10value_typeET2_T3_PNS10_IS15_E10value_typeET4_jRbjT5_S1B_jjP12ihipStream_tbEUljE_EEESW_SX_SY_S15_S19_S1B_T6_T7_T9_mT8_S1D_bDpT10_ENKUlT_T0_E_clISt17integral_constantIbLb1EES1Q_EEDaS1L_S1M_EUlS1L_E_NS1_11comp_targetILNS1_3genE3ELNS1_11target_archE908ELNS1_3gpuE7ELNS1_3repE0EEENS1_30default_config_static_selectorELNS0_4arch9wavefront6targetE1EEEvSZ_.kd
    .uniform_work_group_size: 1
    .uses_dynamic_stack: false
    .vgpr_count:     0
    .vgpr_spill_count: 0
    .wavefront_size: 64
  - .agpr_count:     0
    .args:
      - .offset:         0
        .size:           152
        .value_kind:     by_value
    .group_segment_fixed_size: 0
    .kernarg_segment_align: 8
    .kernarg_segment_size: 152
    .language:       OpenCL C
    .language_version:
      - 2
      - 0
    .max_flat_workgroup_size: 256
    .name:           _ZN7rocprim17ROCPRIM_400000_NS6detail17trampoline_kernelINS0_13select_configILj256ELj13ELNS0_17block_load_methodE3ELS4_3ELS4_3ELNS0_20block_scan_algorithmE0ELj4294967295EEENS1_25partition_config_selectorILNS1_17partition_subalgoE3EjNS0_10empty_typeEbEEZZNS1_14partition_implILS8_3ELb0ES6_jNS0_17counting_iteratorIjlEEPS9_SE_NS0_5tupleIJPjSE_EEENSF_IJSE_SE_EEES9_SG_JZNS1_25segmented_radix_sort_implINS0_14default_configELb1EPK12hip_bfloat16PSL_PKlPlN2at6native12_GLOBAL__N_18offset_tEEE10hipError_tPvRmT1_PNSt15iterator_traitsISZ_E10value_typeET2_T3_PNS10_IS15_E10value_typeET4_jRbjT5_S1B_jjP12ihipStream_tbEUljE_EEESW_SX_SY_S15_S19_S1B_T6_T7_T9_mT8_S1D_bDpT10_ENKUlT_T0_E_clISt17integral_constantIbLb1EES1Q_EEDaS1L_S1M_EUlS1L_E_NS1_11comp_targetILNS1_3genE2ELNS1_11target_archE906ELNS1_3gpuE6ELNS1_3repE0EEENS1_30default_config_static_selectorELNS0_4arch9wavefront6targetE1EEEvSZ_
    .private_segment_fixed_size: 0
    .sgpr_count:     4
    .sgpr_spill_count: 0
    .symbol:         _ZN7rocprim17ROCPRIM_400000_NS6detail17trampoline_kernelINS0_13select_configILj256ELj13ELNS0_17block_load_methodE3ELS4_3ELS4_3ELNS0_20block_scan_algorithmE0ELj4294967295EEENS1_25partition_config_selectorILNS1_17partition_subalgoE3EjNS0_10empty_typeEbEEZZNS1_14partition_implILS8_3ELb0ES6_jNS0_17counting_iteratorIjlEEPS9_SE_NS0_5tupleIJPjSE_EEENSF_IJSE_SE_EEES9_SG_JZNS1_25segmented_radix_sort_implINS0_14default_configELb1EPK12hip_bfloat16PSL_PKlPlN2at6native12_GLOBAL__N_18offset_tEEE10hipError_tPvRmT1_PNSt15iterator_traitsISZ_E10value_typeET2_T3_PNS10_IS15_E10value_typeET4_jRbjT5_S1B_jjP12ihipStream_tbEUljE_EEESW_SX_SY_S15_S19_S1B_T6_T7_T9_mT8_S1D_bDpT10_ENKUlT_T0_E_clISt17integral_constantIbLb1EES1Q_EEDaS1L_S1M_EUlS1L_E_NS1_11comp_targetILNS1_3genE2ELNS1_11target_archE906ELNS1_3gpuE6ELNS1_3repE0EEENS1_30default_config_static_selectorELNS0_4arch9wavefront6targetE1EEEvSZ_.kd
    .uniform_work_group_size: 1
    .uses_dynamic_stack: false
    .vgpr_count:     0
    .vgpr_spill_count: 0
    .wavefront_size: 64
  - .agpr_count:     0
    .args:
      - .offset:         0
        .size:           152
        .value_kind:     by_value
    .group_segment_fixed_size: 0
    .kernarg_segment_align: 8
    .kernarg_segment_size: 152
    .language:       OpenCL C
    .language_version:
      - 2
      - 0
    .max_flat_workgroup_size: 256
    .name:           _ZN7rocprim17ROCPRIM_400000_NS6detail17trampoline_kernelINS0_13select_configILj256ELj13ELNS0_17block_load_methodE3ELS4_3ELS4_3ELNS0_20block_scan_algorithmE0ELj4294967295EEENS1_25partition_config_selectorILNS1_17partition_subalgoE3EjNS0_10empty_typeEbEEZZNS1_14partition_implILS8_3ELb0ES6_jNS0_17counting_iteratorIjlEEPS9_SE_NS0_5tupleIJPjSE_EEENSF_IJSE_SE_EEES9_SG_JZNS1_25segmented_radix_sort_implINS0_14default_configELb1EPK12hip_bfloat16PSL_PKlPlN2at6native12_GLOBAL__N_18offset_tEEE10hipError_tPvRmT1_PNSt15iterator_traitsISZ_E10value_typeET2_T3_PNS10_IS15_E10value_typeET4_jRbjT5_S1B_jjP12ihipStream_tbEUljE_EEESW_SX_SY_S15_S19_S1B_T6_T7_T9_mT8_S1D_bDpT10_ENKUlT_T0_E_clISt17integral_constantIbLb1EES1Q_EEDaS1L_S1M_EUlS1L_E_NS1_11comp_targetILNS1_3genE10ELNS1_11target_archE1200ELNS1_3gpuE4ELNS1_3repE0EEENS1_30default_config_static_selectorELNS0_4arch9wavefront6targetE1EEEvSZ_
    .private_segment_fixed_size: 0
    .sgpr_count:     4
    .sgpr_spill_count: 0
    .symbol:         _ZN7rocprim17ROCPRIM_400000_NS6detail17trampoline_kernelINS0_13select_configILj256ELj13ELNS0_17block_load_methodE3ELS4_3ELS4_3ELNS0_20block_scan_algorithmE0ELj4294967295EEENS1_25partition_config_selectorILNS1_17partition_subalgoE3EjNS0_10empty_typeEbEEZZNS1_14partition_implILS8_3ELb0ES6_jNS0_17counting_iteratorIjlEEPS9_SE_NS0_5tupleIJPjSE_EEENSF_IJSE_SE_EEES9_SG_JZNS1_25segmented_radix_sort_implINS0_14default_configELb1EPK12hip_bfloat16PSL_PKlPlN2at6native12_GLOBAL__N_18offset_tEEE10hipError_tPvRmT1_PNSt15iterator_traitsISZ_E10value_typeET2_T3_PNS10_IS15_E10value_typeET4_jRbjT5_S1B_jjP12ihipStream_tbEUljE_EEESW_SX_SY_S15_S19_S1B_T6_T7_T9_mT8_S1D_bDpT10_ENKUlT_T0_E_clISt17integral_constantIbLb1EES1Q_EEDaS1L_S1M_EUlS1L_E_NS1_11comp_targetILNS1_3genE10ELNS1_11target_archE1200ELNS1_3gpuE4ELNS1_3repE0EEENS1_30default_config_static_selectorELNS0_4arch9wavefront6targetE1EEEvSZ_.kd
    .uniform_work_group_size: 1
    .uses_dynamic_stack: false
    .vgpr_count:     0
    .vgpr_spill_count: 0
    .wavefront_size: 64
  - .agpr_count:     0
    .args:
      - .offset:         0
        .size:           152
        .value_kind:     by_value
    .group_segment_fixed_size: 0
    .kernarg_segment_align: 8
    .kernarg_segment_size: 152
    .language:       OpenCL C
    .language_version:
      - 2
      - 0
    .max_flat_workgroup_size: 256
    .name:           _ZN7rocprim17ROCPRIM_400000_NS6detail17trampoline_kernelINS0_13select_configILj256ELj13ELNS0_17block_load_methodE3ELS4_3ELS4_3ELNS0_20block_scan_algorithmE0ELj4294967295EEENS1_25partition_config_selectorILNS1_17partition_subalgoE3EjNS0_10empty_typeEbEEZZNS1_14partition_implILS8_3ELb0ES6_jNS0_17counting_iteratorIjlEEPS9_SE_NS0_5tupleIJPjSE_EEENSF_IJSE_SE_EEES9_SG_JZNS1_25segmented_radix_sort_implINS0_14default_configELb1EPK12hip_bfloat16PSL_PKlPlN2at6native12_GLOBAL__N_18offset_tEEE10hipError_tPvRmT1_PNSt15iterator_traitsISZ_E10value_typeET2_T3_PNS10_IS15_E10value_typeET4_jRbjT5_S1B_jjP12ihipStream_tbEUljE_EEESW_SX_SY_S15_S19_S1B_T6_T7_T9_mT8_S1D_bDpT10_ENKUlT_T0_E_clISt17integral_constantIbLb1EES1Q_EEDaS1L_S1M_EUlS1L_E_NS1_11comp_targetILNS1_3genE9ELNS1_11target_archE1100ELNS1_3gpuE3ELNS1_3repE0EEENS1_30default_config_static_selectorELNS0_4arch9wavefront6targetE1EEEvSZ_
    .private_segment_fixed_size: 0
    .sgpr_count:     4
    .sgpr_spill_count: 0
    .symbol:         _ZN7rocprim17ROCPRIM_400000_NS6detail17trampoline_kernelINS0_13select_configILj256ELj13ELNS0_17block_load_methodE3ELS4_3ELS4_3ELNS0_20block_scan_algorithmE0ELj4294967295EEENS1_25partition_config_selectorILNS1_17partition_subalgoE3EjNS0_10empty_typeEbEEZZNS1_14partition_implILS8_3ELb0ES6_jNS0_17counting_iteratorIjlEEPS9_SE_NS0_5tupleIJPjSE_EEENSF_IJSE_SE_EEES9_SG_JZNS1_25segmented_radix_sort_implINS0_14default_configELb1EPK12hip_bfloat16PSL_PKlPlN2at6native12_GLOBAL__N_18offset_tEEE10hipError_tPvRmT1_PNSt15iterator_traitsISZ_E10value_typeET2_T3_PNS10_IS15_E10value_typeET4_jRbjT5_S1B_jjP12ihipStream_tbEUljE_EEESW_SX_SY_S15_S19_S1B_T6_T7_T9_mT8_S1D_bDpT10_ENKUlT_T0_E_clISt17integral_constantIbLb1EES1Q_EEDaS1L_S1M_EUlS1L_E_NS1_11comp_targetILNS1_3genE9ELNS1_11target_archE1100ELNS1_3gpuE3ELNS1_3repE0EEENS1_30default_config_static_selectorELNS0_4arch9wavefront6targetE1EEEvSZ_.kd
    .uniform_work_group_size: 1
    .uses_dynamic_stack: false
    .vgpr_count:     0
    .vgpr_spill_count: 0
    .wavefront_size: 64
  - .agpr_count:     0
    .args:
      - .offset:         0
        .size:           152
        .value_kind:     by_value
    .group_segment_fixed_size: 0
    .kernarg_segment_align: 8
    .kernarg_segment_size: 152
    .language:       OpenCL C
    .language_version:
      - 2
      - 0
    .max_flat_workgroup_size: 256
    .name:           _ZN7rocprim17ROCPRIM_400000_NS6detail17trampoline_kernelINS0_13select_configILj256ELj13ELNS0_17block_load_methodE3ELS4_3ELS4_3ELNS0_20block_scan_algorithmE0ELj4294967295EEENS1_25partition_config_selectorILNS1_17partition_subalgoE3EjNS0_10empty_typeEbEEZZNS1_14partition_implILS8_3ELb0ES6_jNS0_17counting_iteratorIjlEEPS9_SE_NS0_5tupleIJPjSE_EEENSF_IJSE_SE_EEES9_SG_JZNS1_25segmented_radix_sort_implINS0_14default_configELb1EPK12hip_bfloat16PSL_PKlPlN2at6native12_GLOBAL__N_18offset_tEEE10hipError_tPvRmT1_PNSt15iterator_traitsISZ_E10value_typeET2_T3_PNS10_IS15_E10value_typeET4_jRbjT5_S1B_jjP12ihipStream_tbEUljE_EEESW_SX_SY_S15_S19_S1B_T6_T7_T9_mT8_S1D_bDpT10_ENKUlT_T0_E_clISt17integral_constantIbLb1EES1Q_EEDaS1L_S1M_EUlS1L_E_NS1_11comp_targetILNS1_3genE8ELNS1_11target_archE1030ELNS1_3gpuE2ELNS1_3repE0EEENS1_30default_config_static_selectorELNS0_4arch9wavefront6targetE1EEEvSZ_
    .private_segment_fixed_size: 0
    .sgpr_count:     4
    .sgpr_spill_count: 0
    .symbol:         _ZN7rocprim17ROCPRIM_400000_NS6detail17trampoline_kernelINS0_13select_configILj256ELj13ELNS0_17block_load_methodE3ELS4_3ELS4_3ELNS0_20block_scan_algorithmE0ELj4294967295EEENS1_25partition_config_selectorILNS1_17partition_subalgoE3EjNS0_10empty_typeEbEEZZNS1_14partition_implILS8_3ELb0ES6_jNS0_17counting_iteratorIjlEEPS9_SE_NS0_5tupleIJPjSE_EEENSF_IJSE_SE_EEES9_SG_JZNS1_25segmented_radix_sort_implINS0_14default_configELb1EPK12hip_bfloat16PSL_PKlPlN2at6native12_GLOBAL__N_18offset_tEEE10hipError_tPvRmT1_PNSt15iterator_traitsISZ_E10value_typeET2_T3_PNS10_IS15_E10value_typeET4_jRbjT5_S1B_jjP12ihipStream_tbEUljE_EEESW_SX_SY_S15_S19_S1B_T6_T7_T9_mT8_S1D_bDpT10_ENKUlT_T0_E_clISt17integral_constantIbLb1EES1Q_EEDaS1L_S1M_EUlS1L_E_NS1_11comp_targetILNS1_3genE8ELNS1_11target_archE1030ELNS1_3gpuE2ELNS1_3repE0EEENS1_30default_config_static_selectorELNS0_4arch9wavefront6targetE1EEEvSZ_.kd
    .uniform_work_group_size: 1
    .uses_dynamic_stack: false
    .vgpr_count:     0
    .vgpr_spill_count: 0
    .wavefront_size: 64
  - .agpr_count:     0
    .args:
      - .offset:         0
        .size:           144
        .value_kind:     by_value
    .group_segment_fixed_size: 0
    .kernarg_segment_align: 8
    .kernarg_segment_size: 144
    .language:       OpenCL C
    .language_version:
      - 2
      - 0
    .max_flat_workgroup_size: 256
    .name:           _ZN7rocprim17ROCPRIM_400000_NS6detail17trampoline_kernelINS0_13select_configILj256ELj13ELNS0_17block_load_methodE3ELS4_3ELS4_3ELNS0_20block_scan_algorithmE0ELj4294967295EEENS1_25partition_config_selectorILNS1_17partition_subalgoE3EjNS0_10empty_typeEbEEZZNS1_14partition_implILS8_3ELb0ES6_jNS0_17counting_iteratorIjlEEPS9_SE_NS0_5tupleIJPjSE_EEENSF_IJSE_SE_EEES9_SG_JZNS1_25segmented_radix_sort_implINS0_14default_configELb1EPK12hip_bfloat16PSL_PKlPlN2at6native12_GLOBAL__N_18offset_tEEE10hipError_tPvRmT1_PNSt15iterator_traitsISZ_E10value_typeET2_T3_PNS10_IS15_E10value_typeET4_jRbjT5_S1B_jjP12ihipStream_tbEUljE_EEESW_SX_SY_S15_S19_S1B_T6_T7_T9_mT8_S1D_bDpT10_ENKUlT_T0_E_clISt17integral_constantIbLb1EES1P_IbLb0EEEEDaS1L_S1M_EUlS1L_E_NS1_11comp_targetILNS1_3genE0ELNS1_11target_archE4294967295ELNS1_3gpuE0ELNS1_3repE0EEENS1_30default_config_static_selectorELNS0_4arch9wavefront6targetE1EEEvSZ_
    .private_segment_fixed_size: 0
    .sgpr_count:     4
    .sgpr_spill_count: 0
    .symbol:         _ZN7rocprim17ROCPRIM_400000_NS6detail17trampoline_kernelINS0_13select_configILj256ELj13ELNS0_17block_load_methodE3ELS4_3ELS4_3ELNS0_20block_scan_algorithmE0ELj4294967295EEENS1_25partition_config_selectorILNS1_17partition_subalgoE3EjNS0_10empty_typeEbEEZZNS1_14partition_implILS8_3ELb0ES6_jNS0_17counting_iteratorIjlEEPS9_SE_NS0_5tupleIJPjSE_EEENSF_IJSE_SE_EEES9_SG_JZNS1_25segmented_radix_sort_implINS0_14default_configELb1EPK12hip_bfloat16PSL_PKlPlN2at6native12_GLOBAL__N_18offset_tEEE10hipError_tPvRmT1_PNSt15iterator_traitsISZ_E10value_typeET2_T3_PNS10_IS15_E10value_typeET4_jRbjT5_S1B_jjP12ihipStream_tbEUljE_EEESW_SX_SY_S15_S19_S1B_T6_T7_T9_mT8_S1D_bDpT10_ENKUlT_T0_E_clISt17integral_constantIbLb1EES1P_IbLb0EEEEDaS1L_S1M_EUlS1L_E_NS1_11comp_targetILNS1_3genE0ELNS1_11target_archE4294967295ELNS1_3gpuE0ELNS1_3repE0EEENS1_30default_config_static_selectorELNS0_4arch9wavefront6targetE1EEEvSZ_.kd
    .uniform_work_group_size: 1
    .uses_dynamic_stack: false
    .vgpr_count:     0
    .vgpr_spill_count: 0
    .wavefront_size: 64
  - .agpr_count:     0
    .args:
      - .offset:         0
        .size:           144
        .value_kind:     by_value
    .group_segment_fixed_size: 0
    .kernarg_segment_align: 8
    .kernarg_segment_size: 144
    .language:       OpenCL C
    .language_version:
      - 2
      - 0
    .max_flat_workgroup_size: 256
    .name:           _ZN7rocprim17ROCPRIM_400000_NS6detail17trampoline_kernelINS0_13select_configILj256ELj13ELNS0_17block_load_methodE3ELS4_3ELS4_3ELNS0_20block_scan_algorithmE0ELj4294967295EEENS1_25partition_config_selectorILNS1_17partition_subalgoE3EjNS0_10empty_typeEbEEZZNS1_14partition_implILS8_3ELb0ES6_jNS0_17counting_iteratorIjlEEPS9_SE_NS0_5tupleIJPjSE_EEENSF_IJSE_SE_EEES9_SG_JZNS1_25segmented_radix_sort_implINS0_14default_configELb1EPK12hip_bfloat16PSL_PKlPlN2at6native12_GLOBAL__N_18offset_tEEE10hipError_tPvRmT1_PNSt15iterator_traitsISZ_E10value_typeET2_T3_PNS10_IS15_E10value_typeET4_jRbjT5_S1B_jjP12ihipStream_tbEUljE_EEESW_SX_SY_S15_S19_S1B_T6_T7_T9_mT8_S1D_bDpT10_ENKUlT_T0_E_clISt17integral_constantIbLb1EES1P_IbLb0EEEEDaS1L_S1M_EUlS1L_E_NS1_11comp_targetILNS1_3genE5ELNS1_11target_archE942ELNS1_3gpuE9ELNS1_3repE0EEENS1_30default_config_static_selectorELNS0_4arch9wavefront6targetE1EEEvSZ_
    .private_segment_fixed_size: 0
    .sgpr_count:     4
    .sgpr_spill_count: 0
    .symbol:         _ZN7rocprim17ROCPRIM_400000_NS6detail17trampoline_kernelINS0_13select_configILj256ELj13ELNS0_17block_load_methodE3ELS4_3ELS4_3ELNS0_20block_scan_algorithmE0ELj4294967295EEENS1_25partition_config_selectorILNS1_17partition_subalgoE3EjNS0_10empty_typeEbEEZZNS1_14partition_implILS8_3ELb0ES6_jNS0_17counting_iteratorIjlEEPS9_SE_NS0_5tupleIJPjSE_EEENSF_IJSE_SE_EEES9_SG_JZNS1_25segmented_radix_sort_implINS0_14default_configELb1EPK12hip_bfloat16PSL_PKlPlN2at6native12_GLOBAL__N_18offset_tEEE10hipError_tPvRmT1_PNSt15iterator_traitsISZ_E10value_typeET2_T3_PNS10_IS15_E10value_typeET4_jRbjT5_S1B_jjP12ihipStream_tbEUljE_EEESW_SX_SY_S15_S19_S1B_T6_T7_T9_mT8_S1D_bDpT10_ENKUlT_T0_E_clISt17integral_constantIbLb1EES1P_IbLb0EEEEDaS1L_S1M_EUlS1L_E_NS1_11comp_targetILNS1_3genE5ELNS1_11target_archE942ELNS1_3gpuE9ELNS1_3repE0EEENS1_30default_config_static_selectorELNS0_4arch9wavefront6targetE1EEEvSZ_.kd
    .uniform_work_group_size: 1
    .uses_dynamic_stack: false
    .vgpr_count:     0
    .vgpr_spill_count: 0
    .wavefront_size: 64
  - .agpr_count:     0
    .args:
      - .offset:         0
        .size:           144
        .value_kind:     by_value
    .group_segment_fixed_size: 13324
    .kernarg_segment_align: 8
    .kernarg_segment_size: 144
    .language:       OpenCL C
    .language_version:
      - 2
      - 0
    .max_flat_workgroup_size: 256
    .name:           _ZN7rocprim17ROCPRIM_400000_NS6detail17trampoline_kernelINS0_13select_configILj256ELj13ELNS0_17block_load_methodE3ELS4_3ELS4_3ELNS0_20block_scan_algorithmE0ELj4294967295EEENS1_25partition_config_selectorILNS1_17partition_subalgoE3EjNS0_10empty_typeEbEEZZNS1_14partition_implILS8_3ELb0ES6_jNS0_17counting_iteratorIjlEEPS9_SE_NS0_5tupleIJPjSE_EEENSF_IJSE_SE_EEES9_SG_JZNS1_25segmented_radix_sort_implINS0_14default_configELb1EPK12hip_bfloat16PSL_PKlPlN2at6native12_GLOBAL__N_18offset_tEEE10hipError_tPvRmT1_PNSt15iterator_traitsISZ_E10value_typeET2_T3_PNS10_IS15_E10value_typeET4_jRbjT5_S1B_jjP12ihipStream_tbEUljE_EEESW_SX_SY_S15_S19_S1B_T6_T7_T9_mT8_S1D_bDpT10_ENKUlT_T0_E_clISt17integral_constantIbLb1EES1P_IbLb0EEEEDaS1L_S1M_EUlS1L_E_NS1_11comp_targetILNS1_3genE4ELNS1_11target_archE910ELNS1_3gpuE8ELNS1_3repE0EEENS1_30default_config_static_selectorELNS0_4arch9wavefront6targetE1EEEvSZ_
    .private_segment_fixed_size: 0
    .sgpr_count:     50
    .sgpr_spill_count: 0
    .symbol:         _ZN7rocprim17ROCPRIM_400000_NS6detail17trampoline_kernelINS0_13select_configILj256ELj13ELNS0_17block_load_methodE3ELS4_3ELS4_3ELNS0_20block_scan_algorithmE0ELj4294967295EEENS1_25partition_config_selectorILNS1_17partition_subalgoE3EjNS0_10empty_typeEbEEZZNS1_14partition_implILS8_3ELb0ES6_jNS0_17counting_iteratorIjlEEPS9_SE_NS0_5tupleIJPjSE_EEENSF_IJSE_SE_EEES9_SG_JZNS1_25segmented_radix_sort_implINS0_14default_configELb1EPK12hip_bfloat16PSL_PKlPlN2at6native12_GLOBAL__N_18offset_tEEE10hipError_tPvRmT1_PNSt15iterator_traitsISZ_E10value_typeET2_T3_PNS10_IS15_E10value_typeET4_jRbjT5_S1B_jjP12ihipStream_tbEUljE_EEESW_SX_SY_S15_S19_S1B_T6_T7_T9_mT8_S1D_bDpT10_ENKUlT_T0_E_clISt17integral_constantIbLb1EES1P_IbLb0EEEEDaS1L_S1M_EUlS1L_E_NS1_11comp_targetILNS1_3genE4ELNS1_11target_archE910ELNS1_3gpuE8ELNS1_3repE0EEENS1_30default_config_static_selectorELNS0_4arch9wavefront6targetE1EEEvSZ_.kd
    .uniform_work_group_size: 1
    .uses_dynamic_stack: false
    .vgpr_count:     61
    .vgpr_spill_count: 0
    .wavefront_size: 64
  - .agpr_count:     0
    .args:
      - .offset:         0
        .size:           144
        .value_kind:     by_value
    .group_segment_fixed_size: 0
    .kernarg_segment_align: 8
    .kernarg_segment_size: 144
    .language:       OpenCL C
    .language_version:
      - 2
      - 0
    .max_flat_workgroup_size: 256
    .name:           _ZN7rocprim17ROCPRIM_400000_NS6detail17trampoline_kernelINS0_13select_configILj256ELj13ELNS0_17block_load_methodE3ELS4_3ELS4_3ELNS0_20block_scan_algorithmE0ELj4294967295EEENS1_25partition_config_selectorILNS1_17partition_subalgoE3EjNS0_10empty_typeEbEEZZNS1_14partition_implILS8_3ELb0ES6_jNS0_17counting_iteratorIjlEEPS9_SE_NS0_5tupleIJPjSE_EEENSF_IJSE_SE_EEES9_SG_JZNS1_25segmented_radix_sort_implINS0_14default_configELb1EPK12hip_bfloat16PSL_PKlPlN2at6native12_GLOBAL__N_18offset_tEEE10hipError_tPvRmT1_PNSt15iterator_traitsISZ_E10value_typeET2_T3_PNS10_IS15_E10value_typeET4_jRbjT5_S1B_jjP12ihipStream_tbEUljE_EEESW_SX_SY_S15_S19_S1B_T6_T7_T9_mT8_S1D_bDpT10_ENKUlT_T0_E_clISt17integral_constantIbLb1EES1P_IbLb0EEEEDaS1L_S1M_EUlS1L_E_NS1_11comp_targetILNS1_3genE3ELNS1_11target_archE908ELNS1_3gpuE7ELNS1_3repE0EEENS1_30default_config_static_selectorELNS0_4arch9wavefront6targetE1EEEvSZ_
    .private_segment_fixed_size: 0
    .sgpr_count:     4
    .sgpr_spill_count: 0
    .symbol:         _ZN7rocprim17ROCPRIM_400000_NS6detail17trampoline_kernelINS0_13select_configILj256ELj13ELNS0_17block_load_methodE3ELS4_3ELS4_3ELNS0_20block_scan_algorithmE0ELj4294967295EEENS1_25partition_config_selectorILNS1_17partition_subalgoE3EjNS0_10empty_typeEbEEZZNS1_14partition_implILS8_3ELb0ES6_jNS0_17counting_iteratorIjlEEPS9_SE_NS0_5tupleIJPjSE_EEENSF_IJSE_SE_EEES9_SG_JZNS1_25segmented_radix_sort_implINS0_14default_configELb1EPK12hip_bfloat16PSL_PKlPlN2at6native12_GLOBAL__N_18offset_tEEE10hipError_tPvRmT1_PNSt15iterator_traitsISZ_E10value_typeET2_T3_PNS10_IS15_E10value_typeET4_jRbjT5_S1B_jjP12ihipStream_tbEUljE_EEESW_SX_SY_S15_S19_S1B_T6_T7_T9_mT8_S1D_bDpT10_ENKUlT_T0_E_clISt17integral_constantIbLb1EES1P_IbLb0EEEEDaS1L_S1M_EUlS1L_E_NS1_11comp_targetILNS1_3genE3ELNS1_11target_archE908ELNS1_3gpuE7ELNS1_3repE0EEENS1_30default_config_static_selectorELNS0_4arch9wavefront6targetE1EEEvSZ_.kd
    .uniform_work_group_size: 1
    .uses_dynamic_stack: false
    .vgpr_count:     0
    .vgpr_spill_count: 0
    .wavefront_size: 64
  - .agpr_count:     0
    .args:
      - .offset:         0
        .size:           144
        .value_kind:     by_value
    .group_segment_fixed_size: 0
    .kernarg_segment_align: 8
    .kernarg_segment_size: 144
    .language:       OpenCL C
    .language_version:
      - 2
      - 0
    .max_flat_workgroup_size: 256
    .name:           _ZN7rocprim17ROCPRIM_400000_NS6detail17trampoline_kernelINS0_13select_configILj256ELj13ELNS0_17block_load_methodE3ELS4_3ELS4_3ELNS0_20block_scan_algorithmE0ELj4294967295EEENS1_25partition_config_selectorILNS1_17partition_subalgoE3EjNS0_10empty_typeEbEEZZNS1_14partition_implILS8_3ELb0ES6_jNS0_17counting_iteratorIjlEEPS9_SE_NS0_5tupleIJPjSE_EEENSF_IJSE_SE_EEES9_SG_JZNS1_25segmented_radix_sort_implINS0_14default_configELb1EPK12hip_bfloat16PSL_PKlPlN2at6native12_GLOBAL__N_18offset_tEEE10hipError_tPvRmT1_PNSt15iterator_traitsISZ_E10value_typeET2_T3_PNS10_IS15_E10value_typeET4_jRbjT5_S1B_jjP12ihipStream_tbEUljE_EEESW_SX_SY_S15_S19_S1B_T6_T7_T9_mT8_S1D_bDpT10_ENKUlT_T0_E_clISt17integral_constantIbLb1EES1P_IbLb0EEEEDaS1L_S1M_EUlS1L_E_NS1_11comp_targetILNS1_3genE2ELNS1_11target_archE906ELNS1_3gpuE6ELNS1_3repE0EEENS1_30default_config_static_selectorELNS0_4arch9wavefront6targetE1EEEvSZ_
    .private_segment_fixed_size: 0
    .sgpr_count:     4
    .sgpr_spill_count: 0
    .symbol:         _ZN7rocprim17ROCPRIM_400000_NS6detail17trampoline_kernelINS0_13select_configILj256ELj13ELNS0_17block_load_methodE3ELS4_3ELS4_3ELNS0_20block_scan_algorithmE0ELj4294967295EEENS1_25partition_config_selectorILNS1_17partition_subalgoE3EjNS0_10empty_typeEbEEZZNS1_14partition_implILS8_3ELb0ES6_jNS0_17counting_iteratorIjlEEPS9_SE_NS0_5tupleIJPjSE_EEENSF_IJSE_SE_EEES9_SG_JZNS1_25segmented_radix_sort_implINS0_14default_configELb1EPK12hip_bfloat16PSL_PKlPlN2at6native12_GLOBAL__N_18offset_tEEE10hipError_tPvRmT1_PNSt15iterator_traitsISZ_E10value_typeET2_T3_PNS10_IS15_E10value_typeET4_jRbjT5_S1B_jjP12ihipStream_tbEUljE_EEESW_SX_SY_S15_S19_S1B_T6_T7_T9_mT8_S1D_bDpT10_ENKUlT_T0_E_clISt17integral_constantIbLb1EES1P_IbLb0EEEEDaS1L_S1M_EUlS1L_E_NS1_11comp_targetILNS1_3genE2ELNS1_11target_archE906ELNS1_3gpuE6ELNS1_3repE0EEENS1_30default_config_static_selectorELNS0_4arch9wavefront6targetE1EEEvSZ_.kd
    .uniform_work_group_size: 1
    .uses_dynamic_stack: false
    .vgpr_count:     0
    .vgpr_spill_count: 0
    .wavefront_size: 64
  - .agpr_count:     0
    .args:
      - .offset:         0
        .size:           144
        .value_kind:     by_value
    .group_segment_fixed_size: 0
    .kernarg_segment_align: 8
    .kernarg_segment_size: 144
    .language:       OpenCL C
    .language_version:
      - 2
      - 0
    .max_flat_workgroup_size: 256
    .name:           _ZN7rocprim17ROCPRIM_400000_NS6detail17trampoline_kernelINS0_13select_configILj256ELj13ELNS0_17block_load_methodE3ELS4_3ELS4_3ELNS0_20block_scan_algorithmE0ELj4294967295EEENS1_25partition_config_selectorILNS1_17partition_subalgoE3EjNS0_10empty_typeEbEEZZNS1_14partition_implILS8_3ELb0ES6_jNS0_17counting_iteratorIjlEEPS9_SE_NS0_5tupleIJPjSE_EEENSF_IJSE_SE_EEES9_SG_JZNS1_25segmented_radix_sort_implINS0_14default_configELb1EPK12hip_bfloat16PSL_PKlPlN2at6native12_GLOBAL__N_18offset_tEEE10hipError_tPvRmT1_PNSt15iterator_traitsISZ_E10value_typeET2_T3_PNS10_IS15_E10value_typeET4_jRbjT5_S1B_jjP12ihipStream_tbEUljE_EEESW_SX_SY_S15_S19_S1B_T6_T7_T9_mT8_S1D_bDpT10_ENKUlT_T0_E_clISt17integral_constantIbLb1EES1P_IbLb0EEEEDaS1L_S1M_EUlS1L_E_NS1_11comp_targetILNS1_3genE10ELNS1_11target_archE1200ELNS1_3gpuE4ELNS1_3repE0EEENS1_30default_config_static_selectorELNS0_4arch9wavefront6targetE1EEEvSZ_
    .private_segment_fixed_size: 0
    .sgpr_count:     4
    .sgpr_spill_count: 0
    .symbol:         _ZN7rocprim17ROCPRIM_400000_NS6detail17trampoline_kernelINS0_13select_configILj256ELj13ELNS0_17block_load_methodE3ELS4_3ELS4_3ELNS0_20block_scan_algorithmE0ELj4294967295EEENS1_25partition_config_selectorILNS1_17partition_subalgoE3EjNS0_10empty_typeEbEEZZNS1_14partition_implILS8_3ELb0ES6_jNS0_17counting_iteratorIjlEEPS9_SE_NS0_5tupleIJPjSE_EEENSF_IJSE_SE_EEES9_SG_JZNS1_25segmented_radix_sort_implINS0_14default_configELb1EPK12hip_bfloat16PSL_PKlPlN2at6native12_GLOBAL__N_18offset_tEEE10hipError_tPvRmT1_PNSt15iterator_traitsISZ_E10value_typeET2_T3_PNS10_IS15_E10value_typeET4_jRbjT5_S1B_jjP12ihipStream_tbEUljE_EEESW_SX_SY_S15_S19_S1B_T6_T7_T9_mT8_S1D_bDpT10_ENKUlT_T0_E_clISt17integral_constantIbLb1EES1P_IbLb0EEEEDaS1L_S1M_EUlS1L_E_NS1_11comp_targetILNS1_3genE10ELNS1_11target_archE1200ELNS1_3gpuE4ELNS1_3repE0EEENS1_30default_config_static_selectorELNS0_4arch9wavefront6targetE1EEEvSZ_.kd
    .uniform_work_group_size: 1
    .uses_dynamic_stack: false
    .vgpr_count:     0
    .vgpr_spill_count: 0
    .wavefront_size: 64
  - .agpr_count:     0
    .args:
      - .offset:         0
        .size:           144
        .value_kind:     by_value
    .group_segment_fixed_size: 0
    .kernarg_segment_align: 8
    .kernarg_segment_size: 144
    .language:       OpenCL C
    .language_version:
      - 2
      - 0
    .max_flat_workgroup_size: 256
    .name:           _ZN7rocprim17ROCPRIM_400000_NS6detail17trampoline_kernelINS0_13select_configILj256ELj13ELNS0_17block_load_methodE3ELS4_3ELS4_3ELNS0_20block_scan_algorithmE0ELj4294967295EEENS1_25partition_config_selectorILNS1_17partition_subalgoE3EjNS0_10empty_typeEbEEZZNS1_14partition_implILS8_3ELb0ES6_jNS0_17counting_iteratorIjlEEPS9_SE_NS0_5tupleIJPjSE_EEENSF_IJSE_SE_EEES9_SG_JZNS1_25segmented_radix_sort_implINS0_14default_configELb1EPK12hip_bfloat16PSL_PKlPlN2at6native12_GLOBAL__N_18offset_tEEE10hipError_tPvRmT1_PNSt15iterator_traitsISZ_E10value_typeET2_T3_PNS10_IS15_E10value_typeET4_jRbjT5_S1B_jjP12ihipStream_tbEUljE_EEESW_SX_SY_S15_S19_S1B_T6_T7_T9_mT8_S1D_bDpT10_ENKUlT_T0_E_clISt17integral_constantIbLb1EES1P_IbLb0EEEEDaS1L_S1M_EUlS1L_E_NS1_11comp_targetILNS1_3genE9ELNS1_11target_archE1100ELNS1_3gpuE3ELNS1_3repE0EEENS1_30default_config_static_selectorELNS0_4arch9wavefront6targetE1EEEvSZ_
    .private_segment_fixed_size: 0
    .sgpr_count:     4
    .sgpr_spill_count: 0
    .symbol:         _ZN7rocprim17ROCPRIM_400000_NS6detail17trampoline_kernelINS0_13select_configILj256ELj13ELNS0_17block_load_methodE3ELS4_3ELS4_3ELNS0_20block_scan_algorithmE0ELj4294967295EEENS1_25partition_config_selectorILNS1_17partition_subalgoE3EjNS0_10empty_typeEbEEZZNS1_14partition_implILS8_3ELb0ES6_jNS0_17counting_iteratorIjlEEPS9_SE_NS0_5tupleIJPjSE_EEENSF_IJSE_SE_EEES9_SG_JZNS1_25segmented_radix_sort_implINS0_14default_configELb1EPK12hip_bfloat16PSL_PKlPlN2at6native12_GLOBAL__N_18offset_tEEE10hipError_tPvRmT1_PNSt15iterator_traitsISZ_E10value_typeET2_T3_PNS10_IS15_E10value_typeET4_jRbjT5_S1B_jjP12ihipStream_tbEUljE_EEESW_SX_SY_S15_S19_S1B_T6_T7_T9_mT8_S1D_bDpT10_ENKUlT_T0_E_clISt17integral_constantIbLb1EES1P_IbLb0EEEEDaS1L_S1M_EUlS1L_E_NS1_11comp_targetILNS1_3genE9ELNS1_11target_archE1100ELNS1_3gpuE3ELNS1_3repE0EEENS1_30default_config_static_selectorELNS0_4arch9wavefront6targetE1EEEvSZ_.kd
    .uniform_work_group_size: 1
    .uses_dynamic_stack: false
    .vgpr_count:     0
    .vgpr_spill_count: 0
    .wavefront_size: 64
  - .agpr_count:     0
    .args:
      - .offset:         0
        .size:           144
        .value_kind:     by_value
    .group_segment_fixed_size: 0
    .kernarg_segment_align: 8
    .kernarg_segment_size: 144
    .language:       OpenCL C
    .language_version:
      - 2
      - 0
    .max_flat_workgroup_size: 256
    .name:           _ZN7rocprim17ROCPRIM_400000_NS6detail17trampoline_kernelINS0_13select_configILj256ELj13ELNS0_17block_load_methodE3ELS4_3ELS4_3ELNS0_20block_scan_algorithmE0ELj4294967295EEENS1_25partition_config_selectorILNS1_17partition_subalgoE3EjNS0_10empty_typeEbEEZZNS1_14partition_implILS8_3ELb0ES6_jNS0_17counting_iteratorIjlEEPS9_SE_NS0_5tupleIJPjSE_EEENSF_IJSE_SE_EEES9_SG_JZNS1_25segmented_radix_sort_implINS0_14default_configELb1EPK12hip_bfloat16PSL_PKlPlN2at6native12_GLOBAL__N_18offset_tEEE10hipError_tPvRmT1_PNSt15iterator_traitsISZ_E10value_typeET2_T3_PNS10_IS15_E10value_typeET4_jRbjT5_S1B_jjP12ihipStream_tbEUljE_EEESW_SX_SY_S15_S19_S1B_T6_T7_T9_mT8_S1D_bDpT10_ENKUlT_T0_E_clISt17integral_constantIbLb1EES1P_IbLb0EEEEDaS1L_S1M_EUlS1L_E_NS1_11comp_targetILNS1_3genE8ELNS1_11target_archE1030ELNS1_3gpuE2ELNS1_3repE0EEENS1_30default_config_static_selectorELNS0_4arch9wavefront6targetE1EEEvSZ_
    .private_segment_fixed_size: 0
    .sgpr_count:     4
    .sgpr_spill_count: 0
    .symbol:         _ZN7rocprim17ROCPRIM_400000_NS6detail17trampoline_kernelINS0_13select_configILj256ELj13ELNS0_17block_load_methodE3ELS4_3ELS4_3ELNS0_20block_scan_algorithmE0ELj4294967295EEENS1_25partition_config_selectorILNS1_17partition_subalgoE3EjNS0_10empty_typeEbEEZZNS1_14partition_implILS8_3ELb0ES6_jNS0_17counting_iteratorIjlEEPS9_SE_NS0_5tupleIJPjSE_EEENSF_IJSE_SE_EEES9_SG_JZNS1_25segmented_radix_sort_implINS0_14default_configELb1EPK12hip_bfloat16PSL_PKlPlN2at6native12_GLOBAL__N_18offset_tEEE10hipError_tPvRmT1_PNSt15iterator_traitsISZ_E10value_typeET2_T3_PNS10_IS15_E10value_typeET4_jRbjT5_S1B_jjP12ihipStream_tbEUljE_EEESW_SX_SY_S15_S19_S1B_T6_T7_T9_mT8_S1D_bDpT10_ENKUlT_T0_E_clISt17integral_constantIbLb1EES1P_IbLb0EEEEDaS1L_S1M_EUlS1L_E_NS1_11comp_targetILNS1_3genE8ELNS1_11target_archE1030ELNS1_3gpuE2ELNS1_3repE0EEENS1_30default_config_static_selectorELNS0_4arch9wavefront6targetE1EEEvSZ_.kd
    .uniform_work_group_size: 1
    .uses_dynamic_stack: false
    .vgpr_count:     0
    .vgpr_spill_count: 0
    .wavefront_size: 64
  - .agpr_count:     0
    .args:
      - .offset:         0
        .size:           152
        .value_kind:     by_value
    .group_segment_fixed_size: 0
    .kernarg_segment_align: 8
    .kernarg_segment_size: 152
    .language:       OpenCL C
    .language_version:
      - 2
      - 0
    .max_flat_workgroup_size: 256
    .name:           _ZN7rocprim17ROCPRIM_400000_NS6detail17trampoline_kernelINS0_13select_configILj256ELj13ELNS0_17block_load_methodE3ELS4_3ELS4_3ELNS0_20block_scan_algorithmE0ELj4294967295EEENS1_25partition_config_selectorILNS1_17partition_subalgoE3EjNS0_10empty_typeEbEEZZNS1_14partition_implILS8_3ELb0ES6_jNS0_17counting_iteratorIjlEEPS9_SE_NS0_5tupleIJPjSE_EEENSF_IJSE_SE_EEES9_SG_JZNS1_25segmented_radix_sort_implINS0_14default_configELb1EPK12hip_bfloat16PSL_PKlPlN2at6native12_GLOBAL__N_18offset_tEEE10hipError_tPvRmT1_PNSt15iterator_traitsISZ_E10value_typeET2_T3_PNS10_IS15_E10value_typeET4_jRbjT5_S1B_jjP12ihipStream_tbEUljE_EEESW_SX_SY_S15_S19_S1B_T6_T7_T9_mT8_S1D_bDpT10_ENKUlT_T0_E_clISt17integral_constantIbLb0EES1P_IbLb1EEEEDaS1L_S1M_EUlS1L_E_NS1_11comp_targetILNS1_3genE0ELNS1_11target_archE4294967295ELNS1_3gpuE0ELNS1_3repE0EEENS1_30default_config_static_selectorELNS0_4arch9wavefront6targetE1EEEvSZ_
    .private_segment_fixed_size: 0
    .sgpr_count:     4
    .sgpr_spill_count: 0
    .symbol:         _ZN7rocprim17ROCPRIM_400000_NS6detail17trampoline_kernelINS0_13select_configILj256ELj13ELNS0_17block_load_methodE3ELS4_3ELS4_3ELNS0_20block_scan_algorithmE0ELj4294967295EEENS1_25partition_config_selectorILNS1_17partition_subalgoE3EjNS0_10empty_typeEbEEZZNS1_14partition_implILS8_3ELb0ES6_jNS0_17counting_iteratorIjlEEPS9_SE_NS0_5tupleIJPjSE_EEENSF_IJSE_SE_EEES9_SG_JZNS1_25segmented_radix_sort_implINS0_14default_configELb1EPK12hip_bfloat16PSL_PKlPlN2at6native12_GLOBAL__N_18offset_tEEE10hipError_tPvRmT1_PNSt15iterator_traitsISZ_E10value_typeET2_T3_PNS10_IS15_E10value_typeET4_jRbjT5_S1B_jjP12ihipStream_tbEUljE_EEESW_SX_SY_S15_S19_S1B_T6_T7_T9_mT8_S1D_bDpT10_ENKUlT_T0_E_clISt17integral_constantIbLb0EES1P_IbLb1EEEEDaS1L_S1M_EUlS1L_E_NS1_11comp_targetILNS1_3genE0ELNS1_11target_archE4294967295ELNS1_3gpuE0ELNS1_3repE0EEENS1_30default_config_static_selectorELNS0_4arch9wavefront6targetE1EEEvSZ_.kd
    .uniform_work_group_size: 1
    .uses_dynamic_stack: false
    .vgpr_count:     0
    .vgpr_spill_count: 0
    .wavefront_size: 64
  - .agpr_count:     0
    .args:
      - .offset:         0
        .size:           152
        .value_kind:     by_value
    .group_segment_fixed_size: 0
    .kernarg_segment_align: 8
    .kernarg_segment_size: 152
    .language:       OpenCL C
    .language_version:
      - 2
      - 0
    .max_flat_workgroup_size: 256
    .name:           _ZN7rocprim17ROCPRIM_400000_NS6detail17trampoline_kernelINS0_13select_configILj256ELj13ELNS0_17block_load_methodE3ELS4_3ELS4_3ELNS0_20block_scan_algorithmE0ELj4294967295EEENS1_25partition_config_selectorILNS1_17partition_subalgoE3EjNS0_10empty_typeEbEEZZNS1_14partition_implILS8_3ELb0ES6_jNS0_17counting_iteratorIjlEEPS9_SE_NS0_5tupleIJPjSE_EEENSF_IJSE_SE_EEES9_SG_JZNS1_25segmented_radix_sort_implINS0_14default_configELb1EPK12hip_bfloat16PSL_PKlPlN2at6native12_GLOBAL__N_18offset_tEEE10hipError_tPvRmT1_PNSt15iterator_traitsISZ_E10value_typeET2_T3_PNS10_IS15_E10value_typeET4_jRbjT5_S1B_jjP12ihipStream_tbEUljE_EEESW_SX_SY_S15_S19_S1B_T6_T7_T9_mT8_S1D_bDpT10_ENKUlT_T0_E_clISt17integral_constantIbLb0EES1P_IbLb1EEEEDaS1L_S1M_EUlS1L_E_NS1_11comp_targetILNS1_3genE5ELNS1_11target_archE942ELNS1_3gpuE9ELNS1_3repE0EEENS1_30default_config_static_selectorELNS0_4arch9wavefront6targetE1EEEvSZ_
    .private_segment_fixed_size: 0
    .sgpr_count:     4
    .sgpr_spill_count: 0
    .symbol:         _ZN7rocprim17ROCPRIM_400000_NS6detail17trampoline_kernelINS0_13select_configILj256ELj13ELNS0_17block_load_methodE3ELS4_3ELS4_3ELNS0_20block_scan_algorithmE0ELj4294967295EEENS1_25partition_config_selectorILNS1_17partition_subalgoE3EjNS0_10empty_typeEbEEZZNS1_14partition_implILS8_3ELb0ES6_jNS0_17counting_iteratorIjlEEPS9_SE_NS0_5tupleIJPjSE_EEENSF_IJSE_SE_EEES9_SG_JZNS1_25segmented_radix_sort_implINS0_14default_configELb1EPK12hip_bfloat16PSL_PKlPlN2at6native12_GLOBAL__N_18offset_tEEE10hipError_tPvRmT1_PNSt15iterator_traitsISZ_E10value_typeET2_T3_PNS10_IS15_E10value_typeET4_jRbjT5_S1B_jjP12ihipStream_tbEUljE_EEESW_SX_SY_S15_S19_S1B_T6_T7_T9_mT8_S1D_bDpT10_ENKUlT_T0_E_clISt17integral_constantIbLb0EES1P_IbLb1EEEEDaS1L_S1M_EUlS1L_E_NS1_11comp_targetILNS1_3genE5ELNS1_11target_archE942ELNS1_3gpuE9ELNS1_3repE0EEENS1_30default_config_static_selectorELNS0_4arch9wavefront6targetE1EEEvSZ_.kd
    .uniform_work_group_size: 1
    .uses_dynamic_stack: false
    .vgpr_count:     0
    .vgpr_spill_count: 0
    .wavefront_size: 64
  - .agpr_count:     0
    .args:
      - .offset:         0
        .size:           152
        .value_kind:     by_value
    .group_segment_fixed_size: 13324
    .kernarg_segment_align: 8
    .kernarg_segment_size: 152
    .language:       OpenCL C
    .language_version:
      - 2
      - 0
    .max_flat_workgroup_size: 256
    .name:           _ZN7rocprim17ROCPRIM_400000_NS6detail17trampoline_kernelINS0_13select_configILj256ELj13ELNS0_17block_load_methodE3ELS4_3ELS4_3ELNS0_20block_scan_algorithmE0ELj4294967295EEENS1_25partition_config_selectorILNS1_17partition_subalgoE3EjNS0_10empty_typeEbEEZZNS1_14partition_implILS8_3ELb0ES6_jNS0_17counting_iteratorIjlEEPS9_SE_NS0_5tupleIJPjSE_EEENSF_IJSE_SE_EEES9_SG_JZNS1_25segmented_radix_sort_implINS0_14default_configELb1EPK12hip_bfloat16PSL_PKlPlN2at6native12_GLOBAL__N_18offset_tEEE10hipError_tPvRmT1_PNSt15iterator_traitsISZ_E10value_typeET2_T3_PNS10_IS15_E10value_typeET4_jRbjT5_S1B_jjP12ihipStream_tbEUljE_EEESW_SX_SY_S15_S19_S1B_T6_T7_T9_mT8_S1D_bDpT10_ENKUlT_T0_E_clISt17integral_constantIbLb0EES1P_IbLb1EEEEDaS1L_S1M_EUlS1L_E_NS1_11comp_targetILNS1_3genE4ELNS1_11target_archE910ELNS1_3gpuE8ELNS1_3repE0EEENS1_30default_config_static_selectorELNS0_4arch9wavefront6targetE1EEEvSZ_
    .private_segment_fixed_size: 0
    .sgpr_count:     48
    .sgpr_spill_count: 0
    .symbol:         _ZN7rocprim17ROCPRIM_400000_NS6detail17trampoline_kernelINS0_13select_configILj256ELj13ELNS0_17block_load_methodE3ELS4_3ELS4_3ELNS0_20block_scan_algorithmE0ELj4294967295EEENS1_25partition_config_selectorILNS1_17partition_subalgoE3EjNS0_10empty_typeEbEEZZNS1_14partition_implILS8_3ELb0ES6_jNS0_17counting_iteratorIjlEEPS9_SE_NS0_5tupleIJPjSE_EEENSF_IJSE_SE_EEES9_SG_JZNS1_25segmented_radix_sort_implINS0_14default_configELb1EPK12hip_bfloat16PSL_PKlPlN2at6native12_GLOBAL__N_18offset_tEEE10hipError_tPvRmT1_PNSt15iterator_traitsISZ_E10value_typeET2_T3_PNS10_IS15_E10value_typeET4_jRbjT5_S1B_jjP12ihipStream_tbEUljE_EEESW_SX_SY_S15_S19_S1B_T6_T7_T9_mT8_S1D_bDpT10_ENKUlT_T0_E_clISt17integral_constantIbLb0EES1P_IbLb1EEEEDaS1L_S1M_EUlS1L_E_NS1_11comp_targetILNS1_3genE4ELNS1_11target_archE910ELNS1_3gpuE8ELNS1_3repE0EEENS1_30default_config_static_selectorELNS0_4arch9wavefront6targetE1EEEvSZ_.kd
    .uniform_work_group_size: 1
    .uses_dynamic_stack: false
    .vgpr_count:     64
    .vgpr_spill_count: 0
    .wavefront_size: 64
  - .agpr_count:     0
    .args:
      - .offset:         0
        .size:           152
        .value_kind:     by_value
    .group_segment_fixed_size: 0
    .kernarg_segment_align: 8
    .kernarg_segment_size: 152
    .language:       OpenCL C
    .language_version:
      - 2
      - 0
    .max_flat_workgroup_size: 256
    .name:           _ZN7rocprim17ROCPRIM_400000_NS6detail17trampoline_kernelINS0_13select_configILj256ELj13ELNS0_17block_load_methodE3ELS4_3ELS4_3ELNS0_20block_scan_algorithmE0ELj4294967295EEENS1_25partition_config_selectorILNS1_17partition_subalgoE3EjNS0_10empty_typeEbEEZZNS1_14partition_implILS8_3ELb0ES6_jNS0_17counting_iteratorIjlEEPS9_SE_NS0_5tupleIJPjSE_EEENSF_IJSE_SE_EEES9_SG_JZNS1_25segmented_radix_sort_implINS0_14default_configELb1EPK12hip_bfloat16PSL_PKlPlN2at6native12_GLOBAL__N_18offset_tEEE10hipError_tPvRmT1_PNSt15iterator_traitsISZ_E10value_typeET2_T3_PNS10_IS15_E10value_typeET4_jRbjT5_S1B_jjP12ihipStream_tbEUljE_EEESW_SX_SY_S15_S19_S1B_T6_T7_T9_mT8_S1D_bDpT10_ENKUlT_T0_E_clISt17integral_constantIbLb0EES1P_IbLb1EEEEDaS1L_S1M_EUlS1L_E_NS1_11comp_targetILNS1_3genE3ELNS1_11target_archE908ELNS1_3gpuE7ELNS1_3repE0EEENS1_30default_config_static_selectorELNS0_4arch9wavefront6targetE1EEEvSZ_
    .private_segment_fixed_size: 0
    .sgpr_count:     4
    .sgpr_spill_count: 0
    .symbol:         _ZN7rocprim17ROCPRIM_400000_NS6detail17trampoline_kernelINS0_13select_configILj256ELj13ELNS0_17block_load_methodE3ELS4_3ELS4_3ELNS0_20block_scan_algorithmE0ELj4294967295EEENS1_25partition_config_selectorILNS1_17partition_subalgoE3EjNS0_10empty_typeEbEEZZNS1_14partition_implILS8_3ELb0ES6_jNS0_17counting_iteratorIjlEEPS9_SE_NS0_5tupleIJPjSE_EEENSF_IJSE_SE_EEES9_SG_JZNS1_25segmented_radix_sort_implINS0_14default_configELb1EPK12hip_bfloat16PSL_PKlPlN2at6native12_GLOBAL__N_18offset_tEEE10hipError_tPvRmT1_PNSt15iterator_traitsISZ_E10value_typeET2_T3_PNS10_IS15_E10value_typeET4_jRbjT5_S1B_jjP12ihipStream_tbEUljE_EEESW_SX_SY_S15_S19_S1B_T6_T7_T9_mT8_S1D_bDpT10_ENKUlT_T0_E_clISt17integral_constantIbLb0EES1P_IbLb1EEEEDaS1L_S1M_EUlS1L_E_NS1_11comp_targetILNS1_3genE3ELNS1_11target_archE908ELNS1_3gpuE7ELNS1_3repE0EEENS1_30default_config_static_selectorELNS0_4arch9wavefront6targetE1EEEvSZ_.kd
    .uniform_work_group_size: 1
    .uses_dynamic_stack: false
    .vgpr_count:     0
    .vgpr_spill_count: 0
    .wavefront_size: 64
  - .agpr_count:     0
    .args:
      - .offset:         0
        .size:           152
        .value_kind:     by_value
    .group_segment_fixed_size: 0
    .kernarg_segment_align: 8
    .kernarg_segment_size: 152
    .language:       OpenCL C
    .language_version:
      - 2
      - 0
    .max_flat_workgroup_size: 256
    .name:           _ZN7rocprim17ROCPRIM_400000_NS6detail17trampoline_kernelINS0_13select_configILj256ELj13ELNS0_17block_load_methodE3ELS4_3ELS4_3ELNS0_20block_scan_algorithmE0ELj4294967295EEENS1_25partition_config_selectorILNS1_17partition_subalgoE3EjNS0_10empty_typeEbEEZZNS1_14partition_implILS8_3ELb0ES6_jNS0_17counting_iteratorIjlEEPS9_SE_NS0_5tupleIJPjSE_EEENSF_IJSE_SE_EEES9_SG_JZNS1_25segmented_radix_sort_implINS0_14default_configELb1EPK12hip_bfloat16PSL_PKlPlN2at6native12_GLOBAL__N_18offset_tEEE10hipError_tPvRmT1_PNSt15iterator_traitsISZ_E10value_typeET2_T3_PNS10_IS15_E10value_typeET4_jRbjT5_S1B_jjP12ihipStream_tbEUljE_EEESW_SX_SY_S15_S19_S1B_T6_T7_T9_mT8_S1D_bDpT10_ENKUlT_T0_E_clISt17integral_constantIbLb0EES1P_IbLb1EEEEDaS1L_S1M_EUlS1L_E_NS1_11comp_targetILNS1_3genE2ELNS1_11target_archE906ELNS1_3gpuE6ELNS1_3repE0EEENS1_30default_config_static_selectorELNS0_4arch9wavefront6targetE1EEEvSZ_
    .private_segment_fixed_size: 0
    .sgpr_count:     4
    .sgpr_spill_count: 0
    .symbol:         _ZN7rocprim17ROCPRIM_400000_NS6detail17trampoline_kernelINS0_13select_configILj256ELj13ELNS0_17block_load_methodE3ELS4_3ELS4_3ELNS0_20block_scan_algorithmE0ELj4294967295EEENS1_25partition_config_selectorILNS1_17partition_subalgoE3EjNS0_10empty_typeEbEEZZNS1_14partition_implILS8_3ELb0ES6_jNS0_17counting_iteratorIjlEEPS9_SE_NS0_5tupleIJPjSE_EEENSF_IJSE_SE_EEES9_SG_JZNS1_25segmented_radix_sort_implINS0_14default_configELb1EPK12hip_bfloat16PSL_PKlPlN2at6native12_GLOBAL__N_18offset_tEEE10hipError_tPvRmT1_PNSt15iterator_traitsISZ_E10value_typeET2_T3_PNS10_IS15_E10value_typeET4_jRbjT5_S1B_jjP12ihipStream_tbEUljE_EEESW_SX_SY_S15_S19_S1B_T6_T7_T9_mT8_S1D_bDpT10_ENKUlT_T0_E_clISt17integral_constantIbLb0EES1P_IbLb1EEEEDaS1L_S1M_EUlS1L_E_NS1_11comp_targetILNS1_3genE2ELNS1_11target_archE906ELNS1_3gpuE6ELNS1_3repE0EEENS1_30default_config_static_selectorELNS0_4arch9wavefront6targetE1EEEvSZ_.kd
    .uniform_work_group_size: 1
    .uses_dynamic_stack: false
    .vgpr_count:     0
    .vgpr_spill_count: 0
    .wavefront_size: 64
  - .agpr_count:     0
    .args:
      - .offset:         0
        .size:           152
        .value_kind:     by_value
    .group_segment_fixed_size: 0
    .kernarg_segment_align: 8
    .kernarg_segment_size: 152
    .language:       OpenCL C
    .language_version:
      - 2
      - 0
    .max_flat_workgroup_size: 256
    .name:           _ZN7rocprim17ROCPRIM_400000_NS6detail17trampoline_kernelINS0_13select_configILj256ELj13ELNS0_17block_load_methodE3ELS4_3ELS4_3ELNS0_20block_scan_algorithmE0ELj4294967295EEENS1_25partition_config_selectorILNS1_17partition_subalgoE3EjNS0_10empty_typeEbEEZZNS1_14partition_implILS8_3ELb0ES6_jNS0_17counting_iteratorIjlEEPS9_SE_NS0_5tupleIJPjSE_EEENSF_IJSE_SE_EEES9_SG_JZNS1_25segmented_radix_sort_implINS0_14default_configELb1EPK12hip_bfloat16PSL_PKlPlN2at6native12_GLOBAL__N_18offset_tEEE10hipError_tPvRmT1_PNSt15iterator_traitsISZ_E10value_typeET2_T3_PNS10_IS15_E10value_typeET4_jRbjT5_S1B_jjP12ihipStream_tbEUljE_EEESW_SX_SY_S15_S19_S1B_T6_T7_T9_mT8_S1D_bDpT10_ENKUlT_T0_E_clISt17integral_constantIbLb0EES1P_IbLb1EEEEDaS1L_S1M_EUlS1L_E_NS1_11comp_targetILNS1_3genE10ELNS1_11target_archE1200ELNS1_3gpuE4ELNS1_3repE0EEENS1_30default_config_static_selectorELNS0_4arch9wavefront6targetE1EEEvSZ_
    .private_segment_fixed_size: 0
    .sgpr_count:     4
    .sgpr_spill_count: 0
    .symbol:         _ZN7rocprim17ROCPRIM_400000_NS6detail17trampoline_kernelINS0_13select_configILj256ELj13ELNS0_17block_load_methodE3ELS4_3ELS4_3ELNS0_20block_scan_algorithmE0ELj4294967295EEENS1_25partition_config_selectorILNS1_17partition_subalgoE3EjNS0_10empty_typeEbEEZZNS1_14partition_implILS8_3ELb0ES6_jNS0_17counting_iteratorIjlEEPS9_SE_NS0_5tupleIJPjSE_EEENSF_IJSE_SE_EEES9_SG_JZNS1_25segmented_radix_sort_implINS0_14default_configELb1EPK12hip_bfloat16PSL_PKlPlN2at6native12_GLOBAL__N_18offset_tEEE10hipError_tPvRmT1_PNSt15iterator_traitsISZ_E10value_typeET2_T3_PNS10_IS15_E10value_typeET4_jRbjT5_S1B_jjP12ihipStream_tbEUljE_EEESW_SX_SY_S15_S19_S1B_T6_T7_T9_mT8_S1D_bDpT10_ENKUlT_T0_E_clISt17integral_constantIbLb0EES1P_IbLb1EEEEDaS1L_S1M_EUlS1L_E_NS1_11comp_targetILNS1_3genE10ELNS1_11target_archE1200ELNS1_3gpuE4ELNS1_3repE0EEENS1_30default_config_static_selectorELNS0_4arch9wavefront6targetE1EEEvSZ_.kd
    .uniform_work_group_size: 1
    .uses_dynamic_stack: false
    .vgpr_count:     0
    .vgpr_spill_count: 0
    .wavefront_size: 64
  - .agpr_count:     0
    .args:
      - .offset:         0
        .size:           152
        .value_kind:     by_value
    .group_segment_fixed_size: 0
    .kernarg_segment_align: 8
    .kernarg_segment_size: 152
    .language:       OpenCL C
    .language_version:
      - 2
      - 0
    .max_flat_workgroup_size: 256
    .name:           _ZN7rocprim17ROCPRIM_400000_NS6detail17trampoline_kernelINS0_13select_configILj256ELj13ELNS0_17block_load_methodE3ELS4_3ELS4_3ELNS0_20block_scan_algorithmE0ELj4294967295EEENS1_25partition_config_selectorILNS1_17partition_subalgoE3EjNS0_10empty_typeEbEEZZNS1_14partition_implILS8_3ELb0ES6_jNS0_17counting_iteratorIjlEEPS9_SE_NS0_5tupleIJPjSE_EEENSF_IJSE_SE_EEES9_SG_JZNS1_25segmented_radix_sort_implINS0_14default_configELb1EPK12hip_bfloat16PSL_PKlPlN2at6native12_GLOBAL__N_18offset_tEEE10hipError_tPvRmT1_PNSt15iterator_traitsISZ_E10value_typeET2_T3_PNS10_IS15_E10value_typeET4_jRbjT5_S1B_jjP12ihipStream_tbEUljE_EEESW_SX_SY_S15_S19_S1B_T6_T7_T9_mT8_S1D_bDpT10_ENKUlT_T0_E_clISt17integral_constantIbLb0EES1P_IbLb1EEEEDaS1L_S1M_EUlS1L_E_NS1_11comp_targetILNS1_3genE9ELNS1_11target_archE1100ELNS1_3gpuE3ELNS1_3repE0EEENS1_30default_config_static_selectorELNS0_4arch9wavefront6targetE1EEEvSZ_
    .private_segment_fixed_size: 0
    .sgpr_count:     4
    .sgpr_spill_count: 0
    .symbol:         _ZN7rocprim17ROCPRIM_400000_NS6detail17trampoline_kernelINS0_13select_configILj256ELj13ELNS0_17block_load_methodE3ELS4_3ELS4_3ELNS0_20block_scan_algorithmE0ELj4294967295EEENS1_25partition_config_selectorILNS1_17partition_subalgoE3EjNS0_10empty_typeEbEEZZNS1_14partition_implILS8_3ELb0ES6_jNS0_17counting_iteratorIjlEEPS9_SE_NS0_5tupleIJPjSE_EEENSF_IJSE_SE_EEES9_SG_JZNS1_25segmented_radix_sort_implINS0_14default_configELb1EPK12hip_bfloat16PSL_PKlPlN2at6native12_GLOBAL__N_18offset_tEEE10hipError_tPvRmT1_PNSt15iterator_traitsISZ_E10value_typeET2_T3_PNS10_IS15_E10value_typeET4_jRbjT5_S1B_jjP12ihipStream_tbEUljE_EEESW_SX_SY_S15_S19_S1B_T6_T7_T9_mT8_S1D_bDpT10_ENKUlT_T0_E_clISt17integral_constantIbLb0EES1P_IbLb1EEEEDaS1L_S1M_EUlS1L_E_NS1_11comp_targetILNS1_3genE9ELNS1_11target_archE1100ELNS1_3gpuE3ELNS1_3repE0EEENS1_30default_config_static_selectorELNS0_4arch9wavefront6targetE1EEEvSZ_.kd
    .uniform_work_group_size: 1
    .uses_dynamic_stack: false
    .vgpr_count:     0
    .vgpr_spill_count: 0
    .wavefront_size: 64
  - .agpr_count:     0
    .args:
      - .offset:         0
        .size:           152
        .value_kind:     by_value
    .group_segment_fixed_size: 0
    .kernarg_segment_align: 8
    .kernarg_segment_size: 152
    .language:       OpenCL C
    .language_version:
      - 2
      - 0
    .max_flat_workgroup_size: 256
    .name:           _ZN7rocprim17ROCPRIM_400000_NS6detail17trampoline_kernelINS0_13select_configILj256ELj13ELNS0_17block_load_methodE3ELS4_3ELS4_3ELNS0_20block_scan_algorithmE0ELj4294967295EEENS1_25partition_config_selectorILNS1_17partition_subalgoE3EjNS0_10empty_typeEbEEZZNS1_14partition_implILS8_3ELb0ES6_jNS0_17counting_iteratorIjlEEPS9_SE_NS0_5tupleIJPjSE_EEENSF_IJSE_SE_EEES9_SG_JZNS1_25segmented_radix_sort_implINS0_14default_configELb1EPK12hip_bfloat16PSL_PKlPlN2at6native12_GLOBAL__N_18offset_tEEE10hipError_tPvRmT1_PNSt15iterator_traitsISZ_E10value_typeET2_T3_PNS10_IS15_E10value_typeET4_jRbjT5_S1B_jjP12ihipStream_tbEUljE_EEESW_SX_SY_S15_S19_S1B_T6_T7_T9_mT8_S1D_bDpT10_ENKUlT_T0_E_clISt17integral_constantIbLb0EES1P_IbLb1EEEEDaS1L_S1M_EUlS1L_E_NS1_11comp_targetILNS1_3genE8ELNS1_11target_archE1030ELNS1_3gpuE2ELNS1_3repE0EEENS1_30default_config_static_selectorELNS0_4arch9wavefront6targetE1EEEvSZ_
    .private_segment_fixed_size: 0
    .sgpr_count:     4
    .sgpr_spill_count: 0
    .symbol:         _ZN7rocprim17ROCPRIM_400000_NS6detail17trampoline_kernelINS0_13select_configILj256ELj13ELNS0_17block_load_methodE3ELS4_3ELS4_3ELNS0_20block_scan_algorithmE0ELj4294967295EEENS1_25partition_config_selectorILNS1_17partition_subalgoE3EjNS0_10empty_typeEbEEZZNS1_14partition_implILS8_3ELb0ES6_jNS0_17counting_iteratorIjlEEPS9_SE_NS0_5tupleIJPjSE_EEENSF_IJSE_SE_EEES9_SG_JZNS1_25segmented_radix_sort_implINS0_14default_configELb1EPK12hip_bfloat16PSL_PKlPlN2at6native12_GLOBAL__N_18offset_tEEE10hipError_tPvRmT1_PNSt15iterator_traitsISZ_E10value_typeET2_T3_PNS10_IS15_E10value_typeET4_jRbjT5_S1B_jjP12ihipStream_tbEUljE_EEESW_SX_SY_S15_S19_S1B_T6_T7_T9_mT8_S1D_bDpT10_ENKUlT_T0_E_clISt17integral_constantIbLb0EES1P_IbLb1EEEEDaS1L_S1M_EUlS1L_E_NS1_11comp_targetILNS1_3genE8ELNS1_11target_archE1030ELNS1_3gpuE2ELNS1_3repE0EEENS1_30default_config_static_selectorELNS0_4arch9wavefront6targetE1EEEvSZ_.kd
    .uniform_work_group_size: 1
    .uses_dynamic_stack: false
    .vgpr_count:     0
    .vgpr_spill_count: 0
    .wavefront_size: 64
  - .agpr_count:     0
    .args:
      - .offset:         0
        .size:           96
        .value_kind:     by_value
    .group_segment_fixed_size: 0
    .kernarg_segment_align: 8
    .kernarg_segment_size: 96
    .language:       OpenCL C
    .language_version:
      - 2
      - 0
    .max_flat_workgroup_size: 256
    .name:           _ZN7rocprim17ROCPRIM_400000_NS6detail17trampoline_kernelINS0_14default_configENS1_36segmented_radix_sort_config_selectorI12hip_bfloat16lEEZNS1_25segmented_radix_sort_implIS3_Lb1EPKS5_PS5_PKlPlN2at6native12_GLOBAL__N_18offset_tEEE10hipError_tPvRmT1_PNSt15iterator_traitsISL_E10value_typeET2_T3_PNSM_ISR_E10value_typeET4_jRbjT5_SX_jjP12ihipStream_tbEUlT_E_NS1_11comp_targetILNS1_3genE0ELNS1_11target_archE4294967295ELNS1_3gpuE0ELNS1_3repE0EEENS1_30default_config_static_selectorELNS0_4arch9wavefront6targetE1EEEvSL_
    .private_segment_fixed_size: 0
    .sgpr_count:     4
    .sgpr_spill_count: 0
    .symbol:         _ZN7rocprim17ROCPRIM_400000_NS6detail17trampoline_kernelINS0_14default_configENS1_36segmented_radix_sort_config_selectorI12hip_bfloat16lEEZNS1_25segmented_radix_sort_implIS3_Lb1EPKS5_PS5_PKlPlN2at6native12_GLOBAL__N_18offset_tEEE10hipError_tPvRmT1_PNSt15iterator_traitsISL_E10value_typeET2_T3_PNSM_ISR_E10value_typeET4_jRbjT5_SX_jjP12ihipStream_tbEUlT_E_NS1_11comp_targetILNS1_3genE0ELNS1_11target_archE4294967295ELNS1_3gpuE0ELNS1_3repE0EEENS1_30default_config_static_selectorELNS0_4arch9wavefront6targetE1EEEvSL_.kd
    .uniform_work_group_size: 1
    .uses_dynamic_stack: false
    .vgpr_count:     0
    .vgpr_spill_count: 0
    .wavefront_size: 64
  - .agpr_count:     0
    .args:
      - .offset:         0
        .size:           96
        .value_kind:     by_value
    .group_segment_fixed_size: 0
    .kernarg_segment_align: 8
    .kernarg_segment_size: 96
    .language:       OpenCL C
    .language_version:
      - 2
      - 0
    .max_flat_workgroup_size: 256
    .name:           _ZN7rocprim17ROCPRIM_400000_NS6detail17trampoline_kernelINS0_14default_configENS1_36segmented_radix_sort_config_selectorI12hip_bfloat16lEEZNS1_25segmented_radix_sort_implIS3_Lb1EPKS5_PS5_PKlPlN2at6native12_GLOBAL__N_18offset_tEEE10hipError_tPvRmT1_PNSt15iterator_traitsISL_E10value_typeET2_T3_PNSM_ISR_E10value_typeET4_jRbjT5_SX_jjP12ihipStream_tbEUlT_E_NS1_11comp_targetILNS1_3genE5ELNS1_11target_archE942ELNS1_3gpuE9ELNS1_3repE0EEENS1_30default_config_static_selectorELNS0_4arch9wavefront6targetE1EEEvSL_
    .private_segment_fixed_size: 0
    .sgpr_count:     4
    .sgpr_spill_count: 0
    .symbol:         _ZN7rocprim17ROCPRIM_400000_NS6detail17trampoline_kernelINS0_14default_configENS1_36segmented_radix_sort_config_selectorI12hip_bfloat16lEEZNS1_25segmented_radix_sort_implIS3_Lb1EPKS5_PS5_PKlPlN2at6native12_GLOBAL__N_18offset_tEEE10hipError_tPvRmT1_PNSt15iterator_traitsISL_E10value_typeET2_T3_PNSM_ISR_E10value_typeET4_jRbjT5_SX_jjP12ihipStream_tbEUlT_E_NS1_11comp_targetILNS1_3genE5ELNS1_11target_archE942ELNS1_3gpuE9ELNS1_3repE0EEENS1_30default_config_static_selectorELNS0_4arch9wavefront6targetE1EEEvSL_.kd
    .uniform_work_group_size: 1
    .uses_dynamic_stack: false
    .vgpr_count:     0
    .vgpr_spill_count: 0
    .wavefront_size: 64
  - .agpr_count:     0
    .args:
      - .offset:         0
        .size:           96
        .value_kind:     by_value
      - .offset:         96
        .size:           4
        .value_kind:     hidden_block_count_x
      - .offset:         100
        .size:           4
        .value_kind:     hidden_block_count_y
      - .offset:         104
        .size:           4
        .value_kind:     hidden_block_count_z
      - .offset:         108
        .size:           2
        .value_kind:     hidden_group_size_x
      - .offset:         110
        .size:           2
        .value_kind:     hidden_group_size_y
      - .offset:         112
        .size:           2
        .value_kind:     hidden_group_size_z
      - .offset:         114
        .size:           2
        .value_kind:     hidden_remainder_x
      - .offset:         116
        .size:           2
        .value_kind:     hidden_remainder_y
      - .offset:         118
        .size:           2
        .value_kind:     hidden_remainder_z
      - .offset:         136
        .size:           8
        .value_kind:     hidden_global_offset_x
      - .offset:         144
        .size:           8
        .value_kind:     hidden_global_offset_y
      - .offset:         152
        .size:           8
        .value_kind:     hidden_global_offset_z
      - .offset:         160
        .size:           2
        .value_kind:     hidden_grid_dims
      - .offset:         176
        .size:           8
        .value_kind:     hidden_hostcall_buffer
      - .offset:         184
        .size:           8
        .value_kind:     hidden_multigrid_sync_arg
      - .offset:         192
        .size:           8
        .value_kind:     hidden_heap_v1
      - .offset:         200
        .size:           8
        .value_kind:     hidden_default_queue
      - .offset:         208
        .size:           8
        .value_kind:     hidden_completion_action
      - .offset:         296
        .size:           8
        .value_kind:     hidden_queue_ptr
    .group_segment_fixed_size: 17424
    .kernarg_segment_align: 8
    .kernarg_segment_size: 352
    .language:       OpenCL C
    .language_version:
      - 2
      - 0
    .max_flat_workgroup_size: 256
    .name:           _ZN7rocprim17ROCPRIM_400000_NS6detail17trampoline_kernelINS0_14default_configENS1_36segmented_radix_sort_config_selectorI12hip_bfloat16lEEZNS1_25segmented_radix_sort_implIS3_Lb1EPKS5_PS5_PKlPlN2at6native12_GLOBAL__N_18offset_tEEE10hipError_tPvRmT1_PNSt15iterator_traitsISL_E10value_typeET2_T3_PNSM_ISR_E10value_typeET4_jRbjT5_SX_jjP12ihipStream_tbEUlT_E_NS1_11comp_targetILNS1_3genE4ELNS1_11target_archE910ELNS1_3gpuE8ELNS1_3repE0EEENS1_30default_config_static_selectorELNS0_4arch9wavefront6targetE1EEEvSL_
    .private_segment_fixed_size: 8
    .sgpr_count:     87
    .sgpr_spill_count: 0
    .symbol:         _ZN7rocprim17ROCPRIM_400000_NS6detail17trampoline_kernelINS0_14default_configENS1_36segmented_radix_sort_config_selectorI12hip_bfloat16lEEZNS1_25segmented_radix_sort_implIS3_Lb1EPKS5_PS5_PKlPlN2at6native12_GLOBAL__N_18offset_tEEE10hipError_tPvRmT1_PNSt15iterator_traitsISL_E10value_typeET2_T3_PNSM_ISR_E10value_typeET4_jRbjT5_SX_jjP12ihipStream_tbEUlT_E_NS1_11comp_targetILNS1_3genE4ELNS1_11target_archE910ELNS1_3gpuE8ELNS1_3repE0EEENS1_30default_config_static_selectorELNS0_4arch9wavefront6targetE1EEEvSL_.kd
    .uniform_work_group_size: 1
    .uses_dynamic_stack: false
    .vgpr_count:     178
    .vgpr_spill_count: 0
    .wavefront_size: 64
  - .agpr_count:     0
    .args:
      - .offset:         0
        .size:           96
        .value_kind:     by_value
    .group_segment_fixed_size: 0
    .kernarg_segment_align: 8
    .kernarg_segment_size: 96
    .language:       OpenCL C
    .language_version:
      - 2
      - 0
    .max_flat_workgroup_size: 256
    .name:           _ZN7rocprim17ROCPRIM_400000_NS6detail17trampoline_kernelINS0_14default_configENS1_36segmented_radix_sort_config_selectorI12hip_bfloat16lEEZNS1_25segmented_radix_sort_implIS3_Lb1EPKS5_PS5_PKlPlN2at6native12_GLOBAL__N_18offset_tEEE10hipError_tPvRmT1_PNSt15iterator_traitsISL_E10value_typeET2_T3_PNSM_ISR_E10value_typeET4_jRbjT5_SX_jjP12ihipStream_tbEUlT_E_NS1_11comp_targetILNS1_3genE3ELNS1_11target_archE908ELNS1_3gpuE7ELNS1_3repE0EEENS1_30default_config_static_selectorELNS0_4arch9wavefront6targetE1EEEvSL_
    .private_segment_fixed_size: 0
    .sgpr_count:     4
    .sgpr_spill_count: 0
    .symbol:         _ZN7rocprim17ROCPRIM_400000_NS6detail17trampoline_kernelINS0_14default_configENS1_36segmented_radix_sort_config_selectorI12hip_bfloat16lEEZNS1_25segmented_radix_sort_implIS3_Lb1EPKS5_PS5_PKlPlN2at6native12_GLOBAL__N_18offset_tEEE10hipError_tPvRmT1_PNSt15iterator_traitsISL_E10value_typeET2_T3_PNSM_ISR_E10value_typeET4_jRbjT5_SX_jjP12ihipStream_tbEUlT_E_NS1_11comp_targetILNS1_3genE3ELNS1_11target_archE908ELNS1_3gpuE7ELNS1_3repE0EEENS1_30default_config_static_selectorELNS0_4arch9wavefront6targetE1EEEvSL_.kd
    .uniform_work_group_size: 1
    .uses_dynamic_stack: false
    .vgpr_count:     0
    .vgpr_spill_count: 0
    .wavefront_size: 64
  - .agpr_count:     0
    .args:
      - .offset:         0
        .size:           96
        .value_kind:     by_value
    .group_segment_fixed_size: 0
    .kernarg_segment_align: 8
    .kernarg_segment_size: 96
    .language:       OpenCL C
    .language_version:
      - 2
      - 0
    .max_flat_workgroup_size: 256
    .name:           _ZN7rocprim17ROCPRIM_400000_NS6detail17trampoline_kernelINS0_14default_configENS1_36segmented_radix_sort_config_selectorI12hip_bfloat16lEEZNS1_25segmented_radix_sort_implIS3_Lb1EPKS5_PS5_PKlPlN2at6native12_GLOBAL__N_18offset_tEEE10hipError_tPvRmT1_PNSt15iterator_traitsISL_E10value_typeET2_T3_PNSM_ISR_E10value_typeET4_jRbjT5_SX_jjP12ihipStream_tbEUlT_E_NS1_11comp_targetILNS1_3genE2ELNS1_11target_archE906ELNS1_3gpuE6ELNS1_3repE0EEENS1_30default_config_static_selectorELNS0_4arch9wavefront6targetE1EEEvSL_
    .private_segment_fixed_size: 0
    .sgpr_count:     4
    .sgpr_spill_count: 0
    .symbol:         _ZN7rocprim17ROCPRIM_400000_NS6detail17trampoline_kernelINS0_14default_configENS1_36segmented_radix_sort_config_selectorI12hip_bfloat16lEEZNS1_25segmented_radix_sort_implIS3_Lb1EPKS5_PS5_PKlPlN2at6native12_GLOBAL__N_18offset_tEEE10hipError_tPvRmT1_PNSt15iterator_traitsISL_E10value_typeET2_T3_PNSM_ISR_E10value_typeET4_jRbjT5_SX_jjP12ihipStream_tbEUlT_E_NS1_11comp_targetILNS1_3genE2ELNS1_11target_archE906ELNS1_3gpuE6ELNS1_3repE0EEENS1_30default_config_static_selectorELNS0_4arch9wavefront6targetE1EEEvSL_.kd
    .uniform_work_group_size: 1
    .uses_dynamic_stack: false
    .vgpr_count:     0
    .vgpr_spill_count: 0
    .wavefront_size: 64
  - .agpr_count:     0
    .args:
      - .offset:         0
        .size:           96
        .value_kind:     by_value
    .group_segment_fixed_size: 0
    .kernarg_segment_align: 8
    .kernarg_segment_size: 96
    .language:       OpenCL C
    .language_version:
      - 2
      - 0
    .max_flat_workgroup_size: 256
    .name:           _ZN7rocprim17ROCPRIM_400000_NS6detail17trampoline_kernelINS0_14default_configENS1_36segmented_radix_sort_config_selectorI12hip_bfloat16lEEZNS1_25segmented_radix_sort_implIS3_Lb1EPKS5_PS5_PKlPlN2at6native12_GLOBAL__N_18offset_tEEE10hipError_tPvRmT1_PNSt15iterator_traitsISL_E10value_typeET2_T3_PNSM_ISR_E10value_typeET4_jRbjT5_SX_jjP12ihipStream_tbEUlT_E_NS1_11comp_targetILNS1_3genE10ELNS1_11target_archE1201ELNS1_3gpuE5ELNS1_3repE0EEENS1_30default_config_static_selectorELNS0_4arch9wavefront6targetE1EEEvSL_
    .private_segment_fixed_size: 0
    .sgpr_count:     4
    .sgpr_spill_count: 0
    .symbol:         _ZN7rocprim17ROCPRIM_400000_NS6detail17trampoline_kernelINS0_14default_configENS1_36segmented_radix_sort_config_selectorI12hip_bfloat16lEEZNS1_25segmented_radix_sort_implIS3_Lb1EPKS5_PS5_PKlPlN2at6native12_GLOBAL__N_18offset_tEEE10hipError_tPvRmT1_PNSt15iterator_traitsISL_E10value_typeET2_T3_PNSM_ISR_E10value_typeET4_jRbjT5_SX_jjP12ihipStream_tbEUlT_E_NS1_11comp_targetILNS1_3genE10ELNS1_11target_archE1201ELNS1_3gpuE5ELNS1_3repE0EEENS1_30default_config_static_selectorELNS0_4arch9wavefront6targetE1EEEvSL_.kd
    .uniform_work_group_size: 1
    .uses_dynamic_stack: false
    .vgpr_count:     0
    .vgpr_spill_count: 0
    .wavefront_size: 64
  - .agpr_count:     0
    .args:
      - .offset:         0
        .size:           96
        .value_kind:     by_value
    .group_segment_fixed_size: 0
    .kernarg_segment_align: 8
    .kernarg_segment_size: 96
    .language:       OpenCL C
    .language_version:
      - 2
      - 0
    .max_flat_workgroup_size: 128
    .name:           _ZN7rocprim17ROCPRIM_400000_NS6detail17trampoline_kernelINS0_14default_configENS1_36segmented_radix_sort_config_selectorI12hip_bfloat16lEEZNS1_25segmented_radix_sort_implIS3_Lb1EPKS5_PS5_PKlPlN2at6native12_GLOBAL__N_18offset_tEEE10hipError_tPvRmT1_PNSt15iterator_traitsISL_E10value_typeET2_T3_PNSM_ISR_E10value_typeET4_jRbjT5_SX_jjP12ihipStream_tbEUlT_E_NS1_11comp_targetILNS1_3genE10ELNS1_11target_archE1200ELNS1_3gpuE4ELNS1_3repE0EEENS1_30default_config_static_selectorELNS0_4arch9wavefront6targetE1EEEvSL_
    .private_segment_fixed_size: 0
    .sgpr_count:     4
    .sgpr_spill_count: 0
    .symbol:         _ZN7rocprim17ROCPRIM_400000_NS6detail17trampoline_kernelINS0_14default_configENS1_36segmented_radix_sort_config_selectorI12hip_bfloat16lEEZNS1_25segmented_radix_sort_implIS3_Lb1EPKS5_PS5_PKlPlN2at6native12_GLOBAL__N_18offset_tEEE10hipError_tPvRmT1_PNSt15iterator_traitsISL_E10value_typeET2_T3_PNSM_ISR_E10value_typeET4_jRbjT5_SX_jjP12ihipStream_tbEUlT_E_NS1_11comp_targetILNS1_3genE10ELNS1_11target_archE1200ELNS1_3gpuE4ELNS1_3repE0EEENS1_30default_config_static_selectorELNS0_4arch9wavefront6targetE1EEEvSL_.kd
    .uniform_work_group_size: 1
    .uses_dynamic_stack: false
    .vgpr_count:     0
    .vgpr_spill_count: 0
    .wavefront_size: 64
  - .agpr_count:     0
    .args:
      - .offset:         0
        .size:           96
        .value_kind:     by_value
    .group_segment_fixed_size: 0
    .kernarg_segment_align: 8
    .kernarg_segment_size: 96
    .language:       OpenCL C
    .language_version:
      - 2
      - 0
    .max_flat_workgroup_size: 256
    .name:           _ZN7rocprim17ROCPRIM_400000_NS6detail17trampoline_kernelINS0_14default_configENS1_36segmented_radix_sort_config_selectorI12hip_bfloat16lEEZNS1_25segmented_radix_sort_implIS3_Lb1EPKS5_PS5_PKlPlN2at6native12_GLOBAL__N_18offset_tEEE10hipError_tPvRmT1_PNSt15iterator_traitsISL_E10value_typeET2_T3_PNSM_ISR_E10value_typeET4_jRbjT5_SX_jjP12ihipStream_tbEUlT_E_NS1_11comp_targetILNS1_3genE9ELNS1_11target_archE1100ELNS1_3gpuE3ELNS1_3repE0EEENS1_30default_config_static_selectorELNS0_4arch9wavefront6targetE1EEEvSL_
    .private_segment_fixed_size: 0
    .sgpr_count:     4
    .sgpr_spill_count: 0
    .symbol:         _ZN7rocprim17ROCPRIM_400000_NS6detail17trampoline_kernelINS0_14default_configENS1_36segmented_radix_sort_config_selectorI12hip_bfloat16lEEZNS1_25segmented_radix_sort_implIS3_Lb1EPKS5_PS5_PKlPlN2at6native12_GLOBAL__N_18offset_tEEE10hipError_tPvRmT1_PNSt15iterator_traitsISL_E10value_typeET2_T3_PNSM_ISR_E10value_typeET4_jRbjT5_SX_jjP12ihipStream_tbEUlT_E_NS1_11comp_targetILNS1_3genE9ELNS1_11target_archE1100ELNS1_3gpuE3ELNS1_3repE0EEENS1_30default_config_static_selectorELNS0_4arch9wavefront6targetE1EEEvSL_.kd
    .uniform_work_group_size: 1
    .uses_dynamic_stack: false
    .vgpr_count:     0
    .vgpr_spill_count: 0
    .wavefront_size: 64
  - .agpr_count:     0
    .args:
      - .offset:         0
        .size:           96
        .value_kind:     by_value
    .group_segment_fixed_size: 0
    .kernarg_segment_align: 8
    .kernarg_segment_size: 96
    .language:       OpenCL C
    .language_version:
      - 2
      - 0
    .max_flat_workgroup_size: 256
    .name:           _ZN7rocprim17ROCPRIM_400000_NS6detail17trampoline_kernelINS0_14default_configENS1_36segmented_radix_sort_config_selectorI12hip_bfloat16lEEZNS1_25segmented_radix_sort_implIS3_Lb1EPKS5_PS5_PKlPlN2at6native12_GLOBAL__N_18offset_tEEE10hipError_tPvRmT1_PNSt15iterator_traitsISL_E10value_typeET2_T3_PNSM_ISR_E10value_typeET4_jRbjT5_SX_jjP12ihipStream_tbEUlT_E_NS1_11comp_targetILNS1_3genE8ELNS1_11target_archE1030ELNS1_3gpuE2ELNS1_3repE0EEENS1_30default_config_static_selectorELNS0_4arch9wavefront6targetE1EEEvSL_
    .private_segment_fixed_size: 0
    .sgpr_count:     4
    .sgpr_spill_count: 0
    .symbol:         _ZN7rocprim17ROCPRIM_400000_NS6detail17trampoline_kernelINS0_14default_configENS1_36segmented_radix_sort_config_selectorI12hip_bfloat16lEEZNS1_25segmented_radix_sort_implIS3_Lb1EPKS5_PS5_PKlPlN2at6native12_GLOBAL__N_18offset_tEEE10hipError_tPvRmT1_PNSt15iterator_traitsISL_E10value_typeET2_T3_PNSM_ISR_E10value_typeET4_jRbjT5_SX_jjP12ihipStream_tbEUlT_E_NS1_11comp_targetILNS1_3genE8ELNS1_11target_archE1030ELNS1_3gpuE2ELNS1_3repE0EEENS1_30default_config_static_selectorELNS0_4arch9wavefront6targetE1EEEvSL_.kd
    .uniform_work_group_size: 1
    .uses_dynamic_stack: false
    .vgpr_count:     0
    .vgpr_spill_count: 0
    .wavefront_size: 64
  - .agpr_count:     0
    .args:
      - .offset:         0
        .size:           88
        .value_kind:     by_value
    .group_segment_fixed_size: 0
    .kernarg_segment_align: 8
    .kernarg_segment_size: 88
    .language:       OpenCL C
    .language_version:
      - 2
      - 0
    .max_flat_workgroup_size: 256
    .name:           _ZN7rocprim17ROCPRIM_400000_NS6detail17trampoline_kernelINS0_14default_configENS1_36segmented_radix_sort_config_selectorI12hip_bfloat16lEEZNS1_25segmented_radix_sort_implIS3_Lb1EPKS5_PS5_PKlPlN2at6native12_GLOBAL__N_18offset_tEEE10hipError_tPvRmT1_PNSt15iterator_traitsISL_E10value_typeET2_T3_PNSM_ISR_E10value_typeET4_jRbjT5_SX_jjP12ihipStream_tbEUlT_E0_NS1_11comp_targetILNS1_3genE0ELNS1_11target_archE4294967295ELNS1_3gpuE0ELNS1_3repE0EEENS1_60segmented_radix_sort_warp_sort_medium_config_static_selectorELNS0_4arch9wavefront6targetE1EEEvSL_
    .private_segment_fixed_size: 0
    .sgpr_count:     4
    .sgpr_spill_count: 0
    .symbol:         _ZN7rocprim17ROCPRIM_400000_NS6detail17trampoline_kernelINS0_14default_configENS1_36segmented_radix_sort_config_selectorI12hip_bfloat16lEEZNS1_25segmented_radix_sort_implIS3_Lb1EPKS5_PS5_PKlPlN2at6native12_GLOBAL__N_18offset_tEEE10hipError_tPvRmT1_PNSt15iterator_traitsISL_E10value_typeET2_T3_PNSM_ISR_E10value_typeET4_jRbjT5_SX_jjP12ihipStream_tbEUlT_E0_NS1_11comp_targetILNS1_3genE0ELNS1_11target_archE4294967295ELNS1_3gpuE0ELNS1_3repE0EEENS1_60segmented_radix_sort_warp_sort_medium_config_static_selectorELNS0_4arch9wavefront6targetE1EEEvSL_.kd
    .uniform_work_group_size: 1
    .uses_dynamic_stack: false
    .vgpr_count:     0
    .vgpr_spill_count: 0
    .wavefront_size: 64
  - .agpr_count:     0
    .args:
      - .offset:         0
        .size:           88
        .value_kind:     by_value
    .group_segment_fixed_size: 0
    .kernarg_segment_align: 8
    .kernarg_segment_size: 88
    .language:       OpenCL C
    .language_version:
      - 2
      - 0
    .max_flat_workgroup_size: 256
    .name:           _ZN7rocprim17ROCPRIM_400000_NS6detail17trampoline_kernelINS0_14default_configENS1_36segmented_radix_sort_config_selectorI12hip_bfloat16lEEZNS1_25segmented_radix_sort_implIS3_Lb1EPKS5_PS5_PKlPlN2at6native12_GLOBAL__N_18offset_tEEE10hipError_tPvRmT1_PNSt15iterator_traitsISL_E10value_typeET2_T3_PNSM_ISR_E10value_typeET4_jRbjT5_SX_jjP12ihipStream_tbEUlT_E0_NS1_11comp_targetILNS1_3genE5ELNS1_11target_archE942ELNS1_3gpuE9ELNS1_3repE0EEENS1_60segmented_radix_sort_warp_sort_medium_config_static_selectorELNS0_4arch9wavefront6targetE1EEEvSL_
    .private_segment_fixed_size: 0
    .sgpr_count:     4
    .sgpr_spill_count: 0
    .symbol:         _ZN7rocprim17ROCPRIM_400000_NS6detail17trampoline_kernelINS0_14default_configENS1_36segmented_radix_sort_config_selectorI12hip_bfloat16lEEZNS1_25segmented_radix_sort_implIS3_Lb1EPKS5_PS5_PKlPlN2at6native12_GLOBAL__N_18offset_tEEE10hipError_tPvRmT1_PNSt15iterator_traitsISL_E10value_typeET2_T3_PNSM_ISR_E10value_typeET4_jRbjT5_SX_jjP12ihipStream_tbEUlT_E0_NS1_11comp_targetILNS1_3genE5ELNS1_11target_archE942ELNS1_3gpuE9ELNS1_3repE0EEENS1_60segmented_radix_sort_warp_sort_medium_config_static_selectorELNS0_4arch9wavefront6targetE1EEEvSL_.kd
    .uniform_work_group_size: 1
    .uses_dynamic_stack: false
    .vgpr_count:     0
    .vgpr_spill_count: 0
    .wavefront_size: 64
  - .agpr_count:     0
    .args:
      - .offset:         0
        .size:           88
        .value_kind:     by_value
      - .offset:         88
        .size:           4
        .value_kind:     hidden_block_count_x
      - .offset:         92
        .size:           4
        .value_kind:     hidden_block_count_y
      - .offset:         96
        .size:           4
        .value_kind:     hidden_block_count_z
      - .offset:         100
        .size:           2
        .value_kind:     hidden_group_size_x
      - .offset:         102
        .size:           2
        .value_kind:     hidden_group_size_y
      - .offset:         104
        .size:           2
        .value_kind:     hidden_group_size_z
      - .offset:         106
        .size:           2
        .value_kind:     hidden_remainder_x
      - .offset:         108
        .size:           2
        .value_kind:     hidden_remainder_y
      - .offset:         110
        .size:           2
        .value_kind:     hidden_remainder_z
      - .offset:         128
        .size:           8
        .value_kind:     hidden_global_offset_x
      - .offset:         136
        .size:           8
        .value_kind:     hidden_global_offset_y
      - .offset:         144
        .size:           8
        .value_kind:     hidden_global_offset_z
      - .offset:         152
        .size:           2
        .value_kind:     hidden_grid_dims
      - .offset:         168
        .size:           8
        .value_kind:     hidden_hostcall_buffer
      - .offset:         176
        .size:           8
        .value_kind:     hidden_multigrid_sync_arg
      - .offset:         184
        .size:           8
        .value_kind:     hidden_heap_v1
      - .offset:         192
        .size:           8
        .value_kind:     hidden_default_queue
      - .offset:         200
        .size:           8
        .value_kind:     hidden_completion_action
      - .offset:         288
        .size:           8
        .value_kind:     hidden_queue_ptr
    .group_segment_fixed_size: 20480
    .kernarg_segment_align: 8
    .kernarg_segment_size: 344
    .language:       OpenCL C
    .language_version:
      - 2
      - 0
    .max_flat_workgroup_size: 256
    .name:           _ZN7rocprim17ROCPRIM_400000_NS6detail17trampoline_kernelINS0_14default_configENS1_36segmented_radix_sort_config_selectorI12hip_bfloat16lEEZNS1_25segmented_radix_sort_implIS3_Lb1EPKS5_PS5_PKlPlN2at6native12_GLOBAL__N_18offset_tEEE10hipError_tPvRmT1_PNSt15iterator_traitsISL_E10value_typeET2_T3_PNSM_ISR_E10value_typeET4_jRbjT5_SX_jjP12ihipStream_tbEUlT_E0_NS1_11comp_targetILNS1_3genE4ELNS1_11target_archE910ELNS1_3gpuE8ELNS1_3repE0EEENS1_60segmented_radix_sort_warp_sort_medium_config_static_selectorELNS0_4arch9wavefront6targetE1EEEvSL_
    .private_segment_fixed_size: 8
    .sgpr_count:     66
    .sgpr_spill_count: 0
    .symbol:         _ZN7rocprim17ROCPRIM_400000_NS6detail17trampoline_kernelINS0_14default_configENS1_36segmented_radix_sort_config_selectorI12hip_bfloat16lEEZNS1_25segmented_radix_sort_implIS3_Lb1EPKS5_PS5_PKlPlN2at6native12_GLOBAL__N_18offset_tEEE10hipError_tPvRmT1_PNSt15iterator_traitsISL_E10value_typeET2_T3_PNSM_ISR_E10value_typeET4_jRbjT5_SX_jjP12ihipStream_tbEUlT_E0_NS1_11comp_targetILNS1_3genE4ELNS1_11target_archE910ELNS1_3gpuE8ELNS1_3repE0EEENS1_60segmented_radix_sort_warp_sort_medium_config_static_selectorELNS0_4arch9wavefront6targetE1EEEvSL_.kd
    .uniform_work_group_size: 1
    .uses_dynamic_stack: false
    .vgpr_count:     72
    .vgpr_spill_count: 0
    .wavefront_size: 64
  - .agpr_count:     0
    .args:
      - .offset:         0
        .size:           88
        .value_kind:     by_value
    .group_segment_fixed_size: 0
    .kernarg_segment_align: 8
    .kernarg_segment_size: 88
    .language:       OpenCL C
    .language_version:
      - 2
      - 0
    .max_flat_workgroup_size: 256
    .name:           _ZN7rocprim17ROCPRIM_400000_NS6detail17trampoline_kernelINS0_14default_configENS1_36segmented_radix_sort_config_selectorI12hip_bfloat16lEEZNS1_25segmented_radix_sort_implIS3_Lb1EPKS5_PS5_PKlPlN2at6native12_GLOBAL__N_18offset_tEEE10hipError_tPvRmT1_PNSt15iterator_traitsISL_E10value_typeET2_T3_PNSM_ISR_E10value_typeET4_jRbjT5_SX_jjP12ihipStream_tbEUlT_E0_NS1_11comp_targetILNS1_3genE3ELNS1_11target_archE908ELNS1_3gpuE7ELNS1_3repE0EEENS1_60segmented_radix_sort_warp_sort_medium_config_static_selectorELNS0_4arch9wavefront6targetE1EEEvSL_
    .private_segment_fixed_size: 0
    .sgpr_count:     4
    .sgpr_spill_count: 0
    .symbol:         _ZN7rocprim17ROCPRIM_400000_NS6detail17trampoline_kernelINS0_14default_configENS1_36segmented_radix_sort_config_selectorI12hip_bfloat16lEEZNS1_25segmented_radix_sort_implIS3_Lb1EPKS5_PS5_PKlPlN2at6native12_GLOBAL__N_18offset_tEEE10hipError_tPvRmT1_PNSt15iterator_traitsISL_E10value_typeET2_T3_PNSM_ISR_E10value_typeET4_jRbjT5_SX_jjP12ihipStream_tbEUlT_E0_NS1_11comp_targetILNS1_3genE3ELNS1_11target_archE908ELNS1_3gpuE7ELNS1_3repE0EEENS1_60segmented_radix_sort_warp_sort_medium_config_static_selectorELNS0_4arch9wavefront6targetE1EEEvSL_.kd
    .uniform_work_group_size: 1
    .uses_dynamic_stack: false
    .vgpr_count:     0
    .vgpr_spill_count: 0
    .wavefront_size: 64
  - .agpr_count:     0
    .args:
      - .offset:         0
        .size:           88
        .value_kind:     by_value
    .group_segment_fixed_size: 0
    .kernarg_segment_align: 8
    .kernarg_segment_size: 88
    .language:       OpenCL C
    .language_version:
      - 2
      - 0
    .max_flat_workgroup_size: 256
    .name:           _ZN7rocprim17ROCPRIM_400000_NS6detail17trampoline_kernelINS0_14default_configENS1_36segmented_radix_sort_config_selectorI12hip_bfloat16lEEZNS1_25segmented_radix_sort_implIS3_Lb1EPKS5_PS5_PKlPlN2at6native12_GLOBAL__N_18offset_tEEE10hipError_tPvRmT1_PNSt15iterator_traitsISL_E10value_typeET2_T3_PNSM_ISR_E10value_typeET4_jRbjT5_SX_jjP12ihipStream_tbEUlT_E0_NS1_11comp_targetILNS1_3genE2ELNS1_11target_archE906ELNS1_3gpuE6ELNS1_3repE0EEENS1_60segmented_radix_sort_warp_sort_medium_config_static_selectorELNS0_4arch9wavefront6targetE1EEEvSL_
    .private_segment_fixed_size: 0
    .sgpr_count:     4
    .sgpr_spill_count: 0
    .symbol:         _ZN7rocprim17ROCPRIM_400000_NS6detail17trampoline_kernelINS0_14default_configENS1_36segmented_radix_sort_config_selectorI12hip_bfloat16lEEZNS1_25segmented_radix_sort_implIS3_Lb1EPKS5_PS5_PKlPlN2at6native12_GLOBAL__N_18offset_tEEE10hipError_tPvRmT1_PNSt15iterator_traitsISL_E10value_typeET2_T3_PNSM_ISR_E10value_typeET4_jRbjT5_SX_jjP12ihipStream_tbEUlT_E0_NS1_11comp_targetILNS1_3genE2ELNS1_11target_archE906ELNS1_3gpuE6ELNS1_3repE0EEENS1_60segmented_radix_sort_warp_sort_medium_config_static_selectorELNS0_4arch9wavefront6targetE1EEEvSL_.kd
    .uniform_work_group_size: 1
    .uses_dynamic_stack: false
    .vgpr_count:     0
    .vgpr_spill_count: 0
    .wavefront_size: 64
  - .agpr_count:     0
    .args:
      - .offset:         0
        .size:           88
        .value_kind:     by_value
    .group_segment_fixed_size: 0
    .kernarg_segment_align: 8
    .kernarg_segment_size: 88
    .language:       OpenCL C
    .language_version:
      - 2
      - 0
    .max_flat_workgroup_size: 256
    .name:           _ZN7rocprim17ROCPRIM_400000_NS6detail17trampoline_kernelINS0_14default_configENS1_36segmented_radix_sort_config_selectorI12hip_bfloat16lEEZNS1_25segmented_radix_sort_implIS3_Lb1EPKS5_PS5_PKlPlN2at6native12_GLOBAL__N_18offset_tEEE10hipError_tPvRmT1_PNSt15iterator_traitsISL_E10value_typeET2_T3_PNSM_ISR_E10value_typeET4_jRbjT5_SX_jjP12ihipStream_tbEUlT_E0_NS1_11comp_targetILNS1_3genE10ELNS1_11target_archE1201ELNS1_3gpuE5ELNS1_3repE0EEENS1_60segmented_radix_sort_warp_sort_medium_config_static_selectorELNS0_4arch9wavefront6targetE1EEEvSL_
    .private_segment_fixed_size: 0
    .sgpr_count:     4
    .sgpr_spill_count: 0
    .symbol:         _ZN7rocprim17ROCPRIM_400000_NS6detail17trampoline_kernelINS0_14default_configENS1_36segmented_radix_sort_config_selectorI12hip_bfloat16lEEZNS1_25segmented_radix_sort_implIS3_Lb1EPKS5_PS5_PKlPlN2at6native12_GLOBAL__N_18offset_tEEE10hipError_tPvRmT1_PNSt15iterator_traitsISL_E10value_typeET2_T3_PNSM_ISR_E10value_typeET4_jRbjT5_SX_jjP12ihipStream_tbEUlT_E0_NS1_11comp_targetILNS1_3genE10ELNS1_11target_archE1201ELNS1_3gpuE5ELNS1_3repE0EEENS1_60segmented_radix_sort_warp_sort_medium_config_static_selectorELNS0_4arch9wavefront6targetE1EEEvSL_.kd
    .uniform_work_group_size: 1
    .uses_dynamic_stack: false
    .vgpr_count:     0
    .vgpr_spill_count: 0
    .wavefront_size: 64
  - .agpr_count:     0
    .args:
      - .offset:         0
        .size:           88
        .value_kind:     by_value
    .group_segment_fixed_size: 0
    .kernarg_segment_align: 8
    .kernarg_segment_size: 88
    .language:       OpenCL C
    .language_version:
      - 2
      - 0
    .max_flat_workgroup_size: 256
    .name:           _ZN7rocprim17ROCPRIM_400000_NS6detail17trampoline_kernelINS0_14default_configENS1_36segmented_radix_sort_config_selectorI12hip_bfloat16lEEZNS1_25segmented_radix_sort_implIS3_Lb1EPKS5_PS5_PKlPlN2at6native12_GLOBAL__N_18offset_tEEE10hipError_tPvRmT1_PNSt15iterator_traitsISL_E10value_typeET2_T3_PNSM_ISR_E10value_typeET4_jRbjT5_SX_jjP12ihipStream_tbEUlT_E0_NS1_11comp_targetILNS1_3genE10ELNS1_11target_archE1200ELNS1_3gpuE4ELNS1_3repE0EEENS1_60segmented_radix_sort_warp_sort_medium_config_static_selectorELNS0_4arch9wavefront6targetE1EEEvSL_
    .private_segment_fixed_size: 0
    .sgpr_count:     4
    .sgpr_spill_count: 0
    .symbol:         _ZN7rocprim17ROCPRIM_400000_NS6detail17trampoline_kernelINS0_14default_configENS1_36segmented_radix_sort_config_selectorI12hip_bfloat16lEEZNS1_25segmented_radix_sort_implIS3_Lb1EPKS5_PS5_PKlPlN2at6native12_GLOBAL__N_18offset_tEEE10hipError_tPvRmT1_PNSt15iterator_traitsISL_E10value_typeET2_T3_PNSM_ISR_E10value_typeET4_jRbjT5_SX_jjP12ihipStream_tbEUlT_E0_NS1_11comp_targetILNS1_3genE10ELNS1_11target_archE1200ELNS1_3gpuE4ELNS1_3repE0EEENS1_60segmented_radix_sort_warp_sort_medium_config_static_selectorELNS0_4arch9wavefront6targetE1EEEvSL_.kd
    .uniform_work_group_size: 1
    .uses_dynamic_stack: false
    .vgpr_count:     0
    .vgpr_spill_count: 0
    .wavefront_size: 64
  - .agpr_count:     0
    .args:
      - .offset:         0
        .size:           88
        .value_kind:     by_value
    .group_segment_fixed_size: 0
    .kernarg_segment_align: 8
    .kernarg_segment_size: 88
    .language:       OpenCL C
    .language_version:
      - 2
      - 0
    .max_flat_workgroup_size: 256
    .name:           _ZN7rocprim17ROCPRIM_400000_NS6detail17trampoline_kernelINS0_14default_configENS1_36segmented_radix_sort_config_selectorI12hip_bfloat16lEEZNS1_25segmented_radix_sort_implIS3_Lb1EPKS5_PS5_PKlPlN2at6native12_GLOBAL__N_18offset_tEEE10hipError_tPvRmT1_PNSt15iterator_traitsISL_E10value_typeET2_T3_PNSM_ISR_E10value_typeET4_jRbjT5_SX_jjP12ihipStream_tbEUlT_E0_NS1_11comp_targetILNS1_3genE9ELNS1_11target_archE1100ELNS1_3gpuE3ELNS1_3repE0EEENS1_60segmented_radix_sort_warp_sort_medium_config_static_selectorELNS0_4arch9wavefront6targetE1EEEvSL_
    .private_segment_fixed_size: 0
    .sgpr_count:     4
    .sgpr_spill_count: 0
    .symbol:         _ZN7rocprim17ROCPRIM_400000_NS6detail17trampoline_kernelINS0_14default_configENS1_36segmented_radix_sort_config_selectorI12hip_bfloat16lEEZNS1_25segmented_radix_sort_implIS3_Lb1EPKS5_PS5_PKlPlN2at6native12_GLOBAL__N_18offset_tEEE10hipError_tPvRmT1_PNSt15iterator_traitsISL_E10value_typeET2_T3_PNSM_ISR_E10value_typeET4_jRbjT5_SX_jjP12ihipStream_tbEUlT_E0_NS1_11comp_targetILNS1_3genE9ELNS1_11target_archE1100ELNS1_3gpuE3ELNS1_3repE0EEENS1_60segmented_radix_sort_warp_sort_medium_config_static_selectorELNS0_4arch9wavefront6targetE1EEEvSL_.kd
    .uniform_work_group_size: 1
    .uses_dynamic_stack: false
    .vgpr_count:     0
    .vgpr_spill_count: 0
    .wavefront_size: 64
  - .agpr_count:     0
    .args:
      - .offset:         0
        .size:           88
        .value_kind:     by_value
    .group_segment_fixed_size: 0
    .kernarg_segment_align: 8
    .kernarg_segment_size: 88
    .language:       OpenCL C
    .language_version:
      - 2
      - 0
    .max_flat_workgroup_size: 256
    .name:           _ZN7rocprim17ROCPRIM_400000_NS6detail17trampoline_kernelINS0_14default_configENS1_36segmented_radix_sort_config_selectorI12hip_bfloat16lEEZNS1_25segmented_radix_sort_implIS3_Lb1EPKS5_PS5_PKlPlN2at6native12_GLOBAL__N_18offset_tEEE10hipError_tPvRmT1_PNSt15iterator_traitsISL_E10value_typeET2_T3_PNSM_ISR_E10value_typeET4_jRbjT5_SX_jjP12ihipStream_tbEUlT_E0_NS1_11comp_targetILNS1_3genE8ELNS1_11target_archE1030ELNS1_3gpuE2ELNS1_3repE0EEENS1_60segmented_radix_sort_warp_sort_medium_config_static_selectorELNS0_4arch9wavefront6targetE1EEEvSL_
    .private_segment_fixed_size: 0
    .sgpr_count:     4
    .sgpr_spill_count: 0
    .symbol:         _ZN7rocprim17ROCPRIM_400000_NS6detail17trampoline_kernelINS0_14default_configENS1_36segmented_radix_sort_config_selectorI12hip_bfloat16lEEZNS1_25segmented_radix_sort_implIS3_Lb1EPKS5_PS5_PKlPlN2at6native12_GLOBAL__N_18offset_tEEE10hipError_tPvRmT1_PNSt15iterator_traitsISL_E10value_typeET2_T3_PNSM_ISR_E10value_typeET4_jRbjT5_SX_jjP12ihipStream_tbEUlT_E0_NS1_11comp_targetILNS1_3genE8ELNS1_11target_archE1030ELNS1_3gpuE2ELNS1_3repE0EEENS1_60segmented_radix_sort_warp_sort_medium_config_static_selectorELNS0_4arch9wavefront6targetE1EEEvSL_.kd
    .uniform_work_group_size: 1
    .uses_dynamic_stack: false
    .vgpr_count:     0
    .vgpr_spill_count: 0
    .wavefront_size: 64
  - .agpr_count:     0
    .args:
      - .offset:         0
        .size:           88
        .value_kind:     by_value
    .group_segment_fixed_size: 0
    .kernarg_segment_align: 8
    .kernarg_segment_size: 88
    .language:       OpenCL C
    .language_version:
      - 2
      - 0
    .max_flat_workgroup_size: 256
    .name:           _ZN7rocprim17ROCPRIM_400000_NS6detail17trampoline_kernelINS0_14default_configENS1_36segmented_radix_sort_config_selectorI12hip_bfloat16lEEZNS1_25segmented_radix_sort_implIS3_Lb1EPKS5_PS5_PKlPlN2at6native12_GLOBAL__N_18offset_tEEE10hipError_tPvRmT1_PNSt15iterator_traitsISL_E10value_typeET2_T3_PNSM_ISR_E10value_typeET4_jRbjT5_SX_jjP12ihipStream_tbEUlT_E1_NS1_11comp_targetILNS1_3genE0ELNS1_11target_archE4294967295ELNS1_3gpuE0ELNS1_3repE0EEENS1_59segmented_radix_sort_warp_sort_small_config_static_selectorELNS0_4arch9wavefront6targetE1EEEvSL_
    .private_segment_fixed_size: 0
    .sgpr_count:     4
    .sgpr_spill_count: 0
    .symbol:         _ZN7rocprim17ROCPRIM_400000_NS6detail17trampoline_kernelINS0_14default_configENS1_36segmented_radix_sort_config_selectorI12hip_bfloat16lEEZNS1_25segmented_radix_sort_implIS3_Lb1EPKS5_PS5_PKlPlN2at6native12_GLOBAL__N_18offset_tEEE10hipError_tPvRmT1_PNSt15iterator_traitsISL_E10value_typeET2_T3_PNSM_ISR_E10value_typeET4_jRbjT5_SX_jjP12ihipStream_tbEUlT_E1_NS1_11comp_targetILNS1_3genE0ELNS1_11target_archE4294967295ELNS1_3gpuE0ELNS1_3repE0EEENS1_59segmented_radix_sort_warp_sort_small_config_static_selectorELNS0_4arch9wavefront6targetE1EEEvSL_.kd
    .uniform_work_group_size: 1
    .uses_dynamic_stack: false
    .vgpr_count:     0
    .vgpr_spill_count: 0
    .wavefront_size: 64
  - .agpr_count:     0
    .args:
      - .offset:         0
        .size:           88
        .value_kind:     by_value
    .group_segment_fixed_size: 0
    .kernarg_segment_align: 8
    .kernarg_segment_size: 88
    .language:       OpenCL C
    .language_version:
      - 2
      - 0
    .max_flat_workgroup_size: 256
    .name:           _ZN7rocprim17ROCPRIM_400000_NS6detail17trampoline_kernelINS0_14default_configENS1_36segmented_radix_sort_config_selectorI12hip_bfloat16lEEZNS1_25segmented_radix_sort_implIS3_Lb1EPKS5_PS5_PKlPlN2at6native12_GLOBAL__N_18offset_tEEE10hipError_tPvRmT1_PNSt15iterator_traitsISL_E10value_typeET2_T3_PNSM_ISR_E10value_typeET4_jRbjT5_SX_jjP12ihipStream_tbEUlT_E1_NS1_11comp_targetILNS1_3genE5ELNS1_11target_archE942ELNS1_3gpuE9ELNS1_3repE0EEENS1_59segmented_radix_sort_warp_sort_small_config_static_selectorELNS0_4arch9wavefront6targetE1EEEvSL_
    .private_segment_fixed_size: 0
    .sgpr_count:     4
    .sgpr_spill_count: 0
    .symbol:         _ZN7rocprim17ROCPRIM_400000_NS6detail17trampoline_kernelINS0_14default_configENS1_36segmented_radix_sort_config_selectorI12hip_bfloat16lEEZNS1_25segmented_radix_sort_implIS3_Lb1EPKS5_PS5_PKlPlN2at6native12_GLOBAL__N_18offset_tEEE10hipError_tPvRmT1_PNSt15iterator_traitsISL_E10value_typeET2_T3_PNSM_ISR_E10value_typeET4_jRbjT5_SX_jjP12ihipStream_tbEUlT_E1_NS1_11comp_targetILNS1_3genE5ELNS1_11target_archE942ELNS1_3gpuE9ELNS1_3repE0EEENS1_59segmented_radix_sort_warp_sort_small_config_static_selectorELNS0_4arch9wavefront6targetE1EEEvSL_.kd
    .uniform_work_group_size: 1
    .uses_dynamic_stack: false
    .vgpr_count:     0
    .vgpr_spill_count: 0
    .wavefront_size: 64
  - .agpr_count:     0
    .args:
      - .offset:         0
        .size:           88
        .value_kind:     by_value
      - .offset:         88
        .size:           4
        .value_kind:     hidden_block_count_x
      - .offset:         92
        .size:           4
        .value_kind:     hidden_block_count_y
      - .offset:         96
        .size:           4
        .value_kind:     hidden_block_count_z
      - .offset:         100
        .size:           2
        .value_kind:     hidden_group_size_x
      - .offset:         102
        .size:           2
        .value_kind:     hidden_group_size_y
      - .offset:         104
        .size:           2
        .value_kind:     hidden_group_size_z
      - .offset:         106
        .size:           2
        .value_kind:     hidden_remainder_x
      - .offset:         108
        .size:           2
        .value_kind:     hidden_remainder_y
      - .offset:         110
        .size:           2
        .value_kind:     hidden_remainder_z
      - .offset:         128
        .size:           8
        .value_kind:     hidden_global_offset_x
      - .offset:         136
        .size:           8
        .value_kind:     hidden_global_offset_y
      - .offset:         144
        .size:           8
        .value_kind:     hidden_global_offset_z
      - .offset:         152
        .size:           2
        .value_kind:     hidden_grid_dims
      - .offset:         168
        .size:           8
        .value_kind:     hidden_hostcall_buffer
      - .offset:         176
        .size:           8
        .value_kind:     hidden_multigrid_sync_arg
      - .offset:         184
        .size:           8
        .value_kind:     hidden_heap_v1
      - .offset:         192
        .size:           8
        .value_kind:     hidden_default_queue
      - .offset:         200
        .size:           8
        .value_kind:     hidden_completion_action
      - .offset:         288
        .size:           8
        .value_kind:     hidden_queue_ptr
    .group_segment_fixed_size: 10240
    .kernarg_segment_align: 8
    .kernarg_segment_size: 344
    .language:       OpenCL C
    .language_version:
      - 2
      - 0
    .max_flat_workgroup_size: 256
    .name:           _ZN7rocprim17ROCPRIM_400000_NS6detail17trampoline_kernelINS0_14default_configENS1_36segmented_radix_sort_config_selectorI12hip_bfloat16lEEZNS1_25segmented_radix_sort_implIS3_Lb1EPKS5_PS5_PKlPlN2at6native12_GLOBAL__N_18offset_tEEE10hipError_tPvRmT1_PNSt15iterator_traitsISL_E10value_typeET2_T3_PNSM_ISR_E10value_typeET4_jRbjT5_SX_jjP12ihipStream_tbEUlT_E1_NS1_11comp_targetILNS1_3genE4ELNS1_11target_archE910ELNS1_3gpuE8ELNS1_3repE0EEENS1_59segmented_radix_sort_warp_sort_small_config_static_selectorELNS0_4arch9wavefront6targetE1EEEvSL_
    .private_segment_fixed_size: 0
    .sgpr_count:     54
    .sgpr_spill_count: 0
    .symbol:         _ZN7rocprim17ROCPRIM_400000_NS6detail17trampoline_kernelINS0_14default_configENS1_36segmented_radix_sort_config_selectorI12hip_bfloat16lEEZNS1_25segmented_radix_sort_implIS3_Lb1EPKS5_PS5_PKlPlN2at6native12_GLOBAL__N_18offset_tEEE10hipError_tPvRmT1_PNSt15iterator_traitsISL_E10value_typeET2_T3_PNSM_ISR_E10value_typeET4_jRbjT5_SX_jjP12ihipStream_tbEUlT_E1_NS1_11comp_targetILNS1_3genE4ELNS1_11target_archE910ELNS1_3gpuE8ELNS1_3repE0EEENS1_59segmented_radix_sort_warp_sort_small_config_static_selectorELNS0_4arch9wavefront6targetE1EEEvSL_.kd
    .uniform_work_group_size: 1
    .uses_dynamic_stack: false
    .vgpr_count:     68
    .vgpr_spill_count: 0
    .wavefront_size: 64
  - .agpr_count:     0
    .args:
      - .offset:         0
        .size:           88
        .value_kind:     by_value
    .group_segment_fixed_size: 0
    .kernarg_segment_align: 8
    .kernarg_segment_size: 88
    .language:       OpenCL C
    .language_version:
      - 2
      - 0
    .max_flat_workgroup_size: 256
    .name:           _ZN7rocprim17ROCPRIM_400000_NS6detail17trampoline_kernelINS0_14default_configENS1_36segmented_radix_sort_config_selectorI12hip_bfloat16lEEZNS1_25segmented_radix_sort_implIS3_Lb1EPKS5_PS5_PKlPlN2at6native12_GLOBAL__N_18offset_tEEE10hipError_tPvRmT1_PNSt15iterator_traitsISL_E10value_typeET2_T3_PNSM_ISR_E10value_typeET4_jRbjT5_SX_jjP12ihipStream_tbEUlT_E1_NS1_11comp_targetILNS1_3genE3ELNS1_11target_archE908ELNS1_3gpuE7ELNS1_3repE0EEENS1_59segmented_radix_sort_warp_sort_small_config_static_selectorELNS0_4arch9wavefront6targetE1EEEvSL_
    .private_segment_fixed_size: 0
    .sgpr_count:     4
    .sgpr_spill_count: 0
    .symbol:         _ZN7rocprim17ROCPRIM_400000_NS6detail17trampoline_kernelINS0_14default_configENS1_36segmented_radix_sort_config_selectorI12hip_bfloat16lEEZNS1_25segmented_radix_sort_implIS3_Lb1EPKS5_PS5_PKlPlN2at6native12_GLOBAL__N_18offset_tEEE10hipError_tPvRmT1_PNSt15iterator_traitsISL_E10value_typeET2_T3_PNSM_ISR_E10value_typeET4_jRbjT5_SX_jjP12ihipStream_tbEUlT_E1_NS1_11comp_targetILNS1_3genE3ELNS1_11target_archE908ELNS1_3gpuE7ELNS1_3repE0EEENS1_59segmented_radix_sort_warp_sort_small_config_static_selectorELNS0_4arch9wavefront6targetE1EEEvSL_.kd
    .uniform_work_group_size: 1
    .uses_dynamic_stack: false
    .vgpr_count:     0
    .vgpr_spill_count: 0
    .wavefront_size: 64
  - .agpr_count:     0
    .args:
      - .offset:         0
        .size:           88
        .value_kind:     by_value
    .group_segment_fixed_size: 0
    .kernarg_segment_align: 8
    .kernarg_segment_size: 88
    .language:       OpenCL C
    .language_version:
      - 2
      - 0
    .max_flat_workgroup_size: 256
    .name:           _ZN7rocprim17ROCPRIM_400000_NS6detail17trampoline_kernelINS0_14default_configENS1_36segmented_radix_sort_config_selectorI12hip_bfloat16lEEZNS1_25segmented_radix_sort_implIS3_Lb1EPKS5_PS5_PKlPlN2at6native12_GLOBAL__N_18offset_tEEE10hipError_tPvRmT1_PNSt15iterator_traitsISL_E10value_typeET2_T3_PNSM_ISR_E10value_typeET4_jRbjT5_SX_jjP12ihipStream_tbEUlT_E1_NS1_11comp_targetILNS1_3genE2ELNS1_11target_archE906ELNS1_3gpuE6ELNS1_3repE0EEENS1_59segmented_radix_sort_warp_sort_small_config_static_selectorELNS0_4arch9wavefront6targetE1EEEvSL_
    .private_segment_fixed_size: 0
    .sgpr_count:     4
    .sgpr_spill_count: 0
    .symbol:         _ZN7rocprim17ROCPRIM_400000_NS6detail17trampoline_kernelINS0_14default_configENS1_36segmented_radix_sort_config_selectorI12hip_bfloat16lEEZNS1_25segmented_radix_sort_implIS3_Lb1EPKS5_PS5_PKlPlN2at6native12_GLOBAL__N_18offset_tEEE10hipError_tPvRmT1_PNSt15iterator_traitsISL_E10value_typeET2_T3_PNSM_ISR_E10value_typeET4_jRbjT5_SX_jjP12ihipStream_tbEUlT_E1_NS1_11comp_targetILNS1_3genE2ELNS1_11target_archE906ELNS1_3gpuE6ELNS1_3repE0EEENS1_59segmented_radix_sort_warp_sort_small_config_static_selectorELNS0_4arch9wavefront6targetE1EEEvSL_.kd
    .uniform_work_group_size: 1
    .uses_dynamic_stack: false
    .vgpr_count:     0
    .vgpr_spill_count: 0
    .wavefront_size: 64
  - .agpr_count:     0
    .args:
      - .offset:         0
        .size:           88
        .value_kind:     by_value
    .group_segment_fixed_size: 0
    .kernarg_segment_align: 8
    .kernarg_segment_size: 88
    .language:       OpenCL C
    .language_version:
      - 2
      - 0
    .max_flat_workgroup_size: 256
    .name:           _ZN7rocprim17ROCPRIM_400000_NS6detail17trampoline_kernelINS0_14default_configENS1_36segmented_radix_sort_config_selectorI12hip_bfloat16lEEZNS1_25segmented_radix_sort_implIS3_Lb1EPKS5_PS5_PKlPlN2at6native12_GLOBAL__N_18offset_tEEE10hipError_tPvRmT1_PNSt15iterator_traitsISL_E10value_typeET2_T3_PNSM_ISR_E10value_typeET4_jRbjT5_SX_jjP12ihipStream_tbEUlT_E1_NS1_11comp_targetILNS1_3genE10ELNS1_11target_archE1201ELNS1_3gpuE5ELNS1_3repE0EEENS1_59segmented_radix_sort_warp_sort_small_config_static_selectorELNS0_4arch9wavefront6targetE1EEEvSL_
    .private_segment_fixed_size: 0
    .sgpr_count:     4
    .sgpr_spill_count: 0
    .symbol:         _ZN7rocprim17ROCPRIM_400000_NS6detail17trampoline_kernelINS0_14default_configENS1_36segmented_radix_sort_config_selectorI12hip_bfloat16lEEZNS1_25segmented_radix_sort_implIS3_Lb1EPKS5_PS5_PKlPlN2at6native12_GLOBAL__N_18offset_tEEE10hipError_tPvRmT1_PNSt15iterator_traitsISL_E10value_typeET2_T3_PNSM_ISR_E10value_typeET4_jRbjT5_SX_jjP12ihipStream_tbEUlT_E1_NS1_11comp_targetILNS1_3genE10ELNS1_11target_archE1201ELNS1_3gpuE5ELNS1_3repE0EEENS1_59segmented_radix_sort_warp_sort_small_config_static_selectorELNS0_4arch9wavefront6targetE1EEEvSL_.kd
    .uniform_work_group_size: 1
    .uses_dynamic_stack: false
    .vgpr_count:     0
    .vgpr_spill_count: 0
    .wavefront_size: 64
  - .agpr_count:     0
    .args:
      - .offset:         0
        .size:           88
        .value_kind:     by_value
    .group_segment_fixed_size: 0
    .kernarg_segment_align: 8
    .kernarg_segment_size: 88
    .language:       OpenCL C
    .language_version:
      - 2
      - 0
    .max_flat_workgroup_size: 256
    .name:           _ZN7rocprim17ROCPRIM_400000_NS6detail17trampoline_kernelINS0_14default_configENS1_36segmented_radix_sort_config_selectorI12hip_bfloat16lEEZNS1_25segmented_radix_sort_implIS3_Lb1EPKS5_PS5_PKlPlN2at6native12_GLOBAL__N_18offset_tEEE10hipError_tPvRmT1_PNSt15iterator_traitsISL_E10value_typeET2_T3_PNSM_ISR_E10value_typeET4_jRbjT5_SX_jjP12ihipStream_tbEUlT_E1_NS1_11comp_targetILNS1_3genE10ELNS1_11target_archE1200ELNS1_3gpuE4ELNS1_3repE0EEENS1_59segmented_radix_sort_warp_sort_small_config_static_selectorELNS0_4arch9wavefront6targetE1EEEvSL_
    .private_segment_fixed_size: 0
    .sgpr_count:     4
    .sgpr_spill_count: 0
    .symbol:         _ZN7rocprim17ROCPRIM_400000_NS6detail17trampoline_kernelINS0_14default_configENS1_36segmented_radix_sort_config_selectorI12hip_bfloat16lEEZNS1_25segmented_radix_sort_implIS3_Lb1EPKS5_PS5_PKlPlN2at6native12_GLOBAL__N_18offset_tEEE10hipError_tPvRmT1_PNSt15iterator_traitsISL_E10value_typeET2_T3_PNSM_ISR_E10value_typeET4_jRbjT5_SX_jjP12ihipStream_tbEUlT_E1_NS1_11comp_targetILNS1_3genE10ELNS1_11target_archE1200ELNS1_3gpuE4ELNS1_3repE0EEENS1_59segmented_radix_sort_warp_sort_small_config_static_selectorELNS0_4arch9wavefront6targetE1EEEvSL_.kd
    .uniform_work_group_size: 1
    .uses_dynamic_stack: false
    .vgpr_count:     0
    .vgpr_spill_count: 0
    .wavefront_size: 64
  - .agpr_count:     0
    .args:
      - .offset:         0
        .size:           88
        .value_kind:     by_value
    .group_segment_fixed_size: 0
    .kernarg_segment_align: 8
    .kernarg_segment_size: 88
    .language:       OpenCL C
    .language_version:
      - 2
      - 0
    .max_flat_workgroup_size: 256
    .name:           _ZN7rocprim17ROCPRIM_400000_NS6detail17trampoline_kernelINS0_14default_configENS1_36segmented_radix_sort_config_selectorI12hip_bfloat16lEEZNS1_25segmented_radix_sort_implIS3_Lb1EPKS5_PS5_PKlPlN2at6native12_GLOBAL__N_18offset_tEEE10hipError_tPvRmT1_PNSt15iterator_traitsISL_E10value_typeET2_T3_PNSM_ISR_E10value_typeET4_jRbjT5_SX_jjP12ihipStream_tbEUlT_E1_NS1_11comp_targetILNS1_3genE9ELNS1_11target_archE1100ELNS1_3gpuE3ELNS1_3repE0EEENS1_59segmented_radix_sort_warp_sort_small_config_static_selectorELNS0_4arch9wavefront6targetE1EEEvSL_
    .private_segment_fixed_size: 0
    .sgpr_count:     4
    .sgpr_spill_count: 0
    .symbol:         _ZN7rocprim17ROCPRIM_400000_NS6detail17trampoline_kernelINS0_14default_configENS1_36segmented_radix_sort_config_selectorI12hip_bfloat16lEEZNS1_25segmented_radix_sort_implIS3_Lb1EPKS5_PS5_PKlPlN2at6native12_GLOBAL__N_18offset_tEEE10hipError_tPvRmT1_PNSt15iterator_traitsISL_E10value_typeET2_T3_PNSM_ISR_E10value_typeET4_jRbjT5_SX_jjP12ihipStream_tbEUlT_E1_NS1_11comp_targetILNS1_3genE9ELNS1_11target_archE1100ELNS1_3gpuE3ELNS1_3repE0EEENS1_59segmented_radix_sort_warp_sort_small_config_static_selectorELNS0_4arch9wavefront6targetE1EEEvSL_.kd
    .uniform_work_group_size: 1
    .uses_dynamic_stack: false
    .vgpr_count:     0
    .vgpr_spill_count: 0
    .wavefront_size: 64
  - .agpr_count:     0
    .args:
      - .offset:         0
        .size:           88
        .value_kind:     by_value
    .group_segment_fixed_size: 0
    .kernarg_segment_align: 8
    .kernarg_segment_size: 88
    .language:       OpenCL C
    .language_version:
      - 2
      - 0
    .max_flat_workgroup_size: 256
    .name:           _ZN7rocprim17ROCPRIM_400000_NS6detail17trampoline_kernelINS0_14default_configENS1_36segmented_radix_sort_config_selectorI12hip_bfloat16lEEZNS1_25segmented_radix_sort_implIS3_Lb1EPKS5_PS5_PKlPlN2at6native12_GLOBAL__N_18offset_tEEE10hipError_tPvRmT1_PNSt15iterator_traitsISL_E10value_typeET2_T3_PNSM_ISR_E10value_typeET4_jRbjT5_SX_jjP12ihipStream_tbEUlT_E1_NS1_11comp_targetILNS1_3genE8ELNS1_11target_archE1030ELNS1_3gpuE2ELNS1_3repE0EEENS1_59segmented_radix_sort_warp_sort_small_config_static_selectorELNS0_4arch9wavefront6targetE1EEEvSL_
    .private_segment_fixed_size: 0
    .sgpr_count:     4
    .sgpr_spill_count: 0
    .symbol:         _ZN7rocprim17ROCPRIM_400000_NS6detail17trampoline_kernelINS0_14default_configENS1_36segmented_radix_sort_config_selectorI12hip_bfloat16lEEZNS1_25segmented_radix_sort_implIS3_Lb1EPKS5_PS5_PKlPlN2at6native12_GLOBAL__N_18offset_tEEE10hipError_tPvRmT1_PNSt15iterator_traitsISL_E10value_typeET2_T3_PNSM_ISR_E10value_typeET4_jRbjT5_SX_jjP12ihipStream_tbEUlT_E1_NS1_11comp_targetILNS1_3genE8ELNS1_11target_archE1030ELNS1_3gpuE2ELNS1_3repE0EEENS1_59segmented_radix_sort_warp_sort_small_config_static_selectorELNS0_4arch9wavefront6targetE1EEEvSL_.kd
    .uniform_work_group_size: 1
    .uses_dynamic_stack: false
    .vgpr_count:     0
    .vgpr_spill_count: 0
    .wavefront_size: 64
  - .agpr_count:     0
    .args:
      - .offset:         0
        .size:           80
        .value_kind:     by_value
    .group_segment_fixed_size: 0
    .kernarg_segment_align: 8
    .kernarg_segment_size: 80
    .language:       OpenCL C
    .language_version:
      - 2
      - 0
    .max_flat_workgroup_size: 256
    .name:           _ZN7rocprim17ROCPRIM_400000_NS6detail17trampoline_kernelINS0_14default_configENS1_36segmented_radix_sort_config_selectorI12hip_bfloat16lEEZNS1_25segmented_radix_sort_implIS3_Lb1EPKS5_PS5_PKlPlN2at6native12_GLOBAL__N_18offset_tEEE10hipError_tPvRmT1_PNSt15iterator_traitsISL_E10value_typeET2_T3_PNSM_ISR_E10value_typeET4_jRbjT5_SX_jjP12ihipStream_tbEUlT_E2_NS1_11comp_targetILNS1_3genE0ELNS1_11target_archE4294967295ELNS1_3gpuE0ELNS1_3repE0EEENS1_30default_config_static_selectorELNS0_4arch9wavefront6targetE1EEEvSL_
    .private_segment_fixed_size: 0
    .sgpr_count:     4
    .sgpr_spill_count: 0
    .symbol:         _ZN7rocprim17ROCPRIM_400000_NS6detail17trampoline_kernelINS0_14default_configENS1_36segmented_radix_sort_config_selectorI12hip_bfloat16lEEZNS1_25segmented_radix_sort_implIS3_Lb1EPKS5_PS5_PKlPlN2at6native12_GLOBAL__N_18offset_tEEE10hipError_tPvRmT1_PNSt15iterator_traitsISL_E10value_typeET2_T3_PNSM_ISR_E10value_typeET4_jRbjT5_SX_jjP12ihipStream_tbEUlT_E2_NS1_11comp_targetILNS1_3genE0ELNS1_11target_archE4294967295ELNS1_3gpuE0ELNS1_3repE0EEENS1_30default_config_static_selectorELNS0_4arch9wavefront6targetE1EEEvSL_.kd
    .uniform_work_group_size: 1
    .uses_dynamic_stack: false
    .vgpr_count:     0
    .vgpr_spill_count: 0
    .wavefront_size: 64
  - .agpr_count:     0
    .args:
      - .offset:         0
        .size:           80
        .value_kind:     by_value
    .group_segment_fixed_size: 0
    .kernarg_segment_align: 8
    .kernarg_segment_size: 80
    .language:       OpenCL C
    .language_version:
      - 2
      - 0
    .max_flat_workgroup_size: 256
    .name:           _ZN7rocprim17ROCPRIM_400000_NS6detail17trampoline_kernelINS0_14default_configENS1_36segmented_radix_sort_config_selectorI12hip_bfloat16lEEZNS1_25segmented_radix_sort_implIS3_Lb1EPKS5_PS5_PKlPlN2at6native12_GLOBAL__N_18offset_tEEE10hipError_tPvRmT1_PNSt15iterator_traitsISL_E10value_typeET2_T3_PNSM_ISR_E10value_typeET4_jRbjT5_SX_jjP12ihipStream_tbEUlT_E2_NS1_11comp_targetILNS1_3genE5ELNS1_11target_archE942ELNS1_3gpuE9ELNS1_3repE0EEENS1_30default_config_static_selectorELNS0_4arch9wavefront6targetE1EEEvSL_
    .private_segment_fixed_size: 0
    .sgpr_count:     4
    .sgpr_spill_count: 0
    .symbol:         _ZN7rocprim17ROCPRIM_400000_NS6detail17trampoline_kernelINS0_14default_configENS1_36segmented_radix_sort_config_selectorI12hip_bfloat16lEEZNS1_25segmented_radix_sort_implIS3_Lb1EPKS5_PS5_PKlPlN2at6native12_GLOBAL__N_18offset_tEEE10hipError_tPvRmT1_PNSt15iterator_traitsISL_E10value_typeET2_T3_PNSM_ISR_E10value_typeET4_jRbjT5_SX_jjP12ihipStream_tbEUlT_E2_NS1_11comp_targetILNS1_3genE5ELNS1_11target_archE942ELNS1_3gpuE9ELNS1_3repE0EEENS1_30default_config_static_selectorELNS0_4arch9wavefront6targetE1EEEvSL_.kd
    .uniform_work_group_size: 1
    .uses_dynamic_stack: false
    .vgpr_count:     0
    .vgpr_spill_count: 0
    .wavefront_size: 64
  - .agpr_count:     0
    .args:
      - .offset:         0
        .size:           80
        .value_kind:     by_value
      - .offset:         80
        .size:           4
        .value_kind:     hidden_block_count_x
      - .offset:         84
        .size:           4
        .value_kind:     hidden_block_count_y
      - .offset:         88
        .size:           4
        .value_kind:     hidden_block_count_z
      - .offset:         92
        .size:           2
        .value_kind:     hidden_group_size_x
      - .offset:         94
        .size:           2
        .value_kind:     hidden_group_size_y
      - .offset:         96
        .size:           2
        .value_kind:     hidden_group_size_z
      - .offset:         98
        .size:           2
        .value_kind:     hidden_remainder_x
      - .offset:         100
        .size:           2
        .value_kind:     hidden_remainder_y
      - .offset:         102
        .size:           2
        .value_kind:     hidden_remainder_z
      - .offset:         120
        .size:           8
        .value_kind:     hidden_global_offset_x
      - .offset:         128
        .size:           8
        .value_kind:     hidden_global_offset_y
      - .offset:         136
        .size:           8
        .value_kind:     hidden_global_offset_z
      - .offset:         144
        .size:           2
        .value_kind:     hidden_grid_dims
      - .offset:         160
        .size:           8
        .value_kind:     hidden_hostcall_buffer
      - .offset:         168
        .size:           8
        .value_kind:     hidden_multigrid_sync_arg
      - .offset:         176
        .size:           8
        .value_kind:     hidden_heap_v1
      - .offset:         184
        .size:           8
        .value_kind:     hidden_default_queue
      - .offset:         192
        .size:           8
        .value_kind:     hidden_completion_action
      - .offset:         280
        .size:           8
        .value_kind:     hidden_queue_ptr
    .group_segment_fixed_size: 17424
    .kernarg_segment_align: 8
    .kernarg_segment_size: 336
    .language:       OpenCL C
    .language_version:
      - 2
      - 0
    .max_flat_workgroup_size: 256
    .name:           _ZN7rocprim17ROCPRIM_400000_NS6detail17trampoline_kernelINS0_14default_configENS1_36segmented_radix_sort_config_selectorI12hip_bfloat16lEEZNS1_25segmented_radix_sort_implIS3_Lb1EPKS5_PS5_PKlPlN2at6native12_GLOBAL__N_18offset_tEEE10hipError_tPvRmT1_PNSt15iterator_traitsISL_E10value_typeET2_T3_PNSM_ISR_E10value_typeET4_jRbjT5_SX_jjP12ihipStream_tbEUlT_E2_NS1_11comp_targetILNS1_3genE4ELNS1_11target_archE910ELNS1_3gpuE8ELNS1_3repE0EEENS1_30default_config_static_selectorELNS0_4arch9wavefront6targetE1EEEvSL_
    .private_segment_fixed_size: 8
    .sgpr_count:     87
    .sgpr_spill_count: 0
    .symbol:         _ZN7rocprim17ROCPRIM_400000_NS6detail17trampoline_kernelINS0_14default_configENS1_36segmented_radix_sort_config_selectorI12hip_bfloat16lEEZNS1_25segmented_radix_sort_implIS3_Lb1EPKS5_PS5_PKlPlN2at6native12_GLOBAL__N_18offset_tEEE10hipError_tPvRmT1_PNSt15iterator_traitsISL_E10value_typeET2_T3_PNSM_ISR_E10value_typeET4_jRbjT5_SX_jjP12ihipStream_tbEUlT_E2_NS1_11comp_targetILNS1_3genE4ELNS1_11target_archE910ELNS1_3gpuE8ELNS1_3repE0EEENS1_30default_config_static_selectorELNS0_4arch9wavefront6targetE1EEEvSL_.kd
    .uniform_work_group_size: 1
    .uses_dynamic_stack: false
    .vgpr_count:     178
    .vgpr_spill_count: 0
    .wavefront_size: 64
  - .agpr_count:     0
    .args:
      - .offset:         0
        .size:           80
        .value_kind:     by_value
    .group_segment_fixed_size: 0
    .kernarg_segment_align: 8
    .kernarg_segment_size: 80
    .language:       OpenCL C
    .language_version:
      - 2
      - 0
    .max_flat_workgroup_size: 256
    .name:           _ZN7rocprim17ROCPRIM_400000_NS6detail17trampoline_kernelINS0_14default_configENS1_36segmented_radix_sort_config_selectorI12hip_bfloat16lEEZNS1_25segmented_radix_sort_implIS3_Lb1EPKS5_PS5_PKlPlN2at6native12_GLOBAL__N_18offset_tEEE10hipError_tPvRmT1_PNSt15iterator_traitsISL_E10value_typeET2_T3_PNSM_ISR_E10value_typeET4_jRbjT5_SX_jjP12ihipStream_tbEUlT_E2_NS1_11comp_targetILNS1_3genE3ELNS1_11target_archE908ELNS1_3gpuE7ELNS1_3repE0EEENS1_30default_config_static_selectorELNS0_4arch9wavefront6targetE1EEEvSL_
    .private_segment_fixed_size: 0
    .sgpr_count:     4
    .sgpr_spill_count: 0
    .symbol:         _ZN7rocprim17ROCPRIM_400000_NS6detail17trampoline_kernelINS0_14default_configENS1_36segmented_radix_sort_config_selectorI12hip_bfloat16lEEZNS1_25segmented_radix_sort_implIS3_Lb1EPKS5_PS5_PKlPlN2at6native12_GLOBAL__N_18offset_tEEE10hipError_tPvRmT1_PNSt15iterator_traitsISL_E10value_typeET2_T3_PNSM_ISR_E10value_typeET4_jRbjT5_SX_jjP12ihipStream_tbEUlT_E2_NS1_11comp_targetILNS1_3genE3ELNS1_11target_archE908ELNS1_3gpuE7ELNS1_3repE0EEENS1_30default_config_static_selectorELNS0_4arch9wavefront6targetE1EEEvSL_.kd
    .uniform_work_group_size: 1
    .uses_dynamic_stack: false
    .vgpr_count:     0
    .vgpr_spill_count: 0
    .wavefront_size: 64
  - .agpr_count:     0
    .args:
      - .offset:         0
        .size:           80
        .value_kind:     by_value
    .group_segment_fixed_size: 0
    .kernarg_segment_align: 8
    .kernarg_segment_size: 80
    .language:       OpenCL C
    .language_version:
      - 2
      - 0
    .max_flat_workgroup_size: 256
    .name:           _ZN7rocprim17ROCPRIM_400000_NS6detail17trampoline_kernelINS0_14default_configENS1_36segmented_radix_sort_config_selectorI12hip_bfloat16lEEZNS1_25segmented_radix_sort_implIS3_Lb1EPKS5_PS5_PKlPlN2at6native12_GLOBAL__N_18offset_tEEE10hipError_tPvRmT1_PNSt15iterator_traitsISL_E10value_typeET2_T3_PNSM_ISR_E10value_typeET4_jRbjT5_SX_jjP12ihipStream_tbEUlT_E2_NS1_11comp_targetILNS1_3genE2ELNS1_11target_archE906ELNS1_3gpuE6ELNS1_3repE0EEENS1_30default_config_static_selectorELNS0_4arch9wavefront6targetE1EEEvSL_
    .private_segment_fixed_size: 0
    .sgpr_count:     4
    .sgpr_spill_count: 0
    .symbol:         _ZN7rocprim17ROCPRIM_400000_NS6detail17trampoline_kernelINS0_14default_configENS1_36segmented_radix_sort_config_selectorI12hip_bfloat16lEEZNS1_25segmented_radix_sort_implIS3_Lb1EPKS5_PS5_PKlPlN2at6native12_GLOBAL__N_18offset_tEEE10hipError_tPvRmT1_PNSt15iterator_traitsISL_E10value_typeET2_T3_PNSM_ISR_E10value_typeET4_jRbjT5_SX_jjP12ihipStream_tbEUlT_E2_NS1_11comp_targetILNS1_3genE2ELNS1_11target_archE906ELNS1_3gpuE6ELNS1_3repE0EEENS1_30default_config_static_selectorELNS0_4arch9wavefront6targetE1EEEvSL_.kd
    .uniform_work_group_size: 1
    .uses_dynamic_stack: false
    .vgpr_count:     0
    .vgpr_spill_count: 0
    .wavefront_size: 64
  - .agpr_count:     0
    .args:
      - .offset:         0
        .size:           80
        .value_kind:     by_value
    .group_segment_fixed_size: 0
    .kernarg_segment_align: 8
    .kernarg_segment_size: 80
    .language:       OpenCL C
    .language_version:
      - 2
      - 0
    .max_flat_workgroup_size: 256
    .name:           _ZN7rocprim17ROCPRIM_400000_NS6detail17trampoline_kernelINS0_14default_configENS1_36segmented_radix_sort_config_selectorI12hip_bfloat16lEEZNS1_25segmented_radix_sort_implIS3_Lb1EPKS5_PS5_PKlPlN2at6native12_GLOBAL__N_18offset_tEEE10hipError_tPvRmT1_PNSt15iterator_traitsISL_E10value_typeET2_T3_PNSM_ISR_E10value_typeET4_jRbjT5_SX_jjP12ihipStream_tbEUlT_E2_NS1_11comp_targetILNS1_3genE10ELNS1_11target_archE1201ELNS1_3gpuE5ELNS1_3repE0EEENS1_30default_config_static_selectorELNS0_4arch9wavefront6targetE1EEEvSL_
    .private_segment_fixed_size: 0
    .sgpr_count:     4
    .sgpr_spill_count: 0
    .symbol:         _ZN7rocprim17ROCPRIM_400000_NS6detail17trampoline_kernelINS0_14default_configENS1_36segmented_radix_sort_config_selectorI12hip_bfloat16lEEZNS1_25segmented_radix_sort_implIS3_Lb1EPKS5_PS5_PKlPlN2at6native12_GLOBAL__N_18offset_tEEE10hipError_tPvRmT1_PNSt15iterator_traitsISL_E10value_typeET2_T3_PNSM_ISR_E10value_typeET4_jRbjT5_SX_jjP12ihipStream_tbEUlT_E2_NS1_11comp_targetILNS1_3genE10ELNS1_11target_archE1201ELNS1_3gpuE5ELNS1_3repE0EEENS1_30default_config_static_selectorELNS0_4arch9wavefront6targetE1EEEvSL_.kd
    .uniform_work_group_size: 1
    .uses_dynamic_stack: false
    .vgpr_count:     0
    .vgpr_spill_count: 0
    .wavefront_size: 64
  - .agpr_count:     0
    .args:
      - .offset:         0
        .size:           80
        .value_kind:     by_value
    .group_segment_fixed_size: 0
    .kernarg_segment_align: 8
    .kernarg_segment_size: 80
    .language:       OpenCL C
    .language_version:
      - 2
      - 0
    .max_flat_workgroup_size: 128
    .name:           _ZN7rocprim17ROCPRIM_400000_NS6detail17trampoline_kernelINS0_14default_configENS1_36segmented_radix_sort_config_selectorI12hip_bfloat16lEEZNS1_25segmented_radix_sort_implIS3_Lb1EPKS5_PS5_PKlPlN2at6native12_GLOBAL__N_18offset_tEEE10hipError_tPvRmT1_PNSt15iterator_traitsISL_E10value_typeET2_T3_PNSM_ISR_E10value_typeET4_jRbjT5_SX_jjP12ihipStream_tbEUlT_E2_NS1_11comp_targetILNS1_3genE10ELNS1_11target_archE1200ELNS1_3gpuE4ELNS1_3repE0EEENS1_30default_config_static_selectorELNS0_4arch9wavefront6targetE1EEEvSL_
    .private_segment_fixed_size: 0
    .sgpr_count:     4
    .sgpr_spill_count: 0
    .symbol:         _ZN7rocprim17ROCPRIM_400000_NS6detail17trampoline_kernelINS0_14default_configENS1_36segmented_radix_sort_config_selectorI12hip_bfloat16lEEZNS1_25segmented_radix_sort_implIS3_Lb1EPKS5_PS5_PKlPlN2at6native12_GLOBAL__N_18offset_tEEE10hipError_tPvRmT1_PNSt15iterator_traitsISL_E10value_typeET2_T3_PNSM_ISR_E10value_typeET4_jRbjT5_SX_jjP12ihipStream_tbEUlT_E2_NS1_11comp_targetILNS1_3genE10ELNS1_11target_archE1200ELNS1_3gpuE4ELNS1_3repE0EEENS1_30default_config_static_selectorELNS0_4arch9wavefront6targetE1EEEvSL_.kd
    .uniform_work_group_size: 1
    .uses_dynamic_stack: false
    .vgpr_count:     0
    .vgpr_spill_count: 0
    .wavefront_size: 64
  - .agpr_count:     0
    .args:
      - .offset:         0
        .size:           80
        .value_kind:     by_value
    .group_segment_fixed_size: 0
    .kernarg_segment_align: 8
    .kernarg_segment_size: 80
    .language:       OpenCL C
    .language_version:
      - 2
      - 0
    .max_flat_workgroup_size: 256
    .name:           _ZN7rocprim17ROCPRIM_400000_NS6detail17trampoline_kernelINS0_14default_configENS1_36segmented_radix_sort_config_selectorI12hip_bfloat16lEEZNS1_25segmented_radix_sort_implIS3_Lb1EPKS5_PS5_PKlPlN2at6native12_GLOBAL__N_18offset_tEEE10hipError_tPvRmT1_PNSt15iterator_traitsISL_E10value_typeET2_T3_PNSM_ISR_E10value_typeET4_jRbjT5_SX_jjP12ihipStream_tbEUlT_E2_NS1_11comp_targetILNS1_3genE9ELNS1_11target_archE1100ELNS1_3gpuE3ELNS1_3repE0EEENS1_30default_config_static_selectorELNS0_4arch9wavefront6targetE1EEEvSL_
    .private_segment_fixed_size: 0
    .sgpr_count:     4
    .sgpr_spill_count: 0
    .symbol:         _ZN7rocprim17ROCPRIM_400000_NS6detail17trampoline_kernelINS0_14default_configENS1_36segmented_radix_sort_config_selectorI12hip_bfloat16lEEZNS1_25segmented_radix_sort_implIS3_Lb1EPKS5_PS5_PKlPlN2at6native12_GLOBAL__N_18offset_tEEE10hipError_tPvRmT1_PNSt15iterator_traitsISL_E10value_typeET2_T3_PNSM_ISR_E10value_typeET4_jRbjT5_SX_jjP12ihipStream_tbEUlT_E2_NS1_11comp_targetILNS1_3genE9ELNS1_11target_archE1100ELNS1_3gpuE3ELNS1_3repE0EEENS1_30default_config_static_selectorELNS0_4arch9wavefront6targetE1EEEvSL_.kd
    .uniform_work_group_size: 1
    .uses_dynamic_stack: false
    .vgpr_count:     0
    .vgpr_spill_count: 0
    .wavefront_size: 64
  - .agpr_count:     0
    .args:
      - .offset:         0
        .size:           80
        .value_kind:     by_value
    .group_segment_fixed_size: 0
    .kernarg_segment_align: 8
    .kernarg_segment_size: 80
    .language:       OpenCL C
    .language_version:
      - 2
      - 0
    .max_flat_workgroup_size: 256
    .name:           _ZN7rocprim17ROCPRIM_400000_NS6detail17trampoline_kernelINS0_14default_configENS1_36segmented_radix_sort_config_selectorI12hip_bfloat16lEEZNS1_25segmented_radix_sort_implIS3_Lb1EPKS5_PS5_PKlPlN2at6native12_GLOBAL__N_18offset_tEEE10hipError_tPvRmT1_PNSt15iterator_traitsISL_E10value_typeET2_T3_PNSM_ISR_E10value_typeET4_jRbjT5_SX_jjP12ihipStream_tbEUlT_E2_NS1_11comp_targetILNS1_3genE8ELNS1_11target_archE1030ELNS1_3gpuE2ELNS1_3repE0EEENS1_30default_config_static_selectorELNS0_4arch9wavefront6targetE1EEEvSL_
    .private_segment_fixed_size: 0
    .sgpr_count:     4
    .sgpr_spill_count: 0
    .symbol:         _ZN7rocprim17ROCPRIM_400000_NS6detail17trampoline_kernelINS0_14default_configENS1_36segmented_radix_sort_config_selectorI12hip_bfloat16lEEZNS1_25segmented_radix_sort_implIS3_Lb1EPKS5_PS5_PKlPlN2at6native12_GLOBAL__N_18offset_tEEE10hipError_tPvRmT1_PNSt15iterator_traitsISL_E10value_typeET2_T3_PNSM_ISR_E10value_typeET4_jRbjT5_SX_jjP12ihipStream_tbEUlT_E2_NS1_11comp_targetILNS1_3genE8ELNS1_11target_archE1030ELNS1_3gpuE2ELNS1_3repE0EEENS1_30default_config_static_selectorELNS0_4arch9wavefront6targetE1EEEvSL_.kd
    .uniform_work_group_size: 1
    .uses_dynamic_stack: false
    .vgpr_count:     0
    .vgpr_spill_count: 0
    .wavefront_size: 64
  - .agpr_count:     0
    .args:
      - .offset:         0
        .size:           176
        .value_kind:     by_value
    .group_segment_fixed_size: 0
    .kernarg_segment_align: 8
    .kernarg_segment_size: 176
    .language:       OpenCL C
    .language_version:
      - 2
      - 0
    .max_flat_workgroup_size: 256
    .name:           _ZN7rocprim17ROCPRIM_400000_NS6detail17trampoline_kernelINS0_13select_configILj256ELj13ELNS0_17block_load_methodE3ELS4_3ELS4_3ELNS0_20block_scan_algorithmE0ELj4294967295EEENS1_25partition_config_selectorILNS1_17partition_subalgoE4EjNS0_10empty_typeEbEEZZNS1_14partition_implILS8_4ELb0ES6_15HIP_vector_typeIjLj2EENS0_17counting_iteratorIjlEEPS9_SG_NS0_5tupleIJPjSI_NS0_16reverse_iteratorISI_EEEEENSH_IJSG_SG_SG_EEES9_SI_JZNS1_25segmented_radix_sort_implINS0_14default_configELb0EPK12hip_bfloat16PSP_PKlPlN2at6native12_GLOBAL__N_18offset_tEEE10hipError_tPvRmT1_PNSt15iterator_traitsIS13_E10value_typeET2_T3_PNS14_IS19_E10value_typeET4_jRbjT5_S1F_jjP12ihipStream_tbEUljE_ZNSN_ISO_Lb0ESR_SS_SU_SV_SZ_EES10_S11_S12_S13_S17_S18_S19_S1C_S1D_jS1E_jS1F_S1F_jjS1H_bEUljE0_EEES10_S11_S12_S19_S1D_S1F_T6_T7_T9_mT8_S1H_bDpT10_ENKUlT_T0_E_clISt17integral_constantIbLb0EES1V_EEDaS1Q_S1R_EUlS1Q_E_NS1_11comp_targetILNS1_3genE0ELNS1_11target_archE4294967295ELNS1_3gpuE0ELNS1_3repE0EEENS1_30default_config_static_selectorELNS0_4arch9wavefront6targetE1EEEvS13_
    .private_segment_fixed_size: 0
    .sgpr_count:     4
    .sgpr_spill_count: 0
    .symbol:         _ZN7rocprim17ROCPRIM_400000_NS6detail17trampoline_kernelINS0_13select_configILj256ELj13ELNS0_17block_load_methodE3ELS4_3ELS4_3ELNS0_20block_scan_algorithmE0ELj4294967295EEENS1_25partition_config_selectorILNS1_17partition_subalgoE4EjNS0_10empty_typeEbEEZZNS1_14partition_implILS8_4ELb0ES6_15HIP_vector_typeIjLj2EENS0_17counting_iteratorIjlEEPS9_SG_NS0_5tupleIJPjSI_NS0_16reverse_iteratorISI_EEEEENSH_IJSG_SG_SG_EEES9_SI_JZNS1_25segmented_radix_sort_implINS0_14default_configELb0EPK12hip_bfloat16PSP_PKlPlN2at6native12_GLOBAL__N_18offset_tEEE10hipError_tPvRmT1_PNSt15iterator_traitsIS13_E10value_typeET2_T3_PNS14_IS19_E10value_typeET4_jRbjT5_S1F_jjP12ihipStream_tbEUljE_ZNSN_ISO_Lb0ESR_SS_SU_SV_SZ_EES10_S11_S12_S13_S17_S18_S19_S1C_S1D_jS1E_jS1F_S1F_jjS1H_bEUljE0_EEES10_S11_S12_S19_S1D_S1F_T6_T7_T9_mT8_S1H_bDpT10_ENKUlT_T0_E_clISt17integral_constantIbLb0EES1V_EEDaS1Q_S1R_EUlS1Q_E_NS1_11comp_targetILNS1_3genE0ELNS1_11target_archE4294967295ELNS1_3gpuE0ELNS1_3repE0EEENS1_30default_config_static_selectorELNS0_4arch9wavefront6targetE1EEEvS13_.kd
    .uniform_work_group_size: 1
    .uses_dynamic_stack: false
    .vgpr_count:     0
    .vgpr_spill_count: 0
    .wavefront_size: 64
  - .agpr_count:     0
    .args:
      - .offset:         0
        .size:           176
        .value_kind:     by_value
    .group_segment_fixed_size: 0
    .kernarg_segment_align: 8
    .kernarg_segment_size: 176
    .language:       OpenCL C
    .language_version:
      - 2
      - 0
    .max_flat_workgroup_size: 256
    .name:           _ZN7rocprim17ROCPRIM_400000_NS6detail17trampoline_kernelINS0_13select_configILj256ELj13ELNS0_17block_load_methodE3ELS4_3ELS4_3ELNS0_20block_scan_algorithmE0ELj4294967295EEENS1_25partition_config_selectorILNS1_17partition_subalgoE4EjNS0_10empty_typeEbEEZZNS1_14partition_implILS8_4ELb0ES6_15HIP_vector_typeIjLj2EENS0_17counting_iteratorIjlEEPS9_SG_NS0_5tupleIJPjSI_NS0_16reverse_iteratorISI_EEEEENSH_IJSG_SG_SG_EEES9_SI_JZNS1_25segmented_radix_sort_implINS0_14default_configELb0EPK12hip_bfloat16PSP_PKlPlN2at6native12_GLOBAL__N_18offset_tEEE10hipError_tPvRmT1_PNSt15iterator_traitsIS13_E10value_typeET2_T3_PNS14_IS19_E10value_typeET4_jRbjT5_S1F_jjP12ihipStream_tbEUljE_ZNSN_ISO_Lb0ESR_SS_SU_SV_SZ_EES10_S11_S12_S13_S17_S18_S19_S1C_S1D_jS1E_jS1F_S1F_jjS1H_bEUljE0_EEES10_S11_S12_S19_S1D_S1F_T6_T7_T9_mT8_S1H_bDpT10_ENKUlT_T0_E_clISt17integral_constantIbLb0EES1V_EEDaS1Q_S1R_EUlS1Q_E_NS1_11comp_targetILNS1_3genE5ELNS1_11target_archE942ELNS1_3gpuE9ELNS1_3repE0EEENS1_30default_config_static_selectorELNS0_4arch9wavefront6targetE1EEEvS13_
    .private_segment_fixed_size: 0
    .sgpr_count:     4
    .sgpr_spill_count: 0
    .symbol:         _ZN7rocprim17ROCPRIM_400000_NS6detail17trampoline_kernelINS0_13select_configILj256ELj13ELNS0_17block_load_methodE3ELS4_3ELS4_3ELNS0_20block_scan_algorithmE0ELj4294967295EEENS1_25partition_config_selectorILNS1_17partition_subalgoE4EjNS0_10empty_typeEbEEZZNS1_14partition_implILS8_4ELb0ES6_15HIP_vector_typeIjLj2EENS0_17counting_iteratorIjlEEPS9_SG_NS0_5tupleIJPjSI_NS0_16reverse_iteratorISI_EEEEENSH_IJSG_SG_SG_EEES9_SI_JZNS1_25segmented_radix_sort_implINS0_14default_configELb0EPK12hip_bfloat16PSP_PKlPlN2at6native12_GLOBAL__N_18offset_tEEE10hipError_tPvRmT1_PNSt15iterator_traitsIS13_E10value_typeET2_T3_PNS14_IS19_E10value_typeET4_jRbjT5_S1F_jjP12ihipStream_tbEUljE_ZNSN_ISO_Lb0ESR_SS_SU_SV_SZ_EES10_S11_S12_S13_S17_S18_S19_S1C_S1D_jS1E_jS1F_S1F_jjS1H_bEUljE0_EEES10_S11_S12_S19_S1D_S1F_T6_T7_T9_mT8_S1H_bDpT10_ENKUlT_T0_E_clISt17integral_constantIbLb0EES1V_EEDaS1Q_S1R_EUlS1Q_E_NS1_11comp_targetILNS1_3genE5ELNS1_11target_archE942ELNS1_3gpuE9ELNS1_3repE0EEENS1_30default_config_static_selectorELNS0_4arch9wavefront6targetE1EEEvS13_.kd
    .uniform_work_group_size: 1
    .uses_dynamic_stack: false
    .vgpr_count:     0
    .vgpr_spill_count: 0
    .wavefront_size: 64
  - .agpr_count:     0
    .args:
      - .offset:         0
        .size:           176
        .value_kind:     by_value
    .group_segment_fixed_size: 13340
    .kernarg_segment_align: 8
    .kernarg_segment_size: 176
    .language:       OpenCL C
    .language_version:
      - 2
      - 0
    .max_flat_workgroup_size: 256
    .name:           _ZN7rocprim17ROCPRIM_400000_NS6detail17trampoline_kernelINS0_13select_configILj256ELj13ELNS0_17block_load_methodE3ELS4_3ELS4_3ELNS0_20block_scan_algorithmE0ELj4294967295EEENS1_25partition_config_selectorILNS1_17partition_subalgoE4EjNS0_10empty_typeEbEEZZNS1_14partition_implILS8_4ELb0ES6_15HIP_vector_typeIjLj2EENS0_17counting_iteratorIjlEEPS9_SG_NS0_5tupleIJPjSI_NS0_16reverse_iteratorISI_EEEEENSH_IJSG_SG_SG_EEES9_SI_JZNS1_25segmented_radix_sort_implINS0_14default_configELb0EPK12hip_bfloat16PSP_PKlPlN2at6native12_GLOBAL__N_18offset_tEEE10hipError_tPvRmT1_PNSt15iterator_traitsIS13_E10value_typeET2_T3_PNS14_IS19_E10value_typeET4_jRbjT5_S1F_jjP12ihipStream_tbEUljE_ZNSN_ISO_Lb0ESR_SS_SU_SV_SZ_EES10_S11_S12_S13_S17_S18_S19_S1C_S1D_jS1E_jS1F_S1F_jjS1H_bEUljE0_EEES10_S11_S12_S19_S1D_S1F_T6_T7_T9_mT8_S1H_bDpT10_ENKUlT_T0_E_clISt17integral_constantIbLb0EES1V_EEDaS1Q_S1R_EUlS1Q_E_NS1_11comp_targetILNS1_3genE4ELNS1_11target_archE910ELNS1_3gpuE8ELNS1_3repE0EEENS1_30default_config_static_selectorELNS0_4arch9wavefront6targetE1EEEvS13_
    .private_segment_fixed_size: 0
    .sgpr_count:     94
    .sgpr_spill_count: 0
    .symbol:         _ZN7rocprim17ROCPRIM_400000_NS6detail17trampoline_kernelINS0_13select_configILj256ELj13ELNS0_17block_load_methodE3ELS4_3ELS4_3ELNS0_20block_scan_algorithmE0ELj4294967295EEENS1_25partition_config_selectorILNS1_17partition_subalgoE4EjNS0_10empty_typeEbEEZZNS1_14partition_implILS8_4ELb0ES6_15HIP_vector_typeIjLj2EENS0_17counting_iteratorIjlEEPS9_SG_NS0_5tupleIJPjSI_NS0_16reverse_iteratorISI_EEEEENSH_IJSG_SG_SG_EEES9_SI_JZNS1_25segmented_radix_sort_implINS0_14default_configELb0EPK12hip_bfloat16PSP_PKlPlN2at6native12_GLOBAL__N_18offset_tEEE10hipError_tPvRmT1_PNSt15iterator_traitsIS13_E10value_typeET2_T3_PNS14_IS19_E10value_typeET4_jRbjT5_S1F_jjP12ihipStream_tbEUljE_ZNSN_ISO_Lb0ESR_SS_SU_SV_SZ_EES10_S11_S12_S13_S17_S18_S19_S1C_S1D_jS1E_jS1F_S1F_jjS1H_bEUljE0_EEES10_S11_S12_S19_S1D_S1F_T6_T7_T9_mT8_S1H_bDpT10_ENKUlT_T0_E_clISt17integral_constantIbLb0EES1V_EEDaS1Q_S1R_EUlS1Q_E_NS1_11comp_targetILNS1_3genE4ELNS1_11target_archE910ELNS1_3gpuE8ELNS1_3repE0EEENS1_30default_config_static_selectorELNS0_4arch9wavefront6targetE1EEEvS13_.kd
    .uniform_work_group_size: 1
    .uses_dynamic_stack: false
    .vgpr_count:     102
    .vgpr_spill_count: 0
    .wavefront_size: 64
  - .agpr_count:     0
    .args:
      - .offset:         0
        .size:           176
        .value_kind:     by_value
    .group_segment_fixed_size: 0
    .kernarg_segment_align: 8
    .kernarg_segment_size: 176
    .language:       OpenCL C
    .language_version:
      - 2
      - 0
    .max_flat_workgroup_size: 256
    .name:           _ZN7rocprim17ROCPRIM_400000_NS6detail17trampoline_kernelINS0_13select_configILj256ELj13ELNS0_17block_load_methodE3ELS4_3ELS4_3ELNS0_20block_scan_algorithmE0ELj4294967295EEENS1_25partition_config_selectorILNS1_17partition_subalgoE4EjNS0_10empty_typeEbEEZZNS1_14partition_implILS8_4ELb0ES6_15HIP_vector_typeIjLj2EENS0_17counting_iteratorIjlEEPS9_SG_NS0_5tupleIJPjSI_NS0_16reverse_iteratorISI_EEEEENSH_IJSG_SG_SG_EEES9_SI_JZNS1_25segmented_radix_sort_implINS0_14default_configELb0EPK12hip_bfloat16PSP_PKlPlN2at6native12_GLOBAL__N_18offset_tEEE10hipError_tPvRmT1_PNSt15iterator_traitsIS13_E10value_typeET2_T3_PNS14_IS19_E10value_typeET4_jRbjT5_S1F_jjP12ihipStream_tbEUljE_ZNSN_ISO_Lb0ESR_SS_SU_SV_SZ_EES10_S11_S12_S13_S17_S18_S19_S1C_S1D_jS1E_jS1F_S1F_jjS1H_bEUljE0_EEES10_S11_S12_S19_S1D_S1F_T6_T7_T9_mT8_S1H_bDpT10_ENKUlT_T0_E_clISt17integral_constantIbLb0EES1V_EEDaS1Q_S1R_EUlS1Q_E_NS1_11comp_targetILNS1_3genE3ELNS1_11target_archE908ELNS1_3gpuE7ELNS1_3repE0EEENS1_30default_config_static_selectorELNS0_4arch9wavefront6targetE1EEEvS13_
    .private_segment_fixed_size: 0
    .sgpr_count:     4
    .sgpr_spill_count: 0
    .symbol:         _ZN7rocprim17ROCPRIM_400000_NS6detail17trampoline_kernelINS0_13select_configILj256ELj13ELNS0_17block_load_methodE3ELS4_3ELS4_3ELNS0_20block_scan_algorithmE0ELj4294967295EEENS1_25partition_config_selectorILNS1_17partition_subalgoE4EjNS0_10empty_typeEbEEZZNS1_14partition_implILS8_4ELb0ES6_15HIP_vector_typeIjLj2EENS0_17counting_iteratorIjlEEPS9_SG_NS0_5tupleIJPjSI_NS0_16reverse_iteratorISI_EEEEENSH_IJSG_SG_SG_EEES9_SI_JZNS1_25segmented_radix_sort_implINS0_14default_configELb0EPK12hip_bfloat16PSP_PKlPlN2at6native12_GLOBAL__N_18offset_tEEE10hipError_tPvRmT1_PNSt15iterator_traitsIS13_E10value_typeET2_T3_PNS14_IS19_E10value_typeET4_jRbjT5_S1F_jjP12ihipStream_tbEUljE_ZNSN_ISO_Lb0ESR_SS_SU_SV_SZ_EES10_S11_S12_S13_S17_S18_S19_S1C_S1D_jS1E_jS1F_S1F_jjS1H_bEUljE0_EEES10_S11_S12_S19_S1D_S1F_T6_T7_T9_mT8_S1H_bDpT10_ENKUlT_T0_E_clISt17integral_constantIbLb0EES1V_EEDaS1Q_S1R_EUlS1Q_E_NS1_11comp_targetILNS1_3genE3ELNS1_11target_archE908ELNS1_3gpuE7ELNS1_3repE0EEENS1_30default_config_static_selectorELNS0_4arch9wavefront6targetE1EEEvS13_.kd
    .uniform_work_group_size: 1
    .uses_dynamic_stack: false
    .vgpr_count:     0
    .vgpr_spill_count: 0
    .wavefront_size: 64
  - .agpr_count:     0
    .args:
      - .offset:         0
        .size:           176
        .value_kind:     by_value
    .group_segment_fixed_size: 0
    .kernarg_segment_align: 8
    .kernarg_segment_size: 176
    .language:       OpenCL C
    .language_version:
      - 2
      - 0
    .max_flat_workgroup_size: 256
    .name:           _ZN7rocprim17ROCPRIM_400000_NS6detail17trampoline_kernelINS0_13select_configILj256ELj13ELNS0_17block_load_methodE3ELS4_3ELS4_3ELNS0_20block_scan_algorithmE0ELj4294967295EEENS1_25partition_config_selectorILNS1_17partition_subalgoE4EjNS0_10empty_typeEbEEZZNS1_14partition_implILS8_4ELb0ES6_15HIP_vector_typeIjLj2EENS0_17counting_iteratorIjlEEPS9_SG_NS0_5tupleIJPjSI_NS0_16reverse_iteratorISI_EEEEENSH_IJSG_SG_SG_EEES9_SI_JZNS1_25segmented_radix_sort_implINS0_14default_configELb0EPK12hip_bfloat16PSP_PKlPlN2at6native12_GLOBAL__N_18offset_tEEE10hipError_tPvRmT1_PNSt15iterator_traitsIS13_E10value_typeET2_T3_PNS14_IS19_E10value_typeET4_jRbjT5_S1F_jjP12ihipStream_tbEUljE_ZNSN_ISO_Lb0ESR_SS_SU_SV_SZ_EES10_S11_S12_S13_S17_S18_S19_S1C_S1D_jS1E_jS1F_S1F_jjS1H_bEUljE0_EEES10_S11_S12_S19_S1D_S1F_T6_T7_T9_mT8_S1H_bDpT10_ENKUlT_T0_E_clISt17integral_constantIbLb0EES1V_EEDaS1Q_S1R_EUlS1Q_E_NS1_11comp_targetILNS1_3genE2ELNS1_11target_archE906ELNS1_3gpuE6ELNS1_3repE0EEENS1_30default_config_static_selectorELNS0_4arch9wavefront6targetE1EEEvS13_
    .private_segment_fixed_size: 0
    .sgpr_count:     4
    .sgpr_spill_count: 0
    .symbol:         _ZN7rocprim17ROCPRIM_400000_NS6detail17trampoline_kernelINS0_13select_configILj256ELj13ELNS0_17block_load_methodE3ELS4_3ELS4_3ELNS0_20block_scan_algorithmE0ELj4294967295EEENS1_25partition_config_selectorILNS1_17partition_subalgoE4EjNS0_10empty_typeEbEEZZNS1_14partition_implILS8_4ELb0ES6_15HIP_vector_typeIjLj2EENS0_17counting_iteratorIjlEEPS9_SG_NS0_5tupleIJPjSI_NS0_16reverse_iteratorISI_EEEEENSH_IJSG_SG_SG_EEES9_SI_JZNS1_25segmented_radix_sort_implINS0_14default_configELb0EPK12hip_bfloat16PSP_PKlPlN2at6native12_GLOBAL__N_18offset_tEEE10hipError_tPvRmT1_PNSt15iterator_traitsIS13_E10value_typeET2_T3_PNS14_IS19_E10value_typeET4_jRbjT5_S1F_jjP12ihipStream_tbEUljE_ZNSN_ISO_Lb0ESR_SS_SU_SV_SZ_EES10_S11_S12_S13_S17_S18_S19_S1C_S1D_jS1E_jS1F_S1F_jjS1H_bEUljE0_EEES10_S11_S12_S19_S1D_S1F_T6_T7_T9_mT8_S1H_bDpT10_ENKUlT_T0_E_clISt17integral_constantIbLb0EES1V_EEDaS1Q_S1R_EUlS1Q_E_NS1_11comp_targetILNS1_3genE2ELNS1_11target_archE906ELNS1_3gpuE6ELNS1_3repE0EEENS1_30default_config_static_selectorELNS0_4arch9wavefront6targetE1EEEvS13_.kd
    .uniform_work_group_size: 1
    .uses_dynamic_stack: false
    .vgpr_count:     0
    .vgpr_spill_count: 0
    .wavefront_size: 64
  - .agpr_count:     0
    .args:
      - .offset:         0
        .size:           176
        .value_kind:     by_value
    .group_segment_fixed_size: 0
    .kernarg_segment_align: 8
    .kernarg_segment_size: 176
    .language:       OpenCL C
    .language_version:
      - 2
      - 0
    .max_flat_workgroup_size: 256
    .name:           _ZN7rocprim17ROCPRIM_400000_NS6detail17trampoline_kernelINS0_13select_configILj256ELj13ELNS0_17block_load_methodE3ELS4_3ELS4_3ELNS0_20block_scan_algorithmE0ELj4294967295EEENS1_25partition_config_selectorILNS1_17partition_subalgoE4EjNS0_10empty_typeEbEEZZNS1_14partition_implILS8_4ELb0ES6_15HIP_vector_typeIjLj2EENS0_17counting_iteratorIjlEEPS9_SG_NS0_5tupleIJPjSI_NS0_16reverse_iteratorISI_EEEEENSH_IJSG_SG_SG_EEES9_SI_JZNS1_25segmented_radix_sort_implINS0_14default_configELb0EPK12hip_bfloat16PSP_PKlPlN2at6native12_GLOBAL__N_18offset_tEEE10hipError_tPvRmT1_PNSt15iterator_traitsIS13_E10value_typeET2_T3_PNS14_IS19_E10value_typeET4_jRbjT5_S1F_jjP12ihipStream_tbEUljE_ZNSN_ISO_Lb0ESR_SS_SU_SV_SZ_EES10_S11_S12_S13_S17_S18_S19_S1C_S1D_jS1E_jS1F_S1F_jjS1H_bEUljE0_EEES10_S11_S12_S19_S1D_S1F_T6_T7_T9_mT8_S1H_bDpT10_ENKUlT_T0_E_clISt17integral_constantIbLb0EES1V_EEDaS1Q_S1R_EUlS1Q_E_NS1_11comp_targetILNS1_3genE10ELNS1_11target_archE1200ELNS1_3gpuE4ELNS1_3repE0EEENS1_30default_config_static_selectorELNS0_4arch9wavefront6targetE1EEEvS13_
    .private_segment_fixed_size: 0
    .sgpr_count:     4
    .sgpr_spill_count: 0
    .symbol:         _ZN7rocprim17ROCPRIM_400000_NS6detail17trampoline_kernelINS0_13select_configILj256ELj13ELNS0_17block_load_methodE3ELS4_3ELS4_3ELNS0_20block_scan_algorithmE0ELj4294967295EEENS1_25partition_config_selectorILNS1_17partition_subalgoE4EjNS0_10empty_typeEbEEZZNS1_14partition_implILS8_4ELb0ES6_15HIP_vector_typeIjLj2EENS0_17counting_iteratorIjlEEPS9_SG_NS0_5tupleIJPjSI_NS0_16reverse_iteratorISI_EEEEENSH_IJSG_SG_SG_EEES9_SI_JZNS1_25segmented_radix_sort_implINS0_14default_configELb0EPK12hip_bfloat16PSP_PKlPlN2at6native12_GLOBAL__N_18offset_tEEE10hipError_tPvRmT1_PNSt15iterator_traitsIS13_E10value_typeET2_T3_PNS14_IS19_E10value_typeET4_jRbjT5_S1F_jjP12ihipStream_tbEUljE_ZNSN_ISO_Lb0ESR_SS_SU_SV_SZ_EES10_S11_S12_S13_S17_S18_S19_S1C_S1D_jS1E_jS1F_S1F_jjS1H_bEUljE0_EEES10_S11_S12_S19_S1D_S1F_T6_T7_T9_mT8_S1H_bDpT10_ENKUlT_T0_E_clISt17integral_constantIbLb0EES1V_EEDaS1Q_S1R_EUlS1Q_E_NS1_11comp_targetILNS1_3genE10ELNS1_11target_archE1200ELNS1_3gpuE4ELNS1_3repE0EEENS1_30default_config_static_selectorELNS0_4arch9wavefront6targetE1EEEvS13_.kd
    .uniform_work_group_size: 1
    .uses_dynamic_stack: false
    .vgpr_count:     0
    .vgpr_spill_count: 0
    .wavefront_size: 64
  - .agpr_count:     0
    .args:
      - .offset:         0
        .size:           176
        .value_kind:     by_value
    .group_segment_fixed_size: 0
    .kernarg_segment_align: 8
    .kernarg_segment_size: 176
    .language:       OpenCL C
    .language_version:
      - 2
      - 0
    .max_flat_workgroup_size: 256
    .name:           _ZN7rocprim17ROCPRIM_400000_NS6detail17trampoline_kernelINS0_13select_configILj256ELj13ELNS0_17block_load_methodE3ELS4_3ELS4_3ELNS0_20block_scan_algorithmE0ELj4294967295EEENS1_25partition_config_selectorILNS1_17partition_subalgoE4EjNS0_10empty_typeEbEEZZNS1_14partition_implILS8_4ELb0ES6_15HIP_vector_typeIjLj2EENS0_17counting_iteratorIjlEEPS9_SG_NS0_5tupleIJPjSI_NS0_16reverse_iteratorISI_EEEEENSH_IJSG_SG_SG_EEES9_SI_JZNS1_25segmented_radix_sort_implINS0_14default_configELb0EPK12hip_bfloat16PSP_PKlPlN2at6native12_GLOBAL__N_18offset_tEEE10hipError_tPvRmT1_PNSt15iterator_traitsIS13_E10value_typeET2_T3_PNS14_IS19_E10value_typeET4_jRbjT5_S1F_jjP12ihipStream_tbEUljE_ZNSN_ISO_Lb0ESR_SS_SU_SV_SZ_EES10_S11_S12_S13_S17_S18_S19_S1C_S1D_jS1E_jS1F_S1F_jjS1H_bEUljE0_EEES10_S11_S12_S19_S1D_S1F_T6_T7_T9_mT8_S1H_bDpT10_ENKUlT_T0_E_clISt17integral_constantIbLb0EES1V_EEDaS1Q_S1R_EUlS1Q_E_NS1_11comp_targetILNS1_3genE9ELNS1_11target_archE1100ELNS1_3gpuE3ELNS1_3repE0EEENS1_30default_config_static_selectorELNS0_4arch9wavefront6targetE1EEEvS13_
    .private_segment_fixed_size: 0
    .sgpr_count:     4
    .sgpr_spill_count: 0
    .symbol:         _ZN7rocprim17ROCPRIM_400000_NS6detail17trampoline_kernelINS0_13select_configILj256ELj13ELNS0_17block_load_methodE3ELS4_3ELS4_3ELNS0_20block_scan_algorithmE0ELj4294967295EEENS1_25partition_config_selectorILNS1_17partition_subalgoE4EjNS0_10empty_typeEbEEZZNS1_14partition_implILS8_4ELb0ES6_15HIP_vector_typeIjLj2EENS0_17counting_iteratorIjlEEPS9_SG_NS0_5tupleIJPjSI_NS0_16reverse_iteratorISI_EEEEENSH_IJSG_SG_SG_EEES9_SI_JZNS1_25segmented_radix_sort_implINS0_14default_configELb0EPK12hip_bfloat16PSP_PKlPlN2at6native12_GLOBAL__N_18offset_tEEE10hipError_tPvRmT1_PNSt15iterator_traitsIS13_E10value_typeET2_T3_PNS14_IS19_E10value_typeET4_jRbjT5_S1F_jjP12ihipStream_tbEUljE_ZNSN_ISO_Lb0ESR_SS_SU_SV_SZ_EES10_S11_S12_S13_S17_S18_S19_S1C_S1D_jS1E_jS1F_S1F_jjS1H_bEUljE0_EEES10_S11_S12_S19_S1D_S1F_T6_T7_T9_mT8_S1H_bDpT10_ENKUlT_T0_E_clISt17integral_constantIbLb0EES1V_EEDaS1Q_S1R_EUlS1Q_E_NS1_11comp_targetILNS1_3genE9ELNS1_11target_archE1100ELNS1_3gpuE3ELNS1_3repE0EEENS1_30default_config_static_selectorELNS0_4arch9wavefront6targetE1EEEvS13_.kd
    .uniform_work_group_size: 1
    .uses_dynamic_stack: false
    .vgpr_count:     0
    .vgpr_spill_count: 0
    .wavefront_size: 64
  - .agpr_count:     0
    .args:
      - .offset:         0
        .size:           176
        .value_kind:     by_value
    .group_segment_fixed_size: 0
    .kernarg_segment_align: 8
    .kernarg_segment_size: 176
    .language:       OpenCL C
    .language_version:
      - 2
      - 0
    .max_flat_workgroup_size: 256
    .name:           _ZN7rocprim17ROCPRIM_400000_NS6detail17trampoline_kernelINS0_13select_configILj256ELj13ELNS0_17block_load_methodE3ELS4_3ELS4_3ELNS0_20block_scan_algorithmE0ELj4294967295EEENS1_25partition_config_selectorILNS1_17partition_subalgoE4EjNS0_10empty_typeEbEEZZNS1_14partition_implILS8_4ELb0ES6_15HIP_vector_typeIjLj2EENS0_17counting_iteratorIjlEEPS9_SG_NS0_5tupleIJPjSI_NS0_16reverse_iteratorISI_EEEEENSH_IJSG_SG_SG_EEES9_SI_JZNS1_25segmented_radix_sort_implINS0_14default_configELb0EPK12hip_bfloat16PSP_PKlPlN2at6native12_GLOBAL__N_18offset_tEEE10hipError_tPvRmT1_PNSt15iterator_traitsIS13_E10value_typeET2_T3_PNS14_IS19_E10value_typeET4_jRbjT5_S1F_jjP12ihipStream_tbEUljE_ZNSN_ISO_Lb0ESR_SS_SU_SV_SZ_EES10_S11_S12_S13_S17_S18_S19_S1C_S1D_jS1E_jS1F_S1F_jjS1H_bEUljE0_EEES10_S11_S12_S19_S1D_S1F_T6_T7_T9_mT8_S1H_bDpT10_ENKUlT_T0_E_clISt17integral_constantIbLb0EES1V_EEDaS1Q_S1R_EUlS1Q_E_NS1_11comp_targetILNS1_3genE8ELNS1_11target_archE1030ELNS1_3gpuE2ELNS1_3repE0EEENS1_30default_config_static_selectorELNS0_4arch9wavefront6targetE1EEEvS13_
    .private_segment_fixed_size: 0
    .sgpr_count:     4
    .sgpr_spill_count: 0
    .symbol:         _ZN7rocprim17ROCPRIM_400000_NS6detail17trampoline_kernelINS0_13select_configILj256ELj13ELNS0_17block_load_methodE3ELS4_3ELS4_3ELNS0_20block_scan_algorithmE0ELj4294967295EEENS1_25partition_config_selectorILNS1_17partition_subalgoE4EjNS0_10empty_typeEbEEZZNS1_14partition_implILS8_4ELb0ES6_15HIP_vector_typeIjLj2EENS0_17counting_iteratorIjlEEPS9_SG_NS0_5tupleIJPjSI_NS0_16reverse_iteratorISI_EEEEENSH_IJSG_SG_SG_EEES9_SI_JZNS1_25segmented_radix_sort_implINS0_14default_configELb0EPK12hip_bfloat16PSP_PKlPlN2at6native12_GLOBAL__N_18offset_tEEE10hipError_tPvRmT1_PNSt15iterator_traitsIS13_E10value_typeET2_T3_PNS14_IS19_E10value_typeET4_jRbjT5_S1F_jjP12ihipStream_tbEUljE_ZNSN_ISO_Lb0ESR_SS_SU_SV_SZ_EES10_S11_S12_S13_S17_S18_S19_S1C_S1D_jS1E_jS1F_S1F_jjS1H_bEUljE0_EEES10_S11_S12_S19_S1D_S1F_T6_T7_T9_mT8_S1H_bDpT10_ENKUlT_T0_E_clISt17integral_constantIbLb0EES1V_EEDaS1Q_S1R_EUlS1Q_E_NS1_11comp_targetILNS1_3genE8ELNS1_11target_archE1030ELNS1_3gpuE2ELNS1_3repE0EEENS1_30default_config_static_selectorELNS0_4arch9wavefront6targetE1EEEvS13_.kd
    .uniform_work_group_size: 1
    .uses_dynamic_stack: false
    .vgpr_count:     0
    .vgpr_spill_count: 0
    .wavefront_size: 64
  - .agpr_count:     0
    .args:
      - .offset:         0
        .size:           184
        .value_kind:     by_value
    .group_segment_fixed_size: 0
    .kernarg_segment_align: 8
    .kernarg_segment_size: 184
    .language:       OpenCL C
    .language_version:
      - 2
      - 0
    .max_flat_workgroup_size: 256
    .name:           _ZN7rocprim17ROCPRIM_400000_NS6detail17trampoline_kernelINS0_13select_configILj256ELj13ELNS0_17block_load_methodE3ELS4_3ELS4_3ELNS0_20block_scan_algorithmE0ELj4294967295EEENS1_25partition_config_selectorILNS1_17partition_subalgoE4EjNS0_10empty_typeEbEEZZNS1_14partition_implILS8_4ELb0ES6_15HIP_vector_typeIjLj2EENS0_17counting_iteratorIjlEEPS9_SG_NS0_5tupleIJPjSI_NS0_16reverse_iteratorISI_EEEEENSH_IJSG_SG_SG_EEES9_SI_JZNS1_25segmented_radix_sort_implINS0_14default_configELb0EPK12hip_bfloat16PSP_PKlPlN2at6native12_GLOBAL__N_18offset_tEEE10hipError_tPvRmT1_PNSt15iterator_traitsIS13_E10value_typeET2_T3_PNS14_IS19_E10value_typeET4_jRbjT5_S1F_jjP12ihipStream_tbEUljE_ZNSN_ISO_Lb0ESR_SS_SU_SV_SZ_EES10_S11_S12_S13_S17_S18_S19_S1C_S1D_jS1E_jS1F_S1F_jjS1H_bEUljE0_EEES10_S11_S12_S19_S1D_S1F_T6_T7_T9_mT8_S1H_bDpT10_ENKUlT_T0_E_clISt17integral_constantIbLb1EES1V_EEDaS1Q_S1R_EUlS1Q_E_NS1_11comp_targetILNS1_3genE0ELNS1_11target_archE4294967295ELNS1_3gpuE0ELNS1_3repE0EEENS1_30default_config_static_selectorELNS0_4arch9wavefront6targetE1EEEvS13_
    .private_segment_fixed_size: 0
    .sgpr_count:     4
    .sgpr_spill_count: 0
    .symbol:         _ZN7rocprim17ROCPRIM_400000_NS6detail17trampoline_kernelINS0_13select_configILj256ELj13ELNS0_17block_load_methodE3ELS4_3ELS4_3ELNS0_20block_scan_algorithmE0ELj4294967295EEENS1_25partition_config_selectorILNS1_17partition_subalgoE4EjNS0_10empty_typeEbEEZZNS1_14partition_implILS8_4ELb0ES6_15HIP_vector_typeIjLj2EENS0_17counting_iteratorIjlEEPS9_SG_NS0_5tupleIJPjSI_NS0_16reverse_iteratorISI_EEEEENSH_IJSG_SG_SG_EEES9_SI_JZNS1_25segmented_radix_sort_implINS0_14default_configELb0EPK12hip_bfloat16PSP_PKlPlN2at6native12_GLOBAL__N_18offset_tEEE10hipError_tPvRmT1_PNSt15iterator_traitsIS13_E10value_typeET2_T3_PNS14_IS19_E10value_typeET4_jRbjT5_S1F_jjP12ihipStream_tbEUljE_ZNSN_ISO_Lb0ESR_SS_SU_SV_SZ_EES10_S11_S12_S13_S17_S18_S19_S1C_S1D_jS1E_jS1F_S1F_jjS1H_bEUljE0_EEES10_S11_S12_S19_S1D_S1F_T6_T7_T9_mT8_S1H_bDpT10_ENKUlT_T0_E_clISt17integral_constantIbLb1EES1V_EEDaS1Q_S1R_EUlS1Q_E_NS1_11comp_targetILNS1_3genE0ELNS1_11target_archE4294967295ELNS1_3gpuE0ELNS1_3repE0EEENS1_30default_config_static_selectorELNS0_4arch9wavefront6targetE1EEEvS13_.kd
    .uniform_work_group_size: 1
    .uses_dynamic_stack: false
    .vgpr_count:     0
    .vgpr_spill_count: 0
    .wavefront_size: 64
  - .agpr_count:     0
    .args:
      - .offset:         0
        .size:           184
        .value_kind:     by_value
    .group_segment_fixed_size: 0
    .kernarg_segment_align: 8
    .kernarg_segment_size: 184
    .language:       OpenCL C
    .language_version:
      - 2
      - 0
    .max_flat_workgroup_size: 256
    .name:           _ZN7rocprim17ROCPRIM_400000_NS6detail17trampoline_kernelINS0_13select_configILj256ELj13ELNS0_17block_load_methodE3ELS4_3ELS4_3ELNS0_20block_scan_algorithmE0ELj4294967295EEENS1_25partition_config_selectorILNS1_17partition_subalgoE4EjNS0_10empty_typeEbEEZZNS1_14partition_implILS8_4ELb0ES6_15HIP_vector_typeIjLj2EENS0_17counting_iteratorIjlEEPS9_SG_NS0_5tupleIJPjSI_NS0_16reverse_iteratorISI_EEEEENSH_IJSG_SG_SG_EEES9_SI_JZNS1_25segmented_radix_sort_implINS0_14default_configELb0EPK12hip_bfloat16PSP_PKlPlN2at6native12_GLOBAL__N_18offset_tEEE10hipError_tPvRmT1_PNSt15iterator_traitsIS13_E10value_typeET2_T3_PNS14_IS19_E10value_typeET4_jRbjT5_S1F_jjP12ihipStream_tbEUljE_ZNSN_ISO_Lb0ESR_SS_SU_SV_SZ_EES10_S11_S12_S13_S17_S18_S19_S1C_S1D_jS1E_jS1F_S1F_jjS1H_bEUljE0_EEES10_S11_S12_S19_S1D_S1F_T6_T7_T9_mT8_S1H_bDpT10_ENKUlT_T0_E_clISt17integral_constantIbLb1EES1V_EEDaS1Q_S1R_EUlS1Q_E_NS1_11comp_targetILNS1_3genE5ELNS1_11target_archE942ELNS1_3gpuE9ELNS1_3repE0EEENS1_30default_config_static_selectorELNS0_4arch9wavefront6targetE1EEEvS13_
    .private_segment_fixed_size: 0
    .sgpr_count:     4
    .sgpr_spill_count: 0
    .symbol:         _ZN7rocprim17ROCPRIM_400000_NS6detail17trampoline_kernelINS0_13select_configILj256ELj13ELNS0_17block_load_methodE3ELS4_3ELS4_3ELNS0_20block_scan_algorithmE0ELj4294967295EEENS1_25partition_config_selectorILNS1_17partition_subalgoE4EjNS0_10empty_typeEbEEZZNS1_14partition_implILS8_4ELb0ES6_15HIP_vector_typeIjLj2EENS0_17counting_iteratorIjlEEPS9_SG_NS0_5tupleIJPjSI_NS0_16reverse_iteratorISI_EEEEENSH_IJSG_SG_SG_EEES9_SI_JZNS1_25segmented_radix_sort_implINS0_14default_configELb0EPK12hip_bfloat16PSP_PKlPlN2at6native12_GLOBAL__N_18offset_tEEE10hipError_tPvRmT1_PNSt15iterator_traitsIS13_E10value_typeET2_T3_PNS14_IS19_E10value_typeET4_jRbjT5_S1F_jjP12ihipStream_tbEUljE_ZNSN_ISO_Lb0ESR_SS_SU_SV_SZ_EES10_S11_S12_S13_S17_S18_S19_S1C_S1D_jS1E_jS1F_S1F_jjS1H_bEUljE0_EEES10_S11_S12_S19_S1D_S1F_T6_T7_T9_mT8_S1H_bDpT10_ENKUlT_T0_E_clISt17integral_constantIbLb1EES1V_EEDaS1Q_S1R_EUlS1Q_E_NS1_11comp_targetILNS1_3genE5ELNS1_11target_archE942ELNS1_3gpuE9ELNS1_3repE0EEENS1_30default_config_static_selectorELNS0_4arch9wavefront6targetE1EEEvS13_.kd
    .uniform_work_group_size: 1
    .uses_dynamic_stack: false
    .vgpr_count:     0
    .vgpr_spill_count: 0
    .wavefront_size: 64
  - .agpr_count:     0
    .args:
      - .offset:         0
        .size:           184
        .value_kind:     by_value
    .group_segment_fixed_size: 13340
    .kernarg_segment_align: 8
    .kernarg_segment_size: 184
    .language:       OpenCL C
    .language_version:
      - 2
      - 0
    .max_flat_workgroup_size: 256
    .name:           _ZN7rocprim17ROCPRIM_400000_NS6detail17trampoline_kernelINS0_13select_configILj256ELj13ELNS0_17block_load_methodE3ELS4_3ELS4_3ELNS0_20block_scan_algorithmE0ELj4294967295EEENS1_25partition_config_selectorILNS1_17partition_subalgoE4EjNS0_10empty_typeEbEEZZNS1_14partition_implILS8_4ELb0ES6_15HIP_vector_typeIjLj2EENS0_17counting_iteratorIjlEEPS9_SG_NS0_5tupleIJPjSI_NS0_16reverse_iteratorISI_EEEEENSH_IJSG_SG_SG_EEES9_SI_JZNS1_25segmented_radix_sort_implINS0_14default_configELb0EPK12hip_bfloat16PSP_PKlPlN2at6native12_GLOBAL__N_18offset_tEEE10hipError_tPvRmT1_PNSt15iterator_traitsIS13_E10value_typeET2_T3_PNS14_IS19_E10value_typeET4_jRbjT5_S1F_jjP12ihipStream_tbEUljE_ZNSN_ISO_Lb0ESR_SS_SU_SV_SZ_EES10_S11_S12_S13_S17_S18_S19_S1C_S1D_jS1E_jS1F_S1F_jjS1H_bEUljE0_EEES10_S11_S12_S19_S1D_S1F_T6_T7_T9_mT8_S1H_bDpT10_ENKUlT_T0_E_clISt17integral_constantIbLb1EES1V_EEDaS1Q_S1R_EUlS1Q_E_NS1_11comp_targetILNS1_3genE4ELNS1_11target_archE910ELNS1_3gpuE8ELNS1_3repE0EEENS1_30default_config_static_selectorELNS0_4arch9wavefront6targetE1EEEvS13_
    .private_segment_fixed_size: 0
    .sgpr_count:     91
    .sgpr_spill_count: 0
    .symbol:         _ZN7rocprim17ROCPRIM_400000_NS6detail17trampoline_kernelINS0_13select_configILj256ELj13ELNS0_17block_load_methodE3ELS4_3ELS4_3ELNS0_20block_scan_algorithmE0ELj4294967295EEENS1_25partition_config_selectorILNS1_17partition_subalgoE4EjNS0_10empty_typeEbEEZZNS1_14partition_implILS8_4ELb0ES6_15HIP_vector_typeIjLj2EENS0_17counting_iteratorIjlEEPS9_SG_NS0_5tupleIJPjSI_NS0_16reverse_iteratorISI_EEEEENSH_IJSG_SG_SG_EEES9_SI_JZNS1_25segmented_radix_sort_implINS0_14default_configELb0EPK12hip_bfloat16PSP_PKlPlN2at6native12_GLOBAL__N_18offset_tEEE10hipError_tPvRmT1_PNSt15iterator_traitsIS13_E10value_typeET2_T3_PNS14_IS19_E10value_typeET4_jRbjT5_S1F_jjP12ihipStream_tbEUljE_ZNSN_ISO_Lb0ESR_SS_SU_SV_SZ_EES10_S11_S12_S13_S17_S18_S19_S1C_S1D_jS1E_jS1F_S1F_jjS1H_bEUljE0_EEES10_S11_S12_S19_S1D_S1F_T6_T7_T9_mT8_S1H_bDpT10_ENKUlT_T0_E_clISt17integral_constantIbLb1EES1V_EEDaS1Q_S1R_EUlS1Q_E_NS1_11comp_targetILNS1_3genE4ELNS1_11target_archE910ELNS1_3gpuE8ELNS1_3repE0EEENS1_30default_config_static_selectorELNS0_4arch9wavefront6targetE1EEEvS13_.kd
    .uniform_work_group_size: 1
    .uses_dynamic_stack: false
    .vgpr_count:     107
    .vgpr_spill_count: 0
    .wavefront_size: 64
  - .agpr_count:     0
    .args:
      - .offset:         0
        .size:           184
        .value_kind:     by_value
    .group_segment_fixed_size: 0
    .kernarg_segment_align: 8
    .kernarg_segment_size: 184
    .language:       OpenCL C
    .language_version:
      - 2
      - 0
    .max_flat_workgroup_size: 256
    .name:           _ZN7rocprim17ROCPRIM_400000_NS6detail17trampoline_kernelINS0_13select_configILj256ELj13ELNS0_17block_load_methodE3ELS4_3ELS4_3ELNS0_20block_scan_algorithmE0ELj4294967295EEENS1_25partition_config_selectorILNS1_17partition_subalgoE4EjNS0_10empty_typeEbEEZZNS1_14partition_implILS8_4ELb0ES6_15HIP_vector_typeIjLj2EENS0_17counting_iteratorIjlEEPS9_SG_NS0_5tupleIJPjSI_NS0_16reverse_iteratorISI_EEEEENSH_IJSG_SG_SG_EEES9_SI_JZNS1_25segmented_radix_sort_implINS0_14default_configELb0EPK12hip_bfloat16PSP_PKlPlN2at6native12_GLOBAL__N_18offset_tEEE10hipError_tPvRmT1_PNSt15iterator_traitsIS13_E10value_typeET2_T3_PNS14_IS19_E10value_typeET4_jRbjT5_S1F_jjP12ihipStream_tbEUljE_ZNSN_ISO_Lb0ESR_SS_SU_SV_SZ_EES10_S11_S12_S13_S17_S18_S19_S1C_S1D_jS1E_jS1F_S1F_jjS1H_bEUljE0_EEES10_S11_S12_S19_S1D_S1F_T6_T7_T9_mT8_S1H_bDpT10_ENKUlT_T0_E_clISt17integral_constantIbLb1EES1V_EEDaS1Q_S1R_EUlS1Q_E_NS1_11comp_targetILNS1_3genE3ELNS1_11target_archE908ELNS1_3gpuE7ELNS1_3repE0EEENS1_30default_config_static_selectorELNS0_4arch9wavefront6targetE1EEEvS13_
    .private_segment_fixed_size: 0
    .sgpr_count:     4
    .sgpr_spill_count: 0
    .symbol:         _ZN7rocprim17ROCPRIM_400000_NS6detail17trampoline_kernelINS0_13select_configILj256ELj13ELNS0_17block_load_methodE3ELS4_3ELS4_3ELNS0_20block_scan_algorithmE0ELj4294967295EEENS1_25partition_config_selectorILNS1_17partition_subalgoE4EjNS0_10empty_typeEbEEZZNS1_14partition_implILS8_4ELb0ES6_15HIP_vector_typeIjLj2EENS0_17counting_iteratorIjlEEPS9_SG_NS0_5tupleIJPjSI_NS0_16reverse_iteratorISI_EEEEENSH_IJSG_SG_SG_EEES9_SI_JZNS1_25segmented_radix_sort_implINS0_14default_configELb0EPK12hip_bfloat16PSP_PKlPlN2at6native12_GLOBAL__N_18offset_tEEE10hipError_tPvRmT1_PNSt15iterator_traitsIS13_E10value_typeET2_T3_PNS14_IS19_E10value_typeET4_jRbjT5_S1F_jjP12ihipStream_tbEUljE_ZNSN_ISO_Lb0ESR_SS_SU_SV_SZ_EES10_S11_S12_S13_S17_S18_S19_S1C_S1D_jS1E_jS1F_S1F_jjS1H_bEUljE0_EEES10_S11_S12_S19_S1D_S1F_T6_T7_T9_mT8_S1H_bDpT10_ENKUlT_T0_E_clISt17integral_constantIbLb1EES1V_EEDaS1Q_S1R_EUlS1Q_E_NS1_11comp_targetILNS1_3genE3ELNS1_11target_archE908ELNS1_3gpuE7ELNS1_3repE0EEENS1_30default_config_static_selectorELNS0_4arch9wavefront6targetE1EEEvS13_.kd
    .uniform_work_group_size: 1
    .uses_dynamic_stack: false
    .vgpr_count:     0
    .vgpr_spill_count: 0
    .wavefront_size: 64
  - .agpr_count:     0
    .args:
      - .offset:         0
        .size:           184
        .value_kind:     by_value
    .group_segment_fixed_size: 0
    .kernarg_segment_align: 8
    .kernarg_segment_size: 184
    .language:       OpenCL C
    .language_version:
      - 2
      - 0
    .max_flat_workgroup_size: 256
    .name:           _ZN7rocprim17ROCPRIM_400000_NS6detail17trampoline_kernelINS0_13select_configILj256ELj13ELNS0_17block_load_methodE3ELS4_3ELS4_3ELNS0_20block_scan_algorithmE0ELj4294967295EEENS1_25partition_config_selectorILNS1_17partition_subalgoE4EjNS0_10empty_typeEbEEZZNS1_14partition_implILS8_4ELb0ES6_15HIP_vector_typeIjLj2EENS0_17counting_iteratorIjlEEPS9_SG_NS0_5tupleIJPjSI_NS0_16reverse_iteratorISI_EEEEENSH_IJSG_SG_SG_EEES9_SI_JZNS1_25segmented_radix_sort_implINS0_14default_configELb0EPK12hip_bfloat16PSP_PKlPlN2at6native12_GLOBAL__N_18offset_tEEE10hipError_tPvRmT1_PNSt15iterator_traitsIS13_E10value_typeET2_T3_PNS14_IS19_E10value_typeET4_jRbjT5_S1F_jjP12ihipStream_tbEUljE_ZNSN_ISO_Lb0ESR_SS_SU_SV_SZ_EES10_S11_S12_S13_S17_S18_S19_S1C_S1D_jS1E_jS1F_S1F_jjS1H_bEUljE0_EEES10_S11_S12_S19_S1D_S1F_T6_T7_T9_mT8_S1H_bDpT10_ENKUlT_T0_E_clISt17integral_constantIbLb1EES1V_EEDaS1Q_S1R_EUlS1Q_E_NS1_11comp_targetILNS1_3genE2ELNS1_11target_archE906ELNS1_3gpuE6ELNS1_3repE0EEENS1_30default_config_static_selectorELNS0_4arch9wavefront6targetE1EEEvS13_
    .private_segment_fixed_size: 0
    .sgpr_count:     4
    .sgpr_spill_count: 0
    .symbol:         _ZN7rocprim17ROCPRIM_400000_NS6detail17trampoline_kernelINS0_13select_configILj256ELj13ELNS0_17block_load_methodE3ELS4_3ELS4_3ELNS0_20block_scan_algorithmE0ELj4294967295EEENS1_25partition_config_selectorILNS1_17partition_subalgoE4EjNS0_10empty_typeEbEEZZNS1_14partition_implILS8_4ELb0ES6_15HIP_vector_typeIjLj2EENS0_17counting_iteratorIjlEEPS9_SG_NS0_5tupleIJPjSI_NS0_16reverse_iteratorISI_EEEEENSH_IJSG_SG_SG_EEES9_SI_JZNS1_25segmented_radix_sort_implINS0_14default_configELb0EPK12hip_bfloat16PSP_PKlPlN2at6native12_GLOBAL__N_18offset_tEEE10hipError_tPvRmT1_PNSt15iterator_traitsIS13_E10value_typeET2_T3_PNS14_IS19_E10value_typeET4_jRbjT5_S1F_jjP12ihipStream_tbEUljE_ZNSN_ISO_Lb0ESR_SS_SU_SV_SZ_EES10_S11_S12_S13_S17_S18_S19_S1C_S1D_jS1E_jS1F_S1F_jjS1H_bEUljE0_EEES10_S11_S12_S19_S1D_S1F_T6_T7_T9_mT8_S1H_bDpT10_ENKUlT_T0_E_clISt17integral_constantIbLb1EES1V_EEDaS1Q_S1R_EUlS1Q_E_NS1_11comp_targetILNS1_3genE2ELNS1_11target_archE906ELNS1_3gpuE6ELNS1_3repE0EEENS1_30default_config_static_selectorELNS0_4arch9wavefront6targetE1EEEvS13_.kd
    .uniform_work_group_size: 1
    .uses_dynamic_stack: false
    .vgpr_count:     0
    .vgpr_spill_count: 0
    .wavefront_size: 64
  - .agpr_count:     0
    .args:
      - .offset:         0
        .size:           184
        .value_kind:     by_value
    .group_segment_fixed_size: 0
    .kernarg_segment_align: 8
    .kernarg_segment_size: 184
    .language:       OpenCL C
    .language_version:
      - 2
      - 0
    .max_flat_workgroup_size: 256
    .name:           _ZN7rocprim17ROCPRIM_400000_NS6detail17trampoline_kernelINS0_13select_configILj256ELj13ELNS0_17block_load_methodE3ELS4_3ELS4_3ELNS0_20block_scan_algorithmE0ELj4294967295EEENS1_25partition_config_selectorILNS1_17partition_subalgoE4EjNS0_10empty_typeEbEEZZNS1_14partition_implILS8_4ELb0ES6_15HIP_vector_typeIjLj2EENS0_17counting_iteratorIjlEEPS9_SG_NS0_5tupleIJPjSI_NS0_16reverse_iteratorISI_EEEEENSH_IJSG_SG_SG_EEES9_SI_JZNS1_25segmented_radix_sort_implINS0_14default_configELb0EPK12hip_bfloat16PSP_PKlPlN2at6native12_GLOBAL__N_18offset_tEEE10hipError_tPvRmT1_PNSt15iterator_traitsIS13_E10value_typeET2_T3_PNS14_IS19_E10value_typeET4_jRbjT5_S1F_jjP12ihipStream_tbEUljE_ZNSN_ISO_Lb0ESR_SS_SU_SV_SZ_EES10_S11_S12_S13_S17_S18_S19_S1C_S1D_jS1E_jS1F_S1F_jjS1H_bEUljE0_EEES10_S11_S12_S19_S1D_S1F_T6_T7_T9_mT8_S1H_bDpT10_ENKUlT_T0_E_clISt17integral_constantIbLb1EES1V_EEDaS1Q_S1R_EUlS1Q_E_NS1_11comp_targetILNS1_3genE10ELNS1_11target_archE1200ELNS1_3gpuE4ELNS1_3repE0EEENS1_30default_config_static_selectorELNS0_4arch9wavefront6targetE1EEEvS13_
    .private_segment_fixed_size: 0
    .sgpr_count:     4
    .sgpr_spill_count: 0
    .symbol:         _ZN7rocprim17ROCPRIM_400000_NS6detail17trampoline_kernelINS0_13select_configILj256ELj13ELNS0_17block_load_methodE3ELS4_3ELS4_3ELNS0_20block_scan_algorithmE0ELj4294967295EEENS1_25partition_config_selectorILNS1_17partition_subalgoE4EjNS0_10empty_typeEbEEZZNS1_14partition_implILS8_4ELb0ES6_15HIP_vector_typeIjLj2EENS0_17counting_iteratorIjlEEPS9_SG_NS0_5tupleIJPjSI_NS0_16reverse_iteratorISI_EEEEENSH_IJSG_SG_SG_EEES9_SI_JZNS1_25segmented_radix_sort_implINS0_14default_configELb0EPK12hip_bfloat16PSP_PKlPlN2at6native12_GLOBAL__N_18offset_tEEE10hipError_tPvRmT1_PNSt15iterator_traitsIS13_E10value_typeET2_T3_PNS14_IS19_E10value_typeET4_jRbjT5_S1F_jjP12ihipStream_tbEUljE_ZNSN_ISO_Lb0ESR_SS_SU_SV_SZ_EES10_S11_S12_S13_S17_S18_S19_S1C_S1D_jS1E_jS1F_S1F_jjS1H_bEUljE0_EEES10_S11_S12_S19_S1D_S1F_T6_T7_T9_mT8_S1H_bDpT10_ENKUlT_T0_E_clISt17integral_constantIbLb1EES1V_EEDaS1Q_S1R_EUlS1Q_E_NS1_11comp_targetILNS1_3genE10ELNS1_11target_archE1200ELNS1_3gpuE4ELNS1_3repE0EEENS1_30default_config_static_selectorELNS0_4arch9wavefront6targetE1EEEvS13_.kd
    .uniform_work_group_size: 1
    .uses_dynamic_stack: false
    .vgpr_count:     0
    .vgpr_spill_count: 0
    .wavefront_size: 64
  - .agpr_count:     0
    .args:
      - .offset:         0
        .size:           184
        .value_kind:     by_value
    .group_segment_fixed_size: 0
    .kernarg_segment_align: 8
    .kernarg_segment_size: 184
    .language:       OpenCL C
    .language_version:
      - 2
      - 0
    .max_flat_workgroup_size: 256
    .name:           _ZN7rocprim17ROCPRIM_400000_NS6detail17trampoline_kernelINS0_13select_configILj256ELj13ELNS0_17block_load_methodE3ELS4_3ELS4_3ELNS0_20block_scan_algorithmE0ELj4294967295EEENS1_25partition_config_selectorILNS1_17partition_subalgoE4EjNS0_10empty_typeEbEEZZNS1_14partition_implILS8_4ELb0ES6_15HIP_vector_typeIjLj2EENS0_17counting_iteratorIjlEEPS9_SG_NS0_5tupleIJPjSI_NS0_16reverse_iteratorISI_EEEEENSH_IJSG_SG_SG_EEES9_SI_JZNS1_25segmented_radix_sort_implINS0_14default_configELb0EPK12hip_bfloat16PSP_PKlPlN2at6native12_GLOBAL__N_18offset_tEEE10hipError_tPvRmT1_PNSt15iterator_traitsIS13_E10value_typeET2_T3_PNS14_IS19_E10value_typeET4_jRbjT5_S1F_jjP12ihipStream_tbEUljE_ZNSN_ISO_Lb0ESR_SS_SU_SV_SZ_EES10_S11_S12_S13_S17_S18_S19_S1C_S1D_jS1E_jS1F_S1F_jjS1H_bEUljE0_EEES10_S11_S12_S19_S1D_S1F_T6_T7_T9_mT8_S1H_bDpT10_ENKUlT_T0_E_clISt17integral_constantIbLb1EES1V_EEDaS1Q_S1R_EUlS1Q_E_NS1_11comp_targetILNS1_3genE9ELNS1_11target_archE1100ELNS1_3gpuE3ELNS1_3repE0EEENS1_30default_config_static_selectorELNS0_4arch9wavefront6targetE1EEEvS13_
    .private_segment_fixed_size: 0
    .sgpr_count:     4
    .sgpr_spill_count: 0
    .symbol:         _ZN7rocprim17ROCPRIM_400000_NS6detail17trampoline_kernelINS0_13select_configILj256ELj13ELNS0_17block_load_methodE3ELS4_3ELS4_3ELNS0_20block_scan_algorithmE0ELj4294967295EEENS1_25partition_config_selectorILNS1_17partition_subalgoE4EjNS0_10empty_typeEbEEZZNS1_14partition_implILS8_4ELb0ES6_15HIP_vector_typeIjLj2EENS0_17counting_iteratorIjlEEPS9_SG_NS0_5tupleIJPjSI_NS0_16reverse_iteratorISI_EEEEENSH_IJSG_SG_SG_EEES9_SI_JZNS1_25segmented_radix_sort_implINS0_14default_configELb0EPK12hip_bfloat16PSP_PKlPlN2at6native12_GLOBAL__N_18offset_tEEE10hipError_tPvRmT1_PNSt15iterator_traitsIS13_E10value_typeET2_T3_PNS14_IS19_E10value_typeET4_jRbjT5_S1F_jjP12ihipStream_tbEUljE_ZNSN_ISO_Lb0ESR_SS_SU_SV_SZ_EES10_S11_S12_S13_S17_S18_S19_S1C_S1D_jS1E_jS1F_S1F_jjS1H_bEUljE0_EEES10_S11_S12_S19_S1D_S1F_T6_T7_T9_mT8_S1H_bDpT10_ENKUlT_T0_E_clISt17integral_constantIbLb1EES1V_EEDaS1Q_S1R_EUlS1Q_E_NS1_11comp_targetILNS1_3genE9ELNS1_11target_archE1100ELNS1_3gpuE3ELNS1_3repE0EEENS1_30default_config_static_selectorELNS0_4arch9wavefront6targetE1EEEvS13_.kd
    .uniform_work_group_size: 1
    .uses_dynamic_stack: false
    .vgpr_count:     0
    .vgpr_spill_count: 0
    .wavefront_size: 64
  - .agpr_count:     0
    .args:
      - .offset:         0
        .size:           184
        .value_kind:     by_value
    .group_segment_fixed_size: 0
    .kernarg_segment_align: 8
    .kernarg_segment_size: 184
    .language:       OpenCL C
    .language_version:
      - 2
      - 0
    .max_flat_workgroup_size: 256
    .name:           _ZN7rocprim17ROCPRIM_400000_NS6detail17trampoline_kernelINS0_13select_configILj256ELj13ELNS0_17block_load_methodE3ELS4_3ELS4_3ELNS0_20block_scan_algorithmE0ELj4294967295EEENS1_25partition_config_selectorILNS1_17partition_subalgoE4EjNS0_10empty_typeEbEEZZNS1_14partition_implILS8_4ELb0ES6_15HIP_vector_typeIjLj2EENS0_17counting_iteratorIjlEEPS9_SG_NS0_5tupleIJPjSI_NS0_16reverse_iteratorISI_EEEEENSH_IJSG_SG_SG_EEES9_SI_JZNS1_25segmented_radix_sort_implINS0_14default_configELb0EPK12hip_bfloat16PSP_PKlPlN2at6native12_GLOBAL__N_18offset_tEEE10hipError_tPvRmT1_PNSt15iterator_traitsIS13_E10value_typeET2_T3_PNS14_IS19_E10value_typeET4_jRbjT5_S1F_jjP12ihipStream_tbEUljE_ZNSN_ISO_Lb0ESR_SS_SU_SV_SZ_EES10_S11_S12_S13_S17_S18_S19_S1C_S1D_jS1E_jS1F_S1F_jjS1H_bEUljE0_EEES10_S11_S12_S19_S1D_S1F_T6_T7_T9_mT8_S1H_bDpT10_ENKUlT_T0_E_clISt17integral_constantIbLb1EES1V_EEDaS1Q_S1R_EUlS1Q_E_NS1_11comp_targetILNS1_3genE8ELNS1_11target_archE1030ELNS1_3gpuE2ELNS1_3repE0EEENS1_30default_config_static_selectorELNS0_4arch9wavefront6targetE1EEEvS13_
    .private_segment_fixed_size: 0
    .sgpr_count:     4
    .sgpr_spill_count: 0
    .symbol:         _ZN7rocprim17ROCPRIM_400000_NS6detail17trampoline_kernelINS0_13select_configILj256ELj13ELNS0_17block_load_methodE3ELS4_3ELS4_3ELNS0_20block_scan_algorithmE0ELj4294967295EEENS1_25partition_config_selectorILNS1_17partition_subalgoE4EjNS0_10empty_typeEbEEZZNS1_14partition_implILS8_4ELb0ES6_15HIP_vector_typeIjLj2EENS0_17counting_iteratorIjlEEPS9_SG_NS0_5tupleIJPjSI_NS0_16reverse_iteratorISI_EEEEENSH_IJSG_SG_SG_EEES9_SI_JZNS1_25segmented_radix_sort_implINS0_14default_configELb0EPK12hip_bfloat16PSP_PKlPlN2at6native12_GLOBAL__N_18offset_tEEE10hipError_tPvRmT1_PNSt15iterator_traitsIS13_E10value_typeET2_T3_PNS14_IS19_E10value_typeET4_jRbjT5_S1F_jjP12ihipStream_tbEUljE_ZNSN_ISO_Lb0ESR_SS_SU_SV_SZ_EES10_S11_S12_S13_S17_S18_S19_S1C_S1D_jS1E_jS1F_S1F_jjS1H_bEUljE0_EEES10_S11_S12_S19_S1D_S1F_T6_T7_T9_mT8_S1H_bDpT10_ENKUlT_T0_E_clISt17integral_constantIbLb1EES1V_EEDaS1Q_S1R_EUlS1Q_E_NS1_11comp_targetILNS1_3genE8ELNS1_11target_archE1030ELNS1_3gpuE2ELNS1_3repE0EEENS1_30default_config_static_selectorELNS0_4arch9wavefront6targetE1EEEvS13_.kd
    .uniform_work_group_size: 1
    .uses_dynamic_stack: false
    .vgpr_count:     0
    .vgpr_spill_count: 0
    .wavefront_size: 64
  - .agpr_count:     0
    .args:
      - .offset:         0
        .size:           176
        .value_kind:     by_value
    .group_segment_fixed_size: 0
    .kernarg_segment_align: 8
    .kernarg_segment_size: 176
    .language:       OpenCL C
    .language_version:
      - 2
      - 0
    .max_flat_workgroup_size: 256
    .name:           _ZN7rocprim17ROCPRIM_400000_NS6detail17trampoline_kernelINS0_13select_configILj256ELj13ELNS0_17block_load_methodE3ELS4_3ELS4_3ELNS0_20block_scan_algorithmE0ELj4294967295EEENS1_25partition_config_selectorILNS1_17partition_subalgoE4EjNS0_10empty_typeEbEEZZNS1_14partition_implILS8_4ELb0ES6_15HIP_vector_typeIjLj2EENS0_17counting_iteratorIjlEEPS9_SG_NS0_5tupleIJPjSI_NS0_16reverse_iteratorISI_EEEEENSH_IJSG_SG_SG_EEES9_SI_JZNS1_25segmented_radix_sort_implINS0_14default_configELb0EPK12hip_bfloat16PSP_PKlPlN2at6native12_GLOBAL__N_18offset_tEEE10hipError_tPvRmT1_PNSt15iterator_traitsIS13_E10value_typeET2_T3_PNS14_IS19_E10value_typeET4_jRbjT5_S1F_jjP12ihipStream_tbEUljE_ZNSN_ISO_Lb0ESR_SS_SU_SV_SZ_EES10_S11_S12_S13_S17_S18_S19_S1C_S1D_jS1E_jS1F_S1F_jjS1H_bEUljE0_EEES10_S11_S12_S19_S1D_S1F_T6_T7_T9_mT8_S1H_bDpT10_ENKUlT_T0_E_clISt17integral_constantIbLb1EES1U_IbLb0EEEEDaS1Q_S1R_EUlS1Q_E_NS1_11comp_targetILNS1_3genE0ELNS1_11target_archE4294967295ELNS1_3gpuE0ELNS1_3repE0EEENS1_30default_config_static_selectorELNS0_4arch9wavefront6targetE1EEEvS13_
    .private_segment_fixed_size: 0
    .sgpr_count:     4
    .sgpr_spill_count: 0
    .symbol:         _ZN7rocprim17ROCPRIM_400000_NS6detail17trampoline_kernelINS0_13select_configILj256ELj13ELNS0_17block_load_methodE3ELS4_3ELS4_3ELNS0_20block_scan_algorithmE0ELj4294967295EEENS1_25partition_config_selectorILNS1_17partition_subalgoE4EjNS0_10empty_typeEbEEZZNS1_14partition_implILS8_4ELb0ES6_15HIP_vector_typeIjLj2EENS0_17counting_iteratorIjlEEPS9_SG_NS0_5tupleIJPjSI_NS0_16reverse_iteratorISI_EEEEENSH_IJSG_SG_SG_EEES9_SI_JZNS1_25segmented_radix_sort_implINS0_14default_configELb0EPK12hip_bfloat16PSP_PKlPlN2at6native12_GLOBAL__N_18offset_tEEE10hipError_tPvRmT1_PNSt15iterator_traitsIS13_E10value_typeET2_T3_PNS14_IS19_E10value_typeET4_jRbjT5_S1F_jjP12ihipStream_tbEUljE_ZNSN_ISO_Lb0ESR_SS_SU_SV_SZ_EES10_S11_S12_S13_S17_S18_S19_S1C_S1D_jS1E_jS1F_S1F_jjS1H_bEUljE0_EEES10_S11_S12_S19_S1D_S1F_T6_T7_T9_mT8_S1H_bDpT10_ENKUlT_T0_E_clISt17integral_constantIbLb1EES1U_IbLb0EEEEDaS1Q_S1R_EUlS1Q_E_NS1_11comp_targetILNS1_3genE0ELNS1_11target_archE4294967295ELNS1_3gpuE0ELNS1_3repE0EEENS1_30default_config_static_selectorELNS0_4arch9wavefront6targetE1EEEvS13_.kd
    .uniform_work_group_size: 1
    .uses_dynamic_stack: false
    .vgpr_count:     0
    .vgpr_spill_count: 0
    .wavefront_size: 64
  - .agpr_count:     0
    .args:
      - .offset:         0
        .size:           176
        .value_kind:     by_value
    .group_segment_fixed_size: 0
    .kernarg_segment_align: 8
    .kernarg_segment_size: 176
    .language:       OpenCL C
    .language_version:
      - 2
      - 0
    .max_flat_workgroup_size: 256
    .name:           _ZN7rocprim17ROCPRIM_400000_NS6detail17trampoline_kernelINS0_13select_configILj256ELj13ELNS0_17block_load_methodE3ELS4_3ELS4_3ELNS0_20block_scan_algorithmE0ELj4294967295EEENS1_25partition_config_selectorILNS1_17partition_subalgoE4EjNS0_10empty_typeEbEEZZNS1_14partition_implILS8_4ELb0ES6_15HIP_vector_typeIjLj2EENS0_17counting_iteratorIjlEEPS9_SG_NS0_5tupleIJPjSI_NS0_16reverse_iteratorISI_EEEEENSH_IJSG_SG_SG_EEES9_SI_JZNS1_25segmented_radix_sort_implINS0_14default_configELb0EPK12hip_bfloat16PSP_PKlPlN2at6native12_GLOBAL__N_18offset_tEEE10hipError_tPvRmT1_PNSt15iterator_traitsIS13_E10value_typeET2_T3_PNS14_IS19_E10value_typeET4_jRbjT5_S1F_jjP12ihipStream_tbEUljE_ZNSN_ISO_Lb0ESR_SS_SU_SV_SZ_EES10_S11_S12_S13_S17_S18_S19_S1C_S1D_jS1E_jS1F_S1F_jjS1H_bEUljE0_EEES10_S11_S12_S19_S1D_S1F_T6_T7_T9_mT8_S1H_bDpT10_ENKUlT_T0_E_clISt17integral_constantIbLb1EES1U_IbLb0EEEEDaS1Q_S1R_EUlS1Q_E_NS1_11comp_targetILNS1_3genE5ELNS1_11target_archE942ELNS1_3gpuE9ELNS1_3repE0EEENS1_30default_config_static_selectorELNS0_4arch9wavefront6targetE1EEEvS13_
    .private_segment_fixed_size: 0
    .sgpr_count:     4
    .sgpr_spill_count: 0
    .symbol:         _ZN7rocprim17ROCPRIM_400000_NS6detail17trampoline_kernelINS0_13select_configILj256ELj13ELNS0_17block_load_methodE3ELS4_3ELS4_3ELNS0_20block_scan_algorithmE0ELj4294967295EEENS1_25partition_config_selectorILNS1_17partition_subalgoE4EjNS0_10empty_typeEbEEZZNS1_14partition_implILS8_4ELb0ES6_15HIP_vector_typeIjLj2EENS0_17counting_iteratorIjlEEPS9_SG_NS0_5tupleIJPjSI_NS0_16reverse_iteratorISI_EEEEENSH_IJSG_SG_SG_EEES9_SI_JZNS1_25segmented_radix_sort_implINS0_14default_configELb0EPK12hip_bfloat16PSP_PKlPlN2at6native12_GLOBAL__N_18offset_tEEE10hipError_tPvRmT1_PNSt15iterator_traitsIS13_E10value_typeET2_T3_PNS14_IS19_E10value_typeET4_jRbjT5_S1F_jjP12ihipStream_tbEUljE_ZNSN_ISO_Lb0ESR_SS_SU_SV_SZ_EES10_S11_S12_S13_S17_S18_S19_S1C_S1D_jS1E_jS1F_S1F_jjS1H_bEUljE0_EEES10_S11_S12_S19_S1D_S1F_T6_T7_T9_mT8_S1H_bDpT10_ENKUlT_T0_E_clISt17integral_constantIbLb1EES1U_IbLb0EEEEDaS1Q_S1R_EUlS1Q_E_NS1_11comp_targetILNS1_3genE5ELNS1_11target_archE942ELNS1_3gpuE9ELNS1_3repE0EEENS1_30default_config_static_selectorELNS0_4arch9wavefront6targetE1EEEvS13_.kd
    .uniform_work_group_size: 1
    .uses_dynamic_stack: false
    .vgpr_count:     0
    .vgpr_spill_count: 0
    .wavefront_size: 64
  - .agpr_count:     0
    .args:
      - .offset:         0
        .size:           176
        .value_kind:     by_value
    .group_segment_fixed_size: 13340
    .kernarg_segment_align: 8
    .kernarg_segment_size: 176
    .language:       OpenCL C
    .language_version:
      - 2
      - 0
    .max_flat_workgroup_size: 256
    .name:           _ZN7rocprim17ROCPRIM_400000_NS6detail17trampoline_kernelINS0_13select_configILj256ELj13ELNS0_17block_load_methodE3ELS4_3ELS4_3ELNS0_20block_scan_algorithmE0ELj4294967295EEENS1_25partition_config_selectorILNS1_17partition_subalgoE4EjNS0_10empty_typeEbEEZZNS1_14partition_implILS8_4ELb0ES6_15HIP_vector_typeIjLj2EENS0_17counting_iteratorIjlEEPS9_SG_NS0_5tupleIJPjSI_NS0_16reverse_iteratorISI_EEEEENSH_IJSG_SG_SG_EEES9_SI_JZNS1_25segmented_radix_sort_implINS0_14default_configELb0EPK12hip_bfloat16PSP_PKlPlN2at6native12_GLOBAL__N_18offset_tEEE10hipError_tPvRmT1_PNSt15iterator_traitsIS13_E10value_typeET2_T3_PNS14_IS19_E10value_typeET4_jRbjT5_S1F_jjP12ihipStream_tbEUljE_ZNSN_ISO_Lb0ESR_SS_SU_SV_SZ_EES10_S11_S12_S13_S17_S18_S19_S1C_S1D_jS1E_jS1F_S1F_jjS1H_bEUljE0_EEES10_S11_S12_S19_S1D_S1F_T6_T7_T9_mT8_S1H_bDpT10_ENKUlT_T0_E_clISt17integral_constantIbLb1EES1U_IbLb0EEEEDaS1Q_S1R_EUlS1Q_E_NS1_11comp_targetILNS1_3genE4ELNS1_11target_archE910ELNS1_3gpuE8ELNS1_3repE0EEENS1_30default_config_static_selectorELNS0_4arch9wavefront6targetE1EEEvS13_
    .private_segment_fixed_size: 0
    .sgpr_count:     94
    .sgpr_spill_count: 0
    .symbol:         _ZN7rocprim17ROCPRIM_400000_NS6detail17trampoline_kernelINS0_13select_configILj256ELj13ELNS0_17block_load_methodE3ELS4_3ELS4_3ELNS0_20block_scan_algorithmE0ELj4294967295EEENS1_25partition_config_selectorILNS1_17partition_subalgoE4EjNS0_10empty_typeEbEEZZNS1_14partition_implILS8_4ELb0ES6_15HIP_vector_typeIjLj2EENS0_17counting_iteratorIjlEEPS9_SG_NS0_5tupleIJPjSI_NS0_16reverse_iteratorISI_EEEEENSH_IJSG_SG_SG_EEES9_SI_JZNS1_25segmented_radix_sort_implINS0_14default_configELb0EPK12hip_bfloat16PSP_PKlPlN2at6native12_GLOBAL__N_18offset_tEEE10hipError_tPvRmT1_PNSt15iterator_traitsIS13_E10value_typeET2_T3_PNS14_IS19_E10value_typeET4_jRbjT5_S1F_jjP12ihipStream_tbEUljE_ZNSN_ISO_Lb0ESR_SS_SU_SV_SZ_EES10_S11_S12_S13_S17_S18_S19_S1C_S1D_jS1E_jS1F_S1F_jjS1H_bEUljE0_EEES10_S11_S12_S19_S1D_S1F_T6_T7_T9_mT8_S1H_bDpT10_ENKUlT_T0_E_clISt17integral_constantIbLb1EES1U_IbLb0EEEEDaS1Q_S1R_EUlS1Q_E_NS1_11comp_targetILNS1_3genE4ELNS1_11target_archE910ELNS1_3gpuE8ELNS1_3repE0EEENS1_30default_config_static_selectorELNS0_4arch9wavefront6targetE1EEEvS13_.kd
    .uniform_work_group_size: 1
    .uses_dynamic_stack: false
    .vgpr_count:     102
    .vgpr_spill_count: 0
    .wavefront_size: 64
  - .agpr_count:     0
    .args:
      - .offset:         0
        .size:           176
        .value_kind:     by_value
    .group_segment_fixed_size: 0
    .kernarg_segment_align: 8
    .kernarg_segment_size: 176
    .language:       OpenCL C
    .language_version:
      - 2
      - 0
    .max_flat_workgroup_size: 256
    .name:           _ZN7rocprim17ROCPRIM_400000_NS6detail17trampoline_kernelINS0_13select_configILj256ELj13ELNS0_17block_load_methodE3ELS4_3ELS4_3ELNS0_20block_scan_algorithmE0ELj4294967295EEENS1_25partition_config_selectorILNS1_17partition_subalgoE4EjNS0_10empty_typeEbEEZZNS1_14partition_implILS8_4ELb0ES6_15HIP_vector_typeIjLj2EENS0_17counting_iteratorIjlEEPS9_SG_NS0_5tupleIJPjSI_NS0_16reverse_iteratorISI_EEEEENSH_IJSG_SG_SG_EEES9_SI_JZNS1_25segmented_radix_sort_implINS0_14default_configELb0EPK12hip_bfloat16PSP_PKlPlN2at6native12_GLOBAL__N_18offset_tEEE10hipError_tPvRmT1_PNSt15iterator_traitsIS13_E10value_typeET2_T3_PNS14_IS19_E10value_typeET4_jRbjT5_S1F_jjP12ihipStream_tbEUljE_ZNSN_ISO_Lb0ESR_SS_SU_SV_SZ_EES10_S11_S12_S13_S17_S18_S19_S1C_S1D_jS1E_jS1F_S1F_jjS1H_bEUljE0_EEES10_S11_S12_S19_S1D_S1F_T6_T7_T9_mT8_S1H_bDpT10_ENKUlT_T0_E_clISt17integral_constantIbLb1EES1U_IbLb0EEEEDaS1Q_S1R_EUlS1Q_E_NS1_11comp_targetILNS1_3genE3ELNS1_11target_archE908ELNS1_3gpuE7ELNS1_3repE0EEENS1_30default_config_static_selectorELNS0_4arch9wavefront6targetE1EEEvS13_
    .private_segment_fixed_size: 0
    .sgpr_count:     4
    .sgpr_spill_count: 0
    .symbol:         _ZN7rocprim17ROCPRIM_400000_NS6detail17trampoline_kernelINS0_13select_configILj256ELj13ELNS0_17block_load_methodE3ELS4_3ELS4_3ELNS0_20block_scan_algorithmE0ELj4294967295EEENS1_25partition_config_selectorILNS1_17partition_subalgoE4EjNS0_10empty_typeEbEEZZNS1_14partition_implILS8_4ELb0ES6_15HIP_vector_typeIjLj2EENS0_17counting_iteratorIjlEEPS9_SG_NS0_5tupleIJPjSI_NS0_16reverse_iteratorISI_EEEEENSH_IJSG_SG_SG_EEES9_SI_JZNS1_25segmented_radix_sort_implINS0_14default_configELb0EPK12hip_bfloat16PSP_PKlPlN2at6native12_GLOBAL__N_18offset_tEEE10hipError_tPvRmT1_PNSt15iterator_traitsIS13_E10value_typeET2_T3_PNS14_IS19_E10value_typeET4_jRbjT5_S1F_jjP12ihipStream_tbEUljE_ZNSN_ISO_Lb0ESR_SS_SU_SV_SZ_EES10_S11_S12_S13_S17_S18_S19_S1C_S1D_jS1E_jS1F_S1F_jjS1H_bEUljE0_EEES10_S11_S12_S19_S1D_S1F_T6_T7_T9_mT8_S1H_bDpT10_ENKUlT_T0_E_clISt17integral_constantIbLb1EES1U_IbLb0EEEEDaS1Q_S1R_EUlS1Q_E_NS1_11comp_targetILNS1_3genE3ELNS1_11target_archE908ELNS1_3gpuE7ELNS1_3repE0EEENS1_30default_config_static_selectorELNS0_4arch9wavefront6targetE1EEEvS13_.kd
    .uniform_work_group_size: 1
    .uses_dynamic_stack: false
    .vgpr_count:     0
    .vgpr_spill_count: 0
    .wavefront_size: 64
  - .agpr_count:     0
    .args:
      - .offset:         0
        .size:           176
        .value_kind:     by_value
    .group_segment_fixed_size: 0
    .kernarg_segment_align: 8
    .kernarg_segment_size: 176
    .language:       OpenCL C
    .language_version:
      - 2
      - 0
    .max_flat_workgroup_size: 256
    .name:           _ZN7rocprim17ROCPRIM_400000_NS6detail17trampoline_kernelINS0_13select_configILj256ELj13ELNS0_17block_load_methodE3ELS4_3ELS4_3ELNS0_20block_scan_algorithmE0ELj4294967295EEENS1_25partition_config_selectorILNS1_17partition_subalgoE4EjNS0_10empty_typeEbEEZZNS1_14partition_implILS8_4ELb0ES6_15HIP_vector_typeIjLj2EENS0_17counting_iteratorIjlEEPS9_SG_NS0_5tupleIJPjSI_NS0_16reverse_iteratorISI_EEEEENSH_IJSG_SG_SG_EEES9_SI_JZNS1_25segmented_radix_sort_implINS0_14default_configELb0EPK12hip_bfloat16PSP_PKlPlN2at6native12_GLOBAL__N_18offset_tEEE10hipError_tPvRmT1_PNSt15iterator_traitsIS13_E10value_typeET2_T3_PNS14_IS19_E10value_typeET4_jRbjT5_S1F_jjP12ihipStream_tbEUljE_ZNSN_ISO_Lb0ESR_SS_SU_SV_SZ_EES10_S11_S12_S13_S17_S18_S19_S1C_S1D_jS1E_jS1F_S1F_jjS1H_bEUljE0_EEES10_S11_S12_S19_S1D_S1F_T6_T7_T9_mT8_S1H_bDpT10_ENKUlT_T0_E_clISt17integral_constantIbLb1EES1U_IbLb0EEEEDaS1Q_S1R_EUlS1Q_E_NS1_11comp_targetILNS1_3genE2ELNS1_11target_archE906ELNS1_3gpuE6ELNS1_3repE0EEENS1_30default_config_static_selectorELNS0_4arch9wavefront6targetE1EEEvS13_
    .private_segment_fixed_size: 0
    .sgpr_count:     4
    .sgpr_spill_count: 0
    .symbol:         _ZN7rocprim17ROCPRIM_400000_NS6detail17trampoline_kernelINS0_13select_configILj256ELj13ELNS0_17block_load_methodE3ELS4_3ELS4_3ELNS0_20block_scan_algorithmE0ELj4294967295EEENS1_25partition_config_selectorILNS1_17partition_subalgoE4EjNS0_10empty_typeEbEEZZNS1_14partition_implILS8_4ELb0ES6_15HIP_vector_typeIjLj2EENS0_17counting_iteratorIjlEEPS9_SG_NS0_5tupleIJPjSI_NS0_16reverse_iteratorISI_EEEEENSH_IJSG_SG_SG_EEES9_SI_JZNS1_25segmented_radix_sort_implINS0_14default_configELb0EPK12hip_bfloat16PSP_PKlPlN2at6native12_GLOBAL__N_18offset_tEEE10hipError_tPvRmT1_PNSt15iterator_traitsIS13_E10value_typeET2_T3_PNS14_IS19_E10value_typeET4_jRbjT5_S1F_jjP12ihipStream_tbEUljE_ZNSN_ISO_Lb0ESR_SS_SU_SV_SZ_EES10_S11_S12_S13_S17_S18_S19_S1C_S1D_jS1E_jS1F_S1F_jjS1H_bEUljE0_EEES10_S11_S12_S19_S1D_S1F_T6_T7_T9_mT8_S1H_bDpT10_ENKUlT_T0_E_clISt17integral_constantIbLb1EES1U_IbLb0EEEEDaS1Q_S1R_EUlS1Q_E_NS1_11comp_targetILNS1_3genE2ELNS1_11target_archE906ELNS1_3gpuE6ELNS1_3repE0EEENS1_30default_config_static_selectorELNS0_4arch9wavefront6targetE1EEEvS13_.kd
    .uniform_work_group_size: 1
    .uses_dynamic_stack: false
    .vgpr_count:     0
    .vgpr_spill_count: 0
    .wavefront_size: 64
  - .agpr_count:     0
    .args:
      - .offset:         0
        .size:           176
        .value_kind:     by_value
    .group_segment_fixed_size: 0
    .kernarg_segment_align: 8
    .kernarg_segment_size: 176
    .language:       OpenCL C
    .language_version:
      - 2
      - 0
    .max_flat_workgroup_size: 256
    .name:           _ZN7rocprim17ROCPRIM_400000_NS6detail17trampoline_kernelINS0_13select_configILj256ELj13ELNS0_17block_load_methodE3ELS4_3ELS4_3ELNS0_20block_scan_algorithmE0ELj4294967295EEENS1_25partition_config_selectorILNS1_17partition_subalgoE4EjNS0_10empty_typeEbEEZZNS1_14partition_implILS8_4ELb0ES6_15HIP_vector_typeIjLj2EENS0_17counting_iteratorIjlEEPS9_SG_NS0_5tupleIJPjSI_NS0_16reverse_iteratorISI_EEEEENSH_IJSG_SG_SG_EEES9_SI_JZNS1_25segmented_radix_sort_implINS0_14default_configELb0EPK12hip_bfloat16PSP_PKlPlN2at6native12_GLOBAL__N_18offset_tEEE10hipError_tPvRmT1_PNSt15iterator_traitsIS13_E10value_typeET2_T3_PNS14_IS19_E10value_typeET4_jRbjT5_S1F_jjP12ihipStream_tbEUljE_ZNSN_ISO_Lb0ESR_SS_SU_SV_SZ_EES10_S11_S12_S13_S17_S18_S19_S1C_S1D_jS1E_jS1F_S1F_jjS1H_bEUljE0_EEES10_S11_S12_S19_S1D_S1F_T6_T7_T9_mT8_S1H_bDpT10_ENKUlT_T0_E_clISt17integral_constantIbLb1EES1U_IbLb0EEEEDaS1Q_S1R_EUlS1Q_E_NS1_11comp_targetILNS1_3genE10ELNS1_11target_archE1200ELNS1_3gpuE4ELNS1_3repE0EEENS1_30default_config_static_selectorELNS0_4arch9wavefront6targetE1EEEvS13_
    .private_segment_fixed_size: 0
    .sgpr_count:     4
    .sgpr_spill_count: 0
    .symbol:         _ZN7rocprim17ROCPRIM_400000_NS6detail17trampoline_kernelINS0_13select_configILj256ELj13ELNS0_17block_load_methodE3ELS4_3ELS4_3ELNS0_20block_scan_algorithmE0ELj4294967295EEENS1_25partition_config_selectorILNS1_17partition_subalgoE4EjNS0_10empty_typeEbEEZZNS1_14partition_implILS8_4ELb0ES6_15HIP_vector_typeIjLj2EENS0_17counting_iteratorIjlEEPS9_SG_NS0_5tupleIJPjSI_NS0_16reverse_iteratorISI_EEEEENSH_IJSG_SG_SG_EEES9_SI_JZNS1_25segmented_radix_sort_implINS0_14default_configELb0EPK12hip_bfloat16PSP_PKlPlN2at6native12_GLOBAL__N_18offset_tEEE10hipError_tPvRmT1_PNSt15iterator_traitsIS13_E10value_typeET2_T3_PNS14_IS19_E10value_typeET4_jRbjT5_S1F_jjP12ihipStream_tbEUljE_ZNSN_ISO_Lb0ESR_SS_SU_SV_SZ_EES10_S11_S12_S13_S17_S18_S19_S1C_S1D_jS1E_jS1F_S1F_jjS1H_bEUljE0_EEES10_S11_S12_S19_S1D_S1F_T6_T7_T9_mT8_S1H_bDpT10_ENKUlT_T0_E_clISt17integral_constantIbLb1EES1U_IbLb0EEEEDaS1Q_S1R_EUlS1Q_E_NS1_11comp_targetILNS1_3genE10ELNS1_11target_archE1200ELNS1_3gpuE4ELNS1_3repE0EEENS1_30default_config_static_selectorELNS0_4arch9wavefront6targetE1EEEvS13_.kd
    .uniform_work_group_size: 1
    .uses_dynamic_stack: false
    .vgpr_count:     0
    .vgpr_spill_count: 0
    .wavefront_size: 64
  - .agpr_count:     0
    .args:
      - .offset:         0
        .size:           176
        .value_kind:     by_value
    .group_segment_fixed_size: 0
    .kernarg_segment_align: 8
    .kernarg_segment_size: 176
    .language:       OpenCL C
    .language_version:
      - 2
      - 0
    .max_flat_workgroup_size: 256
    .name:           _ZN7rocprim17ROCPRIM_400000_NS6detail17trampoline_kernelINS0_13select_configILj256ELj13ELNS0_17block_load_methodE3ELS4_3ELS4_3ELNS0_20block_scan_algorithmE0ELj4294967295EEENS1_25partition_config_selectorILNS1_17partition_subalgoE4EjNS0_10empty_typeEbEEZZNS1_14partition_implILS8_4ELb0ES6_15HIP_vector_typeIjLj2EENS0_17counting_iteratorIjlEEPS9_SG_NS0_5tupleIJPjSI_NS0_16reverse_iteratorISI_EEEEENSH_IJSG_SG_SG_EEES9_SI_JZNS1_25segmented_radix_sort_implINS0_14default_configELb0EPK12hip_bfloat16PSP_PKlPlN2at6native12_GLOBAL__N_18offset_tEEE10hipError_tPvRmT1_PNSt15iterator_traitsIS13_E10value_typeET2_T3_PNS14_IS19_E10value_typeET4_jRbjT5_S1F_jjP12ihipStream_tbEUljE_ZNSN_ISO_Lb0ESR_SS_SU_SV_SZ_EES10_S11_S12_S13_S17_S18_S19_S1C_S1D_jS1E_jS1F_S1F_jjS1H_bEUljE0_EEES10_S11_S12_S19_S1D_S1F_T6_T7_T9_mT8_S1H_bDpT10_ENKUlT_T0_E_clISt17integral_constantIbLb1EES1U_IbLb0EEEEDaS1Q_S1R_EUlS1Q_E_NS1_11comp_targetILNS1_3genE9ELNS1_11target_archE1100ELNS1_3gpuE3ELNS1_3repE0EEENS1_30default_config_static_selectorELNS0_4arch9wavefront6targetE1EEEvS13_
    .private_segment_fixed_size: 0
    .sgpr_count:     4
    .sgpr_spill_count: 0
    .symbol:         _ZN7rocprim17ROCPRIM_400000_NS6detail17trampoline_kernelINS0_13select_configILj256ELj13ELNS0_17block_load_methodE3ELS4_3ELS4_3ELNS0_20block_scan_algorithmE0ELj4294967295EEENS1_25partition_config_selectorILNS1_17partition_subalgoE4EjNS0_10empty_typeEbEEZZNS1_14partition_implILS8_4ELb0ES6_15HIP_vector_typeIjLj2EENS0_17counting_iteratorIjlEEPS9_SG_NS0_5tupleIJPjSI_NS0_16reverse_iteratorISI_EEEEENSH_IJSG_SG_SG_EEES9_SI_JZNS1_25segmented_radix_sort_implINS0_14default_configELb0EPK12hip_bfloat16PSP_PKlPlN2at6native12_GLOBAL__N_18offset_tEEE10hipError_tPvRmT1_PNSt15iterator_traitsIS13_E10value_typeET2_T3_PNS14_IS19_E10value_typeET4_jRbjT5_S1F_jjP12ihipStream_tbEUljE_ZNSN_ISO_Lb0ESR_SS_SU_SV_SZ_EES10_S11_S12_S13_S17_S18_S19_S1C_S1D_jS1E_jS1F_S1F_jjS1H_bEUljE0_EEES10_S11_S12_S19_S1D_S1F_T6_T7_T9_mT8_S1H_bDpT10_ENKUlT_T0_E_clISt17integral_constantIbLb1EES1U_IbLb0EEEEDaS1Q_S1R_EUlS1Q_E_NS1_11comp_targetILNS1_3genE9ELNS1_11target_archE1100ELNS1_3gpuE3ELNS1_3repE0EEENS1_30default_config_static_selectorELNS0_4arch9wavefront6targetE1EEEvS13_.kd
    .uniform_work_group_size: 1
    .uses_dynamic_stack: false
    .vgpr_count:     0
    .vgpr_spill_count: 0
    .wavefront_size: 64
  - .agpr_count:     0
    .args:
      - .offset:         0
        .size:           176
        .value_kind:     by_value
    .group_segment_fixed_size: 0
    .kernarg_segment_align: 8
    .kernarg_segment_size: 176
    .language:       OpenCL C
    .language_version:
      - 2
      - 0
    .max_flat_workgroup_size: 256
    .name:           _ZN7rocprim17ROCPRIM_400000_NS6detail17trampoline_kernelINS0_13select_configILj256ELj13ELNS0_17block_load_methodE3ELS4_3ELS4_3ELNS0_20block_scan_algorithmE0ELj4294967295EEENS1_25partition_config_selectorILNS1_17partition_subalgoE4EjNS0_10empty_typeEbEEZZNS1_14partition_implILS8_4ELb0ES6_15HIP_vector_typeIjLj2EENS0_17counting_iteratorIjlEEPS9_SG_NS0_5tupleIJPjSI_NS0_16reverse_iteratorISI_EEEEENSH_IJSG_SG_SG_EEES9_SI_JZNS1_25segmented_radix_sort_implINS0_14default_configELb0EPK12hip_bfloat16PSP_PKlPlN2at6native12_GLOBAL__N_18offset_tEEE10hipError_tPvRmT1_PNSt15iterator_traitsIS13_E10value_typeET2_T3_PNS14_IS19_E10value_typeET4_jRbjT5_S1F_jjP12ihipStream_tbEUljE_ZNSN_ISO_Lb0ESR_SS_SU_SV_SZ_EES10_S11_S12_S13_S17_S18_S19_S1C_S1D_jS1E_jS1F_S1F_jjS1H_bEUljE0_EEES10_S11_S12_S19_S1D_S1F_T6_T7_T9_mT8_S1H_bDpT10_ENKUlT_T0_E_clISt17integral_constantIbLb1EES1U_IbLb0EEEEDaS1Q_S1R_EUlS1Q_E_NS1_11comp_targetILNS1_3genE8ELNS1_11target_archE1030ELNS1_3gpuE2ELNS1_3repE0EEENS1_30default_config_static_selectorELNS0_4arch9wavefront6targetE1EEEvS13_
    .private_segment_fixed_size: 0
    .sgpr_count:     4
    .sgpr_spill_count: 0
    .symbol:         _ZN7rocprim17ROCPRIM_400000_NS6detail17trampoline_kernelINS0_13select_configILj256ELj13ELNS0_17block_load_methodE3ELS4_3ELS4_3ELNS0_20block_scan_algorithmE0ELj4294967295EEENS1_25partition_config_selectorILNS1_17partition_subalgoE4EjNS0_10empty_typeEbEEZZNS1_14partition_implILS8_4ELb0ES6_15HIP_vector_typeIjLj2EENS0_17counting_iteratorIjlEEPS9_SG_NS0_5tupleIJPjSI_NS0_16reverse_iteratorISI_EEEEENSH_IJSG_SG_SG_EEES9_SI_JZNS1_25segmented_radix_sort_implINS0_14default_configELb0EPK12hip_bfloat16PSP_PKlPlN2at6native12_GLOBAL__N_18offset_tEEE10hipError_tPvRmT1_PNSt15iterator_traitsIS13_E10value_typeET2_T3_PNS14_IS19_E10value_typeET4_jRbjT5_S1F_jjP12ihipStream_tbEUljE_ZNSN_ISO_Lb0ESR_SS_SU_SV_SZ_EES10_S11_S12_S13_S17_S18_S19_S1C_S1D_jS1E_jS1F_S1F_jjS1H_bEUljE0_EEES10_S11_S12_S19_S1D_S1F_T6_T7_T9_mT8_S1H_bDpT10_ENKUlT_T0_E_clISt17integral_constantIbLb1EES1U_IbLb0EEEEDaS1Q_S1R_EUlS1Q_E_NS1_11comp_targetILNS1_3genE8ELNS1_11target_archE1030ELNS1_3gpuE2ELNS1_3repE0EEENS1_30default_config_static_selectorELNS0_4arch9wavefront6targetE1EEEvS13_.kd
    .uniform_work_group_size: 1
    .uses_dynamic_stack: false
    .vgpr_count:     0
    .vgpr_spill_count: 0
    .wavefront_size: 64
  - .agpr_count:     0
    .args:
      - .offset:         0
        .size:           184
        .value_kind:     by_value
    .group_segment_fixed_size: 0
    .kernarg_segment_align: 8
    .kernarg_segment_size: 184
    .language:       OpenCL C
    .language_version:
      - 2
      - 0
    .max_flat_workgroup_size: 256
    .name:           _ZN7rocprim17ROCPRIM_400000_NS6detail17trampoline_kernelINS0_13select_configILj256ELj13ELNS0_17block_load_methodE3ELS4_3ELS4_3ELNS0_20block_scan_algorithmE0ELj4294967295EEENS1_25partition_config_selectorILNS1_17partition_subalgoE4EjNS0_10empty_typeEbEEZZNS1_14partition_implILS8_4ELb0ES6_15HIP_vector_typeIjLj2EENS0_17counting_iteratorIjlEEPS9_SG_NS0_5tupleIJPjSI_NS0_16reverse_iteratorISI_EEEEENSH_IJSG_SG_SG_EEES9_SI_JZNS1_25segmented_radix_sort_implINS0_14default_configELb0EPK12hip_bfloat16PSP_PKlPlN2at6native12_GLOBAL__N_18offset_tEEE10hipError_tPvRmT1_PNSt15iterator_traitsIS13_E10value_typeET2_T3_PNS14_IS19_E10value_typeET4_jRbjT5_S1F_jjP12ihipStream_tbEUljE_ZNSN_ISO_Lb0ESR_SS_SU_SV_SZ_EES10_S11_S12_S13_S17_S18_S19_S1C_S1D_jS1E_jS1F_S1F_jjS1H_bEUljE0_EEES10_S11_S12_S19_S1D_S1F_T6_T7_T9_mT8_S1H_bDpT10_ENKUlT_T0_E_clISt17integral_constantIbLb0EES1U_IbLb1EEEEDaS1Q_S1R_EUlS1Q_E_NS1_11comp_targetILNS1_3genE0ELNS1_11target_archE4294967295ELNS1_3gpuE0ELNS1_3repE0EEENS1_30default_config_static_selectorELNS0_4arch9wavefront6targetE1EEEvS13_
    .private_segment_fixed_size: 0
    .sgpr_count:     4
    .sgpr_spill_count: 0
    .symbol:         _ZN7rocprim17ROCPRIM_400000_NS6detail17trampoline_kernelINS0_13select_configILj256ELj13ELNS0_17block_load_methodE3ELS4_3ELS4_3ELNS0_20block_scan_algorithmE0ELj4294967295EEENS1_25partition_config_selectorILNS1_17partition_subalgoE4EjNS0_10empty_typeEbEEZZNS1_14partition_implILS8_4ELb0ES6_15HIP_vector_typeIjLj2EENS0_17counting_iteratorIjlEEPS9_SG_NS0_5tupleIJPjSI_NS0_16reverse_iteratorISI_EEEEENSH_IJSG_SG_SG_EEES9_SI_JZNS1_25segmented_radix_sort_implINS0_14default_configELb0EPK12hip_bfloat16PSP_PKlPlN2at6native12_GLOBAL__N_18offset_tEEE10hipError_tPvRmT1_PNSt15iterator_traitsIS13_E10value_typeET2_T3_PNS14_IS19_E10value_typeET4_jRbjT5_S1F_jjP12ihipStream_tbEUljE_ZNSN_ISO_Lb0ESR_SS_SU_SV_SZ_EES10_S11_S12_S13_S17_S18_S19_S1C_S1D_jS1E_jS1F_S1F_jjS1H_bEUljE0_EEES10_S11_S12_S19_S1D_S1F_T6_T7_T9_mT8_S1H_bDpT10_ENKUlT_T0_E_clISt17integral_constantIbLb0EES1U_IbLb1EEEEDaS1Q_S1R_EUlS1Q_E_NS1_11comp_targetILNS1_3genE0ELNS1_11target_archE4294967295ELNS1_3gpuE0ELNS1_3repE0EEENS1_30default_config_static_selectorELNS0_4arch9wavefront6targetE1EEEvS13_.kd
    .uniform_work_group_size: 1
    .uses_dynamic_stack: false
    .vgpr_count:     0
    .vgpr_spill_count: 0
    .wavefront_size: 64
  - .agpr_count:     0
    .args:
      - .offset:         0
        .size:           184
        .value_kind:     by_value
    .group_segment_fixed_size: 0
    .kernarg_segment_align: 8
    .kernarg_segment_size: 184
    .language:       OpenCL C
    .language_version:
      - 2
      - 0
    .max_flat_workgroup_size: 256
    .name:           _ZN7rocprim17ROCPRIM_400000_NS6detail17trampoline_kernelINS0_13select_configILj256ELj13ELNS0_17block_load_methodE3ELS4_3ELS4_3ELNS0_20block_scan_algorithmE0ELj4294967295EEENS1_25partition_config_selectorILNS1_17partition_subalgoE4EjNS0_10empty_typeEbEEZZNS1_14partition_implILS8_4ELb0ES6_15HIP_vector_typeIjLj2EENS0_17counting_iteratorIjlEEPS9_SG_NS0_5tupleIJPjSI_NS0_16reverse_iteratorISI_EEEEENSH_IJSG_SG_SG_EEES9_SI_JZNS1_25segmented_radix_sort_implINS0_14default_configELb0EPK12hip_bfloat16PSP_PKlPlN2at6native12_GLOBAL__N_18offset_tEEE10hipError_tPvRmT1_PNSt15iterator_traitsIS13_E10value_typeET2_T3_PNS14_IS19_E10value_typeET4_jRbjT5_S1F_jjP12ihipStream_tbEUljE_ZNSN_ISO_Lb0ESR_SS_SU_SV_SZ_EES10_S11_S12_S13_S17_S18_S19_S1C_S1D_jS1E_jS1F_S1F_jjS1H_bEUljE0_EEES10_S11_S12_S19_S1D_S1F_T6_T7_T9_mT8_S1H_bDpT10_ENKUlT_T0_E_clISt17integral_constantIbLb0EES1U_IbLb1EEEEDaS1Q_S1R_EUlS1Q_E_NS1_11comp_targetILNS1_3genE5ELNS1_11target_archE942ELNS1_3gpuE9ELNS1_3repE0EEENS1_30default_config_static_selectorELNS0_4arch9wavefront6targetE1EEEvS13_
    .private_segment_fixed_size: 0
    .sgpr_count:     4
    .sgpr_spill_count: 0
    .symbol:         _ZN7rocprim17ROCPRIM_400000_NS6detail17trampoline_kernelINS0_13select_configILj256ELj13ELNS0_17block_load_methodE3ELS4_3ELS4_3ELNS0_20block_scan_algorithmE0ELj4294967295EEENS1_25partition_config_selectorILNS1_17partition_subalgoE4EjNS0_10empty_typeEbEEZZNS1_14partition_implILS8_4ELb0ES6_15HIP_vector_typeIjLj2EENS0_17counting_iteratorIjlEEPS9_SG_NS0_5tupleIJPjSI_NS0_16reverse_iteratorISI_EEEEENSH_IJSG_SG_SG_EEES9_SI_JZNS1_25segmented_radix_sort_implINS0_14default_configELb0EPK12hip_bfloat16PSP_PKlPlN2at6native12_GLOBAL__N_18offset_tEEE10hipError_tPvRmT1_PNSt15iterator_traitsIS13_E10value_typeET2_T3_PNS14_IS19_E10value_typeET4_jRbjT5_S1F_jjP12ihipStream_tbEUljE_ZNSN_ISO_Lb0ESR_SS_SU_SV_SZ_EES10_S11_S12_S13_S17_S18_S19_S1C_S1D_jS1E_jS1F_S1F_jjS1H_bEUljE0_EEES10_S11_S12_S19_S1D_S1F_T6_T7_T9_mT8_S1H_bDpT10_ENKUlT_T0_E_clISt17integral_constantIbLb0EES1U_IbLb1EEEEDaS1Q_S1R_EUlS1Q_E_NS1_11comp_targetILNS1_3genE5ELNS1_11target_archE942ELNS1_3gpuE9ELNS1_3repE0EEENS1_30default_config_static_selectorELNS0_4arch9wavefront6targetE1EEEvS13_.kd
    .uniform_work_group_size: 1
    .uses_dynamic_stack: false
    .vgpr_count:     0
    .vgpr_spill_count: 0
    .wavefront_size: 64
  - .agpr_count:     0
    .args:
      - .offset:         0
        .size:           184
        .value_kind:     by_value
    .group_segment_fixed_size: 13340
    .kernarg_segment_align: 8
    .kernarg_segment_size: 184
    .language:       OpenCL C
    .language_version:
      - 2
      - 0
    .max_flat_workgroup_size: 256
    .name:           _ZN7rocprim17ROCPRIM_400000_NS6detail17trampoline_kernelINS0_13select_configILj256ELj13ELNS0_17block_load_methodE3ELS4_3ELS4_3ELNS0_20block_scan_algorithmE0ELj4294967295EEENS1_25partition_config_selectorILNS1_17partition_subalgoE4EjNS0_10empty_typeEbEEZZNS1_14partition_implILS8_4ELb0ES6_15HIP_vector_typeIjLj2EENS0_17counting_iteratorIjlEEPS9_SG_NS0_5tupleIJPjSI_NS0_16reverse_iteratorISI_EEEEENSH_IJSG_SG_SG_EEES9_SI_JZNS1_25segmented_radix_sort_implINS0_14default_configELb0EPK12hip_bfloat16PSP_PKlPlN2at6native12_GLOBAL__N_18offset_tEEE10hipError_tPvRmT1_PNSt15iterator_traitsIS13_E10value_typeET2_T3_PNS14_IS19_E10value_typeET4_jRbjT5_S1F_jjP12ihipStream_tbEUljE_ZNSN_ISO_Lb0ESR_SS_SU_SV_SZ_EES10_S11_S12_S13_S17_S18_S19_S1C_S1D_jS1E_jS1F_S1F_jjS1H_bEUljE0_EEES10_S11_S12_S19_S1D_S1F_T6_T7_T9_mT8_S1H_bDpT10_ENKUlT_T0_E_clISt17integral_constantIbLb0EES1U_IbLb1EEEEDaS1Q_S1R_EUlS1Q_E_NS1_11comp_targetILNS1_3genE4ELNS1_11target_archE910ELNS1_3gpuE8ELNS1_3repE0EEENS1_30default_config_static_selectorELNS0_4arch9wavefront6targetE1EEEvS13_
    .private_segment_fixed_size: 0
    .sgpr_count:     91
    .sgpr_spill_count: 0
    .symbol:         _ZN7rocprim17ROCPRIM_400000_NS6detail17trampoline_kernelINS0_13select_configILj256ELj13ELNS0_17block_load_methodE3ELS4_3ELS4_3ELNS0_20block_scan_algorithmE0ELj4294967295EEENS1_25partition_config_selectorILNS1_17partition_subalgoE4EjNS0_10empty_typeEbEEZZNS1_14partition_implILS8_4ELb0ES6_15HIP_vector_typeIjLj2EENS0_17counting_iteratorIjlEEPS9_SG_NS0_5tupleIJPjSI_NS0_16reverse_iteratorISI_EEEEENSH_IJSG_SG_SG_EEES9_SI_JZNS1_25segmented_radix_sort_implINS0_14default_configELb0EPK12hip_bfloat16PSP_PKlPlN2at6native12_GLOBAL__N_18offset_tEEE10hipError_tPvRmT1_PNSt15iterator_traitsIS13_E10value_typeET2_T3_PNS14_IS19_E10value_typeET4_jRbjT5_S1F_jjP12ihipStream_tbEUljE_ZNSN_ISO_Lb0ESR_SS_SU_SV_SZ_EES10_S11_S12_S13_S17_S18_S19_S1C_S1D_jS1E_jS1F_S1F_jjS1H_bEUljE0_EEES10_S11_S12_S19_S1D_S1F_T6_T7_T9_mT8_S1H_bDpT10_ENKUlT_T0_E_clISt17integral_constantIbLb0EES1U_IbLb1EEEEDaS1Q_S1R_EUlS1Q_E_NS1_11comp_targetILNS1_3genE4ELNS1_11target_archE910ELNS1_3gpuE8ELNS1_3repE0EEENS1_30default_config_static_selectorELNS0_4arch9wavefront6targetE1EEEvS13_.kd
    .uniform_work_group_size: 1
    .uses_dynamic_stack: false
    .vgpr_count:     107
    .vgpr_spill_count: 0
    .wavefront_size: 64
  - .agpr_count:     0
    .args:
      - .offset:         0
        .size:           184
        .value_kind:     by_value
    .group_segment_fixed_size: 0
    .kernarg_segment_align: 8
    .kernarg_segment_size: 184
    .language:       OpenCL C
    .language_version:
      - 2
      - 0
    .max_flat_workgroup_size: 256
    .name:           _ZN7rocprim17ROCPRIM_400000_NS6detail17trampoline_kernelINS0_13select_configILj256ELj13ELNS0_17block_load_methodE3ELS4_3ELS4_3ELNS0_20block_scan_algorithmE0ELj4294967295EEENS1_25partition_config_selectorILNS1_17partition_subalgoE4EjNS0_10empty_typeEbEEZZNS1_14partition_implILS8_4ELb0ES6_15HIP_vector_typeIjLj2EENS0_17counting_iteratorIjlEEPS9_SG_NS0_5tupleIJPjSI_NS0_16reverse_iteratorISI_EEEEENSH_IJSG_SG_SG_EEES9_SI_JZNS1_25segmented_radix_sort_implINS0_14default_configELb0EPK12hip_bfloat16PSP_PKlPlN2at6native12_GLOBAL__N_18offset_tEEE10hipError_tPvRmT1_PNSt15iterator_traitsIS13_E10value_typeET2_T3_PNS14_IS19_E10value_typeET4_jRbjT5_S1F_jjP12ihipStream_tbEUljE_ZNSN_ISO_Lb0ESR_SS_SU_SV_SZ_EES10_S11_S12_S13_S17_S18_S19_S1C_S1D_jS1E_jS1F_S1F_jjS1H_bEUljE0_EEES10_S11_S12_S19_S1D_S1F_T6_T7_T9_mT8_S1H_bDpT10_ENKUlT_T0_E_clISt17integral_constantIbLb0EES1U_IbLb1EEEEDaS1Q_S1R_EUlS1Q_E_NS1_11comp_targetILNS1_3genE3ELNS1_11target_archE908ELNS1_3gpuE7ELNS1_3repE0EEENS1_30default_config_static_selectorELNS0_4arch9wavefront6targetE1EEEvS13_
    .private_segment_fixed_size: 0
    .sgpr_count:     4
    .sgpr_spill_count: 0
    .symbol:         _ZN7rocprim17ROCPRIM_400000_NS6detail17trampoline_kernelINS0_13select_configILj256ELj13ELNS0_17block_load_methodE3ELS4_3ELS4_3ELNS0_20block_scan_algorithmE0ELj4294967295EEENS1_25partition_config_selectorILNS1_17partition_subalgoE4EjNS0_10empty_typeEbEEZZNS1_14partition_implILS8_4ELb0ES6_15HIP_vector_typeIjLj2EENS0_17counting_iteratorIjlEEPS9_SG_NS0_5tupleIJPjSI_NS0_16reverse_iteratorISI_EEEEENSH_IJSG_SG_SG_EEES9_SI_JZNS1_25segmented_radix_sort_implINS0_14default_configELb0EPK12hip_bfloat16PSP_PKlPlN2at6native12_GLOBAL__N_18offset_tEEE10hipError_tPvRmT1_PNSt15iterator_traitsIS13_E10value_typeET2_T3_PNS14_IS19_E10value_typeET4_jRbjT5_S1F_jjP12ihipStream_tbEUljE_ZNSN_ISO_Lb0ESR_SS_SU_SV_SZ_EES10_S11_S12_S13_S17_S18_S19_S1C_S1D_jS1E_jS1F_S1F_jjS1H_bEUljE0_EEES10_S11_S12_S19_S1D_S1F_T6_T7_T9_mT8_S1H_bDpT10_ENKUlT_T0_E_clISt17integral_constantIbLb0EES1U_IbLb1EEEEDaS1Q_S1R_EUlS1Q_E_NS1_11comp_targetILNS1_3genE3ELNS1_11target_archE908ELNS1_3gpuE7ELNS1_3repE0EEENS1_30default_config_static_selectorELNS0_4arch9wavefront6targetE1EEEvS13_.kd
    .uniform_work_group_size: 1
    .uses_dynamic_stack: false
    .vgpr_count:     0
    .vgpr_spill_count: 0
    .wavefront_size: 64
  - .agpr_count:     0
    .args:
      - .offset:         0
        .size:           184
        .value_kind:     by_value
    .group_segment_fixed_size: 0
    .kernarg_segment_align: 8
    .kernarg_segment_size: 184
    .language:       OpenCL C
    .language_version:
      - 2
      - 0
    .max_flat_workgroup_size: 256
    .name:           _ZN7rocprim17ROCPRIM_400000_NS6detail17trampoline_kernelINS0_13select_configILj256ELj13ELNS0_17block_load_methodE3ELS4_3ELS4_3ELNS0_20block_scan_algorithmE0ELj4294967295EEENS1_25partition_config_selectorILNS1_17partition_subalgoE4EjNS0_10empty_typeEbEEZZNS1_14partition_implILS8_4ELb0ES6_15HIP_vector_typeIjLj2EENS0_17counting_iteratorIjlEEPS9_SG_NS0_5tupleIJPjSI_NS0_16reverse_iteratorISI_EEEEENSH_IJSG_SG_SG_EEES9_SI_JZNS1_25segmented_radix_sort_implINS0_14default_configELb0EPK12hip_bfloat16PSP_PKlPlN2at6native12_GLOBAL__N_18offset_tEEE10hipError_tPvRmT1_PNSt15iterator_traitsIS13_E10value_typeET2_T3_PNS14_IS19_E10value_typeET4_jRbjT5_S1F_jjP12ihipStream_tbEUljE_ZNSN_ISO_Lb0ESR_SS_SU_SV_SZ_EES10_S11_S12_S13_S17_S18_S19_S1C_S1D_jS1E_jS1F_S1F_jjS1H_bEUljE0_EEES10_S11_S12_S19_S1D_S1F_T6_T7_T9_mT8_S1H_bDpT10_ENKUlT_T0_E_clISt17integral_constantIbLb0EES1U_IbLb1EEEEDaS1Q_S1R_EUlS1Q_E_NS1_11comp_targetILNS1_3genE2ELNS1_11target_archE906ELNS1_3gpuE6ELNS1_3repE0EEENS1_30default_config_static_selectorELNS0_4arch9wavefront6targetE1EEEvS13_
    .private_segment_fixed_size: 0
    .sgpr_count:     4
    .sgpr_spill_count: 0
    .symbol:         _ZN7rocprim17ROCPRIM_400000_NS6detail17trampoline_kernelINS0_13select_configILj256ELj13ELNS0_17block_load_methodE3ELS4_3ELS4_3ELNS0_20block_scan_algorithmE0ELj4294967295EEENS1_25partition_config_selectorILNS1_17partition_subalgoE4EjNS0_10empty_typeEbEEZZNS1_14partition_implILS8_4ELb0ES6_15HIP_vector_typeIjLj2EENS0_17counting_iteratorIjlEEPS9_SG_NS0_5tupleIJPjSI_NS0_16reverse_iteratorISI_EEEEENSH_IJSG_SG_SG_EEES9_SI_JZNS1_25segmented_radix_sort_implINS0_14default_configELb0EPK12hip_bfloat16PSP_PKlPlN2at6native12_GLOBAL__N_18offset_tEEE10hipError_tPvRmT1_PNSt15iterator_traitsIS13_E10value_typeET2_T3_PNS14_IS19_E10value_typeET4_jRbjT5_S1F_jjP12ihipStream_tbEUljE_ZNSN_ISO_Lb0ESR_SS_SU_SV_SZ_EES10_S11_S12_S13_S17_S18_S19_S1C_S1D_jS1E_jS1F_S1F_jjS1H_bEUljE0_EEES10_S11_S12_S19_S1D_S1F_T6_T7_T9_mT8_S1H_bDpT10_ENKUlT_T0_E_clISt17integral_constantIbLb0EES1U_IbLb1EEEEDaS1Q_S1R_EUlS1Q_E_NS1_11comp_targetILNS1_3genE2ELNS1_11target_archE906ELNS1_3gpuE6ELNS1_3repE0EEENS1_30default_config_static_selectorELNS0_4arch9wavefront6targetE1EEEvS13_.kd
    .uniform_work_group_size: 1
    .uses_dynamic_stack: false
    .vgpr_count:     0
    .vgpr_spill_count: 0
    .wavefront_size: 64
  - .agpr_count:     0
    .args:
      - .offset:         0
        .size:           184
        .value_kind:     by_value
    .group_segment_fixed_size: 0
    .kernarg_segment_align: 8
    .kernarg_segment_size: 184
    .language:       OpenCL C
    .language_version:
      - 2
      - 0
    .max_flat_workgroup_size: 256
    .name:           _ZN7rocprim17ROCPRIM_400000_NS6detail17trampoline_kernelINS0_13select_configILj256ELj13ELNS0_17block_load_methodE3ELS4_3ELS4_3ELNS0_20block_scan_algorithmE0ELj4294967295EEENS1_25partition_config_selectorILNS1_17partition_subalgoE4EjNS0_10empty_typeEbEEZZNS1_14partition_implILS8_4ELb0ES6_15HIP_vector_typeIjLj2EENS0_17counting_iteratorIjlEEPS9_SG_NS0_5tupleIJPjSI_NS0_16reverse_iteratorISI_EEEEENSH_IJSG_SG_SG_EEES9_SI_JZNS1_25segmented_radix_sort_implINS0_14default_configELb0EPK12hip_bfloat16PSP_PKlPlN2at6native12_GLOBAL__N_18offset_tEEE10hipError_tPvRmT1_PNSt15iterator_traitsIS13_E10value_typeET2_T3_PNS14_IS19_E10value_typeET4_jRbjT5_S1F_jjP12ihipStream_tbEUljE_ZNSN_ISO_Lb0ESR_SS_SU_SV_SZ_EES10_S11_S12_S13_S17_S18_S19_S1C_S1D_jS1E_jS1F_S1F_jjS1H_bEUljE0_EEES10_S11_S12_S19_S1D_S1F_T6_T7_T9_mT8_S1H_bDpT10_ENKUlT_T0_E_clISt17integral_constantIbLb0EES1U_IbLb1EEEEDaS1Q_S1R_EUlS1Q_E_NS1_11comp_targetILNS1_3genE10ELNS1_11target_archE1200ELNS1_3gpuE4ELNS1_3repE0EEENS1_30default_config_static_selectorELNS0_4arch9wavefront6targetE1EEEvS13_
    .private_segment_fixed_size: 0
    .sgpr_count:     4
    .sgpr_spill_count: 0
    .symbol:         _ZN7rocprim17ROCPRIM_400000_NS6detail17trampoline_kernelINS0_13select_configILj256ELj13ELNS0_17block_load_methodE3ELS4_3ELS4_3ELNS0_20block_scan_algorithmE0ELj4294967295EEENS1_25partition_config_selectorILNS1_17partition_subalgoE4EjNS0_10empty_typeEbEEZZNS1_14partition_implILS8_4ELb0ES6_15HIP_vector_typeIjLj2EENS0_17counting_iteratorIjlEEPS9_SG_NS0_5tupleIJPjSI_NS0_16reverse_iteratorISI_EEEEENSH_IJSG_SG_SG_EEES9_SI_JZNS1_25segmented_radix_sort_implINS0_14default_configELb0EPK12hip_bfloat16PSP_PKlPlN2at6native12_GLOBAL__N_18offset_tEEE10hipError_tPvRmT1_PNSt15iterator_traitsIS13_E10value_typeET2_T3_PNS14_IS19_E10value_typeET4_jRbjT5_S1F_jjP12ihipStream_tbEUljE_ZNSN_ISO_Lb0ESR_SS_SU_SV_SZ_EES10_S11_S12_S13_S17_S18_S19_S1C_S1D_jS1E_jS1F_S1F_jjS1H_bEUljE0_EEES10_S11_S12_S19_S1D_S1F_T6_T7_T9_mT8_S1H_bDpT10_ENKUlT_T0_E_clISt17integral_constantIbLb0EES1U_IbLb1EEEEDaS1Q_S1R_EUlS1Q_E_NS1_11comp_targetILNS1_3genE10ELNS1_11target_archE1200ELNS1_3gpuE4ELNS1_3repE0EEENS1_30default_config_static_selectorELNS0_4arch9wavefront6targetE1EEEvS13_.kd
    .uniform_work_group_size: 1
    .uses_dynamic_stack: false
    .vgpr_count:     0
    .vgpr_spill_count: 0
    .wavefront_size: 64
  - .agpr_count:     0
    .args:
      - .offset:         0
        .size:           184
        .value_kind:     by_value
    .group_segment_fixed_size: 0
    .kernarg_segment_align: 8
    .kernarg_segment_size: 184
    .language:       OpenCL C
    .language_version:
      - 2
      - 0
    .max_flat_workgroup_size: 256
    .name:           _ZN7rocprim17ROCPRIM_400000_NS6detail17trampoline_kernelINS0_13select_configILj256ELj13ELNS0_17block_load_methodE3ELS4_3ELS4_3ELNS0_20block_scan_algorithmE0ELj4294967295EEENS1_25partition_config_selectorILNS1_17partition_subalgoE4EjNS0_10empty_typeEbEEZZNS1_14partition_implILS8_4ELb0ES6_15HIP_vector_typeIjLj2EENS0_17counting_iteratorIjlEEPS9_SG_NS0_5tupleIJPjSI_NS0_16reverse_iteratorISI_EEEEENSH_IJSG_SG_SG_EEES9_SI_JZNS1_25segmented_radix_sort_implINS0_14default_configELb0EPK12hip_bfloat16PSP_PKlPlN2at6native12_GLOBAL__N_18offset_tEEE10hipError_tPvRmT1_PNSt15iterator_traitsIS13_E10value_typeET2_T3_PNS14_IS19_E10value_typeET4_jRbjT5_S1F_jjP12ihipStream_tbEUljE_ZNSN_ISO_Lb0ESR_SS_SU_SV_SZ_EES10_S11_S12_S13_S17_S18_S19_S1C_S1D_jS1E_jS1F_S1F_jjS1H_bEUljE0_EEES10_S11_S12_S19_S1D_S1F_T6_T7_T9_mT8_S1H_bDpT10_ENKUlT_T0_E_clISt17integral_constantIbLb0EES1U_IbLb1EEEEDaS1Q_S1R_EUlS1Q_E_NS1_11comp_targetILNS1_3genE9ELNS1_11target_archE1100ELNS1_3gpuE3ELNS1_3repE0EEENS1_30default_config_static_selectorELNS0_4arch9wavefront6targetE1EEEvS13_
    .private_segment_fixed_size: 0
    .sgpr_count:     4
    .sgpr_spill_count: 0
    .symbol:         _ZN7rocprim17ROCPRIM_400000_NS6detail17trampoline_kernelINS0_13select_configILj256ELj13ELNS0_17block_load_methodE3ELS4_3ELS4_3ELNS0_20block_scan_algorithmE0ELj4294967295EEENS1_25partition_config_selectorILNS1_17partition_subalgoE4EjNS0_10empty_typeEbEEZZNS1_14partition_implILS8_4ELb0ES6_15HIP_vector_typeIjLj2EENS0_17counting_iteratorIjlEEPS9_SG_NS0_5tupleIJPjSI_NS0_16reverse_iteratorISI_EEEEENSH_IJSG_SG_SG_EEES9_SI_JZNS1_25segmented_radix_sort_implINS0_14default_configELb0EPK12hip_bfloat16PSP_PKlPlN2at6native12_GLOBAL__N_18offset_tEEE10hipError_tPvRmT1_PNSt15iterator_traitsIS13_E10value_typeET2_T3_PNS14_IS19_E10value_typeET4_jRbjT5_S1F_jjP12ihipStream_tbEUljE_ZNSN_ISO_Lb0ESR_SS_SU_SV_SZ_EES10_S11_S12_S13_S17_S18_S19_S1C_S1D_jS1E_jS1F_S1F_jjS1H_bEUljE0_EEES10_S11_S12_S19_S1D_S1F_T6_T7_T9_mT8_S1H_bDpT10_ENKUlT_T0_E_clISt17integral_constantIbLb0EES1U_IbLb1EEEEDaS1Q_S1R_EUlS1Q_E_NS1_11comp_targetILNS1_3genE9ELNS1_11target_archE1100ELNS1_3gpuE3ELNS1_3repE0EEENS1_30default_config_static_selectorELNS0_4arch9wavefront6targetE1EEEvS13_.kd
    .uniform_work_group_size: 1
    .uses_dynamic_stack: false
    .vgpr_count:     0
    .vgpr_spill_count: 0
    .wavefront_size: 64
  - .agpr_count:     0
    .args:
      - .offset:         0
        .size:           184
        .value_kind:     by_value
    .group_segment_fixed_size: 0
    .kernarg_segment_align: 8
    .kernarg_segment_size: 184
    .language:       OpenCL C
    .language_version:
      - 2
      - 0
    .max_flat_workgroup_size: 256
    .name:           _ZN7rocprim17ROCPRIM_400000_NS6detail17trampoline_kernelINS0_13select_configILj256ELj13ELNS0_17block_load_methodE3ELS4_3ELS4_3ELNS0_20block_scan_algorithmE0ELj4294967295EEENS1_25partition_config_selectorILNS1_17partition_subalgoE4EjNS0_10empty_typeEbEEZZNS1_14partition_implILS8_4ELb0ES6_15HIP_vector_typeIjLj2EENS0_17counting_iteratorIjlEEPS9_SG_NS0_5tupleIJPjSI_NS0_16reverse_iteratorISI_EEEEENSH_IJSG_SG_SG_EEES9_SI_JZNS1_25segmented_radix_sort_implINS0_14default_configELb0EPK12hip_bfloat16PSP_PKlPlN2at6native12_GLOBAL__N_18offset_tEEE10hipError_tPvRmT1_PNSt15iterator_traitsIS13_E10value_typeET2_T3_PNS14_IS19_E10value_typeET4_jRbjT5_S1F_jjP12ihipStream_tbEUljE_ZNSN_ISO_Lb0ESR_SS_SU_SV_SZ_EES10_S11_S12_S13_S17_S18_S19_S1C_S1D_jS1E_jS1F_S1F_jjS1H_bEUljE0_EEES10_S11_S12_S19_S1D_S1F_T6_T7_T9_mT8_S1H_bDpT10_ENKUlT_T0_E_clISt17integral_constantIbLb0EES1U_IbLb1EEEEDaS1Q_S1R_EUlS1Q_E_NS1_11comp_targetILNS1_3genE8ELNS1_11target_archE1030ELNS1_3gpuE2ELNS1_3repE0EEENS1_30default_config_static_selectorELNS0_4arch9wavefront6targetE1EEEvS13_
    .private_segment_fixed_size: 0
    .sgpr_count:     4
    .sgpr_spill_count: 0
    .symbol:         _ZN7rocprim17ROCPRIM_400000_NS6detail17trampoline_kernelINS0_13select_configILj256ELj13ELNS0_17block_load_methodE3ELS4_3ELS4_3ELNS0_20block_scan_algorithmE0ELj4294967295EEENS1_25partition_config_selectorILNS1_17partition_subalgoE4EjNS0_10empty_typeEbEEZZNS1_14partition_implILS8_4ELb0ES6_15HIP_vector_typeIjLj2EENS0_17counting_iteratorIjlEEPS9_SG_NS0_5tupleIJPjSI_NS0_16reverse_iteratorISI_EEEEENSH_IJSG_SG_SG_EEES9_SI_JZNS1_25segmented_radix_sort_implINS0_14default_configELb0EPK12hip_bfloat16PSP_PKlPlN2at6native12_GLOBAL__N_18offset_tEEE10hipError_tPvRmT1_PNSt15iterator_traitsIS13_E10value_typeET2_T3_PNS14_IS19_E10value_typeET4_jRbjT5_S1F_jjP12ihipStream_tbEUljE_ZNSN_ISO_Lb0ESR_SS_SU_SV_SZ_EES10_S11_S12_S13_S17_S18_S19_S1C_S1D_jS1E_jS1F_S1F_jjS1H_bEUljE0_EEES10_S11_S12_S19_S1D_S1F_T6_T7_T9_mT8_S1H_bDpT10_ENKUlT_T0_E_clISt17integral_constantIbLb0EES1U_IbLb1EEEEDaS1Q_S1R_EUlS1Q_E_NS1_11comp_targetILNS1_3genE8ELNS1_11target_archE1030ELNS1_3gpuE2ELNS1_3repE0EEENS1_30default_config_static_selectorELNS0_4arch9wavefront6targetE1EEEvS13_.kd
    .uniform_work_group_size: 1
    .uses_dynamic_stack: false
    .vgpr_count:     0
    .vgpr_spill_count: 0
    .wavefront_size: 64
  - .agpr_count:     0
    .args:
      - .offset:         0
        .size:           144
        .value_kind:     by_value
    .group_segment_fixed_size: 0
    .kernarg_segment_align: 8
    .kernarg_segment_size: 144
    .language:       OpenCL C
    .language_version:
      - 2
      - 0
    .max_flat_workgroup_size: 256
    .name:           _ZN7rocprim17ROCPRIM_400000_NS6detail17trampoline_kernelINS0_13select_configILj256ELj13ELNS0_17block_load_methodE3ELS4_3ELS4_3ELNS0_20block_scan_algorithmE0ELj4294967295EEENS1_25partition_config_selectorILNS1_17partition_subalgoE3EjNS0_10empty_typeEbEEZZNS1_14partition_implILS8_3ELb0ES6_jNS0_17counting_iteratorIjlEEPS9_SE_NS0_5tupleIJPjSE_EEENSF_IJSE_SE_EEES9_SG_JZNS1_25segmented_radix_sort_implINS0_14default_configELb0EPK12hip_bfloat16PSL_PKlPlN2at6native12_GLOBAL__N_18offset_tEEE10hipError_tPvRmT1_PNSt15iterator_traitsISZ_E10value_typeET2_T3_PNS10_IS15_E10value_typeET4_jRbjT5_S1B_jjP12ihipStream_tbEUljE_EEESW_SX_SY_S15_S19_S1B_T6_T7_T9_mT8_S1D_bDpT10_ENKUlT_T0_E_clISt17integral_constantIbLb0EES1Q_EEDaS1L_S1M_EUlS1L_E_NS1_11comp_targetILNS1_3genE0ELNS1_11target_archE4294967295ELNS1_3gpuE0ELNS1_3repE0EEENS1_30default_config_static_selectorELNS0_4arch9wavefront6targetE1EEEvSZ_
    .private_segment_fixed_size: 0
    .sgpr_count:     4
    .sgpr_spill_count: 0
    .symbol:         _ZN7rocprim17ROCPRIM_400000_NS6detail17trampoline_kernelINS0_13select_configILj256ELj13ELNS0_17block_load_methodE3ELS4_3ELS4_3ELNS0_20block_scan_algorithmE0ELj4294967295EEENS1_25partition_config_selectorILNS1_17partition_subalgoE3EjNS0_10empty_typeEbEEZZNS1_14partition_implILS8_3ELb0ES6_jNS0_17counting_iteratorIjlEEPS9_SE_NS0_5tupleIJPjSE_EEENSF_IJSE_SE_EEES9_SG_JZNS1_25segmented_radix_sort_implINS0_14default_configELb0EPK12hip_bfloat16PSL_PKlPlN2at6native12_GLOBAL__N_18offset_tEEE10hipError_tPvRmT1_PNSt15iterator_traitsISZ_E10value_typeET2_T3_PNS10_IS15_E10value_typeET4_jRbjT5_S1B_jjP12ihipStream_tbEUljE_EEESW_SX_SY_S15_S19_S1B_T6_T7_T9_mT8_S1D_bDpT10_ENKUlT_T0_E_clISt17integral_constantIbLb0EES1Q_EEDaS1L_S1M_EUlS1L_E_NS1_11comp_targetILNS1_3genE0ELNS1_11target_archE4294967295ELNS1_3gpuE0ELNS1_3repE0EEENS1_30default_config_static_selectorELNS0_4arch9wavefront6targetE1EEEvSZ_.kd
    .uniform_work_group_size: 1
    .uses_dynamic_stack: false
    .vgpr_count:     0
    .vgpr_spill_count: 0
    .wavefront_size: 64
  - .agpr_count:     0
    .args:
      - .offset:         0
        .size:           144
        .value_kind:     by_value
    .group_segment_fixed_size: 0
    .kernarg_segment_align: 8
    .kernarg_segment_size: 144
    .language:       OpenCL C
    .language_version:
      - 2
      - 0
    .max_flat_workgroup_size: 256
    .name:           _ZN7rocprim17ROCPRIM_400000_NS6detail17trampoline_kernelINS0_13select_configILj256ELj13ELNS0_17block_load_methodE3ELS4_3ELS4_3ELNS0_20block_scan_algorithmE0ELj4294967295EEENS1_25partition_config_selectorILNS1_17partition_subalgoE3EjNS0_10empty_typeEbEEZZNS1_14partition_implILS8_3ELb0ES6_jNS0_17counting_iteratorIjlEEPS9_SE_NS0_5tupleIJPjSE_EEENSF_IJSE_SE_EEES9_SG_JZNS1_25segmented_radix_sort_implINS0_14default_configELb0EPK12hip_bfloat16PSL_PKlPlN2at6native12_GLOBAL__N_18offset_tEEE10hipError_tPvRmT1_PNSt15iterator_traitsISZ_E10value_typeET2_T3_PNS10_IS15_E10value_typeET4_jRbjT5_S1B_jjP12ihipStream_tbEUljE_EEESW_SX_SY_S15_S19_S1B_T6_T7_T9_mT8_S1D_bDpT10_ENKUlT_T0_E_clISt17integral_constantIbLb0EES1Q_EEDaS1L_S1M_EUlS1L_E_NS1_11comp_targetILNS1_3genE5ELNS1_11target_archE942ELNS1_3gpuE9ELNS1_3repE0EEENS1_30default_config_static_selectorELNS0_4arch9wavefront6targetE1EEEvSZ_
    .private_segment_fixed_size: 0
    .sgpr_count:     4
    .sgpr_spill_count: 0
    .symbol:         _ZN7rocprim17ROCPRIM_400000_NS6detail17trampoline_kernelINS0_13select_configILj256ELj13ELNS0_17block_load_methodE3ELS4_3ELS4_3ELNS0_20block_scan_algorithmE0ELj4294967295EEENS1_25partition_config_selectorILNS1_17partition_subalgoE3EjNS0_10empty_typeEbEEZZNS1_14partition_implILS8_3ELb0ES6_jNS0_17counting_iteratorIjlEEPS9_SE_NS0_5tupleIJPjSE_EEENSF_IJSE_SE_EEES9_SG_JZNS1_25segmented_radix_sort_implINS0_14default_configELb0EPK12hip_bfloat16PSL_PKlPlN2at6native12_GLOBAL__N_18offset_tEEE10hipError_tPvRmT1_PNSt15iterator_traitsISZ_E10value_typeET2_T3_PNS10_IS15_E10value_typeET4_jRbjT5_S1B_jjP12ihipStream_tbEUljE_EEESW_SX_SY_S15_S19_S1B_T6_T7_T9_mT8_S1D_bDpT10_ENKUlT_T0_E_clISt17integral_constantIbLb0EES1Q_EEDaS1L_S1M_EUlS1L_E_NS1_11comp_targetILNS1_3genE5ELNS1_11target_archE942ELNS1_3gpuE9ELNS1_3repE0EEENS1_30default_config_static_selectorELNS0_4arch9wavefront6targetE1EEEvSZ_.kd
    .uniform_work_group_size: 1
    .uses_dynamic_stack: false
    .vgpr_count:     0
    .vgpr_spill_count: 0
    .wavefront_size: 64
  - .agpr_count:     0
    .args:
      - .offset:         0
        .size:           144
        .value_kind:     by_value
    .group_segment_fixed_size: 13324
    .kernarg_segment_align: 8
    .kernarg_segment_size: 144
    .language:       OpenCL C
    .language_version:
      - 2
      - 0
    .max_flat_workgroup_size: 256
    .name:           _ZN7rocprim17ROCPRIM_400000_NS6detail17trampoline_kernelINS0_13select_configILj256ELj13ELNS0_17block_load_methodE3ELS4_3ELS4_3ELNS0_20block_scan_algorithmE0ELj4294967295EEENS1_25partition_config_selectorILNS1_17partition_subalgoE3EjNS0_10empty_typeEbEEZZNS1_14partition_implILS8_3ELb0ES6_jNS0_17counting_iteratorIjlEEPS9_SE_NS0_5tupleIJPjSE_EEENSF_IJSE_SE_EEES9_SG_JZNS1_25segmented_radix_sort_implINS0_14default_configELb0EPK12hip_bfloat16PSL_PKlPlN2at6native12_GLOBAL__N_18offset_tEEE10hipError_tPvRmT1_PNSt15iterator_traitsISZ_E10value_typeET2_T3_PNS10_IS15_E10value_typeET4_jRbjT5_S1B_jjP12ihipStream_tbEUljE_EEESW_SX_SY_S15_S19_S1B_T6_T7_T9_mT8_S1D_bDpT10_ENKUlT_T0_E_clISt17integral_constantIbLb0EES1Q_EEDaS1L_S1M_EUlS1L_E_NS1_11comp_targetILNS1_3genE4ELNS1_11target_archE910ELNS1_3gpuE8ELNS1_3repE0EEENS1_30default_config_static_selectorELNS0_4arch9wavefront6targetE1EEEvSZ_
    .private_segment_fixed_size: 0
    .sgpr_count:     50
    .sgpr_spill_count: 0
    .symbol:         _ZN7rocprim17ROCPRIM_400000_NS6detail17trampoline_kernelINS0_13select_configILj256ELj13ELNS0_17block_load_methodE3ELS4_3ELS4_3ELNS0_20block_scan_algorithmE0ELj4294967295EEENS1_25partition_config_selectorILNS1_17partition_subalgoE3EjNS0_10empty_typeEbEEZZNS1_14partition_implILS8_3ELb0ES6_jNS0_17counting_iteratorIjlEEPS9_SE_NS0_5tupleIJPjSE_EEENSF_IJSE_SE_EEES9_SG_JZNS1_25segmented_radix_sort_implINS0_14default_configELb0EPK12hip_bfloat16PSL_PKlPlN2at6native12_GLOBAL__N_18offset_tEEE10hipError_tPvRmT1_PNSt15iterator_traitsISZ_E10value_typeET2_T3_PNS10_IS15_E10value_typeET4_jRbjT5_S1B_jjP12ihipStream_tbEUljE_EEESW_SX_SY_S15_S19_S1B_T6_T7_T9_mT8_S1D_bDpT10_ENKUlT_T0_E_clISt17integral_constantIbLb0EES1Q_EEDaS1L_S1M_EUlS1L_E_NS1_11comp_targetILNS1_3genE4ELNS1_11target_archE910ELNS1_3gpuE8ELNS1_3repE0EEENS1_30default_config_static_selectorELNS0_4arch9wavefront6targetE1EEEvSZ_.kd
    .uniform_work_group_size: 1
    .uses_dynamic_stack: false
    .vgpr_count:     61
    .vgpr_spill_count: 0
    .wavefront_size: 64
  - .agpr_count:     0
    .args:
      - .offset:         0
        .size:           144
        .value_kind:     by_value
    .group_segment_fixed_size: 0
    .kernarg_segment_align: 8
    .kernarg_segment_size: 144
    .language:       OpenCL C
    .language_version:
      - 2
      - 0
    .max_flat_workgroup_size: 256
    .name:           _ZN7rocprim17ROCPRIM_400000_NS6detail17trampoline_kernelINS0_13select_configILj256ELj13ELNS0_17block_load_methodE3ELS4_3ELS4_3ELNS0_20block_scan_algorithmE0ELj4294967295EEENS1_25partition_config_selectorILNS1_17partition_subalgoE3EjNS0_10empty_typeEbEEZZNS1_14partition_implILS8_3ELb0ES6_jNS0_17counting_iteratorIjlEEPS9_SE_NS0_5tupleIJPjSE_EEENSF_IJSE_SE_EEES9_SG_JZNS1_25segmented_radix_sort_implINS0_14default_configELb0EPK12hip_bfloat16PSL_PKlPlN2at6native12_GLOBAL__N_18offset_tEEE10hipError_tPvRmT1_PNSt15iterator_traitsISZ_E10value_typeET2_T3_PNS10_IS15_E10value_typeET4_jRbjT5_S1B_jjP12ihipStream_tbEUljE_EEESW_SX_SY_S15_S19_S1B_T6_T7_T9_mT8_S1D_bDpT10_ENKUlT_T0_E_clISt17integral_constantIbLb0EES1Q_EEDaS1L_S1M_EUlS1L_E_NS1_11comp_targetILNS1_3genE3ELNS1_11target_archE908ELNS1_3gpuE7ELNS1_3repE0EEENS1_30default_config_static_selectorELNS0_4arch9wavefront6targetE1EEEvSZ_
    .private_segment_fixed_size: 0
    .sgpr_count:     4
    .sgpr_spill_count: 0
    .symbol:         _ZN7rocprim17ROCPRIM_400000_NS6detail17trampoline_kernelINS0_13select_configILj256ELj13ELNS0_17block_load_methodE3ELS4_3ELS4_3ELNS0_20block_scan_algorithmE0ELj4294967295EEENS1_25partition_config_selectorILNS1_17partition_subalgoE3EjNS0_10empty_typeEbEEZZNS1_14partition_implILS8_3ELb0ES6_jNS0_17counting_iteratorIjlEEPS9_SE_NS0_5tupleIJPjSE_EEENSF_IJSE_SE_EEES9_SG_JZNS1_25segmented_radix_sort_implINS0_14default_configELb0EPK12hip_bfloat16PSL_PKlPlN2at6native12_GLOBAL__N_18offset_tEEE10hipError_tPvRmT1_PNSt15iterator_traitsISZ_E10value_typeET2_T3_PNS10_IS15_E10value_typeET4_jRbjT5_S1B_jjP12ihipStream_tbEUljE_EEESW_SX_SY_S15_S19_S1B_T6_T7_T9_mT8_S1D_bDpT10_ENKUlT_T0_E_clISt17integral_constantIbLb0EES1Q_EEDaS1L_S1M_EUlS1L_E_NS1_11comp_targetILNS1_3genE3ELNS1_11target_archE908ELNS1_3gpuE7ELNS1_3repE0EEENS1_30default_config_static_selectorELNS0_4arch9wavefront6targetE1EEEvSZ_.kd
    .uniform_work_group_size: 1
    .uses_dynamic_stack: false
    .vgpr_count:     0
    .vgpr_spill_count: 0
    .wavefront_size: 64
  - .agpr_count:     0
    .args:
      - .offset:         0
        .size:           144
        .value_kind:     by_value
    .group_segment_fixed_size: 0
    .kernarg_segment_align: 8
    .kernarg_segment_size: 144
    .language:       OpenCL C
    .language_version:
      - 2
      - 0
    .max_flat_workgroup_size: 256
    .name:           _ZN7rocprim17ROCPRIM_400000_NS6detail17trampoline_kernelINS0_13select_configILj256ELj13ELNS0_17block_load_methodE3ELS4_3ELS4_3ELNS0_20block_scan_algorithmE0ELj4294967295EEENS1_25partition_config_selectorILNS1_17partition_subalgoE3EjNS0_10empty_typeEbEEZZNS1_14partition_implILS8_3ELb0ES6_jNS0_17counting_iteratorIjlEEPS9_SE_NS0_5tupleIJPjSE_EEENSF_IJSE_SE_EEES9_SG_JZNS1_25segmented_radix_sort_implINS0_14default_configELb0EPK12hip_bfloat16PSL_PKlPlN2at6native12_GLOBAL__N_18offset_tEEE10hipError_tPvRmT1_PNSt15iterator_traitsISZ_E10value_typeET2_T3_PNS10_IS15_E10value_typeET4_jRbjT5_S1B_jjP12ihipStream_tbEUljE_EEESW_SX_SY_S15_S19_S1B_T6_T7_T9_mT8_S1D_bDpT10_ENKUlT_T0_E_clISt17integral_constantIbLb0EES1Q_EEDaS1L_S1M_EUlS1L_E_NS1_11comp_targetILNS1_3genE2ELNS1_11target_archE906ELNS1_3gpuE6ELNS1_3repE0EEENS1_30default_config_static_selectorELNS0_4arch9wavefront6targetE1EEEvSZ_
    .private_segment_fixed_size: 0
    .sgpr_count:     4
    .sgpr_spill_count: 0
    .symbol:         _ZN7rocprim17ROCPRIM_400000_NS6detail17trampoline_kernelINS0_13select_configILj256ELj13ELNS0_17block_load_methodE3ELS4_3ELS4_3ELNS0_20block_scan_algorithmE0ELj4294967295EEENS1_25partition_config_selectorILNS1_17partition_subalgoE3EjNS0_10empty_typeEbEEZZNS1_14partition_implILS8_3ELb0ES6_jNS0_17counting_iteratorIjlEEPS9_SE_NS0_5tupleIJPjSE_EEENSF_IJSE_SE_EEES9_SG_JZNS1_25segmented_radix_sort_implINS0_14default_configELb0EPK12hip_bfloat16PSL_PKlPlN2at6native12_GLOBAL__N_18offset_tEEE10hipError_tPvRmT1_PNSt15iterator_traitsISZ_E10value_typeET2_T3_PNS10_IS15_E10value_typeET4_jRbjT5_S1B_jjP12ihipStream_tbEUljE_EEESW_SX_SY_S15_S19_S1B_T6_T7_T9_mT8_S1D_bDpT10_ENKUlT_T0_E_clISt17integral_constantIbLb0EES1Q_EEDaS1L_S1M_EUlS1L_E_NS1_11comp_targetILNS1_3genE2ELNS1_11target_archE906ELNS1_3gpuE6ELNS1_3repE0EEENS1_30default_config_static_selectorELNS0_4arch9wavefront6targetE1EEEvSZ_.kd
    .uniform_work_group_size: 1
    .uses_dynamic_stack: false
    .vgpr_count:     0
    .vgpr_spill_count: 0
    .wavefront_size: 64
  - .agpr_count:     0
    .args:
      - .offset:         0
        .size:           144
        .value_kind:     by_value
    .group_segment_fixed_size: 0
    .kernarg_segment_align: 8
    .kernarg_segment_size: 144
    .language:       OpenCL C
    .language_version:
      - 2
      - 0
    .max_flat_workgroup_size: 256
    .name:           _ZN7rocprim17ROCPRIM_400000_NS6detail17trampoline_kernelINS0_13select_configILj256ELj13ELNS0_17block_load_methodE3ELS4_3ELS4_3ELNS0_20block_scan_algorithmE0ELj4294967295EEENS1_25partition_config_selectorILNS1_17partition_subalgoE3EjNS0_10empty_typeEbEEZZNS1_14partition_implILS8_3ELb0ES6_jNS0_17counting_iteratorIjlEEPS9_SE_NS0_5tupleIJPjSE_EEENSF_IJSE_SE_EEES9_SG_JZNS1_25segmented_radix_sort_implINS0_14default_configELb0EPK12hip_bfloat16PSL_PKlPlN2at6native12_GLOBAL__N_18offset_tEEE10hipError_tPvRmT1_PNSt15iterator_traitsISZ_E10value_typeET2_T3_PNS10_IS15_E10value_typeET4_jRbjT5_S1B_jjP12ihipStream_tbEUljE_EEESW_SX_SY_S15_S19_S1B_T6_T7_T9_mT8_S1D_bDpT10_ENKUlT_T0_E_clISt17integral_constantIbLb0EES1Q_EEDaS1L_S1M_EUlS1L_E_NS1_11comp_targetILNS1_3genE10ELNS1_11target_archE1200ELNS1_3gpuE4ELNS1_3repE0EEENS1_30default_config_static_selectorELNS0_4arch9wavefront6targetE1EEEvSZ_
    .private_segment_fixed_size: 0
    .sgpr_count:     4
    .sgpr_spill_count: 0
    .symbol:         _ZN7rocprim17ROCPRIM_400000_NS6detail17trampoline_kernelINS0_13select_configILj256ELj13ELNS0_17block_load_methodE3ELS4_3ELS4_3ELNS0_20block_scan_algorithmE0ELj4294967295EEENS1_25partition_config_selectorILNS1_17partition_subalgoE3EjNS0_10empty_typeEbEEZZNS1_14partition_implILS8_3ELb0ES6_jNS0_17counting_iteratorIjlEEPS9_SE_NS0_5tupleIJPjSE_EEENSF_IJSE_SE_EEES9_SG_JZNS1_25segmented_radix_sort_implINS0_14default_configELb0EPK12hip_bfloat16PSL_PKlPlN2at6native12_GLOBAL__N_18offset_tEEE10hipError_tPvRmT1_PNSt15iterator_traitsISZ_E10value_typeET2_T3_PNS10_IS15_E10value_typeET4_jRbjT5_S1B_jjP12ihipStream_tbEUljE_EEESW_SX_SY_S15_S19_S1B_T6_T7_T9_mT8_S1D_bDpT10_ENKUlT_T0_E_clISt17integral_constantIbLb0EES1Q_EEDaS1L_S1M_EUlS1L_E_NS1_11comp_targetILNS1_3genE10ELNS1_11target_archE1200ELNS1_3gpuE4ELNS1_3repE0EEENS1_30default_config_static_selectorELNS0_4arch9wavefront6targetE1EEEvSZ_.kd
    .uniform_work_group_size: 1
    .uses_dynamic_stack: false
    .vgpr_count:     0
    .vgpr_spill_count: 0
    .wavefront_size: 64
  - .agpr_count:     0
    .args:
      - .offset:         0
        .size:           144
        .value_kind:     by_value
    .group_segment_fixed_size: 0
    .kernarg_segment_align: 8
    .kernarg_segment_size: 144
    .language:       OpenCL C
    .language_version:
      - 2
      - 0
    .max_flat_workgroup_size: 256
    .name:           _ZN7rocprim17ROCPRIM_400000_NS6detail17trampoline_kernelINS0_13select_configILj256ELj13ELNS0_17block_load_methodE3ELS4_3ELS4_3ELNS0_20block_scan_algorithmE0ELj4294967295EEENS1_25partition_config_selectorILNS1_17partition_subalgoE3EjNS0_10empty_typeEbEEZZNS1_14partition_implILS8_3ELb0ES6_jNS0_17counting_iteratorIjlEEPS9_SE_NS0_5tupleIJPjSE_EEENSF_IJSE_SE_EEES9_SG_JZNS1_25segmented_radix_sort_implINS0_14default_configELb0EPK12hip_bfloat16PSL_PKlPlN2at6native12_GLOBAL__N_18offset_tEEE10hipError_tPvRmT1_PNSt15iterator_traitsISZ_E10value_typeET2_T3_PNS10_IS15_E10value_typeET4_jRbjT5_S1B_jjP12ihipStream_tbEUljE_EEESW_SX_SY_S15_S19_S1B_T6_T7_T9_mT8_S1D_bDpT10_ENKUlT_T0_E_clISt17integral_constantIbLb0EES1Q_EEDaS1L_S1M_EUlS1L_E_NS1_11comp_targetILNS1_3genE9ELNS1_11target_archE1100ELNS1_3gpuE3ELNS1_3repE0EEENS1_30default_config_static_selectorELNS0_4arch9wavefront6targetE1EEEvSZ_
    .private_segment_fixed_size: 0
    .sgpr_count:     4
    .sgpr_spill_count: 0
    .symbol:         _ZN7rocprim17ROCPRIM_400000_NS6detail17trampoline_kernelINS0_13select_configILj256ELj13ELNS0_17block_load_methodE3ELS4_3ELS4_3ELNS0_20block_scan_algorithmE0ELj4294967295EEENS1_25partition_config_selectorILNS1_17partition_subalgoE3EjNS0_10empty_typeEbEEZZNS1_14partition_implILS8_3ELb0ES6_jNS0_17counting_iteratorIjlEEPS9_SE_NS0_5tupleIJPjSE_EEENSF_IJSE_SE_EEES9_SG_JZNS1_25segmented_radix_sort_implINS0_14default_configELb0EPK12hip_bfloat16PSL_PKlPlN2at6native12_GLOBAL__N_18offset_tEEE10hipError_tPvRmT1_PNSt15iterator_traitsISZ_E10value_typeET2_T3_PNS10_IS15_E10value_typeET4_jRbjT5_S1B_jjP12ihipStream_tbEUljE_EEESW_SX_SY_S15_S19_S1B_T6_T7_T9_mT8_S1D_bDpT10_ENKUlT_T0_E_clISt17integral_constantIbLb0EES1Q_EEDaS1L_S1M_EUlS1L_E_NS1_11comp_targetILNS1_3genE9ELNS1_11target_archE1100ELNS1_3gpuE3ELNS1_3repE0EEENS1_30default_config_static_selectorELNS0_4arch9wavefront6targetE1EEEvSZ_.kd
    .uniform_work_group_size: 1
    .uses_dynamic_stack: false
    .vgpr_count:     0
    .vgpr_spill_count: 0
    .wavefront_size: 64
  - .agpr_count:     0
    .args:
      - .offset:         0
        .size:           144
        .value_kind:     by_value
    .group_segment_fixed_size: 0
    .kernarg_segment_align: 8
    .kernarg_segment_size: 144
    .language:       OpenCL C
    .language_version:
      - 2
      - 0
    .max_flat_workgroup_size: 256
    .name:           _ZN7rocprim17ROCPRIM_400000_NS6detail17trampoline_kernelINS0_13select_configILj256ELj13ELNS0_17block_load_methodE3ELS4_3ELS4_3ELNS0_20block_scan_algorithmE0ELj4294967295EEENS1_25partition_config_selectorILNS1_17partition_subalgoE3EjNS0_10empty_typeEbEEZZNS1_14partition_implILS8_3ELb0ES6_jNS0_17counting_iteratorIjlEEPS9_SE_NS0_5tupleIJPjSE_EEENSF_IJSE_SE_EEES9_SG_JZNS1_25segmented_radix_sort_implINS0_14default_configELb0EPK12hip_bfloat16PSL_PKlPlN2at6native12_GLOBAL__N_18offset_tEEE10hipError_tPvRmT1_PNSt15iterator_traitsISZ_E10value_typeET2_T3_PNS10_IS15_E10value_typeET4_jRbjT5_S1B_jjP12ihipStream_tbEUljE_EEESW_SX_SY_S15_S19_S1B_T6_T7_T9_mT8_S1D_bDpT10_ENKUlT_T0_E_clISt17integral_constantIbLb0EES1Q_EEDaS1L_S1M_EUlS1L_E_NS1_11comp_targetILNS1_3genE8ELNS1_11target_archE1030ELNS1_3gpuE2ELNS1_3repE0EEENS1_30default_config_static_selectorELNS0_4arch9wavefront6targetE1EEEvSZ_
    .private_segment_fixed_size: 0
    .sgpr_count:     4
    .sgpr_spill_count: 0
    .symbol:         _ZN7rocprim17ROCPRIM_400000_NS6detail17trampoline_kernelINS0_13select_configILj256ELj13ELNS0_17block_load_methodE3ELS4_3ELS4_3ELNS0_20block_scan_algorithmE0ELj4294967295EEENS1_25partition_config_selectorILNS1_17partition_subalgoE3EjNS0_10empty_typeEbEEZZNS1_14partition_implILS8_3ELb0ES6_jNS0_17counting_iteratorIjlEEPS9_SE_NS0_5tupleIJPjSE_EEENSF_IJSE_SE_EEES9_SG_JZNS1_25segmented_radix_sort_implINS0_14default_configELb0EPK12hip_bfloat16PSL_PKlPlN2at6native12_GLOBAL__N_18offset_tEEE10hipError_tPvRmT1_PNSt15iterator_traitsISZ_E10value_typeET2_T3_PNS10_IS15_E10value_typeET4_jRbjT5_S1B_jjP12ihipStream_tbEUljE_EEESW_SX_SY_S15_S19_S1B_T6_T7_T9_mT8_S1D_bDpT10_ENKUlT_T0_E_clISt17integral_constantIbLb0EES1Q_EEDaS1L_S1M_EUlS1L_E_NS1_11comp_targetILNS1_3genE8ELNS1_11target_archE1030ELNS1_3gpuE2ELNS1_3repE0EEENS1_30default_config_static_selectorELNS0_4arch9wavefront6targetE1EEEvSZ_.kd
    .uniform_work_group_size: 1
    .uses_dynamic_stack: false
    .vgpr_count:     0
    .vgpr_spill_count: 0
    .wavefront_size: 64
  - .agpr_count:     0
    .args:
      - .offset:         0
        .size:           152
        .value_kind:     by_value
    .group_segment_fixed_size: 0
    .kernarg_segment_align: 8
    .kernarg_segment_size: 152
    .language:       OpenCL C
    .language_version:
      - 2
      - 0
    .max_flat_workgroup_size: 256
    .name:           _ZN7rocprim17ROCPRIM_400000_NS6detail17trampoline_kernelINS0_13select_configILj256ELj13ELNS0_17block_load_methodE3ELS4_3ELS4_3ELNS0_20block_scan_algorithmE0ELj4294967295EEENS1_25partition_config_selectorILNS1_17partition_subalgoE3EjNS0_10empty_typeEbEEZZNS1_14partition_implILS8_3ELb0ES6_jNS0_17counting_iteratorIjlEEPS9_SE_NS0_5tupleIJPjSE_EEENSF_IJSE_SE_EEES9_SG_JZNS1_25segmented_radix_sort_implINS0_14default_configELb0EPK12hip_bfloat16PSL_PKlPlN2at6native12_GLOBAL__N_18offset_tEEE10hipError_tPvRmT1_PNSt15iterator_traitsISZ_E10value_typeET2_T3_PNS10_IS15_E10value_typeET4_jRbjT5_S1B_jjP12ihipStream_tbEUljE_EEESW_SX_SY_S15_S19_S1B_T6_T7_T9_mT8_S1D_bDpT10_ENKUlT_T0_E_clISt17integral_constantIbLb1EES1Q_EEDaS1L_S1M_EUlS1L_E_NS1_11comp_targetILNS1_3genE0ELNS1_11target_archE4294967295ELNS1_3gpuE0ELNS1_3repE0EEENS1_30default_config_static_selectorELNS0_4arch9wavefront6targetE1EEEvSZ_
    .private_segment_fixed_size: 0
    .sgpr_count:     4
    .sgpr_spill_count: 0
    .symbol:         _ZN7rocprim17ROCPRIM_400000_NS6detail17trampoline_kernelINS0_13select_configILj256ELj13ELNS0_17block_load_methodE3ELS4_3ELS4_3ELNS0_20block_scan_algorithmE0ELj4294967295EEENS1_25partition_config_selectorILNS1_17partition_subalgoE3EjNS0_10empty_typeEbEEZZNS1_14partition_implILS8_3ELb0ES6_jNS0_17counting_iteratorIjlEEPS9_SE_NS0_5tupleIJPjSE_EEENSF_IJSE_SE_EEES9_SG_JZNS1_25segmented_radix_sort_implINS0_14default_configELb0EPK12hip_bfloat16PSL_PKlPlN2at6native12_GLOBAL__N_18offset_tEEE10hipError_tPvRmT1_PNSt15iterator_traitsISZ_E10value_typeET2_T3_PNS10_IS15_E10value_typeET4_jRbjT5_S1B_jjP12ihipStream_tbEUljE_EEESW_SX_SY_S15_S19_S1B_T6_T7_T9_mT8_S1D_bDpT10_ENKUlT_T0_E_clISt17integral_constantIbLb1EES1Q_EEDaS1L_S1M_EUlS1L_E_NS1_11comp_targetILNS1_3genE0ELNS1_11target_archE4294967295ELNS1_3gpuE0ELNS1_3repE0EEENS1_30default_config_static_selectorELNS0_4arch9wavefront6targetE1EEEvSZ_.kd
    .uniform_work_group_size: 1
    .uses_dynamic_stack: false
    .vgpr_count:     0
    .vgpr_spill_count: 0
    .wavefront_size: 64
  - .agpr_count:     0
    .args:
      - .offset:         0
        .size:           152
        .value_kind:     by_value
    .group_segment_fixed_size: 0
    .kernarg_segment_align: 8
    .kernarg_segment_size: 152
    .language:       OpenCL C
    .language_version:
      - 2
      - 0
    .max_flat_workgroup_size: 256
    .name:           _ZN7rocprim17ROCPRIM_400000_NS6detail17trampoline_kernelINS0_13select_configILj256ELj13ELNS0_17block_load_methodE3ELS4_3ELS4_3ELNS0_20block_scan_algorithmE0ELj4294967295EEENS1_25partition_config_selectorILNS1_17partition_subalgoE3EjNS0_10empty_typeEbEEZZNS1_14partition_implILS8_3ELb0ES6_jNS0_17counting_iteratorIjlEEPS9_SE_NS0_5tupleIJPjSE_EEENSF_IJSE_SE_EEES9_SG_JZNS1_25segmented_radix_sort_implINS0_14default_configELb0EPK12hip_bfloat16PSL_PKlPlN2at6native12_GLOBAL__N_18offset_tEEE10hipError_tPvRmT1_PNSt15iterator_traitsISZ_E10value_typeET2_T3_PNS10_IS15_E10value_typeET4_jRbjT5_S1B_jjP12ihipStream_tbEUljE_EEESW_SX_SY_S15_S19_S1B_T6_T7_T9_mT8_S1D_bDpT10_ENKUlT_T0_E_clISt17integral_constantIbLb1EES1Q_EEDaS1L_S1M_EUlS1L_E_NS1_11comp_targetILNS1_3genE5ELNS1_11target_archE942ELNS1_3gpuE9ELNS1_3repE0EEENS1_30default_config_static_selectorELNS0_4arch9wavefront6targetE1EEEvSZ_
    .private_segment_fixed_size: 0
    .sgpr_count:     4
    .sgpr_spill_count: 0
    .symbol:         _ZN7rocprim17ROCPRIM_400000_NS6detail17trampoline_kernelINS0_13select_configILj256ELj13ELNS0_17block_load_methodE3ELS4_3ELS4_3ELNS0_20block_scan_algorithmE0ELj4294967295EEENS1_25partition_config_selectorILNS1_17partition_subalgoE3EjNS0_10empty_typeEbEEZZNS1_14partition_implILS8_3ELb0ES6_jNS0_17counting_iteratorIjlEEPS9_SE_NS0_5tupleIJPjSE_EEENSF_IJSE_SE_EEES9_SG_JZNS1_25segmented_radix_sort_implINS0_14default_configELb0EPK12hip_bfloat16PSL_PKlPlN2at6native12_GLOBAL__N_18offset_tEEE10hipError_tPvRmT1_PNSt15iterator_traitsISZ_E10value_typeET2_T3_PNS10_IS15_E10value_typeET4_jRbjT5_S1B_jjP12ihipStream_tbEUljE_EEESW_SX_SY_S15_S19_S1B_T6_T7_T9_mT8_S1D_bDpT10_ENKUlT_T0_E_clISt17integral_constantIbLb1EES1Q_EEDaS1L_S1M_EUlS1L_E_NS1_11comp_targetILNS1_3genE5ELNS1_11target_archE942ELNS1_3gpuE9ELNS1_3repE0EEENS1_30default_config_static_selectorELNS0_4arch9wavefront6targetE1EEEvSZ_.kd
    .uniform_work_group_size: 1
    .uses_dynamic_stack: false
    .vgpr_count:     0
    .vgpr_spill_count: 0
    .wavefront_size: 64
  - .agpr_count:     0
    .args:
      - .offset:         0
        .size:           152
        .value_kind:     by_value
    .group_segment_fixed_size: 13324
    .kernarg_segment_align: 8
    .kernarg_segment_size: 152
    .language:       OpenCL C
    .language_version:
      - 2
      - 0
    .max_flat_workgroup_size: 256
    .name:           _ZN7rocprim17ROCPRIM_400000_NS6detail17trampoline_kernelINS0_13select_configILj256ELj13ELNS0_17block_load_methodE3ELS4_3ELS4_3ELNS0_20block_scan_algorithmE0ELj4294967295EEENS1_25partition_config_selectorILNS1_17partition_subalgoE3EjNS0_10empty_typeEbEEZZNS1_14partition_implILS8_3ELb0ES6_jNS0_17counting_iteratorIjlEEPS9_SE_NS0_5tupleIJPjSE_EEENSF_IJSE_SE_EEES9_SG_JZNS1_25segmented_radix_sort_implINS0_14default_configELb0EPK12hip_bfloat16PSL_PKlPlN2at6native12_GLOBAL__N_18offset_tEEE10hipError_tPvRmT1_PNSt15iterator_traitsISZ_E10value_typeET2_T3_PNS10_IS15_E10value_typeET4_jRbjT5_S1B_jjP12ihipStream_tbEUljE_EEESW_SX_SY_S15_S19_S1B_T6_T7_T9_mT8_S1D_bDpT10_ENKUlT_T0_E_clISt17integral_constantIbLb1EES1Q_EEDaS1L_S1M_EUlS1L_E_NS1_11comp_targetILNS1_3genE4ELNS1_11target_archE910ELNS1_3gpuE8ELNS1_3repE0EEENS1_30default_config_static_selectorELNS0_4arch9wavefront6targetE1EEEvSZ_
    .private_segment_fixed_size: 0
    .sgpr_count:     48
    .sgpr_spill_count: 0
    .symbol:         _ZN7rocprim17ROCPRIM_400000_NS6detail17trampoline_kernelINS0_13select_configILj256ELj13ELNS0_17block_load_methodE3ELS4_3ELS4_3ELNS0_20block_scan_algorithmE0ELj4294967295EEENS1_25partition_config_selectorILNS1_17partition_subalgoE3EjNS0_10empty_typeEbEEZZNS1_14partition_implILS8_3ELb0ES6_jNS0_17counting_iteratorIjlEEPS9_SE_NS0_5tupleIJPjSE_EEENSF_IJSE_SE_EEES9_SG_JZNS1_25segmented_radix_sort_implINS0_14default_configELb0EPK12hip_bfloat16PSL_PKlPlN2at6native12_GLOBAL__N_18offset_tEEE10hipError_tPvRmT1_PNSt15iterator_traitsISZ_E10value_typeET2_T3_PNS10_IS15_E10value_typeET4_jRbjT5_S1B_jjP12ihipStream_tbEUljE_EEESW_SX_SY_S15_S19_S1B_T6_T7_T9_mT8_S1D_bDpT10_ENKUlT_T0_E_clISt17integral_constantIbLb1EES1Q_EEDaS1L_S1M_EUlS1L_E_NS1_11comp_targetILNS1_3genE4ELNS1_11target_archE910ELNS1_3gpuE8ELNS1_3repE0EEENS1_30default_config_static_selectorELNS0_4arch9wavefront6targetE1EEEvSZ_.kd
    .uniform_work_group_size: 1
    .uses_dynamic_stack: false
    .vgpr_count:     64
    .vgpr_spill_count: 0
    .wavefront_size: 64
  - .agpr_count:     0
    .args:
      - .offset:         0
        .size:           152
        .value_kind:     by_value
    .group_segment_fixed_size: 0
    .kernarg_segment_align: 8
    .kernarg_segment_size: 152
    .language:       OpenCL C
    .language_version:
      - 2
      - 0
    .max_flat_workgroup_size: 256
    .name:           _ZN7rocprim17ROCPRIM_400000_NS6detail17trampoline_kernelINS0_13select_configILj256ELj13ELNS0_17block_load_methodE3ELS4_3ELS4_3ELNS0_20block_scan_algorithmE0ELj4294967295EEENS1_25partition_config_selectorILNS1_17partition_subalgoE3EjNS0_10empty_typeEbEEZZNS1_14partition_implILS8_3ELb0ES6_jNS0_17counting_iteratorIjlEEPS9_SE_NS0_5tupleIJPjSE_EEENSF_IJSE_SE_EEES9_SG_JZNS1_25segmented_radix_sort_implINS0_14default_configELb0EPK12hip_bfloat16PSL_PKlPlN2at6native12_GLOBAL__N_18offset_tEEE10hipError_tPvRmT1_PNSt15iterator_traitsISZ_E10value_typeET2_T3_PNS10_IS15_E10value_typeET4_jRbjT5_S1B_jjP12ihipStream_tbEUljE_EEESW_SX_SY_S15_S19_S1B_T6_T7_T9_mT8_S1D_bDpT10_ENKUlT_T0_E_clISt17integral_constantIbLb1EES1Q_EEDaS1L_S1M_EUlS1L_E_NS1_11comp_targetILNS1_3genE3ELNS1_11target_archE908ELNS1_3gpuE7ELNS1_3repE0EEENS1_30default_config_static_selectorELNS0_4arch9wavefront6targetE1EEEvSZ_
    .private_segment_fixed_size: 0
    .sgpr_count:     4
    .sgpr_spill_count: 0
    .symbol:         _ZN7rocprim17ROCPRIM_400000_NS6detail17trampoline_kernelINS0_13select_configILj256ELj13ELNS0_17block_load_methodE3ELS4_3ELS4_3ELNS0_20block_scan_algorithmE0ELj4294967295EEENS1_25partition_config_selectorILNS1_17partition_subalgoE3EjNS0_10empty_typeEbEEZZNS1_14partition_implILS8_3ELb0ES6_jNS0_17counting_iteratorIjlEEPS9_SE_NS0_5tupleIJPjSE_EEENSF_IJSE_SE_EEES9_SG_JZNS1_25segmented_radix_sort_implINS0_14default_configELb0EPK12hip_bfloat16PSL_PKlPlN2at6native12_GLOBAL__N_18offset_tEEE10hipError_tPvRmT1_PNSt15iterator_traitsISZ_E10value_typeET2_T3_PNS10_IS15_E10value_typeET4_jRbjT5_S1B_jjP12ihipStream_tbEUljE_EEESW_SX_SY_S15_S19_S1B_T6_T7_T9_mT8_S1D_bDpT10_ENKUlT_T0_E_clISt17integral_constantIbLb1EES1Q_EEDaS1L_S1M_EUlS1L_E_NS1_11comp_targetILNS1_3genE3ELNS1_11target_archE908ELNS1_3gpuE7ELNS1_3repE0EEENS1_30default_config_static_selectorELNS0_4arch9wavefront6targetE1EEEvSZ_.kd
    .uniform_work_group_size: 1
    .uses_dynamic_stack: false
    .vgpr_count:     0
    .vgpr_spill_count: 0
    .wavefront_size: 64
  - .agpr_count:     0
    .args:
      - .offset:         0
        .size:           152
        .value_kind:     by_value
    .group_segment_fixed_size: 0
    .kernarg_segment_align: 8
    .kernarg_segment_size: 152
    .language:       OpenCL C
    .language_version:
      - 2
      - 0
    .max_flat_workgroup_size: 256
    .name:           _ZN7rocprim17ROCPRIM_400000_NS6detail17trampoline_kernelINS0_13select_configILj256ELj13ELNS0_17block_load_methodE3ELS4_3ELS4_3ELNS0_20block_scan_algorithmE0ELj4294967295EEENS1_25partition_config_selectorILNS1_17partition_subalgoE3EjNS0_10empty_typeEbEEZZNS1_14partition_implILS8_3ELb0ES6_jNS0_17counting_iteratorIjlEEPS9_SE_NS0_5tupleIJPjSE_EEENSF_IJSE_SE_EEES9_SG_JZNS1_25segmented_radix_sort_implINS0_14default_configELb0EPK12hip_bfloat16PSL_PKlPlN2at6native12_GLOBAL__N_18offset_tEEE10hipError_tPvRmT1_PNSt15iterator_traitsISZ_E10value_typeET2_T3_PNS10_IS15_E10value_typeET4_jRbjT5_S1B_jjP12ihipStream_tbEUljE_EEESW_SX_SY_S15_S19_S1B_T6_T7_T9_mT8_S1D_bDpT10_ENKUlT_T0_E_clISt17integral_constantIbLb1EES1Q_EEDaS1L_S1M_EUlS1L_E_NS1_11comp_targetILNS1_3genE2ELNS1_11target_archE906ELNS1_3gpuE6ELNS1_3repE0EEENS1_30default_config_static_selectorELNS0_4arch9wavefront6targetE1EEEvSZ_
    .private_segment_fixed_size: 0
    .sgpr_count:     4
    .sgpr_spill_count: 0
    .symbol:         _ZN7rocprim17ROCPRIM_400000_NS6detail17trampoline_kernelINS0_13select_configILj256ELj13ELNS0_17block_load_methodE3ELS4_3ELS4_3ELNS0_20block_scan_algorithmE0ELj4294967295EEENS1_25partition_config_selectorILNS1_17partition_subalgoE3EjNS0_10empty_typeEbEEZZNS1_14partition_implILS8_3ELb0ES6_jNS0_17counting_iteratorIjlEEPS9_SE_NS0_5tupleIJPjSE_EEENSF_IJSE_SE_EEES9_SG_JZNS1_25segmented_radix_sort_implINS0_14default_configELb0EPK12hip_bfloat16PSL_PKlPlN2at6native12_GLOBAL__N_18offset_tEEE10hipError_tPvRmT1_PNSt15iterator_traitsISZ_E10value_typeET2_T3_PNS10_IS15_E10value_typeET4_jRbjT5_S1B_jjP12ihipStream_tbEUljE_EEESW_SX_SY_S15_S19_S1B_T6_T7_T9_mT8_S1D_bDpT10_ENKUlT_T0_E_clISt17integral_constantIbLb1EES1Q_EEDaS1L_S1M_EUlS1L_E_NS1_11comp_targetILNS1_3genE2ELNS1_11target_archE906ELNS1_3gpuE6ELNS1_3repE0EEENS1_30default_config_static_selectorELNS0_4arch9wavefront6targetE1EEEvSZ_.kd
    .uniform_work_group_size: 1
    .uses_dynamic_stack: false
    .vgpr_count:     0
    .vgpr_spill_count: 0
    .wavefront_size: 64
  - .agpr_count:     0
    .args:
      - .offset:         0
        .size:           152
        .value_kind:     by_value
    .group_segment_fixed_size: 0
    .kernarg_segment_align: 8
    .kernarg_segment_size: 152
    .language:       OpenCL C
    .language_version:
      - 2
      - 0
    .max_flat_workgroup_size: 256
    .name:           _ZN7rocprim17ROCPRIM_400000_NS6detail17trampoline_kernelINS0_13select_configILj256ELj13ELNS0_17block_load_methodE3ELS4_3ELS4_3ELNS0_20block_scan_algorithmE0ELj4294967295EEENS1_25partition_config_selectorILNS1_17partition_subalgoE3EjNS0_10empty_typeEbEEZZNS1_14partition_implILS8_3ELb0ES6_jNS0_17counting_iteratorIjlEEPS9_SE_NS0_5tupleIJPjSE_EEENSF_IJSE_SE_EEES9_SG_JZNS1_25segmented_radix_sort_implINS0_14default_configELb0EPK12hip_bfloat16PSL_PKlPlN2at6native12_GLOBAL__N_18offset_tEEE10hipError_tPvRmT1_PNSt15iterator_traitsISZ_E10value_typeET2_T3_PNS10_IS15_E10value_typeET4_jRbjT5_S1B_jjP12ihipStream_tbEUljE_EEESW_SX_SY_S15_S19_S1B_T6_T7_T9_mT8_S1D_bDpT10_ENKUlT_T0_E_clISt17integral_constantIbLb1EES1Q_EEDaS1L_S1M_EUlS1L_E_NS1_11comp_targetILNS1_3genE10ELNS1_11target_archE1200ELNS1_3gpuE4ELNS1_3repE0EEENS1_30default_config_static_selectorELNS0_4arch9wavefront6targetE1EEEvSZ_
    .private_segment_fixed_size: 0
    .sgpr_count:     4
    .sgpr_spill_count: 0
    .symbol:         _ZN7rocprim17ROCPRIM_400000_NS6detail17trampoline_kernelINS0_13select_configILj256ELj13ELNS0_17block_load_methodE3ELS4_3ELS4_3ELNS0_20block_scan_algorithmE0ELj4294967295EEENS1_25partition_config_selectorILNS1_17partition_subalgoE3EjNS0_10empty_typeEbEEZZNS1_14partition_implILS8_3ELb0ES6_jNS0_17counting_iteratorIjlEEPS9_SE_NS0_5tupleIJPjSE_EEENSF_IJSE_SE_EEES9_SG_JZNS1_25segmented_radix_sort_implINS0_14default_configELb0EPK12hip_bfloat16PSL_PKlPlN2at6native12_GLOBAL__N_18offset_tEEE10hipError_tPvRmT1_PNSt15iterator_traitsISZ_E10value_typeET2_T3_PNS10_IS15_E10value_typeET4_jRbjT5_S1B_jjP12ihipStream_tbEUljE_EEESW_SX_SY_S15_S19_S1B_T6_T7_T9_mT8_S1D_bDpT10_ENKUlT_T0_E_clISt17integral_constantIbLb1EES1Q_EEDaS1L_S1M_EUlS1L_E_NS1_11comp_targetILNS1_3genE10ELNS1_11target_archE1200ELNS1_3gpuE4ELNS1_3repE0EEENS1_30default_config_static_selectorELNS0_4arch9wavefront6targetE1EEEvSZ_.kd
    .uniform_work_group_size: 1
    .uses_dynamic_stack: false
    .vgpr_count:     0
    .vgpr_spill_count: 0
    .wavefront_size: 64
  - .agpr_count:     0
    .args:
      - .offset:         0
        .size:           152
        .value_kind:     by_value
    .group_segment_fixed_size: 0
    .kernarg_segment_align: 8
    .kernarg_segment_size: 152
    .language:       OpenCL C
    .language_version:
      - 2
      - 0
    .max_flat_workgroup_size: 256
    .name:           _ZN7rocprim17ROCPRIM_400000_NS6detail17trampoline_kernelINS0_13select_configILj256ELj13ELNS0_17block_load_methodE3ELS4_3ELS4_3ELNS0_20block_scan_algorithmE0ELj4294967295EEENS1_25partition_config_selectorILNS1_17partition_subalgoE3EjNS0_10empty_typeEbEEZZNS1_14partition_implILS8_3ELb0ES6_jNS0_17counting_iteratorIjlEEPS9_SE_NS0_5tupleIJPjSE_EEENSF_IJSE_SE_EEES9_SG_JZNS1_25segmented_radix_sort_implINS0_14default_configELb0EPK12hip_bfloat16PSL_PKlPlN2at6native12_GLOBAL__N_18offset_tEEE10hipError_tPvRmT1_PNSt15iterator_traitsISZ_E10value_typeET2_T3_PNS10_IS15_E10value_typeET4_jRbjT5_S1B_jjP12ihipStream_tbEUljE_EEESW_SX_SY_S15_S19_S1B_T6_T7_T9_mT8_S1D_bDpT10_ENKUlT_T0_E_clISt17integral_constantIbLb1EES1Q_EEDaS1L_S1M_EUlS1L_E_NS1_11comp_targetILNS1_3genE9ELNS1_11target_archE1100ELNS1_3gpuE3ELNS1_3repE0EEENS1_30default_config_static_selectorELNS0_4arch9wavefront6targetE1EEEvSZ_
    .private_segment_fixed_size: 0
    .sgpr_count:     4
    .sgpr_spill_count: 0
    .symbol:         _ZN7rocprim17ROCPRIM_400000_NS6detail17trampoline_kernelINS0_13select_configILj256ELj13ELNS0_17block_load_methodE3ELS4_3ELS4_3ELNS0_20block_scan_algorithmE0ELj4294967295EEENS1_25partition_config_selectorILNS1_17partition_subalgoE3EjNS0_10empty_typeEbEEZZNS1_14partition_implILS8_3ELb0ES6_jNS0_17counting_iteratorIjlEEPS9_SE_NS0_5tupleIJPjSE_EEENSF_IJSE_SE_EEES9_SG_JZNS1_25segmented_radix_sort_implINS0_14default_configELb0EPK12hip_bfloat16PSL_PKlPlN2at6native12_GLOBAL__N_18offset_tEEE10hipError_tPvRmT1_PNSt15iterator_traitsISZ_E10value_typeET2_T3_PNS10_IS15_E10value_typeET4_jRbjT5_S1B_jjP12ihipStream_tbEUljE_EEESW_SX_SY_S15_S19_S1B_T6_T7_T9_mT8_S1D_bDpT10_ENKUlT_T0_E_clISt17integral_constantIbLb1EES1Q_EEDaS1L_S1M_EUlS1L_E_NS1_11comp_targetILNS1_3genE9ELNS1_11target_archE1100ELNS1_3gpuE3ELNS1_3repE0EEENS1_30default_config_static_selectorELNS0_4arch9wavefront6targetE1EEEvSZ_.kd
    .uniform_work_group_size: 1
    .uses_dynamic_stack: false
    .vgpr_count:     0
    .vgpr_spill_count: 0
    .wavefront_size: 64
  - .agpr_count:     0
    .args:
      - .offset:         0
        .size:           152
        .value_kind:     by_value
    .group_segment_fixed_size: 0
    .kernarg_segment_align: 8
    .kernarg_segment_size: 152
    .language:       OpenCL C
    .language_version:
      - 2
      - 0
    .max_flat_workgroup_size: 256
    .name:           _ZN7rocprim17ROCPRIM_400000_NS6detail17trampoline_kernelINS0_13select_configILj256ELj13ELNS0_17block_load_methodE3ELS4_3ELS4_3ELNS0_20block_scan_algorithmE0ELj4294967295EEENS1_25partition_config_selectorILNS1_17partition_subalgoE3EjNS0_10empty_typeEbEEZZNS1_14partition_implILS8_3ELb0ES6_jNS0_17counting_iteratorIjlEEPS9_SE_NS0_5tupleIJPjSE_EEENSF_IJSE_SE_EEES9_SG_JZNS1_25segmented_radix_sort_implINS0_14default_configELb0EPK12hip_bfloat16PSL_PKlPlN2at6native12_GLOBAL__N_18offset_tEEE10hipError_tPvRmT1_PNSt15iterator_traitsISZ_E10value_typeET2_T3_PNS10_IS15_E10value_typeET4_jRbjT5_S1B_jjP12ihipStream_tbEUljE_EEESW_SX_SY_S15_S19_S1B_T6_T7_T9_mT8_S1D_bDpT10_ENKUlT_T0_E_clISt17integral_constantIbLb1EES1Q_EEDaS1L_S1M_EUlS1L_E_NS1_11comp_targetILNS1_3genE8ELNS1_11target_archE1030ELNS1_3gpuE2ELNS1_3repE0EEENS1_30default_config_static_selectorELNS0_4arch9wavefront6targetE1EEEvSZ_
    .private_segment_fixed_size: 0
    .sgpr_count:     4
    .sgpr_spill_count: 0
    .symbol:         _ZN7rocprim17ROCPRIM_400000_NS6detail17trampoline_kernelINS0_13select_configILj256ELj13ELNS0_17block_load_methodE3ELS4_3ELS4_3ELNS0_20block_scan_algorithmE0ELj4294967295EEENS1_25partition_config_selectorILNS1_17partition_subalgoE3EjNS0_10empty_typeEbEEZZNS1_14partition_implILS8_3ELb0ES6_jNS0_17counting_iteratorIjlEEPS9_SE_NS0_5tupleIJPjSE_EEENSF_IJSE_SE_EEES9_SG_JZNS1_25segmented_radix_sort_implINS0_14default_configELb0EPK12hip_bfloat16PSL_PKlPlN2at6native12_GLOBAL__N_18offset_tEEE10hipError_tPvRmT1_PNSt15iterator_traitsISZ_E10value_typeET2_T3_PNS10_IS15_E10value_typeET4_jRbjT5_S1B_jjP12ihipStream_tbEUljE_EEESW_SX_SY_S15_S19_S1B_T6_T7_T9_mT8_S1D_bDpT10_ENKUlT_T0_E_clISt17integral_constantIbLb1EES1Q_EEDaS1L_S1M_EUlS1L_E_NS1_11comp_targetILNS1_3genE8ELNS1_11target_archE1030ELNS1_3gpuE2ELNS1_3repE0EEENS1_30default_config_static_selectorELNS0_4arch9wavefront6targetE1EEEvSZ_.kd
    .uniform_work_group_size: 1
    .uses_dynamic_stack: false
    .vgpr_count:     0
    .vgpr_spill_count: 0
    .wavefront_size: 64
  - .agpr_count:     0
    .args:
      - .offset:         0
        .size:           144
        .value_kind:     by_value
    .group_segment_fixed_size: 0
    .kernarg_segment_align: 8
    .kernarg_segment_size: 144
    .language:       OpenCL C
    .language_version:
      - 2
      - 0
    .max_flat_workgroup_size: 256
    .name:           _ZN7rocprim17ROCPRIM_400000_NS6detail17trampoline_kernelINS0_13select_configILj256ELj13ELNS0_17block_load_methodE3ELS4_3ELS4_3ELNS0_20block_scan_algorithmE0ELj4294967295EEENS1_25partition_config_selectorILNS1_17partition_subalgoE3EjNS0_10empty_typeEbEEZZNS1_14partition_implILS8_3ELb0ES6_jNS0_17counting_iteratorIjlEEPS9_SE_NS0_5tupleIJPjSE_EEENSF_IJSE_SE_EEES9_SG_JZNS1_25segmented_radix_sort_implINS0_14default_configELb0EPK12hip_bfloat16PSL_PKlPlN2at6native12_GLOBAL__N_18offset_tEEE10hipError_tPvRmT1_PNSt15iterator_traitsISZ_E10value_typeET2_T3_PNS10_IS15_E10value_typeET4_jRbjT5_S1B_jjP12ihipStream_tbEUljE_EEESW_SX_SY_S15_S19_S1B_T6_T7_T9_mT8_S1D_bDpT10_ENKUlT_T0_E_clISt17integral_constantIbLb1EES1P_IbLb0EEEEDaS1L_S1M_EUlS1L_E_NS1_11comp_targetILNS1_3genE0ELNS1_11target_archE4294967295ELNS1_3gpuE0ELNS1_3repE0EEENS1_30default_config_static_selectorELNS0_4arch9wavefront6targetE1EEEvSZ_
    .private_segment_fixed_size: 0
    .sgpr_count:     4
    .sgpr_spill_count: 0
    .symbol:         _ZN7rocprim17ROCPRIM_400000_NS6detail17trampoline_kernelINS0_13select_configILj256ELj13ELNS0_17block_load_methodE3ELS4_3ELS4_3ELNS0_20block_scan_algorithmE0ELj4294967295EEENS1_25partition_config_selectorILNS1_17partition_subalgoE3EjNS0_10empty_typeEbEEZZNS1_14partition_implILS8_3ELb0ES6_jNS0_17counting_iteratorIjlEEPS9_SE_NS0_5tupleIJPjSE_EEENSF_IJSE_SE_EEES9_SG_JZNS1_25segmented_radix_sort_implINS0_14default_configELb0EPK12hip_bfloat16PSL_PKlPlN2at6native12_GLOBAL__N_18offset_tEEE10hipError_tPvRmT1_PNSt15iterator_traitsISZ_E10value_typeET2_T3_PNS10_IS15_E10value_typeET4_jRbjT5_S1B_jjP12ihipStream_tbEUljE_EEESW_SX_SY_S15_S19_S1B_T6_T7_T9_mT8_S1D_bDpT10_ENKUlT_T0_E_clISt17integral_constantIbLb1EES1P_IbLb0EEEEDaS1L_S1M_EUlS1L_E_NS1_11comp_targetILNS1_3genE0ELNS1_11target_archE4294967295ELNS1_3gpuE0ELNS1_3repE0EEENS1_30default_config_static_selectorELNS0_4arch9wavefront6targetE1EEEvSZ_.kd
    .uniform_work_group_size: 1
    .uses_dynamic_stack: false
    .vgpr_count:     0
    .vgpr_spill_count: 0
    .wavefront_size: 64
  - .agpr_count:     0
    .args:
      - .offset:         0
        .size:           144
        .value_kind:     by_value
    .group_segment_fixed_size: 0
    .kernarg_segment_align: 8
    .kernarg_segment_size: 144
    .language:       OpenCL C
    .language_version:
      - 2
      - 0
    .max_flat_workgroup_size: 256
    .name:           _ZN7rocprim17ROCPRIM_400000_NS6detail17trampoline_kernelINS0_13select_configILj256ELj13ELNS0_17block_load_methodE3ELS4_3ELS4_3ELNS0_20block_scan_algorithmE0ELj4294967295EEENS1_25partition_config_selectorILNS1_17partition_subalgoE3EjNS0_10empty_typeEbEEZZNS1_14partition_implILS8_3ELb0ES6_jNS0_17counting_iteratorIjlEEPS9_SE_NS0_5tupleIJPjSE_EEENSF_IJSE_SE_EEES9_SG_JZNS1_25segmented_radix_sort_implINS0_14default_configELb0EPK12hip_bfloat16PSL_PKlPlN2at6native12_GLOBAL__N_18offset_tEEE10hipError_tPvRmT1_PNSt15iterator_traitsISZ_E10value_typeET2_T3_PNS10_IS15_E10value_typeET4_jRbjT5_S1B_jjP12ihipStream_tbEUljE_EEESW_SX_SY_S15_S19_S1B_T6_T7_T9_mT8_S1D_bDpT10_ENKUlT_T0_E_clISt17integral_constantIbLb1EES1P_IbLb0EEEEDaS1L_S1M_EUlS1L_E_NS1_11comp_targetILNS1_3genE5ELNS1_11target_archE942ELNS1_3gpuE9ELNS1_3repE0EEENS1_30default_config_static_selectorELNS0_4arch9wavefront6targetE1EEEvSZ_
    .private_segment_fixed_size: 0
    .sgpr_count:     4
    .sgpr_spill_count: 0
    .symbol:         _ZN7rocprim17ROCPRIM_400000_NS6detail17trampoline_kernelINS0_13select_configILj256ELj13ELNS0_17block_load_methodE3ELS4_3ELS4_3ELNS0_20block_scan_algorithmE0ELj4294967295EEENS1_25partition_config_selectorILNS1_17partition_subalgoE3EjNS0_10empty_typeEbEEZZNS1_14partition_implILS8_3ELb0ES6_jNS0_17counting_iteratorIjlEEPS9_SE_NS0_5tupleIJPjSE_EEENSF_IJSE_SE_EEES9_SG_JZNS1_25segmented_radix_sort_implINS0_14default_configELb0EPK12hip_bfloat16PSL_PKlPlN2at6native12_GLOBAL__N_18offset_tEEE10hipError_tPvRmT1_PNSt15iterator_traitsISZ_E10value_typeET2_T3_PNS10_IS15_E10value_typeET4_jRbjT5_S1B_jjP12ihipStream_tbEUljE_EEESW_SX_SY_S15_S19_S1B_T6_T7_T9_mT8_S1D_bDpT10_ENKUlT_T0_E_clISt17integral_constantIbLb1EES1P_IbLb0EEEEDaS1L_S1M_EUlS1L_E_NS1_11comp_targetILNS1_3genE5ELNS1_11target_archE942ELNS1_3gpuE9ELNS1_3repE0EEENS1_30default_config_static_selectorELNS0_4arch9wavefront6targetE1EEEvSZ_.kd
    .uniform_work_group_size: 1
    .uses_dynamic_stack: false
    .vgpr_count:     0
    .vgpr_spill_count: 0
    .wavefront_size: 64
  - .agpr_count:     0
    .args:
      - .offset:         0
        .size:           144
        .value_kind:     by_value
    .group_segment_fixed_size: 13324
    .kernarg_segment_align: 8
    .kernarg_segment_size: 144
    .language:       OpenCL C
    .language_version:
      - 2
      - 0
    .max_flat_workgroup_size: 256
    .name:           _ZN7rocprim17ROCPRIM_400000_NS6detail17trampoline_kernelINS0_13select_configILj256ELj13ELNS0_17block_load_methodE3ELS4_3ELS4_3ELNS0_20block_scan_algorithmE0ELj4294967295EEENS1_25partition_config_selectorILNS1_17partition_subalgoE3EjNS0_10empty_typeEbEEZZNS1_14partition_implILS8_3ELb0ES6_jNS0_17counting_iteratorIjlEEPS9_SE_NS0_5tupleIJPjSE_EEENSF_IJSE_SE_EEES9_SG_JZNS1_25segmented_radix_sort_implINS0_14default_configELb0EPK12hip_bfloat16PSL_PKlPlN2at6native12_GLOBAL__N_18offset_tEEE10hipError_tPvRmT1_PNSt15iterator_traitsISZ_E10value_typeET2_T3_PNS10_IS15_E10value_typeET4_jRbjT5_S1B_jjP12ihipStream_tbEUljE_EEESW_SX_SY_S15_S19_S1B_T6_T7_T9_mT8_S1D_bDpT10_ENKUlT_T0_E_clISt17integral_constantIbLb1EES1P_IbLb0EEEEDaS1L_S1M_EUlS1L_E_NS1_11comp_targetILNS1_3genE4ELNS1_11target_archE910ELNS1_3gpuE8ELNS1_3repE0EEENS1_30default_config_static_selectorELNS0_4arch9wavefront6targetE1EEEvSZ_
    .private_segment_fixed_size: 0
    .sgpr_count:     50
    .sgpr_spill_count: 0
    .symbol:         _ZN7rocprim17ROCPRIM_400000_NS6detail17trampoline_kernelINS0_13select_configILj256ELj13ELNS0_17block_load_methodE3ELS4_3ELS4_3ELNS0_20block_scan_algorithmE0ELj4294967295EEENS1_25partition_config_selectorILNS1_17partition_subalgoE3EjNS0_10empty_typeEbEEZZNS1_14partition_implILS8_3ELb0ES6_jNS0_17counting_iteratorIjlEEPS9_SE_NS0_5tupleIJPjSE_EEENSF_IJSE_SE_EEES9_SG_JZNS1_25segmented_radix_sort_implINS0_14default_configELb0EPK12hip_bfloat16PSL_PKlPlN2at6native12_GLOBAL__N_18offset_tEEE10hipError_tPvRmT1_PNSt15iterator_traitsISZ_E10value_typeET2_T3_PNS10_IS15_E10value_typeET4_jRbjT5_S1B_jjP12ihipStream_tbEUljE_EEESW_SX_SY_S15_S19_S1B_T6_T7_T9_mT8_S1D_bDpT10_ENKUlT_T0_E_clISt17integral_constantIbLb1EES1P_IbLb0EEEEDaS1L_S1M_EUlS1L_E_NS1_11comp_targetILNS1_3genE4ELNS1_11target_archE910ELNS1_3gpuE8ELNS1_3repE0EEENS1_30default_config_static_selectorELNS0_4arch9wavefront6targetE1EEEvSZ_.kd
    .uniform_work_group_size: 1
    .uses_dynamic_stack: false
    .vgpr_count:     61
    .vgpr_spill_count: 0
    .wavefront_size: 64
  - .agpr_count:     0
    .args:
      - .offset:         0
        .size:           144
        .value_kind:     by_value
    .group_segment_fixed_size: 0
    .kernarg_segment_align: 8
    .kernarg_segment_size: 144
    .language:       OpenCL C
    .language_version:
      - 2
      - 0
    .max_flat_workgroup_size: 256
    .name:           _ZN7rocprim17ROCPRIM_400000_NS6detail17trampoline_kernelINS0_13select_configILj256ELj13ELNS0_17block_load_methodE3ELS4_3ELS4_3ELNS0_20block_scan_algorithmE0ELj4294967295EEENS1_25partition_config_selectorILNS1_17partition_subalgoE3EjNS0_10empty_typeEbEEZZNS1_14partition_implILS8_3ELb0ES6_jNS0_17counting_iteratorIjlEEPS9_SE_NS0_5tupleIJPjSE_EEENSF_IJSE_SE_EEES9_SG_JZNS1_25segmented_radix_sort_implINS0_14default_configELb0EPK12hip_bfloat16PSL_PKlPlN2at6native12_GLOBAL__N_18offset_tEEE10hipError_tPvRmT1_PNSt15iterator_traitsISZ_E10value_typeET2_T3_PNS10_IS15_E10value_typeET4_jRbjT5_S1B_jjP12ihipStream_tbEUljE_EEESW_SX_SY_S15_S19_S1B_T6_T7_T9_mT8_S1D_bDpT10_ENKUlT_T0_E_clISt17integral_constantIbLb1EES1P_IbLb0EEEEDaS1L_S1M_EUlS1L_E_NS1_11comp_targetILNS1_3genE3ELNS1_11target_archE908ELNS1_3gpuE7ELNS1_3repE0EEENS1_30default_config_static_selectorELNS0_4arch9wavefront6targetE1EEEvSZ_
    .private_segment_fixed_size: 0
    .sgpr_count:     4
    .sgpr_spill_count: 0
    .symbol:         _ZN7rocprim17ROCPRIM_400000_NS6detail17trampoline_kernelINS0_13select_configILj256ELj13ELNS0_17block_load_methodE3ELS4_3ELS4_3ELNS0_20block_scan_algorithmE0ELj4294967295EEENS1_25partition_config_selectorILNS1_17partition_subalgoE3EjNS0_10empty_typeEbEEZZNS1_14partition_implILS8_3ELb0ES6_jNS0_17counting_iteratorIjlEEPS9_SE_NS0_5tupleIJPjSE_EEENSF_IJSE_SE_EEES9_SG_JZNS1_25segmented_radix_sort_implINS0_14default_configELb0EPK12hip_bfloat16PSL_PKlPlN2at6native12_GLOBAL__N_18offset_tEEE10hipError_tPvRmT1_PNSt15iterator_traitsISZ_E10value_typeET2_T3_PNS10_IS15_E10value_typeET4_jRbjT5_S1B_jjP12ihipStream_tbEUljE_EEESW_SX_SY_S15_S19_S1B_T6_T7_T9_mT8_S1D_bDpT10_ENKUlT_T0_E_clISt17integral_constantIbLb1EES1P_IbLb0EEEEDaS1L_S1M_EUlS1L_E_NS1_11comp_targetILNS1_3genE3ELNS1_11target_archE908ELNS1_3gpuE7ELNS1_3repE0EEENS1_30default_config_static_selectorELNS0_4arch9wavefront6targetE1EEEvSZ_.kd
    .uniform_work_group_size: 1
    .uses_dynamic_stack: false
    .vgpr_count:     0
    .vgpr_spill_count: 0
    .wavefront_size: 64
  - .agpr_count:     0
    .args:
      - .offset:         0
        .size:           144
        .value_kind:     by_value
    .group_segment_fixed_size: 0
    .kernarg_segment_align: 8
    .kernarg_segment_size: 144
    .language:       OpenCL C
    .language_version:
      - 2
      - 0
    .max_flat_workgroup_size: 256
    .name:           _ZN7rocprim17ROCPRIM_400000_NS6detail17trampoline_kernelINS0_13select_configILj256ELj13ELNS0_17block_load_methodE3ELS4_3ELS4_3ELNS0_20block_scan_algorithmE0ELj4294967295EEENS1_25partition_config_selectorILNS1_17partition_subalgoE3EjNS0_10empty_typeEbEEZZNS1_14partition_implILS8_3ELb0ES6_jNS0_17counting_iteratorIjlEEPS9_SE_NS0_5tupleIJPjSE_EEENSF_IJSE_SE_EEES9_SG_JZNS1_25segmented_radix_sort_implINS0_14default_configELb0EPK12hip_bfloat16PSL_PKlPlN2at6native12_GLOBAL__N_18offset_tEEE10hipError_tPvRmT1_PNSt15iterator_traitsISZ_E10value_typeET2_T3_PNS10_IS15_E10value_typeET4_jRbjT5_S1B_jjP12ihipStream_tbEUljE_EEESW_SX_SY_S15_S19_S1B_T6_T7_T9_mT8_S1D_bDpT10_ENKUlT_T0_E_clISt17integral_constantIbLb1EES1P_IbLb0EEEEDaS1L_S1M_EUlS1L_E_NS1_11comp_targetILNS1_3genE2ELNS1_11target_archE906ELNS1_3gpuE6ELNS1_3repE0EEENS1_30default_config_static_selectorELNS0_4arch9wavefront6targetE1EEEvSZ_
    .private_segment_fixed_size: 0
    .sgpr_count:     4
    .sgpr_spill_count: 0
    .symbol:         _ZN7rocprim17ROCPRIM_400000_NS6detail17trampoline_kernelINS0_13select_configILj256ELj13ELNS0_17block_load_methodE3ELS4_3ELS4_3ELNS0_20block_scan_algorithmE0ELj4294967295EEENS1_25partition_config_selectorILNS1_17partition_subalgoE3EjNS0_10empty_typeEbEEZZNS1_14partition_implILS8_3ELb0ES6_jNS0_17counting_iteratorIjlEEPS9_SE_NS0_5tupleIJPjSE_EEENSF_IJSE_SE_EEES9_SG_JZNS1_25segmented_radix_sort_implINS0_14default_configELb0EPK12hip_bfloat16PSL_PKlPlN2at6native12_GLOBAL__N_18offset_tEEE10hipError_tPvRmT1_PNSt15iterator_traitsISZ_E10value_typeET2_T3_PNS10_IS15_E10value_typeET4_jRbjT5_S1B_jjP12ihipStream_tbEUljE_EEESW_SX_SY_S15_S19_S1B_T6_T7_T9_mT8_S1D_bDpT10_ENKUlT_T0_E_clISt17integral_constantIbLb1EES1P_IbLb0EEEEDaS1L_S1M_EUlS1L_E_NS1_11comp_targetILNS1_3genE2ELNS1_11target_archE906ELNS1_3gpuE6ELNS1_3repE0EEENS1_30default_config_static_selectorELNS0_4arch9wavefront6targetE1EEEvSZ_.kd
    .uniform_work_group_size: 1
    .uses_dynamic_stack: false
    .vgpr_count:     0
    .vgpr_spill_count: 0
    .wavefront_size: 64
  - .agpr_count:     0
    .args:
      - .offset:         0
        .size:           144
        .value_kind:     by_value
    .group_segment_fixed_size: 0
    .kernarg_segment_align: 8
    .kernarg_segment_size: 144
    .language:       OpenCL C
    .language_version:
      - 2
      - 0
    .max_flat_workgroup_size: 256
    .name:           _ZN7rocprim17ROCPRIM_400000_NS6detail17trampoline_kernelINS0_13select_configILj256ELj13ELNS0_17block_load_methodE3ELS4_3ELS4_3ELNS0_20block_scan_algorithmE0ELj4294967295EEENS1_25partition_config_selectorILNS1_17partition_subalgoE3EjNS0_10empty_typeEbEEZZNS1_14partition_implILS8_3ELb0ES6_jNS0_17counting_iteratorIjlEEPS9_SE_NS0_5tupleIJPjSE_EEENSF_IJSE_SE_EEES9_SG_JZNS1_25segmented_radix_sort_implINS0_14default_configELb0EPK12hip_bfloat16PSL_PKlPlN2at6native12_GLOBAL__N_18offset_tEEE10hipError_tPvRmT1_PNSt15iterator_traitsISZ_E10value_typeET2_T3_PNS10_IS15_E10value_typeET4_jRbjT5_S1B_jjP12ihipStream_tbEUljE_EEESW_SX_SY_S15_S19_S1B_T6_T7_T9_mT8_S1D_bDpT10_ENKUlT_T0_E_clISt17integral_constantIbLb1EES1P_IbLb0EEEEDaS1L_S1M_EUlS1L_E_NS1_11comp_targetILNS1_3genE10ELNS1_11target_archE1200ELNS1_3gpuE4ELNS1_3repE0EEENS1_30default_config_static_selectorELNS0_4arch9wavefront6targetE1EEEvSZ_
    .private_segment_fixed_size: 0
    .sgpr_count:     4
    .sgpr_spill_count: 0
    .symbol:         _ZN7rocprim17ROCPRIM_400000_NS6detail17trampoline_kernelINS0_13select_configILj256ELj13ELNS0_17block_load_methodE3ELS4_3ELS4_3ELNS0_20block_scan_algorithmE0ELj4294967295EEENS1_25partition_config_selectorILNS1_17partition_subalgoE3EjNS0_10empty_typeEbEEZZNS1_14partition_implILS8_3ELb0ES6_jNS0_17counting_iteratorIjlEEPS9_SE_NS0_5tupleIJPjSE_EEENSF_IJSE_SE_EEES9_SG_JZNS1_25segmented_radix_sort_implINS0_14default_configELb0EPK12hip_bfloat16PSL_PKlPlN2at6native12_GLOBAL__N_18offset_tEEE10hipError_tPvRmT1_PNSt15iterator_traitsISZ_E10value_typeET2_T3_PNS10_IS15_E10value_typeET4_jRbjT5_S1B_jjP12ihipStream_tbEUljE_EEESW_SX_SY_S15_S19_S1B_T6_T7_T9_mT8_S1D_bDpT10_ENKUlT_T0_E_clISt17integral_constantIbLb1EES1P_IbLb0EEEEDaS1L_S1M_EUlS1L_E_NS1_11comp_targetILNS1_3genE10ELNS1_11target_archE1200ELNS1_3gpuE4ELNS1_3repE0EEENS1_30default_config_static_selectorELNS0_4arch9wavefront6targetE1EEEvSZ_.kd
    .uniform_work_group_size: 1
    .uses_dynamic_stack: false
    .vgpr_count:     0
    .vgpr_spill_count: 0
    .wavefront_size: 64
  - .agpr_count:     0
    .args:
      - .offset:         0
        .size:           144
        .value_kind:     by_value
    .group_segment_fixed_size: 0
    .kernarg_segment_align: 8
    .kernarg_segment_size: 144
    .language:       OpenCL C
    .language_version:
      - 2
      - 0
    .max_flat_workgroup_size: 256
    .name:           _ZN7rocprim17ROCPRIM_400000_NS6detail17trampoline_kernelINS0_13select_configILj256ELj13ELNS0_17block_load_methodE3ELS4_3ELS4_3ELNS0_20block_scan_algorithmE0ELj4294967295EEENS1_25partition_config_selectorILNS1_17partition_subalgoE3EjNS0_10empty_typeEbEEZZNS1_14partition_implILS8_3ELb0ES6_jNS0_17counting_iteratorIjlEEPS9_SE_NS0_5tupleIJPjSE_EEENSF_IJSE_SE_EEES9_SG_JZNS1_25segmented_radix_sort_implINS0_14default_configELb0EPK12hip_bfloat16PSL_PKlPlN2at6native12_GLOBAL__N_18offset_tEEE10hipError_tPvRmT1_PNSt15iterator_traitsISZ_E10value_typeET2_T3_PNS10_IS15_E10value_typeET4_jRbjT5_S1B_jjP12ihipStream_tbEUljE_EEESW_SX_SY_S15_S19_S1B_T6_T7_T9_mT8_S1D_bDpT10_ENKUlT_T0_E_clISt17integral_constantIbLb1EES1P_IbLb0EEEEDaS1L_S1M_EUlS1L_E_NS1_11comp_targetILNS1_3genE9ELNS1_11target_archE1100ELNS1_3gpuE3ELNS1_3repE0EEENS1_30default_config_static_selectorELNS0_4arch9wavefront6targetE1EEEvSZ_
    .private_segment_fixed_size: 0
    .sgpr_count:     4
    .sgpr_spill_count: 0
    .symbol:         _ZN7rocprim17ROCPRIM_400000_NS6detail17trampoline_kernelINS0_13select_configILj256ELj13ELNS0_17block_load_methodE3ELS4_3ELS4_3ELNS0_20block_scan_algorithmE0ELj4294967295EEENS1_25partition_config_selectorILNS1_17partition_subalgoE3EjNS0_10empty_typeEbEEZZNS1_14partition_implILS8_3ELb0ES6_jNS0_17counting_iteratorIjlEEPS9_SE_NS0_5tupleIJPjSE_EEENSF_IJSE_SE_EEES9_SG_JZNS1_25segmented_radix_sort_implINS0_14default_configELb0EPK12hip_bfloat16PSL_PKlPlN2at6native12_GLOBAL__N_18offset_tEEE10hipError_tPvRmT1_PNSt15iterator_traitsISZ_E10value_typeET2_T3_PNS10_IS15_E10value_typeET4_jRbjT5_S1B_jjP12ihipStream_tbEUljE_EEESW_SX_SY_S15_S19_S1B_T6_T7_T9_mT8_S1D_bDpT10_ENKUlT_T0_E_clISt17integral_constantIbLb1EES1P_IbLb0EEEEDaS1L_S1M_EUlS1L_E_NS1_11comp_targetILNS1_3genE9ELNS1_11target_archE1100ELNS1_3gpuE3ELNS1_3repE0EEENS1_30default_config_static_selectorELNS0_4arch9wavefront6targetE1EEEvSZ_.kd
    .uniform_work_group_size: 1
    .uses_dynamic_stack: false
    .vgpr_count:     0
    .vgpr_spill_count: 0
    .wavefront_size: 64
  - .agpr_count:     0
    .args:
      - .offset:         0
        .size:           144
        .value_kind:     by_value
    .group_segment_fixed_size: 0
    .kernarg_segment_align: 8
    .kernarg_segment_size: 144
    .language:       OpenCL C
    .language_version:
      - 2
      - 0
    .max_flat_workgroup_size: 256
    .name:           _ZN7rocprim17ROCPRIM_400000_NS6detail17trampoline_kernelINS0_13select_configILj256ELj13ELNS0_17block_load_methodE3ELS4_3ELS4_3ELNS0_20block_scan_algorithmE0ELj4294967295EEENS1_25partition_config_selectorILNS1_17partition_subalgoE3EjNS0_10empty_typeEbEEZZNS1_14partition_implILS8_3ELb0ES6_jNS0_17counting_iteratorIjlEEPS9_SE_NS0_5tupleIJPjSE_EEENSF_IJSE_SE_EEES9_SG_JZNS1_25segmented_radix_sort_implINS0_14default_configELb0EPK12hip_bfloat16PSL_PKlPlN2at6native12_GLOBAL__N_18offset_tEEE10hipError_tPvRmT1_PNSt15iterator_traitsISZ_E10value_typeET2_T3_PNS10_IS15_E10value_typeET4_jRbjT5_S1B_jjP12ihipStream_tbEUljE_EEESW_SX_SY_S15_S19_S1B_T6_T7_T9_mT8_S1D_bDpT10_ENKUlT_T0_E_clISt17integral_constantIbLb1EES1P_IbLb0EEEEDaS1L_S1M_EUlS1L_E_NS1_11comp_targetILNS1_3genE8ELNS1_11target_archE1030ELNS1_3gpuE2ELNS1_3repE0EEENS1_30default_config_static_selectorELNS0_4arch9wavefront6targetE1EEEvSZ_
    .private_segment_fixed_size: 0
    .sgpr_count:     4
    .sgpr_spill_count: 0
    .symbol:         _ZN7rocprim17ROCPRIM_400000_NS6detail17trampoline_kernelINS0_13select_configILj256ELj13ELNS0_17block_load_methodE3ELS4_3ELS4_3ELNS0_20block_scan_algorithmE0ELj4294967295EEENS1_25partition_config_selectorILNS1_17partition_subalgoE3EjNS0_10empty_typeEbEEZZNS1_14partition_implILS8_3ELb0ES6_jNS0_17counting_iteratorIjlEEPS9_SE_NS0_5tupleIJPjSE_EEENSF_IJSE_SE_EEES9_SG_JZNS1_25segmented_radix_sort_implINS0_14default_configELb0EPK12hip_bfloat16PSL_PKlPlN2at6native12_GLOBAL__N_18offset_tEEE10hipError_tPvRmT1_PNSt15iterator_traitsISZ_E10value_typeET2_T3_PNS10_IS15_E10value_typeET4_jRbjT5_S1B_jjP12ihipStream_tbEUljE_EEESW_SX_SY_S15_S19_S1B_T6_T7_T9_mT8_S1D_bDpT10_ENKUlT_T0_E_clISt17integral_constantIbLb1EES1P_IbLb0EEEEDaS1L_S1M_EUlS1L_E_NS1_11comp_targetILNS1_3genE8ELNS1_11target_archE1030ELNS1_3gpuE2ELNS1_3repE0EEENS1_30default_config_static_selectorELNS0_4arch9wavefront6targetE1EEEvSZ_.kd
    .uniform_work_group_size: 1
    .uses_dynamic_stack: false
    .vgpr_count:     0
    .vgpr_spill_count: 0
    .wavefront_size: 64
  - .agpr_count:     0
    .args:
      - .offset:         0
        .size:           152
        .value_kind:     by_value
    .group_segment_fixed_size: 0
    .kernarg_segment_align: 8
    .kernarg_segment_size: 152
    .language:       OpenCL C
    .language_version:
      - 2
      - 0
    .max_flat_workgroup_size: 256
    .name:           _ZN7rocprim17ROCPRIM_400000_NS6detail17trampoline_kernelINS0_13select_configILj256ELj13ELNS0_17block_load_methodE3ELS4_3ELS4_3ELNS0_20block_scan_algorithmE0ELj4294967295EEENS1_25partition_config_selectorILNS1_17partition_subalgoE3EjNS0_10empty_typeEbEEZZNS1_14partition_implILS8_3ELb0ES6_jNS0_17counting_iteratorIjlEEPS9_SE_NS0_5tupleIJPjSE_EEENSF_IJSE_SE_EEES9_SG_JZNS1_25segmented_radix_sort_implINS0_14default_configELb0EPK12hip_bfloat16PSL_PKlPlN2at6native12_GLOBAL__N_18offset_tEEE10hipError_tPvRmT1_PNSt15iterator_traitsISZ_E10value_typeET2_T3_PNS10_IS15_E10value_typeET4_jRbjT5_S1B_jjP12ihipStream_tbEUljE_EEESW_SX_SY_S15_S19_S1B_T6_T7_T9_mT8_S1D_bDpT10_ENKUlT_T0_E_clISt17integral_constantIbLb0EES1P_IbLb1EEEEDaS1L_S1M_EUlS1L_E_NS1_11comp_targetILNS1_3genE0ELNS1_11target_archE4294967295ELNS1_3gpuE0ELNS1_3repE0EEENS1_30default_config_static_selectorELNS0_4arch9wavefront6targetE1EEEvSZ_
    .private_segment_fixed_size: 0
    .sgpr_count:     4
    .sgpr_spill_count: 0
    .symbol:         _ZN7rocprim17ROCPRIM_400000_NS6detail17trampoline_kernelINS0_13select_configILj256ELj13ELNS0_17block_load_methodE3ELS4_3ELS4_3ELNS0_20block_scan_algorithmE0ELj4294967295EEENS1_25partition_config_selectorILNS1_17partition_subalgoE3EjNS0_10empty_typeEbEEZZNS1_14partition_implILS8_3ELb0ES6_jNS0_17counting_iteratorIjlEEPS9_SE_NS0_5tupleIJPjSE_EEENSF_IJSE_SE_EEES9_SG_JZNS1_25segmented_radix_sort_implINS0_14default_configELb0EPK12hip_bfloat16PSL_PKlPlN2at6native12_GLOBAL__N_18offset_tEEE10hipError_tPvRmT1_PNSt15iterator_traitsISZ_E10value_typeET2_T3_PNS10_IS15_E10value_typeET4_jRbjT5_S1B_jjP12ihipStream_tbEUljE_EEESW_SX_SY_S15_S19_S1B_T6_T7_T9_mT8_S1D_bDpT10_ENKUlT_T0_E_clISt17integral_constantIbLb0EES1P_IbLb1EEEEDaS1L_S1M_EUlS1L_E_NS1_11comp_targetILNS1_3genE0ELNS1_11target_archE4294967295ELNS1_3gpuE0ELNS1_3repE0EEENS1_30default_config_static_selectorELNS0_4arch9wavefront6targetE1EEEvSZ_.kd
    .uniform_work_group_size: 1
    .uses_dynamic_stack: false
    .vgpr_count:     0
    .vgpr_spill_count: 0
    .wavefront_size: 64
  - .agpr_count:     0
    .args:
      - .offset:         0
        .size:           152
        .value_kind:     by_value
    .group_segment_fixed_size: 0
    .kernarg_segment_align: 8
    .kernarg_segment_size: 152
    .language:       OpenCL C
    .language_version:
      - 2
      - 0
    .max_flat_workgroup_size: 256
    .name:           _ZN7rocprim17ROCPRIM_400000_NS6detail17trampoline_kernelINS0_13select_configILj256ELj13ELNS0_17block_load_methodE3ELS4_3ELS4_3ELNS0_20block_scan_algorithmE0ELj4294967295EEENS1_25partition_config_selectorILNS1_17partition_subalgoE3EjNS0_10empty_typeEbEEZZNS1_14partition_implILS8_3ELb0ES6_jNS0_17counting_iteratorIjlEEPS9_SE_NS0_5tupleIJPjSE_EEENSF_IJSE_SE_EEES9_SG_JZNS1_25segmented_radix_sort_implINS0_14default_configELb0EPK12hip_bfloat16PSL_PKlPlN2at6native12_GLOBAL__N_18offset_tEEE10hipError_tPvRmT1_PNSt15iterator_traitsISZ_E10value_typeET2_T3_PNS10_IS15_E10value_typeET4_jRbjT5_S1B_jjP12ihipStream_tbEUljE_EEESW_SX_SY_S15_S19_S1B_T6_T7_T9_mT8_S1D_bDpT10_ENKUlT_T0_E_clISt17integral_constantIbLb0EES1P_IbLb1EEEEDaS1L_S1M_EUlS1L_E_NS1_11comp_targetILNS1_3genE5ELNS1_11target_archE942ELNS1_3gpuE9ELNS1_3repE0EEENS1_30default_config_static_selectorELNS0_4arch9wavefront6targetE1EEEvSZ_
    .private_segment_fixed_size: 0
    .sgpr_count:     4
    .sgpr_spill_count: 0
    .symbol:         _ZN7rocprim17ROCPRIM_400000_NS6detail17trampoline_kernelINS0_13select_configILj256ELj13ELNS0_17block_load_methodE3ELS4_3ELS4_3ELNS0_20block_scan_algorithmE0ELj4294967295EEENS1_25partition_config_selectorILNS1_17partition_subalgoE3EjNS0_10empty_typeEbEEZZNS1_14partition_implILS8_3ELb0ES6_jNS0_17counting_iteratorIjlEEPS9_SE_NS0_5tupleIJPjSE_EEENSF_IJSE_SE_EEES9_SG_JZNS1_25segmented_radix_sort_implINS0_14default_configELb0EPK12hip_bfloat16PSL_PKlPlN2at6native12_GLOBAL__N_18offset_tEEE10hipError_tPvRmT1_PNSt15iterator_traitsISZ_E10value_typeET2_T3_PNS10_IS15_E10value_typeET4_jRbjT5_S1B_jjP12ihipStream_tbEUljE_EEESW_SX_SY_S15_S19_S1B_T6_T7_T9_mT8_S1D_bDpT10_ENKUlT_T0_E_clISt17integral_constantIbLb0EES1P_IbLb1EEEEDaS1L_S1M_EUlS1L_E_NS1_11comp_targetILNS1_3genE5ELNS1_11target_archE942ELNS1_3gpuE9ELNS1_3repE0EEENS1_30default_config_static_selectorELNS0_4arch9wavefront6targetE1EEEvSZ_.kd
    .uniform_work_group_size: 1
    .uses_dynamic_stack: false
    .vgpr_count:     0
    .vgpr_spill_count: 0
    .wavefront_size: 64
  - .agpr_count:     0
    .args:
      - .offset:         0
        .size:           152
        .value_kind:     by_value
    .group_segment_fixed_size: 13324
    .kernarg_segment_align: 8
    .kernarg_segment_size: 152
    .language:       OpenCL C
    .language_version:
      - 2
      - 0
    .max_flat_workgroup_size: 256
    .name:           _ZN7rocprim17ROCPRIM_400000_NS6detail17trampoline_kernelINS0_13select_configILj256ELj13ELNS0_17block_load_methodE3ELS4_3ELS4_3ELNS0_20block_scan_algorithmE0ELj4294967295EEENS1_25partition_config_selectorILNS1_17partition_subalgoE3EjNS0_10empty_typeEbEEZZNS1_14partition_implILS8_3ELb0ES6_jNS0_17counting_iteratorIjlEEPS9_SE_NS0_5tupleIJPjSE_EEENSF_IJSE_SE_EEES9_SG_JZNS1_25segmented_radix_sort_implINS0_14default_configELb0EPK12hip_bfloat16PSL_PKlPlN2at6native12_GLOBAL__N_18offset_tEEE10hipError_tPvRmT1_PNSt15iterator_traitsISZ_E10value_typeET2_T3_PNS10_IS15_E10value_typeET4_jRbjT5_S1B_jjP12ihipStream_tbEUljE_EEESW_SX_SY_S15_S19_S1B_T6_T7_T9_mT8_S1D_bDpT10_ENKUlT_T0_E_clISt17integral_constantIbLb0EES1P_IbLb1EEEEDaS1L_S1M_EUlS1L_E_NS1_11comp_targetILNS1_3genE4ELNS1_11target_archE910ELNS1_3gpuE8ELNS1_3repE0EEENS1_30default_config_static_selectorELNS0_4arch9wavefront6targetE1EEEvSZ_
    .private_segment_fixed_size: 0
    .sgpr_count:     48
    .sgpr_spill_count: 0
    .symbol:         _ZN7rocprim17ROCPRIM_400000_NS6detail17trampoline_kernelINS0_13select_configILj256ELj13ELNS0_17block_load_methodE3ELS4_3ELS4_3ELNS0_20block_scan_algorithmE0ELj4294967295EEENS1_25partition_config_selectorILNS1_17partition_subalgoE3EjNS0_10empty_typeEbEEZZNS1_14partition_implILS8_3ELb0ES6_jNS0_17counting_iteratorIjlEEPS9_SE_NS0_5tupleIJPjSE_EEENSF_IJSE_SE_EEES9_SG_JZNS1_25segmented_radix_sort_implINS0_14default_configELb0EPK12hip_bfloat16PSL_PKlPlN2at6native12_GLOBAL__N_18offset_tEEE10hipError_tPvRmT1_PNSt15iterator_traitsISZ_E10value_typeET2_T3_PNS10_IS15_E10value_typeET4_jRbjT5_S1B_jjP12ihipStream_tbEUljE_EEESW_SX_SY_S15_S19_S1B_T6_T7_T9_mT8_S1D_bDpT10_ENKUlT_T0_E_clISt17integral_constantIbLb0EES1P_IbLb1EEEEDaS1L_S1M_EUlS1L_E_NS1_11comp_targetILNS1_3genE4ELNS1_11target_archE910ELNS1_3gpuE8ELNS1_3repE0EEENS1_30default_config_static_selectorELNS0_4arch9wavefront6targetE1EEEvSZ_.kd
    .uniform_work_group_size: 1
    .uses_dynamic_stack: false
    .vgpr_count:     64
    .vgpr_spill_count: 0
    .wavefront_size: 64
  - .agpr_count:     0
    .args:
      - .offset:         0
        .size:           152
        .value_kind:     by_value
    .group_segment_fixed_size: 0
    .kernarg_segment_align: 8
    .kernarg_segment_size: 152
    .language:       OpenCL C
    .language_version:
      - 2
      - 0
    .max_flat_workgroup_size: 256
    .name:           _ZN7rocprim17ROCPRIM_400000_NS6detail17trampoline_kernelINS0_13select_configILj256ELj13ELNS0_17block_load_methodE3ELS4_3ELS4_3ELNS0_20block_scan_algorithmE0ELj4294967295EEENS1_25partition_config_selectorILNS1_17partition_subalgoE3EjNS0_10empty_typeEbEEZZNS1_14partition_implILS8_3ELb0ES6_jNS0_17counting_iteratorIjlEEPS9_SE_NS0_5tupleIJPjSE_EEENSF_IJSE_SE_EEES9_SG_JZNS1_25segmented_radix_sort_implINS0_14default_configELb0EPK12hip_bfloat16PSL_PKlPlN2at6native12_GLOBAL__N_18offset_tEEE10hipError_tPvRmT1_PNSt15iterator_traitsISZ_E10value_typeET2_T3_PNS10_IS15_E10value_typeET4_jRbjT5_S1B_jjP12ihipStream_tbEUljE_EEESW_SX_SY_S15_S19_S1B_T6_T7_T9_mT8_S1D_bDpT10_ENKUlT_T0_E_clISt17integral_constantIbLb0EES1P_IbLb1EEEEDaS1L_S1M_EUlS1L_E_NS1_11comp_targetILNS1_3genE3ELNS1_11target_archE908ELNS1_3gpuE7ELNS1_3repE0EEENS1_30default_config_static_selectorELNS0_4arch9wavefront6targetE1EEEvSZ_
    .private_segment_fixed_size: 0
    .sgpr_count:     4
    .sgpr_spill_count: 0
    .symbol:         _ZN7rocprim17ROCPRIM_400000_NS6detail17trampoline_kernelINS0_13select_configILj256ELj13ELNS0_17block_load_methodE3ELS4_3ELS4_3ELNS0_20block_scan_algorithmE0ELj4294967295EEENS1_25partition_config_selectorILNS1_17partition_subalgoE3EjNS0_10empty_typeEbEEZZNS1_14partition_implILS8_3ELb0ES6_jNS0_17counting_iteratorIjlEEPS9_SE_NS0_5tupleIJPjSE_EEENSF_IJSE_SE_EEES9_SG_JZNS1_25segmented_radix_sort_implINS0_14default_configELb0EPK12hip_bfloat16PSL_PKlPlN2at6native12_GLOBAL__N_18offset_tEEE10hipError_tPvRmT1_PNSt15iterator_traitsISZ_E10value_typeET2_T3_PNS10_IS15_E10value_typeET4_jRbjT5_S1B_jjP12ihipStream_tbEUljE_EEESW_SX_SY_S15_S19_S1B_T6_T7_T9_mT8_S1D_bDpT10_ENKUlT_T0_E_clISt17integral_constantIbLb0EES1P_IbLb1EEEEDaS1L_S1M_EUlS1L_E_NS1_11comp_targetILNS1_3genE3ELNS1_11target_archE908ELNS1_3gpuE7ELNS1_3repE0EEENS1_30default_config_static_selectorELNS0_4arch9wavefront6targetE1EEEvSZ_.kd
    .uniform_work_group_size: 1
    .uses_dynamic_stack: false
    .vgpr_count:     0
    .vgpr_spill_count: 0
    .wavefront_size: 64
  - .agpr_count:     0
    .args:
      - .offset:         0
        .size:           152
        .value_kind:     by_value
    .group_segment_fixed_size: 0
    .kernarg_segment_align: 8
    .kernarg_segment_size: 152
    .language:       OpenCL C
    .language_version:
      - 2
      - 0
    .max_flat_workgroup_size: 256
    .name:           _ZN7rocprim17ROCPRIM_400000_NS6detail17trampoline_kernelINS0_13select_configILj256ELj13ELNS0_17block_load_methodE3ELS4_3ELS4_3ELNS0_20block_scan_algorithmE0ELj4294967295EEENS1_25partition_config_selectorILNS1_17partition_subalgoE3EjNS0_10empty_typeEbEEZZNS1_14partition_implILS8_3ELb0ES6_jNS0_17counting_iteratorIjlEEPS9_SE_NS0_5tupleIJPjSE_EEENSF_IJSE_SE_EEES9_SG_JZNS1_25segmented_radix_sort_implINS0_14default_configELb0EPK12hip_bfloat16PSL_PKlPlN2at6native12_GLOBAL__N_18offset_tEEE10hipError_tPvRmT1_PNSt15iterator_traitsISZ_E10value_typeET2_T3_PNS10_IS15_E10value_typeET4_jRbjT5_S1B_jjP12ihipStream_tbEUljE_EEESW_SX_SY_S15_S19_S1B_T6_T7_T9_mT8_S1D_bDpT10_ENKUlT_T0_E_clISt17integral_constantIbLb0EES1P_IbLb1EEEEDaS1L_S1M_EUlS1L_E_NS1_11comp_targetILNS1_3genE2ELNS1_11target_archE906ELNS1_3gpuE6ELNS1_3repE0EEENS1_30default_config_static_selectorELNS0_4arch9wavefront6targetE1EEEvSZ_
    .private_segment_fixed_size: 0
    .sgpr_count:     4
    .sgpr_spill_count: 0
    .symbol:         _ZN7rocprim17ROCPRIM_400000_NS6detail17trampoline_kernelINS0_13select_configILj256ELj13ELNS0_17block_load_methodE3ELS4_3ELS4_3ELNS0_20block_scan_algorithmE0ELj4294967295EEENS1_25partition_config_selectorILNS1_17partition_subalgoE3EjNS0_10empty_typeEbEEZZNS1_14partition_implILS8_3ELb0ES6_jNS0_17counting_iteratorIjlEEPS9_SE_NS0_5tupleIJPjSE_EEENSF_IJSE_SE_EEES9_SG_JZNS1_25segmented_radix_sort_implINS0_14default_configELb0EPK12hip_bfloat16PSL_PKlPlN2at6native12_GLOBAL__N_18offset_tEEE10hipError_tPvRmT1_PNSt15iterator_traitsISZ_E10value_typeET2_T3_PNS10_IS15_E10value_typeET4_jRbjT5_S1B_jjP12ihipStream_tbEUljE_EEESW_SX_SY_S15_S19_S1B_T6_T7_T9_mT8_S1D_bDpT10_ENKUlT_T0_E_clISt17integral_constantIbLb0EES1P_IbLb1EEEEDaS1L_S1M_EUlS1L_E_NS1_11comp_targetILNS1_3genE2ELNS1_11target_archE906ELNS1_3gpuE6ELNS1_3repE0EEENS1_30default_config_static_selectorELNS0_4arch9wavefront6targetE1EEEvSZ_.kd
    .uniform_work_group_size: 1
    .uses_dynamic_stack: false
    .vgpr_count:     0
    .vgpr_spill_count: 0
    .wavefront_size: 64
  - .agpr_count:     0
    .args:
      - .offset:         0
        .size:           152
        .value_kind:     by_value
    .group_segment_fixed_size: 0
    .kernarg_segment_align: 8
    .kernarg_segment_size: 152
    .language:       OpenCL C
    .language_version:
      - 2
      - 0
    .max_flat_workgroup_size: 256
    .name:           _ZN7rocprim17ROCPRIM_400000_NS6detail17trampoline_kernelINS0_13select_configILj256ELj13ELNS0_17block_load_methodE3ELS4_3ELS4_3ELNS0_20block_scan_algorithmE0ELj4294967295EEENS1_25partition_config_selectorILNS1_17partition_subalgoE3EjNS0_10empty_typeEbEEZZNS1_14partition_implILS8_3ELb0ES6_jNS0_17counting_iteratorIjlEEPS9_SE_NS0_5tupleIJPjSE_EEENSF_IJSE_SE_EEES9_SG_JZNS1_25segmented_radix_sort_implINS0_14default_configELb0EPK12hip_bfloat16PSL_PKlPlN2at6native12_GLOBAL__N_18offset_tEEE10hipError_tPvRmT1_PNSt15iterator_traitsISZ_E10value_typeET2_T3_PNS10_IS15_E10value_typeET4_jRbjT5_S1B_jjP12ihipStream_tbEUljE_EEESW_SX_SY_S15_S19_S1B_T6_T7_T9_mT8_S1D_bDpT10_ENKUlT_T0_E_clISt17integral_constantIbLb0EES1P_IbLb1EEEEDaS1L_S1M_EUlS1L_E_NS1_11comp_targetILNS1_3genE10ELNS1_11target_archE1200ELNS1_3gpuE4ELNS1_3repE0EEENS1_30default_config_static_selectorELNS0_4arch9wavefront6targetE1EEEvSZ_
    .private_segment_fixed_size: 0
    .sgpr_count:     4
    .sgpr_spill_count: 0
    .symbol:         _ZN7rocprim17ROCPRIM_400000_NS6detail17trampoline_kernelINS0_13select_configILj256ELj13ELNS0_17block_load_methodE3ELS4_3ELS4_3ELNS0_20block_scan_algorithmE0ELj4294967295EEENS1_25partition_config_selectorILNS1_17partition_subalgoE3EjNS0_10empty_typeEbEEZZNS1_14partition_implILS8_3ELb0ES6_jNS0_17counting_iteratorIjlEEPS9_SE_NS0_5tupleIJPjSE_EEENSF_IJSE_SE_EEES9_SG_JZNS1_25segmented_radix_sort_implINS0_14default_configELb0EPK12hip_bfloat16PSL_PKlPlN2at6native12_GLOBAL__N_18offset_tEEE10hipError_tPvRmT1_PNSt15iterator_traitsISZ_E10value_typeET2_T3_PNS10_IS15_E10value_typeET4_jRbjT5_S1B_jjP12ihipStream_tbEUljE_EEESW_SX_SY_S15_S19_S1B_T6_T7_T9_mT8_S1D_bDpT10_ENKUlT_T0_E_clISt17integral_constantIbLb0EES1P_IbLb1EEEEDaS1L_S1M_EUlS1L_E_NS1_11comp_targetILNS1_3genE10ELNS1_11target_archE1200ELNS1_3gpuE4ELNS1_3repE0EEENS1_30default_config_static_selectorELNS0_4arch9wavefront6targetE1EEEvSZ_.kd
    .uniform_work_group_size: 1
    .uses_dynamic_stack: false
    .vgpr_count:     0
    .vgpr_spill_count: 0
    .wavefront_size: 64
  - .agpr_count:     0
    .args:
      - .offset:         0
        .size:           152
        .value_kind:     by_value
    .group_segment_fixed_size: 0
    .kernarg_segment_align: 8
    .kernarg_segment_size: 152
    .language:       OpenCL C
    .language_version:
      - 2
      - 0
    .max_flat_workgroup_size: 256
    .name:           _ZN7rocprim17ROCPRIM_400000_NS6detail17trampoline_kernelINS0_13select_configILj256ELj13ELNS0_17block_load_methodE3ELS4_3ELS4_3ELNS0_20block_scan_algorithmE0ELj4294967295EEENS1_25partition_config_selectorILNS1_17partition_subalgoE3EjNS0_10empty_typeEbEEZZNS1_14partition_implILS8_3ELb0ES6_jNS0_17counting_iteratorIjlEEPS9_SE_NS0_5tupleIJPjSE_EEENSF_IJSE_SE_EEES9_SG_JZNS1_25segmented_radix_sort_implINS0_14default_configELb0EPK12hip_bfloat16PSL_PKlPlN2at6native12_GLOBAL__N_18offset_tEEE10hipError_tPvRmT1_PNSt15iterator_traitsISZ_E10value_typeET2_T3_PNS10_IS15_E10value_typeET4_jRbjT5_S1B_jjP12ihipStream_tbEUljE_EEESW_SX_SY_S15_S19_S1B_T6_T7_T9_mT8_S1D_bDpT10_ENKUlT_T0_E_clISt17integral_constantIbLb0EES1P_IbLb1EEEEDaS1L_S1M_EUlS1L_E_NS1_11comp_targetILNS1_3genE9ELNS1_11target_archE1100ELNS1_3gpuE3ELNS1_3repE0EEENS1_30default_config_static_selectorELNS0_4arch9wavefront6targetE1EEEvSZ_
    .private_segment_fixed_size: 0
    .sgpr_count:     4
    .sgpr_spill_count: 0
    .symbol:         _ZN7rocprim17ROCPRIM_400000_NS6detail17trampoline_kernelINS0_13select_configILj256ELj13ELNS0_17block_load_methodE3ELS4_3ELS4_3ELNS0_20block_scan_algorithmE0ELj4294967295EEENS1_25partition_config_selectorILNS1_17partition_subalgoE3EjNS0_10empty_typeEbEEZZNS1_14partition_implILS8_3ELb0ES6_jNS0_17counting_iteratorIjlEEPS9_SE_NS0_5tupleIJPjSE_EEENSF_IJSE_SE_EEES9_SG_JZNS1_25segmented_radix_sort_implINS0_14default_configELb0EPK12hip_bfloat16PSL_PKlPlN2at6native12_GLOBAL__N_18offset_tEEE10hipError_tPvRmT1_PNSt15iterator_traitsISZ_E10value_typeET2_T3_PNS10_IS15_E10value_typeET4_jRbjT5_S1B_jjP12ihipStream_tbEUljE_EEESW_SX_SY_S15_S19_S1B_T6_T7_T9_mT8_S1D_bDpT10_ENKUlT_T0_E_clISt17integral_constantIbLb0EES1P_IbLb1EEEEDaS1L_S1M_EUlS1L_E_NS1_11comp_targetILNS1_3genE9ELNS1_11target_archE1100ELNS1_3gpuE3ELNS1_3repE0EEENS1_30default_config_static_selectorELNS0_4arch9wavefront6targetE1EEEvSZ_.kd
    .uniform_work_group_size: 1
    .uses_dynamic_stack: false
    .vgpr_count:     0
    .vgpr_spill_count: 0
    .wavefront_size: 64
  - .agpr_count:     0
    .args:
      - .offset:         0
        .size:           152
        .value_kind:     by_value
    .group_segment_fixed_size: 0
    .kernarg_segment_align: 8
    .kernarg_segment_size: 152
    .language:       OpenCL C
    .language_version:
      - 2
      - 0
    .max_flat_workgroup_size: 256
    .name:           _ZN7rocprim17ROCPRIM_400000_NS6detail17trampoline_kernelINS0_13select_configILj256ELj13ELNS0_17block_load_methodE3ELS4_3ELS4_3ELNS0_20block_scan_algorithmE0ELj4294967295EEENS1_25partition_config_selectorILNS1_17partition_subalgoE3EjNS0_10empty_typeEbEEZZNS1_14partition_implILS8_3ELb0ES6_jNS0_17counting_iteratorIjlEEPS9_SE_NS0_5tupleIJPjSE_EEENSF_IJSE_SE_EEES9_SG_JZNS1_25segmented_radix_sort_implINS0_14default_configELb0EPK12hip_bfloat16PSL_PKlPlN2at6native12_GLOBAL__N_18offset_tEEE10hipError_tPvRmT1_PNSt15iterator_traitsISZ_E10value_typeET2_T3_PNS10_IS15_E10value_typeET4_jRbjT5_S1B_jjP12ihipStream_tbEUljE_EEESW_SX_SY_S15_S19_S1B_T6_T7_T9_mT8_S1D_bDpT10_ENKUlT_T0_E_clISt17integral_constantIbLb0EES1P_IbLb1EEEEDaS1L_S1M_EUlS1L_E_NS1_11comp_targetILNS1_3genE8ELNS1_11target_archE1030ELNS1_3gpuE2ELNS1_3repE0EEENS1_30default_config_static_selectorELNS0_4arch9wavefront6targetE1EEEvSZ_
    .private_segment_fixed_size: 0
    .sgpr_count:     4
    .sgpr_spill_count: 0
    .symbol:         _ZN7rocprim17ROCPRIM_400000_NS6detail17trampoline_kernelINS0_13select_configILj256ELj13ELNS0_17block_load_methodE3ELS4_3ELS4_3ELNS0_20block_scan_algorithmE0ELj4294967295EEENS1_25partition_config_selectorILNS1_17partition_subalgoE3EjNS0_10empty_typeEbEEZZNS1_14partition_implILS8_3ELb0ES6_jNS0_17counting_iteratorIjlEEPS9_SE_NS0_5tupleIJPjSE_EEENSF_IJSE_SE_EEES9_SG_JZNS1_25segmented_radix_sort_implINS0_14default_configELb0EPK12hip_bfloat16PSL_PKlPlN2at6native12_GLOBAL__N_18offset_tEEE10hipError_tPvRmT1_PNSt15iterator_traitsISZ_E10value_typeET2_T3_PNS10_IS15_E10value_typeET4_jRbjT5_S1B_jjP12ihipStream_tbEUljE_EEESW_SX_SY_S15_S19_S1B_T6_T7_T9_mT8_S1D_bDpT10_ENKUlT_T0_E_clISt17integral_constantIbLb0EES1P_IbLb1EEEEDaS1L_S1M_EUlS1L_E_NS1_11comp_targetILNS1_3genE8ELNS1_11target_archE1030ELNS1_3gpuE2ELNS1_3repE0EEENS1_30default_config_static_selectorELNS0_4arch9wavefront6targetE1EEEvSZ_.kd
    .uniform_work_group_size: 1
    .uses_dynamic_stack: false
    .vgpr_count:     0
    .vgpr_spill_count: 0
    .wavefront_size: 64
  - .agpr_count:     0
    .args:
      - .offset:         0
        .size:           96
        .value_kind:     by_value
    .group_segment_fixed_size: 0
    .kernarg_segment_align: 8
    .kernarg_segment_size: 96
    .language:       OpenCL C
    .language_version:
      - 2
      - 0
    .max_flat_workgroup_size: 256
    .name:           _ZN7rocprim17ROCPRIM_400000_NS6detail17trampoline_kernelINS0_14default_configENS1_36segmented_radix_sort_config_selectorI12hip_bfloat16lEEZNS1_25segmented_radix_sort_implIS3_Lb0EPKS5_PS5_PKlPlN2at6native12_GLOBAL__N_18offset_tEEE10hipError_tPvRmT1_PNSt15iterator_traitsISL_E10value_typeET2_T3_PNSM_ISR_E10value_typeET4_jRbjT5_SX_jjP12ihipStream_tbEUlT_E_NS1_11comp_targetILNS1_3genE0ELNS1_11target_archE4294967295ELNS1_3gpuE0ELNS1_3repE0EEENS1_30default_config_static_selectorELNS0_4arch9wavefront6targetE1EEEvSL_
    .private_segment_fixed_size: 0
    .sgpr_count:     4
    .sgpr_spill_count: 0
    .symbol:         _ZN7rocprim17ROCPRIM_400000_NS6detail17trampoline_kernelINS0_14default_configENS1_36segmented_radix_sort_config_selectorI12hip_bfloat16lEEZNS1_25segmented_radix_sort_implIS3_Lb0EPKS5_PS5_PKlPlN2at6native12_GLOBAL__N_18offset_tEEE10hipError_tPvRmT1_PNSt15iterator_traitsISL_E10value_typeET2_T3_PNSM_ISR_E10value_typeET4_jRbjT5_SX_jjP12ihipStream_tbEUlT_E_NS1_11comp_targetILNS1_3genE0ELNS1_11target_archE4294967295ELNS1_3gpuE0ELNS1_3repE0EEENS1_30default_config_static_selectorELNS0_4arch9wavefront6targetE1EEEvSL_.kd
    .uniform_work_group_size: 1
    .uses_dynamic_stack: false
    .vgpr_count:     0
    .vgpr_spill_count: 0
    .wavefront_size: 64
  - .agpr_count:     0
    .args:
      - .offset:         0
        .size:           96
        .value_kind:     by_value
    .group_segment_fixed_size: 0
    .kernarg_segment_align: 8
    .kernarg_segment_size: 96
    .language:       OpenCL C
    .language_version:
      - 2
      - 0
    .max_flat_workgroup_size: 256
    .name:           _ZN7rocprim17ROCPRIM_400000_NS6detail17trampoline_kernelINS0_14default_configENS1_36segmented_radix_sort_config_selectorI12hip_bfloat16lEEZNS1_25segmented_radix_sort_implIS3_Lb0EPKS5_PS5_PKlPlN2at6native12_GLOBAL__N_18offset_tEEE10hipError_tPvRmT1_PNSt15iterator_traitsISL_E10value_typeET2_T3_PNSM_ISR_E10value_typeET4_jRbjT5_SX_jjP12ihipStream_tbEUlT_E_NS1_11comp_targetILNS1_3genE5ELNS1_11target_archE942ELNS1_3gpuE9ELNS1_3repE0EEENS1_30default_config_static_selectorELNS0_4arch9wavefront6targetE1EEEvSL_
    .private_segment_fixed_size: 0
    .sgpr_count:     4
    .sgpr_spill_count: 0
    .symbol:         _ZN7rocprim17ROCPRIM_400000_NS6detail17trampoline_kernelINS0_14default_configENS1_36segmented_radix_sort_config_selectorI12hip_bfloat16lEEZNS1_25segmented_radix_sort_implIS3_Lb0EPKS5_PS5_PKlPlN2at6native12_GLOBAL__N_18offset_tEEE10hipError_tPvRmT1_PNSt15iterator_traitsISL_E10value_typeET2_T3_PNSM_ISR_E10value_typeET4_jRbjT5_SX_jjP12ihipStream_tbEUlT_E_NS1_11comp_targetILNS1_3genE5ELNS1_11target_archE942ELNS1_3gpuE9ELNS1_3repE0EEENS1_30default_config_static_selectorELNS0_4arch9wavefront6targetE1EEEvSL_.kd
    .uniform_work_group_size: 1
    .uses_dynamic_stack: false
    .vgpr_count:     0
    .vgpr_spill_count: 0
    .wavefront_size: 64
  - .agpr_count:     0
    .args:
      - .offset:         0
        .size:           96
        .value_kind:     by_value
      - .offset:         96
        .size:           4
        .value_kind:     hidden_block_count_x
      - .offset:         100
        .size:           4
        .value_kind:     hidden_block_count_y
      - .offset:         104
        .size:           4
        .value_kind:     hidden_block_count_z
      - .offset:         108
        .size:           2
        .value_kind:     hidden_group_size_x
      - .offset:         110
        .size:           2
        .value_kind:     hidden_group_size_y
      - .offset:         112
        .size:           2
        .value_kind:     hidden_group_size_z
      - .offset:         114
        .size:           2
        .value_kind:     hidden_remainder_x
      - .offset:         116
        .size:           2
        .value_kind:     hidden_remainder_y
      - .offset:         118
        .size:           2
        .value_kind:     hidden_remainder_z
      - .offset:         136
        .size:           8
        .value_kind:     hidden_global_offset_x
      - .offset:         144
        .size:           8
        .value_kind:     hidden_global_offset_y
      - .offset:         152
        .size:           8
        .value_kind:     hidden_global_offset_z
      - .offset:         160
        .size:           2
        .value_kind:     hidden_grid_dims
      - .offset:         176
        .size:           8
        .value_kind:     hidden_hostcall_buffer
      - .offset:         184
        .size:           8
        .value_kind:     hidden_multigrid_sync_arg
      - .offset:         192
        .size:           8
        .value_kind:     hidden_heap_v1
      - .offset:         200
        .size:           8
        .value_kind:     hidden_default_queue
      - .offset:         208
        .size:           8
        .value_kind:     hidden_completion_action
      - .offset:         296
        .size:           8
        .value_kind:     hidden_queue_ptr
    .group_segment_fixed_size: 17424
    .kernarg_segment_align: 8
    .kernarg_segment_size: 352
    .language:       OpenCL C
    .language_version:
      - 2
      - 0
    .max_flat_workgroup_size: 256
    .name:           _ZN7rocprim17ROCPRIM_400000_NS6detail17trampoline_kernelINS0_14default_configENS1_36segmented_radix_sort_config_selectorI12hip_bfloat16lEEZNS1_25segmented_radix_sort_implIS3_Lb0EPKS5_PS5_PKlPlN2at6native12_GLOBAL__N_18offset_tEEE10hipError_tPvRmT1_PNSt15iterator_traitsISL_E10value_typeET2_T3_PNSM_ISR_E10value_typeET4_jRbjT5_SX_jjP12ihipStream_tbEUlT_E_NS1_11comp_targetILNS1_3genE4ELNS1_11target_archE910ELNS1_3gpuE8ELNS1_3repE0EEENS1_30default_config_static_selectorELNS0_4arch9wavefront6targetE1EEEvSL_
    .private_segment_fixed_size: 8
    .sgpr_count:     87
    .sgpr_spill_count: 0
    .symbol:         _ZN7rocprim17ROCPRIM_400000_NS6detail17trampoline_kernelINS0_14default_configENS1_36segmented_radix_sort_config_selectorI12hip_bfloat16lEEZNS1_25segmented_radix_sort_implIS3_Lb0EPKS5_PS5_PKlPlN2at6native12_GLOBAL__N_18offset_tEEE10hipError_tPvRmT1_PNSt15iterator_traitsISL_E10value_typeET2_T3_PNSM_ISR_E10value_typeET4_jRbjT5_SX_jjP12ihipStream_tbEUlT_E_NS1_11comp_targetILNS1_3genE4ELNS1_11target_archE910ELNS1_3gpuE8ELNS1_3repE0EEENS1_30default_config_static_selectorELNS0_4arch9wavefront6targetE1EEEvSL_.kd
    .uniform_work_group_size: 1
    .uses_dynamic_stack: false
    .vgpr_count:     178
    .vgpr_spill_count: 0
    .wavefront_size: 64
  - .agpr_count:     0
    .args:
      - .offset:         0
        .size:           96
        .value_kind:     by_value
    .group_segment_fixed_size: 0
    .kernarg_segment_align: 8
    .kernarg_segment_size: 96
    .language:       OpenCL C
    .language_version:
      - 2
      - 0
    .max_flat_workgroup_size: 256
    .name:           _ZN7rocprim17ROCPRIM_400000_NS6detail17trampoline_kernelINS0_14default_configENS1_36segmented_radix_sort_config_selectorI12hip_bfloat16lEEZNS1_25segmented_radix_sort_implIS3_Lb0EPKS5_PS5_PKlPlN2at6native12_GLOBAL__N_18offset_tEEE10hipError_tPvRmT1_PNSt15iterator_traitsISL_E10value_typeET2_T3_PNSM_ISR_E10value_typeET4_jRbjT5_SX_jjP12ihipStream_tbEUlT_E_NS1_11comp_targetILNS1_3genE3ELNS1_11target_archE908ELNS1_3gpuE7ELNS1_3repE0EEENS1_30default_config_static_selectorELNS0_4arch9wavefront6targetE1EEEvSL_
    .private_segment_fixed_size: 0
    .sgpr_count:     4
    .sgpr_spill_count: 0
    .symbol:         _ZN7rocprim17ROCPRIM_400000_NS6detail17trampoline_kernelINS0_14default_configENS1_36segmented_radix_sort_config_selectorI12hip_bfloat16lEEZNS1_25segmented_radix_sort_implIS3_Lb0EPKS5_PS5_PKlPlN2at6native12_GLOBAL__N_18offset_tEEE10hipError_tPvRmT1_PNSt15iterator_traitsISL_E10value_typeET2_T3_PNSM_ISR_E10value_typeET4_jRbjT5_SX_jjP12ihipStream_tbEUlT_E_NS1_11comp_targetILNS1_3genE3ELNS1_11target_archE908ELNS1_3gpuE7ELNS1_3repE0EEENS1_30default_config_static_selectorELNS0_4arch9wavefront6targetE1EEEvSL_.kd
    .uniform_work_group_size: 1
    .uses_dynamic_stack: false
    .vgpr_count:     0
    .vgpr_spill_count: 0
    .wavefront_size: 64
  - .agpr_count:     0
    .args:
      - .offset:         0
        .size:           96
        .value_kind:     by_value
    .group_segment_fixed_size: 0
    .kernarg_segment_align: 8
    .kernarg_segment_size: 96
    .language:       OpenCL C
    .language_version:
      - 2
      - 0
    .max_flat_workgroup_size: 256
    .name:           _ZN7rocprim17ROCPRIM_400000_NS6detail17trampoline_kernelINS0_14default_configENS1_36segmented_radix_sort_config_selectorI12hip_bfloat16lEEZNS1_25segmented_radix_sort_implIS3_Lb0EPKS5_PS5_PKlPlN2at6native12_GLOBAL__N_18offset_tEEE10hipError_tPvRmT1_PNSt15iterator_traitsISL_E10value_typeET2_T3_PNSM_ISR_E10value_typeET4_jRbjT5_SX_jjP12ihipStream_tbEUlT_E_NS1_11comp_targetILNS1_3genE2ELNS1_11target_archE906ELNS1_3gpuE6ELNS1_3repE0EEENS1_30default_config_static_selectorELNS0_4arch9wavefront6targetE1EEEvSL_
    .private_segment_fixed_size: 0
    .sgpr_count:     4
    .sgpr_spill_count: 0
    .symbol:         _ZN7rocprim17ROCPRIM_400000_NS6detail17trampoline_kernelINS0_14default_configENS1_36segmented_radix_sort_config_selectorI12hip_bfloat16lEEZNS1_25segmented_radix_sort_implIS3_Lb0EPKS5_PS5_PKlPlN2at6native12_GLOBAL__N_18offset_tEEE10hipError_tPvRmT1_PNSt15iterator_traitsISL_E10value_typeET2_T3_PNSM_ISR_E10value_typeET4_jRbjT5_SX_jjP12ihipStream_tbEUlT_E_NS1_11comp_targetILNS1_3genE2ELNS1_11target_archE906ELNS1_3gpuE6ELNS1_3repE0EEENS1_30default_config_static_selectorELNS0_4arch9wavefront6targetE1EEEvSL_.kd
    .uniform_work_group_size: 1
    .uses_dynamic_stack: false
    .vgpr_count:     0
    .vgpr_spill_count: 0
    .wavefront_size: 64
  - .agpr_count:     0
    .args:
      - .offset:         0
        .size:           96
        .value_kind:     by_value
    .group_segment_fixed_size: 0
    .kernarg_segment_align: 8
    .kernarg_segment_size: 96
    .language:       OpenCL C
    .language_version:
      - 2
      - 0
    .max_flat_workgroup_size: 256
    .name:           _ZN7rocprim17ROCPRIM_400000_NS6detail17trampoline_kernelINS0_14default_configENS1_36segmented_radix_sort_config_selectorI12hip_bfloat16lEEZNS1_25segmented_radix_sort_implIS3_Lb0EPKS5_PS5_PKlPlN2at6native12_GLOBAL__N_18offset_tEEE10hipError_tPvRmT1_PNSt15iterator_traitsISL_E10value_typeET2_T3_PNSM_ISR_E10value_typeET4_jRbjT5_SX_jjP12ihipStream_tbEUlT_E_NS1_11comp_targetILNS1_3genE10ELNS1_11target_archE1201ELNS1_3gpuE5ELNS1_3repE0EEENS1_30default_config_static_selectorELNS0_4arch9wavefront6targetE1EEEvSL_
    .private_segment_fixed_size: 0
    .sgpr_count:     4
    .sgpr_spill_count: 0
    .symbol:         _ZN7rocprim17ROCPRIM_400000_NS6detail17trampoline_kernelINS0_14default_configENS1_36segmented_radix_sort_config_selectorI12hip_bfloat16lEEZNS1_25segmented_radix_sort_implIS3_Lb0EPKS5_PS5_PKlPlN2at6native12_GLOBAL__N_18offset_tEEE10hipError_tPvRmT1_PNSt15iterator_traitsISL_E10value_typeET2_T3_PNSM_ISR_E10value_typeET4_jRbjT5_SX_jjP12ihipStream_tbEUlT_E_NS1_11comp_targetILNS1_3genE10ELNS1_11target_archE1201ELNS1_3gpuE5ELNS1_3repE0EEENS1_30default_config_static_selectorELNS0_4arch9wavefront6targetE1EEEvSL_.kd
    .uniform_work_group_size: 1
    .uses_dynamic_stack: false
    .vgpr_count:     0
    .vgpr_spill_count: 0
    .wavefront_size: 64
  - .agpr_count:     0
    .args:
      - .offset:         0
        .size:           96
        .value_kind:     by_value
    .group_segment_fixed_size: 0
    .kernarg_segment_align: 8
    .kernarg_segment_size: 96
    .language:       OpenCL C
    .language_version:
      - 2
      - 0
    .max_flat_workgroup_size: 128
    .name:           _ZN7rocprim17ROCPRIM_400000_NS6detail17trampoline_kernelINS0_14default_configENS1_36segmented_radix_sort_config_selectorI12hip_bfloat16lEEZNS1_25segmented_radix_sort_implIS3_Lb0EPKS5_PS5_PKlPlN2at6native12_GLOBAL__N_18offset_tEEE10hipError_tPvRmT1_PNSt15iterator_traitsISL_E10value_typeET2_T3_PNSM_ISR_E10value_typeET4_jRbjT5_SX_jjP12ihipStream_tbEUlT_E_NS1_11comp_targetILNS1_3genE10ELNS1_11target_archE1200ELNS1_3gpuE4ELNS1_3repE0EEENS1_30default_config_static_selectorELNS0_4arch9wavefront6targetE1EEEvSL_
    .private_segment_fixed_size: 0
    .sgpr_count:     4
    .sgpr_spill_count: 0
    .symbol:         _ZN7rocprim17ROCPRIM_400000_NS6detail17trampoline_kernelINS0_14default_configENS1_36segmented_radix_sort_config_selectorI12hip_bfloat16lEEZNS1_25segmented_radix_sort_implIS3_Lb0EPKS5_PS5_PKlPlN2at6native12_GLOBAL__N_18offset_tEEE10hipError_tPvRmT1_PNSt15iterator_traitsISL_E10value_typeET2_T3_PNSM_ISR_E10value_typeET4_jRbjT5_SX_jjP12ihipStream_tbEUlT_E_NS1_11comp_targetILNS1_3genE10ELNS1_11target_archE1200ELNS1_3gpuE4ELNS1_3repE0EEENS1_30default_config_static_selectorELNS0_4arch9wavefront6targetE1EEEvSL_.kd
    .uniform_work_group_size: 1
    .uses_dynamic_stack: false
    .vgpr_count:     0
    .vgpr_spill_count: 0
    .wavefront_size: 64
  - .agpr_count:     0
    .args:
      - .offset:         0
        .size:           96
        .value_kind:     by_value
    .group_segment_fixed_size: 0
    .kernarg_segment_align: 8
    .kernarg_segment_size: 96
    .language:       OpenCL C
    .language_version:
      - 2
      - 0
    .max_flat_workgroup_size: 256
    .name:           _ZN7rocprim17ROCPRIM_400000_NS6detail17trampoline_kernelINS0_14default_configENS1_36segmented_radix_sort_config_selectorI12hip_bfloat16lEEZNS1_25segmented_radix_sort_implIS3_Lb0EPKS5_PS5_PKlPlN2at6native12_GLOBAL__N_18offset_tEEE10hipError_tPvRmT1_PNSt15iterator_traitsISL_E10value_typeET2_T3_PNSM_ISR_E10value_typeET4_jRbjT5_SX_jjP12ihipStream_tbEUlT_E_NS1_11comp_targetILNS1_3genE9ELNS1_11target_archE1100ELNS1_3gpuE3ELNS1_3repE0EEENS1_30default_config_static_selectorELNS0_4arch9wavefront6targetE1EEEvSL_
    .private_segment_fixed_size: 0
    .sgpr_count:     4
    .sgpr_spill_count: 0
    .symbol:         _ZN7rocprim17ROCPRIM_400000_NS6detail17trampoline_kernelINS0_14default_configENS1_36segmented_radix_sort_config_selectorI12hip_bfloat16lEEZNS1_25segmented_radix_sort_implIS3_Lb0EPKS5_PS5_PKlPlN2at6native12_GLOBAL__N_18offset_tEEE10hipError_tPvRmT1_PNSt15iterator_traitsISL_E10value_typeET2_T3_PNSM_ISR_E10value_typeET4_jRbjT5_SX_jjP12ihipStream_tbEUlT_E_NS1_11comp_targetILNS1_3genE9ELNS1_11target_archE1100ELNS1_3gpuE3ELNS1_3repE0EEENS1_30default_config_static_selectorELNS0_4arch9wavefront6targetE1EEEvSL_.kd
    .uniform_work_group_size: 1
    .uses_dynamic_stack: false
    .vgpr_count:     0
    .vgpr_spill_count: 0
    .wavefront_size: 64
  - .agpr_count:     0
    .args:
      - .offset:         0
        .size:           96
        .value_kind:     by_value
    .group_segment_fixed_size: 0
    .kernarg_segment_align: 8
    .kernarg_segment_size: 96
    .language:       OpenCL C
    .language_version:
      - 2
      - 0
    .max_flat_workgroup_size: 256
    .name:           _ZN7rocprim17ROCPRIM_400000_NS6detail17trampoline_kernelINS0_14default_configENS1_36segmented_radix_sort_config_selectorI12hip_bfloat16lEEZNS1_25segmented_radix_sort_implIS3_Lb0EPKS5_PS5_PKlPlN2at6native12_GLOBAL__N_18offset_tEEE10hipError_tPvRmT1_PNSt15iterator_traitsISL_E10value_typeET2_T3_PNSM_ISR_E10value_typeET4_jRbjT5_SX_jjP12ihipStream_tbEUlT_E_NS1_11comp_targetILNS1_3genE8ELNS1_11target_archE1030ELNS1_3gpuE2ELNS1_3repE0EEENS1_30default_config_static_selectorELNS0_4arch9wavefront6targetE1EEEvSL_
    .private_segment_fixed_size: 0
    .sgpr_count:     4
    .sgpr_spill_count: 0
    .symbol:         _ZN7rocprim17ROCPRIM_400000_NS6detail17trampoline_kernelINS0_14default_configENS1_36segmented_radix_sort_config_selectorI12hip_bfloat16lEEZNS1_25segmented_radix_sort_implIS3_Lb0EPKS5_PS5_PKlPlN2at6native12_GLOBAL__N_18offset_tEEE10hipError_tPvRmT1_PNSt15iterator_traitsISL_E10value_typeET2_T3_PNSM_ISR_E10value_typeET4_jRbjT5_SX_jjP12ihipStream_tbEUlT_E_NS1_11comp_targetILNS1_3genE8ELNS1_11target_archE1030ELNS1_3gpuE2ELNS1_3repE0EEENS1_30default_config_static_selectorELNS0_4arch9wavefront6targetE1EEEvSL_.kd
    .uniform_work_group_size: 1
    .uses_dynamic_stack: false
    .vgpr_count:     0
    .vgpr_spill_count: 0
    .wavefront_size: 64
  - .agpr_count:     0
    .args:
      - .offset:         0
        .size:           88
        .value_kind:     by_value
    .group_segment_fixed_size: 0
    .kernarg_segment_align: 8
    .kernarg_segment_size: 88
    .language:       OpenCL C
    .language_version:
      - 2
      - 0
    .max_flat_workgroup_size: 256
    .name:           _ZN7rocprim17ROCPRIM_400000_NS6detail17trampoline_kernelINS0_14default_configENS1_36segmented_radix_sort_config_selectorI12hip_bfloat16lEEZNS1_25segmented_radix_sort_implIS3_Lb0EPKS5_PS5_PKlPlN2at6native12_GLOBAL__N_18offset_tEEE10hipError_tPvRmT1_PNSt15iterator_traitsISL_E10value_typeET2_T3_PNSM_ISR_E10value_typeET4_jRbjT5_SX_jjP12ihipStream_tbEUlT_E0_NS1_11comp_targetILNS1_3genE0ELNS1_11target_archE4294967295ELNS1_3gpuE0ELNS1_3repE0EEENS1_60segmented_radix_sort_warp_sort_medium_config_static_selectorELNS0_4arch9wavefront6targetE1EEEvSL_
    .private_segment_fixed_size: 0
    .sgpr_count:     4
    .sgpr_spill_count: 0
    .symbol:         _ZN7rocprim17ROCPRIM_400000_NS6detail17trampoline_kernelINS0_14default_configENS1_36segmented_radix_sort_config_selectorI12hip_bfloat16lEEZNS1_25segmented_radix_sort_implIS3_Lb0EPKS5_PS5_PKlPlN2at6native12_GLOBAL__N_18offset_tEEE10hipError_tPvRmT1_PNSt15iterator_traitsISL_E10value_typeET2_T3_PNSM_ISR_E10value_typeET4_jRbjT5_SX_jjP12ihipStream_tbEUlT_E0_NS1_11comp_targetILNS1_3genE0ELNS1_11target_archE4294967295ELNS1_3gpuE0ELNS1_3repE0EEENS1_60segmented_radix_sort_warp_sort_medium_config_static_selectorELNS0_4arch9wavefront6targetE1EEEvSL_.kd
    .uniform_work_group_size: 1
    .uses_dynamic_stack: false
    .vgpr_count:     0
    .vgpr_spill_count: 0
    .wavefront_size: 64
  - .agpr_count:     0
    .args:
      - .offset:         0
        .size:           88
        .value_kind:     by_value
    .group_segment_fixed_size: 0
    .kernarg_segment_align: 8
    .kernarg_segment_size: 88
    .language:       OpenCL C
    .language_version:
      - 2
      - 0
    .max_flat_workgroup_size: 256
    .name:           _ZN7rocprim17ROCPRIM_400000_NS6detail17trampoline_kernelINS0_14default_configENS1_36segmented_radix_sort_config_selectorI12hip_bfloat16lEEZNS1_25segmented_radix_sort_implIS3_Lb0EPKS5_PS5_PKlPlN2at6native12_GLOBAL__N_18offset_tEEE10hipError_tPvRmT1_PNSt15iterator_traitsISL_E10value_typeET2_T3_PNSM_ISR_E10value_typeET4_jRbjT5_SX_jjP12ihipStream_tbEUlT_E0_NS1_11comp_targetILNS1_3genE5ELNS1_11target_archE942ELNS1_3gpuE9ELNS1_3repE0EEENS1_60segmented_radix_sort_warp_sort_medium_config_static_selectorELNS0_4arch9wavefront6targetE1EEEvSL_
    .private_segment_fixed_size: 0
    .sgpr_count:     4
    .sgpr_spill_count: 0
    .symbol:         _ZN7rocprim17ROCPRIM_400000_NS6detail17trampoline_kernelINS0_14default_configENS1_36segmented_radix_sort_config_selectorI12hip_bfloat16lEEZNS1_25segmented_radix_sort_implIS3_Lb0EPKS5_PS5_PKlPlN2at6native12_GLOBAL__N_18offset_tEEE10hipError_tPvRmT1_PNSt15iterator_traitsISL_E10value_typeET2_T3_PNSM_ISR_E10value_typeET4_jRbjT5_SX_jjP12ihipStream_tbEUlT_E0_NS1_11comp_targetILNS1_3genE5ELNS1_11target_archE942ELNS1_3gpuE9ELNS1_3repE0EEENS1_60segmented_radix_sort_warp_sort_medium_config_static_selectorELNS0_4arch9wavefront6targetE1EEEvSL_.kd
    .uniform_work_group_size: 1
    .uses_dynamic_stack: false
    .vgpr_count:     0
    .vgpr_spill_count: 0
    .wavefront_size: 64
  - .agpr_count:     0
    .args:
      - .offset:         0
        .size:           88
        .value_kind:     by_value
      - .offset:         88
        .size:           4
        .value_kind:     hidden_block_count_x
      - .offset:         92
        .size:           4
        .value_kind:     hidden_block_count_y
      - .offset:         96
        .size:           4
        .value_kind:     hidden_block_count_z
      - .offset:         100
        .size:           2
        .value_kind:     hidden_group_size_x
      - .offset:         102
        .size:           2
        .value_kind:     hidden_group_size_y
      - .offset:         104
        .size:           2
        .value_kind:     hidden_group_size_z
      - .offset:         106
        .size:           2
        .value_kind:     hidden_remainder_x
      - .offset:         108
        .size:           2
        .value_kind:     hidden_remainder_y
      - .offset:         110
        .size:           2
        .value_kind:     hidden_remainder_z
      - .offset:         128
        .size:           8
        .value_kind:     hidden_global_offset_x
      - .offset:         136
        .size:           8
        .value_kind:     hidden_global_offset_y
      - .offset:         144
        .size:           8
        .value_kind:     hidden_global_offset_z
      - .offset:         152
        .size:           2
        .value_kind:     hidden_grid_dims
      - .offset:         168
        .size:           8
        .value_kind:     hidden_hostcall_buffer
      - .offset:         176
        .size:           8
        .value_kind:     hidden_multigrid_sync_arg
      - .offset:         184
        .size:           8
        .value_kind:     hidden_heap_v1
      - .offset:         192
        .size:           8
        .value_kind:     hidden_default_queue
      - .offset:         200
        .size:           8
        .value_kind:     hidden_completion_action
      - .offset:         288
        .size:           8
        .value_kind:     hidden_queue_ptr
    .group_segment_fixed_size: 20480
    .kernarg_segment_align: 8
    .kernarg_segment_size: 344
    .language:       OpenCL C
    .language_version:
      - 2
      - 0
    .max_flat_workgroup_size: 256
    .name:           _ZN7rocprim17ROCPRIM_400000_NS6detail17trampoline_kernelINS0_14default_configENS1_36segmented_radix_sort_config_selectorI12hip_bfloat16lEEZNS1_25segmented_radix_sort_implIS3_Lb0EPKS5_PS5_PKlPlN2at6native12_GLOBAL__N_18offset_tEEE10hipError_tPvRmT1_PNSt15iterator_traitsISL_E10value_typeET2_T3_PNSM_ISR_E10value_typeET4_jRbjT5_SX_jjP12ihipStream_tbEUlT_E0_NS1_11comp_targetILNS1_3genE4ELNS1_11target_archE910ELNS1_3gpuE8ELNS1_3repE0EEENS1_60segmented_radix_sort_warp_sort_medium_config_static_selectorELNS0_4arch9wavefront6targetE1EEEvSL_
    .private_segment_fixed_size: 8
    .sgpr_count:     66
    .sgpr_spill_count: 0
    .symbol:         _ZN7rocprim17ROCPRIM_400000_NS6detail17trampoline_kernelINS0_14default_configENS1_36segmented_radix_sort_config_selectorI12hip_bfloat16lEEZNS1_25segmented_radix_sort_implIS3_Lb0EPKS5_PS5_PKlPlN2at6native12_GLOBAL__N_18offset_tEEE10hipError_tPvRmT1_PNSt15iterator_traitsISL_E10value_typeET2_T3_PNSM_ISR_E10value_typeET4_jRbjT5_SX_jjP12ihipStream_tbEUlT_E0_NS1_11comp_targetILNS1_3genE4ELNS1_11target_archE910ELNS1_3gpuE8ELNS1_3repE0EEENS1_60segmented_radix_sort_warp_sort_medium_config_static_selectorELNS0_4arch9wavefront6targetE1EEEvSL_.kd
    .uniform_work_group_size: 1
    .uses_dynamic_stack: false
    .vgpr_count:     72
    .vgpr_spill_count: 0
    .wavefront_size: 64
  - .agpr_count:     0
    .args:
      - .offset:         0
        .size:           88
        .value_kind:     by_value
    .group_segment_fixed_size: 0
    .kernarg_segment_align: 8
    .kernarg_segment_size: 88
    .language:       OpenCL C
    .language_version:
      - 2
      - 0
    .max_flat_workgroup_size: 256
    .name:           _ZN7rocprim17ROCPRIM_400000_NS6detail17trampoline_kernelINS0_14default_configENS1_36segmented_radix_sort_config_selectorI12hip_bfloat16lEEZNS1_25segmented_radix_sort_implIS3_Lb0EPKS5_PS5_PKlPlN2at6native12_GLOBAL__N_18offset_tEEE10hipError_tPvRmT1_PNSt15iterator_traitsISL_E10value_typeET2_T3_PNSM_ISR_E10value_typeET4_jRbjT5_SX_jjP12ihipStream_tbEUlT_E0_NS1_11comp_targetILNS1_3genE3ELNS1_11target_archE908ELNS1_3gpuE7ELNS1_3repE0EEENS1_60segmented_radix_sort_warp_sort_medium_config_static_selectorELNS0_4arch9wavefront6targetE1EEEvSL_
    .private_segment_fixed_size: 0
    .sgpr_count:     4
    .sgpr_spill_count: 0
    .symbol:         _ZN7rocprim17ROCPRIM_400000_NS6detail17trampoline_kernelINS0_14default_configENS1_36segmented_radix_sort_config_selectorI12hip_bfloat16lEEZNS1_25segmented_radix_sort_implIS3_Lb0EPKS5_PS5_PKlPlN2at6native12_GLOBAL__N_18offset_tEEE10hipError_tPvRmT1_PNSt15iterator_traitsISL_E10value_typeET2_T3_PNSM_ISR_E10value_typeET4_jRbjT5_SX_jjP12ihipStream_tbEUlT_E0_NS1_11comp_targetILNS1_3genE3ELNS1_11target_archE908ELNS1_3gpuE7ELNS1_3repE0EEENS1_60segmented_radix_sort_warp_sort_medium_config_static_selectorELNS0_4arch9wavefront6targetE1EEEvSL_.kd
    .uniform_work_group_size: 1
    .uses_dynamic_stack: false
    .vgpr_count:     0
    .vgpr_spill_count: 0
    .wavefront_size: 64
  - .agpr_count:     0
    .args:
      - .offset:         0
        .size:           88
        .value_kind:     by_value
    .group_segment_fixed_size: 0
    .kernarg_segment_align: 8
    .kernarg_segment_size: 88
    .language:       OpenCL C
    .language_version:
      - 2
      - 0
    .max_flat_workgroup_size: 256
    .name:           _ZN7rocprim17ROCPRIM_400000_NS6detail17trampoline_kernelINS0_14default_configENS1_36segmented_radix_sort_config_selectorI12hip_bfloat16lEEZNS1_25segmented_radix_sort_implIS3_Lb0EPKS5_PS5_PKlPlN2at6native12_GLOBAL__N_18offset_tEEE10hipError_tPvRmT1_PNSt15iterator_traitsISL_E10value_typeET2_T3_PNSM_ISR_E10value_typeET4_jRbjT5_SX_jjP12ihipStream_tbEUlT_E0_NS1_11comp_targetILNS1_3genE2ELNS1_11target_archE906ELNS1_3gpuE6ELNS1_3repE0EEENS1_60segmented_radix_sort_warp_sort_medium_config_static_selectorELNS0_4arch9wavefront6targetE1EEEvSL_
    .private_segment_fixed_size: 0
    .sgpr_count:     4
    .sgpr_spill_count: 0
    .symbol:         _ZN7rocprim17ROCPRIM_400000_NS6detail17trampoline_kernelINS0_14default_configENS1_36segmented_radix_sort_config_selectorI12hip_bfloat16lEEZNS1_25segmented_radix_sort_implIS3_Lb0EPKS5_PS5_PKlPlN2at6native12_GLOBAL__N_18offset_tEEE10hipError_tPvRmT1_PNSt15iterator_traitsISL_E10value_typeET2_T3_PNSM_ISR_E10value_typeET4_jRbjT5_SX_jjP12ihipStream_tbEUlT_E0_NS1_11comp_targetILNS1_3genE2ELNS1_11target_archE906ELNS1_3gpuE6ELNS1_3repE0EEENS1_60segmented_radix_sort_warp_sort_medium_config_static_selectorELNS0_4arch9wavefront6targetE1EEEvSL_.kd
    .uniform_work_group_size: 1
    .uses_dynamic_stack: false
    .vgpr_count:     0
    .vgpr_spill_count: 0
    .wavefront_size: 64
  - .agpr_count:     0
    .args:
      - .offset:         0
        .size:           88
        .value_kind:     by_value
    .group_segment_fixed_size: 0
    .kernarg_segment_align: 8
    .kernarg_segment_size: 88
    .language:       OpenCL C
    .language_version:
      - 2
      - 0
    .max_flat_workgroup_size: 256
    .name:           _ZN7rocprim17ROCPRIM_400000_NS6detail17trampoline_kernelINS0_14default_configENS1_36segmented_radix_sort_config_selectorI12hip_bfloat16lEEZNS1_25segmented_radix_sort_implIS3_Lb0EPKS5_PS5_PKlPlN2at6native12_GLOBAL__N_18offset_tEEE10hipError_tPvRmT1_PNSt15iterator_traitsISL_E10value_typeET2_T3_PNSM_ISR_E10value_typeET4_jRbjT5_SX_jjP12ihipStream_tbEUlT_E0_NS1_11comp_targetILNS1_3genE10ELNS1_11target_archE1201ELNS1_3gpuE5ELNS1_3repE0EEENS1_60segmented_radix_sort_warp_sort_medium_config_static_selectorELNS0_4arch9wavefront6targetE1EEEvSL_
    .private_segment_fixed_size: 0
    .sgpr_count:     4
    .sgpr_spill_count: 0
    .symbol:         _ZN7rocprim17ROCPRIM_400000_NS6detail17trampoline_kernelINS0_14default_configENS1_36segmented_radix_sort_config_selectorI12hip_bfloat16lEEZNS1_25segmented_radix_sort_implIS3_Lb0EPKS5_PS5_PKlPlN2at6native12_GLOBAL__N_18offset_tEEE10hipError_tPvRmT1_PNSt15iterator_traitsISL_E10value_typeET2_T3_PNSM_ISR_E10value_typeET4_jRbjT5_SX_jjP12ihipStream_tbEUlT_E0_NS1_11comp_targetILNS1_3genE10ELNS1_11target_archE1201ELNS1_3gpuE5ELNS1_3repE0EEENS1_60segmented_radix_sort_warp_sort_medium_config_static_selectorELNS0_4arch9wavefront6targetE1EEEvSL_.kd
    .uniform_work_group_size: 1
    .uses_dynamic_stack: false
    .vgpr_count:     0
    .vgpr_spill_count: 0
    .wavefront_size: 64
  - .agpr_count:     0
    .args:
      - .offset:         0
        .size:           88
        .value_kind:     by_value
    .group_segment_fixed_size: 0
    .kernarg_segment_align: 8
    .kernarg_segment_size: 88
    .language:       OpenCL C
    .language_version:
      - 2
      - 0
    .max_flat_workgroup_size: 256
    .name:           _ZN7rocprim17ROCPRIM_400000_NS6detail17trampoline_kernelINS0_14default_configENS1_36segmented_radix_sort_config_selectorI12hip_bfloat16lEEZNS1_25segmented_radix_sort_implIS3_Lb0EPKS5_PS5_PKlPlN2at6native12_GLOBAL__N_18offset_tEEE10hipError_tPvRmT1_PNSt15iterator_traitsISL_E10value_typeET2_T3_PNSM_ISR_E10value_typeET4_jRbjT5_SX_jjP12ihipStream_tbEUlT_E0_NS1_11comp_targetILNS1_3genE10ELNS1_11target_archE1200ELNS1_3gpuE4ELNS1_3repE0EEENS1_60segmented_radix_sort_warp_sort_medium_config_static_selectorELNS0_4arch9wavefront6targetE1EEEvSL_
    .private_segment_fixed_size: 0
    .sgpr_count:     4
    .sgpr_spill_count: 0
    .symbol:         _ZN7rocprim17ROCPRIM_400000_NS6detail17trampoline_kernelINS0_14default_configENS1_36segmented_radix_sort_config_selectorI12hip_bfloat16lEEZNS1_25segmented_radix_sort_implIS3_Lb0EPKS5_PS5_PKlPlN2at6native12_GLOBAL__N_18offset_tEEE10hipError_tPvRmT1_PNSt15iterator_traitsISL_E10value_typeET2_T3_PNSM_ISR_E10value_typeET4_jRbjT5_SX_jjP12ihipStream_tbEUlT_E0_NS1_11comp_targetILNS1_3genE10ELNS1_11target_archE1200ELNS1_3gpuE4ELNS1_3repE0EEENS1_60segmented_radix_sort_warp_sort_medium_config_static_selectorELNS0_4arch9wavefront6targetE1EEEvSL_.kd
    .uniform_work_group_size: 1
    .uses_dynamic_stack: false
    .vgpr_count:     0
    .vgpr_spill_count: 0
    .wavefront_size: 64
  - .agpr_count:     0
    .args:
      - .offset:         0
        .size:           88
        .value_kind:     by_value
    .group_segment_fixed_size: 0
    .kernarg_segment_align: 8
    .kernarg_segment_size: 88
    .language:       OpenCL C
    .language_version:
      - 2
      - 0
    .max_flat_workgroup_size: 256
    .name:           _ZN7rocprim17ROCPRIM_400000_NS6detail17trampoline_kernelINS0_14default_configENS1_36segmented_radix_sort_config_selectorI12hip_bfloat16lEEZNS1_25segmented_radix_sort_implIS3_Lb0EPKS5_PS5_PKlPlN2at6native12_GLOBAL__N_18offset_tEEE10hipError_tPvRmT1_PNSt15iterator_traitsISL_E10value_typeET2_T3_PNSM_ISR_E10value_typeET4_jRbjT5_SX_jjP12ihipStream_tbEUlT_E0_NS1_11comp_targetILNS1_3genE9ELNS1_11target_archE1100ELNS1_3gpuE3ELNS1_3repE0EEENS1_60segmented_radix_sort_warp_sort_medium_config_static_selectorELNS0_4arch9wavefront6targetE1EEEvSL_
    .private_segment_fixed_size: 0
    .sgpr_count:     4
    .sgpr_spill_count: 0
    .symbol:         _ZN7rocprim17ROCPRIM_400000_NS6detail17trampoline_kernelINS0_14default_configENS1_36segmented_radix_sort_config_selectorI12hip_bfloat16lEEZNS1_25segmented_radix_sort_implIS3_Lb0EPKS5_PS5_PKlPlN2at6native12_GLOBAL__N_18offset_tEEE10hipError_tPvRmT1_PNSt15iterator_traitsISL_E10value_typeET2_T3_PNSM_ISR_E10value_typeET4_jRbjT5_SX_jjP12ihipStream_tbEUlT_E0_NS1_11comp_targetILNS1_3genE9ELNS1_11target_archE1100ELNS1_3gpuE3ELNS1_3repE0EEENS1_60segmented_radix_sort_warp_sort_medium_config_static_selectorELNS0_4arch9wavefront6targetE1EEEvSL_.kd
    .uniform_work_group_size: 1
    .uses_dynamic_stack: false
    .vgpr_count:     0
    .vgpr_spill_count: 0
    .wavefront_size: 64
  - .agpr_count:     0
    .args:
      - .offset:         0
        .size:           88
        .value_kind:     by_value
    .group_segment_fixed_size: 0
    .kernarg_segment_align: 8
    .kernarg_segment_size: 88
    .language:       OpenCL C
    .language_version:
      - 2
      - 0
    .max_flat_workgroup_size: 256
    .name:           _ZN7rocprim17ROCPRIM_400000_NS6detail17trampoline_kernelINS0_14default_configENS1_36segmented_radix_sort_config_selectorI12hip_bfloat16lEEZNS1_25segmented_radix_sort_implIS3_Lb0EPKS5_PS5_PKlPlN2at6native12_GLOBAL__N_18offset_tEEE10hipError_tPvRmT1_PNSt15iterator_traitsISL_E10value_typeET2_T3_PNSM_ISR_E10value_typeET4_jRbjT5_SX_jjP12ihipStream_tbEUlT_E0_NS1_11comp_targetILNS1_3genE8ELNS1_11target_archE1030ELNS1_3gpuE2ELNS1_3repE0EEENS1_60segmented_radix_sort_warp_sort_medium_config_static_selectorELNS0_4arch9wavefront6targetE1EEEvSL_
    .private_segment_fixed_size: 0
    .sgpr_count:     4
    .sgpr_spill_count: 0
    .symbol:         _ZN7rocprim17ROCPRIM_400000_NS6detail17trampoline_kernelINS0_14default_configENS1_36segmented_radix_sort_config_selectorI12hip_bfloat16lEEZNS1_25segmented_radix_sort_implIS3_Lb0EPKS5_PS5_PKlPlN2at6native12_GLOBAL__N_18offset_tEEE10hipError_tPvRmT1_PNSt15iterator_traitsISL_E10value_typeET2_T3_PNSM_ISR_E10value_typeET4_jRbjT5_SX_jjP12ihipStream_tbEUlT_E0_NS1_11comp_targetILNS1_3genE8ELNS1_11target_archE1030ELNS1_3gpuE2ELNS1_3repE0EEENS1_60segmented_radix_sort_warp_sort_medium_config_static_selectorELNS0_4arch9wavefront6targetE1EEEvSL_.kd
    .uniform_work_group_size: 1
    .uses_dynamic_stack: false
    .vgpr_count:     0
    .vgpr_spill_count: 0
    .wavefront_size: 64
  - .agpr_count:     0
    .args:
      - .offset:         0
        .size:           88
        .value_kind:     by_value
    .group_segment_fixed_size: 0
    .kernarg_segment_align: 8
    .kernarg_segment_size: 88
    .language:       OpenCL C
    .language_version:
      - 2
      - 0
    .max_flat_workgroup_size: 256
    .name:           _ZN7rocprim17ROCPRIM_400000_NS6detail17trampoline_kernelINS0_14default_configENS1_36segmented_radix_sort_config_selectorI12hip_bfloat16lEEZNS1_25segmented_radix_sort_implIS3_Lb0EPKS5_PS5_PKlPlN2at6native12_GLOBAL__N_18offset_tEEE10hipError_tPvRmT1_PNSt15iterator_traitsISL_E10value_typeET2_T3_PNSM_ISR_E10value_typeET4_jRbjT5_SX_jjP12ihipStream_tbEUlT_E1_NS1_11comp_targetILNS1_3genE0ELNS1_11target_archE4294967295ELNS1_3gpuE0ELNS1_3repE0EEENS1_59segmented_radix_sort_warp_sort_small_config_static_selectorELNS0_4arch9wavefront6targetE1EEEvSL_
    .private_segment_fixed_size: 0
    .sgpr_count:     4
    .sgpr_spill_count: 0
    .symbol:         _ZN7rocprim17ROCPRIM_400000_NS6detail17trampoline_kernelINS0_14default_configENS1_36segmented_radix_sort_config_selectorI12hip_bfloat16lEEZNS1_25segmented_radix_sort_implIS3_Lb0EPKS5_PS5_PKlPlN2at6native12_GLOBAL__N_18offset_tEEE10hipError_tPvRmT1_PNSt15iterator_traitsISL_E10value_typeET2_T3_PNSM_ISR_E10value_typeET4_jRbjT5_SX_jjP12ihipStream_tbEUlT_E1_NS1_11comp_targetILNS1_3genE0ELNS1_11target_archE4294967295ELNS1_3gpuE0ELNS1_3repE0EEENS1_59segmented_radix_sort_warp_sort_small_config_static_selectorELNS0_4arch9wavefront6targetE1EEEvSL_.kd
    .uniform_work_group_size: 1
    .uses_dynamic_stack: false
    .vgpr_count:     0
    .vgpr_spill_count: 0
    .wavefront_size: 64
  - .agpr_count:     0
    .args:
      - .offset:         0
        .size:           88
        .value_kind:     by_value
    .group_segment_fixed_size: 0
    .kernarg_segment_align: 8
    .kernarg_segment_size: 88
    .language:       OpenCL C
    .language_version:
      - 2
      - 0
    .max_flat_workgroup_size: 256
    .name:           _ZN7rocprim17ROCPRIM_400000_NS6detail17trampoline_kernelINS0_14default_configENS1_36segmented_radix_sort_config_selectorI12hip_bfloat16lEEZNS1_25segmented_radix_sort_implIS3_Lb0EPKS5_PS5_PKlPlN2at6native12_GLOBAL__N_18offset_tEEE10hipError_tPvRmT1_PNSt15iterator_traitsISL_E10value_typeET2_T3_PNSM_ISR_E10value_typeET4_jRbjT5_SX_jjP12ihipStream_tbEUlT_E1_NS1_11comp_targetILNS1_3genE5ELNS1_11target_archE942ELNS1_3gpuE9ELNS1_3repE0EEENS1_59segmented_radix_sort_warp_sort_small_config_static_selectorELNS0_4arch9wavefront6targetE1EEEvSL_
    .private_segment_fixed_size: 0
    .sgpr_count:     4
    .sgpr_spill_count: 0
    .symbol:         _ZN7rocprim17ROCPRIM_400000_NS6detail17trampoline_kernelINS0_14default_configENS1_36segmented_radix_sort_config_selectorI12hip_bfloat16lEEZNS1_25segmented_radix_sort_implIS3_Lb0EPKS5_PS5_PKlPlN2at6native12_GLOBAL__N_18offset_tEEE10hipError_tPvRmT1_PNSt15iterator_traitsISL_E10value_typeET2_T3_PNSM_ISR_E10value_typeET4_jRbjT5_SX_jjP12ihipStream_tbEUlT_E1_NS1_11comp_targetILNS1_3genE5ELNS1_11target_archE942ELNS1_3gpuE9ELNS1_3repE0EEENS1_59segmented_radix_sort_warp_sort_small_config_static_selectorELNS0_4arch9wavefront6targetE1EEEvSL_.kd
    .uniform_work_group_size: 1
    .uses_dynamic_stack: false
    .vgpr_count:     0
    .vgpr_spill_count: 0
    .wavefront_size: 64
  - .agpr_count:     0
    .args:
      - .offset:         0
        .size:           88
        .value_kind:     by_value
      - .offset:         88
        .size:           4
        .value_kind:     hidden_block_count_x
      - .offset:         92
        .size:           4
        .value_kind:     hidden_block_count_y
      - .offset:         96
        .size:           4
        .value_kind:     hidden_block_count_z
      - .offset:         100
        .size:           2
        .value_kind:     hidden_group_size_x
      - .offset:         102
        .size:           2
        .value_kind:     hidden_group_size_y
      - .offset:         104
        .size:           2
        .value_kind:     hidden_group_size_z
      - .offset:         106
        .size:           2
        .value_kind:     hidden_remainder_x
      - .offset:         108
        .size:           2
        .value_kind:     hidden_remainder_y
      - .offset:         110
        .size:           2
        .value_kind:     hidden_remainder_z
      - .offset:         128
        .size:           8
        .value_kind:     hidden_global_offset_x
      - .offset:         136
        .size:           8
        .value_kind:     hidden_global_offset_y
      - .offset:         144
        .size:           8
        .value_kind:     hidden_global_offset_z
      - .offset:         152
        .size:           2
        .value_kind:     hidden_grid_dims
      - .offset:         168
        .size:           8
        .value_kind:     hidden_hostcall_buffer
      - .offset:         176
        .size:           8
        .value_kind:     hidden_multigrid_sync_arg
      - .offset:         184
        .size:           8
        .value_kind:     hidden_heap_v1
      - .offset:         192
        .size:           8
        .value_kind:     hidden_default_queue
      - .offset:         200
        .size:           8
        .value_kind:     hidden_completion_action
      - .offset:         288
        .size:           8
        .value_kind:     hidden_queue_ptr
    .group_segment_fixed_size: 10240
    .kernarg_segment_align: 8
    .kernarg_segment_size: 344
    .language:       OpenCL C
    .language_version:
      - 2
      - 0
    .max_flat_workgroup_size: 256
    .name:           _ZN7rocprim17ROCPRIM_400000_NS6detail17trampoline_kernelINS0_14default_configENS1_36segmented_radix_sort_config_selectorI12hip_bfloat16lEEZNS1_25segmented_radix_sort_implIS3_Lb0EPKS5_PS5_PKlPlN2at6native12_GLOBAL__N_18offset_tEEE10hipError_tPvRmT1_PNSt15iterator_traitsISL_E10value_typeET2_T3_PNSM_ISR_E10value_typeET4_jRbjT5_SX_jjP12ihipStream_tbEUlT_E1_NS1_11comp_targetILNS1_3genE4ELNS1_11target_archE910ELNS1_3gpuE8ELNS1_3repE0EEENS1_59segmented_radix_sort_warp_sort_small_config_static_selectorELNS0_4arch9wavefront6targetE1EEEvSL_
    .private_segment_fixed_size: 0
    .sgpr_count:     54
    .sgpr_spill_count: 0
    .symbol:         _ZN7rocprim17ROCPRIM_400000_NS6detail17trampoline_kernelINS0_14default_configENS1_36segmented_radix_sort_config_selectorI12hip_bfloat16lEEZNS1_25segmented_radix_sort_implIS3_Lb0EPKS5_PS5_PKlPlN2at6native12_GLOBAL__N_18offset_tEEE10hipError_tPvRmT1_PNSt15iterator_traitsISL_E10value_typeET2_T3_PNSM_ISR_E10value_typeET4_jRbjT5_SX_jjP12ihipStream_tbEUlT_E1_NS1_11comp_targetILNS1_3genE4ELNS1_11target_archE910ELNS1_3gpuE8ELNS1_3repE0EEENS1_59segmented_radix_sort_warp_sort_small_config_static_selectorELNS0_4arch9wavefront6targetE1EEEvSL_.kd
    .uniform_work_group_size: 1
    .uses_dynamic_stack: false
    .vgpr_count:     70
    .vgpr_spill_count: 0
    .wavefront_size: 64
  - .agpr_count:     0
    .args:
      - .offset:         0
        .size:           88
        .value_kind:     by_value
    .group_segment_fixed_size: 0
    .kernarg_segment_align: 8
    .kernarg_segment_size: 88
    .language:       OpenCL C
    .language_version:
      - 2
      - 0
    .max_flat_workgroup_size: 256
    .name:           _ZN7rocprim17ROCPRIM_400000_NS6detail17trampoline_kernelINS0_14default_configENS1_36segmented_radix_sort_config_selectorI12hip_bfloat16lEEZNS1_25segmented_radix_sort_implIS3_Lb0EPKS5_PS5_PKlPlN2at6native12_GLOBAL__N_18offset_tEEE10hipError_tPvRmT1_PNSt15iterator_traitsISL_E10value_typeET2_T3_PNSM_ISR_E10value_typeET4_jRbjT5_SX_jjP12ihipStream_tbEUlT_E1_NS1_11comp_targetILNS1_3genE3ELNS1_11target_archE908ELNS1_3gpuE7ELNS1_3repE0EEENS1_59segmented_radix_sort_warp_sort_small_config_static_selectorELNS0_4arch9wavefront6targetE1EEEvSL_
    .private_segment_fixed_size: 0
    .sgpr_count:     4
    .sgpr_spill_count: 0
    .symbol:         _ZN7rocprim17ROCPRIM_400000_NS6detail17trampoline_kernelINS0_14default_configENS1_36segmented_radix_sort_config_selectorI12hip_bfloat16lEEZNS1_25segmented_radix_sort_implIS3_Lb0EPKS5_PS5_PKlPlN2at6native12_GLOBAL__N_18offset_tEEE10hipError_tPvRmT1_PNSt15iterator_traitsISL_E10value_typeET2_T3_PNSM_ISR_E10value_typeET4_jRbjT5_SX_jjP12ihipStream_tbEUlT_E1_NS1_11comp_targetILNS1_3genE3ELNS1_11target_archE908ELNS1_3gpuE7ELNS1_3repE0EEENS1_59segmented_radix_sort_warp_sort_small_config_static_selectorELNS0_4arch9wavefront6targetE1EEEvSL_.kd
    .uniform_work_group_size: 1
    .uses_dynamic_stack: false
    .vgpr_count:     0
    .vgpr_spill_count: 0
    .wavefront_size: 64
  - .agpr_count:     0
    .args:
      - .offset:         0
        .size:           88
        .value_kind:     by_value
    .group_segment_fixed_size: 0
    .kernarg_segment_align: 8
    .kernarg_segment_size: 88
    .language:       OpenCL C
    .language_version:
      - 2
      - 0
    .max_flat_workgroup_size: 256
    .name:           _ZN7rocprim17ROCPRIM_400000_NS6detail17trampoline_kernelINS0_14default_configENS1_36segmented_radix_sort_config_selectorI12hip_bfloat16lEEZNS1_25segmented_radix_sort_implIS3_Lb0EPKS5_PS5_PKlPlN2at6native12_GLOBAL__N_18offset_tEEE10hipError_tPvRmT1_PNSt15iterator_traitsISL_E10value_typeET2_T3_PNSM_ISR_E10value_typeET4_jRbjT5_SX_jjP12ihipStream_tbEUlT_E1_NS1_11comp_targetILNS1_3genE2ELNS1_11target_archE906ELNS1_3gpuE6ELNS1_3repE0EEENS1_59segmented_radix_sort_warp_sort_small_config_static_selectorELNS0_4arch9wavefront6targetE1EEEvSL_
    .private_segment_fixed_size: 0
    .sgpr_count:     4
    .sgpr_spill_count: 0
    .symbol:         _ZN7rocprim17ROCPRIM_400000_NS6detail17trampoline_kernelINS0_14default_configENS1_36segmented_radix_sort_config_selectorI12hip_bfloat16lEEZNS1_25segmented_radix_sort_implIS3_Lb0EPKS5_PS5_PKlPlN2at6native12_GLOBAL__N_18offset_tEEE10hipError_tPvRmT1_PNSt15iterator_traitsISL_E10value_typeET2_T3_PNSM_ISR_E10value_typeET4_jRbjT5_SX_jjP12ihipStream_tbEUlT_E1_NS1_11comp_targetILNS1_3genE2ELNS1_11target_archE906ELNS1_3gpuE6ELNS1_3repE0EEENS1_59segmented_radix_sort_warp_sort_small_config_static_selectorELNS0_4arch9wavefront6targetE1EEEvSL_.kd
    .uniform_work_group_size: 1
    .uses_dynamic_stack: false
    .vgpr_count:     0
    .vgpr_spill_count: 0
    .wavefront_size: 64
  - .agpr_count:     0
    .args:
      - .offset:         0
        .size:           88
        .value_kind:     by_value
    .group_segment_fixed_size: 0
    .kernarg_segment_align: 8
    .kernarg_segment_size: 88
    .language:       OpenCL C
    .language_version:
      - 2
      - 0
    .max_flat_workgroup_size: 256
    .name:           _ZN7rocprim17ROCPRIM_400000_NS6detail17trampoline_kernelINS0_14default_configENS1_36segmented_radix_sort_config_selectorI12hip_bfloat16lEEZNS1_25segmented_radix_sort_implIS3_Lb0EPKS5_PS5_PKlPlN2at6native12_GLOBAL__N_18offset_tEEE10hipError_tPvRmT1_PNSt15iterator_traitsISL_E10value_typeET2_T3_PNSM_ISR_E10value_typeET4_jRbjT5_SX_jjP12ihipStream_tbEUlT_E1_NS1_11comp_targetILNS1_3genE10ELNS1_11target_archE1201ELNS1_3gpuE5ELNS1_3repE0EEENS1_59segmented_radix_sort_warp_sort_small_config_static_selectorELNS0_4arch9wavefront6targetE1EEEvSL_
    .private_segment_fixed_size: 0
    .sgpr_count:     4
    .sgpr_spill_count: 0
    .symbol:         _ZN7rocprim17ROCPRIM_400000_NS6detail17trampoline_kernelINS0_14default_configENS1_36segmented_radix_sort_config_selectorI12hip_bfloat16lEEZNS1_25segmented_radix_sort_implIS3_Lb0EPKS5_PS5_PKlPlN2at6native12_GLOBAL__N_18offset_tEEE10hipError_tPvRmT1_PNSt15iterator_traitsISL_E10value_typeET2_T3_PNSM_ISR_E10value_typeET4_jRbjT5_SX_jjP12ihipStream_tbEUlT_E1_NS1_11comp_targetILNS1_3genE10ELNS1_11target_archE1201ELNS1_3gpuE5ELNS1_3repE0EEENS1_59segmented_radix_sort_warp_sort_small_config_static_selectorELNS0_4arch9wavefront6targetE1EEEvSL_.kd
    .uniform_work_group_size: 1
    .uses_dynamic_stack: false
    .vgpr_count:     0
    .vgpr_spill_count: 0
    .wavefront_size: 64
  - .agpr_count:     0
    .args:
      - .offset:         0
        .size:           88
        .value_kind:     by_value
    .group_segment_fixed_size: 0
    .kernarg_segment_align: 8
    .kernarg_segment_size: 88
    .language:       OpenCL C
    .language_version:
      - 2
      - 0
    .max_flat_workgroup_size: 256
    .name:           _ZN7rocprim17ROCPRIM_400000_NS6detail17trampoline_kernelINS0_14default_configENS1_36segmented_radix_sort_config_selectorI12hip_bfloat16lEEZNS1_25segmented_radix_sort_implIS3_Lb0EPKS5_PS5_PKlPlN2at6native12_GLOBAL__N_18offset_tEEE10hipError_tPvRmT1_PNSt15iterator_traitsISL_E10value_typeET2_T3_PNSM_ISR_E10value_typeET4_jRbjT5_SX_jjP12ihipStream_tbEUlT_E1_NS1_11comp_targetILNS1_3genE10ELNS1_11target_archE1200ELNS1_3gpuE4ELNS1_3repE0EEENS1_59segmented_radix_sort_warp_sort_small_config_static_selectorELNS0_4arch9wavefront6targetE1EEEvSL_
    .private_segment_fixed_size: 0
    .sgpr_count:     4
    .sgpr_spill_count: 0
    .symbol:         _ZN7rocprim17ROCPRIM_400000_NS6detail17trampoline_kernelINS0_14default_configENS1_36segmented_radix_sort_config_selectorI12hip_bfloat16lEEZNS1_25segmented_radix_sort_implIS3_Lb0EPKS5_PS5_PKlPlN2at6native12_GLOBAL__N_18offset_tEEE10hipError_tPvRmT1_PNSt15iterator_traitsISL_E10value_typeET2_T3_PNSM_ISR_E10value_typeET4_jRbjT5_SX_jjP12ihipStream_tbEUlT_E1_NS1_11comp_targetILNS1_3genE10ELNS1_11target_archE1200ELNS1_3gpuE4ELNS1_3repE0EEENS1_59segmented_radix_sort_warp_sort_small_config_static_selectorELNS0_4arch9wavefront6targetE1EEEvSL_.kd
    .uniform_work_group_size: 1
    .uses_dynamic_stack: false
    .vgpr_count:     0
    .vgpr_spill_count: 0
    .wavefront_size: 64
  - .agpr_count:     0
    .args:
      - .offset:         0
        .size:           88
        .value_kind:     by_value
    .group_segment_fixed_size: 0
    .kernarg_segment_align: 8
    .kernarg_segment_size: 88
    .language:       OpenCL C
    .language_version:
      - 2
      - 0
    .max_flat_workgroup_size: 256
    .name:           _ZN7rocprim17ROCPRIM_400000_NS6detail17trampoline_kernelINS0_14default_configENS1_36segmented_radix_sort_config_selectorI12hip_bfloat16lEEZNS1_25segmented_radix_sort_implIS3_Lb0EPKS5_PS5_PKlPlN2at6native12_GLOBAL__N_18offset_tEEE10hipError_tPvRmT1_PNSt15iterator_traitsISL_E10value_typeET2_T3_PNSM_ISR_E10value_typeET4_jRbjT5_SX_jjP12ihipStream_tbEUlT_E1_NS1_11comp_targetILNS1_3genE9ELNS1_11target_archE1100ELNS1_3gpuE3ELNS1_3repE0EEENS1_59segmented_radix_sort_warp_sort_small_config_static_selectorELNS0_4arch9wavefront6targetE1EEEvSL_
    .private_segment_fixed_size: 0
    .sgpr_count:     4
    .sgpr_spill_count: 0
    .symbol:         _ZN7rocprim17ROCPRIM_400000_NS6detail17trampoline_kernelINS0_14default_configENS1_36segmented_radix_sort_config_selectorI12hip_bfloat16lEEZNS1_25segmented_radix_sort_implIS3_Lb0EPKS5_PS5_PKlPlN2at6native12_GLOBAL__N_18offset_tEEE10hipError_tPvRmT1_PNSt15iterator_traitsISL_E10value_typeET2_T3_PNSM_ISR_E10value_typeET4_jRbjT5_SX_jjP12ihipStream_tbEUlT_E1_NS1_11comp_targetILNS1_3genE9ELNS1_11target_archE1100ELNS1_3gpuE3ELNS1_3repE0EEENS1_59segmented_radix_sort_warp_sort_small_config_static_selectorELNS0_4arch9wavefront6targetE1EEEvSL_.kd
    .uniform_work_group_size: 1
    .uses_dynamic_stack: false
    .vgpr_count:     0
    .vgpr_spill_count: 0
    .wavefront_size: 64
  - .agpr_count:     0
    .args:
      - .offset:         0
        .size:           88
        .value_kind:     by_value
    .group_segment_fixed_size: 0
    .kernarg_segment_align: 8
    .kernarg_segment_size: 88
    .language:       OpenCL C
    .language_version:
      - 2
      - 0
    .max_flat_workgroup_size: 256
    .name:           _ZN7rocprim17ROCPRIM_400000_NS6detail17trampoline_kernelINS0_14default_configENS1_36segmented_radix_sort_config_selectorI12hip_bfloat16lEEZNS1_25segmented_radix_sort_implIS3_Lb0EPKS5_PS5_PKlPlN2at6native12_GLOBAL__N_18offset_tEEE10hipError_tPvRmT1_PNSt15iterator_traitsISL_E10value_typeET2_T3_PNSM_ISR_E10value_typeET4_jRbjT5_SX_jjP12ihipStream_tbEUlT_E1_NS1_11comp_targetILNS1_3genE8ELNS1_11target_archE1030ELNS1_3gpuE2ELNS1_3repE0EEENS1_59segmented_radix_sort_warp_sort_small_config_static_selectorELNS0_4arch9wavefront6targetE1EEEvSL_
    .private_segment_fixed_size: 0
    .sgpr_count:     4
    .sgpr_spill_count: 0
    .symbol:         _ZN7rocprim17ROCPRIM_400000_NS6detail17trampoline_kernelINS0_14default_configENS1_36segmented_radix_sort_config_selectorI12hip_bfloat16lEEZNS1_25segmented_radix_sort_implIS3_Lb0EPKS5_PS5_PKlPlN2at6native12_GLOBAL__N_18offset_tEEE10hipError_tPvRmT1_PNSt15iterator_traitsISL_E10value_typeET2_T3_PNSM_ISR_E10value_typeET4_jRbjT5_SX_jjP12ihipStream_tbEUlT_E1_NS1_11comp_targetILNS1_3genE8ELNS1_11target_archE1030ELNS1_3gpuE2ELNS1_3repE0EEENS1_59segmented_radix_sort_warp_sort_small_config_static_selectorELNS0_4arch9wavefront6targetE1EEEvSL_.kd
    .uniform_work_group_size: 1
    .uses_dynamic_stack: false
    .vgpr_count:     0
    .vgpr_spill_count: 0
    .wavefront_size: 64
  - .agpr_count:     0
    .args:
      - .offset:         0
        .size:           80
        .value_kind:     by_value
    .group_segment_fixed_size: 0
    .kernarg_segment_align: 8
    .kernarg_segment_size: 80
    .language:       OpenCL C
    .language_version:
      - 2
      - 0
    .max_flat_workgroup_size: 256
    .name:           _ZN7rocprim17ROCPRIM_400000_NS6detail17trampoline_kernelINS0_14default_configENS1_36segmented_radix_sort_config_selectorI12hip_bfloat16lEEZNS1_25segmented_radix_sort_implIS3_Lb0EPKS5_PS5_PKlPlN2at6native12_GLOBAL__N_18offset_tEEE10hipError_tPvRmT1_PNSt15iterator_traitsISL_E10value_typeET2_T3_PNSM_ISR_E10value_typeET4_jRbjT5_SX_jjP12ihipStream_tbEUlT_E2_NS1_11comp_targetILNS1_3genE0ELNS1_11target_archE4294967295ELNS1_3gpuE0ELNS1_3repE0EEENS1_30default_config_static_selectorELNS0_4arch9wavefront6targetE1EEEvSL_
    .private_segment_fixed_size: 0
    .sgpr_count:     4
    .sgpr_spill_count: 0
    .symbol:         _ZN7rocprim17ROCPRIM_400000_NS6detail17trampoline_kernelINS0_14default_configENS1_36segmented_radix_sort_config_selectorI12hip_bfloat16lEEZNS1_25segmented_radix_sort_implIS3_Lb0EPKS5_PS5_PKlPlN2at6native12_GLOBAL__N_18offset_tEEE10hipError_tPvRmT1_PNSt15iterator_traitsISL_E10value_typeET2_T3_PNSM_ISR_E10value_typeET4_jRbjT5_SX_jjP12ihipStream_tbEUlT_E2_NS1_11comp_targetILNS1_3genE0ELNS1_11target_archE4294967295ELNS1_3gpuE0ELNS1_3repE0EEENS1_30default_config_static_selectorELNS0_4arch9wavefront6targetE1EEEvSL_.kd
    .uniform_work_group_size: 1
    .uses_dynamic_stack: false
    .vgpr_count:     0
    .vgpr_spill_count: 0
    .wavefront_size: 64
  - .agpr_count:     0
    .args:
      - .offset:         0
        .size:           80
        .value_kind:     by_value
    .group_segment_fixed_size: 0
    .kernarg_segment_align: 8
    .kernarg_segment_size: 80
    .language:       OpenCL C
    .language_version:
      - 2
      - 0
    .max_flat_workgroup_size: 256
    .name:           _ZN7rocprim17ROCPRIM_400000_NS6detail17trampoline_kernelINS0_14default_configENS1_36segmented_radix_sort_config_selectorI12hip_bfloat16lEEZNS1_25segmented_radix_sort_implIS3_Lb0EPKS5_PS5_PKlPlN2at6native12_GLOBAL__N_18offset_tEEE10hipError_tPvRmT1_PNSt15iterator_traitsISL_E10value_typeET2_T3_PNSM_ISR_E10value_typeET4_jRbjT5_SX_jjP12ihipStream_tbEUlT_E2_NS1_11comp_targetILNS1_3genE5ELNS1_11target_archE942ELNS1_3gpuE9ELNS1_3repE0EEENS1_30default_config_static_selectorELNS0_4arch9wavefront6targetE1EEEvSL_
    .private_segment_fixed_size: 0
    .sgpr_count:     4
    .sgpr_spill_count: 0
    .symbol:         _ZN7rocprim17ROCPRIM_400000_NS6detail17trampoline_kernelINS0_14default_configENS1_36segmented_radix_sort_config_selectorI12hip_bfloat16lEEZNS1_25segmented_radix_sort_implIS3_Lb0EPKS5_PS5_PKlPlN2at6native12_GLOBAL__N_18offset_tEEE10hipError_tPvRmT1_PNSt15iterator_traitsISL_E10value_typeET2_T3_PNSM_ISR_E10value_typeET4_jRbjT5_SX_jjP12ihipStream_tbEUlT_E2_NS1_11comp_targetILNS1_3genE5ELNS1_11target_archE942ELNS1_3gpuE9ELNS1_3repE0EEENS1_30default_config_static_selectorELNS0_4arch9wavefront6targetE1EEEvSL_.kd
    .uniform_work_group_size: 1
    .uses_dynamic_stack: false
    .vgpr_count:     0
    .vgpr_spill_count: 0
    .wavefront_size: 64
  - .agpr_count:     0
    .args:
      - .offset:         0
        .size:           80
        .value_kind:     by_value
      - .offset:         80
        .size:           4
        .value_kind:     hidden_block_count_x
      - .offset:         84
        .size:           4
        .value_kind:     hidden_block_count_y
      - .offset:         88
        .size:           4
        .value_kind:     hidden_block_count_z
      - .offset:         92
        .size:           2
        .value_kind:     hidden_group_size_x
      - .offset:         94
        .size:           2
        .value_kind:     hidden_group_size_y
      - .offset:         96
        .size:           2
        .value_kind:     hidden_group_size_z
      - .offset:         98
        .size:           2
        .value_kind:     hidden_remainder_x
      - .offset:         100
        .size:           2
        .value_kind:     hidden_remainder_y
      - .offset:         102
        .size:           2
        .value_kind:     hidden_remainder_z
      - .offset:         120
        .size:           8
        .value_kind:     hidden_global_offset_x
      - .offset:         128
        .size:           8
        .value_kind:     hidden_global_offset_y
      - .offset:         136
        .size:           8
        .value_kind:     hidden_global_offset_z
      - .offset:         144
        .size:           2
        .value_kind:     hidden_grid_dims
      - .offset:         160
        .size:           8
        .value_kind:     hidden_hostcall_buffer
      - .offset:         168
        .size:           8
        .value_kind:     hidden_multigrid_sync_arg
      - .offset:         176
        .size:           8
        .value_kind:     hidden_heap_v1
      - .offset:         184
        .size:           8
        .value_kind:     hidden_default_queue
      - .offset:         192
        .size:           8
        .value_kind:     hidden_completion_action
      - .offset:         280
        .size:           8
        .value_kind:     hidden_queue_ptr
    .group_segment_fixed_size: 17424
    .kernarg_segment_align: 8
    .kernarg_segment_size: 336
    .language:       OpenCL C
    .language_version:
      - 2
      - 0
    .max_flat_workgroup_size: 256
    .name:           _ZN7rocprim17ROCPRIM_400000_NS6detail17trampoline_kernelINS0_14default_configENS1_36segmented_radix_sort_config_selectorI12hip_bfloat16lEEZNS1_25segmented_radix_sort_implIS3_Lb0EPKS5_PS5_PKlPlN2at6native12_GLOBAL__N_18offset_tEEE10hipError_tPvRmT1_PNSt15iterator_traitsISL_E10value_typeET2_T3_PNSM_ISR_E10value_typeET4_jRbjT5_SX_jjP12ihipStream_tbEUlT_E2_NS1_11comp_targetILNS1_3genE4ELNS1_11target_archE910ELNS1_3gpuE8ELNS1_3repE0EEENS1_30default_config_static_selectorELNS0_4arch9wavefront6targetE1EEEvSL_
    .private_segment_fixed_size: 8
    .sgpr_count:     87
    .sgpr_spill_count: 0
    .symbol:         _ZN7rocprim17ROCPRIM_400000_NS6detail17trampoline_kernelINS0_14default_configENS1_36segmented_radix_sort_config_selectorI12hip_bfloat16lEEZNS1_25segmented_radix_sort_implIS3_Lb0EPKS5_PS5_PKlPlN2at6native12_GLOBAL__N_18offset_tEEE10hipError_tPvRmT1_PNSt15iterator_traitsISL_E10value_typeET2_T3_PNSM_ISR_E10value_typeET4_jRbjT5_SX_jjP12ihipStream_tbEUlT_E2_NS1_11comp_targetILNS1_3genE4ELNS1_11target_archE910ELNS1_3gpuE8ELNS1_3repE0EEENS1_30default_config_static_selectorELNS0_4arch9wavefront6targetE1EEEvSL_.kd
    .uniform_work_group_size: 1
    .uses_dynamic_stack: false
    .vgpr_count:     178
    .vgpr_spill_count: 0
    .wavefront_size: 64
  - .agpr_count:     0
    .args:
      - .offset:         0
        .size:           80
        .value_kind:     by_value
    .group_segment_fixed_size: 0
    .kernarg_segment_align: 8
    .kernarg_segment_size: 80
    .language:       OpenCL C
    .language_version:
      - 2
      - 0
    .max_flat_workgroup_size: 256
    .name:           _ZN7rocprim17ROCPRIM_400000_NS6detail17trampoline_kernelINS0_14default_configENS1_36segmented_radix_sort_config_selectorI12hip_bfloat16lEEZNS1_25segmented_radix_sort_implIS3_Lb0EPKS5_PS5_PKlPlN2at6native12_GLOBAL__N_18offset_tEEE10hipError_tPvRmT1_PNSt15iterator_traitsISL_E10value_typeET2_T3_PNSM_ISR_E10value_typeET4_jRbjT5_SX_jjP12ihipStream_tbEUlT_E2_NS1_11comp_targetILNS1_3genE3ELNS1_11target_archE908ELNS1_3gpuE7ELNS1_3repE0EEENS1_30default_config_static_selectorELNS0_4arch9wavefront6targetE1EEEvSL_
    .private_segment_fixed_size: 0
    .sgpr_count:     4
    .sgpr_spill_count: 0
    .symbol:         _ZN7rocprim17ROCPRIM_400000_NS6detail17trampoline_kernelINS0_14default_configENS1_36segmented_radix_sort_config_selectorI12hip_bfloat16lEEZNS1_25segmented_radix_sort_implIS3_Lb0EPKS5_PS5_PKlPlN2at6native12_GLOBAL__N_18offset_tEEE10hipError_tPvRmT1_PNSt15iterator_traitsISL_E10value_typeET2_T3_PNSM_ISR_E10value_typeET4_jRbjT5_SX_jjP12ihipStream_tbEUlT_E2_NS1_11comp_targetILNS1_3genE3ELNS1_11target_archE908ELNS1_3gpuE7ELNS1_3repE0EEENS1_30default_config_static_selectorELNS0_4arch9wavefront6targetE1EEEvSL_.kd
    .uniform_work_group_size: 1
    .uses_dynamic_stack: false
    .vgpr_count:     0
    .vgpr_spill_count: 0
    .wavefront_size: 64
  - .agpr_count:     0
    .args:
      - .offset:         0
        .size:           80
        .value_kind:     by_value
    .group_segment_fixed_size: 0
    .kernarg_segment_align: 8
    .kernarg_segment_size: 80
    .language:       OpenCL C
    .language_version:
      - 2
      - 0
    .max_flat_workgroup_size: 256
    .name:           _ZN7rocprim17ROCPRIM_400000_NS6detail17trampoline_kernelINS0_14default_configENS1_36segmented_radix_sort_config_selectorI12hip_bfloat16lEEZNS1_25segmented_radix_sort_implIS3_Lb0EPKS5_PS5_PKlPlN2at6native12_GLOBAL__N_18offset_tEEE10hipError_tPvRmT1_PNSt15iterator_traitsISL_E10value_typeET2_T3_PNSM_ISR_E10value_typeET4_jRbjT5_SX_jjP12ihipStream_tbEUlT_E2_NS1_11comp_targetILNS1_3genE2ELNS1_11target_archE906ELNS1_3gpuE6ELNS1_3repE0EEENS1_30default_config_static_selectorELNS0_4arch9wavefront6targetE1EEEvSL_
    .private_segment_fixed_size: 0
    .sgpr_count:     4
    .sgpr_spill_count: 0
    .symbol:         _ZN7rocprim17ROCPRIM_400000_NS6detail17trampoline_kernelINS0_14default_configENS1_36segmented_radix_sort_config_selectorI12hip_bfloat16lEEZNS1_25segmented_radix_sort_implIS3_Lb0EPKS5_PS5_PKlPlN2at6native12_GLOBAL__N_18offset_tEEE10hipError_tPvRmT1_PNSt15iterator_traitsISL_E10value_typeET2_T3_PNSM_ISR_E10value_typeET4_jRbjT5_SX_jjP12ihipStream_tbEUlT_E2_NS1_11comp_targetILNS1_3genE2ELNS1_11target_archE906ELNS1_3gpuE6ELNS1_3repE0EEENS1_30default_config_static_selectorELNS0_4arch9wavefront6targetE1EEEvSL_.kd
    .uniform_work_group_size: 1
    .uses_dynamic_stack: false
    .vgpr_count:     0
    .vgpr_spill_count: 0
    .wavefront_size: 64
  - .agpr_count:     0
    .args:
      - .offset:         0
        .size:           80
        .value_kind:     by_value
    .group_segment_fixed_size: 0
    .kernarg_segment_align: 8
    .kernarg_segment_size: 80
    .language:       OpenCL C
    .language_version:
      - 2
      - 0
    .max_flat_workgroup_size: 256
    .name:           _ZN7rocprim17ROCPRIM_400000_NS6detail17trampoline_kernelINS0_14default_configENS1_36segmented_radix_sort_config_selectorI12hip_bfloat16lEEZNS1_25segmented_radix_sort_implIS3_Lb0EPKS5_PS5_PKlPlN2at6native12_GLOBAL__N_18offset_tEEE10hipError_tPvRmT1_PNSt15iterator_traitsISL_E10value_typeET2_T3_PNSM_ISR_E10value_typeET4_jRbjT5_SX_jjP12ihipStream_tbEUlT_E2_NS1_11comp_targetILNS1_3genE10ELNS1_11target_archE1201ELNS1_3gpuE5ELNS1_3repE0EEENS1_30default_config_static_selectorELNS0_4arch9wavefront6targetE1EEEvSL_
    .private_segment_fixed_size: 0
    .sgpr_count:     4
    .sgpr_spill_count: 0
    .symbol:         _ZN7rocprim17ROCPRIM_400000_NS6detail17trampoline_kernelINS0_14default_configENS1_36segmented_radix_sort_config_selectorI12hip_bfloat16lEEZNS1_25segmented_radix_sort_implIS3_Lb0EPKS5_PS5_PKlPlN2at6native12_GLOBAL__N_18offset_tEEE10hipError_tPvRmT1_PNSt15iterator_traitsISL_E10value_typeET2_T3_PNSM_ISR_E10value_typeET4_jRbjT5_SX_jjP12ihipStream_tbEUlT_E2_NS1_11comp_targetILNS1_3genE10ELNS1_11target_archE1201ELNS1_3gpuE5ELNS1_3repE0EEENS1_30default_config_static_selectorELNS0_4arch9wavefront6targetE1EEEvSL_.kd
    .uniform_work_group_size: 1
    .uses_dynamic_stack: false
    .vgpr_count:     0
    .vgpr_spill_count: 0
    .wavefront_size: 64
  - .agpr_count:     0
    .args:
      - .offset:         0
        .size:           80
        .value_kind:     by_value
    .group_segment_fixed_size: 0
    .kernarg_segment_align: 8
    .kernarg_segment_size: 80
    .language:       OpenCL C
    .language_version:
      - 2
      - 0
    .max_flat_workgroup_size: 128
    .name:           _ZN7rocprim17ROCPRIM_400000_NS6detail17trampoline_kernelINS0_14default_configENS1_36segmented_radix_sort_config_selectorI12hip_bfloat16lEEZNS1_25segmented_radix_sort_implIS3_Lb0EPKS5_PS5_PKlPlN2at6native12_GLOBAL__N_18offset_tEEE10hipError_tPvRmT1_PNSt15iterator_traitsISL_E10value_typeET2_T3_PNSM_ISR_E10value_typeET4_jRbjT5_SX_jjP12ihipStream_tbEUlT_E2_NS1_11comp_targetILNS1_3genE10ELNS1_11target_archE1200ELNS1_3gpuE4ELNS1_3repE0EEENS1_30default_config_static_selectorELNS0_4arch9wavefront6targetE1EEEvSL_
    .private_segment_fixed_size: 0
    .sgpr_count:     4
    .sgpr_spill_count: 0
    .symbol:         _ZN7rocprim17ROCPRIM_400000_NS6detail17trampoline_kernelINS0_14default_configENS1_36segmented_radix_sort_config_selectorI12hip_bfloat16lEEZNS1_25segmented_radix_sort_implIS3_Lb0EPKS5_PS5_PKlPlN2at6native12_GLOBAL__N_18offset_tEEE10hipError_tPvRmT1_PNSt15iterator_traitsISL_E10value_typeET2_T3_PNSM_ISR_E10value_typeET4_jRbjT5_SX_jjP12ihipStream_tbEUlT_E2_NS1_11comp_targetILNS1_3genE10ELNS1_11target_archE1200ELNS1_3gpuE4ELNS1_3repE0EEENS1_30default_config_static_selectorELNS0_4arch9wavefront6targetE1EEEvSL_.kd
    .uniform_work_group_size: 1
    .uses_dynamic_stack: false
    .vgpr_count:     0
    .vgpr_spill_count: 0
    .wavefront_size: 64
  - .agpr_count:     0
    .args:
      - .offset:         0
        .size:           80
        .value_kind:     by_value
    .group_segment_fixed_size: 0
    .kernarg_segment_align: 8
    .kernarg_segment_size: 80
    .language:       OpenCL C
    .language_version:
      - 2
      - 0
    .max_flat_workgroup_size: 256
    .name:           _ZN7rocprim17ROCPRIM_400000_NS6detail17trampoline_kernelINS0_14default_configENS1_36segmented_radix_sort_config_selectorI12hip_bfloat16lEEZNS1_25segmented_radix_sort_implIS3_Lb0EPKS5_PS5_PKlPlN2at6native12_GLOBAL__N_18offset_tEEE10hipError_tPvRmT1_PNSt15iterator_traitsISL_E10value_typeET2_T3_PNSM_ISR_E10value_typeET4_jRbjT5_SX_jjP12ihipStream_tbEUlT_E2_NS1_11comp_targetILNS1_3genE9ELNS1_11target_archE1100ELNS1_3gpuE3ELNS1_3repE0EEENS1_30default_config_static_selectorELNS0_4arch9wavefront6targetE1EEEvSL_
    .private_segment_fixed_size: 0
    .sgpr_count:     4
    .sgpr_spill_count: 0
    .symbol:         _ZN7rocprim17ROCPRIM_400000_NS6detail17trampoline_kernelINS0_14default_configENS1_36segmented_radix_sort_config_selectorI12hip_bfloat16lEEZNS1_25segmented_radix_sort_implIS3_Lb0EPKS5_PS5_PKlPlN2at6native12_GLOBAL__N_18offset_tEEE10hipError_tPvRmT1_PNSt15iterator_traitsISL_E10value_typeET2_T3_PNSM_ISR_E10value_typeET4_jRbjT5_SX_jjP12ihipStream_tbEUlT_E2_NS1_11comp_targetILNS1_3genE9ELNS1_11target_archE1100ELNS1_3gpuE3ELNS1_3repE0EEENS1_30default_config_static_selectorELNS0_4arch9wavefront6targetE1EEEvSL_.kd
    .uniform_work_group_size: 1
    .uses_dynamic_stack: false
    .vgpr_count:     0
    .vgpr_spill_count: 0
    .wavefront_size: 64
  - .agpr_count:     0
    .args:
      - .offset:         0
        .size:           80
        .value_kind:     by_value
    .group_segment_fixed_size: 0
    .kernarg_segment_align: 8
    .kernarg_segment_size: 80
    .language:       OpenCL C
    .language_version:
      - 2
      - 0
    .max_flat_workgroup_size: 256
    .name:           _ZN7rocprim17ROCPRIM_400000_NS6detail17trampoline_kernelINS0_14default_configENS1_36segmented_radix_sort_config_selectorI12hip_bfloat16lEEZNS1_25segmented_radix_sort_implIS3_Lb0EPKS5_PS5_PKlPlN2at6native12_GLOBAL__N_18offset_tEEE10hipError_tPvRmT1_PNSt15iterator_traitsISL_E10value_typeET2_T3_PNSM_ISR_E10value_typeET4_jRbjT5_SX_jjP12ihipStream_tbEUlT_E2_NS1_11comp_targetILNS1_3genE8ELNS1_11target_archE1030ELNS1_3gpuE2ELNS1_3repE0EEENS1_30default_config_static_selectorELNS0_4arch9wavefront6targetE1EEEvSL_
    .private_segment_fixed_size: 0
    .sgpr_count:     4
    .sgpr_spill_count: 0
    .symbol:         _ZN7rocprim17ROCPRIM_400000_NS6detail17trampoline_kernelINS0_14default_configENS1_36segmented_radix_sort_config_selectorI12hip_bfloat16lEEZNS1_25segmented_radix_sort_implIS3_Lb0EPKS5_PS5_PKlPlN2at6native12_GLOBAL__N_18offset_tEEE10hipError_tPvRmT1_PNSt15iterator_traitsISL_E10value_typeET2_T3_PNSM_ISR_E10value_typeET4_jRbjT5_SX_jjP12ihipStream_tbEUlT_E2_NS1_11comp_targetILNS1_3genE8ELNS1_11target_archE1030ELNS1_3gpuE2ELNS1_3repE0EEENS1_30default_config_static_selectorELNS0_4arch9wavefront6targetE1EEEvSL_.kd
    .uniform_work_group_size: 1
    .uses_dynamic_stack: false
    .vgpr_count:     0
    .vgpr_spill_count: 0
    .wavefront_size: 64
amdhsa.target:   amdgcn-amd-amdhsa--gfx90a
amdhsa.version:
  - 1
  - 2
...

	.end_amdgpu_metadata
